;; amdgpu-corpus repo=pytorch/pytorch kind=compiled arch=gfx950 opt=O3
	.amdgcn_target "amdgcn-amd-amdhsa--gfx950"
	.amdhsa_code_object_version 6
	.section	.text._ZN2at6native29vectorized_elementwise_kernelILi16EZNS0_23bitwise_not_kernel_cudaERNS_18TensorIteratorBaseEEUlbE_St5arrayIPcLm2EEEEviT0_T1_,"axG",@progbits,_ZN2at6native29vectorized_elementwise_kernelILi16EZNS0_23bitwise_not_kernel_cudaERNS_18TensorIteratorBaseEEUlbE_St5arrayIPcLm2EEEEviT0_T1_,comdat
	.globl	_ZN2at6native29vectorized_elementwise_kernelILi16EZNS0_23bitwise_not_kernel_cudaERNS_18TensorIteratorBaseEEUlbE_St5arrayIPcLm2EEEEviT0_T1_ ; -- Begin function _ZN2at6native29vectorized_elementwise_kernelILi16EZNS0_23bitwise_not_kernel_cudaERNS_18TensorIteratorBaseEEUlbE_St5arrayIPcLm2EEEEviT0_T1_
	.p2align	8
	.type	_ZN2at6native29vectorized_elementwise_kernelILi16EZNS0_23bitwise_not_kernel_cudaERNS_18TensorIteratorBaseEEUlbE_St5arrayIPcLm2EEEEviT0_T1_,@function
_ZN2at6native29vectorized_elementwise_kernelILi16EZNS0_23bitwise_not_kernel_cudaERNS_18TensorIteratorBaseEEUlbE_St5arrayIPcLm2EEEEviT0_T1_: ; @_ZN2at6native29vectorized_elementwise_kernelILi16EZNS0_23bitwise_not_kernel_cudaERNS_18TensorIteratorBaseEEUlbE_St5arrayIPcLm2EEEEviT0_T1_
; %bb.0:
	s_load_dword s3, s[0:1], 0x0
	s_load_dwordx4 s[4:7], s[0:1], 0x8
	s_lshl_b32 s33, s2, 12
	s_mov_b64 s[0:1], -1
	s_waitcnt lgkmcnt(0)
	s_sub_i32 s42, s3, s33
	s_cmpk_gt_i32 s42, 0xfff
	s_cbranch_scc0 .LBB0_2
; %bb.1:
	s_ashr_i32 s2, s33, 31
	s_add_u32 s0, s6, s33
	s_addc_u32 s1, s7, s2
	v_lshlrev_b32_e32 v1, 4, v0
	global_load_dwordx4 v[2:5], v1, s[0:1]
	s_movk_i32 s3, 0xff
	v_mov_b32_e32 v6, 0
	s_add_u32 s0, s4, s33
	s_addc_u32 s1, s5, s2
	s_waitcnt vmcnt(0)
	v_and_b32_sdwa v7, v3, s3 dst_sel:DWORD dst_unused:UNUSED_PAD src0_sel:WORD_1 src1_sel:DWORD
	v_and_b32_sdwa v8, v2, s3 dst_sel:DWORD dst_unused:UNUSED_PAD src0_sel:WORD_1 src1_sel:DWORD
	;; [unrolled: 1-line block ×4, first 2 shown]
	v_cmp_eq_u16_sdwa s[2:3], v3, v6 src0_sel:BYTE_1 src1_sel:DWORD
	v_cmp_eq_u16_e32 vcc, 0, v7
	s_nop 0
	v_cndmask_b32_e64 v11, 0, 1, s[2:3]
	v_cmp_eq_u16_sdwa s[2:3], v3, v6 src0_sel:BYTE_0 src1_sel:DWORD
	v_cndmask_b32_e64 v7, 0, 1, vcc
	v_cmp_eq_u16_e32 vcc, 0, v8
	v_cndmask_b32_e64 v12, 0, 1, s[2:3]
	v_cmp_eq_u16_sdwa s[2:3], v3, v6 src0_sel:BYTE_3 src1_sel:DWORD
	v_cndmask_b32_e64 v8, 0, 1, vcc
	v_cmp_eq_u16_e32 vcc, 0, v9
	v_cndmask_b32_e64 v3, 0, 1, s[2:3]
	v_cmp_eq_u16_sdwa s[2:3], v2, v6 src0_sel:BYTE_1 src1_sel:DWORD
	v_cndmask_b32_e64 v9, 0, 1, vcc
	v_cmp_eq_u16_e32 vcc, 0, v10
	v_cndmask_b32_e64 v13, 0, 1, s[2:3]
	v_cmp_eq_u16_sdwa s[2:3], v2, v6 src0_sel:BYTE_0 src1_sel:DWORD
	v_lshlrev_b16_e32 v3, 8, v3
	v_cndmask_b32_e64 v10, 0, 1, vcc
	v_cndmask_b32_e64 v14, 0, 1, s[2:3]
	v_cmp_eq_u16_sdwa s[2:3], v2, v6 src0_sel:BYTE_3 src1_sel:DWORD
	v_or_b32_sdwa v3, v7, v3 dst_sel:WORD_1 dst_unused:UNUSED_PAD src0_sel:DWORD src1_sel:DWORD
	s_nop 0
	v_cndmask_b32_e64 v2, 0, 1, s[2:3]
	v_cmp_eq_u16_sdwa s[2:3], v5, v6 src0_sel:BYTE_1 src1_sel:DWORD
	v_lshlrev_b16_e32 v2, 8, v2
	v_or_b32_sdwa v2, v8, v2 dst_sel:WORD_1 dst_unused:UNUSED_PAD src0_sel:DWORD src1_sel:DWORD
	v_cndmask_b32_e64 v15, 0, 1, s[2:3]
	v_cmp_eq_u16_sdwa s[2:3], v5, v6 src0_sel:BYTE_0 src1_sel:DWORD
	s_nop 1
	v_cndmask_b32_e64 v16, 0, 1, s[2:3]
	v_cmp_eq_u16_sdwa s[2:3], v5, v6 src0_sel:BYTE_3 src1_sel:DWORD
	s_nop 1
	v_cndmask_b32_e64 v5, 0, 1, s[2:3]
	v_cmp_eq_u16_sdwa s[2:3], v4, v6 src0_sel:BYTE_1 src1_sel:DWORD
	v_lshlrev_b16_e32 v5, 8, v5
	v_or_b32_sdwa v5, v9, v5 dst_sel:WORD_1 dst_unused:UNUSED_PAD src0_sel:DWORD src1_sel:DWORD
	v_cndmask_b32_e64 v17, 0, 1, s[2:3]
	v_cmp_eq_u16_sdwa s[2:3], v4, v6 src0_sel:BYTE_0 src1_sel:DWORD
	s_nop 1
	v_cndmask_b32_e64 v18, 0, 1, s[2:3]
	v_cmp_eq_u16_sdwa s[2:3], v4, v6 src0_sel:BYTE_3 src1_sel:DWORD
	v_lshlrev_b16_e32 v6, 8, v11
	v_lshlrev_b16_e32 v11, 8, v13
	v_cndmask_b32_e64 v4, 0, 1, s[2:3]
	v_lshlrev_b16_e32 v13, 8, v15
	v_lshlrev_b16_e32 v15, 8, v17
	;; [unrolled: 1-line block ×3, first 2 shown]
	v_or_b32_e32 v6, v12, v6
	v_or_b32_e32 v7, v14, v11
	;; [unrolled: 1-line block ×4, first 2 shown]
	v_or_b32_sdwa v4, v10, v4 dst_sel:WORD_1 dst_unused:UNUSED_PAD src0_sel:DWORD src1_sel:DWORD
	v_or_b32_sdwa v3, v6, v3 dst_sel:DWORD dst_unused:UNUSED_PAD src0_sel:WORD_0 src1_sel:DWORD
	v_or_b32_sdwa v2, v7, v2 dst_sel:DWORD dst_unused:UNUSED_PAD src0_sel:WORD_0 src1_sel:DWORD
	;; [unrolled: 1-line block ×4, first 2 shown]
	global_store_dwordx4 v1, v[2:5], s[0:1]
	s_mov_b64 s[0:1], 0
.LBB0_2:
	s_andn2_b64 vcc, exec, s[0:1]
	s_cbranch_vccnz .LBB0_52
; %bb.3:
	v_cmp_gt_i32_e32 vcc, s42, v0
	s_mov_b64 s[2:3], -1
	v_or_b32_e32 v1, s33, v0
	s_mov_b64 s[8:9], -1
	v_mov_b32_e32 v2, v0
	s_and_saveexec_b64 s[10:11], vcc
	s_cbranch_execz .LBB0_5
; %bb.4:
	global_load_ubyte v3, v1, s[6:7]
	v_or_b32_e32 v2, 0x100, v0
	s_waitcnt vmcnt(0)
	v_cmp_eq_u16_e64 s[0:1], 0, v3
	s_orn2_b64 s[8:9], s[0:1], exec
.LBB0_5:
	s_or_b64 exec, exec, s[10:11]
	v_cmp_gt_i32_e64 s[0:1], s42, v2
	s_and_saveexec_b64 s[10:11], s[0:1]
	s_cbranch_execz .LBB0_7
; %bb.6:
	v_add_u32_e32 v3, s33, v2
	global_load_ubyte v3, v3, s[6:7]
	v_add_u32_e32 v2, 0x100, v2
	s_waitcnt vmcnt(0)
	v_cmp_eq_u16_e64 s[0:1], 0, v3
	s_orn2_b64 s[2:3], s[0:1], exec
.LBB0_7:
	s_or_b64 exec, exec, s[10:11]
	v_cmp_gt_i32_e64 s[0:1], s42, v2
	s_mov_b64 s[10:11], -1
	s_mov_b64 s[12:13], -1
	s_and_saveexec_b64 s[14:15], s[0:1]
	s_cbranch_execz .LBB0_9
; %bb.8:
	v_add_u32_e32 v3, s33, v2
	global_load_ubyte v3, v3, s[6:7]
	v_add_u32_e32 v2, 0x100, v2
	s_waitcnt vmcnt(0)
	v_cmp_eq_u16_e64 s[0:1], 0, v3
	s_orn2_b64 s[12:13], s[0:1], exec
.LBB0_9:
	s_or_b64 exec, exec, s[14:15]
	v_cmp_gt_i32_e64 s[0:1], s42, v2
	s_and_saveexec_b64 s[14:15], s[0:1]
	s_cbranch_execz .LBB0_11
; %bb.10:
	v_add_u32_e32 v3, s33, v2
	global_load_ubyte v3, v3, s[6:7]
	v_add_u32_e32 v2, 0x100, v2
	s_waitcnt vmcnt(0)
	v_cmp_eq_u16_e64 s[0:1], 0, v3
	s_orn2_b64 s[10:11], s[0:1], exec
.LBB0_11:
	s_or_b64 exec, exec, s[14:15]
	v_cmp_gt_i32_e64 s[0:1], s42, v2
	s_mov_b64 s[14:15], -1
	s_mov_b64 s[16:17], -1
	s_and_saveexec_b64 s[18:19], s[0:1]
	s_cbranch_execz .LBB0_13
; %bb.12:
	v_add_u32_e32 v3, s33, v2
	global_load_ubyte v3, v3, s[6:7]
	v_add_u32_e32 v2, 0x100, v2
	s_waitcnt vmcnt(0)
	v_cmp_eq_u16_e64 s[0:1], 0, v3
	s_orn2_b64 s[16:17], s[0:1], exec
.LBB0_13:
	;; [unrolled: 26-line block ×7, first 2 shown]
	s_or_b64 exec, exec, s[40:41]
	v_cmp_gt_i32_e64 s[0:1], s42, v2
	s_and_saveexec_b64 s[40:41], s[0:1]
	s_cbranch_execz .LBB0_35
; %bb.34:
	v_add_u32_e32 v2, s33, v2
	global_load_ubyte v2, v2, s[6:7]
	s_waitcnt vmcnt(0)
	v_cmp_eq_u16_e64 s[0:1], 0, v2
	s_orn2_b64 s[36:37], s[0:1], exec
.LBB0_35:
	s_or_b64 exec, exec, s[40:41]
	v_cndmask_b32_e64 v2, 0, 1, s[8:9]
	v_cndmask_b32_e64 v3, 0, 1, s[2:3]
	v_cndmask_b32_e32 v2, 0, v2, vcc
	v_lshlrev_b16_e32 v3, 8, v3
	v_or_b32_e32 v6, 0x100, v0
	v_or_b32_e32 v3, v2, v3
	v_and_b32_e32 v3, 0xffff, v3
	v_cmp_gt_i32_e64 s[0:1], s42, v6
	v_cndmask_b32_e64 v4, 0, 1, s[12:13]
	v_cndmask_b32_e64 v5, 0, 1, s[10:11]
	v_cndmask_b32_e64 v2, v2, v3, s[0:1]
	v_or_b32_e32 v3, 0x200, v0
	v_lshl_or_b32 v4, v4, 16, v2
	v_cmp_gt_i32_e64 s[0:1], s42, v3
	v_lshlrev_b16_e32 v5, 8, v5
	s_movk_i32 s3, 0xff
	v_cndmask_b32_e64 v2, v2, v4, s[0:1]
	v_lshrrev_b32_e32 v3, 16, v2
	v_bitop3_b16 v3, v3, v5, s3 bitop3:0xec
	s_mov_b32 s2, 0xffff
	v_or_b32_e32 v4, 0x300, v0
	v_lshlrev_b32_e32 v3, 16, v3
	v_and_or_b32 v3, v2, s2, v3
	v_cmp_gt_i32_e64 s[0:1], s42, v4
	s_movk_i32 s6, 0xff00
	v_cndmask_b32_e64 v4, 0, 1, s[14:15]
	v_cndmask_b32_e64 v5, v2, v3, s[0:1]
	;; [unrolled: 1-line block ×3, first 2 shown]
	v_bitop3_b16 v2, v2, 0, s6 bitop3:0xf8
	v_or_b32_e32 v3, 0x400, v0
	v_and_b32_e32 v2, 0xffff, v2
	v_cmp_gt_i32_e64 s[0:1], s42, v3
	v_lshlrev_b16_e32 v4, 8, v4
	v_or_b32_e32 v3, 0x500, v0
	v_cndmask_b32_e64 v2, 0, v2, s[0:1]
	v_bitop3_b16 v4, v2, v4, s3 bitop3:0xec
	v_and_b32_e32 v4, 0xffff, v4
	v_cmp_gt_i32_e64 s[0:1], s42, v3
	v_cndmask_b32_e64 v7, 0, 1, s[18:19]
	v_lshlrev_b16_e32 v7, 8, v7
	v_cndmask_b32_e64 v2, v2, v4, s[0:1]
	v_lshrrev_b32_e32 v3, 16, v2
	v_cndmask_b32_e64 v4, 0, 1, s[20:21]
	v_bitop3_b16 v3, v4, v3, s6 bitop3:0xf8
	v_or_b32_e32 v4, 0x600, v0
	v_lshlrev_b32_e32 v3, 16, v3
	v_and_or_b32 v3, v2, s2, v3
	v_cmp_gt_i32_e64 s[0:1], s42, v4
	v_or_b32_e32 v4, 0x700, v0
	v_cndmask_b32_e64 v8, 0, 1, s[26:27]
	v_cndmask_b32_e64 v2, v2, v3, s[0:1]
	v_lshrrev_b32_e32 v3, 16, v2
	v_bitop3_b16 v3, v3, v7, s3 bitop3:0xec
	v_lshlrev_b32_e32 v3, 16, v3
	v_and_or_b32 v3, v2, s2, v3
	v_cmp_gt_i32_e64 s[0:1], s42, v4
	v_cndmask_b32_e64 v7, 0, 1, s[22:23]
	v_lshlrev_b16_e32 v7, 8, v7
	v_cndmask_b32_e64 v4, v2, v3, s[0:1]
	v_or_b32_e32 v2, 0x800, v0
	v_cndmask_b32_e64 v3, 0, 1, s[24:25]
	v_cmp_gt_i32_e64 s[0:1], s42, v2
	v_lshlrev_b16_e32 v8, 8, v8
	v_cndmask_b32_e64 v9, 0, 1, s[36:37]
	v_cndmask_b32_e64 v2, 0, v3, s[0:1]
	v_or_b32_e32 v3, 0x900, v0
	v_or_b32_e32 v7, v2, v7
	v_and_b32_e32 v7, 0xffff, v7
	v_cmp_gt_i32_e64 s[0:1], s42, v3
	v_or_b32_e32 v3, 0xa00, v0
	v_lshlrev_b16_e32 v9, 8, v9
	v_cndmask_b32_e64 v2, v2, v7, s[0:1]
	v_cndmask_b32_e64 v7, 0, 1, s[28:29]
	v_lshlrev_b32_e32 v7, 16, v7
	s_movk_i32 s0, 0x1ff
	v_and_or_b32 v7, v2, s0, v7
	v_cmp_gt_i32_e64 s[0:1], s42, v3
	s_nop 1
	v_cndmask_b32_e64 v2, v2, v7, s[0:1]
	v_lshrrev_b32_e32 v3, 16, v2
	v_bitop3_b16 v3, v3, v8, s3 bitop3:0xec
	v_or_b32_e32 v7, 0xb00, v0
	v_lshlrev_b32_e32 v3, 16, v3
	v_and_or_b32 v3, v2, s2, v3
	v_cmp_gt_i32_e64 s[0:1], s42, v7
	v_cndmask_b32_e64 v7, 0, 1, s[34:35]
	v_cndmask_b32_e64 v8, 0, 1, s[30:31]
	;; [unrolled: 1-line block ×3, first 2 shown]
	v_or_b32_e32 v2, 0xc00, v0
	v_cmp_gt_i32_e64 s[0:1], s42, v2
	v_lshlrev_b16_e32 v8, 8, v8
	s_nop 0
	v_cndmask_b32_e64 v2, 0, v7, s[0:1]
	v_or_b32_e32 v7, 0xd00, v0
	v_bitop3_b16 v8, v2, v8, s3 bitop3:0xec
	v_and_b32_e32 v8, 0xffff, v8
	v_cmp_gt_i32_e64 s[0:1], s42, v7
	s_nop 1
	v_cndmask_b32_e64 v2, v2, v8, s[0:1]
	v_lshrrev_b32_e32 v7, 16, v2
	v_cndmask_b32_e64 v8, 0, 1, s[38:39]
	v_bitop3_b16 v7, v8, v7, s6 bitop3:0xf8
	v_or_b32_e32 v8, 0xe00, v0
	v_lshlrev_b32_e32 v7, 16, v7
	v_and_or_b32 v7, v2, s2, v7
	v_cmp_gt_i32_e64 s[0:1], s42, v8
	v_or_b32_e32 v8, 0xf00, v0
	s_nop 0
	v_cndmask_b32_e64 v2, v2, v7, s[0:1]
	v_lshrrev_b32_e32 v7, 16, v2
	v_bitop3_b16 v7, v7, v9, s3 bitop3:0xec
	v_lshlrev_b32_e32 v7, 16, v7
	v_and_or_b32 v7, v2, s2, v7
	v_cmp_gt_i32_e64 s[0:1], s42, v8
	s_nop 1
	v_cndmask_b32_e64 v2, v2, v7, s[0:1]
	s_and_saveexec_b64 s[0:1], vcc
	s_cbranch_execnz .LBB0_53
; %bb.36:
	s_or_b64 exec, exec, s[0:1]
	v_cmp_gt_i32_e32 vcc, s42, v0
	s_and_saveexec_b64 s[0:1], vcc
	s_cbranch_execnz .LBB0_54
.LBB0_37:
	s_or_b64 exec, exec, s[0:1]
	v_cmp_gt_i32_e32 vcc, s42, v0
	s_and_saveexec_b64 s[0:1], vcc
	s_cbranch_execnz .LBB0_55
.LBB0_38:
	s_or_b64 exec, exec, s[0:1]
	v_cmp_gt_i32_e32 vcc, s42, v0
	s_and_saveexec_b64 s[0:1], vcc
	s_cbranch_execnz .LBB0_56
.LBB0_39:
	s_or_b64 exec, exec, s[0:1]
	v_cmp_gt_i32_e32 vcc, s42, v0
	s_and_saveexec_b64 s[0:1], vcc
	s_cbranch_execnz .LBB0_57
.LBB0_40:
	s_or_b64 exec, exec, s[0:1]
	v_cmp_gt_i32_e32 vcc, s42, v0
	s_and_saveexec_b64 s[0:1], vcc
	s_cbranch_execnz .LBB0_58
.LBB0_41:
	s_or_b64 exec, exec, s[0:1]
	v_cmp_gt_i32_e32 vcc, s42, v0
	s_and_saveexec_b64 s[0:1], vcc
	s_cbranch_execnz .LBB0_59
.LBB0_42:
	s_or_b64 exec, exec, s[0:1]
	v_cmp_gt_i32_e32 vcc, s42, v0
	s_and_saveexec_b64 s[0:1], vcc
	s_cbranch_execnz .LBB0_60
.LBB0_43:
	s_or_b64 exec, exec, s[0:1]
	v_cmp_gt_i32_e32 vcc, s42, v0
	s_and_saveexec_b64 s[0:1], vcc
	s_cbranch_execnz .LBB0_61
.LBB0_44:
	s_or_b64 exec, exec, s[0:1]
	v_cmp_gt_i32_e32 vcc, s42, v0
	s_and_saveexec_b64 s[0:1], vcc
	s_cbranch_execnz .LBB0_62
.LBB0_45:
	s_or_b64 exec, exec, s[0:1]
	v_cmp_gt_i32_e32 vcc, s42, v0
	s_and_saveexec_b64 s[0:1], vcc
	s_cbranch_execnz .LBB0_63
.LBB0_46:
	s_or_b64 exec, exec, s[0:1]
	v_cmp_gt_i32_e32 vcc, s42, v0
	s_and_saveexec_b64 s[0:1], vcc
	s_cbranch_execnz .LBB0_64
.LBB0_47:
	s_or_b64 exec, exec, s[0:1]
	v_cmp_gt_i32_e32 vcc, s42, v0
	s_and_saveexec_b64 s[0:1], vcc
	s_cbranch_execnz .LBB0_65
.LBB0_48:
	s_or_b64 exec, exec, s[0:1]
	v_cmp_gt_i32_e32 vcc, s42, v0
	s_and_saveexec_b64 s[0:1], vcc
	s_cbranch_execnz .LBB0_66
.LBB0_49:
	s_or_b64 exec, exec, s[0:1]
	v_cmp_gt_i32_e32 vcc, s42, v0
	s_and_saveexec_b64 s[0:1], vcc
	s_cbranch_execnz .LBB0_67
.LBB0_50:
	s_or_b64 exec, exec, s[0:1]
	v_cmp_gt_i32_e32 vcc, s42, v0
	s_and_saveexec_b64 s[0:1], vcc
	s_cbranch_execz .LBB0_52
.LBB0_51:
	v_lshrrev_b32_e32 v1, 24, v2
	v_add_u32_e32 v0, s33, v0
	global_store_byte v0, v1, s[4:5]
.LBB0_52:
	s_endpgm
.LBB0_53:
	v_mov_b32_e32 v0, v6
	global_store_byte v1, v5, s[4:5]
	s_or_b64 exec, exec, s[0:1]
	v_cmp_gt_i32_e32 vcc, s42, v0
	s_and_saveexec_b64 s[0:1], vcc
	s_cbranch_execz .LBB0_37
.LBB0_54:
	v_lshrrev_b32_e32 v1, 8, v5
	v_add_u32_e32 v6, s33, v0
	v_add_u32_e32 v0, 0x100, v0
	global_store_byte v6, v1, s[4:5]
	s_or_b64 exec, exec, s[0:1]
	v_cmp_gt_i32_e32 vcc, s42, v0
	s_and_saveexec_b64 s[0:1], vcc
	s_cbranch_execz .LBB0_38
.LBB0_55:
	v_add_u32_e32 v1, s33, v0
	v_add_u32_e32 v0, 0x100, v0
	global_store_byte_d16_hi v1, v5, s[4:5]
	s_or_b64 exec, exec, s[0:1]
	v_cmp_gt_i32_e32 vcc, s42, v0
	s_and_saveexec_b64 s[0:1], vcc
	s_cbranch_execz .LBB0_39
.LBB0_56:
	v_lshrrev_b32_e32 v1, 24, v5
	v_add_u32_e32 v5, s33, v0
	v_add_u32_e32 v0, 0x100, v0
	global_store_byte v5, v1, s[4:5]
	s_or_b64 exec, exec, s[0:1]
	v_cmp_gt_i32_e32 vcc, s42, v0
	s_and_saveexec_b64 s[0:1], vcc
	s_cbranch_execz .LBB0_40
.LBB0_57:
	v_add_u32_e32 v1, s33, v0
	v_add_u32_e32 v0, 0x100, v0
	global_store_byte v1, v4, s[4:5]
	s_or_b64 exec, exec, s[0:1]
	v_cmp_gt_i32_e32 vcc, s42, v0
	s_and_saveexec_b64 s[0:1], vcc
	s_cbranch_execz .LBB0_41
.LBB0_58:
	v_lshrrev_b32_e32 v1, 8, v4
	v_add_u32_e32 v5, s33, v0
	v_add_u32_e32 v0, 0x100, v0
	global_store_byte v5, v1, s[4:5]
	s_or_b64 exec, exec, s[0:1]
	v_cmp_gt_i32_e32 vcc, s42, v0
	s_and_saveexec_b64 s[0:1], vcc
	s_cbranch_execz .LBB0_42
.LBB0_59:
	v_add_u32_e32 v1, s33, v0
	v_add_u32_e32 v0, 0x100, v0
	global_store_byte_d16_hi v1, v4, s[4:5]
	s_or_b64 exec, exec, s[0:1]
	v_cmp_gt_i32_e32 vcc, s42, v0
	s_and_saveexec_b64 s[0:1], vcc
	s_cbranch_execz .LBB0_43
.LBB0_60:
	v_lshrrev_b32_e32 v1, 24, v4
	v_add_u32_e32 v4, s33, v0
	v_add_u32_e32 v0, 0x100, v0
	global_store_byte v4, v1, s[4:5]
	s_or_b64 exec, exec, s[0:1]
	v_cmp_gt_i32_e32 vcc, s42, v0
	s_and_saveexec_b64 s[0:1], vcc
	s_cbranch_execz .LBB0_44
.LBB0_61:
	v_add_u32_e32 v1, s33, v0
	v_add_u32_e32 v0, 0x100, v0
	global_store_byte v1, v3, s[4:5]
	s_or_b64 exec, exec, s[0:1]
	v_cmp_gt_i32_e32 vcc, s42, v0
	s_and_saveexec_b64 s[0:1], vcc
	s_cbranch_execz .LBB0_45
.LBB0_62:
	v_lshrrev_b32_e32 v1, 8, v3
	v_add_u32_e32 v4, s33, v0
	v_add_u32_e32 v0, 0x100, v0
	global_store_byte v4, v1, s[4:5]
	s_or_b64 exec, exec, s[0:1]
	v_cmp_gt_i32_e32 vcc, s42, v0
	s_and_saveexec_b64 s[0:1], vcc
	s_cbranch_execz .LBB0_46
.LBB0_63:
	v_add_u32_e32 v1, s33, v0
	v_add_u32_e32 v0, 0x100, v0
	global_store_byte_d16_hi v1, v3, s[4:5]
	s_or_b64 exec, exec, s[0:1]
	v_cmp_gt_i32_e32 vcc, s42, v0
	s_and_saveexec_b64 s[0:1], vcc
	s_cbranch_execz .LBB0_47
.LBB0_64:
	v_lshrrev_b32_e32 v1, 24, v3
	v_add_u32_e32 v3, s33, v0
	v_add_u32_e32 v0, 0x100, v0
	global_store_byte v3, v1, s[4:5]
	s_or_b64 exec, exec, s[0:1]
	v_cmp_gt_i32_e32 vcc, s42, v0
	s_and_saveexec_b64 s[0:1], vcc
	s_cbranch_execz .LBB0_48
.LBB0_65:
	v_add_u32_e32 v1, s33, v0
	v_add_u32_e32 v0, 0x100, v0
	global_store_byte v1, v2, s[4:5]
	s_or_b64 exec, exec, s[0:1]
	v_cmp_gt_i32_e32 vcc, s42, v0
	s_and_saveexec_b64 s[0:1], vcc
	s_cbranch_execz .LBB0_49
.LBB0_66:
	v_lshrrev_b32_e32 v1, 8, v2
	v_add_u32_e32 v3, s33, v0
	v_add_u32_e32 v0, 0x100, v0
	global_store_byte v3, v1, s[4:5]
	s_or_b64 exec, exec, s[0:1]
	v_cmp_gt_i32_e32 vcc, s42, v0
	s_and_saveexec_b64 s[0:1], vcc
	s_cbranch_execz .LBB0_50
.LBB0_67:
	v_add_u32_e32 v1, s33, v0
	v_add_u32_e32 v0, 0x100, v0
	global_store_byte_d16_hi v1, v2, s[4:5]
	s_or_b64 exec, exec, s[0:1]
	v_cmp_gt_i32_e32 vcc, s42, v0
	s_and_saveexec_b64 s[0:1], vcc
	s_cbranch_execnz .LBB0_51
	s_branch .LBB0_52
	.section	.rodata,"a",@progbits
	.p2align	6, 0x0
	.amdhsa_kernel _ZN2at6native29vectorized_elementwise_kernelILi16EZNS0_23bitwise_not_kernel_cudaERNS_18TensorIteratorBaseEEUlbE_St5arrayIPcLm2EEEEviT0_T1_
		.amdhsa_group_segment_fixed_size 0
		.amdhsa_private_segment_fixed_size 0
		.amdhsa_kernarg_size 24
		.amdhsa_user_sgpr_count 2
		.amdhsa_user_sgpr_dispatch_ptr 0
		.amdhsa_user_sgpr_queue_ptr 0
		.amdhsa_user_sgpr_kernarg_segment_ptr 1
		.amdhsa_user_sgpr_dispatch_id 0
		.amdhsa_user_sgpr_kernarg_preload_length 0
		.amdhsa_user_sgpr_kernarg_preload_offset 0
		.amdhsa_user_sgpr_private_segment_size 0
		.amdhsa_uses_dynamic_stack 0
		.amdhsa_enable_private_segment 0
		.amdhsa_system_sgpr_workgroup_id_x 1
		.amdhsa_system_sgpr_workgroup_id_y 0
		.amdhsa_system_sgpr_workgroup_id_z 0
		.amdhsa_system_sgpr_workgroup_info 0
		.amdhsa_system_vgpr_workitem_id 0
		.amdhsa_next_free_vgpr 19
		.amdhsa_next_free_sgpr 43
		.amdhsa_accum_offset 20
		.amdhsa_reserve_vcc 1
		.amdhsa_float_round_mode_32 0
		.amdhsa_float_round_mode_16_64 0
		.amdhsa_float_denorm_mode_32 3
		.amdhsa_float_denorm_mode_16_64 3
		.amdhsa_dx10_clamp 1
		.amdhsa_ieee_mode 1
		.amdhsa_fp16_overflow 0
		.amdhsa_tg_split 0
		.amdhsa_exception_fp_ieee_invalid_op 0
		.amdhsa_exception_fp_denorm_src 0
		.amdhsa_exception_fp_ieee_div_zero 0
		.amdhsa_exception_fp_ieee_overflow 0
		.amdhsa_exception_fp_ieee_underflow 0
		.amdhsa_exception_fp_ieee_inexact 0
		.amdhsa_exception_int_div_zero 0
	.end_amdhsa_kernel
	.section	.text._ZN2at6native29vectorized_elementwise_kernelILi16EZNS0_23bitwise_not_kernel_cudaERNS_18TensorIteratorBaseEEUlbE_St5arrayIPcLm2EEEEviT0_T1_,"axG",@progbits,_ZN2at6native29vectorized_elementwise_kernelILi16EZNS0_23bitwise_not_kernel_cudaERNS_18TensorIteratorBaseEEUlbE_St5arrayIPcLm2EEEEviT0_T1_,comdat
.Lfunc_end0:
	.size	_ZN2at6native29vectorized_elementwise_kernelILi16EZNS0_23bitwise_not_kernel_cudaERNS_18TensorIteratorBaseEEUlbE_St5arrayIPcLm2EEEEviT0_T1_, .Lfunc_end0-_ZN2at6native29vectorized_elementwise_kernelILi16EZNS0_23bitwise_not_kernel_cudaERNS_18TensorIteratorBaseEEUlbE_St5arrayIPcLm2EEEEviT0_T1_
                                        ; -- End function
	.set _ZN2at6native29vectorized_elementwise_kernelILi16EZNS0_23bitwise_not_kernel_cudaERNS_18TensorIteratorBaseEEUlbE_St5arrayIPcLm2EEEEviT0_T1_.num_vgpr, 19
	.set _ZN2at6native29vectorized_elementwise_kernelILi16EZNS0_23bitwise_not_kernel_cudaERNS_18TensorIteratorBaseEEUlbE_St5arrayIPcLm2EEEEviT0_T1_.num_agpr, 0
	.set _ZN2at6native29vectorized_elementwise_kernelILi16EZNS0_23bitwise_not_kernel_cudaERNS_18TensorIteratorBaseEEUlbE_St5arrayIPcLm2EEEEviT0_T1_.numbered_sgpr, 43
	.set _ZN2at6native29vectorized_elementwise_kernelILi16EZNS0_23bitwise_not_kernel_cudaERNS_18TensorIteratorBaseEEUlbE_St5arrayIPcLm2EEEEviT0_T1_.num_named_barrier, 0
	.set _ZN2at6native29vectorized_elementwise_kernelILi16EZNS0_23bitwise_not_kernel_cudaERNS_18TensorIteratorBaseEEUlbE_St5arrayIPcLm2EEEEviT0_T1_.private_seg_size, 0
	.set _ZN2at6native29vectorized_elementwise_kernelILi16EZNS0_23bitwise_not_kernel_cudaERNS_18TensorIteratorBaseEEUlbE_St5arrayIPcLm2EEEEviT0_T1_.uses_vcc, 1
	.set _ZN2at6native29vectorized_elementwise_kernelILi16EZNS0_23bitwise_not_kernel_cudaERNS_18TensorIteratorBaseEEUlbE_St5arrayIPcLm2EEEEviT0_T1_.uses_flat_scratch, 0
	.set _ZN2at6native29vectorized_elementwise_kernelILi16EZNS0_23bitwise_not_kernel_cudaERNS_18TensorIteratorBaseEEUlbE_St5arrayIPcLm2EEEEviT0_T1_.has_dyn_sized_stack, 0
	.set _ZN2at6native29vectorized_elementwise_kernelILi16EZNS0_23bitwise_not_kernel_cudaERNS_18TensorIteratorBaseEEUlbE_St5arrayIPcLm2EEEEviT0_T1_.has_recursion, 0
	.set _ZN2at6native29vectorized_elementwise_kernelILi16EZNS0_23bitwise_not_kernel_cudaERNS_18TensorIteratorBaseEEUlbE_St5arrayIPcLm2EEEEviT0_T1_.has_indirect_call, 0
	.section	.AMDGPU.csdata,"",@progbits
; Kernel info:
; codeLenInByte = 3092
; TotalNumSgprs: 49
; NumVgprs: 19
; NumAgprs: 0
; TotalNumVgprs: 19
; ScratchSize: 0
; MemoryBound: 0
; FloatMode: 240
; IeeeMode: 1
; LDSByteSize: 0 bytes/workgroup (compile time only)
; SGPRBlocks: 6
; VGPRBlocks: 2
; NumSGPRsForWavesPerEU: 49
; NumVGPRsForWavesPerEU: 19
; AccumOffset: 20
; Occupancy: 8
; WaveLimiterHint : 0
; COMPUTE_PGM_RSRC2:SCRATCH_EN: 0
; COMPUTE_PGM_RSRC2:USER_SGPR: 2
; COMPUTE_PGM_RSRC2:TRAP_HANDLER: 0
; COMPUTE_PGM_RSRC2:TGID_X_EN: 1
; COMPUTE_PGM_RSRC2:TGID_Y_EN: 0
; COMPUTE_PGM_RSRC2:TGID_Z_EN: 0
; COMPUTE_PGM_RSRC2:TIDIG_COMP_CNT: 0
; COMPUTE_PGM_RSRC3_GFX90A:ACCUM_OFFSET: 4
; COMPUTE_PGM_RSRC3_GFX90A:TG_SPLIT: 0
	.section	.text._ZN2at6native29vectorized_elementwise_kernelILi8EZNS0_23bitwise_not_kernel_cudaERNS_18TensorIteratorBaseEEUlbE_St5arrayIPcLm2EEEEviT0_T1_,"axG",@progbits,_ZN2at6native29vectorized_elementwise_kernelILi8EZNS0_23bitwise_not_kernel_cudaERNS_18TensorIteratorBaseEEUlbE_St5arrayIPcLm2EEEEviT0_T1_,comdat
	.globl	_ZN2at6native29vectorized_elementwise_kernelILi8EZNS0_23bitwise_not_kernel_cudaERNS_18TensorIteratorBaseEEUlbE_St5arrayIPcLm2EEEEviT0_T1_ ; -- Begin function _ZN2at6native29vectorized_elementwise_kernelILi8EZNS0_23bitwise_not_kernel_cudaERNS_18TensorIteratorBaseEEUlbE_St5arrayIPcLm2EEEEviT0_T1_
	.p2align	8
	.type	_ZN2at6native29vectorized_elementwise_kernelILi8EZNS0_23bitwise_not_kernel_cudaERNS_18TensorIteratorBaseEEUlbE_St5arrayIPcLm2EEEEviT0_T1_,@function
_ZN2at6native29vectorized_elementwise_kernelILi8EZNS0_23bitwise_not_kernel_cudaERNS_18TensorIteratorBaseEEUlbE_St5arrayIPcLm2EEEEviT0_T1_: ; @_ZN2at6native29vectorized_elementwise_kernelILi8EZNS0_23bitwise_not_kernel_cudaERNS_18TensorIteratorBaseEEUlbE_St5arrayIPcLm2EEEEviT0_T1_
; %bb.0:
	s_load_dword s3, s[0:1], 0x0
	s_load_dwordx4 s[4:7], s[0:1], 0x8
	s_lshl_b32 s33, s2, 12
	s_mov_b64 s[0:1], -1
	s_waitcnt lgkmcnt(0)
	s_sub_i32 s42, s3, s33
	s_cmpk_gt_i32 s42, 0xfff
	s_cbranch_scc0 .LBB1_2
; %bb.1:
	s_ashr_i32 s2, s33, 31
	s_add_u32 s0, s6, s33
	s_addc_u32 s1, s7, s2
	v_lshlrev_b32_e32 v1, 3, v0
	global_load_dwordx2 v[2:3], v1, s[0:1]
	global_load_dwordx2 v[4:5], v1, s[0:1] offset:2048
	s_mov_b32 s8, 0x1000000
	v_mov_b32_e32 v6, 0
	s_add_u32 s0, s4, s33
	s_addc_u32 s1, s5, s2
	s_waitcnt vmcnt(1)
	v_cmp_gt_u32_e32 vcc, s8, v2
	v_and_b32_e32 v8, 0xff0000, v2
	v_and_b32_e32 v11, 0xff00, v2
	v_cmp_eq_u32_sdwa s[2:3], v2, v6 src0_sel:BYTE_0 src1_sel:DWORD
	v_cndmask_b32_e64 v2, 0, 1, vcc
	v_cmp_gt_u32_e32 vcc, s8, v3
	v_and_b32_e32 v7, 0xff0000, v3
	v_cndmask_b32_e64 v12, 0, 1, s[2:3]
	v_and_b32_e32 v13, 0xff00, v3
	v_cmp_eq_u32_sdwa s[2:3], v3, v6 src0_sel:BYTE_0 src1_sel:DWORD
	v_cndmask_b32_e64 v3, 0, 1, vcc
	s_waitcnt vmcnt(0)
	v_cmp_gt_u32_e32 vcc, s8, v4
	v_and_b32_e32 v9, 0xff0000, v4
	v_cndmask_b32_e64 v14, 0, 1, s[2:3]
	v_and_b32_e32 v15, 0xff00, v4
	v_cmp_eq_u32_sdwa s[2:3], v4, v6 src0_sel:BYTE_0 src1_sel:DWORD
	v_cndmask_b32_e64 v4, 0, 1, vcc
	v_cmp_gt_u32_e32 vcc, s8, v5
	v_and_b32_e32 v10, 0xff0000, v5
	v_cndmask_b32_e64 v16, 0, 1, s[2:3]
	v_and_b32_e32 v17, 0xff00, v5
	v_cmp_eq_u32_sdwa s[2:3], v5, v6 src0_sel:BYTE_0 src1_sel:DWORD
	v_cndmask_b32_e64 v5, 0, 1, vcc
	v_cmp_eq_u32_e32 vcc, 0, v11
	v_lshlrev_b16_e32 v2, 8, v2
	v_lshlrev_b16_e32 v3, 8, v3
	v_cndmask_b32_e64 v11, 0, 1, vcc
	v_cmp_eq_u32_e32 vcc, 0, v8
	v_lshlrev_b16_e32 v4, 8, v4
	v_lshlrev_b16_e32 v5, 8, v5
	v_cndmask_b32_e64 v8, 0, 1, vcc
	v_cmp_eq_u32_e32 vcc, 0, v13
	v_lshlrev_b16_e32 v11, 8, v11
	v_or_b32_sdwa v2, v8, v2 dst_sel:WORD_1 dst_unused:UNUSED_PAD src0_sel:DWORD src1_sel:DWORD
	v_cndmask_b32_e64 v13, 0, 1, vcc
	v_cmp_eq_u32_e32 vcc, 0, v7
	v_lshlrev_b16_e32 v8, 8, v13
	v_cndmask_b32_e64 v6, 0, 1, s[2:3]
	v_cndmask_b32_e64 v7, 0, 1, vcc
	v_cmp_eq_u32_e32 vcc, 0, v15
	v_or_b32_sdwa v3, v7, v3 dst_sel:WORD_1 dst_unused:UNUSED_PAD src0_sel:DWORD src1_sel:DWORD
	v_or_b32_e32 v8, v14, v8
	v_cndmask_b32_e64 v15, 0, 1, vcc
	v_cmp_eq_u32_e32 vcc, 0, v9
	v_lshlrev_b16_e32 v7, 8, v15
	v_or_b32_e32 v7, v16, v7
	v_cndmask_b32_e64 v9, 0, 1, vcc
	v_cmp_eq_u32_e32 vcc, 0, v17
	v_or_b32_sdwa v4, v9, v4 dst_sel:WORD_1 dst_unused:UNUSED_PAD src0_sel:DWORD src1_sel:DWORD
	v_or_b32_sdwa v3, v8, v3 dst_sel:DWORD dst_unused:UNUSED_PAD src0_sel:WORD_0 src1_sel:DWORD
	v_cndmask_b32_e64 v17, 0, 1, vcc
	v_cmp_eq_u32_e32 vcc, 0, v10
	v_lshlrev_b16_e32 v9, 8, v17
	v_or_b32_e32 v6, v6, v9
	v_cndmask_b32_e64 v10, 0, 1, vcc
	v_or_b32_sdwa v5, v10, v5 dst_sel:WORD_1 dst_unused:UNUSED_PAD src0_sel:DWORD src1_sel:DWORD
	v_or_b32_e32 v10, v12, v11
	v_or_b32_sdwa v2, v10, v2 dst_sel:DWORD dst_unused:UNUSED_PAD src0_sel:WORD_0 src1_sel:DWORD
	v_or_b32_sdwa v4, v7, v4 dst_sel:DWORD dst_unused:UNUSED_PAD src0_sel:WORD_0 src1_sel:DWORD
	;; [unrolled: 1-line block ×3, first 2 shown]
	global_store_dwordx2 v1, v[2:3], s[0:1]
	global_store_dwordx2 v1, v[4:5], s[0:1] offset:2048
	s_mov_b64 s[0:1], 0
.LBB1_2:
	s_andn2_b64 vcc, exec, s[0:1]
	s_cbranch_vccnz .LBB1_52
; %bb.3:
	v_cmp_gt_i32_e32 vcc, s42, v0
	s_mov_b64 s[2:3], -1
	v_or_b32_e32 v1, s33, v0
	s_mov_b64 s[8:9], -1
	v_mov_b32_e32 v2, v0
	s_and_saveexec_b64 s[10:11], vcc
	s_cbranch_execz .LBB1_5
; %bb.4:
	global_load_ubyte v3, v1, s[6:7]
	v_or_b32_e32 v2, 0x100, v0
	s_waitcnt vmcnt(0)
	v_cmp_eq_u16_e64 s[0:1], 0, v3
	s_orn2_b64 s[8:9], s[0:1], exec
.LBB1_5:
	s_or_b64 exec, exec, s[10:11]
	v_cmp_gt_i32_e64 s[0:1], s42, v2
	s_and_saveexec_b64 s[10:11], s[0:1]
	s_cbranch_execz .LBB1_7
; %bb.6:
	v_add_u32_e32 v3, s33, v2
	global_load_ubyte v3, v3, s[6:7]
	v_add_u32_e32 v2, 0x100, v2
	s_waitcnt vmcnt(0)
	v_cmp_eq_u16_e64 s[0:1], 0, v3
	s_orn2_b64 s[2:3], s[0:1], exec
.LBB1_7:
	s_or_b64 exec, exec, s[10:11]
	v_cmp_gt_i32_e64 s[0:1], s42, v2
	s_mov_b64 s[10:11], -1
	s_mov_b64 s[12:13], -1
	s_and_saveexec_b64 s[14:15], s[0:1]
	s_cbranch_execz .LBB1_9
; %bb.8:
	v_add_u32_e32 v3, s33, v2
	global_load_ubyte v3, v3, s[6:7]
	v_add_u32_e32 v2, 0x100, v2
	s_waitcnt vmcnt(0)
	v_cmp_eq_u16_e64 s[0:1], 0, v3
	s_orn2_b64 s[12:13], s[0:1], exec
.LBB1_9:
	s_or_b64 exec, exec, s[14:15]
	v_cmp_gt_i32_e64 s[0:1], s42, v2
	s_and_saveexec_b64 s[14:15], s[0:1]
	s_cbranch_execz .LBB1_11
; %bb.10:
	v_add_u32_e32 v3, s33, v2
	global_load_ubyte v3, v3, s[6:7]
	v_add_u32_e32 v2, 0x100, v2
	s_waitcnt vmcnt(0)
	v_cmp_eq_u16_e64 s[0:1], 0, v3
	s_orn2_b64 s[10:11], s[0:1], exec
.LBB1_11:
	s_or_b64 exec, exec, s[14:15]
	v_cmp_gt_i32_e64 s[0:1], s42, v2
	s_mov_b64 s[14:15], -1
	s_mov_b64 s[16:17], -1
	s_and_saveexec_b64 s[18:19], s[0:1]
	s_cbranch_execz .LBB1_13
; %bb.12:
	v_add_u32_e32 v3, s33, v2
	global_load_ubyte v3, v3, s[6:7]
	v_add_u32_e32 v2, 0x100, v2
	s_waitcnt vmcnt(0)
	v_cmp_eq_u16_e64 s[0:1], 0, v3
	s_orn2_b64 s[16:17], s[0:1], exec
.LBB1_13:
	;; [unrolled: 26-line block ×7, first 2 shown]
	s_or_b64 exec, exec, s[40:41]
	v_cmp_gt_i32_e64 s[0:1], s42, v2
	s_and_saveexec_b64 s[40:41], s[0:1]
	s_cbranch_execz .LBB1_35
; %bb.34:
	v_add_u32_e32 v2, s33, v2
	global_load_ubyte v2, v2, s[6:7]
	s_waitcnt vmcnt(0)
	v_cmp_eq_u16_e64 s[0:1], 0, v2
	s_orn2_b64 s[36:37], s[0:1], exec
.LBB1_35:
	s_or_b64 exec, exec, s[40:41]
	v_cndmask_b32_e64 v2, 0, 1, s[8:9]
	v_cndmask_b32_e64 v3, 0, 1, s[2:3]
	v_cndmask_b32_e32 v2, 0, v2, vcc
	v_lshlrev_b16_e32 v3, 8, v3
	v_or_b32_e32 v6, 0x100, v0
	v_or_b32_e32 v3, v2, v3
	v_and_b32_e32 v3, 0xffff, v3
	v_cmp_gt_i32_e64 s[0:1], s42, v6
	v_cndmask_b32_e64 v4, 0, 1, s[12:13]
	v_cndmask_b32_e64 v5, 0, 1, s[10:11]
	v_cndmask_b32_e64 v2, v2, v3, s[0:1]
	v_or_b32_e32 v3, 0x200, v0
	v_lshl_or_b32 v4, v4, 16, v2
	v_cmp_gt_i32_e64 s[0:1], s42, v3
	v_lshlrev_b16_e32 v5, 8, v5
	s_movk_i32 s3, 0xff
	v_cndmask_b32_e64 v2, v2, v4, s[0:1]
	v_lshrrev_b32_e32 v3, 16, v2
	v_bitop3_b16 v3, v3, v5, s3 bitop3:0xec
	s_mov_b32 s2, 0xffff
	v_or_b32_e32 v4, 0x300, v0
	v_lshlrev_b32_e32 v3, 16, v3
	v_and_or_b32 v3, v2, s2, v3
	v_cmp_gt_i32_e64 s[0:1], s42, v4
	s_movk_i32 s6, 0xff00
	v_cndmask_b32_e64 v4, 0, 1, s[14:15]
	v_cndmask_b32_e64 v5, v2, v3, s[0:1]
	;; [unrolled: 1-line block ×3, first 2 shown]
	v_bitop3_b16 v2, v2, 0, s6 bitop3:0xf8
	v_or_b32_e32 v3, 0x400, v0
	v_and_b32_e32 v2, 0xffff, v2
	v_cmp_gt_i32_e64 s[0:1], s42, v3
	v_lshlrev_b16_e32 v4, 8, v4
	v_or_b32_e32 v3, 0x500, v0
	v_cndmask_b32_e64 v2, 0, v2, s[0:1]
	v_bitop3_b16 v4, v2, v4, s3 bitop3:0xec
	v_and_b32_e32 v4, 0xffff, v4
	v_cmp_gt_i32_e64 s[0:1], s42, v3
	v_cndmask_b32_e64 v7, 0, 1, s[18:19]
	v_lshlrev_b16_e32 v7, 8, v7
	v_cndmask_b32_e64 v2, v2, v4, s[0:1]
	v_lshrrev_b32_e32 v3, 16, v2
	v_cndmask_b32_e64 v4, 0, 1, s[20:21]
	v_bitop3_b16 v3, v4, v3, s6 bitop3:0xf8
	v_or_b32_e32 v4, 0x600, v0
	v_lshlrev_b32_e32 v3, 16, v3
	v_and_or_b32 v3, v2, s2, v3
	v_cmp_gt_i32_e64 s[0:1], s42, v4
	v_or_b32_e32 v4, 0x700, v0
	v_cndmask_b32_e64 v8, 0, 1, s[26:27]
	v_cndmask_b32_e64 v2, v2, v3, s[0:1]
	v_lshrrev_b32_e32 v3, 16, v2
	v_bitop3_b16 v3, v3, v7, s3 bitop3:0xec
	v_lshlrev_b32_e32 v3, 16, v3
	v_and_or_b32 v3, v2, s2, v3
	v_cmp_gt_i32_e64 s[0:1], s42, v4
	v_cndmask_b32_e64 v7, 0, 1, s[22:23]
	v_lshlrev_b16_e32 v7, 8, v7
	v_cndmask_b32_e64 v4, v2, v3, s[0:1]
	v_or_b32_e32 v2, 0x800, v0
	v_cndmask_b32_e64 v3, 0, 1, s[24:25]
	v_cmp_gt_i32_e64 s[0:1], s42, v2
	v_lshlrev_b16_e32 v8, 8, v8
	v_cndmask_b32_e64 v9, 0, 1, s[36:37]
	v_cndmask_b32_e64 v2, 0, v3, s[0:1]
	v_or_b32_e32 v3, 0x900, v0
	v_or_b32_e32 v7, v2, v7
	v_and_b32_e32 v7, 0xffff, v7
	v_cmp_gt_i32_e64 s[0:1], s42, v3
	v_or_b32_e32 v3, 0xa00, v0
	v_lshlrev_b16_e32 v9, 8, v9
	v_cndmask_b32_e64 v2, v2, v7, s[0:1]
	v_cndmask_b32_e64 v7, 0, 1, s[28:29]
	v_lshlrev_b32_e32 v7, 16, v7
	s_movk_i32 s0, 0x1ff
	v_and_or_b32 v7, v2, s0, v7
	v_cmp_gt_i32_e64 s[0:1], s42, v3
	s_nop 1
	v_cndmask_b32_e64 v2, v2, v7, s[0:1]
	v_lshrrev_b32_e32 v3, 16, v2
	v_bitop3_b16 v3, v3, v8, s3 bitop3:0xec
	v_or_b32_e32 v7, 0xb00, v0
	v_lshlrev_b32_e32 v3, 16, v3
	v_and_or_b32 v3, v2, s2, v3
	v_cmp_gt_i32_e64 s[0:1], s42, v7
	v_cndmask_b32_e64 v7, 0, 1, s[34:35]
	v_cndmask_b32_e64 v8, 0, 1, s[30:31]
	;; [unrolled: 1-line block ×3, first 2 shown]
	v_or_b32_e32 v2, 0xc00, v0
	v_cmp_gt_i32_e64 s[0:1], s42, v2
	v_lshlrev_b16_e32 v8, 8, v8
	s_nop 0
	v_cndmask_b32_e64 v2, 0, v7, s[0:1]
	v_or_b32_e32 v7, 0xd00, v0
	v_bitop3_b16 v8, v2, v8, s3 bitop3:0xec
	v_and_b32_e32 v8, 0xffff, v8
	v_cmp_gt_i32_e64 s[0:1], s42, v7
	s_nop 1
	v_cndmask_b32_e64 v2, v2, v8, s[0:1]
	v_lshrrev_b32_e32 v7, 16, v2
	v_cndmask_b32_e64 v8, 0, 1, s[38:39]
	v_bitop3_b16 v7, v8, v7, s6 bitop3:0xf8
	v_or_b32_e32 v8, 0xe00, v0
	v_lshlrev_b32_e32 v7, 16, v7
	v_and_or_b32 v7, v2, s2, v7
	v_cmp_gt_i32_e64 s[0:1], s42, v8
	v_or_b32_e32 v8, 0xf00, v0
	s_nop 0
	v_cndmask_b32_e64 v2, v2, v7, s[0:1]
	v_lshrrev_b32_e32 v7, 16, v2
	v_bitop3_b16 v7, v7, v9, s3 bitop3:0xec
	v_lshlrev_b32_e32 v7, 16, v7
	v_and_or_b32 v7, v2, s2, v7
	v_cmp_gt_i32_e64 s[0:1], s42, v8
	s_nop 1
	v_cndmask_b32_e64 v2, v2, v7, s[0:1]
	s_and_saveexec_b64 s[0:1], vcc
	s_cbranch_execnz .LBB1_53
; %bb.36:
	s_or_b64 exec, exec, s[0:1]
	v_cmp_gt_i32_e32 vcc, s42, v0
	s_and_saveexec_b64 s[0:1], vcc
	s_cbranch_execnz .LBB1_54
.LBB1_37:
	s_or_b64 exec, exec, s[0:1]
	v_cmp_gt_i32_e32 vcc, s42, v0
	s_and_saveexec_b64 s[0:1], vcc
	s_cbranch_execnz .LBB1_55
.LBB1_38:
	s_or_b64 exec, exec, s[0:1]
	v_cmp_gt_i32_e32 vcc, s42, v0
	s_and_saveexec_b64 s[0:1], vcc
	s_cbranch_execnz .LBB1_56
.LBB1_39:
	s_or_b64 exec, exec, s[0:1]
	v_cmp_gt_i32_e32 vcc, s42, v0
	s_and_saveexec_b64 s[0:1], vcc
	s_cbranch_execnz .LBB1_57
.LBB1_40:
	s_or_b64 exec, exec, s[0:1]
	v_cmp_gt_i32_e32 vcc, s42, v0
	s_and_saveexec_b64 s[0:1], vcc
	s_cbranch_execnz .LBB1_58
.LBB1_41:
	s_or_b64 exec, exec, s[0:1]
	v_cmp_gt_i32_e32 vcc, s42, v0
	s_and_saveexec_b64 s[0:1], vcc
	s_cbranch_execnz .LBB1_59
.LBB1_42:
	s_or_b64 exec, exec, s[0:1]
	v_cmp_gt_i32_e32 vcc, s42, v0
	s_and_saveexec_b64 s[0:1], vcc
	s_cbranch_execnz .LBB1_60
.LBB1_43:
	s_or_b64 exec, exec, s[0:1]
	v_cmp_gt_i32_e32 vcc, s42, v0
	s_and_saveexec_b64 s[0:1], vcc
	s_cbranch_execnz .LBB1_61
.LBB1_44:
	s_or_b64 exec, exec, s[0:1]
	v_cmp_gt_i32_e32 vcc, s42, v0
	s_and_saveexec_b64 s[0:1], vcc
	s_cbranch_execnz .LBB1_62
.LBB1_45:
	s_or_b64 exec, exec, s[0:1]
	v_cmp_gt_i32_e32 vcc, s42, v0
	s_and_saveexec_b64 s[0:1], vcc
	s_cbranch_execnz .LBB1_63
.LBB1_46:
	s_or_b64 exec, exec, s[0:1]
	v_cmp_gt_i32_e32 vcc, s42, v0
	s_and_saveexec_b64 s[0:1], vcc
	s_cbranch_execnz .LBB1_64
.LBB1_47:
	s_or_b64 exec, exec, s[0:1]
	v_cmp_gt_i32_e32 vcc, s42, v0
	s_and_saveexec_b64 s[0:1], vcc
	s_cbranch_execnz .LBB1_65
.LBB1_48:
	s_or_b64 exec, exec, s[0:1]
	v_cmp_gt_i32_e32 vcc, s42, v0
	s_and_saveexec_b64 s[0:1], vcc
	s_cbranch_execnz .LBB1_66
.LBB1_49:
	s_or_b64 exec, exec, s[0:1]
	v_cmp_gt_i32_e32 vcc, s42, v0
	s_and_saveexec_b64 s[0:1], vcc
	s_cbranch_execnz .LBB1_67
.LBB1_50:
	s_or_b64 exec, exec, s[0:1]
	v_cmp_gt_i32_e32 vcc, s42, v0
	s_and_saveexec_b64 s[0:1], vcc
	s_cbranch_execz .LBB1_52
.LBB1_51:
	v_lshrrev_b32_e32 v1, 24, v2
	v_add_u32_e32 v0, s33, v0
	global_store_byte v0, v1, s[4:5]
.LBB1_52:
	s_endpgm
.LBB1_53:
	v_mov_b32_e32 v0, v6
	global_store_byte v1, v5, s[4:5]
	s_or_b64 exec, exec, s[0:1]
	v_cmp_gt_i32_e32 vcc, s42, v0
	s_and_saveexec_b64 s[0:1], vcc
	s_cbranch_execz .LBB1_37
.LBB1_54:
	v_lshrrev_b32_e32 v1, 8, v5
	v_add_u32_e32 v6, s33, v0
	v_add_u32_e32 v0, 0x100, v0
	global_store_byte v6, v1, s[4:5]
	s_or_b64 exec, exec, s[0:1]
	v_cmp_gt_i32_e32 vcc, s42, v0
	s_and_saveexec_b64 s[0:1], vcc
	s_cbranch_execz .LBB1_38
.LBB1_55:
	v_add_u32_e32 v1, s33, v0
	v_add_u32_e32 v0, 0x100, v0
	global_store_byte_d16_hi v1, v5, s[4:5]
	s_or_b64 exec, exec, s[0:1]
	v_cmp_gt_i32_e32 vcc, s42, v0
	s_and_saveexec_b64 s[0:1], vcc
	s_cbranch_execz .LBB1_39
.LBB1_56:
	v_lshrrev_b32_e32 v1, 24, v5
	v_add_u32_e32 v5, s33, v0
	v_add_u32_e32 v0, 0x100, v0
	global_store_byte v5, v1, s[4:5]
	s_or_b64 exec, exec, s[0:1]
	v_cmp_gt_i32_e32 vcc, s42, v0
	s_and_saveexec_b64 s[0:1], vcc
	s_cbranch_execz .LBB1_40
.LBB1_57:
	v_add_u32_e32 v1, s33, v0
	v_add_u32_e32 v0, 0x100, v0
	global_store_byte v1, v4, s[4:5]
	s_or_b64 exec, exec, s[0:1]
	v_cmp_gt_i32_e32 vcc, s42, v0
	s_and_saveexec_b64 s[0:1], vcc
	s_cbranch_execz .LBB1_41
.LBB1_58:
	v_lshrrev_b32_e32 v1, 8, v4
	v_add_u32_e32 v5, s33, v0
	v_add_u32_e32 v0, 0x100, v0
	global_store_byte v5, v1, s[4:5]
	s_or_b64 exec, exec, s[0:1]
	v_cmp_gt_i32_e32 vcc, s42, v0
	s_and_saveexec_b64 s[0:1], vcc
	s_cbranch_execz .LBB1_42
.LBB1_59:
	v_add_u32_e32 v1, s33, v0
	v_add_u32_e32 v0, 0x100, v0
	global_store_byte_d16_hi v1, v4, s[4:5]
	s_or_b64 exec, exec, s[0:1]
	v_cmp_gt_i32_e32 vcc, s42, v0
	s_and_saveexec_b64 s[0:1], vcc
	s_cbranch_execz .LBB1_43
.LBB1_60:
	v_lshrrev_b32_e32 v1, 24, v4
	v_add_u32_e32 v4, s33, v0
	v_add_u32_e32 v0, 0x100, v0
	global_store_byte v4, v1, s[4:5]
	s_or_b64 exec, exec, s[0:1]
	v_cmp_gt_i32_e32 vcc, s42, v0
	s_and_saveexec_b64 s[0:1], vcc
	s_cbranch_execz .LBB1_44
.LBB1_61:
	v_add_u32_e32 v1, s33, v0
	v_add_u32_e32 v0, 0x100, v0
	global_store_byte v1, v3, s[4:5]
	s_or_b64 exec, exec, s[0:1]
	v_cmp_gt_i32_e32 vcc, s42, v0
	s_and_saveexec_b64 s[0:1], vcc
	s_cbranch_execz .LBB1_45
.LBB1_62:
	v_lshrrev_b32_e32 v1, 8, v3
	v_add_u32_e32 v4, s33, v0
	v_add_u32_e32 v0, 0x100, v0
	global_store_byte v4, v1, s[4:5]
	s_or_b64 exec, exec, s[0:1]
	v_cmp_gt_i32_e32 vcc, s42, v0
	s_and_saveexec_b64 s[0:1], vcc
	s_cbranch_execz .LBB1_46
.LBB1_63:
	v_add_u32_e32 v1, s33, v0
	v_add_u32_e32 v0, 0x100, v0
	global_store_byte_d16_hi v1, v3, s[4:5]
	s_or_b64 exec, exec, s[0:1]
	v_cmp_gt_i32_e32 vcc, s42, v0
	s_and_saveexec_b64 s[0:1], vcc
	s_cbranch_execz .LBB1_47
.LBB1_64:
	v_lshrrev_b32_e32 v1, 24, v3
	v_add_u32_e32 v3, s33, v0
	v_add_u32_e32 v0, 0x100, v0
	global_store_byte v3, v1, s[4:5]
	s_or_b64 exec, exec, s[0:1]
	v_cmp_gt_i32_e32 vcc, s42, v0
	s_and_saveexec_b64 s[0:1], vcc
	s_cbranch_execz .LBB1_48
.LBB1_65:
	v_add_u32_e32 v1, s33, v0
	v_add_u32_e32 v0, 0x100, v0
	global_store_byte v1, v2, s[4:5]
	s_or_b64 exec, exec, s[0:1]
	v_cmp_gt_i32_e32 vcc, s42, v0
	s_and_saveexec_b64 s[0:1], vcc
	s_cbranch_execz .LBB1_49
.LBB1_66:
	v_lshrrev_b32_e32 v1, 8, v2
	v_add_u32_e32 v3, s33, v0
	v_add_u32_e32 v0, 0x100, v0
	global_store_byte v3, v1, s[4:5]
	s_or_b64 exec, exec, s[0:1]
	v_cmp_gt_i32_e32 vcc, s42, v0
	s_and_saveexec_b64 s[0:1], vcc
	s_cbranch_execz .LBB1_50
.LBB1_67:
	v_add_u32_e32 v1, s33, v0
	v_add_u32_e32 v0, 0x100, v0
	global_store_byte_d16_hi v1, v2, s[4:5]
	s_or_b64 exec, exec, s[0:1]
	v_cmp_gt_i32_e32 vcc, s42, v0
	s_and_saveexec_b64 s[0:1], vcc
	s_cbranch_execnz .LBB1_51
	s_branch .LBB1_52
	.section	.rodata,"a",@progbits
	.p2align	6, 0x0
	.amdhsa_kernel _ZN2at6native29vectorized_elementwise_kernelILi8EZNS0_23bitwise_not_kernel_cudaERNS_18TensorIteratorBaseEEUlbE_St5arrayIPcLm2EEEEviT0_T1_
		.amdhsa_group_segment_fixed_size 0
		.amdhsa_private_segment_fixed_size 0
		.amdhsa_kernarg_size 24
		.amdhsa_user_sgpr_count 2
		.amdhsa_user_sgpr_dispatch_ptr 0
		.amdhsa_user_sgpr_queue_ptr 0
		.amdhsa_user_sgpr_kernarg_segment_ptr 1
		.amdhsa_user_sgpr_dispatch_id 0
		.amdhsa_user_sgpr_kernarg_preload_length 0
		.amdhsa_user_sgpr_kernarg_preload_offset 0
		.amdhsa_user_sgpr_private_segment_size 0
		.amdhsa_uses_dynamic_stack 0
		.amdhsa_enable_private_segment 0
		.amdhsa_system_sgpr_workgroup_id_x 1
		.amdhsa_system_sgpr_workgroup_id_y 0
		.amdhsa_system_sgpr_workgroup_id_z 0
		.amdhsa_system_sgpr_workgroup_info 0
		.amdhsa_system_vgpr_workitem_id 0
		.amdhsa_next_free_vgpr 18
		.amdhsa_next_free_sgpr 43
		.amdhsa_accum_offset 20
		.amdhsa_reserve_vcc 1
		.amdhsa_float_round_mode_32 0
		.amdhsa_float_round_mode_16_64 0
		.amdhsa_float_denorm_mode_32 3
		.amdhsa_float_denorm_mode_16_64 3
		.amdhsa_dx10_clamp 1
		.amdhsa_ieee_mode 1
		.amdhsa_fp16_overflow 0
		.amdhsa_tg_split 0
		.amdhsa_exception_fp_ieee_invalid_op 0
		.amdhsa_exception_fp_denorm_src 0
		.amdhsa_exception_fp_ieee_div_zero 0
		.amdhsa_exception_fp_ieee_overflow 0
		.amdhsa_exception_fp_ieee_underflow 0
		.amdhsa_exception_fp_ieee_inexact 0
		.amdhsa_exception_int_div_zero 0
	.end_amdhsa_kernel
	.section	.text._ZN2at6native29vectorized_elementwise_kernelILi8EZNS0_23bitwise_not_kernel_cudaERNS_18TensorIteratorBaseEEUlbE_St5arrayIPcLm2EEEEviT0_T1_,"axG",@progbits,_ZN2at6native29vectorized_elementwise_kernelILi8EZNS0_23bitwise_not_kernel_cudaERNS_18TensorIteratorBaseEEUlbE_St5arrayIPcLm2EEEEviT0_T1_,comdat
.Lfunc_end1:
	.size	_ZN2at6native29vectorized_elementwise_kernelILi8EZNS0_23bitwise_not_kernel_cudaERNS_18TensorIteratorBaseEEUlbE_St5arrayIPcLm2EEEEviT0_T1_, .Lfunc_end1-_ZN2at6native29vectorized_elementwise_kernelILi8EZNS0_23bitwise_not_kernel_cudaERNS_18TensorIteratorBaseEEUlbE_St5arrayIPcLm2EEEEviT0_T1_
                                        ; -- End function
	.set _ZN2at6native29vectorized_elementwise_kernelILi8EZNS0_23bitwise_not_kernel_cudaERNS_18TensorIteratorBaseEEUlbE_St5arrayIPcLm2EEEEviT0_T1_.num_vgpr, 18
	.set _ZN2at6native29vectorized_elementwise_kernelILi8EZNS0_23bitwise_not_kernel_cudaERNS_18TensorIteratorBaseEEUlbE_St5arrayIPcLm2EEEEviT0_T1_.num_agpr, 0
	.set _ZN2at6native29vectorized_elementwise_kernelILi8EZNS0_23bitwise_not_kernel_cudaERNS_18TensorIteratorBaseEEUlbE_St5arrayIPcLm2EEEEviT0_T1_.numbered_sgpr, 43
	.set _ZN2at6native29vectorized_elementwise_kernelILi8EZNS0_23bitwise_not_kernel_cudaERNS_18TensorIteratorBaseEEUlbE_St5arrayIPcLm2EEEEviT0_T1_.num_named_barrier, 0
	.set _ZN2at6native29vectorized_elementwise_kernelILi8EZNS0_23bitwise_not_kernel_cudaERNS_18TensorIteratorBaseEEUlbE_St5arrayIPcLm2EEEEviT0_T1_.private_seg_size, 0
	.set _ZN2at6native29vectorized_elementwise_kernelILi8EZNS0_23bitwise_not_kernel_cudaERNS_18TensorIteratorBaseEEUlbE_St5arrayIPcLm2EEEEviT0_T1_.uses_vcc, 1
	.set _ZN2at6native29vectorized_elementwise_kernelILi8EZNS0_23bitwise_not_kernel_cudaERNS_18TensorIteratorBaseEEUlbE_St5arrayIPcLm2EEEEviT0_T1_.uses_flat_scratch, 0
	.set _ZN2at6native29vectorized_elementwise_kernelILi8EZNS0_23bitwise_not_kernel_cudaERNS_18TensorIteratorBaseEEUlbE_St5arrayIPcLm2EEEEviT0_T1_.has_dyn_sized_stack, 0
	.set _ZN2at6native29vectorized_elementwise_kernelILi8EZNS0_23bitwise_not_kernel_cudaERNS_18TensorIteratorBaseEEUlbE_St5arrayIPcLm2EEEEviT0_T1_.has_recursion, 0
	.set _ZN2at6native29vectorized_elementwise_kernelILi8EZNS0_23bitwise_not_kernel_cudaERNS_18TensorIteratorBaseEEUlbE_St5arrayIPcLm2EEEEviT0_T1_.has_indirect_call, 0
	.section	.AMDGPU.csdata,"",@progbits
; Kernel info:
; codeLenInByte = 3096
; TotalNumSgprs: 49
; NumVgprs: 18
; NumAgprs: 0
; TotalNumVgprs: 18
; ScratchSize: 0
; MemoryBound: 0
; FloatMode: 240
; IeeeMode: 1
; LDSByteSize: 0 bytes/workgroup (compile time only)
; SGPRBlocks: 6
; VGPRBlocks: 2
; NumSGPRsForWavesPerEU: 49
; NumVGPRsForWavesPerEU: 18
; AccumOffset: 20
; Occupancy: 8
; WaveLimiterHint : 1
; COMPUTE_PGM_RSRC2:SCRATCH_EN: 0
; COMPUTE_PGM_RSRC2:USER_SGPR: 2
; COMPUTE_PGM_RSRC2:TRAP_HANDLER: 0
; COMPUTE_PGM_RSRC2:TGID_X_EN: 1
; COMPUTE_PGM_RSRC2:TGID_Y_EN: 0
; COMPUTE_PGM_RSRC2:TGID_Z_EN: 0
; COMPUTE_PGM_RSRC2:TIDIG_COMP_CNT: 0
; COMPUTE_PGM_RSRC3_GFX90A:ACCUM_OFFSET: 4
; COMPUTE_PGM_RSRC3_GFX90A:TG_SPLIT: 0
	.section	.text._ZN2at6native29vectorized_elementwise_kernelILi4EZNS0_23bitwise_not_kernel_cudaERNS_18TensorIteratorBaseEEUlbE_St5arrayIPcLm2EEEEviT0_T1_,"axG",@progbits,_ZN2at6native29vectorized_elementwise_kernelILi4EZNS0_23bitwise_not_kernel_cudaERNS_18TensorIteratorBaseEEUlbE_St5arrayIPcLm2EEEEviT0_T1_,comdat
	.globl	_ZN2at6native29vectorized_elementwise_kernelILi4EZNS0_23bitwise_not_kernel_cudaERNS_18TensorIteratorBaseEEUlbE_St5arrayIPcLm2EEEEviT0_T1_ ; -- Begin function _ZN2at6native29vectorized_elementwise_kernelILi4EZNS0_23bitwise_not_kernel_cudaERNS_18TensorIteratorBaseEEUlbE_St5arrayIPcLm2EEEEviT0_T1_
	.p2align	8
	.type	_ZN2at6native29vectorized_elementwise_kernelILi4EZNS0_23bitwise_not_kernel_cudaERNS_18TensorIteratorBaseEEUlbE_St5arrayIPcLm2EEEEviT0_T1_,@function
_ZN2at6native29vectorized_elementwise_kernelILi4EZNS0_23bitwise_not_kernel_cudaERNS_18TensorIteratorBaseEEUlbE_St5arrayIPcLm2EEEEviT0_T1_: ; @_ZN2at6native29vectorized_elementwise_kernelILi4EZNS0_23bitwise_not_kernel_cudaERNS_18TensorIteratorBaseEEUlbE_St5arrayIPcLm2EEEEviT0_T1_
; %bb.0:
	s_load_dword s3, s[0:1], 0x0
	s_load_dwordx4 s[4:7], s[0:1], 0x8
	s_lshl_b32 s33, s2, 12
	s_mov_b64 s[0:1], -1
	s_waitcnt lgkmcnt(0)
	s_sub_i32 s42, s3, s33
	s_cmpk_gt_i32 s42, 0xfff
	s_cbranch_scc0 .LBB2_2
; %bb.1:
	s_ashr_i32 s2, s33, 31
	s_add_u32 s0, s6, s33
	s_addc_u32 s1, s7, s2
	v_lshlrev_b32_e32 v1, 2, v0
	global_load_dword v2, v1, s[0:1]
	global_load_dword v3, v1, s[0:1] offset:1024
	global_load_dword v4, v1, s[0:1] offset:2048
	;; [unrolled: 1-line block ×3, first 2 shown]
	s_mov_b32 s8, 0x1000000
	v_mov_b32_e32 v6, 0
	s_add_u32 s0, s4, s33
	s_addc_u32 s1, s5, s2
	s_waitcnt vmcnt(3)
	v_cmp_gt_u32_e32 vcc, s8, v2
	v_and_b32_e32 v7, 0xff0000, v2
	v_and_b32_e32 v11, 0xff00, v2
	v_cmp_eq_u32_sdwa s[2:3], v2, v6 src0_sel:BYTE_0 src1_sel:DWORD
	v_cndmask_b32_e64 v2, 0, 1, vcc
	s_waitcnt vmcnt(2)
	v_cmp_gt_u32_e32 vcc, s8, v3
	v_and_b32_e32 v8, 0xff0000, v3
	v_cndmask_b32_e64 v12, 0, 1, s[2:3]
	v_and_b32_e32 v13, 0xff00, v3
	v_cmp_eq_u32_sdwa s[2:3], v3, v6 src0_sel:BYTE_0 src1_sel:DWORD
	v_cndmask_b32_e64 v3, 0, 1, vcc
	s_waitcnt vmcnt(1)
	v_cmp_gt_u32_e32 vcc, s8, v4
	v_and_b32_e32 v9, 0xff0000, v4
	v_cndmask_b32_e64 v14, 0, 1, s[2:3]
	;; [unrolled: 7-line block ×3, first 2 shown]
	v_and_b32_e32 v17, 0xff00, v5
	v_cmp_eq_u32_sdwa s[2:3], v5, v6 src0_sel:BYTE_0 src1_sel:DWORD
	v_cndmask_b32_e64 v5, 0, 1, vcc
	v_cmp_eq_u32_e32 vcc, 0, v11
	v_lshlrev_b16_e32 v2, 8, v2
	v_lshlrev_b16_e32 v3, 8, v3
	v_cndmask_b32_e64 v11, 0, 1, vcc
	v_cmp_eq_u32_e32 vcc, 0, v7
	v_lshlrev_b16_e32 v4, 8, v4
	v_lshlrev_b16_e32 v5, 8, v5
	v_cndmask_b32_e64 v7, 0, 1, vcc
	v_cmp_eq_u32_e32 vcc, 0, v13
	v_lshlrev_b16_e32 v11, 8, v11
	v_cndmask_b32_e64 v6, 0, 1, s[2:3]
	v_cndmask_b32_e64 v13, 0, 1, vcc
	v_cmp_eq_u32_e32 vcc, 0, v8
	v_or_b32_sdwa v2, v7, v2 dst_sel:WORD_1 dst_unused:UNUSED_PAD src0_sel:DWORD src1_sel:DWORD
	v_lshlrev_b16_e32 v7, 8, v13
	v_cndmask_b32_e64 v8, 0, 1, vcc
	v_cmp_eq_u32_e32 vcc, 0, v15
	v_or_b32_sdwa v3, v8, v3 dst_sel:WORD_1 dst_unused:UNUSED_PAD src0_sel:DWORD src1_sel:DWORD
	v_or_b32_e32 v7, v14, v7
	v_cndmask_b32_e64 v15, 0, 1, vcc
	v_cmp_eq_u32_e32 vcc, 0, v9
	v_lshlrev_b16_e32 v8, 8, v15
	v_or_b32_e32 v8, v16, v8
	v_cndmask_b32_e64 v9, 0, 1, vcc
	v_cmp_eq_u32_e32 vcc, 0, v17
	v_or_b32_sdwa v4, v9, v4 dst_sel:WORD_1 dst_unused:UNUSED_PAD src0_sel:DWORD src1_sel:DWORD
	v_or_b32_sdwa v3, v7, v3 dst_sel:DWORD dst_unused:UNUSED_PAD src0_sel:WORD_0 src1_sel:DWORD
	v_cndmask_b32_e64 v17, 0, 1, vcc
	v_cmp_eq_u32_e32 vcc, 0, v10
	v_lshlrev_b16_e32 v9, 8, v17
	v_or_b32_e32 v6, v6, v9
	v_cndmask_b32_e64 v10, 0, 1, vcc
	v_or_b32_sdwa v5, v10, v5 dst_sel:WORD_1 dst_unused:UNUSED_PAD src0_sel:DWORD src1_sel:DWORD
	v_or_b32_e32 v10, v12, v11
	v_or_b32_sdwa v2, v10, v2 dst_sel:DWORD dst_unused:UNUSED_PAD src0_sel:WORD_0 src1_sel:DWORD
	v_or_b32_sdwa v4, v8, v4 dst_sel:DWORD dst_unused:UNUSED_PAD src0_sel:WORD_0 src1_sel:DWORD
	v_or_b32_sdwa v5, v6, v5 dst_sel:DWORD dst_unused:UNUSED_PAD src0_sel:WORD_0 src1_sel:DWORD
	global_store_dword v1, v2, s[0:1]
	global_store_dword v1, v3, s[0:1] offset:1024
	global_store_dword v1, v4, s[0:1] offset:2048
	;; [unrolled: 1-line block ×3, first 2 shown]
	s_mov_b64 s[0:1], 0
.LBB2_2:
	s_andn2_b64 vcc, exec, s[0:1]
	s_cbranch_vccnz .LBB2_52
; %bb.3:
	v_cmp_gt_i32_e32 vcc, s42, v0
	s_mov_b64 s[2:3], -1
	v_or_b32_e32 v1, s33, v0
	s_mov_b64 s[8:9], -1
	v_mov_b32_e32 v2, v0
	s_and_saveexec_b64 s[10:11], vcc
	s_cbranch_execz .LBB2_5
; %bb.4:
	global_load_ubyte v3, v1, s[6:7]
	v_or_b32_e32 v2, 0x100, v0
	s_waitcnt vmcnt(0)
	v_cmp_eq_u16_e64 s[0:1], 0, v3
	s_orn2_b64 s[8:9], s[0:1], exec
.LBB2_5:
	s_or_b64 exec, exec, s[10:11]
	v_cmp_gt_i32_e64 s[0:1], s42, v2
	s_and_saveexec_b64 s[10:11], s[0:1]
	s_cbranch_execz .LBB2_7
; %bb.6:
	v_add_u32_e32 v3, s33, v2
	global_load_ubyte v3, v3, s[6:7]
	v_add_u32_e32 v2, 0x100, v2
	s_waitcnt vmcnt(0)
	v_cmp_eq_u16_e64 s[0:1], 0, v3
	s_orn2_b64 s[2:3], s[0:1], exec
.LBB2_7:
	s_or_b64 exec, exec, s[10:11]
	v_cmp_gt_i32_e64 s[0:1], s42, v2
	s_mov_b64 s[10:11], -1
	s_mov_b64 s[12:13], -1
	s_and_saveexec_b64 s[14:15], s[0:1]
	s_cbranch_execz .LBB2_9
; %bb.8:
	v_add_u32_e32 v3, s33, v2
	global_load_ubyte v3, v3, s[6:7]
	v_add_u32_e32 v2, 0x100, v2
	s_waitcnt vmcnt(0)
	v_cmp_eq_u16_e64 s[0:1], 0, v3
	s_orn2_b64 s[12:13], s[0:1], exec
.LBB2_9:
	s_or_b64 exec, exec, s[14:15]
	v_cmp_gt_i32_e64 s[0:1], s42, v2
	s_and_saveexec_b64 s[14:15], s[0:1]
	s_cbranch_execz .LBB2_11
; %bb.10:
	v_add_u32_e32 v3, s33, v2
	global_load_ubyte v3, v3, s[6:7]
	v_add_u32_e32 v2, 0x100, v2
	s_waitcnt vmcnt(0)
	v_cmp_eq_u16_e64 s[0:1], 0, v3
	s_orn2_b64 s[10:11], s[0:1], exec
.LBB2_11:
	s_or_b64 exec, exec, s[14:15]
	v_cmp_gt_i32_e64 s[0:1], s42, v2
	s_mov_b64 s[14:15], -1
	s_mov_b64 s[16:17], -1
	s_and_saveexec_b64 s[18:19], s[0:1]
	s_cbranch_execz .LBB2_13
; %bb.12:
	v_add_u32_e32 v3, s33, v2
	global_load_ubyte v3, v3, s[6:7]
	v_add_u32_e32 v2, 0x100, v2
	s_waitcnt vmcnt(0)
	v_cmp_eq_u16_e64 s[0:1], 0, v3
	s_orn2_b64 s[16:17], s[0:1], exec
.LBB2_13:
	;; [unrolled: 26-line block ×7, first 2 shown]
	s_or_b64 exec, exec, s[40:41]
	v_cmp_gt_i32_e64 s[0:1], s42, v2
	s_and_saveexec_b64 s[40:41], s[0:1]
	s_cbranch_execz .LBB2_35
; %bb.34:
	v_add_u32_e32 v2, s33, v2
	global_load_ubyte v2, v2, s[6:7]
	s_waitcnt vmcnt(0)
	v_cmp_eq_u16_e64 s[0:1], 0, v2
	s_orn2_b64 s[36:37], s[0:1], exec
.LBB2_35:
	s_or_b64 exec, exec, s[40:41]
	v_cndmask_b32_e64 v2, 0, 1, s[8:9]
	v_cndmask_b32_e64 v3, 0, 1, s[2:3]
	v_cndmask_b32_e32 v2, 0, v2, vcc
	v_lshlrev_b16_e32 v3, 8, v3
	v_or_b32_e32 v6, 0x100, v0
	v_or_b32_e32 v3, v2, v3
	v_and_b32_e32 v3, 0xffff, v3
	v_cmp_gt_i32_e64 s[0:1], s42, v6
	v_cndmask_b32_e64 v4, 0, 1, s[12:13]
	v_cndmask_b32_e64 v5, 0, 1, s[10:11]
	v_cndmask_b32_e64 v2, v2, v3, s[0:1]
	v_or_b32_e32 v3, 0x200, v0
	v_lshl_or_b32 v4, v4, 16, v2
	v_cmp_gt_i32_e64 s[0:1], s42, v3
	v_lshlrev_b16_e32 v5, 8, v5
	s_movk_i32 s3, 0xff
	v_cndmask_b32_e64 v2, v2, v4, s[0:1]
	v_lshrrev_b32_e32 v3, 16, v2
	v_bitop3_b16 v3, v3, v5, s3 bitop3:0xec
	s_mov_b32 s2, 0xffff
	v_or_b32_e32 v4, 0x300, v0
	v_lshlrev_b32_e32 v3, 16, v3
	v_and_or_b32 v3, v2, s2, v3
	v_cmp_gt_i32_e64 s[0:1], s42, v4
	s_movk_i32 s6, 0xff00
	v_cndmask_b32_e64 v4, 0, 1, s[14:15]
	v_cndmask_b32_e64 v5, v2, v3, s[0:1]
	;; [unrolled: 1-line block ×3, first 2 shown]
	v_bitop3_b16 v2, v2, 0, s6 bitop3:0xf8
	v_or_b32_e32 v3, 0x400, v0
	v_and_b32_e32 v2, 0xffff, v2
	v_cmp_gt_i32_e64 s[0:1], s42, v3
	v_lshlrev_b16_e32 v4, 8, v4
	v_or_b32_e32 v3, 0x500, v0
	v_cndmask_b32_e64 v2, 0, v2, s[0:1]
	v_bitop3_b16 v4, v2, v4, s3 bitop3:0xec
	v_and_b32_e32 v4, 0xffff, v4
	v_cmp_gt_i32_e64 s[0:1], s42, v3
	v_cndmask_b32_e64 v7, 0, 1, s[18:19]
	v_lshlrev_b16_e32 v7, 8, v7
	v_cndmask_b32_e64 v2, v2, v4, s[0:1]
	v_lshrrev_b32_e32 v3, 16, v2
	v_cndmask_b32_e64 v4, 0, 1, s[20:21]
	v_bitop3_b16 v3, v4, v3, s6 bitop3:0xf8
	v_or_b32_e32 v4, 0x600, v0
	v_lshlrev_b32_e32 v3, 16, v3
	v_and_or_b32 v3, v2, s2, v3
	v_cmp_gt_i32_e64 s[0:1], s42, v4
	v_or_b32_e32 v4, 0x700, v0
	v_cndmask_b32_e64 v8, 0, 1, s[26:27]
	v_cndmask_b32_e64 v2, v2, v3, s[0:1]
	v_lshrrev_b32_e32 v3, 16, v2
	v_bitop3_b16 v3, v3, v7, s3 bitop3:0xec
	v_lshlrev_b32_e32 v3, 16, v3
	v_and_or_b32 v3, v2, s2, v3
	v_cmp_gt_i32_e64 s[0:1], s42, v4
	v_cndmask_b32_e64 v7, 0, 1, s[22:23]
	v_lshlrev_b16_e32 v7, 8, v7
	v_cndmask_b32_e64 v4, v2, v3, s[0:1]
	v_or_b32_e32 v2, 0x800, v0
	v_cndmask_b32_e64 v3, 0, 1, s[24:25]
	v_cmp_gt_i32_e64 s[0:1], s42, v2
	v_lshlrev_b16_e32 v8, 8, v8
	v_cndmask_b32_e64 v9, 0, 1, s[36:37]
	v_cndmask_b32_e64 v2, 0, v3, s[0:1]
	v_or_b32_e32 v3, 0x900, v0
	v_or_b32_e32 v7, v2, v7
	v_and_b32_e32 v7, 0xffff, v7
	v_cmp_gt_i32_e64 s[0:1], s42, v3
	v_or_b32_e32 v3, 0xa00, v0
	v_lshlrev_b16_e32 v9, 8, v9
	v_cndmask_b32_e64 v2, v2, v7, s[0:1]
	v_cndmask_b32_e64 v7, 0, 1, s[28:29]
	v_lshlrev_b32_e32 v7, 16, v7
	s_movk_i32 s0, 0x1ff
	v_and_or_b32 v7, v2, s0, v7
	v_cmp_gt_i32_e64 s[0:1], s42, v3
	s_nop 1
	v_cndmask_b32_e64 v2, v2, v7, s[0:1]
	v_lshrrev_b32_e32 v3, 16, v2
	v_bitop3_b16 v3, v3, v8, s3 bitop3:0xec
	v_or_b32_e32 v7, 0xb00, v0
	v_lshlrev_b32_e32 v3, 16, v3
	v_and_or_b32 v3, v2, s2, v3
	v_cmp_gt_i32_e64 s[0:1], s42, v7
	v_cndmask_b32_e64 v7, 0, 1, s[34:35]
	v_cndmask_b32_e64 v8, 0, 1, s[30:31]
	;; [unrolled: 1-line block ×3, first 2 shown]
	v_or_b32_e32 v2, 0xc00, v0
	v_cmp_gt_i32_e64 s[0:1], s42, v2
	v_lshlrev_b16_e32 v8, 8, v8
	s_nop 0
	v_cndmask_b32_e64 v2, 0, v7, s[0:1]
	v_or_b32_e32 v7, 0xd00, v0
	v_bitop3_b16 v8, v2, v8, s3 bitop3:0xec
	v_and_b32_e32 v8, 0xffff, v8
	v_cmp_gt_i32_e64 s[0:1], s42, v7
	s_nop 1
	v_cndmask_b32_e64 v2, v2, v8, s[0:1]
	v_lshrrev_b32_e32 v7, 16, v2
	v_cndmask_b32_e64 v8, 0, 1, s[38:39]
	v_bitop3_b16 v7, v8, v7, s6 bitop3:0xf8
	v_or_b32_e32 v8, 0xe00, v0
	v_lshlrev_b32_e32 v7, 16, v7
	v_and_or_b32 v7, v2, s2, v7
	v_cmp_gt_i32_e64 s[0:1], s42, v8
	v_or_b32_e32 v8, 0xf00, v0
	s_nop 0
	v_cndmask_b32_e64 v2, v2, v7, s[0:1]
	v_lshrrev_b32_e32 v7, 16, v2
	v_bitop3_b16 v7, v7, v9, s3 bitop3:0xec
	v_lshlrev_b32_e32 v7, 16, v7
	v_and_or_b32 v7, v2, s2, v7
	v_cmp_gt_i32_e64 s[0:1], s42, v8
	s_nop 1
	v_cndmask_b32_e64 v2, v2, v7, s[0:1]
	s_and_saveexec_b64 s[0:1], vcc
	s_cbranch_execnz .LBB2_53
; %bb.36:
	s_or_b64 exec, exec, s[0:1]
	v_cmp_gt_i32_e32 vcc, s42, v0
	s_and_saveexec_b64 s[0:1], vcc
	s_cbranch_execnz .LBB2_54
.LBB2_37:
	s_or_b64 exec, exec, s[0:1]
	v_cmp_gt_i32_e32 vcc, s42, v0
	s_and_saveexec_b64 s[0:1], vcc
	s_cbranch_execnz .LBB2_55
.LBB2_38:
	s_or_b64 exec, exec, s[0:1]
	v_cmp_gt_i32_e32 vcc, s42, v0
	s_and_saveexec_b64 s[0:1], vcc
	s_cbranch_execnz .LBB2_56
.LBB2_39:
	s_or_b64 exec, exec, s[0:1]
	v_cmp_gt_i32_e32 vcc, s42, v0
	s_and_saveexec_b64 s[0:1], vcc
	s_cbranch_execnz .LBB2_57
.LBB2_40:
	s_or_b64 exec, exec, s[0:1]
	v_cmp_gt_i32_e32 vcc, s42, v0
	s_and_saveexec_b64 s[0:1], vcc
	s_cbranch_execnz .LBB2_58
.LBB2_41:
	s_or_b64 exec, exec, s[0:1]
	v_cmp_gt_i32_e32 vcc, s42, v0
	s_and_saveexec_b64 s[0:1], vcc
	s_cbranch_execnz .LBB2_59
.LBB2_42:
	s_or_b64 exec, exec, s[0:1]
	v_cmp_gt_i32_e32 vcc, s42, v0
	s_and_saveexec_b64 s[0:1], vcc
	s_cbranch_execnz .LBB2_60
.LBB2_43:
	s_or_b64 exec, exec, s[0:1]
	v_cmp_gt_i32_e32 vcc, s42, v0
	s_and_saveexec_b64 s[0:1], vcc
	s_cbranch_execnz .LBB2_61
.LBB2_44:
	s_or_b64 exec, exec, s[0:1]
	v_cmp_gt_i32_e32 vcc, s42, v0
	s_and_saveexec_b64 s[0:1], vcc
	s_cbranch_execnz .LBB2_62
.LBB2_45:
	s_or_b64 exec, exec, s[0:1]
	v_cmp_gt_i32_e32 vcc, s42, v0
	s_and_saveexec_b64 s[0:1], vcc
	s_cbranch_execnz .LBB2_63
.LBB2_46:
	s_or_b64 exec, exec, s[0:1]
	v_cmp_gt_i32_e32 vcc, s42, v0
	s_and_saveexec_b64 s[0:1], vcc
	s_cbranch_execnz .LBB2_64
.LBB2_47:
	s_or_b64 exec, exec, s[0:1]
	v_cmp_gt_i32_e32 vcc, s42, v0
	s_and_saveexec_b64 s[0:1], vcc
	s_cbranch_execnz .LBB2_65
.LBB2_48:
	s_or_b64 exec, exec, s[0:1]
	v_cmp_gt_i32_e32 vcc, s42, v0
	s_and_saveexec_b64 s[0:1], vcc
	s_cbranch_execnz .LBB2_66
.LBB2_49:
	s_or_b64 exec, exec, s[0:1]
	v_cmp_gt_i32_e32 vcc, s42, v0
	s_and_saveexec_b64 s[0:1], vcc
	s_cbranch_execnz .LBB2_67
.LBB2_50:
	s_or_b64 exec, exec, s[0:1]
	v_cmp_gt_i32_e32 vcc, s42, v0
	s_and_saveexec_b64 s[0:1], vcc
	s_cbranch_execz .LBB2_52
.LBB2_51:
	v_lshrrev_b32_e32 v1, 24, v2
	v_add_u32_e32 v0, s33, v0
	global_store_byte v0, v1, s[4:5]
.LBB2_52:
	s_endpgm
.LBB2_53:
	v_mov_b32_e32 v0, v6
	global_store_byte v1, v5, s[4:5]
	s_or_b64 exec, exec, s[0:1]
	v_cmp_gt_i32_e32 vcc, s42, v0
	s_and_saveexec_b64 s[0:1], vcc
	s_cbranch_execz .LBB2_37
.LBB2_54:
	v_lshrrev_b32_e32 v1, 8, v5
	v_add_u32_e32 v6, s33, v0
	v_add_u32_e32 v0, 0x100, v0
	global_store_byte v6, v1, s[4:5]
	s_or_b64 exec, exec, s[0:1]
	v_cmp_gt_i32_e32 vcc, s42, v0
	s_and_saveexec_b64 s[0:1], vcc
	s_cbranch_execz .LBB2_38
.LBB2_55:
	v_add_u32_e32 v1, s33, v0
	v_add_u32_e32 v0, 0x100, v0
	global_store_byte_d16_hi v1, v5, s[4:5]
	s_or_b64 exec, exec, s[0:1]
	v_cmp_gt_i32_e32 vcc, s42, v0
	s_and_saveexec_b64 s[0:1], vcc
	s_cbranch_execz .LBB2_39
.LBB2_56:
	v_lshrrev_b32_e32 v1, 24, v5
	v_add_u32_e32 v5, s33, v0
	v_add_u32_e32 v0, 0x100, v0
	global_store_byte v5, v1, s[4:5]
	s_or_b64 exec, exec, s[0:1]
	v_cmp_gt_i32_e32 vcc, s42, v0
	s_and_saveexec_b64 s[0:1], vcc
	s_cbranch_execz .LBB2_40
.LBB2_57:
	v_add_u32_e32 v1, s33, v0
	v_add_u32_e32 v0, 0x100, v0
	global_store_byte v1, v4, s[4:5]
	s_or_b64 exec, exec, s[0:1]
	v_cmp_gt_i32_e32 vcc, s42, v0
	s_and_saveexec_b64 s[0:1], vcc
	s_cbranch_execz .LBB2_41
.LBB2_58:
	v_lshrrev_b32_e32 v1, 8, v4
	v_add_u32_e32 v5, s33, v0
	v_add_u32_e32 v0, 0x100, v0
	global_store_byte v5, v1, s[4:5]
	s_or_b64 exec, exec, s[0:1]
	v_cmp_gt_i32_e32 vcc, s42, v0
	s_and_saveexec_b64 s[0:1], vcc
	s_cbranch_execz .LBB2_42
.LBB2_59:
	v_add_u32_e32 v1, s33, v0
	v_add_u32_e32 v0, 0x100, v0
	global_store_byte_d16_hi v1, v4, s[4:5]
	s_or_b64 exec, exec, s[0:1]
	v_cmp_gt_i32_e32 vcc, s42, v0
	s_and_saveexec_b64 s[0:1], vcc
	s_cbranch_execz .LBB2_43
.LBB2_60:
	v_lshrrev_b32_e32 v1, 24, v4
	v_add_u32_e32 v4, s33, v0
	v_add_u32_e32 v0, 0x100, v0
	global_store_byte v4, v1, s[4:5]
	s_or_b64 exec, exec, s[0:1]
	v_cmp_gt_i32_e32 vcc, s42, v0
	s_and_saveexec_b64 s[0:1], vcc
	s_cbranch_execz .LBB2_44
.LBB2_61:
	v_add_u32_e32 v1, s33, v0
	v_add_u32_e32 v0, 0x100, v0
	global_store_byte v1, v3, s[4:5]
	s_or_b64 exec, exec, s[0:1]
	v_cmp_gt_i32_e32 vcc, s42, v0
	s_and_saveexec_b64 s[0:1], vcc
	s_cbranch_execz .LBB2_45
.LBB2_62:
	v_lshrrev_b32_e32 v1, 8, v3
	v_add_u32_e32 v4, s33, v0
	v_add_u32_e32 v0, 0x100, v0
	global_store_byte v4, v1, s[4:5]
	s_or_b64 exec, exec, s[0:1]
	v_cmp_gt_i32_e32 vcc, s42, v0
	s_and_saveexec_b64 s[0:1], vcc
	s_cbranch_execz .LBB2_46
.LBB2_63:
	v_add_u32_e32 v1, s33, v0
	v_add_u32_e32 v0, 0x100, v0
	global_store_byte_d16_hi v1, v3, s[4:5]
	s_or_b64 exec, exec, s[0:1]
	v_cmp_gt_i32_e32 vcc, s42, v0
	s_and_saveexec_b64 s[0:1], vcc
	s_cbranch_execz .LBB2_47
.LBB2_64:
	v_lshrrev_b32_e32 v1, 24, v3
	v_add_u32_e32 v3, s33, v0
	v_add_u32_e32 v0, 0x100, v0
	global_store_byte v3, v1, s[4:5]
	s_or_b64 exec, exec, s[0:1]
	v_cmp_gt_i32_e32 vcc, s42, v0
	s_and_saveexec_b64 s[0:1], vcc
	s_cbranch_execz .LBB2_48
.LBB2_65:
	v_add_u32_e32 v1, s33, v0
	v_add_u32_e32 v0, 0x100, v0
	global_store_byte v1, v2, s[4:5]
	s_or_b64 exec, exec, s[0:1]
	v_cmp_gt_i32_e32 vcc, s42, v0
	s_and_saveexec_b64 s[0:1], vcc
	s_cbranch_execz .LBB2_49
.LBB2_66:
	v_lshrrev_b32_e32 v1, 8, v2
	v_add_u32_e32 v3, s33, v0
	v_add_u32_e32 v0, 0x100, v0
	global_store_byte v3, v1, s[4:5]
	s_or_b64 exec, exec, s[0:1]
	v_cmp_gt_i32_e32 vcc, s42, v0
	s_and_saveexec_b64 s[0:1], vcc
	s_cbranch_execz .LBB2_50
.LBB2_67:
	v_add_u32_e32 v1, s33, v0
	v_add_u32_e32 v0, 0x100, v0
	global_store_byte_d16_hi v1, v2, s[4:5]
	s_or_b64 exec, exec, s[0:1]
	v_cmp_gt_i32_e32 vcc, s42, v0
	s_and_saveexec_b64 s[0:1], vcc
	s_cbranch_execnz .LBB2_51
	s_branch .LBB2_52
	.section	.rodata,"a",@progbits
	.p2align	6, 0x0
	.amdhsa_kernel _ZN2at6native29vectorized_elementwise_kernelILi4EZNS0_23bitwise_not_kernel_cudaERNS_18TensorIteratorBaseEEUlbE_St5arrayIPcLm2EEEEviT0_T1_
		.amdhsa_group_segment_fixed_size 0
		.amdhsa_private_segment_fixed_size 0
		.amdhsa_kernarg_size 24
		.amdhsa_user_sgpr_count 2
		.amdhsa_user_sgpr_dispatch_ptr 0
		.amdhsa_user_sgpr_queue_ptr 0
		.amdhsa_user_sgpr_kernarg_segment_ptr 1
		.amdhsa_user_sgpr_dispatch_id 0
		.amdhsa_user_sgpr_kernarg_preload_length 0
		.amdhsa_user_sgpr_kernarg_preload_offset 0
		.amdhsa_user_sgpr_private_segment_size 0
		.amdhsa_uses_dynamic_stack 0
		.amdhsa_enable_private_segment 0
		.amdhsa_system_sgpr_workgroup_id_x 1
		.amdhsa_system_sgpr_workgroup_id_y 0
		.amdhsa_system_sgpr_workgroup_id_z 0
		.amdhsa_system_sgpr_workgroup_info 0
		.amdhsa_system_vgpr_workitem_id 0
		.amdhsa_next_free_vgpr 18
		.amdhsa_next_free_sgpr 43
		.amdhsa_accum_offset 20
		.amdhsa_reserve_vcc 1
		.amdhsa_float_round_mode_32 0
		.amdhsa_float_round_mode_16_64 0
		.amdhsa_float_denorm_mode_32 3
		.amdhsa_float_denorm_mode_16_64 3
		.amdhsa_dx10_clamp 1
		.amdhsa_ieee_mode 1
		.amdhsa_fp16_overflow 0
		.amdhsa_tg_split 0
		.amdhsa_exception_fp_ieee_invalid_op 0
		.amdhsa_exception_fp_denorm_src 0
		.amdhsa_exception_fp_ieee_div_zero 0
		.amdhsa_exception_fp_ieee_overflow 0
		.amdhsa_exception_fp_ieee_underflow 0
		.amdhsa_exception_fp_ieee_inexact 0
		.amdhsa_exception_int_div_zero 0
	.end_amdhsa_kernel
	.section	.text._ZN2at6native29vectorized_elementwise_kernelILi4EZNS0_23bitwise_not_kernel_cudaERNS_18TensorIteratorBaseEEUlbE_St5arrayIPcLm2EEEEviT0_T1_,"axG",@progbits,_ZN2at6native29vectorized_elementwise_kernelILi4EZNS0_23bitwise_not_kernel_cudaERNS_18TensorIteratorBaseEEUlbE_St5arrayIPcLm2EEEEviT0_T1_,comdat
.Lfunc_end2:
	.size	_ZN2at6native29vectorized_elementwise_kernelILi4EZNS0_23bitwise_not_kernel_cudaERNS_18TensorIteratorBaseEEUlbE_St5arrayIPcLm2EEEEviT0_T1_, .Lfunc_end2-_ZN2at6native29vectorized_elementwise_kernelILi4EZNS0_23bitwise_not_kernel_cudaERNS_18TensorIteratorBaseEEUlbE_St5arrayIPcLm2EEEEviT0_T1_
                                        ; -- End function
	.set _ZN2at6native29vectorized_elementwise_kernelILi4EZNS0_23bitwise_not_kernel_cudaERNS_18TensorIteratorBaseEEUlbE_St5arrayIPcLm2EEEEviT0_T1_.num_vgpr, 18
	.set _ZN2at6native29vectorized_elementwise_kernelILi4EZNS0_23bitwise_not_kernel_cudaERNS_18TensorIteratorBaseEEUlbE_St5arrayIPcLm2EEEEviT0_T1_.num_agpr, 0
	.set _ZN2at6native29vectorized_elementwise_kernelILi4EZNS0_23bitwise_not_kernel_cudaERNS_18TensorIteratorBaseEEUlbE_St5arrayIPcLm2EEEEviT0_T1_.numbered_sgpr, 43
	.set _ZN2at6native29vectorized_elementwise_kernelILi4EZNS0_23bitwise_not_kernel_cudaERNS_18TensorIteratorBaseEEUlbE_St5arrayIPcLm2EEEEviT0_T1_.num_named_barrier, 0
	.set _ZN2at6native29vectorized_elementwise_kernelILi4EZNS0_23bitwise_not_kernel_cudaERNS_18TensorIteratorBaseEEUlbE_St5arrayIPcLm2EEEEviT0_T1_.private_seg_size, 0
	.set _ZN2at6native29vectorized_elementwise_kernelILi4EZNS0_23bitwise_not_kernel_cudaERNS_18TensorIteratorBaseEEUlbE_St5arrayIPcLm2EEEEviT0_T1_.uses_vcc, 1
	.set _ZN2at6native29vectorized_elementwise_kernelILi4EZNS0_23bitwise_not_kernel_cudaERNS_18TensorIteratorBaseEEUlbE_St5arrayIPcLm2EEEEviT0_T1_.uses_flat_scratch, 0
	.set _ZN2at6native29vectorized_elementwise_kernelILi4EZNS0_23bitwise_not_kernel_cudaERNS_18TensorIteratorBaseEEUlbE_St5arrayIPcLm2EEEEviT0_T1_.has_dyn_sized_stack, 0
	.set _ZN2at6native29vectorized_elementwise_kernelILi4EZNS0_23bitwise_not_kernel_cudaERNS_18TensorIteratorBaseEEUlbE_St5arrayIPcLm2EEEEviT0_T1_.has_recursion, 0
	.set _ZN2at6native29vectorized_elementwise_kernelILi4EZNS0_23bitwise_not_kernel_cudaERNS_18TensorIteratorBaseEEUlbE_St5arrayIPcLm2EEEEviT0_T1_.has_indirect_call, 0
	.section	.AMDGPU.csdata,"",@progbits
; Kernel info:
; codeLenInByte = 3136
; TotalNumSgprs: 49
; NumVgprs: 18
; NumAgprs: 0
; TotalNumVgprs: 18
; ScratchSize: 0
; MemoryBound: 0
; FloatMode: 240
; IeeeMode: 1
; LDSByteSize: 0 bytes/workgroup (compile time only)
; SGPRBlocks: 6
; VGPRBlocks: 2
; NumSGPRsForWavesPerEU: 49
; NumVGPRsForWavesPerEU: 18
; AccumOffset: 20
; Occupancy: 8
; WaveLimiterHint : 1
; COMPUTE_PGM_RSRC2:SCRATCH_EN: 0
; COMPUTE_PGM_RSRC2:USER_SGPR: 2
; COMPUTE_PGM_RSRC2:TRAP_HANDLER: 0
; COMPUTE_PGM_RSRC2:TGID_X_EN: 1
; COMPUTE_PGM_RSRC2:TGID_Y_EN: 0
; COMPUTE_PGM_RSRC2:TGID_Z_EN: 0
; COMPUTE_PGM_RSRC2:TIDIG_COMP_CNT: 0
; COMPUTE_PGM_RSRC3_GFX90A:ACCUM_OFFSET: 4
; COMPUTE_PGM_RSRC3_GFX90A:TG_SPLIT: 0
	.section	.text._ZN2at6native29vectorized_elementwise_kernelILi2EZNS0_23bitwise_not_kernel_cudaERNS_18TensorIteratorBaseEEUlbE_St5arrayIPcLm2EEEEviT0_T1_,"axG",@progbits,_ZN2at6native29vectorized_elementwise_kernelILi2EZNS0_23bitwise_not_kernel_cudaERNS_18TensorIteratorBaseEEUlbE_St5arrayIPcLm2EEEEviT0_T1_,comdat
	.globl	_ZN2at6native29vectorized_elementwise_kernelILi2EZNS0_23bitwise_not_kernel_cudaERNS_18TensorIteratorBaseEEUlbE_St5arrayIPcLm2EEEEviT0_T1_ ; -- Begin function _ZN2at6native29vectorized_elementwise_kernelILi2EZNS0_23bitwise_not_kernel_cudaERNS_18TensorIteratorBaseEEUlbE_St5arrayIPcLm2EEEEviT0_T1_
	.p2align	8
	.type	_ZN2at6native29vectorized_elementwise_kernelILi2EZNS0_23bitwise_not_kernel_cudaERNS_18TensorIteratorBaseEEUlbE_St5arrayIPcLm2EEEEviT0_T1_,@function
_ZN2at6native29vectorized_elementwise_kernelILi2EZNS0_23bitwise_not_kernel_cudaERNS_18TensorIteratorBaseEEUlbE_St5arrayIPcLm2EEEEviT0_T1_: ; @_ZN2at6native29vectorized_elementwise_kernelILi2EZNS0_23bitwise_not_kernel_cudaERNS_18TensorIteratorBaseEEUlbE_St5arrayIPcLm2EEEEviT0_T1_
; %bb.0:
	s_load_dword s3, s[0:1], 0x0
	s_load_dwordx4 s[4:7], s[0:1], 0x8
	s_lshl_b32 s33, s2, 12
	s_mov_b64 s[0:1], -1
	s_waitcnt lgkmcnt(0)
	s_sub_i32 s42, s3, s33
	s_cmpk_gt_i32 s42, 0xfff
	s_cbranch_scc0 .LBB3_2
; %bb.1:
	s_ashr_i32 s2, s33, 31
	s_add_u32 s0, s6, s33
	s_addc_u32 s1, s7, s2
	v_lshlrev_b32_e32 v1, 1, v0
	global_load_ushort v2, v1, s[0:1]
	global_load_ushort v3, v1, s[0:1] offset:512
	global_load_ushort v4, v1, s[0:1] offset:1024
	;; [unrolled: 1-line block ×7, first 2 shown]
	s_movk_i32 s8, 0x100
	v_mov_b32_e32 v10, 0
	s_add_u32 s0, s4, s33
	s_addc_u32 s1, s5, s2
	s_waitcnt vmcnt(7)
	v_cmp_gt_u16_e32 vcc, s8, v2
	s_nop 1
	v_cndmask_b32_e64 v11, 0, 1, vcc
	v_cmp_eq_u16_sdwa s[2:3], v2, v10 src0_sel:BYTE_0 src1_sel:DWORD
	s_waitcnt vmcnt(6)
	v_cmp_gt_u16_e32 vcc, s8, v3
	v_lshlrev_b16_e32 v11, 8, v11
	v_cndmask_b32_e64 v2, 0, 1, s[2:3]
	v_cndmask_b32_e64 v12, 0, 1, vcc
	v_cmp_eq_u16_sdwa s[2:3], v3, v10 src0_sel:BYTE_0 src1_sel:DWORD
	s_waitcnt vmcnt(5)
	v_cmp_gt_u16_e32 vcc, s8, v4
	v_lshlrev_b16_e32 v12, 8, v12
	v_cndmask_b32_e64 v3, 0, 1, s[2:3]
	;; [unrolled: 6-line block ×3, first 2 shown]
	v_cmp_eq_u16_sdwa s[2:3], v5, v10 src0_sel:BYTE_0 src1_sel:DWORD
	v_cndmask_b32_e64 v5, 0, 1, vcc
	s_waitcnt vmcnt(3)
	v_cmp_gt_u16_e32 vcc, s8, v6
	v_cndmask_b32_e64 v14, 0, 1, s[2:3]
	v_cmp_eq_u16_sdwa s[2:3], v6, v10 src0_sel:BYTE_0 src1_sel:DWORD
	v_cndmask_b32_e64 v15, 0, 1, vcc
	s_waitcnt vmcnt(2)
	v_cmp_gt_u16_e32 vcc, s8, v7
	v_cndmask_b32_e64 v6, 0, 1, s[2:3]
	;; [unrolled: 5-line block ×4, first 2 shown]
	v_cmp_eq_u16_sdwa s[2:3], v9, v10 src0_sel:BYTE_0 src1_sel:DWORD
	v_cndmask_b32_e64 v9, 0, 1, vcc
	v_lshlrev_b16_e32 v5, 8, v5
	v_cndmask_b32_e64 v10, 0, 1, s[2:3]
	v_lshlrev_b16_e32 v15, 8, v15
	v_lshlrev_b16_e32 v7, 8, v7
	;; [unrolled: 1-line block ×4, first 2 shown]
	v_or_b32_e32 v2, v2, v11
	v_or_b32_e32 v3, v3, v12
	;; [unrolled: 1-line block ×8, first 2 shown]
	global_store_short v1, v2, s[0:1]
	global_store_short v1, v3, s[0:1] offset:512
	global_store_short v1, v4, s[0:1] offset:1024
	;; [unrolled: 1-line block ×7, first 2 shown]
	s_mov_b64 s[0:1], 0
.LBB3_2:
	s_andn2_b64 vcc, exec, s[0:1]
	s_cbranch_vccnz .LBB3_52
; %bb.3:
	v_cmp_gt_i32_e32 vcc, s42, v0
	s_mov_b64 s[2:3], -1
	v_or_b32_e32 v1, s33, v0
	s_mov_b64 s[8:9], -1
	v_mov_b32_e32 v2, v0
	s_and_saveexec_b64 s[10:11], vcc
	s_cbranch_execz .LBB3_5
; %bb.4:
	global_load_ubyte v3, v1, s[6:7]
	v_or_b32_e32 v2, 0x100, v0
	s_waitcnt vmcnt(0)
	v_cmp_eq_u16_e64 s[0:1], 0, v3
	s_orn2_b64 s[8:9], s[0:1], exec
.LBB3_5:
	s_or_b64 exec, exec, s[10:11]
	v_cmp_gt_i32_e64 s[0:1], s42, v2
	s_and_saveexec_b64 s[10:11], s[0:1]
	s_cbranch_execz .LBB3_7
; %bb.6:
	v_add_u32_e32 v3, s33, v2
	global_load_ubyte v3, v3, s[6:7]
	v_add_u32_e32 v2, 0x100, v2
	s_waitcnt vmcnt(0)
	v_cmp_eq_u16_e64 s[0:1], 0, v3
	s_orn2_b64 s[2:3], s[0:1], exec
.LBB3_7:
	s_or_b64 exec, exec, s[10:11]
	v_cmp_gt_i32_e64 s[0:1], s42, v2
	s_mov_b64 s[10:11], -1
	s_mov_b64 s[12:13], -1
	s_and_saveexec_b64 s[14:15], s[0:1]
	s_cbranch_execz .LBB3_9
; %bb.8:
	v_add_u32_e32 v3, s33, v2
	global_load_ubyte v3, v3, s[6:7]
	v_add_u32_e32 v2, 0x100, v2
	s_waitcnt vmcnt(0)
	v_cmp_eq_u16_e64 s[0:1], 0, v3
	s_orn2_b64 s[12:13], s[0:1], exec
.LBB3_9:
	s_or_b64 exec, exec, s[14:15]
	v_cmp_gt_i32_e64 s[0:1], s42, v2
	s_and_saveexec_b64 s[14:15], s[0:1]
	s_cbranch_execz .LBB3_11
; %bb.10:
	v_add_u32_e32 v3, s33, v2
	global_load_ubyte v3, v3, s[6:7]
	v_add_u32_e32 v2, 0x100, v2
	s_waitcnt vmcnt(0)
	v_cmp_eq_u16_e64 s[0:1], 0, v3
	s_orn2_b64 s[10:11], s[0:1], exec
.LBB3_11:
	s_or_b64 exec, exec, s[14:15]
	v_cmp_gt_i32_e64 s[0:1], s42, v2
	s_mov_b64 s[14:15], -1
	s_mov_b64 s[16:17], -1
	s_and_saveexec_b64 s[18:19], s[0:1]
	s_cbranch_execz .LBB3_13
; %bb.12:
	v_add_u32_e32 v3, s33, v2
	global_load_ubyte v3, v3, s[6:7]
	v_add_u32_e32 v2, 0x100, v2
	s_waitcnt vmcnt(0)
	v_cmp_eq_u16_e64 s[0:1], 0, v3
	s_orn2_b64 s[16:17], s[0:1], exec
.LBB3_13:
	;; [unrolled: 26-line block ×7, first 2 shown]
	s_or_b64 exec, exec, s[40:41]
	v_cmp_gt_i32_e64 s[0:1], s42, v2
	s_and_saveexec_b64 s[40:41], s[0:1]
	s_cbranch_execz .LBB3_35
; %bb.34:
	v_add_u32_e32 v2, s33, v2
	global_load_ubyte v2, v2, s[6:7]
	s_waitcnt vmcnt(0)
	v_cmp_eq_u16_e64 s[0:1], 0, v2
	s_orn2_b64 s[36:37], s[0:1], exec
.LBB3_35:
	s_or_b64 exec, exec, s[40:41]
	v_cndmask_b32_e64 v2, 0, 1, s[8:9]
	v_cndmask_b32_e64 v3, 0, 1, s[2:3]
	v_cndmask_b32_e32 v2, 0, v2, vcc
	v_lshlrev_b16_e32 v3, 8, v3
	v_or_b32_e32 v6, 0x100, v0
	v_or_b32_e32 v3, v2, v3
	v_and_b32_e32 v3, 0xffff, v3
	v_cmp_gt_i32_e64 s[0:1], s42, v6
	v_cndmask_b32_e64 v4, 0, 1, s[12:13]
	v_cndmask_b32_e64 v5, 0, 1, s[10:11]
	;; [unrolled: 1-line block ×3, first 2 shown]
	v_or_b32_e32 v3, 0x200, v0
	v_lshl_or_b32 v4, v4, 16, v2
	v_cmp_gt_i32_e64 s[0:1], s42, v3
	v_lshlrev_b16_e32 v5, 8, v5
	s_movk_i32 s3, 0xff
	v_cndmask_b32_e64 v2, v2, v4, s[0:1]
	v_lshrrev_b32_e32 v3, 16, v2
	v_bitop3_b16 v3, v3, v5, s3 bitop3:0xec
	s_mov_b32 s2, 0xffff
	v_or_b32_e32 v4, 0x300, v0
	v_lshlrev_b32_e32 v3, 16, v3
	v_and_or_b32 v3, v2, s2, v3
	v_cmp_gt_i32_e64 s[0:1], s42, v4
	s_movk_i32 s6, 0xff00
	v_cndmask_b32_e64 v4, 0, 1, s[14:15]
	v_cndmask_b32_e64 v5, v2, v3, s[0:1]
	;; [unrolled: 1-line block ×3, first 2 shown]
	v_bitop3_b16 v2, v2, 0, s6 bitop3:0xf8
	v_or_b32_e32 v3, 0x400, v0
	v_and_b32_e32 v2, 0xffff, v2
	v_cmp_gt_i32_e64 s[0:1], s42, v3
	v_lshlrev_b16_e32 v4, 8, v4
	v_or_b32_e32 v3, 0x500, v0
	v_cndmask_b32_e64 v2, 0, v2, s[0:1]
	v_bitop3_b16 v4, v2, v4, s3 bitop3:0xec
	v_and_b32_e32 v4, 0xffff, v4
	v_cmp_gt_i32_e64 s[0:1], s42, v3
	v_cndmask_b32_e64 v7, 0, 1, s[18:19]
	v_lshlrev_b16_e32 v7, 8, v7
	v_cndmask_b32_e64 v2, v2, v4, s[0:1]
	v_lshrrev_b32_e32 v3, 16, v2
	v_cndmask_b32_e64 v4, 0, 1, s[20:21]
	v_bitop3_b16 v3, v4, v3, s6 bitop3:0xf8
	v_or_b32_e32 v4, 0x600, v0
	v_lshlrev_b32_e32 v3, 16, v3
	v_and_or_b32 v3, v2, s2, v3
	v_cmp_gt_i32_e64 s[0:1], s42, v4
	v_or_b32_e32 v4, 0x700, v0
	v_cndmask_b32_e64 v8, 0, 1, s[26:27]
	v_cndmask_b32_e64 v2, v2, v3, s[0:1]
	v_lshrrev_b32_e32 v3, 16, v2
	v_bitop3_b16 v3, v3, v7, s3 bitop3:0xec
	v_lshlrev_b32_e32 v3, 16, v3
	v_and_or_b32 v3, v2, s2, v3
	v_cmp_gt_i32_e64 s[0:1], s42, v4
	v_cndmask_b32_e64 v7, 0, 1, s[22:23]
	v_lshlrev_b16_e32 v7, 8, v7
	v_cndmask_b32_e64 v4, v2, v3, s[0:1]
	v_or_b32_e32 v2, 0x800, v0
	v_cndmask_b32_e64 v3, 0, 1, s[24:25]
	v_cmp_gt_i32_e64 s[0:1], s42, v2
	v_lshlrev_b16_e32 v8, 8, v8
	v_cndmask_b32_e64 v9, 0, 1, s[36:37]
	v_cndmask_b32_e64 v2, 0, v3, s[0:1]
	v_or_b32_e32 v3, 0x900, v0
	v_or_b32_e32 v7, v2, v7
	v_and_b32_e32 v7, 0xffff, v7
	v_cmp_gt_i32_e64 s[0:1], s42, v3
	v_or_b32_e32 v3, 0xa00, v0
	v_lshlrev_b16_e32 v9, 8, v9
	v_cndmask_b32_e64 v2, v2, v7, s[0:1]
	v_cndmask_b32_e64 v7, 0, 1, s[28:29]
	v_lshlrev_b32_e32 v7, 16, v7
	s_movk_i32 s0, 0x1ff
	v_and_or_b32 v7, v2, s0, v7
	v_cmp_gt_i32_e64 s[0:1], s42, v3
	s_nop 1
	v_cndmask_b32_e64 v2, v2, v7, s[0:1]
	v_lshrrev_b32_e32 v3, 16, v2
	v_bitop3_b16 v3, v3, v8, s3 bitop3:0xec
	v_or_b32_e32 v7, 0xb00, v0
	v_lshlrev_b32_e32 v3, 16, v3
	v_and_or_b32 v3, v2, s2, v3
	v_cmp_gt_i32_e64 s[0:1], s42, v7
	v_cndmask_b32_e64 v7, 0, 1, s[34:35]
	v_cndmask_b32_e64 v8, 0, 1, s[30:31]
	;; [unrolled: 1-line block ×3, first 2 shown]
	v_or_b32_e32 v2, 0xc00, v0
	v_cmp_gt_i32_e64 s[0:1], s42, v2
	v_lshlrev_b16_e32 v8, 8, v8
	s_nop 0
	v_cndmask_b32_e64 v2, 0, v7, s[0:1]
	v_or_b32_e32 v7, 0xd00, v0
	v_bitop3_b16 v8, v2, v8, s3 bitop3:0xec
	v_and_b32_e32 v8, 0xffff, v8
	v_cmp_gt_i32_e64 s[0:1], s42, v7
	s_nop 1
	v_cndmask_b32_e64 v2, v2, v8, s[0:1]
	v_lshrrev_b32_e32 v7, 16, v2
	v_cndmask_b32_e64 v8, 0, 1, s[38:39]
	v_bitop3_b16 v7, v8, v7, s6 bitop3:0xf8
	v_or_b32_e32 v8, 0xe00, v0
	v_lshlrev_b32_e32 v7, 16, v7
	v_and_or_b32 v7, v2, s2, v7
	v_cmp_gt_i32_e64 s[0:1], s42, v8
	v_or_b32_e32 v8, 0xf00, v0
	s_nop 0
	v_cndmask_b32_e64 v2, v2, v7, s[0:1]
	v_lshrrev_b32_e32 v7, 16, v2
	v_bitop3_b16 v7, v7, v9, s3 bitop3:0xec
	v_lshlrev_b32_e32 v7, 16, v7
	v_and_or_b32 v7, v2, s2, v7
	v_cmp_gt_i32_e64 s[0:1], s42, v8
	s_nop 1
	v_cndmask_b32_e64 v2, v2, v7, s[0:1]
	s_and_saveexec_b64 s[0:1], vcc
	s_cbranch_execnz .LBB3_53
; %bb.36:
	s_or_b64 exec, exec, s[0:1]
	v_cmp_gt_i32_e32 vcc, s42, v0
	s_and_saveexec_b64 s[0:1], vcc
	s_cbranch_execnz .LBB3_54
.LBB3_37:
	s_or_b64 exec, exec, s[0:1]
	v_cmp_gt_i32_e32 vcc, s42, v0
	s_and_saveexec_b64 s[0:1], vcc
	s_cbranch_execnz .LBB3_55
.LBB3_38:
	s_or_b64 exec, exec, s[0:1]
	v_cmp_gt_i32_e32 vcc, s42, v0
	s_and_saveexec_b64 s[0:1], vcc
	s_cbranch_execnz .LBB3_56
.LBB3_39:
	s_or_b64 exec, exec, s[0:1]
	v_cmp_gt_i32_e32 vcc, s42, v0
	s_and_saveexec_b64 s[0:1], vcc
	s_cbranch_execnz .LBB3_57
.LBB3_40:
	s_or_b64 exec, exec, s[0:1]
	v_cmp_gt_i32_e32 vcc, s42, v0
	s_and_saveexec_b64 s[0:1], vcc
	s_cbranch_execnz .LBB3_58
.LBB3_41:
	s_or_b64 exec, exec, s[0:1]
	v_cmp_gt_i32_e32 vcc, s42, v0
	s_and_saveexec_b64 s[0:1], vcc
	s_cbranch_execnz .LBB3_59
.LBB3_42:
	s_or_b64 exec, exec, s[0:1]
	v_cmp_gt_i32_e32 vcc, s42, v0
	s_and_saveexec_b64 s[0:1], vcc
	s_cbranch_execnz .LBB3_60
.LBB3_43:
	s_or_b64 exec, exec, s[0:1]
	v_cmp_gt_i32_e32 vcc, s42, v0
	s_and_saveexec_b64 s[0:1], vcc
	s_cbranch_execnz .LBB3_61
.LBB3_44:
	s_or_b64 exec, exec, s[0:1]
	v_cmp_gt_i32_e32 vcc, s42, v0
	s_and_saveexec_b64 s[0:1], vcc
	s_cbranch_execnz .LBB3_62
.LBB3_45:
	s_or_b64 exec, exec, s[0:1]
	v_cmp_gt_i32_e32 vcc, s42, v0
	s_and_saveexec_b64 s[0:1], vcc
	s_cbranch_execnz .LBB3_63
.LBB3_46:
	s_or_b64 exec, exec, s[0:1]
	v_cmp_gt_i32_e32 vcc, s42, v0
	s_and_saveexec_b64 s[0:1], vcc
	s_cbranch_execnz .LBB3_64
.LBB3_47:
	s_or_b64 exec, exec, s[0:1]
	v_cmp_gt_i32_e32 vcc, s42, v0
	s_and_saveexec_b64 s[0:1], vcc
	s_cbranch_execnz .LBB3_65
.LBB3_48:
	s_or_b64 exec, exec, s[0:1]
	v_cmp_gt_i32_e32 vcc, s42, v0
	s_and_saveexec_b64 s[0:1], vcc
	s_cbranch_execnz .LBB3_66
.LBB3_49:
	s_or_b64 exec, exec, s[0:1]
	v_cmp_gt_i32_e32 vcc, s42, v0
	s_and_saveexec_b64 s[0:1], vcc
	s_cbranch_execnz .LBB3_67
.LBB3_50:
	s_or_b64 exec, exec, s[0:1]
	v_cmp_gt_i32_e32 vcc, s42, v0
	s_and_saveexec_b64 s[0:1], vcc
	s_cbranch_execz .LBB3_52
.LBB3_51:
	v_lshrrev_b32_e32 v1, 24, v2
	v_add_u32_e32 v0, s33, v0
	global_store_byte v0, v1, s[4:5]
.LBB3_52:
	s_endpgm
.LBB3_53:
	v_mov_b32_e32 v0, v6
	global_store_byte v1, v5, s[4:5]
	s_or_b64 exec, exec, s[0:1]
	v_cmp_gt_i32_e32 vcc, s42, v0
	s_and_saveexec_b64 s[0:1], vcc
	s_cbranch_execz .LBB3_37
.LBB3_54:
	v_lshrrev_b32_e32 v1, 8, v5
	v_add_u32_e32 v6, s33, v0
	v_add_u32_e32 v0, 0x100, v0
	global_store_byte v6, v1, s[4:5]
	s_or_b64 exec, exec, s[0:1]
	v_cmp_gt_i32_e32 vcc, s42, v0
	s_and_saveexec_b64 s[0:1], vcc
	s_cbranch_execz .LBB3_38
.LBB3_55:
	v_add_u32_e32 v1, s33, v0
	v_add_u32_e32 v0, 0x100, v0
	global_store_byte_d16_hi v1, v5, s[4:5]
	s_or_b64 exec, exec, s[0:1]
	v_cmp_gt_i32_e32 vcc, s42, v0
	s_and_saveexec_b64 s[0:1], vcc
	s_cbranch_execz .LBB3_39
.LBB3_56:
	v_lshrrev_b32_e32 v1, 24, v5
	v_add_u32_e32 v5, s33, v0
	v_add_u32_e32 v0, 0x100, v0
	global_store_byte v5, v1, s[4:5]
	s_or_b64 exec, exec, s[0:1]
	v_cmp_gt_i32_e32 vcc, s42, v0
	s_and_saveexec_b64 s[0:1], vcc
	s_cbranch_execz .LBB3_40
.LBB3_57:
	v_add_u32_e32 v1, s33, v0
	v_add_u32_e32 v0, 0x100, v0
	global_store_byte v1, v4, s[4:5]
	s_or_b64 exec, exec, s[0:1]
	v_cmp_gt_i32_e32 vcc, s42, v0
	s_and_saveexec_b64 s[0:1], vcc
	s_cbranch_execz .LBB3_41
.LBB3_58:
	v_lshrrev_b32_e32 v1, 8, v4
	v_add_u32_e32 v5, s33, v0
	v_add_u32_e32 v0, 0x100, v0
	global_store_byte v5, v1, s[4:5]
	s_or_b64 exec, exec, s[0:1]
	v_cmp_gt_i32_e32 vcc, s42, v0
	s_and_saveexec_b64 s[0:1], vcc
	s_cbranch_execz .LBB3_42
.LBB3_59:
	v_add_u32_e32 v1, s33, v0
	v_add_u32_e32 v0, 0x100, v0
	global_store_byte_d16_hi v1, v4, s[4:5]
	s_or_b64 exec, exec, s[0:1]
	v_cmp_gt_i32_e32 vcc, s42, v0
	s_and_saveexec_b64 s[0:1], vcc
	s_cbranch_execz .LBB3_43
.LBB3_60:
	v_lshrrev_b32_e32 v1, 24, v4
	v_add_u32_e32 v4, s33, v0
	v_add_u32_e32 v0, 0x100, v0
	global_store_byte v4, v1, s[4:5]
	s_or_b64 exec, exec, s[0:1]
	v_cmp_gt_i32_e32 vcc, s42, v0
	s_and_saveexec_b64 s[0:1], vcc
	s_cbranch_execz .LBB3_44
.LBB3_61:
	v_add_u32_e32 v1, s33, v0
	v_add_u32_e32 v0, 0x100, v0
	global_store_byte v1, v3, s[4:5]
	s_or_b64 exec, exec, s[0:1]
	v_cmp_gt_i32_e32 vcc, s42, v0
	s_and_saveexec_b64 s[0:1], vcc
	s_cbranch_execz .LBB3_45
.LBB3_62:
	v_lshrrev_b32_e32 v1, 8, v3
	v_add_u32_e32 v4, s33, v0
	v_add_u32_e32 v0, 0x100, v0
	global_store_byte v4, v1, s[4:5]
	s_or_b64 exec, exec, s[0:1]
	v_cmp_gt_i32_e32 vcc, s42, v0
	s_and_saveexec_b64 s[0:1], vcc
	s_cbranch_execz .LBB3_46
.LBB3_63:
	v_add_u32_e32 v1, s33, v0
	v_add_u32_e32 v0, 0x100, v0
	global_store_byte_d16_hi v1, v3, s[4:5]
	s_or_b64 exec, exec, s[0:1]
	v_cmp_gt_i32_e32 vcc, s42, v0
	s_and_saveexec_b64 s[0:1], vcc
	s_cbranch_execz .LBB3_47
.LBB3_64:
	v_lshrrev_b32_e32 v1, 24, v3
	v_add_u32_e32 v3, s33, v0
	v_add_u32_e32 v0, 0x100, v0
	global_store_byte v3, v1, s[4:5]
	s_or_b64 exec, exec, s[0:1]
	v_cmp_gt_i32_e32 vcc, s42, v0
	s_and_saveexec_b64 s[0:1], vcc
	s_cbranch_execz .LBB3_48
.LBB3_65:
	v_add_u32_e32 v1, s33, v0
	v_add_u32_e32 v0, 0x100, v0
	global_store_byte v1, v2, s[4:5]
	s_or_b64 exec, exec, s[0:1]
	v_cmp_gt_i32_e32 vcc, s42, v0
	s_and_saveexec_b64 s[0:1], vcc
	s_cbranch_execz .LBB3_49
.LBB3_66:
	v_lshrrev_b32_e32 v1, 8, v2
	v_add_u32_e32 v3, s33, v0
	v_add_u32_e32 v0, 0x100, v0
	global_store_byte v3, v1, s[4:5]
	s_or_b64 exec, exec, s[0:1]
	v_cmp_gt_i32_e32 vcc, s42, v0
	s_and_saveexec_b64 s[0:1], vcc
	s_cbranch_execz .LBB3_50
.LBB3_67:
	v_add_u32_e32 v1, s33, v0
	v_add_u32_e32 v0, 0x100, v0
	global_store_byte_d16_hi v1, v2, s[4:5]
	s_or_b64 exec, exec, s[0:1]
	v_cmp_gt_i32_e32 vcc, s42, v0
	s_and_saveexec_b64 s[0:1], vcc
	s_cbranch_execnz .LBB3_51
	s_branch .LBB3_52
	.section	.rodata,"a",@progbits
	.p2align	6, 0x0
	.amdhsa_kernel _ZN2at6native29vectorized_elementwise_kernelILi2EZNS0_23bitwise_not_kernel_cudaERNS_18TensorIteratorBaseEEUlbE_St5arrayIPcLm2EEEEviT0_T1_
		.amdhsa_group_segment_fixed_size 0
		.amdhsa_private_segment_fixed_size 0
		.amdhsa_kernarg_size 24
		.amdhsa_user_sgpr_count 2
		.amdhsa_user_sgpr_dispatch_ptr 0
		.amdhsa_user_sgpr_queue_ptr 0
		.amdhsa_user_sgpr_kernarg_segment_ptr 1
		.amdhsa_user_sgpr_dispatch_id 0
		.amdhsa_user_sgpr_kernarg_preload_length 0
		.amdhsa_user_sgpr_kernarg_preload_offset 0
		.amdhsa_user_sgpr_private_segment_size 0
		.amdhsa_uses_dynamic_stack 0
		.amdhsa_enable_private_segment 0
		.amdhsa_system_sgpr_workgroup_id_x 1
		.amdhsa_system_sgpr_workgroup_id_y 0
		.amdhsa_system_sgpr_workgroup_id_z 0
		.amdhsa_system_sgpr_workgroup_info 0
		.amdhsa_system_vgpr_workitem_id 0
		.amdhsa_next_free_vgpr 18
		.amdhsa_next_free_sgpr 43
		.amdhsa_accum_offset 20
		.amdhsa_reserve_vcc 1
		.amdhsa_float_round_mode_32 0
		.amdhsa_float_round_mode_16_64 0
		.amdhsa_float_denorm_mode_32 3
		.amdhsa_float_denorm_mode_16_64 3
		.amdhsa_dx10_clamp 1
		.amdhsa_ieee_mode 1
		.amdhsa_fp16_overflow 0
		.amdhsa_tg_split 0
		.amdhsa_exception_fp_ieee_invalid_op 0
		.amdhsa_exception_fp_denorm_src 0
		.amdhsa_exception_fp_ieee_div_zero 0
		.amdhsa_exception_fp_ieee_overflow 0
		.amdhsa_exception_fp_ieee_underflow 0
		.amdhsa_exception_fp_ieee_inexact 0
		.amdhsa_exception_int_div_zero 0
	.end_amdhsa_kernel
	.section	.text._ZN2at6native29vectorized_elementwise_kernelILi2EZNS0_23bitwise_not_kernel_cudaERNS_18TensorIteratorBaseEEUlbE_St5arrayIPcLm2EEEEviT0_T1_,"axG",@progbits,_ZN2at6native29vectorized_elementwise_kernelILi2EZNS0_23bitwise_not_kernel_cudaERNS_18TensorIteratorBaseEEUlbE_St5arrayIPcLm2EEEEviT0_T1_,comdat
.Lfunc_end3:
	.size	_ZN2at6native29vectorized_elementwise_kernelILi2EZNS0_23bitwise_not_kernel_cudaERNS_18TensorIteratorBaseEEUlbE_St5arrayIPcLm2EEEEviT0_T1_, .Lfunc_end3-_ZN2at6native29vectorized_elementwise_kernelILi2EZNS0_23bitwise_not_kernel_cudaERNS_18TensorIteratorBaseEEUlbE_St5arrayIPcLm2EEEEviT0_T1_
                                        ; -- End function
	.set _ZN2at6native29vectorized_elementwise_kernelILi2EZNS0_23bitwise_not_kernel_cudaERNS_18TensorIteratorBaseEEUlbE_St5arrayIPcLm2EEEEviT0_T1_.num_vgpr, 18
	.set _ZN2at6native29vectorized_elementwise_kernelILi2EZNS0_23bitwise_not_kernel_cudaERNS_18TensorIteratorBaseEEUlbE_St5arrayIPcLm2EEEEviT0_T1_.num_agpr, 0
	.set _ZN2at6native29vectorized_elementwise_kernelILi2EZNS0_23bitwise_not_kernel_cudaERNS_18TensorIteratorBaseEEUlbE_St5arrayIPcLm2EEEEviT0_T1_.numbered_sgpr, 43
	.set _ZN2at6native29vectorized_elementwise_kernelILi2EZNS0_23bitwise_not_kernel_cudaERNS_18TensorIteratorBaseEEUlbE_St5arrayIPcLm2EEEEviT0_T1_.num_named_barrier, 0
	.set _ZN2at6native29vectorized_elementwise_kernelILi2EZNS0_23bitwise_not_kernel_cudaERNS_18TensorIteratorBaseEEUlbE_St5arrayIPcLm2EEEEviT0_T1_.private_seg_size, 0
	.set _ZN2at6native29vectorized_elementwise_kernelILi2EZNS0_23bitwise_not_kernel_cudaERNS_18TensorIteratorBaseEEUlbE_St5arrayIPcLm2EEEEviT0_T1_.uses_vcc, 1
	.set _ZN2at6native29vectorized_elementwise_kernelILi2EZNS0_23bitwise_not_kernel_cudaERNS_18TensorIteratorBaseEEUlbE_St5arrayIPcLm2EEEEviT0_T1_.uses_flat_scratch, 0
	.set _ZN2at6native29vectorized_elementwise_kernelILi2EZNS0_23bitwise_not_kernel_cudaERNS_18TensorIteratorBaseEEUlbE_St5arrayIPcLm2EEEEviT0_T1_.has_dyn_sized_stack, 0
	.set _ZN2at6native29vectorized_elementwise_kernelILi2EZNS0_23bitwise_not_kernel_cudaERNS_18TensorIteratorBaseEEUlbE_St5arrayIPcLm2EEEEviT0_T1_.has_recursion, 0
	.set _ZN2at6native29vectorized_elementwise_kernelILi2EZNS0_23bitwise_not_kernel_cudaERNS_18TensorIteratorBaseEEUlbE_St5arrayIPcLm2EEEEviT0_T1_.has_indirect_call, 0
	.section	.AMDGPU.csdata,"",@progbits
; Kernel info:
; codeLenInByte = 3120
; TotalNumSgprs: 49
; NumVgprs: 18
; NumAgprs: 0
; TotalNumVgprs: 18
; ScratchSize: 0
; MemoryBound: 0
; FloatMode: 240
; IeeeMode: 1
; LDSByteSize: 0 bytes/workgroup (compile time only)
; SGPRBlocks: 6
; VGPRBlocks: 2
; NumSGPRsForWavesPerEU: 49
; NumVGPRsForWavesPerEU: 18
; AccumOffset: 20
; Occupancy: 8
; WaveLimiterHint : 1
; COMPUTE_PGM_RSRC2:SCRATCH_EN: 0
; COMPUTE_PGM_RSRC2:USER_SGPR: 2
; COMPUTE_PGM_RSRC2:TRAP_HANDLER: 0
; COMPUTE_PGM_RSRC2:TGID_X_EN: 1
; COMPUTE_PGM_RSRC2:TGID_Y_EN: 0
; COMPUTE_PGM_RSRC2:TGID_Z_EN: 0
; COMPUTE_PGM_RSRC2:TIDIG_COMP_CNT: 0
; COMPUTE_PGM_RSRC3_GFX90A:ACCUM_OFFSET: 4
; COMPUTE_PGM_RSRC3_GFX90A:TG_SPLIT: 0
	.section	.text._ZN2at6native27unrolled_elementwise_kernelIZNS0_23bitwise_not_kernel_cudaERNS_18TensorIteratorBaseEEUlbE_St5arrayIPcLm2EELi4E23TrivialOffsetCalculatorILi1EjES9_NS0_6memory15LoadWithoutCastENSA_16StoreWithoutCastEEEviT_T0_T2_T3_T4_T5_,"axG",@progbits,_ZN2at6native27unrolled_elementwise_kernelIZNS0_23bitwise_not_kernel_cudaERNS_18TensorIteratorBaseEEUlbE_St5arrayIPcLm2EELi4E23TrivialOffsetCalculatorILi1EjES9_NS0_6memory15LoadWithoutCastENSA_16StoreWithoutCastEEEviT_T0_T2_T3_T4_T5_,comdat
	.globl	_ZN2at6native27unrolled_elementwise_kernelIZNS0_23bitwise_not_kernel_cudaERNS_18TensorIteratorBaseEEUlbE_St5arrayIPcLm2EELi4E23TrivialOffsetCalculatorILi1EjES9_NS0_6memory15LoadWithoutCastENSA_16StoreWithoutCastEEEviT_T0_T2_T3_T4_T5_ ; -- Begin function _ZN2at6native27unrolled_elementwise_kernelIZNS0_23bitwise_not_kernel_cudaERNS_18TensorIteratorBaseEEUlbE_St5arrayIPcLm2EELi4E23TrivialOffsetCalculatorILi1EjES9_NS0_6memory15LoadWithoutCastENSA_16StoreWithoutCastEEEviT_T0_T2_T3_T4_T5_
	.p2align	8
	.type	_ZN2at6native27unrolled_elementwise_kernelIZNS0_23bitwise_not_kernel_cudaERNS_18TensorIteratorBaseEEUlbE_St5arrayIPcLm2EELi4E23TrivialOffsetCalculatorILi1EjES9_NS0_6memory15LoadWithoutCastENSA_16StoreWithoutCastEEEviT_T0_T2_T3_T4_T5_,@function
_ZN2at6native27unrolled_elementwise_kernelIZNS0_23bitwise_not_kernel_cudaERNS_18TensorIteratorBaseEEUlbE_St5arrayIPcLm2EELi4E23TrivialOffsetCalculatorILi1EjES9_NS0_6memory15LoadWithoutCastENSA_16StoreWithoutCastEEEviT_T0_T2_T3_T4_T5_: ; @_ZN2at6native27unrolled_elementwise_kernelIZNS0_23bitwise_not_kernel_cudaERNS_18TensorIteratorBaseEEUlbE_St5arrayIPcLm2EELi4E23TrivialOffsetCalculatorILi1EjES9_NS0_6memory15LoadWithoutCastENSA_16StoreWithoutCastEEEviT_T0_T2_T3_T4_T5_
; %bb.0:
	s_load_dword s3, s[0:1], 0x0
	s_load_dwordx4 s[4:7], s[0:1], 0x8
	s_lshl_b32 s16, s2, 10
	v_or_b32_e32 v1, s16, v0
	s_mov_b64 s[8:9], -1
	s_waitcnt lgkmcnt(0)
	s_sub_i32 s17, s3, s16
	v_cmp_gt_i32_e32 vcc, s17, v0
	s_mov_b64 s[2:3], -1
	v_mov_b32_e32 v2, v0
	s_and_saveexec_b64 s[10:11], vcc
	s_cbranch_execz .LBB4_2
; %bb.1:
	global_load_ubyte v3, v1, s[6:7]
	v_or_b32_e32 v2, 0x100, v0
	s_waitcnt vmcnt(0)
	v_cmp_eq_u16_e64 s[0:1], 0, v3
	s_orn2_b64 s[8:9], s[0:1], exec
.LBB4_2:
	s_or_b64 exec, exec, s[10:11]
	v_cmp_gt_i32_e64 s[0:1], s17, v2
	s_and_saveexec_b64 s[10:11], s[0:1]
	s_cbranch_execz .LBB4_4
; %bb.3:
	v_add_u32_e32 v3, s16, v2
	global_load_ubyte v3, v3, s[6:7]
	v_add_u32_e32 v2, 0x100, v2
	s_waitcnt vmcnt(0)
	v_cmp_eq_u16_e64 s[0:1], 0, v3
	s_orn2_b64 s[2:3], s[0:1], exec
.LBB4_4:
	s_or_b64 exec, exec, s[10:11]
	v_cmp_gt_i32_e64 s[0:1], s17, v2
	s_mov_b64 s[10:11], -1
	s_mov_b64 s[12:13], -1
	s_and_saveexec_b64 s[14:15], s[0:1]
	s_cbranch_execz .LBB4_6
; %bb.5:
	v_add_u32_e32 v3, s16, v2
	global_load_ubyte v3, v3, s[6:7]
	v_add_u32_e32 v2, 0x100, v2
	s_waitcnt vmcnt(0)
	v_cmp_eq_u16_e64 s[0:1], 0, v3
	s_orn2_b64 s[12:13], s[0:1], exec
.LBB4_6:
	s_or_b64 exec, exec, s[14:15]
	v_cmp_gt_i32_e64 s[0:1], s17, v2
	s_and_saveexec_b64 s[14:15], s[0:1]
	s_cbranch_execz .LBB4_8
; %bb.7:
	v_add_u32_e32 v2, s16, v2
	global_load_ubyte v2, v2, s[6:7]
	s_waitcnt vmcnt(0)
	v_cmp_eq_u16_e64 s[0:1], 0, v2
	s_orn2_b64 s[10:11], s[0:1], exec
.LBB4_8:
	s_or_b64 exec, exec, s[14:15]
	v_cndmask_b32_e64 v2, 0, 1, s[8:9]
	v_cndmask_b32_e64 v4, 0, 1, s[2:3]
	v_cndmask_b32_e32 v2, 0, v2, vcc
	v_lshlrev_b16_e32 v4, 8, v4
	v_or_b32_e32 v3, 0x100, v0
	v_or_b32_e32 v4, v2, v4
	v_and_b32_e32 v4, 0xffff, v4
	v_cmp_gt_i32_e64 s[0:1], s17, v3
	v_cndmask_b32_e64 v5, 0, 1, s[12:13]
	v_lshlrev_b32_e32 v5, 16, v5
	v_cndmask_b32_e64 v2, v2, v4, s[0:1]
	v_or_b32_e32 v4, 0x200, v0
	v_or_b32_e32 v5, v2, v5
	v_cmp_gt_i32_e64 s[0:1], s17, v4
	v_cndmask_b32_e64 v6, 0, 1, s[10:11]
	v_lshlrev_b16_e32 v6, 8, v6
	v_cndmask_b32_e64 v2, v2, v5, s[0:1]
	v_lshrrev_b32_e32 v4, 16, v2
	s_movk_i32 s0, 0xff
	v_bitop3_b16 v4, v4, v6, s0 bitop3:0xec
	s_mov_b32 s2, 0xffff
	v_or_b32_e32 v5, 0x300, v0
	v_lshlrev_b32_e32 v4, 16, v4
	v_and_or_b32 v4, v2, s2, v4
	v_cmp_gt_i32_e64 s[0:1], s17, v5
	s_nop 1
	v_cndmask_b32_e64 v2, v2, v4, s[0:1]
	s_and_saveexec_b64 s[0:1], vcc
	s_cbranch_execnz .LBB4_13
; %bb.9:
	s_or_b64 exec, exec, s[0:1]
	v_cmp_gt_i32_e32 vcc, s17, v0
	s_and_saveexec_b64 s[0:1], vcc
	s_cbranch_execnz .LBB4_14
.LBB4_10:
	s_or_b64 exec, exec, s[0:1]
	v_cmp_gt_i32_e32 vcc, s17, v0
	s_and_saveexec_b64 s[0:1], vcc
	s_cbranch_execnz .LBB4_15
.LBB4_11:
	s_or_b64 exec, exec, s[0:1]
	v_cmp_gt_i32_e32 vcc, s17, v0
	s_and_saveexec_b64 s[0:1], vcc
	s_cbranch_execnz .LBB4_16
.LBB4_12:
	s_endpgm
.LBB4_13:
	v_mov_b32_e32 v0, v3
	global_store_byte v1, v2, s[4:5]
	s_or_b64 exec, exec, s[0:1]
	v_cmp_gt_i32_e32 vcc, s17, v0
	s_and_saveexec_b64 s[0:1], vcc
	s_cbranch_execz .LBB4_10
.LBB4_14:
	v_add_u32_e32 v1, 0x100, v0
	v_add_u32_e32 v0, s16, v0
	v_lshrrev_b32_e32 v3, 8, v2
	global_store_byte v0, v3, s[4:5]
	v_mov_b32_e32 v0, v1
	s_or_b64 exec, exec, s[0:1]
	v_cmp_gt_i32_e32 vcc, s17, v0
	s_and_saveexec_b64 s[0:1], vcc
	s_cbranch_execz .LBB4_11
.LBB4_15:
	v_add_u32_e32 v1, 0x100, v0
	v_add_u32_e32 v0, s16, v0
	global_store_byte_d16_hi v0, v2, s[4:5]
	v_mov_b32_e32 v0, v1
	s_or_b64 exec, exec, s[0:1]
	v_cmp_gt_i32_e32 vcc, s17, v0
	s_and_saveexec_b64 s[0:1], vcc
	s_cbranch_execz .LBB4_12
.LBB4_16:
	v_add_u32_e32 v0, s16, v0
	v_lshrrev_b32_e32 v1, 24, v2
	global_store_byte v0, v1, s[4:5]
	s_endpgm
	.section	.rodata,"a",@progbits
	.p2align	6, 0x0
	.amdhsa_kernel _ZN2at6native27unrolled_elementwise_kernelIZNS0_23bitwise_not_kernel_cudaERNS_18TensorIteratorBaseEEUlbE_St5arrayIPcLm2EELi4E23TrivialOffsetCalculatorILi1EjES9_NS0_6memory15LoadWithoutCastENSA_16StoreWithoutCastEEEviT_T0_T2_T3_T4_T5_
		.amdhsa_group_segment_fixed_size 0
		.amdhsa_private_segment_fixed_size 0
		.amdhsa_kernarg_size 28
		.amdhsa_user_sgpr_count 2
		.amdhsa_user_sgpr_dispatch_ptr 0
		.amdhsa_user_sgpr_queue_ptr 0
		.amdhsa_user_sgpr_kernarg_segment_ptr 1
		.amdhsa_user_sgpr_dispatch_id 0
		.amdhsa_user_sgpr_kernarg_preload_length 0
		.amdhsa_user_sgpr_kernarg_preload_offset 0
		.amdhsa_user_sgpr_private_segment_size 0
		.amdhsa_uses_dynamic_stack 0
		.amdhsa_enable_private_segment 0
		.amdhsa_system_sgpr_workgroup_id_x 1
		.amdhsa_system_sgpr_workgroup_id_y 0
		.amdhsa_system_sgpr_workgroup_id_z 0
		.amdhsa_system_sgpr_workgroup_info 0
		.amdhsa_system_vgpr_workitem_id 0
		.amdhsa_next_free_vgpr 7
		.amdhsa_next_free_sgpr 18
		.amdhsa_accum_offset 8
		.amdhsa_reserve_vcc 1
		.amdhsa_float_round_mode_32 0
		.amdhsa_float_round_mode_16_64 0
		.amdhsa_float_denorm_mode_32 3
		.amdhsa_float_denorm_mode_16_64 3
		.amdhsa_dx10_clamp 1
		.amdhsa_ieee_mode 1
		.amdhsa_fp16_overflow 0
		.amdhsa_tg_split 0
		.amdhsa_exception_fp_ieee_invalid_op 0
		.amdhsa_exception_fp_denorm_src 0
		.amdhsa_exception_fp_ieee_div_zero 0
		.amdhsa_exception_fp_ieee_overflow 0
		.amdhsa_exception_fp_ieee_underflow 0
		.amdhsa_exception_fp_ieee_inexact 0
		.amdhsa_exception_int_div_zero 0
	.end_amdhsa_kernel
	.section	.text._ZN2at6native27unrolled_elementwise_kernelIZNS0_23bitwise_not_kernel_cudaERNS_18TensorIteratorBaseEEUlbE_St5arrayIPcLm2EELi4E23TrivialOffsetCalculatorILi1EjES9_NS0_6memory15LoadWithoutCastENSA_16StoreWithoutCastEEEviT_T0_T2_T3_T4_T5_,"axG",@progbits,_ZN2at6native27unrolled_elementwise_kernelIZNS0_23bitwise_not_kernel_cudaERNS_18TensorIteratorBaseEEUlbE_St5arrayIPcLm2EELi4E23TrivialOffsetCalculatorILi1EjES9_NS0_6memory15LoadWithoutCastENSA_16StoreWithoutCastEEEviT_T0_T2_T3_T4_T5_,comdat
.Lfunc_end4:
	.size	_ZN2at6native27unrolled_elementwise_kernelIZNS0_23bitwise_not_kernel_cudaERNS_18TensorIteratorBaseEEUlbE_St5arrayIPcLm2EELi4E23TrivialOffsetCalculatorILi1EjES9_NS0_6memory15LoadWithoutCastENSA_16StoreWithoutCastEEEviT_T0_T2_T3_T4_T5_, .Lfunc_end4-_ZN2at6native27unrolled_elementwise_kernelIZNS0_23bitwise_not_kernel_cudaERNS_18TensorIteratorBaseEEUlbE_St5arrayIPcLm2EELi4E23TrivialOffsetCalculatorILi1EjES9_NS0_6memory15LoadWithoutCastENSA_16StoreWithoutCastEEEviT_T0_T2_T3_T4_T5_
                                        ; -- End function
	.set _ZN2at6native27unrolled_elementwise_kernelIZNS0_23bitwise_not_kernel_cudaERNS_18TensorIteratorBaseEEUlbE_St5arrayIPcLm2EELi4E23TrivialOffsetCalculatorILi1EjES9_NS0_6memory15LoadWithoutCastENSA_16StoreWithoutCastEEEviT_T0_T2_T3_T4_T5_.num_vgpr, 7
	.set _ZN2at6native27unrolled_elementwise_kernelIZNS0_23bitwise_not_kernel_cudaERNS_18TensorIteratorBaseEEUlbE_St5arrayIPcLm2EELi4E23TrivialOffsetCalculatorILi1EjES9_NS0_6memory15LoadWithoutCastENSA_16StoreWithoutCastEEEviT_T0_T2_T3_T4_T5_.num_agpr, 0
	.set _ZN2at6native27unrolled_elementwise_kernelIZNS0_23bitwise_not_kernel_cudaERNS_18TensorIteratorBaseEEUlbE_St5arrayIPcLm2EELi4E23TrivialOffsetCalculatorILi1EjES9_NS0_6memory15LoadWithoutCastENSA_16StoreWithoutCastEEEviT_T0_T2_T3_T4_T5_.numbered_sgpr, 18
	.set _ZN2at6native27unrolled_elementwise_kernelIZNS0_23bitwise_not_kernel_cudaERNS_18TensorIteratorBaseEEUlbE_St5arrayIPcLm2EELi4E23TrivialOffsetCalculatorILi1EjES9_NS0_6memory15LoadWithoutCastENSA_16StoreWithoutCastEEEviT_T0_T2_T3_T4_T5_.num_named_barrier, 0
	.set _ZN2at6native27unrolled_elementwise_kernelIZNS0_23bitwise_not_kernel_cudaERNS_18TensorIteratorBaseEEUlbE_St5arrayIPcLm2EELi4E23TrivialOffsetCalculatorILi1EjES9_NS0_6memory15LoadWithoutCastENSA_16StoreWithoutCastEEEviT_T0_T2_T3_T4_T5_.private_seg_size, 0
	.set _ZN2at6native27unrolled_elementwise_kernelIZNS0_23bitwise_not_kernel_cudaERNS_18TensorIteratorBaseEEUlbE_St5arrayIPcLm2EELi4E23TrivialOffsetCalculatorILi1EjES9_NS0_6memory15LoadWithoutCastENSA_16StoreWithoutCastEEEviT_T0_T2_T3_T4_T5_.uses_vcc, 1
	.set _ZN2at6native27unrolled_elementwise_kernelIZNS0_23bitwise_not_kernel_cudaERNS_18TensorIteratorBaseEEUlbE_St5arrayIPcLm2EELi4E23TrivialOffsetCalculatorILi1EjES9_NS0_6memory15LoadWithoutCastENSA_16StoreWithoutCastEEEviT_T0_T2_T3_T4_T5_.uses_flat_scratch, 0
	.set _ZN2at6native27unrolled_elementwise_kernelIZNS0_23bitwise_not_kernel_cudaERNS_18TensorIteratorBaseEEUlbE_St5arrayIPcLm2EELi4E23TrivialOffsetCalculatorILi1EjES9_NS0_6memory15LoadWithoutCastENSA_16StoreWithoutCastEEEviT_T0_T2_T3_T4_T5_.has_dyn_sized_stack, 0
	.set _ZN2at6native27unrolled_elementwise_kernelIZNS0_23bitwise_not_kernel_cudaERNS_18TensorIteratorBaseEEUlbE_St5arrayIPcLm2EELi4E23TrivialOffsetCalculatorILi1EjES9_NS0_6memory15LoadWithoutCastENSA_16StoreWithoutCastEEEviT_T0_T2_T3_T4_T5_.has_recursion, 0
	.set _ZN2at6native27unrolled_elementwise_kernelIZNS0_23bitwise_not_kernel_cudaERNS_18TensorIteratorBaseEEUlbE_St5arrayIPcLm2EELi4E23TrivialOffsetCalculatorILi1EjES9_NS0_6memory15LoadWithoutCastENSA_16StoreWithoutCastEEEviT_T0_T2_T3_T4_T5_.has_indirect_call, 0
	.section	.AMDGPU.csdata,"",@progbits
; Kernel info:
; codeLenInByte = 628
; TotalNumSgprs: 24
; NumVgprs: 7
; NumAgprs: 0
; TotalNumVgprs: 7
; ScratchSize: 0
; MemoryBound: 0
; FloatMode: 240
; IeeeMode: 1
; LDSByteSize: 0 bytes/workgroup (compile time only)
; SGPRBlocks: 2
; VGPRBlocks: 0
; NumSGPRsForWavesPerEU: 24
; NumVGPRsForWavesPerEU: 7
; AccumOffset: 8
; Occupancy: 8
; WaveLimiterHint : 0
; COMPUTE_PGM_RSRC2:SCRATCH_EN: 0
; COMPUTE_PGM_RSRC2:USER_SGPR: 2
; COMPUTE_PGM_RSRC2:TRAP_HANDLER: 0
; COMPUTE_PGM_RSRC2:TGID_X_EN: 1
; COMPUTE_PGM_RSRC2:TGID_Y_EN: 0
; COMPUTE_PGM_RSRC2:TGID_Z_EN: 0
; COMPUTE_PGM_RSRC2:TIDIG_COMP_CNT: 0
; COMPUTE_PGM_RSRC3_GFX90A:ACCUM_OFFSET: 1
; COMPUTE_PGM_RSRC3_GFX90A:TG_SPLIT: 0
	.section	.text._ZN2at6native32elementwise_kernel_manual_unrollILi128ELi8EZNS0_22gpu_kernel_impl_nocastIZNS0_23bitwise_not_kernel_cudaERNS_18TensorIteratorBaseEEUlbE_EEvS4_RKT_EUlibE_EEviT1_,"axG",@progbits,_ZN2at6native32elementwise_kernel_manual_unrollILi128ELi8EZNS0_22gpu_kernel_impl_nocastIZNS0_23bitwise_not_kernel_cudaERNS_18TensorIteratorBaseEEUlbE_EEvS4_RKT_EUlibE_EEviT1_,comdat
	.globl	_ZN2at6native32elementwise_kernel_manual_unrollILi128ELi8EZNS0_22gpu_kernel_impl_nocastIZNS0_23bitwise_not_kernel_cudaERNS_18TensorIteratorBaseEEUlbE_EEvS4_RKT_EUlibE_EEviT1_ ; -- Begin function _ZN2at6native32elementwise_kernel_manual_unrollILi128ELi8EZNS0_22gpu_kernel_impl_nocastIZNS0_23bitwise_not_kernel_cudaERNS_18TensorIteratorBaseEEUlbE_EEvS4_RKT_EUlibE_EEviT1_
	.p2align	8
	.type	_ZN2at6native32elementwise_kernel_manual_unrollILi128ELi8EZNS0_22gpu_kernel_impl_nocastIZNS0_23bitwise_not_kernel_cudaERNS_18TensorIteratorBaseEEUlbE_EEvS4_RKT_EUlibE_EEviT1_,@function
_ZN2at6native32elementwise_kernel_manual_unrollILi128ELi8EZNS0_22gpu_kernel_impl_nocastIZNS0_23bitwise_not_kernel_cudaERNS_18TensorIteratorBaseEEUlbE_EEvS4_RKT_EUlibE_EEviT1_: ; @_ZN2at6native32elementwise_kernel_manual_unrollILi128ELi8EZNS0_22gpu_kernel_impl_nocastIZNS0_23bitwise_not_kernel_cudaERNS_18TensorIteratorBaseEEUlbE_EEvS4_RKT_EUlibE_EEviT1_
; %bb.0:
	s_load_dword s55, s[0:1], 0x0
	s_load_dword s33, s[0:1], 0x8
	s_add_u32 s34, s0, 8
	s_addc_u32 s35, s1, 0
	v_lshl_or_b32 v24, s2, 10, v0
	v_or_b32_e32 v32, 0x380, v24
	s_waitcnt lgkmcnt(0)
	s_add_i32 s54, s33, -1
	s_cmp_gt_u32 s54, 1
	v_cmp_le_i32_e32 vcc, s55, v32
	s_cselect_b64 s[36:37], -1, 0
	s_and_saveexec_b64 s[0:1], vcc
	s_xor_b64 s[38:39], exec, s[0:1]
	s_cbranch_execz .LBB5_8
; %bb.1:
	s_load_dwordx4 s[24:27], s[34:35], 0x4
	s_load_dwordx2 s[40:41], s[34:35], 0x14
	s_load_dwordx4 s[20:23], s[34:35], 0xc4
	s_load_dwordx4 s[16:19], s[34:35], 0x148
	s_cmp_lg_u32 s33, 0
	s_cselect_b64 s[46:47], -1, 0
	s_add_u32 s44, s34, 0xc4
	s_addc_u32 s45, s35, 0
	s_min_u32 s56, s54, 15
	s_cmp_gt_u32 s33, 1
	s_cselect_b64 s[42:43], -1, 0
	v_cmp_gt_i32_e32 vcc, s55, v24
	s_and_saveexec_b64 s[48:49], vcc
	s_cbranch_execz .LBB5_15
; %bb.2:
	s_andn2_b64 vcc, exec, s[36:37]
	s_cbranch_vccnz .LBB5_23
; %bb.3:
	s_andn2_b64 vcc, exec, s[46:47]
	s_cbranch_vccnz .LBB5_131
; %bb.4:
	s_add_i32 s58, s56, 1
	s_cmp_eq_u32 s54, 2
	s_cbranch_scc1 .LBB5_133
; %bb.5:
	s_and_b32 s57, s58, 28
	s_mov_b32 s59, 0
	v_mov_b32_e32 v0, 0
	v_mov_b32_e32 v2, 0
	s_mov_b64 s[50:51], s[34:35]
	s_mov_b64 s[52:53], s[44:45]
	v_mov_b32_e32 v4, v24
.LBB5_6:                                ; =>This Inner Loop Header: Depth=1
	s_load_dwordx8 s[8:15], s[50:51], 0x4
	s_load_dwordx4 s[28:31], s[50:51], 0x24
	s_load_dwordx8 s[0:7], s[52:53], 0x0
	s_add_u32 s50, s50, 48
	s_addc_u32 s51, s51, 0
	s_waitcnt lgkmcnt(0)
	v_mul_hi_u32 v1, s9, v4
	v_add_u32_e32 v1, v4, v1
	v_lshrrev_b32_e32 v1, s10, v1
	v_mul_lo_u32 v3, v1, s8
	v_mul_hi_u32 v5, s12, v1
	v_sub_u32_e32 v3, v4, v3
	v_add_u32_e32 v4, v1, v5
	v_lshrrev_b32_e32 v4, s13, v4
	v_mul_lo_u32 v6, v4, s11
	v_mul_hi_u32 v7, s15, v4
	v_sub_u32_e32 v1, v1, v6
	v_add_u32_e32 v6, v4, v7
	v_mul_lo_u32 v5, v3, s1
	v_mul_lo_u32 v3, v3, s0
	;; [unrolled: 1-line block ×4, first 2 shown]
	v_lshrrev_b32_e32 v6, s28, v6
	v_add3_u32 v0, v3, v0, v1
	v_mul_hi_u32 v3, s30, v6
	v_add3_u32 v1, v5, v2, v7
	v_mul_lo_u32 v2, v6, s14
	v_add_u32_e32 v3, v6, v3
	v_sub_u32_e32 v2, v4, v2
	v_lshrrev_b32_e32 v4, s31, v3
	s_add_i32 s59, s59, 4
	v_mul_lo_u32 v3, v4, s29
	s_add_u32 s52, s52, 32
	v_sub_u32_e32 v3, v6, v3
	s_addc_u32 s53, s53, 0
	v_mul_lo_u32 v5, v2, s4
	v_mul_lo_u32 v2, v2, s5
	;; [unrolled: 1-line block ×4, first 2 shown]
	s_cmp_lg_u32 s57, s59
	v_add3_u32 v2, v2, v1, v3
	v_add3_u32 v0, v5, v0, v6
	s_cbranch_scc1 .LBB5_6
; %bb.7:
	v_mov_b32_e32 v1, v2
	s_branch .LBB5_134
.LBB5_8:
	s_andn2_saveexec_b64 s[0:1], s[38:39]
	s_cbranch_execz .LBB5_228
.LBB5_9:
	v_cndmask_b32_e64 v0, 0, 1, s[36:37]
	v_cmp_ne_u32_e64 s[0:1], 1, v0
	s_andn2_b64 vcc, exec, s[36:37]
	s_cbranch_vccnz .LBB5_22
; %bb.10:
	s_cmp_lg_u32 s33, 0
	s_waitcnt lgkmcnt(0)
	s_mov_b32 s26, 0
	s_cbranch_scc0 .LBB5_25
; %bb.11:
	s_min_u32 s27, s54, 15
	s_add_i32 s27, s27, 1
	s_cmp_eq_u32 s54, 2
	s_cbranch_scc1 .LBB5_26
; %bb.12:
	s_and_b32 s26, s27, 28
	s_add_u32 s2, s34, 0xc4
	s_addc_u32 s3, s35, 0
	s_mov_b32 s28, 0
	v_mov_b32_e32 v0, 0
	v_mov_b32_e32 v2, 0
	s_mov_b64 s[24:25], s[34:35]
	v_mov_b32_e32 v4, v24
.LBB5_13:                               ; =>This Inner Loop Header: Depth=1
	s_load_dwordx8 s[12:19], s[24:25], 0x4
	s_load_dwordx4 s[20:23], s[24:25], 0x24
	s_load_dwordx8 s[4:11], s[2:3], 0x0
	s_add_u32 s24, s24, 48
	s_addc_u32 s25, s25, 0
	s_waitcnt lgkmcnt(0)
	v_mul_hi_u32 v1, s13, v4
	v_add_u32_e32 v1, v4, v1
	v_lshrrev_b32_e32 v1, s14, v1
	v_mul_lo_u32 v3, v1, s12
	v_mul_hi_u32 v5, s16, v1
	v_sub_u32_e32 v3, v4, v3
	v_add_u32_e32 v4, v1, v5
	v_lshrrev_b32_e32 v4, s17, v4
	v_mul_lo_u32 v6, v4, s15
	v_mul_hi_u32 v7, s19, v4
	v_sub_u32_e32 v1, v1, v6
	v_add_u32_e32 v6, v4, v7
	v_mul_lo_u32 v5, v3, s5
	v_mul_lo_u32 v3, v3, s4
	;; [unrolled: 1-line block ×4, first 2 shown]
	v_lshrrev_b32_e32 v6, s20, v6
	v_add3_u32 v0, v3, v0, v1
	v_mul_hi_u32 v3, s22, v6
	v_add3_u32 v1, v5, v2, v7
	v_mul_lo_u32 v2, v6, s18
	v_add_u32_e32 v3, v6, v3
	v_sub_u32_e32 v2, v4, v2
	v_lshrrev_b32_e32 v4, s23, v3
	s_add_i32 s28, s28, 4
	v_mul_lo_u32 v3, v4, s21
	s_add_u32 s2, s2, 32
	v_sub_u32_e32 v3, v6, v3
	s_addc_u32 s3, s3, 0
	v_mul_lo_u32 v5, v2, s8
	v_mul_lo_u32 v2, v2, s9
	;; [unrolled: 1-line block ×4, first 2 shown]
	s_cmp_lg_u32 s26, s28
	v_add3_u32 v2, v2, v1, v3
	v_add3_u32 v0, v5, v0, v6
	s_cbranch_scc1 .LBB5_13
; %bb.14:
	v_mov_b32_e32 v1, v2
	s_and_b32 s6, s27, 3
	s_cmp_eq_u32 s6, 0
	s_cbranch_scc0 .LBB5_27
	s_branch .LBB5_29
.LBB5_15:
	s_or_b64 exec, exec, s[48:49]
	v_cmp_gt_i32_e32 vcc, s55, v24
	s_and_saveexec_b64 s[48:49], vcc
	s_cbranch_execz .LBB5_141
.LBB5_16:
	s_andn2_b64 vcc, exec, s[36:37]
	s_cbranch_vccnz .LBB5_24
; %bb.17:
	s_andn2_b64 vcc, exec, s[46:47]
	s_cbranch_vccnz .LBB5_132
; %bb.18:
	s_add_i32 s58, s56, 1
	s_cmp_eq_u32 s54, 2
	s_cbranch_scc1 .LBB5_150
; %bb.19:
	s_and_b32 s57, s58, 28
	s_mov_b32 s59, 0
	v_mov_b32_e32 v0, 0
	v_mov_b32_e32 v2, 0
	s_mov_b64 s[50:51], s[34:35]
	s_mov_b64 s[52:53], s[44:45]
	v_mov_b32_e32 v4, v24
.LBB5_20:                               ; =>This Inner Loop Header: Depth=1
	s_load_dwordx8 s[8:15], s[50:51], 0x4
	s_load_dwordx4 s[28:31], s[50:51], 0x24
	s_load_dwordx8 s[0:7], s[52:53], 0x0
	s_add_u32 s50, s50, 48
	s_addc_u32 s51, s51, 0
	s_waitcnt lgkmcnt(0)
	v_mul_hi_u32 v1, s9, v4
	v_add_u32_e32 v1, v4, v1
	v_lshrrev_b32_e32 v1, s10, v1
	v_mul_lo_u32 v3, v1, s8
	v_mul_hi_u32 v5, s12, v1
	v_sub_u32_e32 v3, v4, v3
	v_add_u32_e32 v4, v1, v5
	v_lshrrev_b32_e32 v4, s13, v4
	v_mul_lo_u32 v6, v4, s11
	v_mul_hi_u32 v7, s15, v4
	v_sub_u32_e32 v1, v1, v6
	v_add_u32_e32 v6, v4, v7
	v_mul_lo_u32 v5, v3, s1
	v_mul_lo_u32 v3, v3, s0
	;; [unrolled: 1-line block ×4, first 2 shown]
	v_lshrrev_b32_e32 v6, s28, v6
	v_add3_u32 v0, v3, v0, v1
	v_mul_hi_u32 v3, s30, v6
	v_add3_u32 v1, v5, v2, v7
	v_mul_lo_u32 v2, v6, s14
	v_add_u32_e32 v3, v6, v3
	v_sub_u32_e32 v2, v4, v2
	v_lshrrev_b32_e32 v4, s31, v3
	s_add_i32 s59, s59, 4
	v_mul_lo_u32 v3, v4, s29
	s_add_u32 s52, s52, 32
	v_sub_u32_e32 v3, v6, v3
	s_addc_u32 s53, s53, 0
	v_mul_lo_u32 v5, v2, s4
	v_mul_lo_u32 v2, v2, s5
	;; [unrolled: 1-line block ×4, first 2 shown]
	s_cmp_eq_u32 s57, s59
	v_add3_u32 v2, v2, v1, v3
	v_add3_u32 v0, v5, v0, v6
	s_cbranch_scc0 .LBB5_20
; %bb.21:
	v_mov_b32_e32 v1, v2
	s_branch .LBB5_151
.LBB5_22:
                                        ; implicit-def: $vgpr2
                                        ; implicit-def: $vgpr0
	s_branch .LBB5_30
.LBB5_23:
                                        ; implicit-def: $vgpr2
                                        ; implicit-def: $vgpr0
	s_branch .LBB5_138
.LBB5_24:
                                        ; implicit-def: $vgpr2
                                        ; implicit-def: $vgpr0
	s_branch .LBB5_155
.LBB5_25:
	v_mov_b32_e32 v2, 0
	v_mov_b32_e32 v0, 0
	s_branch .LBB5_29
.LBB5_26:
	v_mov_b32_e32 v0, 0
                                        ; implicit-def: $vgpr2
	v_mov_b32_e32 v1, v0
	v_mov_b32_e32 v4, v24
	s_and_b32 s6, s27, 3
	s_cmp_eq_u32 s6, 0
	s_cbranch_scc1 .LBB5_29
.LBB5_27:
	s_lshl_b32 s2, s26, 3
	s_add_u32 s2, s34, s2
	s_addc_u32 s3, s35, 0
	s_add_u32 s2, s2, 0xc4
	s_addc_u32 s3, s3, 0
	s_mul_i32 s4, s26, 12
	s_add_u32 s4, s34, s4
	s_addc_u32 s5, s35, 0
.LBB5_28:                               ; =>This Inner Loop Header: Depth=1
	s_load_dwordx2 s[8:9], s[4:5], 0x4
	s_load_dword s7, s[4:5], 0xc
	s_load_dwordx2 s[10:11], s[2:3], 0x0
	v_mov_b32_e32 v2, v1
	s_add_u32 s4, s4, 12
	s_waitcnt lgkmcnt(0)
	v_mul_hi_u32 v1, s9, v4
	v_add_u32_e32 v1, v4, v1
	v_lshrrev_b32_e32 v1, s7, v1
	s_addc_u32 s5, s5, 0
	v_mul_lo_u32 v3, v1, s8
	s_add_u32 s2, s2, 8
	v_sub_u32_e32 v5, v4, v3
	s_addc_u32 s3, s3, 0
	s_add_i32 s6, s6, -1
	v_mov_b32_e32 v4, v1
	v_mad_u64_u32 v[2:3], s[8:9], v5, s11, v[2:3]
	v_mad_u64_u32 v[0:1], s[8:9], v5, s10, v[0:1]
	s_cmp_lg_u32 s6, 0
	v_mov_b32_e32 v1, v2
	s_cbranch_scc1 .LBB5_28
.LBB5_29:
	s_cbranch_execnz .LBB5_32
.LBB5_30:
	s_load_dwordx4 s[4:7], s[34:35], 0x4
	s_load_dwordx2 s[2:3], s[34:35], 0xc4
	s_cmp_lt_u32 s33, 2
	s_waitcnt lgkmcnt(0)
	v_mul_hi_u32 v0, s5, v24
	v_add_u32_e32 v0, v24, v0
	v_lshrrev_b32_e32 v1, s6, v0
	v_mul_lo_u32 v0, v1, s4
	v_sub_u32_e32 v0, v24, v0
	v_mul_lo_u32 v2, v0, s3
	v_mul_lo_u32 v0, v0, s2
	s_cbranch_scc1 .LBB5_32
; %bb.31:
	s_load_dwordx4 s[4:7], s[34:35], 0x10
	s_load_dwordx2 s[2:3], s[34:35], 0xcc
	s_waitcnt lgkmcnt(0)
	v_mul_hi_u32 v3, s5, v1
	v_add_u32_e32 v3, v1, v3
	v_lshrrev_b32_e32 v3, s6, v3
	v_mul_lo_u32 v3, v3, s4
	v_sub_u32_e32 v3, v1, v3
	v_mad_u64_u32 v[0:1], s[4:5], v3, s2, v[0:1]
	v_mad_u64_u32 v[2:3], s[2:3], v3, s3, v[2:3]
.LBB5_32:
	s_and_b64 vcc, exec, s[0:1]
	v_add_u32_e32 v3, 0x80, v24
	s_cbranch_vccnz .LBB5_38
; %bb.33:
	s_cmp_lg_u32 s33, 0
	s_waitcnt lgkmcnt(0)
	s_mov_b32 s26, 0
	s_cbranch_scc0 .LBB5_39
; %bb.34:
	s_min_u32 s27, s54, 15
	s_add_i32 s27, s27, 1
	s_cmp_eq_u32 s54, 2
	s_cbranch_scc1 .LBB5_40
; %bb.35:
	s_and_b32 s26, s27, 28
	s_add_u32 s2, s34, 0xc4
	s_addc_u32 s3, s35, 0
	s_mov_b32 s28, 0
	v_mov_b32_e32 v4, 0
	v_mov_b32_e32 v6, 0
	s_mov_b64 s[24:25], s[34:35]
	v_mov_b32_e32 v8, v3
.LBB5_36:                               ; =>This Inner Loop Header: Depth=1
	s_load_dwordx8 s[12:19], s[24:25], 0x4
	s_load_dwordx4 s[20:23], s[24:25], 0x24
	s_load_dwordx8 s[4:11], s[2:3], 0x0
	s_add_u32 s24, s24, 48
	s_addc_u32 s25, s25, 0
	s_waitcnt lgkmcnt(0)
	v_mul_hi_u32 v1, s13, v8
	v_add_u32_e32 v1, v8, v1
	v_lshrrev_b32_e32 v1, s14, v1
	v_mul_hi_u32 v7, s16, v1
	v_add_u32_e32 v7, v1, v7
	v_lshrrev_b32_e32 v7, s17, v7
	v_mul_lo_u32 v5, v1, s12
	v_mul_lo_u32 v9, v7, s15
	v_mul_hi_u32 v10, s19, v7
	v_sub_u32_e32 v5, v8, v5
	v_sub_u32_e32 v1, v1, v9
	v_add_u32_e32 v9, v7, v10
	v_mul_lo_u32 v8, v5, s5
	v_mul_lo_u32 v5, v5, s4
	;; [unrolled: 1-line block ×4, first 2 shown]
	v_lshrrev_b32_e32 v9, s20, v9
	v_add3_u32 v1, v5, v4, v1
	v_add3_u32 v4, v8, v6, v10
	v_mul_hi_u32 v6, s22, v9
	v_add_u32_e32 v6, v9, v6
	v_lshrrev_b32_e32 v8, s23, v6
	s_add_i32 s28, s28, 4
	v_mul_lo_u32 v5, v9, s18
	v_mul_lo_u32 v6, v8, s21
	s_add_u32 s2, s2, 32
	v_sub_u32_e32 v5, v7, v5
	v_sub_u32_e32 v6, v9, v6
	s_addc_u32 s3, s3, 0
	v_mul_lo_u32 v7, v5, s8
	v_mul_lo_u32 v5, v5, s9
	;; [unrolled: 1-line block ×4, first 2 shown]
	s_cmp_lg_u32 s26, s28
	v_add3_u32 v6, v5, v4, v6
	v_add3_u32 v4, v7, v1, v9
	s_cbranch_scc1 .LBB5_36
; %bb.37:
	v_mov_b32_e32 v1, v6
	s_and_b32 s6, s27, 3
	s_cmp_eq_u32 s6, 0
	s_cbranch_scc0 .LBB5_41
	s_branch .LBB5_43
.LBB5_38:
                                        ; implicit-def: $vgpr6
                                        ; implicit-def: $vgpr4
	s_branch .LBB5_44
.LBB5_39:
	v_mov_b32_e32 v6, 0
	v_mov_b32_e32 v4, 0
	s_branch .LBB5_43
.LBB5_40:
	v_mov_b32_e32 v4, 0
                                        ; implicit-def: $vgpr6
	v_mov_b32_e32 v1, v4
	v_mov_b32_e32 v8, v3
	s_and_b32 s6, s27, 3
	s_cmp_eq_u32 s6, 0
	s_cbranch_scc1 .LBB5_43
.LBB5_41:
	s_lshl_b32 s2, s26, 3
	s_add_u32 s2, s34, s2
	s_addc_u32 s3, s35, 0
	s_add_u32 s2, s2, 0xc4
	s_addc_u32 s3, s3, 0
	s_mul_i32 s4, s26, 12
	s_add_u32 s4, s34, s4
	s_addc_u32 s5, s35, 0
.LBB5_42:                               ; =>This Inner Loop Header: Depth=1
	s_load_dwordx2 s[8:9], s[4:5], 0x4
	s_load_dword s7, s[4:5], 0xc
	s_load_dwordx2 s[10:11], s[2:3], 0x0
	v_mov_b32_e32 v6, v1
	s_add_u32 s4, s4, 12
	s_waitcnt lgkmcnt(0)
	v_mul_hi_u32 v1, s9, v8
	v_add_u32_e32 v1, v8, v1
	v_lshrrev_b32_e32 v1, s7, v1
	s_addc_u32 s5, s5, 0
	v_mul_lo_u32 v5, v1, s8
	s_add_u32 s2, s2, 8
	v_sub_u32_e32 v5, v8, v5
	s_addc_u32 s3, s3, 0
	s_add_i32 s6, s6, -1
	v_mad_u64_u32 v[6:7], s[8:9], v5, s11, v[6:7]
	s_cmp_lg_u32 s6, 0
	v_mov_b32_e32 v8, v1
	v_mad_u64_u32 v[4:5], s[8:9], v5, s10, v[4:5]
	v_mov_b32_e32 v1, v6
	s_cbranch_scc1 .LBB5_42
.LBB5_43:
	s_cbranch_execnz .LBB5_46
.LBB5_44:
	s_load_dwordx4 s[4:7], s[34:35], 0x4
	s_load_dwordx2 s[2:3], s[34:35], 0xc4
	s_cmp_lt_u32 s33, 2
	s_waitcnt lgkmcnt(0)
	v_mul_hi_u32 v1, s5, v3
	v_add_u32_e32 v1, v3, v1
	v_lshrrev_b32_e32 v1, s6, v1
	v_mul_lo_u32 v4, v1, s4
	v_sub_u32_e32 v3, v3, v4
	v_mul_lo_u32 v6, v3, s3
	v_mul_lo_u32 v4, v3, s2
	s_cbranch_scc1 .LBB5_46
; %bb.45:
	s_load_dwordx4 s[4:7], s[34:35], 0x10
	s_load_dwordx2 s[2:3], s[34:35], 0xcc
	s_waitcnt lgkmcnt(0)
	v_mul_hi_u32 v3, s5, v1
	v_add_u32_e32 v3, v1, v3
	v_lshrrev_b32_e32 v3, s6, v3
	v_mul_lo_u32 v3, v3, s4
	v_sub_u32_e32 v1, v1, v3
	v_mad_u64_u32 v[4:5], s[4:5], v1, s2, v[4:5]
	v_mad_u64_u32 v[6:7], s[2:3], v1, s3, v[6:7]
.LBB5_46:
	s_and_b64 vcc, exec, s[0:1]
	v_add_u32_e32 v3, 0x100, v24
	s_cbranch_vccnz .LBB5_52
; %bb.47:
	s_cmp_lg_u32 s33, 0
	s_waitcnt lgkmcnt(0)
	s_mov_b32 s26, 0
	s_cbranch_scc0 .LBB5_53
; %bb.48:
	s_min_u32 s27, s54, 15
	s_add_i32 s27, s27, 1
	s_cmp_eq_u32 s54, 2
	s_cbranch_scc1 .LBB5_54
; %bb.49:
	s_and_b32 s26, s27, 28
	s_add_u32 s2, s34, 0xc4
	s_addc_u32 s3, s35, 0
	s_mov_b32 s28, 0
	v_mov_b32_e32 v8, 0
	v_mov_b32_e32 v10, 0
	s_mov_b64 s[24:25], s[34:35]
	v_mov_b32_e32 v5, v3
.LBB5_50:                               ; =>This Inner Loop Header: Depth=1
	s_load_dwordx8 s[12:19], s[24:25], 0x4
	s_load_dwordx4 s[20:23], s[24:25], 0x24
	s_load_dwordx8 s[4:11], s[2:3], 0x0
	s_add_u32 s24, s24, 48
	s_addc_u32 s25, s25, 0
	s_waitcnt lgkmcnt(0)
	v_mul_hi_u32 v1, s13, v5
	v_add_u32_e32 v1, v5, v1
	v_lshrrev_b32_e32 v1, s14, v1
	v_mul_lo_u32 v7, v1, s12
	v_mul_hi_u32 v9, s16, v1
	v_sub_u32_e32 v5, v5, v7
	v_add_u32_e32 v7, v1, v9
	v_lshrrev_b32_e32 v7, s17, v7
	v_mul_lo_u32 v11, v7, s15
	v_mul_hi_u32 v12, s19, v7
	v_sub_u32_e32 v1, v1, v11
	v_add_u32_e32 v11, v7, v12
	v_mul_lo_u32 v9, v5, s5
	v_mul_lo_u32 v5, v5, s4
	v_mul_lo_u32 v12, v1, s7
	v_mul_lo_u32 v1, v1, s6
	v_lshrrev_b32_e32 v11, s20, v11
	v_add3_u32 v1, v5, v8, v1
	v_add3_u32 v8, v9, v10, v12
	v_mul_lo_u32 v5, v11, s18
	v_mul_hi_u32 v9, s22, v11
	v_sub_u32_e32 v5, v7, v5
	v_add_u32_e32 v7, v11, v9
	v_mul_lo_u32 v9, v5, s8
	v_mul_lo_u32 v10, v5, s9
	v_lshrrev_b32_e32 v5, s23, v7
	s_add_i32 s28, s28, 4
	v_mul_lo_u32 v7, v5, s21
	s_add_u32 s2, s2, 32
	v_sub_u32_e32 v7, v11, v7
	s_addc_u32 s3, s3, 0
	v_mul_lo_u32 v11, v7, s10
	v_mul_lo_u32 v7, v7, s11
	s_cmp_lg_u32 s26, s28
	v_add3_u32 v10, v10, v8, v7
	v_add3_u32 v8, v9, v1, v11
	s_cbranch_scc1 .LBB5_50
; %bb.51:
	v_mov_b32_e32 v1, v10
	s_and_b32 s6, s27, 3
	s_cmp_eq_u32 s6, 0
	s_cbranch_scc0 .LBB5_55
	s_branch .LBB5_57
.LBB5_52:
                                        ; implicit-def: $vgpr10
                                        ; implicit-def: $vgpr8
	s_branch .LBB5_58
.LBB5_53:
	v_mov_b32_e32 v10, 0
	v_mov_b32_e32 v8, 0
	s_branch .LBB5_57
.LBB5_54:
	v_mov_b32_e32 v8, 0
                                        ; implicit-def: $vgpr10
	v_mov_b32_e32 v1, v8
	v_mov_b32_e32 v5, v3
	s_and_b32 s6, s27, 3
	s_cmp_eq_u32 s6, 0
	s_cbranch_scc1 .LBB5_57
.LBB5_55:
	s_lshl_b32 s2, s26, 3
	s_add_u32 s2, s34, s2
	s_addc_u32 s3, s35, 0
	s_add_u32 s2, s2, 0xc4
	s_addc_u32 s3, s3, 0
	s_mul_i32 s4, s26, 12
	s_add_u32 s4, s34, s4
	s_addc_u32 s5, s35, 0
.LBB5_56:                               ; =>This Inner Loop Header: Depth=1
	s_load_dwordx2 s[8:9], s[4:5], 0x4
	s_load_dword s7, s[4:5], 0xc
	s_load_dwordx2 s[10:11], s[2:3], 0x0
	v_mov_b32_e32 v10, v1
	s_add_u32 s4, s4, 12
	s_waitcnt lgkmcnt(0)
	v_mul_hi_u32 v1, s9, v5
	v_add_u32_e32 v1, v5, v1
	v_lshrrev_b32_e32 v1, s7, v1
	s_addc_u32 s5, s5, 0
	v_mul_lo_u32 v7, v1, s8
	s_add_u32 s2, s2, 8
	v_sub_u32_e32 v7, v5, v7
	s_addc_u32 s3, s3, 0
	s_add_i32 s6, s6, -1
	v_mad_u64_u32 v[10:11], s[8:9], v7, s11, v[10:11]
	s_cmp_lg_u32 s6, 0
	v_mov_b32_e32 v5, v1
	v_mad_u64_u32 v[8:9], s[8:9], v7, s10, v[8:9]
	v_mov_b32_e32 v1, v10
	s_cbranch_scc1 .LBB5_56
.LBB5_57:
	s_cbranch_execnz .LBB5_60
.LBB5_58:
	s_load_dwordx4 s[4:7], s[34:35], 0x4
	s_load_dwordx2 s[2:3], s[34:35], 0xc4
	s_cmp_lt_u32 s33, 2
	s_waitcnt lgkmcnt(0)
	v_mul_hi_u32 v1, s5, v3
	v_add_u32_e32 v1, v3, v1
	v_lshrrev_b32_e32 v1, s6, v1
	v_mul_lo_u32 v5, v1, s4
	v_sub_u32_e32 v3, v3, v5
	v_mul_lo_u32 v10, v3, s3
	v_mul_lo_u32 v8, v3, s2
	s_cbranch_scc1 .LBB5_60
; %bb.59:
	s_load_dwordx4 s[4:7], s[34:35], 0x10
	s_load_dwordx2 s[2:3], s[34:35], 0xcc
	s_waitcnt lgkmcnt(0)
	v_mul_hi_u32 v3, s5, v1
	v_add_u32_e32 v3, v1, v3
	v_lshrrev_b32_e32 v3, s6, v3
	v_mul_lo_u32 v3, v3, s4
	v_sub_u32_e32 v1, v1, v3
	v_mad_u64_u32 v[8:9], s[4:5], v1, s2, v[8:9]
	v_mad_u64_u32 v[10:11], s[2:3], v1, s3, v[10:11]
.LBB5_60:
	s_and_b64 vcc, exec, s[0:1]
	v_add_u32_e32 v3, 0x180, v24
	s_cbranch_vccnz .LBB5_66
; %bb.61:
	s_cmp_lg_u32 s33, 0
	s_waitcnt lgkmcnt(0)
	s_mov_b32 s26, 0
	s_cbranch_scc0 .LBB5_67
; %bb.62:
	s_min_u32 s27, s54, 15
	s_add_i32 s27, s27, 1
	s_cmp_eq_u32 s54, 2
	s_cbranch_scc1 .LBB5_68
; %bb.63:
	s_and_b32 s26, s27, 28
	s_add_u32 s2, s34, 0xc4
	s_addc_u32 s3, s35, 0
	s_mov_b32 s28, 0
	v_mov_b32_e32 v12, 0
	v_mov_b32_e32 v14, 0
	s_mov_b64 s[24:25], s[34:35]
	v_mov_b32_e32 v5, v3
.LBB5_64:                               ; =>This Inner Loop Header: Depth=1
	s_load_dwordx8 s[12:19], s[24:25], 0x4
	s_load_dwordx4 s[20:23], s[24:25], 0x24
	s_load_dwordx8 s[4:11], s[2:3], 0x0
	s_add_u32 s24, s24, 48
	s_addc_u32 s25, s25, 0
	s_waitcnt lgkmcnt(0)
	v_mul_hi_u32 v1, s13, v5
	v_add_u32_e32 v1, v5, v1
	v_lshrrev_b32_e32 v1, s14, v1
	v_mul_lo_u32 v7, v1, s12
	v_mul_hi_u32 v9, s16, v1
	v_sub_u32_e32 v5, v5, v7
	v_add_u32_e32 v7, v1, v9
	v_lshrrev_b32_e32 v7, s17, v7
	v_mul_lo_u32 v11, v7, s15
	v_mul_hi_u32 v13, s19, v7
	v_sub_u32_e32 v1, v1, v11
	v_add_u32_e32 v11, v7, v13
	v_mul_lo_u32 v9, v5, s5
	v_mul_lo_u32 v5, v5, s4
	;; [unrolled: 1-line block ×4, first 2 shown]
	v_lshrrev_b32_e32 v11, s20, v11
	v_add3_u32 v1, v5, v12, v1
	v_mul_lo_u32 v5, v11, s18
	v_mul_hi_u32 v12, s22, v11
	v_sub_u32_e32 v5, v7, v5
	v_add_u32_e32 v7, v11, v12
	v_add3_u32 v9, v9, v14, v13
	v_mul_lo_u32 v12, v5, s8
	v_mul_lo_u32 v13, v5, s9
	v_lshrrev_b32_e32 v5, s23, v7
	s_add_i32 s28, s28, 4
	v_mul_lo_u32 v7, v5, s21
	s_add_u32 s2, s2, 32
	v_sub_u32_e32 v7, v11, v7
	s_addc_u32 s3, s3, 0
	v_mul_lo_u32 v11, v7, s10
	v_mul_lo_u32 v7, v7, s11
	s_cmp_lg_u32 s26, s28
	v_add3_u32 v14, v13, v9, v7
	v_add3_u32 v12, v12, v1, v11
	s_cbranch_scc1 .LBB5_64
; %bb.65:
	v_mov_b32_e32 v1, v14
	s_and_b32 s6, s27, 3
	s_cmp_eq_u32 s6, 0
	s_cbranch_scc0 .LBB5_69
	s_branch .LBB5_71
.LBB5_66:
                                        ; implicit-def: $vgpr14
                                        ; implicit-def: $vgpr12
	s_branch .LBB5_72
.LBB5_67:
	v_mov_b32_e32 v14, 0
	v_mov_b32_e32 v12, 0
	s_branch .LBB5_71
.LBB5_68:
	v_mov_b32_e32 v12, 0
                                        ; implicit-def: $vgpr14
	v_mov_b32_e32 v1, v12
	v_mov_b32_e32 v5, v3
	s_and_b32 s6, s27, 3
	s_cmp_eq_u32 s6, 0
	s_cbranch_scc1 .LBB5_71
.LBB5_69:
	s_lshl_b32 s2, s26, 3
	s_add_u32 s2, s34, s2
	s_addc_u32 s3, s35, 0
	s_add_u32 s2, s2, 0xc4
	s_addc_u32 s3, s3, 0
	s_mul_i32 s4, s26, 12
	s_add_u32 s4, s34, s4
	s_addc_u32 s5, s35, 0
.LBB5_70:                               ; =>This Inner Loop Header: Depth=1
	s_load_dwordx2 s[8:9], s[4:5], 0x4
	s_load_dword s7, s[4:5], 0xc
	s_load_dwordx2 s[10:11], s[2:3], 0x0
	v_mov_b32_e32 v14, v1
	s_add_u32 s4, s4, 12
	s_waitcnt lgkmcnt(0)
	v_mul_hi_u32 v1, s9, v5
	v_add_u32_e32 v1, v5, v1
	v_lshrrev_b32_e32 v1, s7, v1
	s_addc_u32 s5, s5, 0
	v_mul_lo_u32 v7, v1, s8
	s_add_u32 s2, s2, 8
	v_sub_u32_e32 v7, v5, v7
	s_addc_u32 s3, s3, 0
	s_add_i32 s6, s6, -1
	v_mad_u64_u32 v[14:15], s[8:9], v7, s11, v[14:15]
	s_cmp_lg_u32 s6, 0
	v_mov_b32_e32 v5, v1
	v_mad_u64_u32 v[12:13], s[8:9], v7, s10, v[12:13]
	v_mov_b32_e32 v1, v14
	s_cbranch_scc1 .LBB5_70
.LBB5_71:
	s_cbranch_execnz .LBB5_74
.LBB5_72:
	s_load_dwordx4 s[4:7], s[34:35], 0x4
	s_load_dwordx2 s[2:3], s[34:35], 0xc4
	s_cmp_lt_u32 s33, 2
	s_waitcnt lgkmcnt(0)
	v_mul_hi_u32 v1, s5, v3
	v_add_u32_e32 v1, v3, v1
	v_lshrrev_b32_e32 v1, s6, v1
	v_mul_lo_u32 v5, v1, s4
	v_sub_u32_e32 v3, v3, v5
	v_mul_lo_u32 v14, v3, s3
	v_mul_lo_u32 v12, v3, s2
	s_cbranch_scc1 .LBB5_74
; %bb.73:
	s_load_dwordx4 s[4:7], s[34:35], 0x10
	s_load_dwordx2 s[2:3], s[34:35], 0xcc
	s_waitcnt lgkmcnt(0)
	v_mul_hi_u32 v3, s5, v1
	v_add_u32_e32 v3, v1, v3
	v_lshrrev_b32_e32 v3, s6, v3
	v_mul_lo_u32 v3, v3, s4
	v_sub_u32_e32 v1, v1, v3
	v_mad_u64_u32 v[12:13], s[4:5], v1, s2, v[12:13]
	v_mad_u64_u32 v[14:15], s[2:3], v1, s3, v[14:15]
.LBB5_74:
	s_and_b64 vcc, exec, s[0:1]
	v_add_u32_e32 v3, 0x200, v24
	s_cbranch_vccnz .LBB5_80
; %bb.75:
	s_cmp_lg_u32 s33, 0
	s_waitcnt lgkmcnt(0)
	s_mov_b32 s26, 0
	s_cbranch_scc0 .LBB5_81
; %bb.76:
	s_min_u32 s27, s54, 15
	s_add_i32 s27, s27, 1
	s_cmp_eq_u32 s54, 2
	s_cbranch_scc1 .LBB5_82
; %bb.77:
	s_and_b32 s26, s27, 28
	s_add_u32 s2, s34, 0xc4
	s_addc_u32 s3, s35, 0
	s_mov_b32 s28, 0
	v_mov_b32_e32 v16, 0
	v_mov_b32_e32 v18, 0
	s_mov_b64 s[24:25], s[34:35]
	v_mov_b32_e32 v5, v3
.LBB5_78:                               ; =>This Inner Loop Header: Depth=1
	s_load_dwordx8 s[12:19], s[24:25], 0x4
	s_load_dwordx4 s[20:23], s[24:25], 0x24
	s_load_dwordx8 s[4:11], s[2:3], 0x0
	s_add_u32 s24, s24, 48
	s_addc_u32 s25, s25, 0
	s_waitcnt lgkmcnt(0)
	v_mul_hi_u32 v1, s13, v5
	v_add_u32_e32 v1, v5, v1
	v_lshrrev_b32_e32 v1, s14, v1
	v_mul_lo_u32 v7, v1, s12
	v_mul_hi_u32 v9, s16, v1
	v_sub_u32_e32 v5, v5, v7
	v_add_u32_e32 v7, v1, v9
	v_lshrrev_b32_e32 v7, s17, v7
	v_mul_lo_u32 v11, v7, s15
	v_mul_hi_u32 v13, s19, v7
	v_sub_u32_e32 v1, v1, v11
	v_add_u32_e32 v11, v7, v13
	v_mul_lo_u32 v9, v5, s5
	v_mul_lo_u32 v5, v5, s4
	v_mul_lo_u32 v13, v1, s7
	v_mul_lo_u32 v1, v1, s6
	v_lshrrev_b32_e32 v11, s20, v11
	v_add3_u32 v1, v5, v16, v1
	v_add3_u32 v9, v9, v18, v13
	v_mul_lo_u32 v5, v11, s18
	v_mul_hi_u32 v13, s22, v11
	v_sub_u32_e32 v5, v7, v5
	v_add_u32_e32 v7, v11, v13
	v_mul_lo_u32 v13, v5, s8
	v_mul_lo_u32 v15, v5, s9
	v_lshrrev_b32_e32 v5, s23, v7
	s_add_i32 s28, s28, 4
	v_mul_lo_u32 v7, v5, s21
	s_add_u32 s2, s2, 32
	v_sub_u32_e32 v7, v11, v7
	s_addc_u32 s3, s3, 0
	v_mul_lo_u32 v11, v7, s10
	v_mul_lo_u32 v7, v7, s11
	s_cmp_lg_u32 s26, s28
	v_add3_u32 v18, v15, v9, v7
	v_add3_u32 v16, v13, v1, v11
	s_cbranch_scc1 .LBB5_78
; %bb.79:
	v_mov_b32_e32 v1, v18
	s_and_b32 s6, s27, 3
	s_cmp_eq_u32 s6, 0
	s_cbranch_scc0 .LBB5_83
	s_branch .LBB5_85
.LBB5_80:
                                        ; implicit-def: $vgpr18
                                        ; implicit-def: $vgpr16
	s_branch .LBB5_86
.LBB5_81:
	v_mov_b32_e32 v18, 0
	v_mov_b32_e32 v16, 0
	s_branch .LBB5_85
.LBB5_82:
	v_mov_b32_e32 v16, 0
                                        ; implicit-def: $vgpr18
	v_mov_b32_e32 v1, v16
	v_mov_b32_e32 v5, v3
	s_and_b32 s6, s27, 3
	s_cmp_eq_u32 s6, 0
	s_cbranch_scc1 .LBB5_85
.LBB5_83:
	s_lshl_b32 s2, s26, 3
	s_add_u32 s2, s34, s2
	s_addc_u32 s3, s35, 0
	s_add_u32 s2, s2, 0xc4
	s_addc_u32 s3, s3, 0
	s_mul_i32 s4, s26, 12
	s_add_u32 s4, s34, s4
	s_addc_u32 s5, s35, 0
.LBB5_84:                               ; =>This Inner Loop Header: Depth=1
	s_load_dwordx2 s[8:9], s[4:5], 0x4
	s_load_dword s7, s[4:5], 0xc
	s_load_dwordx2 s[10:11], s[2:3], 0x0
	v_mov_b32_e32 v18, v1
	s_add_u32 s4, s4, 12
	s_waitcnt lgkmcnt(0)
	v_mul_hi_u32 v1, s9, v5
	v_add_u32_e32 v1, v5, v1
	v_lshrrev_b32_e32 v1, s7, v1
	s_addc_u32 s5, s5, 0
	v_mul_lo_u32 v7, v1, s8
	s_add_u32 s2, s2, 8
	v_sub_u32_e32 v7, v5, v7
	s_addc_u32 s3, s3, 0
	s_add_i32 s6, s6, -1
	v_mad_u64_u32 v[18:19], s[8:9], v7, s11, v[18:19]
	s_cmp_lg_u32 s6, 0
	v_mov_b32_e32 v5, v1
	v_mad_u64_u32 v[16:17], s[8:9], v7, s10, v[16:17]
	v_mov_b32_e32 v1, v18
	s_cbranch_scc1 .LBB5_84
.LBB5_85:
	s_cbranch_execnz .LBB5_88
.LBB5_86:
	s_load_dwordx4 s[4:7], s[34:35], 0x4
	s_load_dwordx2 s[2:3], s[34:35], 0xc4
	s_cmp_lt_u32 s33, 2
	s_waitcnt lgkmcnt(0)
	v_mul_hi_u32 v1, s5, v3
	v_add_u32_e32 v1, v3, v1
	v_lshrrev_b32_e32 v1, s6, v1
	v_mul_lo_u32 v5, v1, s4
	v_sub_u32_e32 v3, v3, v5
	v_mul_lo_u32 v18, v3, s3
	v_mul_lo_u32 v16, v3, s2
	s_cbranch_scc1 .LBB5_88
; %bb.87:
	s_load_dwordx4 s[4:7], s[34:35], 0x10
	s_load_dwordx2 s[2:3], s[34:35], 0xcc
	s_waitcnt lgkmcnt(0)
	v_mul_hi_u32 v3, s5, v1
	v_add_u32_e32 v3, v1, v3
	v_lshrrev_b32_e32 v3, s6, v3
	v_mul_lo_u32 v3, v3, s4
	v_sub_u32_e32 v1, v1, v3
	v_mad_u64_u32 v[16:17], s[4:5], v1, s2, v[16:17]
	v_mad_u64_u32 v[18:19], s[2:3], v1, s3, v[18:19]
.LBB5_88:
	s_and_b64 vcc, exec, s[0:1]
	v_add_u32_e32 v3, 0x280, v24
	s_cbranch_vccnz .LBB5_94
; %bb.89:
	s_cmp_lg_u32 s33, 0
	s_waitcnt lgkmcnt(0)
	s_mov_b32 s26, 0
	s_cbranch_scc0 .LBB5_95
; %bb.90:
	s_min_u32 s27, s54, 15
	s_add_i32 s27, s27, 1
	s_cmp_eq_u32 s54, 2
	s_cbranch_scc1 .LBB5_96
; %bb.91:
	s_and_b32 s26, s27, 28
	s_add_u32 s2, s34, 0xc4
	s_addc_u32 s3, s35, 0
	s_mov_b32 s28, 0
	v_mov_b32_e32 v20, 0
	v_mov_b32_e32 v22, 0
	s_mov_b64 s[24:25], s[34:35]
	v_mov_b32_e32 v5, v3
.LBB5_92:                               ; =>This Inner Loop Header: Depth=1
	s_load_dwordx8 s[12:19], s[24:25], 0x4
	s_load_dwordx4 s[20:23], s[24:25], 0x24
	s_load_dwordx8 s[4:11], s[2:3], 0x0
	s_add_u32 s24, s24, 48
	s_addc_u32 s25, s25, 0
	s_waitcnt lgkmcnt(0)
	v_mul_hi_u32 v1, s13, v5
	v_add_u32_e32 v1, v5, v1
	v_lshrrev_b32_e32 v1, s14, v1
	v_mul_lo_u32 v7, v1, s12
	v_mul_hi_u32 v9, s16, v1
	v_sub_u32_e32 v5, v5, v7
	v_add_u32_e32 v7, v1, v9
	v_lshrrev_b32_e32 v7, s17, v7
	v_mul_lo_u32 v11, v7, s15
	v_mul_hi_u32 v13, s19, v7
	v_sub_u32_e32 v1, v1, v11
	v_add_u32_e32 v11, v7, v13
	v_mul_lo_u32 v9, v5, s5
	v_mul_lo_u32 v5, v5, s4
	;; [unrolled: 1-line block ×4, first 2 shown]
	v_lshrrev_b32_e32 v11, s20, v11
	v_add3_u32 v1, v5, v20, v1
	v_add3_u32 v9, v9, v22, v13
	v_mul_lo_u32 v5, v11, s18
	v_mul_hi_u32 v13, s22, v11
	v_sub_u32_e32 v5, v7, v5
	v_add_u32_e32 v7, v11, v13
	v_mul_lo_u32 v13, v5, s8
	v_mul_lo_u32 v15, v5, s9
	v_lshrrev_b32_e32 v5, s23, v7
	s_add_i32 s28, s28, 4
	v_mul_lo_u32 v7, v5, s21
	s_add_u32 s2, s2, 32
	v_sub_u32_e32 v7, v11, v7
	s_addc_u32 s3, s3, 0
	v_mul_lo_u32 v11, v7, s10
	v_mul_lo_u32 v7, v7, s11
	s_cmp_lg_u32 s26, s28
	v_add3_u32 v22, v15, v9, v7
	v_add3_u32 v20, v13, v1, v11
	s_cbranch_scc1 .LBB5_92
; %bb.93:
	v_mov_b32_e32 v1, v22
	s_and_b32 s6, s27, 3
	s_cmp_eq_u32 s6, 0
	s_cbranch_scc0 .LBB5_97
	s_branch .LBB5_99
.LBB5_94:
                                        ; implicit-def: $vgpr22
                                        ; implicit-def: $vgpr20
	s_branch .LBB5_100
.LBB5_95:
	v_mov_b32_e32 v22, 0
	v_mov_b32_e32 v20, 0
	s_branch .LBB5_99
.LBB5_96:
	v_mov_b32_e32 v20, 0
                                        ; implicit-def: $vgpr22
	v_mov_b32_e32 v1, v20
	v_mov_b32_e32 v5, v3
	s_and_b32 s6, s27, 3
	s_cmp_eq_u32 s6, 0
	s_cbranch_scc1 .LBB5_99
.LBB5_97:
	s_lshl_b32 s2, s26, 3
	s_add_u32 s2, s34, s2
	s_addc_u32 s3, s35, 0
	s_add_u32 s2, s2, 0xc4
	s_addc_u32 s3, s3, 0
	s_mul_i32 s4, s26, 12
	s_add_u32 s4, s34, s4
	s_addc_u32 s5, s35, 0
.LBB5_98:                               ; =>This Inner Loop Header: Depth=1
	s_load_dwordx2 s[8:9], s[4:5], 0x4
	s_load_dword s7, s[4:5], 0xc
	s_load_dwordx2 s[10:11], s[2:3], 0x0
	v_mov_b32_e32 v22, v1
	s_add_u32 s4, s4, 12
	s_waitcnt lgkmcnt(0)
	v_mul_hi_u32 v1, s9, v5
	v_add_u32_e32 v1, v5, v1
	v_lshrrev_b32_e32 v1, s7, v1
	s_addc_u32 s5, s5, 0
	v_mul_lo_u32 v7, v1, s8
	s_add_u32 s2, s2, 8
	v_sub_u32_e32 v7, v5, v7
	s_addc_u32 s3, s3, 0
	s_add_i32 s6, s6, -1
	v_mad_u64_u32 v[22:23], s[8:9], v7, s11, v[22:23]
	s_cmp_lg_u32 s6, 0
	v_mov_b32_e32 v5, v1
	v_mad_u64_u32 v[20:21], s[8:9], v7, s10, v[20:21]
	v_mov_b32_e32 v1, v22
	s_cbranch_scc1 .LBB5_98
.LBB5_99:
	s_cbranch_execnz .LBB5_102
.LBB5_100:
	s_load_dwordx4 s[4:7], s[34:35], 0x4
	s_load_dwordx2 s[2:3], s[34:35], 0xc4
	s_cmp_lt_u32 s33, 2
	s_waitcnt lgkmcnt(0)
	v_mul_hi_u32 v1, s5, v3
	v_add_u32_e32 v1, v3, v1
	v_lshrrev_b32_e32 v1, s6, v1
	v_mul_lo_u32 v5, v1, s4
	v_sub_u32_e32 v3, v3, v5
	v_mul_lo_u32 v22, v3, s3
	v_mul_lo_u32 v20, v3, s2
	s_cbranch_scc1 .LBB5_102
; %bb.101:
	s_load_dwordx4 s[4:7], s[34:35], 0x10
	s_load_dwordx2 s[2:3], s[34:35], 0xcc
	s_waitcnt lgkmcnt(0)
	v_mul_hi_u32 v3, s5, v1
	v_add_u32_e32 v3, v1, v3
	v_lshrrev_b32_e32 v3, s6, v3
	v_mul_lo_u32 v3, v3, s4
	v_sub_u32_e32 v1, v1, v3
	v_mad_u64_u32 v[20:21], s[4:5], v1, s2, v[20:21]
	v_mad_u64_u32 v[22:23], s[2:3], v1, s3, v[22:23]
.LBB5_102:
	s_and_b64 vcc, exec, s[0:1]
	v_add_u32_e32 v3, 0x300, v24
	s_cbranch_vccnz .LBB5_108
; %bb.103:
	s_cmp_lg_u32 s33, 0
	s_waitcnt lgkmcnt(0)
	s_mov_b32 s26, 0
	s_cbranch_scc0 .LBB5_109
; %bb.104:
	s_min_u32 s27, s54, 15
	s_add_i32 s27, s27, 1
	s_cmp_eq_u32 s54, 2
	s_cbranch_scc1 .LBB5_110
; %bb.105:
	s_and_b32 s26, s27, 28
	s_add_u32 s2, s34, 0xc4
	s_addc_u32 s3, s35, 0
	s_mov_b32 s28, 0
	v_mov_b32_e32 v24, 0
	v_mov_b32_e32 v26, 0
	s_mov_b64 s[24:25], s[34:35]
	v_mov_b32_e32 v5, v3
.LBB5_106:                              ; =>This Inner Loop Header: Depth=1
	s_load_dwordx8 s[12:19], s[24:25], 0x4
	s_load_dwordx4 s[20:23], s[24:25], 0x24
	s_load_dwordx8 s[4:11], s[2:3], 0x0
	s_add_u32 s24, s24, 48
	s_addc_u32 s25, s25, 0
	s_waitcnt lgkmcnt(0)
	v_mul_hi_u32 v1, s13, v5
	v_add_u32_e32 v1, v5, v1
	v_lshrrev_b32_e32 v1, s14, v1
	v_mul_lo_u32 v7, v1, s12
	v_mul_hi_u32 v9, s16, v1
	v_sub_u32_e32 v5, v5, v7
	v_add_u32_e32 v7, v1, v9
	v_lshrrev_b32_e32 v7, s17, v7
	v_mul_lo_u32 v11, v7, s15
	v_mul_hi_u32 v13, s19, v7
	v_sub_u32_e32 v1, v1, v11
	v_add_u32_e32 v11, v7, v13
	v_mul_lo_u32 v9, v5, s5
	v_mul_lo_u32 v5, v5, s4
	v_mul_lo_u32 v13, v1, s7
	v_mul_lo_u32 v1, v1, s6
	v_lshrrev_b32_e32 v11, s20, v11
	v_add3_u32 v1, v5, v24, v1
	v_add3_u32 v9, v9, v26, v13
	v_mul_lo_u32 v5, v11, s18
	v_mul_hi_u32 v13, s22, v11
	v_sub_u32_e32 v5, v7, v5
	v_add_u32_e32 v7, v11, v13
	v_mul_lo_u32 v13, v5, s8
	v_mul_lo_u32 v15, v5, s9
	v_lshrrev_b32_e32 v5, s23, v7
	s_add_i32 s28, s28, 4
	v_mul_lo_u32 v7, v5, s21
	s_add_u32 s2, s2, 32
	v_sub_u32_e32 v7, v11, v7
	s_addc_u32 s3, s3, 0
	v_mul_lo_u32 v11, v7, s10
	v_mul_lo_u32 v7, v7, s11
	s_cmp_lg_u32 s26, s28
	v_add3_u32 v26, v15, v9, v7
	v_add3_u32 v24, v13, v1, v11
	s_cbranch_scc1 .LBB5_106
; %bb.107:
	v_mov_b32_e32 v1, v26
	s_and_b32 s6, s27, 3
	s_cmp_eq_u32 s6, 0
	s_cbranch_scc0 .LBB5_111
	s_branch .LBB5_113
.LBB5_108:
                                        ; implicit-def: $vgpr26
                                        ; implicit-def: $vgpr24
	s_branch .LBB5_114
.LBB5_109:
	v_mov_b32_e32 v26, 0
	v_mov_b32_e32 v24, 0
	s_branch .LBB5_113
.LBB5_110:
	v_mov_b32_e32 v24, 0
                                        ; implicit-def: $vgpr26
	v_mov_b32_e32 v1, v24
	v_mov_b32_e32 v5, v3
	s_and_b32 s6, s27, 3
	s_cmp_eq_u32 s6, 0
	s_cbranch_scc1 .LBB5_113
.LBB5_111:
	s_lshl_b32 s2, s26, 3
	s_add_u32 s2, s34, s2
	s_addc_u32 s3, s35, 0
	s_add_u32 s2, s2, 0xc4
	s_addc_u32 s3, s3, 0
	s_mul_i32 s4, s26, 12
	s_add_u32 s4, s34, s4
	s_addc_u32 s5, s35, 0
.LBB5_112:                              ; =>This Inner Loop Header: Depth=1
	s_load_dwordx2 s[8:9], s[4:5], 0x4
	s_load_dword s7, s[4:5], 0xc
	s_load_dwordx2 s[10:11], s[2:3], 0x0
	v_mov_b32_e32 v26, v1
	s_add_u32 s4, s4, 12
	s_waitcnt lgkmcnt(0)
	v_mul_hi_u32 v1, s9, v5
	v_add_u32_e32 v1, v5, v1
	v_lshrrev_b32_e32 v1, s7, v1
	s_addc_u32 s5, s5, 0
	v_mul_lo_u32 v7, v1, s8
	s_add_u32 s2, s2, 8
	v_sub_u32_e32 v7, v5, v7
	s_addc_u32 s3, s3, 0
	s_add_i32 s6, s6, -1
	v_mad_u64_u32 v[26:27], s[8:9], v7, s11, v[26:27]
	s_cmp_lg_u32 s6, 0
	v_mov_b32_e32 v5, v1
	v_mad_u64_u32 v[24:25], s[8:9], v7, s10, v[24:25]
	v_mov_b32_e32 v1, v26
	s_cbranch_scc1 .LBB5_112
.LBB5_113:
	s_cbranch_execnz .LBB5_116
.LBB5_114:
	s_load_dwordx4 s[4:7], s[34:35], 0x4
	s_load_dwordx2 s[2:3], s[34:35], 0xc4
	s_cmp_lt_u32 s33, 2
	s_waitcnt lgkmcnt(0)
	v_mul_hi_u32 v1, s5, v3
	v_add_u32_e32 v1, v3, v1
	v_lshrrev_b32_e32 v1, s6, v1
	v_mul_lo_u32 v5, v1, s4
	v_sub_u32_e32 v3, v3, v5
	v_mul_lo_u32 v26, v3, s3
	v_mul_lo_u32 v24, v3, s2
	s_cbranch_scc1 .LBB5_116
; %bb.115:
	s_load_dwordx4 s[4:7], s[34:35], 0x10
	s_load_dwordx2 s[2:3], s[34:35], 0xcc
	s_waitcnt lgkmcnt(0)
	v_mul_hi_u32 v3, s5, v1
	v_add_u32_e32 v3, v1, v3
	v_lshrrev_b32_e32 v3, s6, v3
	v_mul_lo_u32 v3, v3, s4
	v_sub_u32_e32 v1, v1, v3
	v_mad_u64_u32 v[24:25], s[4:5], v1, s2, v[24:25]
	v_mad_u64_u32 v[26:27], s[2:3], v1, s3, v[26:27]
.LBB5_116:
	s_and_b64 vcc, exec, s[0:1]
	s_cbranch_vccnz .LBB5_122
; %bb.117:
	s_cmp_lg_u32 s33, 0
	s_waitcnt lgkmcnt(0)
	s_mov_b32 s24, 0
	s_cbranch_scc0 .LBB5_123
; %bb.118:
	s_min_u32 s25, s54, 15
	s_add_i32 s25, s25, 1
	s_cmp_eq_u32 s54, 2
	s_cbranch_scc1 .LBB5_124
; %bb.119:
	s_and_b32 s24, s25, 28
	s_add_u32 s20, s34, 0xc4
	s_addc_u32 s21, s35, 0
	s_mov_b32 s26, 0
	v_mov_b32_e32 v28, 0
	v_mov_b32_e32 v30, 0
	s_mov_b64 s[22:23], s[34:35]
	v_mov_b32_e32 v3, v32
.LBB5_120:                              ; =>This Inner Loop Header: Depth=1
	s_load_dwordx8 s[8:15], s[22:23], 0x4
	s_load_dwordx4 s[16:19], s[22:23], 0x24
	s_load_dwordx8 s[0:7], s[20:21], 0x0
	s_add_u32 s22, s22, 48
	s_addc_u32 s23, s23, 0
	s_waitcnt lgkmcnt(0)
	v_mul_hi_u32 v1, s9, v3
	v_add_u32_e32 v1, v3, v1
	v_lshrrev_b32_e32 v1, s10, v1
	v_mul_lo_u32 v5, v1, s8
	v_mul_hi_u32 v7, s12, v1
	v_sub_u32_e32 v3, v3, v5
	v_add_u32_e32 v5, v1, v7
	v_lshrrev_b32_e32 v5, s13, v5
	v_mul_lo_u32 v9, v5, s11
	v_mul_hi_u32 v11, s15, v5
	v_sub_u32_e32 v1, v1, v9
	v_add_u32_e32 v9, v5, v11
	v_mul_lo_u32 v7, v3, s1
	v_mul_lo_u32 v3, v3, s0
	;; [unrolled: 1-line block ×4, first 2 shown]
	v_lshrrev_b32_e32 v9, s16, v9
	v_add3_u32 v1, v3, v28, v1
	v_add3_u32 v7, v7, v30, v11
	v_mul_lo_u32 v3, v9, s14
	v_mul_hi_u32 v11, s18, v9
	v_sub_u32_e32 v3, v5, v3
	v_add_u32_e32 v5, v9, v11
	v_mul_lo_u32 v11, v3, s4
	v_mul_lo_u32 v13, v3, s5
	v_lshrrev_b32_e32 v3, s19, v5
	s_add_i32 s26, s26, 4
	v_mul_lo_u32 v5, v3, s17
	s_add_u32 s20, s20, 32
	v_sub_u32_e32 v5, v9, v5
	s_addc_u32 s21, s21, 0
	v_mul_lo_u32 v9, v5, s6
	v_mul_lo_u32 v5, v5, s7
	s_cmp_lg_u32 s24, s26
	v_add3_u32 v30, v13, v7, v5
	v_add3_u32 v28, v11, v1, v9
	s_cbranch_scc1 .LBB5_120
; %bb.121:
	v_mov_b32_e32 v1, v30
	s_and_b32 s4, s25, 3
	s_cmp_eq_u32 s4, 0
	s_cbranch_scc0 .LBB5_125
	s_branch .LBB5_127
.LBB5_122:
                                        ; implicit-def: $vgpr30
                                        ; implicit-def: $vgpr28
	s_branch .LBB5_128
.LBB5_123:
	v_mov_b32_e32 v30, 0
	v_mov_b32_e32 v28, 0
	s_branch .LBB5_127
.LBB5_124:
	v_mov_b32_e32 v28, 0
                                        ; implicit-def: $vgpr30
	v_mov_b32_e32 v1, v28
	v_mov_b32_e32 v3, v32
	s_and_b32 s4, s25, 3
	s_cmp_eq_u32 s4, 0
	s_cbranch_scc1 .LBB5_127
.LBB5_125:
	s_lshl_b32 s0, s24, 3
	s_add_u32 s0, s34, s0
	s_addc_u32 s1, s35, 0
	s_add_u32 s0, s0, 0xc4
	s_addc_u32 s1, s1, 0
	s_mul_i32 s2, s24, 12
	s_add_u32 s2, s34, s2
	s_addc_u32 s3, s35, 0
.LBB5_126:                              ; =>This Inner Loop Header: Depth=1
	s_load_dwordx2 s[6:7], s[2:3], 0x4
	s_load_dword s5, s[2:3], 0xc
	s_load_dwordx2 s[8:9], s[0:1], 0x0
	v_mov_b32_e32 v30, v1
	s_add_u32 s2, s2, 12
	s_waitcnt lgkmcnt(0)
	v_mul_hi_u32 v1, s7, v3
	v_add_u32_e32 v1, v3, v1
	v_lshrrev_b32_e32 v1, s5, v1
	s_addc_u32 s3, s3, 0
	v_mul_lo_u32 v5, v1, s6
	s_add_u32 s0, s0, 8
	v_sub_u32_e32 v5, v3, v5
	s_addc_u32 s1, s1, 0
	s_add_i32 s4, s4, -1
	v_mad_u64_u32 v[30:31], s[6:7], v5, s9, v[30:31]
	s_cmp_lg_u32 s4, 0
	v_mov_b32_e32 v3, v1
	v_mad_u64_u32 v[28:29], s[6:7], v5, s8, v[28:29]
	v_mov_b32_e32 v1, v30
	s_cbranch_scc1 .LBB5_126
.LBB5_127:
	s_cbranch_execnz .LBB5_130
.LBB5_128:
	s_load_dwordx4 s[0:3], s[34:35], 0x4
	s_load_dwordx2 s[4:5], s[34:35], 0xc4
	s_cmp_lt_u32 s33, 2
	s_waitcnt lgkmcnt(0)
	v_mul_hi_u32 v1, s1, v32
	v_add_u32_e32 v1, v32, v1
	v_lshrrev_b32_e32 v1, s2, v1
	v_mul_lo_u32 v3, v1, s0
	v_sub_u32_e32 v3, v32, v3
	v_mul_lo_u32 v30, v3, s5
	v_mul_lo_u32 v28, v3, s4
	s_cbranch_scc1 .LBB5_130
; %bb.129:
	s_load_dwordx4 s[0:3], s[34:35], 0x10
	s_load_dwordx2 s[4:5], s[34:35], 0xcc
	s_waitcnt lgkmcnt(0)
	v_mul_hi_u32 v3, s1, v1
	v_add_u32_e32 v3, v1, v3
	v_lshrrev_b32_e32 v3, s2, v3
	v_mul_lo_u32 v3, v3, s0
	v_sub_u32_e32 v1, v1, v3
	v_mad_u64_u32 v[28:29], s[0:1], v1, s4, v[28:29]
	v_mad_u64_u32 v[30:31], s[0:1], v1, s5, v[30:31]
.LBB5_130:
	s_load_dwordx4 s[0:3], s[34:35], 0x148
	s_waitcnt lgkmcnt(0)
	global_load_ubyte v1, v2, s[2:3]
	global_load_ubyte v3, v6, s[2:3]
	;; [unrolled: 1-line block ×8, first 2 shown]
	s_waitcnt vmcnt(7)
	v_cmp_eq_u16_e32 vcc, 0, v1
	s_nop 1
	v_cndmask_b32_e64 v1, 0, 1, vcc
	s_waitcnt vmcnt(6)
	v_cmp_eq_u16_e32 vcc, 0, v3
	s_nop 1
	v_cndmask_b32_e64 v2, 0, 1, vcc
	;; [unrolled: 4-line block ×8, first 2 shown]
	global_store_byte v0, v1, s[0:1]
	global_store_byte v4, v2, s[0:1]
	;; [unrolled: 1-line block ×8, first 2 shown]
	s_endpgm
.LBB5_131:
	v_mov_b32_e32 v2, 0
	v_mov_b32_e32 v0, 0
	s_branch .LBB5_137
.LBB5_132:
	v_mov_b32_e32 v2, 0
	v_mov_b32_e32 v0, 0
	s_branch .LBB5_154
.LBB5_133:
	v_mov_b32_e32 v0, 0
	s_mov_b32 s57, 0
	v_mov_b32_e32 v1, v0
                                        ; implicit-def: $vgpr2
	v_mov_b32_e32 v4, v24
.LBB5_134:
	s_and_b32 s4, s58, 3
	s_cmp_eq_u32 s4, 0
	s_cbranch_scc1 .LBB5_137
; %bb.135:
	s_lshl_b32 s0, s57, 3
	s_add_u32 s0, s34, s0
	s_addc_u32 s1, s35, 0
	s_add_u32 s0, s0, 0xc4
	s_addc_u32 s1, s1, 0
	s_mul_i32 s2, s57, 12
	s_add_u32 s2, s34, s2
	s_addc_u32 s3, s35, 0
.LBB5_136:                              ; =>This Inner Loop Header: Depth=1
	s_load_dwordx2 s[6:7], s[2:3], 0x4
	s_load_dword s5, s[2:3], 0xc
	s_load_dwordx2 s[8:9], s[0:1], 0x0
	v_mov_b32_e32 v2, v1
	s_add_u32 s2, s2, 12
	s_waitcnt lgkmcnt(0)
	v_mul_hi_u32 v1, s7, v4
	v_add_u32_e32 v1, v4, v1
	v_lshrrev_b32_e32 v1, s5, v1
	s_addc_u32 s3, s3, 0
	v_mul_lo_u32 v3, v1, s6
	s_add_u32 s0, s0, 8
	v_sub_u32_e32 v5, v4, v3
	s_addc_u32 s1, s1, 0
	s_add_i32 s4, s4, -1
	v_mov_b32_e32 v4, v1
	v_mad_u64_u32 v[2:3], s[6:7], v5, s9, v[2:3]
	v_mad_u64_u32 v[0:1], s[6:7], v5, s8, v[0:1]
	s_cmp_lg_u32 s4, 0
	v_mov_b32_e32 v1, v2
	s_cbranch_scc1 .LBB5_136
.LBB5_137:
	s_cbranch_execnz .LBB5_140
.LBB5_138:
	s_waitcnt lgkmcnt(0)
	v_mul_hi_u32 v0, s25, v24
	v_add_u32_e32 v0, v24, v0
	v_lshrrev_b32_e32 v1, s26, v0
	v_mul_lo_u32 v0, v1, s24
	v_sub_u32_e32 v0, v24, v0
	v_mul_lo_u32 v2, v0, s21
	s_andn2_b64 vcc, exec, s[42:43]
	v_mul_lo_u32 v0, v0, s20
	s_cbranch_vccnz .LBB5_140
; %bb.139:
	v_mul_hi_u32 v3, s40, v1
	v_add_u32_e32 v3, v1, v3
	v_lshrrev_b32_e32 v3, s41, v3
	v_mul_lo_u32 v3, v3, s27
	v_sub_u32_e32 v3, v1, v3
	v_mad_u64_u32 v[0:1], s[0:1], v3, s22, v[0:1]
	v_mad_u64_u32 v[2:3], s[0:1], v3, s23, v[2:3]
.LBB5_140:
	s_waitcnt lgkmcnt(0)
	global_load_ubyte v1, v2, s[18:19]
	v_add_u32_e32 v24, 0x80, v24
	s_waitcnt vmcnt(0)
	v_cmp_eq_u16_e32 vcc, 0, v1
	s_nop 1
	v_cndmask_b32_e64 v1, 0, 1, vcc
	global_store_byte v0, v1, s[16:17]
	s_or_b64 exec, exec, s[48:49]
	v_cmp_gt_i32_e32 vcc, s55, v24
	s_and_saveexec_b64 s[48:49], vcc
	s_cbranch_execnz .LBB5_16
.LBB5_141:
	s_or_b64 exec, exec, s[48:49]
	v_cmp_gt_i32_e32 vcc, s55, v24
	s_and_saveexec_b64 s[48:49], vcc
	s_cbranch_execz .LBB5_158
.LBB5_142:
	s_andn2_b64 vcc, exec, s[36:37]
	s_cbranch_vccnz .LBB5_148
; %bb.143:
	s_andn2_b64 vcc, exec, s[46:47]
	s_cbranch_vccnz .LBB5_149
; %bb.144:
	s_add_i32 s58, s56, 1
	s_cmp_eq_u32 s54, 2
	s_cbranch_scc1 .LBB5_167
; %bb.145:
	s_and_b32 s57, s58, 28
	s_mov_b32 s59, 0
	v_mov_b32_e32 v0, 0
	v_mov_b32_e32 v2, 0
	s_mov_b64 s[50:51], s[34:35]
	s_mov_b64 s[52:53], s[44:45]
	v_mov_b32_e32 v4, v24
.LBB5_146:                              ; =>This Inner Loop Header: Depth=1
	s_load_dwordx8 s[8:15], s[50:51], 0x4
	s_load_dwordx4 s[28:31], s[50:51], 0x24
	s_load_dwordx8 s[0:7], s[52:53], 0x0
	s_add_u32 s50, s50, 48
	s_addc_u32 s51, s51, 0
	s_waitcnt lgkmcnt(0)
	v_mul_hi_u32 v1, s9, v4
	v_add_u32_e32 v1, v4, v1
	v_lshrrev_b32_e32 v1, s10, v1
	v_mul_lo_u32 v3, v1, s8
	v_mul_hi_u32 v5, s12, v1
	v_sub_u32_e32 v3, v4, v3
	v_add_u32_e32 v4, v1, v5
	v_lshrrev_b32_e32 v4, s13, v4
	v_mul_lo_u32 v6, v4, s11
	v_mul_hi_u32 v7, s15, v4
	v_sub_u32_e32 v1, v1, v6
	v_add_u32_e32 v6, v4, v7
	v_mul_lo_u32 v5, v3, s1
	v_mul_lo_u32 v3, v3, s0
	v_mul_lo_u32 v7, v1, s3
	v_mul_lo_u32 v1, v1, s2
	v_lshrrev_b32_e32 v6, s28, v6
	v_add3_u32 v0, v3, v0, v1
	v_mul_hi_u32 v3, s30, v6
	v_add3_u32 v1, v5, v2, v7
	v_mul_lo_u32 v2, v6, s14
	v_add_u32_e32 v3, v6, v3
	v_sub_u32_e32 v2, v4, v2
	v_lshrrev_b32_e32 v4, s31, v3
	s_add_i32 s59, s59, 4
	v_mul_lo_u32 v3, v4, s29
	s_add_u32 s52, s52, 32
	v_sub_u32_e32 v3, v6, v3
	s_addc_u32 s53, s53, 0
	v_mul_lo_u32 v5, v2, s4
	v_mul_lo_u32 v2, v2, s5
	;; [unrolled: 1-line block ×4, first 2 shown]
	s_cmp_eq_u32 s57, s59
	v_add3_u32 v2, v2, v1, v3
	v_add3_u32 v0, v5, v0, v6
	s_cbranch_scc0 .LBB5_146
; %bb.147:
	v_mov_b32_e32 v1, v2
	s_branch .LBB5_168
.LBB5_148:
                                        ; implicit-def: $vgpr2
                                        ; implicit-def: $vgpr0
	s_branch .LBB5_172
.LBB5_149:
	v_mov_b32_e32 v2, 0
	v_mov_b32_e32 v0, 0
	s_branch .LBB5_171
.LBB5_150:
	v_mov_b32_e32 v0, 0
	s_mov_b32 s57, 0
	v_mov_b32_e32 v1, v0
                                        ; implicit-def: $vgpr2
	v_mov_b32_e32 v4, v24
.LBB5_151:
	s_and_b32 s4, s58, 3
	s_cmp_eq_u32 s4, 0
	s_cbranch_scc1 .LBB5_154
; %bb.152:
	s_lshl_b32 s0, s57, 3
	s_add_u32 s0, s34, s0
	s_addc_u32 s1, s35, 0
	s_add_u32 s0, s0, 0xc4
	s_addc_u32 s1, s1, 0
	s_mul_i32 s2, s57, 12
	s_add_u32 s2, s34, s2
	s_addc_u32 s3, s35, 0
.LBB5_153:                              ; =>This Inner Loop Header: Depth=1
	s_load_dwordx2 s[6:7], s[2:3], 0x4
	s_load_dword s5, s[2:3], 0xc
	s_load_dwordx2 s[8:9], s[0:1], 0x0
	v_mov_b32_e32 v2, v1
	s_add_u32 s2, s2, 12
	s_waitcnt lgkmcnt(0)
	v_mul_hi_u32 v1, s7, v4
	v_add_u32_e32 v1, v4, v1
	v_lshrrev_b32_e32 v1, s5, v1
	s_addc_u32 s3, s3, 0
	v_mul_lo_u32 v3, v1, s6
	s_add_u32 s0, s0, 8
	v_sub_u32_e32 v5, v4, v3
	s_addc_u32 s1, s1, 0
	s_add_i32 s4, s4, -1
	v_mov_b32_e32 v4, v1
	v_mad_u64_u32 v[2:3], s[6:7], v5, s9, v[2:3]
	v_mad_u64_u32 v[0:1], s[6:7], v5, s8, v[0:1]
	s_cmp_lg_u32 s4, 0
	v_mov_b32_e32 v1, v2
	s_cbranch_scc1 .LBB5_153
.LBB5_154:
	s_cbranch_execnz .LBB5_157
.LBB5_155:
	s_waitcnt lgkmcnt(0)
	v_mul_hi_u32 v0, s25, v24
	v_add_u32_e32 v0, v24, v0
	v_lshrrev_b32_e32 v1, s26, v0
	v_mul_lo_u32 v0, v1, s24
	v_sub_u32_e32 v0, v24, v0
	v_mul_lo_u32 v2, v0, s21
	s_andn2_b64 vcc, exec, s[42:43]
	v_mul_lo_u32 v0, v0, s20
	s_cbranch_vccnz .LBB5_157
; %bb.156:
	v_mul_hi_u32 v3, s40, v1
	v_add_u32_e32 v3, v1, v3
	v_lshrrev_b32_e32 v3, s41, v3
	v_mul_lo_u32 v3, v3, s27
	v_sub_u32_e32 v3, v1, v3
	v_mad_u64_u32 v[0:1], s[0:1], v3, s22, v[0:1]
	v_mad_u64_u32 v[2:3], s[0:1], v3, s23, v[2:3]
.LBB5_157:
	s_waitcnt lgkmcnt(0)
	global_load_ubyte v1, v2, s[18:19]
	v_add_u32_e32 v24, 0x80, v24
	s_waitcnt vmcnt(0)
	v_cmp_eq_u16_e32 vcc, 0, v1
	s_nop 1
	v_cndmask_b32_e64 v1, 0, 1, vcc
	global_store_byte v0, v1, s[16:17]
	s_or_b64 exec, exec, s[48:49]
	v_cmp_gt_i32_e32 vcc, s55, v24
	s_and_saveexec_b64 s[48:49], vcc
	s_cbranch_execnz .LBB5_142
.LBB5_158:
	s_or_b64 exec, exec, s[48:49]
	v_cmp_gt_i32_e32 vcc, s55, v24
	s_and_saveexec_b64 s[48:49], vcc
	s_cbranch_execz .LBB5_175
.LBB5_159:
	s_andn2_b64 vcc, exec, s[36:37]
	s_cbranch_vccnz .LBB5_165
; %bb.160:
	s_andn2_b64 vcc, exec, s[46:47]
	s_cbranch_vccnz .LBB5_166
; %bb.161:
	s_add_i32 s58, s56, 1
	s_cmp_eq_u32 s54, 2
	s_cbranch_scc1 .LBB5_184
; %bb.162:
	s_and_b32 s57, s58, 28
	s_mov_b32 s59, 0
	v_mov_b32_e32 v0, 0
	v_mov_b32_e32 v2, 0
	s_mov_b64 s[50:51], s[34:35]
	s_mov_b64 s[52:53], s[44:45]
	v_mov_b32_e32 v4, v24
.LBB5_163:                              ; =>This Inner Loop Header: Depth=1
	s_load_dwordx8 s[8:15], s[50:51], 0x4
	s_load_dwordx4 s[28:31], s[50:51], 0x24
	s_load_dwordx8 s[0:7], s[52:53], 0x0
	s_add_u32 s50, s50, 48
	s_addc_u32 s51, s51, 0
	s_waitcnt lgkmcnt(0)
	v_mul_hi_u32 v1, s9, v4
	v_add_u32_e32 v1, v4, v1
	v_lshrrev_b32_e32 v1, s10, v1
	v_mul_lo_u32 v3, v1, s8
	v_mul_hi_u32 v5, s12, v1
	v_sub_u32_e32 v3, v4, v3
	v_add_u32_e32 v4, v1, v5
	v_lshrrev_b32_e32 v4, s13, v4
	v_mul_lo_u32 v6, v4, s11
	v_mul_hi_u32 v7, s15, v4
	v_sub_u32_e32 v1, v1, v6
	v_add_u32_e32 v6, v4, v7
	v_mul_lo_u32 v5, v3, s1
	v_mul_lo_u32 v3, v3, s0
	;; [unrolled: 1-line block ×4, first 2 shown]
	v_lshrrev_b32_e32 v6, s28, v6
	v_add3_u32 v0, v3, v0, v1
	v_mul_hi_u32 v3, s30, v6
	v_add3_u32 v1, v5, v2, v7
	v_mul_lo_u32 v2, v6, s14
	v_add_u32_e32 v3, v6, v3
	v_sub_u32_e32 v2, v4, v2
	v_lshrrev_b32_e32 v4, s31, v3
	s_add_i32 s59, s59, 4
	v_mul_lo_u32 v3, v4, s29
	s_add_u32 s52, s52, 32
	v_sub_u32_e32 v3, v6, v3
	s_addc_u32 s53, s53, 0
	v_mul_lo_u32 v5, v2, s4
	v_mul_lo_u32 v2, v2, s5
	;; [unrolled: 1-line block ×4, first 2 shown]
	s_cmp_eq_u32 s57, s59
	v_add3_u32 v2, v2, v1, v3
	v_add3_u32 v0, v5, v0, v6
	s_cbranch_scc0 .LBB5_163
; %bb.164:
	v_mov_b32_e32 v1, v2
	s_branch .LBB5_185
.LBB5_165:
                                        ; implicit-def: $vgpr2
                                        ; implicit-def: $vgpr0
	s_branch .LBB5_189
.LBB5_166:
	v_mov_b32_e32 v2, 0
	v_mov_b32_e32 v0, 0
	s_branch .LBB5_188
.LBB5_167:
	v_mov_b32_e32 v0, 0
	s_mov_b32 s57, 0
	v_mov_b32_e32 v1, v0
                                        ; implicit-def: $vgpr2
	v_mov_b32_e32 v4, v24
.LBB5_168:
	s_and_b32 s4, s58, 3
	s_cmp_eq_u32 s4, 0
	s_cbranch_scc1 .LBB5_171
; %bb.169:
	s_lshl_b32 s0, s57, 3
	s_add_u32 s0, s34, s0
	s_addc_u32 s1, s35, 0
	s_add_u32 s0, s0, 0xc4
	s_addc_u32 s1, s1, 0
	s_mul_i32 s2, s57, 12
	s_add_u32 s2, s34, s2
	s_addc_u32 s3, s35, 0
.LBB5_170:                              ; =>This Inner Loop Header: Depth=1
	s_load_dwordx2 s[6:7], s[2:3], 0x4
	s_load_dword s5, s[2:3], 0xc
	s_load_dwordx2 s[8:9], s[0:1], 0x0
	v_mov_b32_e32 v2, v1
	s_add_u32 s2, s2, 12
	s_waitcnt lgkmcnt(0)
	v_mul_hi_u32 v1, s7, v4
	v_add_u32_e32 v1, v4, v1
	v_lshrrev_b32_e32 v1, s5, v1
	s_addc_u32 s3, s3, 0
	v_mul_lo_u32 v3, v1, s6
	s_add_u32 s0, s0, 8
	v_sub_u32_e32 v5, v4, v3
	s_addc_u32 s1, s1, 0
	s_add_i32 s4, s4, -1
	v_mov_b32_e32 v4, v1
	v_mad_u64_u32 v[2:3], s[6:7], v5, s9, v[2:3]
	v_mad_u64_u32 v[0:1], s[6:7], v5, s8, v[0:1]
	s_cmp_lg_u32 s4, 0
	v_mov_b32_e32 v1, v2
	s_cbranch_scc1 .LBB5_170
.LBB5_171:
	s_cbranch_execnz .LBB5_174
.LBB5_172:
	s_waitcnt lgkmcnt(0)
	v_mul_hi_u32 v0, s25, v24
	v_add_u32_e32 v0, v24, v0
	v_lshrrev_b32_e32 v1, s26, v0
	v_mul_lo_u32 v0, v1, s24
	v_sub_u32_e32 v0, v24, v0
	v_mul_lo_u32 v2, v0, s21
	s_andn2_b64 vcc, exec, s[42:43]
	v_mul_lo_u32 v0, v0, s20
	s_cbranch_vccnz .LBB5_174
; %bb.173:
	v_mul_hi_u32 v3, s40, v1
	v_add_u32_e32 v3, v1, v3
	v_lshrrev_b32_e32 v3, s41, v3
	v_mul_lo_u32 v3, v3, s27
	v_sub_u32_e32 v3, v1, v3
	v_mad_u64_u32 v[0:1], s[0:1], v3, s22, v[0:1]
	v_mad_u64_u32 v[2:3], s[0:1], v3, s23, v[2:3]
.LBB5_174:
	s_waitcnt lgkmcnt(0)
	global_load_ubyte v1, v2, s[18:19]
	v_add_u32_e32 v24, 0x80, v24
	s_waitcnt vmcnt(0)
	v_cmp_eq_u16_e32 vcc, 0, v1
	s_nop 1
	v_cndmask_b32_e64 v1, 0, 1, vcc
	global_store_byte v0, v1, s[16:17]
	s_or_b64 exec, exec, s[48:49]
	v_cmp_gt_i32_e32 vcc, s55, v24
	s_and_saveexec_b64 s[48:49], vcc
	s_cbranch_execnz .LBB5_159
.LBB5_175:
	s_or_b64 exec, exec, s[48:49]
	v_cmp_gt_i32_e32 vcc, s55, v24
	s_and_saveexec_b64 s[48:49], vcc
	s_cbranch_execz .LBB5_192
.LBB5_176:
	s_andn2_b64 vcc, exec, s[36:37]
	s_cbranch_vccnz .LBB5_182
; %bb.177:
	s_andn2_b64 vcc, exec, s[46:47]
	s_cbranch_vccnz .LBB5_183
; %bb.178:
	s_add_i32 s58, s56, 1
	s_cmp_eq_u32 s54, 2
	s_cbranch_scc1 .LBB5_201
; %bb.179:
	s_and_b32 s57, s58, 28
	s_mov_b32 s59, 0
	v_mov_b32_e32 v0, 0
	v_mov_b32_e32 v2, 0
	s_mov_b64 s[50:51], s[34:35]
	s_mov_b64 s[52:53], s[44:45]
	v_mov_b32_e32 v4, v24
.LBB5_180:                              ; =>This Inner Loop Header: Depth=1
	s_load_dwordx8 s[8:15], s[50:51], 0x4
	s_load_dwordx4 s[28:31], s[50:51], 0x24
	s_load_dwordx8 s[0:7], s[52:53], 0x0
	s_add_u32 s50, s50, 48
	s_addc_u32 s51, s51, 0
	s_waitcnt lgkmcnt(0)
	v_mul_hi_u32 v1, s9, v4
	v_add_u32_e32 v1, v4, v1
	v_lshrrev_b32_e32 v1, s10, v1
	v_mul_lo_u32 v3, v1, s8
	v_mul_hi_u32 v5, s12, v1
	v_sub_u32_e32 v3, v4, v3
	v_add_u32_e32 v4, v1, v5
	v_lshrrev_b32_e32 v4, s13, v4
	v_mul_lo_u32 v6, v4, s11
	v_mul_hi_u32 v7, s15, v4
	v_sub_u32_e32 v1, v1, v6
	v_add_u32_e32 v6, v4, v7
	v_mul_lo_u32 v5, v3, s1
	v_mul_lo_u32 v3, v3, s0
	;; [unrolled: 1-line block ×4, first 2 shown]
	v_lshrrev_b32_e32 v6, s28, v6
	v_add3_u32 v0, v3, v0, v1
	v_mul_hi_u32 v3, s30, v6
	v_add3_u32 v1, v5, v2, v7
	v_mul_lo_u32 v2, v6, s14
	v_add_u32_e32 v3, v6, v3
	v_sub_u32_e32 v2, v4, v2
	v_lshrrev_b32_e32 v4, s31, v3
	s_add_i32 s59, s59, 4
	v_mul_lo_u32 v3, v4, s29
	s_add_u32 s52, s52, 32
	v_sub_u32_e32 v3, v6, v3
	s_addc_u32 s53, s53, 0
	v_mul_lo_u32 v5, v2, s4
	v_mul_lo_u32 v2, v2, s5
	;; [unrolled: 1-line block ×4, first 2 shown]
	s_cmp_eq_u32 s57, s59
	v_add3_u32 v2, v2, v1, v3
	v_add3_u32 v0, v5, v0, v6
	s_cbranch_scc0 .LBB5_180
; %bb.181:
	v_mov_b32_e32 v1, v2
	s_branch .LBB5_202
.LBB5_182:
                                        ; implicit-def: $vgpr2
                                        ; implicit-def: $vgpr0
	s_branch .LBB5_206
.LBB5_183:
	v_mov_b32_e32 v2, 0
	v_mov_b32_e32 v0, 0
	s_branch .LBB5_205
.LBB5_184:
	v_mov_b32_e32 v0, 0
	s_mov_b32 s57, 0
	v_mov_b32_e32 v1, v0
                                        ; implicit-def: $vgpr2
	v_mov_b32_e32 v4, v24
.LBB5_185:
	s_and_b32 s4, s58, 3
	s_cmp_eq_u32 s4, 0
	s_cbranch_scc1 .LBB5_188
; %bb.186:
	s_lshl_b32 s0, s57, 3
	s_add_u32 s0, s34, s0
	s_addc_u32 s1, s35, 0
	s_add_u32 s0, s0, 0xc4
	s_addc_u32 s1, s1, 0
	s_mul_i32 s2, s57, 12
	s_add_u32 s2, s34, s2
	s_addc_u32 s3, s35, 0
.LBB5_187:                              ; =>This Inner Loop Header: Depth=1
	s_load_dwordx2 s[6:7], s[2:3], 0x4
	s_load_dword s5, s[2:3], 0xc
	s_load_dwordx2 s[8:9], s[0:1], 0x0
	v_mov_b32_e32 v2, v1
	s_add_u32 s2, s2, 12
	s_waitcnt lgkmcnt(0)
	v_mul_hi_u32 v1, s7, v4
	v_add_u32_e32 v1, v4, v1
	v_lshrrev_b32_e32 v1, s5, v1
	s_addc_u32 s3, s3, 0
	v_mul_lo_u32 v3, v1, s6
	s_add_u32 s0, s0, 8
	v_sub_u32_e32 v5, v4, v3
	s_addc_u32 s1, s1, 0
	s_add_i32 s4, s4, -1
	v_mov_b32_e32 v4, v1
	v_mad_u64_u32 v[2:3], s[6:7], v5, s9, v[2:3]
	v_mad_u64_u32 v[0:1], s[6:7], v5, s8, v[0:1]
	s_cmp_lg_u32 s4, 0
	v_mov_b32_e32 v1, v2
	s_cbranch_scc1 .LBB5_187
.LBB5_188:
	s_cbranch_execnz .LBB5_191
.LBB5_189:
	s_waitcnt lgkmcnt(0)
	v_mul_hi_u32 v0, s25, v24
	v_add_u32_e32 v0, v24, v0
	v_lshrrev_b32_e32 v1, s26, v0
	v_mul_lo_u32 v0, v1, s24
	v_sub_u32_e32 v0, v24, v0
	v_mul_lo_u32 v2, v0, s21
	s_andn2_b64 vcc, exec, s[42:43]
	v_mul_lo_u32 v0, v0, s20
	s_cbranch_vccnz .LBB5_191
; %bb.190:
	v_mul_hi_u32 v3, s40, v1
	v_add_u32_e32 v3, v1, v3
	v_lshrrev_b32_e32 v3, s41, v3
	v_mul_lo_u32 v3, v3, s27
	v_sub_u32_e32 v3, v1, v3
	v_mad_u64_u32 v[0:1], s[0:1], v3, s22, v[0:1]
	v_mad_u64_u32 v[2:3], s[0:1], v3, s23, v[2:3]
.LBB5_191:
	s_waitcnt lgkmcnt(0)
	global_load_ubyte v1, v2, s[18:19]
	v_add_u32_e32 v24, 0x80, v24
	s_waitcnt vmcnt(0)
	v_cmp_eq_u16_e32 vcc, 0, v1
	s_nop 1
	v_cndmask_b32_e64 v1, 0, 1, vcc
	global_store_byte v0, v1, s[16:17]
	s_or_b64 exec, exec, s[48:49]
	v_cmp_gt_i32_e32 vcc, s55, v24
	s_and_saveexec_b64 s[48:49], vcc
	s_cbranch_execnz .LBB5_176
.LBB5_192:
	s_or_b64 exec, exec, s[48:49]
	v_cmp_gt_i32_e32 vcc, s55, v24
	s_and_saveexec_b64 s[48:49], vcc
	s_cbranch_execz .LBB5_209
.LBB5_193:
	s_andn2_b64 vcc, exec, s[36:37]
	s_cbranch_vccnz .LBB5_199
; %bb.194:
	s_andn2_b64 vcc, exec, s[46:47]
	s_cbranch_vccnz .LBB5_200
; %bb.195:
	s_add_i32 s58, s56, 1
	s_cmp_eq_u32 s54, 2
	s_cbranch_scc1 .LBB5_218
; %bb.196:
	s_and_b32 s57, s58, 28
	s_mov_b32 s59, 0
	v_mov_b32_e32 v0, 0
	v_mov_b32_e32 v2, 0
	s_mov_b64 s[50:51], s[34:35]
	s_mov_b64 s[52:53], s[44:45]
	v_mov_b32_e32 v4, v24
.LBB5_197:                              ; =>This Inner Loop Header: Depth=1
	s_load_dwordx8 s[8:15], s[50:51], 0x4
	s_load_dwordx4 s[28:31], s[50:51], 0x24
	s_load_dwordx8 s[0:7], s[52:53], 0x0
	s_add_u32 s50, s50, 48
	s_addc_u32 s51, s51, 0
	s_waitcnt lgkmcnt(0)
	v_mul_hi_u32 v1, s9, v4
	v_add_u32_e32 v1, v4, v1
	v_lshrrev_b32_e32 v1, s10, v1
	v_mul_lo_u32 v3, v1, s8
	v_mul_hi_u32 v5, s12, v1
	v_sub_u32_e32 v3, v4, v3
	v_add_u32_e32 v4, v1, v5
	v_lshrrev_b32_e32 v4, s13, v4
	v_mul_lo_u32 v6, v4, s11
	v_mul_hi_u32 v7, s15, v4
	v_sub_u32_e32 v1, v1, v6
	v_add_u32_e32 v6, v4, v7
	v_mul_lo_u32 v5, v3, s1
	v_mul_lo_u32 v3, v3, s0
	;; [unrolled: 1-line block ×4, first 2 shown]
	v_lshrrev_b32_e32 v6, s28, v6
	v_add3_u32 v0, v3, v0, v1
	v_mul_hi_u32 v3, s30, v6
	v_add3_u32 v1, v5, v2, v7
	v_mul_lo_u32 v2, v6, s14
	v_add_u32_e32 v3, v6, v3
	v_sub_u32_e32 v2, v4, v2
	v_lshrrev_b32_e32 v4, s31, v3
	s_add_i32 s59, s59, 4
	v_mul_lo_u32 v3, v4, s29
	s_add_u32 s52, s52, 32
	v_sub_u32_e32 v3, v6, v3
	s_addc_u32 s53, s53, 0
	v_mul_lo_u32 v5, v2, s4
	v_mul_lo_u32 v2, v2, s5
	;; [unrolled: 1-line block ×4, first 2 shown]
	s_cmp_eq_u32 s57, s59
	v_add3_u32 v2, v2, v1, v3
	v_add3_u32 v0, v5, v0, v6
	s_cbranch_scc0 .LBB5_197
; %bb.198:
	v_mov_b32_e32 v1, v2
	s_branch .LBB5_219
.LBB5_199:
                                        ; implicit-def: $vgpr2
                                        ; implicit-def: $vgpr0
	s_branch .LBB5_223
.LBB5_200:
	v_mov_b32_e32 v2, 0
	v_mov_b32_e32 v0, 0
	s_branch .LBB5_222
.LBB5_201:
	v_mov_b32_e32 v0, 0
	s_mov_b32 s57, 0
	v_mov_b32_e32 v1, v0
                                        ; implicit-def: $vgpr2
	v_mov_b32_e32 v4, v24
.LBB5_202:
	s_and_b32 s4, s58, 3
	s_cmp_eq_u32 s4, 0
	s_cbranch_scc1 .LBB5_205
; %bb.203:
	s_lshl_b32 s0, s57, 3
	s_add_u32 s0, s34, s0
	s_addc_u32 s1, s35, 0
	s_add_u32 s0, s0, 0xc4
	s_addc_u32 s1, s1, 0
	s_mul_i32 s2, s57, 12
	s_add_u32 s2, s34, s2
	s_addc_u32 s3, s35, 0
.LBB5_204:                              ; =>This Inner Loop Header: Depth=1
	s_load_dwordx2 s[6:7], s[2:3], 0x4
	s_load_dword s5, s[2:3], 0xc
	s_load_dwordx2 s[8:9], s[0:1], 0x0
	v_mov_b32_e32 v2, v1
	s_add_u32 s2, s2, 12
	s_waitcnt lgkmcnt(0)
	v_mul_hi_u32 v1, s7, v4
	v_add_u32_e32 v1, v4, v1
	v_lshrrev_b32_e32 v1, s5, v1
	s_addc_u32 s3, s3, 0
	v_mul_lo_u32 v3, v1, s6
	s_add_u32 s0, s0, 8
	v_sub_u32_e32 v5, v4, v3
	s_addc_u32 s1, s1, 0
	s_add_i32 s4, s4, -1
	v_mov_b32_e32 v4, v1
	v_mad_u64_u32 v[2:3], s[6:7], v5, s9, v[2:3]
	v_mad_u64_u32 v[0:1], s[6:7], v5, s8, v[0:1]
	s_cmp_lg_u32 s4, 0
	v_mov_b32_e32 v1, v2
	s_cbranch_scc1 .LBB5_204
.LBB5_205:
	s_cbranch_execnz .LBB5_208
.LBB5_206:
	s_waitcnt lgkmcnt(0)
	v_mul_hi_u32 v0, s25, v24
	v_add_u32_e32 v0, v24, v0
	v_lshrrev_b32_e32 v1, s26, v0
	v_mul_lo_u32 v0, v1, s24
	v_sub_u32_e32 v0, v24, v0
	v_mul_lo_u32 v2, v0, s21
	s_andn2_b64 vcc, exec, s[42:43]
	v_mul_lo_u32 v0, v0, s20
	s_cbranch_vccnz .LBB5_208
; %bb.207:
	v_mul_hi_u32 v3, s40, v1
	v_add_u32_e32 v3, v1, v3
	v_lshrrev_b32_e32 v3, s41, v3
	v_mul_lo_u32 v3, v3, s27
	v_sub_u32_e32 v3, v1, v3
	v_mad_u64_u32 v[0:1], s[0:1], v3, s22, v[0:1]
	v_mad_u64_u32 v[2:3], s[0:1], v3, s23, v[2:3]
.LBB5_208:
	s_waitcnt lgkmcnt(0)
	global_load_ubyte v1, v2, s[18:19]
	v_add_u32_e32 v24, 0x80, v24
	s_waitcnt vmcnt(0)
	v_cmp_eq_u16_e32 vcc, 0, v1
	s_nop 1
	v_cndmask_b32_e64 v1, 0, 1, vcc
	global_store_byte v0, v1, s[16:17]
	s_or_b64 exec, exec, s[48:49]
	v_cmp_gt_i32_e32 vcc, s55, v24
	s_and_saveexec_b64 s[48:49], vcc
	s_cbranch_execnz .LBB5_193
.LBB5_209:
	s_or_b64 exec, exec, s[48:49]
	v_cmp_gt_i32_e32 vcc, s55, v24
	s_and_saveexec_b64 s[48:49], vcc
	s_cbranch_execz .LBB5_226
.LBB5_210:
	s_andn2_b64 vcc, exec, s[36:37]
	s_cbranch_vccnz .LBB5_216
; %bb.211:
	s_andn2_b64 vcc, exec, s[46:47]
	s_cbranch_vccnz .LBB5_217
; %bb.212:
	s_add_i32 s58, s56, 1
	s_cmp_eq_u32 s54, 2
	s_cbranch_scc1 .LBB5_229
; %bb.213:
	s_and_b32 s57, s58, 28
	s_mov_b32 s59, 0
	v_mov_b32_e32 v0, 0
	v_mov_b32_e32 v2, 0
	s_mov_b64 s[50:51], s[34:35]
	s_mov_b64 s[52:53], s[44:45]
	v_mov_b32_e32 v4, v24
.LBB5_214:                              ; =>This Inner Loop Header: Depth=1
	s_load_dwordx8 s[8:15], s[50:51], 0x4
	s_load_dwordx4 s[28:31], s[50:51], 0x24
	s_load_dwordx8 s[0:7], s[52:53], 0x0
	s_add_u32 s50, s50, 48
	s_addc_u32 s51, s51, 0
	s_waitcnt lgkmcnt(0)
	v_mul_hi_u32 v1, s9, v4
	v_add_u32_e32 v1, v4, v1
	v_lshrrev_b32_e32 v1, s10, v1
	v_mul_lo_u32 v3, v1, s8
	v_mul_hi_u32 v5, s12, v1
	v_sub_u32_e32 v3, v4, v3
	v_add_u32_e32 v4, v1, v5
	v_lshrrev_b32_e32 v4, s13, v4
	v_mul_lo_u32 v6, v4, s11
	v_mul_hi_u32 v7, s15, v4
	v_sub_u32_e32 v1, v1, v6
	v_add_u32_e32 v6, v4, v7
	v_mul_lo_u32 v5, v3, s1
	v_mul_lo_u32 v3, v3, s0
	;; [unrolled: 1-line block ×4, first 2 shown]
	v_lshrrev_b32_e32 v6, s28, v6
	v_add3_u32 v0, v3, v0, v1
	v_mul_hi_u32 v3, s30, v6
	v_add3_u32 v1, v5, v2, v7
	v_mul_lo_u32 v2, v6, s14
	v_add_u32_e32 v3, v6, v3
	v_sub_u32_e32 v2, v4, v2
	v_lshrrev_b32_e32 v4, s31, v3
	s_add_i32 s59, s59, 4
	v_mul_lo_u32 v3, v4, s29
	s_add_u32 s52, s52, 32
	v_sub_u32_e32 v3, v6, v3
	s_addc_u32 s53, s53, 0
	v_mul_lo_u32 v5, v2, s4
	v_mul_lo_u32 v2, v2, s5
	;; [unrolled: 1-line block ×4, first 2 shown]
	s_cmp_eq_u32 s57, s59
	v_add3_u32 v2, v2, v1, v3
	v_add3_u32 v0, v5, v0, v6
	s_cbranch_scc0 .LBB5_214
; %bb.215:
	v_mov_b32_e32 v1, v2
	s_branch .LBB5_230
.LBB5_216:
                                        ; implicit-def: $vgpr2
                                        ; implicit-def: $vgpr0
	s_branch .LBB5_234
.LBB5_217:
	v_mov_b32_e32 v2, 0
	v_mov_b32_e32 v0, 0
	s_branch .LBB5_233
.LBB5_218:
	v_mov_b32_e32 v0, 0
	s_mov_b32 s57, 0
	v_mov_b32_e32 v1, v0
                                        ; implicit-def: $vgpr2
	v_mov_b32_e32 v4, v24
.LBB5_219:
	s_and_b32 s4, s58, 3
	s_cmp_eq_u32 s4, 0
	s_cbranch_scc1 .LBB5_222
; %bb.220:
	s_lshl_b32 s0, s57, 3
	s_add_u32 s0, s34, s0
	s_addc_u32 s1, s35, 0
	s_add_u32 s0, s0, 0xc4
	s_addc_u32 s1, s1, 0
	s_mul_i32 s2, s57, 12
	s_add_u32 s2, s34, s2
	s_addc_u32 s3, s35, 0
.LBB5_221:                              ; =>This Inner Loop Header: Depth=1
	s_load_dwordx2 s[6:7], s[2:3], 0x4
	s_load_dword s5, s[2:3], 0xc
	s_load_dwordx2 s[8:9], s[0:1], 0x0
	v_mov_b32_e32 v2, v1
	s_add_u32 s2, s2, 12
	s_waitcnt lgkmcnt(0)
	v_mul_hi_u32 v1, s7, v4
	v_add_u32_e32 v1, v4, v1
	v_lshrrev_b32_e32 v1, s5, v1
	s_addc_u32 s3, s3, 0
	v_mul_lo_u32 v3, v1, s6
	s_add_u32 s0, s0, 8
	v_sub_u32_e32 v5, v4, v3
	s_addc_u32 s1, s1, 0
	s_add_i32 s4, s4, -1
	v_mov_b32_e32 v4, v1
	v_mad_u64_u32 v[2:3], s[6:7], v5, s9, v[2:3]
	v_mad_u64_u32 v[0:1], s[6:7], v5, s8, v[0:1]
	s_cmp_lg_u32 s4, 0
	v_mov_b32_e32 v1, v2
	s_cbranch_scc1 .LBB5_221
.LBB5_222:
	s_cbranch_execnz .LBB5_225
.LBB5_223:
	s_waitcnt lgkmcnt(0)
	v_mul_hi_u32 v0, s25, v24
	v_add_u32_e32 v0, v24, v0
	v_lshrrev_b32_e32 v1, s26, v0
	v_mul_lo_u32 v0, v1, s24
	v_sub_u32_e32 v0, v24, v0
	v_mul_lo_u32 v2, v0, s21
	s_andn2_b64 vcc, exec, s[42:43]
	v_mul_lo_u32 v0, v0, s20
	s_cbranch_vccnz .LBB5_225
; %bb.224:
	v_mul_hi_u32 v3, s40, v1
	v_add_u32_e32 v3, v1, v3
	v_lshrrev_b32_e32 v3, s41, v3
	v_mul_lo_u32 v3, v3, s27
	v_sub_u32_e32 v3, v1, v3
	v_mad_u64_u32 v[0:1], s[0:1], v3, s22, v[0:1]
	v_mad_u64_u32 v[2:3], s[0:1], v3, s23, v[2:3]
.LBB5_225:
	s_waitcnt lgkmcnt(0)
	global_load_ubyte v1, v2, s[18:19]
	v_add_u32_e32 v24, 0x80, v24
	s_waitcnt vmcnt(0)
	v_cmp_eq_u16_e32 vcc, 0, v1
	s_nop 1
	v_cndmask_b32_e64 v1, 0, 1, vcc
	global_store_byte v0, v1, s[16:17]
	s_or_b64 exec, exec, s[48:49]
	v_cmp_gt_i32_e32 vcc, s55, v24
	s_and_saveexec_b64 s[48:49], vcc
	s_cbranch_execnz .LBB5_210
.LBB5_226:
	s_or_b64 exec, exec, s[48:49]
	v_cmp_gt_i32_e32 vcc, s55, v24
	s_and_saveexec_b64 s[48:49], vcc
	s_cbranch_execnz .LBB5_237
.LBB5_227:
	s_or_b64 exec, exec, s[48:49]
                                        ; implicit-def: $vgpr32
                                        ; implicit-def: $vgpr24
	s_andn2_saveexec_b64 s[0:1], s[38:39]
	s_cbranch_execnz .LBB5_9
.LBB5_228:
	s_endpgm
.LBB5_229:
	v_mov_b32_e32 v0, 0
	s_mov_b32 s57, 0
	v_mov_b32_e32 v1, v0
                                        ; implicit-def: $vgpr2
	v_mov_b32_e32 v4, v24
.LBB5_230:
	s_and_b32 s4, s58, 3
	s_cmp_eq_u32 s4, 0
	s_cbranch_scc1 .LBB5_233
; %bb.231:
	s_lshl_b32 s0, s57, 3
	s_add_u32 s0, s34, s0
	s_addc_u32 s1, s35, 0
	s_add_u32 s0, s0, 0xc4
	s_addc_u32 s1, s1, 0
	s_mul_i32 s2, s57, 12
	s_add_u32 s2, s34, s2
	s_addc_u32 s3, s35, 0
.LBB5_232:                              ; =>This Inner Loop Header: Depth=1
	s_load_dwordx2 s[6:7], s[2:3], 0x4
	s_load_dword s5, s[2:3], 0xc
	s_load_dwordx2 s[8:9], s[0:1], 0x0
	v_mov_b32_e32 v2, v1
	s_add_u32 s2, s2, 12
	s_waitcnt lgkmcnt(0)
	v_mul_hi_u32 v1, s7, v4
	v_add_u32_e32 v1, v4, v1
	v_lshrrev_b32_e32 v1, s5, v1
	s_addc_u32 s3, s3, 0
	v_mul_lo_u32 v3, v1, s6
	s_add_u32 s0, s0, 8
	v_sub_u32_e32 v5, v4, v3
	s_addc_u32 s1, s1, 0
	s_add_i32 s4, s4, -1
	v_mov_b32_e32 v4, v1
	v_mad_u64_u32 v[2:3], s[6:7], v5, s9, v[2:3]
	v_mad_u64_u32 v[0:1], s[6:7], v5, s8, v[0:1]
	s_cmp_lg_u32 s4, 0
	v_mov_b32_e32 v1, v2
	s_cbranch_scc1 .LBB5_232
.LBB5_233:
	s_cbranch_execnz .LBB5_236
.LBB5_234:
	s_waitcnt lgkmcnt(0)
	v_mul_hi_u32 v0, s25, v24
	v_add_u32_e32 v0, v24, v0
	v_lshrrev_b32_e32 v1, s26, v0
	v_mul_lo_u32 v0, v1, s24
	v_sub_u32_e32 v0, v24, v0
	v_mul_lo_u32 v2, v0, s21
	s_andn2_b64 vcc, exec, s[42:43]
	v_mul_lo_u32 v0, v0, s20
	s_cbranch_vccnz .LBB5_236
; %bb.235:
	v_mul_hi_u32 v3, s40, v1
	v_add_u32_e32 v3, v1, v3
	v_lshrrev_b32_e32 v3, s41, v3
	v_mul_lo_u32 v3, v3, s27
	v_sub_u32_e32 v3, v1, v3
	v_mad_u64_u32 v[0:1], s[0:1], v3, s22, v[0:1]
	v_mad_u64_u32 v[2:3], s[0:1], v3, s23, v[2:3]
.LBB5_236:
	s_waitcnt lgkmcnt(0)
	global_load_ubyte v1, v2, s[18:19]
	v_add_u32_e32 v24, 0x80, v24
	s_waitcnt vmcnt(0)
	v_cmp_eq_u16_e32 vcc, 0, v1
	s_nop 1
	v_cndmask_b32_e64 v1, 0, 1, vcc
	global_store_byte v0, v1, s[16:17]
	s_or_b64 exec, exec, s[48:49]
	v_cmp_gt_i32_e32 vcc, s55, v24
	s_and_saveexec_b64 s[48:49], vcc
	s_cbranch_execz .LBB5_227
.LBB5_237:
	s_andn2_b64 vcc, exec, s[36:37]
	s_cbranch_vccnz .LBB5_243
; %bb.238:
	s_andn2_b64 vcc, exec, s[46:47]
	s_cbranch_vccnz .LBB5_244
; %bb.239:
	s_add_i32 s56, s56, 1
	s_cmp_eq_u32 s54, 2
	s_cbranch_scc1 .LBB5_245
; %bb.240:
	s_and_b32 s50, s56, 28
	s_mov_b32 s51, 0
	v_mov_b32_e32 v0, 0
	v_mov_b32_e32 v2, 0
	s_mov_b64 s[46:47], s[34:35]
	v_mov_b32_e32 v4, v24
.LBB5_241:                              ; =>This Inner Loop Header: Depth=1
	s_load_dwordx8 s[8:15], s[46:47], 0x4
	s_load_dwordx4 s[28:31], s[46:47], 0x24
	s_load_dwordx8 s[0:7], s[44:45], 0x0
	s_add_u32 s46, s46, 48
	s_addc_u32 s47, s47, 0
	s_waitcnt lgkmcnt(0)
	v_mul_hi_u32 v1, s9, v4
	v_add_u32_e32 v1, v4, v1
	v_lshrrev_b32_e32 v1, s10, v1
	v_mul_lo_u32 v3, v1, s8
	v_mul_hi_u32 v5, s12, v1
	v_sub_u32_e32 v3, v4, v3
	v_add_u32_e32 v4, v1, v5
	v_lshrrev_b32_e32 v4, s13, v4
	v_mul_lo_u32 v6, v4, s11
	v_mul_hi_u32 v7, s15, v4
	v_sub_u32_e32 v1, v1, v6
	v_add_u32_e32 v6, v4, v7
	v_mul_lo_u32 v5, v3, s1
	v_mul_lo_u32 v3, v3, s0
	;; [unrolled: 1-line block ×4, first 2 shown]
	v_lshrrev_b32_e32 v6, s28, v6
	v_add3_u32 v0, v3, v0, v1
	v_mul_hi_u32 v3, s30, v6
	v_add3_u32 v1, v5, v2, v7
	v_mul_lo_u32 v2, v6, s14
	v_add_u32_e32 v3, v6, v3
	v_sub_u32_e32 v2, v4, v2
	v_lshrrev_b32_e32 v4, s31, v3
	s_add_i32 s51, s51, 4
	v_mul_lo_u32 v3, v4, s29
	s_add_u32 s44, s44, 32
	v_sub_u32_e32 v3, v6, v3
	s_addc_u32 s45, s45, 0
	v_mul_lo_u32 v5, v2, s4
	v_mul_lo_u32 v2, v2, s5
	;; [unrolled: 1-line block ×4, first 2 shown]
	s_cmp_eq_u32 s50, s51
	v_add3_u32 v2, v2, v1, v3
	v_add3_u32 v0, v5, v0, v6
	s_cbranch_scc0 .LBB5_241
; %bb.242:
	v_mov_b32_e32 v1, v2
	s_branch .LBB5_246
.LBB5_243:
                                        ; implicit-def: $vgpr2
                                        ; implicit-def: $vgpr0
	s_branch .LBB5_250
.LBB5_244:
	v_mov_b32_e32 v2, 0
	v_mov_b32_e32 v0, 0
	s_branch .LBB5_249
.LBB5_245:
	v_mov_b32_e32 v0, 0
	s_mov_b32 s50, 0
	v_mov_b32_e32 v1, v0
                                        ; implicit-def: $vgpr2
	v_mov_b32_e32 v4, v24
.LBB5_246:
	s_and_b32 s4, s56, 3
	s_cmp_eq_u32 s4, 0
	s_cbranch_scc1 .LBB5_249
; %bb.247:
	s_lshl_b32 s0, s50, 3
	s_add_u32 s0, s34, s0
	s_addc_u32 s1, s35, 0
	s_add_u32 s0, s0, 0xc4
	s_addc_u32 s1, s1, 0
	s_mul_i32 s2, s50, 12
	s_add_u32 s2, s34, s2
	s_addc_u32 s3, s35, 0
.LBB5_248:                              ; =>This Inner Loop Header: Depth=1
	s_load_dwordx2 s[6:7], s[2:3], 0x4
	s_load_dword s5, s[2:3], 0xc
	s_load_dwordx2 s[8:9], s[0:1], 0x0
	v_mov_b32_e32 v2, v1
	s_add_u32 s2, s2, 12
	s_waitcnt lgkmcnt(0)
	v_mul_hi_u32 v1, s7, v4
	v_add_u32_e32 v1, v4, v1
	v_lshrrev_b32_e32 v1, s5, v1
	s_addc_u32 s3, s3, 0
	v_mul_lo_u32 v3, v1, s6
	s_add_u32 s0, s0, 8
	v_sub_u32_e32 v5, v4, v3
	s_addc_u32 s1, s1, 0
	s_add_i32 s4, s4, -1
	v_mov_b32_e32 v4, v1
	v_mad_u64_u32 v[2:3], s[6:7], v5, s9, v[2:3]
	v_mad_u64_u32 v[0:1], s[6:7], v5, s8, v[0:1]
	s_cmp_lg_u32 s4, 0
	v_mov_b32_e32 v1, v2
	s_cbranch_scc1 .LBB5_248
.LBB5_249:
	s_cbranch_execnz .LBB5_252
.LBB5_250:
	s_waitcnt lgkmcnt(0)
	v_mul_hi_u32 v0, s25, v24
	v_add_u32_e32 v0, v24, v0
	v_lshrrev_b32_e32 v1, s26, v0
	v_mul_lo_u32 v0, v1, s24
	v_sub_u32_e32 v0, v24, v0
	v_mul_lo_u32 v2, v0, s21
	s_andn2_b64 vcc, exec, s[42:43]
	v_mul_lo_u32 v0, v0, s20
	s_cbranch_vccnz .LBB5_252
; %bb.251:
	v_mul_hi_u32 v3, s40, v1
	v_add_u32_e32 v3, v1, v3
	v_lshrrev_b32_e32 v3, s41, v3
	v_mul_lo_u32 v3, v3, s27
	v_sub_u32_e32 v3, v1, v3
	v_mad_u64_u32 v[0:1], s[0:1], v3, s22, v[0:1]
	v_mad_u64_u32 v[2:3], s[0:1], v3, s23, v[2:3]
.LBB5_252:
	s_waitcnt lgkmcnt(0)
	global_load_ubyte v1, v2, s[18:19]
	s_waitcnt vmcnt(0)
	v_cmp_eq_u16_e32 vcc, 0, v1
	s_nop 1
	v_cndmask_b32_e64 v1, 0, 1, vcc
	global_store_byte v0, v1, s[16:17]
	s_or_b64 exec, exec, s[48:49]
                                        ; implicit-def: $vgpr32
                                        ; implicit-def: $vgpr24
	s_andn2_saveexec_b64 s[0:1], s[38:39]
	s_cbranch_execz .LBB5_228
	s_branch .LBB5_9
	.section	.rodata,"a",@progbits
	.p2align	6, 0x0
	.amdhsa_kernel _ZN2at6native32elementwise_kernel_manual_unrollILi128ELi8EZNS0_22gpu_kernel_impl_nocastIZNS0_23bitwise_not_kernel_cudaERNS_18TensorIteratorBaseEEUlbE_EEvS4_RKT_EUlibE_EEviT1_
		.amdhsa_group_segment_fixed_size 0
		.amdhsa_private_segment_fixed_size 0
		.amdhsa_kernarg_size 360
		.amdhsa_user_sgpr_count 2
		.amdhsa_user_sgpr_dispatch_ptr 0
		.amdhsa_user_sgpr_queue_ptr 0
		.amdhsa_user_sgpr_kernarg_segment_ptr 1
		.amdhsa_user_sgpr_dispatch_id 0
		.amdhsa_user_sgpr_kernarg_preload_length 0
		.amdhsa_user_sgpr_kernarg_preload_offset 0
		.amdhsa_user_sgpr_private_segment_size 0
		.amdhsa_uses_dynamic_stack 0
		.amdhsa_enable_private_segment 0
		.amdhsa_system_sgpr_workgroup_id_x 1
		.amdhsa_system_sgpr_workgroup_id_y 0
		.amdhsa_system_sgpr_workgroup_id_z 0
		.amdhsa_system_sgpr_workgroup_info 0
		.amdhsa_system_vgpr_workitem_id 0
		.amdhsa_next_free_vgpr 33
		.amdhsa_next_free_sgpr 60
		.amdhsa_accum_offset 36
		.amdhsa_reserve_vcc 1
		.amdhsa_float_round_mode_32 0
		.amdhsa_float_round_mode_16_64 0
		.amdhsa_float_denorm_mode_32 3
		.amdhsa_float_denorm_mode_16_64 3
		.amdhsa_dx10_clamp 1
		.amdhsa_ieee_mode 1
		.amdhsa_fp16_overflow 0
		.amdhsa_tg_split 0
		.amdhsa_exception_fp_ieee_invalid_op 0
		.amdhsa_exception_fp_denorm_src 0
		.amdhsa_exception_fp_ieee_div_zero 0
		.amdhsa_exception_fp_ieee_overflow 0
		.amdhsa_exception_fp_ieee_underflow 0
		.amdhsa_exception_fp_ieee_inexact 0
		.amdhsa_exception_int_div_zero 0
	.end_amdhsa_kernel
	.section	.text._ZN2at6native32elementwise_kernel_manual_unrollILi128ELi8EZNS0_22gpu_kernel_impl_nocastIZNS0_23bitwise_not_kernel_cudaERNS_18TensorIteratorBaseEEUlbE_EEvS4_RKT_EUlibE_EEviT1_,"axG",@progbits,_ZN2at6native32elementwise_kernel_manual_unrollILi128ELi8EZNS0_22gpu_kernel_impl_nocastIZNS0_23bitwise_not_kernel_cudaERNS_18TensorIteratorBaseEEUlbE_EEvS4_RKT_EUlibE_EEviT1_,comdat
.Lfunc_end5:
	.size	_ZN2at6native32elementwise_kernel_manual_unrollILi128ELi8EZNS0_22gpu_kernel_impl_nocastIZNS0_23bitwise_not_kernel_cudaERNS_18TensorIteratorBaseEEUlbE_EEvS4_RKT_EUlibE_EEviT1_, .Lfunc_end5-_ZN2at6native32elementwise_kernel_manual_unrollILi128ELi8EZNS0_22gpu_kernel_impl_nocastIZNS0_23bitwise_not_kernel_cudaERNS_18TensorIteratorBaseEEUlbE_EEvS4_RKT_EUlibE_EEviT1_
                                        ; -- End function
	.set _ZN2at6native32elementwise_kernel_manual_unrollILi128ELi8EZNS0_22gpu_kernel_impl_nocastIZNS0_23bitwise_not_kernel_cudaERNS_18TensorIteratorBaseEEUlbE_EEvS4_RKT_EUlibE_EEviT1_.num_vgpr, 33
	.set _ZN2at6native32elementwise_kernel_manual_unrollILi128ELi8EZNS0_22gpu_kernel_impl_nocastIZNS0_23bitwise_not_kernel_cudaERNS_18TensorIteratorBaseEEUlbE_EEvS4_RKT_EUlibE_EEviT1_.num_agpr, 0
	.set _ZN2at6native32elementwise_kernel_manual_unrollILi128ELi8EZNS0_22gpu_kernel_impl_nocastIZNS0_23bitwise_not_kernel_cudaERNS_18TensorIteratorBaseEEUlbE_EEvS4_RKT_EUlibE_EEviT1_.numbered_sgpr, 60
	.set _ZN2at6native32elementwise_kernel_manual_unrollILi128ELi8EZNS0_22gpu_kernel_impl_nocastIZNS0_23bitwise_not_kernel_cudaERNS_18TensorIteratorBaseEEUlbE_EEvS4_RKT_EUlibE_EEviT1_.num_named_barrier, 0
	.set _ZN2at6native32elementwise_kernel_manual_unrollILi128ELi8EZNS0_22gpu_kernel_impl_nocastIZNS0_23bitwise_not_kernel_cudaERNS_18TensorIteratorBaseEEUlbE_EEvS4_RKT_EUlibE_EEviT1_.private_seg_size, 0
	.set _ZN2at6native32elementwise_kernel_manual_unrollILi128ELi8EZNS0_22gpu_kernel_impl_nocastIZNS0_23bitwise_not_kernel_cudaERNS_18TensorIteratorBaseEEUlbE_EEvS4_RKT_EUlibE_EEviT1_.uses_vcc, 1
	.set _ZN2at6native32elementwise_kernel_manual_unrollILi128ELi8EZNS0_22gpu_kernel_impl_nocastIZNS0_23bitwise_not_kernel_cudaERNS_18TensorIteratorBaseEEUlbE_EEvS4_RKT_EUlibE_EEviT1_.uses_flat_scratch, 0
	.set _ZN2at6native32elementwise_kernel_manual_unrollILi128ELi8EZNS0_22gpu_kernel_impl_nocastIZNS0_23bitwise_not_kernel_cudaERNS_18TensorIteratorBaseEEUlbE_EEvS4_RKT_EUlibE_EEviT1_.has_dyn_sized_stack, 0
	.set _ZN2at6native32elementwise_kernel_manual_unrollILi128ELi8EZNS0_22gpu_kernel_impl_nocastIZNS0_23bitwise_not_kernel_cudaERNS_18TensorIteratorBaseEEUlbE_EEvS4_RKT_EUlibE_EEviT1_.has_recursion, 0
	.set _ZN2at6native32elementwise_kernel_manual_unrollILi128ELi8EZNS0_22gpu_kernel_impl_nocastIZNS0_23bitwise_not_kernel_cudaERNS_18TensorIteratorBaseEEUlbE_EEvS4_RKT_EUlibE_EEviT1_.has_indirect_call, 0
	.section	.AMDGPU.csdata,"",@progbits
; Kernel info:
; codeLenInByte = 11648
; TotalNumSgprs: 66
; NumVgprs: 33
; NumAgprs: 0
; TotalNumVgprs: 33
; ScratchSize: 0
; MemoryBound: 0
; FloatMode: 240
; IeeeMode: 1
; LDSByteSize: 0 bytes/workgroup (compile time only)
; SGPRBlocks: 8
; VGPRBlocks: 4
; NumSGPRsForWavesPerEU: 66
; NumVGPRsForWavesPerEU: 33
; AccumOffset: 36
; Occupancy: 8
; WaveLimiterHint : 1
; COMPUTE_PGM_RSRC2:SCRATCH_EN: 0
; COMPUTE_PGM_RSRC2:USER_SGPR: 2
; COMPUTE_PGM_RSRC2:TRAP_HANDLER: 0
; COMPUTE_PGM_RSRC2:TGID_X_EN: 1
; COMPUTE_PGM_RSRC2:TGID_Y_EN: 0
; COMPUTE_PGM_RSRC2:TGID_Z_EN: 0
; COMPUTE_PGM_RSRC2:TIDIG_COMP_CNT: 0
; COMPUTE_PGM_RSRC3_GFX90A:ACCUM_OFFSET: 8
; COMPUTE_PGM_RSRC3_GFX90A:TG_SPLIT: 0
	.section	.text._ZN2at6native32elementwise_kernel_manual_unrollILi128ELi4EZNS0_15gpu_kernel_implIZNS0_23bitwise_not_kernel_cudaERNS_18TensorIteratorBaseEEUlbE_EEvS4_RKT_EUlibE_EEviT1_,"axG",@progbits,_ZN2at6native32elementwise_kernel_manual_unrollILi128ELi4EZNS0_15gpu_kernel_implIZNS0_23bitwise_not_kernel_cudaERNS_18TensorIteratorBaseEEUlbE_EEvS4_RKT_EUlibE_EEviT1_,comdat
	.globl	_ZN2at6native32elementwise_kernel_manual_unrollILi128ELi4EZNS0_15gpu_kernel_implIZNS0_23bitwise_not_kernel_cudaERNS_18TensorIteratorBaseEEUlbE_EEvS4_RKT_EUlibE_EEviT1_ ; -- Begin function _ZN2at6native32elementwise_kernel_manual_unrollILi128ELi4EZNS0_15gpu_kernel_implIZNS0_23bitwise_not_kernel_cudaERNS_18TensorIteratorBaseEEUlbE_EEvS4_RKT_EUlibE_EEviT1_
	.p2align	8
	.type	_ZN2at6native32elementwise_kernel_manual_unrollILi128ELi4EZNS0_15gpu_kernel_implIZNS0_23bitwise_not_kernel_cudaERNS_18TensorIteratorBaseEEUlbE_EEvS4_RKT_EUlibE_EEviT1_,@function
_ZN2at6native32elementwise_kernel_manual_unrollILi128ELi4EZNS0_15gpu_kernel_implIZNS0_23bitwise_not_kernel_cudaERNS_18TensorIteratorBaseEEUlbE_EEvS4_RKT_EUlibE_EEviT1_: ; @_ZN2at6native32elementwise_kernel_manual_unrollILi128ELi4EZNS0_15gpu_kernel_implIZNS0_23bitwise_not_kernel_cudaERNS_18TensorIteratorBaseEEUlbE_EEvS4_RKT_EUlibE_EEviT1_
; %bb.0:
	v_mov_b32_e32 v1, 0
	global_load_ushort v1, v1, s[0:1] offset:33
	s_load_dwordx4 s[4:7], s[0:1], 0x8
	s_load_dwordx2 s[8:9], s[0:1], 0x18
	s_load_dword s40, s[0:1], 0x0
	v_lshl_or_b32 v4, s2, 9, v0
	v_or_b32_e32 v0, 0x180, v4
	s_mov_b64 s[10:11], 0
	s_mov_b64 s[12:13], 0
	s_waitcnt lgkmcnt(0)
	v_cmp_le_i32_e32 vcc, s40, v0
	s_waitcnt vmcnt(0)
	v_readfirstlane_b32 s33, v1
	s_and_b32 s0, 0xffff, s33
	s_lshr_b32 s44, s0, 8
	s_and_saveexec_b64 s[0:1], vcc
	s_xor_b64 s[2:3], exec, s[0:1]
	s_cbranch_execz .LBB6_944
; %bb.1:
	v_cmp_gt_i32_e32 vcc, s40, v4
	s_mov_b64 s[18:19], -1
	s_mov_b64 s[20:21], 0
	s_mov_b64 s[14:15], 0
	s_and_saveexec_b64 s[16:17], vcc
	s_cbranch_execz .LBB6_228
; %bb.2:
	v_mul_lo_u32 v0, v4, s9
	v_ashrrev_i32_e32 v1, 31, v0
	s_and_b32 s22, 0xffff, s44
	s_cmp_lt_i32 s22, 11
	v_lshl_add_u64 v[0:1], s[6:7], 0, v[0:1]
	s_cbranch_scc1 .LBB6_9
; %bb.3:
	s_cmp_gt_i32 s22, 25
	s_cbranch_scc0 .LBB6_128
; %bb.4:
	s_cmp_gt_i32 s22, 28
	s_cbranch_scc0 .LBB6_129
	;; [unrolled: 3-line block ×4, first 2 shown]
; %bb.7:
	s_cmp_eq_u32 s22, 46
	s_mov_b64 s[18:19], 0
	s_cbranch_scc0 .LBB6_131
; %bb.8:
	global_load_dword v2, v[0:1], off
	s_mov_b64 s[12:13], -1
	s_waitcnt vmcnt(0)
	v_and_b32_e32 v2, 0x7fff7fff, v2
	v_cmp_ne_u32_e64 s[0:1], 0, v2
	s_branch .LBB6_133
.LBB6_9:
                                        ; implicit-def: $sgpr0_sgpr1
	s_and_b64 vcc, exec, s[18:19]
	s_cbranch_vccnz .LBB6_179
.LBB6_10:
	s_andn2_b64 vcc, exec, s[12:13]
	s_cbranch_vccnz .LBB6_226
.LBB6_11:
	v_mul_lo_u32 v0, v4, s8
	s_xor_b64 s[12:13], s[0:1], -1
	v_ashrrev_i32_e32 v1, 31, v0
	s_and_b32 s24, s33, 0xff
	s_mov_b64 s[14:15], -1
	v_lshl_add_u64 v[0:1], s[4:5], 0, v[0:1]
	s_mov_b64 s[0:1], 0
	s_cmp_lt_i32 s24, 11
	s_mov_b64 s[18:19], 0
	s_cbranch_scc1 .LBB6_88
; %bb.12:
	s_and_b32 s25, 0xffff, s24
	s_cmp_gt_i32 s25, 25
	s_cbranch_scc0 .LBB6_45
; %bb.13:
	s_cmp_gt_i32 s25, 28
	s_cbranch_scc0 .LBB6_28
; %bb.14:
	;; [unrolled: 3-line block ×4, first 2 shown]
	s_mov_b64 s[14:15], 0
	s_mov_b64 s[0:1], -1
	s_cmp_eq_u32 s25, 46
	s_cbranch_scc0 .LBB6_18
; %bb.17:
	v_cndmask_b32_e64 v2, 0, 1.0, s[12:13]
	v_bfe_u32 v3, v2, 16, 1
	s_movk_i32 s0, 0x7fff
	v_add3_u32 v2, v2, v3, s0
	v_lshrrev_b32_e32 v2, 16, v2
	global_store_dword v[0:1], v2, off
	s_mov_b64 s[18:19], -1
	s_mov_b64 s[0:1], 0
.LBB6_18:
	s_and_b64 vcc, exec, s[14:15]
	s_cbranch_vccz .LBB6_23
; %bb.19:
	s_cmp_eq_u32 s25, 44
	s_mov_b64 s[0:1], -1
	s_cbranch_scc0 .LBB6_23
; %bb.20:
	v_cndmask_b32_e64 v3, 0, 1.0, s[12:13]
	v_lshrrev_b32_e32 v2, 23, v3
	s_movk_i32 s0, 0xff
	v_cmp_ne_u32_e32 vcc, s0, v2
	v_mov_b32_e32 v5, 0xff
	s_and_saveexec_b64 s[14:15], vcc
; %bb.21:
	s_mov_b32 s0, 0x3fffff
	v_and_b32_e32 v5, 0x400000, v3
	v_and_or_b32 v3, v3, s0, v2
	v_cmp_ne_u32_e32 vcc, 0, v5
	v_cmp_ne_u32_e64 s[0:1], 0, v3
	s_and_b64 s[0:1], vcc, s[0:1]
	s_nop 0
	v_cndmask_b32_e64 v3, 0, 1, s[0:1]
	v_add_u32_e32 v5, v2, v3
; %bb.22:
	s_or_b64 exec, exec, s[14:15]
	s_mov_b64 s[18:19], -1
	s_mov_b64 s[0:1], 0
	global_store_byte v[0:1], v5, off
.LBB6_23:
	s_mov_b64 s[14:15], 0
.LBB6_24:
	s_and_b64 vcc, exec, s[14:15]
	s_cbranch_vccz .LBB6_27
; %bb.25:
	s_cmp_eq_u32 s25, 29
	s_mov_b64 s[0:1], -1
	s_cbranch_scc0 .LBB6_27
; %bb.26:
	s_mov_b32 s0, 0
	v_cndmask_b32_e64 v2, 0, 1, s[12:13]
	v_mov_b32_e32 v3, s0
	global_store_dwordx2 v[0:1], v[2:3], off
	s_mov_b64 s[18:19], -1
	s_mov_b64 s[0:1], 0
.LBB6_27:
	s_mov_b64 s[14:15], 0
.LBB6_28:
	s_and_b64 vcc, exec, s[14:15]
	s_cbranch_vccz .LBB6_44
; %bb.29:
	s_cmp_lt_i32 s25, 27
	s_mov_b64 s[14:15], -1
	s_cbranch_scc1 .LBB6_35
; %bb.30:
	s_cmp_gt_i32 s25, 27
	s_cbranch_scc0 .LBB6_32
; %bb.31:
	v_cndmask_b32_e64 v2, 0, 1, s[12:13]
	s_mov_b64 s[14:15], 0
	global_store_dword v[0:1], v2, off
.LBB6_32:
	s_andn2_b64 vcc, exec, s[14:15]
	s_cbranch_vccnz .LBB6_34
; %bb.33:
	v_cndmask_b32_e64 v2, 0, 1, s[12:13]
	global_store_short v[0:1], v2, off
.LBB6_34:
	s_mov_b64 s[14:15], 0
.LBB6_35:
	s_andn2_b64 vcc, exec, s[14:15]
	s_cbranch_vccnz .LBB6_43
; %bb.36:
	v_cndmask_b32_e64 v3, 0, 1.0, s[12:13]
	s_mov_b32 s14, 0x43800000
	v_cmp_gt_u32_e32 vcc, s14, v3
	v_mov_b32_e32 v5, 0x80
	s_and_saveexec_b64 s[14:15], vcc
	s_cbranch_execz .LBB6_42
; %bb.37:
	s_mov_b32 s18, 0x3bffffff
	v_cmp_lt_u32_e32 vcc, s18, v3
	s_mov_b64 s[18:19], 0
                                        ; implicit-def: $vgpr2
	s_and_saveexec_b64 s[22:23], vcc
	s_xor_b64 s[22:23], exec, s[22:23]
	s_cbranch_execz .LBB6_293
; %bb.38:
	v_bfe_u32 v2, v3, 20, 1
	s_mov_b32 s26, 0x487ffff
	v_add3_u32 v2, v3, v2, s26
	s_mov_b64 s[18:19], exec
	v_lshrrev_b32_e32 v2, 20, v2
                                        ; implicit-def: $vgpr3
	s_andn2_saveexec_b64 s[22:23], s[22:23]
	s_cbranch_execnz .LBB6_294
.LBB6_39:
	s_or_b64 exec, exec, s[22:23]
	v_mov_b32_e32 v5, 0
	s_and_saveexec_b64 s[22:23], s[18:19]
.LBB6_40:
	v_mov_b32_e32 v5, v2
.LBB6_41:
	s_or_b64 exec, exec, s[22:23]
.LBB6_42:
	s_or_b64 exec, exec, s[14:15]
	global_store_byte v[0:1], v5, off
.LBB6_43:
	s_mov_b64 s[18:19], -1
.LBB6_44:
	s_mov_b64 s[14:15], 0
.LBB6_45:
	s_and_b64 vcc, exec, s[14:15]
	s_cbranch_vccz .LBB6_86
; %bb.46:
	s_cmp_gt_i32 s25, 22
	s_mov_b64 s[14:15], -1
	s_cbranch_scc0 .LBB6_78
; %bb.47:
	s_cmp_lt_i32 s25, 24
	s_cbranch_scc1 .LBB6_67
; %bb.48:
	s_cmp_gt_i32 s25, 24
	s_cbranch_scc0 .LBB6_56
; %bb.49:
	v_cndmask_b32_e64 v3, 0, 1.0, s[12:13]
	s_mov_b32 s14, 0x47800000
	v_cmp_gt_u32_e32 vcc, s14, v3
	v_mov_b32_e32 v5, 0x80
	s_and_saveexec_b64 s[14:15], vcc
	s_cbranch_execz .LBB6_55
; %bb.50:
	s_mov_b32 s18, 0x37ffffff
	v_cmp_lt_u32_e32 vcc, s18, v3
	s_mov_b64 s[18:19], 0
                                        ; implicit-def: $vgpr2
	s_and_saveexec_b64 s[22:23], vcc
	s_xor_b64 s[22:23], exec, s[22:23]
	s_cbranch_execz .LBB6_297
; %bb.51:
	v_bfe_u32 v2, v3, 21, 1
	s_mov_b32 s26, 0x88fffff
	v_add3_u32 v2, v3, v2, s26
	s_mov_b64 s[18:19], exec
	v_lshrrev_b32_e32 v2, 21, v2
                                        ; implicit-def: $vgpr3
	s_andn2_saveexec_b64 s[22:23], s[22:23]
	s_cbranch_execnz .LBB6_298
.LBB6_52:
	s_or_b64 exec, exec, s[22:23]
	v_mov_b32_e32 v5, 0
	s_and_saveexec_b64 s[22:23], s[18:19]
.LBB6_53:
	v_mov_b32_e32 v5, v2
.LBB6_54:
	s_or_b64 exec, exec, s[22:23]
.LBB6_55:
	s_or_b64 exec, exec, s[14:15]
	s_mov_b64 s[14:15], 0
	global_store_byte v[0:1], v5, off
.LBB6_56:
	s_and_b64 vcc, exec, s[14:15]
	s_cbranch_vccz .LBB6_66
; %bb.57:
	v_cndmask_b32_e64 v2, 0, 1.0, s[12:13]
	s_mov_b32 s14, 0x43f00000
	v_cmp_gt_u32_e32 vcc, s14, v2
                                        ; implicit-def: $vgpr3
	s_and_saveexec_b64 s[14:15], vcc
	s_xor_b64 s[14:15], exec, s[14:15]
	s_cbranch_execz .LBB6_63
; %bb.58:
	s_mov_b32 s18, 0x3c7fffff
	v_cmp_lt_u32_e32 vcc, s18, v2
                                        ; implicit-def: $vgpr3
	s_and_saveexec_b64 s[18:19], vcc
	s_xor_b64 s[18:19], exec, s[18:19]
; %bb.59:
	v_bfe_u32 v3, v2, 20, 1
	s_mov_b32 s22, 0x407ffff
	v_add3_u32 v2, v2, v3, s22
	v_lshrrev_b32_e32 v3, 20, v2
	v_and_b32_e32 v2, 0xff00000, v2
	s_mov_b32 s22, 0x7f00000
	v_mov_b32_e32 v5, 0x7e
	v_cmp_ne_u32_e32 vcc, s22, v2
                                        ; implicit-def: $vgpr2
	s_nop 1
	v_cndmask_b32_e32 v3, v5, v3, vcc
; %bb.60:
	s_andn2_saveexec_b64 s[18:19], s[18:19]
; %bb.61:
	v_add_f32_e32 v3, 0x46800000, v2
; %bb.62:
	s_or_b64 exec, exec, s[18:19]
                                        ; implicit-def: $vgpr2
.LBB6_63:
	s_andn2_saveexec_b64 s[14:15], s[14:15]
; %bb.64:
	s_mov_b32 s18, 0x7f800000
	v_mov_b32_e32 v3, 0x7e
	v_mov_b32_e32 v5, 0x7f
	v_cmp_lt_u32_e32 vcc, s18, v2
	s_nop 1
	v_cndmask_b32_e32 v3, v3, v5, vcc
; %bb.65:
	s_or_b64 exec, exec, s[14:15]
	global_store_byte v[0:1], v3, off
.LBB6_66:
	s_mov_b64 s[14:15], 0
.LBB6_67:
	s_andn2_b64 vcc, exec, s[14:15]
	s_cbranch_vccnz .LBB6_77
; %bb.68:
	v_cndmask_b32_e64 v2, 0, 1.0, s[12:13]
	s_mov_b32 s14, 0x47800000
	v_cmp_gt_u32_e32 vcc, s14, v2
                                        ; implicit-def: $vgpr3
	s_and_saveexec_b64 s[14:15], vcc
	s_xor_b64 s[14:15], exec, s[14:15]
	s_cbranch_execz .LBB6_74
; %bb.69:
	s_mov_b32 s18, 0x387fffff
	v_cmp_lt_u32_e32 vcc, s18, v2
                                        ; implicit-def: $vgpr3
	s_and_saveexec_b64 s[18:19], vcc
	s_xor_b64 s[18:19], exec, s[18:19]
; %bb.70:
	v_bfe_u32 v3, v2, 21, 1
	s_mov_b32 s22, 0x80fffff
	v_add3_u32 v2, v2, v3, s22
	v_lshrrev_b32_e32 v3, 21, v2
                                        ; implicit-def: $vgpr2
; %bb.71:
	s_andn2_saveexec_b64 s[18:19], s[18:19]
; %bb.72:
	v_add_f32_e32 v3, 0x43000000, v2
; %bb.73:
	s_or_b64 exec, exec, s[18:19]
                                        ; implicit-def: $vgpr2
.LBB6_74:
	s_andn2_saveexec_b64 s[14:15], s[14:15]
; %bb.75:
	s_mov_b32 s18, 0x7f800000
	v_mov_b32_e32 v3, 0x7c
	v_mov_b32_e32 v5, 0x7f
	v_cmp_lt_u32_e32 vcc, s18, v2
	s_nop 1
	v_cndmask_b32_e32 v3, v3, v5, vcc
; %bb.76:
	s_or_b64 exec, exec, s[14:15]
	global_store_byte v[0:1], v3, off
.LBB6_77:
	s_mov_b64 s[14:15], 0
	s_mov_b64 s[18:19], -1
.LBB6_78:
	s_andn2_b64 vcc, exec, s[14:15]
	s_cbranch_vccnz .LBB6_86
; %bb.79:
	s_cmp_gt_i32 s25, 14
	s_mov_b64 s[14:15], -1
	s_cbranch_scc0 .LBB6_83
; %bb.80:
	s_cmp_eq_u32 s25, 15
	s_mov_b64 s[0:1], -1
	s_cbranch_scc0 .LBB6_82
; %bb.81:
	v_cndmask_b32_e64 v2, 0, 1.0, s[12:13]
	v_bfe_u32 v3, v2, 16, 1
	s_movk_i32 s0, 0x7fff
	v_add3_u32 v2, v2, v3, s0
	global_store_short_d16_hi v[0:1], v2, off
	s_mov_b64 s[18:19], -1
	s_mov_b64 s[0:1], 0
.LBB6_82:
	s_mov_b64 s[14:15], 0
.LBB6_83:
	s_and_b64 vcc, exec, s[14:15]
	s_cbranch_vccz .LBB6_86
; %bb.84:
	s_cmp_eq_u32 s25, 11
	s_mov_b64 s[0:1], -1
	s_cbranch_scc0 .LBB6_86
; %bb.85:
	v_cndmask_b32_e64 v2, 0, 1, s[12:13]
	global_store_byte v[0:1], v2, off
	s_mov_b64 s[18:19], -1
	s_mov_b64 s[0:1], 0
.LBB6_86:
.LBB6_87:
	s_mov_b64 s[14:15], 0
	s_andn2_b64 vcc, exec, s[18:19]
	s_mov_b64 s[18:19], 0
	s_cbranch_vccz .LBB6_127
	s_branch .LBB6_227
.LBB6_88:
	s_and_b64 vcc, exec, s[14:15]
	s_cbranch_vccz .LBB6_87
; %bb.89:
	s_and_b32 s18, 0xffff, s24
	s_cmp_lt_i32 s18, 5
	s_mov_b64 s[14:15], -1
	s_cbranch_scc1 .LBB6_110
; %bb.90:
	s_cmp_lt_i32 s18, 8
	s_cbranch_scc1 .LBB6_100
; %bb.91:
	s_cmp_lt_i32 s18, 9
	s_cbranch_scc1 .LBB6_97
; %bb.92:
	s_cmp_gt_i32 s18, 9
	s_cbranch_scc0 .LBB6_94
; %bb.93:
	v_cndmask_b32_e64 v2, 0, 1, s[12:13]
	v_mov_b32_e32 v8, 0
	v_cvt_f64_u32_e32 v[6:7], v2
	v_mov_b32_e32 v9, v8
	global_store_dwordx4 v[0:1], v[6:9], off
	s_mov_b64 s[14:15], 0
.LBB6_94:
	s_andn2_b64 vcc, exec, s[14:15]
	s_cbranch_vccnz .LBB6_96
; %bb.95:
	v_cndmask_b32_e64 v2, 0, 1.0, s[12:13]
	v_mov_b32_e32 v3, 0
	global_store_dwordx2 v[0:1], v[2:3], off
.LBB6_96:
	s_mov_b64 s[14:15], 0
.LBB6_97:
	s_andn2_b64 vcc, exec, s[14:15]
	s_cbranch_vccnz .LBB6_99
; %bb.98:
	v_cndmask_b32_e64 v2, 0, 1.0, s[12:13]
	v_cvt_f16_f32_e32 v2, v2
	global_store_dword v[0:1], v2, off
.LBB6_99:
	s_mov_b64 s[14:15], 0
.LBB6_100:
	s_andn2_b64 vcc, exec, s[14:15]
	s_cbranch_vccnz .LBB6_109
; %bb.101:
	s_cmp_lt_i32 s18, 6
	s_mov_b64 s[14:15], -1
	s_cbranch_scc1 .LBB6_107
; %bb.102:
	s_cmp_gt_i32 s18, 6
	s_cbranch_scc0 .LBB6_104
; %bb.103:
	v_cndmask_b32_e64 v2, 0, 1, s[12:13]
	v_cvt_f64_u32_e32 v[2:3], v2
	global_store_dwordx2 v[0:1], v[2:3], off
	s_mov_b64 s[14:15], 0
.LBB6_104:
	s_andn2_b64 vcc, exec, s[14:15]
	s_cbranch_vccnz .LBB6_106
; %bb.105:
	v_cndmask_b32_e64 v2, 0, 1.0, s[12:13]
	global_store_dword v[0:1], v2, off
.LBB6_106:
	s_mov_b64 s[14:15], 0
.LBB6_107:
	s_andn2_b64 vcc, exec, s[14:15]
	s_cbranch_vccnz .LBB6_109
; %bb.108:
	v_cndmask_b32_e64 v2, 0, 1.0, s[12:13]
	v_cvt_f16_f32_e32 v2, v2
	global_store_short v[0:1], v2, off
.LBB6_109:
	s_mov_b64 s[14:15], 0
.LBB6_110:
	s_andn2_b64 vcc, exec, s[14:15]
	s_cbranch_vccnz .LBB6_126
; %bb.111:
	s_cmp_lt_i32 s18, 2
	s_mov_b64 s[14:15], -1
	s_cbranch_scc1 .LBB6_121
; %bb.112:
	s_cmp_lt_i32 s18, 3
	s_cbranch_scc1 .LBB6_118
; %bb.113:
	s_cmp_gt_i32 s18, 3
	s_cbranch_scc0 .LBB6_115
; %bb.114:
	s_mov_b32 s14, 0
	v_cndmask_b32_e64 v2, 0, 1, s[12:13]
	v_mov_b32_e32 v3, s14
	global_store_dwordx2 v[0:1], v[2:3], off
	s_mov_b64 s[14:15], 0
.LBB6_115:
	s_andn2_b64 vcc, exec, s[14:15]
	s_cbranch_vccnz .LBB6_117
; %bb.116:
	v_cndmask_b32_e64 v2, 0, 1, s[12:13]
	global_store_dword v[0:1], v2, off
.LBB6_117:
	s_mov_b64 s[14:15], 0
.LBB6_118:
	s_andn2_b64 vcc, exec, s[14:15]
	s_cbranch_vccnz .LBB6_120
; %bb.119:
	v_cndmask_b32_e64 v2, 0, 1, s[12:13]
	global_store_short v[0:1], v2, off
.LBB6_120:
	s_mov_b64 s[14:15], 0
.LBB6_121:
	s_andn2_b64 vcc, exec, s[14:15]
	s_cbranch_vccnz .LBB6_126
; %bb.122:
	s_mov_b64 s[14:15], -1
	s_cmp_gt_i32 s18, 0
	v_cndmask_b32_e64 v2, 0, 1, s[12:13]
	s_cbranch_scc0 .LBB6_124
; %bb.123:
	global_store_byte v[0:1], v2, off
	s_mov_b64 s[14:15], 0
.LBB6_124:
	s_andn2_b64 vcc, exec, s[14:15]
	s_cbranch_vccnz .LBB6_126
; %bb.125:
	global_store_byte v[0:1], v2, off
.LBB6_126:
	s_mov_b64 s[14:15], 0
	s_mov_b64 s[18:19], 0
.LBB6_127:
	v_add_u32_e32 v4, 0x80, v4
	s_mov_b64 s[18:19], -1
	s_branch .LBB6_227
.LBB6_128:
                                        ; implicit-def: $sgpr0_sgpr1
	s_and_b64 vcc, exec, s[18:19]
	s_cbranch_vccnz .LBB6_154
	s_branch .LBB6_178
.LBB6_129:
                                        ; implicit-def: $sgpr0_sgpr1
	s_branch .LBB6_141
.LBB6_130:
                                        ; implicit-def: $sgpr0_sgpr1
	s_branch .LBB6_136
.LBB6_131:
	s_mov_b64 s[14:15], -1
.LBB6_132:
                                        ; implicit-def: $sgpr0_sgpr1
.LBB6_133:
	s_and_b64 vcc, exec, s[18:19]
	s_cbranch_vccz .LBB6_135
; %bb.134:
	s_cmp_eq_u32 s22, 44
	s_mov_b64 s[14:15], -1
	s_cselect_b64 s[12:13], -1, 0
	s_or_b64 s[0:1], s[0:1], exec
.LBB6_135:
	s_mov_b64 s[18:19], 0
.LBB6_136:
	s_and_b64 vcc, exec, s[18:19]
	s_cbranch_vccz .LBB6_140
; %bb.137:
	s_cmp_eq_u32 s22, 29
	s_cbranch_scc0 .LBB6_139
; %bb.138:
	global_load_dwordx2 v[2:3], v[0:1], off
	s_mov_b64 s[14:15], 0
	s_mov_b64 s[12:13], -1
	s_mov_b64 s[18:19], 0
	s_waitcnt vmcnt(0)
	v_cmp_ne_u64_e64 s[0:1], 0, v[2:3]
	s_branch .LBB6_141
.LBB6_139:
	s_mov_b64 s[14:15], -1
                                        ; implicit-def: $sgpr0_sgpr1
.LBB6_140:
	s_mov_b64 s[18:19], 0
.LBB6_141:
	s_and_b64 vcc, exec, s[18:19]
	s_cbranch_vccz .LBB6_153
; %bb.142:
	s_cmp_lt_i32 s22, 27
	s_cbranch_scc1 .LBB6_145
; %bb.143:
	s_cmp_gt_i32 s22, 27
	s_cbranch_scc0 .LBB6_146
; %bb.144:
	global_load_dword v2, v[0:1], off
	s_mov_b64 s[12:13], 0
	s_waitcnt vmcnt(0)
	v_cmp_ne_u32_e64 s[0:1], 0, v2
	s_branch .LBB6_147
.LBB6_145:
	s_mov_b64 s[12:13], -1
                                        ; implicit-def: $sgpr0_sgpr1
	s_branch .LBB6_150
.LBB6_146:
	s_mov_b64 s[12:13], -1
                                        ; implicit-def: $sgpr0_sgpr1
.LBB6_147:
	s_andn2_b64 vcc, exec, s[12:13]
	s_cbranch_vccnz .LBB6_149
; %bb.148:
	global_load_ushort v2, v[0:1], off
	s_andn2_b64 s[0:1], s[0:1], exec
	s_waitcnt vmcnt(0)
	v_cmp_ne_u16_e32 vcc, 0, v2
	s_and_b64 s[12:13], vcc, exec
	s_or_b64 s[0:1], s[0:1], s[12:13]
.LBB6_149:
	s_mov_b64 s[12:13], 0
.LBB6_150:
	s_andn2_b64 vcc, exec, s[12:13]
	s_cbranch_vccnz .LBB6_152
; %bb.151:
	global_load_ubyte v2, v[0:1], off
	s_andn2_b64 s[0:1], s[0:1], exec
	s_waitcnt vmcnt(0)
	v_cmp_ne_u16_e32 vcc, 0, v2
	s_and_b64 s[12:13], vcc, exec
	s_or_b64 s[0:1], s[0:1], s[12:13]
.LBB6_152:
	s_mov_b64 s[12:13], -1
.LBB6_153:
	s_branch .LBB6_178
.LBB6_154:
	s_cmp_gt_i32 s22, 22
	s_cbranch_scc0 .LBB6_158
; %bb.155:
	s_cmp_lt_i32 s22, 24
	s_cbranch_scc1 .LBB6_159
; %bb.156:
	s_cmp_gt_i32 s22, 24
	s_cbranch_scc0 .LBB6_160
; %bb.157:
	global_load_ubyte v2, v[0:1], off
	s_mov_b64 s[12:13], 0
	s_waitcnt vmcnt(0)
	v_cmp_ne_u16_e64 s[0:1], 0, v2
	s_branch .LBB6_161
.LBB6_158:
	s_mov_b64 s[18:19], -1
                                        ; implicit-def: $sgpr0_sgpr1
	s_branch .LBB6_167
.LBB6_159:
	s_mov_b64 s[12:13], -1
                                        ; implicit-def: $sgpr0_sgpr1
	s_branch .LBB6_164
.LBB6_160:
	s_mov_b64 s[12:13], -1
                                        ; implicit-def: $sgpr0_sgpr1
.LBB6_161:
	s_andn2_b64 vcc, exec, s[12:13]
	s_cbranch_vccnz .LBB6_163
; %bb.162:
	global_load_ubyte v2, v[0:1], off
	s_andn2_b64 s[0:1], s[0:1], exec
	s_waitcnt vmcnt(0)
	v_and_b32_e32 v2, 0x7f, v2
	v_cmp_ne_u16_e32 vcc, 0, v2
	s_and_b64 s[12:13], vcc, exec
	s_or_b64 s[0:1], s[0:1], s[12:13]
.LBB6_163:
	s_mov_b64 s[12:13], 0
.LBB6_164:
	s_andn2_b64 vcc, exec, s[12:13]
	s_cbranch_vccnz .LBB6_166
; %bb.165:
	global_load_ubyte v2, v[0:1], off
	s_movk_i32 s12, 0x7f00
	s_brev_b32 s13, 16
	s_andn2_b64 s[0:1], s[0:1], exec
	s_waitcnt vmcnt(0)
	v_lshlrev_b32_e32 v3, 8, v2
	v_lshlrev_b32_e32 v2, 25, v2
	v_lshrrev_b32_e32 v5, 4, v2
	v_and_or_b32 v3, v3, s12, 0.5
	v_or_b32_e32 v5, 0x70000000, v5
	v_add_f32_e32 v3, -0.5, v3
	v_mul_f32_e32 v5, 0x7800000, v5
	v_cmp_gt_u32_e32 vcc, s13, v2
	s_nop 1
	v_cndmask_b32_e32 v2, v5, v3, vcc
	v_cmp_neq_f32_e32 vcc, 0, v2
	s_and_b64 s[12:13], vcc, exec
	s_or_b64 s[0:1], s[0:1], s[12:13]
.LBB6_166:
	s_mov_b64 s[18:19], 0
	s_mov_b64 s[12:13], -1
.LBB6_167:
	s_andn2_b64 vcc, exec, s[18:19]
	s_cbranch_vccnz .LBB6_178
; %bb.168:
	s_cmp_gt_i32 s22, 14
	s_cbranch_scc0 .LBB6_171
; %bb.169:
	s_cmp_eq_u32 s22, 15
	s_cbranch_scc0 .LBB6_172
; %bb.170:
	global_load_ushort v2, v[0:1], off
	s_mov_b64 s[12:13], -1
	s_mov_b64 s[14:15], 0
	s_waitcnt vmcnt(0)
	v_and_b32_e32 v2, 0x7fff, v2
	v_cmp_ne_u16_e64 s[0:1], 0, v2
	s_branch .LBB6_173
.LBB6_171:
	s_mov_b64 s[18:19], -1
                                        ; implicit-def: $sgpr0_sgpr1
	s_branch .LBB6_174
.LBB6_172:
	s_mov_b64 s[14:15], -1
                                        ; implicit-def: $sgpr0_sgpr1
.LBB6_173:
	s_mov_b64 s[18:19], 0
.LBB6_174:
	s_and_b64 vcc, exec, s[18:19]
	s_cbranch_vccz .LBB6_178
; %bb.175:
	s_cmp_eq_u32 s22, 11
	s_cbranch_scc0 .LBB6_177
; %bb.176:
	global_load_ubyte v2, v[0:1], off
	s_mov_b64 s[12:13], -1
	s_mov_b64 s[14:15], 0
	s_waitcnt vmcnt(0)
	v_cmp_ne_u16_e64 s[0:1], 0, v2
	s_branch .LBB6_178
.LBB6_177:
	s_mov_b64 s[14:15], -1
                                        ; implicit-def: $sgpr0_sgpr1
.LBB6_178:
	s_branch .LBB6_10
.LBB6_179:
	s_cmp_lt_i32 s22, 5
	s_cbranch_scc1 .LBB6_184
; %bb.180:
	s_cmp_lt_i32 s22, 8
	s_cbranch_scc1 .LBB6_185
; %bb.181:
	;; [unrolled: 3-line block ×3, first 2 shown]
	s_cmp_gt_i32 s22, 9
	s_cbranch_scc0 .LBB6_187
; %bb.183:
	global_load_dwordx4 v[6:9], v[0:1], off
	s_mov_b64 s[12:13], 0
	s_waitcnt vmcnt(0)
	v_cmp_neq_f64_e32 vcc, 0, v[6:7]
	v_cmp_neq_f64_e64 s[0:1], 0, v[8:9]
	s_or_b64 s[0:1], vcc, s[0:1]
	s_branch .LBB6_188
.LBB6_184:
                                        ; implicit-def: $sgpr0_sgpr1
	s_branch .LBB6_206
.LBB6_185:
	s_mov_b64 s[12:13], -1
                                        ; implicit-def: $sgpr0_sgpr1
	s_branch .LBB6_194
.LBB6_186:
	s_mov_b64 s[12:13], -1
                                        ; implicit-def: $sgpr0_sgpr1
	s_branch .LBB6_191
.LBB6_187:
	s_mov_b64 s[12:13], -1
                                        ; implicit-def: $sgpr0_sgpr1
.LBB6_188:
	s_andn2_b64 vcc, exec, s[12:13]
	s_cbranch_vccnz .LBB6_190
; %bb.189:
	global_load_dwordx2 v[2:3], v[0:1], off
	s_brev_b32 s12, -2
	s_andn2_b64 s[0:1], s[0:1], exec
	s_waitcnt vmcnt(0)
	v_bitop3_b32 v2, v2, s12, v3 bitop3:0xc8
	v_cmp_ne_u32_e32 vcc, 0, v2
	s_and_b64 s[12:13], vcc, exec
	s_or_b64 s[0:1], s[0:1], s[12:13]
.LBB6_190:
	s_mov_b64 s[12:13], 0
.LBB6_191:
	s_andn2_b64 vcc, exec, s[12:13]
	s_cbranch_vccnz .LBB6_193
; %bb.192:
	global_load_dword v2, v[0:1], off
	s_andn2_b64 s[0:1], s[0:1], exec
	s_waitcnt vmcnt(0)
	v_and_b32_e32 v2, 0x7fff7fff, v2
	v_cmp_ne_u32_e32 vcc, 0, v2
	s_and_b64 s[12:13], vcc, exec
	s_or_b64 s[0:1], s[0:1], s[12:13]
.LBB6_193:
	s_mov_b64 s[12:13], 0
.LBB6_194:
	s_andn2_b64 vcc, exec, s[12:13]
	s_cbranch_vccnz .LBB6_205
; %bb.195:
	s_cmp_lt_i32 s22, 6
	s_cbranch_scc1 .LBB6_198
; %bb.196:
	s_cmp_gt_i32 s22, 6
	s_cbranch_scc0 .LBB6_199
; %bb.197:
	global_load_dwordx2 v[2:3], v[0:1], off
	s_mov_b64 s[12:13], 0
	s_waitcnt vmcnt(0)
	v_cmp_neq_f64_e64 s[0:1], 0, v[2:3]
	s_branch .LBB6_200
.LBB6_198:
	s_mov_b64 s[12:13], -1
                                        ; implicit-def: $sgpr0_sgpr1
	s_branch .LBB6_203
.LBB6_199:
	s_mov_b64 s[12:13], -1
                                        ; implicit-def: $sgpr0_sgpr1
.LBB6_200:
	s_andn2_b64 vcc, exec, s[12:13]
	s_cbranch_vccnz .LBB6_202
; %bb.201:
	global_load_dword v2, v[0:1], off
	s_andn2_b64 s[0:1], s[0:1], exec
	s_waitcnt vmcnt(0)
	v_cmp_neq_f32_e32 vcc, 0, v2
	s_and_b64 s[12:13], vcc, exec
	s_or_b64 s[0:1], s[0:1], s[12:13]
.LBB6_202:
	s_mov_b64 s[12:13], 0
.LBB6_203:
	s_andn2_b64 vcc, exec, s[12:13]
	s_cbranch_vccnz .LBB6_205
; %bb.204:
	global_load_ushort v2, v[0:1], off
	s_andn2_b64 s[0:1], s[0:1], exec
	s_waitcnt vmcnt(0)
	v_and_b32_e32 v2, 0x7fff, v2
	v_cmp_ne_u16_e32 vcc, 0, v2
	s_and_b64 s[12:13], vcc, exec
	s_or_b64 s[0:1], s[0:1], s[12:13]
.LBB6_205:
	s_cbranch_execnz .LBB6_225
.LBB6_206:
	s_cmp_lt_i32 s22, 2
	s_cbranch_scc1 .LBB6_210
; %bb.207:
	s_cmp_lt_i32 s22, 3
	s_cbranch_scc1 .LBB6_211
; %bb.208:
	s_cmp_gt_i32 s22, 3
	s_cbranch_scc0 .LBB6_212
; %bb.209:
	global_load_dwordx2 v[2:3], v[0:1], off
	s_mov_b64 s[12:13], 0
	s_waitcnt vmcnt(0)
	v_cmp_ne_u64_e64 s[0:1], 0, v[2:3]
	s_branch .LBB6_213
.LBB6_210:
	s_mov_b64 s[12:13], -1
                                        ; implicit-def: $sgpr0_sgpr1
	s_branch .LBB6_219
.LBB6_211:
	s_mov_b64 s[12:13], -1
                                        ; implicit-def: $sgpr0_sgpr1
	s_branch .LBB6_216
.LBB6_212:
	s_mov_b64 s[12:13], -1
                                        ; implicit-def: $sgpr0_sgpr1
.LBB6_213:
	s_andn2_b64 vcc, exec, s[12:13]
	s_cbranch_vccnz .LBB6_215
; %bb.214:
	global_load_dword v2, v[0:1], off
	s_andn2_b64 s[0:1], s[0:1], exec
	s_waitcnt vmcnt(0)
	v_cmp_ne_u32_e32 vcc, 0, v2
	s_and_b64 s[12:13], vcc, exec
	s_or_b64 s[0:1], s[0:1], s[12:13]
.LBB6_215:
	s_mov_b64 s[12:13], 0
.LBB6_216:
	s_andn2_b64 vcc, exec, s[12:13]
	s_cbranch_vccnz .LBB6_218
; %bb.217:
	global_load_ushort v2, v[0:1], off
	s_andn2_b64 s[0:1], s[0:1], exec
	s_waitcnt vmcnt(0)
	v_cmp_ne_u16_e32 vcc, 0, v2
	s_and_b64 s[12:13], vcc, exec
	s_or_b64 s[0:1], s[0:1], s[12:13]
.LBB6_218:
	s_mov_b64 s[12:13], 0
.LBB6_219:
	s_andn2_b64 vcc, exec, s[12:13]
	s_cbranch_vccnz .LBB6_225
; %bb.220:
	s_cmp_gt_i32 s22, 0
	s_cbranch_scc0 .LBB6_222
; %bb.221:
	global_load_ubyte v2, v[0:1], off
	s_mov_b64 s[12:13], 0
	s_waitcnt vmcnt(0)
	v_cmp_ne_u16_e64 s[0:1], 0, v2
	s_branch .LBB6_223
.LBB6_222:
	s_mov_b64 s[12:13], -1
                                        ; implicit-def: $sgpr0_sgpr1
.LBB6_223:
	s_andn2_b64 vcc, exec, s[12:13]
	s_cbranch_vccnz .LBB6_225
; %bb.224:
	global_load_ubyte v0, v[0:1], off
	s_andn2_b64 s[0:1], s[0:1], exec
	s_waitcnt vmcnt(0)
	v_cmp_ne_u16_e32 vcc, 0, v0
	s_and_b64 s[12:13], vcc, exec
	s_or_b64 s[0:1], s[0:1], s[12:13]
.LBB6_225:
	s_branch .LBB6_11
.LBB6_226:
	s_mov_b64 s[0:1], 0
	s_mov_b64 s[18:19], 0
                                        ; implicit-def: $vgpr4
.LBB6_227:
	s_and_b64 s[12:13], s[0:1], exec
	s_and_b64 s[14:15], s[14:15], exec
	s_orn2_b64 s[18:19], s[18:19], exec
.LBB6_228:
	s_or_b64 exec, exec, s[16:17]
	s_mov_b64 s[0:1], 0
	s_mov_b64 s[22:23], 0
                                        ; implicit-def: $sgpr24_sgpr25
                                        ; implicit-def: $vgpr0_vgpr1
	s_and_saveexec_b64 s[16:17], s[18:19]
	s_cbranch_execz .LBB6_237
; %bb.229:
	v_cmp_gt_i32_e32 vcc, s40, v4
	s_mov_b64 s[0:1], -1
	s_mov_b64 s[18:19], s[14:15]
	s_mov_b64 s[20:21], s[12:13]
	s_and_saveexec_b64 s[22:23], vcc
	s_cbranch_execz .LBB6_469
; %bb.230:
	v_mul_lo_u32 v0, v4, s9
	v_ashrrev_i32_e32 v1, 31, v0
	s_and_b32 s26, 0xffff, s44
	s_cmp_lt_i32 s26, 11
	v_lshl_add_u64 v[0:1], s[6:7], 0, v[0:1]
	s_cbranch_scc1 .LBB6_240
; %bb.231:
	s_cmp_gt_i32 s26, 25
	s_cbranch_scc0 .LBB6_288
; %bb.232:
	s_cmp_gt_i32 s26, 28
	s_cbranch_scc0 .LBB6_289
	;; [unrolled: 3-line block ×4, first 2 shown]
; %bb.235:
	s_cmp_eq_u32 s26, 46
	s_mov_b64 s[24:25], 0
	s_cbranch_scc0 .LBB6_299
; %bb.236:
	global_load_dword v2, v[0:1], off
	s_mov_b64 s[20:21], -1
	s_mov_b64 s[18:19], 0
	s_waitcnt vmcnt(0)
	v_and_b32_e32 v2, 0x7fff7fff, v2
	v_cmp_ne_u32_e64 s[0:1], 0, v2
	s_branch .LBB6_300
.LBB6_237:
	s_or_b64 exec, exec, s[16:17]
	s_mov_b64 s[16:17], 0
	s_and_saveexec_b64 s[18:19], s[14:15]
	s_cbranch_execnz .LBB6_777
.LBB6_238:
	s_or_b64 exec, exec, s[18:19]
	s_and_saveexec_b64 s[14:15], s[20:21]
	s_xor_b64 s[14:15], exec, s[14:15]
	s_cbranch_execz .LBB6_778
.LBB6_239:
	global_load_ubyte v2, v[0:1], off
	s_andn2_b64 s[18:19], s[24:25], exec
	s_or_b64 s[22:23], s[22:23], exec
	s_waitcnt vmcnt(0)
	v_cmp_ne_u16_e32 vcc, 0, v2
	s_and_b64 s[20:21], vcc, exec
	s_or_b64 s[24:25], s[18:19], s[20:21]
	s_or_b64 exec, exec, s[14:15]
	s_and_saveexec_b64 s[14:15], s[0:1]
	s_cbranch_execz .LBB6_824
	s_branch .LBB6_779
.LBB6_240:
	s_mov_b64 s[20:21], 0
                                        ; implicit-def: $sgpr0_sgpr1
	s_mov_b64 s[18:19], s[14:15]
	s_cbranch_execnz .LBB6_347
.LBB6_241:
	s_andn2_b64 vcc, exec, s[20:21]
	s_cbranch_vccnz .LBB6_395
.LBB6_242:
	v_mul_lo_u32 v0, v4, s8
	s_xor_b64 s[18:19], s[0:1], -1
	v_ashrrev_i32_e32 v1, 31, v0
	s_and_b32 s28, s33, 0xff
	s_mov_b64 s[24:25], -1
	v_lshl_add_u64 v[0:1], s[4:5], 0, v[0:1]
	s_mov_b64 s[20:21], 0
	s_cmp_lt_i32 s28, 11
	s_mov_b64 s[0:1], s[12:13]
	s_cbranch_scc1 .LBB6_249
; %bb.243:
	s_and_b32 s29, 0xffff, s28
	s_cmp_gt_i32 s29, 25
	s_cbranch_scc0 .LBB6_290
; %bb.244:
	s_cmp_gt_i32 s29, 28
	s_cbranch_scc0 .LBB6_292
; %bb.245:
	s_cmp_gt_i32 s29, 43
	s_cbranch_scc0 .LBB6_296
; %bb.246:
	s_cmp_gt_i32 s29, 45
	s_cbranch_scc0 .LBB6_396
; %bb.247:
	s_mov_b64 s[24:25], 0
	s_mov_b64 s[0:1], -1
	s_cmp_eq_u32 s29, 46
	s_cbranch_scc0 .LBB6_397
; %bb.248:
	v_cndmask_b32_e64 v2, 0, 1.0, s[18:19]
	v_bfe_u32 v3, v2, 16, 1
	s_movk_i32 s0, 0x7fff
	v_add3_u32 v2, v2, v3, s0
	v_lshrrev_b32_e32 v2, 16, v2
	global_store_dword v[0:1], v2, off
	s_mov_b64 s[20:21], -1
	s_mov_b64 s[0:1], 0
	s_branch .LBB6_397
.LBB6_249:
	s_and_b64 vcc, exec, s[24:25]
	s_cbranch_vccz .LBB6_466
; %bb.250:
	s_and_b32 s24, 0xffff, s28
	s_cmp_lt_i32 s24, 5
	s_mov_b64 s[20:21], -1
	s_cbranch_scc1 .LBB6_271
; %bb.251:
	s_cmp_lt_i32 s24, 8
	s_cbranch_scc1 .LBB6_261
; %bb.252:
	s_cmp_lt_i32 s24, 9
	s_cbranch_scc1 .LBB6_258
; %bb.253:
	s_cmp_gt_i32 s24, 9
	s_cbranch_scc0 .LBB6_255
; %bb.254:
	v_cndmask_b32_e64 v2, 0, 1, s[18:19]
	v_mov_b32_e32 v8, 0
	v_cvt_f64_u32_e32 v[6:7], v2
	v_mov_b32_e32 v9, v8
	s_mov_b64 s[20:21], 0
	global_store_dwordx4 v[0:1], v[6:9], off
.LBB6_255:
	s_andn2_b64 vcc, exec, s[20:21]
	s_cbranch_vccnz .LBB6_257
; %bb.256:
	v_cndmask_b32_e64 v2, 0, 1.0, s[18:19]
	v_mov_b32_e32 v3, 0
	global_store_dwordx2 v[0:1], v[2:3], off
.LBB6_257:
	s_mov_b64 s[20:21], 0
.LBB6_258:
	s_andn2_b64 vcc, exec, s[20:21]
	s_cbranch_vccnz .LBB6_260
; %bb.259:
	v_cndmask_b32_e64 v2, 0, 1.0, s[18:19]
	v_cvt_f16_f32_e32 v2, v2
	global_store_dword v[0:1], v2, off
.LBB6_260:
	s_mov_b64 s[20:21], 0
.LBB6_261:
	s_andn2_b64 vcc, exec, s[20:21]
	s_cbranch_vccnz .LBB6_270
; %bb.262:
	s_cmp_lt_i32 s24, 6
	s_mov_b64 s[20:21], -1
	s_cbranch_scc1 .LBB6_268
; %bb.263:
	s_cmp_gt_i32 s24, 6
	s_cbranch_scc0 .LBB6_265
; %bb.264:
	v_cndmask_b32_e64 v2, 0, 1, s[18:19]
	v_cvt_f64_u32_e32 v[2:3], v2
	s_mov_b64 s[20:21], 0
	global_store_dwordx2 v[0:1], v[2:3], off
.LBB6_265:
	s_andn2_b64 vcc, exec, s[20:21]
	s_cbranch_vccnz .LBB6_267
; %bb.266:
	v_cndmask_b32_e64 v2, 0, 1.0, s[18:19]
	global_store_dword v[0:1], v2, off
.LBB6_267:
	s_mov_b64 s[20:21], 0
.LBB6_268:
	s_andn2_b64 vcc, exec, s[20:21]
	s_cbranch_vccnz .LBB6_270
; %bb.269:
	v_cndmask_b32_e64 v2, 0, 1.0, s[18:19]
	v_cvt_f16_f32_e32 v2, v2
	global_store_short v[0:1], v2, off
.LBB6_270:
	s_mov_b64 s[20:21], 0
.LBB6_271:
	s_andn2_b64 vcc, exec, s[20:21]
	s_cbranch_vccnz .LBB6_287
; %bb.272:
	s_cmp_lt_i32 s24, 2
	s_mov_b64 s[20:21], -1
	s_cbranch_scc1 .LBB6_282
; %bb.273:
	s_cmp_lt_i32 s24, 3
	s_cbranch_scc1 .LBB6_279
; %bb.274:
	s_cmp_gt_i32 s24, 3
	s_cbranch_scc0 .LBB6_276
; %bb.275:
	s_mov_b32 s20, 0
	v_cndmask_b32_e64 v2, 0, 1, s[18:19]
	v_mov_b32_e32 v3, s20
	s_mov_b64 s[20:21], 0
	global_store_dwordx2 v[0:1], v[2:3], off
.LBB6_276:
	s_andn2_b64 vcc, exec, s[20:21]
	s_cbranch_vccnz .LBB6_278
; %bb.277:
	v_cndmask_b32_e64 v2, 0, 1, s[18:19]
	global_store_dword v[0:1], v2, off
.LBB6_278:
	s_mov_b64 s[20:21], 0
.LBB6_279:
	s_andn2_b64 vcc, exec, s[20:21]
	s_cbranch_vccnz .LBB6_281
; %bb.280:
	v_cndmask_b32_e64 v2, 0, 1, s[18:19]
	global_store_short v[0:1], v2, off
.LBB6_281:
	s_mov_b64 s[20:21], 0
.LBB6_282:
	s_andn2_b64 vcc, exec, s[20:21]
	s_cbranch_vccnz .LBB6_287
; %bb.283:
	s_mov_b64 s[20:21], -1
	s_cmp_gt_i32 s24, 0
	v_cndmask_b32_e64 v2, 0, 1, s[18:19]
	s_cbranch_scc0 .LBB6_285
; %bb.284:
	s_mov_b64 s[20:21], 0
	global_store_byte v[0:1], v2, off
.LBB6_285:
	s_andn2_b64 vcc, exec, s[20:21]
	s_cbranch_vccnz .LBB6_287
; %bb.286:
	global_store_byte v[0:1], v2, off
.LBB6_287:
	s_mov_b64 s[18:19], 0
	s_mov_b64 s[24:25], 0
	s_branch .LBB6_467
.LBB6_288:
	s_mov_b64 s[24:25], -1
	s_mov_b64 s[20:21], 0
	s_mov_b64 s[18:19], s[14:15]
                                        ; implicit-def: $sgpr0_sgpr1
	s_branch .LBB6_321
.LBB6_289:
	s_mov_b64 s[24:25], -1
	s_mov_b64 s[20:21], 0
	s_mov_b64 s[18:19], s[14:15]
                                        ; implicit-def: $sgpr0_sgpr1
	s_branch .LBB6_308
.LBB6_290:
	s_mov_b64 s[0:1], s[12:13]
	s_branch .LBB6_424
.LBB6_291:
	s_mov_b64 s[24:25], -1
	s_mov_b64 s[20:21], 0
	s_mov_b64 s[18:19], s[14:15]
                                        ; implicit-def: $sgpr0_sgpr1
	s_branch .LBB6_303
.LBB6_292:
	s_mov_b64 s[0:1], s[12:13]
	s_branch .LBB6_407
.LBB6_293:
	s_andn2_saveexec_b64 s[22:23], s[22:23]
	s_cbranch_execz .LBB6_39
.LBB6_294:
	v_add_f32_e32 v2, 0x46000000, v3
	v_and_b32_e32 v2, 0xff, v2
	v_cmp_ne_u32_e32 vcc, 0, v2
	s_andn2_b64 s[18:19], s[18:19], exec
	s_and_b64 s[26:27], vcc, exec
	s_or_b64 s[18:19], s[18:19], s[26:27]
	s_or_b64 exec, exec, s[22:23]
	v_mov_b32_e32 v5, 0
	s_and_saveexec_b64 s[22:23], s[18:19]
	s_cbranch_execnz .LBB6_40
	s_branch .LBB6_41
.LBB6_295:
	s_mov_b64 s[24:25], -1
	s_mov_b64 s[20:21], 0
	s_mov_b64 s[18:19], s[14:15]
                                        ; implicit-def: $sgpr0_sgpr1
	s_branch .LBB6_300
.LBB6_296:
	s_mov_b64 s[0:1], s[12:13]
	s_branch .LBB6_403
.LBB6_297:
	s_andn2_saveexec_b64 s[22:23], s[22:23]
	s_cbranch_execz .LBB6_52
.LBB6_298:
	v_add_f32_e32 v2, 0x42800000, v3
	v_and_b32_e32 v2, 0xff, v2
	v_cmp_ne_u32_e32 vcc, 0, v2
	s_andn2_b64 s[18:19], s[18:19], exec
	s_and_b64 s[26:27], vcc, exec
	s_or_b64 s[18:19], s[18:19], s[26:27]
	s_or_b64 exec, exec, s[22:23]
	v_mov_b32_e32 v5, 0
	s_and_saveexec_b64 s[22:23], s[18:19]
	s_cbranch_execnz .LBB6_53
	s_branch .LBB6_54
.LBB6_299:
	s_mov_b64 s[18:19], -1
                                        ; implicit-def: $sgpr0_sgpr1
	s_mov_b64 s[20:21], 0
.LBB6_300:
	s_and_b64 vcc, exec, s[24:25]
	s_cbranch_vccz .LBB6_302
; %bb.301:
	s_cmp_eq_u32 s26, 44
	s_cselect_b64 s[20:21], -1, 0
	s_or_b64 s[0:1], s[0:1], exec
	s_or_b64 s[18:19], s[18:19], exec
.LBB6_302:
	s_mov_b64 s[24:25], 0
.LBB6_303:
	s_and_b64 vcc, exec, s[24:25]
	s_cbranch_vccz .LBB6_307
; %bb.304:
	s_cmp_eq_u32 s26, 29
	s_cbranch_scc0 .LBB6_306
; %bb.305:
	global_load_dwordx2 v[2:3], v[0:1], off
	s_mov_b64 s[18:19], 0
	s_mov_b64 s[20:21], -1
	s_mov_b64 s[24:25], 0
	s_waitcnt vmcnt(0)
	v_cmp_ne_u64_e64 s[0:1], 0, v[2:3]
	s_branch .LBB6_308
.LBB6_306:
	s_mov_b64 s[18:19], -1
                                        ; implicit-def: $sgpr0_sgpr1
.LBB6_307:
	s_mov_b64 s[24:25], 0
.LBB6_308:
	s_and_b64 vcc, exec, s[24:25]
	s_cbranch_vccz .LBB6_320
; %bb.309:
	s_cmp_lt_i32 s26, 27
	s_cbranch_scc1 .LBB6_312
; %bb.310:
	s_cmp_gt_i32 s26, 27
	s_cbranch_scc0 .LBB6_313
; %bb.311:
	global_load_dword v2, v[0:1], off
	s_mov_b64 s[20:21], 0
	s_waitcnt vmcnt(0)
	v_cmp_ne_u32_e64 s[0:1], 0, v2
	s_branch .LBB6_314
.LBB6_312:
	s_mov_b64 s[20:21], -1
                                        ; implicit-def: $sgpr0_sgpr1
	s_branch .LBB6_317
.LBB6_313:
	s_mov_b64 s[20:21], -1
                                        ; implicit-def: $sgpr0_sgpr1
.LBB6_314:
	s_andn2_b64 vcc, exec, s[20:21]
	s_cbranch_vccnz .LBB6_316
; %bb.315:
	global_load_ushort v2, v[0:1], off
	s_andn2_b64 s[0:1], s[0:1], exec
	s_waitcnt vmcnt(0)
	v_cmp_ne_u16_e32 vcc, 0, v2
	s_and_b64 s[20:21], vcc, exec
	s_or_b64 s[0:1], s[0:1], s[20:21]
.LBB6_316:
	s_mov_b64 s[20:21], 0
.LBB6_317:
	s_andn2_b64 vcc, exec, s[20:21]
	s_cbranch_vccnz .LBB6_319
; %bb.318:
	global_load_ubyte v2, v[0:1], off
	s_andn2_b64 s[0:1], s[0:1], exec
	s_waitcnt vmcnt(0)
	v_cmp_ne_u16_e32 vcc, 0, v2
	s_and_b64 s[20:21], vcc, exec
	s_or_b64 s[0:1], s[0:1], s[20:21]
.LBB6_319:
	s_mov_b64 s[20:21], -1
.LBB6_320:
	s_mov_b64 s[24:25], 0
.LBB6_321:
	s_and_b64 vcc, exec, s[24:25]
	s_cbranch_vccz .LBB6_346
; %bb.322:
	s_cmp_gt_i32 s26, 22
	s_cbranch_scc0 .LBB6_326
; %bb.323:
	s_cmp_lt_i32 s26, 24
	s_cbranch_scc1 .LBB6_327
; %bb.324:
	s_cmp_gt_i32 s26, 24
	s_cbranch_scc0 .LBB6_328
; %bb.325:
	global_load_ubyte v2, v[0:1], off
	s_mov_b64 s[20:21], 0
	s_waitcnt vmcnt(0)
	v_cmp_ne_u16_e64 s[0:1], 0, v2
	s_branch .LBB6_329
.LBB6_326:
	s_mov_b64 s[24:25], -1
                                        ; implicit-def: $sgpr0_sgpr1
	s_branch .LBB6_335
.LBB6_327:
	s_mov_b64 s[20:21], -1
                                        ; implicit-def: $sgpr0_sgpr1
	s_branch .LBB6_332
.LBB6_328:
	s_mov_b64 s[20:21], -1
                                        ; implicit-def: $sgpr0_sgpr1
.LBB6_329:
	s_andn2_b64 vcc, exec, s[20:21]
	s_cbranch_vccnz .LBB6_331
; %bb.330:
	global_load_ubyte v2, v[0:1], off
	s_andn2_b64 s[0:1], s[0:1], exec
	s_waitcnt vmcnt(0)
	v_and_b32_e32 v2, 0x7f, v2
	v_cmp_ne_u16_e32 vcc, 0, v2
	s_and_b64 s[20:21], vcc, exec
	s_or_b64 s[0:1], s[0:1], s[20:21]
.LBB6_331:
	s_mov_b64 s[20:21], 0
.LBB6_332:
	s_andn2_b64 vcc, exec, s[20:21]
	s_cbranch_vccnz .LBB6_334
; %bb.333:
	global_load_ubyte v2, v[0:1], off
	s_movk_i32 s20, 0x7f00
	s_brev_b32 s21, 16
	s_andn2_b64 s[0:1], s[0:1], exec
	s_waitcnt vmcnt(0)
	v_lshlrev_b32_e32 v3, 8, v2
	v_lshlrev_b32_e32 v2, 25, v2
	v_lshrrev_b32_e32 v5, 4, v2
	v_and_or_b32 v3, v3, s20, 0.5
	v_or_b32_e32 v5, 0x70000000, v5
	v_add_f32_e32 v3, -0.5, v3
	v_mul_f32_e32 v5, 0x7800000, v5
	v_cmp_gt_u32_e32 vcc, s21, v2
	s_nop 1
	v_cndmask_b32_e32 v2, v5, v3, vcc
	v_cmp_neq_f32_e32 vcc, 0, v2
	s_and_b64 s[20:21], vcc, exec
	s_or_b64 s[0:1], s[0:1], s[20:21]
.LBB6_334:
	s_mov_b64 s[24:25], 0
	s_mov_b64 s[20:21], -1
.LBB6_335:
	s_andn2_b64 vcc, exec, s[24:25]
	s_cbranch_vccnz .LBB6_346
; %bb.336:
	s_cmp_gt_i32 s26, 14
	s_cbranch_scc0 .LBB6_339
; %bb.337:
	s_cmp_eq_u32 s26, 15
	s_cbranch_scc0 .LBB6_340
; %bb.338:
	global_load_ushort v2, v[0:1], off
	s_mov_b64 s[20:21], -1
	s_mov_b64 s[18:19], 0
	s_waitcnt vmcnt(0)
	v_and_b32_e32 v2, 0x7fff, v2
	v_cmp_ne_u16_e64 s[0:1], 0, v2
	s_branch .LBB6_341
.LBB6_339:
	s_mov_b64 s[24:25], -1
                                        ; implicit-def: $sgpr0_sgpr1
	s_branch .LBB6_342
.LBB6_340:
	s_mov_b64 s[18:19], -1
                                        ; implicit-def: $sgpr0_sgpr1
.LBB6_341:
	s_mov_b64 s[24:25], 0
.LBB6_342:
	s_and_b64 vcc, exec, s[24:25]
	s_cbranch_vccz .LBB6_346
; %bb.343:
	s_cmp_eq_u32 s26, 11
	s_cbranch_scc0 .LBB6_345
; %bb.344:
	global_load_ubyte v2, v[0:1], off
	s_mov_b64 s[20:21], -1
	s_mov_b64 s[18:19], 0
	s_waitcnt vmcnt(0)
	v_cmp_ne_u16_e64 s[0:1], 0, v2
	s_branch .LBB6_346
.LBB6_345:
	s_mov_b64 s[18:19], -1
                                        ; implicit-def: $sgpr0_sgpr1
.LBB6_346:
	s_branch .LBB6_241
.LBB6_347:
	s_cmp_lt_i32 s26, 5
	s_cbranch_scc1 .LBB6_352
; %bb.348:
	s_cmp_lt_i32 s26, 8
	s_cbranch_scc1 .LBB6_353
; %bb.349:
	;; [unrolled: 3-line block ×3, first 2 shown]
	s_cmp_gt_i32 s26, 9
	s_cbranch_scc0 .LBB6_355
; %bb.351:
	global_load_dwordx4 v[6:9], v[0:1], off
	s_mov_b64 s[20:21], 0
	s_waitcnt vmcnt(0)
	v_cmp_neq_f64_e32 vcc, 0, v[6:7]
	v_cmp_neq_f64_e64 s[0:1], 0, v[8:9]
	s_or_b64 s[0:1], vcc, s[0:1]
	s_branch .LBB6_356
.LBB6_352:
	s_mov_b64 s[20:21], -1
                                        ; implicit-def: $sgpr0_sgpr1
	s_branch .LBB6_374
.LBB6_353:
	s_mov_b64 s[20:21], -1
                                        ; implicit-def: $sgpr0_sgpr1
	s_branch .LBB6_362
.LBB6_354:
	s_mov_b64 s[20:21], -1
                                        ; implicit-def: $sgpr0_sgpr1
	s_branch .LBB6_359
.LBB6_355:
	s_mov_b64 s[20:21], -1
                                        ; implicit-def: $sgpr0_sgpr1
.LBB6_356:
	s_andn2_b64 vcc, exec, s[20:21]
	s_cbranch_vccnz .LBB6_358
; %bb.357:
	global_load_dwordx2 v[2:3], v[0:1], off
	s_brev_b32 s20, -2
	s_andn2_b64 s[0:1], s[0:1], exec
	s_waitcnt vmcnt(0)
	v_bitop3_b32 v2, v2, s20, v3 bitop3:0xc8
	v_cmp_ne_u32_e32 vcc, 0, v2
	s_and_b64 s[20:21], vcc, exec
	s_or_b64 s[0:1], s[0:1], s[20:21]
.LBB6_358:
	s_mov_b64 s[20:21], 0
.LBB6_359:
	s_andn2_b64 vcc, exec, s[20:21]
	s_cbranch_vccnz .LBB6_361
; %bb.360:
	global_load_dword v2, v[0:1], off
	s_andn2_b64 s[0:1], s[0:1], exec
	s_waitcnt vmcnt(0)
	v_and_b32_e32 v2, 0x7fff7fff, v2
	v_cmp_ne_u32_e32 vcc, 0, v2
	s_and_b64 s[20:21], vcc, exec
	s_or_b64 s[0:1], s[0:1], s[20:21]
.LBB6_361:
	s_mov_b64 s[20:21], 0
.LBB6_362:
	s_andn2_b64 vcc, exec, s[20:21]
	s_cbranch_vccnz .LBB6_373
; %bb.363:
	s_cmp_lt_i32 s26, 6
	s_cbranch_scc1 .LBB6_366
; %bb.364:
	s_cmp_gt_i32 s26, 6
	s_cbranch_scc0 .LBB6_367
; %bb.365:
	global_load_dwordx2 v[2:3], v[0:1], off
	s_mov_b64 s[20:21], 0
	s_waitcnt vmcnt(0)
	v_cmp_neq_f64_e64 s[0:1], 0, v[2:3]
	s_branch .LBB6_368
.LBB6_366:
	s_mov_b64 s[20:21], -1
                                        ; implicit-def: $sgpr0_sgpr1
	s_branch .LBB6_371
.LBB6_367:
	s_mov_b64 s[20:21], -1
                                        ; implicit-def: $sgpr0_sgpr1
.LBB6_368:
	s_andn2_b64 vcc, exec, s[20:21]
	s_cbranch_vccnz .LBB6_370
; %bb.369:
	global_load_dword v2, v[0:1], off
	s_andn2_b64 s[0:1], s[0:1], exec
	s_waitcnt vmcnt(0)
	v_cmp_neq_f32_e32 vcc, 0, v2
	s_and_b64 s[20:21], vcc, exec
	s_or_b64 s[0:1], s[0:1], s[20:21]
.LBB6_370:
	s_mov_b64 s[20:21], 0
.LBB6_371:
	s_andn2_b64 vcc, exec, s[20:21]
	s_cbranch_vccnz .LBB6_373
; %bb.372:
	global_load_ushort v2, v[0:1], off
	s_andn2_b64 s[0:1], s[0:1], exec
	s_waitcnt vmcnt(0)
	v_and_b32_e32 v2, 0x7fff, v2
	v_cmp_ne_u16_e32 vcc, 0, v2
	s_and_b64 s[20:21], vcc, exec
	s_or_b64 s[0:1], s[0:1], s[20:21]
.LBB6_373:
	s_mov_b64 s[20:21], 0
.LBB6_374:
	s_andn2_b64 vcc, exec, s[20:21]
	s_cbranch_vccnz .LBB6_394
; %bb.375:
	s_cmp_lt_i32 s26, 2
	s_cbranch_scc1 .LBB6_379
; %bb.376:
	s_cmp_lt_i32 s26, 3
	s_cbranch_scc1 .LBB6_380
; %bb.377:
	s_cmp_gt_i32 s26, 3
	s_cbranch_scc0 .LBB6_381
; %bb.378:
	global_load_dwordx2 v[2:3], v[0:1], off
	s_mov_b64 s[20:21], 0
	s_waitcnt vmcnt(0)
	v_cmp_ne_u64_e64 s[0:1], 0, v[2:3]
	s_branch .LBB6_382
.LBB6_379:
	s_mov_b64 s[20:21], -1
                                        ; implicit-def: $sgpr0_sgpr1
	s_branch .LBB6_388
.LBB6_380:
	s_mov_b64 s[20:21], -1
                                        ; implicit-def: $sgpr0_sgpr1
	s_branch .LBB6_385
.LBB6_381:
	s_mov_b64 s[20:21], -1
                                        ; implicit-def: $sgpr0_sgpr1
.LBB6_382:
	s_andn2_b64 vcc, exec, s[20:21]
	s_cbranch_vccnz .LBB6_384
; %bb.383:
	global_load_dword v2, v[0:1], off
	s_andn2_b64 s[0:1], s[0:1], exec
	s_waitcnt vmcnt(0)
	v_cmp_ne_u32_e32 vcc, 0, v2
	s_and_b64 s[20:21], vcc, exec
	s_or_b64 s[0:1], s[0:1], s[20:21]
.LBB6_384:
	s_mov_b64 s[20:21], 0
.LBB6_385:
	s_andn2_b64 vcc, exec, s[20:21]
	s_cbranch_vccnz .LBB6_387
; %bb.386:
	global_load_ushort v2, v[0:1], off
	s_andn2_b64 s[0:1], s[0:1], exec
	s_waitcnt vmcnt(0)
	v_cmp_ne_u16_e32 vcc, 0, v2
	s_and_b64 s[20:21], vcc, exec
	s_or_b64 s[0:1], s[0:1], s[20:21]
.LBB6_387:
	s_mov_b64 s[20:21], 0
.LBB6_388:
	s_andn2_b64 vcc, exec, s[20:21]
	s_cbranch_vccnz .LBB6_394
; %bb.389:
	s_cmp_gt_i32 s26, 0
	s_cbranch_scc0 .LBB6_391
; %bb.390:
	global_load_ubyte v2, v[0:1], off
	s_mov_b64 s[20:21], 0
	s_waitcnt vmcnt(0)
	v_cmp_ne_u16_e64 s[0:1], 0, v2
	s_branch .LBB6_392
.LBB6_391:
	s_mov_b64 s[20:21], -1
                                        ; implicit-def: $sgpr0_sgpr1
.LBB6_392:
	s_andn2_b64 vcc, exec, s[20:21]
	s_cbranch_vccnz .LBB6_394
; %bb.393:
	global_load_ubyte v0, v[0:1], off
	s_andn2_b64 s[0:1], s[0:1], exec
	s_waitcnt vmcnt(0)
	v_cmp_ne_u16_e32 vcc, 0, v0
	s_and_b64 s[20:21], vcc, exec
	s_or_b64 s[0:1], s[0:1], s[20:21]
.LBB6_394:
	s_branch .LBB6_242
.LBB6_395:
	s_mov_b64 s[24:25], 0
	s_mov_b64 s[0:1], s[12:13]
                                        ; implicit-def: $vgpr4
	s_branch .LBB6_468
.LBB6_396:
	s_mov_b64 s[0:1], s[12:13]
.LBB6_397:
	s_and_b64 vcc, exec, s[24:25]
	s_cbranch_vccz .LBB6_402
; %bb.398:
	s_cmp_eq_u32 s29, 44
	s_mov_b64 s[0:1], -1
	s_cbranch_scc0 .LBB6_402
; %bb.399:
	v_cndmask_b32_e64 v3, 0, 1.0, s[18:19]
	v_lshrrev_b32_e32 v2, 23, v3
	s_movk_i32 s0, 0xff
	v_cmp_ne_u32_e32 vcc, s0, v2
	v_mov_b32_e32 v5, 0xff
	s_and_saveexec_b64 s[20:21], vcc
; %bb.400:
	s_mov_b32 s0, 0x3fffff
	v_and_b32_e32 v5, 0x400000, v3
	v_and_or_b32 v3, v3, s0, v2
	v_cmp_ne_u32_e32 vcc, 0, v5
	v_cmp_ne_u32_e64 s[0:1], 0, v3
	s_and_b64 s[0:1], vcc, s[0:1]
	s_nop 0
	v_cndmask_b32_e64 v3, 0, 1, s[0:1]
	v_add_u32_e32 v5, v2, v3
; %bb.401:
	s_or_b64 exec, exec, s[20:21]
	s_mov_b64 s[20:21], -1
	s_mov_b64 s[0:1], 0
	global_store_byte v[0:1], v5, off
.LBB6_402:
	s_mov_b64 s[24:25], 0
.LBB6_403:
	s_and_b64 vcc, exec, s[24:25]
	s_cbranch_vccz .LBB6_406
; %bb.404:
	s_cmp_eq_u32 s29, 29
	s_mov_b64 s[0:1], -1
	s_cbranch_scc0 .LBB6_406
; %bb.405:
	s_mov_b32 s0, 0
	v_cndmask_b32_e64 v2, 0, 1, s[18:19]
	v_mov_b32_e32 v3, s0
	global_store_dwordx2 v[0:1], v[2:3], off
	s_mov_b64 s[20:21], -1
	s_mov_b64 s[0:1], 0
.LBB6_406:
	s_mov_b64 s[24:25], 0
.LBB6_407:
	s_and_b64 vcc, exec, s[24:25]
	s_cbranch_vccz .LBB6_423
; %bb.408:
	s_cmp_lt_i32 s29, 27
	s_mov_b64 s[20:21], -1
	s_cbranch_scc1 .LBB6_414
; %bb.409:
	s_cmp_gt_i32 s29, 27
	s_cbranch_scc0 .LBB6_411
; %bb.410:
	v_cndmask_b32_e64 v2, 0, 1, s[18:19]
	s_mov_b64 s[20:21], 0
	global_store_dword v[0:1], v2, off
.LBB6_411:
	s_andn2_b64 vcc, exec, s[20:21]
	s_cbranch_vccnz .LBB6_413
; %bb.412:
	v_cndmask_b32_e64 v2, 0, 1, s[18:19]
	global_store_short v[0:1], v2, off
.LBB6_413:
	s_mov_b64 s[20:21], 0
.LBB6_414:
	s_andn2_b64 vcc, exec, s[20:21]
	s_cbranch_vccnz .LBB6_422
; %bb.415:
	v_cndmask_b32_e64 v3, 0, 1.0, s[18:19]
	s_mov_b32 s20, 0x43800000
	v_cmp_gt_u32_e32 vcc, s20, v3
	v_mov_b32_e32 v5, 0x80
	s_and_saveexec_b64 s[20:21], vcc
	s_cbranch_execz .LBB6_421
; %bb.416:
	s_mov_b32 s24, 0x3bffffff
	v_cmp_lt_u32_e32 vcc, s24, v3
	s_mov_b64 s[24:25], 0
                                        ; implicit-def: $vgpr2
	s_and_saveexec_b64 s[26:27], vcc
	s_xor_b64 s[26:27], exec, s[26:27]
	s_cbranch_execz .LBB6_482
; %bb.417:
	v_bfe_u32 v2, v3, 20, 1
	s_mov_b32 s30, 0x487ffff
	v_add3_u32 v2, v3, v2, s30
	s_mov_b64 s[24:25], exec
	v_lshrrev_b32_e32 v2, 20, v2
                                        ; implicit-def: $vgpr3
	s_andn2_saveexec_b64 s[26:27], s[26:27]
	s_cbranch_execnz .LBB6_483
.LBB6_418:
	s_or_b64 exec, exec, s[26:27]
	v_mov_b32_e32 v5, 0
	s_and_saveexec_b64 s[26:27], s[24:25]
.LBB6_419:
	v_mov_b32_e32 v5, v2
.LBB6_420:
	s_or_b64 exec, exec, s[26:27]
.LBB6_421:
	s_or_b64 exec, exec, s[20:21]
	global_store_byte v[0:1], v5, off
.LBB6_422:
	s_mov_b64 s[20:21], -1
.LBB6_423:
	s_mov_b64 s[24:25], 0
.LBB6_424:
	s_and_b64 vcc, exec, s[24:25]
	s_cbranch_vccz .LBB6_465
; %bb.425:
	s_cmp_gt_i32 s29, 22
	s_mov_b64 s[24:25], -1
	s_cbranch_scc0 .LBB6_457
; %bb.426:
	s_cmp_lt_i32 s29, 24
	s_mov_b64 s[20:21], -1
	s_cbranch_scc1 .LBB6_446
; %bb.427:
	s_cmp_gt_i32 s29, 24
	s_cbranch_scc0 .LBB6_435
; %bb.428:
	v_cndmask_b32_e64 v3, 0, 1.0, s[18:19]
	s_mov_b32 s20, 0x47800000
	v_cmp_gt_u32_e32 vcc, s20, v3
	v_mov_b32_e32 v5, 0x80
	s_and_saveexec_b64 s[20:21], vcc
	s_cbranch_execz .LBB6_434
; %bb.429:
	s_mov_b32 s24, 0x37ffffff
	v_cmp_lt_u32_e32 vcc, s24, v3
	s_mov_b64 s[24:25], 0
                                        ; implicit-def: $vgpr2
	s_and_saveexec_b64 s[26:27], vcc
	s_xor_b64 s[26:27], exec, s[26:27]
	s_cbranch_execz .LBB6_485
; %bb.430:
	v_bfe_u32 v2, v3, 21, 1
	s_mov_b32 s30, 0x88fffff
	v_add3_u32 v2, v3, v2, s30
	s_mov_b64 s[24:25], exec
	v_lshrrev_b32_e32 v2, 21, v2
                                        ; implicit-def: $vgpr3
	s_andn2_saveexec_b64 s[26:27], s[26:27]
	s_cbranch_execnz .LBB6_486
.LBB6_431:
	s_or_b64 exec, exec, s[26:27]
	v_mov_b32_e32 v5, 0
	s_and_saveexec_b64 s[26:27], s[24:25]
.LBB6_432:
	v_mov_b32_e32 v5, v2
.LBB6_433:
	s_or_b64 exec, exec, s[26:27]
.LBB6_434:
	s_or_b64 exec, exec, s[20:21]
	s_mov_b64 s[20:21], 0
	global_store_byte v[0:1], v5, off
.LBB6_435:
	s_and_b64 vcc, exec, s[20:21]
	s_cbranch_vccz .LBB6_445
; %bb.436:
	v_cndmask_b32_e64 v2, 0, 1.0, s[18:19]
	s_mov_b32 s20, 0x43f00000
	v_cmp_gt_u32_e32 vcc, s20, v2
                                        ; implicit-def: $vgpr3
	s_and_saveexec_b64 s[20:21], vcc
	s_xor_b64 s[20:21], exec, s[20:21]
	s_cbranch_execz .LBB6_442
; %bb.437:
	s_mov_b32 s24, 0x3c7fffff
	v_cmp_lt_u32_e32 vcc, s24, v2
                                        ; implicit-def: $vgpr3
	s_and_saveexec_b64 s[24:25], vcc
	s_xor_b64 s[24:25], exec, s[24:25]
; %bb.438:
	v_bfe_u32 v3, v2, 20, 1
	s_mov_b32 s26, 0x407ffff
	v_add3_u32 v2, v2, v3, s26
	v_lshrrev_b32_e32 v3, 20, v2
	v_and_b32_e32 v2, 0xff00000, v2
	s_mov_b32 s26, 0x7f00000
	v_mov_b32_e32 v5, 0x7e
	v_cmp_ne_u32_e32 vcc, s26, v2
                                        ; implicit-def: $vgpr2
	s_nop 1
	v_cndmask_b32_e32 v3, v5, v3, vcc
; %bb.439:
	s_andn2_saveexec_b64 s[24:25], s[24:25]
; %bb.440:
	v_add_f32_e32 v3, 0x46800000, v2
; %bb.441:
	s_or_b64 exec, exec, s[24:25]
                                        ; implicit-def: $vgpr2
.LBB6_442:
	s_andn2_saveexec_b64 s[20:21], s[20:21]
; %bb.443:
	s_mov_b32 s24, 0x7f800000
	v_mov_b32_e32 v3, 0x7e
	v_mov_b32_e32 v5, 0x7f
	v_cmp_lt_u32_e32 vcc, s24, v2
	s_nop 1
	v_cndmask_b32_e32 v3, v3, v5, vcc
; %bb.444:
	s_or_b64 exec, exec, s[20:21]
	global_store_byte v[0:1], v3, off
.LBB6_445:
	s_mov_b64 s[20:21], 0
.LBB6_446:
	s_andn2_b64 vcc, exec, s[20:21]
	s_cbranch_vccnz .LBB6_456
; %bb.447:
	v_cndmask_b32_e64 v2, 0, 1.0, s[18:19]
	s_mov_b32 s20, 0x47800000
	v_cmp_gt_u32_e32 vcc, s20, v2
                                        ; implicit-def: $vgpr3
	s_and_saveexec_b64 s[20:21], vcc
	s_xor_b64 s[20:21], exec, s[20:21]
	s_cbranch_execz .LBB6_453
; %bb.448:
	s_mov_b32 s24, 0x387fffff
	v_cmp_lt_u32_e32 vcc, s24, v2
                                        ; implicit-def: $vgpr3
	s_and_saveexec_b64 s[24:25], vcc
	s_xor_b64 s[24:25], exec, s[24:25]
; %bb.449:
	v_bfe_u32 v3, v2, 21, 1
	s_mov_b32 s26, 0x80fffff
	v_add3_u32 v2, v2, v3, s26
	v_lshrrev_b32_e32 v3, 21, v2
                                        ; implicit-def: $vgpr2
; %bb.450:
	s_andn2_saveexec_b64 s[24:25], s[24:25]
; %bb.451:
	v_add_f32_e32 v3, 0x43000000, v2
; %bb.452:
	s_or_b64 exec, exec, s[24:25]
                                        ; implicit-def: $vgpr2
.LBB6_453:
	s_andn2_saveexec_b64 s[20:21], s[20:21]
; %bb.454:
	s_mov_b32 s24, 0x7f800000
	v_mov_b32_e32 v3, 0x7c
	v_mov_b32_e32 v5, 0x7f
	v_cmp_lt_u32_e32 vcc, s24, v2
	s_nop 1
	v_cndmask_b32_e32 v3, v3, v5, vcc
; %bb.455:
	s_or_b64 exec, exec, s[20:21]
	global_store_byte v[0:1], v3, off
.LBB6_456:
	s_mov_b64 s[24:25], 0
	s_mov_b64 s[20:21], -1
.LBB6_457:
	s_andn2_b64 vcc, exec, s[24:25]
	s_cbranch_vccnz .LBB6_465
; %bb.458:
	s_cmp_gt_i32 s29, 14
	s_mov_b64 s[24:25], -1
	s_cbranch_scc0 .LBB6_462
; %bb.459:
	s_cmp_eq_u32 s29, 15
	s_mov_b64 s[0:1], -1
	s_cbranch_scc0 .LBB6_461
; %bb.460:
	v_cndmask_b32_e64 v2, 0, 1.0, s[18:19]
	v_bfe_u32 v3, v2, 16, 1
	s_movk_i32 s0, 0x7fff
	v_add3_u32 v2, v2, v3, s0
	global_store_short_d16_hi v[0:1], v2, off
	s_mov_b64 s[20:21], -1
	s_mov_b64 s[0:1], 0
.LBB6_461:
	s_mov_b64 s[24:25], 0
.LBB6_462:
	s_and_b64 vcc, exec, s[24:25]
	s_cbranch_vccz .LBB6_465
; %bb.463:
	s_cmp_eq_u32 s29, 11
	s_mov_b64 s[0:1], -1
	s_cbranch_scc0 .LBB6_465
; %bb.464:
	v_cndmask_b32_e64 v2, 0, 1, s[18:19]
	s_mov_b64 s[20:21], -1
	s_mov_b64 s[0:1], 0
	global_store_byte v[0:1], v2, off
.LBB6_465:
.LBB6_466:
	s_mov_b64 s[18:19], 0
	s_andn2_b64 vcc, exec, s[20:21]
	s_mov_b64 s[24:25], 0
	s_cbranch_vccnz .LBB6_468
.LBB6_467:
	v_add_u32_e32 v4, 0x80, v4
	s_mov_b64 s[24:25], -1
.LBB6_468:
	s_andn2_b64 s[20:21], s[12:13], exec
	s_and_b64 s[0:1], s[0:1], exec
	s_or_b64 s[20:21], s[20:21], s[0:1]
	s_andn2_b64 s[0:1], s[14:15], exec
	s_and_b64 s[18:19], s[18:19], exec
	s_or_b64 s[18:19], s[0:1], s[18:19]
	s_orn2_b64 s[0:1], s[24:25], exec
.LBB6_469:
	s_or_b64 exec, exec, s[22:23]
	s_mov_b64 s[26:27], 0
	s_mov_b64 s[28:29], 0
	;; [unrolled: 1-line block ×3, first 2 shown]
                                        ; implicit-def: $sgpr24_sgpr25
                                        ; implicit-def: $vgpr0_vgpr1
	s_and_saveexec_b64 s[22:23], s[0:1]
	s_cbranch_execz .LBB6_776
; %bb.470:
	v_cmp_gt_i32_e32 vcc, s40, v4
	s_mov_b64 s[36:37], -1
	s_mov_b64 s[0:1], s[18:19]
	s_mov_b64 s[28:29], s[20:21]
	s_and_saveexec_b64 s[24:25], vcc
	s_cbranch_execz .LBB6_708
; %bb.471:
	v_mul_lo_u32 v0, v4, s9
	v_ashrrev_i32_e32 v1, 31, v0
	s_and_b32 s34, 0xffff, s44
	s_cmp_lt_i32 s34, 11
	v_lshl_add_u64 v[0:1], s[6:7], 0, v[0:1]
	s_cbranch_scc1 .LBB6_478
; %bb.472:
	s_cmp_gt_i32 s34, 25
	s_cbranch_scc0 .LBB6_479
; %bb.473:
	s_cmp_gt_i32 s34, 28
	s_cbranch_scc0 .LBB6_480
	;; [unrolled: 3-line block ×4, first 2 shown]
; %bb.476:
	s_cmp_eq_u32 s34, 46
	s_cbranch_scc0 .LBB6_487
; %bb.477:
	global_load_dword v2, v[0:1], off
	s_mov_b64 s[28:29], -1
	s_waitcnt vmcnt(0)
	v_and_b32_e32 v2, 0x7fff7fff, v2
	v_cmp_ne_u32_e64 s[0:1], 0, v2
	s_branch .LBB6_488
.LBB6_478:
	s_mov_b64 s[30:31], -1
	s_mov_b64 s[28:29], 0
                                        ; implicit-def: $sgpr0_sgpr1
	s_mov_b64 s[26:27], s[18:19]
	s_branch .LBB6_535
.LBB6_479:
	s_mov_b64 s[30:31], -1
	s_mov_b64 s[28:29], 0
	s_mov_b64 s[26:27], s[18:19]
                                        ; implicit-def: $sgpr0_sgpr1
	s_branch .LBB6_509
.LBB6_480:
	s_mov_b64 s[30:31], -1
	s_mov_b64 s[28:29], 0
	s_mov_b64 s[26:27], s[18:19]
                                        ; implicit-def: $sgpr0_sgpr1
	s_branch .LBB6_496
.LBB6_481:
	s_mov_b64 s[30:31], -1
	s_mov_b64 s[28:29], 0
	s_mov_b64 s[26:27], s[18:19]
                                        ; implicit-def: $sgpr0_sgpr1
	s_branch .LBB6_491
.LBB6_482:
	s_andn2_saveexec_b64 s[26:27], s[26:27]
	s_cbranch_execz .LBB6_418
.LBB6_483:
	v_add_f32_e32 v2, 0x46000000, v3
	v_and_b32_e32 v2, 0xff, v2
	v_cmp_ne_u32_e32 vcc, 0, v2
	s_andn2_b64 s[24:25], s[24:25], exec
	s_and_b64 s[30:31], vcc, exec
	s_or_b64 s[24:25], s[24:25], s[30:31]
	s_or_b64 exec, exec, s[26:27]
	v_mov_b32_e32 v5, 0
	s_and_saveexec_b64 s[26:27], s[24:25]
	s_cbranch_execnz .LBB6_419
	s_branch .LBB6_420
.LBB6_484:
	s_mov_b64 s[30:31], -1
	s_mov_b64 s[28:29], 0
	s_mov_b64 s[26:27], s[18:19]
                                        ; implicit-def: $sgpr0_sgpr1
	s_branch .LBB6_488
.LBB6_485:
	s_andn2_saveexec_b64 s[26:27], s[26:27]
	s_cbranch_execz .LBB6_431
.LBB6_486:
	v_add_f32_e32 v2, 0x42800000, v3
	v_and_b32_e32 v2, 0xff, v2
	v_cmp_ne_u32_e32 vcc, 0, v2
	s_andn2_b64 s[24:25], s[24:25], exec
	s_and_b64 s[30:31], vcc, exec
	s_or_b64 s[24:25], s[24:25], s[30:31]
	s_or_b64 exec, exec, s[26:27]
	v_mov_b32_e32 v5, 0
	s_and_saveexec_b64 s[26:27], s[24:25]
	s_cbranch_execnz .LBB6_432
	s_branch .LBB6_433
.LBB6_487:
	s_mov_b64 s[26:27], -1
                                        ; implicit-def: $sgpr0_sgpr1
	s_mov_b64 s[28:29], 0
.LBB6_488:
	s_and_b64 vcc, exec, s[30:31]
	s_cbranch_vccz .LBB6_490
; %bb.489:
	s_cmp_eq_u32 s34, 44
	s_cselect_b64 s[28:29], -1, 0
	s_or_b64 s[0:1], s[0:1], exec
	s_or_b64 s[26:27], s[26:27], exec
.LBB6_490:
	s_mov_b64 s[30:31], 0
.LBB6_491:
	s_and_b64 vcc, exec, s[30:31]
	s_cbranch_vccz .LBB6_495
; %bb.492:
	s_cmp_eq_u32 s34, 29
	s_cbranch_scc0 .LBB6_494
; %bb.493:
	global_load_dwordx2 v[2:3], v[0:1], off
	s_mov_b64 s[26:27], 0
	s_mov_b64 s[28:29], -1
	s_mov_b64 s[30:31], 0
	s_waitcnt vmcnt(0)
	v_cmp_ne_u64_e64 s[0:1], 0, v[2:3]
	s_branch .LBB6_496
.LBB6_494:
	s_mov_b64 s[26:27], -1
                                        ; implicit-def: $sgpr0_sgpr1
.LBB6_495:
	s_mov_b64 s[30:31], 0
.LBB6_496:
	s_and_b64 vcc, exec, s[30:31]
	s_cbranch_vccz .LBB6_508
; %bb.497:
	s_cmp_lt_i32 s34, 27
	s_cbranch_scc1 .LBB6_500
; %bb.498:
	s_cmp_gt_i32 s34, 27
	s_cbranch_scc0 .LBB6_501
; %bb.499:
	global_load_dword v2, v[0:1], off
	s_mov_b64 s[28:29], 0
	s_waitcnt vmcnt(0)
	v_cmp_ne_u32_e64 s[0:1], 0, v2
	s_branch .LBB6_502
.LBB6_500:
	s_mov_b64 s[28:29], -1
                                        ; implicit-def: $sgpr0_sgpr1
	s_branch .LBB6_505
.LBB6_501:
	s_mov_b64 s[28:29], -1
                                        ; implicit-def: $sgpr0_sgpr1
.LBB6_502:
	s_andn2_b64 vcc, exec, s[28:29]
	s_cbranch_vccnz .LBB6_504
; %bb.503:
	global_load_ushort v2, v[0:1], off
	s_andn2_b64 s[0:1], s[0:1], exec
	s_waitcnt vmcnt(0)
	v_cmp_ne_u16_e32 vcc, 0, v2
	s_and_b64 s[28:29], vcc, exec
	s_or_b64 s[0:1], s[0:1], s[28:29]
.LBB6_504:
	s_mov_b64 s[28:29], 0
.LBB6_505:
	s_andn2_b64 vcc, exec, s[28:29]
	s_cbranch_vccnz .LBB6_507
; %bb.506:
	global_load_ubyte v2, v[0:1], off
	s_andn2_b64 s[0:1], s[0:1], exec
	s_waitcnt vmcnt(0)
	v_cmp_ne_u16_e32 vcc, 0, v2
	s_and_b64 s[28:29], vcc, exec
	s_or_b64 s[0:1], s[0:1], s[28:29]
.LBB6_507:
	s_mov_b64 s[28:29], -1
.LBB6_508:
	s_mov_b64 s[30:31], 0
.LBB6_509:
	s_and_b64 vcc, exec, s[30:31]
	s_cbranch_vccz .LBB6_534
; %bb.510:
	s_cmp_gt_i32 s34, 22
	s_cbranch_scc0 .LBB6_514
; %bb.511:
	s_cmp_lt_i32 s34, 24
	s_cbranch_scc1 .LBB6_515
; %bb.512:
	s_cmp_gt_i32 s34, 24
	s_cbranch_scc0 .LBB6_516
; %bb.513:
	global_load_ubyte v2, v[0:1], off
	s_mov_b64 s[28:29], 0
	s_waitcnt vmcnt(0)
	v_cmp_ne_u16_e64 s[0:1], 0, v2
	s_branch .LBB6_517
.LBB6_514:
	s_mov_b64 s[30:31], -1
                                        ; implicit-def: $sgpr0_sgpr1
	s_branch .LBB6_523
.LBB6_515:
	s_mov_b64 s[28:29], -1
                                        ; implicit-def: $sgpr0_sgpr1
	s_branch .LBB6_520
.LBB6_516:
	s_mov_b64 s[28:29], -1
                                        ; implicit-def: $sgpr0_sgpr1
.LBB6_517:
	s_andn2_b64 vcc, exec, s[28:29]
	s_cbranch_vccnz .LBB6_519
; %bb.518:
	global_load_ubyte v2, v[0:1], off
	s_andn2_b64 s[0:1], s[0:1], exec
	s_waitcnt vmcnt(0)
	v_and_b32_e32 v2, 0x7f, v2
	v_cmp_ne_u16_e32 vcc, 0, v2
	s_and_b64 s[28:29], vcc, exec
	s_or_b64 s[0:1], s[0:1], s[28:29]
.LBB6_519:
	s_mov_b64 s[28:29], 0
.LBB6_520:
	s_andn2_b64 vcc, exec, s[28:29]
	s_cbranch_vccnz .LBB6_522
; %bb.521:
	global_load_ubyte v2, v[0:1], off
	s_movk_i32 s28, 0x7f00
	s_brev_b32 s29, 16
	s_andn2_b64 s[0:1], s[0:1], exec
	s_waitcnt vmcnt(0)
	v_lshlrev_b32_e32 v3, 8, v2
	v_lshlrev_b32_e32 v2, 25, v2
	v_lshrrev_b32_e32 v5, 4, v2
	v_and_or_b32 v3, v3, s28, 0.5
	v_or_b32_e32 v5, 0x70000000, v5
	v_add_f32_e32 v3, -0.5, v3
	v_mul_f32_e32 v5, 0x7800000, v5
	v_cmp_gt_u32_e32 vcc, s29, v2
	s_nop 1
	v_cndmask_b32_e32 v2, v5, v3, vcc
	v_cmp_neq_f32_e32 vcc, 0, v2
	s_and_b64 s[28:29], vcc, exec
	s_or_b64 s[0:1], s[0:1], s[28:29]
.LBB6_522:
	s_mov_b64 s[30:31], 0
	s_mov_b64 s[28:29], -1
.LBB6_523:
	s_andn2_b64 vcc, exec, s[30:31]
	s_cbranch_vccnz .LBB6_534
; %bb.524:
	s_cmp_gt_i32 s34, 14
	s_cbranch_scc0 .LBB6_527
; %bb.525:
	s_cmp_eq_u32 s34, 15
	s_cbranch_scc0 .LBB6_528
; %bb.526:
	global_load_ushort v2, v[0:1], off
	s_mov_b64 s[28:29], -1
	s_mov_b64 s[26:27], 0
	s_waitcnt vmcnt(0)
	v_and_b32_e32 v2, 0x7fff, v2
	v_cmp_ne_u16_e64 s[0:1], 0, v2
	s_branch .LBB6_529
.LBB6_527:
	s_mov_b64 s[30:31], -1
                                        ; implicit-def: $sgpr0_sgpr1
	s_branch .LBB6_530
.LBB6_528:
	s_mov_b64 s[26:27], -1
                                        ; implicit-def: $sgpr0_sgpr1
.LBB6_529:
	s_mov_b64 s[30:31], 0
.LBB6_530:
	s_and_b64 vcc, exec, s[30:31]
	s_cbranch_vccz .LBB6_534
; %bb.531:
	s_cmp_eq_u32 s34, 11
	s_cbranch_scc0 .LBB6_533
; %bb.532:
	global_load_ubyte v2, v[0:1], off
	s_mov_b64 s[28:29], -1
	s_mov_b64 s[26:27], 0
	s_waitcnt vmcnt(0)
	v_cmp_ne_u16_e64 s[0:1], 0, v2
	s_branch .LBB6_534
.LBB6_533:
	s_mov_b64 s[26:27], -1
                                        ; implicit-def: $sgpr0_sgpr1
.LBB6_534:
	s_mov_b64 s[30:31], 0
.LBB6_535:
	s_and_b64 vcc, exec, s[30:31]
	s_cbranch_vccz .LBB6_584
; %bb.536:
	s_cmp_lt_i32 s34, 5
	s_cbranch_scc1 .LBB6_541
; %bb.537:
	s_cmp_lt_i32 s34, 8
	s_cbranch_scc1 .LBB6_542
	;; [unrolled: 3-line block ×3, first 2 shown]
; %bb.539:
	s_cmp_gt_i32 s34, 9
	s_cbranch_scc0 .LBB6_544
; %bb.540:
	global_load_dwordx4 v[6:9], v[0:1], off
	s_mov_b64 s[28:29], 0
	s_waitcnt vmcnt(0)
	v_cmp_neq_f64_e32 vcc, 0, v[6:7]
	v_cmp_neq_f64_e64 s[0:1], 0, v[8:9]
	s_or_b64 s[0:1], vcc, s[0:1]
	s_branch .LBB6_545
.LBB6_541:
	s_mov_b64 s[28:29], -1
                                        ; implicit-def: $sgpr0_sgpr1
	s_branch .LBB6_563
.LBB6_542:
	s_mov_b64 s[28:29], -1
                                        ; implicit-def: $sgpr0_sgpr1
	s_branch .LBB6_551
.LBB6_543:
	s_mov_b64 s[28:29], -1
                                        ; implicit-def: $sgpr0_sgpr1
	s_branch .LBB6_548
.LBB6_544:
	s_mov_b64 s[28:29], -1
                                        ; implicit-def: $sgpr0_sgpr1
.LBB6_545:
	s_andn2_b64 vcc, exec, s[28:29]
	s_cbranch_vccnz .LBB6_547
; %bb.546:
	global_load_dwordx2 v[2:3], v[0:1], off
	s_brev_b32 s28, -2
	s_andn2_b64 s[0:1], s[0:1], exec
	s_waitcnt vmcnt(0)
	v_bitop3_b32 v2, v2, s28, v3 bitop3:0xc8
	v_cmp_ne_u32_e32 vcc, 0, v2
	s_and_b64 s[28:29], vcc, exec
	s_or_b64 s[0:1], s[0:1], s[28:29]
.LBB6_547:
	s_mov_b64 s[28:29], 0
.LBB6_548:
	s_andn2_b64 vcc, exec, s[28:29]
	s_cbranch_vccnz .LBB6_550
; %bb.549:
	global_load_dword v2, v[0:1], off
	s_andn2_b64 s[0:1], s[0:1], exec
	s_waitcnt vmcnt(0)
	v_and_b32_e32 v2, 0x7fff7fff, v2
	v_cmp_ne_u32_e32 vcc, 0, v2
	s_and_b64 s[28:29], vcc, exec
	s_or_b64 s[0:1], s[0:1], s[28:29]
.LBB6_550:
	s_mov_b64 s[28:29], 0
.LBB6_551:
	s_andn2_b64 vcc, exec, s[28:29]
	s_cbranch_vccnz .LBB6_562
; %bb.552:
	s_cmp_lt_i32 s34, 6
	s_cbranch_scc1 .LBB6_555
; %bb.553:
	s_cmp_gt_i32 s34, 6
	s_cbranch_scc0 .LBB6_556
; %bb.554:
	global_load_dwordx2 v[2:3], v[0:1], off
	s_mov_b64 s[28:29], 0
	s_waitcnt vmcnt(0)
	v_cmp_neq_f64_e64 s[0:1], 0, v[2:3]
	s_branch .LBB6_557
.LBB6_555:
	s_mov_b64 s[28:29], -1
                                        ; implicit-def: $sgpr0_sgpr1
	s_branch .LBB6_560
.LBB6_556:
	s_mov_b64 s[28:29], -1
                                        ; implicit-def: $sgpr0_sgpr1
.LBB6_557:
	s_andn2_b64 vcc, exec, s[28:29]
	s_cbranch_vccnz .LBB6_559
; %bb.558:
	global_load_dword v2, v[0:1], off
	s_andn2_b64 s[0:1], s[0:1], exec
	s_waitcnt vmcnt(0)
	v_cmp_neq_f32_e32 vcc, 0, v2
	s_and_b64 s[28:29], vcc, exec
	s_or_b64 s[0:1], s[0:1], s[28:29]
.LBB6_559:
	s_mov_b64 s[28:29], 0
.LBB6_560:
	s_andn2_b64 vcc, exec, s[28:29]
	s_cbranch_vccnz .LBB6_562
; %bb.561:
	global_load_ushort v2, v[0:1], off
	s_andn2_b64 s[0:1], s[0:1], exec
	s_waitcnt vmcnt(0)
	v_and_b32_e32 v2, 0x7fff, v2
	v_cmp_ne_u16_e32 vcc, 0, v2
	s_and_b64 s[28:29], vcc, exec
	s_or_b64 s[0:1], s[0:1], s[28:29]
.LBB6_562:
	s_mov_b64 s[28:29], 0
.LBB6_563:
	s_andn2_b64 vcc, exec, s[28:29]
	s_cbranch_vccnz .LBB6_583
; %bb.564:
	s_cmp_lt_i32 s34, 2
	s_cbranch_scc1 .LBB6_568
; %bb.565:
	s_cmp_lt_i32 s34, 3
	s_cbranch_scc1 .LBB6_569
; %bb.566:
	s_cmp_gt_i32 s34, 3
	s_cbranch_scc0 .LBB6_570
; %bb.567:
	global_load_dwordx2 v[2:3], v[0:1], off
	s_mov_b64 s[28:29], 0
	s_waitcnt vmcnt(0)
	v_cmp_ne_u64_e64 s[0:1], 0, v[2:3]
	s_branch .LBB6_571
.LBB6_568:
	s_mov_b64 s[28:29], -1
                                        ; implicit-def: $sgpr0_sgpr1
	s_branch .LBB6_577
.LBB6_569:
	s_mov_b64 s[28:29], -1
                                        ; implicit-def: $sgpr0_sgpr1
	s_branch .LBB6_574
.LBB6_570:
	s_mov_b64 s[28:29], -1
                                        ; implicit-def: $sgpr0_sgpr1
.LBB6_571:
	s_andn2_b64 vcc, exec, s[28:29]
	s_cbranch_vccnz .LBB6_573
; %bb.572:
	global_load_dword v2, v[0:1], off
	s_andn2_b64 s[0:1], s[0:1], exec
	s_waitcnt vmcnt(0)
	v_cmp_ne_u32_e32 vcc, 0, v2
	s_and_b64 s[28:29], vcc, exec
	s_or_b64 s[0:1], s[0:1], s[28:29]
.LBB6_573:
	s_mov_b64 s[28:29], 0
.LBB6_574:
	s_andn2_b64 vcc, exec, s[28:29]
	s_cbranch_vccnz .LBB6_576
; %bb.575:
	global_load_ushort v2, v[0:1], off
	s_andn2_b64 s[0:1], s[0:1], exec
	s_waitcnt vmcnt(0)
	v_cmp_ne_u16_e32 vcc, 0, v2
	s_and_b64 s[28:29], vcc, exec
	s_or_b64 s[0:1], s[0:1], s[28:29]
.LBB6_576:
	s_mov_b64 s[28:29], 0
.LBB6_577:
	s_andn2_b64 vcc, exec, s[28:29]
	s_cbranch_vccnz .LBB6_583
; %bb.578:
	s_cmp_gt_i32 s34, 0
	s_cbranch_scc0 .LBB6_580
; %bb.579:
	global_load_ubyte v2, v[0:1], off
	s_mov_b64 s[28:29], 0
	s_waitcnt vmcnt(0)
	v_cmp_ne_u16_e64 s[0:1], 0, v2
	s_branch .LBB6_581
.LBB6_580:
	s_mov_b64 s[28:29], -1
                                        ; implicit-def: $sgpr0_sgpr1
.LBB6_581:
	s_andn2_b64 vcc, exec, s[28:29]
	s_cbranch_vccnz .LBB6_583
; %bb.582:
	global_load_ubyte v0, v[0:1], off
	s_andn2_b64 s[0:1], s[0:1], exec
	s_waitcnt vmcnt(0)
	v_cmp_ne_u16_e32 vcc, 0, v0
	s_and_b64 s[28:29], vcc, exec
	s_or_b64 s[0:1], s[0:1], s[28:29]
.LBB6_583:
	s_mov_b64 s[28:29], -1
.LBB6_584:
	s_andn2_b64 vcc, exec, s[28:29]
	s_cbranch_vccnz .LBB6_592
; %bb.585:
	v_mul_lo_u32 v0, v4, s8
	s_xor_b64 s[26:27], s[0:1], -1
	v_ashrrev_i32_e32 v1, 31, v0
	s_and_b32 s36, s33, 0xff
	s_mov_b64 s[30:31], -1
	v_lshl_add_u64 v[0:1], s[4:5], 0, v[0:1]
	s_mov_b64 s[28:29], 0
	s_cmp_lt_i32 s36, 11
	s_mov_b64 s[0:1], s[20:21]
	s_cbranch_scc1 .LBB6_593
; %bb.586:
	s_and_b32 s37, 0xffff, s36
	s_cmp_gt_i32 s37, 25
	s_cbranch_scc0 .LBB6_632
; %bb.587:
	s_cmp_gt_i32 s37, 28
	s_cbranch_scc0 .LBB6_633
; %bb.588:
	;; [unrolled: 3-line block ×4, first 2 shown]
	s_mov_b64 s[30:31], 0
	s_mov_b64 s[0:1], -1
	s_cmp_eq_u32 s37, 46
	s_cbranch_scc0 .LBB6_636
; %bb.591:
	v_cndmask_b32_e64 v2, 0, 1.0, s[26:27]
	v_bfe_u32 v3, v2, 16, 1
	s_movk_i32 s0, 0x7fff
	v_add3_u32 v2, v2, v3, s0
	v_lshrrev_b32_e32 v2, 16, v2
	global_store_dword v[0:1], v2, off
	s_mov_b64 s[28:29], -1
	s_mov_b64 s[0:1], 0
	s_branch .LBB6_636
.LBB6_592:
	s_mov_b64 s[30:31], 0
	s_mov_b64 s[0:1], s[20:21]
                                        ; implicit-def: $vgpr4
	s_branch .LBB6_707
.LBB6_593:
	s_and_b64 vcc, exec, s[30:31]
	s_cbranch_vccz .LBB6_705
; %bb.594:
	s_and_b32 s30, 0xffff, s36
	s_cmp_lt_i32 s30, 5
	s_mov_b64 s[28:29], -1
	s_cbranch_scc1 .LBB6_615
; %bb.595:
	s_cmp_lt_i32 s30, 8
	s_cbranch_scc1 .LBB6_605
; %bb.596:
	s_cmp_lt_i32 s30, 9
	s_cbranch_scc1 .LBB6_602
; %bb.597:
	s_cmp_gt_i32 s30, 9
	s_cbranch_scc0 .LBB6_599
; %bb.598:
	v_cndmask_b32_e64 v2, 0, 1, s[26:27]
	v_mov_b32_e32 v8, 0
	v_cvt_f64_u32_e32 v[6:7], v2
	v_mov_b32_e32 v9, v8
	s_mov_b64 s[28:29], 0
	global_store_dwordx4 v[0:1], v[6:9], off
.LBB6_599:
	s_andn2_b64 vcc, exec, s[28:29]
	s_cbranch_vccnz .LBB6_601
; %bb.600:
	v_cndmask_b32_e64 v2, 0, 1.0, s[26:27]
	v_mov_b32_e32 v3, 0
	global_store_dwordx2 v[0:1], v[2:3], off
.LBB6_601:
	s_mov_b64 s[28:29], 0
.LBB6_602:
	s_andn2_b64 vcc, exec, s[28:29]
	s_cbranch_vccnz .LBB6_604
; %bb.603:
	v_cndmask_b32_e64 v2, 0, 1.0, s[26:27]
	v_cvt_f16_f32_e32 v2, v2
	global_store_dword v[0:1], v2, off
.LBB6_604:
	s_mov_b64 s[28:29], 0
.LBB6_605:
	s_andn2_b64 vcc, exec, s[28:29]
	s_cbranch_vccnz .LBB6_614
; %bb.606:
	s_cmp_lt_i32 s30, 6
	s_mov_b64 s[28:29], -1
	s_cbranch_scc1 .LBB6_612
; %bb.607:
	s_cmp_gt_i32 s30, 6
	s_cbranch_scc0 .LBB6_609
; %bb.608:
	v_cndmask_b32_e64 v2, 0, 1, s[26:27]
	v_cvt_f64_u32_e32 v[2:3], v2
	s_mov_b64 s[28:29], 0
	global_store_dwordx2 v[0:1], v[2:3], off
.LBB6_609:
	s_andn2_b64 vcc, exec, s[28:29]
	s_cbranch_vccnz .LBB6_611
; %bb.610:
	v_cndmask_b32_e64 v2, 0, 1.0, s[26:27]
	global_store_dword v[0:1], v2, off
.LBB6_611:
	s_mov_b64 s[28:29], 0
.LBB6_612:
	s_andn2_b64 vcc, exec, s[28:29]
	s_cbranch_vccnz .LBB6_614
; %bb.613:
	v_cndmask_b32_e64 v2, 0, 1.0, s[26:27]
	v_cvt_f16_f32_e32 v2, v2
	global_store_short v[0:1], v2, off
.LBB6_614:
	s_mov_b64 s[28:29], 0
.LBB6_615:
	s_andn2_b64 vcc, exec, s[28:29]
	s_cbranch_vccnz .LBB6_631
; %bb.616:
	s_cmp_lt_i32 s30, 2
	s_mov_b64 s[28:29], -1
	s_cbranch_scc1 .LBB6_626
; %bb.617:
	s_cmp_lt_i32 s30, 3
	s_cbranch_scc1 .LBB6_623
; %bb.618:
	s_cmp_gt_i32 s30, 3
	s_cbranch_scc0 .LBB6_620
; %bb.619:
	s_mov_b32 s28, 0
	v_cndmask_b32_e64 v2, 0, 1, s[26:27]
	v_mov_b32_e32 v3, s28
	s_mov_b64 s[28:29], 0
	global_store_dwordx2 v[0:1], v[2:3], off
.LBB6_620:
	s_andn2_b64 vcc, exec, s[28:29]
	s_cbranch_vccnz .LBB6_622
; %bb.621:
	v_cndmask_b32_e64 v2, 0, 1, s[26:27]
	global_store_dword v[0:1], v2, off
.LBB6_622:
	s_mov_b64 s[28:29], 0
.LBB6_623:
	s_andn2_b64 vcc, exec, s[28:29]
	s_cbranch_vccnz .LBB6_625
; %bb.624:
	v_cndmask_b32_e64 v2, 0, 1, s[26:27]
	global_store_short v[0:1], v2, off
.LBB6_625:
	s_mov_b64 s[28:29], 0
.LBB6_626:
	s_andn2_b64 vcc, exec, s[28:29]
	s_cbranch_vccnz .LBB6_631
; %bb.627:
	s_mov_b64 s[28:29], -1
	s_cmp_gt_i32 s30, 0
	v_cndmask_b32_e64 v2, 0, 1, s[26:27]
	s_cbranch_scc0 .LBB6_629
; %bb.628:
	s_mov_b64 s[28:29], 0
	global_store_byte v[0:1], v2, off
.LBB6_629:
	s_andn2_b64 vcc, exec, s[28:29]
	s_cbranch_vccnz .LBB6_631
; %bb.630:
	global_store_byte v[0:1], v2, off
.LBB6_631:
	s_mov_b64 s[26:27], 0
	s_mov_b64 s[30:31], 0
	s_branch .LBB6_706
.LBB6_632:
	s_mov_b64 s[0:1], s[20:21]
	s_branch .LBB6_663
.LBB6_633:
	s_mov_b64 s[0:1], s[20:21]
	s_branch .LBB6_646
.LBB6_634:
	s_mov_b64 s[0:1], s[20:21]
	s_branch .LBB6_642
.LBB6_635:
	s_mov_b64 s[0:1], s[20:21]
.LBB6_636:
	s_and_b64 vcc, exec, s[30:31]
	s_cbranch_vccz .LBB6_641
; %bb.637:
	s_cmp_eq_u32 s37, 44
	s_mov_b64 s[0:1], -1
	s_cbranch_scc0 .LBB6_641
; %bb.638:
	v_cndmask_b32_e64 v3, 0, 1.0, s[26:27]
	v_lshrrev_b32_e32 v2, 23, v3
	s_movk_i32 s0, 0xff
	v_cmp_ne_u32_e32 vcc, s0, v2
	v_mov_b32_e32 v5, 0xff
	s_and_saveexec_b64 s[28:29], vcc
; %bb.639:
	s_mov_b32 s0, 0x3fffff
	v_and_b32_e32 v5, 0x400000, v3
	v_and_or_b32 v3, v3, s0, v2
	v_cmp_ne_u32_e32 vcc, 0, v5
	v_cmp_ne_u32_e64 s[0:1], 0, v3
	s_and_b64 s[0:1], vcc, s[0:1]
	s_nop 0
	v_cndmask_b32_e64 v3, 0, 1, s[0:1]
	v_add_u32_e32 v5, v2, v3
; %bb.640:
	s_or_b64 exec, exec, s[28:29]
	s_mov_b64 s[28:29], -1
	s_mov_b64 s[0:1], 0
	global_store_byte v[0:1], v5, off
.LBB6_641:
	s_mov_b64 s[30:31], 0
.LBB6_642:
	s_and_b64 vcc, exec, s[30:31]
	s_cbranch_vccz .LBB6_645
; %bb.643:
	s_cmp_eq_u32 s37, 29
	s_mov_b64 s[0:1], -1
	s_cbranch_scc0 .LBB6_645
; %bb.644:
	s_mov_b32 s0, 0
	v_cndmask_b32_e64 v2, 0, 1, s[26:27]
	v_mov_b32_e32 v3, s0
	global_store_dwordx2 v[0:1], v[2:3], off
	s_mov_b64 s[28:29], -1
	s_mov_b64 s[0:1], 0
.LBB6_645:
	s_mov_b64 s[30:31], 0
.LBB6_646:
	s_and_b64 vcc, exec, s[30:31]
	s_cbranch_vccz .LBB6_662
; %bb.647:
	s_cmp_lt_i32 s37, 27
	s_mov_b64 s[28:29], -1
	s_cbranch_scc1 .LBB6_653
; %bb.648:
	s_cmp_gt_i32 s37, 27
	s_cbranch_scc0 .LBB6_650
; %bb.649:
	v_cndmask_b32_e64 v2, 0, 1, s[26:27]
	s_mov_b64 s[28:29], 0
	global_store_dword v[0:1], v2, off
.LBB6_650:
	s_andn2_b64 vcc, exec, s[28:29]
	s_cbranch_vccnz .LBB6_652
; %bb.651:
	v_cndmask_b32_e64 v2, 0, 1, s[26:27]
	global_store_short v[0:1], v2, off
.LBB6_652:
	s_mov_b64 s[28:29], 0
.LBB6_653:
	s_andn2_b64 vcc, exec, s[28:29]
	s_cbranch_vccnz .LBB6_661
; %bb.654:
	v_cndmask_b32_e64 v3, 0, 1.0, s[26:27]
	s_mov_b32 s28, 0x43800000
	v_cmp_gt_u32_e32 vcc, s28, v3
	v_mov_b32_e32 v5, 0x80
	s_and_saveexec_b64 s[28:29], vcc
	s_cbranch_execz .LBB6_660
; %bb.655:
	s_mov_b32 s30, 0x3bffffff
	v_cmp_lt_u32_e32 vcc, s30, v3
	s_mov_b64 s[30:31], 0
                                        ; implicit-def: $vgpr2
	s_and_saveexec_b64 s[34:35], vcc
	s_xor_b64 s[34:35], exec, s[34:35]
	s_cbranch_execz .LBB6_721
; %bb.656:
	v_bfe_u32 v2, v3, 20, 1
	s_mov_b32 s38, 0x487ffff
	v_add3_u32 v2, v3, v2, s38
	s_mov_b64 s[30:31], exec
	v_lshrrev_b32_e32 v2, 20, v2
                                        ; implicit-def: $vgpr3
	s_andn2_saveexec_b64 s[34:35], s[34:35]
	s_cbranch_execnz .LBB6_722
.LBB6_657:
	s_or_b64 exec, exec, s[34:35]
	v_mov_b32_e32 v5, 0
	s_and_saveexec_b64 s[34:35], s[30:31]
.LBB6_658:
	v_mov_b32_e32 v5, v2
.LBB6_659:
	s_or_b64 exec, exec, s[34:35]
.LBB6_660:
	s_or_b64 exec, exec, s[28:29]
	global_store_byte v[0:1], v5, off
.LBB6_661:
	s_mov_b64 s[28:29], -1
.LBB6_662:
	s_mov_b64 s[30:31], 0
.LBB6_663:
	s_and_b64 vcc, exec, s[30:31]
	s_cbranch_vccz .LBB6_704
; %bb.664:
	s_cmp_gt_i32 s37, 22
	s_mov_b64 s[30:31], -1
	s_cbranch_scc0 .LBB6_696
; %bb.665:
	s_cmp_lt_i32 s37, 24
	s_mov_b64 s[28:29], -1
	s_cbranch_scc1 .LBB6_685
; %bb.666:
	s_cmp_gt_i32 s37, 24
	s_cbranch_scc0 .LBB6_674
; %bb.667:
	v_cndmask_b32_e64 v3, 0, 1.0, s[26:27]
	s_mov_b32 s28, 0x47800000
	v_cmp_gt_u32_e32 vcc, s28, v3
	v_mov_b32_e32 v5, 0x80
	s_and_saveexec_b64 s[28:29], vcc
	s_cbranch_execz .LBB6_673
; %bb.668:
	s_mov_b32 s30, 0x37ffffff
	v_cmp_lt_u32_e32 vcc, s30, v3
	s_mov_b64 s[30:31], 0
                                        ; implicit-def: $vgpr2
	s_and_saveexec_b64 s[34:35], vcc
	s_xor_b64 s[34:35], exec, s[34:35]
	s_cbranch_execz .LBB6_724
; %bb.669:
	v_bfe_u32 v2, v3, 21, 1
	s_mov_b32 s38, 0x88fffff
	v_add3_u32 v2, v3, v2, s38
	s_mov_b64 s[30:31], exec
	v_lshrrev_b32_e32 v2, 21, v2
                                        ; implicit-def: $vgpr3
	s_andn2_saveexec_b64 s[34:35], s[34:35]
	s_cbranch_execnz .LBB6_725
.LBB6_670:
	s_or_b64 exec, exec, s[34:35]
	v_mov_b32_e32 v5, 0
	s_and_saveexec_b64 s[34:35], s[30:31]
.LBB6_671:
	v_mov_b32_e32 v5, v2
.LBB6_672:
	s_or_b64 exec, exec, s[34:35]
.LBB6_673:
	s_or_b64 exec, exec, s[28:29]
	s_mov_b64 s[28:29], 0
	global_store_byte v[0:1], v5, off
.LBB6_674:
	s_and_b64 vcc, exec, s[28:29]
	s_cbranch_vccz .LBB6_684
; %bb.675:
	v_cndmask_b32_e64 v2, 0, 1.0, s[26:27]
	s_mov_b32 s28, 0x43f00000
	v_cmp_gt_u32_e32 vcc, s28, v2
                                        ; implicit-def: $vgpr3
	s_and_saveexec_b64 s[28:29], vcc
	s_xor_b64 s[28:29], exec, s[28:29]
	s_cbranch_execz .LBB6_681
; %bb.676:
	s_mov_b32 s30, 0x3c7fffff
	v_cmp_lt_u32_e32 vcc, s30, v2
                                        ; implicit-def: $vgpr3
	s_and_saveexec_b64 s[30:31], vcc
	s_xor_b64 s[30:31], exec, s[30:31]
; %bb.677:
	v_bfe_u32 v3, v2, 20, 1
	s_mov_b32 s34, 0x407ffff
	v_add3_u32 v2, v2, v3, s34
	v_lshrrev_b32_e32 v3, 20, v2
	v_and_b32_e32 v2, 0xff00000, v2
	s_mov_b32 s34, 0x7f00000
	v_mov_b32_e32 v5, 0x7e
	v_cmp_ne_u32_e32 vcc, s34, v2
                                        ; implicit-def: $vgpr2
	s_nop 1
	v_cndmask_b32_e32 v3, v5, v3, vcc
; %bb.678:
	s_andn2_saveexec_b64 s[30:31], s[30:31]
; %bb.679:
	v_add_f32_e32 v3, 0x46800000, v2
; %bb.680:
	s_or_b64 exec, exec, s[30:31]
                                        ; implicit-def: $vgpr2
.LBB6_681:
	s_andn2_saveexec_b64 s[28:29], s[28:29]
; %bb.682:
	s_mov_b32 s30, 0x7f800000
	v_mov_b32_e32 v3, 0x7e
	v_mov_b32_e32 v5, 0x7f
	v_cmp_lt_u32_e32 vcc, s30, v2
	s_nop 1
	v_cndmask_b32_e32 v3, v3, v5, vcc
; %bb.683:
	s_or_b64 exec, exec, s[28:29]
	global_store_byte v[0:1], v3, off
.LBB6_684:
	s_mov_b64 s[28:29], 0
.LBB6_685:
	s_andn2_b64 vcc, exec, s[28:29]
	s_cbranch_vccnz .LBB6_695
; %bb.686:
	v_cndmask_b32_e64 v2, 0, 1.0, s[26:27]
	s_mov_b32 s28, 0x47800000
	v_cmp_gt_u32_e32 vcc, s28, v2
                                        ; implicit-def: $vgpr3
	s_and_saveexec_b64 s[28:29], vcc
	s_xor_b64 s[28:29], exec, s[28:29]
	s_cbranch_execz .LBB6_692
; %bb.687:
	s_mov_b32 s30, 0x387fffff
	v_cmp_lt_u32_e32 vcc, s30, v2
                                        ; implicit-def: $vgpr3
	s_and_saveexec_b64 s[30:31], vcc
	s_xor_b64 s[30:31], exec, s[30:31]
; %bb.688:
	v_bfe_u32 v3, v2, 21, 1
	s_mov_b32 s34, 0x80fffff
	v_add3_u32 v2, v2, v3, s34
	v_lshrrev_b32_e32 v3, 21, v2
                                        ; implicit-def: $vgpr2
; %bb.689:
	s_andn2_saveexec_b64 s[30:31], s[30:31]
; %bb.690:
	v_add_f32_e32 v3, 0x43000000, v2
; %bb.691:
	s_or_b64 exec, exec, s[30:31]
                                        ; implicit-def: $vgpr2
.LBB6_692:
	s_andn2_saveexec_b64 s[28:29], s[28:29]
; %bb.693:
	s_mov_b32 s30, 0x7f800000
	v_mov_b32_e32 v3, 0x7c
	v_mov_b32_e32 v5, 0x7f
	v_cmp_lt_u32_e32 vcc, s30, v2
	s_nop 1
	v_cndmask_b32_e32 v3, v3, v5, vcc
; %bb.694:
	s_or_b64 exec, exec, s[28:29]
	global_store_byte v[0:1], v3, off
.LBB6_695:
	s_mov_b64 s[30:31], 0
	s_mov_b64 s[28:29], -1
.LBB6_696:
	s_andn2_b64 vcc, exec, s[30:31]
	s_cbranch_vccnz .LBB6_704
; %bb.697:
	s_cmp_gt_i32 s37, 14
	s_mov_b64 s[30:31], -1
	s_cbranch_scc0 .LBB6_701
; %bb.698:
	s_cmp_eq_u32 s37, 15
	s_mov_b64 s[0:1], -1
	s_cbranch_scc0 .LBB6_700
; %bb.699:
	v_cndmask_b32_e64 v2, 0, 1.0, s[26:27]
	v_bfe_u32 v3, v2, 16, 1
	s_movk_i32 s0, 0x7fff
	v_add3_u32 v2, v2, v3, s0
	global_store_short_d16_hi v[0:1], v2, off
	s_mov_b64 s[28:29], -1
	s_mov_b64 s[0:1], 0
.LBB6_700:
	s_mov_b64 s[30:31], 0
.LBB6_701:
	s_and_b64 vcc, exec, s[30:31]
	s_cbranch_vccz .LBB6_704
; %bb.702:
	s_cmp_eq_u32 s37, 11
	s_mov_b64 s[0:1], -1
	s_cbranch_scc0 .LBB6_704
; %bb.703:
	v_cndmask_b32_e64 v2, 0, 1, s[26:27]
	s_mov_b64 s[28:29], -1
	s_mov_b64 s[0:1], 0
	global_store_byte v[0:1], v2, off
.LBB6_704:
.LBB6_705:
	s_mov_b64 s[26:27], 0
	s_andn2_b64 vcc, exec, s[28:29]
	s_mov_b64 s[30:31], 0
	s_cbranch_vccnz .LBB6_707
.LBB6_706:
	v_add_u32_e32 v4, 0x80, v4
	s_mov_b64 s[30:31], -1
.LBB6_707:
	s_andn2_b64 s[28:29], s[20:21], exec
	s_and_b64 s[0:1], s[0:1], exec
	s_or_b64 s[28:29], s[28:29], s[0:1]
	s_andn2_b64 s[0:1], s[18:19], exec
	s_and_b64 s[26:27], s[26:27], exec
	s_or_b64 s[0:1], s[0:1], s[26:27]
	s_orn2_b64 s[36:37], s[30:31], exec
.LBB6_708:
	s_or_b64 exec, exec, s[24:25]
	s_mov_b64 s[34:35], 0
	s_mov_b64 s[38:39], 0
	;; [unrolled: 1-line block ×3, first 2 shown]
                                        ; implicit-def: $sgpr24_sgpr25
                                        ; implicit-def: $vgpr0_vgpr1
	s_and_saveexec_b64 s[26:27], s[36:37]
	s_cbranch_execz .LBB6_775
; %bb.709:
	v_cmp_gt_i32_e32 vcc, s40, v4
	s_mov_b64 s[36:37], 0
	s_mov_b64 s[40:41], s[0:1]
	s_mov_b64 s[42:43], 0
                                        ; implicit-def: $sgpr24_sgpr25
                                        ; implicit-def: $vgpr0_vgpr1
	s_and_saveexec_b64 s[30:31], vcc
	s_cbranch_execz .LBB6_774
; %bb.710:
	v_mul_lo_u32 v0, v4, s9
	v_ashrrev_i32_e32 v1, 31, v0
	s_and_b32 s42, 0xffff, s44
	s_cmp_lt_i32 s42, 11
	v_lshl_add_u64 v[0:1], s[6:7], 0, v[0:1]
	s_cbranch_scc1 .LBB6_717
; %bb.711:
	s_cmp_gt_i32 s42, 25
	s_cbranch_scc0 .LBB6_718
; %bb.712:
	s_cmp_gt_i32 s42, 28
	s_cbranch_scc0 .LBB6_719
	;; [unrolled: 3-line block ×4, first 2 shown]
; %bb.715:
	s_cmp_eq_u32 s42, 46
	s_mov_b64 s[40:41], 0
	s_cbranch_scc0 .LBB6_726
; %bb.716:
	global_load_dword v2, v[0:1], off
	s_mov_b64 s[38:39], -1
	s_waitcnt vmcnt(0)
	v_and_b32_e32 v2, 0x7fff7fff, v2
	v_cmp_ne_u32_e64 s[24:25], 0, v2
	s_branch .LBB6_728
.LBB6_717:
	s_mov_b64 s[40:41], -1
                                        ; implicit-def: $sgpr24_sgpr25
	s_mov_b64 s[34:35], s[0:1]
	s_branch .LBB6_773
.LBB6_718:
	s_mov_b64 s[40:41], -1
	s_mov_b64 s[34:35], s[0:1]
                                        ; implicit-def: $sgpr24_sgpr25
	s_branch .LBB6_749
.LBB6_719:
	s_mov_b64 s[40:41], -1
	s_mov_b64 s[34:35], s[0:1]
                                        ; implicit-def: $sgpr24_sgpr25
	s_branch .LBB6_736
.LBB6_720:
	s_mov_b64 s[40:41], -1
	s_mov_b64 s[34:35], s[0:1]
                                        ; implicit-def: $sgpr24_sgpr25
	s_branch .LBB6_731
.LBB6_721:
	s_andn2_saveexec_b64 s[34:35], s[34:35]
	s_cbranch_execz .LBB6_657
.LBB6_722:
	v_add_f32_e32 v2, 0x46000000, v3
	v_and_b32_e32 v2, 0xff, v2
	v_cmp_ne_u32_e32 vcc, 0, v2
	s_andn2_b64 s[30:31], s[30:31], exec
	s_and_b64 s[38:39], vcc, exec
	s_or_b64 s[30:31], s[30:31], s[38:39]
	s_or_b64 exec, exec, s[34:35]
	v_mov_b32_e32 v5, 0
	s_and_saveexec_b64 s[34:35], s[30:31]
	s_cbranch_execnz .LBB6_658
	s_branch .LBB6_659
.LBB6_723:
	s_mov_b64 s[40:41], -1
	s_mov_b64 s[34:35], s[0:1]
	s_branch .LBB6_727
.LBB6_724:
	s_andn2_saveexec_b64 s[34:35], s[34:35]
	s_cbranch_execz .LBB6_670
.LBB6_725:
	v_add_f32_e32 v2, 0x42800000, v3
	v_and_b32_e32 v2, 0xff, v2
	v_cmp_ne_u32_e32 vcc, 0, v2
	s_andn2_b64 s[30:31], s[30:31], exec
	s_and_b64 s[38:39], vcc, exec
	s_or_b64 s[30:31], s[30:31], s[38:39]
	s_or_b64 exec, exec, s[34:35]
	v_mov_b32_e32 v5, 0
	s_and_saveexec_b64 s[34:35], s[30:31]
	s_cbranch_execnz .LBB6_671
	s_branch .LBB6_672
.LBB6_726:
	s_mov_b64 s[34:35], -1
.LBB6_727:
                                        ; implicit-def: $sgpr24_sgpr25
.LBB6_728:
	s_and_b64 vcc, exec, s[40:41]
	s_cbranch_vccz .LBB6_730
; %bb.729:
	s_cmp_lg_u32 s42, 44
	s_cselect_b64 s[40:41], -1, 0
	s_andn2_b64 s[34:35], s[34:35], exec
	s_and_b64 s[40:41], s[40:41], exec
	s_mov_b64 s[38:39], -1
	s_or_b64 s[24:25], s[24:25], exec
	s_or_b64 s[34:35], s[34:35], s[40:41]
.LBB6_730:
	s_mov_b64 s[40:41], 0
.LBB6_731:
	s_and_b64 vcc, exec, s[40:41]
	s_cbranch_vccz .LBB6_735
; %bb.732:
	s_cmp_eq_u32 s42, 29
	s_cbranch_scc0 .LBB6_734
; %bb.733:
	global_load_dwordx2 v[2:3], v[0:1], off
	s_mov_b64 s[34:35], 0
	s_mov_b64 s[38:39], -1
	s_mov_b64 s[40:41], 0
	s_waitcnt vmcnt(0)
	v_cmp_ne_u64_e64 s[24:25], 0, v[2:3]
	s_branch .LBB6_736
.LBB6_734:
	s_mov_b64 s[34:35], -1
                                        ; implicit-def: $sgpr24_sgpr25
.LBB6_735:
	s_mov_b64 s[40:41], 0
.LBB6_736:
	s_and_b64 vcc, exec, s[40:41]
	s_cbranch_vccz .LBB6_748
; %bb.737:
	s_cmp_lt_i32 s42, 27
	s_cbranch_scc1 .LBB6_740
; %bb.738:
	s_cmp_gt_i32 s42, 27
	s_cbranch_scc0 .LBB6_741
; %bb.739:
	global_load_dword v2, v[0:1], off
	s_mov_b64 s[38:39], 0
	s_waitcnt vmcnt(0)
	v_cmp_ne_u32_e64 s[24:25], 0, v2
	s_branch .LBB6_742
.LBB6_740:
	s_mov_b64 s[38:39], -1
                                        ; implicit-def: $sgpr24_sgpr25
	s_branch .LBB6_745
.LBB6_741:
	s_mov_b64 s[38:39], -1
                                        ; implicit-def: $sgpr24_sgpr25
.LBB6_742:
	s_andn2_b64 vcc, exec, s[38:39]
	s_cbranch_vccnz .LBB6_744
; %bb.743:
	global_load_ushort v2, v[0:1], off
	s_andn2_b64 s[24:25], s[24:25], exec
	s_waitcnt vmcnt(0)
	v_cmp_ne_u16_e32 vcc, 0, v2
	s_and_b64 s[38:39], vcc, exec
	s_or_b64 s[24:25], s[24:25], s[38:39]
.LBB6_744:
	s_mov_b64 s[38:39], 0
.LBB6_745:
	s_andn2_b64 vcc, exec, s[38:39]
	s_cbranch_vccnz .LBB6_747
; %bb.746:
	global_load_ubyte v2, v[0:1], off
	s_andn2_b64 s[24:25], s[24:25], exec
	s_waitcnt vmcnt(0)
	v_cmp_ne_u16_e32 vcc, 0, v2
	s_and_b64 s[38:39], vcc, exec
	s_or_b64 s[24:25], s[24:25], s[38:39]
.LBB6_747:
	s_mov_b64 s[38:39], -1
.LBB6_748:
	s_mov_b64 s[40:41], 0
.LBB6_749:
	s_and_b64 vcc, exec, s[40:41]
	s_cbranch_vccz .LBB6_772
; %bb.750:
	s_cmp_gt_i32 s42, 22
	s_cbranch_scc0 .LBB6_754
; %bb.751:
	s_cmp_lt_i32 s42, 24
	s_cbranch_scc1 .LBB6_755
; %bb.752:
	s_cmp_gt_i32 s42, 24
	s_cbranch_scc0 .LBB6_756
; %bb.753:
	global_load_ubyte v2, v[0:1], off
	s_waitcnt vmcnt(0)
	v_cmp_ne_u16_e64 s[24:25], 0, v2
	s_branch .LBB6_757
.LBB6_754:
	s_mov_b64 s[36:37], -1
                                        ; implicit-def: $sgpr24_sgpr25
	s_branch .LBB6_763
.LBB6_755:
	s_mov_b64 s[36:37], -1
                                        ; implicit-def: $sgpr24_sgpr25
	s_branch .LBB6_760
.LBB6_756:
	s_mov_b64 s[36:37], -1
                                        ; implicit-def: $sgpr24_sgpr25
.LBB6_757:
	s_andn2_b64 vcc, exec, s[36:37]
	s_cbranch_vccnz .LBB6_759
; %bb.758:
	global_load_ubyte v2, v[0:1], off
	s_andn2_b64 s[24:25], s[24:25], exec
	s_waitcnt vmcnt(0)
	v_and_b32_e32 v2, 0x7f, v2
	v_cmp_ne_u16_e32 vcc, 0, v2
	s_and_b64 s[36:37], vcc, exec
	s_or_b64 s[24:25], s[24:25], s[36:37]
.LBB6_759:
	s_mov_b64 s[36:37], 0
.LBB6_760:
	s_andn2_b64 vcc, exec, s[36:37]
	s_cbranch_vccnz .LBB6_762
; %bb.761:
	global_load_ubyte v2, v[0:1], off
	s_movk_i32 s36, 0x7f00
	s_brev_b32 s37, 16
	s_andn2_b64 s[24:25], s[24:25], exec
	s_waitcnt vmcnt(0)
	v_lshlrev_b32_e32 v3, 8, v2
	v_lshlrev_b32_e32 v2, 25, v2
	v_lshrrev_b32_e32 v5, 4, v2
	v_and_or_b32 v3, v3, s36, 0.5
	v_or_b32_e32 v5, 0x70000000, v5
	v_add_f32_e32 v3, -0.5, v3
	v_mul_f32_e32 v5, 0x7800000, v5
	v_cmp_gt_u32_e32 vcc, s37, v2
	s_nop 1
	v_cndmask_b32_e32 v2, v5, v3, vcc
	v_cmp_neq_f32_e32 vcc, 0, v2
	s_and_b64 s[36:37], vcc, exec
	s_or_b64 s[24:25], s[24:25], s[36:37]
.LBB6_762:
	s_mov_b64 s[36:37], 0
	s_mov_b64 s[38:39], -1
.LBB6_763:
	s_andn2_b64 vcc, exec, s[36:37]
	s_mov_b64 s[36:37], 0
	s_cbranch_vccnz .LBB6_772
; %bb.764:
	s_cmp_gt_i32 s42, 14
	s_cbranch_scc0 .LBB6_767
; %bb.765:
	s_cmp_eq_u32 s42, 15
	s_cbranch_scc0 .LBB6_768
; %bb.766:
	global_load_ushort v2, v[0:1], off
	s_mov_b64 s[34:35], 0
	s_mov_b64 s[38:39], -1
	s_waitcnt vmcnt(0)
	v_and_b32_e32 v2, 0x7fff, v2
	v_cmp_ne_u16_e64 s[24:25], 0, v2
	s_branch .LBB6_769
.LBB6_767:
	s_mov_b64 s[40:41], -1
                                        ; implicit-def: $sgpr24_sgpr25
	s_branch .LBB6_770
.LBB6_768:
	s_mov_b64 s[34:35], -1
                                        ; implicit-def: $sgpr24_sgpr25
.LBB6_769:
	s_mov_b64 s[40:41], 0
.LBB6_770:
	s_and_b64 vcc, exec, s[40:41]
	s_cbranch_vccz .LBB6_772
; %bb.771:
	s_cmp_lg_u32 s42, 11
	s_cselect_b64 s[40:41], -1, 0
	s_andn2_b64 s[34:35], s[34:35], exec
	s_and_b64 s[40:41], s[40:41], exec
	s_mov_b64 s[36:37], -1
	s_or_b64 s[34:35], s[34:35], s[40:41]
.LBB6_772:
	s_mov_b64 s[40:41], 0
.LBB6_773:
	s_and_b64 s[42:43], s[38:39], exec
	s_and_b64 s[38:39], s[40:41], exec
	s_andn2_b64 s[40:41], s[0:1], exec
	s_and_b64 s[34:35], s[34:35], exec
	s_and_b64 s[36:37], s[36:37], exec
	s_or_b64 s[40:41], s[40:41], s[34:35]
.LBB6_774:
	s_or_b64 exec, exec, s[30:31]
	s_and_b64 s[34:35], s[36:37], exec
	s_andn2_b64 s[0:1], s[0:1], exec
	s_and_b64 s[36:37], s[40:41], exec
	s_and_b64 s[30:31], s[42:43], exec
	;; [unrolled: 1-line block ×3, first 2 shown]
	s_or_b64 s[0:1], s[0:1], s[36:37]
.LBB6_775:
	s_or_b64 exec, exec, s[26:27]
	s_andn2_b64 s[20:21], s[20:21], exec
	s_and_b64 s[26:27], s[28:29], exec
	s_andn2_b64 s[18:19], s[18:19], exec
	s_and_b64 s[0:1], s[0:1], exec
	s_or_b64 s[20:21], s[20:21], s[26:27]
	s_and_b64 s[30:31], s[30:31], exec
	s_and_b64 s[28:29], s[38:39], exec
	;; [unrolled: 1-line block ×3, first 2 shown]
	s_or_b64 s[18:19], s[18:19], s[0:1]
.LBB6_776:
	s_or_b64 exec, exec, s[22:23]
	s_andn2_b64 s[0:1], s[12:13], exec
	s_and_b64 s[12:13], s[20:21], exec
	s_andn2_b64 s[14:15], s[14:15], exec
	s_and_b64 s[18:19], s[18:19], exec
	s_or_b64 s[12:13], s[0:1], s[12:13]
	s_and_b64 s[22:23], s[30:31], exec
	s_and_b64 s[0:1], s[28:29], exec
	;; [unrolled: 1-line block ×3, first 2 shown]
	s_or_b64 s[14:15], s[14:15], s[18:19]
	s_or_b64 exec, exec, s[16:17]
	s_mov_b64 s[16:17], 0
	s_and_saveexec_b64 s[18:19], s[14:15]
	s_cbranch_execz .LBB6_238
.LBB6_777:
	s_mov_b64 s[16:17], exec
	s_andn2_b64 s[22:23], s[22:23], exec
	s_andn2_b64 s[20:21], s[20:21], exec
	s_trap 2
	s_or_b64 exec, exec, s[18:19]
	s_and_saveexec_b64 s[14:15], s[20:21]
	s_xor_b64 s[14:15], exec, s[14:15]
	s_cbranch_execnz .LBB6_239
.LBB6_778:
	s_or_b64 exec, exec, s[14:15]
	s_and_saveexec_b64 s[14:15], s[0:1]
	s_cbranch_execz .LBB6_824
.LBB6_779:
	s_sext_i32_i16 s0, s44
	s_cmp_lt_i32 s0, 5
	s_cbranch_scc1 .LBB6_784
; %bb.780:
	s_cmp_lt_i32 s0, 8
	s_cbranch_scc1 .LBB6_785
; %bb.781:
	;; [unrolled: 3-line block ×3, first 2 shown]
	s_cmp_gt_i32 s0, 9
	s_cbranch_scc0 .LBB6_787
; %bb.783:
	global_load_dwordx4 v[6:9], v[0:1], off
	s_mov_b64 s[18:19], 0
	s_waitcnt vmcnt(0)
	v_cmp_neq_f64_e32 vcc, 0, v[6:7]
	v_cmp_neq_f64_e64 s[0:1], 0, v[8:9]
	s_or_b64 s[0:1], vcc, s[0:1]
	s_branch .LBB6_788
.LBB6_784:
                                        ; implicit-def: $sgpr0_sgpr1
	s_branch .LBB6_805
.LBB6_785:
                                        ; implicit-def: $sgpr0_sgpr1
	s_branch .LBB6_794
.LBB6_786:
	s_mov_b64 s[18:19], -1
                                        ; implicit-def: $sgpr0_sgpr1
	s_branch .LBB6_791
.LBB6_787:
	s_mov_b64 s[18:19], -1
                                        ; implicit-def: $sgpr0_sgpr1
.LBB6_788:
	s_andn2_b64 vcc, exec, s[18:19]
	s_cbranch_vccnz .LBB6_790
; %bb.789:
	global_load_dwordx2 v[2:3], v[0:1], off
	s_brev_b32 s18, -2
	s_andn2_b64 s[0:1], s[0:1], exec
	s_waitcnt vmcnt(0)
	v_bitop3_b32 v2, v2, s18, v3 bitop3:0xc8
	v_cmp_ne_u32_e32 vcc, 0, v2
	s_and_b64 s[18:19], vcc, exec
	s_or_b64 s[0:1], s[0:1], s[18:19]
.LBB6_790:
	s_mov_b64 s[18:19], 0
.LBB6_791:
	s_andn2_b64 vcc, exec, s[18:19]
	s_cbranch_vccnz .LBB6_793
; %bb.792:
	global_load_dword v2, v[0:1], off
	s_andn2_b64 s[0:1], s[0:1], exec
	s_waitcnt vmcnt(0)
	v_and_b32_e32 v2, 0x7fff7fff, v2
	v_cmp_ne_u32_e32 vcc, 0, v2
	s_and_b64 s[18:19], vcc, exec
	s_or_b64 s[0:1], s[0:1], s[18:19]
.LBB6_793:
	s_cbranch_execnz .LBB6_804
.LBB6_794:
	s_sext_i32_i16 s0, s44
	s_cmp_lt_i32 s0, 6
	s_cbranch_scc1 .LBB6_797
; %bb.795:
	s_cmp_gt_i32 s0, 6
	s_cbranch_scc0 .LBB6_798
; %bb.796:
	global_load_dwordx2 v[2:3], v[0:1], off
	s_mov_b64 s[18:19], 0
	s_waitcnt vmcnt(0)
	v_cmp_neq_f64_e64 s[0:1], 0, v[2:3]
	s_branch .LBB6_799
.LBB6_797:
	s_mov_b64 s[18:19], -1
                                        ; implicit-def: $sgpr0_sgpr1
	s_branch .LBB6_802
.LBB6_798:
	s_mov_b64 s[18:19], -1
                                        ; implicit-def: $sgpr0_sgpr1
.LBB6_799:
	s_andn2_b64 vcc, exec, s[18:19]
	s_cbranch_vccnz .LBB6_801
; %bb.800:
	global_load_dword v2, v[0:1], off
	s_andn2_b64 s[0:1], s[0:1], exec
	s_waitcnt vmcnt(0)
	v_cmp_neq_f32_e32 vcc, 0, v2
	s_and_b64 s[18:19], vcc, exec
	s_or_b64 s[0:1], s[0:1], s[18:19]
.LBB6_801:
	s_mov_b64 s[18:19], 0
.LBB6_802:
	s_andn2_b64 vcc, exec, s[18:19]
	s_cbranch_vccnz .LBB6_804
; %bb.803:
	global_load_ushort v2, v[0:1], off
	s_andn2_b64 s[0:1], s[0:1], exec
	s_waitcnt vmcnt(0)
	v_and_b32_e32 v2, 0x7fff, v2
	v_cmp_ne_u16_e32 vcc, 0, v2
	s_and_b64 s[18:19], vcc, exec
	s_or_b64 s[0:1], s[0:1], s[18:19]
.LBB6_804:
	s_cbranch_execnz .LBB6_823
.LBB6_805:
	s_sext_i32_i16 s0, s44
	s_cmp_lt_i32 s0, 2
	s_cbranch_scc1 .LBB6_809
; %bb.806:
	s_cmp_lt_i32 s0, 3
	s_cbranch_scc1 .LBB6_810
; %bb.807:
	s_cmp_gt_i32 s0, 3
	s_cbranch_scc0 .LBB6_811
; %bb.808:
	global_load_dwordx2 v[2:3], v[0:1], off
	s_mov_b64 s[18:19], 0
	s_waitcnt vmcnt(0)
	v_cmp_ne_u64_e64 s[0:1], 0, v[2:3]
	s_branch .LBB6_812
.LBB6_809:
                                        ; implicit-def: $sgpr0_sgpr1
	s_branch .LBB6_818
.LBB6_810:
	s_mov_b64 s[18:19], -1
                                        ; implicit-def: $sgpr0_sgpr1
	s_branch .LBB6_815
.LBB6_811:
	s_mov_b64 s[18:19], -1
                                        ; implicit-def: $sgpr0_sgpr1
.LBB6_812:
	s_andn2_b64 vcc, exec, s[18:19]
	s_cbranch_vccnz .LBB6_814
; %bb.813:
	global_load_dword v2, v[0:1], off
	s_andn2_b64 s[0:1], s[0:1], exec
	s_waitcnt vmcnt(0)
	v_cmp_ne_u32_e32 vcc, 0, v2
	s_and_b64 s[18:19], vcc, exec
	s_or_b64 s[0:1], s[0:1], s[18:19]
.LBB6_814:
	s_mov_b64 s[18:19], 0
.LBB6_815:
	s_andn2_b64 vcc, exec, s[18:19]
	s_cbranch_vccnz .LBB6_817
; %bb.816:
	global_load_ushort v2, v[0:1], off
	s_andn2_b64 s[0:1], s[0:1], exec
	s_waitcnt vmcnt(0)
	v_cmp_ne_u16_e32 vcc, 0, v2
	s_and_b64 s[18:19], vcc, exec
	s_or_b64 s[0:1], s[0:1], s[18:19]
.LBB6_817:
	s_cbranch_execnz .LBB6_823
.LBB6_818:
	s_sext_i32_i16 s0, s44
	s_cmp_gt_i32 s0, 0
	s_cbranch_scc0 .LBB6_820
; %bb.819:
	global_load_ubyte v2, v[0:1], off
	s_mov_b64 s[18:19], 0
	s_waitcnt vmcnt(0)
	v_cmp_ne_u16_e64 s[0:1], 0, v2
	s_branch .LBB6_821
.LBB6_820:
	s_mov_b64 s[18:19], -1
                                        ; implicit-def: $sgpr0_sgpr1
.LBB6_821:
	s_andn2_b64 vcc, exec, s[18:19]
	s_cbranch_vccnz .LBB6_823
; %bb.822:
	global_load_ubyte v0, v[0:1], off
	s_andn2_b64 s[0:1], s[0:1], exec
	s_waitcnt vmcnt(0)
	v_cmp_ne_u16_e32 vcc, 0, v0
	s_and_b64 s[18:19], vcc, exec
	s_or_b64 s[0:1], s[0:1], s[18:19]
.LBB6_823:
	s_andn2_b64 s[18:19], s[24:25], exec
	s_and_b64 s[0:1], s[0:1], exec
	s_or_b64 s[24:25], s[18:19], s[0:1]
	s_or_b64 s[22:23], s[22:23], exec
.LBB6_824:
	s_or_b64 exec, exec, s[14:15]
	s_mov_b64 s[26:27], 0
	s_mov_b64 s[20:21], 0
                                        ; implicit-def: $sgpr14_sgpr15
                                        ; implicit-def: $sgpr28
                                        ; implicit-def: $vgpr0_vgpr1
	s_and_saveexec_b64 s[18:19], s[22:23]
	s_cbranch_execz .LBB6_899
; %bb.825:
	v_mul_lo_u32 v0, v4, s8
	s_xor_b64 s[14:15], s[24:25], -1
	v_ashrrev_i32_e32 v1, 31, v0
	s_and_b32 s28, s33, 0xff
	s_mov_b64 s[20:21], -1
	v_lshl_add_u64 v[0:1], s[4:5], 0, v[0:1]
	s_mov_b64 s[22:23], 0
	s_cmp_lt_i32 s28, 11
	s_mov_b64 s[0:1], s[12:13]
	s_cbranch_scc1 .LBB6_903
; %bb.826:
	s_and_b32 s29, 0xffff, s28
	s_mov_b64 s[22:23], -1
	s_cmp_gt_i32 s29, 25
	s_mov_b64 s[0:1], s[12:13]
	s_cbranch_scc0 .LBB6_859
; %bb.827:
	s_cmp_gt_i32 s29, 28
	s_mov_b64 s[0:1], s[12:13]
	s_cbranch_scc0 .LBB6_843
; %bb.828:
	;; [unrolled: 4-line block ×4, first 2 shown]
	s_cmp_eq_u32 s29, 46
	s_mov_b64 s[0:1], -1
	s_cbranch_scc0 .LBB6_832
; %bb.831:
	v_cndmask_b32_e64 v2, 0, 1.0, s[14:15]
	v_bfe_u32 v3, v2, 16, 1
	s_movk_i32 s0, 0x7fff
	v_add3_u32 v2, v2, v3, s0
	v_lshrrev_b32_e32 v2, 16, v2
	global_store_dword v[0:1], v2, off
	s_mov_b64 s[0:1], 0
.LBB6_832:
	s_mov_b64 s[20:21], 0
.LBB6_833:
	s_and_b64 vcc, exec, s[20:21]
	s_cbranch_vccz .LBB6_838
; %bb.834:
	s_cmp_eq_u32 s29, 44
	s_mov_b64 s[0:1], -1
	s_cbranch_scc0 .LBB6_838
; %bb.835:
	v_cndmask_b32_e64 v3, 0, 1.0, s[14:15]
	v_lshrrev_b32_e32 v2, 23, v3
	s_movk_i32 s0, 0xff
	v_cmp_ne_u32_e32 vcc, s0, v2
	v_mov_b32_e32 v4, 0xff
	s_and_saveexec_b64 s[20:21], vcc
; %bb.836:
	s_mov_b32 s0, 0x3fffff
	v_and_b32_e32 v4, 0x400000, v3
	v_and_or_b32 v3, v3, s0, v2
	v_cmp_ne_u32_e32 vcc, 0, v4
	v_cmp_ne_u32_e64 s[0:1], 0, v3
	s_and_b64 s[0:1], vcc, s[0:1]
	s_nop 0
	v_cndmask_b32_e64 v3, 0, 1, s[0:1]
	v_add_u32_e32 v4, v2, v3
; %bb.837:
	s_or_b64 exec, exec, s[20:21]
	global_store_byte v[0:1], v4, off
	s_mov_b64 s[0:1], 0
.LBB6_838:
	s_mov_b64 s[20:21], 0
.LBB6_839:
	s_and_b64 vcc, exec, s[20:21]
	s_cbranch_vccz .LBB6_842
; %bb.840:
	s_cmp_eq_u32 s29, 29
	s_mov_b64 s[0:1], -1
	s_cbranch_scc0 .LBB6_842
; %bb.841:
	s_mov_b32 s0, 0
	v_cndmask_b32_e64 v2, 0, 1, s[14:15]
	v_mov_b32_e32 v3, s0
	global_store_dwordx2 v[0:1], v[2:3], off
	s_mov_b64 s[0:1], 0
.LBB6_842:
	s_mov_b64 s[20:21], 0
.LBB6_843:
	s_and_b64 vcc, exec, s[20:21]
	s_cbranch_vccz .LBB6_858
; %bb.844:
	s_cmp_lt_i32 s29, 27
	s_mov_b64 s[20:21], -1
	s_cbranch_scc1 .LBB6_850
; %bb.845:
	s_cmp_gt_i32 s29, 27
	v_cndmask_b32_e64 v2, 0, 1, s[14:15]
	s_cbranch_scc0 .LBB6_847
; %bb.846:
	s_mov_b64 s[20:21], 0
	global_store_dword v[0:1], v2, off
.LBB6_847:
	s_andn2_b64 vcc, exec, s[20:21]
	s_cbranch_vccnz .LBB6_849
; %bb.848:
	global_store_short v[0:1], v2, off
.LBB6_849:
	s_mov_b64 s[20:21], 0
.LBB6_850:
	s_andn2_b64 vcc, exec, s[20:21]
	s_cbranch_vccnz .LBB6_858
; %bb.851:
	v_cndmask_b32_e64 v3, 0, 1.0, s[14:15]
	s_mov_b32 s20, 0x43800000
	v_cmp_gt_u32_e32 vcc, s20, v3
	v_mov_b32_e32 v4, 0x80
	s_and_saveexec_b64 s[20:21], vcc
	s_cbranch_execz .LBB6_857
; %bb.852:
	s_mov_b32 s22, 0x3bffffff
	v_cmp_lt_u32_e32 vcc, s22, v3
	s_mov_b64 s[22:23], 0
                                        ; implicit-def: $vgpr2
	s_and_saveexec_b64 s[24:25], vcc
	s_xor_b64 s[24:25], exec, s[24:25]
	s_cbranch_execz .LBB6_958
; %bb.853:
	v_bfe_u32 v2, v3, 20, 1
	s_mov_b32 s26, 0x487ffff
	v_add3_u32 v2, v3, v2, s26
	s_mov_b64 s[22:23], exec
	v_lshrrev_b32_e32 v2, 20, v2
                                        ; implicit-def: $vgpr3
	s_andn2_saveexec_b64 s[24:25], s[24:25]
	s_cbranch_execnz .LBB6_959
.LBB6_854:
	s_or_b64 exec, exec, s[24:25]
	v_mov_b32_e32 v4, 0
	s_and_saveexec_b64 s[24:25], s[22:23]
.LBB6_855:
	v_mov_b32_e32 v4, v2
.LBB6_856:
	s_or_b64 exec, exec, s[24:25]
.LBB6_857:
	s_or_b64 exec, exec, s[20:21]
	global_store_byte v[0:1], v4, off
.LBB6_858:
	s_mov_b64 s[22:23], 0
.LBB6_859:
	s_mov_b64 s[20:21], 0
	s_and_b64 vcc, exec, s[22:23]
	s_cbranch_vccz .LBB6_902
; %bb.860:
	s_cmp_gt_i32 s29, 22
	s_mov_b64 s[22:23], -1
	s_cbranch_scc0 .LBB6_892
; %bb.861:
	s_cmp_lt_i32 s29, 24
	s_cbranch_scc1 .LBB6_881
; %bb.862:
	s_cmp_gt_i32 s29, 24
	s_cbranch_scc0 .LBB6_870
; %bb.863:
	v_cndmask_b32_e64 v3, 0, 1.0, s[14:15]
	s_mov_b32 s22, 0x47800000
	v_cmp_gt_u32_e32 vcc, s22, v3
	v_mov_b32_e32 v4, 0x80
	s_and_saveexec_b64 s[22:23], vcc
	s_cbranch_execz .LBB6_869
; %bb.864:
	s_mov_b32 s24, 0x37ffffff
	v_cmp_lt_u32_e32 vcc, s24, v3
	s_mov_b64 s[24:25], 0
                                        ; implicit-def: $vgpr2
	s_and_saveexec_b64 s[26:27], vcc
	s_xor_b64 s[26:27], exec, s[26:27]
	s_cbranch_execz .LBB6_1066
; %bb.865:
	v_bfe_u32 v2, v3, 21, 1
	s_mov_b32 s30, 0x88fffff
	v_add3_u32 v2, v3, v2, s30
	s_mov_b64 s[24:25], exec
	v_lshrrev_b32_e32 v2, 21, v2
                                        ; implicit-def: $vgpr3
	s_andn2_saveexec_b64 s[26:27], s[26:27]
	s_cbranch_execnz .LBB6_1067
.LBB6_866:
	s_or_b64 exec, exec, s[26:27]
	v_mov_b32_e32 v4, 0
	s_and_saveexec_b64 s[26:27], s[24:25]
.LBB6_867:
	v_mov_b32_e32 v4, v2
.LBB6_868:
	s_or_b64 exec, exec, s[26:27]
.LBB6_869:
	s_or_b64 exec, exec, s[22:23]
	s_mov_b64 s[22:23], 0
	global_store_byte v[0:1], v4, off
.LBB6_870:
	s_and_b64 vcc, exec, s[22:23]
	s_cbranch_vccz .LBB6_880
; %bb.871:
	v_cndmask_b32_e64 v2, 0, 1.0, s[14:15]
	s_mov_b32 s22, 0x43f00000
	v_cmp_gt_u32_e32 vcc, s22, v2
                                        ; implicit-def: $vgpr3
	s_and_saveexec_b64 s[22:23], vcc
	s_xor_b64 s[22:23], exec, s[22:23]
	s_cbranch_execz .LBB6_877
; %bb.872:
	s_mov_b32 s24, 0x3c7fffff
	v_cmp_lt_u32_e32 vcc, s24, v2
                                        ; implicit-def: $vgpr3
	s_and_saveexec_b64 s[24:25], vcc
	s_xor_b64 s[24:25], exec, s[24:25]
; %bb.873:
	v_bfe_u32 v3, v2, 20, 1
	s_mov_b32 s26, 0x407ffff
	v_add3_u32 v2, v2, v3, s26
	v_lshrrev_b32_e32 v3, 20, v2
	v_and_b32_e32 v2, 0xff00000, v2
	s_mov_b32 s26, 0x7f00000
	v_mov_b32_e32 v4, 0x7e
	v_cmp_ne_u32_e32 vcc, s26, v2
                                        ; implicit-def: $vgpr2
	s_nop 1
	v_cndmask_b32_e32 v3, v4, v3, vcc
; %bb.874:
	s_andn2_saveexec_b64 s[24:25], s[24:25]
; %bb.875:
	v_add_f32_e32 v3, 0x46800000, v2
; %bb.876:
	s_or_b64 exec, exec, s[24:25]
                                        ; implicit-def: $vgpr2
.LBB6_877:
	s_andn2_saveexec_b64 s[22:23], s[22:23]
; %bb.878:
	s_mov_b32 s24, 0x7f800000
	v_mov_b32_e32 v3, 0x7e
	v_mov_b32_e32 v4, 0x7f
	v_cmp_lt_u32_e32 vcc, s24, v2
	s_nop 1
	v_cndmask_b32_e32 v3, v3, v4, vcc
; %bb.879:
	s_or_b64 exec, exec, s[22:23]
	global_store_byte v[0:1], v3, off
.LBB6_880:
	s_mov_b64 s[22:23], 0
.LBB6_881:
	s_andn2_b64 vcc, exec, s[22:23]
	s_cbranch_vccnz .LBB6_891
; %bb.882:
	v_cndmask_b32_e64 v2, 0, 1.0, s[14:15]
	s_mov_b32 s22, 0x47800000
	v_cmp_gt_u32_e32 vcc, s22, v2
                                        ; implicit-def: $vgpr3
	s_and_saveexec_b64 s[22:23], vcc
	s_xor_b64 s[22:23], exec, s[22:23]
	s_cbranch_execz .LBB6_888
; %bb.883:
	s_mov_b32 s24, 0x387fffff
	v_cmp_lt_u32_e32 vcc, s24, v2
                                        ; implicit-def: $vgpr3
	s_and_saveexec_b64 s[24:25], vcc
	s_xor_b64 s[24:25], exec, s[24:25]
; %bb.884:
	v_bfe_u32 v3, v2, 21, 1
	s_mov_b32 s26, 0x80fffff
	v_add3_u32 v2, v2, v3, s26
	v_lshrrev_b32_e32 v3, 21, v2
                                        ; implicit-def: $vgpr2
; %bb.885:
	s_andn2_saveexec_b64 s[24:25], s[24:25]
; %bb.886:
	v_add_f32_e32 v3, 0x43000000, v2
; %bb.887:
	s_or_b64 exec, exec, s[24:25]
                                        ; implicit-def: $vgpr2
.LBB6_888:
	s_andn2_saveexec_b64 s[22:23], s[22:23]
; %bb.889:
	s_mov_b32 s24, 0x7f800000
	v_mov_b32_e32 v3, 0x7c
	v_mov_b32_e32 v4, 0x7f
	v_cmp_lt_u32_e32 vcc, s24, v2
	s_nop 1
	v_cndmask_b32_e32 v3, v3, v4, vcc
; %bb.890:
	s_or_b64 exec, exec, s[22:23]
	global_store_byte v[0:1], v3, off
.LBB6_891:
	s_mov_b64 s[22:23], 0
.LBB6_892:
	s_andn2_b64 vcc, exec, s[22:23]
	s_mov_b64 s[22:23], 0
	s_cbranch_vccnz .LBB6_903
; %bb.893:
	s_cmp_gt_i32 s29, 14
	s_mov_b64 s[24:25], -1
	s_cbranch_scc0 .LBB6_897
; %bb.894:
	s_cmp_eq_u32 s29, 15
	s_mov_b64 s[0:1], -1
	s_cbranch_scc0 .LBB6_896
; %bb.895:
	v_cndmask_b32_e64 v2, 0, 1.0, s[14:15]
	v_bfe_u32 v3, v2, 16, 1
	s_movk_i32 s0, 0x7fff
	v_add3_u32 v2, v2, v3, s0
	global_store_short_d16_hi v[0:1], v2, off
	s_mov_b64 s[0:1], 0
.LBB6_896:
	s_mov_b64 s[24:25], 0
.LBB6_897:
	s_and_b64 vcc, exec, s[24:25]
	s_cbranch_vccz .LBB6_903
; %bb.898:
	s_cmp_lg_u32 s29, 11
	s_cselect_b64 s[24:25], -1, 0
	s_andn2_b64 s[0:1], s[0:1], exec
	s_and_b64 s[24:25], s[24:25], exec
	s_mov_b64 s[22:23], -1
	s_or_b64 s[0:1], s[0:1], s[24:25]
	s_branch .LBB6_903
.LBB6_899:
	s_or_b64 exec, exec, s[18:19]
	s_and_saveexec_b64 s[0:1], s[12:13]
	s_cbranch_execnz .LBB6_904
.LBB6_900:
	s_or_b64 exec, exec, s[0:1]
	s_and_saveexec_b64 s[0:1], s[26:27]
	s_xor_b64 s[0:1], exec, s[0:1]
	s_cbranch_execz .LBB6_905
.LBB6_901:
	v_cndmask_b32_e64 v2, 0, 1, s[14:15]
	global_store_byte v[0:1], v2, off
	s_or_b64 exec, exec, s[0:1]
	s_and_saveexec_b64 s[0:1], s[20:21]
	s_xor_b64 s[0:1], exec, s[0:1]
	s_cbranch_execz .LBB6_943
	s_branch .LBB6_906
.LBB6_902:
	s_mov_b64 s[22:23], 0
.LBB6_903:
	s_andn2_b64 s[12:13], s[12:13], exec
	s_and_b64 s[0:1], s[0:1], exec
	s_and_b64 s[20:21], s[20:21], exec
	;; [unrolled: 1-line block ×3, first 2 shown]
	s_or_b64 s[12:13], s[12:13], s[0:1]
	s_or_b64 exec, exec, s[18:19]
	s_and_saveexec_b64 s[0:1], s[12:13]
	s_cbranch_execz .LBB6_900
.LBB6_904:
	s_or_b64 s[16:17], s[16:17], exec
	s_andn2_b64 s[26:27], s[26:27], exec
	s_trap 2
	s_or_b64 exec, exec, s[0:1]
	s_and_saveexec_b64 s[0:1], s[26:27]
	s_xor_b64 s[0:1], exec, s[0:1]
	s_cbranch_execnz .LBB6_901
.LBB6_905:
	s_or_b64 exec, exec, s[0:1]
	s_and_saveexec_b64 s[0:1], s[20:21]
	s_xor_b64 s[0:1], exec, s[0:1]
	s_cbranch_execz .LBB6_943
.LBB6_906:
	s_sext_i32_i16 s18, s28
	s_cmp_lt_i32 s18, 5
	s_mov_b64 s[12:13], -1
	s_cbranch_scc1 .LBB6_927
; %bb.907:
	s_cmp_lt_i32 s18, 8
	s_cbranch_scc1 .LBB6_917
; %bb.908:
	s_cmp_lt_i32 s18, 9
	s_cbranch_scc1 .LBB6_914
; %bb.909:
	s_cmp_gt_i32 s18, 9
	s_cbranch_scc0 .LBB6_911
; %bb.910:
	v_cndmask_b32_e64 v2, 0, 1, s[14:15]
	v_mov_b32_e32 v4, 0
	v_cvt_f64_u32_e32 v[2:3], v2
	v_mov_b32_e32 v5, v4
	s_mov_b64 s[12:13], 0
	global_store_dwordx4 v[0:1], v[2:5], off
.LBB6_911:
	s_andn2_b64 vcc, exec, s[12:13]
	s_cbranch_vccnz .LBB6_913
; %bb.912:
	v_cndmask_b32_e64 v2, 0, 1.0, s[14:15]
	v_mov_b32_e32 v3, 0
	global_store_dwordx2 v[0:1], v[2:3], off
.LBB6_913:
	s_mov_b64 s[12:13], 0
.LBB6_914:
	s_andn2_b64 vcc, exec, s[12:13]
	s_cbranch_vccnz .LBB6_916
; %bb.915:
	v_cndmask_b32_e64 v2, 0, 1.0, s[14:15]
	v_cvt_f16_f32_e32 v2, v2
	global_store_dword v[0:1], v2, off
.LBB6_916:
	s_mov_b64 s[12:13], 0
.LBB6_917:
	s_andn2_b64 vcc, exec, s[12:13]
	s_cbranch_vccnz .LBB6_926
; %bb.918:
	s_sext_i32_i16 s18, s28
	s_cmp_lt_i32 s18, 6
	s_mov_b64 s[12:13], -1
	s_cbranch_scc1 .LBB6_924
; %bb.919:
	s_cmp_gt_i32 s18, 6
	s_cbranch_scc0 .LBB6_921
; %bb.920:
	v_cndmask_b32_e64 v2, 0, 1, s[14:15]
	v_cvt_f64_u32_e32 v[2:3], v2
	s_mov_b64 s[12:13], 0
	global_store_dwordx2 v[0:1], v[2:3], off
.LBB6_921:
	s_andn2_b64 vcc, exec, s[12:13]
	s_cbranch_vccnz .LBB6_923
; %bb.922:
	v_cndmask_b32_e64 v2, 0, 1.0, s[14:15]
	global_store_dword v[0:1], v2, off
.LBB6_923:
	s_mov_b64 s[12:13], 0
.LBB6_924:
	s_andn2_b64 vcc, exec, s[12:13]
	s_cbranch_vccnz .LBB6_926
; %bb.925:
	v_cndmask_b32_e64 v2, 0, 1.0, s[14:15]
	v_cvt_f16_f32_e32 v2, v2
	global_store_short v[0:1], v2, off
.LBB6_926:
	s_mov_b64 s[12:13], 0
.LBB6_927:
	s_andn2_b64 vcc, exec, s[12:13]
	s_cbranch_vccnz .LBB6_943
; %bb.928:
	s_sext_i32_i16 s18, s28
	s_cmp_lt_i32 s18, 2
	s_mov_b64 s[12:13], -1
	s_cbranch_scc1 .LBB6_938
; %bb.929:
	s_cmp_lt_i32 s18, 3
	s_cbranch_scc1 .LBB6_935
; %bb.930:
	s_cmp_gt_i32 s18, 3
	s_cbranch_scc0 .LBB6_932
; %bb.931:
	s_mov_b32 s12, 0
	v_cndmask_b32_e64 v2, 0, 1, s[14:15]
	v_mov_b32_e32 v3, s12
	s_mov_b64 s[12:13], 0
	global_store_dwordx2 v[0:1], v[2:3], off
.LBB6_932:
	s_andn2_b64 vcc, exec, s[12:13]
	s_cbranch_vccnz .LBB6_934
; %bb.933:
	v_cndmask_b32_e64 v2, 0, 1, s[14:15]
	global_store_dword v[0:1], v2, off
.LBB6_934:
	s_mov_b64 s[12:13], 0
.LBB6_935:
	s_andn2_b64 vcc, exec, s[12:13]
	s_cbranch_vccnz .LBB6_937
; %bb.936:
	v_cndmask_b32_e64 v2, 0, 1, s[14:15]
	global_store_short v[0:1], v2, off
.LBB6_937:
	s_mov_b64 s[12:13], 0
.LBB6_938:
	s_andn2_b64 vcc, exec, s[12:13]
	s_cbranch_vccnz .LBB6_943
; %bb.939:
	s_sext_i32_i16 s18, s28
	s_mov_b64 s[12:13], -1
	s_cmp_gt_i32 s18, 0
	v_cndmask_b32_e64 v2, 0, 1, s[14:15]
	s_cbranch_scc0 .LBB6_941
; %bb.940:
	s_mov_b64 s[12:13], 0
	global_store_byte v[0:1], v2, off
.LBB6_941:
	s_andn2_b64 vcc, exec, s[12:13]
	s_cbranch_vccnz .LBB6_943
; %bb.942:
	global_store_byte v[0:1], v2, off
.LBB6_943:
	s_or_b64 exec, exec, s[0:1]
	s_and_b64 s[12:13], s[16:17], exec
                                        ; implicit-def: $vgpr4
.LBB6_944:
	s_or_saveexec_b64 s[2:3], s[2:3]
	s_mov_b64 s[0:1], 0
                                        ; implicit-def: $sgpr16_sgpr17
                                        ; implicit-def: $sgpr28
                                        ; implicit-def: $vgpr0_vgpr1
	s_xor_b64 exec, exec, s[2:3]
	s_cbranch_execz .LBB6_1818
; %bb.945:
	v_mul_lo_u32 v0, s9, v4
	v_ashrrev_i32_e32 v1, 31, v0
	s_and_b32 s26, 0xffff, s44
	s_cmp_lt_i32 s26, 11
	v_lshl_add_u64 v[2:3], s[6:7], 0, v[0:1]
	s_cbranch_scc1 .LBB6_952
; %bb.946:
	s_cmp_gt_i32 s26, 25
	s_mov_b64 s[16:17], 0
	s_cbranch_scc0 .LBB6_954
; %bb.947:
	s_cmp_gt_i32 s26, 28
	s_cbranch_scc0 .LBB6_955
; %bb.948:
	s_cmp_gt_i32 s26, 43
	s_cbranch_scc0 .LBB6_956
; %bb.949:
	s_cmp_gt_i32 s26, 45
	s_cbranch_scc0 .LBB6_957
; %bb.950:
	s_cmp_eq_u32 s26, 46
	s_mov_b64 s[14:15], 0
	s_cbranch_scc0 .LBB6_960
; %bb.951:
	global_load_dword v1, v[2:3], off
	s_mov_b64 s[10:11], -1
	s_waitcnt vmcnt(0)
	v_and_b32_e32 v1, 0x7fff7fff, v1
	v_cmp_ne_u32_e64 s[18:19], 0, v1
	s_branch .LBB6_962
.LBB6_952:
                                        ; implicit-def: $sgpr18_sgpr19
	s_mov_b64 s[14:15], s[12:13]
	s_cbranch_execnz .LBB6_1007
.LBB6_953:
	s_andn2_b64 vcc, exec, s[10:11]
	s_cbranch_vccz .LBB6_1052
	s_branch .LBB6_1816
.LBB6_954:
                                        ; implicit-def: $sgpr18_sgpr19
	s_cbranch_execnz .LBB6_982
	s_branch .LBB6_1003
.LBB6_955:
	s_mov_b64 s[14:15], -1
                                        ; implicit-def: $sgpr18_sgpr19
	s_branch .LBB6_969
.LBB6_956:
                                        ; implicit-def: $sgpr18_sgpr19
	s_cbranch_execnz .LBB6_965
	s_branch .LBB6_968
.LBB6_957:
	s_mov_b64 s[14:15], -1
	s_branch .LBB6_961
.LBB6_958:
	s_andn2_saveexec_b64 s[24:25], s[24:25]
	s_cbranch_execz .LBB6_854
.LBB6_959:
	v_add_f32_e32 v2, 0x46000000, v3
	v_and_b32_e32 v2, 0xff, v2
	v_cmp_ne_u32_e32 vcc, 0, v2
	s_andn2_b64 s[22:23], s[22:23], exec
	s_and_b64 s[26:27], vcc, exec
	s_or_b64 s[22:23], s[22:23], s[26:27]
	s_or_b64 exec, exec, s[24:25]
	v_mov_b32_e32 v4, 0
	s_and_saveexec_b64 s[24:25], s[22:23]
	s_cbranch_execnz .LBB6_855
	s_branch .LBB6_856
.LBB6_960:
	s_mov_b64 s[0:1], -1
.LBB6_961:
                                        ; implicit-def: $sgpr18_sgpr19
.LBB6_962:
	s_and_b64 vcc, exec, s[14:15]
	s_cbranch_vccz .LBB6_964
; %bb.963:
	s_cmp_lg_u32 s26, 44
	s_mov_b64 s[10:11], -1
	s_cselect_b64 s[0:1], -1, 0
	s_or_b64 s[18:19], s[18:19], exec
.LBB6_964:
	s_branch .LBB6_968
.LBB6_965:
	s_cmp_eq_u32 s26, 29
	s_cbranch_scc0 .LBB6_967
; %bb.966:
	global_load_dwordx2 v[6:7], v[2:3], off
	s_mov_b64 s[0:1], 0
	s_mov_b64 s[10:11], -1
	s_mov_b64 s[14:15], 0
	s_waitcnt vmcnt(0)
	v_cmp_ne_u64_e64 s[18:19], 0, v[6:7]
	s_branch .LBB6_969
.LBB6_967:
	s_mov_b64 s[0:1], -1
                                        ; implicit-def: $sgpr18_sgpr19
.LBB6_968:
	s_mov_b64 s[14:15], 0
.LBB6_969:
	s_and_b64 vcc, exec, s[14:15]
	s_cbranch_vccz .LBB6_981
; %bb.970:
	s_cmp_lt_i32 s26, 27
	s_cbranch_scc1 .LBB6_973
; %bb.971:
	s_cmp_gt_i32 s26, 27
	s_cbranch_scc0 .LBB6_974
; %bb.972:
	global_load_dword v1, v[2:3], off
	s_mov_b64 s[10:11], 0
	s_waitcnt vmcnt(0)
	v_cmp_ne_u32_e64 s[18:19], 0, v1
	s_branch .LBB6_975
.LBB6_973:
	s_mov_b64 s[10:11], -1
                                        ; implicit-def: $sgpr18_sgpr19
	s_branch .LBB6_978
.LBB6_974:
	s_mov_b64 s[10:11], -1
                                        ; implicit-def: $sgpr18_sgpr19
.LBB6_975:
	s_andn2_b64 vcc, exec, s[10:11]
	s_cbranch_vccnz .LBB6_977
; %bb.976:
	global_load_ushort v1, v[2:3], off
	s_andn2_b64 s[10:11], s[18:19], exec
	s_waitcnt vmcnt(0)
	v_cmp_ne_u16_e32 vcc, 0, v1
	s_and_b64 s[14:15], vcc, exec
	s_or_b64 s[18:19], s[10:11], s[14:15]
.LBB6_977:
	s_mov_b64 s[10:11], 0
.LBB6_978:
	s_andn2_b64 vcc, exec, s[10:11]
	s_cbranch_vccnz .LBB6_980
; %bb.979:
	global_load_ubyte v1, v[2:3], off
	s_andn2_b64 s[10:11], s[18:19], exec
	s_waitcnt vmcnt(0)
	v_cmp_ne_u16_e32 vcc, 0, v1
	s_and_b64 s[14:15], vcc, exec
	s_or_b64 s[18:19], s[10:11], s[14:15]
.LBB6_980:
	s_mov_b64 s[10:11], -1
.LBB6_981:
	s_branch .LBB6_1003
.LBB6_982:
	s_cmp_gt_i32 s26, 22
	s_cbranch_scc0 .LBB6_986
; %bb.983:
	s_cmp_lt_i32 s26, 24
	s_cbranch_scc1 .LBB6_987
; %bb.984:
	s_cmp_gt_i32 s26, 24
	s_cbranch_scc0 .LBB6_988
; %bb.985:
	global_load_ubyte v1, v[2:3], off
	s_mov_b64 s[10:11], 0
	s_waitcnt vmcnt(0)
	v_cmp_ne_u16_e64 s[18:19], 0, v1
	s_branch .LBB6_989
.LBB6_986:
                                        ; implicit-def: $sgpr18_sgpr19
	s_branch .LBB6_995
.LBB6_987:
	s_mov_b64 s[10:11], -1
                                        ; implicit-def: $sgpr18_sgpr19
	s_branch .LBB6_992
.LBB6_988:
	s_mov_b64 s[10:11], -1
                                        ; implicit-def: $sgpr18_sgpr19
.LBB6_989:
	s_andn2_b64 vcc, exec, s[10:11]
	s_cbranch_vccnz .LBB6_991
; %bb.990:
	global_load_ubyte v1, v[2:3], off
	s_andn2_b64 s[10:11], s[18:19], exec
	s_waitcnt vmcnt(0)
	v_and_b32_e32 v1, 0x7f, v1
	v_cmp_ne_u16_e32 vcc, 0, v1
	s_and_b64 s[14:15], vcc, exec
	s_or_b64 s[18:19], s[10:11], s[14:15]
.LBB6_991:
	s_mov_b64 s[10:11], 0
.LBB6_992:
	s_andn2_b64 vcc, exec, s[10:11]
	s_cbranch_vccnz .LBB6_994
; %bb.993:
	global_load_ubyte v1, v[2:3], off
	s_movk_i32 s10, 0x7f00
	s_brev_b32 s11, 16
	s_waitcnt vmcnt(0)
	v_lshlrev_b32_e32 v5, 8, v1
	v_lshlrev_b32_e32 v1, 25, v1
	v_lshrrev_b32_e32 v6, 4, v1
	v_and_or_b32 v5, v5, s10, 0.5
	v_or_b32_e32 v6, 0x70000000, v6
	v_add_f32_e32 v5, -0.5, v5
	v_mul_f32_e32 v6, 0x7800000, v6
	v_cmp_gt_u32_e32 vcc, s11, v1
	s_andn2_b64 s[10:11], s[18:19], exec
	s_nop 0
	v_cndmask_b32_e32 v1, v6, v5, vcc
	v_cmp_neq_f32_e32 vcc, 0, v1
	s_and_b64 s[14:15], vcc, exec
	s_or_b64 s[18:19], s[10:11], s[14:15]
.LBB6_994:
	s_mov_b64 s[10:11], -1
	s_cbranch_execnz .LBB6_1003
.LBB6_995:
	s_cmp_gt_i32 s26, 14
	s_cbranch_scc0 .LBB6_998
; %bb.996:
	s_cmp_eq_u32 s26, 15
	s_cbranch_scc0 .LBB6_999
; %bb.997:
	global_load_ushort v1, v[2:3], off
	s_mov_b64 s[0:1], 0
	s_mov_b64 s[10:11], -1
	s_waitcnt vmcnt(0)
	v_and_b32_e32 v1, 0x7fff, v1
	v_cmp_ne_u16_e64 s[18:19], 0, v1
	s_branch .LBB6_1000
.LBB6_998:
	s_mov_b64 s[14:15], -1
                                        ; implicit-def: $sgpr18_sgpr19
	s_branch .LBB6_1001
.LBB6_999:
	s_mov_b64 s[0:1], -1
                                        ; implicit-def: $sgpr18_sgpr19
.LBB6_1000:
	s_mov_b64 s[14:15], 0
.LBB6_1001:
	s_and_b64 vcc, exec, s[14:15]
	s_cbranch_vccz .LBB6_1003
; %bb.1002:
	s_cmp_lg_u32 s26, 11
	s_mov_b64 s[16:17], -1
	s_cselect_b64 s[0:1], -1, 0
.LBB6_1003:
	s_and_b64 vcc, exec, s[0:1]
	s_mov_b64 s[14:15], s[12:13]
	s_cbranch_vccnz .LBB6_1064
; %bb.1004:
	s_andn2_b64 vcc, exec, s[16:17]
	s_cbranch_vccnz .LBB6_1006
.LBB6_1005:
	global_load_ubyte v1, v[2:3], off
	s_andn2_b64 s[0:1], s[18:19], exec
	s_mov_b64 s[10:11], -1
	s_waitcnt vmcnt(0)
	v_cmp_ne_u16_e32 vcc, 0, v1
	s_and_b64 s[16:17], vcc, exec
	s_or_b64 s[18:19], s[0:1], s[16:17]
.LBB6_1006:
	s_branch .LBB6_953
.LBB6_1007:
	s_cmp_lt_i32 s26, 5
	s_cbranch_scc1 .LBB6_1012
; %bb.1008:
	s_cmp_lt_i32 s26, 8
	s_cbranch_scc1 .LBB6_1013
; %bb.1009:
	;; [unrolled: 3-line block ×3, first 2 shown]
	s_cmp_gt_i32 s26, 9
	s_cbranch_scc0 .LBB6_1015
; %bb.1011:
	global_load_dwordx4 v[6:9], v[2:3], off
	s_mov_b64 s[10:11], 0
	s_waitcnt vmcnt(0)
	v_cmp_neq_f64_e32 vcc, 0, v[6:7]
	v_cmp_neq_f64_e64 s[0:1], 0, v[8:9]
	s_or_b64 s[18:19], vcc, s[0:1]
	s_branch .LBB6_1016
.LBB6_1012:
                                        ; implicit-def: $sgpr18_sgpr19
	s_branch .LBB6_1033
.LBB6_1013:
                                        ; implicit-def: $sgpr18_sgpr19
	s_branch .LBB6_1022
.LBB6_1014:
	s_mov_b64 s[0:1], -1
                                        ; implicit-def: $sgpr18_sgpr19
	s_branch .LBB6_1019
.LBB6_1015:
	s_mov_b64 s[10:11], -1
                                        ; implicit-def: $sgpr18_sgpr19
.LBB6_1016:
	s_andn2_b64 vcc, exec, s[10:11]
	s_cbranch_vccnz .LBB6_1018
; %bb.1017:
	global_load_dwordx2 v[6:7], v[2:3], off
	s_brev_b32 s0, -2
	s_waitcnt vmcnt(0)
	v_bitop3_b32 v1, v6, s0, v7 bitop3:0xc8
	v_cmp_ne_u32_e32 vcc, 0, v1
	s_andn2_b64 s[0:1], s[18:19], exec
	s_and_b64 s[10:11], vcc, exec
	s_or_b64 s[18:19], s[0:1], s[10:11]
.LBB6_1018:
	s_mov_b64 s[0:1], 0
.LBB6_1019:
	s_andn2_b64 vcc, exec, s[0:1]
	s_cbranch_vccnz .LBB6_1021
; %bb.1020:
	global_load_dword v1, v[2:3], off
	s_andn2_b64 s[0:1], s[18:19], exec
	s_waitcnt vmcnt(0)
	v_and_b32_e32 v1, 0x7fff7fff, v1
	v_cmp_ne_u32_e32 vcc, 0, v1
	s_and_b64 s[10:11], vcc, exec
	s_or_b64 s[18:19], s[0:1], s[10:11]
.LBB6_1021:
	s_cbranch_execnz .LBB6_1032
.LBB6_1022:
	s_cmp_lt_i32 s26, 6
	s_cbranch_scc1 .LBB6_1025
; %bb.1023:
	s_cmp_gt_i32 s26, 6
	s_cbranch_scc0 .LBB6_1026
; %bb.1024:
	global_load_dwordx2 v[6:7], v[2:3], off
	s_mov_b64 s[0:1], 0
	s_waitcnt vmcnt(0)
	v_cmp_neq_f64_e64 s[18:19], 0, v[6:7]
	s_branch .LBB6_1027
.LBB6_1025:
	s_mov_b64 s[0:1], -1
                                        ; implicit-def: $sgpr18_sgpr19
	s_branch .LBB6_1030
.LBB6_1026:
	s_mov_b64 s[0:1], -1
                                        ; implicit-def: $sgpr18_sgpr19
.LBB6_1027:
	s_andn2_b64 vcc, exec, s[0:1]
	s_cbranch_vccnz .LBB6_1029
; %bb.1028:
	global_load_dword v1, v[2:3], off
	s_andn2_b64 s[0:1], s[18:19], exec
	s_waitcnt vmcnt(0)
	v_cmp_neq_f32_e32 vcc, 0, v1
	s_and_b64 s[10:11], vcc, exec
	s_or_b64 s[18:19], s[0:1], s[10:11]
.LBB6_1029:
	s_mov_b64 s[0:1], 0
.LBB6_1030:
	s_andn2_b64 vcc, exec, s[0:1]
	s_cbranch_vccnz .LBB6_1032
; %bb.1031:
	global_load_ushort v1, v[2:3], off
	s_andn2_b64 s[0:1], s[18:19], exec
	s_waitcnt vmcnt(0)
	v_and_b32_e32 v1, 0x7fff, v1
	v_cmp_ne_u16_e32 vcc, 0, v1
	s_and_b64 s[10:11], vcc, exec
	s_or_b64 s[18:19], s[0:1], s[10:11]
.LBB6_1032:
	s_cbranch_execnz .LBB6_1051
.LBB6_1033:
	s_cmp_lt_i32 s26, 2
	s_cbranch_scc1 .LBB6_1037
; %bb.1034:
	s_cmp_lt_i32 s26, 3
	s_cbranch_scc1 .LBB6_1038
; %bb.1035:
	s_cmp_gt_i32 s26, 3
	s_cbranch_scc0 .LBB6_1039
; %bb.1036:
	global_load_dwordx2 v[6:7], v[2:3], off
	s_mov_b64 s[0:1], 0
	s_waitcnt vmcnt(0)
	v_cmp_ne_u64_e64 s[18:19], 0, v[6:7]
	s_branch .LBB6_1040
.LBB6_1037:
                                        ; implicit-def: $sgpr18_sgpr19
	s_branch .LBB6_1046
.LBB6_1038:
	s_mov_b64 s[0:1], -1
                                        ; implicit-def: $sgpr18_sgpr19
	s_branch .LBB6_1043
.LBB6_1039:
	s_mov_b64 s[0:1], -1
                                        ; implicit-def: $sgpr18_sgpr19
.LBB6_1040:
	s_andn2_b64 vcc, exec, s[0:1]
	s_cbranch_vccnz .LBB6_1042
; %bb.1041:
	global_load_dword v1, v[2:3], off
	s_andn2_b64 s[0:1], s[18:19], exec
	s_waitcnt vmcnt(0)
	v_cmp_ne_u32_e32 vcc, 0, v1
	s_and_b64 s[10:11], vcc, exec
	s_or_b64 s[18:19], s[0:1], s[10:11]
.LBB6_1042:
	s_mov_b64 s[0:1], 0
.LBB6_1043:
	s_andn2_b64 vcc, exec, s[0:1]
	s_cbranch_vccnz .LBB6_1045
; %bb.1044:
	global_load_ushort v1, v[2:3], off
	s_andn2_b64 s[0:1], s[18:19], exec
	s_waitcnt vmcnt(0)
	v_cmp_ne_u16_e32 vcc, 0, v1
	s_and_b64 s[10:11], vcc, exec
	s_or_b64 s[18:19], s[0:1], s[10:11]
.LBB6_1045:
	s_cbranch_execnz .LBB6_1051
.LBB6_1046:
	s_cmp_gt_i32 s26, 0
	s_cbranch_scc0 .LBB6_1048
; %bb.1047:
	global_load_ubyte v1, v[2:3], off
	s_mov_b64 s[0:1], 0
	s_waitcnt vmcnt(0)
	v_cmp_ne_u16_e64 s[18:19], 0, v1
	s_branch .LBB6_1049
.LBB6_1048:
	s_mov_b64 s[0:1], -1
                                        ; implicit-def: $sgpr18_sgpr19
.LBB6_1049:
	s_andn2_b64 vcc, exec, s[0:1]
	s_cbranch_vccnz .LBB6_1051
; %bb.1050:
	global_load_ubyte v1, v[2:3], off
	s_andn2_b64 s[0:1], s[18:19], exec
	s_waitcnt vmcnt(0)
	v_cmp_ne_u16_e32 vcc, 0, v1
	s_and_b64 s[10:11], vcc, exec
	s_or_b64 s[18:19], s[0:1], s[10:11]
.LBB6_1051:
.LBB6_1052:
	s_lshl_b32 s9, s9, 7
	v_add_u32_e32 v0, s9, v0
	v_ashrrev_i32_e32 v1, 31, v0
	s_cmp_lt_i32 s26, 11
	v_lshl_add_u64 v[2:3], s[6:7], 0, v[0:1]
	s_cbranch_scc1 .LBB6_1059
; %bb.1053:
	s_cmp_gt_i32 s26, 25
	s_mov_b64 s[20:21], 0
	s_cbranch_scc0 .LBB6_1061
; %bb.1054:
	s_cmp_gt_i32 s26, 28
	s_cbranch_scc0 .LBB6_1062
; %bb.1055:
	s_cmp_gt_i32 s26, 43
	;; [unrolled: 3-line block ×3, first 2 shown]
	s_cbranch_scc0 .LBB6_1065
; %bb.1057:
	s_cmp_eq_u32 s26, 46
	s_mov_b64 s[22:23], 0
	s_cbranch_scc0 .LBB6_1068
; %bb.1058:
	global_load_dword v1, v[2:3], off
	s_mov_b64 s[0:1], 0
	s_mov_b64 s[10:11], -1
	s_waitcnt vmcnt(0)
	v_and_b32_e32 v1, 0x7fff7fff, v1
	v_cmp_ne_u32_e64 s[16:17], 0, v1
	s_branch .LBB6_1069
.LBB6_1059:
	s_mov_b64 s[10:11], 0
                                        ; implicit-def: $sgpr16_sgpr17
	s_cbranch_execnz .LBB6_1116
.LBB6_1060:
	s_andn2_b64 vcc, exec, s[10:11]
	s_cbranch_vccz .LBB6_1163
	s_branch .LBB6_1816
.LBB6_1061:
	s_mov_b64 s[10:11], 0
	s_mov_b64 s[0:1], 0
                                        ; implicit-def: $sgpr16_sgpr17
	s_cbranch_execnz .LBB6_1090
	s_branch .LBB6_1112
.LBB6_1062:
	s_mov_b64 s[22:23], -1
	s_mov_b64 s[10:11], 0
	s_mov_b64 s[0:1], 0
                                        ; implicit-def: $sgpr16_sgpr17
	s_branch .LBB6_1077
.LBB6_1063:
	s_mov_b64 s[22:23], -1
	s_mov_b64 s[10:11], 0
	s_mov_b64 s[0:1], 0
                                        ; implicit-def: $sgpr16_sgpr17
	s_branch .LBB6_1072
.LBB6_1064:
	s_mov_b64 s[10:11], 0
	s_or_b64 s[14:15], s[12:13], exec
	s_trap 2
	s_cbranch_execz .LBB6_1005
	s_branch .LBB6_1006
.LBB6_1065:
	s_mov_b64 s[22:23], -1
	s_mov_b64 s[10:11], 0
	s_mov_b64 s[0:1], 0
                                        ; implicit-def: $sgpr16_sgpr17
	s_branch .LBB6_1069
.LBB6_1066:
	s_andn2_saveexec_b64 s[26:27], s[26:27]
	s_cbranch_execz .LBB6_866
.LBB6_1067:
	v_add_f32_e32 v2, 0x42800000, v3
	v_and_b32_e32 v2, 0xff, v2
	v_cmp_ne_u32_e32 vcc, 0, v2
	s_andn2_b64 s[24:25], s[24:25], exec
	s_and_b64 s[30:31], vcc, exec
	s_or_b64 s[24:25], s[24:25], s[30:31]
	s_or_b64 exec, exec, s[26:27]
	v_mov_b32_e32 v4, 0
	s_and_saveexec_b64 s[26:27], s[24:25]
	s_cbranch_execnz .LBB6_867
	s_branch .LBB6_868
.LBB6_1068:
	s_mov_b64 s[0:1], -1
                                        ; implicit-def: $sgpr16_sgpr17
	s_mov_b64 s[10:11], 0
.LBB6_1069:
	s_and_b64 vcc, exec, s[22:23]
	s_cbranch_vccz .LBB6_1071
; %bb.1070:
	s_cmp_lg_u32 s26, 44
	s_mov_b64 s[10:11], -1
	s_cselect_b64 s[0:1], -1, 0
	s_or_b64 s[16:17], s[16:17], exec
.LBB6_1071:
	s_mov_b64 s[22:23], 0
.LBB6_1072:
	s_and_b64 vcc, exec, s[22:23]
	s_cbranch_vccz .LBB6_1076
; %bb.1073:
	s_cmp_eq_u32 s26, 29
	s_cbranch_scc0 .LBB6_1075
; %bb.1074:
	global_load_dwordx2 v[6:7], v[2:3], off
	s_mov_b64 s[0:1], 0
	s_mov_b64 s[10:11], -1
	s_mov_b64 s[22:23], 0
	s_waitcnt vmcnt(0)
	v_cmp_ne_u64_e64 s[16:17], 0, v[6:7]
	s_branch .LBB6_1077
.LBB6_1075:
	s_mov_b64 s[0:1], -1
                                        ; implicit-def: $sgpr16_sgpr17
.LBB6_1076:
	s_mov_b64 s[22:23], 0
.LBB6_1077:
	s_and_b64 vcc, exec, s[22:23]
	s_cbranch_vccz .LBB6_1089
; %bb.1078:
	s_cmp_lt_i32 s26, 27
	s_cbranch_scc1 .LBB6_1081
; %bb.1079:
	s_cmp_gt_i32 s26, 27
	s_cbranch_scc0 .LBB6_1082
; %bb.1080:
	global_load_dword v1, v[2:3], off
	s_mov_b64 s[10:11], 0
	s_waitcnt vmcnt(0)
	v_cmp_ne_u32_e64 s[16:17], 0, v1
	s_branch .LBB6_1083
.LBB6_1081:
	s_mov_b64 s[10:11], -1
                                        ; implicit-def: $sgpr16_sgpr17
	s_branch .LBB6_1086
.LBB6_1082:
	s_mov_b64 s[10:11], -1
                                        ; implicit-def: $sgpr16_sgpr17
.LBB6_1083:
	s_andn2_b64 vcc, exec, s[10:11]
	s_cbranch_vccnz .LBB6_1085
; %bb.1084:
	global_load_ushort v1, v[2:3], off
	s_andn2_b64 s[10:11], s[16:17], exec
	s_waitcnt vmcnt(0)
	v_cmp_ne_u16_e32 vcc, 0, v1
	s_and_b64 s[16:17], vcc, exec
	s_or_b64 s[16:17], s[10:11], s[16:17]
.LBB6_1085:
	s_mov_b64 s[10:11], 0
.LBB6_1086:
	s_andn2_b64 vcc, exec, s[10:11]
	s_cbranch_vccnz .LBB6_1088
; %bb.1087:
	global_load_ubyte v1, v[2:3], off
	s_andn2_b64 s[10:11], s[16:17], exec
	s_waitcnt vmcnt(0)
	v_cmp_ne_u16_e32 vcc, 0, v1
	s_and_b64 s[16:17], vcc, exec
	s_or_b64 s[16:17], s[10:11], s[16:17]
.LBB6_1088:
	s_mov_b64 s[10:11], -1
.LBB6_1089:
	s_branch .LBB6_1112
.LBB6_1090:
	s_cmp_gt_i32 s26, 22
	s_cbranch_scc0 .LBB6_1094
; %bb.1091:
	s_cmp_lt_i32 s26, 24
	s_cbranch_scc1 .LBB6_1095
; %bb.1092:
	s_cmp_gt_i32 s26, 24
	s_cbranch_scc0 .LBB6_1096
; %bb.1093:
	global_load_ubyte v1, v[2:3], off
	s_mov_b64 s[10:11], 0
	s_waitcnt vmcnt(0)
	v_cmp_ne_u16_e64 s[16:17], 0, v1
	s_branch .LBB6_1097
.LBB6_1094:
	s_mov_b64 s[20:21], -1
                                        ; implicit-def: $sgpr16_sgpr17
	s_branch .LBB6_1103
.LBB6_1095:
	s_mov_b64 s[10:11], -1
                                        ; implicit-def: $sgpr16_sgpr17
	s_branch .LBB6_1100
.LBB6_1096:
	s_mov_b64 s[10:11], -1
                                        ; implicit-def: $sgpr16_sgpr17
.LBB6_1097:
	s_andn2_b64 vcc, exec, s[10:11]
	s_cbranch_vccnz .LBB6_1099
; %bb.1098:
	global_load_ubyte v1, v[2:3], off
	s_andn2_b64 s[10:11], s[16:17], exec
	s_waitcnt vmcnt(0)
	v_and_b32_e32 v1, 0x7f, v1
	v_cmp_ne_u16_e32 vcc, 0, v1
	s_and_b64 s[16:17], vcc, exec
	s_or_b64 s[16:17], s[10:11], s[16:17]
.LBB6_1099:
	s_mov_b64 s[10:11], 0
.LBB6_1100:
	s_andn2_b64 vcc, exec, s[10:11]
	s_cbranch_vccnz .LBB6_1102
; %bb.1101:
	global_load_ubyte v1, v[2:3], off
	s_movk_i32 s10, 0x7f00
	s_brev_b32 s11, 16
	s_waitcnt vmcnt(0)
	v_lshlrev_b32_e32 v5, 8, v1
	v_lshlrev_b32_e32 v1, 25, v1
	v_lshrrev_b32_e32 v6, 4, v1
	v_and_or_b32 v5, v5, s10, 0.5
	v_or_b32_e32 v6, 0x70000000, v6
	v_add_f32_e32 v5, -0.5, v5
	v_mul_f32_e32 v6, 0x7800000, v6
	v_cmp_gt_u32_e32 vcc, s11, v1
	s_andn2_b64 s[10:11], s[16:17], exec
	s_nop 0
	v_cndmask_b32_e32 v1, v6, v5, vcc
	v_cmp_neq_f32_e32 vcc, 0, v1
	s_and_b64 s[16:17], vcc, exec
	s_or_b64 s[16:17], s[10:11], s[16:17]
.LBB6_1102:
	s_mov_b64 s[10:11], -1
.LBB6_1103:
	s_andn2_b64 vcc, exec, s[20:21]
	s_mov_b64 s[20:21], 0
	s_cbranch_vccnz .LBB6_1112
; %bb.1104:
	s_cmp_gt_i32 s26, 14
	s_cbranch_scc0 .LBB6_1107
; %bb.1105:
	s_cmp_eq_u32 s26, 15
	s_cbranch_scc0 .LBB6_1108
; %bb.1106:
	global_load_ushort v1, v[2:3], off
	s_mov_b64 s[0:1], 0
	s_mov_b64 s[10:11], -1
	s_waitcnt vmcnt(0)
	v_and_b32_e32 v1, 0x7fff, v1
	v_cmp_ne_u16_e64 s[16:17], 0, v1
	s_branch .LBB6_1109
.LBB6_1107:
	s_mov_b64 s[22:23], -1
                                        ; implicit-def: $sgpr16_sgpr17
	s_branch .LBB6_1110
.LBB6_1108:
	s_mov_b64 s[0:1], -1
                                        ; implicit-def: $sgpr16_sgpr17
.LBB6_1109:
	s_mov_b64 s[22:23], 0
.LBB6_1110:
	s_and_b64 vcc, exec, s[22:23]
	s_cbranch_vccz .LBB6_1112
; %bb.1111:
	s_cmp_lg_u32 s26, 11
	s_mov_b64 s[20:21], -1
	s_cselect_b64 s[0:1], -1, 0
.LBB6_1112:
	s_and_b64 vcc, exec, s[0:1]
	s_cbranch_vccnz .LBB6_1175
; %bb.1113:
	s_andn2_b64 vcc, exec, s[20:21]
	s_cbranch_vccnz .LBB6_1115
.LBB6_1114:
	global_load_ubyte v1, v[2:3], off
	s_andn2_b64 s[0:1], s[16:17], exec
	s_mov_b64 s[10:11], -1
	s_waitcnt vmcnt(0)
	v_cmp_ne_u16_e32 vcc, 0, v1
	s_and_b64 s[16:17], vcc, exec
	s_or_b64 s[16:17], s[0:1], s[16:17]
.LBB6_1115:
	s_branch .LBB6_1060
.LBB6_1116:
	s_cmp_lt_i32 s26, 5
	s_cbranch_scc1 .LBB6_1121
; %bb.1117:
	s_cmp_lt_i32 s26, 8
	s_cbranch_scc1 .LBB6_1122
; %bb.1118:
	;; [unrolled: 3-line block ×3, first 2 shown]
	s_cmp_gt_i32 s26, 9
	s_cbranch_scc0 .LBB6_1124
; %bb.1120:
	global_load_dwordx4 v[6:9], v[2:3], off
	s_mov_b64 s[10:11], 0
	s_waitcnt vmcnt(0)
	v_cmp_neq_f64_e32 vcc, 0, v[6:7]
	v_cmp_neq_f64_e64 s[0:1], 0, v[8:9]
	s_or_b64 s[16:17], vcc, s[0:1]
	s_branch .LBB6_1125
.LBB6_1121:
                                        ; implicit-def: $sgpr16_sgpr17
	s_branch .LBB6_1143
.LBB6_1122:
	s_mov_b64 s[0:1], -1
                                        ; implicit-def: $sgpr16_sgpr17
	s_branch .LBB6_1131
.LBB6_1123:
	s_mov_b64 s[0:1], -1
                                        ; implicit-def: $sgpr16_sgpr17
	s_branch .LBB6_1128
.LBB6_1124:
	s_mov_b64 s[10:11], -1
                                        ; implicit-def: $sgpr16_sgpr17
.LBB6_1125:
	s_andn2_b64 vcc, exec, s[10:11]
	s_cbranch_vccnz .LBB6_1127
; %bb.1126:
	global_load_dwordx2 v[6:7], v[2:3], off
	s_brev_b32 s0, -2
	s_waitcnt vmcnt(0)
	v_bitop3_b32 v1, v6, s0, v7 bitop3:0xc8
	v_cmp_ne_u32_e32 vcc, 0, v1
	s_andn2_b64 s[0:1], s[16:17], exec
	s_and_b64 s[10:11], vcc, exec
	s_or_b64 s[16:17], s[0:1], s[10:11]
.LBB6_1127:
	s_mov_b64 s[0:1], 0
.LBB6_1128:
	s_andn2_b64 vcc, exec, s[0:1]
	s_cbranch_vccnz .LBB6_1130
; %bb.1129:
	global_load_dword v1, v[2:3], off
	s_andn2_b64 s[0:1], s[16:17], exec
	s_waitcnt vmcnt(0)
	v_and_b32_e32 v1, 0x7fff7fff, v1
	v_cmp_ne_u32_e32 vcc, 0, v1
	s_and_b64 s[10:11], vcc, exec
	s_or_b64 s[16:17], s[0:1], s[10:11]
.LBB6_1130:
	s_mov_b64 s[0:1], 0
.LBB6_1131:
	s_andn2_b64 vcc, exec, s[0:1]
	s_cbranch_vccnz .LBB6_1142
; %bb.1132:
	s_cmp_lt_i32 s26, 6
	s_cbranch_scc1 .LBB6_1135
; %bb.1133:
	s_cmp_gt_i32 s26, 6
	s_cbranch_scc0 .LBB6_1136
; %bb.1134:
	global_load_dwordx2 v[6:7], v[2:3], off
	s_mov_b64 s[0:1], 0
	s_waitcnt vmcnt(0)
	v_cmp_neq_f64_e64 s[16:17], 0, v[6:7]
	s_branch .LBB6_1137
.LBB6_1135:
	s_mov_b64 s[0:1], -1
                                        ; implicit-def: $sgpr16_sgpr17
	s_branch .LBB6_1140
.LBB6_1136:
	s_mov_b64 s[0:1], -1
                                        ; implicit-def: $sgpr16_sgpr17
.LBB6_1137:
	s_andn2_b64 vcc, exec, s[0:1]
	s_cbranch_vccnz .LBB6_1139
; %bb.1138:
	global_load_dword v1, v[2:3], off
	s_andn2_b64 s[0:1], s[16:17], exec
	s_waitcnt vmcnt(0)
	v_cmp_neq_f32_e32 vcc, 0, v1
	s_and_b64 s[10:11], vcc, exec
	s_or_b64 s[16:17], s[0:1], s[10:11]
.LBB6_1139:
	s_mov_b64 s[0:1], 0
.LBB6_1140:
	s_andn2_b64 vcc, exec, s[0:1]
	s_cbranch_vccnz .LBB6_1142
; %bb.1141:
	global_load_ushort v1, v[2:3], off
	s_andn2_b64 s[0:1], s[16:17], exec
	s_waitcnt vmcnt(0)
	v_and_b32_e32 v1, 0x7fff, v1
	v_cmp_ne_u16_e32 vcc, 0, v1
	s_and_b64 s[10:11], vcc, exec
	s_or_b64 s[16:17], s[0:1], s[10:11]
.LBB6_1142:
	s_cbranch_execnz .LBB6_1162
.LBB6_1143:
	s_cmp_lt_i32 s26, 2
	s_cbranch_scc1 .LBB6_1147
; %bb.1144:
	s_cmp_lt_i32 s26, 3
	s_cbranch_scc1 .LBB6_1148
; %bb.1145:
	s_cmp_gt_i32 s26, 3
	s_cbranch_scc0 .LBB6_1149
; %bb.1146:
	global_load_dwordx2 v[6:7], v[2:3], off
	s_mov_b64 s[0:1], 0
	s_waitcnt vmcnt(0)
	v_cmp_ne_u64_e64 s[16:17], 0, v[6:7]
	s_branch .LBB6_1150
.LBB6_1147:
	s_mov_b64 s[0:1], -1
                                        ; implicit-def: $sgpr16_sgpr17
	s_branch .LBB6_1156
.LBB6_1148:
	s_mov_b64 s[0:1], -1
                                        ; implicit-def: $sgpr16_sgpr17
	s_branch .LBB6_1153
.LBB6_1149:
	s_mov_b64 s[0:1], -1
                                        ; implicit-def: $sgpr16_sgpr17
.LBB6_1150:
	s_andn2_b64 vcc, exec, s[0:1]
	s_cbranch_vccnz .LBB6_1152
; %bb.1151:
	global_load_dword v1, v[2:3], off
	s_andn2_b64 s[0:1], s[16:17], exec
	s_waitcnt vmcnt(0)
	v_cmp_ne_u32_e32 vcc, 0, v1
	s_and_b64 s[10:11], vcc, exec
	s_or_b64 s[16:17], s[0:1], s[10:11]
.LBB6_1152:
	s_mov_b64 s[0:1], 0
.LBB6_1153:
	s_andn2_b64 vcc, exec, s[0:1]
	s_cbranch_vccnz .LBB6_1155
; %bb.1154:
	global_load_ushort v1, v[2:3], off
	s_andn2_b64 s[0:1], s[16:17], exec
	s_waitcnt vmcnt(0)
	v_cmp_ne_u16_e32 vcc, 0, v1
	s_and_b64 s[10:11], vcc, exec
	s_or_b64 s[16:17], s[0:1], s[10:11]
.LBB6_1155:
	s_mov_b64 s[0:1], 0
.LBB6_1156:
	s_andn2_b64 vcc, exec, s[0:1]
	s_cbranch_vccnz .LBB6_1162
; %bb.1157:
	s_cmp_gt_i32 s26, 0
	s_cbranch_scc0 .LBB6_1159
; %bb.1158:
	global_load_ubyte v1, v[2:3], off
	s_mov_b64 s[0:1], 0
	s_waitcnt vmcnt(0)
	v_cmp_ne_u16_e64 s[16:17], 0, v1
	s_branch .LBB6_1160
.LBB6_1159:
	s_mov_b64 s[0:1], -1
                                        ; implicit-def: $sgpr16_sgpr17
.LBB6_1160:
	s_andn2_b64 vcc, exec, s[0:1]
	s_cbranch_vccnz .LBB6_1162
; %bb.1161:
	global_load_ubyte v1, v[2:3], off
	s_andn2_b64 s[0:1], s[16:17], exec
	s_waitcnt vmcnt(0)
	v_cmp_ne_u16_e32 vcc, 0, v1
	s_and_b64 s[10:11], vcc, exec
	s_or_b64 s[16:17], s[0:1], s[10:11]
.LBB6_1162:
.LBB6_1163:
	v_add_u32_e32 v0, s9, v0
	v_ashrrev_i32_e32 v1, 31, v0
	s_cmp_lt_i32 s26, 11
	v_lshl_add_u64 v[2:3], s[6:7], 0, v[0:1]
	s_cbranch_scc1 .LBB6_1170
; %bb.1164:
	s_cmp_gt_i32 s26, 25
	s_mov_b64 s[22:23], 0
	s_cbranch_scc0 .LBB6_1172
; %bb.1165:
	s_cmp_gt_i32 s26, 28
	s_cbranch_scc0 .LBB6_1173
; %bb.1166:
	s_cmp_gt_i32 s26, 43
	;; [unrolled: 3-line block ×3, first 2 shown]
	s_cbranch_scc0 .LBB6_1176
; %bb.1168:
	s_cmp_eq_u32 s26, 46
	s_mov_b64 s[24:25], 0
	s_cbranch_scc0 .LBB6_1177
; %bb.1169:
	global_load_dword v1, v[2:3], off
	s_mov_b64 s[0:1], 0
	s_mov_b64 s[20:21], -1
	s_waitcnt vmcnt(0)
	v_and_b32_e32 v1, 0x7fff7fff, v1
	v_cmp_ne_u32_e64 s[10:11], 0, v1
	s_branch .LBB6_1178
.LBB6_1170:
	s_mov_b64 s[20:21], 0
                                        ; implicit-def: $sgpr10_sgpr11
	s_cbranch_execnz .LBB6_1226
.LBB6_1171:
	s_andn2_b64 vcc, exec, s[20:21]
	s_cbranch_vccz .LBB6_1274
	s_branch .LBB6_1816
.LBB6_1172:
	s_mov_b64 s[24:25], -1
	s_mov_b64 s[20:21], 0
	s_mov_b64 s[0:1], 0
                                        ; implicit-def: $sgpr10_sgpr11
	s_branch .LBB6_1199
.LBB6_1173:
	s_mov_b64 s[24:25], -1
	s_mov_b64 s[20:21], 0
	s_mov_b64 s[0:1], 0
                                        ; implicit-def: $sgpr10_sgpr11
	s_branch .LBB6_1186
.LBB6_1174:
	s_mov_b64 s[24:25], -1
	s_mov_b64 s[20:21], 0
	s_mov_b64 s[0:1], 0
                                        ; implicit-def: $sgpr10_sgpr11
	s_branch .LBB6_1181
.LBB6_1175:
	s_trap 2
	s_mov_b64 s[10:11], 0
	s_or_b64 s[14:15], s[14:15], exec
	s_cbranch_execz .LBB6_1114
	s_branch .LBB6_1115
.LBB6_1176:
	s_mov_b64 s[24:25], -1
	s_mov_b64 s[20:21], 0
	s_mov_b64 s[0:1], 0
                                        ; implicit-def: $sgpr10_sgpr11
	s_branch .LBB6_1178
.LBB6_1177:
	s_mov_b64 s[0:1], -1
                                        ; implicit-def: $sgpr10_sgpr11
	s_mov_b64 s[20:21], 0
.LBB6_1178:
	s_and_b64 vcc, exec, s[24:25]
	s_cbranch_vccz .LBB6_1180
; %bb.1179:
	s_cmp_lg_u32 s26, 44
	s_mov_b64 s[20:21], -1
	s_cselect_b64 s[0:1], -1, 0
	s_or_b64 s[10:11], s[10:11], exec
.LBB6_1180:
	s_mov_b64 s[24:25], 0
.LBB6_1181:
	s_and_b64 vcc, exec, s[24:25]
	s_cbranch_vccz .LBB6_1185
; %bb.1182:
	s_cmp_eq_u32 s26, 29
	s_cbranch_scc0 .LBB6_1184
; %bb.1183:
	global_load_dwordx2 v[6:7], v[2:3], off
	s_mov_b64 s[0:1], 0
	s_mov_b64 s[20:21], -1
	s_mov_b64 s[24:25], 0
	s_waitcnt vmcnt(0)
	v_cmp_ne_u64_e64 s[10:11], 0, v[6:7]
	s_branch .LBB6_1186
.LBB6_1184:
	s_mov_b64 s[0:1], -1
                                        ; implicit-def: $sgpr10_sgpr11
.LBB6_1185:
	s_mov_b64 s[24:25], 0
.LBB6_1186:
	s_and_b64 vcc, exec, s[24:25]
	s_cbranch_vccz .LBB6_1198
; %bb.1187:
	s_cmp_lt_i32 s26, 27
	s_cbranch_scc1 .LBB6_1190
; %bb.1188:
	s_cmp_gt_i32 s26, 27
	s_cbranch_scc0 .LBB6_1191
; %bb.1189:
	global_load_dword v1, v[2:3], off
	s_mov_b64 s[20:21], 0
	s_waitcnt vmcnt(0)
	v_cmp_ne_u32_e64 s[10:11], 0, v1
	s_branch .LBB6_1192
.LBB6_1190:
	s_mov_b64 s[20:21], -1
                                        ; implicit-def: $sgpr10_sgpr11
	s_branch .LBB6_1195
.LBB6_1191:
	s_mov_b64 s[20:21], -1
                                        ; implicit-def: $sgpr10_sgpr11
.LBB6_1192:
	s_andn2_b64 vcc, exec, s[20:21]
	s_cbranch_vccnz .LBB6_1194
; %bb.1193:
	global_load_ushort v1, v[2:3], off
	s_andn2_b64 s[10:11], s[10:11], exec
	s_waitcnt vmcnt(0)
	v_cmp_ne_u16_e32 vcc, 0, v1
	s_and_b64 s[20:21], vcc, exec
	s_or_b64 s[10:11], s[10:11], s[20:21]
.LBB6_1194:
	s_mov_b64 s[20:21], 0
.LBB6_1195:
	s_andn2_b64 vcc, exec, s[20:21]
	s_cbranch_vccnz .LBB6_1197
; %bb.1196:
	global_load_ubyte v1, v[2:3], off
	s_andn2_b64 s[10:11], s[10:11], exec
	s_waitcnt vmcnt(0)
	v_cmp_ne_u16_e32 vcc, 0, v1
	s_and_b64 s[20:21], vcc, exec
	s_or_b64 s[10:11], s[10:11], s[20:21]
.LBB6_1197:
	s_mov_b64 s[20:21], -1
.LBB6_1198:
	s_mov_b64 s[24:25], 0
.LBB6_1199:
	s_and_b64 vcc, exec, s[24:25]
	s_cbranch_vccz .LBB6_1222
; %bb.1200:
	s_cmp_gt_i32 s26, 22
	s_cbranch_scc0 .LBB6_1204
; %bb.1201:
	s_cmp_lt_i32 s26, 24
	s_cbranch_scc1 .LBB6_1205
; %bb.1202:
	s_cmp_gt_i32 s26, 24
	s_cbranch_scc0 .LBB6_1206
; %bb.1203:
	global_load_ubyte v1, v[2:3], off
	s_mov_b64 s[20:21], 0
	s_waitcnt vmcnt(0)
	v_cmp_ne_u16_e64 s[10:11], 0, v1
	s_branch .LBB6_1207
.LBB6_1204:
	s_mov_b64 s[22:23], -1
                                        ; implicit-def: $sgpr10_sgpr11
	s_branch .LBB6_1213
.LBB6_1205:
	s_mov_b64 s[20:21], -1
                                        ; implicit-def: $sgpr10_sgpr11
	s_branch .LBB6_1210
.LBB6_1206:
	s_mov_b64 s[20:21], -1
                                        ; implicit-def: $sgpr10_sgpr11
.LBB6_1207:
	s_andn2_b64 vcc, exec, s[20:21]
	s_cbranch_vccnz .LBB6_1209
; %bb.1208:
	global_load_ubyte v1, v[2:3], off
	s_andn2_b64 s[10:11], s[10:11], exec
	s_waitcnt vmcnt(0)
	v_and_b32_e32 v1, 0x7f, v1
	v_cmp_ne_u16_e32 vcc, 0, v1
	s_and_b64 s[20:21], vcc, exec
	s_or_b64 s[10:11], s[10:11], s[20:21]
.LBB6_1209:
	s_mov_b64 s[20:21], 0
.LBB6_1210:
	s_andn2_b64 vcc, exec, s[20:21]
	s_cbranch_vccnz .LBB6_1212
; %bb.1211:
	global_load_ubyte v1, v[2:3], off
	s_movk_i32 s20, 0x7f00
	s_brev_b32 s21, 16
	s_andn2_b64 s[10:11], s[10:11], exec
	s_waitcnt vmcnt(0)
	v_lshlrev_b32_e32 v5, 8, v1
	v_lshlrev_b32_e32 v1, 25, v1
	v_lshrrev_b32_e32 v6, 4, v1
	v_and_or_b32 v5, v5, s20, 0.5
	v_or_b32_e32 v6, 0x70000000, v6
	v_add_f32_e32 v5, -0.5, v5
	v_mul_f32_e32 v6, 0x7800000, v6
	v_cmp_gt_u32_e32 vcc, s21, v1
	s_nop 1
	v_cndmask_b32_e32 v1, v6, v5, vcc
	v_cmp_neq_f32_e32 vcc, 0, v1
	s_and_b64 s[20:21], vcc, exec
	s_or_b64 s[10:11], s[10:11], s[20:21]
.LBB6_1212:
	s_mov_b64 s[20:21], -1
.LBB6_1213:
	s_andn2_b64 vcc, exec, s[22:23]
	s_mov_b64 s[22:23], 0
	s_cbranch_vccnz .LBB6_1222
; %bb.1214:
	s_cmp_gt_i32 s26, 14
	s_cbranch_scc0 .LBB6_1217
; %bb.1215:
	s_cmp_eq_u32 s26, 15
	s_cbranch_scc0 .LBB6_1218
; %bb.1216:
	global_load_ushort v1, v[2:3], off
	s_mov_b64 s[0:1], 0
	s_mov_b64 s[20:21], -1
	s_waitcnt vmcnt(0)
	v_and_b32_e32 v1, 0x7fff, v1
	v_cmp_ne_u16_e64 s[10:11], 0, v1
	s_branch .LBB6_1219
.LBB6_1217:
	s_mov_b64 s[24:25], -1
                                        ; implicit-def: $sgpr10_sgpr11
	s_branch .LBB6_1220
.LBB6_1218:
	s_mov_b64 s[0:1], -1
                                        ; implicit-def: $sgpr10_sgpr11
.LBB6_1219:
	s_mov_b64 s[24:25], 0
.LBB6_1220:
	s_and_b64 vcc, exec, s[24:25]
	s_cbranch_vccz .LBB6_1222
; %bb.1221:
	s_cmp_lg_u32 s26, 11
	s_mov_b64 s[22:23], -1
	s_cselect_b64 s[0:1], -1, 0
.LBB6_1222:
	s_and_b64 vcc, exec, s[0:1]
	s_cbranch_vccnz .LBB6_1285
; %bb.1223:
	s_andn2_b64 vcc, exec, s[22:23]
	s_cbranch_vccnz .LBB6_1225
.LBB6_1224:
	global_load_ubyte v1, v[2:3], off
	s_andn2_b64 s[0:1], s[10:11], exec
	s_mov_b64 s[20:21], -1
	s_waitcnt vmcnt(0)
	v_cmp_ne_u16_e32 vcc, 0, v1
	s_and_b64 s[10:11], vcc, exec
	s_or_b64 s[10:11], s[0:1], s[10:11]
.LBB6_1225:
	s_branch .LBB6_1171
.LBB6_1226:
	s_cmp_lt_i32 s26, 5
	s_cbranch_scc1 .LBB6_1231
; %bb.1227:
	s_cmp_lt_i32 s26, 8
	s_cbranch_scc1 .LBB6_1232
; %bb.1228:
	;; [unrolled: 3-line block ×3, first 2 shown]
	s_cmp_gt_i32 s26, 9
	s_cbranch_scc0 .LBB6_1234
; %bb.1230:
	global_load_dwordx4 v[6:9], v[2:3], off
	s_mov_b64 s[20:21], 0
	s_waitcnt vmcnt(0)
	v_cmp_neq_f64_e32 vcc, 0, v[6:7]
	v_cmp_neq_f64_e64 s[0:1], 0, v[8:9]
	s_or_b64 s[10:11], vcc, s[0:1]
	s_branch .LBB6_1235
.LBB6_1231:
	s_mov_b64 s[0:1], -1
                                        ; implicit-def: $sgpr10_sgpr11
	s_branch .LBB6_1253
.LBB6_1232:
	s_mov_b64 s[0:1], -1
                                        ; implicit-def: $sgpr10_sgpr11
	s_branch .LBB6_1241
.LBB6_1233:
	s_mov_b64 s[0:1], -1
                                        ; implicit-def: $sgpr10_sgpr11
	s_branch .LBB6_1238
.LBB6_1234:
	s_mov_b64 s[20:21], -1
                                        ; implicit-def: $sgpr10_sgpr11
.LBB6_1235:
	s_andn2_b64 vcc, exec, s[20:21]
	s_cbranch_vccnz .LBB6_1237
; %bb.1236:
	global_load_dwordx2 v[6:7], v[2:3], off
	s_brev_b32 s0, -2
	s_waitcnt vmcnt(0)
	v_bitop3_b32 v1, v6, s0, v7 bitop3:0xc8
	v_cmp_ne_u32_e32 vcc, 0, v1
	s_andn2_b64 s[0:1], s[10:11], exec
	s_and_b64 s[10:11], vcc, exec
	s_or_b64 s[10:11], s[0:1], s[10:11]
.LBB6_1237:
	s_mov_b64 s[0:1], 0
.LBB6_1238:
	s_andn2_b64 vcc, exec, s[0:1]
	s_cbranch_vccnz .LBB6_1240
; %bb.1239:
	global_load_dword v1, v[2:3], off
	s_andn2_b64 s[0:1], s[10:11], exec
	s_waitcnt vmcnt(0)
	v_and_b32_e32 v1, 0x7fff7fff, v1
	v_cmp_ne_u32_e32 vcc, 0, v1
	s_and_b64 s[10:11], vcc, exec
	s_or_b64 s[10:11], s[0:1], s[10:11]
.LBB6_1240:
	s_mov_b64 s[0:1], 0
.LBB6_1241:
	s_andn2_b64 vcc, exec, s[0:1]
	s_cbranch_vccnz .LBB6_1252
; %bb.1242:
	s_cmp_lt_i32 s26, 6
	s_cbranch_scc1 .LBB6_1245
; %bb.1243:
	s_cmp_gt_i32 s26, 6
	s_cbranch_scc0 .LBB6_1246
; %bb.1244:
	global_load_dwordx2 v[6:7], v[2:3], off
	s_mov_b64 s[0:1], 0
	s_waitcnt vmcnt(0)
	v_cmp_neq_f64_e64 s[10:11], 0, v[6:7]
	s_branch .LBB6_1247
.LBB6_1245:
	s_mov_b64 s[0:1], -1
                                        ; implicit-def: $sgpr10_sgpr11
	s_branch .LBB6_1250
.LBB6_1246:
	s_mov_b64 s[0:1], -1
                                        ; implicit-def: $sgpr10_sgpr11
.LBB6_1247:
	s_andn2_b64 vcc, exec, s[0:1]
	s_cbranch_vccnz .LBB6_1249
; %bb.1248:
	global_load_dword v1, v[2:3], off
	s_andn2_b64 s[0:1], s[10:11], exec
	s_waitcnt vmcnt(0)
	v_cmp_neq_f32_e32 vcc, 0, v1
	s_and_b64 s[10:11], vcc, exec
	s_or_b64 s[10:11], s[0:1], s[10:11]
.LBB6_1249:
	s_mov_b64 s[0:1], 0
.LBB6_1250:
	s_andn2_b64 vcc, exec, s[0:1]
	s_cbranch_vccnz .LBB6_1252
; %bb.1251:
	global_load_ushort v1, v[2:3], off
	s_andn2_b64 s[0:1], s[10:11], exec
	s_waitcnt vmcnt(0)
	v_and_b32_e32 v1, 0x7fff, v1
	v_cmp_ne_u16_e32 vcc, 0, v1
	s_and_b64 s[10:11], vcc, exec
	s_or_b64 s[10:11], s[0:1], s[10:11]
.LBB6_1252:
	s_mov_b64 s[0:1], 0
.LBB6_1253:
	s_andn2_b64 vcc, exec, s[0:1]
	s_cbranch_vccnz .LBB6_1273
; %bb.1254:
	s_cmp_lt_i32 s26, 2
	s_cbranch_scc1 .LBB6_1258
; %bb.1255:
	s_cmp_lt_i32 s26, 3
	s_cbranch_scc1 .LBB6_1259
; %bb.1256:
	s_cmp_gt_i32 s26, 3
	s_cbranch_scc0 .LBB6_1260
; %bb.1257:
	global_load_dwordx2 v[6:7], v[2:3], off
	s_mov_b64 s[0:1], 0
	s_waitcnt vmcnt(0)
	v_cmp_ne_u64_e64 s[10:11], 0, v[6:7]
	s_branch .LBB6_1261
.LBB6_1258:
	s_mov_b64 s[0:1], -1
                                        ; implicit-def: $sgpr10_sgpr11
	s_branch .LBB6_1267
.LBB6_1259:
	s_mov_b64 s[0:1], -1
                                        ; implicit-def: $sgpr10_sgpr11
	s_branch .LBB6_1264
.LBB6_1260:
	s_mov_b64 s[0:1], -1
                                        ; implicit-def: $sgpr10_sgpr11
.LBB6_1261:
	s_andn2_b64 vcc, exec, s[0:1]
	s_cbranch_vccnz .LBB6_1263
; %bb.1262:
	global_load_dword v1, v[2:3], off
	s_andn2_b64 s[0:1], s[10:11], exec
	s_waitcnt vmcnt(0)
	v_cmp_ne_u32_e32 vcc, 0, v1
	s_and_b64 s[10:11], vcc, exec
	s_or_b64 s[10:11], s[0:1], s[10:11]
.LBB6_1263:
	s_mov_b64 s[0:1], 0
.LBB6_1264:
	s_andn2_b64 vcc, exec, s[0:1]
	s_cbranch_vccnz .LBB6_1266
; %bb.1265:
	global_load_ushort v1, v[2:3], off
	s_andn2_b64 s[0:1], s[10:11], exec
	s_waitcnt vmcnt(0)
	v_cmp_ne_u16_e32 vcc, 0, v1
	s_and_b64 s[10:11], vcc, exec
	s_or_b64 s[10:11], s[0:1], s[10:11]
.LBB6_1266:
	s_mov_b64 s[0:1], 0
.LBB6_1267:
	s_andn2_b64 vcc, exec, s[0:1]
	s_cbranch_vccnz .LBB6_1273
; %bb.1268:
	s_cmp_gt_i32 s26, 0
	s_cbranch_scc0 .LBB6_1270
; %bb.1269:
	global_load_ubyte v1, v[2:3], off
	s_mov_b64 s[0:1], 0
	s_waitcnt vmcnt(0)
	v_cmp_ne_u16_e64 s[10:11], 0, v1
	s_branch .LBB6_1271
.LBB6_1270:
	s_mov_b64 s[0:1], -1
                                        ; implicit-def: $sgpr10_sgpr11
.LBB6_1271:
	s_andn2_b64 vcc, exec, s[0:1]
	s_cbranch_vccnz .LBB6_1273
; %bb.1272:
	global_load_ubyte v1, v[2:3], off
	s_andn2_b64 s[0:1], s[10:11], exec
	s_waitcnt vmcnt(0)
	v_cmp_ne_u16_e32 vcc, 0, v1
	s_and_b64 s[10:11], vcc, exec
	s_or_b64 s[10:11], s[0:1], s[10:11]
.LBB6_1273:
.LBB6_1274:
	v_add_u32_e32 v0, s9, v0
	v_ashrrev_i32_e32 v1, 31, v0
	s_cmp_lt_i32 s26, 11
	v_lshl_add_u64 v[0:1], s[6:7], 0, v[0:1]
	s_cbranch_scc1 .LBB6_1281
; %bb.1275:
	s_cmp_gt_i32 s26, 25
	s_mov_b64 s[22:23], 0
	s_cbranch_scc0 .LBB6_1282
; %bb.1276:
	s_cmp_gt_i32 s26, 28
	s_cbranch_scc0 .LBB6_1283
; %bb.1277:
	s_cmp_gt_i32 s26, 43
	s_cbranch_scc0 .LBB6_1284
; %bb.1278:
	s_cmp_gt_i32 s26, 45
	s_cbranch_scc0 .LBB6_1286
; %bb.1279:
	s_cmp_eq_u32 s26, 46
	s_mov_b64 s[24:25], 0
	s_cbranch_scc0 .LBB6_1287
; %bb.1280:
	global_load_dword v2, v[0:1], off
	s_mov_b64 s[0:1], 0
	s_mov_b64 s[20:21], -1
	s_waitcnt vmcnt(0)
	v_and_b32_e32 v2, 0x7fff7fff, v2
	v_cmp_ne_u32_e64 s[6:7], 0, v2
	s_branch .LBB6_1288
.LBB6_1281:
	s_mov_b64 s[0:1], -1
	s_mov_b64 s[20:21], 0
                                        ; implicit-def: $sgpr6_sgpr7
	s_branch .LBB6_1336
.LBB6_1282:
	s_mov_b64 s[24:25], -1
	s_mov_b64 s[20:21], 0
	s_mov_b64 s[0:1], 0
                                        ; implicit-def: $sgpr6_sgpr7
	s_branch .LBB6_1309
.LBB6_1283:
	s_mov_b64 s[24:25], -1
	s_mov_b64 s[20:21], 0
	s_mov_b64 s[0:1], 0
                                        ; implicit-def: $sgpr6_sgpr7
	s_branch .LBB6_1296
.LBB6_1284:
	s_mov_b64 s[24:25], -1
	s_mov_b64 s[20:21], 0
	s_mov_b64 s[0:1], 0
                                        ; implicit-def: $sgpr6_sgpr7
	s_branch .LBB6_1291
.LBB6_1285:
	s_trap 2
	s_mov_b64 s[20:21], 0
	s_or_b64 s[14:15], s[14:15], exec
	s_cbranch_execz .LBB6_1224
	s_branch .LBB6_1225
.LBB6_1286:
	s_mov_b64 s[24:25], -1
	s_mov_b64 s[20:21], 0
	s_mov_b64 s[0:1], 0
                                        ; implicit-def: $sgpr6_sgpr7
	s_branch .LBB6_1288
.LBB6_1287:
	s_mov_b64 s[0:1], -1
                                        ; implicit-def: $sgpr6_sgpr7
	s_mov_b64 s[20:21], 0
.LBB6_1288:
	s_and_b64 vcc, exec, s[24:25]
	s_cbranch_vccz .LBB6_1290
; %bb.1289:
	s_cmp_lg_u32 s26, 44
	s_mov_b64 s[20:21], -1
	s_cselect_b64 s[0:1], -1, 0
	s_or_b64 s[6:7], s[6:7], exec
.LBB6_1290:
	s_mov_b64 s[24:25], 0
.LBB6_1291:
	s_and_b64 vcc, exec, s[24:25]
	s_cbranch_vccz .LBB6_1295
; %bb.1292:
	s_cmp_eq_u32 s26, 29
	s_cbranch_scc0 .LBB6_1294
; %bb.1293:
	global_load_dwordx2 v[2:3], v[0:1], off
	s_mov_b64 s[0:1], 0
	s_mov_b64 s[20:21], -1
	s_mov_b64 s[24:25], 0
	s_waitcnt vmcnt(0)
	v_cmp_ne_u64_e64 s[6:7], 0, v[2:3]
	s_branch .LBB6_1296
.LBB6_1294:
	s_mov_b64 s[0:1], -1
                                        ; implicit-def: $sgpr6_sgpr7
.LBB6_1295:
	s_mov_b64 s[24:25], 0
.LBB6_1296:
	s_and_b64 vcc, exec, s[24:25]
	s_cbranch_vccz .LBB6_1308
; %bb.1297:
	s_cmp_lt_i32 s26, 27
	s_cbranch_scc1 .LBB6_1300
; %bb.1298:
	s_cmp_gt_i32 s26, 27
	s_cbranch_scc0 .LBB6_1301
; %bb.1299:
	global_load_dword v2, v[0:1], off
	s_mov_b64 s[20:21], 0
	s_waitcnt vmcnt(0)
	v_cmp_ne_u32_e64 s[6:7], 0, v2
	s_branch .LBB6_1302
.LBB6_1300:
	s_mov_b64 s[20:21], -1
                                        ; implicit-def: $sgpr6_sgpr7
	s_branch .LBB6_1305
.LBB6_1301:
	s_mov_b64 s[20:21], -1
                                        ; implicit-def: $sgpr6_sgpr7
.LBB6_1302:
	s_andn2_b64 vcc, exec, s[20:21]
	s_cbranch_vccnz .LBB6_1304
; %bb.1303:
	global_load_ushort v2, v[0:1], off
	s_andn2_b64 s[6:7], s[6:7], exec
	s_waitcnt vmcnt(0)
	v_cmp_ne_u16_e32 vcc, 0, v2
	s_and_b64 s[20:21], vcc, exec
	s_or_b64 s[6:7], s[6:7], s[20:21]
.LBB6_1304:
	s_mov_b64 s[20:21], 0
.LBB6_1305:
	s_andn2_b64 vcc, exec, s[20:21]
	s_cbranch_vccnz .LBB6_1307
; %bb.1306:
	global_load_ubyte v2, v[0:1], off
	s_andn2_b64 s[6:7], s[6:7], exec
	s_waitcnt vmcnt(0)
	v_cmp_ne_u16_e32 vcc, 0, v2
	s_and_b64 s[20:21], vcc, exec
	s_or_b64 s[6:7], s[6:7], s[20:21]
.LBB6_1307:
	s_mov_b64 s[20:21], -1
.LBB6_1308:
	s_mov_b64 s[24:25], 0
.LBB6_1309:
	s_and_b64 vcc, exec, s[24:25]
	s_cbranch_vccz .LBB6_1332
; %bb.1310:
	s_cmp_gt_i32 s26, 22
	s_cbranch_scc0 .LBB6_1314
; %bb.1311:
	s_cmp_lt_i32 s26, 24
	s_cbranch_scc1 .LBB6_1315
; %bb.1312:
	s_cmp_gt_i32 s26, 24
	s_cbranch_scc0 .LBB6_1316
; %bb.1313:
	global_load_ubyte v2, v[0:1], off
	s_mov_b64 s[20:21], 0
	s_waitcnt vmcnt(0)
	v_cmp_ne_u16_e64 s[6:7], 0, v2
	s_branch .LBB6_1317
.LBB6_1314:
	s_mov_b64 s[22:23], -1
                                        ; implicit-def: $sgpr6_sgpr7
	s_branch .LBB6_1323
.LBB6_1315:
	s_mov_b64 s[20:21], -1
                                        ; implicit-def: $sgpr6_sgpr7
	s_branch .LBB6_1320
.LBB6_1316:
	s_mov_b64 s[20:21], -1
                                        ; implicit-def: $sgpr6_sgpr7
.LBB6_1317:
	s_andn2_b64 vcc, exec, s[20:21]
	s_cbranch_vccnz .LBB6_1319
; %bb.1318:
	global_load_ubyte v2, v[0:1], off
	s_andn2_b64 s[6:7], s[6:7], exec
	s_waitcnt vmcnt(0)
	v_and_b32_e32 v2, 0x7f, v2
	v_cmp_ne_u16_e32 vcc, 0, v2
	s_and_b64 s[20:21], vcc, exec
	s_or_b64 s[6:7], s[6:7], s[20:21]
.LBB6_1319:
	s_mov_b64 s[20:21], 0
.LBB6_1320:
	s_andn2_b64 vcc, exec, s[20:21]
	s_cbranch_vccnz .LBB6_1322
; %bb.1321:
	global_load_ubyte v2, v[0:1], off
	s_movk_i32 s9, 0x7f00
	s_brev_b32 s20, 16
	s_andn2_b64 s[6:7], s[6:7], exec
	s_waitcnt vmcnt(0)
	v_lshlrev_b32_e32 v3, 8, v2
	v_lshlrev_b32_e32 v2, 25, v2
	v_lshrrev_b32_e32 v5, 4, v2
	v_and_or_b32 v3, v3, s9, 0.5
	v_or_b32_e32 v5, 0x70000000, v5
	v_add_f32_e32 v3, -0.5, v3
	v_mul_f32_e32 v5, 0x7800000, v5
	v_cmp_gt_u32_e32 vcc, s20, v2
	s_nop 1
	v_cndmask_b32_e32 v2, v5, v3, vcc
	v_cmp_neq_f32_e32 vcc, 0, v2
	s_and_b64 s[20:21], vcc, exec
	s_or_b64 s[6:7], s[6:7], s[20:21]
.LBB6_1322:
	s_mov_b64 s[20:21], -1
.LBB6_1323:
	s_andn2_b64 vcc, exec, s[22:23]
	s_mov_b64 s[22:23], 0
	s_cbranch_vccnz .LBB6_1332
; %bb.1324:
	s_cmp_gt_i32 s26, 14
	s_cbranch_scc0 .LBB6_1327
; %bb.1325:
	s_cmp_eq_u32 s26, 15
	s_cbranch_scc0 .LBB6_1328
; %bb.1326:
	global_load_ushort v2, v[0:1], off
	s_mov_b64 s[0:1], 0
	s_mov_b64 s[20:21], -1
	s_waitcnt vmcnt(0)
	v_and_b32_e32 v2, 0x7fff, v2
	v_cmp_ne_u16_e64 s[6:7], 0, v2
	s_branch .LBB6_1329
.LBB6_1327:
	s_mov_b64 s[24:25], -1
                                        ; implicit-def: $sgpr6_sgpr7
	s_branch .LBB6_1330
.LBB6_1328:
	s_mov_b64 s[0:1], -1
                                        ; implicit-def: $sgpr6_sgpr7
.LBB6_1329:
	s_mov_b64 s[24:25], 0
.LBB6_1330:
	s_and_b64 vcc, exec, s[24:25]
	s_cbranch_vccz .LBB6_1332
; %bb.1331:
	s_cmp_lg_u32 s26, 11
	s_mov_b64 s[22:23], -1
	s_cselect_b64 s[0:1], -1, 0
.LBB6_1332:
	s_and_b64 vcc, exec, s[0:1]
	s_cbranch_vccnz .LBB6_1861
; %bb.1333:
	s_andn2_b64 vcc, exec, s[22:23]
	s_cbranch_vccnz .LBB6_1335
.LBB6_1334:
	global_load_ubyte v2, v[0:1], off
	s_andn2_b64 s[0:1], s[6:7], exec
	s_mov_b64 s[20:21], -1
	s_waitcnt vmcnt(0)
	v_cmp_ne_u16_e32 vcc, 0, v2
	s_and_b64 s[6:7], vcc, exec
	s_or_b64 s[6:7], s[0:1], s[6:7]
.LBB6_1335:
	s_mov_b64 s[0:1], 0
.LBB6_1336:
	s_and_b64 vcc, exec, s[0:1]
	s_cbranch_vccz .LBB6_1385
; %bb.1337:
	s_cmp_lt_i32 s26, 5
	s_cbranch_scc1 .LBB6_1342
; %bb.1338:
	s_cmp_lt_i32 s26, 8
	s_cbranch_scc1 .LBB6_1343
	;; [unrolled: 3-line block ×3, first 2 shown]
; %bb.1340:
	s_cmp_gt_i32 s26, 9
	s_cbranch_scc0 .LBB6_1345
; %bb.1341:
	global_load_dwordx4 v[6:9], v[0:1], off
	s_mov_b64 s[20:21], 0
	s_waitcnt vmcnt(0)
	v_cmp_neq_f64_e32 vcc, 0, v[6:7]
	v_cmp_neq_f64_e64 s[0:1], 0, v[8:9]
	s_or_b64 s[6:7], vcc, s[0:1]
	s_branch .LBB6_1346
.LBB6_1342:
	s_mov_b64 s[0:1], -1
                                        ; implicit-def: $sgpr6_sgpr7
	s_branch .LBB6_1364
.LBB6_1343:
	s_mov_b64 s[0:1], -1
                                        ; implicit-def: $sgpr6_sgpr7
	s_branch .LBB6_1352
.LBB6_1344:
	s_mov_b64 s[0:1], -1
                                        ; implicit-def: $sgpr6_sgpr7
	s_branch .LBB6_1349
.LBB6_1345:
	s_mov_b64 s[20:21], -1
                                        ; implicit-def: $sgpr6_sgpr7
.LBB6_1346:
	s_andn2_b64 vcc, exec, s[20:21]
	s_cbranch_vccnz .LBB6_1348
; %bb.1347:
	global_load_dwordx2 v[2:3], v[0:1], off
	s_brev_b32 s0, -2
	s_waitcnt vmcnt(0)
	v_bitop3_b32 v2, v2, s0, v3 bitop3:0xc8
	v_cmp_ne_u32_e32 vcc, 0, v2
	s_andn2_b64 s[0:1], s[6:7], exec
	s_and_b64 s[6:7], vcc, exec
	s_or_b64 s[6:7], s[0:1], s[6:7]
.LBB6_1348:
	s_mov_b64 s[0:1], 0
.LBB6_1349:
	s_andn2_b64 vcc, exec, s[0:1]
	s_cbranch_vccnz .LBB6_1351
; %bb.1350:
	global_load_dword v2, v[0:1], off
	s_andn2_b64 s[0:1], s[6:7], exec
	s_waitcnt vmcnt(0)
	v_and_b32_e32 v2, 0x7fff7fff, v2
	v_cmp_ne_u32_e32 vcc, 0, v2
	s_and_b64 s[6:7], vcc, exec
	s_or_b64 s[6:7], s[0:1], s[6:7]
.LBB6_1351:
	s_mov_b64 s[0:1], 0
.LBB6_1352:
	s_andn2_b64 vcc, exec, s[0:1]
	s_cbranch_vccnz .LBB6_1363
; %bb.1353:
	s_cmp_lt_i32 s26, 6
	s_cbranch_scc1 .LBB6_1356
; %bb.1354:
	s_cmp_gt_i32 s26, 6
	s_cbranch_scc0 .LBB6_1357
; %bb.1355:
	global_load_dwordx2 v[2:3], v[0:1], off
	s_mov_b64 s[0:1], 0
	s_waitcnt vmcnt(0)
	v_cmp_neq_f64_e64 s[6:7], 0, v[2:3]
	s_branch .LBB6_1358
.LBB6_1356:
	s_mov_b64 s[0:1], -1
                                        ; implicit-def: $sgpr6_sgpr7
	s_branch .LBB6_1361
.LBB6_1357:
	s_mov_b64 s[0:1], -1
                                        ; implicit-def: $sgpr6_sgpr7
.LBB6_1358:
	s_andn2_b64 vcc, exec, s[0:1]
	s_cbranch_vccnz .LBB6_1360
; %bb.1359:
	global_load_dword v2, v[0:1], off
	s_andn2_b64 s[0:1], s[6:7], exec
	s_waitcnt vmcnt(0)
	v_cmp_neq_f32_e32 vcc, 0, v2
	s_and_b64 s[6:7], vcc, exec
	s_or_b64 s[6:7], s[0:1], s[6:7]
.LBB6_1360:
	s_mov_b64 s[0:1], 0
.LBB6_1361:
	s_andn2_b64 vcc, exec, s[0:1]
	s_cbranch_vccnz .LBB6_1363
; %bb.1362:
	global_load_ushort v2, v[0:1], off
	s_andn2_b64 s[0:1], s[6:7], exec
	s_waitcnt vmcnt(0)
	v_and_b32_e32 v2, 0x7fff, v2
	v_cmp_ne_u16_e32 vcc, 0, v2
	s_and_b64 s[6:7], vcc, exec
	s_or_b64 s[6:7], s[0:1], s[6:7]
.LBB6_1363:
	s_mov_b64 s[0:1], 0
.LBB6_1364:
	s_andn2_b64 vcc, exec, s[0:1]
	s_cbranch_vccnz .LBB6_1384
; %bb.1365:
	s_cmp_lt_i32 s26, 2
	s_cbranch_scc1 .LBB6_1369
; %bb.1366:
	s_cmp_lt_i32 s26, 3
	s_cbranch_scc1 .LBB6_1370
; %bb.1367:
	s_cmp_gt_i32 s26, 3
	s_cbranch_scc0 .LBB6_1371
; %bb.1368:
	global_load_dwordx2 v[2:3], v[0:1], off
	s_mov_b64 s[0:1], 0
	s_waitcnt vmcnt(0)
	v_cmp_ne_u64_e64 s[6:7], 0, v[2:3]
	s_branch .LBB6_1372
.LBB6_1369:
	s_mov_b64 s[0:1], -1
                                        ; implicit-def: $sgpr6_sgpr7
	s_branch .LBB6_1378
.LBB6_1370:
	s_mov_b64 s[0:1], -1
                                        ; implicit-def: $sgpr6_sgpr7
	s_branch .LBB6_1375
.LBB6_1371:
	s_mov_b64 s[0:1], -1
                                        ; implicit-def: $sgpr6_sgpr7
.LBB6_1372:
	s_andn2_b64 vcc, exec, s[0:1]
	s_cbranch_vccnz .LBB6_1374
; %bb.1373:
	global_load_dword v2, v[0:1], off
	s_andn2_b64 s[0:1], s[6:7], exec
	s_waitcnt vmcnt(0)
	v_cmp_ne_u32_e32 vcc, 0, v2
	s_and_b64 s[6:7], vcc, exec
	s_or_b64 s[6:7], s[0:1], s[6:7]
.LBB6_1374:
	s_mov_b64 s[0:1], 0
.LBB6_1375:
	s_andn2_b64 vcc, exec, s[0:1]
	s_cbranch_vccnz .LBB6_1377
; %bb.1376:
	global_load_ushort v2, v[0:1], off
	s_andn2_b64 s[0:1], s[6:7], exec
	s_waitcnt vmcnt(0)
	v_cmp_ne_u16_e32 vcc, 0, v2
	s_and_b64 s[6:7], vcc, exec
	s_or_b64 s[6:7], s[0:1], s[6:7]
.LBB6_1377:
	s_mov_b64 s[0:1], 0
.LBB6_1378:
	s_andn2_b64 vcc, exec, s[0:1]
	s_cbranch_vccnz .LBB6_1384
; %bb.1379:
	s_cmp_gt_i32 s26, 0
	s_cbranch_scc0 .LBB6_1381
; %bb.1380:
	global_load_ubyte v2, v[0:1], off
	s_mov_b64 s[0:1], 0
	s_waitcnt vmcnt(0)
	v_cmp_ne_u16_e64 s[6:7], 0, v2
	s_branch .LBB6_1382
.LBB6_1381:
	s_mov_b64 s[0:1], -1
                                        ; implicit-def: $sgpr6_sgpr7
.LBB6_1382:
	s_andn2_b64 vcc, exec, s[0:1]
	s_cbranch_vccnz .LBB6_1384
; %bb.1383:
	global_load_ubyte v0, v[0:1], off
	s_andn2_b64 s[0:1], s[6:7], exec
	s_waitcnt vmcnt(0)
	v_cmp_ne_u16_e32 vcc, 0, v0
	s_and_b64 s[6:7], vcc, exec
	s_or_b64 s[6:7], s[0:1], s[6:7]
.LBB6_1384:
	s_mov_b64 s[20:21], -1
.LBB6_1385:
	s_andn2_b64 vcc, exec, s[20:21]
	s_cbranch_vccnz .LBB6_1816
; %bb.1386:
	v_mul_lo_u32 v0, s8, v4
	s_xor_b64 s[18:19], s[18:19], -1
	v_ashrrev_i32_e32 v1, 31, v0
	s_and_b32 s28, s33, 0xff
	s_mov_b64 s[0:1], -1
	v_lshl_add_u64 v[2:3], s[4:5], 0, v[0:1]
	s_cmp_lt_i32 s28, 11
	s_mov_b64 s[22:23], 0
	s_cbranch_scc1 .LBB6_1465
; %bb.1387:
	s_and_b32 s9, 0xffff, s28
	s_mov_b64 s[24:25], -1
	s_mov_b64 s[20:21], 0
	s_cmp_gt_i32 s9, 25
	s_mov_b64 s[0:1], 0
	s_cbranch_scc0 .LBB6_1420
; %bb.1388:
	s_cmp_gt_i32 s9, 28
	s_cbranch_scc0 .LBB6_1403
; %bb.1389:
	s_cmp_gt_i32 s9, 43
	;; [unrolled: 3-line block ×3, first 2 shown]
	s_cbranch_scc0 .LBB6_1393
; %bb.1391:
	s_mov_b64 s[0:1], -1
	s_mov_b64 s[24:25], 0
	s_cmp_eq_u32 s9, 46
	s_cbranch_scc0 .LBB6_1393
; %bb.1392:
	v_cndmask_b32_e64 v1, 0, 1.0, s[18:19]
	v_bfe_u32 v4, v1, 16, 1
	s_movk_i32 s0, 0x7fff
	v_add3_u32 v1, v1, v4, s0
	v_lshrrev_b32_e32 v1, 16, v1
	global_store_dword v[2:3], v1, off
	s_mov_b64 s[0:1], 0
	s_mov_b64 s[22:23], -1
.LBB6_1393:
	s_and_b64 vcc, exec, s[24:25]
	s_cbranch_vccz .LBB6_1398
; %bb.1394:
	s_cmp_eq_u32 s9, 44
	s_mov_b64 s[0:1], -1
	s_cbranch_scc0 .LBB6_1398
; %bb.1395:
	v_cndmask_b32_e64 v4, 0, 1.0, s[18:19]
	v_lshrrev_b32_e32 v1, 23, v4
	s_movk_i32 s0, 0xff
	v_cmp_ne_u32_e32 vcc, s0, v1
	v_mov_b32_e32 v5, 0xff
	s_and_saveexec_b64 s[22:23], vcc
; %bb.1396:
	s_mov_b32 s0, 0x3fffff
	v_and_b32_e32 v5, 0x400000, v4
	v_and_or_b32 v4, v4, s0, v1
	v_cmp_ne_u32_e32 vcc, 0, v5
	v_cmp_ne_u32_e64 s[0:1], 0, v4
	s_and_b64 s[0:1], vcc, s[0:1]
	s_nop 0
	v_cndmask_b32_e64 v4, 0, 1, s[0:1]
	v_add_u32_e32 v5, v1, v4
; %bb.1397:
	s_or_b64 exec, exec, s[22:23]
	s_mov_b64 s[0:1], 0
	s_mov_b64 s[22:23], -1
	global_store_byte v[2:3], v5, off
.LBB6_1398:
	s_mov_b64 s[24:25], 0
.LBB6_1399:
	s_and_b64 vcc, exec, s[24:25]
	s_cbranch_vccz .LBB6_1402
; %bb.1400:
	s_cmp_eq_u32 s9, 29
	s_mov_b64 s[0:1], -1
	s_cbranch_scc0 .LBB6_1402
; %bb.1401:
	s_mov_b32 s0, 0
	v_cndmask_b32_e64 v4, 0, 1, s[18:19]
	v_mov_b32_e32 v5, s0
	global_store_dwordx2 v[2:3], v[4:5], off
	s_mov_b64 s[0:1], 0
	s_mov_b64 s[22:23], -1
.LBB6_1402:
	s_mov_b64 s[24:25], 0
.LBB6_1403:
	s_and_b64 vcc, exec, s[24:25]
	s_cbranch_vccz .LBB6_1419
; %bb.1404:
	s_cmp_lt_i32 s9, 27
	s_mov_b64 s[22:23], -1
	s_cbranch_scc1 .LBB6_1410
; %bb.1405:
	s_cmp_gt_i32 s9, 27
	s_cbranch_scc0 .LBB6_1407
; %bb.1406:
	v_cndmask_b32_e64 v1, 0, 1, s[18:19]
	s_mov_b64 s[22:23], 0
	global_store_dword v[2:3], v1, off
.LBB6_1407:
	s_andn2_b64 vcc, exec, s[22:23]
	s_cbranch_vccnz .LBB6_1409
; %bb.1408:
	v_cndmask_b32_e64 v1, 0, 1, s[18:19]
	global_store_short v[2:3], v1, off
.LBB6_1409:
	s_mov_b64 s[22:23], 0
.LBB6_1410:
	s_andn2_b64 vcc, exec, s[22:23]
	s_cbranch_vccnz .LBB6_1418
; %bb.1411:
	v_cndmask_b32_e64 v4, 0, 1.0, s[18:19]
	s_mov_b32 s22, 0x43800000
	v_cmp_gt_u32_e32 vcc, s22, v4
	v_mov_b32_e32 v5, 0x80
	s_and_saveexec_b64 s[22:23], vcc
	s_cbranch_execz .LBB6_1417
; %bb.1412:
	s_mov_b32 s24, 0x3bffffff
	v_cmp_lt_u32_e32 vcc, s24, v4
	s_mov_b64 s[24:25], 0
                                        ; implicit-def: $vgpr1
	s_and_saveexec_b64 s[26:27], vcc
	s_xor_b64 s[26:27], exec, s[26:27]
	s_cbranch_execz .LBB6_1862
; %bb.1413:
	v_bfe_u32 v1, v4, 20, 1
	s_mov_b32 s29, 0x487ffff
	v_add3_u32 v1, v4, v1, s29
	s_mov_b64 s[24:25], exec
	v_lshrrev_b32_e32 v1, 20, v1
                                        ; implicit-def: $vgpr4
	s_andn2_saveexec_b64 s[26:27], s[26:27]
	s_cbranch_execnz .LBB6_1863
.LBB6_1414:
	s_or_b64 exec, exec, s[26:27]
	v_mov_b32_e32 v5, 0
	s_and_saveexec_b64 s[26:27], s[24:25]
.LBB6_1415:
	v_mov_b32_e32 v5, v1
.LBB6_1416:
	s_or_b64 exec, exec, s[26:27]
.LBB6_1417:
	s_or_b64 exec, exec, s[22:23]
	global_store_byte v[2:3], v5, off
.LBB6_1418:
	s_mov_b64 s[22:23], -1
.LBB6_1419:
	s_mov_b64 s[24:25], 0
.LBB6_1420:
	s_and_b64 vcc, exec, s[24:25]
	s_cbranch_vccz .LBB6_1460
; %bb.1421:
	s_cmp_gt_i32 s9, 22
	s_mov_b64 s[20:21], -1
	s_cbranch_scc0 .LBB6_1453
; %bb.1422:
	s_cmp_lt_i32 s9, 24
	s_cbranch_scc1 .LBB6_1442
; %bb.1423:
	s_cmp_gt_i32 s9, 24
	s_cbranch_scc0 .LBB6_1431
; %bb.1424:
	v_cndmask_b32_e64 v4, 0, 1.0, s[18:19]
	s_mov_b32 s20, 0x47800000
	v_cmp_gt_u32_e32 vcc, s20, v4
	v_mov_b32_e32 v5, 0x80
	s_and_saveexec_b64 s[20:21], vcc
	s_cbranch_execz .LBB6_1430
; %bb.1425:
	s_mov_b32 s22, 0x37ffffff
	v_cmp_lt_u32_e32 vcc, s22, v4
	s_mov_b64 s[22:23], 0
                                        ; implicit-def: $vgpr1
	s_and_saveexec_b64 s[24:25], vcc
	s_xor_b64 s[24:25], exec, s[24:25]
	s_cbranch_execz .LBB6_1865
; %bb.1426:
	v_bfe_u32 v1, v4, 21, 1
	s_mov_b32 s26, 0x88fffff
	v_add3_u32 v1, v4, v1, s26
	s_mov_b64 s[22:23], exec
	v_lshrrev_b32_e32 v1, 21, v1
                                        ; implicit-def: $vgpr4
	s_andn2_saveexec_b64 s[24:25], s[24:25]
	s_cbranch_execnz .LBB6_1866
.LBB6_1427:
	s_or_b64 exec, exec, s[24:25]
	v_mov_b32_e32 v5, 0
	s_and_saveexec_b64 s[24:25], s[22:23]
.LBB6_1428:
	v_mov_b32_e32 v5, v1
.LBB6_1429:
	s_or_b64 exec, exec, s[24:25]
.LBB6_1430:
	s_or_b64 exec, exec, s[20:21]
	s_mov_b64 s[20:21], 0
	global_store_byte v[2:3], v5, off
.LBB6_1431:
	s_and_b64 vcc, exec, s[20:21]
	s_cbranch_vccz .LBB6_1441
; %bb.1432:
	v_cndmask_b32_e64 v1, 0, 1.0, s[18:19]
	s_mov_b32 s20, 0x43f00000
	v_cmp_gt_u32_e32 vcc, s20, v1
                                        ; implicit-def: $vgpr4
	s_and_saveexec_b64 s[20:21], vcc
	s_xor_b64 s[20:21], exec, s[20:21]
	s_cbranch_execz .LBB6_1438
; %bb.1433:
	s_mov_b32 s22, 0x3c7fffff
	v_cmp_lt_u32_e32 vcc, s22, v1
                                        ; implicit-def: $vgpr4
	s_and_saveexec_b64 s[22:23], vcc
	s_xor_b64 s[22:23], exec, s[22:23]
; %bb.1434:
	v_bfe_u32 v4, v1, 20, 1
	s_mov_b32 s24, 0x407ffff
	v_add3_u32 v1, v1, v4, s24
	v_lshrrev_b32_e32 v4, 20, v1
	v_and_b32_e32 v1, 0xff00000, v1
	s_mov_b32 s24, 0x7f00000
	v_mov_b32_e32 v5, 0x7e
	v_cmp_ne_u32_e32 vcc, s24, v1
                                        ; implicit-def: $vgpr1
	s_nop 1
	v_cndmask_b32_e32 v4, v5, v4, vcc
; %bb.1435:
	s_andn2_saveexec_b64 s[22:23], s[22:23]
; %bb.1436:
	v_add_f32_e32 v4, 0x46800000, v1
; %bb.1437:
	s_or_b64 exec, exec, s[22:23]
                                        ; implicit-def: $vgpr1
.LBB6_1438:
	s_andn2_saveexec_b64 s[20:21], s[20:21]
; %bb.1439:
	s_mov_b32 s22, 0x7f800000
	v_mov_b32_e32 v4, 0x7e
	v_mov_b32_e32 v5, 0x7f
	v_cmp_lt_u32_e32 vcc, s22, v1
	s_nop 1
	v_cndmask_b32_e32 v4, v4, v5, vcc
; %bb.1440:
	s_or_b64 exec, exec, s[20:21]
	global_store_byte v[2:3], v4, off
.LBB6_1441:
	s_mov_b64 s[20:21], 0
.LBB6_1442:
	s_andn2_b64 vcc, exec, s[20:21]
	s_cbranch_vccnz .LBB6_1452
; %bb.1443:
	v_cndmask_b32_e64 v1, 0, 1.0, s[18:19]
	s_mov_b32 s20, 0x47800000
	v_cmp_gt_u32_e32 vcc, s20, v1
                                        ; implicit-def: $vgpr4
	s_and_saveexec_b64 s[20:21], vcc
	s_xor_b64 s[20:21], exec, s[20:21]
	s_cbranch_execz .LBB6_1449
; %bb.1444:
	s_mov_b32 s22, 0x387fffff
	v_cmp_lt_u32_e32 vcc, s22, v1
                                        ; implicit-def: $vgpr4
	s_and_saveexec_b64 s[22:23], vcc
	s_xor_b64 s[22:23], exec, s[22:23]
; %bb.1445:
	v_bfe_u32 v4, v1, 21, 1
	s_mov_b32 s24, 0x80fffff
	v_add3_u32 v1, v1, v4, s24
	v_lshrrev_b32_e32 v4, 21, v1
                                        ; implicit-def: $vgpr1
; %bb.1446:
	s_andn2_saveexec_b64 s[22:23], s[22:23]
; %bb.1447:
	v_add_f32_e32 v4, 0x43000000, v1
; %bb.1448:
	s_or_b64 exec, exec, s[22:23]
                                        ; implicit-def: $vgpr1
.LBB6_1449:
	s_andn2_saveexec_b64 s[20:21], s[20:21]
; %bb.1450:
	s_mov_b32 s22, 0x7f800000
	v_mov_b32_e32 v4, 0x7c
	v_mov_b32_e32 v5, 0x7f
	v_cmp_lt_u32_e32 vcc, s22, v1
	s_nop 1
	v_cndmask_b32_e32 v4, v4, v5, vcc
; %bb.1451:
	s_or_b64 exec, exec, s[20:21]
	global_store_byte v[2:3], v4, off
.LBB6_1452:
	s_mov_b64 s[20:21], 0
	s_mov_b64 s[22:23], -1
.LBB6_1453:
	s_andn2_b64 vcc, exec, s[20:21]
	s_mov_b64 s[20:21], 0
	s_cbranch_vccnz .LBB6_1460
; %bb.1454:
	s_cmp_gt_i32 s9, 14
	s_mov_b64 s[24:25], -1
	s_cbranch_scc0 .LBB6_1458
; %bb.1455:
	s_cmp_eq_u32 s9, 15
	s_mov_b64 s[0:1], -1
	s_cbranch_scc0 .LBB6_1457
; %bb.1456:
	v_cndmask_b32_e64 v1, 0, 1.0, s[18:19]
	v_bfe_u32 v4, v1, 16, 1
	s_movk_i32 s0, 0x7fff
	v_add3_u32 v1, v1, v4, s0
	global_store_short_d16_hi v[2:3], v1, off
	s_mov_b64 s[0:1], 0
	s_mov_b64 s[22:23], -1
.LBB6_1457:
	s_mov_b64 s[24:25], 0
.LBB6_1458:
	s_and_b64 vcc, exec, s[24:25]
	s_cbranch_vccz .LBB6_1460
; %bb.1459:
	s_cmp_lg_u32 s9, 11
	s_mov_b64 s[20:21], -1
	s_cselect_b64 s[0:1], -1, 0
.LBB6_1460:
	s_and_b64 vcc, exec, s[0:1]
	s_cbranch_vccnz .LBB6_1864
; %bb.1461:
	s_andn2_b64 vcc, exec, s[20:21]
	s_cbranch_vccnz .LBB6_1463
.LBB6_1462:
	v_cndmask_b32_e64 v1, 0, 1, s[18:19]
	s_mov_b64 s[22:23], -1
	global_store_byte v[2:3], v1, off
.LBB6_1463:
.LBB6_1464:
	s_andn2_b64 vcc, exec, s[22:23]
	s_cbranch_vccz .LBB6_1504
	s_branch .LBB6_1816
.LBB6_1465:
	s_and_b64 vcc, exec, s[0:1]
	s_cbranch_vccz .LBB6_1464
; %bb.1466:
	s_and_b32 s9, 0xffff, s28
	s_cmp_lt_i32 s9, 5
	s_mov_b64 s[0:1], -1
	s_cbranch_scc1 .LBB6_1487
; %bb.1467:
	s_cmp_lt_i32 s9, 8
	s_cbranch_scc1 .LBB6_1477
; %bb.1468:
	s_cmp_lt_i32 s9, 9
	s_cbranch_scc1 .LBB6_1474
; %bb.1469:
	s_cmp_gt_i32 s9, 9
	s_cbranch_scc0 .LBB6_1471
; %bb.1470:
	v_cndmask_b32_e64 v1, 0, 1, s[18:19]
	v_mov_b32_e32 v6, 0
	v_cvt_f64_u32_e32 v[4:5], v1
	v_mov_b32_e32 v7, v6
	global_store_dwordx4 v[2:3], v[4:7], off
	s_mov_b64 s[0:1], 0
.LBB6_1471:
	s_andn2_b64 vcc, exec, s[0:1]
	s_cbranch_vccnz .LBB6_1473
; %bb.1472:
	v_cndmask_b32_e64 v4, 0, 1.0, s[18:19]
	v_mov_b32_e32 v5, 0
	global_store_dwordx2 v[2:3], v[4:5], off
.LBB6_1473:
	s_mov_b64 s[0:1], 0
.LBB6_1474:
	s_andn2_b64 vcc, exec, s[0:1]
	s_cbranch_vccnz .LBB6_1476
; %bb.1475:
	v_cndmask_b32_e64 v1, 0, 1.0, s[18:19]
	v_cvt_f16_f32_e32 v1, v1
	global_store_dword v[2:3], v1, off
.LBB6_1476:
	s_mov_b64 s[0:1], 0
.LBB6_1477:
	s_andn2_b64 vcc, exec, s[0:1]
	s_cbranch_vccnz .LBB6_1486
; %bb.1478:
	s_cmp_lt_i32 s9, 6
	s_mov_b64 s[0:1], -1
	s_cbranch_scc1 .LBB6_1484
; %bb.1479:
	s_cmp_gt_i32 s9, 6
	s_cbranch_scc0 .LBB6_1481
; %bb.1480:
	v_cndmask_b32_e64 v1, 0, 1, s[18:19]
	v_cvt_f64_u32_e32 v[4:5], v1
	global_store_dwordx2 v[2:3], v[4:5], off
	s_mov_b64 s[0:1], 0
.LBB6_1481:
	s_andn2_b64 vcc, exec, s[0:1]
	s_cbranch_vccnz .LBB6_1483
; %bb.1482:
	v_cndmask_b32_e64 v1, 0, 1.0, s[18:19]
	global_store_dword v[2:3], v1, off
.LBB6_1483:
	s_mov_b64 s[0:1], 0
.LBB6_1484:
	s_andn2_b64 vcc, exec, s[0:1]
	s_cbranch_vccnz .LBB6_1486
; %bb.1485:
	v_cndmask_b32_e64 v1, 0, 1.0, s[18:19]
	v_cvt_f16_f32_e32 v1, v1
	global_store_short v[2:3], v1, off
.LBB6_1486:
	s_mov_b64 s[0:1], 0
.LBB6_1487:
	s_andn2_b64 vcc, exec, s[0:1]
	s_cbranch_vccnz .LBB6_1503
; %bb.1488:
	s_cmp_lt_i32 s9, 2
	s_mov_b64 s[0:1], -1
	s_cbranch_scc1 .LBB6_1498
; %bb.1489:
	s_cmp_lt_i32 s9, 3
	s_cbranch_scc1 .LBB6_1495
; %bb.1490:
	s_cmp_gt_i32 s9, 3
	s_cbranch_scc0 .LBB6_1492
; %bb.1491:
	s_mov_b32 s0, 0
	v_cndmask_b32_e64 v4, 0, 1, s[18:19]
	v_mov_b32_e32 v5, s0
	global_store_dwordx2 v[2:3], v[4:5], off
	s_mov_b64 s[0:1], 0
.LBB6_1492:
	s_andn2_b64 vcc, exec, s[0:1]
	s_cbranch_vccnz .LBB6_1494
; %bb.1493:
	v_cndmask_b32_e64 v1, 0, 1, s[18:19]
	global_store_dword v[2:3], v1, off
.LBB6_1494:
	s_mov_b64 s[0:1], 0
.LBB6_1495:
	s_andn2_b64 vcc, exec, s[0:1]
	s_cbranch_vccnz .LBB6_1497
; %bb.1496:
	v_cndmask_b32_e64 v1, 0, 1, s[18:19]
	global_store_short v[2:3], v1, off
.LBB6_1497:
	s_mov_b64 s[0:1], 0
.LBB6_1498:
	s_andn2_b64 vcc, exec, s[0:1]
	s_cbranch_vccnz .LBB6_1503
; %bb.1499:
	s_mov_b64 s[0:1], -1
	s_cmp_gt_i32 s9, 0
	v_cndmask_b32_e64 v1, 0, 1, s[18:19]
	s_cbranch_scc0 .LBB6_1501
; %bb.1500:
	global_store_byte v[2:3], v1, off
	s_mov_b64 s[0:1], 0
.LBB6_1501:
	s_andn2_b64 vcc, exec, s[0:1]
	s_cbranch_vccnz .LBB6_1503
; %bb.1502:
	global_store_byte v[2:3], v1, off
.LBB6_1503:
.LBB6_1504:
	s_lshl_b32 s24, s8, 7
	v_add_u32_e32 v0, s24, v0
	s_xor_b64 s[16:17], s[16:17], -1
	v_ashrrev_i32_e32 v1, 31, v0
	s_mov_b64 s[0:1], -1
	v_lshl_add_u64 v[2:3], s[4:5], 0, v[0:1]
	s_cmp_lt_i32 s28, 11
	s_mov_b64 s[18:19], 0
	s_cbranch_scc1 .LBB6_1583
; %bb.1505:
	s_and_b32 s25, 0xffff, s28
	s_mov_b64 s[20:21], -1
	s_mov_b64 s[8:9], 0
	s_cmp_gt_i32 s25, 25
	s_mov_b64 s[0:1], 0
	s_cbranch_scc0 .LBB6_1538
; %bb.1506:
	s_cmp_gt_i32 s25, 28
	s_cbranch_scc0 .LBB6_1521
; %bb.1507:
	s_cmp_gt_i32 s25, 43
	;; [unrolled: 3-line block ×3, first 2 shown]
	s_cbranch_scc0 .LBB6_1511
; %bb.1509:
	s_mov_b64 s[0:1], -1
	s_mov_b64 s[20:21], 0
	s_cmp_eq_u32 s25, 46
	s_cbranch_scc0 .LBB6_1511
; %bb.1510:
	v_cndmask_b32_e64 v1, 0, 1.0, s[16:17]
	v_bfe_u32 v4, v1, 16, 1
	s_movk_i32 s0, 0x7fff
	v_add3_u32 v1, v1, v4, s0
	v_lshrrev_b32_e32 v1, 16, v1
	global_store_dword v[2:3], v1, off
	s_mov_b64 s[0:1], 0
	s_mov_b64 s[18:19], -1
.LBB6_1511:
	s_and_b64 vcc, exec, s[20:21]
	s_cbranch_vccz .LBB6_1516
; %bb.1512:
	s_cmp_eq_u32 s25, 44
	s_mov_b64 s[0:1], -1
	s_cbranch_scc0 .LBB6_1516
; %bb.1513:
	v_cndmask_b32_e64 v4, 0, 1.0, s[16:17]
	v_lshrrev_b32_e32 v1, 23, v4
	s_movk_i32 s0, 0xff
	v_cmp_ne_u32_e32 vcc, s0, v1
	v_mov_b32_e32 v5, 0xff
	s_and_saveexec_b64 s[18:19], vcc
; %bb.1514:
	s_mov_b32 s0, 0x3fffff
	v_and_b32_e32 v5, 0x400000, v4
	v_and_or_b32 v4, v4, s0, v1
	v_cmp_ne_u32_e32 vcc, 0, v5
	v_cmp_ne_u32_e64 s[0:1], 0, v4
	s_and_b64 s[0:1], vcc, s[0:1]
	s_nop 0
	v_cndmask_b32_e64 v4, 0, 1, s[0:1]
	v_add_u32_e32 v5, v1, v4
; %bb.1515:
	s_or_b64 exec, exec, s[18:19]
	s_mov_b64 s[0:1], 0
	s_mov_b64 s[18:19], -1
	global_store_byte v[2:3], v5, off
.LBB6_1516:
	s_mov_b64 s[20:21], 0
.LBB6_1517:
	s_and_b64 vcc, exec, s[20:21]
	s_cbranch_vccz .LBB6_1520
; %bb.1518:
	s_cmp_eq_u32 s25, 29
	s_mov_b64 s[0:1], -1
	s_cbranch_scc0 .LBB6_1520
; %bb.1519:
	s_mov_b32 s0, 0
	v_cndmask_b32_e64 v4, 0, 1, s[16:17]
	v_mov_b32_e32 v5, s0
	global_store_dwordx2 v[2:3], v[4:5], off
	s_mov_b64 s[0:1], 0
	s_mov_b64 s[18:19], -1
.LBB6_1520:
	s_mov_b64 s[20:21], 0
.LBB6_1521:
	s_and_b64 vcc, exec, s[20:21]
	s_cbranch_vccz .LBB6_1537
; %bb.1522:
	s_cmp_lt_i32 s25, 27
	s_mov_b64 s[18:19], -1
	s_cbranch_scc1 .LBB6_1528
; %bb.1523:
	s_cmp_gt_i32 s25, 27
	s_cbranch_scc0 .LBB6_1525
; %bb.1524:
	v_cndmask_b32_e64 v1, 0, 1, s[16:17]
	s_mov_b64 s[18:19], 0
	global_store_dword v[2:3], v1, off
.LBB6_1525:
	s_andn2_b64 vcc, exec, s[18:19]
	s_cbranch_vccnz .LBB6_1527
; %bb.1526:
	v_cndmask_b32_e64 v1, 0, 1, s[16:17]
	global_store_short v[2:3], v1, off
.LBB6_1527:
	s_mov_b64 s[18:19], 0
.LBB6_1528:
	s_andn2_b64 vcc, exec, s[18:19]
	s_cbranch_vccnz .LBB6_1536
; %bb.1529:
	v_cndmask_b32_e64 v4, 0, 1.0, s[16:17]
	s_mov_b32 s18, 0x43800000
	v_cmp_gt_u32_e32 vcc, s18, v4
	v_mov_b32_e32 v5, 0x80
	s_and_saveexec_b64 s[18:19], vcc
	s_cbranch_execz .LBB6_1535
; %bb.1530:
	s_mov_b32 s20, 0x3bffffff
	v_cmp_lt_u32_e32 vcc, s20, v4
	s_mov_b64 s[20:21], 0
                                        ; implicit-def: $vgpr1
	s_and_saveexec_b64 s[22:23], vcc
	s_xor_b64 s[22:23], exec, s[22:23]
	s_cbranch_execz .LBB6_1867
; %bb.1531:
	v_bfe_u32 v1, v4, 20, 1
	s_mov_b32 s26, 0x487ffff
	v_add3_u32 v1, v4, v1, s26
	s_mov_b64 s[20:21], exec
	v_lshrrev_b32_e32 v1, 20, v1
                                        ; implicit-def: $vgpr4
	s_andn2_saveexec_b64 s[22:23], s[22:23]
	s_cbranch_execnz .LBB6_1868
.LBB6_1532:
	s_or_b64 exec, exec, s[22:23]
	v_mov_b32_e32 v5, 0
	s_and_saveexec_b64 s[22:23], s[20:21]
.LBB6_1533:
	v_mov_b32_e32 v5, v1
.LBB6_1534:
	s_or_b64 exec, exec, s[22:23]
.LBB6_1535:
	s_or_b64 exec, exec, s[18:19]
	global_store_byte v[2:3], v5, off
.LBB6_1536:
	s_mov_b64 s[18:19], -1
.LBB6_1537:
	s_mov_b64 s[20:21], 0
.LBB6_1538:
	s_and_b64 vcc, exec, s[20:21]
	s_cbranch_vccz .LBB6_1578
; %bb.1539:
	s_cmp_gt_i32 s25, 22
	s_mov_b64 s[8:9], -1
	s_cbranch_scc0 .LBB6_1571
; %bb.1540:
	s_cmp_lt_i32 s25, 24
	s_cbranch_scc1 .LBB6_1560
; %bb.1541:
	s_cmp_gt_i32 s25, 24
	s_cbranch_scc0 .LBB6_1549
; %bb.1542:
	v_cndmask_b32_e64 v4, 0, 1.0, s[16:17]
	s_mov_b32 s8, 0x47800000
	v_cmp_gt_u32_e32 vcc, s8, v4
	v_mov_b32_e32 v5, 0x80
	s_and_saveexec_b64 s[8:9], vcc
	s_cbranch_execz .LBB6_1548
; %bb.1543:
	s_mov_b32 s18, 0x37ffffff
	v_cmp_lt_u32_e32 vcc, s18, v4
	s_mov_b64 s[18:19], 0
                                        ; implicit-def: $vgpr1
	s_and_saveexec_b64 s[20:21], vcc
	s_xor_b64 s[20:21], exec, s[20:21]
	s_cbranch_execz .LBB6_1870
; %bb.1544:
	v_bfe_u32 v1, v4, 21, 1
	s_mov_b32 s22, 0x88fffff
	v_add3_u32 v1, v4, v1, s22
	s_mov_b64 s[18:19], exec
	v_lshrrev_b32_e32 v1, 21, v1
                                        ; implicit-def: $vgpr4
	s_andn2_saveexec_b64 s[20:21], s[20:21]
	s_cbranch_execnz .LBB6_1871
.LBB6_1545:
	s_or_b64 exec, exec, s[20:21]
	v_mov_b32_e32 v5, 0
	s_and_saveexec_b64 s[20:21], s[18:19]
.LBB6_1546:
	v_mov_b32_e32 v5, v1
.LBB6_1547:
	s_or_b64 exec, exec, s[20:21]
.LBB6_1548:
	s_or_b64 exec, exec, s[8:9]
	s_mov_b64 s[8:9], 0
	global_store_byte v[2:3], v5, off
.LBB6_1549:
	s_and_b64 vcc, exec, s[8:9]
	s_cbranch_vccz .LBB6_1559
; %bb.1550:
	v_cndmask_b32_e64 v1, 0, 1.0, s[16:17]
	s_mov_b32 s8, 0x43f00000
	v_cmp_gt_u32_e32 vcc, s8, v1
                                        ; implicit-def: $vgpr4
	s_and_saveexec_b64 s[8:9], vcc
	s_xor_b64 s[8:9], exec, s[8:9]
	s_cbranch_execz .LBB6_1556
; %bb.1551:
	s_mov_b32 s18, 0x3c7fffff
	v_cmp_lt_u32_e32 vcc, s18, v1
                                        ; implicit-def: $vgpr4
	s_and_saveexec_b64 s[18:19], vcc
	s_xor_b64 s[18:19], exec, s[18:19]
; %bb.1552:
	v_bfe_u32 v4, v1, 20, 1
	s_mov_b32 s20, 0x407ffff
	v_add3_u32 v1, v1, v4, s20
	v_lshrrev_b32_e32 v4, 20, v1
	v_and_b32_e32 v1, 0xff00000, v1
	s_mov_b32 s20, 0x7f00000
	v_mov_b32_e32 v5, 0x7e
	v_cmp_ne_u32_e32 vcc, s20, v1
                                        ; implicit-def: $vgpr1
	s_nop 1
	v_cndmask_b32_e32 v4, v5, v4, vcc
; %bb.1553:
	s_andn2_saveexec_b64 s[18:19], s[18:19]
; %bb.1554:
	v_add_f32_e32 v4, 0x46800000, v1
; %bb.1555:
	s_or_b64 exec, exec, s[18:19]
                                        ; implicit-def: $vgpr1
.LBB6_1556:
	s_andn2_saveexec_b64 s[8:9], s[8:9]
; %bb.1557:
	s_mov_b32 s18, 0x7f800000
	v_mov_b32_e32 v4, 0x7e
	v_mov_b32_e32 v5, 0x7f
	v_cmp_lt_u32_e32 vcc, s18, v1
	s_nop 1
	v_cndmask_b32_e32 v4, v4, v5, vcc
; %bb.1558:
	s_or_b64 exec, exec, s[8:9]
	global_store_byte v[2:3], v4, off
.LBB6_1559:
	s_mov_b64 s[8:9], 0
.LBB6_1560:
	s_andn2_b64 vcc, exec, s[8:9]
	s_cbranch_vccnz .LBB6_1570
; %bb.1561:
	v_cndmask_b32_e64 v1, 0, 1.0, s[16:17]
	s_mov_b32 s8, 0x47800000
	v_cmp_gt_u32_e32 vcc, s8, v1
                                        ; implicit-def: $vgpr4
	s_and_saveexec_b64 s[8:9], vcc
	s_xor_b64 s[8:9], exec, s[8:9]
	s_cbranch_execz .LBB6_1567
; %bb.1562:
	s_mov_b32 s18, 0x387fffff
	v_cmp_lt_u32_e32 vcc, s18, v1
                                        ; implicit-def: $vgpr4
	s_and_saveexec_b64 s[18:19], vcc
	s_xor_b64 s[18:19], exec, s[18:19]
; %bb.1563:
	v_bfe_u32 v4, v1, 21, 1
	s_mov_b32 s20, 0x80fffff
	v_add3_u32 v1, v1, v4, s20
	v_lshrrev_b32_e32 v4, 21, v1
                                        ; implicit-def: $vgpr1
; %bb.1564:
	s_andn2_saveexec_b64 s[18:19], s[18:19]
; %bb.1565:
	v_add_f32_e32 v4, 0x43000000, v1
; %bb.1566:
	s_or_b64 exec, exec, s[18:19]
                                        ; implicit-def: $vgpr1
.LBB6_1567:
	s_andn2_saveexec_b64 s[8:9], s[8:9]
; %bb.1568:
	s_mov_b32 s18, 0x7f800000
	v_mov_b32_e32 v4, 0x7c
	v_mov_b32_e32 v5, 0x7f
	v_cmp_lt_u32_e32 vcc, s18, v1
	s_nop 1
	v_cndmask_b32_e32 v4, v4, v5, vcc
; %bb.1569:
	s_or_b64 exec, exec, s[8:9]
	global_store_byte v[2:3], v4, off
.LBB6_1570:
	s_mov_b64 s[8:9], 0
	s_mov_b64 s[18:19], -1
.LBB6_1571:
	s_andn2_b64 vcc, exec, s[8:9]
	s_mov_b64 s[8:9], 0
	s_cbranch_vccnz .LBB6_1578
; %bb.1572:
	s_cmp_gt_i32 s25, 14
	s_mov_b64 s[20:21], -1
	s_cbranch_scc0 .LBB6_1576
; %bb.1573:
	s_cmp_eq_u32 s25, 15
	s_mov_b64 s[0:1], -1
	s_cbranch_scc0 .LBB6_1575
; %bb.1574:
	v_cndmask_b32_e64 v1, 0, 1.0, s[16:17]
	v_bfe_u32 v4, v1, 16, 1
	s_movk_i32 s0, 0x7fff
	v_add3_u32 v1, v1, v4, s0
	global_store_short_d16_hi v[2:3], v1, off
	s_mov_b64 s[0:1], 0
	s_mov_b64 s[18:19], -1
.LBB6_1575:
	s_mov_b64 s[20:21], 0
.LBB6_1576:
	s_and_b64 vcc, exec, s[20:21]
	s_cbranch_vccz .LBB6_1578
; %bb.1577:
	s_cmp_lg_u32 s25, 11
	s_mov_b64 s[8:9], -1
	s_cselect_b64 s[0:1], -1, 0
.LBB6_1578:
	s_and_b64 vcc, exec, s[0:1]
	s_cbranch_vccnz .LBB6_1869
; %bb.1579:
	s_andn2_b64 vcc, exec, s[8:9]
	s_cbranch_vccnz .LBB6_1581
.LBB6_1580:
	v_cndmask_b32_e64 v1, 0, 1, s[16:17]
	s_mov_b64 s[18:19], -1
	global_store_byte v[2:3], v1, off
.LBB6_1581:
.LBB6_1582:
	s_andn2_b64 vcc, exec, s[18:19]
	s_cbranch_vccz .LBB6_1622
	s_branch .LBB6_1816
.LBB6_1583:
	s_and_b64 vcc, exec, s[0:1]
	s_cbranch_vccz .LBB6_1582
; %bb.1584:
	s_and_b32 s8, 0xffff, s28
	s_cmp_lt_i32 s8, 5
	s_mov_b64 s[0:1], -1
	s_cbranch_scc1 .LBB6_1605
; %bb.1585:
	s_cmp_lt_i32 s8, 8
	s_cbranch_scc1 .LBB6_1595
; %bb.1586:
	s_cmp_lt_i32 s8, 9
	s_cbranch_scc1 .LBB6_1592
; %bb.1587:
	s_cmp_gt_i32 s8, 9
	s_cbranch_scc0 .LBB6_1589
; %bb.1588:
	v_cndmask_b32_e64 v1, 0, 1, s[16:17]
	v_mov_b32_e32 v6, 0
	v_cvt_f64_u32_e32 v[4:5], v1
	v_mov_b32_e32 v7, v6
	global_store_dwordx4 v[2:3], v[4:7], off
	s_mov_b64 s[0:1], 0
.LBB6_1589:
	s_andn2_b64 vcc, exec, s[0:1]
	s_cbranch_vccnz .LBB6_1591
; %bb.1590:
	v_cndmask_b32_e64 v4, 0, 1.0, s[16:17]
	v_mov_b32_e32 v5, 0
	global_store_dwordx2 v[2:3], v[4:5], off
.LBB6_1591:
	s_mov_b64 s[0:1], 0
.LBB6_1592:
	s_andn2_b64 vcc, exec, s[0:1]
	s_cbranch_vccnz .LBB6_1594
; %bb.1593:
	v_cndmask_b32_e64 v1, 0, 1.0, s[16:17]
	v_cvt_f16_f32_e32 v1, v1
	global_store_dword v[2:3], v1, off
.LBB6_1594:
	s_mov_b64 s[0:1], 0
.LBB6_1595:
	s_andn2_b64 vcc, exec, s[0:1]
	s_cbranch_vccnz .LBB6_1604
; %bb.1596:
	s_cmp_lt_i32 s8, 6
	s_mov_b64 s[0:1], -1
	s_cbranch_scc1 .LBB6_1602
; %bb.1597:
	s_cmp_gt_i32 s8, 6
	s_cbranch_scc0 .LBB6_1599
; %bb.1598:
	v_cndmask_b32_e64 v1, 0, 1, s[16:17]
	v_cvt_f64_u32_e32 v[4:5], v1
	global_store_dwordx2 v[2:3], v[4:5], off
	s_mov_b64 s[0:1], 0
.LBB6_1599:
	s_andn2_b64 vcc, exec, s[0:1]
	s_cbranch_vccnz .LBB6_1601
; %bb.1600:
	v_cndmask_b32_e64 v1, 0, 1.0, s[16:17]
	global_store_dword v[2:3], v1, off
.LBB6_1601:
	s_mov_b64 s[0:1], 0
.LBB6_1602:
	s_andn2_b64 vcc, exec, s[0:1]
	s_cbranch_vccnz .LBB6_1604
; %bb.1603:
	v_cndmask_b32_e64 v1, 0, 1.0, s[16:17]
	v_cvt_f16_f32_e32 v1, v1
	global_store_short v[2:3], v1, off
.LBB6_1604:
	s_mov_b64 s[0:1], 0
.LBB6_1605:
	s_andn2_b64 vcc, exec, s[0:1]
	s_cbranch_vccnz .LBB6_1621
; %bb.1606:
	s_cmp_lt_i32 s8, 2
	s_mov_b64 s[0:1], -1
	s_cbranch_scc1 .LBB6_1616
; %bb.1607:
	s_cmp_lt_i32 s8, 3
	s_cbranch_scc1 .LBB6_1613
; %bb.1608:
	s_cmp_gt_i32 s8, 3
	s_cbranch_scc0 .LBB6_1610
; %bb.1609:
	s_mov_b32 s0, 0
	v_cndmask_b32_e64 v4, 0, 1, s[16:17]
	v_mov_b32_e32 v5, s0
	global_store_dwordx2 v[2:3], v[4:5], off
	s_mov_b64 s[0:1], 0
.LBB6_1610:
	s_andn2_b64 vcc, exec, s[0:1]
	s_cbranch_vccnz .LBB6_1612
; %bb.1611:
	v_cndmask_b32_e64 v1, 0, 1, s[16:17]
	global_store_dword v[2:3], v1, off
.LBB6_1612:
	s_mov_b64 s[0:1], 0
.LBB6_1613:
	s_andn2_b64 vcc, exec, s[0:1]
	s_cbranch_vccnz .LBB6_1615
; %bb.1614:
	v_cndmask_b32_e64 v1, 0, 1, s[16:17]
	global_store_short v[2:3], v1, off
.LBB6_1615:
	s_mov_b64 s[0:1], 0
.LBB6_1616:
	s_andn2_b64 vcc, exec, s[0:1]
	s_cbranch_vccnz .LBB6_1621
; %bb.1617:
	s_mov_b64 s[0:1], -1
	s_cmp_gt_i32 s8, 0
	v_cndmask_b32_e64 v1, 0, 1, s[16:17]
	s_cbranch_scc0 .LBB6_1619
; %bb.1618:
	global_store_byte v[2:3], v1, off
	s_mov_b64 s[0:1], 0
.LBB6_1619:
	s_andn2_b64 vcc, exec, s[0:1]
	s_cbranch_vccnz .LBB6_1621
; %bb.1620:
	global_store_byte v[2:3], v1, off
.LBB6_1621:
.LBB6_1622:
	v_add_u32_e32 v0, s24, v0
	s_xor_b64 s[8:9], s[10:11], -1
	v_ashrrev_i32_e32 v1, 31, v0
	s_mov_b64 s[0:1], -1
	v_lshl_add_u64 v[2:3], s[4:5], 0, v[0:1]
	s_cmp_lt_i32 s28, 11
	s_mov_b64 s[16:17], 0
	s_cbranch_scc1 .LBB6_1777
; %bb.1623:
	s_and_b32 s22, 0xffff, s28
	s_mov_b64 s[18:19], -1
	s_mov_b64 s[10:11], 0
	s_cmp_gt_i32 s22, 25
	s_mov_b64 s[0:1], 0
	s_cbranch_scc0 .LBB6_1656
; %bb.1624:
	s_cmp_gt_i32 s22, 28
	s_cbranch_scc0 .LBB6_1639
; %bb.1625:
	s_cmp_gt_i32 s22, 43
	;; [unrolled: 3-line block ×3, first 2 shown]
	s_cbranch_scc0 .LBB6_1629
; %bb.1627:
	s_mov_b64 s[0:1], -1
	s_mov_b64 s[18:19], 0
	s_cmp_eq_u32 s22, 46
	s_cbranch_scc0 .LBB6_1629
; %bb.1628:
	v_cndmask_b32_e64 v1, 0, 1.0, s[8:9]
	v_bfe_u32 v4, v1, 16, 1
	s_movk_i32 s0, 0x7fff
	v_add3_u32 v1, v1, v4, s0
	v_lshrrev_b32_e32 v1, 16, v1
	global_store_dword v[2:3], v1, off
	s_mov_b64 s[0:1], 0
	s_mov_b64 s[16:17], -1
.LBB6_1629:
	s_and_b64 vcc, exec, s[18:19]
	s_cbranch_vccz .LBB6_1634
; %bb.1630:
	s_cmp_eq_u32 s22, 44
	s_mov_b64 s[0:1], -1
	s_cbranch_scc0 .LBB6_1634
; %bb.1631:
	v_cndmask_b32_e64 v4, 0, 1.0, s[8:9]
	v_lshrrev_b32_e32 v1, 23, v4
	s_movk_i32 s0, 0xff
	v_cmp_ne_u32_e32 vcc, s0, v1
	v_mov_b32_e32 v5, 0xff
	s_and_saveexec_b64 s[16:17], vcc
; %bb.1632:
	s_mov_b32 s0, 0x3fffff
	v_and_b32_e32 v5, 0x400000, v4
	v_and_or_b32 v4, v4, s0, v1
	v_cmp_ne_u32_e32 vcc, 0, v5
	v_cmp_ne_u32_e64 s[0:1], 0, v4
	s_and_b64 s[0:1], vcc, s[0:1]
	s_nop 0
	v_cndmask_b32_e64 v4, 0, 1, s[0:1]
	v_add_u32_e32 v5, v1, v4
; %bb.1633:
	s_or_b64 exec, exec, s[16:17]
	s_mov_b64 s[0:1], 0
	s_mov_b64 s[16:17], -1
	global_store_byte v[2:3], v5, off
.LBB6_1634:
	s_mov_b64 s[18:19], 0
.LBB6_1635:
	s_and_b64 vcc, exec, s[18:19]
	s_cbranch_vccz .LBB6_1638
; %bb.1636:
	s_cmp_eq_u32 s22, 29
	s_mov_b64 s[0:1], -1
	s_cbranch_scc0 .LBB6_1638
; %bb.1637:
	s_mov_b32 s0, 0
	v_cndmask_b32_e64 v4, 0, 1, s[8:9]
	v_mov_b32_e32 v5, s0
	global_store_dwordx2 v[2:3], v[4:5], off
	s_mov_b64 s[0:1], 0
	s_mov_b64 s[16:17], -1
.LBB6_1638:
	s_mov_b64 s[18:19], 0
.LBB6_1639:
	s_and_b64 vcc, exec, s[18:19]
	s_cbranch_vccz .LBB6_1655
; %bb.1640:
	s_cmp_lt_i32 s22, 27
	s_mov_b64 s[16:17], -1
	s_cbranch_scc1 .LBB6_1646
; %bb.1641:
	s_cmp_gt_i32 s22, 27
	s_cbranch_scc0 .LBB6_1643
; %bb.1642:
	v_cndmask_b32_e64 v1, 0, 1, s[8:9]
	s_mov_b64 s[16:17], 0
	global_store_dword v[2:3], v1, off
.LBB6_1643:
	s_andn2_b64 vcc, exec, s[16:17]
	s_cbranch_vccnz .LBB6_1645
; %bb.1644:
	v_cndmask_b32_e64 v1, 0, 1, s[8:9]
	global_store_short v[2:3], v1, off
.LBB6_1645:
	s_mov_b64 s[16:17], 0
.LBB6_1646:
	s_andn2_b64 vcc, exec, s[16:17]
	s_cbranch_vccnz .LBB6_1654
; %bb.1647:
	v_cndmask_b32_e64 v4, 0, 1.0, s[8:9]
	s_mov_b32 s16, 0x43800000
	v_cmp_gt_u32_e32 vcc, s16, v4
	v_mov_b32_e32 v5, 0x80
	s_and_saveexec_b64 s[16:17], vcc
	s_cbranch_execz .LBB6_1653
; %bb.1648:
	s_mov_b32 s18, 0x3bffffff
	v_cmp_lt_u32_e32 vcc, s18, v4
	s_mov_b64 s[18:19], 0
                                        ; implicit-def: $vgpr1
	s_and_saveexec_b64 s[20:21], vcc
	s_xor_b64 s[20:21], exec, s[20:21]
	s_cbranch_execz .LBB6_1872
; %bb.1649:
	v_bfe_u32 v1, v4, 20, 1
	s_mov_b32 s23, 0x487ffff
	v_add3_u32 v1, v4, v1, s23
	s_mov_b64 s[18:19], exec
	v_lshrrev_b32_e32 v1, 20, v1
                                        ; implicit-def: $vgpr4
	s_andn2_saveexec_b64 s[20:21], s[20:21]
	s_cbranch_execnz .LBB6_1873
.LBB6_1650:
	s_or_b64 exec, exec, s[20:21]
	v_mov_b32_e32 v5, 0
	s_and_saveexec_b64 s[20:21], s[18:19]
.LBB6_1651:
	v_mov_b32_e32 v5, v1
.LBB6_1652:
	s_or_b64 exec, exec, s[20:21]
.LBB6_1653:
	s_or_b64 exec, exec, s[16:17]
	global_store_byte v[2:3], v5, off
.LBB6_1654:
	s_mov_b64 s[16:17], -1
.LBB6_1655:
	s_mov_b64 s[18:19], 0
.LBB6_1656:
	s_and_b64 vcc, exec, s[18:19]
	s_cbranch_vccz .LBB6_1696
; %bb.1657:
	s_cmp_gt_i32 s22, 22
	s_mov_b64 s[10:11], -1
	s_cbranch_scc0 .LBB6_1689
; %bb.1658:
	s_cmp_lt_i32 s22, 24
	s_cbranch_scc1 .LBB6_1678
; %bb.1659:
	s_cmp_gt_i32 s22, 24
	s_cbranch_scc0 .LBB6_1667
; %bb.1660:
	v_cndmask_b32_e64 v4, 0, 1.0, s[8:9]
	s_mov_b32 s10, 0x47800000
	v_cmp_gt_u32_e32 vcc, s10, v4
	v_mov_b32_e32 v5, 0x80
	s_and_saveexec_b64 s[10:11], vcc
	s_cbranch_execz .LBB6_1666
; %bb.1661:
	s_mov_b32 s16, 0x37ffffff
	v_cmp_lt_u32_e32 vcc, s16, v4
	s_mov_b64 s[16:17], 0
                                        ; implicit-def: $vgpr1
	s_and_saveexec_b64 s[18:19], vcc
	s_xor_b64 s[18:19], exec, s[18:19]
	s_cbranch_execz .LBB6_1875
; %bb.1662:
	v_bfe_u32 v1, v4, 21, 1
	s_mov_b32 s20, 0x88fffff
	v_add3_u32 v1, v4, v1, s20
	s_mov_b64 s[16:17], exec
	v_lshrrev_b32_e32 v1, 21, v1
                                        ; implicit-def: $vgpr4
	s_andn2_saveexec_b64 s[18:19], s[18:19]
	s_cbranch_execnz .LBB6_1876
.LBB6_1663:
	s_or_b64 exec, exec, s[18:19]
	v_mov_b32_e32 v5, 0
	s_and_saveexec_b64 s[18:19], s[16:17]
.LBB6_1664:
	v_mov_b32_e32 v5, v1
.LBB6_1665:
	s_or_b64 exec, exec, s[18:19]
.LBB6_1666:
	s_or_b64 exec, exec, s[10:11]
	s_mov_b64 s[10:11], 0
	global_store_byte v[2:3], v5, off
.LBB6_1667:
	s_and_b64 vcc, exec, s[10:11]
	s_cbranch_vccz .LBB6_1677
; %bb.1668:
	v_cndmask_b32_e64 v1, 0, 1.0, s[8:9]
	s_mov_b32 s10, 0x43f00000
	v_cmp_gt_u32_e32 vcc, s10, v1
                                        ; implicit-def: $vgpr4
	s_and_saveexec_b64 s[10:11], vcc
	s_xor_b64 s[10:11], exec, s[10:11]
	s_cbranch_execz .LBB6_1674
; %bb.1669:
	s_mov_b32 s16, 0x3c7fffff
	v_cmp_lt_u32_e32 vcc, s16, v1
                                        ; implicit-def: $vgpr4
	s_and_saveexec_b64 s[16:17], vcc
	s_xor_b64 s[16:17], exec, s[16:17]
; %bb.1670:
	v_bfe_u32 v4, v1, 20, 1
	s_mov_b32 s18, 0x407ffff
	v_add3_u32 v1, v1, v4, s18
	v_lshrrev_b32_e32 v4, 20, v1
	v_and_b32_e32 v1, 0xff00000, v1
	s_mov_b32 s18, 0x7f00000
	v_mov_b32_e32 v5, 0x7e
	v_cmp_ne_u32_e32 vcc, s18, v1
                                        ; implicit-def: $vgpr1
	s_nop 1
	v_cndmask_b32_e32 v4, v5, v4, vcc
; %bb.1671:
	s_andn2_saveexec_b64 s[16:17], s[16:17]
; %bb.1672:
	v_add_f32_e32 v4, 0x46800000, v1
; %bb.1673:
	s_or_b64 exec, exec, s[16:17]
                                        ; implicit-def: $vgpr1
.LBB6_1674:
	s_andn2_saveexec_b64 s[10:11], s[10:11]
; %bb.1675:
	s_mov_b32 s16, 0x7f800000
	v_mov_b32_e32 v4, 0x7e
	v_mov_b32_e32 v5, 0x7f
	v_cmp_lt_u32_e32 vcc, s16, v1
	s_nop 1
	v_cndmask_b32_e32 v4, v4, v5, vcc
; %bb.1676:
	s_or_b64 exec, exec, s[10:11]
	global_store_byte v[2:3], v4, off
.LBB6_1677:
	s_mov_b64 s[10:11], 0
.LBB6_1678:
	s_andn2_b64 vcc, exec, s[10:11]
	s_cbranch_vccnz .LBB6_1688
; %bb.1679:
	v_cndmask_b32_e64 v1, 0, 1.0, s[8:9]
	s_mov_b32 s10, 0x47800000
	v_cmp_gt_u32_e32 vcc, s10, v1
                                        ; implicit-def: $vgpr4
	s_and_saveexec_b64 s[10:11], vcc
	s_xor_b64 s[10:11], exec, s[10:11]
	s_cbranch_execz .LBB6_1685
; %bb.1680:
	s_mov_b32 s16, 0x387fffff
	v_cmp_lt_u32_e32 vcc, s16, v1
                                        ; implicit-def: $vgpr4
	s_and_saveexec_b64 s[16:17], vcc
	s_xor_b64 s[16:17], exec, s[16:17]
; %bb.1681:
	v_bfe_u32 v4, v1, 21, 1
	s_mov_b32 s18, 0x80fffff
	v_add3_u32 v1, v1, v4, s18
	v_lshrrev_b32_e32 v4, 21, v1
                                        ; implicit-def: $vgpr1
; %bb.1682:
	s_andn2_saveexec_b64 s[16:17], s[16:17]
; %bb.1683:
	v_add_f32_e32 v4, 0x43000000, v1
; %bb.1684:
	s_or_b64 exec, exec, s[16:17]
                                        ; implicit-def: $vgpr1
.LBB6_1685:
	s_andn2_saveexec_b64 s[10:11], s[10:11]
; %bb.1686:
	s_mov_b32 s16, 0x7f800000
	v_mov_b32_e32 v4, 0x7c
	v_mov_b32_e32 v5, 0x7f
	v_cmp_lt_u32_e32 vcc, s16, v1
	s_nop 1
	v_cndmask_b32_e32 v4, v4, v5, vcc
; %bb.1687:
	s_or_b64 exec, exec, s[10:11]
	global_store_byte v[2:3], v4, off
.LBB6_1688:
	s_mov_b64 s[10:11], 0
	s_mov_b64 s[16:17], -1
.LBB6_1689:
	s_andn2_b64 vcc, exec, s[10:11]
	s_mov_b64 s[10:11], 0
	s_cbranch_vccnz .LBB6_1696
; %bb.1690:
	s_cmp_gt_i32 s22, 14
	s_mov_b64 s[18:19], -1
	s_cbranch_scc0 .LBB6_1694
; %bb.1691:
	s_cmp_eq_u32 s22, 15
	s_mov_b64 s[0:1], -1
	s_cbranch_scc0 .LBB6_1693
; %bb.1692:
	v_cndmask_b32_e64 v1, 0, 1.0, s[8:9]
	v_bfe_u32 v4, v1, 16, 1
	s_movk_i32 s0, 0x7fff
	v_add3_u32 v1, v1, v4, s0
	global_store_short_d16_hi v[2:3], v1, off
	s_mov_b64 s[0:1], 0
	s_mov_b64 s[16:17], -1
.LBB6_1693:
	s_mov_b64 s[18:19], 0
.LBB6_1694:
	s_and_b64 vcc, exec, s[18:19]
	s_cbranch_vccz .LBB6_1696
; %bb.1695:
	s_cmp_lg_u32 s22, 11
	s_mov_b64 s[10:11], -1
	s_cselect_b64 s[0:1], -1, 0
.LBB6_1696:
	s_and_b64 vcc, exec, s[0:1]
	s_cbranch_vccnz .LBB6_1874
; %bb.1697:
	s_andn2_b64 vcc, exec, s[10:11]
	s_cbranch_vccnz .LBB6_1699
.LBB6_1698:
	v_cndmask_b32_e64 v1, 0, 1, s[8:9]
	s_mov_b64 s[16:17], -1
	global_store_byte v[2:3], v1, off
.LBB6_1699:
.LBB6_1700:
	s_andn2_b64 vcc, exec, s[16:17]
	s_cbranch_vccnz .LBB6_1816
.LBB6_1701:
	v_add_u32_e32 v0, s24, v0
	s_xor_b64 s[16:17], s[6:7], -1
	v_ashrrev_i32_e32 v1, 31, v0
	s_mov_b64 s[0:1], -1
	v_lshl_add_u64 v[0:1], s[4:5], 0, v[0:1]
	s_cmp_lt_i32 s28, 11
	s_mov_b64 s[4:5], 0
	s_cbranch_scc1 .LBB6_1817
; %bb.1702:
	s_and_b32 s18, 0xffff, s28
	s_mov_b64 s[6:7], -1
	s_cmp_gt_i32 s18, 25
	s_mov_b64 s[0:1], 0
	s_cbranch_scc0 .LBB6_1735
; %bb.1703:
	s_cmp_gt_i32 s18, 28
	s_cbranch_scc0 .LBB6_1719
; %bb.1704:
	s_cmp_gt_i32 s18, 43
	;; [unrolled: 3-line block ×3, first 2 shown]
	s_cbranch_scc0 .LBB6_1709
; %bb.1706:
	s_cmp_eq_u32 s18, 46
	s_mov_b64 s[0:1], -1
	s_cbranch_scc0 .LBB6_1708
; %bb.1707:
	v_cndmask_b32_e64 v2, 0, 1.0, s[16:17]
	v_bfe_u32 v3, v2, 16, 1
	s_movk_i32 s0, 0x7fff
	v_add3_u32 v2, v2, v3, s0
	v_lshrrev_b32_e32 v2, 16, v2
	global_store_dword v[0:1], v2, off
	s_mov_b64 s[0:1], 0
.LBB6_1708:
	s_mov_b64 s[6:7], 0
.LBB6_1709:
	s_and_b64 vcc, exec, s[6:7]
	s_cbranch_vccz .LBB6_1714
; %bb.1710:
	s_cmp_eq_u32 s18, 44
	s_mov_b64 s[0:1], -1
	s_cbranch_scc0 .LBB6_1714
; %bb.1711:
	v_cndmask_b32_e64 v3, 0, 1.0, s[16:17]
	v_lshrrev_b32_e32 v2, 23, v3
	s_movk_i32 s0, 0xff
	v_cmp_ne_u32_e32 vcc, s0, v2
	v_mov_b32_e32 v4, 0xff
	s_and_saveexec_b64 s[6:7], vcc
; %bb.1712:
	s_mov_b32 s0, 0x3fffff
	v_and_b32_e32 v4, 0x400000, v3
	v_and_or_b32 v3, v3, s0, v2
	v_cmp_ne_u32_e32 vcc, 0, v4
	v_cmp_ne_u32_e64 s[0:1], 0, v3
	s_and_b64 s[0:1], vcc, s[0:1]
	s_nop 0
	v_cndmask_b32_e64 v3, 0, 1, s[0:1]
	v_add_u32_e32 v4, v2, v3
; %bb.1713:
	s_or_b64 exec, exec, s[6:7]
	s_mov_b64 s[0:1], 0
	global_store_byte v[0:1], v4, off
.LBB6_1714:
	s_mov_b64 s[6:7], 0
.LBB6_1715:
	s_and_b64 vcc, exec, s[6:7]
	s_cbranch_vccz .LBB6_1718
; %bb.1716:
	s_cmp_eq_u32 s18, 29
	s_mov_b64 s[0:1], -1
	s_cbranch_scc0 .LBB6_1718
; %bb.1717:
	s_mov_b32 s0, 0
	v_cndmask_b32_e64 v2, 0, 1, s[16:17]
	v_mov_b32_e32 v3, s0
	global_store_dwordx2 v[0:1], v[2:3], off
	s_mov_b64 s[0:1], 0
.LBB6_1718:
	s_mov_b64 s[6:7], 0
.LBB6_1719:
	s_and_b64 vcc, exec, s[6:7]
	s_cbranch_vccz .LBB6_1734
; %bb.1720:
	s_cmp_lt_i32 s18, 27
	s_mov_b64 s[6:7], -1
	s_cbranch_scc1 .LBB6_1726
; %bb.1721:
	s_cmp_gt_i32 s18, 27
	v_cndmask_b32_e64 v2, 0, 1, s[16:17]
	s_cbranch_scc0 .LBB6_1723
; %bb.1722:
	global_store_dword v[0:1], v2, off
	s_mov_b64 s[6:7], 0
.LBB6_1723:
	s_andn2_b64 vcc, exec, s[6:7]
	s_cbranch_vccnz .LBB6_1725
; %bb.1724:
	global_store_short v[0:1], v2, off
.LBB6_1725:
	s_mov_b64 s[6:7], 0
.LBB6_1726:
	s_andn2_b64 vcc, exec, s[6:7]
	s_cbranch_vccnz .LBB6_1734
; %bb.1727:
	v_cndmask_b32_e64 v3, 0, 1.0, s[16:17]
	s_mov_b32 s6, 0x43800000
	v_cmp_gt_u32_e32 vcc, s6, v3
	v_mov_b32_e32 v4, 0x80
	s_and_saveexec_b64 s[6:7], vcc
	s_cbranch_execz .LBB6_1733
; %bb.1728:
	s_mov_b32 s8, 0x3bffffff
	v_cmp_lt_u32_e32 vcc, s8, v3
	s_mov_b64 s[8:9], 0
                                        ; implicit-def: $vgpr2
	s_and_saveexec_b64 s[10:11], vcc
	s_xor_b64 s[10:11], exec, s[10:11]
	s_cbranch_execz .LBB6_1877
; %bb.1729:
	v_bfe_u32 v2, v3, 20, 1
	s_mov_b32 s19, 0x487ffff
	v_add3_u32 v2, v3, v2, s19
	s_mov_b64 s[8:9], exec
	v_lshrrev_b32_e32 v2, 20, v2
                                        ; implicit-def: $vgpr3
	s_andn2_saveexec_b64 s[10:11], s[10:11]
	s_cbranch_execnz .LBB6_1878
.LBB6_1730:
	s_or_b64 exec, exec, s[10:11]
	v_mov_b32_e32 v4, 0
	s_and_saveexec_b64 s[10:11], s[8:9]
.LBB6_1731:
	v_mov_b32_e32 v4, v2
.LBB6_1732:
	s_or_b64 exec, exec, s[10:11]
.LBB6_1733:
	s_or_b64 exec, exec, s[6:7]
	global_store_byte v[0:1], v4, off
.LBB6_1734:
	s_mov_b64 s[6:7], 0
.LBB6_1735:
	s_and_b64 vcc, exec, s[6:7]
	s_cbranch_vccz .LBB6_1775
; %bb.1736:
	s_cmp_gt_i32 s18, 22
	s_mov_b64 s[4:5], -1
	s_cbranch_scc0 .LBB6_1768
; %bb.1737:
	s_cmp_lt_i32 s18, 24
	s_cbranch_scc1 .LBB6_1757
; %bb.1738:
	s_cmp_gt_i32 s18, 24
	s_cbranch_scc0 .LBB6_1746
; %bb.1739:
	v_cndmask_b32_e64 v3, 0, 1.0, s[16:17]
	s_mov_b32 s4, 0x47800000
	v_cmp_gt_u32_e32 vcc, s4, v3
	v_mov_b32_e32 v4, 0x80
	s_and_saveexec_b64 s[4:5], vcc
	s_cbranch_execz .LBB6_1745
; %bb.1740:
	s_mov_b32 s6, 0x37ffffff
	v_cmp_lt_u32_e32 vcc, s6, v3
	s_mov_b64 s[6:7], 0
                                        ; implicit-def: $vgpr2
	s_and_saveexec_b64 s[8:9], vcc
	s_xor_b64 s[8:9], exec, s[8:9]
	s_cbranch_execz .LBB6_1880
; %bb.1741:
	v_bfe_u32 v2, v3, 21, 1
	s_mov_b32 s10, 0x88fffff
	v_add3_u32 v2, v3, v2, s10
	s_mov_b64 s[6:7], exec
	v_lshrrev_b32_e32 v2, 21, v2
                                        ; implicit-def: $vgpr3
	s_andn2_saveexec_b64 s[8:9], s[8:9]
	s_cbranch_execnz .LBB6_1881
.LBB6_1742:
	s_or_b64 exec, exec, s[8:9]
	v_mov_b32_e32 v4, 0
	s_and_saveexec_b64 s[8:9], s[6:7]
.LBB6_1743:
	v_mov_b32_e32 v4, v2
.LBB6_1744:
	s_or_b64 exec, exec, s[8:9]
.LBB6_1745:
	s_or_b64 exec, exec, s[4:5]
	s_mov_b64 s[4:5], 0
	global_store_byte v[0:1], v4, off
.LBB6_1746:
	s_and_b64 vcc, exec, s[4:5]
	s_cbranch_vccz .LBB6_1756
; %bb.1747:
	v_cndmask_b32_e64 v2, 0, 1.0, s[16:17]
	s_mov_b32 s4, 0x43f00000
	v_cmp_gt_u32_e32 vcc, s4, v2
                                        ; implicit-def: $vgpr3
	s_and_saveexec_b64 s[4:5], vcc
	s_xor_b64 s[4:5], exec, s[4:5]
	s_cbranch_execz .LBB6_1753
; %bb.1748:
	s_mov_b32 s6, 0x3c7fffff
	v_cmp_lt_u32_e32 vcc, s6, v2
                                        ; implicit-def: $vgpr3
	s_and_saveexec_b64 s[6:7], vcc
	s_xor_b64 s[6:7], exec, s[6:7]
; %bb.1749:
	v_bfe_u32 v3, v2, 20, 1
	s_mov_b32 s8, 0x407ffff
	v_add3_u32 v2, v2, v3, s8
	v_lshrrev_b32_e32 v3, 20, v2
	v_and_b32_e32 v2, 0xff00000, v2
	s_mov_b32 s8, 0x7f00000
	v_mov_b32_e32 v4, 0x7e
	v_cmp_ne_u32_e32 vcc, s8, v2
                                        ; implicit-def: $vgpr2
	s_nop 1
	v_cndmask_b32_e32 v3, v4, v3, vcc
; %bb.1750:
	s_andn2_saveexec_b64 s[6:7], s[6:7]
; %bb.1751:
	v_add_f32_e32 v3, 0x46800000, v2
; %bb.1752:
	s_or_b64 exec, exec, s[6:7]
                                        ; implicit-def: $vgpr2
.LBB6_1753:
	s_andn2_saveexec_b64 s[4:5], s[4:5]
; %bb.1754:
	s_mov_b32 s6, 0x7f800000
	v_mov_b32_e32 v3, 0x7e
	v_mov_b32_e32 v4, 0x7f
	v_cmp_lt_u32_e32 vcc, s6, v2
	s_nop 1
	v_cndmask_b32_e32 v3, v3, v4, vcc
; %bb.1755:
	s_or_b64 exec, exec, s[4:5]
	global_store_byte v[0:1], v3, off
.LBB6_1756:
	s_mov_b64 s[4:5], 0
.LBB6_1757:
	s_andn2_b64 vcc, exec, s[4:5]
	s_cbranch_vccnz .LBB6_1767
; %bb.1758:
	v_cndmask_b32_e64 v2, 0, 1.0, s[16:17]
	s_mov_b32 s4, 0x47800000
	v_cmp_gt_u32_e32 vcc, s4, v2
                                        ; implicit-def: $vgpr3
	s_and_saveexec_b64 s[4:5], vcc
	s_xor_b64 s[4:5], exec, s[4:5]
	s_cbranch_execz .LBB6_1764
; %bb.1759:
	s_mov_b32 s6, 0x387fffff
	v_cmp_lt_u32_e32 vcc, s6, v2
                                        ; implicit-def: $vgpr3
	s_and_saveexec_b64 s[6:7], vcc
	s_xor_b64 s[6:7], exec, s[6:7]
; %bb.1760:
	v_bfe_u32 v3, v2, 21, 1
	s_mov_b32 s8, 0x80fffff
	v_add3_u32 v2, v2, v3, s8
	v_lshrrev_b32_e32 v3, 21, v2
                                        ; implicit-def: $vgpr2
; %bb.1761:
	s_andn2_saveexec_b64 s[6:7], s[6:7]
; %bb.1762:
	v_add_f32_e32 v3, 0x43000000, v2
; %bb.1763:
	s_or_b64 exec, exec, s[6:7]
                                        ; implicit-def: $vgpr2
.LBB6_1764:
	s_andn2_saveexec_b64 s[4:5], s[4:5]
; %bb.1765:
	s_mov_b32 s6, 0x7f800000
	v_mov_b32_e32 v3, 0x7c
	v_mov_b32_e32 v4, 0x7f
	v_cmp_lt_u32_e32 vcc, s6, v2
	s_nop 1
	v_cndmask_b32_e32 v3, v3, v4, vcc
; %bb.1766:
	s_or_b64 exec, exec, s[4:5]
	global_store_byte v[0:1], v3, off
.LBB6_1767:
	s_mov_b64 s[4:5], 0
.LBB6_1768:
	s_andn2_b64 vcc, exec, s[4:5]
	s_mov_b64 s[4:5], 0
	s_cbranch_vccnz .LBB6_1775
; %bb.1769:
	s_cmp_gt_i32 s18, 14
	s_mov_b64 s[6:7], -1
	s_cbranch_scc0 .LBB6_1773
; %bb.1770:
	s_cmp_eq_u32 s18, 15
	s_mov_b64 s[0:1], -1
	s_cbranch_scc0 .LBB6_1772
; %bb.1771:
	v_cndmask_b32_e64 v2, 0, 1.0, s[16:17]
	v_bfe_u32 v3, v2, 16, 1
	s_movk_i32 s0, 0x7fff
	v_add3_u32 v2, v2, v3, s0
	global_store_short_d16_hi v[0:1], v2, off
	s_mov_b64 s[0:1], 0
.LBB6_1772:
	s_mov_b64 s[6:7], 0
.LBB6_1773:
	s_and_b64 vcc, exec, s[6:7]
	s_cbranch_vccz .LBB6_1775
; %bb.1774:
	s_cmp_lg_u32 s18, 11
	s_mov_b64 s[4:5], -1
	s_cselect_b64 s[0:1], -1, 0
.LBB6_1775:
	s_and_b64 vcc, exec, s[0:1]
	s_cbranch_vccnz .LBB6_1879
.LBB6_1776:
	s_mov_b64 s[0:1], 0
	s_branch .LBB6_1817
.LBB6_1777:
	s_and_b64 vcc, exec, s[0:1]
	s_cbranch_vccz .LBB6_1700
; %bb.1778:
	s_and_b32 s10, 0xffff, s28
	s_cmp_lt_i32 s10, 5
	s_mov_b64 s[0:1], -1
	s_cbranch_scc1 .LBB6_1799
; %bb.1779:
	s_cmp_lt_i32 s10, 8
	s_cbranch_scc1 .LBB6_1789
; %bb.1780:
	s_cmp_lt_i32 s10, 9
	s_cbranch_scc1 .LBB6_1786
; %bb.1781:
	s_cmp_gt_i32 s10, 9
	s_cbranch_scc0 .LBB6_1783
; %bb.1782:
	v_cndmask_b32_e64 v1, 0, 1, s[8:9]
	v_mov_b32_e32 v6, 0
	v_cvt_f64_u32_e32 v[4:5], v1
	v_mov_b32_e32 v7, v6
	global_store_dwordx4 v[2:3], v[4:7], off
	s_mov_b64 s[0:1], 0
.LBB6_1783:
	s_andn2_b64 vcc, exec, s[0:1]
	s_cbranch_vccnz .LBB6_1785
; %bb.1784:
	v_cndmask_b32_e64 v4, 0, 1.0, s[8:9]
	v_mov_b32_e32 v5, 0
	global_store_dwordx2 v[2:3], v[4:5], off
.LBB6_1785:
	s_mov_b64 s[0:1], 0
.LBB6_1786:
	s_andn2_b64 vcc, exec, s[0:1]
	s_cbranch_vccnz .LBB6_1788
; %bb.1787:
	v_cndmask_b32_e64 v1, 0, 1.0, s[8:9]
	v_cvt_f16_f32_e32 v1, v1
	global_store_dword v[2:3], v1, off
.LBB6_1788:
	s_mov_b64 s[0:1], 0
.LBB6_1789:
	s_andn2_b64 vcc, exec, s[0:1]
	s_cbranch_vccnz .LBB6_1798
; %bb.1790:
	s_cmp_lt_i32 s10, 6
	s_mov_b64 s[0:1], -1
	s_cbranch_scc1 .LBB6_1796
; %bb.1791:
	s_cmp_gt_i32 s10, 6
	s_cbranch_scc0 .LBB6_1793
; %bb.1792:
	v_cndmask_b32_e64 v1, 0, 1, s[8:9]
	v_cvt_f64_u32_e32 v[4:5], v1
	global_store_dwordx2 v[2:3], v[4:5], off
	s_mov_b64 s[0:1], 0
.LBB6_1793:
	s_andn2_b64 vcc, exec, s[0:1]
	s_cbranch_vccnz .LBB6_1795
; %bb.1794:
	v_cndmask_b32_e64 v1, 0, 1.0, s[8:9]
	global_store_dword v[2:3], v1, off
.LBB6_1795:
	s_mov_b64 s[0:1], 0
.LBB6_1796:
	s_andn2_b64 vcc, exec, s[0:1]
	s_cbranch_vccnz .LBB6_1798
; %bb.1797:
	v_cndmask_b32_e64 v1, 0, 1.0, s[8:9]
	v_cvt_f16_f32_e32 v1, v1
	global_store_short v[2:3], v1, off
.LBB6_1798:
	s_mov_b64 s[0:1], 0
.LBB6_1799:
	s_andn2_b64 vcc, exec, s[0:1]
	s_cbranch_vccnz .LBB6_1815
; %bb.1800:
	s_cmp_lt_i32 s10, 2
	s_mov_b64 s[0:1], -1
	s_cbranch_scc1 .LBB6_1810
; %bb.1801:
	s_cmp_lt_i32 s10, 3
	s_cbranch_scc1 .LBB6_1807
; %bb.1802:
	s_cmp_gt_i32 s10, 3
	s_cbranch_scc0 .LBB6_1804
; %bb.1803:
	s_mov_b32 s0, 0
	v_cndmask_b32_e64 v4, 0, 1, s[8:9]
	v_mov_b32_e32 v5, s0
	global_store_dwordx2 v[2:3], v[4:5], off
	s_mov_b64 s[0:1], 0
.LBB6_1804:
	s_andn2_b64 vcc, exec, s[0:1]
	s_cbranch_vccnz .LBB6_1806
; %bb.1805:
	v_cndmask_b32_e64 v1, 0, 1, s[8:9]
	global_store_dword v[2:3], v1, off
.LBB6_1806:
	s_mov_b64 s[0:1], 0
.LBB6_1807:
	s_andn2_b64 vcc, exec, s[0:1]
	s_cbranch_vccnz .LBB6_1809
; %bb.1808:
	v_cndmask_b32_e64 v1, 0, 1, s[8:9]
	global_store_short v[2:3], v1, off
.LBB6_1809:
	s_mov_b64 s[0:1], 0
.LBB6_1810:
	s_andn2_b64 vcc, exec, s[0:1]
	s_cbranch_vccnz .LBB6_1815
; %bb.1811:
	s_mov_b64 s[0:1], -1
	s_cmp_gt_i32 s10, 0
	v_cndmask_b32_e64 v1, 0, 1, s[8:9]
	s_cbranch_scc0 .LBB6_1813
; %bb.1812:
	global_store_byte v[2:3], v1, off
	s_mov_b64 s[0:1], 0
.LBB6_1813:
	s_andn2_b64 vcc, exec, s[0:1]
	s_cbranch_vccnz .LBB6_1815
; %bb.1814:
	global_store_byte v[2:3], v1, off
.LBB6_1815:
	s_branch .LBB6_1701
.LBB6_1816:
	s_mov_b64 s[0:1], 0
	s_mov_b64 s[4:5], 0
                                        ; implicit-def: $sgpr16_sgpr17
                                        ; implicit-def: $sgpr28
                                        ; implicit-def: $vgpr0_vgpr1
.LBB6_1817:
	s_and_b64 s[10:11], s[4:5], exec
	s_andn2_b64 s[4:5], s[12:13], exec
	s_and_b64 s[6:7], s[14:15], exec
	s_and_b64 s[0:1], s[0:1], exec
	s_or_b64 s[12:13], s[4:5], s[6:7]
.LBB6_1818:
	s_or_b64 exec, exec, s[2:3]
	s_and_saveexec_b64 s[2:3], s[12:13]
	s_cbranch_execz .LBB6_1821
; %bb.1819:
	; divergent unreachable
	s_or_b64 exec, exec, s[2:3]
	s_and_saveexec_b64 s[2:3], s[10:11]
	s_xor_b64 s[2:3], exec, s[2:3]
	s_cbranch_execnz .LBB6_1822
.LBB6_1820:
	s_or_b64 exec, exec, s[2:3]
	s_and_saveexec_b64 s[2:3], s[0:1]
	s_cbranch_execnz .LBB6_1823
	s_branch .LBB6_1860
.LBB6_1821:
	s_or_b64 exec, exec, s[2:3]
	s_and_saveexec_b64 s[2:3], s[10:11]
	s_xor_b64 s[2:3], exec, s[2:3]
	s_cbranch_execz .LBB6_1820
.LBB6_1822:
	v_cndmask_b32_e64 v2, 0, 1, s[16:17]
	global_store_byte v[0:1], v2, off
	s_or_b64 exec, exec, s[2:3]
	s_and_saveexec_b64 s[2:3], s[0:1]
	s_cbranch_execz .LBB6_1860
.LBB6_1823:
	s_sext_i32_i16 s2, s28
	s_cmp_lt_i32 s2, 5
	s_mov_b64 s[0:1], -1
	s_cbranch_scc1 .LBB6_1844
; %bb.1824:
	s_cmp_lt_i32 s2, 8
	s_cbranch_scc1 .LBB6_1834
; %bb.1825:
	s_cmp_lt_i32 s2, 9
	s_cbranch_scc1 .LBB6_1831
; %bb.1826:
	s_cmp_gt_i32 s2, 9
	s_cbranch_scc0 .LBB6_1828
; %bb.1827:
	v_cndmask_b32_e64 v2, 0, 1, s[16:17]
	v_mov_b32_e32 v4, 0
	v_cvt_f64_u32_e32 v[2:3], v2
	v_mov_b32_e32 v5, v4
	global_store_dwordx4 v[0:1], v[2:5], off
	s_mov_b64 s[0:1], 0
.LBB6_1828:
	s_andn2_b64 vcc, exec, s[0:1]
	s_cbranch_vccnz .LBB6_1830
; %bb.1829:
	v_cndmask_b32_e64 v2, 0, 1.0, s[16:17]
	v_mov_b32_e32 v3, 0
	global_store_dwordx2 v[0:1], v[2:3], off
.LBB6_1830:
	s_mov_b64 s[0:1], 0
.LBB6_1831:
	s_andn2_b64 vcc, exec, s[0:1]
	s_cbranch_vccnz .LBB6_1833
; %bb.1832:
	v_cndmask_b32_e64 v2, 0, 1.0, s[16:17]
	v_cvt_f16_f32_e32 v2, v2
	global_store_dword v[0:1], v2, off
.LBB6_1833:
	s_mov_b64 s[0:1], 0
.LBB6_1834:
	s_andn2_b64 vcc, exec, s[0:1]
	s_cbranch_vccnz .LBB6_1843
; %bb.1835:
	s_sext_i32_i16 s2, s28
	s_cmp_lt_i32 s2, 6
	s_mov_b64 s[0:1], -1
	s_cbranch_scc1 .LBB6_1841
; %bb.1836:
	s_cmp_gt_i32 s2, 6
	s_cbranch_scc0 .LBB6_1838
; %bb.1837:
	v_cndmask_b32_e64 v2, 0, 1, s[16:17]
	v_cvt_f64_u32_e32 v[2:3], v2
	global_store_dwordx2 v[0:1], v[2:3], off
	s_mov_b64 s[0:1], 0
.LBB6_1838:
	s_andn2_b64 vcc, exec, s[0:1]
	s_cbranch_vccnz .LBB6_1840
; %bb.1839:
	v_cndmask_b32_e64 v2, 0, 1.0, s[16:17]
	global_store_dword v[0:1], v2, off
.LBB6_1840:
	s_mov_b64 s[0:1], 0
.LBB6_1841:
	s_andn2_b64 vcc, exec, s[0:1]
	s_cbranch_vccnz .LBB6_1843
; %bb.1842:
	v_cndmask_b32_e64 v2, 0, 1.0, s[16:17]
	v_cvt_f16_f32_e32 v2, v2
	global_store_short v[0:1], v2, off
.LBB6_1843:
	s_mov_b64 s[0:1], 0
.LBB6_1844:
	s_andn2_b64 vcc, exec, s[0:1]
	s_cbranch_vccnz .LBB6_1860
; %bb.1845:
	s_sext_i32_i16 s2, s28
	s_cmp_lt_i32 s2, 2
	s_mov_b64 s[0:1], -1
	s_cbranch_scc1 .LBB6_1855
; %bb.1846:
	s_cmp_lt_i32 s2, 3
	s_cbranch_scc1 .LBB6_1852
; %bb.1847:
	s_cmp_gt_i32 s2, 3
	s_cbranch_scc0 .LBB6_1849
; %bb.1848:
	s_mov_b32 s0, 0
	v_cndmask_b32_e64 v2, 0, 1, s[16:17]
	v_mov_b32_e32 v3, s0
	global_store_dwordx2 v[0:1], v[2:3], off
	s_mov_b64 s[0:1], 0
.LBB6_1849:
	s_andn2_b64 vcc, exec, s[0:1]
	s_cbranch_vccnz .LBB6_1851
; %bb.1850:
	v_cndmask_b32_e64 v2, 0, 1, s[16:17]
	global_store_dword v[0:1], v2, off
.LBB6_1851:
	s_mov_b64 s[0:1], 0
.LBB6_1852:
	s_andn2_b64 vcc, exec, s[0:1]
	s_cbranch_vccnz .LBB6_1854
; %bb.1853:
	v_cndmask_b32_e64 v2, 0, 1, s[16:17]
	global_store_short v[0:1], v2, off
.LBB6_1854:
	s_mov_b64 s[0:1], 0
.LBB6_1855:
	s_andn2_b64 vcc, exec, s[0:1]
	s_cbranch_vccnz .LBB6_1860
; %bb.1856:
	s_sext_i32_i16 s2, s28
	s_mov_b64 s[0:1], -1
	s_cmp_gt_i32 s2, 0
	v_cndmask_b32_e64 v2, 0, 1, s[16:17]
	s_cbranch_scc0 .LBB6_1858
; %bb.1857:
	global_store_byte v[0:1], v2, off
	s_mov_b64 s[0:1], 0
.LBB6_1858:
	s_andn2_b64 vcc, exec, s[0:1]
	s_cbranch_vccnz .LBB6_1860
; %bb.1859:
	global_store_byte v[0:1], v2, off
	s_endpgm
.LBB6_1860:
	s_endpgm
.LBB6_1861:
	s_trap 2
	s_mov_b64 s[20:21], 0
	s_or_b64 s[14:15], s[14:15], exec
	s_cbranch_execz .LBB6_1334
	s_branch .LBB6_1335
.LBB6_1862:
	s_andn2_saveexec_b64 s[26:27], s[26:27]
	s_cbranch_execz .LBB6_1414
.LBB6_1863:
	v_add_f32_e32 v1, 0x46000000, v4
	v_and_b32_e32 v1, 0xff, v1
	v_cmp_ne_u32_e32 vcc, 0, v1
	s_andn2_b64 s[24:25], s[24:25], exec
	s_and_b64 s[30:31], vcc, exec
	s_or_b64 s[24:25], s[24:25], s[30:31]
	s_or_b64 exec, exec, s[26:27]
	v_mov_b32_e32 v5, 0
	s_and_saveexec_b64 s[26:27], s[24:25]
	s_cbranch_execnz .LBB6_1415
	s_branch .LBB6_1416
.LBB6_1864:
	s_trap 2
	s_or_b64 s[14:15], s[14:15], exec
	s_cbranch_execz .LBB6_1462
	s_branch .LBB6_1463
.LBB6_1865:
	s_andn2_saveexec_b64 s[24:25], s[24:25]
	s_cbranch_execz .LBB6_1427
.LBB6_1866:
	v_add_f32_e32 v1, 0x42800000, v4
	v_and_b32_e32 v1, 0xff, v1
	v_cmp_ne_u32_e32 vcc, 0, v1
	s_andn2_b64 s[22:23], s[22:23], exec
	s_and_b64 s[26:27], vcc, exec
	s_or_b64 s[22:23], s[22:23], s[26:27]
	s_or_b64 exec, exec, s[24:25]
	v_mov_b32_e32 v5, 0
	s_and_saveexec_b64 s[24:25], s[22:23]
	s_cbranch_execnz .LBB6_1428
	s_branch .LBB6_1429
.LBB6_1867:
	s_andn2_saveexec_b64 s[22:23], s[22:23]
	s_cbranch_execz .LBB6_1532
.LBB6_1868:
	v_add_f32_e32 v1, 0x46000000, v4
	v_and_b32_e32 v1, 0xff, v1
	v_cmp_ne_u32_e32 vcc, 0, v1
	s_andn2_b64 s[20:21], s[20:21], exec
	s_and_b64 s[26:27], vcc, exec
	s_or_b64 s[20:21], s[20:21], s[26:27]
	s_or_b64 exec, exec, s[22:23]
	v_mov_b32_e32 v5, 0
	s_and_saveexec_b64 s[22:23], s[20:21]
	s_cbranch_execnz .LBB6_1533
	s_branch .LBB6_1534
.LBB6_1869:
	s_trap 2
	s_or_b64 s[14:15], s[14:15], exec
	s_cbranch_execz .LBB6_1580
	s_branch .LBB6_1581
.LBB6_1870:
	s_andn2_saveexec_b64 s[20:21], s[20:21]
	s_cbranch_execz .LBB6_1545
.LBB6_1871:
	v_add_f32_e32 v1, 0x42800000, v4
	v_and_b32_e32 v1, 0xff, v1
	v_cmp_ne_u32_e32 vcc, 0, v1
	s_andn2_b64 s[18:19], s[18:19], exec
	s_and_b64 s[22:23], vcc, exec
	s_or_b64 s[18:19], s[18:19], s[22:23]
	s_or_b64 exec, exec, s[20:21]
	v_mov_b32_e32 v5, 0
	s_and_saveexec_b64 s[20:21], s[18:19]
	s_cbranch_execnz .LBB6_1546
	s_branch .LBB6_1547
.LBB6_1872:
	s_andn2_saveexec_b64 s[20:21], s[20:21]
	s_cbranch_execz .LBB6_1650
.LBB6_1873:
	v_add_f32_e32 v1, 0x46000000, v4
	v_and_b32_e32 v1, 0xff, v1
	v_cmp_ne_u32_e32 vcc, 0, v1
	s_andn2_b64 s[18:19], s[18:19], exec
	s_and_b64 s[26:27], vcc, exec
	s_or_b64 s[18:19], s[18:19], s[26:27]
	s_or_b64 exec, exec, s[20:21]
	v_mov_b32_e32 v5, 0
	s_and_saveexec_b64 s[20:21], s[18:19]
	s_cbranch_execnz .LBB6_1651
	s_branch .LBB6_1652
.LBB6_1874:
	s_trap 2
	s_or_b64 s[14:15], s[14:15], exec
	s_cbranch_execz .LBB6_1698
	s_branch .LBB6_1699
.LBB6_1875:
	s_andn2_saveexec_b64 s[18:19], s[18:19]
	s_cbranch_execz .LBB6_1663
.LBB6_1876:
	v_add_f32_e32 v1, 0x42800000, v4
	v_and_b32_e32 v1, 0xff, v1
	v_cmp_ne_u32_e32 vcc, 0, v1
	s_andn2_b64 s[16:17], s[16:17], exec
	s_and_b64 s[20:21], vcc, exec
	s_or_b64 s[16:17], s[16:17], s[20:21]
	s_or_b64 exec, exec, s[18:19]
	v_mov_b32_e32 v5, 0
	s_and_saveexec_b64 s[18:19], s[16:17]
	s_cbranch_execnz .LBB6_1664
	s_branch .LBB6_1665
.LBB6_1877:
	s_andn2_saveexec_b64 s[10:11], s[10:11]
	s_cbranch_execz .LBB6_1730
.LBB6_1878:
	v_add_f32_e32 v2, 0x46000000, v3
	v_and_b32_e32 v2, 0xff, v2
	v_cmp_ne_u32_e32 vcc, 0, v2
	s_andn2_b64 s[8:9], s[8:9], exec
	s_and_b64 s[20:21], vcc, exec
	s_or_b64 s[8:9], s[8:9], s[20:21]
	s_or_b64 exec, exec, s[10:11]
	v_mov_b32_e32 v4, 0
	s_and_saveexec_b64 s[10:11], s[8:9]
	s_cbranch_execnz .LBB6_1731
	s_branch .LBB6_1732
.LBB6_1879:
	s_mov_b64 s[4:5], 0
	s_or_b64 s[14:15], s[14:15], exec
	s_trap 2
	s_branch .LBB6_1776
.LBB6_1880:
	s_andn2_saveexec_b64 s[8:9], s[8:9]
	s_cbranch_execz .LBB6_1742
.LBB6_1881:
	v_add_f32_e32 v2, 0x42800000, v3
	v_and_b32_e32 v2, 0xff, v2
	v_cmp_ne_u32_e32 vcc, 0, v2
	s_andn2_b64 s[6:7], s[6:7], exec
	s_and_b64 s[10:11], vcc, exec
	s_or_b64 s[6:7], s[6:7], s[10:11]
	s_or_b64 exec, exec, s[8:9]
	v_mov_b32_e32 v4, 0
	s_and_saveexec_b64 s[8:9], s[6:7]
	s_cbranch_execnz .LBB6_1743
	s_branch .LBB6_1744
	.section	.rodata,"a",@progbits
	.p2align	6, 0x0
	.amdhsa_kernel _ZN2at6native32elementwise_kernel_manual_unrollILi128ELi4EZNS0_15gpu_kernel_implIZNS0_23bitwise_not_kernel_cudaERNS_18TensorIteratorBaseEEUlbE_EEvS4_RKT_EUlibE_EEviT1_
		.amdhsa_group_segment_fixed_size 0
		.amdhsa_private_segment_fixed_size 0
		.amdhsa_kernarg_size 40
		.amdhsa_user_sgpr_count 2
		.amdhsa_user_sgpr_dispatch_ptr 0
		.amdhsa_user_sgpr_queue_ptr 0
		.amdhsa_user_sgpr_kernarg_segment_ptr 1
		.amdhsa_user_sgpr_dispatch_id 0
		.amdhsa_user_sgpr_kernarg_preload_length 0
		.amdhsa_user_sgpr_kernarg_preload_offset 0
		.amdhsa_user_sgpr_private_segment_size 0
		.amdhsa_uses_dynamic_stack 0
		.amdhsa_enable_private_segment 0
		.amdhsa_system_sgpr_workgroup_id_x 1
		.amdhsa_system_sgpr_workgroup_id_y 0
		.amdhsa_system_sgpr_workgroup_id_z 0
		.amdhsa_system_sgpr_workgroup_info 0
		.amdhsa_system_vgpr_workitem_id 0
		.amdhsa_next_free_vgpr 10
		.amdhsa_next_free_sgpr 45
		.amdhsa_accum_offset 12
		.amdhsa_reserve_vcc 1
		.amdhsa_float_round_mode_32 0
		.amdhsa_float_round_mode_16_64 0
		.amdhsa_float_denorm_mode_32 3
		.amdhsa_float_denorm_mode_16_64 3
		.amdhsa_dx10_clamp 1
		.amdhsa_ieee_mode 1
		.amdhsa_fp16_overflow 0
		.amdhsa_tg_split 0
		.amdhsa_exception_fp_ieee_invalid_op 0
		.amdhsa_exception_fp_denorm_src 0
		.amdhsa_exception_fp_ieee_div_zero 0
		.amdhsa_exception_fp_ieee_overflow 0
		.amdhsa_exception_fp_ieee_underflow 0
		.amdhsa_exception_fp_ieee_inexact 0
		.amdhsa_exception_int_div_zero 0
	.end_amdhsa_kernel
	.section	.text._ZN2at6native32elementwise_kernel_manual_unrollILi128ELi4EZNS0_15gpu_kernel_implIZNS0_23bitwise_not_kernel_cudaERNS_18TensorIteratorBaseEEUlbE_EEvS4_RKT_EUlibE_EEviT1_,"axG",@progbits,_ZN2at6native32elementwise_kernel_manual_unrollILi128ELi4EZNS0_15gpu_kernel_implIZNS0_23bitwise_not_kernel_cudaERNS_18TensorIteratorBaseEEUlbE_EEvS4_RKT_EUlibE_EEviT1_,comdat
.Lfunc_end6:
	.size	_ZN2at6native32elementwise_kernel_manual_unrollILi128ELi4EZNS0_15gpu_kernel_implIZNS0_23bitwise_not_kernel_cudaERNS_18TensorIteratorBaseEEUlbE_EEvS4_RKT_EUlibE_EEviT1_, .Lfunc_end6-_ZN2at6native32elementwise_kernel_manual_unrollILi128ELi4EZNS0_15gpu_kernel_implIZNS0_23bitwise_not_kernel_cudaERNS_18TensorIteratorBaseEEUlbE_EEvS4_RKT_EUlibE_EEviT1_
                                        ; -- End function
	.set _ZN2at6native32elementwise_kernel_manual_unrollILi128ELi4EZNS0_15gpu_kernel_implIZNS0_23bitwise_not_kernel_cudaERNS_18TensorIteratorBaseEEUlbE_EEvS4_RKT_EUlibE_EEviT1_.num_vgpr, 10
	.set _ZN2at6native32elementwise_kernel_manual_unrollILi128ELi4EZNS0_15gpu_kernel_implIZNS0_23bitwise_not_kernel_cudaERNS_18TensorIteratorBaseEEUlbE_EEvS4_RKT_EUlibE_EEviT1_.num_agpr, 0
	.set _ZN2at6native32elementwise_kernel_manual_unrollILi128ELi4EZNS0_15gpu_kernel_implIZNS0_23bitwise_not_kernel_cudaERNS_18TensorIteratorBaseEEUlbE_EEvS4_RKT_EUlibE_EEviT1_.numbered_sgpr, 45
	.set _ZN2at6native32elementwise_kernel_manual_unrollILi128ELi4EZNS0_15gpu_kernel_implIZNS0_23bitwise_not_kernel_cudaERNS_18TensorIteratorBaseEEUlbE_EEvS4_RKT_EUlibE_EEviT1_.num_named_barrier, 0
	.set _ZN2at6native32elementwise_kernel_manual_unrollILi128ELi4EZNS0_15gpu_kernel_implIZNS0_23bitwise_not_kernel_cudaERNS_18TensorIteratorBaseEEUlbE_EEvS4_RKT_EUlibE_EEviT1_.private_seg_size, 0
	.set _ZN2at6native32elementwise_kernel_manual_unrollILi128ELi4EZNS0_15gpu_kernel_implIZNS0_23bitwise_not_kernel_cudaERNS_18TensorIteratorBaseEEUlbE_EEvS4_RKT_EUlibE_EEviT1_.uses_vcc, 1
	.set _ZN2at6native32elementwise_kernel_manual_unrollILi128ELi4EZNS0_15gpu_kernel_implIZNS0_23bitwise_not_kernel_cudaERNS_18TensorIteratorBaseEEUlbE_EEvS4_RKT_EUlibE_EEviT1_.uses_flat_scratch, 0
	.set _ZN2at6native32elementwise_kernel_manual_unrollILi128ELi4EZNS0_15gpu_kernel_implIZNS0_23bitwise_not_kernel_cudaERNS_18TensorIteratorBaseEEUlbE_EEvS4_RKT_EUlibE_EEviT1_.has_dyn_sized_stack, 0
	.set _ZN2at6native32elementwise_kernel_manual_unrollILi128ELi4EZNS0_15gpu_kernel_implIZNS0_23bitwise_not_kernel_cudaERNS_18TensorIteratorBaseEEUlbE_EEvS4_RKT_EUlibE_EEviT1_.has_recursion, 0
	.set _ZN2at6native32elementwise_kernel_manual_unrollILi128ELi4EZNS0_15gpu_kernel_implIZNS0_23bitwise_not_kernel_cudaERNS_18TensorIteratorBaseEEUlbE_EEvS4_RKT_EUlibE_EEviT1_.has_indirect_call, 0
	.section	.AMDGPU.csdata,"",@progbits
; Kernel info:
; codeLenInByte = 26724
; TotalNumSgprs: 51
; NumVgprs: 10
; NumAgprs: 0
; TotalNumVgprs: 10
; ScratchSize: 0
; MemoryBound: 1
; FloatMode: 240
; IeeeMode: 1
; LDSByteSize: 0 bytes/workgroup (compile time only)
; SGPRBlocks: 6
; VGPRBlocks: 1
; NumSGPRsForWavesPerEU: 51
; NumVGPRsForWavesPerEU: 10
; AccumOffset: 12
; Occupancy: 8
; WaveLimiterHint : 0
; COMPUTE_PGM_RSRC2:SCRATCH_EN: 0
; COMPUTE_PGM_RSRC2:USER_SGPR: 2
; COMPUTE_PGM_RSRC2:TRAP_HANDLER: 0
; COMPUTE_PGM_RSRC2:TGID_X_EN: 1
; COMPUTE_PGM_RSRC2:TGID_Y_EN: 0
; COMPUTE_PGM_RSRC2:TGID_Z_EN: 0
; COMPUTE_PGM_RSRC2:TIDIG_COMP_CNT: 0
; COMPUTE_PGM_RSRC3_GFX90A:ACCUM_OFFSET: 2
; COMPUTE_PGM_RSRC3_GFX90A:TG_SPLIT: 0
	.section	.text._ZN2at6native32elementwise_kernel_manual_unrollILi128ELi4EZNS0_15gpu_kernel_implIZNS0_23bitwise_not_kernel_cudaERNS_18TensorIteratorBaseEEUlbE_EEvS4_RKT_EUlibE0_EEviT1_,"axG",@progbits,_ZN2at6native32elementwise_kernel_manual_unrollILi128ELi4EZNS0_15gpu_kernel_implIZNS0_23bitwise_not_kernel_cudaERNS_18TensorIteratorBaseEEUlbE_EEvS4_RKT_EUlibE0_EEviT1_,comdat
	.globl	_ZN2at6native32elementwise_kernel_manual_unrollILi128ELi4EZNS0_15gpu_kernel_implIZNS0_23bitwise_not_kernel_cudaERNS_18TensorIteratorBaseEEUlbE_EEvS4_RKT_EUlibE0_EEviT1_ ; -- Begin function _ZN2at6native32elementwise_kernel_manual_unrollILi128ELi4EZNS0_15gpu_kernel_implIZNS0_23bitwise_not_kernel_cudaERNS_18TensorIteratorBaseEEUlbE_EEvS4_RKT_EUlibE0_EEviT1_
	.p2align	8
	.type	_ZN2at6native32elementwise_kernel_manual_unrollILi128ELi4EZNS0_15gpu_kernel_implIZNS0_23bitwise_not_kernel_cudaERNS_18TensorIteratorBaseEEUlbE_EEvS4_RKT_EUlibE0_EEviT1_,@function
_ZN2at6native32elementwise_kernel_manual_unrollILi128ELi4EZNS0_15gpu_kernel_implIZNS0_23bitwise_not_kernel_cudaERNS_18TensorIteratorBaseEEUlbE_EEvS4_RKT_EUlibE0_EEviT1_: ; @_ZN2at6native32elementwise_kernel_manual_unrollILi128ELi4EZNS0_15gpu_kernel_implIZNS0_23bitwise_not_kernel_cudaERNS_18TensorIteratorBaseEEUlbE_EEvS4_RKT_EUlibE0_EEviT1_
; %bb.0:
	s_load_dword s70, s[0:1], 0x0
	s_load_dword s33, s[0:1], 0x8
	s_add_u32 s34, s0, 8
	s_addc_u32 s35, s1, 0
	v_lshl_or_b32 v8, s2, 9, v0
	v_or_b32_e32 v16, 0x180, v8
	s_waitcnt lgkmcnt(0)
	s_add_i32 s72, s33, -1
	s_cmp_gt_u32 s72, 1
	v_cmp_le_i32_e32 vcc, s70, v16
	s_cselect_b64 s[42:43], -1, 0
	s_mov_b64 s[40:41], 0
	s_mov_b64 s[24:25], 0
	s_and_saveexec_b64 s[2:3], vcc
	s_xor_b64 s[44:45], exec, s[2:3]
	s_cbranch_execz .LBB7_1006
; %bb.1:
	v_mov_b32_e32 v0, 0
	global_load_ushort v0, v0, s[34:35] offset:345
	s_load_dwordx4 s[28:31], s[34:35], 0x4
	s_load_dwordx2 s[46:47], s[34:35], 0x14
	s_load_dwordx4 s[24:27], s[34:35], 0xc4
	s_load_dwordx4 s[20:23], s[34:35], 0x148
	s_cmp_lg_u32 s33, 0
	s_cselect_b64 s[52:53], -1, 0
	s_add_u32 s50, s34, 0xc4
	s_addc_u32 s51, s35, 0
	s_min_u32 s75, s72, 15
	s_cmp_gt_u32 s33, 1
	s_cselect_b64 s[48:49], -1, 0
	v_cmp_gt_i32_e32 vcc, s70, v8
	s_mov_b64 s[4:5], -1
	s_mov_b64 s[62:63], 0
	s_mov_b64 s[56:57], 0
	;; [unrolled: 1-line block ×3, first 2 shown]
	s_waitcnt vmcnt(0)
	v_readfirstlane_b32 s73, v0
	s_and_b32 s2, 0xffff, s73
	s_lshr_b32 s74, s2, 8
	s_and_saveexec_b64 s[58:59], vcc
	s_cbranch_execz .LBB7_244
; %bb.2:
	s_andn2_b64 vcc, exec, s[42:43]
	s_cbranch_vccnz .LBB7_8
; %bb.3:
	s_andn2_b64 vcc, exec, s[52:53]
	s_cbranch_vccnz .LBB7_9
; %bb.4:
	s_add_i32 s57, s75, 1
	s_cmp_eq_u32 s72, 2
	s_cbranch_scc1 .LBB7_10
; %bb.5:
	s_and_b32 s56, s57, 28
	s_mov_b32 s60, 0
	v_mov_b32_e32 v0, 0
	v_mov_b32_e32 v2, 0
	s_mov_b64 s[2:3], s[34:35]
	s_mov_b64 s[54:55], s[50:51]
	v_mov_b32_e32 v4, v8
.LBB7_6:                                ; =>This Inner Loop Header: Depth=1
	s_load_dwordx8 s[12:19], s[2:3], 0x4
	s_load_dwordx4 s[36:39], s[2:3], 0x24
	s_load_dwordx8 s[4:11], s[54:55], 0x0
	s_add_u32 s2, s2, 48
	s_addc_u32 s3, s3, 0
	s_waitcnt lgkmcnt(0)
	v_mul_hi_u32 v1, s13, v4
	v_add_u32_e32 v1, v4, v1
	v_lshrrev_b32_e32 v1, s14, v1
	v_mul_lo_u32 v3, v1, s12
	v_mul_hi_u32 v5, s16, v1
	v_sub_u32_e32 v3, v4, v3
	v_add_u32_e32 v4, v1, v5
	v_lshrrev_b32_e32 v4, s17, v4
	v_mul_lo_u32 v6, v4, s15
	v_mul_hi_u32 v7, s19, v4
	v_sub_u32_e32 v1, v1, v6
	v_add_u32_e32 v6, v4, v7
	v_mul_lo_u32 v5, v3, s5
	v_mul_lo_u32 v3, v3, s4
	;; [unrolled: 1-line block ×4, first 2 shown]
	v_lshrrev_b32_e32 v6, s36, v6
	v_add3_u32 v0, v3, v0, v1
	v_mul_hi_u32 v3, s38, v6
	v_add3_u32 v1, v5, v2, v7
	v_mul_lo_u32 v2, v6, s18
	v_add_u32_e32 v3, v6, v3
	v_sub_u32_e32 v2, v4, v2
	v_lshrrev_b32_e32 v4, s39, v3
	s_add_i32 s60, s60, 4
	v_mul_lo_u32 v3, v4, s37
	s_add_u32 s54, s54, 32
	v_sub_u32_e32 v3, v6, v3
	s_addc_u32 s55, s55, 0
	v_mul_lo_u32 v5, v2, s8
	v_mul_lo_u32 v2, v2, s9
	v_mul_lo_u32 v6, v3, s10
	v_mul_lo_u32 v3, v3, s11
	s_cmp_lg_u32 s56, s60
	v_add3_u32 v2, v2, v1, v3
	v_add3_u32 v0, v5, v0, v6
	s_cbranch_scc1 .LBB7_6
; %bb.7:
	v_mov_b32_e32 v1, v2
	s_branch .LBB7_11
.LBB7_8:
                                        ; implicit-def: $vgpr2
                                        ; implicit-def: $vgpr0
	s_branch .LBB7_15
.LBB7_9:
	v_mov_b32_e32 v2, 0
	v_mov_b32_e32 v0, 0
	s_branch .LBB7_14
.LBB7_10:
	v_mov_b32_e32 v0, 0
	s_mov_b32 s56, 0
	v_mov_b32_e32 v1, v0
                                        ; implicit-def: $vgpr2
	v_mov_b32_e32 v4, v8
.LBB7_11:
	s_and_b32 s6, s57, 3
	s_cmp_eq_u32 s6, 0
	s_cbranch_scc1 .LBB7_14
; %bb.12:
	s_lshl_b32 s2, s56, 3
	s_add_u32 s2, s34, s2
	s_addc_u32 s3, s35, 0
	s_add_u32 s2, s2, 0xc4
	s_addc_u32 s3, s3, 0
	s_mul_i32 s4, s56, 12
	s_add_u32 s4, s34, s4
	s_addc_u32 s5, s35, 0
.LBB7_13:                               ; =>This Inner Loop Header: Depth=1
	s_load_dwordx2 s[8:9], s[4:5], 0x4
	s_load_dword s7, s[4:5], 0xc
	s_load_dwordx2 s[10:11], s[2:3], 0x0
	v_mov_b32_e32 v2, v1
	s_add_u32 s4, s4, 12
	s_waitcnt lgkmcnt(0)
	v_mul_hi_u32 v1, s9, v4
	v_add_u32_e32 v1, v4, v1
	v_lshrrev_b32_e32 v1, s7, v1
	s_addc_u32 s5, s5, 0
	v_mul_lo_u32 v3, v1, s8
	s_add_u32 s2, s2, 8
	v_sub_u32_e32 v5, v4, v3
	s_addc_u32 s3, s3, 0
	s_add_i32 s6, s6, -1
	v_mov_b32_e32 v4, v1
	v_mad_u64_u32 v[2:3], s[8:9], v5, s11, v[2:3]
	v_mad_u64_u32 v[0:1], s[8:9], v5, s10, v[0:1]
	s_cmp_lg_u32 s6, 0
	v_mov_b32_e32 v1, v2
	s_cbranch_scc1 .LBB7_13
.LBB7_14:
	s_cbranch_execnz .LBB7_17
.LBB7_15:
	s_waitcnt lgkmcnt(0)
	v_mul_hi_u32 v0, s29, v8
	v_add_u32_e32 v0, v8, v0
	v_lshrrev_b32_e32 v1, s30, v0
	v_mul_lo_u32 v0, v1, s28
	v_sub_u32_e32 v0, v8, v0
	v_mul_lo_u32 v2, v0, s25
	s_andn2_b64 vcc, exec, s[48:49]
	v_mul_lo_u32 v0, v0, s24
	s_cbranch_vccnz .LBB7_17
; %bb.16:
	v_mul_hi_u32 v3, s46, v1
	v_add_u32_e32 v3, v1, v3
	v_lshrrev_b32_e32 v3, s47, v3
	v_mul_lo_u32 v3, v3, s31
	v_sub_u32_e32 v3, v1, v3
	v_mad_u64_u32 v[0:1], s[2:3], v3, s26, v[0:1]
	v_mad_u64_u32 v[2:3], s[2:3], v3, s27, v[2:3]
.LBB7_17:
	v_mov_b32_e32 v3, 0
	s_and_b32 s10, 0xffff, s74
	s_cmp_lt_i32 s10, 11
	s_waitcnt lgkmcnt(0)
	v_lshl_add_u64 v[2:3], s[22:23], 0, v[2:3]
	s_cbranch_scc1 .LBB7_24
; %bb.18:
	s_cmp_gt_i32 s10, 25
	s_cbranch_scc0 .LBB7_143
; %bb.19:
	s_cmp_gt_i32 s10, 28
	s_cbranch_scc0 .LBB7_144
	;; [unrolled: 3-line block ×4, first 2 shown]
; %bb.22:
	s_cmp_eq_u32 s10, 46
	s_mov_b64 s[8:9], 0
	s_cbranch_scc0 .LBB7_147
; %bb.23:
	global_load_dword v1, v[2:3], off
	s_mov_b64 s[6:7], -1
	s_mov_b64 s[4:5], 0
	s_waitcnt vmcnt(0)
	v_and_b32_e32 v1, 0x7fff7fff, v1
	v_cmp_ne_u32_e64 s[2:3], 0, v1
	s_branch .LBB7_149
.LBB7_24:
	s_mov_b64 s[4:5], 0
                                        ; implicit-def: $sgpr2_sgpr3
	s_mov_b64 s[6:7], 0
	s_cbranch_execnz .LBB7_195
.LBB7_25:
	s_andn2_b64 vcc, exec, s[6:7]
	s_cbranch_vccnz .LBB7_242
.LBB7_26:
	s_xor_b64 s[4:5], s[2:3], -1
	v_mov_b32_e32 v1, 0
	s_and_b32 s12, s73, 0xff
	s_mov_b64 s[8:9], -1
	v_lshl_add_u64 v[0:1], s[20:21], 0, v[0:1]
	s_mov_b64 s[2:3], 0
	s_cmp_lt_i32 s12, 11
	s_mov_b64 s[6:7], 0
	s_cbranch_scc1 .LBB7_103
; %bb.27:
	s_and_b32 s13, 0xffff, s12
	s_cmp_gt_i32 s13, 25
	s_cbranch_scc0 .LBB7_60
; %bb.28:
	s_cmp_gt_i32 s13, 28
	s_cbranch_scc0 .LBB7_43
; %bb.29:
	;; [unrolled: 3-line block ×4, first 2 shown]
	s_mov_b64 s[8:9], 0
	s_mov_b64 s[2:3], -1
	s_cmp_eq_u32 s13, 46
	s_cbranch_scc0 .LBB7_33
; %bb.32:
	v_cndmask_b32_e64 v2, 0, 1.0, s[4:5]
	v_bfe_u32 v3, v2, 16, 1
	s_movk_i32 s2, 0x7fff
	v_add3_u32 v2, v2, v3, s2
	v_lshrrev_b32_e32 v2, 16, v2
	global_store_dword v[0:1], v2, off
	s_mov_b64 s[6:7], -1
	s_mov_b64 s[2:3], 0
.LBB7_33:
	s_and_b64 vcc, exec, s[8:9]
	s_cbranch_vccz .LBB7_38
; %bb.34:
	s_cmp_eq_u32 s13, 44
	s_mov_b64 s[2:3], -1
	s_cbranch_scc0 .LBB7_38
; %bb.35:
	v_cndmask_b32_e64 v3, 0, 1.0, s[4:5]
	v_lshrrev_b32_e32 v2, 23, v3
	s_movk_i32 s2, 0xff
	v_cmp_ne_u32_e32 vcc, s2, v2
	v_mov_b32_e32 v4, 0xff
	s_and_saveexec_b64 s[6:7], vcc
; %bb.36:
	s_mov_b32 s2, 0x3fffff
	v_and_b32_e32 v4, 0x400000, v3
	v_and_or_b32 v3, v3, s2, v2
	v_cmp_ne_u32_e32 vcc, 0, v4
	v_cmp_ne_u32_e64 s[2:3], 0, v3
	s_and_b64 s[2:3], vcc, s[2:3]
	s_nop 0
	v_cndmask_b32_e64 v3, 0, 1, s[2:3]
	v_add_u32_e32 v4, v2, v3
; %bb.37:
	s_or_b64 exec, exec, s[6:7]
	s_mov_b64 s[6:7], -1
	s_mov_b64 s[2:3], 0
	global_store_byte v[0:1], v4, off
.LBB7_38:
	s_mov_b64 s[8:9], 0
.LBB7_39:
	s_and_b64 vcc, exec, s[8:9]
	s_cbranch_vccz .LBB7_42
; %bb.40:
	s_cmp_eq_u32 s13, 29
	s_mov_b64 s[2:3], -1
	s_cbranch_scc0 .LBB7_42
; %bb.41:
	s_mov_b32 s2, 0
	v_cndmask_b32_e64 v2, 0, 1, s[4:5]
	v_mov_b32_e32 v3, s2
	global_store_dwordx2 v[0:1], v[2:3], off
	s_mov_b64 s[6:7], -1
	s_mov_b64 s[2:3], 0
.LBB7_42:
	s_mov_b64 s[8:9], 0
.LBB7_43:
	s_and_b64 vcc, exec, s[8:9]
	s_cbranch_vccz .LBB7_59
; %bb.44:
	s_cmp_lt_i32 s13, 27
	s_mov_b64 s[6:7], -1
	s_cbranch_scc1 .LBB7_50
; %bb.45:
	s_cmp_gt_i32 s13, 27
	s_cbranch_scc0 .LBB7_47
; %bb.46:
	v_cndmask_b32_e64 v2, 0, 1, s[4:5]
	s_mov_b64 s[6:7], 0
	global_store_dword v[0:1], v2, off
.LBB7_47:
	s_andn2_b64 vcc, exec, s[6:7]
	s_cbranch_vccnz .LBB7_49
; %bb.48:
	v_cndmask_b32_e64 v2, 0, 1, s[4:5]
	global_store_short v[0:1], v2, off
.LBB7_49:
	s_mov_b64 s[6:7], 0
.LBB7_50:
	s_andn2_b64 vcc, exec, s[6:7]
	s_cbranch_vccnz .LBB7_58
; %bb.51:
	v_cndmask_b32_e64 v3, 0, 1.0, s[4:5]
	s_mov_b32 s6, 0x43800000
	v_cmp_gt_u32_e32 vcc, s6, v3
	v_mov_b32_e32 v4, 0x80
	s_and_saveexec_b64 s[6:7], vcc
	s_cbranch_execz .LBB7_57
; %bb.52:
	s_mov_b32 s8, 0x3bffffff
	v_cmp_lt_u32_e32 vcc, s8, v3
	s_mov_b64 s[8:9], 0
                                        ; implicit-def: $vgpr2
	s_and_saveexec_b64 s[10:11], vcc
	s_xor_b64 s[10:11], exec, s[10:11]
	s_cbranch_execz .LBB7_324
; %bb.53:
	v_bfe_u32 v2, v3, 20, 1
	s_mov_b32 s14, 0x487ffff
	v_add3_u32 v2, v3, v2, s14
	s_mov_b64 s[8:9], exec
	v_lshrrev_b32_e32 v2, 20, v2
                                        ; implicit-def: $vgpr3
	s_andn2_saveexec_b64 s[10:11], s[10:11]
	s_cbranch_execnz .LBB7_325
.LBB7_54:
	s_or_b64 exec, exec, s[10:11]
	v_mov_b32_e32 v4, 0
	s_and_saveexec_b64 s[10:11], s[8:9]
.LBB7_55:
	v_mov_b32_e32 v4, v2
.LBB7_56:
	s_or_b64 exec, exec, s[10:11]
.LBB7_57:
	s_or_b64 exec, exec, s[6:7]
	global_store_byte v[0:1], v4, off
.LBB7_58:
	s_mov_b64 s[6:7], -1
.LBB7_59:
	s_mov_b64 s[8:9], 0
.LBB7_60:
	s_and_b64 vcc, exec, s[8:9]
	s_cbranch_vccz .LBB7_101
; %bb.61:
	s_cmp_gt_i32 s13, 22
	s_mov_b64 s[8:9], -1
	s_cbranch_scc0 .LBB7_93
; %bb.62:
	s_cmp_lt_i32 s13, 24
	s_mov_b64 s[6:7], -1
	s_cbranch_scc1 .LBB7_82
; %bb.63:
	s_cmp_gt_i32 s13, 24
	s_cbranch_scc0 .LBB7_71
; %bb.64:
	v_cndmask_b32_e64 v3, 0, 1.0, s[4:5]
	s_mov_b32 s6, 0x47800000
	v_cmp_gt_u32_e32 vcc, s6, v3
	v_mov_b32_e32 v4, 0x80
	s_and_saveexec_b64 s[6:7], vcc
	s_cbranch_execz .LBB7_70
; %bb.65:
	s_mov_b32 s8, 0x37ffffff
	v_cmp_lt_u32_e32 vcc, s8, v3
	s_mov_b64 s[8:9], 0
                                        ; implicit-def: $vgpr2
	s_and_saveexec_b64 s[10:11], vcc
	s_xor_b64 s[10:11], exec, s[10:11]
	s_cbranch_execz .LBB7_328
; %bb.66:
	v_bfe_u32 v2, v3, 21, 1
	s_mov_b32 s14, 0x88fffff
	v_add3_u32 v2, v3, v2, s14
	s_mov_b64 s[8:9], exec
	v_lshrrev_b32_e32 v2, 21, v2
                                        ; implicit-def: $vgpr3
	s_andn2_saveexec_b64 s[10:11], s[10:11]
	s_cbranch_execnz .LBB7_329
.LBB7_67:
	s_or_b64 exec, exec, s[10:11]
	v_mov_b32_e32 v4, 0
	s_and_saveexec_b64 s[10:11], s[8:9]
.LBB7_68:
	v_mov_b32_e32 v4, v2
.LBB7_69:
	s_or_b64 exec, exec, s[10:11]
.LBB7_70:
	s_or_b64 exec, exec, s[6:7]
	s_mov_b64 s[6:7], 0
	global_store_byte v[0:1], v4, off
.LBB7_71:
	s_and_b64 vcc, exec, s[6:7]
	s_cbranch_vccz .LBB7_81
; %bb.72:
	v_cndmask_b32_e64 v2, 0, 1.0, s[4:5]
	s_mov_b32 s6, 0x43f00000
	v_cmp_gt_u32_e32 vcc, s6, v2
                                        ; implicit-def: $vgpr3
	s_and_saveexec_b64 s[6:7], vcc
	s_xor_b64 s[6:7], exec, s[6:7]
	s_cbranch_execz .LBB7_78
; %bb.73:
	s_mov_b32 s8, 0x3c7fffff
	v_cmp_lt_u32_e32 vcc, s8, v2
                                        ; implicit-def: $vgpr3
	s_and_saveexec_b64 s[8:9], vcc
	s_xor_b64 s[8:9], exec, s[8:9]
; %bb.74:
	v_bfe_u32 v3, v2, 20, 1
	s_mov_b32 s10, 0x407ffff
	v_add3_u32 v2, v2, v3, s10
	v_lshrrev_b32_e32 v3, 20, v2
	v_and_b32_e32 v2, 0xff00000, v2
	s_mov_b32 s10, 0x7f00000
	v_mov_b32_e32 v4, 0x7e
	v_cmp_ne_u32_e32 vcc, s10, v2
                                        ; implicit-def: $vgpr2
	s_nop 1
	v_cndmask_b32_e32 v3, v4, v3, vcc
; %bb.75:
	s_andn2_saveexec_b64 s[8:9], s[8:9]
; %bb.76:
	v_add_f32_e32 v3, 0x46800000, v2
; %bb.77:
	s_or_b64 exec, exec, s[8:9]
                                        ; implicit-def: $vgpr2
.LBB7_78:
	s_andn2_saveexec_b64 s[6:7], s[6:7]
; %bb.79:
	s_mov_b32 s8, 0x7f800000
	v_mov_b32_e32 v3, 0x7e
	v_mov_b32_e32 v4, 0x7f
	v_cmp_lt_u32_e32 vcc, s8, v2
	s_nop 1
	v_cndmask_b32_e32 v3, v3, v4, vcc
; %bb.80:
	s_or_b64 exec, exec, s[6:7]
	global_store_byte v[0:1], v3, off
.LBB7_81:
	s_mov_b64 s[6:7], 0
.LBB7_82:
	s_andn2_b64 vcc, exec, s[6:7]
	s_cbranch_vccnz .LBB7_92
; %bb.83:
	v_cndmask_b32_e64 v2, 0, 1.0, s[4:5]
	s_mov_b32 s6, 0x47800000
	v_cmp_gt_u32_e32 vcc, s6, v2
                                        ; implicit-def: $vgpr3
	s_and_saveexec_b64 s[6:7], vcc
	s_xor_b64 s[6:7], exec, s[6:7]
	s_cbranch_execz .LBB7_89
; %bb.84:
	s_mov_b32 s8, 0x387fffff
	v_cmp_lt_u32_e32 vcc, s8, v2
                                        ; implicit-def: $vgpr3
	s_and_saveexec_b64 s[8:9], vcc
	s_xor_b64 s[8:9], exec, s[8:9]
; %bb.85:
	v_bfe_u32 v3, v2, 21, 1
	s_mov_b32 s10, 0x80fffff
	v_add3_u32 v2, v2, v3, s10
	v_lshrrev_b32_e32 v3, 21, v2
                                        ; implicit-def: $vgpr2
; %bb.86:
	s_andn2_saveexec_b64 s[8:9], s[8:9]
; %bb.87:
	v_add_f32_e32 v3, 0x43000000, v2
; %bb.88:
	s_or_b64 exec, exec, s[8:9]
                                        ; implicit-def: $vgpr2
.LBB7_89:
	s_andn2_saveexec_b64 s[6:7], s[6:7]
; %bb.90:
	s_mov_b32 s8, 0x7f800000
	v_mov_b32_e32 v3, 0x7c
	v_mov_b32_e32 v4, 0x7f
	v_cmp_lt_u32_e32 vcc, s8, v2
	s_nop 1
	v_cndmask_b32_e32 v3, v3, v4, vcc
; %bb.91:
	s_or_b64 exec, exec, s[6:7]
	global_store_byte v[0:1], v3, off
.LBB7_92:
	s_mov_b64 s[8:9], 0
	s_mov_b64 s[6:7], -1
.LBB7_93:
	s_andn2_b64 vcc, exec, s[8:9]
	s_cbranch_vccnz .LBB7_101
; %bb.94:
	s_cmp_gt_i32 s13, 14
	s_mov_b64 s[8:9], -1
	s_cbranch_scc0 .LBB7_98
; %bb.95:
	s_cmp_eq_u32 s13, 15
	s_mov_b64 s[2:3], -1
	s_cbranch_scc0 .LBB7_97
; %bb.96:
	v_cndmask_b32_e64 v2, 0, 1.0, s[4:5]
	v_bfe_u32 v3, v2, 16, 1
	s_movk_i32 s2, 0x7fff
	v_add3_u32 v2, v2, v3, s2
	global_store_short_d16_hi v[0:1], v2, off
	s_mov_b64 s[6:7], -1
	s_mov_b64 s[2:3], 0
.LBB7_97:
	s_mov_b64 s[8:9], 0
.LBB7_98:
	s_and_b64 vcc, exec, s[8:9]
	s_cbranch_vccz .LBB7_101
; %bb.99:
	s_cmp_eq_u32 s13, 11
	s_mov_b64 s[2:3], -1
	s_cbranch_scc0 .LBB7_101
; %bb.100:
	v_cndmask_b32_e64 v2, 0, 1, s[4:5]
	global_store_byte v[0:1], v2, off
	s_mov_b64 s[6:7], -1
	s_mov_b64 s[2:3], 0
.LBB7_101:
.LBB7_102:
	s_mov_b64 s[4:5], 0
	s_andn2_b64 vcc, exec, s[6:7]
	s_mov_b64 s[6:7], 0
	s_cbranch_vccz .LBB7_142
	s_branch .LBB7_243
.LBB7_103:
	s_and_b64 vcc, exec, s[8:9]
	s_cbranch_vccz .LBB7_102
; %bb.104:
	s_and_b32 s8, 0xffff, s12
	s_cmp_lt_i32 s8, 5
	s_mov_b64 s[6:7], -1
	s_cbranch_scc1 .LBB7_125
; %bb.105:
	s_cmp_lt_i32 s8, 8
	s_cbranch_scc1 .LBB7_115
; %bb.106:
	s_cmp_lt_i32 s8, 9
	s_cbranch_scc1 .LBB7_112
; %bb.107:
	s_cmp_gt_i32 s8, 9
	s_cbranch_scc0 .LBB7_109
; %bb.108:
	v_cndmask_b32_e64 v2, 0, 1, s[4:5]
	v_mov_b32_e32 v4, 0
	v_cvt_f64_u32_e32 v[2:3], v2
	v_mov_b32_e32 v5, v4
	global_store_dwordx4 v[0:1], v[2:5], off
	s_mov_b64 s[6:7], 0
.LBB7_109:
	s_andn2_b64 vcc, exec, s[6:7]
	s_cbranch_vccnz .LBB7_111
; %bb.110:
	v_cndmask_b32_e64 v2, 0, 1.0, s[4:5]
	v_mov_b32_e32 v3, 0
	global_store_dwordx2 v[0:1], v[2:3], off
.LBB7_111:
	s_mov_b64 s[6:7], 0
.LBB7_112:
	s_andn2_b64 vcc, exec, s[6:7]
	s_cbranch_vccnz .LBB7_114
; %bb.113:
	v_cndmask_b32_e64 v2, 0, 1.0, s[4:5]
	v_cvt_f16_f32_e32 v2, v2
	global_store_dword v[0:1], v2, off
.LBB7_114:
	s_mov_b64 s[6:7], 0
.LBB7_115:
	s_andn2_b64 vcc, exec, s[6:7]
	s_cbranch_vccnz .LBB7_124
; %bb.116:
	s_cmp_lt_i32 s8, 6
	s_mov_b64 s[6:7], -1
	s_cbranch_scc1 .LBB7_122
; %bb.117:
	s_cmp_gt_i32 s8, 6
	s_cbranch_scc0 .LBB7_119
; %bb.118:
	v_cndmask_b32_e64 v2, 0, 1, s[4:5]
	v_cvt_f64_u32_e32 v[2:3], v2
	global_store_dwordx2 v[0:1], v[2:3], off
	s_mov_b64 s[6:7], 0
.LBB7_119:
	s_andn2_b64 vcc, exec, s[6:7]
	s_cbranch_vccnz .LBB7_121
; %bb.120:
	v_cndmask_b32_e64 v2, 0, 1.0, s[4:5]
	global_store_dword v[0:1], v2, off
.LBB7_121:
	s_mov_b64 s[6:7], 0
.LBB7_122:
	s_andn2_b64 vcc, exec, s[6:7]
	s_cbranch_vccnz .LBB7_124
; %bb.123:
	v_cndmask_b32_e64 v2, 0, 1.0, s[4:5]
	v_cvt_f16_f32_e32 v2, v2
	global_store_short v[0:1], v2, off
.LBB7_124:
	s_mov_b64 s[6:7], 0
.LBB7_125:
	s_andn2_b64 vcc, exec, s[6:7]
	s_cbranch_vccnz .LBB7_141
; %bb.126:
	s_cmp_lt_i32 s8, 2
	s_mov_b64 s[6:7], -1
	s_cbranch_scc1 .LBB7_136
; %bb.127:
	s_cmp_lt_i32 s8, 3
	s_cbranch_scc1 .LBB7_133
; %bb.128:
	s_cmp_gt_i32 s8, 3
	s_cbranch_scc0 .LBB7_130
; %bb.129:
	s_mov_b32 s6, 0
	v_cndmask_b32_e64 v2, 0, 1, s[4:5]
	v_mov_b32_e32 v3, s6
	global_store_dwordx2 v[0:1], v[2:3], off
	s_mov_b64 s[6:7], 0
.LBB7_130:
	s_andn2_b64 vcc, exec, s[6:7]
	s_cbranch_vccnz .LBB7_132
; %bb.131:
	v_cndmask_b32_e64 v2, 0, 1, s[4:5]
	global_store_dword v[0:1], v2, off
.LBB7_132:
	s_mov_b64 s[6:7], 0
.LBB7_133:
	s_andn2_b64 vcc, exec, s[6:7]
	s_cbranch_vccnz .LBB7_135
; %bb.134:
	v_cndmask_b32_e64 v2, 0, 1, s[4:5]
	global_store_short v[0:1], v2, off
.LBB7_135:
	s_mov_b64 s[6:7], 0
.LBB7_136:
	s_andn2_b64 vcc, exec, s[6:7]
	s_cbranch_vccnz .LBB7_141
; %bb.137:
	s_cmp_gt_i32 s8, 0
	s_mov_b64 s[6:7], -1
	s_cbranch_scc0 .LBB7_139
; %bb.138:
	v_cndmask_b32_e64 v2, 0, 1, s[4:5]
	global_store_byte v[0:1], v2, off
	s_mov_b64 s[6:7], 0
.LBB7_139:
	s_andn2_b64 vcc, exec, s[6:7]
	s_cbranch_vccnz .LBB7_141
; %bb.140:
	v_cndmask_b32_e64 v2, 0, 1, s[4:5]
	global_store_byte v[0:1], v2, off
.LBB7_141:
	s_mov_b64 s[4:5], 0
	s_mov_b64 s[6:7], 0
.LBB7_142:
	v_add_u32_e32 v8, 0x80, v8
	s_mov_b64 s[6:7], -1
	s_branch .LBB7_243
.LBB7_143:
	s_mov_b64 s[4:5], 0
	s_mov_b64 s[6:7], 0
                                        ; implicit-def: $sgpr2_sgpr3
	s_cbranch_execnz .LBB7_170
	s_branch .LBB7_194
.LBB7_144:
	s_mov_b64 s[8:9], -1
	s_mov_b64 s[4:5], 0
	s_mov_b64 s[6:7], 0
                                        ; implicit-def: $sgpr2_sgpr3
	s_branch .LBB7_157
.LBB7_145:
	s_mov_b64 s[8:9], -1
	s_mov_b64 s[4:5], 0
	s_mov_b64 s[6:7], 0
                                        ; implicit-def: $sgpr2_sgpr3
	s_branch .LBB7_152
.LBB7_146:
	s_mov_b64 s[8:9], -1
	s_mov_b64 s[4:5], 0
	s_branch .LBB7_148
.LBB7_147:
	s_mov_b64 s[4:5], -1
.LBB7_148:
	s_mov_b64 s[6:7], 0
                                        ; implicit-def: $sgpr2_sgpr3
.LBB7_149:
	s_and_b64 vcc, exec, s[8:9]
	s_cbranch_vccz .LBB7_151
; %bb.150:
	s_cmp_eq_u32 s10, 44
	s_mov_b64 s[4:5], -1
	s_cselect_b64 s[6:7], -1, 0
	s_or_b64 s[2:3], s[2:3], exec
.LBB7_151:
	s_mov_b64 s[8:9], 0
.LBB7_152:
	s_and_b64 vcc, exec, s[8:9]
	s_cbranch_vccz .LBB7_156
; %bb.153:
	s_cmp_eq_u32 s10, 29
	s_cbranch_scc0 .LBB7_155
; %bb.154:
	global_load_dwordx2 v[4:5], v[2:3], off
	s_mov_b64 s[4:5], 0
	s_mov_b64 s[6:7], -1
	s_mov_b64 s[8:9], 0
	s_waitcnt vmcnt(0)
	v_cmp_ne_u64_e64 s[2:3], 0, v[4:5]
	s_branch .LBB7_157
.LBB7_155:
	s_mov_b64 s[4:5], -1
                                        ; implicit-def: $sgpr2_sgpr3
.LBB7_156:
	s_mov_b64 s[8:9], 0
.LBB7_157:
	s_and_b64 vcc, exec, s[8:9]
	s_cbranch_vccz .LBB7_169
; %bb.158:
	s_cmp_lt_i32 s10, 27
	s_cbranch_scc1 .LBB7_161
; %bb.159:
	s_cmp_gt_i32 s10, 27
	s_cbranch_scc0 .LBB7_162
; %bb.160:
	global_load_dword v1, v[2:3], off
	s_mov_b64 s[6:7], 0
	s_waitcnt vmcnt(0)
	v_cmp_ne_u32_e64 s[2:3], 0, v1
	s_branch .LBB7_163
.LBB7_161:
	s_mov_b64 s[6:7], -1
                                        ; implicit-def: $sgpr2_sgpr3
	s_branch .LBB7_166
.LBB7_162:
	s_mov_b64 s[6:7], -1
                                        ; implicit-def: $sgpr2_sgpr3
.LBB7_163:
	s_andn2_b64 vcc, exec, s[6:7]
	s_cbranch_vccnz .LBB7_165
; %bb.164:
	global_load_ushort v1, v[2:3], off
	s_andn2_b64 s[2:3], s[2:3], exec
	s_waitcnt vmcnt(0)
	v_cmp_ne_u16_e32 vcc, 0, v1
	s_and_b64 s[6:7], vcc, exec
	s_or_b64 s[2:3], s[2:3], s[6:7]
.LBB7_165:
	s_mov_b64 s[6:7], 0
.LBB7_166:
	s_andn2_b64 vcc, exec, s[6:7]
	s_cbranch_vccnz .LBB7_168
; %bb.167:
	global_load_ubyte v1, v[2:3], off
	s_andn2_b64 s[2:3], s[2:3], exec
	s_waitcnt vmcnt(0)
	v_cmp_ne_u16_e32 vcc, 0, v1
	s_and_b64 s[6:7], vcc, exec
	s_or_b64 s[2:3], s[2:3], s[6:7]
.LBB7_168:
	s_mov_b64 s[6:7], -1
.LBB7_169:
	s_branch .LBB7_194
.LBB7_170:
	s_cmp_gt_i32 s10, 22
	s_cbranch_scc0 .LBB7_174
; %bb.171:
	s_cmp_lt_i32 s10, 24
	s_cbranch_scc1 .LBB7_175
; %bb.172:
	s_cmp_gt_i32 s10, 24
	s_cbranch_scc0 .LBB7_176
; %bb.173:
	global_load_ubyte v1, v[2:3], off
	s_mov_b64 s[6:7], 0
	s_waitcnt vmcnt(0)
	v_cmp_ne_u16_e64 s[2:3], 0, v1
	s_branch .LBB7_177
.LBB7_174:
	s_mov_b64 s[8:9], -1
                                        ; implicit-def: $sgpr2_sgpr3
	s_branch .LBB7_183
.LBB7_175:
	s_mov_b64 s[6:7], -1
                                        ; implicit-def: $sgpr2_sgpr3
	s_branch .LBB7_180
.LBB7_176:
	s_mov_b64 s[6:7], -1
                                        ; implicit-def: $sgpr2_sgpr3
.LBB7_177:
	s_andn2_b64 vcc, exec, s[6:7]
	s_cbranch_vccnz .LBB7_179
; %bb.178:
	global_load_ubyte v1, v[2:3], off
	s_andn2_b64 s[2:3], s[2:3], exec
	s_waitcnt vmcnt(0)
	v_and_b32_e32 v1, 0x7f, v1
	v_cmp_ne_u16_e32 vcc, 0, v1
	s_and_b64 s[6:7], vcc, exec
	s_or_b64 s[2:3], s[2:3], s[6:7]
.LBB7_179:
	s_mov_b64 s[6:7], 0
.LBB7_180:
	s_andn2_b64 vcc, exec, s[6:7]
	s_cbranch_vccnz .LBB7_182
; %bb.181:
	global_load_ubyte v1, v[2:3], off
	s_movk_i32 s6, 0x7f00
	s_brev_b32 s7, 16
	s_andn2_b64 s[2:3], s[2:3], exec
	s_waitcnt vmcnt(0)
	v_lshlrev_b32_e32 v4, 8, v1
	v_lshlrev_b32_e32 v1, 25, v1
	v_lshrrev_b32_e32 v5, 4, v1
	v_and_or_b32 v4, v4, s6, 0.5
	v_or_b32_e32 v5, 0x70000000, v5
	v_add_f32_e32 v4, -0.5, v4
	v_mul_f32_e32 v5, 0x7800000, v5
	v_cmp_gt_u32_e32 vcc, s7, v1
	s_nop 1
	v_cndmask_b32_e32 v1, v5, v4, vcc
	v_cmp_neq_f32_e32 vcc, 0, v1
	s_and_b64 s[6:7], vcc, exec
	s_or_b64 s[2:3], s[2:3], s[6:7]
.LBB7_182:
	s_mov_b64 s[8:9], 0
	s_mov_b64 s[6:7], -1
.LBB7_183:
	s_andn2_b64 vcc, exec, s[8:9]
	s_cbranch_vccnz .LBB7_194
; %bb.184:
	s_cmp_gt_i32 s10, 14
	s_cbranch_scc0 .LBB7_187
; %bb.185:
	s_cmp_eq_u32 s10, 15
	s_cbranch_scc0 .LBB7_188
; %bb.186:
	global_load_ushort v1, v[2:3], off
	s_mov_b64 s[6:7], -1
	s_mov_b64 s[4:5], 0
	s_waitcnt vmcnt(0)
	v_and_b32_e32 v1, 0x7fff, v1
	v_cmp_ne_u16_e64 s[2:3], 0, v1
	s_branch .LBB7_189
.LBB7_187:
	s_mov_b64 s[8:9], -1
                                        ; implicit-def: $sgpr2_sgpr3
	s_branch .LBB7_190
.LBB7_188:
	s_mov_b64 s[4:5], -1
                                        ; implicit-def: $sgpr2_sgpr3
.LBB7_189:
	s_mov_b64 s[8:9], 0
.LBB7_190:
	s_and_b64 vcc, exec, s[8:9]
	s_cbranch_vccz .LBB7_194
; %bb.191:
	s_cmp_eq_u32 s10, 11
	s_cbranch_scc0 .LBB7_193
; %bb.192:
	global_load_ubyte v1, v[2:3], off
	s_mov_b64 s[6:7], -1
	s_mov_b64 s[4:5], 0
	s_waitcnt vmcnt(0)
	v_cmp_ne_u16_e64 s[2:3], 0, v1
	s_branch .LBB7_194
.LBB7_193:
	s_mov_b64 s[4:5], -1
                                        ; implicit-def: $sgpr2_sgpr3
.LBB7_194:
	s_branch .LBB7_25
.LBB7_195:
	s_cmp_lt_i32 s10, 5
	s_cbranch_scc1 .LBB7_200
; %bb.196:
	s_cmp_lt_i32 s10, 8
	s_cbranch_scc1 .LBB7_201
; %bb.197:
	;; [unrolled: 3-line block ×3, first 2 shown]
	s_cmp_gt_i32 s10, 9
	s_cbranch_scc0 .LBB7_203
; %bb.199:
	global_load_dwordx4 v[4:7], v[2:3], off
	s_mov_b64 s[6:7], 0
	s_waitcnt vmcnt(0)
	v_cmp_neq_f64_e32 vcc, 0, v[4:5]
	v_cmp_neq_f64_e64 s[2:3], 0, v[6:7]
	s_or_b64 s[2:3], vcc, s[2:3]
	s_branch .LBB7_204
.LBB7_200:
                                        ; implicit-def: $sgpr2_sgpr3
	s_branch .LBB7_222
.LBB7_201:
	s_mov_b64 s[6:7], -1
                                        ; implicit-def: $sgpr2_sgpr3
	s_branch .LBB7_210
.LBB7_202:
	s_mov_b64 s[6:7], -1
                                        ; implicit-def: $sgpr2_sgpr3
	s_branch .LBB7_207
.LBB7_203:
	s_mov_b64 s[6:7], -1
                                        ; implicit-def: $sgpr2_sgpr3
.LBB7_204:
	s_andn2_b64 vcc, exec, s[6:7]
	s_cbranch_vccnz .LBB7_206
; %bb.205:
	global_load_dwordx2 v[4:5], v[2:3], off
	s_brev_b32 s6, -2
	s_andn2_b64 s[2:3], s[2:3], exec
	s_waitcnt vmcnt(0)
	v_bitop3_b32 v1, v4, s6, v5 bitop3:0xc8
	v_cmp_ne_u32_e32 vcc, 0, v1
	s_and_b64 s[6:7], vcc, exec
	s_or_b64 s[2:3], s[2:3], s[6:7]
.LBB7_206:
	s_mov_b64 s[6:7], 0
.LBB7_207:
	s_andn2_b64 vcc, exec, s[6:7]
	s_cbranch_vccnz .LBB7_209
; %bb.208:
	global_load_dword v1, v[2:3], off
	s_andn2_b64 s[2:3], s[2:3], exec
	s_waitcnt vmcnt(0)
	v_and_b32_e32 v1, 0x7fff7fff, v1
	v_cmp_ne_u32_e32 vcc, 0, v1
	s_and_b64 s[6:7], vcc, exec
	s_or_b64 s[2:3], s[2:3], s[6:7]
.LBB7_209:
	s_mov_b64 s[6:7], 0
.LBB7_210:
	s_andn2_b64 vcc, exec, s[6:7]
	s_cbranch_vccnz .LBB7_221
; %bb.211:
	s_cmp_lt_i32 s10, 6
	s_cbranch_scc1 .LBB7_214
; %bb.212:
	s_cmp_gt_i32 s10, 6
	s_cbranch_scc0 .LBB7_215
; %bb.213:
	global_load_dwordx2 v[4:5], v[2:3], off
	s_mov_b64 s[6:7], 0
	s_waitcnt vmcnt(0)
	v_cmp_neq_f64_e64 s[2:3], 0, v[4:5]
	s_branch .LBB7_216
.LBB7_214:
	s_mov_b64 s[6:7], -1
                                        ; implicit-def: $sgpr2_sgpr3
	s_branch .LBB7_219
.LBB7_215:
	s_mov_b64 s[6:7], -1
                                        ; implicit-def: $sgpr2_sgpr3
.LBB7_216:
	s_andn2_b64 vcc, exec, s[6:7]
	s_cbranch_vccnz .LBB7_218
; %bb.217:
	global_load_dword v1, v[2:3], off
	s_andn2_b64 s[2:3], s[2:3], exec
	s_waitcnt vmcnt(0)
	v_cmp_neq_f32_e32 vcc, 0, v1
	s_and_b64 s[6:7], vcc, exec
	s_or_b64 s[2:3], s[2:3], s[6:7]
.LBB7_218:
	s_mov_b64 s[6:7], 0
.LBB7_219:
	s_andn2_b64 vcc, exec, s[6:7]
	s_cbranch_vccnz .LBB7_221
; %bb.220:
	global_load_ushort v1, v[2:3], off
	s_andn2_b64 s[2:3], s[2:3], exec
	s_waitcnt vmcnt(0)
	v_and_b32_e32 v1, 0x7fff, v1
	v_cmp_ne_u16_e32 vcc, 0, v1
	s_and_b64 s[6:7], vcc, exec
	s_or_b64 s[2:3], s[2:3], s[6:7]
.LBB7_221:
	s_cbranch_execnz .LBB7_241
.LBB7_222:
	s_cmp_lt_i32 s10, 2
	s_cbranch_scc1 .LBB7_226
; %bb.223:
	s_cmp_lt_i32 s10, 3
	s_cbranch_scc1 .LBB7_227
; %bb.224:
	s_cmp_gt_i32 s10, 3
	s_cbranch_scc0 .LBB7_228
; %bb.225:
	global_load_dwordx2 v[4:5], v[2:3], off
	s_mov_b64 s[6:7], 0
	s_waitcnt vmcnt(0)
	v_cmp_ne_u64_e64 s[2:3], 0, v[4:5]
	s_branch .LBB7_229
.LBB7_226:
	s_mov_b64 s[6:7], -1
                                        ; implicit-def: $sgpr2_sgpr3
	s_branch .LBB7_235
.LBB7_227:
	s_mov_b64 s[6:7], -1
                                        ; implicit-def: $sgpr2_sgpr3
	s_branch .LBB7_232
.LBB7_228:
	s_mov_b64 s[6:7], -1
                                        ; implicit-def: $sgpr2_sgpr3
.LBB7_229:
	s_andn2_b64 vcc, exec, s[6:7]
	s_cbranch_vccnz .LBB7_231
; %bb.230:
	global_load_dword v1, v[2:3], off
	s_andn2_b64 s[2:3], s[2:3], exec
	s_waitcnt vmcnt(0)
	v_cmp_ne_u32_e32 vcc, 0, v1
	s_and_b64 s[6:7], vcc, exec
	s_or_b64 s[2:3], s[2:3], s[6:7]
.LBB7_231:
	s_mov_b64 s[6:7], 0
.LBB7_232:
	s_andn2_b64 vcc, exec, s[6:7]
	s_cbranch_vccnz .LBB7_234
; %bb.233:
	global_load_ushort v1, v[2:3], off
	s_andn2_b64 s[2:3], s[2:3], exec
	s_waitcnt vmcnt(0)
	v_cmp_ne_u16_e32 vcc, 0, v1
	s_and_b64 s[6:7], vcc, exec
	s_or_b64 s[2:3], s[2:3], s[6:7]
.LBB7_234:
	s_mov_b64 s[6:7], 0
.LBB7_235:
	s_andn2_b64 vcc, exec, s[6:7]
	s_cbranch_vccnz .LBB7_241
; %bb.236:
	s_cmp_gt_i32 s10, 0
	s_cbranch_scc0 .LBB7_238
; %bb.237:
	global_load_ubyte v1, v[2:3], off
	s_mov_b64 s[6:7], 0
	s_waitcnt vmcnt(0)
	v_cmp_ne_u16_e64 s[2:3], 0, v1
	s_branch .LBB7_239
.LBB7_238:
	s_mov_b64 s[6:7], -1
                                        ; implicit-def: $sgpr2_sgpr3
.LBB7_239:
	s_andn2_b64 vcc, exec, s[6:7]
	s_cbranch_vccnz .LBB7_241
; %bb.240:
	global_load_ubyte v1, v[2:3], off
	s_andn2_b64 s[2:3], s[2:3], exec
	s_waitcnt vmcnt(0)
	v_cmp_ne_u16_e32 vcc, 0, v1
	s_and_b64 s[6:7], vcc, exec
	s_or_b64 s[2:3], s[2:3], s[6:7]
.LBB7_241:
	s_branch .LBB7_26
.LBB7_242:
	s_mov_b64 s[2:3], 0
	s_mov_b64 s[6:7], 0
                                        ; implicit-def: $vgpr8
.LBB7_243:
	s_and_b64 s[54:55], s[2:3], exec
	s_and_b64 s[56:57], s[4:5], exec
	s_orn2_b64 s[4:5], s[6:7], exec
.LBB7_244:
	s_or_b64 exec, exec, s[58:59]
	s_mov_b64 s[2:3], 0
	s_mov_b64 s[12:13], 0
                                        ; implicit-def: $sgpr8_sgpr9
                                        ; implicit-def: $vgpr2_vgpr3
                                        ; implicit-def: $vgpr0
	s_and_saveexec_b64 s[58:59], s[4:5]
	s_cbranch_execz .LBB7_252
; %bb.245:
	v_cmp_gt_i32_e32 vcc, s70, v8
	s_mov_b64 s[2:3], -1
	s_mov_b64 s[60:61], s[56:57]
	s_mov_b64 s[62:63], s[54:55]
	s_and_saveexec_b64 s[64:65], vcc
	s_cbranch_execz .LBB7_500
; %bb.246:
	s_andn2_b64 vcc, exec, s[42:43]
	s_cbranch_vccnz .LBB7_255
; %bb.247:
	s_andn2_b64 vcc, exec, s[52:53]
	s_cbranch_vccnz .LBB7_256
; %bb.248:
	s_add_i32 s63, s75, 1
	s_cmp_eq_u32 s72, 2
	s_cbranch_scc1 .LBB7_257
; %bb.249:
	s_and_b32 s62, s63, 28
	s_mov_b32 s66, 0
	v_mov_b32_e32 v0, 0
	v_mov_b32_e32 v2, 0
	s_mov_b64 s[2:3], s[34:35]
	s_mov_b64 s[60:61], s[50:51]
	v_mov_b32_e32 v4, v8
.LBB7_250:                              ; =>This Inner Loop Header: Depth=1
	s_load_dwordx8 s[12:19], s[2:3], 0x4
	s_load_dwordx4 s[36:39], s[2:3], 0x24
	s_load_dwordx8 s[4:11], s[60:61], 0x0
	s_add_u32 s2, s2, 48
	s_addc_u32 s3, s3, 0
	s_waitcnt lgkmcnt(0)
	v_mul_hi_u32 v1, s13, v4
	v_add_u32_e32 v1, v4, v1
	v_lshrrev_b32_e32 v1, s14, v1
	v_mul_lo_u32 v3, v1, s12
	v_mul_hi_u32 v5, s16, v1
	v_sub_u32_e32 v3, v4, v3
	v_add_u32_e32 v4, v1, v5
	v_lshrrev_b32_e32 v4, s17, v4
	v_mul_lo_u32 v6, v4, s15
	v_mul_hi_u32 v7, s19, v4
	v_sub_u32_e32 v1, v1, v6
	v_add_u32_e32 v6, v4, v7
	v_mul_lo_u32 v5, v3, s5
	v_mul_lo_u32 v3, v3, s4
	;; [unrolled: 1-line block ×4, first 2 shown]
	v_lshrrev_b32_e32 v6, s36, v6
	v_add3_u32 v0, v3, v0, v1
	v_mul_hi_u32 v3, s38, v6
	v_add3_u32 v1, v5, v2, v7
	v_mul_lo_u32 v2, v6, s18
	v_add_u32_e32 v3, v6, v3
	v_sub_u32_e32 v2, v4, v2
	v_lshrrev_b32_e32 v4, s39, v3
	s_add_i32 s66, s66, 4
	v_mul_lo_u32 v3, v4, s37
	s_add_u32 s60, s60, 32
	v_sub_u32_e32 v3, v6, v3
	s_addc_u32 s61, s61, 0
	v_mul_lo_u32 v5, v2, s8
	v_mul_lo_u32 v2, v2, s9
	;; [unrolled: 1-line block ×4, first 2 shown]
	s_cmp_eq_u32 s62, s66
	v_add3_u32 v2, v2, v1, v3
	v_add3_u32 v0, v5, v0, v6
	s_cbranch_scc0 .LBB7_250
; %bb.251:
	v_mov_b32_e32 v1, v2
	s_branch .LBB7_258
.LBB7_252:
	s_or_b64 exec, exec, s[58:59]
	s_mov_b64 s[4:5], 0
	s_and_saveexec_b64 s[6:7], s[56:57]
	s_cbranch_execnz .LBB7_839
.LBB7_253:
	s_or_b64 exec, exec, s[6:7]
	s_and_saveexec_b64 s[6:7], s[62:63]
	s_xor_b64 s[6:7], exec, s[6:7]
	s_cbranch_execz .LBB7_840
.LBB7_254:
	global_load_ubyte v1, v[2:3], off
	s_andn2_b64 s[8:9], s[8:9], exec
	s_or_b64 s[12:13], s[12:13], exec
	s_waitcnt vmcnt(0)
	v_cmp_ne_u16_e32 vcc, 0, v1
	s_and_b64 s[10:11], vcc, exec
	s_or_b64 s[8:9], s[8:9], s[10:11]
	s_or_b64 exec, exec, s[6:7]
	s_and_saveexec_b64 s[6:7], s[2:3]
	s_cbranch_execz .LBB7_886
	s_branch .LBB7_841
.LBB7_255:
                                        ; implicit-def: $vgpr2
                                        ; implicit-def: $vgpr0
	s_andn2_b64 vcc, exec, s[2:3]
	s_cbranch_vccz .LBB7_262
	s_branch .LBB7_264
.LBB7_256:
	v_mov_b32_e32 v2, 0
	v_mov_b32_e32 v0, 0
	s_branch .LBB7_261
.LBB7_257:
	v_mov_b32_e32 v0, 0
	s_mov_b32 s62, 0
	v_mov_b32_e32 v1, v0
                                        ; implicit-def: $vgpr2
	v_mov_b32_e32 v4, v8
.LBB7_258:
	s_and_b32 s6, s63, 3
	s_cmp_eq_u32 s6, 0
	s_cbranch_scc1 .LBB7_261
; %bb.259:
	s_lshl_b32 s2, s62, 3
	s_add_u32 s2, s34, s2
	s_addc_u32 s3, s35, 0
	s_add_u32 s2, s2, 0xc4
	s_addc_u32 s3, s3, 0
	s_mul_i32 s4, s62, 12
	s_add_u32 s4, s34, s4
	s_addc_u32 s5, s35, 0
.LBB7_260:                              ; =>This Inner Loop Header: Depth=1
	s_load_dwordx2 s[8:9], s[4:5], 0x4
	s_load_dword s7, s[4:5], 0xc
	s_load_dwordx2 s[10:11], s[2:3], 0x0
	v_mov_b32_e32 v2, v1
	s_add_u32 s4, s4, 12
	s_waitcnt lgkmcnt(0)
	v_mul_hi_u32 v1, s9, v4
	v_add_u32_e32 v1, v4, v1
	v_lshrrev_b32_e32 v1, s7, v1
	s_addc_u32 s5, s5, 0
	v_mul_lo_u32 v3, v1, s8
	s_add_u32 s2, s2, 8
	v_sub_u32_e32 v5, v4, v3
	s_addc_u32 s3, s3, 0
	s_add_i32 s6, s6, -1
	v_mov_b32_e32 v4, v1
	v_mad_u64_u32 v[2:3], s[8:9], v5, s11, v[2:3]
	v_mad_u64_u32 v[0:1], s[8:9], v5, s10, v[0:1]
	s_cmp_lg_u32 s6, 0
	v_mov_b32_e32 v1, v2
	s_cbranch_scc1 .LBB7_260
.LBB7_261:
	s_cbranch_execnz .LBB7_264
.LBB7_262:
	s_waitcnt lgkmcnt(0)
	v_mul_hi_u32 v0, s29, v8
	v_add_u32_e32 v0, v8, v0
	v_lshrrev_b32_e32 v1, s30, v0
	v_mul_lo_u32 v0, v1, s28
	v_sub_u32_e32 v0, v8, v0
	v_mul_lo_u32 v2, v0, s25
	s_andn2_b64 vcc, exec, s[48:49]
	v_mul_lo_u32 v0, v0, s24
	s_cbranch_vccnz .LBB7_264
; %bb.263:
	v_mul_hi_u32 v3, s46, v1
	v_add_u32_e32 v3, v1, v3
	v_lshrrev_b32_e32 v3, s47, v3
	v_mul_lo_u32 v3, v3, s31
	v_sub_u32_e32 v3, v1, v3
	v_mad_u64_u32 v[0:1], s[2:3], v3, s26, v[0:1]
	v_mad_u64_u32 v[2:3], s[2:3], v3, s27, v[2:3]
.LBB7_264:
	v_mov_b32_e32 v3, 0
	s_and_b32 s10, 0xffff, s74
	s_cmp_lt_i32 s10, 11
	s_waitcnt lgkmcnt(0)
	v_lshl_add_u64 v[2:3], s[22:23], 0, v[2:3]
	s_cbranch_scc1 .LBB7_271
; %bb.265:
	s_cmp_gt_i32 s10, 25
	s_cbranch_scc0 .LBB7_319
; %bb.266:
	s_cmp_gt_i32 s10, 28
	s_cbranch_scc0 .LBB7_320
	;; [unrolled: 3-line block ×4, first 2 shown]
; %bb.269:
	s_cmp_eq_u32 s10, 46
	s_mov_b64 s[8:9], 0
	s_cbranch_scc0 .LBB7_330
; %bb.270:
	global_load_dword v1, v[2:3], off
	s_mov_b64 s[6:7], -1
	s_mov_b64 s[4:5], 0
	s_waitcnt vmcnt(0)
	v_and_b32_e32 v1, 0x7fff7fff, v1
	v_cmp_ne_u32_e64 s[2:3], 0, v1
	s_branch .LBB7_331
.LBB7_271:
	s_mov_b64 s[6:7], 0
                                        ; implicit-def: $sgpr2_sgpr3
	s_mov_b64 s[4:5], s[56:57]
	s_cbranch_execnz .LBB7_378
.LBB7_272:
	s_andn2_b64 vcc, exec, s[6:7]
	s_cbranch_vccnz .LBB7_426
.LBB7_273:
	s_xor_b64 s[4:5], s[2:3], -1
	v_mov_b32_e32 v1, 0
	s_and_b32 s12, s73, 0xff
	s_mov_b64 s[8:9], -1
	v_lshl_add_u64 v[0:1], s[20:21], 0, v[0:1]
	s_mov_b64 s[6:7], 0
	s_cmp_lt_i32 s12, 11
	s_mov_b64 s[2:3], s[54:55]
	s_cbranch_scc1 .LBB7_280
; %bb.274:
	s_and_b32 s13, 0xffff, s12
	s_cmp_gt_i32 s13, 25
	s_cbranch_scc0 .LBB7_321
; %bb.275:
	s_cmp_gt_i32 s13, 28
	s_cbranch_scc0 .LBB7_323
; %bb.276:
	;; [unrolled: 3-line block ×4, first 2 shown]
	s_mov_b64 s[8:9], 0
	s_mov_b64 s[2:3], -1
	s_cmp_eq_u32 s13, 46
	s_cbranch_scc0 .LBB7_428
; %bb.279:
	v_cndmask_b32_e64 v2, 0, 1.0, s[4:5]
	v_bfe_u32 v3, v2, 16, 1
	s_movk_i32 s2, 0x7fff
	v_add3_u32 v2, v2, v3, s2
	v_lshrrev_b32_e32 v2, 16, v2
	global_store_dword v[0:1], v2, off
	s_mov_b64 s[6:7], -1
	s_mov_b64 s[2:3], 0
	s_branch .LBB7_428
.LBB7_280:
	s_and_b64 vcc, exec, s[8:9]
	s_cbranch_vccz .LBB7_497
; %bb.281:
	s_and_b32 s8, 0xffff, s12
	s_cmp_lt_i32 s8, 5
	s_mov_b64 s[6:7], -1
	s_cbranch_scc1 .LBB7_302
; %bb.282:
	s_cmp_lt_i32 s8, 8
	s_cbranch_scc1 .LBB7_292
; %bb.283:
	s_cmp_lt_i32 s8, 9
	s_cbranch_scc1 .LBB7_289
; %bb.284:
	s_cmp_gt_i32 s8, 9
	s_cbranch_scc0 .LBB7_286
; %bb.285:
	v_cndmask_b32_e64 v2, 0, 1, s[4:5]
	v_mov_b32_e32 v4, 0
	v_cvt_f64_u32_e32 v[2:3], v2
	v_mov_b32_e32 v5, v4
	s_mov_b64 s[6:7], 0
	global_store_dwordx4 v[0:1], v[2:5], off
.LBB7_286:
	s_andn2_b64 vcc, exec, s[6:7]
	s_cbranch_vccnz .LBB7_288
; %bb.287:
	v_cndmask_b32_e64 v2, 0, 1.0, s[4:5]
	v_mov_b32_e32 v3, 0
	global_store_dwordx2 v[0:1], v[2:3], off
.LBB7_288:
	s_mov_b64 s[6:7], 0
.LBB7_289:
	s_andn2_b64 vcc, exec, s[6:7]
	s_cbranch_vccnz .LBB7_291
; %bb.290:
	v_cndmask_b32_e64 v2, 0, 1.0, s[4:5]
	v_cvt_f16_f32_e32 v2, v2
	global_store_dword v[0:1], v2, off
.LBB7_291:
	s_mov_b64 s[6:7], 0
.LBB7_292:
	s_andn2_b64 vcc, exec, s[6:7]
	s_cbranch_vccnz .LBB7_301
; %bb.293:
	s_cmp_lt_i32 s8, 6
	s_mov_b64 s[6:7], -1
	s_cbranch_scc1 .LBB7_299
; %bb.294:
	s_cmp_gt_i32 s8, 6
	s_cbranch_scc0 .LBB7_296
; %bb.295:
	v_cndmask_b32_e64 v2, 0, 1, s[4:5]
	v_cvt_f64_u32_e32 v[2:3], v2
	s_mov_b64 s[6:7], 0
	global_store_dwordx2 v[0:1], v[2:3], off
.LBB7_296:
	s_andn2_b64 vcc, exec, s[6:7]
	s_cbranch_vccnz .LBB7_298
; %bb.297:
	v_cndmask_b32_e64 v2, 0, 1.0, s[4:5]
	global_store_dword v[0:1], v2, off
.LBB7_298:
	s_mov_b64 s[6:7], 0
.LBB7_299:
	s_andn2_b64 vcc, exec, s[6:7]
	s_cbranch_vccnz .LBB7_301
; %bb.300:
	v_cndmask_b32_e64 v2, 0, 1.0, s[4:5]
	v_cvt_f16_f32_e32 v2, v2
	global_store_short v[0:1], v2, off
.LBB7_301:
	s_mov_b64 s[6:7], 0
.LBB7_302:
	s_andn2_b64 vcc, exec, s[6:7]
	s_cbranch_vccnz .LBB7_318
; %bb.303:
	s_cmp_lt_i32 s8, 2
	s_mov_b64 s[6:7], -1
	s_cbranch_scc1 .LBB7_313
; %bb.304:
	s_cmp_lt_i32 s8, 3
	s_cbranch_scc1 .LBB7_310
; %bb.305:
	s_cmp_gt_i32 s8, 3
	s_cbranch_scc0 .LBB7_307
; %bb.306:
	s_mov_b32 s6, 0
	v_cndmask_b32_e64 v2, 0, 1, s[4:5]
	v_mov_b32_e32 v3, s6
	s_mov_b64 s[6:7], 0
	global_store_dwordx2 v[0:1], v[2:3], off
.LBB7_307:
	s_andn2_b64 vcc, exec, s[6:7]
	s_cbranch_vccnz .LBB7_309
; %bb.308:
	v_cndmask_b32_e64 v2, 0, 1, s[4:5]
	global_store_dword v[0:1], v2, off
.LBB7_309:
	s_mov_b64 s[6:7], 0
.LBB7_310:
	s_andn2_b64 vcc, exec, s[6:7]
	s_cbranch_vccnz .LBB7_312
; %bb.311:
	v_cndmask_b32_e64 v2, 0, 1, s[4:5]
	global_store_short v[0:1], v2, off
.LBB7_312:
	s_mov_b64 s[6:7], 0
.LBB7_313:
	s_andn2_b64 vcc, exec, s[6:7]
	s_cbranch_vccnz .LBB7_318
; %bb.314:
	s_mov_b64 s[6:7], -1
	s_cmp_gt_i32 s8, 0
	v_cndmask_b32_e64 v2, 0, 1, s[4:5]
	s_cbranch_scc0 .LBB7_316
; %bb.315:
	s_mov_b64 s[6:7], 0
	global_store_byte v[0:1], v2, off
.LBB7_316:
	s_andn2_b64 vcc, exec, s[6:7]
	s_cbranch_vccnz .LBB7_318
; %bb.317:
	global_store_byte v[0:1], v2, off
.LBB7_318:
	s_mov_b64 s[4:5], 0
	s_mov_b64 s[6:7], 0
	s_branch .LBB7_498
.LBB7_319:
	s_mov_b64 s[8:9], -1
	s_mov_b64 s[6:7], 0
	s_mov_b64 s[4:5], s[56:57]
                                        ; implicit-def: $sgpr2_sgpr3
	s_branch .LBB7_352
.LBB7_320:
	s_mov_b64 s[8:9], -1
	s_mov_b64 s[6:7], 0
	s_mov_b64 s[4:5], s[56:57]
                                        ; implicit-def: $sgpr2_sgpr3
	s_branch .LBB7_339
.LBB7_321:
	s_mov_b64 s[2:3], s[54:55]
	s_branch .LBB7_455
.LBB7_322:
	s_mov_b64 s[8:9], -1
	s_mov_b64 s[6:7], 0
	s_mov_b64 s[4:5], s[56:57]
                                        ; implicit-def: $sgpr2_sgpr3
	s_branch .LBB7_334
.LBB7_323:
	s_mov_b64 s[2:3], s[54:55]
	s_branch .LBB7_438
.LBB7_324:
	s_andn2_saveexec_b64 s[10:11], s[10:11]
	s_cbranch_execz .LBB7_54
.LBB7_325:
	v_add_f32_e32 v2, 0x46000000, v3
	v_and_b32_e32 v2, 0xff, v2
	v_cmp_ne_u32_e32 vcc, 0, v2
	s_andn2_b64 s[8:9], s[8:9], exec
	s_and_b64 s[14:15], vcc, exec
	s_or_b64 s[8:9], s[8:9], s[14:15]
	s_or_b64 exec, exec, s[10:11]
	v_mov_b32_e32 v4, 0
	s_and_saveexec_b64 s[10:11], s[8:9]
	s_cbranch_execnz .LBB7_55
	s_branch .LBB7_56
.LBB7_326:
	s_mov_b64 s[8:9], -1
	s_mov_b64 s[6:7], 0
	s_mov_b64 s[4:5], s[56:57]
                                        ; implicit-def: $sgpr2_sgpr3
	s_branch .LBB7_331
.LBB7_327:
	s_mov_b64 s[2:3], s[54:55]
	s_branch .LBB7_434
.LBB7_328:
	s_andn2_saveexec_b64 s[10:11], s[10:11]
	s_cbranch_execz .LBB7_67
.LBB7_329:
	v_add_f32_e32 v2, 0x42800000, v3
	v_and_b32_e32 v2, 0xff, v2
	v_cmp_ne_u32_e32 vcc, 0, v2
	s_andn2_b64 s[8:9], s[8:9], exec
	s_and_b64 s[14:15], vcc, exec
	s_or_b64 s[8:9], s[8:9], s[14:15]
	s_or_b64 exec, exec, s[10:11]
	v_mov_b32_e32 v4, 0
	s_and_saveexec_b64 s[10:11], s[8:9]
	s_cbranch_execnz .LBB7_68
	s_branch .LBB7_69
.LBB7_330:
	s_mov_b64 s[4:5], -1
                                        ; implicit-def: $sgpr2_sgpr3
	s_mov_b64 s[6:7], 0
.LBB7_331:
	s_and_b64 vcc, exec, s[8:9]
	s_cbranch_vccz .LBB7_333
; %bb.332:
	s_cmp_eq_u32 s10, 44
	s_cselect_b64 s[6:7], -1, 0
	s_or_b64 s[2:3], s[2:3], exec
	s_or_b64 s[4:5], s[4:5], exec
.LBB7_333:
	s_mov_b64 s[8:9], 0
.LBB7_334:
	s_and_b64 vcc, exec, s[8:9]
	s_cbranch_vccz .LBB7_338
; %bb.335:
	s_cmp_eq_u32 s10, 29
	s_cbranch_scc0 .LBB7_337
; %bb.336:
	global_load_dwordx2 v[4:5], v[2:3], off
	s_mov_b64 s[4:5], 0
	s_mov_b64 s[6:7], -1
	s_mov_b64 s[8:9], 0
	s_waitcnt vmcnt(0)
	v_cmp_ne_u64_e64 s[2:3], 0, v[4:5]
	s_branch .LBB7_339
.LBB7_337:
	s_mov_b64 s[4:5], -1
                                        ; implicit-def: $sgpr2_sgpr3
.LBB7_338:
	s_mov_b64 s[8:9], 0
.LBB7_339:
	s_and_b64 vcc, exec, s[8:9]
	s_cbranch_vccz .LBB7_351
; %bb.340:
	s_cmp_lt_i32 s10, 27
	s_cbranch_scc1 .LBB7_343
; %bb.341:
	s_cmp_gt_i32 s10, 27
	s_cbranch_scc0 .LBB7_344
; %bb.342:
	global_load_dword v1, v[2:3], off
	s_mov_b64 s[6:7], 0
	s_waitcnt vmcnt(0)
	v_cmp_ne_u32_e64 s[2:3], 0, v1
	s_branch .LBB7_345
.LBB7_343:
	s_mov_b64 s[6:7], -1
                                        ; implicit-def: $sgpr2_sgpr3
	s_branch .LBB7_348
.LBB7_344:
	s_mov_b64 s[6:7], -1
                                        ; implicit-def: $sgpr2_sgpr3
.LBB7_345:
	s_andn2_b64 vcc, exec, s[6:7]
	s_cbranch_vccnz .LBB7_347
; %bb.346:
	global_load_ushort v1, v[2:3], off
	s_andn2_b64 s[2:3], s[2:3], exec
	s_waitcnt vmcnt(0)
	v_cmp_ne_u16_e32 vcc, 0, v1
	s_and_b64 s[6:7], vcc, exec
	s_or_b64 s[2:3], s[2:3], s[6:7]
.LBB7_347:
	s_mov_b64 s[6:7], 0
.LBB7_348:
	s_andn2_b64 vcc, exec, s[6:7]
	s_cbranch_vccnz .LBB7_350
; %bb.349:
	global_load_ubyte v1, v[2:3], off
	s_andn2_b64 s[2:3], s[2:3], exec
	s_waitcnt vmcnt(0)
	v_cmp_ne_u16_e32 vcc, 0, v1
	s_and_b64 s[6:7], vcc, exec
	s_or_b64 s[2:3], s[2:3], s[6:7]
.LBB7_350:
	s_mov_b64 s[6:7], -1
.LBB7_351:
	s_mov_b64 s[8:9], 0
.LBB7_352:
	s_and_b64 vcc, exec, s[8:9]
	s_cbranch_vccz .LBB7_377
; %bb.353:
	s_cmp_gt_i32 s10, 22
	s_cbranch_scc0 .LBB7_357
; %bb.354:
	s_cmp_lt_i32 s10, 24
	s_cbranch_scc1 .LBB7_358
; %bb.355:
	s_cmp_gt_i32 s10, 24
	s_cbranch_scc0 .LBB7_359
; %bb.356:
	global_load_ubyte v1, v[2:3], off
	s_mov_b64 s[6:7], 0
	s_waitcnt vmcnt(0)
	v_cmp_ne_u16_e64 s[2:3], 0, v1
	s_branch .LBB7_360
.LBB7_357:
	s_mov_b64 s[8:9], -1
                                        ; implicit-def: $sgpr2_sgpr3
	s_branch .LBB7_366
.LBB7_358:
	s_mov_b64 s[6:7], -1
                                        ; implicit-def: $sgpr2_sgpr3
	s_branch .LBB7_363
.LBB7_359:
	s_mov_b64 s[6:7], -1
                                        ; implicit-def: $sgpr2_sgpr3
.LBB7_360:
	s_andn2_b64 vcc, exec, s[6:7]
	s_cbranch_vccnz .LBB7_362
; %bb.361:
	global_load_ubyte v1, v[2:3], off
	s_andn2_b64 s[2:3], s[2:3], exec
	s_waitcnt vmcnt(0)
	v_and_b32_e32 v1, 0x7f, v1
	v_cmp_ne_u16_e32 vcc, 0, v1
	s_and_b64 s[6:7], vcc, exec
	s_or_b64 s[2:3], s[2:3], s[6:7]
.LBB7_362:
	s_mov_b64 s[6:7], 0
.LBB7_363:
	s_andn2_b64 vcc, exec, s[6:7]
	s_cbranch_vccnz .LBB7_365
; %bb.364:
	global_load_ubyte v1, v[2:3], off
	s_movk_i32 s6, 0x7f00
	s_brev_b32 s7, 16
	s_andn2_b64 s[2:3], s[2:3], exec
	s_waitcnt vmcnt(0)
	v_lshlrev_b32_e32 v4, 8, v1
	v_lshlrev_b32_e32 v1, 25, v1
	v_lshrrev_b32_e32 v5, 4, v1
	v_and_or_b32 v4, v4, s6, 0.5
	v_or_b32_e32 v5, 0x70000000, v5
	v_add_f32_e32 v4, -0.5, v4
	v_mul_f32_e32 v5, 0x7800000, v5
	v_cmp_gt_u32_e32 vcc, s7, v1
	s_nop 1
	v_cndmask_b32_e32 v1, v5, v4, vcc
	v_cmp_neq_f32_e32 vcc, 0, v1
	s_and_b64 s[6:7], vcc, exec
	s_or_b64 s[2:3], s[2:3], s[6:7]
.LBB7_365:
	s_mov_b64 s[8:9], 0
	s_mov_b64 s[6:7], -1
.LBB7_366:
	s_andn2_b64 vcc, exec, s[8:9]
	s_cbranch_vccnz .LBB7_377
; %bb.367:
	s_cmp_gt_i32 s10, 14
	s_cbranch_scc0 .LBB7_370
; %bb.368:
	s_cmp_eq_u32 s10, 15
	s_cbranch_scc0 .LBB7_371
; %bb.369:
	global_load_ushort v1, v[2:3], off
	s_mov_b64 s[6:7], -1
	s_mov_b64 s[4:5], 0
	s_waitcnt vmcnt(0)
	v_and_b32_e32 v1, 0x7fff, v1
	v_cmp_ne_u16_e64 s[2:3], 0, v1
	s_branch .LBB7_372
.LBB7_370:
	s_mov_b64 s[8:9], -1
                                        ; implicit-def: $sgpr2_sgpr3
	s_branch .LBB7_373
.LBB7_371:
	s_mov_b64 s[4:5], -1
                                        ; implicit-def: $sgpr2_sgpr3
.LBB7_372:
	s_mov_b64 s[8:9], 0
.LBB7_373:
	s_and_b64 vcc, exec, s[8:9]
	s_cbranch_vccz .LBB7_377
; %bb.374:
	s_cmp_eq_u32 s10, 11
	s_cbranch_scc0 .LBB7_376
; %bb.375:
	global_load_ubyte v1, v[2:3], off
	s_mov_b64 s[6:7], -1
	s_mov_b64 s[4:5], 0
	s_waitcnt vmcnt(0)
	v_cmp_ne_u16_e64 s[2:3], 0, v1
	s_branch .LBB7_377
.LBB7_376:
	s_mov_b64 s[4:5], -1
                                        ; implicit-def: $sgpr2_sgpr3
.LBB7_377:
	s_branch .LBB7_272
.LBB7_378:
	s_cmp_lt_i32 s10, 5
	s_cbranch_scc1 .LBB7_383
; %bb.379:
	s_cmp_lt_i32 s10, 8
	s_cbranch_scc1 .LBB7_384
; %bb.380:
	s_cmp_lt_i32 s10, 9
	s_cbranch_scc1 .LBB7_385
; %bb.381:
	s_cmp_gt_i32 s10, 9
	s_cbranch_scc0 .LBB7_386
; %bb.382:
	global_load_dwordx4 v[4:7], v[2:3], off
	s_mov_b64 s[6:7], 0
	s_waitcnt vmcnt(0)
	v_cmp_neq_f64_e32 vcc, 0, v[4:5]
	v_cmp_neq_f64_e64 s[2:3], 0, v[6:7]
	s_or_b64 s[2:3], vcc, s[2:3]
	s_branch .LBB7_387
.LBB7_383:
	s_mov_b64 s[6:7], -1
                                        ; implicit-def: $sgpr2_sgpr3
	s_branch .LBB7_405
.LBB7_384:
	s_mov_b64 s[6:7], -1
                                        ; implicit-def: $sgpr2_sgpr3
	s_branch .LBB7_393
.LBB7_385:
	s_mov_b64 s[6:7], -1
                                        ; implicit-def: $sgpr2_sgpr3
	s_branch .LBB7_390
.LBB7_386:
	s_mov_b64 s[6:7], -1
                                        ; implicit-def: $sgpr2_sgpr3
.LBB7_387:
	s_andn2_b64 vcc, exec, s[6:7]
	s_cbranch_vccnz .LBB7_389
; %bb.388:
	global_load_dwordx2 v[4:5], v[2:3], off
	s_brev_b32 s6, -2
	s_andn2_b64 s[2:3], s[2:3], exec
	s_waitcnt vmcnt(0)
	v_bitop3_b32 v1, v4, s6, v5 bitop3:0xc8
	v_cmp_ne_u32_e32 vcc, 0, v1
	s_and_b64 s[6:7], vcc, exec
	s_or_b64 s[2:3], s[2:3], s[6:7]
.LBB7_389:
	s_mov_b64 s[6:7], 0
.LBB7_390:
	s_andn2_b64 vcc, exec, s[6:7]
	s_cbranch_vccnz .LBB7_392
; %bb.391:
	global_load_dword v1, v[2:3], off
	s_andn2_b64 s[2:3], s[2:3], exec
	s_waitcnt vmcnt(0)
	v_and_b32_e32 v1, 0x7fff7fff, v1
	v_cmp_ne_u32_e32 vcc, 0, v1
	s_and_b64 s[6:7], vcc, exec
	s_or_b64 s[2:3], s[2:3], s[6:7]
.LBB7_392:
	s_mov_b64 s[6:7], 0
.LBB7_393:
	s_andn2_b64 vcc, exec, s[6:7]
	s_cbranch_vccnz .LBB7_404
; %bb.394:
	s_cmp_lt_i32 s10, 6
	s_cbranch_scc1 .LBB7_397
; %bb.395:
	s_cmp_gt_i32 s10, 6
	s_cbranch_scc0 .LBB7_398
; %bb.396:
	global_load_dwordx2 v[4:5], v[2:3], off
	s_mov_b64 s[6:7], 0
	s_waitcnt vmcnt(0)
	v_cmp_neq_f64_e64 s[2:3], 0, v[4:5]
	s_branch .LBB7_399
.LBB7_397:
	s_mov_b64 s[6:7], -1
                                        ; implicit-def: $sgpr2_sgpr3
	s_branch .LBB7_402
.LBB7_398:
	s_mov_b64 s[6:7], -1
                                        ; implicit-def: $sgpr2_sgpr3
.LBB7_399:
	s_andn2_b64 vcc, exec, s[6:7]
	s_cbranch_vccnz .LBB7_401
; %bb.400:
	global_load_dword v1, v[2:3], off
	s_andn2_b64 s[2:3], s[2:3], exec
	s_waitcnt vmcnt(0)
	v_cmp_neq_f32_e32 vcc, 0, v1
	s_and_b64 s[6:7], vcc, exec
	s_or_b64 s[2:3], s[2:3], s[6:7]
.LBB7_401:
	s_mov_b64 s[6:7], 0
.LBB7_402:
	s_andn2_b64 vcc, exec, s[6:7]
	s_cbranch_vccnz .LBB7_404
; %bb.403:
	global_load_ushort v1, v[2:3], off
	s_andn2_b64 s[2:3], s[2:3], exec
	s_waitcnt vmcnt(0)
	v_and_b32_e32 v1, 0x7fff, v1
	v_cmp_ne_u16_e32 vcc, 0, v1
	s_and_b64 s[6:7], vcc, exec
	s_or_b64 s[2:3], s[2:3], s[6:7]
.LBB7_404:
	s_mov_b64 s[6:7], 0
.LBB7_405:
	s_andn2_b64 vcc, exec, s[6:7]
	s_cbranch_vccnz .LBB7_425
; %bb.406:
	s_cmp_lt_i32 s10, 2
	s_cbranch_scc1 .LBB7_410
; %bb.407:
	s_cmp_lt_i32 s10, 3
	s_cbranch_scc1 .LBB7_411
; %bb.408:
	s_cmp_gt_i32 s10, 3
	s_cbranch_scc0 .LBB7_412
; %bb.409:
	global_load_dwordx2 v[4:5], v[2:3], off
	s_mov_b64 s[6:7], 0
	s_waitcnt vmcnt(0)
	v_cmp_ne_u64_e64 s[2:3], 0, v[4:5]
	s_branch .LBB7_413
.LBB7_410:
	s_mov_b64 s[6:7], -1
                                        ; implicit-def: $sgpr2_sgpr3
	s_branch .LBB7_419
.LBB7_411:
	s_mov_b64 s[6:7], -1
                                        ; implicit-def: $sgpr2_sgpr3
	s_branch .LBB7_416
.LBB7_412:
	s_mov_b64 s[6:7], -1
                                        ; implicit-def: $sgpr2_sgpr3
.LBB7_413:
	s_andn2_b64 vcc, exec, s[6:7]
	s_cbranch_vccnz .LBB7_415
; %bb.414:
	global_load_dword v1, v[2:3], off
	s_andn2_b64 s[2:3], s[2:3], exec
	s_waitcnt vmcnt(0)
	v_cmp_ne_u32_e32 vcc, 0, v1
	s_and_b64 s[6:7], vcc, exec
	s_or_b64 s[2:3], s[2:3], s[6:7]
.LBB7_415:
	s_mov_b64 s[6:7], 0
.LBB7_416:
	s_andn2_b64 vcc, exec, s[6:7]
	s_cbranch_vccnz .LBB7_418
; %bb.417:
	global_load_ushort v1, v[2:3], off
	s_andn2_b64 s[2:3], s[2:3], exec
	s_waitcnt vmcnt(0)
	v_cmp_ne_u16_e32 vcc, 0, v1
	s_and_b64 s[6:7], vcc, exec
	s_or_b64 s[2:3], s[2:3], s[6:7]
.LBB7_418:
	s_mov_b64 s[6:7], 0
.LBB7_419:
	s_andn2_b64 vcc, exec, s[6:7]
	s_cbranch_vccnz .LBB7_425
; %bb.420:
	s_cmp_gt_i32 s10, 0
	s_cbranch_scc0 .LBB7_422
; %bb.421:
	global_load_ubyte v1, v[2:3], off
	s_mov_b64 s[6:7], 0
	s_waitcnt vmcnt(0)
	v_cmp_ne_u16_e64 s[2:3], 0, v1
	s_branch .LBB7_423
.LBB7_422:
	s_mov_b64 s[6:7], -1
                                        ; implicit-def: $sgpr2_sgpr3
.LBB7_423:
	s_andn2_b64 vcc, exec, s[6:7]
	s_cbranch_vccnz .LBB7_425
; %bb.424:
	global_load_ubyte v1, v[2:3], off
	s_andn2_b64 s[2:3], s[2:3], exec
	s_waitcnt vmcnt(0)
	v_cmp_ne_u16_e32 vcc, 0, v1
	s_and_b64 s[6:7], vcc, exec
	s_or_b64 s[2:3], s[2:3], s[6:7]
.LBB7_425:
	s_branch .LBB7_273
.LBB7_426:
	s_mov_b64 s[6:7], 0
	s_mov_b64 s[2:3], s[54:55]
                                        ; implicit-def: $vgpr8
	s_branch .LBB7_499
.LBB7_427:
	s_mov_b64 s[2:3], s[54:55]
.LBB7_428:
	s_and_b64 vcc, exec, s[8:9]
	s_cbranch_vccz .LBB7_433
; %bb.429:
	s_cmp_eq_u32 s13, 44
	s_mov_b64 s[2:3], -1
	s_cbranch_scc0 .LBB7_433
; %bb.430:
	v_cndmask_b32_e64 v3, 0, 1.0, s[4:5]
	v_lshrrev_b32_e32 v2, 23, v3
	s_movk_i32 s2, 0xff
	v_cmp_ne_u32_e32 vcc, s2, v2
	v_mov_b32_e32 v4, 0xff
	s_and_saveexec_b64 s[6:7], vcc
; %bb.431:
	s_mov_b32 s2, 0x3fffff
	v_and_b32_e32 v4, 0x400000, v3
	v_and_or_b32 v3, v3, s2, v2
	v_cmp_ne_u32_e32 vcc, 0, v4
	v_cmp_ne_u32_e64 s[2:3], 0, v3
	s_and_b64 s[2:3], vcc, s[2:3]
	s_nop 0
	v_cndmask_b32_e64 v3, 0, 1, s[2:3]
	v_add_u32_e32 v4, v2, v3
; %bb.432:
	s_or_b64 exec, exec, s[6:7]
	s_mov_b64 s[6:7], -1
	s_mov_b64 s[2:3], 0
	global_store_byte v[0:1], v4, off
.LBB7_433:
	s_mov_b64 s[8:9], 0
.LBB7_434:
	s_and_b64 vcc, exec, s[8:9]
	s_cbranch_vccz .LBB7_437
; %bb.435:
	s_cmp_eq_u32 s13, 29
	s_mov_b64 s[2:3], -1
	s_cbranch_scc0 .LBB7_437
; %bb.436:
	s_mov_b32 s2, 0
	v_cndmask_b32_e64 v2, 0, 1, s[4:5]
	v_mov_b32_e32 v3, s2
	global_store_dwordx2 v[0:1], v[2:3], off
	s_mov_b64 s[6:7], -1
	s_mov_b64 s[2:3], 0
.LBB7_437:
	s_mov_b64 s[8:9], 0
.LBB7_438:
	s_and_b64 vcc, exec, s[8:9]
	s_cbranch_vccz .LBB7_454
; %bb.439:
	s_cmp_lt_i32 s13, 27
	s_mov_b64 s[6:7], -1
	s_cbranch_scc1 .LBB7_445
; %bb.440:
	s_cmp_gt_i32 s13, 27
	s_cbranch_scc0 .LBB7_442
; %bb.441:
	v_cndmask_b32_e64 v2, 0, 1, s[4:5]
	s_mov_b64 s[6:7], 0
	global_store_dword v[0:1], v2, off
.LBB7_442:
	s_andn2_b64 vcc, exec, s[6:7]
	s_cbranch_vccnz .LBB7_444
; %bb.443:
	v_cndmask_b32_e64 v2, 0, 1, s[4:5]
	global_store_short v[0:1], v2, off
.LBB7_444:
	s_mov_b64 s[6:7], 0
.LBB7_445:
	s_andn2_b64 vcc, exec, s[6:7]
	s_cbranch_vccnz .LBB7_453
; %bb.446:
	v_cndmask_b32_e64 v3, 0, 1.0, s[4:5]
	s_mov_b32 s6, 0x43800000
	v_cmp_gt_u32_e32 vcc, s6, v3
	v_mov_b32_e32 v4, 0x80
	s_and_saveexec_b64 s[6:7], vcc
	s_cbranch_execz .LBB7_452
; %bb.447:
	s_mov_b32 s8, 0x3bffffff
	v_cmp_lt_u32_e32 vcc, s8, v3
	s_mov_b64 s[8:9], 0
                                        ; implicit-def: $vgpr2
	s_and_saveexec_b64 s[10:11], vcc
	s_xor_b64 s[10:11], exec, s[10:11]
	s_cbranch_execz .LBB7_529
; %bb.448:
	v_bfe_u32 v2, v3, 20, 1
	s_mov_b32 s14, 0x487ffff
	v_add3_u32 v2, v3, v2, s14
	s_mov_b64 s[8:9], exec
	v_lshrrev_b32_e32 v2, 20, v2
                                        ; implicit-def: $vgpr3
	s_andn2_saveexec_b64 s[10:11], s[10:11]
	s_cbranch_execnz .LBB7_530
.LBB7_449:
	s_or_b64 exec, exec, s[10:11]
	v_mov_b32_e32 v4, 0
	s_and_saveexec_b64 s[10:11], s[8:9]
.LBB7_450:
	v_mov_b32_e32 v4, v2
.LBB7_451:
	s_or_b64 exec, exec, s[10:11]
.LBB7_452:
	s_or_b64 exec, exec, s[6:7]
	global_store_byte v[0:1], v4, off
.LBB7_453:
	s_mov_b64 s[6:7], -1
.LBB7_454:
	s_mov_b64 s[8:9], 0
.LBB7_455:
	s_and_b64 vcc, exec, s[8:9]
	s_cbranch_vccz .LBB7_496
; %bb.456:
	s_cmp_gt_i32 s13, 22
	s_mov_b64 s[8:9], -1
	s_cbranch_scc0 .LBB7_488
; %bb.457:
	s_cmp_lt_i32 s13, 24
	s_mov_b64 s[6:7], -1
	s_cbranch_scc1 .LBB7_477
; %bb.458:
	s_cmp_gt_i32 s13, 24
	s_cbranch_scc0 .LBB7_466
; %bb.459:
	v_cndmask_b32_e64 v3, 0, 1.0, s[4:5]
	s_mov_b32 s6, 0x47800000
	v_cmp_gt_u32_e32 vcc, s6, v3
	v_mov_b32_e32 v4, 0x80
	s_and_saveexec_b64 s[6:7], vcc
	s_cbranch_execz .LBB7_465
; %bb.460:
	s_mov_b32 s8, 0x37ffffff
	v_cmp_lt_u32_e32 vcc, s8, v3
	s_mov_b64 s[8:9], 0
                                        ; implicit-def: $vgpr2
	s_and_saveexec_b64 s[10:11], vcc
	s_xor_b64 s[10:11], exec, s[10:11]
	s_cbranch_execz .LBB7_532
; %bb.461:
	v_bfe_u32 v2, v3, 21, 1
	s_mov_b32 s14, 0x88fffff
	v_add3_u32 v2, v3, v2, s14
	s_mov_b64 s[8:9], exec
	v_lshrrev_b32_e32 v2, 21, v2
                                        ; implicit-def: $vgpr3
	s_andn2_saveexec_b64 s[10:11], s[10:11]
	s_cbranch_execnz .LBB7_533
.LBB7_462:
	s_or_b64 exec, exec, s[10:11]
	v_mov_b32_e32 v4, 0
	s_and_saveexec_b64 s[10:11], s[8:9]
.LBB7_463:
	v_mov_b32_e32 v4, v2
.LBB7_464:
	s_or_b64 exec, exec, s[10:11]
.LBB7_465:
	s_or_b64 exec, exec, s[6:7]
	s_mov_b64 s[6:7], 0
	global_store_byte v[0:1], v4, off
.LBB7_466:
	s_and_b64 vcc, exec, s[6:7]
	s_cbranch_vccz .LBB7_476
; %bb.467:
	v_cndmask_b32_e64 v2, 0, 1.0, s[4:5]
	s_mov_b32 s6, 0x43f00000
	v_cmp_gt_u32_e32 vcc, s6, v2
                                        ; implicit-def: $vgpr3
	s_and_saveexec_b64 s[6:7], vcc
	s_xor_b64 s[6:7], exec, s[6:7]
	s_cbranch_execz .LBB7_473
; %bb.468:
	s_mov_b32 s8, 0x3c7fffff
	v_cmp_lt_u32_e32 vcc, s8, v2
                                        ; implicit-def: $vgpr3
	s_and_saveexec_b64 s[8:9], vcc
	s_xor_b64 s[8:9], exec, s[8:9]
; %bb.469:
	v_bfe_u32 v3, v2, 20, 1
	s_mov_b32 s10, 0x407ffff
	v_add3_u32 v2, v2, v3, s10
	v_lshrrev_b32_e32 v3, 20, v2
	v_and_b32_e32 v2, 0xff00000, v2
	s_mov_b32 s10, 0x7f00000
	v_mov_b32_e32 v4, 0x7e
	v_cmp_ne_u32_e32 vcc, s10, v2
                                        ; implicit-def: $vgpr2
	s_nop 1
	v_cndmask_b32_e32 v3, v4, v3, vcc
; %bb.470:
	s_andn2_saveexec_b64 s[8:9], s[8:9]
; %bb.471:
	v_add_f32_e32 v3, 0x46800000, v2
; %bb.472:
	s_or_b64 exec, exec, s[8:9]
                                        ; implicit-def: $vgpr2
.LBB7_473:
	s_andn2_saveexec_b64 s[6:7], s[6:7]
; %bb.474:
	s_mov_b32 s8, 0x7f800000
	v_mov_b32_e32 v3, 0x7e
	v_mov_b32_e32 v4, 0x7f
	v_cmp_lt_u32_e32 vcc, s8, v2
	s_nop 1
	v_cndmask_b32_e32 v3, v3, v4, vcc
; %bb.475:
	s_or_b64 exec, exec, s[6:7]
	global_store_byte v[0:1], v3, off
.LBB7_476:
	s_mov_b64 s[6:7], 0
.LBB7_477:
	s_andn2_b64 vcc, exec, s[6:7]
	s_cbranch_vccnz .LBB7_487
; %bb.478:
	v_cndmask_b32_e64 v2, 0, 1.0, s[4:5]
	s_mov_b32 s6, 0x47800000
	v_cmp_gt_u32_e32 vcc, s6, v2
                                        ; implicit-def: $vgpr3
	s_and_saveexec_b64 s[6:7], vcc
	s_xor_b64 s[6:7], exec, s[6:7]
	s_cbranch_execz .LBB7_484
; %bb.479:
	s_mov_b32 s8, 0x387fffff
	v_cmp_lt_u32_e32 vcc, s8, v2
                                        ; implicit-def: $vgpr3
	s_and_saveexec_b64 s[8:9], vcc
	s_xor_b64 s[8:9], exec, s[8:9]
; %bb.480:
	v_bfe_u32 v3, v2, 21, 1
	s_mov_b32 s10, 0x80fffff
	v_add3_u32 v2, v2, v3, s10
	v_lshrrev_b32_e32 v3, 21, v2
                                        ; implicit-def: $vgpr2
; %bb.481:
	s_andn2_saveexec_b64 s[8:9], s[8:9]
; %bb.482:
	v_add_f32_e32 v3, 0x43000000, v2
; %bb.483:
	s_or_b64 exec, exec, s[8:9]
                                        ; implicit-def: $vgpr2
.LBB7_484:
	s_andn2_saveexec_b64 s[6:7], s[6:7]
; %bb.485:
	s_mov_b32 s8, 0x7f800000
	v_mov_b32_e32 v3, 0x7c
	v_mov_b32_e32 v4, 0x7f
	v_cmp_lt_u32_e32 vcc, s8, v2
	s_nop 1
	v_cndmask_b32_e32 v3, v3, v4, vcc
; %bb.486:
	s_or_b64 exec, exec, s[6:7]
	global_store_byte v[0:1], v3, off
.LBB7_487:
	s_mov_b64 s[8:9], 0
	s_mov_b64 s[6:7], -1
.LBB7_488:
	s_andn2_b64 vcc, exec, s[8:9]
	s_cbranch_vccnz .LBB7_496
; %bb.489:
	s_cmp_gt_i32 s13, 14
	s_mov_b64 s[8:9], -1
	s_cbranch_scc0 .LBB7_493
; %bb.490:
	s_cmp_eq_u32 s13, 15
	s_mov_b64 s[2:3], -1
	s_cbranch_scc0 .LBB7_492
; %bb.491:
	v_cndmask_b32_e64 v2, 0, 1.0, s[4:5]
	v_bfe_u32 v3, v2, 16, 1
	s_movk_i32 s2, 0x7fff
	v_add3_u32 v2, v2, v3, s2
	global_store_short_d16_hi v[0:1], v2, off
	s_mov_b64 s[6:7], -1
	s_mov_b64 s[2:3], 0
.LBB7_492:
	s_mov_b64 s[8:9], 0
.LBB7_493:
	s_and_b64 vcc, exec, s[8:9]
	s_cbranch_vccz .LBB7_496
; %bb.494:
	s_cmp_eq_u32 s13, 11
	s_mov_b64 s[2:3], -1
	s_cbranch_scc0 .LBB7_496
; %bb.495:
	v_cndmask_b32_e64 v2, 0, 1, s[4:5]
	s_mov_b64 s[6:7], -1
	s_mov_b64 s[2:3], 0
	global_store_byte v[0:1], v2, off
.LBB7_496:
.LBB7_497:
	s_mov_b64 s[4:5], 0
	s_andn2_b64 vcc, exec, s[6:7]
	s_mov_b64 s[6:7], 0
	s_cbranch_vccnz .LBB7_499
.LBB7_498:
	v_add_u32_e32 v8, 0x80, v8
	s_mov_b64 s[6:7], -1
.LBB7_499:
	s_andn2_b64 s[8:9], s[54:55], exec
	s_and_b64 s[2:3], s[2:3], exec
	s_or_b64 s[62:63], s[8:9], s[2:3]
	s_andn2_b64 s[2:3], s[56:57], exec
	s_and_b64 s[4:5], s[4:5], exec
	s_or_b64 s[60:61], s[2:3], s[4:5]
	s_orn2_b64 s[2:3], s[6:7], exec
.LBB7_500:
	s_or_b64 exec, exec, s[64:65]
	s_mov_b64 s[4:5], 0
	s_mov_b64 s[6:7], 0
	;; [unrolled: 1-line block ×3, first 2 shown]
                                        ; implicit-def: $sgpr8_sgpr9
                                        ; implicit-def: $vgpr2_vgpr3
                                        ; implicit-def: $vgpr0
	s_and_saveexec_b64 s[64:65], s[2:3]
	s_cbranch_execz .LBB7_838
; %bb.501:
	v_cmp_gt_i32_e32 vcc, s70, v8
	s_mov_b64 s[6:7], -1
	s_mov_b64 s[2:3], s[60:61]
	s_mov_b64 s[68:69], s[62:63]
	s_and_saveexec_b64 s[66:67], vcc
	s_cbranch_execz .LBB7_755
; %bb.502:
	s_andn2_b64 vcc, exec, s[42:43]
	s_cbranch_vccnz .LBB7_508
; %bb.503:
	s_andn2_b64 vcc, exec, s[52:53]
	s_cbranch_vccnz .LBB7_509
; %bb.504:
	s_add_i32 s76, s75, 1
	s_cmp_eq_u32 s72, 2
	s_cbranch_scc1 .LBB7_510
; %bb.505:
	s_and_b32 s71, s76, 28
	s_mov_b32 s77, 0
	v_mov_b32_e32 v0, 0
	v_mov_b32_e32 v2, 0
	s_mov_b64 s[2:3], s[34:35]
	s_mov_b64 s[68:69], s[50:51]
	v_mov_b32_e32 v4, v8
.LBB7_506:                              ; =>This Inner Loop Header: Depth=1
	s_load_dwordx8 s[12:19], s[2:3], 0x4
	s_load_dwordx4 s[36:39], s[2:3], 0x24
	s_load_dwordx8 s[4:11], s[68:69], 0x0
	s_add_u32 s2, s2, 48
	s_addc_u32 s3, s3, 0
	s_waitcnt lgkmcnt(0)
	v_mul_hi_u32 v1, s13, v4
	v_add_u32_e32 v1, v4, v1
	v_lshrrev_b32_e32 v1, s14, v1
	v_mul_lo_u32 v3, v1, s12
	v_mul_hi_u32 v5, s16, v1
	v_sub_u32_e32 v3, v4, v3
	v_add_u32_e32 v4, v1, v5
	v_lshrrev_b32_e32 v4, s17, v4
	v_mul_lo_u32 v6, v4, s15
	v_mul_hi_u32 v7, s19, v4
	v_sub_u32_e32 v1, v1, v6
	v_add_u32_e32 v6, v4, v7
	v_mul_lo_u32 v5, v3, s5
	v_mul_lo_u32 v3, v3, s4
	;; [unrolled: 1-line block ×4, first 2 shown]
	v_lshrrev_b32_e32 v6, s36, v6
	v_add3_u32 v0, v3, v0, v1
	v_mul_hi_u32 v3, s38, v6
	v_add3_u32 v1, v5, v2, v7
	v_mul_lo_u32 v2, v6, s18
	v_add_u32_e32 v3, v6, v3
	v_sub_u32_e32 v2, v4, v2
	v_lshrrev_b32_e32 v4, s39, v3
	s_add_i32 s77, s77, 4
	v_mul_lo_u32 v3, v4, s37
	s_add_u32 s68, s68, 32
	v_sub_u32_e32 v3, v6, v3
	s_addc_u32 s69, s69, 0
	v_mul_lo_u32 v5, v2, s8
	v_mul_lo_u32 v2, v2, s9
	;; [unrolled: 1-line block ×4, first 2 shown]
	s_cmp_eq_u32 s71, s77
	v_add3_u32 v2, v2, v1, v3
	v_add3_u32 v0, v5, v0, v6
	s_cbranch_scc0 .LBB7_506
; %bb.507:
	v_mov_b32_e32 v1, v2
	s_branch .LBB7_511
.LBB7_508:
	s_mov_b64 s[2:3], -1
                                        ; implicit-def: $vgpr2
                                        ; implicit-def: $vgpr0
	s_branch .LBB7_515
.LBB7_509:
	v_mov_b32_e32 v2, 0
	v_mov_b32_e32 v0, 0
	s_branch .LBB7_514
.LBB7_510:
	v_mov_b32_e32 v0, 0
	s_mov_b32 s71, 0
	v_mov_b32_e32 v1, v0
                                        ; implicit-def: $vgpr2
	v_mov_b32_e32 v4, v8
.LBB7_511:
	s_and_b32 s6, s76, 3
	s_cmp_eq_u32 s6, 0
	s_cbranch_scc1 .LBB7_514
; %bb.512:
	s_lshl_b32 s2, s71, 3
	s_add_u32 s2, s34, s2
	s_addc_u32 s3, s35, 0
	s_add_u32 s2, s2, 0xc4
	s_addc_u32 s3, s3, 0
	s_mul_i32 s4, s71, 12
	s_add_u32 s4, s34, s4
	s_addc_u32 s5, s35, 0
.LBB7_513:                              ; =>This Inner Loop Header: Depth=1
	s_load_dwordx2 s[8:9], s[4:5], 0x4
	s_load_dword s7, s[4:5], 0xc
	s_load_dwordx2 s[10:11], s[2:3], 0x0
	v_mov_b32_e32 v2, v1
	s_add_u32 s4, s4, 12
	s_waitcnt lgkmcnt(0)
	v_mul_hi_u32 v1, s9, v4
	v_add_u32_e32 v1, v4, v1
	v_lshrrev_b32_e32 v1, s7, v1
	s_addc_u32 s5, s5, 0
	v_mul_lo_u32 v3, v1, s8
	s_add_u32 s2, s2, 8
	v_sub_u32_e32 v5, v4, v3
	s_addc_u32 s3, s3, 0
	s_add_i32 s6, s6, -1
	v_mov_b32_e32 v4, v1
	v_mad_u64_u32 v[2:3], s[8:9], v5, s11, v[2:3]
	v_mad_u64_u32 v[0:1], s[8:9], v5, s10, v[0:1]
	s_cmp_lg_u32 s6, 0
	v_mov_b32_e32 v1, v2
	s_cbranch_scc1 .LBB7_513
.LBB7_514:
	s_mov_b64 s[2:3], 0
.LBB7_515:
	s_andn2_b64 vcc, exec, s[2:3]
	s_cbranch_vccnz .LBB7_518
; %bb.516:
	s_waitcnt lgkmcnt(0)
	v_mul_hi_u32 v0, s29, v8
	v_add_u32_e32 v0, v8, v0
	v_lshrrev_b32_e32 v1, s30, v0
	v_mul_lo_u32 v0, v1, s28
	v_sub_u32_e32 v0, v8, v0
	v_mul_lo_u32 v2, v0, s25
	s_andn2_b64 vcc, exec, s[48:49]
	v_mul_lo_u32 v0, v0, s24
	s_cbranch_vccnz .LBB7_518
; %bb.517:
	v_mul_hi_u32 v3, s46, v1
	v_add_u32_e32 v3, v1, v3
	v_lshrrev_b32_e32 v3, s47, v3
	v_mul_lo_u32 v3, v3, s31
	v_sub_u32_e32 v3, v1, v3
	v_mad_u64_u32 v[0:1], s[2:3], v3, s26, v[0:1]
	v_mad_u64_u32 v[2:3], s[2:3], v3, s27, v[2:3]
.LBB7_518:
	v_mov_b32_e32 v3, 0
	s_and_b32 s10, 0xffff, s74
	s_cmp_lt_i32 s10, 11
	s_waitcnt lgkmcnt(0)
	v_lshl_add_u64 v[2:3], s[22:23], 0, v[2:3]
	s_cbranch_scc1 .LBB7_525
; %bb.519:
	s_cmp_gt_i32 s10, 25
	s_cbranch_scc0 .LBB7_526
; %bb.520:
	s_cmp_gt_i32 s10, 28
	s_cbranch_scc0 .LBB7_527
	;; [unrolled: 3-line block ×4, first 2 shown]
; %bb.523:
	s_cmp_eq_u32 s10, 46
	s_mov_b64 s[8:9], 0
	s_cbranch_scc0 .LBB7_534
; %bb.524:
	global_load_dword v1, v[2:3], off
	s_mov_b64 s[6:7], -1
	s_mov_b64 s[4:5], 0
	s_waitcnt vmcnt(0)
	v_and_b32_e32 v1, 0x7fff7fff, v1
	v_cmp_ne_u32_e64 s[2:3], 0, v1
	s_branch .LBB7_535
.LBB7_525:
	s_mov_b64 s[8:9], -1
	s_mov_b64 s[6:7], 0
                                        ; implicit-def: $sgpr2_sgpr3
	s_mov_b64 s[4:5], s[60:61]
	s_branch .LBB7_582
.LBB7_526:
	s_mov_b64 s[8:9], -1
	s_mov_b64 s[6:7], 0
	s_mov_b64 s[4:5], s[60:61]
                                        ; implicit-def: $sgpr2_sgpr3
	s_branch .LBB7_556
.LBB7_527:
	s_mov_b64 s[8:9], -1
	s_mov_b64 s[6:7], 0
	s_mov_b64 s[4:5], s[60:61]
                                        ; implicit-def: $sgpr2_sgpr3
	s_branch .LBB7_543
.LBB7_528:
	s_mov_b64 s[8:9], -1
	s_mov_b64 s[6:7], 0
	s_mov_b64 s[4:5], s[60:61]
                                        ; implicit-def: $sgpr2_sgpr3
	s_branch .LBB7_538
.LBB7_529:
	s_andn2_saveexec_b64 s[10:11], s[10:11]
	s_cbranch_execz .LBB7_449
.LBB7_530:
	v_add_f32_e32 v2, 0x46000000, v3
	v_and_b32_e32 v2, 0xff, v2
	v_cmp_ne_u32_e32 vcc, 0, v2
	s_andn2_b64 s[8:9], s[8:9], exec
	s_and_b64 s[14:15], vcc, exec
	s_or_b64 s[8:9], s[8:9], s[14:15]
	s_or_b64 exec, exec, s[10:11]
	v_mov_b32_e32 v4, 0
	s_and_saveexec_b64 s[10:11], s[8:9]
	s_cbranch_execnz .LBB7_450
	s_branch .LBB7_451
.LBB7_531:
	s_mov_b64 s[8:9], -1
	s_mov_b64 s[6:7], 0
	s_mov_b64 s[4:5], s[60:61]
                                        ; implicit-def: $sgpr2_sgpr3
	s_branch .LBB7_535
.LBB7_532:
	s_andn2_saveexec_b64 s[10:11], s[10:11]
	s_cbranch_execz .LBB7_462
.LBB7_533:
	v_add_f32_e32 v2, 0x42800000, v3
	v_and_b32_e32 v2, 0xff, v2
	v_cmp_ne_u32_e32 vcc, 0, v2
	s_andn2_b64 s[8:9], s[8:9], exec
	s_and_b64 s[14:15], vcc, exec
	s_or_b64 s[8:9], s[8:9], s[14:15]
	s_or_b64 exec, exec, s[10:11]
	v_mov_b32_e32 v4, 0
	s_and_saveexec_b64 s[10:11], s[8:9]
	s_cbranch_execnz .LBB7_463
	s_branch .LBB7_464
.LBB7_534:
	s_mov_b64 s[4:5], -1
                                        ; implicit-def: $sgpr2_sgpr3
	s_mov_b64 s[6:7], 0
.LBB7_535:
	s_and_b64 vcc, exec, s[8:9]
	s_cbranch_vccz .LBB7_537
; %bb.536:
	s_cmp_eq_u32 s10, 44
	s_cselect_b64 s[6:7], -1, 0
	s_or_b64 s[2:3], s[2:3], exec
	s_or_b64 s[4:5], s[4:5], exec
.LBB7_537:
	s_mov_b64 s[8:9], 0
.LBB7_538:
	s_and_b64 vcc, exec, s[8:9]
	s_cbranch_vccz .LBB7_542
; %bb.539:
	s_cmp_eq_u32 s10, 29
	s_cbranch_scc0 .LBB7_541
; %bb.540:
	global_load_dwordx2 v[4:5], v[2:3], off
	s_mov_b64 s[4:5], 0
	s_mov_b64 s[6:7], -1
	s_mov_b64 s[8:9], 0
	s_waitcnt vmcnt(0)
	v_cmp_ne_u64_e64 s[2:3], 0, v[4:5]
	s_branch .LBB7_543
.LBB7_541:
	s_mov_b64 s[4:5], -1
                                        ; implicit-def: $sgpr2_sgpr3
.LBB7_542:
	s_mov_b64 s[8:9], 0
.LBB7_543:
	s_and_b64 vcc, exec, s[8:9]
	s_cbranch_vccz .LBB7_555
; %bb.544:
	s_cmp_lt_i32 s10, 27
	s_cbranch_scc1 .LBB7_547
; %bb.545:
	s_cmp_gt_i32 s10, 27
	s_cbranch_scc0 .LBB7_548
; %bb.546:
	global_load_dword v1, v[2:3], off
	s_mov_b64 s[6:7], 0
	s_waitcnt vmcnt(0)
	v_cmp_ne_u32_e64 s[2:3], 0, v1
	s_branch .LBB7_549
.LBB7_547:
	s_mov_b64 s[6:7], -1
                                        ; implicit-def: $sgpr2_sgpr3
	s_branch .LBB7_552
.LBB7_548:
	s_mov_b64 s[6:7], -1
                                        ; implicit-def: $sgpr2_sgpr3
.LBB7_549:
	s_andn2_b64 vcc, exec, s[6:7]
	s_cbranch_vccnz .LBB7_551
; %bb.550:
	global_load_ushort v1, v[2:3], off
	s_andn2_b64 s[2:3], s[2:3], exec
	s_waitcnt vmcnt(0)
	v_cmp_ne_u16_e32 vcc, 0, v1
	s_and_b64 s[6:7], vcc, exec
	s_or_b64 s[2:3], s[2:3], s[6:7]
.LBB7_551:
	s_mov_b64 s[6:7], 0
.LBB7_552:
	s_andn2_b64 vcc, exec, s[6:7]
	s_cbranch_vccnz .LBB7_554
; %bb.553:
	global_load_ubyte v1, v[2:3], off
	s_andn2_b64 s[2:3], s[2:3], exec
	s_waitcnt vmcnt(0)
	v_cmp_ne_u16_e32 vcc, 0, v1
	s_and_b64 s[6:7], vcc, exec
	s_or_b64 s[2:3], s[2:3], s[6:7]
.LBB7_554:
	s_mov_b64 s[6:7], -1
.LBB7_555:
	s_mov_b64 s[8:9], 0
.LBB7_556:
	s_and_b64 vcc, exec, s[8:9]
	s_cbranch_vccz .LBB7_581
; %bb.557:
	s_cmp_gt_i32 s10, 22
	s_cbranch_scc0 .LBB7_561
; %bb.558:
	s_cmp_lt_i32 s10, 24
	s_cbranch_scc1 .LBB7_562
; %bb.559:
	s_cmp_gt_i32 s10, 24
	s_cbranch_scc0 .LBB7_563
; %bb.560:
	global_load_ubyte v1, v[2:3], off
	s_mov_b64 s[6:7], 0
	s_waitcnt vmcnt(0)
	v_cmp_ne_u16_e64 s[2:3], 0, v1
	s_branch .LBB7_564
.LBB7_561:
	s_mov_b64 s[8:9], -1
                                        ; implicit-def: $sgpr2_sgpr3
	s_branch .LBB7_570
.LBB7_562:
	s_mov_b64 s[6:7], -1
                                        ; implicit-def: $sgpr2_sgpr3
	s_branch .LBB7_567
.LBB7_563:
	s_mov_b64 s[6:7], -1
                                        ; implicit-def: $sgpr2_sgpr3
.LBB7_564:
	s_andn2_b64 vcc, exec, s[6:7]
	s_cbranch_vccnz .LBB7_566
; %bb.565:
	global_load_ubyte v1, v[2:3], off
	s_andn2_b64 s[2:3], s[2:3], exec
	s_waitcnt vmcnt(0)
	v_and_b32_e32 v1, 0x7f, v1
	v_cmp_ne_u16_e32 vcc, 0, v1
	s_and_b64 s[6:7], vcc, exec
	s_or_b64 s[2:3], s[2:3], s[6:7]
.LBB7_566:
	s_mov_b64 s[6:7], 0
.LBB7_567:
	s_andn2_b64 vcc, exec, s[6:7]
	s_cbranch_vccnz .LBB7_569
; %bb.568:
	global_load_ubyte v1, v[2:3], off
	s_movk_i32 s6, 0x7f00
	s_brev_b32 s7, 16
	s_andn2_b64 s[2:3], s[2:3], exec
	s_waitcnt vmcnt(0)
	v_lshlrev_b32_e32 v4, 8, v1
	v_lshlrev_b32_e32 v1, 25, v1
	v_lshrrev_b32_e32 v5, 4, v1
	v_and_or_b32 v4, v4, s6, 0.5
	v_or_b32_e32 v5, 0x70000000, v5
	v_add_f32_e32 v4, -0.5, v4
	v_mul_f32_e32 v5, 0x7800000, v5
	v_cmp_gt_u32_e32 vcc, s7, v1
	s_nop 1
	v_cndmask_b32_e32 v1, v5, v4, vcc
	v_cmp_neq_f32_e32 vcc, 0, v1
	s_and_b64 s[6:7], vcc, exec
	s_or_b64 s[2:3], s[2:3], s[6:7]
.LBB7_569:
	s_mov_b64 s[8:9], 0
	s_mov_b64 s[6:7], -1
.LBB7_570:
	s_andn2_b64 vcc, exec, s[8:9]
	s_cbranch_vccnz .LBB7_581
; %bb.571:
	s_cmp_gt_i32 s10, 14
	s_cbranch_scc0 .LBB7_574
; %bb.572:
	s_cmp_eq_u32 s10, 15
	s_cbranch_scc0 .LBB7_575
; %bb.573:
	global_load_ushort v1, v[2:3], off
	s_mov_b64 s[6:7], -1
	s_mov_b64 s[4:5], 0
	s_waitcnt vmcnt(0)
	v_and_b32_e32 v1, 0x7fff, v1
	v_cmp_ne_u16_e64 s[2:3], 0, v1
	s_branch .LBB7_576
.LBB7_574:
	s_mov_b64 s[8:9], -1
                                        ; implicit-def: $sgpr2_sgpr3
	s_branch .LBB7_577
.LBB7_575:
	s_mov_b64 s[4:5], -1
                                        ; implicit-def: $sgpr2_sgpr3
.LBB7_576:
	s_mov_b64 s[8:9], 0
.LBB7_577:
	s_and_b64 vcc, exec, s[8:9]
	s_cbranch_vccz .LBB7_581
; %bb.578:
	s_cmp_eq_u32 s10, 11
	s_cbranch_scc0 .LBB7_580
; %bb.579:
	global_load_ubyte v1, v[2:3], off
	s_mov_b64 s[6:7], -1
	s_mov_b64 s[4:5], 0
	s_waitcnt vmcnt(0)
	v_cmp_ne_u16_e64 s[2:3], 0, v1
	s_branch .LBB7_581
.LBB7_580:
	s_mov_b64 s[4:5], -1
                                        ; implicit-def: $sgpr2_sgpr3
.LBB7_581:
	s_mov_b64 s[8:9], 0
.LBB7_582:
	s_and_b64 vcc, exec, s[8:9]
	s_cbranch_vccz .LBB7_631
; %bb.583:
	s_cmp_lt_i32 s10, 5
	s_cbranch_scc1 .LBB7_588
; %bb.584:
	s_cmp_lt_i32 s10, 8
	s_cbranch_scc1 .LBB7_589
	;; [unrolled: 3-line block ×3, first 2 shown]
; %bb.586:
	s_cmp_gt_i32 s10, 9
	s_cbranch_scc0 .LBB7_591
; %bb.587:
	global_load_dwordx4 v[4:7], v[2:3], off
	s_mov_b64 s[6:7], 0
	s_waitcnt vmcnt(0)
	v_cmp_neq_f64_e32 vcc, 0, v[4:5]
	v_cmp_neq_f64_e64 s[2:3], 0, v[6:7]
	s_or_b64 s[2:3], vcc, s[2:3]
	s_branch .LBB7_592
.LBB7_588:
	s_mov_b64 s[6:7], -1
                                        ; implicit-def: $sgpr2_sgpr3
	s_branch .LBB7_610
.LBB7_589:
	s_mov_b64 s[6:7], -1
                                        ; implicit-def: $sgpr2_sgpr3
	s_branch .LBB7_598
.LBB7_590:
	s_mov_b64 s[6:7], -1
                                        ; implicit-def: $sgpr2_sgpr3
	s_branch .LBB7_595
.LBB7_591:
	s_mov_b64 s[6:7], -1
                                        ; implicit-def: $sgpr2_sgpr3
.LBB7_592:
	s_andn2_b64 vcc, exec, s[6:7]
	s_cbranch_vccnz .LBB7_594
; %bb.593:
	global_load_dwordx2 v[4:5], v[2:3], off
	s_brev_b32 s6, -2
	s_andn2_b64 s[2:3], s[2:3], exec
	s_waitcnt vmcnt(0)
	v_bitop3_b32 v1, v4, s6, v5 bitop3:0xc8
	v_cmp_ne_u32_e32 vcc, 0, v1
	s_and_b64 s[6:7], vcc, exec
	s_or_b64 s[2:3], s[2:3], s[6:7]
.LBB7_594:
	s_mov_b64 s[6:7], 0
.LBB7_595:
	s_andn2_b64 vcc, exec, s[6:7]
	s_cbranch_vccnz .LBB7_597
; %bb.596:
	global_load_dword v1, v[2:3], off
	s_andn2_b64 s[2:3], s[2:3], exec
	s_waitcnt vmcnt(0)
	v_and_b32_e32 v1, 0x7fff7fff, v1
	v_cmp_ne_u32_e32 vcc, 0, v1
	s_and_b64 s[6:7], vcc, exec
	s_or_b64 s[2:3], s[2:3], s[6:7]
.LBB7_597:
	s_mov_b64 s[6:7], 0
.LBB7_598:
	s_andn2_b64 vcc, exec, s[6:7]
	s_cbranch_vccnz .LBB7_609
; %bb.599:
	s_cmp_lt_i32 s10, 6
	s_cbranch_scc1 .LBB7_602
; %bb.600:
	s_cmp_gt_i32 s10, 6
	s_cbranch_scc0 .LBB7_603
; %bb.601:
	global_load_dwordx2 v[4:5], v[2:3], off
	s_mov_b64 s[6:7], 0
	s_waitcnt vmcnt(0)
	v_cmp_neq_f64_e64 s[2:3], 0, v[4:5]
	s_branch .LBB7_604
.LBB7_602:
	s_mov_b64 s[6:7], -1
                                        ; implicit-def: $sgpr2_sgpr3
	s_branch .LBB7_607
.LBB7_603:
	s_mov_b64 s[6:7], -1
                                        ; implicit-def: $sgpr2_sgpr3
.LBB7_604:
	s_andn2_b64 vcc, exec, s[6:7]
	s_cbranch_vccnz .LBB7_606
; %bb.605:
	global_load_dword v1, v[2:3], off
	s_andn2_b64 s[2:3], s[2:3], exec
	s_waitcnt vmcnt(0)
	v_cmp_neq_f32_e32 vcc, 0, v1
	s_and_b64 s[6:7], vcc, exec
	s_or_b64 s[2:3], s[2:3], s[6:7]
.LBB7_606:
	s_mov_b64 s[6:7], 0
.LBB7_607:
	s_andn2_b64 vcc, exec, s[6:7]
	s_cbranch_vccnz .LBB7_609
; %bb.608:
	global_load_ushort v1, v[2:3], off
	s_andn2_b64 s[2:3], s[2:3], exec
	s_waitcnt vmcnt(0)
	v_and_b32_e32 v1, 0x7fff, v1
	v_cmp_ne_u16_e32 vcc, 0, v1
	s_and_b64 s[6:7], vcc, exec
	s_or_b64 s[2:3], s[2:3], s[6:7]
.LBB7_609:
	s_mov_b64 s[6:7], 0
.LBB7_610:
	s_andn2_b64 vcc, exec, s[6:7]
	s_cbranch_vccnz .LBB7_630
; %bb.611:
	s_cmp_lt_i32 s10, 2
	s_cbranch_scc1 .LBB7_615
; %bb.612:
	s_cmp_lt_i32 s10, 3
	s_cbranch_scc1 .LBB7_616
; %bb.613:
	s_cmp_gt_i32 s10, 3
	s_cbranch_scc0 .LBB7_617
; %bb.614:
	global_load_dwordx2 v[4:5], v[2:3], off
	s_mov_b64 s[6:7], 0
	s_waitcnt vmcnt(0)
	v_cmp_ne_u64_e64 s[2:3], 0, v[4:5]
	s_branch .LBB7_618
.LBB7_615:
	s_mov_b64 s[6:7], -1
                                        ; implicit-def: $sgpr2_sgpr3
	s_branch .LBB7_624
.LBB7_616:
	s_mov_b64 s[6:7], -1
                                        ; implicit-def: $sgpr2_sgpr3
	s_branch .LBB7_621
.LBB7_617:
	s_mov_b64 s[6:7], -1
                                        ; implicit-def: $sgpr2_sgpr3
.LBB7_618:
	s_andn2_b64 vcc, exec, s[6:7]
	s_cbranch_vccnz .LBB7_620
; %bb.619:
	global_load_dword v1, v[2:3], off
	s_andn2_b64 s[2:3], s[2:3], exec
	s_waitcnt vmcnt(0)
	v_cmp_ne_u32_e32 vcc, 0, v1
	s_and_b64 s[6:7], vcc, exec
	s_or_b64 s[2:3], s[2:3], s[6:7]
.LBB7_620:
	s_mov_b64 s[6:7], 0
.LBB7_621:
	s_andn2_b64 vcc, exec, s[6:7]
	s_cbranch_vccnz .LBB7_623
; %bb.622:
	global_load_ushort v1, v[2:3], off
	s_andn2_b64 s[2:3], s[2:3], exec
	s_waitcnt vmcnt(0)
	v_cmp_ne_u16_e32 vcc, 0, v1
	s_and_b64 s[6:7], vcc, exec
	s_or_b64 s[2:3], s[2:3], s[6:7]
.LBB7_623:
	s_mov_b64 s[6:7], 0
.LBB7_624:
	s_andn2_b64 vcc, exec, s[6:7]
	s_cbranch_vccnz .LBB7_630
; %bb.625:
	s_cmp_gt_i32 s10, 0
	s_cbranch_scc0 .LBB7_627
; %bb.626:
	global_load_ubyte v1, v[2:3], off
	s_mov_b64 s[6:7], 0
	s_waitcnt vmcnt(0)
	v_cmp_ne_u16_e64 s[2:3], 0, v1
	s_branch .LBB7_628
.LBB7_627:
	s_mov_b64 s[6:7], -1
                                        ; implicit-def: $sgpr2_sgpr3
.LBB7_628:
	s_andn2_b64 vcc, exec, s[6:7]
	s_cbranch_vccnz .LBB7_630
; %bb.629:
	global_load_ubyte v1, v[2:3], off
	s_andn2_b64 s[2:3], s[2:3], exec
	s_waitcnt vmcnt(0)
	v_cmp_ne_u16_e32 vcc, 0, v1
	s_and_b64 s[6:7], vcc, exec
	s_or_b64 s[2:3], s[2:3], s[6:7]
.LBB7_630:
	s_mov_b64 s[6:7], -1
.LBB7_631:
	s_andn2_b64 vcc, exec, s[6:7]
	s_cbranch_vccnz .LBB7_639
; %bb.632:
	s_xor_b64 s[4:5], s[2:3], -1
	v_mov_b32_e32 v1, 0
	s_and_b32 s12, s73, 0xff
	s_mov_b64 s[8:9], -1
	v_lshl_add_u64 v[0:1], s[20:21], 0, v[0:1]
	s_mov_b64 s[6:7], 0
	s_cmp_lt_i32 s12, 11
	s_mov_b64 s[2:3], s[62:63]
	s_cbranch_scc1 .LBB7_640
; %bb.633:
	s_and_b32 s13, 0xffff, s12
	s_cmp_gt_i32 s13, 25
	s_cbranch_scc0 .LBB7_679
; %bb.634:
	s_cmp_gt_i32 s13, 28
	s_cbranch_scc0 .LBB7_680
; %bb.635:
	;; [unrolled: 3-line block ×4, first 2 shown]
	s_mov_b64 s[8:9], 0
	s_mov_b64 s[2:3], -1
	s_cmp_eq_u32 s13, 46
	s_cbranch_scc0 .LBB7_683
; %bb.638:
	v_cndmask_b32_e64 v2, 0, 1.0, s[4:5]
	v_bfe_u32 v3, v2, 16, 1
	s_movk_i32 s2, 0x7fff
	v_add3_u32 v2, v2, v3, s2
	v_lshrrev_b32_e32 v2, 16, v2
	global_store_dword v[0:1], v2, off
	s_mov_b64 s[6:7], -1
	s_mov_b64 s[2:3], 0
	s_branch .LBB7_683
.LBB7_639:
	s_mov_b64 s[6:7], 0
	s_mov_b64 s[2:3], s[62:63]
                                        ; implicit-def: $vgpr8
	s_branch .LBB7_754
.LBB7_640:
	s_and_b64 vcc, exec, s[8:9]
	s_cbranch_vccz .LBB7_752
; %bb.641:
	s_and_b32 s8, 0xffff, s12
	s_cmp_lt_i32 s8, 5
	s_mov_b64 s[6:7], -1
	s_cbranch_scc1 .LBB7_662
; %bb.642:
	s_cmp_lt_i32 s8, 8
	s_cbranch_scc1 .LBB7_652
; %bb.643:
	s_cmp_lt_i32 s8, 9
	s_cbranch_scc1 .LBB7_649
; %bb.644:
	s_cmp_gt_i32 s8, 9
	s_cbranch_scc0 .LBB7_646
; %bb.645:
	v_cndmask_b32_e64 v2, 0, 1, s[4:5]
	v_mov_b32_e32 v4, 0
	v_cvt_f64_u32_e32 v[2:3], v2
	v_mov_b32_e32 v5, v4
	s_mov_b64 s[6:7], 0
	global_store_dwordx4 v[0:1], v[2:5], off
.LBB7_646:
	s_andn2_b64 vcc, exec, s[6:7]
	s_cbranch_vccnz .LBB7_648
; %bb.647:
	v_cndmask_b32_e64 v2, 0, 1.0, s[4:5]
	v_mov_b32_e32 v3, 0
	global_store_dwordx2 v[0:1], v[2:3], off
.LBB7_648:
	s_mov_b64 s[6:7], 0
.LBB7_649:
	s_andn2_b64 vcc, exec, s[6:7]
	s_cbranch_vccnz .LBB7_651
; %bb.650:
	v_cndmask_b32_e64 v2, 0, 1.0, s[4:5]
	v_cvt_f16_f32_e32 v2, v2
	global_store_dword v[0:1], v2, off
.LBB7_651:
	s_mov_b64 s[6:7], 0
.LBB7_652:
	s_andn2_b64 vcc, exec, s[6:7]
	s_cbranch_vccnz .LBB7_661
; %bb.653:
	s_cmp_lt_i32 s8, 6
	s_mov_b64 s[6:7], -1
	s_cbranch_scc1 .LBB7_659
; %bb.654:
	s_cmp_gt_i32 s8, 6
	s_cbranch_scc0 .LBB7_656
; %bb.655:
	v_cndmask_b32_e64 v2, 0, 1, s[4:5]
	v_cvt_f64_u32_e32 v[2:3], v2
	s_mov_b64 s[6:7], 0
	global_store_dwordx2 v[0:1], v[2:3], off
.LBB7_656:
	s_andn2_b64 vcc, exec, s[6:7]
	s_cbranch_vccnz .LBB7_658
; %bb.657:
	v_cndmask_b32_e64 v2, 0, 1.0, s[4:5]
	global_store_dword v[0:1], v2, off
.LBB7_658:
	s_mov_b64 s[6:7], 0
.LBB7_659:
	s_andn2_b64 vcc, exec, s[6:7]
	s_cbranch_vccnz .LBB7_661
; %bb.660:
	v_cndmask_b32_e64 v2, 0, 1.0, s[4:5]
	v_cvt_f16_f32_e32 v2, v2
	global_store_short v[0:1], v2, off
.LBB7_661:
	s_mov_b64 s[6:7], 0
.LBB7_662:
	s_andn2_b64 vcc, exec, s[6:7]
	s_cbranch_vccnz .LBB7_678
; %bb.663:
	s_cmp_lt_i32 s8, 2
	s_mov_b64 s[6:7], -1
	s_cbranch_scc1 .LBB7_673
; %bb.664:
	s_cmp_lt_i32 s8, 3
	s_cbranch_scc1 .LBB7_670
; %bb.665:
	s_cmp_gt_i32 s8, 3
	s_cbranch_scc0 .LBB7_667
; %bb.666:
	s_mov_b32 s6, 0
	v_cndmask_b32_e64 v2, 0, 1, s[4:5]
	v_mov_b32_e32 v3, s6
	s_mov_b64 s[6:7], 0
	global_store_dwordx2 v[0:1], v[2:3], off
.LBB7_667:
	s_andn2_b64 vcc, exec, s[6:7]
	s_cbranch_vccnz .LBB7_669
; %bb.668:
	v_cndmask_b32_e64 v2, 0, 1, s[4:5]
	global_store_dword v[0:1], v2, off
.LBB7_669:
	s_mov_b64 s[6:7], 0
.LBB7_670:
	s_andn2_b64 vcc, exec, s[6:7]
	s_cbranch_vccnz .LBB7_672
; %bb.671:
	v_cndmask_b32_e64 v2, 0, 1, s[4:5]
	global_store_short v[0:1], v2, off
.LBB7_672:
	s_mov_b64 s[6:7], 0
.LBB7_673:
	s_andn2_b64 vcc, exec, s[6:7]
	s_cbranch_vccnz .LBB7_678
; %bb.674:
	s_mov_b64 s[6:7], -1
	s_cmp_gt_i32 s8, 0
	v_cndmask_b32_e64 v2, 0, 1, s[4:5]
	s_cbranch_scc0 .LBB7_676
; %bb.675:
	s_mov_b64 s[6:7], 0
	global_store_byte v[0:1], v2, off
.LBB7_676:
	s_andn2_b64 vcc, exec, s[6:7]
	s_cbranch_vccnz .LBB7_678
; %bb.677:
	global_store_byte v[0:1], v2, off
.LBB7_678:
	s_mov_b64 s[4:5], 0
	s_mov_b64 s[6:7], 0
	s_branch .LBB7_753
.LBB7_679:
	s_mov_b64 s[2:3], s[62:63]
	s_branch .LBB7_710
.LBB7_680:
	s_mov_b64 s[2:3], s[62:63]
	s_branch .LBB7_693
.LBB7_681:
	s_mov_b64 s[2:3], s[62:63]
	s_branch .LBB7_689
.LBB7_682:
	s_mov_b64 s[2:3], s[62:63]
.LBB7_683:
	s_and_b64 vcc, exec, s[8:9]
	s_cbranch_vccz .LBB7_688
; %bb.684:
	s_cmp_eq_u32 s13, 44
	s_mov_b64 s[2:3], -1
	s_cbranch_scc0 .LBB7_688
; %bb.685:
	v_cndmask_b32_e64 v3, 0, 1.0, s[4:5]
	v_lshrrev_b32_e32 v2, 23, v3
	s_movk_i32 s2, 0xff
	v_cmp_ne_u32_e32 vcc, s2, v2
	v_mov_b32_e32 v4, 0xff
	s_and_saveexec_b64 s[6:7], vcc
; %bb.686:
	s_mov_b32 s2, 0x3fffff
	v_and_b32_e32 v4, 0x400000, v3
	v_and_or_b32 v3, v3, s2, v2
	v_cmp_ne_u32_e32 vcc, 0, v4
	v_cmp_ne_u32_e64 s[2:3], 0, v3
	s_and_b64 s[2:3], vcc, s[2:3]
	s_nop 0
	v_cndmask_b32_e64 v3, 0, 1, s[2:3]
	v_add_u32_e32 v4, v2, v3
; %bb.687:
	s_or_b64 exec, exec, s[6:7]
	s_mov_b64 s[6:7], -1
	s_mov_b64 s[2:3], 0
	global_store_byte v[0:1], v4, off
.LBB7_688:
	s_mov_b64 s[8:9], 0
.LBB7_689:
	s_and_b64 vcc, exec, s[8:9]
	s_cbranch_vccz .LBB7_692
; %bb.690:
	s_cmp_eq_u32 s13, 29
	s_mov_b64 s[2:3], -1
	s_cbranch_scc0 .LBB7_692
; %bb.691:
	s_mov_b32 s2, 0
	v_cndmask_b32_e64 v2, 0, 1, s[4:5]
	v_mov_b32_e32 v3, s2
	global_store_dwordx2 v[0:1], v[2:3], off
	s_mov_b64 s[6:7], -1
	s_mov_b64 s[2:3], 0
.LBB7_692:
	s_mov_b64 s[8:9], 0
.LBB7_693:
	s_and_b64 vcc, exec, s[8:9]
	s_cbranch_vccz .LBB7_709
; %bb.694:
	s_cmp_lt_i32 s13, 27
	s_mov_b64 s[6:7], -1
	s_cbranch_scc1 .LBB7_700
; %bb.695:
	s_cmp_gt_i32 s13, 27
	s_cbranch_scc0 .LBB7_697
; %bb.696:
	v_cndmask_b32_e64 v2, 0, 1, s[4:5]
	s_mov_b64 s[6:7], 0
	global_store_dword v[0:1], v2, off
.LBB7_697:
	s_andn2_b64 vcc, exec, s[6:7]
	s_cbranch_vccnz .LBB7_699
; %bb.698:
	v_cndmask_b32_e64 v2, 0, 1, s[4:5]
	global_store_short v[0:1], v2, off
.LBB7_699:
	s_mov_b64 s[6:7], 0
.LBB7_700:
	s_andn2_b64 vcc, exec, s[6:7]
	s_cbranch_vccnz .LBB7_708
; %bb.701:
	v_cndmask_b32_e64 v3, 0, 1.0, s[4:5]
	s_mov_b32 s6, 0x43800000
	v_cmp_gt_u32_e32 vcc, s6, v3
	v_mov_b32_e32 v4, 0x80
	s_and_saveexec_b64 s[6:7], vcc
	s_cbranch_execz .LBB7_707
; %bb.702:
	s_mov_b32 s8, 0x3bffffff
	v_cmp_lt_u32_e32 vcc, s8, v3
	s_mov_b64 s[8:9], 0
                                        ; implicit-def: $vgpr2
	s_and_saveexec_b64 s[10:11], vcc
	s_xor_b64 s[10:11], exec, s[10:11]
	s_cbranch_execz .LBB7_784
; %bb.703:
	v_bfe_u32 v2, v3, 20, 1
	s_mov_b32 s14, 0x487ffff
	v_add3_u32 v2, v3, v2, s14
	s_mov_b64 s[8:9], exec
	v_lshrrev_b32_e32 v2, 20, v2
                                        ; implicit-def: $vgpr3
	s_andn2_saveexec_b64 s[10:11], s[10:11]
	s_cbranch_execnz .LBB7_785
.LBB7_704:
	s_or_b64 exec, exec, s[10:11]
	v_mov_b32_e32 v4, 0
	s_and_saveexec_b64 s[10:11], s[8:9]
.LBB7_705:
	v_mov_b32_e32 v4, v2
.LBB7_706:
	s_or_b64 exec, exec, s[10:11]
.LBB7_707:
	s_or_b64 exec, exec, s[6:7]
	global_store_byte v[0:1], v4, off
.LBB7_708:
	s_mov_b64 s[6:7], -1
.LBB7_709:
	s_mov_b64 s[8:9], 0
.LBB7_710:
	s_and_b64 vcc, exec, s[8:9]
	s_cbranch_vccz .LBB7_751
; %bb.711:
	s_cmp_gt_i32 s13, 22
	s_mov_b64 s[8:9], -1
	s_cbranch_scc0 .LBB7_743
; %bb.712:
	s_cmp_lt_i32 s13, 24
	s_mov_b64 s[6:7], -1
	s_cbranch_scc1 .LBB7_732
; %bb.713:
	s_cmp_gt_i32 s13, 24
	s_cbranch_scc0 .LBB7_721
; %bb.714:
	v_cndmask_b32_e64 v3, 0, 1.0, s[4:5]
	s_mov_b32 s6, 0x47800000
	v_cmp_gt_u32_e32 vcc, s6, v3
	v_mov_b32_e32 v4, 0x80
	s_and_saveexec_b64 s[6:7], vcc
	s_cbranch_execz .LBB7_720
; %bb.715:
	s_mov_b32 s8, 0x37ffffff
	v_cmp_lt_u32_e32 vcc, s8, v3
	s_mov_b64 s[8:9], 0
                                        ; implicit-def: $vgpr2
	s_and_saveexec_b64 s[10:11], vcc
	s_xor_b64 s[10:11], exec, s[10:11]
	s_cbranch_execz .LBB7_787
; %bb.716:
	v_bfe_u32 v2, v3, 21, 1
	s_mov_b32 s14, 0x88fffff
	v_add3_u32 v2, v3, v2, s14
	s_mov_b64 s[8:9], exec
	v_lshrrev_b32_e32 v2, 21, v2
                                        ; implicit-def: $vgpr3
	s_andn2_saveexec_b64 s[10:11], s[10:11]
	s_cbranch_execnz .LBB7_788
.LBB7_717:
	s_or_b64 exec, exec, s[10:11]
	v_mov_b32_e32 v4, 0
	s_and_saveexec_b64 s[10:11], s[8:9]
.LBB7_718:
	v_mov_b32_e32 v4, v2
.LBB7_719:
	s_or_b64 exec, exec, s[10:11]
.LBB7_720:
	s_or_b64 exec, exec, s[6:7]
	s_mov_b64 s[6:7], 0
	global_store_byte v[0:1], v4, off
.LBB7_721:
	s_and_b64 vcc, exec, s[6:7]
	s_cbranch_vccz .LBB7_731
; %bb.722:
	v_cndmask_b32_e64 v2, 0, 1.0, s[4:5]
	s_mov_b32 s6, 0x43f00000
	v_cmp_gt_u32_e32 vcc, s6, v2
                                        ; implicit-def: $vgpr3
	s_and_saveexec_b64 s[6:7], vcc
	s_xor_b64 s[6:7], exec, s[6:7]
	s_cbranch_execz .LBB7_728
; %bb.723:
	s_mov_b32 s8, 0x3c7fffff
	v_cmp_lt_u32_e32 vcc, s8, v2
                                        ; implicit-def: $vgpr3
	s_and_saveexec_b64 s[8:9], vcc
	s_xor_b64 s[8:9], exec, s[8:9]
; %bb.724:
	v_bfe_u32 v3, v2, 20, 1
	s_mov_b32 s10, 0x407ffff
	v_add3_u32 v2, v2, v3, s10
	v_lshrrev_b32_e32 v3, 20, v2
	v_and_b32_e32 v2, 0xff00000, v2
	s_mov_b32 s10, 0x7f00000
	v_mov_b32_e32 v4, 0x7e
	v_cmp_ne_u32_e32 vcc, s10, v2
                                        ; implicit-def: $vgpr2
	s_nop 1
	v_cndmask_b32_e32 v3, v4, v3, vcc
; %bb.725:
	s_andn2_saveexec_b64 s[8:9], s[8:9]
; %bb.726:
	v_add_f32_e32 v3, 0x46800000, v2
; %bb.727:
	s_or_b64 exec, exec, s[8:9]
                                        ; implicit-def: $vgpr2
.LBB7_728:
	s_andn2_saveexec_b64 s[6:7], s[6:7]
; %bb.729:
	s_mov_b32 s8, 0x7f800000
	v_mov_b32_e32 v3, 0x7e
	v_mov_b32_e32 v4, 0x7f
	v_cmp_lt_u32_e32 vcc, s8, v2
	s_nop 1
	v_cndmask_b32_e32 v3, v3, v4, vcc
; %bb.730:
	s_or_b64 exec, exec, s[6:7]
	global_store_byte v[0:1], v3, off
.LBB7_731:
	s_mov_b64 s[6:7], 0
.LBB7_732:
	s_andn2_b64 vcc, exec, s[6:7]
	s_cbranch_vccnz .LBB7_742
; %bb.733:
	v_cndmask_b32_e64 v2, 0, 1.0, s[4:5]
	s_mov_b32 s6, 0x47800000
	v_cmp_gt_u32_e32 vcc, s6, v2
                                        ; implicit-def: $vgpr3
	s_and_saveexec_b64 s[6:7], vcc
	s_xor_b64 s[6:7], exec, s[6:7]
	s_cbranch_execz .LBB7_739
; %bb.734:
	s_mov_b32 s8, 0x387fffff
	v_cmp_lt_u32_e32 vcc, s8, v2
                                        ; implicit-def: $vgpr3
	s_and_saveexec_b64 s[8:9], vcc
	s_xor_b64 s[8:9], exec, s[8:9]
; %bb.735:
	v_bfe_u32 v3, v2, 21, 1
	s_mov_b32 s10, 0x80fffff
	v_add3_u32 v2, v2, v3, s10
	v_lshrrev_b32_e32 v3, 21, v2
                                        ; implicit-def: $vgpr2
; %bb.736:
	s_andn2_saveexec_b64 s[8:9], s[8:9]
; %bb.737:
	v_add_f32_e32 v3, 0x43000000, v2
; %bb.738:
	s_or_b64 exec, exec, s[8:9]
                                        ; implicit-def: $vgpr2
.LBB7_739:
	s_andn2_saveexec_b64 s[6:7], s[6:7]
; %bb.740:
	s_mov_b32 s8, 0x7f800000
	v_mov_b32_e32 v3, 0x7c
	v_mov_b32_e32 v4, 0x7f
	v_cmp_lt_u32_e32 vcc, s8, v2
	s_nop 1
	v_cndmask_b32_e32 v3, v3, v4, vcc
; %bb.741:
	s_or_b64 exec, exec, s[6:7]
	global_store_byte v[0:1], v3, off
.LBB7_742:
	s_mov_b64 s[8:9], 0
	s_mov_b64 s[6:7], -1
.LBB7_743:
	s_andn2_b64 vcc, exec, s[8:9]
	s_cbranch_vccnz .LBB7_751
; %bb.744:
	s_cmp_gt_i32 s13, 14
	s_mov_b64 s[8:9], -1
	s_cbranch_scc0 .LBB7_748
; %bb.745:
	s_cmp_eq_u32 s13, 15
	s_mov_b64 s[2:3], -1
	s_cbranch_scc0 .LBB7_747
; %bb.746:
	v_cndmask_b32_e64 v2, 0, 1.0, s[4:5]
	v_bfe_u32 v3, v2, 16, 1
	s_movk_i32 s2, 0x7fff
	v_add3_u32 v2, v2, v3, s2
	global_store_short_d16_hi v[0:1], v2, off
	s_mov_b64 s[6:7], -1
	s_mov_b64 s[2:3], 0
.LBB7_747:
	s_mov_b64 s[8:9], 0
.LBB7_748:
	s_and_b64 vcc, exec, s[8:9]
	s_cbranch_vccz .LBB7_751
; %bb.749:
	s_cmp_eq_u32 s13, 11
	s_mov_b64 s[2:3], -1
	s_cbranch_scc0 .LBB7_751
; %bb.750:
	v_cndmask_b32_e64 v2, 0, 1, s[4:5]
	s_mov_b64 s[6:7], -1
	s_mov_b64 s[2:3], 0
	global_store_byte v[0:1], v2, off
.LBB7_751:
.LBB7_752:
	s_mov_b64 s[4:5], 0
	s_andn2_b64 vcc, exec, s[6:7]
	s_mov_b64 s[6:7], 0
	s_cbranch_vccnz .LBB7_754
.LBB7_753:
	v_add_u32_e32 v8, 0x80, v8
	s_mov_b64 s[6:7], -1
.LBB7_754:
	s_andn2_b64 s[8:9], s[62:63], exec
	s_and_b64 s[2:3], s[2:3], exec
	s_or_b64 s[68:69], s[8:9], s[2:3]
	s_andn2_b64 s[2:3], s[60:61], exec
	s_and_b64 s[4:5], s[4:5], exec
	s_or_b64 s[2:3], s[2:3], s[4:5]
	s_orn2_b64 s[6:7], s[6:7], exec
.LBB7_755:
	s_or_b64 exec, exec, s[66:67]
	s_mov_b64 s[4:5], 0
	s_mov_b64 s[12:13], 0
	;; [unrolled: 1-line block ×3, first 2 shown]
                                        ; implicit-def: $sgpr8_sgpr9
                                        ; implicit-def: $vgpr2_vgpr3
                                        ; implicit-def: $vgpr0
	s_and_saveexec_b64 s[66:67], s[6:7]
	s_cbranch_execz .LBB7_837
; %bb.756:
	v_cmp_gt_i32_e32 vcc, s70, v8
	s_mov_b64 s[6:7], 0
	s_mov_b64 s[14:15], s[2:3]
                                        ; implicit-def: $sgpr8_sgpr9
                                        ; implicit-def: $vgpr2_vgpr3
                                        ; implicit-def: $vgpr0
	s_and_saveexec_b64 s[70:71], vcc
	s_cbranch_execz .LBB7_836
; %bb.757:
	s_andn2_b64 vcc, exec, s[42:43]
	s_cbranch_vccnz .LBB7_763
; %bb.758:
	s_andn2_b64 vcc, exec, s[52:53]
	s_cbranch_vccnz .LBB7_764
; %bb.759:
	s_add_i32 s76, s75, 1
	s_cmp_eq_u32 s72, 2
	s_cbranch_scc1 .LBB7_765
; %bb.760:
	s_and_b32 s75, s76, 28
	s_mov_b32 s77, 0
	v_mov_b32_e32 v0, 0
	v_mov_b32_e32 v2, 0
	s_mov_b64 s[52:53], s[34:35]
	v_mov_b32_e32 v4, v8
.LBB7_761:                              ; =>This Inner Loop Header: Depth=1
	s_load_dwordx8 s[12:19], s[52:53], 0x4
	s_load_dwordx4 s[36:39], s[52:53], 0x24
	s_load_dwordx8 s[4:11], s[50:51], 0x0
	s_add_u32 s52, s52, 48
	s_addc_u32 s53, s53, 0
	s_waitcnt lgkmcnt(0)
	v_mul_hi_u32 v1, s13, v4
	v_add_u32_e32 v1, v4, v1
	v_lshrrev_b32_e32 v1, s14, v1
	v_mul_lo_u32 v3, v1, s12
	v_mul_hi_u32 v5, s16, v1
	v_sub_u32_e32 v3, v4, v3
	v_add_u32_e32 v4, v1, v5
	v_lshrrev_b32_e32 v4, s17, v4
	v_mul_lo_u32 v6, v4, s15
	v_mul_hi_u32 v7, s19, v4
	v_sub_u32_e32 v1, v1, v6
	v_add_u32_e32 v6, v4, v7
	v_mul_lo_u32 v5, v3, s5
	v_mul_lo_u32 v3, v3, s4
	;; [unrolled: 1-line block ×4, first 2 shown]
	v_lshrrev_b32_e32 v6, s36, v6
	v_add3_u32 v0, v3, v0, v1
	v_mul_hi_u32 v3, s38, v6
	v_add3_u32 v1, v5, v2, v7
	v_mul_lo_u32 v2, v6, s18
	v_add_u32_e32 v3, v6, v3
	v_sub_u32_e32 v2, v4, v2
	v_lshrrev_b32_e32 v4, s39, v3
	s_add_i32 s77, s77, 4
	v_mul_lo_u32 v3, v4, s37
	s_add_u32 s50, s50, 32
	v_sub_u32_e32 v3, v6, v3
	s_addc_u32 s51, s51, 0
	v_mul_lo_u32 v5, v2, s8
	v_mul_lo_u32 v2, v2, s9
	;; [unrolled: 1-line block ×4, first 2 shown]
	s_cmp_eq_u32 s75, s77
	v_add3_u32 v2, v2, v1, v3
	v_add3_u32 v0, v5, v0, v6
	s_cbranch_scc0 .LBB7_761
; %bb.762:
	v_mov_b32_e32 v1, v2
	s_branch .LBB7_766
.LBB7_763:
	s_mov_b64 s[4:5], -1
                                        ; implicit-def: $vgpr2
                                        ; implicit-def: $vgpr0
	s_branch .LBB7_770
.LBB7_764:
	v_mov_b32_e32 v2, 0
	v_mov_b32_e32 v0, 0
	s_branch .LBB7_769
.LBB7_765:
	v_mov_b32_e32 v0, 0
	s_mov_b32 s75, 0
	v_mov_b32_e32 v1, v0
                                        ; implicit-def: $vgpr2
	v_mov_b32_e32 v4, v8
.LBB7_766:
	s_and_b32 s8, s76, 3
	s_cmp_eq_u32 s8, 0
	s_cbranch_scc1 .LBB7_769
; %bb.767:
	s_lshl_b32 s4, s75, 3
	s_add_u32 s4, s34, s4
	s_addc_u32 s5, s35, 0
	s_add_u32 s4, s4, 0xc4
	s_addc_u32 s5, s5, 0
	s_mul_i32 s6, s75, 12
	s_add_u32 s6, s34, s6
	s_addc_u32 s7, s35, 0
.LBB7_768:                              ; =>This Inner Loop Header: Depth=1
	s_load_dwordx2 s[10:11], s[6:7], 0x4
	s_load_dword s9, s[6:7], 0xc
	s_load_dwordx2 s[12:13], s[4:5], 0x0
	v_mov_b32_e32 v2, v1
	s_add_u32 s6, s6, 12
	s_waitcnt lgkmcnt(0)
	v_mul_hi_u32 v1, s11, v4
	v_add_u32_e32 v1, v4, v1
	v_lshrrev_b32_e32 v1, s9, v1
	s_addc_u32 s7, s7, 0
	v_mul_lo_u32 v3, v1, s10
	s_add_u32 s4, s4, 8
	v_sub_u32_e32 v5, v4, v3
	s_addc_u32 s5, s5, 0
	s_add_i32 s8, s8, -1
	v_mov_b32_e32 v4, v1
	v_mad_u64_u32 v[2:3], s[10:11], v5, s13, v[2:3]
	v_mad_u64_u32 v[0:1], s[10:11], v5, s12, v[0:1]
	s_cmp_lg_u32 s8, 0
	v_mov_b32_e32 v1, v2
	s_cbranch_scc1 .LBB7_768
.LBB7_769:
	s_mov_b64 s[4:5], 0
.LBB7_770:
	s_andn2_b64 vcc, exec, s[4:5]
	s_cbranch_vccnz .LBB7_773
; %bb.771:
	s_waitcnt lgkmcnt(0)
	v_mul_hi_u32 v0, s29, v8
	v_add_u32_e32 v0, v8, v0
	v_lshrrev_b32_e32 v1, s30, v0
	v_mul_lo_u32 v0, v1, s28
	v_sub_u32_e32 v0, v8, v0
	v_mul_lo_u32 v2, v0, s25
	s_andn2_b64 vcc, exec, s[48:49]
	v_mul_lo_u32 v0, v0, s24
	s_cbranch_vccnz .LBB7_773
; %bb.772:
	v_mul_hi_u32 v3, s46, v1
	v_add_u32_e32 v3, v1, v3
	v_lshrrev_b32_e32 v3, s47, v3
	v_mul_lo_u32 v3, v3, s31
	v_sub_u32_e32 v3, v1, v3
	v_mad_u64_u32 v[0:1], s[4:5], v3, s26, v[0:1]
	v_mad_u64_u32 v[2:3], s[4:5], v3, s27, v[2:3]
.LBB7_773:
	v_mov_b32_e32 v3, 0
	s_and_b32 s14, 0xffff, s74
	s_cmp_lt_i32 s14, 11
	s_waitcnt lgkmcnt(0)
	v_lshl_add_u64 v[2:3], s[22:23], 0, v[2:3]
	s_cbranch_scc1 .LBB7_780
; %bb.774:
	s_cmp_gt_i32 s14, 25
	s_mov_b64 s[6:7], 0
	s_cbranch_scc0 .LBB7_781
; %bb.775:
	s_cmp_gt_i32 s14, 28
	s_cbranch_scc0 .LBB7_782
; %bb.776:
	s_cmp_gt_i32 s14, 43
	s_cbranch_scc0 .LBB7_783
; %bb.777:
	s_cmp_gt_i32 s14, 45
	s_cbranch_scc0 .LBB7_786
; %bb.778:
	s_cmp_eq_u32 s14, 46
	s_mov_b64 s[12:13], 0
	s_cbranch_scc0 .LBB7_789
; %bb.779:
	global_load_dword v1, v[2:3], off
	s_mov_b64 s[4:5], 0
	s_mov_b64 s[10:11], -1
	s_waitcnt vmcnt(0)
	v_and_b32_e32 v1, 0x7fff7fff, v1
	v_cmp_ne_u32_e64 s[8:9], 0, v1
	s_branch .LBB7_790
.LBB7_780:
	s_mov_b64 s[12:13], -1
	s_mov_b64 s[10:11], 0
	s_mov_b64 s[6:7], 0
	;; [unrolled: 1-line block ×3, first 2 shown]
                                        ; implicit-def: $sgpr8_sgpr9
	s_branch .LBB7_835
.LBB7_781:
	s_mov_b64 s[12:13], -1
	s_mov_b64 s[10:11], 0
	s_mov_b64 s[4:5], s[2:3]
                                        ; implicit-def: $sgpr8_sgpr9
	s_branch .LBB7_811
.LBB7_782:
	s_mov_b64 s[12:13], -1
	s_mov_b64 s[10:11], 0
	s_mov_b64 s[4:5], s[2:3]
                                        ; implicit-def: $sgpr8_sgpr9
	s_branch .LBB7_798
.LBB7_783:
	s_mov_b64 s[12:13], -1
	s_mov_b64 s[10:11], 0
	s_mov_b64 s[4:5], s[2:3]
                                        ; implicit-def: $sgpr8_sgpr9
	s_branch .LBB7_793
.LBB7_784:
	s_andn2_saveexec_b64 s[10:11], s[10:11]
	s_cbranch_execz .LBB7_704
.LBB7_785:
	v_add_f32_e32 v2, 0x46000000, v3
	v_and_b32_e32 v2, 0xff, v2
	v_cmp_ne_u32_e32 vcc, 0, v2
	s_andn2_b64 s[8:9], s[8:9], exec
	s_and_b64 s[14:15], vcc, exec
	s_or_b64 s[8:9], s[8:9], s[14:15]
	s_or_b64 exec, exec, s[10:11]
	v_mov_b32_e32 v4, 0
	s_and_saveexec_b64 s[10:11], s[8:9]
	s_cbranch_execnz .LBB7_705
	s_branch .LBB7_706
.LBB7_786:
	s_mov_b64 s[12:13], -1
	s_mov_b64 s[10:11], 0
	s_mov_b64 s[4:5], s[2:3]
                                        ; implicit-def: $sgpr8_sgpr9
	s_branch .LBB7_790
.LBB7_787:
	s_andn2_saveexec_b64 s[10:11], s[10:11]
	s_cbranch_execz .LBB7_717
.LBB7_788:
	v_add_f32_e32 v2, 0x42800000, v3
	v_and_b32_e32 v2, 0xff, v2
	v_cmp_ne_u32_e32 vcc, 0, v2
	s_andn2_b64 s[8:9], s[8:9], exec
	s_and_b64 s[14:15], vcc, exec
	s_or_b64 s[8:9], s[8:9], s[14:15]
	s_or_b64 exec, exec, s[10:11]
	v_mov_b32_e32 v4, 0
	s_and_saveexec_b64 s[10:11], s[8:9]
	s_cbranch_execnz .LBB7_718
	s_branch .LBB7_719
.LBB7_789:
	s_mov_b64 s[4:5], -1
                                        ; implicit-def: $sgpr8_sgpr9
	s_mov_b64 s[10:11], 0
.LBB7_790:
	s_and_b64 vcc, exec, s[12:13]
	s_cbranch_vccz .LBB7_792
; %bb.791:
	s_cmp_lg_u32 s14, 44
	s_cselect_b64 s[12:13], -1, 0
	s_andn2_b64 s[4:5], s[4:5], exec
	s_and_b64 s[12:13], s[12:13], exec
	s_mov_b64 s[10:11], -1
	s_or_b64 s[8:9], s[8:9], exec
	s_or_b64 s[4:5], s[4:5], s[12:13]
.LBB7_792:
	s_mov_b64 s[12:13], 0
.LBB7_793:
	s_and_b64 vcc, exec, s[12:13]
	s_cbranch_vccz .LBB7_797
; %bb.794:
	s_cmp_eq_u32 s14, 29
	s_cbranch_scc0 .LBB7_796
; %bb.795:
	global_load_dwordx2 v[4:5], v[2:3], off
	s_mov_b64 s[4:5], 0
	s_mov_b64 s[10:11], -1
	s_mov_b64 s[12:13], 0
	s_waitcnt vmcnt(0)
	v_cmp_ne_u64_e64 s[8:9], 0, v[4:5]
	s_branch .LBB7_798
.LBB7_796:
	s_mov_b64 s[4:5], -1
                                        ; implicit-def: $sgpr8_sgpr9
.LBB7_797:
	s_mov_b64 s[12:13], 0
.LBB7_798:
	s_and_b64 vcc, exec, s[12:13]
	s_cbranch_vccz .LBB7_810
; %bb.799:
	s_cmp_lt_i32 s14, 27
	s_cbranch_scc1 .LBB7_802
; %bb.800:
	s_cmp_gt_i32 s14, 27
	s_cbranch_scc0 .LBB7_803
; %bb.801:
	global_load_dword v1, v[2:3], off
	s_mov_b64 s[10:11], 0
	s_waitcnt vmcnt(0)
	v_cmp_ne_u32_e64 s[8:9], 0, v1
	s_branch .LBB7_804
.LBB7_802:
	s_mov_b64 s[10:11], -1
                                        ; implicit-def: $sgpr8_sgpr9
	s_branch .LBB7_807
.LBB7_803:
	s_mov_b64 s[10:11], -1
                                        ; implicit-def: $sgpr8_sgpr9
.LBB7_804:
	s_andn2_b64 vcc, exec, s[10:11]
	s_cbranch_vccnz .LBB7_806
; %bb.805:
	global_load_ushort v1, v[2:3], off
	s_andn2_b64 s[8:9], s[8:9], exec
	s_waitcnt vmcnt(0)
	v_cmp_ne_u16_e32 vcc, 0, v1
	s_and_b64 s[10:11], vcc, exec
	s_or_b64 s[8:9], s[8:9], s[10:11]
.LBB7_806:
	s_mov_b64 s[10:11], 0
.LBB7_807:
	s_andn2_b64 vcc, exec, s[10:11]
	s_cbranch_vccnz .LBB7_809
; %bb.808:
	global_load_ubyte v1, v[2:3], off
	s_andn2_b64 s[8:9], s[8:9], exec
	s_waitcnt vmcnt(0)
	v_cmp_ne_u16_e32 vcc, 0, v1
	s_and_b64 s[10:11], vcc, exec
	s_or_b64 s[8:9], s[8:9], s[10:11]
.LBB7_809:
	s_mov_b64 s[10:11], -1
.LBB7_810:
	s_mov_b64 s[12:13], 0
.LBB7_811:
	s_and_b64 vcc, exec, s[12:13]
	s_cbranch_vccz .LBB7_834
; %bb.812:
	s_cmp_gt_i32 s14, 22
	s_cbranch_scc0 .LBB7_816
; %bb.813:
	s_cmp_lt_i32 s14, 24
	s_cbranch_scc1 .LBB7_817
; %bb.814:
	s_cmp_gt_i32 s14, 24
	s_cbranch_scc0 .LBB7_818
; %bb.815:
	global_load_ubyte v1, v[2:3], off
	s_waitcnt vmcnt(0)
	v_cmp_ne_u16_e64 s[8:9], 0, v1
	s_branch .LBB7_819
.LBB7_816:
	s_mov_b64 s[6:7], -1
                                        ; implicit-def: $sgpr8_sgpr9
	s_branch .LBB7_825
.LBB7_817:
	s_mov_b64 s[6:7], -1
                                        ; implicit-def: $sgpr8_sgpr9
	s_branch .LBB7_822
.LBB7_818:
	s_mov_b64 s[6:7], -1
                                        ; implicit-def: $sgpr8_sgpr9
.LBB7_819:
	s_andn2_b64 vcc, exec, s[6:7]
	s_cbranch_vccnz .LBB7_821
; %bb.820:
	global_load_ubyte v1, v[2:3], off
	s_andn2_b64 s[6:7], s[8:9], exec
	s_waitcnt vmcnt(0)
	v_and_b32_e32 v1, 0x7f, v1
	v_cmp_ne_u16_e32 vcc, 0, v1
	s_and_b64 s[8:9], vcc, exec
	s_or_b64 s[8:9], s[6:7], s[8:9]
.LBB7_821:
	s_mov_b64 s[6:7], 0
.LBB7_822:
	s_andn2_b64 vcc, exec, s[6:7]
	s_cbranch_vccnz .LBB7_824
; %bb.823:
	global_load_ubyte v1, v[2:3], off
	s_movk_i32 s6, 0x7f00
	s_brev_b32 s7, 16
	s_waitcnt vmcnt(0)
	v_lshlrev_b32_e32 v4, 8, v1
	v_lshlrev_b32_e32 v1, 25, v1
	v_lshrrev_b32_e32 v5, 4, v1
	v_and_or_b32 v4, v4, s6, 0.5
	v_or_b32_e32 v5, 0x70000000, v5
	v_add_f32_e32 v4, -0.5, v4
	v_mul_f32_e32 v5, 0x7800000, v5
	v_cmp_gt_u32_e32 vcc, s7, v1
	s_andn2_b64 s[6:7], s[8:9], exec
	s_nop 0
	v_cndmask_b32_e32 v1, v5, v4, vcc
	v_cmp_neq_f32_e32 vcc, 0, v1
	s_and_b64 s[8:9], vcc, exec
	s_or_b64 s[8:9], s[6:7], s[8:9]
.LBB7_824:
	s_mov_b64 s[6:7], 0
	s_mov_b64 s[10:11], -1
.LBB7_825:
	s_andn2_b64 vcc, exec, s[6:7]
	s_mov_b64 s[6:7], 0
	s_cbranch_vccnz .LBB7_834
; %bb.826:
	s_cmp_gt_i32 s14, 14
	s_cbranch_scc0 .LBB7_829
; %bb.827:
	s_cmp_eq_u32 s14, 15
	s_cbranch_scc0 .LBB7_830
; %bb.828:
	global_load_ushort v1, v[2:3], off
	s_mov_b64 s[4:5], 0
	s_mov_b64 s[10:11], -1
	s_waitcnt vmcnt(0)
	v_and_b32_e32 v1, 0x7fff, v1
	v_cmp_ne_u16_e64 s[8:9], 0, v1
	s_branch .LBB7_831
.LBB7_829:
	s_mov_b64 s[12:13], -1
                                        ; implicit-def: $sgpr8_sgpr9
	s_branch .LBB7_832
.LBB7_830:
	s_mov_b64 s[4:5], -1
                                        ; implicit-def: $sgpr8_sgpr9
.LBB7_831:
	s_mov_b64 s[12:13], 0
.LBB7_832:
	s_and_b64 vcc, exec, s[12:13]
	s_cbranch_vccz .LBB7_834
; %bb.833:
	s_cmp_lg_u32 s14, 11
	s_cselect_b64 s[12:13], -1, 0
	s_andn2_b64 s[4:5], s[4:5], exec
	s_and_b64 s[12:13], s[12:13], exec
	s_mov_b64 s[6:7], -1
	s_or_b64 s[4:5], s[4:5], s[12:13]
.LBB7_834:
	s_mov_b64 s[12:13], 0
.LBB7_835:
	s_andn2_b64 s[14:15], s[2:3], exec
	s_and_b64 s[4:5], s[4:5], exec
	s_and_b64 s[10:11], s[10:11], exec
	;; [unrolled: 1-line block ×4, first 2 shown]
	s_or_b64 s[14:15], s[14:15], s[4:5]
.LBB7_836:
	s_or_b64 exec, exec, s[70:71]
	s_and_b64 s[4:5], s[6:7], exec
	s_andn2_b64 s[2:3], s[2:3], exec
	s_and_b64 s[6:7], s[14:15], exec
	s_and_b64 s[10:11], s[10:11], exec
	;; [unrolled: 1-line block ×3, first 2 shown]
	s_or_b64 s[2:3], s[2:3], s[6:7]
.LBB7_837:
	s_or_b64 exec, exec, s[66:67]
	s_andn2_b64 s[6:7], s[62:63], exec
	s_and_b64 s[14:15], s[68:69], exec
	s_or_b64 s[62:63], s[6:7], s[14:15]
	s_and_b64 s[6:7], s[12:13], exec
	s_andn2_b64 s[12:13], s[60:61], exec
	s_and_b64 s[2:3], s[2:3], exec
	s_and_b64 s[10:11], s[10:11], exec
	;; [unrolled: 1-line block ×3, first 2 shown]
	s_or_b64 s[60:61], s[12:13], s[2:3]
.LBB7_838:
	s_or_b64 exec, exec, s[64:65]
	s_andn2_b64 s[2:3], s[54:55], exec
	s_and_b64 s[12:13], s[62:63], exec
	s_or_b64 s[54:55], s[2:3], s[12:13]
	s_and_b64 s[2:3], s[6:7], exec
	s_and_b64 s[62:63], s[4:5], exec
	s_andn2_b64 s[4:5], s[56:57], exec
	s_and_b64 s[6:7], s[60:61], exec
	s_and_b64 s[12:13], s[10:11], exec
	s_or_b64 s[56:57], s[4:5], s[6:7]
	s_or_b64 exec, exec, s[58:59]
	s_mov_b64 s[4:5], 0
	s_and_saveexec_b64 s[6:7], s[56:57]
	s_cbranch_execz .LBB7_253
.LBB7_839:
	s_mov_b64 s[4:5], exec
	s_andn2_b64 s[12:13], s[12:13], exec
	s_andn2_b64 s[62:63], s[62:63], exec
	s_trap 2
	s_or_b64 exec, exec, s[6:7]
	s_and_saveexec_b64 s[6:7], s[62:63]
	s_xor_b64 s[6:7], exec, s[6:7]
	s_cbranch_execnz .LBB7_254
.LBB7_840:
	s_or_b64 exec, exec, s[6:7]
	s_and_saveexec_b64 s[6:7], s[2:3]
	s_cbranch_execz .LBB7_886
.LBB7_841:
	s_sext_i32_i16 s2, s74
	s_cmp_lt_i32 s2, 5
	s_cbranch_scc1 .LBB7_846
; %bb.842:
	s_cmp_lt_i32 s2, 8
	s_cbranch_scc1 .LBB7_847
; %bb.843:
	;; [unrolled: 3-line block ×3, first 2 shown]
	s_cmp_gt_i32 s2, 9
	s_cbranch_scc0 .LBB7_849
; %bb.845:
	global_load_dwordx4 v[4:7], v[2:3], off
	s_mov_b64 s[10:11], 0
	s_waitcnt vmcnt(0)
	v_cmp_neq_f64_e32 vcc, 0, v[4:5]
	v_cmp_neq_f64_e64 s[2:3], 0, v[6:7]
	s_or_b64 s[2:3], vcc, s[2:3]
	s_branch .LBB7_850
.LBB7_846:
                                        ; implicit-def: $sgpr2_sgpr3
	s_branch .LBB7_867
.LBB7_847:
                                        ; implicit-def: $sgpr2_sgpr3
	s_branch .LBB7_856
.LBB7_848:
	s_mov_b64 s[10:11], -1
                                        ; implicit-def: $sgpr2_sgpr3
	s_branch .LBB7_853
.LBB7_849:
	s_mov_b64 s[10:11], -1
                                        ; implicit-def: $sgpr2_sgpr3
.LBB7_850:
	s_andn2_b64 vcc, exec, s[10:11]
	s_cbranch_vccnz .LBB7_852
; %bb.851:
	global_load_dwordx2 v[4:5], v[2:3], off
	s_brev_b32 s10, -2
	s_andn2_b64 s[2:3], s[2:3], exec
	s_waitcnt vmcnt(0)
	v_bitop3_b32 v1, v4, s10, v5 bitop3:0xc8
	v_cmp_ne_u32_e32 vcc, 0, v1
	s_and_b64 s[10:11], vcc, exec
	s_or_b64 s[2:3], s[2:3], s[10:11]
.LBB7_852:
	s_mov_b64 s[10:11], 0
.LBB7_853:
	s_andn2_b64 vcc, exec, s[10:11]
	s_cbranch_vccnz .LBB7_855
; %bb.854:
	global_load_dword v1, v[2:3], off
	s_andn2_b64 s[2:3], s[2:3], exec
	s_waitcnt vmcnt(0)
	v_and_b32_e32 v1, 0x7fff7fff, v1
	v_cmp_ne_u32_e32 vcc, 0, v1
	s_and_b64 s[10:11], vcc, exec
	s_or_b64 s[2:3], s[2:3], s[10:11]
.LBB7_855:
	s_cbranch_execnz .LBB7_866
.LBB7_856:
	s_sext_i32_i16 s2, s74
	s_cmp_lt_i32 s2, 6
	s_cbranch_scc1 .LBB7_859
; %bb.857:
	s_cmp_gt_i32 s2, 6
	s_cbranch_scc0 .LBB7_860
; %bb.858:
	global_load_dwordx2 v[4:5], v[2:3], off
	s_mov_b64 s[10:11], 0
	s_waitcnt vmcnt(0)
	v_cmp_neq_f64_e64 s[2:3], 0, v[4:5]
	s_branch .LBB7_861
.LBB7_859:
	s_mov_b64 s[10:11], -1
                                        ; implicit-def: $sgpr2_sgpr3
	s_branch .LBB7_864
.LBB7_860:
	s_mov_b64 s[10:11], -1
                                        ; implicit-def: $sgpr2_sgpr3
.LBB7_861:
	s_andn2_b64 vcc, exec, s[10:11]
	s_cbranch_vccnz .LBB7_863
; %bb.862:
	global_load_dword v1, v[2:3], off
	s_andn2_b64 s[2:3], s[2:3], exec
	s_waitcnt vmcnt(0)
	v_cmp_neq_f32_e32 vcc, 0, v1
	s_and_b64 s[10:11], vcc, exec
	s_or_b64 s[2:3], s[2:3], s[10:11]
.LBB7_863:
	s_mov_b64 s[10:11], 0
.LBB7_864:
	s_andn2_b64 vcc, exec, s[10:11]
	s_cbranch_vccnz .LBB7_866
; %bb.865:
	global_load_ushort v1, v[2:3], off
	s_andn2_b64 s[2:3], s[2:3], exec
	s_waitcnt vmcnt(0)
	v_and_b32_e32 v1, 0x7fff, v1
	v_cmp_ne_u16_e32 vcc, 0, v1
	s_and_b64 s[10:11], vcc, exec
	s_or_b64 s[2:3], s[2:3], s[10:11]
.LBB7_866:
	s_cbranch_execnz .LBB7_885
.LBB7_867:
	s_sext_i32_i16 s2, s74
	s_cmp_lt_i32 s2, 2
	s_cbranch_scc1 .LBB7_871
; %bb.868:
	s_cmp_lt_i32 s2, 3
	s_cbranch_scc1 .LBB7_872
; %bb.869:
	s_cmp_gt_i32 s2, 3
	s_cbranch_scc0 .LBB7_873
; %bb.870:
	global_load_dwordx2 v[4:5], v[2:3], off
	s_mov_b64 s[10:11], 0
	s_waitcnt vmcnt(0)
	v_cmp_ne_u64_e64 s[2:3], 0, v[4:5]
	s_branch .LBB7_874
.LBB7_871:
                                        ; implicit-def: $sgpr2_sgpr3
	s_branch .LBB7_880
.LBB7_872:
	s_mov_b64 s[10:11], -1
                                        ; implicit-def: $sgpr2_sgpr3
	s_branch .LBB7_877
.LBB7_873:
	s_mov_b64 s[10:11], -1
                                        ; implicit-def: $sgpr2_sgpr3
.LBB7_874:
	s_andn2_b64 vcc, exec, s[10:11]
	s_cbranch_vccnz .LBB7_876
; %bb.875:
	global_load_dword v1, v[2:3], off
	s_andn2_b64 s[2:3], s[2:3], exec
	s_waitcnt vmcnt(0)
	v_cmp_ne_u32_e32 vcc, 0, v1
	s_and_b64 s[10:11], vcc, exec
	s_or_b64 s[2:3], s[2:3], s[10:11]
.LBB7_876:
	s_mov_b64 s[10:11], 0
.LBB7_877:
	s_andn2_b64 vcc, exec, s[10:11]
	s_cbranch_vccnz .LBB7_879
; %bb.878:
	global_load_ushort v1, v[2:3], off
	s_andn2_b64 s[2:3], s[2:3], exec
	s_waitcnt vmcnt(0)
	v_cmp_ne_u16_e32 vcc, 0, v1
	s_and_b64 s[10:11], vcc, exec
	s_or_b64 s[2:3], s[2:3], s[10:11]
.LBB7_879:
	s_cbranch_execnz .LBB7_885
.LBB7_880:
	s_sext_i32_i16 s2, s74
	s_cmp_gt_i32 s2, 0
	s_cbranch_scc0 .LBB7_882
; %bb.881:
	global_load_ubyte v1, v[2:3], off
	s_mov_b64 s[10:11], 0
	s_waitcnt vmcnt(0)
	v_cmp_ne_u16_e64 s[2:3], 0, v1
	s_branch .LBB7_883
.LBB7_882:
	s_mov_b64 s[10:11], -1
                                        ; implicit-def: $sgpr2_sgpr3
.LBB7_883:
	s_andn2_b64 vcc, exec, s[10:11]
	s_cbranch_vccnz .LBB7_885
; %bb.884:
	global_load_ubyte v1, v[2:3], off
	s_andn2_b64 s[2:3], s[2:3], exec
	s_waitcnt vmcnt(0)
	v_cmp_ne_u16_e32 vcc, 0, v1
	s_and_b64 s[10:11], vcc, exec
	s_or_b64 s[2:3], s[2:3], s[10:11]
.LBB7_885:
	s_andn2_b64 s[8:9], s[8:9], exec
	s_and_b64 s[2:3], s[2:3], exec
	s_or_b64 s[8:9], s[8:9], s[2:3]
	s_or_b64 s[12:13], s[12:13], exec
.LBB7_886:
	s_or_b64 exec, exec, s[6:7]
	s_mov_b64 s[16:17], 0
	s_mov_b64 s[14:15], 0
                                        ; implicit-def: $sgpr6_sgpr7
                                        ; implicit-def: $sgpr18
                                        ; implicit-def: $vgpr2_vgpr3
	s_and_saveexec_b64 s[10:11], s[12:13]
	s_cbranch_execz .LBB7_961
; %bb.887:
	s_xor_b64 s[6:7], s[8:9], -1
	v_mov_b32_e32 v1, 0
	s_and_b32 s18, s73, 0xff
	s_mov_b64 s[12:13], -1
	s_waitcnt lgkmcnt(0)
	v_lshl_add_u64 v[2:3], s[20:21], 0, v[0:1]
	s_mov_b64 s[8:9], 0
	s_cmp_lt_i32 s18, 11
	s_mov_b64 s[2:3], s[54:55]
	s_cbranch_scc1 .LBB7_965
; %bb.888:
	s_and_b32 s19, 0xffff, s18
	s_mov_b64 s[8:9], -1
	s_cmp_gt_i32 s19, 25
	s_mov_b64 s[2:3], s[54:55]
	s_cbranch_scc0 .LBB7_921
; %bb.889:
	s_cmp_gt_i32 s19, 28
	s_mov_b64 s[2:3], s[54:55]
	s_cbranch_scc0 .LBB7_905
; %bb.890:
	;; [unrolled: 4-line block ×4, first 2 shown]
	s_cmp_eq_u32 s19, 46
	s_mov_b64 s[2:3], -1
	s_cbranch_scc0 .LBB7_894
; %bb.893:
	v_cndmask_b32_e64 v0, 0, 1.0, s[6:7]
	v_bfe_u32 v1, v0, 16, 1
	s_movk_i32 s2, 0x7fff
	v_add3_u32 v0, v0, v1, s2
	v_lshrrev_b32_e32 v0, 16, v0
	global_store_dword v[2:3], v0, off
	s_mov_b64 s[2:3], 0
.LBB7_894:
	s_mov_b64 s[8:9], 0
.LBB7_895:
	s_and_b64 vcc, exec, s[8:9]
	s_cbranch_vccz .LBB7_900
; %bb.896:
	s_cmp_eq_u32 s19, 44
	s_mov_b64 s[2:3], -1
	s_cbranch_scc0 .LBB7_900
; %bb.897:
	v_cndmask_b32_e64 v1, 0, 1.0, s[6:7]
	v_lshrrev_b32_e32 v0, 23, v1
	s_movk_i32 s2, 0xff
	v_cmp_ne_u32_e32 vcc, s2, v0
	v_mov_b32_e32 v4, 0xff
	s_and_saveexec_b64 s[8:9], vcc
; %bb.898:
	s_mov_b32 s2, 0x3fffff
	v_and_b32_e32 v4, 0x400000, v1
	v_and_or_b32 v1, v1, s2, v0
	v_cmp_ne_u32_e32 vcc, 0, v4
	v_cmp_ne_u32_e64 s[2:3], 0, v1
	s_and_b64 s[2:3], vcc, s[2:3]
	s_nop 0
	v_cndmask_b32_e64 v1, 0, 1, s[2:3]
	v_add_u32_e32 v4, v0, v1
; %bb.899:
	s_or_b64 exec, exec, s[8:9]
	global_store_byte v[2:3], v4, off
	s_mov_b64 s[2:3], 0
.LBB7_900:
	s_mov_b64 s[8:9], 0
.LBB7_901:
	s_and_b64 vcc, exec, s[8:9]
	s_cbranch_vccz .LBB7_904
; %bb.902:
	s_cmp_eq_u32 s19, 29
	s_mov_b64 s[2:3], -1
	s_cbranch_scc0 .LBB7_904
; %bb.903:
	s_mov_b32 s2, 0
	v_cndmask_b32_e64 v0, 0, 1, s[6:7]
	v_mov_b32_e32 v1, s2
	global_store_dwordx2 v[2:3], v[0:1], off
	s_mov_b64 s[2:3], 0
.LBB7_904:
	s_mov_b64 s[8:9], 0
.LBB7_905:
	s_and_b64 vcc, exec, s[8:9]
	s_cbranch_vccz .LBB7_920
; %bb.906:
	s_cmp_lt_i32 s19, 27
	s_mov_b64 s[8:9], -1
	s_cbranch_scc1 .LBB7_912
; %bb.907:
	s_cmp_gt_i32 s19, 27
	s_cbranch_scc0 .LBB7_909
; %bb.908:
	v_cndmask_b32_e64 v0, 0, 1, s[6:7]
	s_mov_b64 s[8:9], 0
	global_store_dword v[2:3], v0, off
.LBB7_909:
	s_andn2_b64 vcc, exec, s[8:9]
	s_cbranch_vccnz .LBB7_911
; %bb.910:
	v_cndmask_b32_e64 v0, 0, 1, s[6:7]
	global_store_short v[2:3], v0, off
.LBB7_911:
	s_mov_b64 s[8:9], 0
.LBB7_912:
	s_andn2_b64 vcc, exec, s[8:9]
	s_cbranch_vccnz .LBB7_920
; %bb.913:
	v_cndmask_b32_e64 v1, 0, 1.0, s[6:7]
	s_mov_b32 s8, 0x43800000
	v_cmp_gt_u32_e32 vcc, s8, v1
	v_mov_b32_e32 v4, 0x80
	s_and_saveexec_b64 s[8:9], vcc
	s_cbranch_execz .LBB7_919
; %bb.914:
	s_mov_b32 s12, 0x3bffffff
	v_cmp_lt_u32_e32 vcc, s12, v1
	s_mov_b64 s[12:13], 0
                                        ; implicit-def: $vgpr0
	s_and_saveexec_b64 s[14:15], vcc
	s_xor_b64 s[14:15], exec, s[14:15]
	s_cbranch_execz .LBB7_1076
; %bb.915:
	v_bfe_u32 v0, v1, 20, 1
	s_mov_b32 s16, 0x487ffff
	v_add3_u32 v0, v1, v0, s16
	s_mov_b64 s[12:13], exec
	v_lshrrev_b32_e32 v0, 20, v0
                                        ; implicit-def: $vgpr1
	s_andn2_saveexec_b64 s[14:15], s[14:15]
	s_cbranch_execnz .LBB7_1077
.LBB7_916:
	s_or_b64 exec, exec, s[14:15]
	v_mov_b32_e32 v4, 0
	s_and_saveexec_b64 s[14:15], s[12:13]
.LBB7_917:
	v_mov_b32_e32 v4, v0
.LBB7_918:
	s_or_b64 exec, exec, s[14:15]
.LBB7_919:
	s_or_b64 exec, exec, s[8:9]
	global_store_byte v[2:3], v4, off
.LBB7_920:
	s_mov_b64 s[8:9], 0
.LBB7_921:
	s_mov_b64 s[12:13], 0
	s_and_b64 vcc, exec, s[8:9]
	s_cbranch_vccz .LBB7_964
; %bb.922:
	s_cmp_gt_i32 s19, 22
	s_mov_b64 s[8:9], -1
	s_cbranch_scc0 .LBB7_954
; %bb.923:
	s_cmp_lt_i32 s19, 24
	s_cbranch_scc1 .LBB7_943
; %bb.924:
	s_cmp_gt_i32 s19, 24
	s_cbranch_scc0 .LBB7_932
; %bb.925:
	v_cndmask_b32_e64 v1, 0, 1.0, s[6:7]
	s_mov_b32 s8, 0x47800000
	v_cmp_gt_u32_e32 vcc, s8, v1
	v_mov_b32_e32 v4, 0x80
	s_and_saveexec_b64 s[8:9], vcc
	s_cbranch_execz .LBB7_931
; %bb.926:
	s_mov_b32 s14, 0x37ffffff
	v_cmp_lt_u32_e32 vcc, s14, v1
	s_mov_b64 s[14:15], 0
                                        ; implicit-def: $vgpr0
	s_and_saveexec_b64 s[16:17], vcc
	s_xor_b64 s[16:17], exec, s[16:17]
	s_cbranch_execz .LBB7_1183
; %bb.927:
	v_bfe_u32 v0, v1, 21, 1
	s_mov_b32 s20, 0x88fffff
	v_add3_u32 v0, v1, v0, s20
	s_mov_b64 s[14:15], exec
	v_lshrrev_b32_e32 v0, 21, v0
                                        ; implicit-def: $vgpr1
	s_andn2_saveexec_b64 s[16:17], s[16:17]
	s_cbranch_execnz .LBB7_1184
.LBB7_928:
	s_or_b64 exec, exec, s[16:17]
	v_mov_b32_e32 v4, 0
	s_and_saveexec_b64 s[16:17], s[14:15]
.LBB7_929:
	v_mov_b32_e32 v4, v0
.LBB7_930:
	s_or_b64 exec, exec, s[16:17]
.LBB7_931:
	s_or_b64 exec, exec, s[8:9]
	s_mov_b64 s[8:9], 0
	global_store_byte v[2:3], v4, off
.LBB7_932:
	s_and_b64 vcc, exec, s[8:9]
	s_cbranch_vccz .LBB7_942
; %bb.933:
	v_cndmask_b32_e64 v0, 0, 1.0, s[6:7]
	s_mov_b32 s8, 0x43f00000
	v_cmp_gt_u32_e32 vcc, s8, v0
                                        ; implicit-def: $vgpr1
	s_and_saveexec_b64 s[8:9], vcc
	s_xor_b64 s[8:9], exec, s[8:9]
	s_cbranch_execz .LBB7_939
; %bb.934:
	s_mov_b32 s14, 0x3c7fffff
	v_cmp_lt_u32_e32 vcc, s14, v0
                                        ; implicit-def: $vgpr1
	s_and_saveexec_b64 s[14:15], vcc
	s_xor_b64 s[14:15], exec, s[14:15]
; %bb.935:
	v_bfe_u32 v1, v0, 20, 1
	s_mov_b32 s16, 0x407ffff
	v_add3_u32 v0, v0, v1, s16
	v_lshrrev_b32_e32 v1, 20, v0
	v_and_b32_e32 v0, 0xff00000, v0
	s_mov_b32 s16, 0x7f00000
	v_mov_b32_e32 v4, 0x7e
	v_cmp_ne_u32_e32 vcc, s16, v0
                                        ; implicit-def: $vgpr0
	s_nop 1
	v_cndmask_b32_e32 v1, v4, v1, vcc
; %bb.936:
	s_andn2_saveexec_b64 s[14:15], s[14:15]
; %bb.937:
	v_add_f32_e32 v1, 0x46800000, v0
; %bb.938:
	s_or_b64 exec, exec, s[14:15]
                                        ; implicit-def: $vgpr0
.LBB7_939:
	s_andn2_saveexec_b64 s[8:9], s[8:9]
; %bb.940:
	s_mov_b32 s14, 0x7f800000
	v_mov_b32_e32 v1, 0x7e
	v_mov_b32_e32 v4, 0x7f
	v_cmp_lt_u32_e32 vcc, s14, v0
	s_nop 1
	v_cndmask_b32_e32 v1, v1, v4, vcc
; %bb.941:
	s_or_b64 exec, exec, s[8:9]
	global_store_byte v[2:3], v1, off
.LBB7_942:
	s_mov_b64 s[8:9], 0
.LBB7_943:
	s_andn2_b64 vcc, exec, s[8:9]
	s_cbranch_vccnz .LBB7_953
; %bb.944:
	v_cndmask_b32_e64 v0, 0, 1.0, s[6:7]
	s_mov_b32 s8, 0x47800000
	v_cmp_gt_u32_e32 vcc, s8, v0
                                        ; implicit-def: $vgpr1
	s_and_saveexec_b64 s[8:9], vcc
	s_xor_b64 s[8:9], exec, s[8:9]
	s_cbranch_execz .LBB7_950
; %bb.945:
	s_mov_b32 s14, 0x387fffff
	v_cmp_lt_u32_e32 vcc, s14, v0
                                        ; implicit-def: $vgpr1
	s_and_saveexec_b64 s[14:15], vcc
	s_xor_b64 s[14:15], exec, s[14:15]
; %bb.946:
	v_bfe_u32 v1, v0, 21, 1
	s_mov_b32 s16, 0x80fffff
	v_add3_u32 v0, v0, v1, s16
	v_lshrrev_b32_e32 v1, 21, v0
                                        ; implicit-def: $vgpr0
; %bb.947:
	s_andn2_saveexec_b64 s[14:15], s[14:15]
; %bb.948:
	v_add_f32_e32 v1, 0x43000000, v0
; %bb.949:
	s_or_b64 exec, exec, s[14:15]
                                        ; implicit-def: $vgpr0
.LBB7_950:
	s_andn2_saveexec_b64 s[8:9], s[8:9]
; %bb.951:
	s_mov_b32 s14, 0x7f800000
	v_mov_b32_e32 v1, 0x7c
	v_mov_b32_e32 v4, 0x7f
	v_cmp_lt_u32_e32 vcc, s14, v0
	s_nop 1
	v_cndmask_b32_e32 v1, v1, v4, vcc
; %bb.952:
	s_or_b64 exec, exec, s[8:9]
	global_store_byte v[2:3], v1, off
.LBB7_953:
	s_mov_b64 s[8:9], 0
.LBB7_954:
	s_andn2_b64 vcc, exec, s[8:9]
	s_mov_b64 s[8:9], 0
	s_cbranch_vccnz .LBB7_965
; %bb.955:
	s_cmp_gt_i32 s19, 14
	s_mov_b64 s[14:15], -1
	s_cbranch_scc0 .LBB7_959
; %bb.956:
	s_cmp_eq_u32 s19, 15
	s_mov_b64 s[2:3], -1
	s_cbranch_scc0 .LBB7_958
; %bb.957:
	v_cndmask_b32_e64 v0, 0, 1.0, s[6:7]
	v_bfe_u32 v1, v0, 16, 1
	s_movk_i32 s2, 0x7fff
	v_add3_u32 v0, v0, v1, s2
	global_store_short_d16_hi v[2:3], v0, off
	s_mov_b64 s[2:3], 0
.LBB7_958:
	s_mov_b64 s[14:15], 0
.LBB7_959:
	s_and_b64 vcc, exec, s[14:15]
	s_cbranch_vccz .LBB7_965
; %bb.960:
	s_cmp_lg_u32 s19, 11
	s_cselect_b64 s[14:15], -1, 0
	s_andn2_b64 s[2:3], s[2:3], exec
	s_and_b64 s[14:15], s[14:15], exec
	s_mov_b64 s[8:9], -1
	s_or_b64 s[2:3], s[2:3], s[14:15]
	s_branch .LBB7_965
.LBB7_961:
	s_or_b64 exec, exec, s[10:11]
	s_and_saveexec_b64 s[2:3], s[54:55]
	s_cbranch_execnz .LBB7_966
.LBB7_962:
	s_or_b64 exec, exec, s[2:3]
	s_and_saveexec_b64 s[2:3], s[16:17]
	s_xor_b64 s[2:3], exec, s[2:3]
	s_cbranch_execz .LBB7_967
.LBB7_963:
	v_cndmask_b32_e64 v0, 0, 1, s[6:7]
	global_store_byte v[2:3], v0, off
	s_or_b64 exec, exec, s[2:3]
	s_and_saveexec_b64 s[2:3], s[14:15]
	s_xor_b64 s[2:3], exec, s[2:3]
	s_cbranch_execz .LBB7_1005
	s_branch .LBB7_968
.LBB7_964:
	s_mov_b64 s[8:9], 0
.LBB7_965:
	s_and_b64 s[16:17], s[8:9], exec
	s_andn2_b64 s[8:9], s[54:55], exec
	s_and_b64 s[2:3], s[2:3], exec
	s_and_b64 s[14:15], s[12:13], exec
	s_or_b64 s[54:55], s[8:9], s[2:3]
	s_or_b64 exec, exec, s[10:11]
	s_and_saveexec_b64 s[2:3], s[54:55]
	s_cbranch_execz .LBB7_962
.LBB7_966:
	s_or_b64 s[4:5], s[4:5], exec
	s_andn2_b64 s[16:17], s[16:17], exec
	s_trap 2
	s_or_b64 exec, exec, s[2:3]
	s_and_saveexec_b64 s[2:3], s[16:17]
	s_xor_b64 s[2:3], exec, s[2:3]
	s_cbranch_execnz .LBB7_963
.LBB7_967:
	s_or_b64 exec, exec, s[2:3]
	s_and_saveexec_b64 s[2:3], s[14:15]
	s_xor_b64 s[2:3], exec, s[2:3]
	s_cbranch_execz .LBB7_1005
.LBB7_968:
	s_sext_i32_i16 s10, s18
	s_cmp_lt_i32 s10, 5
	s_mov_b64 s[8:9], -1
	s_cbranch_scc1 .LBB7_989
; %bb.969:
	s_cmp_lt_i32 s10, 8
	s_cbranch_scc1 .LBB7_979
; %bb.970:
	s_cmp_lt_i32 s10, 9
	s_cbranch_scc1 .LBB7_976
; %bb.971:
	s_cmp_gt_i32 s10, 9
	s_cbranch_scc0 .LBB7_973
; %bb.972:
	v_cndmask_b32_e64 v0, 0, 1, s[6:7]
	v_mov_b32_e32 v6, 0
	v_cvt_f64_u32_e32 v[4:5], v0
	v_mov_b32_e32 v7, v6
	s_mov_b64 s[8:9], 0
	global_store_dwordx4 v[2:3], v[4:7], off
.LBB7_973:
	s_andn2_b64 vcc, exec, s[8:9]
	s_cbranch_vccnz .LBB7_975
; %bb.974:
	v_cndmask_b32_e64 v0, 0, 1.0, s[6:7]
	v_mov_b32_e32 v1, 0
	global_store_dwordx2 v[2:3], v[0:1], off
.LBB7_975:
	s_mov_b64 s[8:9], 0
.LBB7_976:
	s_andn2_b64 vcc, exec, s[8:9]
	s_cbranch_vccnz .LBB7_978
; %bb.977:
	v_cndmask_b32_e64 v0, 0, 1.0, s[6:7]
	v_cvt_f16_f32_e32 v0, v0
	global_store_dword v[2:3], v0, off
.LBB7_978:
	s_mov_b64 s[8:9], 0
.LBB7_979:
	s_andn2_b64 vcc, exec, s[8:9]
	s_cbranch_vccnz .LBB7_988
; %bb.980:
	s_sext_i32_i16 s10, s18
	s_cmp_lt_i32 s10, 6
	s_mov_b64 s[8:9], -1
	s_cbranch_scc1 .LBB7_986
; %bb.981:
	s_cmp_gt_i32 s10, 6
	s_cbranch_scc0 .LBB7_983
; %bb.982:
	v_cndmask_b32_e64 v0, 0, 1, s[6:7]
	v_cvt_f64_u32_e32 v[0:1], v0
	s_mov_b64 s[8:9], 0
	global_store_dwordx2 v[2:3], v[0:1], off
.LBB7_983:
	s_andn2_b64 vcc, exec, s[8:9]
	s_cbranch_vccnz .LBB7_985
; %bb.984:
	v_cndmask_b32_e64 v0, 0, 1.0, s[6:7]
	global_store_dword v[2:3], v0, off
.LBB7_985:
	s_mov_b64 s[8:9], 0
.LBB7_986:
	s_andn2_b64 vcc, exec, s[8:9]
	s_cbranch_vccnz .LBB7_988
; %bb.987:
	v_cndmask_b32_e64 v0, 0, 1.0, s[6:7]
	v_cvt_f16_f32_e32 v0, v0
	global_store_short v[2:3], v0, off
.LBB7_988:
	s_mov_b64 s[8:9], 0
.LBB7_989:
	s_andn2_b64 vcc, exec, s[8:9]
	s_cbranch_vccnz .LBB7_1005
; %bb.990:
	s_sext_i32_i16 s10, s18
	s_cmp_lt_i32 s10, 2
	s_mov_b64 s[8:9], -1
	s_cbranch_scc1 .LBB7_1000
; %bb.991:
	s_cmp_lt_i32 s10, 3
	s_cbranch_scc1 .LBB7_997
; %bb.992:
	s_cmp_gt_i32 s10, 3
	s_cbranch_scc0 .LBB7_994
; %bb.993:
	s_mov_b32 s8, 0
	v_cndmask_b32_e64 v0, 0, 1, s[6:7]
	v_mov_b32_e32 v1, s8
	s_mov_b64 s[8:9], 0
	global_store_dwordx2 v[2:3], v[0:1], off
.LBB7_994:
	s_andn2_b64 vcc, exec, s[8:9]
	s_cbranch_vccnz .LBB7_996
; %bb.995:
	v_cndmask_b32_e64 v0, 0, 1, s[6:7]
	global_store_dword v[2:3], v0, off
.LBB7_996:
	s_mov_b64 s[8:9], 0
.LBB7_997:
	s_andn2_b64 vcc, exec, s[8:9]
	s_cbranch_vccnz .LBB7_999
; %bb.998:
	v_cndmask_b32_e64 v0, 0, 1, s[6:7]
	global_store_short v[2:3], v0, off
.LBB7_999:
	s_mov_b64 s[8:9], 0
.LBB7_1000:
	s_andn2_b64 vcc, exec, s[8:9]
	s_cbranch_vccnz .LBB7_1005
; %bb.1001:
	s_sext_i32_i16 s8, s18
	s_cmp_gt_i32 s8, 0
	s_mov_b64 s[8:9], -1
	s_cbranch_scc0 .LBB7_1003
; %bb.1002:
	v_cndmask_b32_e64 v0, 0, 1, s[6:7]
	s_mov_b64 s[8:9], 0
	global_store_byte v[2:3], v0, off
.LBB7_1003:
	s_andn2_b64 vcc, exec, s[8:9]
	s_cbranch_vccnz .LBB7_1005
; %bb.1004:
	v_cndmask_b32_e64 v0, 0, 1, s[6:7]
	global_store_byte v[2:3], v0, off
.LBB7_1005:
	s_or_b64 exec, exec, s[2:3]
	s_waitcnt lgkmcnt(0)
	s_and_b64 s[24:25], s[4:5], exec
                                        ; implicit-def: $vgpr16
                                        ; implicit-def: $vgpr8
.LBB7_1006:
	s_or_saveexec_b64 s[26:27], s[44:45]
	s_mov_b64 s[8:9], 0
                                        ; implicit-def: $sgpr6_sgpr7
                                        ; implicit-def: $vgpr0_vgpr1
                                        ; implicit-def: $sgpr20
	s_xor_b64 exec, exec, s[26:27]
	s_cbranch_execz .LBB7_1935
; %bb.1007:
	v_cndmask_b32_e64 v0, 0, 1, s[42:43]
	v_cmp_ne_u32_e64 s[2:3], 1, v0
	s_andn2_b64 vcc, exec, s[42:43]
	s_cbranch_vccnz .LBB7_1013
; %bb.1008:
	s_cmp_lg_u32 s33, 0
	s_mov_b32 s36, 0
	s_cbranch_scc0 .LBB7_1014
; %bb.1009:
	s_min_u32 s37, s72, 15
	s_add_i32 s37, s37, 1
	s_cmp_eq_u32 s72, 2
	s_cbranch_scc1 .LBB7_1015
; %bb.1010:
	s_and_b32 s36, s37, 28
	s_add_u32 s28, s34, 0xc4
	s_addc_u32 s29, s35, 0
	s_mov_b32 s38, 0
	v_mov_b32_e32 v6, 0
	v_mov_b32_e32 v14, 0
	s_mov_b64 s[30:31], s[34:35]
	v_mov_b32_e32 v0, v8
.LBB7_1011:                             ; =>This Inner Loop Header: Depth=1
	s_load_dwordx8 s[12:19], s[30:31], 0x4
	s_load_dwordx4 s[20:23], s[30:31], 0x24
	s_load_dwordx8 s[4:11], s[28:29], 0x0
	s_add_u32 s30, s30, 48
	s_addc_u32 s31, s31, 0
	s_waitcnt lgkmcnt(0)
	v_mul_hi_u32 v1, s13, v0
	v_add_u32_e32 v1, v0, v1
	v_lshrrev_b32_e32 v1, s14, v1
	v_mul_lo_u32 v2, v1, s12
	v_mul_hi_u32 v3, s16, v1
	v_sub_u32_e32 v0, v0, v2
	v_add_u32_e32 v2, v1, v3
	v_lshrrev_b32_e32 v2, s17, v2
	v_mul_lo_u32 v4, v2, s15
	v_mul_hi_u32 v5, s19, v2
	v_sub_u32_e32 v1, v1, v4
	v_add_u32_e32 v4, v2, v5
	v_mul_lo_u32 v3, v0, s5
	v_mul_lo_u32 v0, v0, s4
	;; [unrolled: 1-line block ×4, first 2 shown]
	v_lshrrev_b32_e32 v4, s20, v4
	v_add3_u32 v1, v0, v6, v1
	v_add3_u32 v3, v3, v14, v5
	v_mul_lo_u32 v0, v4, s18
	v_mul_hi_u32 v5, s22, v4
	v_sub_u32_e32 v0, v2, v0
	v_add_u32_e32 v2, v4, v5
	v_mul_lo_u32 v5, v0, s8
	v_mul_lo_u32 v6, v0, s9
	v_lshrrev_b32_e32 v0, s23, v2
	s_add_i32 s38, s38, 4
	v_mul_lo_u32 v2, v0, s21
	s_add_u32 s28, s28, 32
	v_sub_u32_e32 v2, v4, v2
	s_addc_u32 s29, s29, 0
	v_mul_lo_u32 v4, v2, s10
	v_mul_lo_u32 v2, v2, s11
	s_cmp_lg_u32 s36, s38
	v_add3_u32 v14, v6, v3, v2
	v_add3_u32 v6, v5, v1, v4
	s_cbranch_scc1 .LBB7_1011
; %bb.1012:
	v_mov_b32_e32 v1, v14
	s_and_b32 s8, s37, 3
	s_cmp_eq_u32 s8, 0
	s_cbranch_scc0 .LBB7_1016
	s_branch .LBB7_1018
.LBB7_1013:
                                        ; implicit-def: $vgpr14
                                        ; implicit-def: $vgpr6
	s_branch .LBB7_1019
.LBB7_1014:
	v_mov_b32_e32 v14, 0
	v_mov_b32_e32 v6, 0
	s_branch .LBB7_1018
.LBB7_1015:
	v_mov_b32_e32 v6, 0
                                        ; implicit-def: $vgpr14
	v_mov_b32_e32 v1, v6
	v_mov_b32_e32 v0, v8
	s_and_b32 s8, s37, 3
	s_cmp_eq_u32 s8, 0
	s_cbranch_scc1 .LBB7_1018
.LBB7_1016:
	s_lshl_b32 s4, s36, 3
	s_add_u32 s4, s34, s4
	s_addc_u32 s5, s35, 0
	s_add_u32 s4, s4, 0xc4
	s_addc_u32 s5, s5, 0
	s_mul_i32 s6, s36, 12
	s_add_u32 s6, s34, s6
	s_addc_u32 s7, s35, 0
.LBB7_1017:                             ; =>This Inner Loop Header: Depth=1
	s_load_dwordx2 s[10:11], s[6:7], 0x4
	s_load_dword s9, s[6:7], 0xc
	s_load_dwordx2 s[12:13], s[4:5], 0x0
	v_mov_b32_e32 v2, v1
	s_add_u32 s6, s6, 12
	s_waitcnt lgkmcnt(0)
	v_mul_hi_u32 v1, s11, v0
	v_add_u32_e32 v1, v0, v1
	v_lshrrev_b32_e32 v1, s9, v1
	s_addc_u32 s7, s7, 0
	v_mul_lo_u32 v3, v1, s10
	s_add_u32 s4, s4, 8
	v_sub_u32_e32 v3, v0, v3
	s_addc_u32 s5, s5, 0
	s_add_i32 s8, s8, -1
	v_mad_u64_u32 v[14:15], s[10:11], v3, s13, v[2:3]
	s_cmp_lg_u32 s8, 0
	v_mov_b32_e32 v0, v1
	v_mad_u64_u32 v[6:7], s[10:11], v3, s12, v[6:7]
	v_mov_b32_e32 v1, v14
	s_cbranch_scc1 .LBB7_1017
.LBB7_1018:
	s_cbranch_execnz .LBB7_1021
.LBB7_1019:
	s_load_dwordx4 s[4:7], s[34:35], 0x4
	s_load_dwordx2 s[8:9], s[34:35], 0xc4
	s_cmp_lt_u32 s33, 2
	s_waitcnt lgkmcnt(0)
	v_mul_hi_u32 v0, s5, v8
	v_add_u32_e32 v0, v8, v0
	v_lshrrev_b32_e32 v0, s6, v0
	v_mul_lo_u32 v1, v0, s4
	v_sub_u32_e32 v1, v8, v1
	v_mul_lo_u32 v14, v1, s9
	v_mul_lo_u32 v6, v1, s8
	s_cbranch_scc1 .LBB7_1021
; %bb.1020:
	s_load_dwordx4 s[4:7], s[34:35], 0x10
	s_load_dwordx2 s[8:9], s[34:35], 0xcc
	s_waitcnt lgkmcnt(0)
	v_mul_hi_u32 v1, s5, v0
	v_add_u32_e32 v1, v0, v1
	v_lshrrev_b32_e32 v1, s6, v1
	v_mul_lo_u32 v1, v1, s4
	v_sub_u32_e32 v0, v0, v1
	v_mad_u64_u32 v[6:7], s[4:5], v0, s8, v[6:7]
	v_mad_u64_u32 v[14:15], s[4:5], v0, s9, v[14:15]
.LBB7_1021:
	s_and_b64 vcc, exec, s[2:3]
	v_add_u32_e32 v0, 0x80, v8
	s_cbranch_vccnz .LBB7_1027
; %bb.1022:
	s_cmp_lg_u32 s33, 0
	s_mov_b32 s36, 0
	s_cbranch_scc0 .LBB7_1028
; %bb.1023:
	s_min_u32 s37, s72, 15
	s_add_i32 s37, s37, 1
	s_cmp_eq_u32 s72, 2
	s_cbranch_scc1 .LBB7_1029
; %bb.1024:
	s_and_b32 s36, s37, 28
	s_add_u32 s28, s34, 0xc4
	s_addc_u32 s29, s35, 0
	s_mov_b32 s38, 0
	v_mov_b32_e32 v4, 0
	v_mov_b32_e32 v12, 0
	s_mov_b64 s[30:31], s[34:35]
	v_mov_b32_e32 v2, v0
.LBB7_1025:                             ; =>This Inner Loop Header: Depth=1
	s_load_dwordx8 s[12:19], s[30:31], 0x4
	s_load_dwordx4 s[20:23], s[30:31], 0x24
	s_load_dwordx8 s[4:11], s[28:29], 0x0
	s_add_u32 s30, s30, 48
	s_addc_u32 s31, s31, 0
	s_waitcnt lgkmcnt(0)
	v_mul_hi_u32 v1, s13, v2
	v_add_u32_e32 v1, v2, v1
	v_lshrrev_b32_e32 v1, s14, v1
	v_mul_lo_u32 v3, v1, s12
	v_mul_hi_u32 v5, s16, v1
	v_sub_u32_e32 v2, v2, v3
	v_add_u32_e32 v3, v1, v5
	v_lshrrev_b32_e32 v3, s17, v3
	v_mul_lo_u32 v7, v3, s15
	v_mul_hi_u32 v9, s19, v3
	v_sub_u32_e32 v1, v1, v7
	v_add_u32_e32 v7, v3, v9
	v_mul_lo_u32 v5, v2, s5
	v_mul_lo_u32 v2, v2, s4
	;; [unrolled: 1-line block ×4, first 2 shown]
	v_lshrrev_b32_e32 v7, s20, v7
	v_add3_u32 v1, v2, v4, v1
	v_add3_u32 v4, v5, v12, v9
	v_mul_lo_u32 v2, v7, s18
	v_mul_hi_u32 v5, s22, v7
	v_sub_u32_e32 v2, v3, v2
	v_add_u32_e32 v3, v7, v5
	v_mul_lo_u32 v5, v2, s8
	v_mul_lo_u32 v9, v2, s9
	v_lshrrev_b32_e32 v2, s23, v3
	s_add_i32 s38, s38, 4
	v_mul_lo_u32 v3, v2, s21
	s_add_u32 s28, s28, 32
	v_sub_u32_e32 v3, v7, v3
	s_addc_u32 s29, s29, 0
	v_mul_lo_u32 v7, v3, s10
	v_mul_lo_u32 v3, v3, s11
	s_cmp_lg_u32 s36, s38
	v_add3_u32 v12, v9, v4, v3
	v_add3_u32 v4, v5, v1, v7
	s_cbranch_scc1 .LBB7_1025
; %bb.1026:
	v_mov_b32_e32 v1, v12
	s_and_b32 s8, s37, 3
	s_cmp_eq_u32 s8, 0
	s_cbranch_scc0 .LBB7_1030
	s_branch .LBB7_1032
.LBB7_1027:
                                        ; implicit-def: $vgpr12
                                        ; implicit-def: $vgpr4
	s_branch .LBB7_1033
.LBB7_1028:
	v_mov_b32_e32 v12, 0
	v_mov_b32_e32 v4, 0
	s_branch .LBB7_1032
.LBB7_1029:
	v_mov_b32_e32 v4, 0
                                        ; implicit-def: $vgpr12
	v_mov_b32_e32 v1, v4
	v_mov_b32_e32 v2, v0
	s_and_b32 s8, s37, 3
	s_cmp_eq_u32 s8, 0
	s_cbranch_scc1 .LBB7_1032
.LBB7_1030:
	s_lshl_b32 s4, s36, 3
	s_add_u32 s4, s34, s4
	s_addc_u32 s5, s35, 0
	s_add_u32 s4, s4, 0xc4
	s_addc_u32 s5, s5, 0
	s_mul_i32 s6, s36, 12
	s_add_u32 s6, s34, s6
	s_addc_u32 s7, s35, 0
.LBB7_1031:                             ; =>This Inner Loop Header: Depth=1
	s_load_dwordx2 s[10:11], s[6:7], 0x4
	s_load_dword s9, s[6:7], 0xc
	s_load_dwordx2 s[12:13], s[4:5], 0x0
	v_mov_b32_e32 v10, v1
	s_add_u32 s6, s6, 12
	s_waitcnt lgkmcnt(0)
	v_mul_hi_u32 v1, s11, v2
	v_add_u32_e32 v1, v2, v1
	v_lshrrev_b32_e32 v1, s9, v1
	s_addc_u32 s7, s7, 0
	v_mul_lo_u32 v3, v1, s10
	s_add_u32 s4, s4, 8
	v_sub_u32_e32 v3, v2, v3
	s_addc_u32 s5, s5, 0
	s_add_i32 s8, s8, -1
	v_mad_u64_u32 v[12:13], s[10:11], v3, s13, v[10:11]
	s_cmp_lg_u32 s8, 0
	v_mov_b32_e32 v2, v1
	v_mad_u64_u32 v[4:5], s[10:11], v3, s12, v[4:5]
	v_mov_b32_e32 v1, v12
	s_cbranch_scc1 .LBB7_1031
.LBB7_1032:
	s_cbranch_execnz .LBB7_1035
.LBB7_1033:
	s_load_dwordx4 s[4:7], s[34:35], 0x4
	s_load_dwordx2 s[8:9], s[34:35], 0xc4
	s_cmp_lt_u32 s33, 2
	s_waitcnt lgkmcnt(0)
	v_mul_hi_u32 v1, s5, v0
	v_add_u32_e32 v1, v0, v1
	v_lshrrev_b32_e32 v1, s6, v1
	v_mul_lo_u32 v2, v1, s4
	v_sub_u32_e32 v0, v0, v2
	v_mul_lo_u32 v12, v0, s9
	v_mul_lo_u32 v4, v0, s8
	s_cbranch_scc1 .LBB7_1035
; %bb.1034:
	s_load_dwordx4 s[4:7], s[34:35], 0x10
	s_load_dwordx2 s[8:9], s[34:35], 0xcc
	s_waitcnt lgkmcnt(0)
	v_mul_hi_u32 v0, s5, v1
	v_add_u32_e32 v0, v1, v0
	v_lshrrev_b32_e32 v0, s6, v0
	v_mul_lo_u32 v0, v0, s4
	v_sub_u32_e32 v0, v1, v0
	v_mad_u64_u32 v[4:5], s[4:5], v0, s8, v[4:5]
	v_mad_u64_u32 v[12:13], s[4:5], v0, s9, v[12:13]
.LBB7_1035:
	s_and_b64 vcc, exec, s[2:3]
	v_add_u32_e32 v0, 0x100, v8
	s_cbranch_vccnz .LBB7_1041
; %bb.1036:
	s_cmp_lg_u32 s33, 0
	s_mov_b32 s36, 0
	s_cbranch_scc0 .LBB7_1042
; %bb.1037:
	s_min_u32 s37, s72, 15
	s_add_i32 s37, s37, 1
	s_cmp_eq_u32 s72, 2
	s_cbranch_scc1 .LBB7_1043
; %bb.1038:
	s_and_b32 s36, s37, 28
	s_add_u32 s28, s34, 0xc4
	s_addc_u32 s29, s35, 0
	s_mov_b32 s38, 0
	v_mov_b32_e32 v2, 0
	v_mov_b32_e32 v10, 0
	s_mov_b64 s[30:31], s[34:35]
	v_mov_b32_e32 v5, v0
.LBB7_1039:                             ; =>This Inner Loop Header: Depth=1
	s_load_dwordx8 s[12:19], s[30:31], 0x4
	s_load_dwordx4 s[20:23], s[30:31], 0x24
	s_load_dwordx8 s[4:11], s[28:29], 0x0
	s_add_u32 s30, s30, 48
	s_addc_u32 s31, s31, 0
	s_waitcnt lgkmcnt(0)
	v_mul_hi_u32 v1, s13, v5
	v_add_u32_e32 v1, v5, v1
	v_lshrrev_b32_e32 v1, s14, v1
	v_mul_lo_u32 v3, v1, s12
	v_mul_hi_u32 v7, s16, v1
	v_sub_u32_e32 v3, v5, v3
	v_add_u32_e32 v5, v1, v7
	v_lshrrev_b32_e32 v5, s17, v5
	v_mul_lo_u32 v8, v5, s15
	v_mul_hi_u32 v9, s19, v5
	v_sub_u32_e32 v1, v1, v8
	v_add_u32_e32 v8, v5, v9
	v_mul_lo_u32 v7, v3, s5
	v_mul_lo_u32 v3, v3, s4
	;; [unrolled: 1-line block ×4, first 2 shown]
	v_lshrrev_b32_e32 v8, s20, v8
	v_add3_u32 v1, v3, v2, v1
	v_add3_u32 v2, v7, v10, v9
	v_mul_lo_u32 v3, v8, s18
	v_mul_hi_u32 v7, s22, v8
	v_sub_u32_e32 v3, v5, v3
	v_add_u32_e32 v5, v8, v7
	v_lshrrev_b32_e32 v5, s23, v5
	s_add_i32 s38, s38, 4
	v_mul_lo_u32 v9, v5, s21
	s_add_u32 s28, s28, 32
	v_sub_u32_e32 v8, v8, v9
	s_addc_u32 s29, s29, 0
	v_mul_lo_u32 v7, v3, s8
	v_mul_lo_u32 v3, v3, s9
	;; [unrolled: 1-line block ×4, first 2 shown]
	s_cmp_lg_u32 s36, s38
	v_add3_u32 v10, v3, v2, v8
	v_add3_u32 v2, v7, v1, v9
	s_cbranch_scc1 .LBB7_1039
; %bb.1040:
	v_mov_b32_e32 v1, v10
	s_and_b32 s8, s37, 3
	s_cmp_eq_u32 s8, 0
	s_cbranch_scc0 .LBB7_1044
	s_branch .LBB7_1046
.LBB7_1041:
                                        ; implicit-def: $vgpr10
                                        ; implicit-def: $vgpr2
	s_branch .LBB7_1047
.LBB7_1042:
	v_mov_b32_e32 v10, 0
	v_mov_b32_e32 v2, 0
	s_branch .LBB7_1046
.LBB7_1043:
	v_mov_b32_e32 v2, 0
                                        ; implicit-def: $vgpr10
	v_mov_b32_e32 v1, v2
	v_mov_b32_e32 v5, v0
	s_and_b32 s8, s37, 3
	s_cmp_eq_u32 s8, 0
	s_cbranch_scc1 .LBB7_1046
.LBB7_1044:
	s_lshl_b32 s4, s36, 3
	s_add_u32 s4, s34, s4
	s_addc_u32 s5, s35, 0
	s_add_u32 s4, s4, 0xc4
	s_addc_u32 s5, s5, 0
	s_mul_i32 s6, s36, 12
	s_add_u32 s6, s34, s6
	s_addc_u32 s7, s35, 0
.LBB7_1045:                             ; =>This Inner Loop Header: Depth=1
	s_load_dwordx2 s[10:11], s[6:7], 0x4
	s_load_dword s9, s[6:7], 0xc
	s_load_dwordx2 s[12:13], s[4:5], 0x0
	v_mov_b32_e32 v8, v1
	s_add_u32 s6, s6, 12
	s_waitcnt lgkmcnt(0)
	v_mul_hi_u32 v1, s11, v5
	v_add_u32_e32 v1, v5, v1
	v_lshrrev_b32_e32 v1, s9, v1
	s_addc_u32 s7, s7, 0
	v_mul_lo_u32 v3, v1, s10
	s_add_u32 s4, s4, 8
	v_sub_u32_e32 v3, v5, v3
	s_addc_u32 s5, s5, 0
	s_add_i32 s8, s8, -1
	v_mad_u64_u32 v[10:11], s[10:11], v3, s13, v[8:9]
	s_cmp_lg_u32 s8, 0
	v_mov_b32_e32 v5, v1
	v_mad_u64_u32 v[2:3], s[10:11], v3, s12, v[2:3]
	v_mov_b32_e32 v1, v10
	s_cbranch_scc1 .LBB7_1045
.LBB7_1046:
	s_cbranch_execnz .LBB7_1049
.LBB7_1047:
	s_load_dwordx4 s[4:7], s[34:35], 0x4
	s_load_dwordx2 s[8:9], s[34:35], 0xc4
	s_cmp_lt_u32 s33, 2
	s_waitcnt lgkmcnt(0)
	v_mul_hi_u32 v1, s5, v0
	v_add_u32_e32 v1, v0, v1
	v_lshrrev_b32_e32 v1, s6, v1
	v_mul_lo_u32 v2, v1, s4
	v_sub_u32_e32 v0, v0, v2
	v_mul_lo_u32 v10, v0, s9
	v_mul_lo_u32 v2, v0, s8
	s_cbranch_scc1 .LBB7_1049
; %bb.1048:
	s_load_dwordx4 s[4:7], s[34:35], 0x10
	s_load_dwordx2 s[8:9], s[34:35], 0xcc
	s_waitcnt lgkmcnt(0)
	v_mul_hi_u32 v0, s5, v1
	v_add_u32_e32 v0, v1, v0
	v_lshrrev_b32_e32 v0, s6, v0
	v_mul_lo_u32 v0, v0, s4
	v_sub_u32_e32 v0, v1, v0
	v_mad_u64_u32 v[2:3], s[4:5], v0, s8, v[2:3]
	v_mad_u64_u32 v[10:11], s[4:5], v0, s9, v[10:11]
.LBB7_1049:
	s_and_b64 vcc, exec, s[2:3]
	s_cbranch_vccnz .LBB7_1055
; %bb.1050:
	s_cmp_lg_u32 s33, 0
	s_mov_b32 s30, 0
	s_cbranch_scc0 .LBB7_1056
; %bb.1051:
	s_min_u32 s31, s72, 15
	s_add_i32 s31, s31, 1
	s_cmp_eq_u32 s72, 2
	s_cbranch_scc1 .LBB7_1057
; %bb.1052:
	s_and_b32 s30, s31, 28
	s_add_u32 s2, s34, 0xc4
	s_addc_u32 s3, s35, 0
	s_mov_b32 s36, 0
	v_mov_b32_e32 v0, 0
	v_mov_b32_e32 v8, 0
	s_mov_b64 s[28:29], s[34:35]
	v_mov_b32_e32 v3, v16
.LBB7_1053:                             ; =>This Inner Loop Header: Depth=1
	s_load_dwordx8 s[12:19], s[28:29], 0x4
	s_load_dwordx4 s[20:23], s[28:29], 0x24
	s_load_dwordx8 s[4:11], s[2:3], 0x0
	s_add_u32 s28, s28, 48
	s_addc_u32 s29, s29, 0
	s_waitcnt lgkmcnt(0)
	v_mul_hi_u32 v1, s13, v3
	v_add_u32_e32 v1, v3, v1
	v_lshrrev_b32_e32 v1, s14, v1
	v_mul_lo_u32 v5, v1, s12
	v_mul_hi_u32 v7, s16, v1
	v_sub_u32_e32 v3, v3, v5
	v_add_u32_e32 v5, v1, v7
	v_lshrrev_b32_e32 v5, s17, v5
	v_mul_lo_u32 v9, v5, s15
	v_mul_hi_u32 v11, s19, v5
	v_sub_u32_e32 v1, v1, v9
	v_add_u32_e32 v9, v5, v11
	v_mul_lo_u32 v7, v3, s5
	v_mul_lo_u32 v3, v3, s4
	;; [unrolled: 1-line block ×4, first 2 shown]
	v_lshrrev_b32_e32 v9, s20, v9
	v_add3_u32 v0, v3, v0, v1
	v_add3_u32 v1, v7, v8, v11
	v_mul_lo_u32 v3, v9, s18
	v_mul_hi_u32 v7, s22, v9
	v_sub_u32_e32 v3, v5, v3
	v_add_u32_e32 v5, v9, v7
	v_mul_lo_u32 v7, v3, s8
	v_mul_lo_u32 v8, v3, s9
	v_lshrrev_b32_e32 v3, s23, v5
	s_add_i32 s36, s36, 4
	v_mul_lo_u32 v5, v3, s21
	s_add_u32 s2, s2, 32
	v_sub_u32_e32 v5, v9, v5
	s_addc_u32 s3, s3, 0
	v_mul_lo_u32 v9, v5, s10
	v_mul_lo_u32 v5, v5, s11
	s_cmp_lg_u32 s30, s36
	v_add3_u32 v8, v8, v1, v5
	v_add3_u32 v0, v7, v0, v9
	s_cbranch_scc1 .LBB7_1053
; %bb.1054:
	v_mov_b32_e32 v1, v8
	s_and_b32 s6, s31, 3
	s_cmp_eq_u32 s6, 0
	s_cbranch_scc0 .LBB7_1058
	s_branch .LBB7_1060
.LBB7_1055:
                                        ; implicit-def: $vgpr8
                                        ; implicit-def: $vgpr0
	s_branch .LBB7_1061
.LBB7_1056:
	v_mov_b32_e32 v8, 0
	v_mov_b32_e32 v0, 0
	s_branch .LBB7_1060
.LBB7_1057:
	v_mov_b32_e32 v0, 0
                                        ; implicit-def: $vgpr8
	v_mov_b32_e32 v1, v0
	v_mov_b32_e32 v3, v16
	s_and_b32 s6, s31, 3
	s_cmp_eq_u32 s6, 0
	s_cbranch_scc1 .LBB7_1060
.LBB7_1058:
	s_lshl_b32 s2, s30, 3
	s_add_u32 s2, s34, s2
	s_addc_u32 s3, s35, 0
	s_add_u32 s2, s2, 0xc4
	s_addc_u32 s3, s3, 0
	s_mul_i32 s4, s30, 12
	s_add_u32 s4, s34, s4
	s_addc_u32 s5, s35, 0
.LBB7_1059:                             ; =>This Inner Loop Header: Depth=1
	s_load_dwordx2 s[8:9], s[4:5], 0x4
	s_load_dword s7, s[4:5], 0xc
	s_load_dwordx2 s[10:11], s[2:3], 0x0
	v_mov_b32_e32 v8, v1
	s_add_u32 s4, s4, 12
	s_waitcnt lgkmcnt(0)
	v_mul_hi_u32 v1, s9, v3
	v_add_u32_e32 v1, v3, v1
	v_lshrrev_b32_e32 v1, s7, v1
	s_addc_u32 s5, s5, 0
	v_mul_lo_u32 v5, v1, s8
	s_add_u32 s2, s2, 8
	v_sub_u32_e32 v5, v3, v5
	s_addc_u32 s3, s3, 0
	s_add_i32 s6, s6, -1
	v_mov_b32_e32 v3, v1
	v_mad_u64_u32 v[8:9], s[8:9], v5, s11, v[8:9]
	v_mad_u64_u32 v[0:1], s[8:9], v5, s10, v[0:1]
	s_cmp_lg_u32 s6, 0
	v_mov_b32_e32 v1, v8
	s_cbranch_scc1 .LBB7_1059
.LBB7_1060:
	s_cbranch_execnz .LBB7_1063
.LBB7_1061:
	s_load_dwordx4 s[4:7], s[34:35], 0x4
	s_load_dwordx2 s[2:3], s[34:35], 0xc4
	s_cmp_lt_u32 s33, 2
	s_waitcnt lgkmcnt(0)
	v_mul_hi_u32 v0, s5, v16
	v_add_u32_e32 v0, v16, v0
	v_lshrrev_b32_e32 v1, s6, v0
	v_mul_lo_u32 v0, v1, s4
	v_sub_u32_e32 v0, v16, v0
	v_mul_lo_u32 v8, v0, s3
	v_mul_lo_u32 v0, v0, s2
	s_cbranch_scc1 .LBB7_1063
; %bb.1062:
	s_load_dwordx4 s[4:7], s[34:35], 0x10
	s_load_dwordx2 s[2:3], s[34:35], 0xcc
	s_waitcnt lgkmcnt(0)
	v_mul_hi_u32 v3, s5, v1
	v_add_u32_e32 v3, v1, v3
	v_lshrrev_b32_e32 v3, s6, v3
	v_mul_lo_u32 v3, v3, s4
	v_sub_u32_e32 v3, v1, v3
	v_mad_u64_u32 v[0:1], s[4:5], v3, s2, v[0:1]
	v_mad_u64_u32 v[8:9], s[2:3], v3, s3, v[8:9]
.LBB7_1063:
	s_load_dword s22, s[0:1], 0x160
	s_load_dwordx4 s[4:7], s[34:35], 0x148
	v_mov_b32_e32 v15, 0
	s_waitcnt lgkmcnt(0)
	s_bfe_u32 s14, s22, 0x80010
	s_cmp_lt_i32 s14, 11
	v_lshl_add_u64 v[14:15], s[6:7], 0, v[14:15]
	s_cbranch_scc1 .LBB7_1070
; %bb.1064:
	s_and_b32 s15, 0xffff, s14
	s_cmp_gt_i32 s15, 25
	s_mov_b64 s[10:11], 0
	s_cbranch_scc0 .LBB7_1072
; %bb.1065:
	s_cmp_gt_i32 s15, 28
	s_cbranch_scc0 .LBB7_1073
; %bb.1066:
	s_cmp_gt_i32 s15, 43
	;; [unrolled: 3-line block ×3, first 2 shown]
	s_cbranch_scc0 .LBB7_1075
; %bb.1068:
	s_cmp_eq_u32 s15, 46
	s_mov_b64 s[2:3], 0
	s_cbranch_scc0 .LBB7_1078
; %bb.1069:
	global_load_dword v1, v[14:15], off
	s_mov_b64 s[0:1], 0
	s_mov_b64 s[8:9], -1
	s_waitcnt vmcnt(0)
	v_and_b32_e32 v1, 0x7fff7fff, v1
	v_cmp_ne_u32_e64 s[12:13], 0, v1
	s_branch .LBB7_1079
.LBB7_1070:
	s_mov_b64 s[8:9], 0
                                        ; implicit-def: $sgpr12_sgpr13
	s_mov_b64 s[2:3], s[24:25]
	s_cbranch_execnz .LBB7_1124
.LBB7_1071:
	s_andn2_b64 vcc, exec, s[8:9]
	s_cbranch_vccz .LBB7_1169
	s_branch .LBB7_1933
.LBB7_1072:
	s_mov_b64 s[8:9], 0
	s_mov_b64 s[0:1], 0
                                        ; implicit-def: $sgpr12_sgpr13
	s_cbranch_execnz .LBB7_1099
	s_branch .LBB7_1120
.LBB7_1073:
	s_mov_b64 s[2:3], -1
	s_mov_b64 s[8:9], 0
	s_mov_b64 s[0:1], 0
                                        ; implicit-def: $sgpr12_sgpr13
	s_branch .LBB7_1086
.LBB7_1074:
	s_mov_b64 s[8:9], 0
	s_mov_b64 s[0:1], 0
                                        ; implicit-def: $sgpr12_sgpr13
	s_cbranch_execnz .LBB7_1082
	s_branch .LBB7_1085
.LBB7_1075:
	s_mov_b64 s[2:3], -1
	s_mov_b64 s[8:9], 0
	s_mov_b64 s[0:1], 0
                                        ; implicit-def: $sgpr12_sgpr13
	s_branch .LBB7_1079
.LBB7_1076:
	s_andn2_saveexec_b64 s[14:15], s[14:15]
	s_cbranch_execz .LBB7_916
.LBB7_1077:
	v_add_f32_e32 v0, 0x46000000, v1
	v_and_b32_e32 v0, 0xff, v0
	v_cmp_ne_u32_e32 vcc, 0, v0
	s_andn2_b64 s[12:13], s[12:13], exec
	s_and_b64 s[16:17], vcc, exec
	s_or_b64 s[12:13], s[12:13], s[16:17]
	s_or_b64 exec, exec, s[14:15]
	v_mov_b32_e32 v4, 0
	s_and_saveexec_b64 s[14:15], s[12:13]
	s_cbranch_execnz .LBB7_917
	s_branch .LBB7_918
.LBB7_1078:
	s_mov_b64 s[0:1], -1
                                        ; implicit-def: $sgpr12_sgpr13
	s_mov_b64 s[8:9], 0
.LBB7_1079:
	s_and_b64 vcc, exec, s[2:3]
	s_cbranch_vccz .LBB7_1081
; %bb.1080:
	s_cmp_lg_u32 s15, 44
	s_mov_b64 s[8:9], -1
	s_cselect_b64 s[0:1], -1, 0
	s_or_b64 s[12:13], s[12:13], exec
.LBB7_1081:
	s_branch .LBB7_1085
.LBB7_1082:
	s_cmp_eq_u32 s15, 29
	s_cbranch_scc0 .LBB7_1084
; %bb.1083:
	global_load_dwordx2 v[16:17], v[14:15], off
	s_mov_b64 s[0:1], 0
	s_mov_b64 s[8:9], -1
	s_mov_b64 s[2:3], 0
	s_waitcnt vmcnt(0)
	v_cmp_ne_u64_e64 s[12:13], 0, v[16:17]
	s_branch .LBB7_1086
.LBB7_1084:
	s_mov_b64 s[0:1], -1
                                        ; implicit-def: $sgpr12_sgpr13
.LBB7_1085:
	s_mov_b64 s[2:3], 0
.LBB7_1086:
	s_and_b64 vcc, exec, s[2:3]
	s_cbranch_vccz .LBB7_1098
; %bb.1087:
	s_cmp_lt_i32 s15, 27
	s_cbranch_scc1 .LBB7_1090
; %bb.1088:
	s_cmp_gt_i32 s15, 27
	s_cbranch_scc0 .LBB7_1091
; %bb.1089:
	global_load_dword v1, v[14:15], off
	s_mov_b64 s[2:3], 0
	s_waitcnt vmcnt(0)
	v_cmp_ne_u32_e64 s[12:13], 0, v1
	s_branch .LBB7_1092
.LBB7_1090:
	s_mov_b64 s[2:3], -1
                                        ; implicit-def: $sgpr12_sgpr13
	s_branch .LBB7_1095
.LBB7_1091:
	s_mov_b64 s[2:3], -1
                                        ; implicit-def: $sgpr12_sgpr13
.LBB7_1092:
	s_andn2_b64 vcc, exec, s[2:3]
	s_cbranch_vccnz .LBB7_1094
; %bb.1093:
	global_load_ushort v1, v[14:15], off
	s_andn2_b64 s[2:3], s[12:13], exec
	s_waitcnt vmcnt(0)
	v_cmp_ne_u16_e32 vcc, 0, v1
	s_and_b64 s[8:9], vcc, exec
	s_or_b64 s[12:13], s[2:3], s[8:9]
.LBB7_1094:
	s_mov_b64 s[2:3], 0
.LBB7_1095:
	s_andn2_b64 vcc, exec, s[2:3]
	s_cbranch_vccnz .LBB7_1097
; %bb.1096:
	global_load_ubyte v1, v[14:15], off
	s_andn2_b64 s[2:3], s[12:13], exec
	s_waitcnt vmcnt(0)
	v_cmp_ne_u16_e32 vcc, 0, v1
	s_and_b64 s[8:9], vcc, exec
	s_or_b64 s[12:13], s[2:3], s[8:9]
.LBB7_1097:
	s_mov_b64 s[8:9], -1
.LBB7_1098:
	s_branch .LBB7_1120
.LBB7_1099:
	s_cmp_gt_i32 s15, 22
	s_cbranch_scc0 .LBB7_1103
; %bb.1100:
	s_cmp_lt_i32 s15, 24
	s_cbranch_scc1 .LBB7_1104
; %bb.1101:
	s_cmp_gt_i32 s15, 24
	s_cbranch_scc0 .LBB7_1105
; %bb.1102:
	global_load_ubyte v1, v[14:15], off
	s_mov_b64 s[2:3], 0
	s_waitcnt vmcnt(0)
	v_cmp_ne_u16_e64 s[12:13], 0, v1
	s_branch .LBB7_1106
.LBB7_1103:
                                        ; implicit-def: $sgpr12_sgpr13
	s_branch .LBB7_1112
.LBB7_1104:
	s_mov_b64 s[2:3], -1
                                        ; implicit-def: $sgpr12_sgpr13
	s_branch .LBB7_1109
.LBB7_1105:
	s_mov_b64 s[2:3], -1
                                        ; implicit-def: $sgpr12_sgpr13
.LBB7_1106:
	s_andn2_b64 vcc, exec, s[2:3]
	s_cbranch_vccnz .LBB7_1108
; %bb.1107:
	global_load_ubyte v1, v[14:15], off
	s_andn2_b64 s[2:3], s[12:13], exec
	s_waitcnt vmcnt(0)
	v_and_b32_e32 v1, 0x7f, v1
	v_cmp_ne_u16_e32 vcc, 0, v1
	s_and_b64 s[8:9], vcc, exec
	s_or_b64 s[12:13], s[2:3], s[8:9]
.LBB7_1108:
	s_mov_b64 s[2:3], 0
.LBB7_1109:
	s_andn2_b64 vcc, exec, s[2:3]
	s_cbranch_vccnz .LBB7_1111
; %bb.1110:
	global_load_ubyte v1, v[14:15], off
	s_movk_i32 s2, 0x7f00
	s_brev_b32 s3, 16
	s_waitcnt vmcnt(0)
	v_lshlrev_b32_e32 v3, 8, v1
	v_lshlrev_b32_e32 v1, 25, v1
	v_lshrrev_b32_e32 v5, 4, v1
	v_and_or_b32 v3, v3, s2, 0.5
	v_or_b32_e32 v5, 0x70000000, v5
	v_add_f32_e32 v3, -0.5, v3
	v_mul_f32_e32 v5, 0x7800000, v5
	v_cmp_gt_u32_e32 vcc, s3, v1
	s_andn2_b64 s[2:3], s[12:13], exec
	s_nop 0
	v_cndmask_b32_e32 v1, v5, v3, vcc
	v_cmp_neq_f32_e32 vcc, 0, v1
	s_and_b64 s[8:9], vcc, exec
	s_or_b64 s[12:13], s[2:3], s[8:9]
.LBB7_1111:
	s_mov_b64 s[8:9], -1
	s_cbranch_execnz .LBB7_1120
.LBB7_1112:
	s_cmp_gt_i32 s15, 14
	s_cbranch_scc0 .LBB7_1115
; %bb.1113:
	s_cmp_eq_u32 s15, 15
	s_cbranch_scc0 .LBB7_1116
; %bb.1114:
	global_load_ushort v1, v[14:15], off
	s_mov_b64 s[0:1], 0
	s_mov_b64 s[8:9], -1
	s_waitcnt vmcnt(0)
	v_and_b32_e32 v1, 0x7fff, v1
	v_cmp_ne_u16_e64 s[12:13], 0, v1
	s_branch .LBB7_1117
.LBB7_1115:
	s_mov_b64 s[2:3], -1
                                        ; implicit-def: $sgpr12_sgpr13
	s_branch .LBB7_1118
.LBB7_1116:
	s_mov_b64 s[0:1], -1
                                        ; implicit-def: $sgpr12_sgpr13
.LBB7_1117:
	s_mov_b64 s[2:3], 0
.LBB7_1118:
	s_and_b64 vcc, exec, s[2:3]
	s_cbranch_vccz .LBB7_1120
; %bb.1119:
	s_cmp_lg_u32 s15, 11
	s_mov_b64 s[10:11], -1
	s_cselect_b64 s[0:1], -1, 0
.LBB7_1120:
	s_and_b64 vcc, exec, s[0:1]
	s_mov_b64 s[2:3], s[24:25]
	s_cbranch_vccnz .LBB7_1181
; %bb.1121:
	s_andn2_b64 vcc, exec, s[10:11]
	s_cbranch_vccnz .LBB7_1123
.LBB7_1122:
	global_load_ubyte v1, v[14:15], off
	s_andn2_b64 s[0:1], s[12:13], exec
	s_mov_b64 s[8:9], -1
	s_waitcnt vmcnt(0)
	v_cmp_ne_u16_e32 vcc, 0, v1
	s_and_b64 s[10:11], vcc, exec
	s_or_b64 s[12:13], s[0:1], s[10:11]
.LBB7_1123:
	s_branch .LBB7_1071
.LBB7_1124:
	s_and_b32 s10, 0xffff, s14
	s_cmp_lt_i32 s10, 5
	s_cbranch_scc1 .LBB7_1129
; %bb.1125:
	s_cmp_lt_i32 s10, 8
	s_cbranch_scc1 .LBB7_1130
; %bb.1126:
	;; [unrolled: 3-line block ×3, first 2 shown]
	s_cmp_gt_i32 s10, 9
	s_cbranch_scc0 .LBB7_1132
; %bb.1128:
	global_load_dwordx4 v[16:19], v[14:15], off
	s_mov_b64 s[8:9], 0
	s_waitcnt vmcnt(0)
	v_cmp_neq_f64_e32 vcc, 0, v[16:17]
	v_cmp_neq_f64_e64 s[0:1], 0, v[18:19]
	s_or_b64 s[12:13], vcc, s[0:1]
	s_branch .LBB7_1133
.LBB7_1129:
                                        ; implicit-def: $sgpr12_sgpr13
	s_branch .LBB7_1150
.LBB7_1130:
                                        ; implicit-def: $sgpr12_sgpr13
	s_branch .LBB7_1139
.LBB7_1131:
	s_mov_b64 s[0:1], -1
                                        ; implicit-def: $sgpr12_sgpr13
	s_branch .LBB7_1136
.LBB7_1132:
	s_mov_b64 s[8:9], -1
                                        ; implicit-def: $sgpr12_sgpr13
.LBB7_1133:
	s_andn2_b64 vcc, exec, s[8:9]
	s_cbranch_vccnz .LBB7_1135
; %bb.1134:
	global_load_dwordx2 v[16:17], v[14:15], off
	s_brev_b32 s0, -2
	s_waitcnt vmcnt(0)
	v_bitop3_b32 v1, v16, s0, v17 bitop3:0xc8
	v_cmp_ne_u32_e32 vcc, 0, v1
	s_andn2_b64 s[0:1], s[12:13], exec
	s_and_b64 s[8:9], vcc, exec
	s_or_b64 s[12:13], s[0:1], s[8:9]
.LBB7_1135:
	s_mov_b64 s[0:1], 0
.LBB7_1136:
	s_andn2_b64 vcc, exec, s[0:1]
	s_cbranch_vccnz .LBB7_1138
; %bb.1137:
	global_load_dword v1, v[14:15], off
	s_andn2_b64 s[0:1], s[12:13], exec
	s_waitcnt vmcnt(0)
	v_and_b32_e32 v1, 0x7fff7fff, v1
	v_cmp_ne_u32_e32 vcc, 0, v1
	s_and_b64 s[8:9], vcc, exec
	s_or_b64 s[12:13], s[0:1], s[8:9]
.LBB7_1138:
	s_cbranch_execnz .LBB7_1149
.LBB7_1139:
	s_cmp_lt_i32 s10, 6
	s_cbranch_scc1 .LBB7_1142
; %bb.1140:
	s_cmp_gt_i32 s10, 6
	s_cbranch_scc0 .LBB7_1143
; %bb.1141:
	global_load_dwordx2 v[16:17], v[14:15], off
	s_mov_b64 s[0:1], 0
	s_waitcnt vmcnt(0)
	v_cmp_neq_f64_e64 s[12:13], 0, v[16:17]
	s_branch .LBB7_1144
.LBB7_1142:
	s_mov_b64 s[0:1], -1
                                        ; implicit-def: $sgpr12_sgpr13
	s_branch .LBB7_1147
.LBB7_1143:
	s_mov_b64 s[0:1], -1
                                        ; implicit-def: $sgpr12_sgpr13
.LBB7_1144:
	s_andn2_b64 vcc, exec, s[0:1]
	s_cbranch_vccnz .LBB7_1146
; %bb.1145:
	global_load_dword v1, v[14:15], off
	s_andn2_b64 s[0:1], s[12:13], exec
	s_waitcnt vmcnt(0)
	v_cmp_neq_f32_e32 vcc, 0, v1
	s_and_b64 s[8:9], vcc, exec
	s_or_b64 s[12:13], s[0:1], s[8:9]
.LBB7_1146:
	s_mov_b64 s[0:1], 0
.LBB7_1147:
	s_andn2_b64 vcc, exec, s[0:1]
	s_cbranch_vccnz .LBB7_1149
; %bb.1148:
	global_load_ushort v1, v[14:15], off
	s_andn2_b64 s[0:1], s[12:13], exec
	s_waitcnt vmcnt(0)
	v_and_b32_e32 v1, 0x7fff, v1
	v_cmp_ne_u16_e32 vcc, 0, v1
	s_and_b64 s[8:9], vcc, exec
	s_or_b64 s[12:13], s[0:1], s[8:9]
.LBB7_1149:
	s_cbranch_execnz .LBB7_1168
.LBB7_1150:
	s_cmp_lt_i32 s10, 2
	s_cbranch_scc1 .LBB7_1154
; %bb.1151:
	s_cmp_lt_i32 s10, 3
	s_cbranch_scc1 .LBB7_1155
; %bb.1152:
	s_cmp_gt_i32 s10, 3
	s_cbranch_scc0 .LBB7_1156
; %bb.1153:
	global_load_dwordx2 v[16:17], v[14:15], off
	s_mov_b64 s[0:1], 0
	s_waitcnt vmcnt(0)
	v_cmp_ne_u64_e64 s[12:13], 0, v[16:17]
	s_branch .LBB7_1157
.LBB7_1154:
                                        ; implicit-def: $sgpr12_sgpr13
	s_branch .LBB7_1163
.LBB7_1155:
	s_mov_b64 s[0:1], -1
                                        ; implicit-def: $sgpr12_sgpr13
	s_branch .LBB7_1160
.LBB7_1156:
	s_mov_b64 s[0:1], -1
                                        ; implicit-def: $sgpr12_sgpr13
.LBB7_1157:
	s_andn2_b64 vcc, exec, s[0:1]
	s_cbranch_vccnz .LBB7_1159
; %bb.1158:
	global_load_dword v1, v[14:15], off
	s_andn2_b64 s[0:1], s[12:13], exec
	s_waitcnt vmcnt(0)
	v_cmp_ne_u32_e32 vcc, 0, v1
	s_and_b64 s[8:9], vcc, exec
	s_or_b64 s[12:13], s[0:1], s[8:9]
.LBB7_1159:
	s_mov_b64 s[0:1], 0
.LBB7_1160:
	s_andn2_b64 vcc, exec, s[0:1]
	s_cbranch_vccnz .LBB7_1162
; %bb.1161:
	global_load_ushort v1, v[14:15], off
	s_andn2_b64 s[0:1], s[12:13], exec
	s_waitcnt vmcnt(0)
	v_cmp_ne_u16_e32 vcc, 0, v1
	s_and_b64 s[8:9], vcc, exec
	s_or_b64 s[12:13], s[0:1], s[8:9]
.LBB7_1162:
	s_cbranch_execnz .LBB7_1168
.LBB7_1163:
	s_cmp_gt_i32 s10, 0
	s_cbranch_scc0 .LBB7_1165
; %bb.1164:
	global_load_ubyte v1, v[14:15], off
	s_mov_b64 s[0:1], 0
	s_waitcnt vmcnt(0)
	v_cmp_ne_u16_e64 s[12:13], 0, v1
	s_branch .LBB7_1166
.LBB7_1165:
	s_mov_b64 s[0:1], -1
                                        ; implicit-def: $sgpr12_sgpr13
.LBB7_1166:
	s_andn2_b64 vcc, exec, s[0:1]
	s_cbranch_vccnz .LBB7_1168
; %bb.1167:
	global_load_ubyte v1, v[14:15], off
	s_andn2_b64 s[0:1], s[12:13], exec
	s_waitcnt vmcnt(0)
	v_cmp_ne_u16_e32 vcc, 0, v1
	s_and_b64 s[8:9], vcc, exec
	s_or_b64 s[12:13], s[0:1], s[8:9]
.LBB7_1168:
.LBB7_1169:
	s_lshr_b32 s0, s22, 16
	v_mov_b32_e32 v13, 0
	s_and_b32 s20, s0, 0xff
	s_cmp_lt_i32 s20, 11
	v_lshl_add_u64 v[12:13], s[6:7], 0, v[12:13]
	s_cbranch_scc1 .LBB7_1176
; %bb.1170:
	s_and_b32 s18, 0xffff, s20
	s_cmp_gt_i32 s18, 25
	s_mov_b64 s[14:15], 0
	s_cbranch_scc0 .LBB7_1178
; %bb.1171:
	s_cmp_gt_i32 s18, 28
	s_cbranch_scc0 .LBB7_1179
; %bb.1172:
	s_cmp_gt_i32 s18, 43
	;; [unrolled: 3-line block ×3, first 2 shown]
	s_cbranch_scc0 .LBB7_1182
; %bb.1174:
	s_cmp_eq_u32 s18, 46
	s_mov_b64 s[16:17], 0
	s_cbranch_scc0 .LBB7_1185
; %bb.1175:
	global_load_dword v1, v[12:13], off
	s_mov_b64 s[0:1], 0
	s_mov_b64 s[8:9], -1
	s_waitcnt vmcnt(0)
	v_and_b32_e32 v1, 0x7fff7fff, v1
	v_cmp_ne_u32_e64 s[10:11], 0, v1
	s_branch .LBB7_1186
.LBB7_1176:
	s_mov_b64 s[8:9], 0
                                        ; implicit-def: $sgpr10_sgpr11
	s_cbranch_execnz .LBB7_1233
.LBB7_1177:
	s_andn2_b64 vcc, exec, s[8:9]
	s_cbranch_vccz .LBB7_1280
	s_branch .LBB7_1933
.LBB7_1178:
	s_mov_b64 s[8:9], 0
	s_mov_b64 s[0:1], 0
                                        ; implicit-def: $sgpr10_sgpr11
	s_cbranch_execnz .LBB7_1207
	s_branch .LBB7_1229
.LBB7_1179:
	s_mov_b64 s[16:17], -1
	s_mov_b64 s[8:9], 0
	s_mov_b64 s[0:1], 0
                                        ; implicit-def: $sgpr10_sgpr11
	s_branch .LBB7_1194
.LBB7_1180:
	s_mov_b64 s[16:17], -1
	s_mov_b64 s[8:9], 0
	s_mov_b64 s[0:1], 0
                                        ; implicit-def: $sgpr10_sgpr11
	s_branch .LBB7_1189
.LBB7_1181:
	s_mov_b64 s[8:9], 0
	s_or_b64 s[2:3], s[24:25], exec
	s_trap 2
	s_cbranch_execz .LBB7_1122
	s_branch .LBB7_1123
.LBB7_1182:
	s_mov_b64 s[16:17], -1
	s_mov_b64 s[8:9], 0
	s_mov_b64 s[0:1], 0
                                        ; implicit-def: $sgpr10_sgpr11
	s_branch .LBB7_1186
.LBB7_1183:
	s_andn2_saveexec_b64 s[16:17], s[16:17]
	s_cbranch_execz .LBB7_928
.LBB7_1184:
	v_add_f32_e32 v0, 0x42800000, v1
	v_and_b32_e32 v0, 0xff, v0
	v_cmp_ne_u32_e32 vcc, 0, v0
	s_andn2_b64 s[14:15], s[14:15], exec
	s_and_b64 s[20:21], vcc, exec
	s_or_b64 s[14:15], s[14:15], s[20:21]
	s_or_b64 exec, exec, s[16:17]
	v_mov_b32_e32 v4, 0
	s_and_saveexec_b64 s[16:17], s[14:15]
	s_cbranch_execnz .LBB7_929
	s_branch .LBB7_930
.LBB7_1185:
	s_mov_b64 s[0:1], -1
                                        ; implicit-def: $sgpr10_sgpr11
	s_mov_b64 s[8:9], 0
.LBB7_1186:
	s_and_b64 vcc, exec, s[16:17]
	s_cbranch_vccz .LBB7_1188
; %bb.1187:
	s_cmp_lg_u32 s18, 44
	s_mov_b64 s[8:9], -1
	s_cselect_b64 s[0:1], -1, 0
	s_or_b64 s[10:11], s[10:11], exec
.LBB7_1188:
	s_mov_b64 s[16:17], 0
.LBB7_1189:
	s_and_b64 vcc, exec, s[16:17]
	s_cbranch_vccz .LBB7_1193
; %bb.1190:
	s_cmp_eq_u32 s18, 29
	s_cbranch_scc0 .LBB7_1192
; %bb.1191:
	global_load_dwordx2 v[14:15], v[12:13], off
	s_mov_b64 s[0:1], 0
	s_mov_b64 s[8:9], -1
	s_mov_b64 s[16:17], 0
	s_waitcnt vmcnt(0)
	v_cmp_ne_u64_e64 s[10:11], 0, v[14:15]
	s_branch .LBB7_1194
.LBB7_1192:
	s_mov_b64 s[0:1], -1
                                        ; implicit-def: $sgpr10_sgpr11
.LBB7_1193:
	s_mov_b64 s[16:17], 0
.LBB7_1194:
	s_and_b64 vcc, exec, s[16:17]
	s_cbranch_vccz .LBB7_1206
; %bb.1195:
	s_cmp_lt_i32 s18, 27
	s_cbranch_scc1 .LBB7_1198
; %bb.1196:
	s_cmp_gt_i32 s18, 27
	s_cbranch_scc0 .LBB7_1199
; %bb.1197:
	global_load_dword v1, v[12:13], off
	s_mov_b64 s[8:9], 0
	s_waitcnt vmcnt(0)
	v_cmp_ne_u32_e64 s[10:11], 0, v1
	s_branch .LBB7_1200
.LBB7_1198:
	s_mov_b64 s[8:9], -1
                                        ; implicit-def: $sgpr10_sgpr11
	s_branch .LBB7_1203
.LBB7_1199:
	s_mov_b64 s[8:9], -1
                                        ; implicit-def: $sgpr10_sgpr11
.LBB7_1200:
	s_andn2_b64 vcc, exec, s[8:9]
	s_cbranch_vccnz .LBB7_1202
; %bb.1201:
	global_load_ushort v1, v[12:13], off
	s_andn2_b64 s[8:9], s[10:11], exec
	s_waitcnt vmcnt(0)
	v_cmp_ne_u16_e32 vcc, 0, v1
	s_and_b64 s[10:11], vcc, exec
	s_or_b64 s[10:11], s[8:9], s[10:11]
.LBB7_1202:
	s_mov_b64 s[8:9], 0
.LBB7_1203:
	s_andn2_b64 vcc, exec, s[8:9]
	s_cbranch_vccnz .LBB7_1205
; %bb.1204:
	global_load_ubyte v1, v[12:13], off
	s_andn2_b64 s[8:9], s[10:11], exec
	s_waitcnt vmcnt(0)
	v_cmp_ne_u16_e32 vcc, 0, v1
	s_and_b64 s[10:11], vcc, exec
	s_or_b64 s[10:11], s[8:9], s[10:11]
.LBB7_1205:
	s_mov_b64 s[8:9], -1
.LBB7_1206:
	s_branch .LBB7_1229
.LBB7_1207:
	s_cmp_gt_i32 s18, 22
	s_cbranch_scc0 .LBB7_1211
; %bb.1208:
	s_cmp_lt_i32 s18, 24
	s_cbranch_scc1 .LBB7_1212
; %bb.1209:
	s_cmp_gt_i32 s18, 24
	s_cbranch_scc0 .LBB7_1213
; %bb.1210:
	global_load_ubyte v1, v[12:13], off
	s_mov_b64 s[8:9], 0
	s_waitcnt vmcnt(0)
	v_cmp_ne_u16_e64 s[10:11], 0, v1
	s_branch .LBB7_1214
.LBB7_1211:
	s_mov_b64 s[14:15], -1
                                        ; implicit-def: $sgpr10_sgpr11
	s_branch .LBB7_1220
.LBB7_1212:
	s_mov_b64 s[8:9], -1
                                        ; implicit-def: $sgpr10_sgpr11
	s_branch .LBB7_1217
.LBB7_1213:
	s_mov_b64 s[8:9], -1
                                        ; implicit-def: $sgpr10_sgpr11
.LBB7_1214:
	s_andn2_b64 vcc, exec, s[8:9]
	s_cbranch_vccnz .LBB7_1216
; %bb.1215:
	global_load_ubyte v1, v[12:13], off
	s_andn2_b64 s[8:9], s[10:11], exec
	s_waitcnt vmcnt(0)
	v_and_b32_e32 v1, 0x7f, v1
	v_cmp_ne_u16_e32 vcc, 0, v1
	s_and_b64 s[10:11], vcc, exec
	s_or_b64 s[10:11], s[8:9], s[10:11]
.LBB7_1216:
	s_mov_b64 s[8:9], 0
.LBB7_1217:
	s_andn2_b64 vcc, exec, s[8:9]
	s_cbranch_vccnz .LBB7_1219
; %bb.1218:
	global_load_ubyte v1, v[12:13], off
	s_movk_i32 s8, 0x7f00
	s_brev_b32 s9, 16
	s_waitcnt vmcnt(0)
	v_lshlrev_b32_e32 v3, 8, v1
	v_lshlrev_b32_e32 v1, 25, v1
	v_lshrrev_b32_e32 v5, 4, v1
	v_and_or_b32 v3, v3, s8, 0.5
	v_or_b32_e32 v5, 0x70000000, v5
	v_add_f32_e32 v3, -0.5, v3
	v_mul_f32_e32 v5, 0x7800000, v5
	v_cmp_gt_u32_e32 vcc, s9, v1
	s_andn2_b64 s[8:9], s[10:11], exec
	s_nop 0
	v_cndmask_b32_e32 v1, v5, v3, vcc
	v_cmp_neq_f32_e32 vcc, 0, v1
	s_and_b64 s[10:11], vcc, exec
	s_or_b64 s[10:11], s[8:9], s[10:11]
.LBB7_1219:
	s_mov_b64 s[8:9], -1
.LBB7_1220:
	s_andn2_b64 vcc, exec, s[14:15]
	s_mov_b64 s[14:15], 0
	s_cbranch_vccnz .LBB7_1229
; %bb.1221:
	s_cmp_gt_i32 s18, 14
	s_cbranch_scc0 .LBB7_1224
; %bb.1222:
	s_cmp_eq_u32 s18, 15
	s_cbranch_scc0 .LBB7_1225
; %bb.1223:
	global_load_ushort v1, v[12:13], off
	s_mov_b64 s[0:1], 0
	s_mov_b64 s[8:9], -1
	s_waitcnt vmcnt(0)
	v_and_b32_e32 v1, 0x7fff, v1
	v_cmp_ne_u16_e64 s[10:11], 0, v1
	s_branch .LBB7_1226
.LBB7_1224:
	s_mov_b64 s[16:17], -1
                                        ; implicit-def: $sgpr10_sgpr11
	s_branch .LBB7_1227
.LBB7_1225:
	s_mov_b64 s[0:1], -1
                                        ; implicit-def: $sgpr10_sgpr11
.LBB7_1226:
	s_mov_b64 s[16:17], 0
.LBB7_1227:
	s_and_b64 vcc, exec, s[16:17]
	s_cbranch_vccz .LBB7_1229
; %bb.1228:
	s_cmp_lg_u32 s18, 11
	s_mov_b64 s[14:15], -1
	s_cselect_b64 s[0:1], -1, 0
.LBB7_1229:
	s_and_b64 vcc, exec, s[0:1]
	s_cbranch_vccnz .LBB7_1292
; %bb.1230:
	s_andn2_b64 vcc, exec, s[14:15]
	s_cbranch_vccnz .LBB7_1232
.LBB7_1231:
	global_load_ubyte v1, v[12:13], off
	s_andn2_b64 s[0:1], s[10:11], exec
	s_mov_b64 s[8:9], -1
	s_waitcnt vmcnt(0)
	v_cmp_ne_u16_e32 vcc, 0, v1
	s_and_b64 s[10:11], vcc, exec
	s_or_b64 s[10:11], s[0:1], s[10:11]
.LBB7_1232:
	s_branch .LBB7_1177
.LBB7_1233:
	s_and_b32 s14, 0xffff, s20
	s_cmp_lt_i32 s14, 5
	s_cbranch_scc1 .LBB7_1238
; %bb.1234:
	s_cmp_lt_i32 s14, 8
	s_cbranch_scc1 .LBB7_1239
; %bb.1235:
	;; [unrolled: 3-line block ×3, first 2 shown]
	s_cmp_gt_i32 s14, 9
	s_cbranch_scc0 .LBB7_1241
; %bb.1237:
	global_load_dwordx4 v[14:17], v[12:13], off
	s_mov_b64 s[8:9], 0
	s_waitcnt vmcnt(0)
	v_cmp_neq_f64_e32 vcc, 0, v[14:15]
	v_cmp_neq_f64_e64 s[0:1], 0, v[16:17]
	s_or_b64 s[10:11], vcc, s[0:1]
	s_branch .LBB7_1242
.LBB7_1238:
                                        ; implicit-def: $sgpr10_sgpr11
	s_branch .LBB7_1260
.LBB7_1239:
	s_mov_b64 s[0:1], -1
                                        ; implicit-def: $sgpr10_sgpr11
	s_branch .LBB7_1248
.LBB7_1240:
	s_mov_b64 s[0:1], -1
                                        ; implicit-def: $sgpr10_sgpr11
	s_branch .LBB7_1245
.LBB7_1241:
	s_mov_b64 s[8:9], -1
                                        ; implicit-def: $sgpr10_sgpr11
.LBB7_1242:
	s_andn2_b64 vcc, exec, s[8:9]
	s_cbranch_vccnz .LBB7_1244
; %bb.1243:
	global_load_dwordx2 v[14:15], v[12:13], off
	s_brev_b32 s0, -2
	s_waitcnt vmcnt(0)
	v_bitop3_b32 v1, v14, s0, v15 bitop3:0xc8
	v_cmp_ne_u32_e32 vcc, 0, v1
	s_andn2_b64 s[0:1], s[10:11], exec
	s_and_b64 s[8:9], vcc, exec
	s_or_b64 s[10:11], s[0:1], s[8:9]
.LBB7_1244:
	s_mov_b64 s[0:1], 0
.LBB7_1245:
	s_andn2_b64 vcc, exec, s[0:1]
	s_cbranch_vccnz .LBB7_1247
; %bb.1246:
	global_load_dword v1, v[12:13], off
	s_andn2_b64 s[0:1], s[10:11], exec
	s_waitcnt vmcnt(0)
	v_and_b32_e32 v1, 0x7fff7fff, v1
	v_cmp_ne_u32_e32 vcc, 0, v1
	s_and_b64 s[8:9], vcc, exec
	s_or_b64 s[10:11], s[0:1], s[8:9]
.LBB7_1247:
	s_mov_b64 s[0:1], 0
.LBB7_1248:
	s_andn2_b64 vcc, exec, s[0:1]
	s_cbranch_vccnz .LBB7_1259
; %bb.1249:
	s_cmp_lt_i32 s14, 6
	s_cbranch_scc1 .LBB7_1252
; %bb.1250:
	s_cmp_gt_i32 s14, 6
	s_cbranch_scc0 .LBB7_1253
; %bb.1251:
	global_load_dwordx2 v[14:15], v[12:13], off
	s_mov_b64 s[0:1], 0
	s_waitcnt vmcnt(0)
	v_cmp_neq_f64_e64 s[10:11], 0, v[14:15]
	s_branch .LBB7_1254
.LBB7_1252:
	s_mov_b64 s[0:1], -1
                                        ; implicit-def: $sgpr10_sgpr11
	s_branch .LBB7_1257
.LBB7_1253:
	s_mov_b64 s[0:1], -1
                                        ; implicit-def: $sgpr10_sgpr11
.LBB7_1254:
	s_andn2_b64 vcc, exec, s[0:1]
	s_cbranch_vccnz .LBB7_1256
; %bb.1255:
	global_load_dword v1, v[12:13], off
	s_andn2_b64 s[0:1], s[10:11], exec
	s_waitcnt vmcnt(0)
	v_cmp_neq_f32_e32 vcc, 0, v1
	s_and_b64 s[8:9], vcc, exec
	s_or_b64 s[10:11], s[0:1], s[8:9]
.LBB7_1256:
	s_mov_b64 s[0:1], 0
.LBB7_1257:
	s_andn2_b64 vcc, exec, s[0:1]
	s_cbranch_vccnz .LBB7_1259
; %bb.1258:
	global_load_ushort v1, v[12:13], off
	s_andn2_b64 s[0:1], s[10:11], exec
	s_waitcnt vmcnt(0)
	v_and_b32_e32 v1, 0x7fff, v1
	v_cmp_ne_u16_e32 vcc, 0, v1
	s_and_b64 s[8:9], vcc, exec
	s_or_b64 s[10:11], s[0:1], s[8:9]
.LBB7_1259:
	s_cbranch_execnz .LBB7_1279
.LBB7_1260:
	s_cmp_lt_i32 s14, 2
	s_cbranch_scc1 .LBB7_1264
; %bb.1261:
	s_cmp_lt_i32 s14, 3
	s_cbranch_scc1 .LBB7_1265
; %bb.1262:
	s_cmp_gt_i32 s14, 3
	s_cbranch_scc0 .LBB7_1266
; %bb.1263:
	global_load_dwordx2 v[14:15], v[12:13], off
	s_mov_b64 s[0:1], 0
	s_waitcnt vmcnt(0)
	v_cmp_ne_u64_e64 s[10:11], 0, v[14:15]
	s_branch .LBB7_1267
.LBB7_1264:
	s_mov_b64 s[0:1], -1
                                        ; implicit-def: $sgpr10_sgpr11
	s_branch .LBB7_1273
.LBB7_1265:
	s_mov_b64 s[0:1], -1
                                        ; implicit-def: $sgpr10_sgpr11
	s_branch .LBB7_1270
.LBB7_1266:
	s_mov_b64 s[0:1], -1
                                        ; implicit-def: $sgpr10_sgpr11
.LBB7_1267:
	s_andn2_b64 vcc, exec, s[0:1]
	s_cbranch_vccnz .LBB7_1269
; %bb.1268:
	global_load_dword v1, v[12:13], off
	s_andn2_b64 s[0:1], s[10:11], exec
	s_waitcnt vmcnt(0)
	v_cmp_ne_u32_e32 vcc, 0, v1
	s_and_b64 s[8:9], vcc, exec
	s_or_b64 s[10:11], s[0:1], s[8:9]
.LBB7_1269:
	s_mov_b64 s[0:1], 0
.LBB7_1270:
	s_andn2_b64 vcc, exec, s[0:1]
	s_cbranch_vccnz .LBB7_1272
; %bb.1271:
	global_load_ushort v1, v[12:13], off
	s_andn2_b64 s[0:1], s[10:11], exec
	s_waitcnt vmcnt(0)
	v_cmp_ne_u16_e32 vcc, 0, v1
	s_and_b64 s[8:9], vcc, exec
	s_or_b64 s[10:11], s[0:1], s[8:9]
.LBB7_1272:
	s_mov_b64 s[0:1], 0
.LBB7_1273:
	s_andn2_b64 vcc, exec, s[0:1]
	s_cbranch_vccnz .LBB7_1279
; %bb.1274:
	s_cmp_gt_i32 s14, 0
	s_cbranch_scc0 .LBB7_1276
; %bb.1275:
	global_load_ubyte v1, v[12:13], off
	s_mov_b64 s[0:1], 0
	s_waitcnt vmcnt(0)
	v_cmp_ne_u16_e64 s[10:11], 0, v1
	s_branch .LBB7_1277
.LBB7_1276:
	s_mov_b64 s[0:1], -1
                                        ; implicit-def: $sgpr10_sgpr11
.LBB7_1277:
	s_andn2_b64 vcc, exec, s[0:1]
	s_cbranch_vccnz .LBB7_1279
; %bb.1278:
	global_load_ubyte v1, v[12:13], off
	s_andn2_b64 s[0:1], s[10:11], exec
	s_waitcnt vmcnt(0)
	v_cmp_ne_u16_e32 vcc, 0, v1
	s_and_b64 s[8:9], vcc, exec
	s_or_b64 s[10:11], s[0:1], s[8:9]
.LBB7_1279:
.LBB7_1280:
	v_mov_b32_e32 v11, 0
	s_cmp_lt_i32 s20, 11
	v_lshl_add_u64 v[10:11], s[6:7], 0, v[10:11]
	s_cbranch_scc1 .LBB7_1287
; %bb.1281:
	s_and_b32 s21, 0xffff, s20
	s_cmp_gt_i32 s21, 25
	s_mov_b64 s[16:17], 0
	s_cbranch_scc0 .LBB7_1289
; %bb.1282:
	s_cmp_gt_i32 s21, 28
	s_cbranch_scc0 .LBB7_1290
; %bb.1283:
	s_cmp_gt_i32 s21, 43
	s_cbranch_scc0 .LBB7_1291
; %bb.1284:
	s_cmp_gt_i32 s21, 45
	s_cbranch_scc0 .LBB7_1293
; %bb.1285:
	s_cmp_eq_u32 s21, 46
	s_mov_b64 s[18:19], 0
	s_cbranch_scc0 .LBB7_1294
; %bb.1286:
	global_load_dword v1, v[10:11], off
	s_mov_b64 s[0:1], 0
	s_mov_b64 s[14:15], -1
	s_waitcnt vmcnt(0)
	v_and_b32_e32 v1, 0x7fff7fff, v1
	v_cmp_ne_u32_e64 s[8:9], 0, v1
	s_branch .LBB7_1295
.LBB7_1287:
	s_mov_b64 s[14:15], 0
                                        ; implicit-def: $sgpr8_sgpr9
	s_cbranch_execnz .LBB7_1343
.LBB7_1288:
	s_andn2_b64 vcc, exec, s[14:15]
	s_cbranch_vccz .LBB7_1391
	s_branch .LBB7_1933
.LBB7_1289:
	s_mov_b64 s[18:19], -1
	s_mov_b64 s[14:15], 0
	s_mov_b64 s[0:1], 0
                                        ; implicit-def: $sgpr8_sgpr9
	s_branch .LBB7_1316
.LBB7_1290:
	s_mov_b64 s[18:19], -1
	s_mov_b64 s[14:15], 0
	s_mov_b64 s[0:1], 0
                                        ; implicit-def: $sgpr8_sgpr9
	s_branch .LBB7_1303
.LBB7_1291:
	s_mov_b64 s[18:19], -1
	s_mov_b64 s[14:15], 0
	s_mov_b64 s[0:1], 0
                                        ; implicit-def: $sgpr8_sgpr9
	s_branch .LBB7_1298
.LBB7_1292:
	s_trap 2
	s_mov_b64 s[8:9], 0
	s_or_b64 s[2:3], s[2:3], exec
	s_cbranch_execz .LBB7_1231
	s_branch .LBB7_1232
.LBB7_1293:
	s_mov_b64 s[18:19], -1
	s_mov_b64 s[14:15], 0
	s_mov_b64 s[0:1], 0
                                        ; implicit-def: $sgpr8_sgpr9
	s_branch .LBB7_1295
.LBB7_1294:
	s_mov_b64 s[0:1], -1
                                        ; implicit-def: $sgpr8_sgpr9
	s_mov_b64 s[14:15], 0
.LBB7_1295:
	s_and_b64 vcc, exec, s[18:19]
	s_cbranch_vccz .LBB7_1297
; %bb.1296:
	s_cmp_lg_u32 s21, 44
	s_mov_b64 s[14:15], -1
	s_cselect_b64 s[0:1], -1, 0
	s_or_b64 s[8:9], s[8:9], exec
.LBB7_1297:
	s_mov_b64 s[18:19], 0
.LBB7_1298:
	s_and_b64 vcc, exec, s[18:19]
	s_cbranch_vccz .LBB7_1302
; %bb.1299:
	s_cmp_eq_u32 s21, 29
	s_cbranch_scc0 .LBB7_1301
; %bb.1300:
	global_load_dwordx2 v[12:13], v[10:11], off
	s_mov_b64 s[0:1], 0
	s_mov_b64 s[14:15], -1
	s_mov_b64 s[18:19], 0
	s_waitcnt vmcnt(0)
	v_cmp_ne_u64_e64 s[8:9], 0, v[12:13]
	s_branch .LBB7_1303
.LBB7_1301:
	s_mov_b64 s[0:1], -1
                                        ; implicit-def: $sgpr8_sgpr9
.LBB7_1302:
	s_mov_b64 s[18:19], 0
.LBB7_1303:
	s_and_b64 vcc, exec, s[18:19]
	s_cbranch_vccz .LBB7_1315
; %bb.1304:
	s_cmp_lt_i32 s21, 27
	s_cbranch_scc1 .LBB7_1307
; %bb.1305:
	s_cmp_gt_i32 s21, 27
	s_cbranch_scc0 .LBB7_1308
; %bb.1306:
	global_load_dword v1, v[10:11], off
	s_mov_b64 s[14:15], 0
	s_waitcnt vmcnt(0)
	v_cmp_ne_u32_e64 s[8:9], 0, v1
	s_branch .LBB7_1309
.LBB7_1307:
	s_mov_b64 s[14:15], -1
                                        ; implicit-def: $sgpr8_sgpr9
	s_branch .LBB7_1312
.LBB7_1308:
	s_mov_b64 s[14:15], -1
                                        ; implicit-def: $sgpr8_sgpr9
.LBB7_1309:
	s_andn2_b64 vcc, exec, s[14:15]
	s_cbranch_vccnz .LBB7_1311
; %bb.1310:
	global_load_ushort v1, v[10:11], off
	s_andn2_b64 s[8:9], s[8:9], exec
	s_waitcnt vmcnt(0)
	v_cmp_ne_u16_e32 vcc, 0, v1
	s_and_b64 s[14:15], vcc, exec
	s_or_b64 s[8:9], s[8:9], s[14:15]
.LBB7_1311:
	s_mov_b64 s[14:15], 0
.LBB7_1312:
	s_andn2_b64 vcc, exec, s[14:15]
	s_cbranch_vccnz .LBB7_1314
; %bb.1313:
	global_load_ubyte v1, v[10:11], off
	s_andn2_b64 s[8:9], s[8:9], exec
	s_waitcnt vmcnt(0)
	v_cmp_ne_u16_e32 vcc, 0, v1
	s_and_b64 s[14:15], vcc, exec
	s_or_b64 s[8:9], s[8:9], s[14:15]
.LBB7_1314:
	s_mov_b64 s[14:15], -1
.LBB7_1315:
	s_mov_b64 s[18:19], 0
.LBB7_1316:
	s_and_b64 vcc, exec, s[18:19]
	s_cbranch_vccz .LBB7_1339
; %bb.1317:
	s_cmp_gt_i32 s21, 22
	s_cbranch_scc0 .LBB7_1321
; %bb.1318:
	s_cmp_lt_i32 s21, 24
	s_cbranch_scc1 .LBB7_1322
; %bb.1319:
	s_cmp_gt_i32 s21, 24
	s_cbranch_scc0 .LBB7_1323
; %bb.1320:
	global_load_ubyte v1, v[10:11], off
	s_mov_b64 s[14:15], 0
	s_waitcnt vmcnt(0)
	v_cmp_ne_u16_e64 s[8:9], 0, v1
	s_branch .LBB7_1324
.LBB7_1321:
	s_mov_b64 s[16:17], -1
                                        ; implicit-def: $sgpr8_sgpr9
	s_branch .LBB7_1330
.LBB7_1322:
	s_mov_b64 s[14:15], -1
                                        ; implicit-def: $sgpr8_sgpr9
	s_branch .LBB7_1327
.LBB7_1323:
	s_mov_b64 s[14:15], -1
                                        ; implicit-def: $sgpr8_sgpr9
.LBB7_1324:
	s_andn2_b64 vcc, exec, s[14:15]
	s_cbranch_vccnz .LBB7_1326
; %bb.1325:
	global_load_ubyte v1, v[10:11], off
	s_andn2_b64 s[8:9], s[8:9], exec
	s_waitcnt vmcnt(0)
	v_and_b32_e32 v1, 0x7f, v1
	v_cmp_ne_u16_e32 vcc, 0, v1
	s_and_b64 s[14:15], vcc, exec
	s_or_b64 s[8:9], s[8:9], s[14:15]
.LBB7_1326:
	s_mov_b64 s[14:15], 0
.LBB7_1327:
	s_andn2_b64 vcc, exec, s[14:15]
	s_cbranch_vccnz .LBB7_1329
; %bb.1328:
	global_load_ubyte v1, v[10:11], off
	s_movk_i32 s14, 0x7f00
	s_brev_b32 s15, 16
	s_andn2_b64 s[8:9], s[8:9], exec
	s_waitcnt vmcnt(0)
	v_lshlrev_b32_e32 v3, 8, v1
	v_lshlrev_b32_e32 v1, 25, v1
	v_lshrrev_b32_e32 v5, 4, v1
	v_and_or_b32 v3, v3, s14, 0.5
	v_or_b32_e32 v5, 0x70000000, v5
	v_add_f32_e32 v3, -0.5, v3
	v_mul_f32_e32 v5, 0x7800000, v5
	v_cmp_gt_u32_e32 vcc, s15, v1
	s_nop 1
	v_cndmask_b32_e32 v1, v5, v3, vcc
	v_cmp_neq_f32_e32 vcc, 0, v1
	s_and_b64 s[14:15], vcc, exec
	s_or_b64 s[8:9], s[8:9], s[14:15]
.LBB7_1329:
	s_mov_b64 s[14:15], -1
.LBB7_1330:
	s_andn2_b64 vcc, exec, s[16:17]
	s_mov_b64 s[16:17], 0
	s_cbranch_vccnz .LBB7_1339
; %bb.1331:
	s_cmp_gt_i32 s21, 14
	s_cbranch_scc0 .LBB7_1334
; %bb.1332:
	s_cmp_eq_u32 s21, 15
	s_cbranch_scc0 .LBB7_1335
; %bb.1333:
	global_load_ushort v1, v[10:11], off
	s_mov_b64 s[0:1], 0
	s_mov_b64 s[14:15], -1
	s_waitcnt vmcnt(0)
	v_and_b32_e32 v1, 0x7fff, v1
	v_cmp_ne_u16_e64 s[8:9], 0, v1
	s_branch .LBB7_1336
.LBB7_1334:
	s_mov_b64 s[18:19], -1
                                        ; implicit-def: $sgpr8_sgpr9
	s_branch .LBB7_1337
.LBB7_1335:
	s_mov_b64 s[0:1], -1
                                        ; implicit-def: $sgpr8_sgpr9
.LBB7_1336:
	s_mov_b64 s[18:19], 0
.LBB7_1337:
	s_and_b64 vcc, exec, s[18:19]
	s_cbranch_vccz .LBB7_1339
; %bb.1338:
	s_cmp_lg_u32 s21, 11
	s_mov_b64 s[16:17], -1
	s_cselect_b64 s[0:1], -1, 0
.LBB7_1339:
	s_and_b64 vcc, exec, s[0:1]
	s_cbranch_vccnz .LBB7_1402
; %bb.1340:
	s_andn2_b64 vcc, exec, s[16:17]
	s_cbranch_vccnz .LBB7_1342
.LBB7_1341:
	global_load_ubyte v1, v[10:11], off
	s_andn2_b64 s[0:1], s[8:9], exec
	s_mov_b64 s[14:15], -1
	s_waitcnt vmcnt(0)
	v_cmp_ne_u16_e32 vcc, 0, v1
	s_and_b64 s[8:9], vcc, exec
	s_or_b64 s[8:9], s[0:1], s[8:9]
.LBB7_1342:
	s_branch .LBB7_1288
.LBB7_1343:
	s_and_b32 s16, 0xffff, s20
	s_cmp_lt_i32 s16, 5
	s_cbranch_scc1 .LBB7_1348
; %bb.1344:
	s_cmp_lt_i32 s16, 8
	s_cbranch_scc1 .LBB7_1349
; %bb.1345:
	;; [unrolled: 3-line block ×3, first 2 shown]
	s_cmp_gt_i32 s16, 9
	s_cbranch_scc0 .LBB7_1351
; %bb.1347:
	global_load_dwordx4 v[12:15], v[10:11], off
	s_mov_b64 s[14:15], 0
	s_waitcnt vmcnt(0)
	v_cmp_neq_f64_e32 vcc, 0, v[12:13]
	v_cmp_neq_f64_e64 s[0:1], 0, v[14:15]
	s_or_b64 s[8:9], vcc, s[0:1]
	s_branch .LBB7_1352
.LBB7_1348:
	s_mov_b64 s[0:1], -1
                                        ; implicit-def: $sgpr8_sgpr9
	s_branch .LBB7_1370
.LBB7_1349:
	s_mov_b64 s[0:1], -1
                                        ; implicit-def: $sgpr8_sgpr9
	s_branch .LBB7_1358
.LBB7_1350:
	s_mov_b64 s[0:1], -1
                                        ; implicit-def: $sgpr8_sgpr9
	s_branch .LBB7_1355
.LBB7_1351:
	s_mov_b64 s[14:15], -1
                                        ; implicit-def: $sgpr8_sgpr9
.LBB7_1352:
	s_andn2_b64 vcc, exec, s[14:15]
	s_cbranch_vccnz .LBB7_1354
; %bb.1353:
	global_load_dwordx2 v[12:13], v[10:11], off
	s_brev_b32 s0, -2
	s_waitcnt vmcnt(0)
	v_bitop3_b32 v1, v12, s0, v13 bitop3:0xc8
	v_cmp_ne_u32_e32 vcc, 0, v1
	s_andn2_b64 s[0:1], s[8:9], exec
	s_and_b64 s[8:9], vcc, exec
	s_or_b64 s[8:9], s[0:1], s[8:9]
.LBB7_1354:
	s_mov_b64 s[0:1], 0
.LBB7_1355:
	s_andn2_b64 vcc, exec, s[0:1]
	s_cbranch_vccnz .LBB7_1357
; %bb.1356:
	global_load_dword v1, v[10:11], off
	s_andn2_b64 s[0:1], s[8:9], exec
	s_waitcnt vmcnt(0)
	v_and_b32_e32 v1, 0x7fff7fff, v1
	v_cmp_ne_u32_e32 vcc, 0, v1
	s_and_b64 s[8:9], vcc, exec
	s_or_b64 s[8:9], s[0:1], s[8:9]
.LBB7_1357:
	s_mov_b64 s[0:1], 0
.LBB7_1358:
	s_andn2_b64 vcc, exec, s[0:1]
	s_cbranch_vccnz .LBB7_1369
; %bb.1359:
	s_cmp_lt_i32 s16, 6
	s_cbranch_scc1 .LBB7_1362
; %bb.1360:
	s_cmp_gt_i32 s16, 6
	s_cbranch_scc0 .LBB7_1363
; %bb.1361:
	global_load_dwordx2 v[12:13], v[10:11], off
	s_mov_b64 s[0:1], 0
	s_waitcnt vmcnt(0)
	v_cmp_neq_f64_e64 s[8:9], 0, v[12:13]
	s_branch .LBB7_1364
.LBB7_1362:
	s_mov_b64 s[0:1], -1
                                        ; implicit-def: $sgpr8_sgpr9
	s_branch .LBB7_1367
.LBB7_1363:
	s_mov_b64 s[0:1], -1
                                        ; implicit-def: $sgpr8_sgpr9
.LBB7_1364:
	s_andn2_b64 vcc, exec, s[0:1]
	s_cbranch_vccnz .LBB7_1366
; %bb.1365:
	global_load_dword v1, v[10:11], off
	s_andn2_b64 s[0:1], s[8:9], exec
	s_waitcnt vmcnt(0)
	v_cmp_neq_f32_e32 vcc, 0, v1
	s_and_b64 s[8:9], vcc, exec
	s_or_b64 s[8:9], s[0:1], s[8:9]
.LBB7_1366:
	s_mov_b64 s[0:1], 0
.LBB7_1367:
	s_andn2_b64 vcc, exec, s[0:1]
	s_cbranch_vccnz .LBB7_1369
; %bb.1368:
	global_load_ushort v1, v[10:11], off
	s_andn2_b64 s[0:1], s[8:9], exec
	s_waitcnt vmcnt(0)
	v_and_b32_e32 v1, 0x7fff, v1
	v_cmp_ne_u16_e32 vcc, 0, v1
	s_and_b64 s[8:9], vcc, exec
	s_or_b64 s[8:9], s[0:1], s[8:9]
.LBB7_1369:
	s_mov_b64 s[0:1], 0
.LBB7_1370:
	s_andn2_b64 vcc, exec, s[0:1]
	s_cbranch_vccnz .LBB7_1390
; %bb.1371:
	s_cmp_lt_i32 s16, 2
	s_cbranch_scc1 .LBB7_1375
; %bb.1372:
	s_cmp_lt_i32 s16, 3
	s_cbranch_scc1 .LBB7_1376
; %bb.1373:
	s_cmp_gt_i32 s16, 3
	s_cbranch_scc0 .LBB7_1377
; %bb.1374:
	global_load_dwordx2 v[12:13], v[10:11], off
	s_mov_b64 s[0:1], 0
	s_waitcnt vmcnt(0)
	v_cmp_ne_u64_e64 s[8:9], 0, v[12:13]
	s_branch .LBB7_1378
.LBB7_1375:
	s_mov_b64 s[0:1], -1
                                        ; implicit-def: $sgpr8_sgpr9
	s_branch .LBB7_1384
.LBB7_1376:
	s_mov_b64 s[0:1], -1
                                        ; implicit-def: $sgpr8_sgpr9
	s_branch .LBB7_1381
.LBB7_1377:
	s_mov_b64 s[0:1], -1
                                        ; implicit-def: $sgpr8_sgpr9
.LBB7_1378:
	s_andn2_b64 vcc, exec, s[0:1]
	s_cbranch_vccnz .LBB7_1380
; %bb.1379:
	global_load_dword v1, v[10:11], off
	s_andn2_b64 s[0:1], s[8:9], exec
	s_waitcnt vmcnt(0)
	v_cmp_ne_u32_e32 vcc, 0, v1
	s_and_b64 s[8:9], vcc, exec
	s_or_b64 s[8:9], s[0:1], s[8:9]
.LBB7_1380:
	s_mov_b64 s[0:1], 0
.LBB7_1381:
	s_andn2_b64 vcc, exec, s[0:1]
	s_cbranch_vccnz .LBB7_1383
; %bb.1382:
	global_load_ushort v1, v[10:11], off
	s_andn2_b64 s[0:1], s[8:9], exec
	s_waitcnt vmcnt(0)
	v_cmp_ne_u16_e32 vcc, 0, v1
	s_and_b64 s[8:9], vcc, exec
	s_or_b64 s[8:9], s[0:1], s[8:9]
.LBB7_1383:
	s_mov_b64 s[0:1], 0
.LBB7_1384:
	s_andn2_b64 vcc, exec, s[0:1]
	s_cbranch_vccnz .LBB7_1390
; %bb.1385:
	s_cmp_gt_i32 s16, 0
	s_cbranch_scc0 .LBB7_1387
; %bb.1386:
	global_load_ubyte v1, v[10:11], off
	s_mov_b64 s[0:1], 0
	s_waitcnt vmcnt(0)
	v_cmp_ne_u16_e64 s[8:9], 0, v1
	s_branch .LBB7_1388
.LBB7_1387:
	s_mov_b64 s[0:1], -1
                                        ; implicit-def: $sgpr8_sgpr9
.LBB7_1388:
	s_andn2_b64 vcc, exec, s[0:1]
	s_cbranch_vccnz .LBB7_1390
; %bb.1389:
	global_load_ubyte v1, v[10:11], off
	s_andn2_b64 s[0:1], s[8:9], exec
	s_waitcnt vmcnt(0)
	v_cmp_ne_u16_e32 vcc, 0, v1
	s_and_b64 s[8:9], vcc, exec
	s_or_b64 s[8:9], s[0:1], s[8:9]
.LBB7_1390:
.LBB7_1391:
	v_mov_b32_e32 v9, 0
	s_cmp_lt_i32 s20, 11
	v_lshl_add_u64 v[8:9], s[6:7], 0, v[8:9]
	s_cbranch_scc1 .LBB7_1398
; %bb.1392:
	s_and_b32 s21, 0xffff, s20
	s_cmp_gt_i32 s21, 25
	s_mov_b64 s[16:17], 0
	s_cbranch_scc0 .LBB7_1399
; %bb.1393:
	s_cmp_gt_i32 s21, 28
	s_cbranch_scc0 .LBB7_1400
; %bb.1394:
	s_cmp_gt_i32 s21, 43
	;; [unrolled: 3-line block ×3, first 2 shown]
	s_cbranch_scc0 .LBB7_1403
; %bb.1396:
	s_cmp_eq_u32 s21, 46
	s_mov_b64 s[18:19], 0
	s_cbranch_scc0 .LBB7_1404
; %bb.1397:
	global_load_dword v1, v[8:9], off
	s_mov_b64 s[0:1], 0
	s_mov_b64 s[14:15], -1
	s_waitcnt vmcnt(0)
	v_and_b32_e32 v1, 0x7fff7fff, v1
	v_cmp_ne_u32_e64 s[6:7], 0, v1
	s_branch .LBB7_1405
.LBB7_1398:
	s_mov_b64 s[0:1], -1
	s_mov_b64 s[14:15], 0
                                        ; implicit-def: $sgpr6_sgpr7
	s_branch .LBB7_1453
.LBB7_1399:
	s_mov_b64 s[18:19], -1
	s_mov_b64 s[14:15], 0
	s_mov_b64 s[0:1], 0
                                        ; implicit-def: $sgpr6_sgpr7
	s_branch .LBB7_1426
.LBB7_1400:
	s_mov_b64 s[18:19], -1
	s_mov_b64 s[14:15], 0
	s_mov_b64 s[0:1], 0
                                        ; implicit-def: $sgpr6_sgpr7
	s_branch .LBB7_1413
.LBB7_1401:
	s_mov_b64 s[18:19], -1
	s_mov_b64 s[14:15], 0
	s_mov_b64 s[0:1], 0
                                        ; implicit-def: $sgpr6_sgpr7
	s_branch .LBB7_1408
.LBB7_1402:
	s_trap 2
	s_mov_b64 s[14:15], 0
	s_or_b64 s[2:3], s[2:3], exec
	s_cbranch_execz .LBB7_1341
	s_branch .LBB7_1342
.LBB7_1403:
	s_mov_b64 s[18:19], -1
	s_mov_b64 s[14:15], 0
	s_mov_b64 s[0:1], 0
                                        ; implicit-def: $sgpr6_sgpr7
	s_branch .LBB7_1405
.LBB7_1404:
	s_mov_b64 s[0:1], -1
                                        ; implicit-def: $sgpr6_sgpr7
	s_mov_b64 s[14:15], 0
.LBB7_1405:
	s_and_b64 vcc, exec, s[18:19]
	s_cbranch_vccz .LBB7_1407
; %bb.1406:
	s_cmp_lg_u32 s21, 44
	s_mov_b64 s[14:15], -1
	s_cselect_b64 s[0:1], -1, 0
	s_or_b64 s[6:7], s[6:7], exec
.LBB7_1407:
	s_mov_b64 s[18:19], 0
.LBB7_1408:
	s_and_b64 vcc, exec, s[18:19]
	s_cbranch_vccz .LBB7_1412
; %bb.1409:
	s_cmp_eq_u32 s21, 29
	s_cbranch_scc0 .LBB7_1411
; %bb.1410:
	global_load_dwordx2 v[10:11], v[8:9], off
	s_mov_b64 s[0:1], 0
	s_mov_b64 s[14:15], -1
	s_mov_b64 s[18:19], 0
	s_waitcnt vmcnt(0)
	v_cmp_ne_u64_e64 s[6:7], 0, v[10:11]
	s_branch .LBB7_1413
.LBB7_1411:
	s_mov_b64 s[0:1], -1
                                        ; implicit-def: $sgpr6_sgpr7
.LBB7_1412:
	s_mov_b64 s[18:19], 0
.LBB7_1413:
	s_and_b64 vcc, exec, s[18:19]
	s_cbranch_vccz .LBB7_1425
; %bb.1414:
	s_cmp_lt_i32 s21, 27
	s_cbranch_scc1 .LBB7_1417
; %bb.1415:
	s_cmp_gt_i32 s21, 27
	s_cbranch_scc0 .LBB7_1418
; %bb.1416:
	global_load_dword v1, v[8:9], off
	s_mov_b64 s[14:15], 0
	s_waitcnt vmcnt(0)
	v_cmp_ne_u32_e64 s[6:7], 0, v1
	s_branch .LBB7_1419
.LBB7_1417:
	s_mov_b64 s[14:15], -1
                                        ; implicit-def: $sgpr6_sgpr7
	s_branch .LBB7_1422
.LBB7_1418:
	s_mov_b64 s[14:15], -1
                                        ; implicit-def: $sgpr6_sgpr7
.LBB7_1419:
	s_andn2_b64 vcc, exec, s[14:15]
	s_cbranch_vccnz .LBB7_1421
; %bb.1420:
	global_load_ushort v1, v[8:9], off
	s_andn2_b64 s[6:7], s[6:7], exec
	s_waitcnt vmcnt(0)
	v_cmp_ne_u16_e32 vcc, 0, v1
	s_and_b64 s[14:15], vcc, exec
	s_or_b64 s[6:7], s[6:7], s[14:15]
.LBB7_1421:
	s_mov_b64 s[14:15], 0
.LBB7_1422:
	s_andn2_b64 vcc, exec, s[14:15]
	s_cbranch_vccnz .LBB7_1424
; %bb.1423:
	global_load_ubyte v1, v[8:9], off
	s_andn2_b64 s[6:7], s[6:7], exec
	s_waitcnt vmcnt(0)
	v_cmp_ne_u16_e32 vcc, 0, v1
	s_and_b64 s[14:15], vcc, exec
	s_or_b64 s[6:7], s[6:7], s[14:15]
.LBB7_1424:
	s_mov_b64 s[14:15], -1
.LBB7_1425:
	s_mov_b64 s[18:19], 0
.LBB7_1426:
	s_and_b64 vcc, exec, s[18:19]
	s_cbranch_vccz .LBB7_1449
; %bb.1427:
	s_cmp_gt_i32 s21, 22
	s_cbranch_scc0 .LBB7_1431
; %bb.1428:
	s_cmp_lt_i32 s21, 24
	s_cbranch_scc1 .LBB7_1432
; %bb.1429:
	s_cmp_gt_i32 s21, 24
	s_cbranch_scc0 .LBB7_1433
; %bb.1430:
	global_load_ubyte v1, v[8:9], off
	s_mov_b64 s[14:15], 0
	s_waitcnt vmcnt(0)
	v_cmp_ne_u16_e64 s[6:7], 0, v1
	s_branch .LBB7_1434
.LBB7_1431:
	s_mov_b64 s[16:17], -1
                                        ; implicit-def: $sgpr6_sgpr7
	s_branch .LBB7_1440
.LBB7_1432:
	s_mov_b64 s[14:15], -1
                                        ; implicit-def: $sgpr6_sgpr7
	s_branch .LBB7_1437
.LBB7_1433:
	s_mov_b64 s[14:15], -1
                                        ; implicit-def: $sgpr6_sgpr7
.LBB7_1434:
	s_andn2_b64 vcc, exec, s[14:15]
	s_cbranch_vccnz .LBB7_1436
; %bb.1435:
	global_load_ubyte v1, v[8:9], off
	s_andn2_b64 s[6:7], s[6:7], exec
	s_waitcnt vmcnt(0)
	v_and_b32_e32 v1, 0x7f, v1
	v_cmp_ne_u16_e32 vcc, 0, v1
	s_and_b64 s[14:15], vcc, exec
	s_or_b64 s[6:7], s[6:7], s[14:15]
.LBB7_1436:
	s_mov_b64 s[14:15], 0
.LBB7_1437:
	s_andn2_b64 vcc, exec, s[14:15]
	s_cbranch_vccnz .LBB7_1439
; %bb.1438:
	global_load_ubyte v1, v[8:9], off
	s_movk_i32 s14, 0x7f00
	s_brev_b32 s15, 16
	s_andn2_b64 s[6:7], s[6:7], exec
	s_waitcnt vmcnt(0)
	v_lshlrev_b32_e32 v3, 8, v1
	v_lshlrev_b32_e32 v1, 25, v1
	v_lshrrev_b32_e32 v5, 4, v1
	v_and_or_b32 v3, v3, s14, 0.5
	v_or_b32_e32 v5, 0x70000000, v5
	v_add_f32_e32 v3, -0.5, v3
	v_mul_f32_e32 v5, 0x7800000, v5
	v_cmp_gt_u32_e32 vcc, s15, v1
	s_nop 1
	v_cndmask_b32_e32 v1, v5, v3, vcc
	v_cmp_neq_f32_e32 vcc, 0, v1
	s_and_b64 s[14:15], vcc, exec
	s_or_b64 s[6:7], s[6:7], s[14:15]
.LBB7_1439:
	s_mov_b64 s[14:15], -1
.LBB7_1440:
	s_andn2_b64 vcc, exec, s[16:17]
	s_mov_b64 s[16:17], 0
	s_cbranch_vccnz .LBB7_1449
; %bb.1441:
	s_cmp_gt_i32 s21, 14
	s_cbranch_scc0 .LBB7_1444
; %bb.1442:
	s_cmp_eq_u32 s21, 15
	s_cbranch_scc0 .LBB7_1445
; %bb.1443:
	global_load_ushort v1, v[8:9], off
	s_mov_b64 s[0:1], 0
	s_mov_b64 s[14:15], -1
	s_waitcnt vmcnt(0)
	v_and_b32_e32 v1, 0x7fff, v1
	v_cmp_ne_u16_e64 s[6:7], 0, v1
	s_branch .LBB7_1446
.LBB7_1444:
	s_mov_b64 s[18:19], -1
                                        ; implicit-def: $sgpr6_sgpr7
	s_branch .LBB7_1447
.LBB7_1445:
	s_mov_b64 s[0:1], -1
                                        ; implicit-def: $sgpr6_sgpr7
.LBB7_1446:
	s_mov_b64 s[18:19], 0
.LBB7_1447:
	s_and_b64 vcc, exec, s[18:19]
	s_cbranch_vccz .LBB7_1449
; %bb.1448:
	s_cmp_lg_u32 s21, 11
	s_mov_b64 s[16:17], -1
	s_cselect_b64 s[0:1], -1, 0
.LBB7_1449:
	s_and_b64 vcc, exec, s[0:1]
	s_cbranch_vccnz .LBB7_1978
; %bb.1450:
	s_andn2_b64 vcc, exec, s[16:17]
	s_cbranch_vccnz .LBB7_1452
.LBB7_1451:
	global_load_ubyte v1, v[8:9], off
	s_andn2_b64 s[0:1], s[6:7], exec
	s_mov_b64 s[14:15], -1
	s_waitcnt vmcnt(0)
	v_cmp_ne_u16_e32 vcc, 0, v1
	s_and_b64 s[6:7], vcc, exec
	s_or_b64 s[6:7], s[0:1], s[6:7]
.LBB7_1452:
	s_mov_b64 s[0:1], 0
.LBB7_1453:
	s_and_b64 vcc, exec, s[0:1]
	s_cbranch_vccz .LBB7_1502
; %bb.1454:
	s_and_b32 s16, 0xffff, s20
	s_cmp_lt_i32 s16, 5
	s_cbranch_scc1 .LBB7_1459
; %bb.1455:
	s_cmp_lt_i32 s16, 8
	s_cbranch_scc1 .LBB7_1460
; %bb.1456:
	s_cmp_lt_i32 s16, 9
	s_cbranch_scc1 .LBB7_1461
; %bb.1457:
	s_cmp_gt_i32 s16, 9
	s_cbranch_scc0 .LBB7_1462
; %bb.1458:
	global_load_dwordx4 v[10:13], v[8:9], off
	s_mov_b64 s[14:15], 0
	s_waitcnt vmcnt(0)
	v_cmp_neq_f64_e32 vcc, 0, v[10:11]
	v_cmp_neq_f64_e64 s[0:1], 0, v[12:13]
	s_or_b64 s[6:7], vcc, s[0:1]
	s_branch .LBB7_1463
.LBB7_1459:
	s_mov_b64 s[0:1], -1
                                        ; implicit-def: $sgpr6_sgpr7
	s_branch .LBB7_1481
.LBB7_1460:
	s_mov_b64 s[0:1], -1
                                        ; implicit-def: $sgpr6_sgpr7
	s_branch .LBB7_1469
.LBB7_1461:
	s_mov_b64 s[0:1], -1
                                        ; implicit-def: $sgpr6_sgpr7
	s_branch .LBB7_1466
.LBB7_1462:
	s_mov_b64 s[14:15], -1
                                        ; implicit-def: $sgpr6_sgpr7
.LBB7_1463:
	s_andn2_b64 vcc, exec, s[14:15]
	s_cbranch_vccnz .LBB7_1465
; %bb.1464:
	global_load_dwordx2 v[10:11], v[8:9], off
	s_brev_b32 s0, -2
	s_waitcnt vmcnt(0)
	v_bitop3_b32 v1, v10, s0, v11 bitop3:0xc8
	v_cmp_ne_u32_e32 vcc, 0, v1
	s_andn2_b64 s[0:1], s[6:7], exec
	s_and_b64 s[6:7], vcc, exec
	s_or_b64 s[6:7], s[0:1], s[6:7]
.LBB7_1465:
	s_mov_b64 s[0:1], 0
.LBB7_1466:
	s_andn2_b64 vcc, exec, s[0:1]
	s_cbranch_vccnz .LBB7_1468
; %bb.1467:
	global_load_dword v1, v[8:9], off
	s_andn2_b64 s[0:1], s[6:7], exec
	s_waitcnt vmcnt(0)
	v_and_b32_e32 v1, 0x7fff7fff, v1
	v_cmp_ne_u32_e32 vcc, 0, v1
	s_and_b64 s[6:7], vcc, exec
	s_or_b64 s[6:7], s[0:1], s[6:7]
.LBB7_1468:
	s_mov_b64 s[0:1], 0
.LBB7_1469:
	s_andn2_b64 vcc, exec, s[0:1]
	s_cbranch_vccnz .LBB7_1480
; %bb.1470:
	s_cmp_lt_i32 s16, 6
	s_cbranch_scc1 .LBB7_1473
; %bb.1471:
	s_cmp_gt_i32 s16, 6
	s_cbranch_scc0 .LBB7_1474
; %bb.1472:
	global_load_dwordx2 v[10:11], v[8:9], off
	s_mov_b64 s[0:1], 0
	s_waitcnt vmcnt(0)
	v_cmp_neq_f64_e64 s[6:7], 0, v[10:11]
	s_branch .LBB7_1475
.LBB7_1473:
	s_mov_b64 s[0:1], -1
                                        ; implicit-def: $sgpr6_sgpr7
	s_branch .LBB7_1478
.LBB7_1474:
	s_mov_b64 s[0:1], -1
                                        ; implicit-def: $sgpr6_sgpr7
.LBB7_1475:
	s_andn2_b64 vcc, exec, s[0:1]
	s_cbranch_vccnz .LBB7_1477
; %bb.1476:
	global_load_dword v1, v[8:9], off
	s_andn2_b64 s[0:1], s[6:7], exec
	s_waitcnt vmcnt(0)
	v_cmp_neq_f32_e32 vcc, 0, v1
	s_and_b64 s[6:7], vcc, exec
	s_or_b64 s[6:7], s[0:1], s[6:7]
.LBB7_1477:
	s_mov_b64 s[0:1], 0
.LBB7_1478:
	s_andn2_b64 vcc, exec, s[0:1]
	s_cbranch_vccnz .LBB7_1480
; %bb.1479:
	global_load_ushort v1, v[8:9], off
	s_andn2_b64 s[0:1], s[6:7], exec
	s_waitcnt vmcnt(0)
	v_and_b32_e32 v1, 0x7fff, v1
	v_cmp_ne_u16_e32 vcc, 0, v1
	s_and_b64 s[6:7], vcc, exec
	s_or_b64 s[6:7], s[0:1], s[6:7]
.LBB7_1480:
	s_mov_b64 s[0:1], 0
.LBB7_1481:
	s_andn2_b64 vcc, exec, s[0:1]
	s_cbranch_vccnz .LBB7_1501
; %bb.1482:
	s_cmp_lt_i32 s16, 2
	s_cbranch_scc1 .LBB7_1486
; %bb.1483:
	s_cmp_lt_i32 s16, 3
	s_cbranch_scc1 .LBB7_1487
; %bb.1484:
	s_cmp_gt_i32 s16, 3
	s_cbranch_scc0 .LBB7_1488
; %bb.1485:
	global_load_dwordx2 v[10:11], v[8:9], off
	s_mov_b64 s[0:1], 0
	s_waitcnt vmcnt(0)
	v_cmp_ne_u64_e64 s[6:7], 0, v[10:11]
	s_branch .LBB7_1489
.LBB7_1486:
	s_mov_b64 s[0:1], -1
                                        ; implicit-def: $sgpr6_sgpr7
	s_branch .LBB7_1495
.LBB7_1487:
	s_mov_b64 s[0:1], -1
                                        ; implicit-def: $sgpr6_sgpr7
	s_branch .LBB7_1492
.LBB7_1488:
	s_mov_b64 s[0:1], -1
                                        ; implicit-def: $sgpr6_sgpr7
.LBB7_1489:
	s_andn2_b64 vcc, exec, s[0:1]
	s_cbranch_vccnz .LBB7_1491
; %bb.1490:
	global_load_dword v1, v[8:9], off
	s_andn2_b64 s[0:1], s[6:7], exec
	s_waitcnt vmcnt(0)
	v_cmp_ne_u32_e32 vcc, 0, v1
	s_and_b64 s[6:7], vcc, exec
	s_or_b64 s[6:7], s[0:1], s[6:7]
.LBB7_1491:
	s_mov_b64 s[0:1], 0
.LBB7_1492:
	s_andn2_b64 vcc, exec, s[0:1]
	s_cbranch_vccnz .LBB7_1494
; %bb.1493:
	global_load_ushort v1, v[8:9], off
	s_andn2_b64 s[0:1], s[6:7], exec
	s_waitcnt vmcnt(0)
	v_cmp_ne_u16_e32 vcc, 0, v1
	s_and_b64 s[6:7], vcc, exec
	s_or_b64 s[6:7], s[0:1], s[6:7]
.LBB7_1494:
	s_mov_b64 s[0:1], 0
.LBB7_1495:
	s_andn2_b64 vcc, exec, s[0:1]
	s_cbranch_vccnz .LBB7_1501
; %bb.1496:
	s_cmp_gt_i32 s16, 0
	s_cbranch_scc0 .LBB7_1498
; %bb.1497:
	global_load_ubyte v1, v[8:9], off
	s_mov_b64 s[0:1], 0
	s_waitcnt vmcnt(0)
	v_cmp_ne_u16_e64 s[6:7], 0, v1
	s_branch .LBB7_1499
.LBB7_1498:
	s_mov_b64 s[0:1], -1
                                        ; implicit-def: $sgpr6_sgpr7
.LBB7_1499:
	s_andn2_b64 vcc, exec, s[0:1]
	s_cbranch_vccnz .LBB7_1501
; %bb.1500:
	global_load_ubyte v1, v[8:9], off
	s_andn2_b64 s[0:1], s[6:7], exec
	s_waitcnt vmcnt(0)
	v_cmp_ne_u16_e32 vcc, 0, v1
	s_and_b64 s[6:7], vcc, exec
	s_or_b64 s[6:7], s[0:1], s[6:7]
.LBB7_1501:
	s_mov_b64 s[14:15], -1
.LBB7_1502:
	s_andn2_b64 vcc, exec, s[14:15]
	s_cbranch_vccnz .LBB7_1933
; %bb.1503:
	s_bfe_u32 s23, s22, 0x80008
	s_xor_b64 s[12:13], s[12:13], -1
	v_mov_b32_e32 v7, 0
	s_mov_b64 s[0:1], -1
	v_lshl_add_u64 v[6:7], s[4:5], 0, v[6:7]
	s_cmp_lt_i32 s23, 11
	s_mov_b64 s[16:17], 0
	s_cbranch_scc1 .LBB7_1582
; %bb.1504:
	s_and_b32 s28, 0xffff, s23
	s_mov_b64 s[18:19], -1
	s_mov_b64 s[14:15], 0
	s_cmp_gt_i32 s28, 25
	s_mov_b64 s[0:1], 0
	s_cbranch_scc0 .LBB7_1537
; %bb.1505:
	s_cmp_gt_i32 s28, 28
	s_cbranch_scc0 .LBB7_1520
; %bb.1506:
	s_cmp_gt_i32 s28, 43
	;; [unrolled: 3-line block ×3, first 2 shown]
	s_cbranch_scc0 .LBB7_1510
; %bb.1508:
	s_mov_b64 s[0:1], -1
	s_mov_b64 s[18:19], 0
	s_cmp_eq_u32 s28, 46
	s_cbranch_scc0 .LBB7_1510
; %bb.1509:
	v_cndmask_b32_e64 v1, 0, 1.0, s[12:13]
	v_bfe_u32 v3, v1, 16, 1
	s_movk_i32 s0, 0x7fff
	v_add3_u32 v1, v1, v3, s0
	v_lshrrev_b32_e32 v1, 16, v1
	global_store_dword v[6:7], v1, off
	s_mov_b64 s[0:1], 0
	s_mov_b64 s[16:17], -1
.LBB7_1510:
	s_and_b64 vcc, exec, s[18:19]
	s_cbranch_vccz .LBB7_1515
; %bb.1511:
	s_cmp_eq_u32 s28, 44
	s_mov_b64 s[0:1], -1
	s_cbranch_scc0 .LBB7_1515
; %bb.1512:
	v_cndmask_b32_e64 v3, 0, 1.0, s[12:13]
	v_lshrrev_b32_e32 v1, 23, v3
	s_movk_i32 s0, 0xff
	v_cmp_ne_u32_e32 vcc, s0, v1
	v_mov_b32_e32 v5, 0xff
	s_and_saveexec_b64 s[16:17], vcc
; %bb.1513:
	s_mov_b32 s0, 0x3fffff
	v_and_b32_e32 v5, 0x400000, v3
	v_and_or_b32 v3, v3, s0, v1
	v_cmp_ne_u32_e32 vcc, 0, v5
	v_cmp_ne_u32_e64 s[0:1], 0, v3
	s_and_b64 s[0:1], vcc, s[0:1]
	s_nop 0
	v_cndmask_b32_e64 v3, 0, 1, s[0:1]
	v_add_u32_e32 v5, v1, v3
; %bb.1514:
	s_or_b64 exec, exec, s[16:17]
	s_mov_b64 s[0:1], 0
	s_mov_b64 s[16:17], -1
	global_store_byte v[6:7], v5, off
.LBB7_1515:
	s_mov_b64 s[18:19], 0
.LBB7_1516:
	s_and_b64 vcc, exec, s[18:19]
	s_cbranch_vccz .LBB7_1519
; %bb.1517:
	s_cmp_eq_u32 s28, 29
	s_mov_b64 s[0:1], -1
	s_cbranch_scc0 .LBB7_1519
; %bb.1518:
	s_mov_b32 s0, 0
	v_cndmask_b32_e64 v8, 0, 1, s[12:13]
	v_mov_b32_e32 v9, s0
	global_store_dwordx2 v[6:7], v[8:9], off
	s_mov_b64 s[0:1], 0
	s_mov_b64 s[16:17], -1
.LBB7_1519:
	s_mov_b64 s[18:19], 0
.LBB7_1520:
	s_and_b64 vcc, exec, s[18:19]
	s_cbranch_vccz .LBB7_1536
; %bb.1521:
	s_cmp_lt_i32 s28, 27
	s_mov_b64 s[16:17], -1
	s_cbranch_scc1 .LBB7_1527
; %bb.1522:
	s_cmp_gt_i32 s28, 27
	s_cbranch_scc0 .LBB7_1524
; %bb.1523:
	v_cndmask_b32_e64 v1, 0, 1, s[12:13]
	s_mov_b64 s[16:17], 0
	global_store_dword v[6:7], v1, off
.LBB7_1524:
	s_andn2_b64 vcc, exec, s[16:17]
	s_cbranch_vccnz .LBB7_1526
; %bb.1525:
	v_cndmask_b32_e64 v1, 0, 1, s[12:13]
	global_store_short v[6:7], v1, off
.LBB7_1526:
	s_mov_b64 s[16:17], 0
.LBB7_1527:
	s_andn2_b64 vcc, exec, s[16:17]
	s_cbranch_vccnz .LBB7_1535
; %bb.1528:
	v_cndmask_b32_e64 v3, 0, 1.0, s[12:13]
	s_mov_b32 s16, 0x43800000
	v_cmp_gt_u32_e32 vcc, s16, v3
	v_mov_b32_e32 v5, 0x80
	s_and_saveexec_b64 s[16:17], vcc
	s_cbranch_execz .LBB7_1534
; %bb.1529:
	s_mov_b32 s18, 0x3bffffff
	v_cmp_lt_u32_e32 vcc, s18, v3
	s_mov_b64 s[18:19], 0
                                        ; implicit-def: $vgpr1
	s_and_saveexec_b64 s[20:21], vcc
	s_xor_b64 s[20:21], exec, s[20:21]
	s_cbranch_execz .LBB7_1979
; %bb.1530:
	v_bfe_u32 v1, v3, 20, 1
	s_mov_b32 s29, 0x487ffff
	v_add3_u32 v1, v3, v1, s29
	s_mov_b64 s[18:19], exec
	v_lshrrev_b32_e32 v1, 20, v1
                                        ; implicit-def: $vgpr3
	s_andn2_saveexec_b64 s[20:21], s[20:21]
	s_cbranch_execnz .LBB7_1980
.LBB7_1531:
	s_or_b64 exec, exec, s[20:21]
	v_mov_b32_e32 v5, 0
	s_and_saveexec_b64 s[20:21], s[18:19]
.LBB7_1532:
	v_mov_b32_e32 v5, v1
.LBB7_1533:
	s_or_b64 exec, exec, s[20:21]
.LBB7_1534:
	s_or_b64 exec, exec, s[16:17]
	global_store_byte v[6:7], v5, off
.LBB7_1535:
	s_mov_b64 s[16:17], -1
.LBB7_1536:
	s_mov_b64 s[18:19], 0
.LBB7_1537:
	s_and_b64 vcc, exec, s[18:19]
	s_cbranch_vccz .LBB7_1577
; %bb.1538:
	s_cmp_gt_i32 s28, 22
	s_mov_b64 s[14:15], -1
	s_cbranch_scc0 .LBB7_1570
; %bb.1539:
	s_cmp_lt_i32 s28, 24
	s_cbranch_scc1 .LBB7_1559
; %bb.1540:
	s_cmp_gt_i32 s28, 24
	s_cbranch_scc0 .LBB7_1548
; %bb.1541:
	v_cndmask_b32_e64 v3, 0, 1.0, s[12:13]
	s_mov_b32 s14, 0x47800000
	v_cmp_gt_u32_e32 vcc, s14, v3
	v_mov_b32_e32 v5, 0x80
	s_and_saveexec_b64 s[14:15], vcc
	s_cbranch_execz .LBB7_1547
; %bb.1542:
	s_mov_b32 s16, 0x37ffffff
	v_cmp_lt_u32_e32 vcc, s16, v3
	s_mov_b64 s[16:17], 0
                                        ; implicit-def: $vgpr1
	s_and_saveexec_b64 s[18:19], vcc
	s_xor_b64 s[18:19], exec, s[18:19]
	s_cbranch_execz .LBB7_1982
; %bb.1543:
	v_bfe_u32 v1, v3, 21, 1
	s_mov_b32 s20, 0x88fffff
	v_add3_u32 v1, v3, v1, s20
	s_mov_b64 s[16:17], exec
	v_lshrrev_b32_e32 v1, 21, v1
                                        ; implicit-def: $vgpr3
	s_andn2_saveexec_b64 s[18:19], s[18:19]
	s_cbranch_execnz .LBB7_1983
.LBB7_1544:
	s_or_b64 exec, exec, s[18:19]
	v_mov_b32_e32 v5, 0
	s_and_saveexec_b64 s[18:19], s[16:17]
.LBB7_1545:
	v_mov_b32_e32 v5, v1
.LBB7_1546:
	s_or_b64 exec, exec, s[18:19]
.LBB7_1547:
	s_or_b64 exec, exec, s[14:15]
	s_mov_b64 s[14:15], 0
	global_store_byte v[6:7], v5, off
.LBB7_1548:
	s_and_b64 vcc, exec, s[14:15]
	s_cbranch_vccz .LBB7_1558
; %bb.1549:
	v_cndmask_b32_e64 v1, 0, 1.0, s[12:13]
	s_mov_b32 s14, 0x43f00000
	v_cmp_gt_u32_e32 vcc, s14, v1
                                        ; implicit-def: $vgpr3
	s_and_saveexec_b64 s[14:15], vcc
	s_xor_b64 s[14:15], exec, s[14:15]
	s_cbranch_execz .LBB7_1555
; %bb.1550:
	s_mov_b32 s16, 0x3c7fffff
	v_cmp_lt_u32_e32 vcc, s16, v1
                                        ; implicit-def: $vgpr3
	s_and_saveexec_b64 s[16:17], vcc
	s_xor_b64 s[16:17], exec, s[16:17]
; %bb.1551:
	v_bfe_u32 v3, v1, 20, 1
	s_mov_b32 s18, 0x407ffff
	v_add3_u32 v1, v1, v3, s18
	v_lshrrev_b32_e32 v3, 20, v1
	v_and_b32_e32 v1, 0xff00000, v1
	s_mov_b32 s18, 0x7f00000
	v_mov_b32_e32 v5, 0x7e
	v_cmp_ne_u32_e32 vcc, s18, v1
                                        ; implicit-def: $vgpr1
	s_nop 1
	v_cndmask_b32_e32 v3, v5, v3, vcc
; %bb.1552:
	s_andn2_saveexec_b64 s[16:17], s[16:17]
; %bb.1553:
	v_add_f32_e32 v3, 0x46800000, v1
; %bb.1554:
	s_or_b64 exec, exec, s[16:17]
                                        ; implicit-def: $vgpr1
.LBB7_1555:
	s_andn2_saveexec_b64 s[14:15], s[14:15]
; %bb.1556:
	s_mov_b32 s16, 0x7f800000
	v_mov_b32_e32 v3, 0x7e
	v_mov_b32_e32 v5, 0x7f
	v_cmp_lt_u32_e32 vcc, s16, v1
	s_nop 1
	v_cndmask_b32_e32 v3, v3, v5, vcc
; %bb.1557:
	s_or_b64 exec, exec, s[14:15]
	global_store_byte v[6:7], v3, off
.LBB7_1558:
	s_mov_b64 s[14:15], 0
.LBB7_1559:
	s_andn2_b64 vcc, exec, s[14:15]
	s_cbranch_vccnz .LBB7_1569
; %bb.1560:
	v_cndmask_b32_e64 v1, 0, 1.0, s[12:13]
	s_mov_b32 s14, 0x47800000
	v_cmp_gt_u32_e32 vcc, s14, v1
                                        ; implicit-def: $vgpr3
	s_and_saveexec_b64 s[14:15], vcc
	s_xor_b64 s[14:15], exec, s[14:15]
	s_cbranch_execz .LBB7_1566
; %bb.1561:
	s_mov_b32 s16, 0x387fffff
	v_cmp_lt_u32_e32 vcc, s16, v1
                                        ; implicit-def: $vgpr3
	s_and_saveexec_b64 s[16:17], vcc
	s_xor_b64 s[16:17], exec, s[16:17]
; %bb.1562:
	v_bfe_u32 v3, v1, 21, 1
	s_mov_b32 s18, 0x80fffff
	v_add3_u32 v1, v1, v3, s18
	v_lshrrev_b32_e32 v3, 21, v1
                                        ; implicit-def: $vgpr1
; %bb.1563:
	s_andn2_saveexec_b64 s[16:17], s[16:17]
; %bb.1564:
	v_add_f32_e32 v3, 0x43000000, v1
; %bb.1565:
	s_or_b64 exec, exec, s[16:17]
                                        ; implicit-def: $vgpr1
.LBB7_1566:
	s_andn2_saveexec_b64 s[14:15], s[14:15]
; %bb.1567:
	s_mov_b32 s16, 0x7f800000
	v_mov_b32_e32 v3, 0x7c
	v_mov_b32_e32 v5, 0x7f
	v_cmp_lt_u32_e32 vcc, s16, v1
	s_nop 1
	v_cndmask_b32_e32 v3, v3, v5, vcc
; %bb.1568:
	s_or_b64 exec, exec, s[14:15]
	global_store_byte v[6:7], v3, off
.LBB7_1569:
	s_mov_b64 s[14:15], 0
	s_mov_b64 s[16:17], -1
.LBB7_1570:
	s_andn2_b64 vcc, exec, s[14:15]
	s_mov_b64 s[14:15], 0
	s_cbranch_vccnz .LBB7_1577
; %bb.1571:
	s_cmp_gt_i32 s28, 14
	s_mov_b64 s[18:19], -1
	s_cbranch_scc0 .LBB7_1575
; %bb.1572:
	s_cmp_eq_u32 s28, 15
	s_mov_b64 s[0:1], -1
	s_cbranch_scc0 .LBB7_1574
; %bb.1573:
	v_cndmask_b32_e64 v1, 0, 1.0, s[12:13]
	v_bfe_u32 v3, v1, 16, 1
	s_movk_i32 s0, 0x7fff
	v_add3_u32 v1, v1, v3, s0
	global_store_short_d16_hi v[6:7], v1, off
	s_mov_b64 s[0:1], 0
	s_mov_b64 s[16:17], -1
.LBB7_1574:
	s_mov_b64 s[18:19], 0
.LBB7_1575:
	s_and_b64 vcc, exec, s[18:19]
	s_cbranch_vccz .LBB7_1577
; %bb.1576:
	s_cmp_lg_u32 s28, 11
	s_mov_b64 s[14:15], -1
	s_cselect_b64 s[0:1], -1, 0
.LBB7_1577:
	s_and_b64 vcc, exec, s[0:1]
	s_cbranch_vccnz .LBB7_1981
; %bb.1578:
	s_andn2_b64 vcc, exec, s[14:15]
	s_cbranch_vccnz .LBB7_1580
.LBB7_1579:
	v_cndmask_b32_e64 v1, 0, 1, s[12:13]
	s_mov_b64 s[16:17], -1
	global_store_byte v[6:7], v1, off
.LBB7_1580:
.LBB7_1581:
	s_andn2_b64 vcc, exec, s[16:17]
	s_cbranch_vccz .LBB7_1621
	s_branch .LBB7_1933
.LBB7_1582:
	s_and_b64 vcc, exec, s[0:1]
	s_cbranch_vccz .LBB7_1581
; %bb.1583:
	s_and_b32 s14, 0xffff, s23
	s_cmp_lt_i32 s14, 5
	s_mov_b64 s[0:1], -1
	s_cbranch_scc1 .LBB7_1604
; %bb.1584:
	s_cmp_lt_i32 s14, 8
	s_cbranch_scc1 .LBB7_1594
; %bb.1585:
	s_cmp_lt_i32 s14, 9
	s_cbranch_scc1 .LBB7_1591
; %bb.1586:
	s_cmp_gt_i32 s14, 9
	s_cbranch_scc0 .LBB7_1588
; %bb.1587:
	v_cndmask_b32_e64 v1, 0, 1, s[12:13]
	v_mov_b32_e32 v10, 0
	v_cvt_f64_u32_e32 v[8:9], v1
	v_mov_b32_e32 v11, v10
	global_store_dwordx4 v[6:7], v[8:11], off
	s_mov_b64 s[0:1], 0
.LBB7_1588:
	s_andn2_b64 vcc, exec, s[0:1]
	s_cbranch_vccnz .LBB7_1590
; %bb.1589:
	v_cndmask_b32_e64 v8, 0, 1.0, s[12:13]
	v_mov_b32_e32 v9, 0
	global_store_dwordx2 v[6:7], v[8:9], off
.LBB7_1590:
	s_mov_b64 s[0:1], 0
.LBB7_1591:
	s_andn2_b64 vcc, exec, s[0:1]
	s_cbranch_vccnz .LBB7_1593
; %bb.1592:
	v_cndmask_b32_e64 v1, 0, 1.0, s[12:13]
	v_cvt_f16_f32_e32 v1, v1
	global_store_dword v[6:7], v1, off
.LBB7_1593:
	s_mov_b64 s[0:1], 0
.LBB7_1594:
	s_andn2_b64 vcc, exec, s[0:1]
	s_cbranch_vccnz .LBB7_1603
; %bb.1595:
	s_cmp_lt_i32 s14, 6
	s_mov_b64 s[0:1], -1
	s_cbranch_scc1 .LBB7_1601
; %bb.1596:
	s_cmp_gt_i32 s14, 6
	s_cbranch_scc0 .LBB7_1598
; %bb.1597:
	v_cndmask_b32_e64 v1, 0, 1, s[12:13]
	v_cvt_f64_u32_e32 v[8:9], v1
	global_store_dwordx2 v[6:7], v[8:9], off
	s_mov_b64 s[0:1], 0
.LBB7_1598:
	s_andn2_b64 vcc, exec, s[0:1]
	s_cbranch_vccnz .LBB7_1600
; %bb.1599:
	v_cndmask_b32_e64 v1, 0, 1.0, s[12:13]
	global_store_dword v[6:7], v1, off
.LBB7_1600:
	s_mov_b64 s[0:1], 0
.LBB7_1601:
	s_andn2_b64 vcc, exec, s[0:1]
	s_cbranch_vccnz .LBB7_1603
; %bb.1602:
	v_cndmask_b32_e64 v1, 0, 1.0, s[12:13]
	v_cvt_f16_f32_e32 v1, v1
	global_store_short v[6:7], v1, off
.LBB7_1603:
	s_mov_b64 s[0:1], 0
.LBB7_1604:
	s_andn2_b64 vcc, exec, s[0:1]
	s_cbranch_vccnz .LBB7_1620
; %bb.1605:
	s_cmp_lt_i32 s14, 2
	s_mov_b64 s[0:1], -1
	s_cbranch_scc1 .LBB7_1615
; %bb.1606:
	s_cmp_lt_i32 s14, 3
	s_cbranch_scc1 .LBB7_1612
; %bb.1607:
	s_cmp_gt_i32 s14, 3
	s_cbranch_scc0 .LBB7_1609
; %bb.1608:
	s_mov_b32 s0, 0
	v_cndmask_b32_e64 v8, 0, 1, s[12:13]
	v_mov_b32_e32 v9, s0
	global_store_dwordx2 v[6:7], v[8:9], off
	s_mov_b64 s[0:1], 0
.LBB7_1609:
	s_andn2_b64 vcc, exec, s[0:1]
	s_cbranch_vccnz .LBB7_1611
; %bb.1610:
	v_cndmask_b32_e64 v1, 0, 1, s[12:13]
	global_store_dword v[6:7], v1, off
.LBB7_1611:
	s_mov_b64 s[0:1], 0
.LBB7_1612:
	s_andn2_b64 vcc, exec, s[0:1]
	s_cbranch_vccnz .LBB7_1614
; %bb.1613:
	v_cndmask_b32_e64 v1, 0, 1, s[12:13]
	global_store_short v[6:7], v1, off
.LBB7_1614:
	s_mov_b64 s[0:1], 0
.LBB7_1615:
	s_andn2_b64 vcc, exec, s[0:1]
	s_cbranch_vccnz .LBB7_1620
; %bb.1616:
	s_mov_b64 s[0:1], -1
	s_cmp_gt_i32 s14, 0
	v_cndmask_b32_e64 v1, 0, 1, s[12:13]
	s_cbranch_scc0 .LBB7_1618
; %bb.1617:
	global_store_byte v[6:7], v1, off
	s_mov_b64 s[0:1], 0
.LBB7_1618:
	s_andn2_b64 vcc, exec, s[0:1]
	s_cbranch_vccnz .LBB7_1620
; %bb.1619:
	global_store_byte v[6:7], v1, off
.LBB7_1620:
.LBB7_1621:
	s_lshr_b32 s0, s22, 8
	s_and_b32 s20, s0, 0xff
	s_xor_b64 s[10:11], s[10:11], -1
	v_mov_b32_e32 v5, 0
	s_mov_b64 s[0:1], -1
	v_lshl_add_u64 v[4:5], s[4:5], 0, v[4:5]
	s_cmp_lt_i32 s20, 11
	s_mov_b64 s[14:15], 0
	s_cbranch_scc1 .LBB7_1700
; %bb.1622:
	s_and_b32 s21, 0xffff, s20
	s_mov_b64 s[16:17], -1
	s_mov_b64 s[12:13], 0
	s_cmp_gt_i32 s21, 25
	s_mov_b64 s[0:1], 0
	s_cbranch_scc0 .LBB7_1655
; %bb.1623:
	s_cmp_gt_i32 s21, 28
	s_cbranch_scc0 .LBB7_1638
; %bb.1624:
	s_cmp_gt_i32 s21, 43
	;; [unrolled: 3-line block ×3, first 2 shown]
	s_cbranch_scc0 .LBB7_1628
; %bb.1626:
	s_mov_b64 s[0:1], -1
	s_mov_b64 s[16:17], 0
	s_cmp_eq_u32 s21, 46
	s_cbranch_scc0 .LBB7_1628
; %bb.1627:
	v_cndmask_b32_e64 v1, 0, 1.0, s[10:11]
	v_bfe_u32 v3, v1, 16, 1
	s_movk_i32 s0, 0x7fff
	v_add3_u32 v1, v1, v3, s0
	v_lshrrev_b32_e32 v1, 16, v1
	global_store_dword v[4:5], v1, off
	s_mov_b64 s[0:1], 0
	s_mov_b64 s[14:15], -1
.LBB7_1628:
	s_and_b64 vcc, exec, s[16:17]
	s_cbranch_vccz .LBB7_1633
; %bb.1629:
	s_cmp_eq_u32 s21, 44
	s_mov_b64 s[0:1], -1
	s_cbranch_scc0 .LBB7_1633
; %bb.1630:
	v_cndmask_b32_e64 v3, 0, 1.0, s[10:11]
	v_lshrrev_b32_e32 v1, 23, v3
	s_movk_i32 s0, 0xff
	v_cmp_ne_u32_e32 vcc, s0, v1
	v_mov_b32_e32 v6, 0xff
	s_and_saveexec_b64 s[14:15], vcc
; %bb.1631:
	s_mov_b32 s0, 0x3fffff
	v_and_b32_e32 v6, 0x400000, v3
	v_and_or_b32 v3, v3, s0, v1
	v_cmp_ne_u32_e32 vcc, 0, v6
	v_cmp_ne_u32_e64 s[0:1], 0, v3
	s_and_b64 s[0:1], vcc, s[0:1]
	s_nop 0
	v_cndmask_b32_e64 v3, 0, 1, s[0:1]
	v_add_u32_e32 v6, v1, v3
; %bb.1632:
	s_or_b64 exec, exec, s[14:15]
	s_mov_b64 s[0:1], 0
	s_mov_b64 s[14:15], -1
	global_store_byte v[4:5], v6, off
.LBB7_1633:
	s_mov_b64 s[16:17], 0
.LBB7_1634:
	s_and_b64 vcc, exec, s[16:17]
	s_cbranch_vccz .LBB7_1637
; %bb.1635:
	s_cmp_eq_u32 s21, 29
	s_mov_b64 s[0:1], -1
	s_cbranch_scc0 .LBB7_1637
; %bb.1636:
	s_mov_b32 s0, 0
	v_cndmask_b32_e64 v6, 0, 1, s[10:11]
	v_mov_b32_e32 v7, s0
	global_store_dwordx2 v[4:5], v[6:7], off
	s_mov_b64 s[0:1], 0
	s_mov_b64 s[14:15], -1
.LBB7_1637:
	s_mov_b64 s[16:17], 0
.LBB7_1638:
	s_and_b64 vcc, exec, s[16:17]
	s_cbranch_vccz .LBB7_1654
; %bb.1639:
	s_cmp_lt_i32 s21, 27
	s_mov_b64 s[14:15], -1
	s_cbranch_scc1 .LBB7_1645
; %bb.1640:
	s_cmp_gt_i32 s21, 27
	s_cbranch_scc0 .LBB7_1642
; %bb.1641:
	v_cndmask_b32_e64 v1, 0, 1, s[10:11]
	s_mov_b64 s[14:15], 0
	global_store_dword v[4:5], v1, off
.LBB7_1642:
	s_andn2_b64 vcc, exec, s[14:15]
	s_cbranch_vccnz .LBB7_1644
; %bb.1643:
	v_cndmask_b32_e64 v1, 0, 1, s[10:11]
	global_store_short v[4:5], v1, off
.LBB7_1644:
	s_mov_b64 s[14:15], 0
.LBB7_1645:
	s_andn2_b64 vcc, exec, s[14:15]
	s_cbranch_vccnz .LBB7_1653
; %bb.1646:
	v_cndmask_b32_e64 v3, 0, 1.0, s[10:11]
	s_mov_b32 s14, 0x43800000
	v_cmp_gt_u32_e32 vcc, s14, v3
	v_mov_b32_e32 v6, 0x80
	s_and_saveexec_b64 s[14:15], vcc
	s_cbranch_execz .LBB7_1652
; %bb.1647:
	s_mov_b32 s16, 0x3bffffff
	v_cmp_lt_u32_e32 vcc, s16, v3
	s_mov_b64 s[16:17], 0
                                        ; implicit-def: $vgpr1
	s_and_saveexec_b64 s[18:19], vcc
	s_xor_b64 s[18:19], exec, s[18:19]
	s_cbranch_execz .LBB7_1984
; %bb.1648:
	v_bfe_u32 v1, v3, 20, 1
	s_mov_b32 s22, 0x487ffff
	v_add3_u32 v1, v3, v1, s22
	s_mov_b64 s[16:17], exec
	v_lshrrev_b32_e32 v1, 20, v1
                                        ; implicit-def: $vgpr3
	s_andn2_saveexec_b64 s[18:19], s[18:19]
	s_cbranch_execnz .LBB7_1985
.LBB7_1649:
	s_or_b64 exec, exec, s[18:19]
	v_mov_b32_e32 v6, 0
	s_and_saveexec_b64 s[18:19], s[16:17]
.LBB7_1650:
	v_mov_b32_e32 v6, v1
.LBB7_1651:
	s_or_b64 exec, exec, s[18:19]
.LBB7_1652:
	s_or_b64 exec, exec, s[14:15]
	global_store_byte v[4:5], v6, off
.LBB7_1653:
	s_mov_b64 s[14:15], -1
.LBB7_1654:
	s_mov_b64 s[16:17], 0
.LBB7_1655:
	s_and_b64 vcc, exec, s[16:17]
	s_cbranch_vccz .LBB7_1695
; %bb.1656:
	s_cmp_gt_i32 s21, 22
	s_mov_b64 s[12:13], -1
	s_cbranch_scc0 .LBB7_1688
; %bb.1657:
	s_cmp_lt_i32 s21, 24
	s_cbranch_scc1 .LBB7_1677
; %bb.1658:
	s_cmp_gt_i32 s21, 24
	s_cbranch_scc0 .LBB7_1666
; %bb.1659:
	v_cndmask_b32_e64 v3, 0, 1.0, s[10:11]
	s_mov_b32 s12, 0x47800000
	v_cmp_gt_u32_e32 vcc, s12, v3
	v_mov_b32_e32 v6, 0x80
	s_and_saveexec_b64 s[12:13], vcc
	s_cbranch_execz .LBB7_1665
; %bb.1660:
	s_mov_b32 s14, 0x37ffffff
	v_cmp_lt_u32_e32 vcc, s14, v3
	s_mov_b64 s[14:15], 0
                                        ; implicit-def: $vgpr1
	s_and_saveexec_b64 s[16:17], vcc
	s_xor_b64 s[16:17], exec, s[16:17]
	s_cbranch_execz .LBB7_1987
; %bb.1661:
	v_bfe_u32 v1, v3, 21, 1
	s_mov_b32 s18, 0x88fffff
	v_add3_u32 v1, v3, v1, s18
	s_mov_b64 s[14:15], exec
	v_lshrrev_b32_e32 v1, 21, v1
                                        ; implicit-def: $vgpr3
	s_andn2_saveexec_b64 s[16:17], s[16:17]
	s_cbranch_execnz .LBB7_1988
.LBB7_1662:
	s_or_b64 exec, exec, s[16:17]
	v_mov_b32_e32 v6, 0
	s_and_saveexec_b64 s[16:17], s[14:15]
.LBB7_1663:
	v_mov_b32_e32 v6, v1
.LBB7_1664:
	s_or_b64 exec, exec, s[16:17]
.LBB7_1665:
	s_or_b64 exec, exec, s[12:13]
	s_mov_b64 s[12:13], 0
	global_store_byte v[4:5], v6, off
.LBB7_1666:
	s_and_b64 vcc, exec, s[12:13]
	s_cbranch_vccz .LBB7_1676
; %bb.1667:
	v_cndmask_b32_e64 v1, 0, 1.0, s[10:11]
	s_mov_b32 s12, 0x43f00000
	v_cmp_gt_u32_e32 vcc, s12, v1
                                        ; implicit-def: $vgpr3
	s_and_saveexec_b64 s[12:13], vcc
	s_xor_b64 s[12:13], exec, s[12:13]
	s_cbranch_execz .LBB7_1673
; %bb.1668:
	s_mov_b32 s14, 0x3c7fffff
	v_cmp_lt_u32_e32 vcc, s14, v1
                                        ; implicit-def: $vgpr3
	s_and_saveexec_b64 s[14:15], vcc
	s_xor_b64 s[14:15], exec, s[14:15]
; %bb.1669:
	v_bfe_u32 v3, v1, 20, 1
	s_mov_b32 s16, 0x407ffff
	v_add3_u32 v1, v1, v3, s16
	v_lshrrev_b32_e32 v3, 20, v1
	v_and_b32_e32 v1, 0xff00000, v1
	s_mov_b32 s16, 0x7f00000
	v_mov_b32_e32 v6, 0x7e
	v_cmp_ne_u32_e32 vcc, s16, v1
                                        ; implicit-def: $vgpr1
	s_nop 1
	v_cndmask_b32_e32 v3, v6, v3, vcc
; %bb.1670:
	s_andn2_saveexec_b64 s[14:15], s[14:15]
; %bb.1671:
	v_add_f32_e32 v3, 0x46800000, v1
; %bb.1672:
	s_or_b64 exec, exec, s[14:15]
                                        ; implicit-def: $vgpr1
.LBB7_1673:
	s_andn2_saveexec_b64 s[12:13], s[12:13]
; %bb.1674:
	s_mov_b32 s14, 0x7f800000
	v_mov_b32_e32 v3, 0x7e
	v_mov_b32_e32 v6, 0x7f
	v_cmp_lt_u32_e32 vcc, s14, v1
	s_nop 1
	v_cndmask_b32_e32 v3, v3, v6, vcc
; %bb.1675:
	s_or_b64 exec, exec, s[12:13]
	global_store_byte v[4:5], v3, off
.LBB7_1676:
	s_mov_b64 s[12:13], 0
.LBB7_1677:
	s_andn2_b64 vcc, exec, s[12:13]
	s_cbranch_vccnz .LBB7_1687
; %bb.1678:
	v_cndmask_b32_e64 v1, 0, 1.0, s[10:11]
	s_mov_b32 s12, 0x47800000
	v_cmp_gt_u32_e32 vcc, s12, v1
                                        ; implicit-def: $vgpr3
	s_and_saveexec_b64 s[12:13], vcc
	s_xor_b64 s[12:13], exec, s[12:13]
	s_cbranch_execz .LBB7_1684
; %bb.1679:
	s_mov_b32 s14, 0x387fffff
	v_cmp_lt_u32_e32 vcc, s14, v1
                                        ; implicit-def: $vgpr3
	s_and_saveexec_b64 s[14:15], vcc
	s_xor_b64 s[14:15], exec, s[14:15]
; %bb.1680:
	v_bfe_u32 v3, v1, 21, 1
	s_mov_b32 s16, 0x80fffff
	v_add3_u32 v1, v1, v3, s16
	v_lshrrev_b32_e32 v3, 21, v1
                                        ; implicit-def: $vgpr1
; %bb.1681:
	s_andn2_saveexec_b64 s[14:15], s[14:15]
; %bb.1682:
	v_add_f32_e32 v3, 0x43000000, v1
; %bb.1683:
	s_or_b64 exec, exec, s[14:15]
                                        ; implicit-def: $vgpr1
.LBB7_1684:
	s_andn2_saveexec_b64 s[12:13], s[12:13]
; %bb.1685:
	s_mov_b32 s14, 0x7f800000
	v_mov_b32_e32 v3, 0x7c
	v_mov_b32_e32 v6, 0x7f
	v_cmp_lt_u32_e32 vcc, s14, v1
	s_nop 1
	v_cndmask_b32_e32 v3, v3, v6, vcc
; %bb.1686:
	s_or_b64 exec, exec, s[12:13]
	global_store_byte v[4:5], v3, off
.LBB7_1687:
	s_mov_b64 s[12:13], 0
	s_mov_b64 s[14:15], -1
.LBB7_1688:
	s_andn2_b64 vcc, exec, s[12:13]
	s_mov_b64 s[12:13], 0
	s_cbranch_vccnz .LBB7_1695
; %bb.1689:
	s_cmp_gt_i32 s21, 14
	s_mov_b64 s[16:17], -1
	s_cbranch_scc0 .LBB7_1693
; %bb.1690:
	s_cmp_eq_u32 s21, 15
	s_mov_b64 s[0:1], -1
	s_cbranch_scc0 .LBB7_1692
; %bb.1691:
	v_cndmask_b32_e64 v1, 0, 1.0, s[10:11]
	v_bfe_u32 v3, v1, 16, 1
	s_movk_i32 s0, 0x7fff
	v_add3_u32 v1, v1, v3, s0
	global_store_short_d16_hi v[4:5], v1, off
	s_mov_b64 s[0:1], 0
	s_mov_b64 s[14:15], -1
.LBB7_1692:
	s_mov_b64 s[16:17], 0
.LBB7_1693:
	s_and_b64 vcc, exec, s[16:17]
	s_cbranch_vccz .LBB7_1695
; %bb.1694:
	s_cmp_lg_u32 s21, 11
	s_mov_b64 s[12:13], -1
	s_cselect_b64 s[0:1], -1, 0
.LBB7_1695:
	s_and_b64 vcc, exec, s[0:1]
	s_cbranch_vccnz .LBB7_1986
; %bb.1696:
	s_andn2_b64 vcc, exec, s[12:13]
	s_cbranch_vccnz .LBB7_1698
.LBB7_1697:
	v_cndmask_b32_e64 v1, 0, 1, s[10:11]
	s_mov_b64 s[14:15], -1
	global_store_byte v[4:5], v1, off
.LBB7_1698:
.LBB7_1699:
	s_andn2_b64 vcc, exec, s[14:15]
	s_cbranch_vccz .LBB7_1739
	s_branch .LBB7_1933
.LBB7_1700:
	s_and_b64 vcc, exec, s[0:1]
	s_cbranch_vccz .LBB7_1699
; %bb.1701:
	s_and_b32 s12, 0xffff, s20
	s_cmp_lt_i32 s12, 5
	s_mov_b64 s[0:1], -1
	s_cbranch_scc1 .LBB7_1722
; %bb.1702:
	s_cmp_lt_i32 s12, 8
	s_cbranch_scc1 .LBB7_1712
; %bb.1703:
	s_cmp_lt_i32 s12, 9
	s_cbranch_scc1 .LBB7_1709
; %bb.1704:
	s_cmp_gt_i32 s12, 9
	s_cbranch_scc0 .LBB7_1706
; %bb.1705:
	v_cndmask_b32_e64 v1, 0, 1, s[10:11]
	v_mov_b32_e32 v8, 0
	v_cvt_f64_u32_e32 v[6:7], v1
	v_mov_b32_e32 v9, v8
	global_store_dwordx4 v[4:5], v[6:9], off
	s_mov_b64 s[0:1], 0
.LBB7_1706:
	s_andn2_b64 vcc, exec, s[0:1]
	s_cbranch_vccnz .LBB7_1708
; %bb.1707:
	v_cndmask_b32_e64 v6, 0, 1.0, s[10:11]
	v_mov_b32_e32 v7, 0
	global_store_dwordx2 v[4:5], v[6:7], off
.LBB7_1708:
	s_mov_b64 s[0:1], 0
.LBB7_1709:
	s_andn2_b64 vcc, exec, s[0:1]
	s_cbranch_vccnz .LBB7_1711
; %bb.1710:
	v_cndmask_b32_e64 v1, 0, 1.0, s[10:11]
	v_cvt_f16_f32_e32 v1, v1
	global_store_dword v[4:5], v1, off
.LBB7_1711:
	s_mov_b64 s[0:1], 0
.LBB7_1712:
	s_andn2_b64 vcc, exec, s[0:1]
	s_cbranch_vccnz .LBB7_1721
; %bb.1713:
	s_cmp_lt_i32 s12, 6
	s_mov_b64 s[0:1], -1
	s_cbranch_scc1 .LBB7_1719
; %bb.1714:
	s_cmp_gt_i32 s12, 6
	s_cbranch_scc0 .LBB7_1716
; %bb.1715:
	v_cndmask_b32_e64 v1, 0, 1, s[10:11]
	v_cvt_f64_u32_e32 v[6:7], v1
	global_store_dwordx2 v[4:5], v[6:7], off
	s_mov_b64 s[0:1], 0
.LBB7_1716:
	s_andn2_b64 vcc, exec, s[0:1]
	s_cbranch_vccnz .LBB7_1718
; %bb.1717:
	v_cndmask_b32_e64 v1, 0, 1.0, s[10:11]
	global_store_dword v[4:5], v1, off
.LBB7_1718:
	s_mov_b64 s[0:1], 0
.LBB7_1719:
	s_andn2_b64 vcc, exec, s[0:1]
	s_cbranch_vccnz .LBB7_1721
; %bb.1720:
	v_cndmask_b32_e64 v1, 0, 1.0, s[10:11]
	v_cvt_f16_f32_e32 v1, v1
	global_store_short v[4:5], v1, off
.LBB7_1721:
	s_mov_b64 s[0:1], 0
.LBB7_1722:
	s_andn2_b64 vcc, exec, s[0:1]
	s_cbranch_vccnz .LBB7_1738
; %bb.1723:
	s_cmp_lt_i32 s12, 2
	s_mov_b64 s[0:1], -1
	s_cbranch_scc1 .LBB7_1733
; %bb.1724:
	s_cmp_lt_i32 s12, 3
	s_cbranch_scc1 .LBB7_1730
; %bb.1725:
	s_cmp_gt_i32 s12, 3
	s_cbranch_scc0 .LBB7_1727
; %bb.1726:
	s_mov_b32 s0, 0
	v_cndmask_b32_e64 v6, 0, 1, s[10:11]
	v_mov_b32_e32 v7, s0
	global_store_dwordx2 v[4:5], v[6:7], off
	s_mov_b64 s[0:1], 0
.LBB7_1727:
	s_andn2_b64 vcc, exec, s[0:1]
	s_cbranch_vccnz .LBB7_1729
; %bb.1728:
	v_cndmask_b32_e64 v1, 0, 1, s[10:11]
	global_store_dword v[4:5], v1, off
.LBB7_1729:
	s_mov_b64 s[0:1], 0
.LBB7_1730:
	s_andn2_b64 vcc, exec, s[0:1]
	s_cbranch_vccnz .LBB7_1732
; %bb.1731:
	v_cndmask_b32_e64 v1, 0, 1, s[10:11]
	global_store_short v[4:5], v1, off
.LBB7_1732:
	s_mov_b64 s[0:1], 0
.LBB7_1733:
	s_andn2_b64 vcc, exec, s[0:1]
	s_cbranch_vccnz .LBB7_1738
; %bb.1734:
	s_mov_b64 s[0:1], -1
	s_cmp_gt_i32 s12, 0
	v_cndmask_b32_e64 v1, 0, 1, s[10:11]
	s_cbranch_scc0 .LBB7_1736
; %bb.1735:
	global_store_byte v[4:5], v1, off
	s_mov_b64 s[0:1], 0
.LBB7_1736:
	s_andn2_b64 vcc, exec, s[0:1]
	s_cbranch_vccnz .LBB7_1738
; %bb.1737:
	global_store_byte v[4:5], v1, off
.LBB7_1738:
.LBB7_1739:
	s_xor_b64 s[8:9], s[8:9], -1
	v_mov_b32_e32 v3, 0
	s_mov_b64 s[0:1], -1
	v_lshl_add_u64 v[2:3], s[4:5], 0, v[2:3]
	s_cmp_lt_i32 s20, 11
	s_mov_b64 s[12:13], 0
	s_cbranch_scc1 .LBB7_1894
; %bb.1740:
	s_and_b32 s18, 0xffff, s20
	s_mov_b64 s[14:15], -1
	s_mov_b64 s[10:11], 0
	s_cmp_gt_i32 s18, 25
	s_mov_b64 s[0:1], 0
	s_cbranch_scc0 .LBB7_1773
; %bb.1741:
	s_cmp_gt_i32 s18, 28
	s_cbranch_scc0 .LBB7_1756
; %bb.1742:
	s_cmp_gt_i32 s18, 43
	;; [unrolled: 3-line block ×3, first 2 shown]
	s_cbranch_scc0 .LBB7_1746
; %bb.1744:
	s_mov_b64 s[0:1], -1
	s_mov_b64 s[14:15], 0
	s_cmp_eq_u32 s18, 46
	s_cbranch_scc0 .LBB7_1746
; %bb.1745:
	v_cndmask_b32_e64 v1, 0, 1.0, s[8:9]
	v_bfe_u32 v4, v1, 16, 1
	s_movk_i32 s0, 0x7fff
	v_add3_u32 v1, v1, v4, s0
	v_lshrrev_b32_e32 v1, 16, v1
	global_store_dword v[2:3], v1, off
	s_mov_b64 s[0:1], 0
	s_mov_b64 s[12:13], -1
.LBB7_1746:
	s_and_b64 vcc, exec, s[14:15]
	s_cbranch_vccz .LBB7_1751
; %bb.1747:
	s_cmp_eq_u32 s18, 44
	s_mov_b64 s[0:1], -1
	s_cbranch_scc0 .LBB7_1751
; %bb.1748:
	v_cndmask_b32_e64 v4, 0, 1.0, s[8:9]
	v_lshrrev_b32_e32 v1, 23, v4
	s_movk_i32 s0, 0xff
	v_cmp_ne_u32_e32 vcc, s0, v1
	v_mov_b32_e32 v5, 0xff
	s_and_saveexec_b64 s[12:13], vcc
; %bb.1749:
	s_mov_b32 s0, 0x3fffff
	v_and_b32_e32 v5, 0x400000, v4
	v_and_or_b32 v4, v4, s0, v1
	v_cmp_ne_u32_e32 vcc, 0, v5
	v_cmp_ne_u32_e64 s[0:1], 0, v4
	s_and_b64 s[0:1], vcc, s[0:1]
	s_nop 0
	v_cndmask_b32_e64 v4, 0, 1, s[0:1]
	v_add_u32_e32 v5, v1, v4
; %bb.1750:
	s_or_b64 exec, exec, s[12:13]
	s_mov_b64 s[0:1], 0
	s_mov_b64 s[12:13], -1
	global_store_byte v[2:3], v5, off
.LBB7_1751:
	s_mov_b64 s[14:15], 0
.LBB7_1752:
	s_and_b64 vcc, exec, s[14:15]
	s_cbranch_vccz .LBB7_1755
; %bb.1753:
	s_cmp_eq_u32 s18, 29
	s_mov_b64 s[0:1], -1
	s_cbranch_scc0 .LBB7_1755
; %bb.1754:
	s_mov_b32 s0, 0
	v_cndmask_b32_e64 v4, 0, 1, s[8:9]
	v_mov_b32_e32 v5, s0
	global_store_dwordx2 v[2:3], v[4:5], off
	s_mov_b64 s[0:1], 0
	s_mov_b64 s[12:13], -1
.LBB7_1755:
	s_mov_b64 s[14:15], 0
.LBB7_1756:
	s_and_b64 vcc, exec, s[14:15]
	s_cbranch_vccz .LBB7_1772
; %bb.1757:
	s_cmp_lt_i32 s18, 27
	s_mov_b64 s[12:13], -1
	s_cbranch_scc1 .LBB7_1763
; %bb.1758:
	s_cmp_gt_i32 s18, 27
	s_cbranch_scc0 .LBB7_1760
; %bb.1759:
	v_cndmask_b32_e64 v1, 0, 1, s[8:9]
	s_mov_b64 s[12:13], 0
	global_store_dword v[2:3], v1, off
.LBB7_1760:
	s_andn2_b64 vcc, exec, s[12:13]
	s_cbranch_vccnz .LBB7_1762
; %bb.1761:
	v_cndmask_b32_e64 v1, 0, 1, s[8:9]
	global_store_short v[2:3], v1, off
.LBB7_1762:
	s_mov_b64 s[12:13], 0
.LBB7_1763:
	s_andn2_b64 vcc, exec, s[12:13]
	s_cbranch_vccnz .LBB7_1771
; %bb.1764:
	v_cndmask_b32_e64 v4, 0, 1.0, s[8:9]
	s_mov_b32 s12, 0x43800000
	v_cmp_gt_u32_e32 vcc, s12, v4
	v_mov_b32_e32 v5, 0x80
	s_and_saveexec_b64 s[12:13], vcc
	s_cbranch_execz .LBB7_1770
; %bb.1765:
	s_mov_b32 s14, 0x3bffffff
	v_cmp_lt_u32_e32 vcc, s14, v4
	s_mov_b64 s[14:15], 0
                                        ; implicit-def: $vgpr1
	s_and_saveexec_b64 s[16:17], vcc
	s_xor_b64 s[16:17], exec, s[16:17]
	s_cbranch_execz .LBB7_1989
; %bb.1766:
	v_bfe_u32 v1, v4, 20, 1
	s_mov_b32 s19, 0x487ffff
	v_add3_u32 v1, v4, v1, s19
	s_mov_b64 s[14:15], exec
	v_lshrrev_b32_e32 v1, 20, v1
                                        ; implicit-def: $vgpr4
	s_andn2_saveexec_b64 s[16:17], s[16:17]
	s_cbranch_execnz .LBB7_1990
.LBB7_1767:
	s_or_b64 exec, exec, s[16:17]
	v_mov_b32_e32 v5, 0
	s_and_saveexec_b64 s[16:17], s[14:15]
.LBB7_1768:
	v_mov_b32_e32 v5, v1
.LBB7_1769:
	s_or_b64 exec, exec, s[16:17]
.LBB7_1770:
	s_or_b64 exec, exec, s[12:13]
	global_store_byte v[2:3], v5, off
.LBB7_1771:
	s_mov_b64 s[12:13], -1
.LBB7_1772:
	s_mov_b64 s[14:15], 0
.LBB7_1773:
	s_and_b64 vcc, exec, s[14:15]
	s_cbranch_vccz .LBB7_1813
; %bb.1774:
	s_cmp_gt_i32 s18, 22
	s_mov_b64 s[10:11], -1
	s_cbranch_scc0 .LBB7_1806
; %bb.1775:
	s_cmp_lt_i32 s18, 24
	s_cbranch_scc1 .LBB7_1795
; %bb.1776:
	s_cmp_gt_i32 s18, 24
	s_cbranch_scc0 .LBB7_1784
; %bb.1777:
	v_cndmask_b32_e64 v4, 0, 1.0, s[8:9]
	s_mov_b32 s10, 0x47800000
	v_cmp_gt_u32_e32 vcc, s10, v4
	v_mov_b32_e32 v5, 0x80
	s_and_saveexec_b64 s[10:11], vcc
	s_cbranch_execz .LBB7_1783
; %bb.1778:
	s_mov_b32 s12, 0x37ffffff
	v_cmp_lt_u32_e32 vcc, s12, v4
	s_mov_b64 s[12:13], 0
                                        ; implicit-def: $vgpr1
	s_and_saveexec_b64 s[14:15], vcc
	s_xor_b64 s[14:15], exec, s[14:15]
	s_cbranch_execz .LBB7_1992
; %bb.1779:
	v_bfe_u32 v1, v4, 21, 1
	s_mov_b32 s16, 0x88fffff
	v_add3_u32 v1, v4, v1, s16
	s_mov_b64 s[12:13], exec
	v_lshrrev_b32_e32 v1, 21, v1
                                        ; implicit-def: $vgpr4
	s_andn2_saveexec_b64 s[14:15], s[14:15]
	s_cbranch_execnz .LBB7_1993
.LBB7_1780:
	s_or_b64 exec, exec, s[14:15]
	v_mov_b32_e32 v5, 0
	s_and_saveexec_b64 s[14:15], s[12:13]
.LBB7_1781:
	v_mov_b32_e32 v5, v1
.LBB7_1782:
	s_or_b64 exec, exec, s[14:15]
.LBB7_1783:
	s_or_b64 exec, exec, s[10:11]
	s_mov_b64 s[10:11], 0
	global_store_byte v[2:3], v5, off
.LBB7_1784:
	s_and_b64 vcc, exec, s[10:11]
	s_cbranch_vccz .LBB7_1794
; %bb.1785:
	v_cndmask_b32_e64 v1, 0, 1.0, s[8:9]
	s_mov_b32 s10, 0x43f00000
	v_cmp_gt_u32_e32 vcc, s10, v1
                                        ; implicit-def: $vgpr4
	s_and_saveexec_b64 s[10:11], vcc
	s_xor_b64 s[10:11], exec, s[10:11]
	s_cbranch_execz .LBB7_1791
; %bb.1786:
	s_mov_b32 s12, 0x3c7fffff
	v_cmp_lt_u32_e32 vcc, s12, v1
                                        ; implicit-def: $vgpr4
	s_and_saveexec_b64 s[12:13], vcc
	s_xor_b64 s[12:13], exec, s[12:13]
; %bb.1787:
	v_bfe_u32 v4, v1, 20, 1
	s_mov_b32 s14, 0x407ffff
	v_add3_u32 v1, v1, v4, s14
	v_lshrrev_b32_e32 v4, 20, v1
	v_and_b32_e32 v1, 0xff00000, v1
	s_mov_b32 s14, 0x7f00000
	v_mov_b32_e32 v5, 0x7e
	v_cmp_ne_u32_e32 vcc, s14, v1
                                        ; implicit-def: $vgpr1
	s_nop 1
	v_cndmask_b32_e32 v4, v5, v4, vcc
; %bb.1788:
	s_andn2_saveexec_b64 s[12:13], s[12:13]
; %bb.1789:
	v_add_f32_e32 v4, 0x46800000, v1
; %bb.1790:
	s_or_b64 exec, exec, s[12:13]
                                        ; implicit-def: $vgpr1
.LBB7_1791:
	s_andn2_saveexec_b64 s[10:11], s[10:11]
; %bb.1792:
	s_mov_b32 s12, 0x7f800000
	v_mov_b32_e32 v4, 0x7e
	v_mov_b32_e32 v5, 0x7f
	v_cmp_lt_u32_e32 vcc, s12, v1
	s_nop 1
	v_cndmask_b32_e32 v4, v4, v5, vcc
; %bb.1793:
	s_or_b64 exec, exec, s[10:11]
	global_store_byte v[2:3], v4, off
.LBB7_1794:
	s_mov_b64 s[10:11], 0
.LBB7_1795:
	s_andn2_b64 vcc, exec, s[10:11]
	s_cbranch_vccnz .LBB7_1805
; %bb.1796:
	v_cndmask_b32_e64 v1, 0, 1.0, s[8:9]
	s_mov_b32 s10, 0x47800000
	v_cmp_gt_u32_e32 vcc, s10, v1
                                        ; implicit-def: $vgpr4
	s_and_saveexec_b64 s[10:11], vcc
	s_xor_b64 s[10:11], exec, s[10:11]
	s_cbranch_execz .LBB7_1802
; %bb.1797:
	s_mov_b32 s12, 0x387fffff
	v_cmp_lt_u32_e32 vcc, s12, v1
                                        ; implicit-def: $vgpr4
	s_and_saveexec_b64 s[12:13], vcc
	s_xor_b64 s[12:13], exec, s[12:13]
; %bb.1798:
	v_bfe_u32 v4, v1, 21, 1
	s_mov_b32 s14, 0x80fffff
	v_add3_u32 v1, v1, v4, s14
	v_lshrrev_b32_e32 v4, 21, v1
                                        ; implicit-def: $vgpr1
; %bb.1799:
	s_andn2_saveexec_b64 s[12:13], s[12:13]
; %bb.1800:
	v_add_f32_e32 v4, 0x43000000, v1
; %bb.1801:
	s_or_b64 exec, exec, s[12:13]
                                        ; implicit-def: $vgpr1
.LBB7_1802:
	s_andn2_saveexec_b64 s[10:11], s[10:11]
; %bb.1803:
	s_mov_b32 s12, 0x7f800000
	v_mov_b32_e32 v4, 0x7c
	v_mov_b32_e32 v5, 0x7f
	v_cmp_lt_u32_e32 vcc, s12, v1
	s_nop 1
	v_cndmask_b32_e32 v4, v4, v5, vcc
; %bb.1804:
	s_or_b64 exec, exec, s[10:11]
	global_store_byte v[2:3], v4, off
.LBB7_1805:
	s_mov_b64 s[10:11], 0
	s_mov_b64 s[12:13], -1
.LBB7_1806:
	s_andn2_b64 vcc, exec, s[10:11]
	s_mov_b64 s[10:11], 0
	s_cbranch_vccnz .LBB7_1813
; %bb.1807:
	s_cmp_gt_i32 s18, 14
	s_mov_b64 s[14:15], -1
	s_cbranch_scc0 .LBB7_1811
; %bb.1808:
	s_cmp_eq_u32 s18, 15
	s_mov_b64 s[0:1], -1
	s_cbranch_scc0 .LBB7_1810
; %bb.1809:
	v_cndmask_b32_e64 v1, 0, 1.0, s[8:9]
	v_bfe_u32 v4, v1, 16, 1
	s_movk_i32 s0, 0x7fff
	v_add3_u32 v1, v1, v4, s0
	global_store_short_d16_hi v[2:3], v1, off
	s_mov_b64 s[0:1], 0
	s_mov_b64 s[12:13], -1
.LBB7_1810:
	s_mov_b64 s[14:15], 0
.LBB7_1811:
	s_and_b64 vcc, exec, s[14:15]
	s_cbranch_vccz .LBB7_1813
; %bb.1812:
	s_cmp_lg_u32 s18, 11
	s_mov_b64 s[10:11], -1
	s_cselect_b64 s[0:1], -1, 0
.LBB7_1813:
	s_and_b64 vcc, exec, s[0:1]
	s_cbranch_vccnz .LBB7_1991
; %bb.1814:
	s_andn2_b64 vcc, exec, s[10:11]
	s_cbranch_vccnz .LBB7_1816
.LBB7_1815:
	v_cndmask_b32_e64 v1, 0, 1, s[8:9]
	s_mov_b64 s[12:13], -1
	global_store_byte v[2:3], v1, off
.LBB7_1816:
.LBB7_1817:
	s_andn2_b64 vcc, exec, s[12:13]
	s_cbranch_vccnz .LBB7_1933
.LBB7_1818:
	s_xor_b64 s[6:7], s[6:7], -1
	v_mov_b32_e32 v1, 0
	s_mov_b64 s[0:1], -1
	v_lshl_add_u64 v[0:1], s[4:5], 0, v[0:1]
	s_cmp_lt_i32 s20, 11
	s_mov_b64 s[4:5], 0
	s_cbranch_scc1 .LBB7_1934
; %bb.1819:
	s_and_b32 s14, 0xffff, s20
	s_mov_b64 s[8:9], -1
	s_cmp_gt_i32 s14, 25
	s_mov_b64 s[0:1], 0
	s_cbranch_scc0 .LBB7_1852
; %bb.1820:
	s_cmp_gt_i32 s14, 28
	s_cbranch_scc0 .LBB7_1836
; %bb.1821:
	s_cmp_gt_i32 s14, 43
	;; [unrolled: 3-line block ×3, first 2 shown]
	s_cbranch_scc0 .LBB7_1826
; %bb.1823:
	s_cmp_eq_u32 s14, 46
	s_mov_b64 s[0:1], -1
	s_cbranch_scc0 .LBB7_1825
; %bb.1824:
	v_cndmask_b32_e64 v2, 0, 1.0, s[6:7]
	v_bfe_u32 v3, v2, 16, 1
	s_movk_i32 s0, 0x7fff
	v_add3_u32 v2, v2, v3, s0
	v_lshrrev_b32_e32 v2, 16, v2
	global_store_dword v[0:1], v2, off
	s_mov_b64 s[0:1], 0
.LBB7_1825:
	s_mov_b64 s[8:9], 0
.LBB7_1826:
	s_and_b64 vcc, exec, s[8:9]
	s_cbranch_vccz .LBB7_1831
; %bb.1827:
	s_cmp_eq_u32 s14, 44
	s_mov_b64 s[0:1], -1
	s_cbranch_scc0 .LBB7_1831
; %bb.1828:
	v_cndmask_b32_e64 v3, 0, 1.0, s[6:7]
	v_lshrrev_b32_e32 v2, 23, v3
	s_movk_i32 s0, 0xff
	v_cmp_ne_u32_e32 vcc, s0, v2
	v_mov_b32_e32 v4, 0xff
	s_and_saveexec_b64 s[8:9], vcc
; %bb.1829:
	s_mov_b32 s0, 0x3fffff
	v_and_b32_e32 v4, 0x400000, v3
	v_and_or_b32 v3, v3, s0, v2
	v_cmp_ne_u32_e32 vcc, 0, v4
	v_cmp_ne_u32_e64 s[0:1], 0, v3
	s_and_b64 s[0:1], vcc, s[0:1]
	s_nop 0
	v_cndmask_b32_e64 v3, 0, 1, s[0:1]
	v_add_u32_e32 v4, v2, v3
; %bb.1830:
	s_or_b64 exec, exec, s[8:9]
	s_mov_b64 s[0:1], 0
	global_store_byte v[0:1], v4, off
.LBB7_1831:
	s_mov_b64 s[8:9], 0
.LBB7_1832:
	s_and_b64 vcc, exec, s[8:9]
	s_cbranch_vccz .LBB7_1835
; %bb.1833:
	s_cmp_eq_u32 s14, 29
	s_mov_b64 s[0:1], -1
	s_cbranch_scc0 .LBB7_1835
; %bb.1834:
	s_mov_b32 s0, 0
	v_cndmask_b32_e64 v2, 0, 1, s[6:7]
	v_mov_b32_e32 v3, s0
	global_store_dwordx2 v[0:1], v[2:3], off
	s_mov_b64 s[0:1], 0
.LBB7_1835:
	s_mov_b64 s[8:9], 0
.LBB7_1836:
	s_and_b64 vcc, exec, s[8:9]
	s_cbranch_vccz .LBB7_1851
; %bb.1837:
	s_cmp_lt_i32 s14, 27
	s_mov_b64 s[8:9], -1
	s_cbranch_scc1 .LBB7_1843
; %bb.1838:
	s_cmp_gt_i32 s14, 27
	s_cbranch_scc0 .LBB7_1840
; %bb.1839:
	v_cndmask_b32_e64 v2, 0, 1, s[6:7]
	global_store_dword v[0:1], v2, off
	s_mov_b64 s[8:9], 0
.LBB7_1840:
	s_andn2_b64 vcc, exec, s[8:9]
	s_cbranch_vccnz .LBB7_1842
; %bb.1841:
	v_cndmask_b32_e64 v2, 0, 1, s[6:7]
	global_store_short v[0:1], v2, off
.LBB7_1842:
	s_mov_b64 s[8:9], 0
.LBB7_1843:
	s_andn2_b64 vcc, exec, s[8:9]
	s_cbranch_vccnz .LBB7_1851
; %bb.1844:
	v_cndmask_b32_e64 v3, 0, 1.0, s[6:7]
	s_mov_b32 s8, 0x43800000
	v_cmp_gt_u32_e32 vcc, s8, v3
	v_mov_b32_e32 v4, 0x80
	s_and_saveexec_b64 s[8:9], vcc
	s_cbranch_execz .LBB7_1850
; %bb.1845:
	s_mov_b32 s10, 0x3bffffff
	v_cmp_lt_u32_e32 vcc, s10, v3
	s_mov_b64 s[10:11], 0
                                        ; implicit-def: $vgpr2
	s_and_saveexec_b64 s[12:13], vcc
	s_xor_b64 s[12:13], exec, s[12:13]
	s_cbranch_execz .LBB7_1994
; %bb.1846:
	v_bfe_u32 v2, v3, 20, 1
	s_mov_b32 s15, 0x487ffff
	v_add3_u32 v2, v3, v2, s15
	s_mov_b64 s[10:11], exec
	v_lshrrev_b32_e32 v2, 20, v2
                                        ; implicit-def: $vgpr3
	s_andn2_saveexec_b64 s[12:13], s[12:13]
	s_cbranch_execnz .LBB7_1995
.LBB7_1847:
	s_or_b64 exec, exec, s[12:13]
	v_mov_b32_e32 v4, 0
	s_and_saveexec_b64 s[12:13], s[10:11]
.LBB7_1848:
	v_mov_b32_e32 v4, v2
.LBB7_1849:
	s_or_b64 exec, exec, s[12:13]
.LBB7_1850:
	s_or_b64 exec, exec, s[8:9]
	global_store_byte v[0:1], v4, off
.LBB7_1851:
	s_mov_b64 s[8:9], 0
.LBB7_1852:
	s_and_b64 vcc, exec, s[8:9]
	s_cbranch_vccz .LBB7_1892
; %bb.1853:
	s_cmp_gt_i32 s14, 22
	s_mov_b64 s[4:5], -1
	s_cbranch_scc0 .LBB7_1885
; %bb.1854:
	s_cmp_lt_i32 s14, 24
	s_cbranch_scc1 .LBB7_1874
; %bb.1855:
	s_cmp_gt_i32 s14, 24
	s_cbranch_scc0 .LBB7_1863
; %bb.1856:
	v_cndmask_b32_e64 v3, 0, 1.0, s[6:7]
	s_mov_b32 s4, 0x47800000
	v_cmp_gt_u32_e32 vcc, s4, v3
	v_mov_b32_e32 v4, 0x80
	s_and_saveexec_b64 s[4:5], vcc
	s_cbranch_execz .LBB7_1862
; %bb.1857:
	s_mov_b32 s8, 0x37ffffff
	v_cmp_lt_u32_e32 vcc, s8, v3
	s_mov_b64 s[8:9], 0
                                        ; implicit-def: $vgpr2
	s_and_saveexec_b64 s[10:11], vcc
	s_xor_b64 s[10:11], exec, s[10:11]
	s_cbranch_execz .LBB7_1997
; %bb.1858:
	v_bfe_u32 v2, v3, 21, 1
	s_mov_b32 s12, 0x88fffff
	v_add3_u32 v2, v3, v2, s12
	s_mov_b64 s[8:9], exec
	v_lshrrev_b32_e32 v2, 21, v2
                                        ; implicit-def: $vgpr3
	s_andn2_saveexec_b64 s[10:11], s[10:11]
	s_cbranch_execnz .LBB7_1998
.LBB7_1859:
	s_or_b64 exec, exec, s[10:11]
	v_mov_b32_e32 v4, 0
	s_and_saveexec_b64 s[10:11], s[8:9]
.LBB7_1860:
	v_mov_b32_e32 v4, v2
.LBB7_1861:
	s_or_b64 exec, exec, s[10:11]
.LBB7_1862:
	s_or_b64 exec, exec, s[4:5]
	s_mov_b64 s[4:5], 0
	global_store_byte v[0:1], v4, off
.LBB7_1863:
	s_and_b64 vcc, exec, s[4:5]
	s_cbranch_vccz .LBB7_1873
; %bb.1864:
	v_cndmask_b32_e64 v2, 0, 1.0, s[6:7]
	s_mov_b32 s4, 0x43f00000
	v_cmp_gt_u32_e32 vcc, s4, v2
                                        ; implicit-def: $vgpr3
	s_and_saveexec_b64 s[4:5], vcc
	s_xor_b64 s[4:5], exec, s[4:5]
	s_cbranch_execz .LBB7_1870
; %bb.1865:
	s_mov_b32 s8, 0x3c7fffff
	v_cmp_lt_u32_e32 vcc, s8, v2
                                        ; implicit-def: $vgpr3
	s_and_saveexec_b64 s[8:9], vcc
	s_xor_b64 s[8:9], exec, s[8:9]
; %bb.1866:
	v_bfe_u32 v3, v2, 20, 1
	s_mov_b32 s10, 0x407ffff
	v_add3_u32 v2, v2, v3, s10
	v_lshrrev_b32_e32 v3, 20, v2
	v_and_b32_e32 v2, 0xff00000, v2
	s_mov_b32 s10, 0x7f00000
	v_mov_b32_e32 v4, 0x7e
	v_cmp_ne_u32_e32 vcc, s10, v2
                                        ; implicit-def: $vgpr2
	s_nop 1
	v_cndmask_b32_e32 v3, v4, v3, vcc
; %bb.1867:
	s_andn2_saveexec_b64 s[8:9], s[8:9]
; %bb.1868:
	v_add_f32_e32 v3, 0x46800000, v2
; %bb.1869:
	s_or_b64 exec, exec, s[8:9]
                                        ; implicit-def: $vgpr2
.LBB7_1870:
	s_andn2_saveexec_b64 s[4:5], s[4:5]
; %bb.1871:
	s_mov_b32 s8, 0x7f800000
	v_mov_b32_e32 v3, 0x7e
	v_mov_b32_e32 v4, 0x7f
	v_cmp_lt_u32_e32 vcc, s8, v2
	s_nop 1
	v_cndmask_b32_e32 v3, v3, v4, vcc
; %bb.1872:
	s_or_b64 exec, exec, s[4:5]
	global_store_byte v[0:1], v3, off
.LBB7_1873:
	s_mov_b64 s[4:5], 0
.LBB7_1874:
	s_andn2_b64 vcc, exec, s[4:5]
	s_cbranch_vccnz .LBB7_1884
; %bb.1875:
	v_cndmask_b32_e64 v2, 0, 1.0, s[6:7]
	s_mov_b32 s4, 0x47800000
	v_cmp_gt_u32_e32 vcc, s4, v2
                                        ; implicit-def: $vgpr3
	s_and_saveexec_b64 s[4:5], vcc
	s_xor_b64 s[4:5], exec, s[4:5]
	s_cbranch_execz .LBB7_1881
; %bb.1876:
	s_mov_b32 s8, 0x387fffff
	v_cmp_lt_u32_e32 vcc, s8, v2
                                        ; implicit-def: $vgpr3
	s_and_saveexec_b64 s[8:9], vcc
	s_xor_b64 s[8:9], exec, s[8:9]
; %bb.1877:
	v_bfe_u32 v3, v2, 21, 1
	s_mov_b32 s10, 0x80fffff
	v_add3_u32 v2, v2, v3, s10
	v_lshrrev_b32_e32 v3, 21, v2
                                        ; implicit-def: $vgpr2
; %bb.1878:
	s_andn2_saveexec_b64 s[8:9], s[8:9]
; %bb.1879:
	v_add_f32_e32 v3, 0x43000000, v2
; %bb.1880:
	s_or_b64 exec, exec, s[8:9]
                                        ; implicit-def: $vgpr2
.LBB7_1881:
	s_andn2_saveexec_b64 s[4:5], s[4:5]
; %bb.1882:
	s_mov_b32 s8, 0x7f800000
	v_mov_b32_e32 v3, 0x7c
	v_mov_b32_e32 v4, 0x7f
	v_cmp_lt_u32_e32 vcc, s8, v2
	s_nop 1
	v_cndmask_b32_e32 v3, v3, v4, vcc
; %bb.1883:
	s_or_b64 exec, exec, s[4:5]
	global_store_byte v[0:1], v3, off
.LBB7_1884:
	s_mov_b64 s[4:5], 0
.LBB7_1885:
	s_andn2_b64 vcc, exec, s[4:5]
	s_mov_b64 s[4:5], 0
	s_cbranch_vccnz .LBB7_1892
; %bb.1886:
	s_cmp_gt_i32 s14, 14
	s_mov_b64 s[8:9], -1
	s_cbranch_scc0 .LBB7_1890
; %bb.1887:
	s_cmp_eq_u32 s14, 15
	s_mov_b64 s[0:1], -1
	s_cbranch_scc0 .LBB7_1889
; %bb.1888:
	v_cndmask_b32_e64 v2, 0, 1.0, s[6:7]
	v_bfe_u32 v3, v2, 16, 1
	s_movk_i32 s0, 0x7fff
	v_add3_u32 v2, v2, v3, s0
	global_store_short_d16_hi v[0:1], v2, off
	s_mov_b64 s[0:1], 0
.LBB7_1889:
	s_mov_b64 s[8:9], 0
.LBB7_1890:
	s_and_b64 vcc, exec, s[8:9]
	s_cbranch_vccz .LBB7_1892
; %bb.1891:
	s_cmp_lg_u32 s14, 11
	s_mov_b64 s[4:5], -1
	s_cselect_b64 s[0:1], -1, 0
.LBB7_1892:
	s_and_b64 vcc, exec, s[0:1]
	s_cbranch_vccnz .LBB7_1996
.LBB7_1893:
	s_mov_b64 s[0:1], 0
	s_branch .LBB7_1934
.LBB7_1894:
	s_and_b64 vcc, exec, s[0:1]
	s_cbranch_vccz .LBB7_1817
; %bb.1895:
	s_and_b32 s10, 0xffff, s20
	s_cmp_lt_i32 s10, 5
	s_mov_b64 s[0:1], -1
	s_cbranch_scc1 .LBB7_1916
; %bb.1896:
	s_cmp_lt_i32 s10, 8
	s_cbranch_scc1 .LBB7_1906
; %bb.1897:
	s_cmp_lt_i32 s10, 9
	s_cbranch_scc1 .LBB7_1903
; %bb.1898:
	s_cmp_gt_i32 s10, 9
	s_cbranch_scc0 .LBB7_1900
; %bb.1899:
	v_cndmask_b32_e64 v1, 0, 1, s[8:9]
	v_mov_b32_e32 v6, 0
	v_cvt_f64_u32_e32 v[4:5], v1
	v_mov_b32_e32 v7, v6
	global_store_dwordx4 v[2:3], v[4:7], off
	s_mov_b64 s[0:1], 0
.LBB7_1900:
	s_andn2_b64 vcc, exec, s[0:1]
	s_cbranch_vccnz .LBB7_1902
; %bb.1901:
	v_cndmask_b32_e64 v4, 0, 1.0, s[8:9]
	v_mov_b32_e32 v5, 0
	global_store_dwordx2 v[2:3], v[4:5], off
.LBB7_1902:
	s_mov_b64 s[0:1], 0
.LBB7_1903:
	s_andn2_b64 vcc, exec, s[0:1]
	s_cbranch_vccnz .LBB7_1905
; %bb.1904:
	v_cndmask_b32_e64 v1, 0, 1.0, s[8:9]
	v_cvt_f16_f32_e32 v1, v1
	global_store_dword v[2:3], v1, off
.LBB7_1905:
	s_mov_b64 s[0:1], 0
.LBB7_1906:
	s_andn2_b64 vcc, exec, s[0:1]
	s_cbranch_vccnz .LBB7_1915
; %bb.1907:
	s_cmp_lt_i32 s10, 6
	s_mov_b64 s[0:1], -1
	s_cbranch_scc1 .LBB7_1913
; %bb.1908:
	s_cmp_gt_i32 s10, 6
	s_cbranch_scc0 .LBB7_1910
; %bb.1909:
	v_cndmask_b32_e64 v1, 0, 1, s[8:9]
	v_cvt_f64_u32_e32 v[4:5], v1
	global_store_dwordx2 v[2:3], v[4:5], off
	s_mov_b64 s[0:1], 0
.LBB7_1910:
	s_andn2_b64 vcc, exec, s[0:1]
	s_cbranch_vccnz .LBB7_1912
; %bb.1911:
	v_cndmask_b32_e64 v1, 0, 1.0, s[8:9]
	global_store_dword v[2:3], v1, off
.LBB7_1912:
	s_mov_b64 s[0:1], 0
.LBB7_1913:
	s_andn2_b64 vcc, exec, s[0:1]
	s_cbranch_vccnz .LBB7_1915
; %bb.1914:
	v_cndmask_b32_e64 v1, 0, 1.0, s[8:9]
	v_cvt_f16_f32_e32 v1, v1
	global_store_short v[2:3], v1, off
.LBB7_1915:
	s_mov_b64 s[0:1], 0
.LBB7_1916:
	s_andn2_b64 vcc, exec, s[0:1]
	s_cbranch_vccnz .LBB7_1932
; %bb.1917:
	s_cmp_lt_i32 s10, 2
	s_mov_b64 s[0:1], -1
	s_cbranch_scc1 .LBB7_1927
; %bb.1918:
	s_cmp_lt_i32 s10, 3
	s_cbranch_scc1 .LBB7_1924
; %bb.1919:
	s_cmp_gt_i32 s10, 3
	s_cbranch_scc0 .LBB7_1921
; %bb.1920:
	s_mov_b32 s0, 0
	v_cndmask_b32_e64 v4, 0, 1, s[8:9]
	v_mov_b32_e32 v5, s0
	global_store_dwordx2 v[2:3], v[4:5], off
	s_mov_b64 s[0:1], 0
.LBB7_1921:
	s_andn2_b64 vcc, exec, s[0:1]
	s_cbranch_vccnz .LBB7_1923
; %bb.1922:
	v_cndmask_b32_e64 v1, 0, 1, s[8:9]
	global_store_dword v[2:3], v1, off
.LBB7_1923:
	s_mov_b64 s[0:1], 0
.LBB7_1924:
	s_andn2_b64 vcc, exec, s[0:1]
	s_cbranch_vccnz .LBB7_1926
; %bb.1925:
	v_cndmask_b32_e64 v1, 0, 1, s[8:9]
	global_store_short v[2:3], v1, off
.LBB7_1926:
	s_mov_b64 s[0:1], 0
.LBB7_1927:
	s_andn2_b64 vcc, exec, s[0:1]
	s_cbranch_vccnz .LBB7_1932
; %bb.1928:
	s_cmp_gt_i32 s10, 0
	s_mov_b64 s[0:1], -1
	s_cbranch_scc0 .LBB7_1930
; %bb.1929:
	v_cndmask_b32_e64 v1, 0, 1, s[8:9]
	global_store_byte v[2:3], v1, off
	s_mov_b64 s[0:1], 0
.LBB7_1930:
	s_andn2_b64 vcc, exec, s[0:1]
	s_cbranch_vccnz .LBB7_1932
; %bb.1931:
	v_cndmask_b32_e64 v1, 0, 1, s[8:9]
	global_store_byte v[2:3], v1, off
.LBB7_1932:
	s_branch .LBB7_1818
.LBB7_1933:
	s_mov_b64 s[0:1], 0
	s_mov_b64 s[4:5], 0
                                        ; implicit-def: $sgpr6_sgpr7
                                        ; implicit-def: $vgpr0_vgpr1
                                        ; implicit-def: $sgpr20
.LBB7_1934:
	s_and_b64 s[8:9], s[0:1], exec
	s_andn2_b64 s[0:1], s[24:25], exec
	s_and_b64 s[2:3], s[2:3], exec
	s_and_b64 s[40:41], s[4:5], exec
	s_or_b64 s[24:25], s[0:1], s[2:3]
.LBB7_1935:
	s_or_b64 exec, exec, s[26:27]
	s_and_saveexec_b64 s[0:1], s[24:25]
	s_cbranch_execz .LBB7_1938
; %bb.1936:
	; divergent unreachable
	s_or_b64 exec, exec, s[0:1]
	s_and_saveexec_b64 s[0:1], s[40:41]
	s_xor_b64 s[0:1], exec, s[0:1]
	s_cbranch_execnz .LBB7_1939
.LBB7_1937:
	s_or_b64 exec, exec, s[0:1]
	s_and_saveexec_b64 s[0:1], s[8:9]
	s_cbranch_execnz .LBB7_1940
	s_branch .LBB7_1977
.LBB7_1938:
	s_or_b64 exec, exec, s[0:1]
	s_and_saveexec_b64 s[0:1], s[40:41]
	s_xor_b64 s[0:1], exec, s[0:1]
	s_cbranch_execz .LBB7_1937
.LBB7_1939:
	v_cndmask_b32_e64 v2, 0, 1, s[6:7]
	global_store_byte v[0:1], v2, off
	s_or_b64 exec, exec, s[0:1]
	s_and_saveexec_b64 s[0:1], s[8:9]
	s_cbranch_execz .LBB7_1977
.LBB7_1940:
	s_sext_i32_i16 s2, s20
	s_cmp_lt_i32 s2, 5
	s_mov_b64 s[0:1], -1
	s_cbranch_scc1 .LBB7_1961
; %bb.1941:
	s_cmp_lt_i32 s2, 8
	s_cbranch_scc1 .LBB7_1951
; %bb.1942:
	s_cmp_lt_i32 s2, 9
	s_cbranch_scc1 .LBB7_1948
; %bb.1943:
	s_cmp_gt_i32 s2, 9
	s_cbranch_scc0 .LBB7_1945
; %bb.1944:
	v_cndmask_b32_e64 v2, 0, 1, s[6:7]
	v_mov_b32_e32 v4, 0
	v_cvt_f64_u32_e32 v[2:3], v2
	v_mov_b32_e32 v5, v4
	global_store_dwordx4 v[0:1], v[2:5], off
	s_mov_b64 s[0:1], 0
.LBB7_1945:
	s_andn2_b64 vcc, exec, s[0:1]
	s_cbranch_vccnz .LBB7_1947
; %bb.1946:
	v_cndmask_b32_e64 v2, 0, 1.0, s[6:7]
	v_mov_b32_e32 v3, 0
	global_store_dwordx2 v[0:1], v[2:3], off
.LBB7_1947:
	s_mov_b64 s[0:1], 0
.LBB7_1948:
	s_andn2_b64 vcc, exec, s[0:1]
	s_cbranch_vccnz .LBB7_1950
; %bb.1949:
	v_cndmask_b32_e64 v2, 0, 1.0, s[6:7]
	v_cvt_f16_f32_e32 v2, v2
	global_store_dword v[0:1], v2, off
.LBB7_1950:
	s_mov_b64 s[0:1], 0
.LBB7_1951:
	s_andn2_b64 vcc, exec, s[0:1]
	s_cbranch_vccnz .LBB7_1960
; %bb.1952:
	s_sext_i32_i16 s2, s20
	s_cmp_lt_i32 s2, 6
	s_mov_b64 s[0:1], -1
	s_cbranch_scc1 .LBB7_1958
; %bb.1953:
	s_cmp_gt_i32 s2, 6
	s_cbranch_scc0 .LBB7_1955
; %bb.1954:
	v_cndmask_b32_e64 v2, 0, 1, s[6:7]
	v_cvt_f64_u32_e32 v[2:3], v2
	global_store_dwordx2 v[0:1], v[2:3], off
	s_mov_b64 s[0:1], 0
.LBB7_1955:
	s_andn2_b64 vcc, exec, s[0:1]
	s_cbranch_vccnz .LBB7_1957
; %bb.1956:
	v_cndmask_b32_e64 v2, 0, 1.0, s[6:7]
	global_store_dword v[0:1], v2, off
.LBB7_1957:
	s_mov_b64 s[0:1], 0
.LBB7_1958:
	s_andn2_b64 vcc, exec, s[0:1]
	s_cbranch_vccnz .LBB7_1960
; %bb.1959:
	v_cndmask_b32_e64 v2, 0, 1.0, s[6:7]
	v_cvt_f16_f32_e32 v2, v2
	global_store_short v[0:1], v2, off
.LBB7_1960:
	s_mov_b64 s[0:1], 0
.LBB7_1961:
	s_andn2_b64 vcc, exec, s[0:1]
	s_cbranch_vccnz .LBB7_1977
; %bb.1962:
	s_sext_i32_i16 s2, s20
	s_cmp_lt_i32 s2, 2
	s_mov_b64 s[0:1], -1
	s_cbranch_scc1 .LBB7_1972
; %bb.1963:
	s_cmp_lt_i32 s2, 3
	s_cbranch_scc1 .LBB7_1969
; %bb.1964:
	s_cmp_gt_i32 s2, 3
	s_cbranch_scc0 .LBB7_1966
; %bb.1965:
	s_mov_b32 s0, 0
	v_cndmask_b32_e64 v2, 0, 1, s[6:7]
	v_mov_b32_e32 v3, s0
	global_store_dwordx2 v[0:1], v[2:3], off
	s_mov_b64 s[0:1], 0
.LBB7_1966:
	s_andn2_b64 vcc, exec, s[0:1]
	s_cbranch_vccnz .LBB7_1968
; %bb.1967:
	v_cndmask_b32_e64 v2, 0, 1, s[6:7]
	global_store_dword v[0:1], v2, off
.LBB7_1968:
	s_mov_b64 s[0:1], 0
.LBB7_1969:
	s_andn2_b64 vcc, exec, s[0:1]
	s_cbranch_vccnz .LBB7_1971
; %bb.1970:
	v_cndmask_b32_e64 v2, 0, 1, s[6:7]
	global_store_short v[0:1], v2, off
.LBB7_1971:
	s_mov_b64 s[0:1], 0
.LBB7_1972:
	s_andn2_b64 vcc, exec, s[0:1]
	s_cbranch_vccnz .LBB7_1977
; %bb.1973:
	s_sext_i32_i16 s0, s20
	s_cmp_gt_i32 s0, 0
	s_mov_b64 s[0:1], -1
	s_cbranch_scc0 .LBB7_1975
; %bb.1974:
	v_cndmask_b32_e64 v2, 0, 1, s[6:7]
	global_store_byte v[0:1], v2, off
	s_mov_b64 s[0:1], 0
.LBB7_1975:
	s_andn2_b64 vcc, exec, s[0:1]
	s_cbranch_vccnz .LBB7_1977
; %bb.1976:
	v_cndmask_b32_e64 v2, 0, 1, s[6:7]
	global_store_byte v[0:1], v2, off
	s_endpgm
.LBB7_1977:
	s_endpgm
.LBB7_1978:
	s_trap 2
	s_mov_b64 s[14:15], 0
	s_or_b64 s[2:3], s[2:3], exec
	s_cbranch_execz .LBB7_1451
	s_branch .LBB7_1452
.LBB7_1979:
	s_andn2_saveexec_b64 s[20:21], s[20:21]
	s_cbranch_execz .LBB7_1531
.LBB7_1980:
	v_add_f32_e32 v1, 0x46000000, v3
	v_and_b32_e32 v1, 0xff, v1
	v_cmp_ne_u32_e32 vcc, 0, v1
	s_andn2_b64 s[18:19], s[18:19], exec
	s_and_b64 s[30:31], vcc, exec
	s_or_b64 s[18:19], s[18:19], s[30:31]
	s_or_b64 exec, exec, s[20:21]
	v_mov_b32_e32 v5, 0
	s_and_saveexec_b64 s[20:21], s[18:19]
	s_cbranch_execnz .LBB7_1532
	s_branch .LBB7_1533
.LBB7_1981:
	s_trap 2
	s_or_b64 s[2:3], s[2:3], exec
	s_cbranch_execz .LBB7_1579
	s_branch .LBB7_1580
.LBB7_1982:
	s_andn2_saveexec_b64 s[18:19], s[18:19]
	s_cbranch_execz .LBB7_1544
.LBB7_1983:
	v_add_f32_e32 v1, 0x42800000, v3
	v_and_b32_e32 v1, 0xff, v1
	v_cmp_ne_u32_e32 vcc, 0, v1
	s_andn2_b64 s[16:17], s[16:17], exec
	s_and_b64 s[20:21], vcc, exec
	s_or_b64 s[16:17], s[16:17], s[20:21]
	s_or_b64 exec, exec, s[18:19]
	v_mov_b32_e32 v5, 0
	s_and_saveexec_b64 s[18:19], s[16:17]
	s_cbranch_execnz .LBB7_1545
	s_branch .LBB7_1546
.LBB7_1984:
	s_andn2_saveexec_b64 s[18:19], s[18:19]
	s_cbranch_execz .LBB7_1649
.LBB7_1985:
	v_add_f32_e32 v1, 0x46000000, v3
	v_and_b32_e32 v1, 0xff, v1
	v_cmp_ne_u32_e32 vcc, 0, v1
	s_andn2_b64 s[16:17], s[16:17], exec
	s_and_b64 s[22:23], vcc, exec
	s_or_b64 s[16:17], s[16:17], s[22:23]
	s_or_b64 exec, exec, s[18:19]
	v_mov_b32_e32 v6, 0
	s_and_saveexec_b64 s[18:19], s[16:17]
	s_cbranch_execnz .LBB7_1650
	s_branch .LBB7_1651
.LBB7_1986:
	s_trap 2
	s_or_b64 s[2:3], s[2:3], exec
	s_cbranch_execz .LBB7_1697
	s_branch .LBB7_1698
.LBB7_1987:
	s_andn2_saveexec_b64 s[16:17], s[16:17]
	s_cbranch_execz .LBB7_1662
.LBB7_1988:
	v_add_f32_e32 v1, 0x42800000, v3
	v_and_b32_e32 v1, 0xff, v1
	v_cmp_ne_u32_e32 vcc, 0, v1
	s_andn2_b64 s[14:15], s[14:15], exec
	s_and_b64 s[18:19], vcc, exec
	s_or_b64 s[14:15], s[14:15], s[18:19]
	s_or_b64 exec, exec, s[16:17]
	v_mov_b32_e32 v6, 0
	s_and_saveexec_b64 s[16:17], s[14:15]
	s_cbranch_execnz .LBB7_1663
	s_branch .LBB7_1664
.LBB7_1989:
	s_andn2_saveexec_b64 s[16:17], s[16:17]
	s_cbranch_execz .LBB7_1767
.LBB7_1990:
	v_add_f32_e32 v1, 0x46000000, v4
	v_and_b32_e32 v1, 0xff, v1
	v_cmp_ne_u32_e32 vcc, 0, v1
	s_andn2_b64 s[14:15], s[14:15], exec
	s_and_b64 s[22:23], vcc, exec
	s_or_b64 s[14:15], s[14:15], s[22:23]
	s_or_b64 exec, exec, s[16:17]
	v_mov_b32_e32 v5, 0
	s_and_saveexec_b64 s[16:17], s[14:15]
	s_cbranch_execnz .LBB7_1768
	s_branch .LBB7_1769
.LBB7_1991:
	s_trap 2
	s_or_b64 s[2:3], s[2:3], exec
	s_cbranch_execz .LBB7_1815
	s_branch .LBB7_1816
.LBB7_1992:
	s_andn2_saveexec_b64 s[14:15], s[14:15]
	s_cbranch_execz .LBB7_1780
.LBB7_1993:
	v_add_f32_e32 v1, 0x42800000, v4
	v_and_b32_e32 v1, 0xff, v1
	v_cmp_ne_u32_e32 vcc, 0, v1
	s_andn2_b64 s[12:13], s[12:13], exec
	s_and_b64 s[16:17], vcc, exec
	s_or_b64 s[12:13], s[12:13], s[16:17]
	s_or_b64 exec, exec, s[14:15]
	v_mov_b32_e32 v5, 0
	s_and_saveexec_b64 s[14:15], s[12:13]
	s_cbranch_execnz .LBB7_1781
	s_branch .LBB7_1782
.LBB7_1994:
	s_andn2_saveexec_b64 s[12:13], s[12:13]
	s_cbranch_execz .LBB7_1847
.LBB7_1995:
	v_add_f32_e32 v2, 0x46000000, v3
	v_and_b32_e32 v2, 0xff, v2
	v_cmp_ne_u32_e32 vcc, 0, v2
	s_andn2_b64 s[10:11], s[10:11], exec
	s_and_b64 s[16:17], vcc, exec
	s_or_b64 s[10:11], s[10:11], s[16:17]
	s_or_b64 exec, exec, s[12:13]
	v_mov_b32_e32 v4, 0
	s_and_saveexec_b64 s[12:13], s[10:11]
	s_cbranch_execnz .LBB7_1848
	s_branch .LBB7_1849
.LBB7_1996:
	s_mov_b64 s[4:5], 0
	s_or_b64 s[2:3], s[2:3], exec
	s_trap 2
	s_branch .LBB7_1893
.LBB7_1997:
	s_andn2_saveexec_b64 s[10:11], s[10:11]
	s_cbranch_execz .LBB7_1859
.LBB7_1998:
	v_add_f32_e32 v2, 0x42800000, v3
	v_and_b32_e32 v2, 0xff, v2
	v_cmp_ne_u32_e32 vcc, 0, v2
	s_andn2_b64 s[8:9], s[8:9], exec
	s_and_b64 s[12:13], vcc, exec
	s_or_b64 s[8:9], s[8:9], s[12:13]
	s_or_b64 exec, exec, s[10:11]
	v_mov_b32_e32 v4, 0
	s_and_saveexec_b64 s[10:11], s[8:9]
	s_cbranch_execnz .LBB7_1860
	s_branch .LBB7_1861
	.section	.rodata,"a",@progbits
	.p2align	6, 0x0
	.amdhsa_kernel _ZN2at6native32elementwise_kernel_manual_unrollILi128ELi4EZNS0_15gpu_kernel_implIZNS0_23bitwise_not_kernel_cudaERNS_18TensorIteratorBaseEEUlbE_EEvS4_RKT_EUlibE0_EEviT1_
		.amdhsa_group_segment_fixed_size 0
		.amdhsa_private_segment_fixed_size 0
		.amdhsa_kernarg_size 360
		.amdhsa_user_sgpr_count 2
		.amdhsa_user_sgpr_dispatch_ptr 0
		.amdhsa_user_sgpr_queue_ptr 0
		.amdhsa_user_sgpr_kernarg_segment_ptr 1
		.amdhsa_user_sgpr_dispatch_id 0
		.amdhsa_user_sgpr_kernarg_preload_length 0
		.amdhsa_user_sgpr_kernarg_preload_offset 0
		.amdhsa_user_sgpr_private_segment_size 0
		.amdhsa_uses_dynamic_stack 0
		.amdhsa_enable_private_segment 0
		.amdhsa_system_sgpr_workgroup_id_x 1
		.amdhsa_system_sgpr_workgroup_id_y 0
		.amdhsa_system_sgpr_workgroup_id_z 0
		.amdhsa_system_sgpr_workgroup_info 0
		.amdhsa_system_vgpr_workitem_id 0
		.amdhsa_next_free_vgpr 20
		.amdhsa_next_free_sgpr 78
		.amdhsa_accum_offset 20
		.amdhsa_reserve_vcc 1
		.amdhsa_float_round_mode_32 0
		.amdhsa_float_round_mode_16_64 0
		.amdhsa_float_denorm_mode_32 3
		.amdhsa_float_denorm_mode_16_64 3
		.amdhsa_dx10_clamp 1
		.amdhsa_ieee_mode 1
		.amdhsa_fp16_overflow 0
		.amdhsa_tg_split 0
		.amdhsa_exception_fp_ieee_invalid_op 0
		.amdhsa_exception_fp_denorm_src 0
		.amdhsa_exception_fp_ieee_div_zero 0
		.amdhsa_exception_fp_ieee_overflow 0
		.amdhsa_exception_fp_ieee_underflow 0
		.amdhsa_exception_fp_ieee_inexact 0
		.amdhsa_exception_int_div_zero 0
	.end_amdhsa_kernel
	.section	.text._ZN2at6native32elementwise_kernel_manual_unrollILi128ELi4EZNS0_15gpu_kernel_implIZNS0_23bitwise_not_kernel_cudaERNS_18TensorIteratorBaseEEUlbE_EEvS4_RKT_EUlibE0_EEviT1_,"axG",@progbits,_ZN2at6native32elementwise_kernel_manual_unrollILi128ELi4EZNS0_15gpu_kernel_implIZNS0_23bitwise_not_kernel_cudaERNS_18TensorIteratorBaseEEUlbE_EEvS4_RKT_EUlibE0_EEviT1_,comdat
.Lfunc_end7:
	.size	_ZN2at6native32elementwise_kernel_manual_unrollILi128ELi4EZNS0_15gpu_kernel_implIZNS0_23bitwise_not_kernel_cudaERNS_18TensorIteratorBaseEEUlbE_EEvS4_RKT_EUlibE0_EEviT1_, .Lfunc_end7-_ZN2at6native32elementwise_kernel_manual_unrollILi128ELi4EZNS0_15gpu_kernel_implIZNS0_23bitwise_not_kernel_cudaERNS_18TensorIteratorBaseEEUlbE_EEvS4_RKT_EUlibE0_EEviT1_
                                        ; -- End function
	.set _ZN2at6native32elementwise_kernel_manual_unrollILi128ELi4EZNS0_15gpu_kernel_implIZNS0_23bitwise_not_kernel_cudaERNS_18TensorIteratorBaseEEUlbE_EEvS4_RKT_EUlibE0_EEviT1_.num_vgpr, 20
	.set _ZN2at6native32elementwise_kernel_manual_unrollILi128ELi4EZNS0_15gpu_kernel_implIZNS0_23bitwise_not_kernel_cudaERNS_18TensorIteratorBaseEEUlbE_EEvS4_RKT_EUlibE0_EEviT1_.num_agpr, 0
	.set _ZN2at6native32elementwise_kernel_manual_unrollILi128ELi4EZNS0_15gpu_kernel_implIZNS0_23bitwise_not_kernel_cudaERNS_18TensorIteratorBaseEEUlbE_EEvS4_RKT_EUlibE0_EEviT1_.numbered_sgpr, 78
	.set _ZN2at6native32elementwise_kernel_manual_unrollILi128ELi4EZNS0_15gpu_kernel_implIZNS0_23bitwise_not_kernel_cudaERNS_18TensorIteratorBaseEEUlbE_EEvS4_RKT_EUlibE0_EEviT1_.num_named_barrier, 0
	.set _ZN2at6native32elementwise_kernel_manual_unrollILi128ELi4EZNS0_15gpu_kernel_implIZNS0_23bitwise_not_kernel_cudaERNS_18TensorIteratorBaseEEUlbE_EEvS4_RKT_EUlibE0_EEviT1_.private_seg_size, 0
	.set _ZN2at6native32elementwise_kernel_manual_unrollILi128ELi4EZNS0_15gpu_kernel_implIZNS0_23bitwise_not_kernel_cudaERNS_18TensorIteratorBaseEEUlbE_EEvS4_RKT_EUlibE0_EEviT1_.uses_vcc, 1
	.set _ZN2at6native32elementwise_kernel_manual_unrollILi128ELi4EZNS0_15gpu_kernel_implIZNS0_23bitwise_not_kernel_cudaERNS_18TensorIteratorBaseEEUlbE_EEvS4_RKT_EUlibE0_EEviT1_.uses_flat_scratch, 0
	.set _ZN2at6native32elementwise_kernel_manual_unrollILi128ELi4EZNS0_15gpu_kernel_implIZNS0_23bitwise_not_kernel_cudaERNS_18TensorIteratorBaseEEUlbE_EEvS4_RKT_EUlibE0_EEviT1_.has_dyn_sized_stack, 0
	.set _ZN2at6native32elementwise_kernel_manual_unrollILi128ELi4EZNS0_15gpu_kernel_implIZNS0_23bitwise_not_kernel_cudaERNS_18TensorIteratorBaseEEUlbE_EEvS4_RKT_EUlibE0_EEviT1_.has_recursion, 0
	.set _ZN2at6native32elementwise_kernel_manual_unrollILi128ELi4EZNS0_15gpu_kernel_implIZNS0_23bitwise_not_kernel_cudaERNS_18TensorIteratorBaseEEUlbE_EEvS4_RKT_EUlibE0_EEviT1_.has_indirect_call, 0
	.section	.AMDGPU.csdata,"",@progbits
; Kernel info:
; codeLenInByte = 32304
; TotalNumSgprs: 84
; NumVgprs: 20
; NumAgprs: 0
; TotalNumVgprs: 20
; ScratchSize: 0
; MemoryBound: 1
; FloatMode: 240
; IeeeMode: 1
; LDSByteSize: 0 bytes/workgroup (compile time only)
; SGPRBlocks: 10
; VGPRBlocks: 2
; NumSGPRsForWavesPerEU: 84
; NumVGPRsForWavesPerEU: 20
; AccumOffset: 20
; Occupancy: 8
; WaveLimiterHint : 1
; COMPUTE_PGM_RSRC2:SCRATCH_EN: 0
; COMPUTE_PGM_RSRC2:USER_SGPR: 2
; COMPUTE_PGM_RSRC2:TRAP_HANDLER: 0
; COMPUTE_PGM_RSRC2:TGID_X_EN: 1
; COMPUTE_PGM_RSRC2:TGID_Y_EN: 0
; COMPUTE_PGM_RSRC2:TGID_Z_EN: 0
; COMPUTE_PGM_RSRC2:TIDIG_COMP_CNT: 0
; COMPUTE_PGM_RSRC3_GFX90A:ACCUM_OFFSET: 4
; COMPUTE_PGM_RSRC3_GFX90A:TG_SPLIT: 0
	.section	.text._ZN2at6native29vectorized_elementwise_kernelILi16EZZZNS0_23bitwise_not_kernel_cudaERNS_18TensorIteratorBaseEENKUlvE_clEvENKUlvE_clEvEUlhE_St5arrayIPcLm2EEEEviT0_T1_,"axG",@progbits,_ZN2at6native29vectorized_elementwise_kernelILi16EZZZNS0_23bitwise_not_kernel_cudaERNS_18TensorIteratorBaseEENKUlvE_clEvENKUlvE_clEvEUlhE_St5arrayIPcLm2EEEEviT0_T1_,comdat
	.globl	_ZN2at6native29vectorized_elementwise_kernelILi16EZZZNS0_23bitwise_not_kernel_cudaERNS_18TensorIteratorBaseEENKUlvE_clEvENKUlvE_clEvEUlhE_St5arrayIPcLm2EEEEviT0_T1_ ; -- Begin function _ZN2at6native29vectorized_elementwise_kernelILi16EZZZNS0_23bitwise_not_kernel_cudaERNS_18TensorIteratorBaseEENKUlvE_clEvENKUlvE_clEvEUlhE_St5arrayIPcLm2EEEEviT0_T1_
	.p2align	8
	.type	_ZN2at6native29vectorized_elementwise_kernelILi16EZZZNS0_23bitwise_not_kernel_cudaERNS_18TensorIteratorBaseEENKUlvE_clEvENKUlvE_clEvEUlhE_St5arrayIPcLm2EEEEviT0_T1_,@function
_ZN2at6native29vectorized_elementwise_kernelILi16EZZZNS0_23bitwise_not_kernel_cudaERNS_18TensorIteratorBaseEENKUlvE_clEvENKUlvE_clEvEUlhE_St5arrayIPcLm2EEEEviT0_T1_: ; @_ZN2at6native29vectorized_elementwise_kernelILi16EZZZNS0_23bitwise_not_kernel_cudaERNS_18TensorIteratorBaseEENKUlvE_clEvENKUlvE_clEvEUlhE_St5arrayIPcLm2EEEEviT0_T1_
; %bb.0:
	s_load_dword s3, s[0:1], 0x0
	s_load_dwordx4 s[4:7], s[0:1], 0x8
	s_lshl_b32 s33, s2, 12
	s_mov_b64 s[0:1], -1
	s_waitcnt lgkmcnt(0)
	s_sub_i32 s38, s3, s33
	s_cmpk_gt_i32 s38, 0xfff
	s_cbranch_scc0 .LBB8_2
; %bb.1:
	s_ashr_i32 s2, s33, 31
	s_add_u32 s0, s6, s33
	s_addc_u32 s1, s7, s2
	v_lshlrev_b32_e32 v1, 4, v0
	global_load_dwordx4 v[2:5], v1, s[0:1]
	s_add_u32 s0, s4, s33
	s_addc_u32 s1, s5, s2
	s_waitcnt vmcnt(0)
	v_not_b32_e32 v3, v3
	v_not_b32_e32 v2, v2
	;; [unrolled: 1-line block ×4, first 2 shown]
	global_store_dwordx4 v1, v[2:5], s[0:1]
	s_mov_b64 s[0:1], 0
.LBB8_2:
	s_andn2_b64 vcc, exec, s[0:1]
	s_cbranch_vccnz .LBB8_52
; %bb.3:
	v_cmp_gt_i32_e32 vcc, s38, v0
	v_or_b32_e32 v1, 0x100, v0
	v_mov_b32_e32 v20, 0
	v_mov_b32_e32 v7, 0xff
	v_or_b32_e32 v6, s33, v0
	v_mov_b32_e32 v19, 0
	v_mov_b32_e32 v18, 0
	;; [unrolled: 1-line block ×14, first 2 shown]
	s_and_saveexec_b64 s[2:3], vcc
	s_cbranch_execz .LBB8_35
; %bb.4:
	global_load_ubyte v8, v6, s[6:7]
	v_cmp_gt_u32_e64 s[0:1], s38, v1
	v_mov_b32_e32 v7, 0xff
	v_mov_b32_e32 v9, 0
	;; [unrolled: 1-line block ×15, first 2 shown]
	s_and_saveexec_b64 s[8:9], s[0:1]
	s_cbranch_execz .LBB8_34
; %bb.5:
	v_add_u32_e32 v2, s33, v0
	global_load_ubyte v9, v2, s[6:7] offset:256
	v_or_b32_e32 v4, 0x200, v0
	v_mov_b32_e32 v3, 0
	v_cmp_gt_u32_e64 s[0:1], s38, v4
	v_mov_b32_e32 v7, 0xff
	v_mov_b32_e32 v4, 0
	;; [unrolled: 1-line block ×13, first 2 shown]
	s_and_saveexec_b64 s[10:11], s[0:1]
	s_cbranch_execz .LBB8_33
; %bb.6:
	v_lshl_add_u64 v[4:5], s[6:7], 0, v[2:3]
	global_load_ubyte v2, v[4:5], off offset:512
	v_or_b32_e32 v7, 0x300, v0
	v_cmp_gt_u32_e64 s[0:1], s38, v7
	v_mov_b32_e32 v7, 0xff
	v_mov_b32_e32 v10, 0
	v_mov_b32_e32 v11, 0
	v_mov_b32_e32 v12, 0
	v_mov_b32_e32 v13, 0
	v_mov_b32_e32 v14, 0
	v_mov_b32_e32 v15, 0
	v_mov_b32_e32 v16, 0
	v_mov_b32_e32 v17, 0
	v_mov_b32_e32 v18, 0
	v_mov_b32_e32 v19, 0
	v_mov_b32_e32 v20, 0
	s_and_saveexec_b64 s[6:7], s[0:1]
	s_cbranch_execz .LBB8_32
; %bb.7:
	global_load_ubyte v3, v[4:5], off offset:768
	v_or_b32_e32 v7, 0x400, v0
	v_cmp_gt_u32_e64 s[0:1], s38, v7
	v_mov_b32_e32 v7, 0xff
	v_mov_b32_e32 v10, 0
	;; [unrolled: 1-line block ×12, first 2 shown]
	s_and_saveexec_b64 s[12:13], s[0:1]
	s_cbranch_execz .LBB8_31
; %bb.8:
	global_load_ubyte v10, v[4:5], off offset:1024
	v_or_b32_e32 v7, 0x500, v0
	v_cmp_gt_u32_e64 s[0:1], s38, v7
	v_mov_b32_e32 v7, 0xff
	v_mov_b32_e32 v11, 0
	;; [unrolled: 1-line block ×11, first 2 shown]
	s_and_saveexec_b64 s[14:15], s[0:1]
	s_cbranch_execz .LBB8_30
; %bb.9:
	global_load_ubyte v11, v[4:5], off offset:1280
	v_or_b32_e32 v7, 0x600, v0
	v_cmp_gt_u32_e64 s[0:1], s38, v7
	v_mov_b32_e32 v7, 0xff
	v_mov_b32_e32 v12, 0
	;; [unrolled: 1-line block ×10, first 2 shown]
	s_and_saveexec_b64 s[16:17], s[0:1]
	s_cbranch_execz .LBB8_29
; %bb.10:
	global_load_ubyte v12, v[4:5], off offset:1536
	v_or_b32_e32 v7, 0x700, v0
	v_cmp_gt_u32_e64 s[0:1], s38, v7
	v_mov_b32_e32 v7, 0xff
	v_mov_b32_e32 v13, 0
	;; [unrolled: 1-line block ×9, first 2 shown]
	s_and_saveexec_b64 s[18:19], s[0:1]
	s_cbranch_execz .LBB8_28
; %bb.11:
	global_load_ubyte v13, v[4:5], off offset:1792
	v_or_b32_e32 v7, 0x800, v0
	v_cmp_gt_u32_e64 s[0:1], s38, v7
	v_mov_b32_e32 v7, 0xff
	v_mov_b32_e32 v14, 0
	;; [unrolled: 1-line block ×8, first 2 shown]
	s_and_saveexec_b64 s[20:21], s[0:1]
	s_cbranch_execz .LBB8_27
; %bb.12:
	global_load_ubyte v14, v[4:5], off offset:2048
	v_or_b32_e32 v7, 0x900, v0
	v_cmp_gt_u32_e64 s[0:1], s38, v7
	v_mov_b32_e32 v7, 0xff
	v_mov_b32_e32 v15, 0
	;; [unrolled: 1-line block ×7, first 2 shown]
	s_and_saveexec_b64 s[22:23], s[0:1]
	s_cbranch_execz .LBB8_26
; %bb.13:
	global_load_ubyte v15, v[4:5], off offset:2304
	v_or_b32_e32 v7, 0xa00, v0
	v_cmp_gt_u32_e64 s[0:1], s38, v7
	v_mov_b32_e32 v7, 0xff
	v_mov_b32_e32 v16, 0
	;; [unrolled: 1-line block ×6, first 2 shown]
	s_and_saveexec_b64 s[24:25], s[0:1]
	s_cbranch_execz .LBB8_25
; %bb.14:
	global_load_ubyte v16, v[4:5], off offset:2560
	v_or_b32_e32 v7, 0xb00, v0
	v_cmp_gt_u32_e64 s[0:1], s38, v7
	v_mov_b32_e32 v7, 0xff
	v_mov_b32_e32 v17, 0
	;; [unrolled: 1-line block ×5, first 2 shown]
	s_and_saveexec_b64 s[26:27], s[0:1]
	s_cbranch_execz .LBB8_24
; %bb.15:
	global_load_ubyte v17, v[4:5], off offset:2816
	v_or_b32_e32 v7, 0xc00, v0
	v_cmp_gt_u32_e64 s[0:1], s38, v7
	v_mov_b32_e32 v7, 0xff
	v_mov_b32_e32 v18, 0
	v_mov_b32_e32 v19, 0
	v_mov_b32_e32 v20, 0
	s_and_saveexec_b64 s[28:29], s[0:1]
	s_cbranch_execz .LBB8_23
; %bb.16:
	global_load_ubyte v18, v[4:5], off offset:3072
	v_or_b32_e32 v7, 0xd00, v0
	v_cmp_gt_u32_e64 s[0:1], s38, v7
	v_mov_b32_e32 v7, 0xff
	v_mov_b32_e32 v19, 0
	;; [unrolled: 1-line block ×3, first 2 shown]
	s_and_saveexec_b64 s[30:31], s[0:1]
	s_cbranch_execz .LBB8_22
; %bb.17:
	global_load_ubyte v19, v[4:5], off offset:3328
	v_or_b32_e32 v7, 0xe00, v0
	v_cmp_gt_u32_e64 s[0:1], s38, v7
	v_mov_b32_e32 v7, 0xff
	v_mov_b32_e32 v20, 0
	s_and_saveexec_b64 s[34:35], s[0:1]
	s_cbranch_execz .LBB8_21
; %bb.18:
	global_load_ubyte v20, v[4:5], off offset:3584
	v_or_b32_e32 v7, 0xf00, v0
	v_cmp_gt_u32_e64 s[0:1], s38, v7
	v_mov_b32_e32 v7, 0xff
	s_and_saveexec_b64 s[36:37], s[0:1]
	s_cbranch_execz .LBB8_20
; %bb.19:
	global_load_ubyte v4, v[4:5], off offset:3840
	s_waitcnt vmcnt(0)
	v_xor_b32_e32 v7, -1, v4
.LBB8_20:
	s_or_b64 exec, exec, s[36:37]
.LBB8_21:
	s_or_b64 exec, exec, s[34:35]
.LBB8_22:
	s_or_b64 exec, exec, s[30:31]
.LBB8_23:
	s_or_b64 exec, exec, s[28:29]
.LBB8_24:
	s_or_b64 exec, exec, s[26:27]
.LBB8_25:
	s_or_b64 exec, exec, s[24:25]
.LBB8_26:
	s_or_b64 exec, exec, s[22:23]
.LBB8_27:
	s_or_b64 exec, exec, s[20:21]
.LBB8_28:
	s_or_b64 exec, exec, s[18:19]
.LBB8_29:
	s_or_b64 exec, exec, s[16:17]
.LBB8_30:
	s_or_b64 exec, exec, s[14:15]
.LBB8_31:
	s_or_b64 exec, exec, s[12:13]
.LBB8_32:
	s_or_b64 exec, exec, s[6:7]
	s_waitcnt vmcnt(0)
	v_mov_b32_e32 v4, v3
	v_mov_b32_e32 v3, v2
.LBB8_33:
	s_or_b64 exec, exec, s[10:11]
.LBB8_34:
	s_or_b64 exec, exec, s[8:9]
.LBB8_35:
	s_or_b64 exec, exec, s[2:3]
	s_movk_i32 s2, 0xff
	s_waitcnt vmcnt(0)
	v_bitop3_b16 v2, v8, s2, v8 bitop3:0xc
	v_and_b32_e32 v2, 0xffff, v2
	v_mov_b32_e32 v8, -1
	v_cndmask_b32_e32 v2, 0, v2, vcc
	v_xor_b32_sdwa v5, v9, v8 dst_sel:BYTE_1 dst_unused:UNUSED_PAD src0_sel:DWORD src1_sel:DWORD
	v_cmp_gt_i32_e64 s[0:1], s38, v1
	v_or_b32_e32 v5, v2, v5
	v_and_b32_e32 v5, 0xffff, v5
	v_cndmask_b32_e64 v2, v2, v5, s[0:1]
	v_xor_b32_e32 v3, -1, v3
	s_mov_b32 s6, 0xc0c0304
	v_or_b32_e32 v5, 0x200, v0
	v_perm_b32 v3, v3, v2, s6
	v_lshl_or_b32 v3, v3, 16, v2
	v_cmp_gt_i32_e64 s[0:1], s38, v5
	v_xor_b32_sdwa v4, v4, v8 dst_sel:BYTE_1 dst_unused:UNUSED_PAD src0_sel:DWORD src1_sel:DWORD
	s_mov_b32 s3, 0xffff
	v_cndmask_b32_e64 v2, v2, v3, s[0:1]
	v_lshrrev_b32_e32 v3, 16, v2
	v_bitop3_b16 v3, v3, v4, s2 bitop3:0xec
	v_or_b32_e32 v5, 0x300, v0
	v_lshlrev_b32_e32 v3, 16, v3
	v_and_or_b32 v3, v2, s3, v3
	v_cmp_gt_i32_e64 s[0:1], s38, v5
	s_mov_b32 s7, 0x3020104
	s_mov_b32 s8, 0xffff0000
	v_cndmask_b32_e64 v5, v2, v3, s[0:1]
	v_xor_b32_e32 v2, -1, v10
	v_or_b32_e32 v3, 0x400, v0
	v_perm_b32 v2, v2, 0, s7
	v_cmp_gt_i32_e64 s[0:1], s38, v3
	v_xor_b32_sdwa v3, v11, v8 dst_sel:BYTE_1 dst_unused:UNUSED_PAD src0_sel:DWORD src1_sel:DWORD
	v_or_b32_e32 v4, 0x500, v0
	v_cndmask_b32_e64 v2, 0, v2, s[0:1]
	v_bitop3_b16 v3, v2, v3, s2 bitop3:0xec
	v_and_b32_e32 v3, 0xffff, v3
	v_and_or_b32 v3, v2, s8, v3
	v_cmp_gt_i32_e64 s[0:1], s38, v4
	v_xor_b32_e32 v4, -1, v12
	s_mov_b32 s9, 0x7000504
	v_cndmask_b32_e64 v2, v2, v3, s[0:1]
	v_or_b32_e32 v3, 0x600, v0
	v_perm_b32 v4, v2, v4, s9
	v_cmp_gt_i32_e64 s[0:1], s38, v3
	v_xor_b32_sdwa v9, v13, v8 dst_sel:BYTE_1 dst_unused:UNUSED_PAD src0_sel:DWORD src1_sel:DWORD
	v_xor_b32_sdwa v10, v17, v8 dst_sel:BYTE_1 dst_unused:UNUSED_PAD src0_sel:DWORD src1_sel:DWORD
	v_cndmask_b32_e64 v2, v2, v4, s[0:1]
	v_lshrrev_b32_e32 v3, 16, v2
	v_bitop3_b16 v3, v3, v9, s2 bitop3:0xec
	v_or_b32_e32 v4, 0x700, v0
	v_lshlrev_b32_e32 v3, 16, v3
	v_and_or_b32 v3, v2, s3, v3
	v_cmp_gt_i32_e64 s[0:1], s38, v4
	v_xor_b32_sdwa v9, v15, v8 dst_sel:BYTE_1 dst_unused:UNUSED_PAD src0_sel:DWORD src1_sel:DWORD
	v_xor_b32_sdwa v8, v19, v8 dst_sel:BYTE_1 dst_unused:UNUSED_PAD src0_sel:DWORD src1_sel:DWORD
	v_cndmask_b32_e64 v4, v2, v3, s[0:1]
	v_or_b32_e32 v2, 0x800, v0
	v_bitop3_b16 v3, v14, s2, v14 bitop3:0xc
	v_and_b32_e32 v3, 0xffff, v3
	v_cmp_gt_i32_e64 s[0:1], s38, v2
	s_nop 1
	v_cndmask_b32_e64 v2, 0, v3, s[0:1]
	v_or_b32_e32 v3, 0x900, v0
	v_or_b32_e32 v9, v2, v9
	v_and_b32_e32 v9, 0xffff, v9
	v_cmp_gt_i32_e64 s[0:1], s38, v3
	v_or_b32_e32 v3, 0xa00, v0
	s_nop 0
	v_cndmask_b32_e64 v2, v2, v9, s[0:1]
	v_xor_b32_e32 v9, -1, v16
	v_perm_b32 v9, v9, v2, s6
	v_lshl_or_b32 v9, v9, 16, v2
	v_cmp_gt_i32_e64 s[0:1], s38, v3
	s_nop 1
	v_cndmask_b32_e64 v2, v2, v9, s[0:1]
	v_lshrrev_b32_e32 v3, 16, v2
	v_bitop3_b16 v3, v3, v10, s2 bitop3:0xec
	v_or_b32_e32 v9, 0xb00, v0
	v_lshlrev_b32_e32 v3, 16, v3
	v_and_or_b32 v3, v2, s3, v3
	v_cmp_gt_i32_e64 s[0:1], s38, v9
	v_or_b32_e32 v9, 0xc00, v0
	s_nop 0
	v_cndmask_b32_e64 v3, v2, v3, s[0:1]
	v_xor_b32_e32 v2, -1, v18
	v_perm_b32 v2, v2, 0, s7
	v_cmp_gt_i32_e64 s[0:1], s38, v9
	v_or_b32_e32 v9, 0xd00, v0
	s_nop 0
	v_cndmask_b32_e64 v2, 0, v2, s[0:1]
	v_bitop3_b16 v8, v2, v8, s2 bitop3:0xec
	v_and_b32_e32 v8, 0xffff, v8
	v_and_or_b32 v8, v2, s8, v8
	v_cmp_gt_i32_e64 s[0:1], s38, v9
	v_xor_b32_e32 v9, -1, v20
	s_nop 0
	v_cndmask_b32_e64 v2, v2, v8, s[0:1]
	v_or_b32_e32 v8, 0xe00, v0
	v_perm_b32 v9, v2, v9, s9
	v_cmp_gt_i32_e64 s[0:1], s38, v8
	v_or_b32_e32 v8, 0xf00, v0
	s_nop 0
	v_cndmask_b32_e64 v2, v2, v9, s[0:1]
	s_mov_b32 s0, 0x60504
	v_perm_b32 v7, v2, v7, s0
	v_cmp_gt_i32_e64 s[0:1], s38, v8
	s_nop 1
	v_cndmask_b32_e64 v2, v2, v7, s[0:1]
	s_and_saveexec_b64 s[0:1], vcc
	s_cbranch_execnz .LBB8_53
; %bb.36:
	s_or_b64 exec, exec, s[0:1]
	v_cmp_gt_i32_e32 vcc, s38, v0
	s_and_saveexec_b64 s[0:1], vcc
	s_cbranch_execnz .LBB8_54
.LBB8_37:
	s_or_b64 exec, exec, s[0:1]
	v_cmp_gt_i32_e32 vcc, s38, v0
	s_and_saveexec_b64 s[0:1], vcc
	s_cbranch_execnz .LBB8_55
.LBB8_38:
	s_or_b64 exec, exec, s[0:1]
	v_cmp_gt_i32_e32 vcc, s38, v0
	s_and_saveexec_b64 s[0:1], vcc
	s_cbranch_execnz .LBB8_56
.LBB8_39:
	s_or_b64 exec, exec, s[0:1]
	v_cmp_gt_i32_e32 vcc, s38, v0
	s_and_saveexec_b64 s[0:1], vcc
	s_cbranch_execnz .LBB8_57
.LBB8_40:
	s_or_b64 exec, exec, s[0:1]
	v_cmp_gt_i32_e32 vcc, s38, v0
	s_and_saveexec_b64 s[0:1], vcc
	s_cbranch_execnz .LBB8_58
.LBB8_41:
	s_or_b64 exec, exec, s[0:1]
	v_cmp_gt_i32_e32 vcc, s38, v0
	s_and_saveexec_b64 s[0:1], vcc
	s_cbranch_execnz .LBB8_59
.LBB8_42:
	s_or_b64 exec, exec, s[0:1]
	v_cmp_gt_i32_e32 vcc, s38, v0
	s_and_saveexec_b64 s[0:1], vcc
	s_cbranch_execnz .LBB8_60
.LBB8_43:
	s_or_b64 exec, exec, s[0:1]
	v_cmp_gt_i32_e32 vcc, s38, v0
	s_and_saveexec_b64 s[0:1], vcc
	s_cbranch_execnz .LBB8_61
.LBB8_44:
	s_or_b64 exec, exec, s[0:1]
	v_cmp_gt_i32_e32 vcc, s38, v0
	s_and_saveexec_b64 s[0:1], vcc
	s_cbranch_execnz .LBB8_62
.LBB8_45:
	s_or_b64 exec, exec, s[0:1]
	v_cmp_gt_i32_e32 vcc, s38, v0
	s_and_saveexec_b64 s[0:1], vcc
	s_cbranch_execnz .LBB8_63
.LBB8_46:
	s_or_b64 exec, exec, s[0:1]
	v_cmp_gt_i32_e32 vcc, s38, v0
	s_and_saveexec_b64 s[0:1], vcc
	s_cbranch_execnz .LBB8_64
.LBB8_47:
	s_or_b64 exec, exec, s[0:1]
	v_cmp_gt_i32_e32 vcc, s38, v0
	s_and_saveexec_b64 s[0:1], vcc
	s_cbranch_execnz .LBB8_65
.LBB8_48:
	s_or_b64 exec, exec, s[0:1]
	v_cmp_gt_i32_e32 vcc, s38, v0
	s_and_saveexec_b64 s[0:1], vcc
	s_cbranch_execnz .LBB8_66
.LBB8_49:
	s_or_b64 exec, exec, s[0:1]
	v_cmp_gt_i32_e32 vcc, s38, v0
	s_and_saveexec_b64 s[0:1], vcc
	s_cbranch_execnz .LBB8_67
.LBB8_50:
	s_or_b64 exec, exec, s[0:1]
	v_cmp_gt_i32_e32 vcc, s38, v0
	s_and_saveexec_b64 s[0:1], vcc
	s_cbranch_execz .LBB8_52
.LBB8_51:
	v_lshrrev_b32_e32 v1, 24, v2
	v_add_u32_e32 v0, s33, v0
	global_store_byte v0, v1, s[4:5]
.LBB8_52:
	s_endpgm
.LBB8_53:
	v_mov_b32_e32 v0, v1
	global_store_byte v6, v5, s[4:5]
	s_or_b64 exec, exec, s[0:1]
	v_cmp_gt_i32_e32 vcc, s38, v0
	s_and_saveexec_b64 s[0:1], vcc
	s_cbranch_execz .LBB8_37
.LBB8_54:
	v_lshrrev_b32_e32 v1, 8, v5
	v_add_u32_e32 v6, s33, v0
	v_add_u32_e32 v0, 0x100, v0
	global_store_byte v6, v1, s[4:5]
	s_or_b64 exec, exec, s[0:1]
	v_cmp_gt_i32_e32 vcc, s38, v0
	s_and_saveexec_b64 s[0:1], vcc
	s_cbranch_execz .LBB8_38
.LBB8_55:
	v_add_u32_e32 v1, s33, v0
	v_add_u32_e32 v0, 0x100, v0
	global_store_byte_d16_hi v1, v5, s[4:5]
	s_or_b64 exec, exec, s[0:1]
	v_cmp_gt_i32_e32 vcc, s38, v0
	s_and_saveexec_b64 s[0:1], vcc
	s_cbranch_execz .LBB8_39
.LBB8_56:
	v_lshrrev_b32_e32 v1, 24, v5
	v_add_u32_e32 v5, s33, v0
	v_add_u32_e32 v0, 0x100, v0
	global_store_byte v5, v1, s[4:5]
	s_or_b64 exec, exec, s[0:1]
	v_cmp_gt_i32_e32 vcc, s38, v0
	s_and_saveexec_b64 s[0:1], vcc
	s_cbranch_execz .LBB8_40
.LBB8_57:
	v_add_u32_e32 v1, s33, v0
	v_add_u32_e32 v0, 0x100, v0
	global_store_byte v1, v4, s[4:5]
	s_or_b64 exec, exec, s[0:1]
	v_cmp_gt_i32_e32 vcc, s38, v0
	s_and_saveexec_b64 s[0:1], vcc
	s_cbranch_execz .LBB8_41
.LBB8_58:
	v_lshrrev_b32_e32 v1, 8, v4
	v_add_u32_e32 v5, s33, v0
	v_add_u32_e32 v0, 0x100, v0
	global_store_byte v5, v1, s[4:5]
	s_or_b64 exec, exec, s[0:1]
	v_cmp_gt_i32_e32 vcc, s38, v0
	s_and_saveexec_b64 s[0:1], vcc
	s_cbranch_execz .LBB8_42
.LBB8_59:
	v_add_u32_e32 v1, s33, v0
	v_add_u32_e32 v0, 0x100, v0
	global_store_byte_d16_hi v1, v4, s[4:5]
	s_or_b64 exec, exec, s[0:1]
	v_cmp_gt_i32_e32 vcc, s38, v0
	s_and_saveexec_b64 s[0:1], vcc
	s_cbranch_execz .LBB8_43
.LBB8_60:
	v_lshrrev_b32_e32 v1, 24, v4
	v_add_u32_e32 v4, s33, v0
	v_add_u32_e32 v0, 0x100, v0
	global_store_byte v4, v1, s[4:5]
	s_or_b64 exec, exec, s[0:1]
	v_cmp_gt_i32_e32 vcc, s38, v0
	s_and_saveexec_b64 s[0:1], vcc
	s_cbranch_execz .LBB8_44
.LBB8_61:
	v_add_u32_e32 v1, s33, v0
	v_add_u32_e32 v0, 0x100, v0
	global_store_byte v1, v3, s[4:5]
	s_or_b64 exec, exec, s[0:1]
	v_cmp_gt_i32_e32 vcc, s38, v0
	s_and_saveexec_b64 s[0:1], vcc
	s_cbranch_execz .LBB8_45
.LBB8_62:
	v_lshrrev_b32_e32 v1, 8, v3
	v_add_u32_e32 v4, s33, v0
	v_add_u32_e32 v0, 0x100, v0
	global_store_byte v4, v1, s[4:5]
	s_or_b64 exec, exec, s[0:1]
	v_cmp_gt_i32_e32 vcc, s38, v0
	s_and_saveexec_b64 s[0:1], vcc
	s_cbranch_execz .LBB8_46
.LBB8_63:
	v_add_u32_e32 v1, s33, v0
	v_add_u32_e32 v0, 0x100, v0
	global_store_byte_d16_hi v1, v3, s[4:5]
	s_or_b64 exec, exec, s[0:1]
	v_cmp_gt_i32_e32 vcc, s38, v0
	s_and_saveexec_b64 s[0:1], vcc
	s_cbranch_execz .LBB8_47
.LBB8_64:
	v_lshrrev_b32_e32 v1, 24, v3
	v_add_u32_e32 v3, s33, v0
	v_add_u32_e32 v0, 0x100, v0
	global_store_byte v3, v1, s[4:5]
	s_or_b64 exec, exec, s[0:1]
	v_cmp_gt_i32_e32 vcc, s38, v0
	s_and_saveexec_b64 s[0:1], vcc
	s_cbranch_execz .LBB8_48
.LBB8_65:
	v_add_u32_e32 v1, s33, v0
	v_add_u32_e32 v0, 0x100, v0
	global_store_byte v1, v2, s[4:5]
	s_or_b64 exec, exec, s[0:1]
	v_cmp_gt_i32_e32 vcc, s38, v0
	s_and_saveexec_b64 s[0:1], vcc
	s_cbranch_execz .LBB8_49
.LBB8_66:
	v_lshrrev_b32_e32 v1, 8, v2
	v_add_u32_e32 v3, s33, v0
	v_add_u32_e32 v0, 0x100, v0
	global_store_byte v3, v1, s[4:5]
	s_or_b64 exec, exec, s[0:1]
	v_cmp_gt_i32_e32 vcc, s38, v0
	s_and_saveexec_b64 s[0:1], vcc
	s_cbranch_execz .LBB8_50
.LBB8_67:
	v_add_u32_e32 v1, s33, v0
	v_add_u32_e32 v0, 0x100, v0
	global_store_byte_d16_hi v1, v2, s[4:5]
	s_or_b64 exec, exec, s[0:1]
	v_cmp_gt_i32_e32 vcc, s38, v0
	s_and_saveexec_b64 s[0:1], vcc
	s_cbranch_execnz .LBB8_51
	s_branch .LBB8_52
	.section	.rodata,"a",@progbits
	.p2align	6, 0x0
	.amdhsa_kernel _ZN2at6native29vectorized_elementwise_kernelILi16EZZZNS0_23bitwise_not_kernel_cudaERNS_18TensorIteratorBaseEENKUlvE_clEvENKUlvE_clEvEUlhE_St5arrayIPcLm2EEEEviT0_T1_
		.amdhsa_group_segment_fixed_size 0
		.amdhsa_private_segment_fixed_size 0
		.amdhsa_kernarg_size 24
		.amdhsa_user_sgpr_count 2
		.amdhsa_user_sgpr_dispatch_ptr 0
		.amdhsa_user_sgpr_queue_ptr 0
		.amdhsa_user_sgpr_kernarg_segment_ptr 1
		.amdhsa_user_sgpr_dispatch_id 0
		.amdhsa_user_sgpr_kernarg_preload_length 0
		.amdhsa_user_sgpr_kernarg_preload_offset 0
		.amdhsa_user_sgpr_private_segment_size 0
		.amdhsa_uses_dynamic_stack 0
		.amdhsa_enable_private_segment 0
		.amdhsa_system_sgpr_workgroup_id_x 1
		.amdhsa_system_sgpr_workgroup_id_y 0
		.amdhsa_system_sgpr_workgroup_id_z 0
		.amdhsa_system_sgpr_workgroup_info 0
		.amdhsa_system_vgpr_workitem_id 0
		.amdhsa_next_free_vgpr 21
		.amdhsa_next_free_sgpr 39
		.amdhsa_accum_offset 24
		.amdhsa_reserve_vcc 1
		.amdhsa_float_round_mode_32 0
		.amdhsa_float_round_mode_16_64 0
		.amdhsa_float_denorm_mode_32 3
		.amdhsa_float_denorm_mode_16_64 3
		.amdhsa_dx10_clamp 1
		.amdhsa_ieee_mode 1
		.amdhsa_fp16_overflow 0
		.amdhsa_tg_split 0
		.amdhsa_exception_fp_ieee_invalid_op 0
		.amdhsa_exception_fp_denorm_src 0
		.amdhsa_exception_fp_ieee_div_zero 0
		.amdhsa_exception_fp_ieee_overflow 0
		.amdhsa_exception_fp_ieee_underflow 0
		.amdhsa_exception_fp_ieee_inexact 0
		.amdhsa_exception_int_div_zero 0
	.end_amdhsa_kernel
	.section	.text._ZN2at6native29vectorized_elementwise_kernelILi16EZZZNS0_23bitwise_not_kernel_cudaERNS_18TensorIteratorBaseEENKUlvE_clEvENKUlvE_clEvEUlhE_St5arrayIPcLm2EEEEviT0_T1_,"axG",@progbits,_ZN2at6native29vectorized_elementwise_kernelILi16EZZZNS0_23bitwise_not_kernel_cudaERNS_18TensorIteratorBaseEENKUlvE_clEvENKUlvE_clEvEUlhE_St5arrayIPcLm2EEEEviT0_T1_,comdat
.Lfunc_end8:
	.size	_ZN2at6native29vectorized_elementwise_kernelILi16EZZZNS0_23bitwise_not_kernel_cudaERNS_18TensorIteratorBaseEENKUlvE_clEvENKUlvE_clEvEUlhE_St5arrayIPcLm2EEEEviT0_T1_, .Lfunc_end8-_ZN2at6native29vectorized_elementwise_kernelILi16EZZZNS0_23bitwise_not_kernel_cudaERNS_18TensorIteratorBaseEENKUlvE_clEvENKUlvE_clEvEUlhE_St5arrayIPcLm2EEEEviT0_T1_
                                        ; -- End function
	.set _ZN2at6native29vectorized_elementwise_kernelILi16EZZZNS0_23bitwise_not_kernel_cudaERNS_18TensorIteratorBaseEENKUlvE_clEvENKUlvE_clEvEUlhE_St5arrayIPcLm2EEEEviT0_T1_.num_vgpr, 21
	.set _ZN2at6native29vectorized_elementwise_kernelILi16EZZZNS0_23bitwise_not_kernel_cudaERNS_18TensorIteratorBaseEENKUlvE_clEvENKUlvE_clEvEUlhE_St5arrayIPcLm2EEEEviT0_T1_.num_agpr, 0
	.set _ZN2at6native29vectorized_elementwise_kernelILi16EZZZNS0_23bitwise_not_kernel_cudaERNS_18TensorIteratorBaseEENKUlvE_clEvENKUlvE_clEvEUlhE_St5arrayIPcLm2EEEEviT0_T1_.numbered_sgpr, 39
	.set _ZN2at6native29vectorized_elementwise_kernelILi16EZZZNS0_23bitwise_not_kernel_cudaERNS_18TensorIteratorBaseEENKUlvE_clEvENKUlvE_clEvEUlhE_St5arrayIPcLm2EEEEviT0_T1_.num_named_barrier, 0
	.set _ZN2at6native29vectorized_elementwise_kernelILi16EZZZNS0_23bitwise_not_kernel_cudaERNS_18TensorIteratorBaseEENKUlvE_clEvENKUlvE_clEvEUlhE_St5arrayIPcLm2EEEEviT0_T1_.private_seg_size, 0
	.set _ZN2at6native29vectorized_elementwise_kernelILi16EZZZNS0_23bitwise_not_kernel_cudaERNS_18TensorIteratorBaseEENKUlvE_clEvENKUlvE_clEvEUlhE_St5arrayIPcLm2EEEEviT0_T1_.uses_vcc, 1
	.set _ZN2at6native29vectorized_elementwise_kernelILi16EZZZNS0_23bitwise_not_kernel_cudaERNS_18TensorIteratorBaseEENKUlvE_clEvENKUlvE_clEvEUlhE_St5arrayIPcLm2EEEEviT0_T1_.uses_flat_scratch, 0
	.set _ZN2at6native29vectorized_elementwise_kernelILi16EZZZNS0_23bitwise_not_kernel_cudaERNS_18TensorIteratorBaseEENKUlvE_clEvENKUlvE_clEvEUlhE_St5arrayIPcLm2EEEEviT0_T1_.has_dyn_sized_stack, 0
	.set _ZN2at6native29vectorized_elementwise_kernelILi16EZZZNS0_23bitwise_not_kernel_cudaERNS_18TensorIteratorBaseEENKUlvE_clEvENKUlvE_clEvEUlhE_St5arrayIPcLm2EEEEviT0_T1_.has_recursion, 0
	.set _ZN2at6native29vectorized_elementwise_kernelILi16EZZZNS0_23bitwise_not_kernel_cudaERNS_18TensorIteratorBaseEENKUlvE_clEvENKUlvE_clEvEUlhE_St5arrayIPcLm2EEEEviT0_T1_.has_indirect_call, 0
	.section	.AMDGPU.csdata,"",@progbits
; Kernel info:
; codeLenInByte = 2924
; TotalNumSgprs: 45
; NumVgprs: 21
; NumAgprs: 0
; TotalNumVgprs: 21
; ScratchSize: 0
; MemoryBound: 0
; FloatMode: 240
; IeeeMode: 1
; LDSByteSize: 0 bytes/workgroup (compile time only)
; SGPRBlocks: 5
; VGPRBlocks: 2
; NumSGPRsForWavesPerEU: 45
; NumVGPRsForWavesPerEU: 21
; AccumOffset: 24
; Occupancy: 8
; WaveLimiterHint : 0
; COMPUTE_PGM_RSRC2:SCRATCH_EN: 0
; COMPUTE_PGM_RSRC2:USER_SGPR: 2
; COMPUTE_PGM_RSRC2:TRAP_HANDLER: 0
; COMPUTE_PGM_RSRC2:TGID_X_EN: 1
; COMPUTE_PGM_RSRC2:TGID_Y_EN: 0
; COMPUTE_PGM_RSRC2:TGID_Z_EN: 0
; COMPUTE_PGM_RSRC2:TIDIG_COMP_CNT: 0
; COMPUTE_PGM_RSRC3_GFX90A:ACCUM_OFFSET: 5
; COMPUTE_PGM_RSRC3_GFX90A:TG_SPLIT: 0
	.section	.text._ZN2at6native29vectorized_elementwise_kernelILi8EZZZNS0_23bitwise_not_kernel_cudaERNS_18TensorIteratorBaseEENKUlvE_clEvENKUlvE_clEvEUlhE_St5arrayIPcLm2EEEEviT0_T1_,"axG",@progbits,_ZN2at6native29vectorized_elementwise_kernelILi8EZZZNS0_23bitwise_not_kernel_cudaERNS_18TensorIteratorBaseEENKUlvE_clEvENKUlvE_clEvEUlhE_St5arrayIPcLm2EEEEviT0_T1_,comdat
	.globl	_ZN2at6native29vectorized_elementwise_kernelILi8EZZZNS0_23bitwise_not_kernel_cudaERNS_18TensorIteratorBaseEENKUlvE_clEvENKUlvE_clEvEUlhE_St5arrayIPcLm2EEEEviT0_T1_ ; -- Begin function _ZN2at6native29vectorized_elementwise_kernelILi8EZZZNS0_23bitwise_not_kernel_cudaERNS_18TensorIteratorBaseEENKUlvE_clEvENKUlvE_clEvEUlhE_St5arrayIPcLm2EEEEviT0_T1_
	.p2align	8
	.type	_ZN2at6native29vectorized_elementwise_kernelILi8EZZZNS0_23bitwise_not_kernel_cudaERNS_18TensorIteratorBaseEENKUlvE_clEvENKUlvE_clEvEUlhE_St5arrayIPcLm2EEEEviT0_T1_,@function
_ZN2at6native29vectorized_elementwise_kernelILi8EZZZNS0_23bitwise_not_kernel_cudaERNS_18TensorIteratorBaseEENKUlvE_clEvENKUlvE_clEvEUlhE_St5arrayIPcLm2EEEEviT0_T1_: ; @_ZN2at6native29vectorized_elementwise_kernelILi8EZZZNS0_23bitwise_not_kernel_cudaERNS_18TensorIteratorBaseEENKUlvE_clEvENKUlvE_clEvEUlhE_St5arrayIPcLm2EEEEviT0_T1_
; %bb.0:
	s_load_dword s3, s[0:1], 0x0
	s_load_dwordx4 s[4:7], s[0:1], 0x8
	s_lshl_b32 s33, s2, 12
	s_mov_b64 s[0:1], -1
	s_waitcnt lgkmcnt(0)
	s_sub_i32 s38, s3, s33
	s_cmpk_gt_i32 s38, 0xfff
	s_cbranch_scc0 .LBB9_2
; %bb.1:
	s_ashr_i32 s2, s33, 31
	s_add_u32 s0, s6, s33
	s_addc_u32 s1, s7, s2
	v_lshlrev_b32_e32 v1, 3, v0
	global_load_dwordx2 v[2:3], v1, s[0:1]
	global_load_dwordx2 v[4:5], v1, s[0:1] offset:2048
	v_mov_b32_e32 v6, -1
	s_movk_i32 s8, 0xff
	s_mov_b32 s3, 0xc0c0004
	s_add_u32 s0, s4, s33
	s_addc_u32 s1, s5, s2
	s_waitcnt vmcnt(1)
	v_xor_b32_e32 v7, -1, v2
	v_lshrrev_b32_e32 v8, 8, v2
	v_xor_b32_sdwa v9, v2, v6 dst_sel:DWORD dst_unused:UNUSED_PAD src0_sel:WORD_1 src1_sel:DWORD
	v_xor_b32_sdwa v2, v2, v6 dst_sel:BYTE_1 dst_unused:UNUSED_PAD src0_sel:BYTE_3 src1_sel:DWORD
	v_lshrrev_b32_e32 v10, 8, v3
	v_lshrrev_b32_e32 v11, 16, v3
	v_xor_b32_sdwa v12, v3, v6 dst_sel:BYTE_1 dst_unused:UNUSED_PAD src0_sel:BYTE_3 src1_sel:DWORD
	s_waitcnt vmcnt(0)
	v_lshrrev_b32_e32 v13, 8, v4
	v_lshrrev_b32_e32 v14, 16, v4
	v_xor_b32_sdwa v15, v4, v6 dst_sel:BYTE_1 dst_unused:UNUSED_PAD src0_sel:BYTE_3 src1_sel:DWORD
	v_lshrrev_b32_e32 v16, 8, v5
	v_lshrrev_b32_e32 v17, 16, v5
	v_xor_b32_sdwa v18, v5, v6 dst_sel:BYTE_1 dst_unused:UNUSED_PAD src0_sel:BYTE_3 src1_sel:DWORD
	v_xor_b32_e32 v8, -1, v8
	v_bitop3_b16 v2, v9, v2, s8 bitop3:0xec
	v_xor_b32_sdwa v9, v10, v6 dst_sel:BYTE_1 dst_unused:UNUSED_PAD src0_sel:DWORD src1_sel:DWORD
	v_bitop3_b16 v10, v11, v12, s8 bitop3:0xce
	v_xor_b32_sdwa v11, v13, v6 dst_sel:BYTE_1 dst_unused:UNUSED_PAD src0_sel:DWORD src1_sel:DWORD
	;; [unrolled: 2-line block ×3, first 2 shown]
	v_bitop3_b16 v13, v17, v18, s8 bitop3:0xce
	v_perm_b32 v7, v7, v8, s3
	v_lshlrev_b32_e32 v2, 16, v2
	v_bitop3_b16 v3, v3, v9, s8 bitop3:0xce
	v_lshlrev_b32_e32 v8, 16, v10
	v_bitop3_b16 v4, v4, v11, s8 bitop3:0xce
	;; [unrolled: 2-line block ×3, first 2 shown]
	v_lshlrev_b32_e32 v6, 16, v13
	v_or_b32_e32 v2, v7, v2
	v_or_b32_sdwa v3, v3, v8 dst_sel:DWORD dst_unused:UNUSED_PAD src0_sel:WORD_0 src1_sel:DWORD
	v_or_b32_sdwa v4, v4, v9 dst_sel:DWORD dst_unused:UNUSED_PAD src0_sel:WORD_0 src1_sel:DWORD
	;; [unrolled: 1-line block ×3, first 2 shown]
	global_store_dwordx2 v1, v[2:3], s[0:1]
	global_store_dwordx2 v1, v[4:5], s[0:1] offset:2048
	s_mov_b64 s[0:1], 0
.LBB9_2:
	s_andn2_b64 vcc, exec, s[0:1]
	s_cbranch_vccnz .LBB9_52
; %bb.3:
	v_cmp_gt_i32_e32 vcc, s38, v0
	v_or_b32_e32 v1, 0x100, v0
	v_mov_b32_e32 v20, 0
	v_mov_b32_e32 v7, 0xff
	v_or_b32_e32 v6, s33, v0
	v_mov_b32_e32 v19, 0
	v_mov_b32_e32 v18, 0
	;; [unrolled: 1-line block ×14, first 2 shown]
	s_and_saveexec_b64 s[2:3], vcc
	s_cbranch_execz .LBB9_35
; %bb.4:
	global_load_ubyte v8, v6, s[6:7]
	v_cmp_gt_u32_e64 s[0:1], s38, v1
	v_mov_b32_e32 v7, 0xff
	v_mov_b32_e32 v9, 0
	;; [unrolled: 1-line block ×15, first 2 shown]
	s_and_saveexec_b64 s[8:9], s[0:1]
	s_cbranch_execz .LBB9_34
; %bb.5:
	v_add_u32_e32 v2, s33, v0
	global_load_ubyte v9, v2, s[6:7] offset:256
	v_or_b32_e32 v4, 0x200, v0
	v_mov_b32_e32 v3, 0
	v_cmp_gt_u32_e64 s[0:1], s38, v4
	v_mov_b32_e32 v7, 0xff
	v_mov_b32_e32 v4, 0
	;; [unrolled: 1-line block ×13, first 2 shown]
	s_and_saveexec_b64 s[10:11], s[0:1]
	s_cbranch_execz .LBB9_33
; %bb.6:
	v_lshl_add_u64 v[4:5], s[6:7], 0, v[2:3]
	global_load_ubyte v2, v[4:5], off offset:512
	v_or_b32_e32 v7, 0x300, v0
	v_cmp_gt_u32_e64 s[0:1], s38, v7
	v_mov_b32_e32 v7, 0xff
	v_mov_b32_e32 v10, 0
	;; [unrolled: 1-line block ×12, first 2 shown]
	s_and_saveexec_b64 s[6:7], s[0:1]
	s_cbranch_execz .LBB9_32
; %bb.7:
	global_load_ubyte v3, v[4:5], off offset:768
	v_or_b32_e32 v7, 0x400, v0
	v_cmp_gt_u32_e64 s[0:1], s38, v7
	v_mov_b32_e32 v7, 0xff
	v_mov_b32_e32 v10, 0
	;; [unrolled: 1-line block ×12, first 2 shown]
	s_and_saveexec_b64 s[12:13], s[0:1]
	s_cbranch_execz .LBB9_31
; %bb.8:
	global_load_ubyte v10, v[4:5], off offset:1024
	v_or_b32_e32 v7, 0x500, v0
	v_cmp_gt_u32_e64 s[0:1], s38, v7
	v_mov_b32_e32 v7, 0xff
	v_mov_b32_e32 v11, 0
	;; [unrolled: 1-line block ×11, first 2 shown]
	s_and_saveexec_b64 s[14:15], s[0:1]
	s_cbranch_execz .LBB9_30
; %bb.9:
	global_load_ubyte v11, v[4:5], off offset:1280
	v_or_b32_e32 v7, 0x600, v0
	v_cmp_gt_u32_e64 s[0:1], s38, v7
	v_mov_b32_e32 v7, 0xff
	v_mov_b32_e32 v12, 0
	v_mov_b32_e32 v13, 0
	v_mov_b32_e32 v14, 0
	v_mov_b32_e32 v15, 0
	v_mov_b32_e32 v16, 0
	v_mov_b32_e32 v17, 0
	v_mov_b32_e32 v18, 0
	v_mov_b32_e32 v19, 0
	v_mov_b32_e32 v20, 0
	s_and_saveexec_b64 s[16:17], s[0:1]
	s_cbranch_execz .LBB9_29
; %bb.10:
	global_load_ubyte v12, v[4:5], off offset:1536
	v_or_b32_e32 v7, 0x700, v0
	v_cmp_gt_u32_e64 s[0:1], s38, v7
	v_mov_b32_e32 v7, 0xff
	v_mov_b32_e32 v13, 0
	;; [unrolled: 1-line block ×9, first 2 shown]
	s_and_saveexec_b64 s[18:19], s[0:1]
	s_cbranch_execz .LBB9_28
; %bb.11:
	global_load_ubyte v13, v[4:5], off offset:1792
	v_or_b32_e32 v7, 0x800, v0
	v_cmp_gt_u32_e64 s[0:1], s38, v7
	v_mov_b32_e32 v7, 0xff
	v_mov_b32_e32 v14, 0
	;; [unrolled: 1-line block ×8, first 2 shown]
	s_and_saveexec_b64 s[20:21], s[0:1]
	s_cbranch_execz .LBB9_27
; %bb.12:
	global_load_ubyte v14, v[4:5], off offset:2048
	v_or_b32_e32 v7, 0x900, v0
	v_cmp_gt_u32_e64 s[0:1], s38, v7
	v_mov_b32_e32 v7, 0xff
	v_mov_b32_e32 v15, 0
	;; [unrolled: 1-line block ×7, first 2 shown]
	s_and_saveexec_b64 s[22:23], s[0:1]
	s_cbranch_execz .LBB9_26
; %bb.13:
	global_load_ubyte v15, v[4:5], off offset:2304
	v_or_b32_e32 v7, 0xa00, v0
	v_cmp_gt_u32_e64 s[0:1], s38, v7
	v_mov_b32_e32 v7, 0xff
	v_mov_b32_e32 v16, 0
	;; [unrolled: 1-line block ×6, first 2 shown]
	s_and_saveexec_b64 s[24:25], s[0:1]
	s_cbranch_execz .LBB9_25
; %bb.14:
	global_load_ubyte v16, v[4:5], off offset:2560
	v_or_b32_e32 v7, 0xb00, v0
	v_cmp_gt_u32_e64 s[0:1], s38, v7
	v_mov_b32_e32 v7, 0xff
	v_mov_b32_e32 v17, 0
	;; [unrolled: 1-line block ×5, first 2 shown]
	s_and_saveexec_b64 s[26:27], s[0:1]
	s_cbranch_execz .LBB9_24
; %bb.15:
	global_load_ubyte v17, v[4:5], off offset:2816
	v_or_b32_e32 v7, 0xc00, v0
	v_cmp_gt_u32_e64 s[0:1], s38, v7
	v_mov_b32_e32 v7, 0xff
	v_mov_b32_e32 v18, 0
	;; [unrolled: 1-line block ×4, first 2 shown]
	s_and_saveexec_b64 s[28:29], s[0:1]
	s_cbranch_execz .LBB9_23
; %bb.16:
	global_load_ubyte v18, v[4:5], off offset:3072
	v_or_b32_e32 v7, 0xd00, v0
	v_cmp_gt_u32_e64 s[0:1], s38, v7
	v_mov_b32_e32 v7, 0xff
	v_mov_b32_e32 v19, 0
	;; [unrolled: 1-line block ×3, first 2 shown]
	s_and_saveexec_b64 s[30:31], s[0:1]
	s_cbranch_execz .LBB9_22
; %bb.17:
	global_load_ubyte v19, v[4:5], off offset:3328
	v_or_b32_e32 v7, 0xe00, v0
	v_cmp_gt_u32_e64 s[0:1], s38, v7
	v_mov_b32_e32 v7, 0xff
	v_mov_b32_e32 v20, 0
	s_and_saveexec_b64 s[34:35], s[0:1]
	s_cbranch_execz .LBB9_21
; %bb.18:
	global_load_ubyte v20, v[4:5], off offset:3584
	v_or_b32_e32 v7, 0xf00, v0
	v_cmp_gt_u32_e64 s[0:1], s38, v7
	v_mov_b32_e32 v7, 0xff
	s_and_saveexec_b64 s[36:37], s[0:1]
	s_cbranch_execz .LBB9_20
; %bb.19:
	global_load_ubyte v4, v[4:5], off offset:3840
	s_waitcnt vmcnt(0)
	v_xor_b32_e32 v7, -1, v4
.LBB9_20:
	s_or_b64 exec, exec, s[36:37]
.LBB9_21:
	s_or_b64 exec, exec, s[34:35]
.LBB9_22:
	s_or_b64 exec, exec, s[30:31]
.LBB9_23:
	s_or_b64 exec, exec, s[28:29]
.LBB9_24:
	s_or_b64 exec, exec, s[26:27]
.LBB9_25:
	s_or_b64 exec, exec, s[24:25]
.LBB9_26:
	s_or_b64 exec, exec, s[22:23]
.LBB9_27:
	s_or_b64 exec, exec, s[20:21]
.LBB9_28:
	s_or_b64 exec, exec, s[18:19]
.LBB9_29:
	s_or_b64 exec, exec, s[16:17]
.LBB9_30:
	s_or_b64 exec, exec, s[14:15]
.LBB9_31:
	s_or_b64 exec, exec, s[12:13]
.LBB9_32:
	s_or_b64 exec, exec, s[6:7]
	s_waitcnt vmcnt(0)
	v_mov_b32_e32 v4, v3
	v_mov_b32_e32 v3, v2
.LBB9_33:
	s_or_b64 exec, exec, s[10:11]
.LBB9_34:
	s_or_b64 exec, exec, s[8:9]
.LBB9_35:
	s_or_b64 exec, exec, s[2:3]
	s_movk_i32 s2, 0xff
	s_waitcnt vmcnt(0)
	v_bitop3_b16 v2, v8, s2, v8 bitop3:0xc
	v_and_b32_e32 v2, 0xffff, v2
	v_mov_b32_e32 v8, -1
	v_cndmask_b32_e32 v2, 0, v2, vcc
	v_xor_b32_sdwa v5, v9, v8 dst_sel:BYTE_1 dst_unused:UNUSED_PAD src0_sel:DWORD src1_sel:DWORD
	v_cmp_gt_i32_e64 s[0:1], s38, v1
	v_or_b32_e32 v5, v2, v5
	v_and_b32_e32 v5, 0xffff, v5
	v_cndmask_b32_e64 v2, v2, v5, s[0:1]
	v_xor_b32_e32 v3, -1, v3
	s_mov_b32 s6, 0xc0c0304
	v_or_b32_e32 v5, 0x200, v0
	v_perm_b32 v3, v3, v2, s6
	v_lshl_or_b32 v3, v3, 16, v2
	v_cmp_gt_i32_e64 s[0:1], s38, v5
	v_xor_b32_sdwa v4, v4, v8 dst_sel:BYTE_1 dst_unused:UNUSED_PAD src0_sel:DWORD src1_sel:DWORD
	s_mov_b32 s3, 0xffff
	v_cndmask_b32_e64 v2, v2, v3, s[0:1]
	v_lshrrev_b32_e32 v3, 16, v2
	v_bitop3_b16 v3, v3, v4, s2 bitop3:0xec
	v_or_b32_e32 v5, 0x300, v0
	v_lshlrev_b32_e32 v3, 16, v3
	v_and_or_b32 v3, v2, s3, v3
	v_cmp_gt_i32_e64 s[0:1], s38, v5
	s_mov_b32 s7, 0x3020104
	s_mov_b32 s8, 0xffff0000
	v_cndmask_b32_e64 v5, v2, v3, s[0:1]
	v_xor_b32_e32 v2, -1, v10
	v_or_b32_e32 v3, 0x400, v0
	v_perm_b32 v2, v2, 0, s7
	v_cmp_gt_i32_e64 s[0:1], s38, v3
	v_xor_b32_sdwa v3, v11, v8 dst_sel:BYTE_1 dst_unused:UNUSED_PAD src0_sel:DWORD src1_sel:DWORD
	v_or_b32_e32 v4, 0x500, v0
	v_cndmask_b32_e64 v2, 0, v2, s[0:1]
	v_bitop3_b16 v3, v2, v3, s2 bitop3:0xec
	v_and_b32_e32 v3, 0xffff, v3
	v_and_or_b32 v3, v2, s8, v3
	v_cmp_gt_i32_e64 s[0:1], s38, v4
	v_xor_b32_e32 v4, -1, v12
	s_mov_b32 s9, 0x7000504
	v_cndmask_b32_e64 v2, v2, v3, s[0:1]
	v_or_b32_e32 v3, 0x600, v0
	v_perm_b32 v4, v2, v4, s9
	v_cmp_gt_i32_e64 s[0:1], s38, v3
	v_xor_b32_sdwa v9, v13, v8 dst_sel:BYTE_1 dst_unused:UNUSED_PAD src0_sel:DWORD src1_sel:DWORD
	v_xor_b32_sdwa v10, v17, v8 dst_sel:BYTE_1 dst_unused:UNUSED_PAD src0_sel:DWORD src1_sel:DWORD
	v_cndmask_b32_e64 v2, v2, v4, s[0:1]
	v_lshrrev_b32_e32 v3, 16, v2
	v_bitop3_b16 v3, v3, v9, s2 bitop3:0xec
	v_or_b32_e32 v4, 0x700, v0
	v_lshlrev_b32_e32 v3, 16, v3
	v_and_or_b32 v3, v2, s3, v3
	v_cmp_gt_i32_e64 s[0:1], s38, v4
	v_xor_b32_sdwa v9, v15, v8 dst_sel:BYTE_1 dst_unused:UNUSED_PAD src0_sel:DWORD src1_sel:DWORD
	v_xor_b32_sdwa v8, v19, v8 dst_sel:BYTE_1 dst_unused:UNUSED_PAD src0_sel:DWORD src1_sel:DWORD
	v_cndmask_b32_e64 v4, v2, v3, s[0:1]
	v_or_b32_e32 v2, 0x800, v0
	v_bitop3_b16 v3, v14, s2, v14 bitop3:0xc
	v_and_b32_e32 v3, 0xffff, v3
	v_cmp_gt_i32_e64 s[0:1], s38, v2
	s_nop 1
	v_cndmask_b32_e64 v2, 0, v3, s[0:1]
	v_or_b32_e32 v3, 0x900, v0
	v_or_b32_e32 v9, v2, v9
	v_and_b32_e32 v9, 0xffff, v9
	v_cmp_gt_i32_e64 s[0:1], s38, v3
	v_or_b32_e32 v3, 0xa00, v0
	s_nop 0
	v_cndmask_b32_e64 v2, v2, v9, s[0:1]
	v_xor_b32_e32 v9, -1, v16
	v_perm_b32 v9, v9, v2, s6
	v_lshl_or_b32 v9, v9, 16, v2
	v_cmp_gt_i32_e64 s[0:1], s38, v3
	s_nop 1
	v_cndmask_b32_e64 v2, v2, v9, s[0:1]
	v_lshrrev_b32_e32 v3, 16, v2
	v_bitop3_b16 v3, v3, v10, s2 bitop3:0xec
	v_or_b32_e32 v9, 0xb00, v0
	v_lshlrev_b32_e32 v3, 16, v3
	v_and_or_b32 v3, v2, s3, v3
	v_cmp_gt_i32_e64 s[0:1], s38, v9
	v_or_b32_e32 v9, 0xc00, v0
	s_nop 0
	v_cndmask_b32_e64 v3, v2, v3, s[0:1]
	v_xor_b32_e32 v2, -1, v18
	v_perm_b32 v2, v2, 0, s7
	v_cmp_gt_i32_e64 s[0:1], s38, v9
	v_or_b32_e32 v9, 0xd00, v0
	s_nop 0
	v_cndmask_b32_e64 v2, 0, v2, s[0:1]
	v_bitop3_b16 v8, v2, v8, s2 bitop3:0xec
	v_and_b32_e32 v8, 0xffff, v8
	v_and_or_b32 v8, v2, s8, v8
	v_cmp_gt_i32_e64 s[0:1], s38, v9
	v_xor_b32_e32 v9, -1, v20
	s_nop 0
	v_cndmask_b32_e64 v2, v2, v8, s[0:1]
	v_or_b32_e32 v8, 0xe00, v0
	v_perm_b32 v9, v2, v9, s9
	v_cmp_gt_i32_e64 s[0:1], s38, v8
	v_or_b32_e32 v8, 0xf00, v0
	s_nop 0
	v_cndmask_b32_e64 v2, v2, v9, s[0:1]
	s_mov_b32 s0, 0x60504
	v_perm_b32 v7, v2, v7, s0
	v_cmp_gt_i32_e64 s[0:1], s38, v8
	s_nop 1
	v_cndmask_b32_e64 v2, v2, v7, s[0:1]
	s_and_saveexec_b64 s[0:1], vcc
	s_cbranch_execnz .LBB9_53
; %bb.36:
	s_or_b64 exec, exec, s[0:1]
	v_cmp_gt_i32_e32 vcc, s38, v0
	s_and_saveexec_b64 s[0:1], vcc
	s_cbranch_execnz .LBB9_54
.LBB9_37:
	s_or_b64 exec, exec, s[0:1]
	v_cmp_gt_i32_e32 vcc, s38, v0
	s_and_saveexec_b64 s[0:1], vcc
	s_cbranch_execnz .LBB9_55
.LBB9_38:
	s_or_b64 exec, exec, s[0:1]
	v_cmp_gt_i32_e32 vcc, s38, v0
	s_and_saveexec_b64 s[0:1], vcc
	s_cbranch_execnz .LBB9_56
.LBB9_39:
	s_or_b64 exec, exec, s[0:1]
	v_cmp_gt_i32_e32 vcc, s38, v0
	s_and_saveexec_b64 s[0:1], vcc
	s_cbranch_execnz .LBB9_57
.LBB9_40:
	s_or_b64 exec, exec, s[0:1]
	v_cmp_gt_i32_e32 vcc, s38, v0
	s_and_saveexec_b64 s[0:1], vcc
	s_cbranch_execnz .LBB9_58
.LBB9_41:
	s_or_b64 exec, exec, s[0:1]
	v_cmp_gt_i32_e32 vcc, s38, v0
	s_and_saveexec_b64 s[0:1], vcc
	s_cbranch_execnz .LBB9_59
.LBB9_42:
	s_or_b64 exec, exec, s[0:1]
	v_cmp_gt_i32_e32 vcc, s38, v0
	s_and_saveexec_b64 s[0:1], vcc
	s_cbranch_execnz .LBB9_60
.LBB9_43:
	s_or_b64 exec, exec, s[0:1]
	v_cmp_gt_i32_e32 vcc, s38, v0
	s_and_saveexec_b64 s[0:1], vcc
	s_cbranch_execnz .LBB9_61
.LBB9_44:
	s_or_b64 exec, exec, s[0:1]
	v_cmp_gt_i32_e32 vcc, s38, v0
	s_and_saveexec_b64 s[0:1], vcc
	s_cbranch_execnz .LBB9_62
.LBB9_45:
	s_or_b64 exec, exec, s[0:1]
	v_cmp_gt_i32_e32 vcc, s38, v0
	s_and_saveexec_b64 s[0:1], vcc
	s_cbranch_execnz .LBB9_63
.LBB9_46:
	s_or_b64 exec, exec, s[0:1]
	v_cmp_gt_i32_e32 vcc, s38, v0
	s_and_saveexec_b64 s[0:1], vcc
	s_cbranch_execnz .LBB9_64
.LBB9_47:
	s_or_b64 exec, exec, s[0:1]
	v_cmp_gt_i32_e32 vcc, s38, v0
	s_and_saveexec_b64 s[0:1], vcc
	s_cbranch_execnz .LBB9_65
.LBB9_48:
	s_or_b64 exec, exec, s[0:1]
	v_cmp_gt_i32_e32 vcc, s38, v0
	s_and_saveexec_b64 s[0:1], vcc
	s_cbranch_execnz .LBB9_66
.LBB9_49:
	s_or_b64 exec, exec, s[0:1]
	v_cmp_gt_i32_e32 vcc, s38, v0
	s_and_saveexec_b64 s[0:1], vcc
	s_cbranch_execnz .LBB9_67
.LBB9_50:
	s_or_b64 exec, exec, s[0:1]
	v_cmp_gt_i32_e32 vcc, s38, v0
	s_and_saveexec_b64 s[0:1], vcc
	s_cbranch_execz .LBB9_52
.LBB9_51:
	v_lshrrev_b32_e32 v1, 24, v2
	v_add_u32_e32 v0, s33, v0
	global_store_byte v0, v1, s[4:5]
.LBB9_52:
	s_endpgm
.LBB9_53:
	v_mov_b32_e32 v0, v1
	global_store_byte v6, v5, s[4:5]
	s_or_b64 exec, exec, s[0:1]
	v_cmp_gt_i32_e32 vcc, s38, v0
	s_and_saveexec_b64 s[0:1], vcc
	s_cbranch_execz .LBB9_37
.LBB9_54:
	v_lshrrev_b32_e32 v1, 8, v5
	v_add_u32_e32 v6, s33, v0
	v_add_u32_e32 v0, 0x100, v0
	global_store_byte v6, v1, s[4:5]
	s_or_b64 exec, exec, s[0:1]
	v_cmp_gt_i32_e32 vcc, s38, v0
	s_and_saveexec_b64 s[0:1], vcc
	s_cbranch_execz .LBB9_38
.LBB9_55:
	v_add_u32_e32 v1, s33, v0
	v_add_u32_e32 v0, 0x100, v0
	global_store_byte_d16_hi v1, v5, s[4:5]
	s_or_b64 exec, exec, s[0:1]
	v_cmp_gt_i32_e32 vcc, s38, v0
	s_and_saveexec_b64 s[0:1], vcc
	s_cbranch_execz .LBB9_39
.LBB9_56:
	v_lshrrev_b32_e32 v1, 24, v5
	v_add_u32_e32 v5, s33, v0
	v_add_u32_e32 v0, 0x100, v0
	global_store_byte v5, v1, s[4:5]
	s_or_b64 exec, exec, s[0:1]
	v_cmp_gt_i32_e32 vcc, s38, v0
	s_and_saveexec_b64 s[0:1], vcc
	s_cbranch_execz .LBB9_40
.LBB9_57:
	v_add_u32_e32 v1, s33, v0
	v_add_u32_e32 v0, 0x100, v0
	global_store_byte v1, v4, s[4:5]
	s_or_b64 exec, exec, s[0:1]
	v_cmp_gt_i32_e32 vcc, s38, v0
	s_and_saveexec_b64 s[0:1], vcc
	s_cbranch_execz .LBB9_41
.LBB9_58:
	v_lshrrev_b32_e32 v1, 8, v4
	v_add_u32_e32 v5, s33, v0
	v_add_u32_e32 v0, 0x100, v0
	global_store_byte v5, v1, s[4:5]
	s_or_b64 exec, exec, s[0:1]
	v_cmp_gt_i32_e32 vcc, s38, v0
	s_and_saveexec_b64 s[0:1], vcc
	s_cbranch_execz .LBB9_42
.LBB9_59:
	v_add_u32_e32 v1, s33, v0
	v_add_u32_e32 v0, 0x100, v0
	global_store_byte_d16_hi v1, v4, s[4:5]
	s_or_b64 exec, exec, s[0:1]
	v_cmp_gt_i32_e32 vcc, s38, v0
	s_and_saveexec_b64 s[0:1], vcc
	s_cbranch_execz .LBB9_43
.LBB9_60:
	v_lshrrev_b32_e32 v1, 24, v4
	v_add_u32_e32 v4, s33, v0
	v_add_u32_e32 v0, 0x100, v0
	global_store_byte v4, v1, s[4:5]
	s_or_b64 exec, exec, s[0:1]
	v_cmp_gt_i32_e32 vcc, s38, v0
	s_and_saveexec_b64 s[0:1], vcc
	s_cbranch_execz .LBB9_44
.LBB9_61:
	v_add_u32_e32 v1, s33, v0
	v_add_u32_e32 v0, 0x100, v0
	global_store_byte v1, v3, s[4:5]
	s_or_b64 exec, exec, s[0:1]
	v_cmp_gt_i32_e32 vcc, s38, v0
	s_and_saveexec_b64 s[0:1], vcc
	s_cbranch_execz .LBB9_45
.LBB9_62:
	v_lshrrev_b32_e32 v1, 8, v3
	v_add_u32_e32 v4, s33, v0
	v_add_u32_e32 v0, 0x100, v0
	global_store_byte v4, v1, s[4:5]
	s_or_b64 exec, exec, s[0:1]
	v_cmp_gt_i32_e32 vcc, s38, v0
	s_and_saveexec_b64 s[0:1], vcc
	s_cbranch_execz .LBB9_46
.LBB9_63:
	v_add_u32_e32 v1, s33, v0
	v_add_u32_e32 v0, 0x100, v0
	global_store_byte_d16_hi v1, v3, s[4:5]
	s_or_b64 exec, exec, s[0:1]
	v_cmp_gt_i32_e32 vcc, s38, v0
	s_and_saveexec_b64 s[0:1], vcc
	s_cbranch_execz .LBB9_47
.LBB9_64:
	v_lshrrev_b32_e32 v1, 24, v3
	v_add_u32_e32 v3, s33, v0
	v_add_u32_e32 v0, 0x100, v0
	global_store_byte v3, v1, s[4:5]
	s_or_b64 exec, exec, s[0:1]
	v_cmp_gt_i32_e32 vcc, s38, v0
	s_and_saveexec_b64 s[0:1], vcc
	s_cbranch_execz .LBB9_48
.LBB9_65:
	v_add_u32_e32 v1, s33, v0
	v_add_u32_e32 v0, 0x100, v0
	global_store_byte v1, v2, s[4:5]
	s_or_b64 exec, exec, s[0:1]
	v_cmp_gt_i32_e32 vcc, s38, v0
	s_and_saveexec_b64 s[0:1], vcc
	s_cbranch_execz .LBB9_49
.LBB9_66:
	v_lshrrev_b32_e32 v1, 8, v2
	v_add_u32_e32 v3, s33, v0
	v_add_u32_e32 v0, 0x100, v0
	global_store_byte v3, v1, s[4:5]
	s_or_b64 exec, exec, s[0:1]
	v_cmp_gt_i32_e32 vcc, s38, v0
	s_and_saveexec_b64 s[0:1], vcc
	s_cbranch_execz .LBB9_50
.LBB9_67:
	v_add_u32_e32 v1, s33, v0
	v_add_u32_e32 v0, 0x100, v0
	global_store_byte_d16_hi v1, v2, s[4:5]
	s_or_b64 exec, exec, s[0:1]
	v_cmp_gt_i32_e32 vcc, s38, v0
	s_and_saveexec_b64 s[0:1], vcc
	s_cbranch_execnz .LBB9_51
	s_branch .LBB9_52
	.section	.rodata,"a",@progbits
	.p2align	6, 0x0
	.amdhsa_kernel _ZN2at6native29vectorized_elementwise_kernelILi8EZZZNS0_23bitwise_not_kernel_cudaERNS_18TensorIteratorBaseEENKUlvE_clEvENKUlvE_clEvEUlhE_St5arrayIPcLm2EEEEviT0_T1_
		.amdhsa_group_segment_fixed_size 0
		.amdhsa_private_segment_fixed_size 0
		.amdhsa_kernarg_size 24
		.amdhsa_user_sgpr_count 2
		.amdhsa_user_sgpr_dispatch_ptr 0
		.amdhsa_user_sgpr_queue_ptr 0
		.amdhsa_user_sgpr_kernarg_segment_ptr 1
		.amdhsa_user_sgpr_dispatch_id 0
		.amdhsa_user_sgpr_kernarg_preload_length 0
		.amdhsa_user_sgpr_kernarg_preload_offset 0
		.amdhsa_user_sgpr_private_segment_size 0
		.amdhsa_uses_dynamic_stack 0
		.amdhsa_enable_private_segment 0
		.amdhsa_system_sgpr_workgroup_id_x 1
		.amdhsa_system_sgpr_workgroup_id_y 0
		.amdhsa_system_sgpr_workgroup_id_z 0
		.amdhsa_system_sgpr_workgroup_info 0
		.amdhsa_system_vgpr_workitem_id 0
		.amdhsa_next_free_vgpr 21
		.amdhsa_next_free_sgpr 39
		.amdhsa_accum_offset 24
		.amdhsa_reserve_vcc 1
		.amdhsa_float_round_mode_32 0
		.amdhsa_float_round_mode_16_64 0
		.amdhsa_float_denorm_mode_32 3
		.amdhsa_float_denorm_mode_16_64 3
		.amdhsa_dx10_clamp 1
		.amdhsa_ieee_mode 1
		.amdhsa_fp16_overflow 0
		.amdhsa_tg_split 0
		.amdhsa_exception_fp_ieee_invalid_op 0
		.amdhsa_exception_fp_denorm_src 0
		.amdhsa_exception_fp_ieee_div_zero 0
		.amdhsa_exception_fp_ieee_overflow 0
		.amdhsa_exception_fp_ieee_underflow 0
		.amdhsa_exception_fp_ieee_inexact 0
		.amdhsa_exception_int_div_zero 0
	.end_amdhsa_kernel
	.section	.text._ZN2at6native29vectorized_elementwise_kernelILi8EZZZNS0_23bitwise_not_kernel_cudaERNS_18TensorIteratorBaseEENKUlvE_clEvENKUlvE_clEvEUlhE_St5arrayIPcLm2EEEEviT0_T1_,"axG",@progbits,_ZN2at6native29vectorized_elementwise_kernelILi8EZZZNS0_23bitwise_not_kernel_cudaERNS_18TensorIteratorBaseEENKUlvE_clEvENKUlvE_clEvEUlhE_St5arrayIPcLm2EEEEviT0_T1_,comdat
.Lfunc_end9:
	.size	_ZN2at6native29vectorized_elementwise_kernelILi8EZZZNS0_23bitwise_not_kernel_cudaERNS_18TensorIteratorBaseEENKUlvE_clEvENKUlvE_clEvEUlhE_St5arrayIPcLm2EEEEviT0_T1_, .Lfunc_end9-_ZN2at6native29vectorized_elementwise_kernelILi8EZZZNS0_23bitwise_not_kernel_cudaERNS_18TensorIteratorBaseEENKUlvE_clEvENKUlvE_clEvEUlhE_St5arrayIPcLm2EEEEviT0_T1_
                                        ; -- End function
	.set _ZN2at6native29vectorized_elementwise_kernelILi8EZZZNS0_23bitwise_not_kernel_cudaERNS_18TensorIteratorBaseEENKUlvE_clEvENKUlvE_clEvEUlhE_St5arrayIPcLm2EEEEviT0_T1_.num_vgpr, 21
	.set _ZN2at6native29vectorized_elementwise_kernelILi8EZZZNS0_23bitwise_not_kernel_cudaERNS_18TensorIteratorBaseEENKUlvE_clEvENKUlvE_clEvEUlhE_St5arrayIPcLm2EEEEviT0_T1_.num_agpr, 0
	.set _ZN2at6native29vectorized_elementwise_kernelILi8EZZZNS0_23bitwise_not_kernel_cudaERNS_18TensorIteratorBaseEENKUlvE_clEvENKUlvE_clEvEUlhE_St5arrayIPcLm2EEEEviT0_T1_.numbered_sgpr, 39
	.set _ZN2at6native29vectorized_elementwise_kernelILi8EZZZNS0_23bitwise_not_kernel_cudaERNS_18TensorIteratorBaseEENKUlvE_clEvENKUlvE_clEvEUlhE_St5arrayIPcLm2EEEEviT0_T1_.num_named_barrier, 0
	.set _ZN2at6native29vectorized_elementwise_kernelILi8EZZZNS0_23bitwise_not_kernel_cudaERNS_18TensorIteratorBaseEENKUlvE_clEvENKUlvE_clEvEUlhE_St5arrayIPcLm2EEEEviT0_T1_.private_seg_size, 0
	.set _ZN2at6native29vectorized_elementwise_kernelILi8EZZZNS0_23bitwise_not_kernel_cudaERNS_18TensorIteratorBaseEENKUlvE_clEvENKUlvE_clEvEUlhE_St5arrayIPcLm2EEEEviT0_T1_.uses_vcc, 1
	.set _ZN2at6native29vectorized_elementwise_kernelILi8EZZZNS0_23bitwise_not_kernel_cudaERNS_18TensorIteratorBaseEENKUlvE_clEvENKUlvE_clEvEUlhE_St5arrayIPcLm2EEEEviT0_T1_.uses_flat_scratch, 0
	.set _ZN2at6native29vectorized_elementwise_kernelILi8EZZZNS0_23bitwise_not_kernel_cudaERNS_18TensorIteratorBaseEENKUlvE_clEvENKUlvE_clEvEUlhE_St5arrayIPcLm2EEEEviT0_T1_.has_dyn_sized_stack, 0
	.set _ZN2at6native29vectorized_elementwise_kernelILi8EZZZNS0_23bitwise_not_kernel_cudaERNS_18TensorIteratorBaseEENKUlvE_clEvENKUlvE_clEvEUlhE_St5arrayIPcLm2EEEEviT0_T1_.has_recursion, 0
	.set _ZN2at6native29vectorized_elementwise_kernelILi8EZZZNS0_23bitwise_not_kernel_cudaERNS_18TensorIteratorBaseEENKUlvE_clEvENKUlvE_clEvEUlhE_St5arrayIPcLm2EEEEviT0_T1_.has_indirect_call, 0
	.section	.AMDGPU.csdata,"",@progbits
; Kernel info:
; codeLenInByte = 3152
; TotalNumSgprs: 45
; NumVgprs: 21
; NumAgprs: 0
; TotalNumVgprs: 21
; ScratchSize: 0
; MemoryBound: 0
; FloatMode: 240
; IeeeMode: 1
; LDSByteSize: 0 bytes/workgroup (compile time only)
; SGPRBlocks: 5
; VGPRBlocks: 2
; NumSGPRsForWavesPerEU: 45
; NumVGPRsForWavesPerEU: 21
; AccumOffset: 24
; Occupancy: 8
; WaveLimiterHint : 1
; COMPUTE_PGM_RSRC2:SCRATCH_EN: 0
; COMPUTE_PGM_RSRC2:USER_SGPR: 2
; COMPUTE_PGM_RSRC2:TRAP_HANDLER: 0
; COMPUTE_PGM_RSRC2:TGID_X_EN: 1
; COMPUTE_PGM_RSRC2:TGID_Y_EN: 0
; COMPUTE_PGM_RSRC2:TGID_Z_EN: 0
; COMPUTE_PGM_RSRC2:TIDIG_COMP_CNT: 0
; COMPUTE_PGM_RSRC3_GFX90A:ACCUM_OFFSET: 5
; COMPUTE_PGM_RSRC3_GFX90A:TG_SPLIT: 0
	.section	.text._ZN2at6native29vectorized_elementwise_kernelILi4EZZZNS0_23bitwise_not_kernel_cudaERNS_18TensorIteratorBaseEENKUlvE_clEvENKUlvE_clEvEUlhE_St5arrayIPcLm2EEEEviT0_T1_,"axG",@progbits,_ZN2at6native29vectorized_elementwise_kernelILi4EZZZNS0_23bitwise_not_kernel_cudaERNS_18TensorIteratorBaseEENKUlvE_clEvENKUlvE_clEvEUlhE_St5arrayIPcLm2EEEEviT0_T1_,comdat
	.globl	_ZN2at6native29vectorized_elementwise_kernelILi4EZZZNS0_23bitwise_not_kernel_cudaERNS_18TensorIteratorBaseEENKUlvE_clEvENKUlvE_clEvEUlhE_St5arrayIPcLm2EEEEviT0_T1_ ; -- Begin function _ZN2at6native29vectorized_elementwise_kernelILi4EZZZNS0_23bitwise_not_kernel_cudaERNS_18TensorIteratorBaseEENKUlvE_clEvENKUlvE_clEvEUlhE_St5arrayIPcLm2EEEEviT0_T1_
	.p2align	8
	.type	_ZN2at6native29vectorized_elementwise_kernelILi4EZZZNS0_23bitwise_not_kernel_cudaERNS_18TensorIteratorBaseEENKUlvE_clEvENKUlvE_clEvEUlhE_St5arrayIPcLm2EEEEviT0_T1_,@function
_ZN2at6native29vectorized_elementwise_kernelILi4EZZZNS0_23bitwise_not_kernel_cudaERNS_18TensorIteratorBaseEENKUlvE_clEvENKUlvE_clEvEUlhE_St5arrayIPcLm2EEEEviT0_T1_: ; @_ZN2at6native29vectorized_elementwise_kernelILi4EZZZNS0_23bitwise_not_kernel_cudaERNS_18TensorIteratorBaseEENKUlvE_clEvENKUlvE_clEvEUlhE_St5arrayIPcLm2EEEEviT0_T1_
; %bb.0:
	s_load_dword s3, s[0:1], 0x0
	s_load_dwordx4 s[4:7], s[0:1], 0x8
	s_lshl_b32 s33, s2, 12
	s_mov_b64 s[0:1], -1
	s_waitcnt lgkmcnt(0)
	s_sub_i32 s38, s3, s33
	s_cmpk_gt_i32 s38, 0xfff
	s_cbranch_scc0 .LBB10_2
; %bb.1:
	s_ashr_i32 s2, s33, 31
	s_add_u32 s0, s6, s33
	s_addc_u32 s1, s7, s2
	v_lshlrev_b32_e32 v1, 2, v0
	global_load_dword v2, v1, s[0:1]
	global_load_dword v3, v1, s[0:1] offset:1024
	global_load_dword v4, v1, s[0:1] offset:2048
	;; [unrolled: 1-line block ×3, first 2 shown]
	v_mov_b32_e32 v6, -1
	s_movk_i32 s8, 0xff
	s_mov_b32 s3, 0xc0c0004
	s_add_u32 s0, s4, s33
	s_addc_u32 s1, s5, s2
	s_waitcnt vmcnt(3)
	v_xor_b32_e32 v7, -1, v2
	v_lshrrev_b32_e32 v8, 8, v2
	v_xor_b32_sdwa v9, v2, v6 dst_sel:DWORD dst_unused:UNUSED_PAD src0_sel:WORD_1 src1_sel:DWORD
	v_xor_b32_sdwa v2, v2, v6 dst_sel:BYTE_1 dst_unused:UNUSED_PAD src0_sel:BYTE_3 src1_sel:DWORD
	s_waitcnt vmcnt(2)
	v_lshrrev_b32_e32 v10, 8, v3
	v_lshrrev_b32_e32 v11, 16, v3
	v_xor_b32_sdwa v12, v3, v6 dst_sel:BYTE_1 dst_unused:UNUSED_PAD src0_sel:BYTE_3 src1_sel:DWORD
	s_waitcnt vmcnt(1)
	v_lshrrev_b32_e32 v13, 8, v4
	v_lshrrev_b32_e32 v14, 16, v4
	;; [unrolled: 4-line block ×3, first 2 shown]
	v_xor_b32_sdwa v18, v5, v6 dst_sel:BYTE_1 dst_unused:UNUSED_PAD src0_sel:BYTE_3 src1_sel:DWORD
	v_xor_b32_e32 v8, -1, v8
	v_bitop3_b16 v2, v9, v2, s8 bitop3:0xec
	v_xor_b32_sdwa v9, v10, v6 dst_sel:BYTE_1 dst_unused:UNUSED_PAD src0_sel:DWORD src1_sel:DWORD
	v_bitop3_b16 v10, v11, v12, s8 bitop3:0xce
	v_xor_b32_sdwa v11, v13, v6 dst_sel:BYTE_1 dst_unused:UNUSED_PAD src0_sel:DWORD src1_sel:DWORD
	v_bitop3_b16 v12, v14, v15, s8 bitop3:0xce
	v_xor_b32_sdwa v6, v16, v6 dst_sel:BYTE_1 dst_unused:UNUSED_PAD src0_sel:DWORD src1_sel:DWORD
	v_bitop3_b16 v13, v17, v18, s8 bitop3:0xce
	v_perm_b32 v7, v7, v8, s3
	v_lshlrev_b32_e32 v2, 16, v2
	v_bitop3_b16 v3, v3, v9, s8 bitop3:0xce
	v_lshlrev_b32_e32 v8, 16, v10
	v_bitop3_b16 v4, v4, v11, s8 bitop3:0xce
	v_lshlrev_b32_e32 v9, 16, v12
	v_bitop3_b16 v5, v5, v6, s8 bitop3:0xce
	v_lshlrev_b32_e32 v6, 16, v13
	v_or_b32_e32 v2, v7, v2
	v_or_b32_sdwa v3, v3, v8 dst_sel:DWORD dst_unused:UNUSED_PAD src0_sel:WORD_0 src1_sel:DWORD
	v_or_b32_sdwa v4, v4, v9 dst_sel:DWORD dst_unused:UNUSED_PAD src0_sel:WORD_0 src1_sel:DWORD
	;; [unrolled: 1-line block ×3, first 2 shown]
	global_store_dword v1, v2, s[0:1]
	global_store_dword v1, v3, s[0:1] offset:1024
	global_store_dword v1, v4, s[0:1] offset:2048
	;; [unrolled: 1-line block ×3, first 2 shown]
	s_mov_b64 s[0:1], 0
.LBB10_2:
	s_andn2_b64 vcc, exec, s[0:1]
	s_cbranch_vccnz .LBB10_52
; %bb.3:
	v_cmp_gt_i32_e32 vcc, s38, v0
	v_or_b32_e32 v1, 0x100, v0
	v_mov_b32_e32 v20, 0
	v_mov_b32_e32 v7, 0xff
	v_or_b32_e32 v6, s33, v0
	v_mov_b32_e32 v19, 0
	v_mov_b32_e32 v18, 0
	;; [unrolled: 1-line block ×14, first 2 shown]
	s_and_saveexec_b64 s[2:3], vcc
	s_cbranch_execz .LBB10_35
; %bb.4:
	global_load_ubyte v8, v6, s[6:7]
	v_cmp_gt_u32_e64 s[0:1], s38, v1
	v_mov_b32_e32 v7, 0xff
	v_mov_b32_e32 v9, 0
	;; [unrolled: 1-line block ×15, first 2 shown]
	s_and_saveexec_b64 s[8:9], s[0:1]
	s_cbranch_execz .LBB10_34
; %bb.5:
	v_add_u32_e32 v2, s33, v0
	global_load_ubyte v9, v2, s[6:7] offset:256
	v_or_b32_e32 v4, 0x200, v0
	v_mov_b32_e32 v3, 0
	v_cmp_gt_u32_e64 s[0:1], s38, v4
	v_mov_b32_e32 v7, 0xff
	v_mov_b32_e32 v4, 0
	;; [unrolled: 1-line block ×13, first 2 shown]
	s_and_saveexec_b64 s[10:11], s[0:1]
	s_cbranch_execz .LBB10_33
; %bb.6:
	v_lshl_add_u64 v[4:5], s[6:7], 0, v[2:3]
	global_load_ubyte v2, v[4:5], off offset:512
	v_or_b32_e32 v7, 0x300, v0
	v_cmp_gt_u32_e64 s[0:1], s38, v7
	v_mov_b32_e32 v7, 0xff
	v_mov_b32_e32 v10, 0
	;; [unrolled: 1-line block ×12, first 2 shown]
	s_and_saveexec_b64 s[6:7], s[0:1]
	s_cbranch_execz .LBB10_32
; %bb.7:
	global_load_ubyte v3, v[4:5], off offset:768
	v_or_b32_e32 v7, 0x400, v0
	v_cmp_gt_u32_e64 s[0:1], s38, v7
	v_mov_b32_e32 v7, 0xff
	v_mov_b32_e32 v10, 0
	;; [unrolled: 1-line block ×12, first 2 shown]
	s_and_saveexec_b64 s[12:13], s[0:1]
	s_cbranch_execz .LBB10_31
; %bb.8:
	global_load_ubyte v10, v[4:5], off offset:1024
	v_or_b32_e32 v7, 0x500, v0
	v_cmp_gt_u32_e64 s[0:1], s38, v7
	v_mov_b32_e32 v7, 0xff
	v_mov_b32_e32 v11, 0
	;; [unrolled: 1-line block ×11, first 2 shown]
	s_and_saveexec_b64 s[14:15], s[0:1]
	s_cbranch_execz .LBB10_30
; %bb.9:
	global_load_ubyte v11, v[4:5], off offset:1280
	v_or_b32_e32 v7, 0x600, v0
	v_cmp_gt_u32_e64 s[0:1], s38, v7
	v_mov_b32_e32 v7, 0xff
	v_mov_b32_e32 v12, 0
	;; [unrolled: 1-line block ×10, first 2 shown]
	s_and_saveexec_b64 s[16:17], s[0:1]
	s_cbranch_execz .LBB10_29
; %bb.10:
	global_load_ubyte v12, v[4:5], off offset:1536
	v_or_b32_e32 v7, 0x700, v0
	v_cmp_gt_u32_e64 s[0:1], s38, v7
	v_mov_b32_e32 v7, 0xff
	v_mov_b32_e32 v13, 0
	v_mov_b32_e32 v14, 0
	v_mov_b32_e32 v15, 0
	v_mov_b32_e32 v16, 0
	v_mov_b32_e32 v17, 0
	v_mov_b32_e32 v18, 0
	v_mov_b32_e32 v19, 0
	v_mov_b32_e32 v20, 0
	s_and_saveexec_b64 s[18:19], s[0:1]
	s_cbranch_execz .LBB10_28
; %bb.11:
	global_load_ubyte v13, v[4:5], off offset:1792
	v_or_b32_e32 v7, 0x800, v0
	v_cmp_gt_u32_e64 s[0:1], s38, v7
	v_mov_b32_e32 v7, 0xff
	v_mov_b32_e32 v14, 0
	;; [unrolled: 1-line block ×8, first 2 shown]
	s_and_saveexec_b64 s[20:21], s[0:1]
	s_cbranch_execz .LBB10_27
; %bb.12:
	global_load_ubyte v14, v[4:5], off offset:2048
	v_or_b32_e32 v7, 0x900, v0
	v_cmp_gt_u32_e64 s[0:1], s38, v7
	v_mov_b32_e32 v7, 0xff
	v_mov_b32_e32 v15, 0
	;; [unrolled: 1-line block ×7, first 2 shown]
	s_and_saveexec_b64 s[22:23], s[0:1]
	s_cbranch_execz .LBB10_26
; %bb.13:
	global_load_ubyte v15, v[4:5], off offset:2304
	v_or_b32_e32 v7, 0xa00, v0
	v_cmp_gt_u32_e64 s[0:1], s38, v7
	v_mov_b32_e32 v7, 0xff
	v_mov_b32_e32 v16, 0
	v_mov_b32_e32 v17, 0
	v_mov_b32_e32 v18, 0
	v_mov_b32_e32 v19, 0
	v_mov_b32_e32 v20, 0
	s_and_saveexec_b64 s[24:25], s[0:1]
	s_cbranch_execz .LBB10_25
; %bb.14:
	global_load_ubyte v16, v[4:5], off offset:2560
	v_or_b32_e32 v7, 0xb00, v0
	v_cmp_gt_u32_e64 s[0:1], s38, v7
	v_mov_b32_e32 v7, 0xff
	v_mov_b32_e32 v17, 0
	;; [unrolled: 1-line block ×5, first 2 shown]
	s_and_saveexec_b64 s[26:27], s[0:1]
	s_cbranch_execz .LBB10_24
; %bb.15:
	global_load_ubyte v17, v[4:5], off offset:2816
	v_or_b32_e32 v7, 0xc00, v0
	v_cmp_gt_u32_e64 s[0:1], s38, v7
	v_mov_b32_e32 v7, 0xff
	v_mov_b32_e32 v18, 0
	;; [unrolled: 1-line block ×4, first 2 shown]
	s_and_saveexec_b64 s[28:29], s[0:1]
	s_cbranch_execz .LBB10_23
; %bb.16:
	global_load_ubyte v18, v[4:5], off offset:3072
	v_or_b32_e32 v7, 0xd00, v0
	v_cmp_gt_u32_e64 s[0:1], s38, v7
	v_mov_b32_e32 v7, 0xff
	v_mov_b32_e32 v19, 0
	;; [unrolled: 1-line block ×3, first 2 shown]
	s_and_saveexec_b64 s[30:31], s[0:1]
	s_cbranch_execz .LBB10_22
; %bb.17:
	global_load_ubyte v19, v[4:5], off offset:3328
	v_or_b32_e32 v7, 0xe00, v0
	v_cmp_gt_u32_e64 s[0:1], s38, v7
	v_mov_b32_e32 v7, 0xff
	v_mov_b32_e32 v20, 0
	s_and_saveexec_b64 s[34:35], s[0:1]
	s_cbranch_execz .LBB10_21
; %bb.18:
	global_load_ubyte v20, v[4:5], off offset:3584
	v_or_b32_e32 v7, 0xf00, v0
	v_cmp_gt_u32_e64 s[0:1], s38, v7
	v_mov_b32_e32 v7, 0xff
	s_and_saveexec_b64 s[36:37], s[0:1]
	s_cbranch_execz .LBB10_20
; %bb.19:
	global_load_ubyte v4, v[4:5], off offset:3840
	s_waitcnt vmcnt(0)
	v_xor_b32_e32 v7, -1, v4
.LBB10_20:
	s_or_b64 exec, exec, s[36:37]
.LBB10_21:
	s_or_b64 exec, exec, s[34:35]
.LBB10_22:
	s_or_b64 exec, exec, s[30:31]
.LBB10_23:
	s_or_b64 exec, exec, s[28:29]
.LBB10_24:
	s_or_b64 exec, exec, s[26:27]
.LBB10_25:
	s_or_b64 exec, exec, s[24:25]
.LBB10_26:
	s_or_b64 exec, exec, s[22:23]
.LBB10_27:
	s_or_b64 exec, exec, s[20:21]
.LBB10_28:
	s_or_b64 exec, exec, s[18:19]
.LBB10_29:
	s_or_b64 exec, exec, s[16:17]
.LBB10_30:
	s_or_b64 exec, exec, s[14:15]
.LBB10_31:
	s_or_b64 exec, exec, s[12:13]
.LBB10_32:
	s_or_b64 exec, exec, s[6:7]
	s_waitcnt vmcnt(0)
	v_mov_b32_e32 v4, v3
	v_mov_b32_e32 v3, v2
.LBB10_33:
	s_or_b64 exec, exec, s[10:11]
.LBB10_34:
	s_or_b64 exec, exec, s[8:9]
.LBB10_35:
	s_or_b64 exec, exec, s[2:3]
	s_movk_i32 s2, 0xff
	s_waitcnt vmcnt(0)
	v_bitop3_b16 v2, v8, s2, v8 bitop3:0xc
	v_and_b32_e32 v2, 0xffff, v2
	v_mov_b32_e32 v8, -1
	v_cndmask_b32_e32 v2, 0, v2, vcc
	v_xor_b32_sdwa v5, v9, v8 dst_sel:BYTE_1 dst_unused:UNUSED_PAD src0_sel:DWORD src1_sel:DWORD
	v_cmp_gt_i32_e64 s[0:1], s38, v1
	v_or_b32_e32 v5, v2, v5
	v_and_b32_e32 v5, 0xffff, v5
	v_cndmask_b32_e64 v2, v2, v5, s[0:1]
	v_xor_b32_e32 v3, -1, v3
	s_mov_b32 s6, 0xc0c0304
	v_or_b32_e32 v5, 0x200, v0
	v_perm_b32 v3, v3, v2, s6
	v_lshl_or_b32 v3, v3, 16, v2
	v_cmp_gt_i32_e64 s[0:1], s38, v5
	v_xor_b32_sdwa v4, v4, v8 dst_sel:BYTE_1 dst_unused:UNUSED_PAD src0_sel:DWORD src1_sel:DWORD
	s_mov_b32 s3, 0xffff
	v_cndmask_b32_e64 v2, v2, v3, s[0:1]
	v_lshrrev_b32_e32 v3, 16, v2
	v_bitop3_b16 v3, v3, v4, s2 bitop3:0xec
	v_or_b32_e32 v5, 0x300, v0
	v_lshlrev_b32_e32 v3, 16, v3
	v_and_or_b32 v3, v2, s3, v3
	v_cmp_gt_i32_e64 s[0:1], s38, v5
	s_mov_b32 s7, 0x3020104
	s_mov_b32 s8, 0xffff0000
	v_cndmask_b32_e64 v5, v2, v3, s[0:1]
	v_xor_b32_e32 v2, -1, v10
	v_or_b32_e32 v3, 0x400, v0
	v_perm_b32 v2, v2, 0, s7
	v_cmp_gt_i32_e64 s[0:1], s38, v3
	v_xor_b32_sdwa v3, v11, v8 dst_sel:BYTE_1 dst_unused:UNUSED_PAD src0_sel:DWORD src1_sel:DWORD
	v_or_b32_e32 v4, 0x500, v0
	v_cndmask_b32_e64 v2, 0, v2, s[0:1]
	v_bitop3_b16 v3, v2, v3, s2 bitop3:0xec
	v_and_b32_e32 v3, 0xffff, v3
	v_and_or_b32 v3, v2, s8, v3
	v_cmp_gt_i32_e64 s[0:1], s38, v4
	v_xor_b32_e32 v4, -1, v12
	s_mov_b32 s9, 0x7000504
	v_cndmask_b32_e64 v2, v2, v3, s[0:1]
	v_or_b32_e32 v3, 0x600, v0
	v_perm_b32 v4, v2, v4, s9
	v_cmp_gt_i32_e64 s[0:1], s38, v3
	v_xor_b32_sdwa v9, v13, v8 dst_sel:BYTE_1 dst_unused:UNUSED_PAD src0_sel:DWORD src1_sel:DWORD
	v_xor_b32_sdwa v10, v17, v8 dst_sel:BYTE_1 dst_unused:UNUSED_PAD src0_sel:DWORD src1_sel:DWORD
	v_cndmask_b32_e64 v2, v2, v4, s[0:1]
	v_lshrrev_b32_e32 v3, 16, v2
	v_bitop3_b16 v3, v3, v9, s2 bitop3:0xec
	v_or_b32_e32 v4, 0x700, v0
	v_lshlrev_b32_e32 v3, 16, v3
	v_and_or_b32 v3, v2, s3, v3
	v_cmp_gt_i32_e64 s[0:1], s38, v4
	v_xor_b32_sdwa v9, v15, v8 dst_sel:BYTE_1 dst_unused:UNUSED_PAD src0_sel:DWORD src1_sel:DWORD
	v_xor_b32_sdwa v8, v19, v8 dst_sel:BYTE_1 dst_unused:UNUSED_PAD src0_sel:DWORD src1_sel:DWORD
	v_cndmask_b32_e64 v4, v2, v3, s[0:1]
	v_or_b32_e32 v2, 0x800, v0
	v_bitop3_b16 v3, v14, s2, v14 bitop3:0xc
	v_and_b32_e32 v3, 0xffff, v3
	v_cmp_gt_i32_e64 s[0:1], s38, v2
	s_nop 1
	v_cndmask_b32_e64 v2, 0, v3, s[0:1]
	v_or_b32_e32 v3, 0x900, v0
	v_or_b32_e32 v9, v2, v9
	v_and_b32_e32 v9, 0xffff, v9
	v_cmp_gt_i32_e64 s[0:1], s38, v3
	v_or_b32_e32 v3, 0xa00, v0
	s_nop 0
	v_cndmask_b32_e64 v2, v2, v9, s[0:1]
	v_xor_b32_e32 v9, -1, v16
	v_perm_b32 v9, v9, v2, s6
	v_lshl_or_b32 v9, v9, 16, v2
	v_cmp_gt_i32_e64 s[0:1], s38, v3
	s_nop 1
	v_cndmask_b32_e64 v2, v2, v9, s[0:1]
	v_lshrrev_b32_e32 v3, 16, v2
	v_bitop3_b16 v3, v3, v10, s2 bitop3:0xec
	v_or_b32_e32 v9, 0xb00, v0
	v_lshlrev_b32_e32 v3, 16, v3
	v_and_or_b32 v3, v2, s3, v3
	v_cmp_gt_i32_e64 s[0:1], s38, v9
	v_or_b32_e32 v9, 0xc00, v0
	s_nop 0
	v_cndmask_b32_e64 v3, v2, v3, s[0:1]
	v_xor_b32_e32 v2, -1, v18
	v_perm_b32 v2, v2, 0, s7
	v_cmp_gt_i32_e64 s[0:1], s38, v9
	v_or_b32_e32 v9, 0xd00, v0
	s_nop 0
	v_cndmask_b32_e64 v2, 0, v2, s[0:1]
	v_bitop3_b16 v8, v2, v8, s2 bitop3:0xec
	v_and_b32_e32 v8, 0xffff, v8
	v_and_or_b32 v8, v2, s8, v8
	v_cmp_gt_i32_e64 s[0:1], s38, v9
	v_xor_b32_e32 v9, -1, v20
	s_nop 0
	v_cndmask_b32_e64 v2, v2, v8, s[0:1]
	v_or_b32_e32 v8, 0xe00, v0
	v_perm_b32 v9, v2, v9, s9
	v_cmp_gt_i32_e64 s[0:1], s38, v8
	v_or_b32_e32 v8, 0xf00, v0
	s_nop 0
	v_cndmask_b32_e64 v2, v2, v9, s[0:1]
	s_mov_b32 s0, 0x60504
	v_perm_b32 v7, v2, v7, s0
	v_cmp_gt_i32_e64 s[0:1], s38, v8
	s_nop 1
	v_cndmask_b32_e64 v2, v2, v7, s[0:1]
	s_and_saveexec_b64 s[0:1], vcc
	s_cbranch_execnz .LBB10_53
; %bb.36:
	s_or_b64 exec, exec, s[0:1]
	v_cmp_gt_i32_e32 vcc, s38, v0
	s_and_saveexec_b64 s[0:1], vcc
	s_cbranch_execnz .LBB10_54
.LBB10_37:
	s_or_b64 exec, exec, s[0:1]
	v_cmp_gt_i32_e32 vcc, s38, v0
	s_and_saveexec_b64 s[0:1], vcc
	s_cbranch_execnz .LBB10_55
.LBB10_38:
	s_or_b64 exec, exec, s[0:1]
	v_cmp_gt_i32_e32 vcc, s38, v0
	s_and_saveexec_b64 s[0:1], vcc
	s_cbranch_execnz .LBB10_56
.LBB10_39:
	s_or_b64 exec, exec, s[0:1]
	v_cmp_gt_i32_e32 vcc, s38, v0
	s_and_saveexec_b64 s[0:1], vcc
	s_cbranch_execnz .LBB10_57
.LBB10_40:
	s_or_b64 exec, exec, s[0:1]
	v_cmp_gt_i32_e32 vcc, s38, v0
	s_and_saveexec_b64 s[0:1], vcc
	s_cbranch_execnz .LBB10_58
.LBB10_41:
	s_or_b64 exec, exec, s[0:1]
	v_cmp_gt_i32_e32 vcc, s38, v0
	s_and_saveexec_b64 s[0:1], vcc
	s_cbranch_execnz .LBB10_59
.LBB10_42:
	s_or_b64 exec, exec, s[0:1]
	v_cmp_gt_i32_e32 vcc, s38, v0
	s_and_saveexec_b64 s[0:1], vcc
	s_cbranch_execnz .LBB10_60
.LBB10_43:
	s_or_b64 exec, exec, s[0:1]
	v_cmp_gt_i32_e32 vcc, s38, v0
	s_and_saveexec_b64 s[0:1], vcc
	s_cbranch_execnz .LBB10_61
.LBB10_44:
	s_or_b64 exec, exec, s[0:1]
	v_cmp_gt_i32_e32 vcc, s38, v0
	s_and_saveexec_b64 s[0:1], vcc
	s_cbranch_execnz .LBB10_62
.LBB10_45:
	s_or_b64 exec, exec, s[0:1]
	v_cmp_gt_i32_e32 vcc, s38, v0
	s_and_saveexec_b64 s[0:1], vcc
	s_cbranch_execnz .LBB10_63
.LBB10_46:
	s_or_b64 exec, exec, s[0:1]
	v_cmp_gt_i32_e32 vcc, s38, v0
	s_and_saveexec_b64 s[0:1], vcc
	s_cbranch_execnz .LBB10_64
.LBB10_47:
	s_or_b64 exec, exec, s[0:1]
	v_cmp_gt_i32_e32 vcc, s38, v0
	s_and_saveexec_b64 s[0:1], vcc
	s_cbranch_execnz .LBB10_65
.LBB10_48:
	s_or_b64 exec, exec, s[0:1]
	v_cmp_gt_i32_e32 vcc, s38, v0
	s_and_saveexec_b64 s[0:1], vcc
	s_cbranch_execnz .LBB10_66
.LBB10_49:
	s_or_b64 exec, exec, s[0:1]
	v_cmp_gt_i32_e32 vcc, s38, v0
	s_and_saveexec_b64 s[0:1], vcc
	s_cbranch_execnz .LBB10_67
.LBB10_50:
	s_or_b64 exec, exec, s[0:1]
	v_cmp_gt_i32_e32 vcc, s38, v0
	s_and_saveexec_b64 s[0:1], vcc
	s_cbranch_execz .LBB10_52
.LBB10_51:
	v_lshrrev_b32_e32 v1, 24, v2
	v_add_u32_e32 v0, s33, v0
	global_store_byte v0, v1, s[4:5]
.LBB10_52:
	s_endpgm
.LBB10_53:
	v_mov_b32_e32 v0, v1
	global_store_byte v6, v5, s[4:5]
	s_or_b64 exec, exec, s[0:1]
	v_cmp_gt_i32_e32 vcc, s38, v0
	s_and_saveexec_b64 s[0:1], vcc
	s_cbranch_execz .LBB10_37
.LBB10_54:
	v_lshrrev_b32_e32 v1, 8, v5
	v_add_u32_e32 v6, s33, v0
	v_add_u32_e32 v0, 0x100, v0
	global_store_byte v6, v1, s[4:5]
	s_or_b64 exec, exec, s[0:1]
	v_cmp_gt_i32_e32 vcc, s38, v0
	s_and_saveexec_b64 s[0:1], vcc
	s_cbranch_execz .LBB10_38
.LBB10_55:
	v_add_u32_e32 v1, s33, v0
	v_add_u32_e32 v0, 0x100, v0
	global_store_byte_d16_hi v1, v5, s[4:5]
	s_or_b64 exec, exec, s[0:1]
	v_cmp_gt_i32_e32 vcc, s38, v0
	s_and_saveexec_b64 s[0:1], vcc
	s_cbranch_execz .LBB10_39
.LBB10_56:
	v_lshrrev_b32_e32 v1, 24, v5
	v_add_u32_e32 v5, s33, v0
	v_add_u32_e32 v0, 0x100, v0
	global_store_byte v5, v1, s[4:5]
	s_or_b64 exec, exec, s[0:1]
	v_cmp_gt_i32_e32 vcc, s38, v0
	s_and_saveexec_b64 s[0:1], vcc
	s_cbranch_execz .LBB10_40
.LBB10_57:
	v_add_u32_e32 v1, s33, v0
	v_add_u32_e32 v0, 0x100, v0
	global_store_byte v1, v4, s[4:5]
	s_or_b64 exec, exec, s[0:1]
	v_cmp_gt_i32_e32 vcc, s38, v0
	s_and_saveexec_b64 s[0:1], vcc
	s_cbranch_execz .LBB10_41
.LBB10_58:
	v_lshrrev_b32_e32 v1, 8, v4
	v_add_u32_e32 v5, s33, v0
	v_add_u32_e32 v0, 0x100, v0
	global_store_byte v5, v1, s[4:5]
	s_or_b64 exec, exec, s[0:1]
	v_cmp_gt_i32_e32 vcc, s38, v0
	s_and_saveexec_b64 s[0:1], vcc
	s_cbranch_execz .LBB10_42
.LBB10_59:
	v_add_u32_e32 v1, s33, v0
	v_add_u32_e32 v0, 0x100, v0
	global_store_byte_d16_hi v1, v4, s[4:5]
	s_or_b64 exec, exec, s[0:1]
	v_cmp_gt_i32_e32 vcc, s38, v0
	s_and_saveexec_b64 s[0:1], vcc
	s_cbranch_execz .LBB10_43
.LBB10_60:
	v_lshrrev_b32_e32 v1, 24, v4
	v_add_u32_e32 v4, s33, v0
	v_add_u32_e32 v0, 0x100, v0
	global_store_byte v4, v1, s[4:5]
	s_or_b64 exec, exec, s[0:1]
	v_cmp_gt_i32_e32 vcc, s38, v0
	s_and_saveexec_b64 s[0:1], vcc
	s_cbranch_execz .LBB10_44
.LBB10_61:
	v_add_u32_e32 v1, s33, v0
	v_add_u32_e32 v0, 0x100, v0
	global_store_byte v1, v3, s[4:5]
	s_or_b64 exec, exec, s[0:1]
	v_cmp_gt_i32_e32 vcc, s38, v0
	s_and_saveexec_b64 s[0:1], vcc
	s_cbranch_execz .LBB10_45
.LBB10_62:
	v_lshrrev_b32_e32 v1, 8, v3
	v_add_u32_e32 v4, s33, v0
	v_add_u32_e32 v0, 0x100, v0
	global_store_byte v4, v1, s[4:5]
	s_or_b64 exec, exec, s[0:1]
	v_cmp_gt_i32_e32 vcc, s38, v0
	s_and_saveexec_b64 s[0:1], vcc
	s_cbranch_execz .LBB10_46
.LBB10_63:
	v_add_u32_e32 v1, s33, v0
	v_add_u32_e32 v0, 0x100, v0
	global_store_byte_d16_hi v1, v3, s[4:5]
	s_or_b64 exec, exec, s[0:1]
	v_cmp_gt_i32_e32 vcc, s38, v0
	s_and_saveexec_b64 s[0:1], vcc
	s_cbranch_execz .LBB10_47
.LBB10_64:
	v_lshrrev_b32_e32 v1, 24, v3
	v_add_u32_e32 v3, s33, v0
	v_add_u32_e32 v0, 0x100, v0
	global_store_byte v3, v1, s[4:5]
	s_or_b64 exec, exec, s[0:1]
	v_cmp_gt_i32_e32 vcc, s38, v0
	s_and_saveexec_b64 s[0:1], vcc
	s_cbranch_execz .LBB10_48
.LBB10_65:
	v_add_u32_e32 v1, s33, v0
	v_add_u32_e32 v0, 0x100, v0
	global_store_byte v1, v2, s[4:5]
	s_or_b64 exec, exec, s[0:1]
	v_cmp_gt_i32_e32 vcc, s38, v0
	s_and_saveexec_b64 s[0:1], vcc
	s_cbranch_execz .LBB10_49
.LBB10_66:
	v_lshrrev_b32_e32 v1, 8, v2
	v_add_u32_e32 v3, s33, v0
	v_add_u32_e32 v0, 0x100, v0
	global_store_byte v3, v1, s[4:5]
	s_or_b64 exec, exec, s[0:1]
	v_cmp_gt_i32_e32 vcc, s38, v0
	s_and_saveexec_b64 s[0:1], vcc
	s_cbranch_execz .LBB10_50
.LBB10_67:
	v_add_u32_e32 v1, s33, v0
	v_add_u32_e32 v0, 0x100, v0
	global_store_byte_d16_hi v1, v2, s[4:5]
	s_or_b64 exec, exec, s[0:1]
	v_cmp_gt_i32_e32 vcc, s38, v0
	s_and_saveexec_b64 s[0:1], vcc
	s_cbranch_execnz .LBB10_51
	s_branch .LBB10_52
	.section	.rodata,"a",@progbits
	.p2align	6, 0x0
	.amdhsa_kernel _ZN2at6native29vectorized_elementwise_kernelILi4EZZZNS0_23bitwise_not_kernel_cudaERNS_18TensorIteratorBaseEENKUlvE_clEvENKUlvE_clEvEUlhE_St5arrayIPcLm2EEEEviT0_T1_
		.amdhsa_group_segment_fixed_size 0
		.amdhsa_private_segment_fixed_size 0
		.amdhsa_kernarg_size 24
		.amdhsa_user_sgpr_count 2
		.amdhsa_user_sgpr_dispatch_ptr 0
		.amdhsa_user_sgpr_queue_ptr 0
		.amdhsa_user_sgpr_kernarg_segment_ptr 1
		.amdhsa_user_sgpr_dispatch_id 0
		.amdhsa_user_sgpr_kernarg_preload_length 0
		.amdhsa_user_sgpr_kernarg_preload_offset 0
		.amdhsa_user_sgpr_private_segment_size 0
		.amdhsa_uses_dynamic_stack 0
		.amdhsa_enable_private_segment 0
		.amdhsa_system_sgpr_workgroup_id_x 1
		.amdhsa_system_sgpr_workgroup_id_y 0
		.amdhsa_system_sgpr_workgroup_id_z 0
		.amdhsa_system_sgpr_workgroup_info 0
		.amdhsa_system_vgpr_workitem_id 0
		.amdhsa_next_free_vgpr 21
		.amdhsa_next_free_sgpr 39
		.amdhsa_accum_offset 24
		.amdhsa_reserve_vcc 1
		.amdhsa_float_round_mode_32 0
		.amdhsa_float_round_mode_16_64 0
		.amdhsa_float_denorm_mode_32 3
		.amdhsa_float_denorm_mode_16_64 3
		.amdhsa_dx10_clamp 1
		.amdhsa_ieee_mode 1
		.amdhsa_fp16_overflow 0
		.amdhsa_tg_split 0
		.amdhsa_exception_fp_ieee_invalid_op 0
		.amdhsa_exception_fp_denorm_src 0
		.amdhsa_exception_fp_ieee_div_zero 0
		.amdhsa_exception_fp_ieee_overflow 0
		.amdhsa_exception_fp_ieee_underflow 0
		.amdhsa_exception_fp_ieee_inexact 0
		.amdhsa_exception_int_div_zero 0
	.end_amdhsa_kernel
	.section	.text._ZN2at6native29vectorized_elementwise_kernelILi4EZZZNS0_23bitwise_not_kernel_cudaERNS_18TensorIteratorBaseEENKUlvE_clEvENKUlvE_clEvEUlhE_St5arrayIPcLm2EEEEviT0_T1_,"axG",@progbits,_ZN2at6native29vectorized_elementwise_kernelILi4EZZZNS0_23bitwise_not_kernel_cudaERNS_18TensorIteratorBaseEENKUlvE_clEvENKUlvE_clEvEUlhE_St5arrayIPcLm2EEEEviT0_T1_,comdat
.Lfunc_end10:
	.size	_ZN2at6native29vectorized_elementwise_kernelILi4EZZZNS0_23bitwise_not_kernel_cudaERNS_18TensorIteratorBaseEENKUlvE_clEvENKUlvE_clEvEUlhE_St5arrayIPcLm2EEEEviT0_T1_, .Lfunc_end10-_ZN2at6native29vectorized_elementwise_kernelILi4EZZZNS0_23bitwise_not_kernel_cudaERNS_18TensorIteratorBaseEENKUlvE_clEvENKUlvE_clEvEUlhE_St5arrayIPcLm2EEEEviT0_T1_
                                        ; -- End function
	.set _ZN2at6native29vectorized_elementwise_kernelILi4EZZZNS0_23bitwise_not_kernel_cudaERNS_18TensorIteratorBaseEENKUlvE_clEvENKUlvE_clEvEUlhE_St5arrayIPcLm2EEEEviT0_T1_.num_vgpr, 21
	.set _ZN2at6native29vectorized_elementwise_kernelILi4EZZZNS0_23bitwise_not_kernel_cudaERNS_18TensorIteratorBaseEENKUlvE_clEvENKUlvE_clEvEUlhE_St5arrayIPcLm2EEEEviT0_T1_.num_agpr, 0
	.set _ZN2at6native29vectorized_elementwise_kernelILi4EZZZNS0_23bitwise_not_kernel_cudaERNS_18TensorIteratorBaseEENKUlvE_clEvENKUlvE_clEvEUlhE_St5arrayIPcLm2EEEEviT0_T1_.numbered_sgpr, 39
	.set _ZN2at6native29vectorized_elementwise_kernelILi4EZZZNS0_23bitwise_not_kernel_cudaERNS_18TensorIteratorBaseEENKUlvE_clEvENKUlvE_clEvEUlhE_St5arrayIPcLm2EEEEviT0_T1_.num_named_barrier, 0
	.set _ZN2at6native29vectorized_elementwise_kernelILi4EZZZNS0_23bitwise_not_kernel_cudaERNS_18TensorIteratorBaseEENKUlvE_clEvENKUlvE_clEvEUlhE_St5arrayIPcLm2EEEEviT0_T1_.private_seg_size, 0
	.set _ZN2at6native29vectorized_elementwise_kernelILi4EZZZNS0_23bitwise_not_kernel_cudaERNS_18TensorIteratorBaseEENKUlvE_clEvENKUlvE_clEvEUlhE_St5arrayIPcLm2EEEEviT0_T1_.uses_vcc, 1
	.set _ZN2at6native29vectorized_elementwise_kernelILi4EZZZNS0_23bitwise_not_kernel_cudaERNS_18TensorIteratorBaseEENKUlvE_clEvENKUlvE_clEvEUlhE_St5arrayIPcLm2EEEEviT0_T1_.uses_flat_scratch, 0
	.set _ZN2at6native29vectorized_elementwise_kernelILi4EZZZNS0_23bitwise_not_kernel_cudaERNS_18TensorIteratorBaseEENKUlvE_clEvENKUlvE_clEvEUlhE_St5arrayIPcLm2EEEEviT0_T1_.has_dyn_sized_stack, 0
	.set _ZN2at6native29vectorized_elementwise_kernelILi4EZZZNS0_23bitwise_not_kernel_cudaERNS_18TensorIteratorBaseEENKUlvE_clEvENKUlvE_clEvEUlhE_St5arrayIPcLm2EEEEviT0_T1_.has_recursion, 0
	.set _ZN2at6native29vectorized_elementwise_kernelILi4EZZZNS0_23bitwise_not_kernel_cudaERNS_18TensorIteratorBaseEENKUlvE_clEvENKUlvE_clEvEUlhE_St5arrayIPcLm2EEEEviT0_T1_.has_indirect_call, 0
	.section	.AMDGPU.csdata,"",@progbits
; Kernel info:
; codeLenInByte = 3192
; TotalNumSgprs: 45
; NumVgprs: 21
; NumAgprs: 0
; TotalNumVgprs: 21
; ScratchSize: 0
; MemoryBound: 0
; FloatMode: 240
; IeeeMode: 1
; LDSByteSize: 0 bytes/workgroup (compile time only)
; SGPRBlocks: 5
; VGPRBlocks: 2
; NumSGPRsForWavesPerEU: 45
; NumVGPRsForWavesPerEU: 21
; AccumOffset: 24
; Occupancy: 8
; WaveLimiterHint : 1
; COMPUTE_PGM_RSRC2:SCRATCH_EN: 0
; COMPUTE_PGM_RSRC2:USER_SGPR: 2
; COMPUTE_PGM_RSRC2:TRAP_HANDLER: 0
; COMPUTE_PGM_RSRC2:TGID_X_EN: 1
; COMPUTE_PGM_RSRC2:TGID_Y_EN: 0
; COMPUTE_PGM_RSRC2:TGID_Z_EN: 0
; COMPUTE_PGM_RSRC2:TIDIG_COMP_CNT: 0
; COMPUTE_PGM_RSRC3_GFX90A:ACCUM_OFFSET: 5
; COMPUTE_PGM_RSRC3_GFX90A:TG_SPLIT: 0
	.section	.text._ZN2at6native29vectorized_elementwise_kernelILi2EZZZNS0_23bitwise_not_kernel_cudaERNS_18TensorIteratorBaseEENKUlvE_clEvENKUlvE_clEvEUlhE_St5arrayIPcLm2EEEEviT0_T1_,"axG",@progbits,_ZN2at6native29vectorized_elementwise_kernelILi2EZZZNS0_23bitwise_not_kernel_cudaERNS_18TensorIteratorBaseEENKUlvE_clEvENKUlvE_clEvEUlhE_St5arrayIPcLm2EEEEviT0_T1_,comdat
	.globl	_ZN2at6native29vectorized_elementwise_kernelILi2EZZZNS0_23bitwise_not_kernel_cudaERNS_18TensorIteratorBaseEENKUlvE_clEvENKUlvE_clEvEUlhE_St5arrayIPcLm2EEEEviT0_T1_ ; -- Begin function _ZN2at6native29vectorized_elementwise_kernelILi2EZZZNS0_23bitwise_not_kernel_cudaERNS_18TensorIteratorBaseEENKUlvE_clEvENKUlvE_clEvEUlhE_St5arrayIPcLm2EEEEviT0_T1_
	.p2align	8
	.type	_ZN2at6native29vectorized_elementwise_kernelILi2EZZZNS0_23bitwise_not_kernel_cudaERNS_18TensorIteratorBaseEENKUlvE_clEvENKUlvE_clEvEUlhE_St5arrayIPcLm2EEEEviT0_T1_,@function
_ZN2at6native29vectorized_elementwise_kernelILi2EZZZNS0_23bitwise_not_kernel_cudaERNS_18TensorIteratorBaseEENKUlvE_clEvENKUlvE_clEvEUlhE_St5arrayIPcLm2EEEEviT0_T1_: ; @_ZN2at6native29vectorized_elementwise_kernelILi2EZZZNS0_23bitwise_not_kernel_cudaERNS_18TensorIteratorBaseEENKUlvE_clEvENKUlvE_clEvEUlhE_St5arrayIPcLm2EEEEviT0_T1_
; %bb.0:
	s_load_dword s3, s[0:1], 0x0
	s_load_dwordx4 s[4:7], s[0:1], 0x8
	s_lshl_b32 s33, s2, 12
	s_mov_b64 s[0:1], -1
	s_waitcnt lgkmcnt(0)
	s_sub_i32 s38, s3, s33
	s_cmpk_gt_i32 s38, 0xfff
	s_cbranch_scc0 .LBB11_2
; %bb.1:
	s_ashr_i32 s2, s33, 31
	s_add_u32 s0, s6, s33
	s_addc_u32 s1, s7, s2
	v_lshlrev_b32_e32 v1, 1, v0
	global_load_ushort v2, v1, s[0:1]
	global_load_ushort v3, v1, s[0:1] offset:512
	global_load_ushort v4, v1, s[0:1] offset:3072
	;; [unrolled: 1-line block ×7, first 2 shown]
	s_mov_b32 s3, 0xc0c0204
	s_add_u32 s0, s4, s33
	s_addc_u32 s1, s5, s2
	s_waitcnt vmcnt(7)
	v_pk_lshrrev_b16 v2, 8, v2 op_sel:[1,0] op_sel_hi:[0,0]
	s_waitcnt vmcnt(6)
	v_pk_lshrrev_b16 v3, 8, v3 op_sel:[1,0] op_sel_hi:[0,0]
	s_waitcnt vmcnt(5)
	v_pk_lshrrev_b16 v4, 8, v4 op_sel:[1,0] op_sel_hi:[0,0]
	s_waitcnt vmcnt(4)
	v_pk_lshrrev_b16 v5, 8, v5 op_sel:[1,0] op_sel_hi:[0,0]
	s_waitcnt vmcnt(3)
	v_pk_lshrrev_b16 v6, 8, v6 op_sel:[1,0] op_sel_hi:[0,0]
	v_xor_b32_e32 v2, -1, v2
	s_waitcnt vmcnt(2)
	v_xor_b32_e32 v7, -1, v7
	v_xor_b32_e32 v3, -1, v3
	;; [unrolled: 1-line block ×5, first 2 shown]
	v_perm_b32 v2, v2, v2, s3
	s_waitcnt vmcnt(1)
	v_xor_b32_e32 v8, -1, v8
	s_waitcnt vmcnt(0)
	v_xor_b32_e32 v9, -1, v9
	global_store_short v1, v7, s[0:1] offset:1536
	global_store_short v1, v8, s[0:1] offset:2560
	;; [unrolled: 1-line block ×3, first 2 shown]
	v_perm_b32 v3, v3, v3, s3
	v_perm_b32 v6, v6, v6, s3
	;; [unrolled: 1-line block ×4, first 2 shown]
	global_store_short v1, v2, s[0:1]
	global_store_short v1, v3, s[0:1] offset:512
	global_store_short v1, v6, s[0:1] offset:1024
	;; [unrolled: 1-line block ×4, first 2 shown]
	s_mov_b64 s[0:1], 0
.LBB11_2:
	s_andn2_b64 vcc, exec, s[0:1]
	s_cbranch_vccnz .LBB11_52
; %bb.3:
	v_cmp_gt_i32_e32 vcc, s38, v0
	v_or_b32_e32 v1, 0x100, v0
	v_mov_b32_e32 v20, 0
	v_mov_b32_e32 v7, 0xff
	v_or_b32_e32 v6, s33, v0
	v_mov_b32_e32 v19, 0
	v_mov_b32_e32 v18, 0
	;; [unrolled: 1-line block ×14, first 2 shown]
	s_and_saveexec_b64 s[2:3], vcc
	s_cbranch_execz .LBB11_35
; %bb.4:
	global_load_ubyte v8, v6, s[6:7]
	v_cmp_gt_u32_e64 s[0:1], s38, v1
	v_mov_b32_e32 v7, 0xff
	v_mov_b32_e32 v9, 0
	;; [unrolled: 1-line block ×15, first 2 shown]
	s_and_saveexec_b64 s[8:9], s[0:1]
	s_cbranch_execz .LBB11_34
; %bb.5:
	v_add_u32_e32 v2, s33, v0
	global_load_ubyte v9, v2, s[6:7] offset:256
	v_or_b32_e32 v4, 0x200, v0
	v_mov_b32_e32 v3, 0
	v_cmp_gt_u32_e64 s[0:1], s38, v4
	v_mov_b32_e32 v7, 0xff
	v_mov_b32_e32 v4, 0
	;; [unrolled: 1-line block ×13, first 2 shown]
	s_and_saveexec_b64 s[10:11], s[0:1]
	s_cbranch_execz .LBB11_33
; %bb.6:
	v_lshl_add_u64 v[4:5], s[6:7], 0, v[2:3]
	global_load_ubyte v2, v[4:5], off offset:512
	v_or_b32_e32 v7, 0x300, v0
	v_cmp_gt_u32_e64 s[0:1], s38, v7
	v_mov_b32_e32 v7, 0xff
	v_mov_b32_e32 v10, 0
	;; [unrolled: 1-line block ×12, first 2 shown]
	s_and_saveexec_b64 s[6:7], s[0:1]
	s_cbranch_execz .LBB11_32
; %bb.7:
	global_load_ubyte v3, v[4:5], off offset:768
	v_or_b32_e32 v7, 0x400, v0
	v_cmp_gt_u32_e64 s[0:1], s38, v7
	v_mov_b32_e32 v7, 0xff
	v_mov_b32_e32 v10, 0
	;; [unrolled: 1-line block ×12, first 2 shown]
	s_and_saveexec_b64 s[12:13], s[0:1]
	s_cbranch_execz .LBB11_31
; %bb.8:
	global_load_ubyte v10, v[4:5], off offset:1024
	v_or_b32_e32 v7, 0x500, v0
	v_cmp_gt_u32_e64 s[0:1], s38, v7
	v_mov_b32_e32 v7, 0xff
	v_mov_b32_e32 v11, 0
	;; [unrolled: 1-line block ×11, first 2 shown]
	s_and_saveexec_b64 s[14:15], s[0:1]
	s_cbranch_execz .LBB11_30
; %bb.9:
	global_load_ubyte v11, v[4:5], off offset:1280
	v_or_b32_e32 v7, 0x600, v0
	v_cmp_gt_u32_e64 s[0:1], s38, v7
	v_mov_b32_e32 v7, 0xff
	v_mov_b32_e32 v12, 0
	;; [unrolled: 1-line block ×10, first 2 shown]
	s_and_saveexec_b64 s[16:17], s[0:1]
	s_cbranch_execz .LBB11_29
; %bb.10:
	global_load_ubyte v12, v[4:5], off offset:1536
	v_or_b32_e32 v7, 0x700, v0
	v_cmp_gt_u32_e64 s[0:1], s38, v7
	v_mov_b32_e32 v7, 0xff
	v_mov_b32_e32 v13, 0
	;; [unrolled: 1-line block ×9, first 2 shown]
	s_and_saveexec_b64 s[18:19], s[0:1]
	s_cbranch_execz .LBB11_28
; %bb.11:
	global_load_ubyte v13, v[4:5], off offset:1792
	v_or_b32_e32 v7, 0x800, v0
	v_cmp_gt_u32_e64 s[0:1], s38, v7
	v_mov_b32_e32 v7, 0xff
	v_mov_b32_e32 v14, 0
	;; [unrolled: 1-line block ×8, first 2 shown]
	s_and_saveexec_b64 s[20:21], s[0:1]
	s_cbranch_execz .LBB11_27
; %bb.12:
	global_load_ubyte v14, v[4:5], off offset:2048
	v_or_b32_e32 v7, 0x900, v0
	v_cmp_gt_u32_e64 s[0:1], s38, v7
	v_mov_b32_e32 v7, 0xff
	v_mov_b32_e32 v15, 0
	;; [unrolled: 1-line block ×7, first 2 shown]
	s_and_saveexec_b64 s[22:23], s[0:1]
	s_cbranch_execz .LBB11_26
; %bb.13:
	global_load_ubyte v15, v[4:5], off offset:2304
	v_or_b32_e32 v7, 0xa00, v0
	v_cmp_gt_u32_e64 s[0:1], s38, v7
	v_mov_b32_e32 v7, 0xff
	v_mov_b32_e32 v16, 0
	;; [unrolled: 1-line block ×6, first 2 shown]
	s_and_saveexec_b64 s[24:25], s[0:1]
	s_cbranch_execz .LBB11_25
; %bb.14:
	global_load_ubyte v16, v[4:5], off offset:2560
	v_or_b32_e32 v7, 0xb00, v0
	v_cmp_gt_u32_e64 s[0:1], s38, v7
	v_mov_b32_e32 v7, 0xff
	v_mov_b32_e32 v17, 0
	;; [unrolled: 1-line block ×5, first 2 shown]
	s_and_saveexec_b64 s[26:27], s[0:1]
	s_cbranch_execz .LBB11_24
; %bb.15:
	global_load_ubyte v17, v[4:5], off offset:2816
	v_or_b32_e32 v7, 0xc00, v0
	v_cmp_gt_u32_e64 s[0:1], s38, v7
	v_mov_b32_e32 v7, 0xff
	v_mov_b32_e32 v18, 0
	;; [unrolled: 1-line block ×4, first 2 shown]
	s_and_saveexec_b64 s[28:29], s[0:1]
	s_cbranch_execz .LBB11_23
; %bb.16:
	global_load_ubyte v18, v[4:5], off offset:3072
	v_or_b32_e32 v7, 0xd00, v0
	v_cmp_gt_u32_e64 s[0:1], s38, v7
	v_mov_b32_e32 v7, 0xff
	v_mov_b32_e32 v19, 0
	;; [unrolled: 1-line block ×3, first 2 shown]
	s_and_saveexec_b64 s[30:31], s[0:1]
	s_cbranch_execz .LBB11_22
; %bb.17:
	global_load_ubyte v19, v[4:5], off offset:3328
	v_or_b32_e32 v7, 0xe00, v0
	v_cmp_gt_u32_e64 s[0:1], s38, v7
	v_mov_b32_e32 v7, 0xff
	v_mov_b32_e32 v20, 0
	s_and_saveexec_b64 s[34:35], s[0:1]
	s_cbranch_execz .LBB11_21
; %bb.18:
	global_load_ubyte v20, v[4:5], off offset:3584
	v_or_b32_e32 v7, 0xf00, v0
	v_cmp_gt_u32_e64 s[0:1], s38, v7
	v_mov_b32_e32 v7, 0xff
	s_and_saveexec_b64 s[36:37], s[0:1]
	s_cbranch_execz .LBB11_20
; %bb.19:
	global_load_ubyte v4, v[4:5], off offset:3840
	s_waitcnt vmcnt(0)
	v_xor_b32_e32 v7, -1, v4
.LBB11_20:
	s_or_b64 exec, exec, s[36:37]
.LBB11_21:
	s_or_b64 exec, exec, s[34:35]
.LBB11_22:
	s_or_b64 exec, exec, s[30:31]
.LBB11_23:
	s_or_b64 exec, exec, s[28:29]
.LBB11_24:
	s_or_b64 exec, exec, s[26:27]
.LBB11_25:
	s_or_b64 exec, exec, s[24:25]
.LBB11_26:
	s_or_b64 exec, exec, s[22:23]
.LBB11_27:
	s_or_b64 exec, exec, s[20:21]
.LBB11_28:
	s_or_b64 exec, exec, s[18:19]
.LBB11_29:
	s_or_b64 exec, exec, s[16:17]
.LBB11_30:
	s_or_b64 exec, exec, s[14:15]
.LBB11_31:
	s_or_b64 exec, exec, s[12:13]
.LBB11_32:
	s_or_b64 exec, exec, s[6:7]
	s_waitcnt vmcnt(0)
	v_mov_b32_e32 v4, v3
	v_mov_b32_e32 v3, v2
.LBB11_33:
	s_or_b64 exec, exec, s[10:11]
.LBB11_34:
	s_or_b64 exec, exec, s[8:9]
.LBB11_35:
	s_or_b64 exec, exec, s[2:3]
	s_movk_i32 s2, 0xff
	s_waitcnt vmcnt(0)
	v_bitop3_b16 v2, v8, s2, v8 bitop3:0xc
	v_and_b32_e32 v2, 0xffff, v2
	v_mov_b32_e32 v8, -1
	v_cndmask_b32_e32 v2, 0, v2, vcc
	v_xor_b32_sdwa v5, v9, v8 dst_sel:BYTE_1 dst_unused:UNUSED_PAD src0_sel:DWORD src1_sel:DWORD
	v_cmp_gt_i32_e64 s[0:1], s38, v1
	v_or_b32_e32 v5, v2, v5
	v_and_b32_e32 v5, 0xffff, v5
	v_cndmask_b32_e64 v2, v2, v5, s[0:1]
	v_xor_b32_e32 v3, -1, v3
	s_mov_b32 s6, 0xc0c0304
	v_or_b32_e32 v5, 0x200, v0
	v_perm_b32 v3, v3, v2, s6
	v_lshl_or_b32 v3, v3, 16, v2
	v_cmp_gt_i32_e64 s[0:1], s38, v5
	v_xor_b32_sdwa v4, v4, v8 dst_sel:BYTE_1 dst_unused:UNUSED_PAD src0_sel:DWORD src1_sel:DWORD
	s_mov_b32 s3, 0xffff
	v_cndmask_b32_e64 v2, v2, v3, s[0:1]
	v_lshrrev_b32_e32 v3, 16, v2
	v_bitop3_b16 v3, v3, v4, s2 bitop3:0xec
	v_or_b32_e32 v5, 0x300, v0
	v_lshlrev_b32_e32 v3, 16, v3
	v_and_or_b32 v3, v2, s3, v3
	v_cmp_gt_i32_e64 s[0:1], s38, v5
	s_mov_b32 s7, 0x3020104
	s_mov_b32 s8, 0xffff0000
	v_cndmask_b32_e64 v5, v2, v3, s[0:1]
	v_xor_b32_e32 v2, -1, v10
	v_or_b32_e32 v3, 0x400, v0
	v_perm_b32 v2, v2, 0, s7
	v_cmp_gt_i32_e64 s[0:1], s38, v3
	v_xor_b32_sdwa v3, v11, v8 dst_sel:BYTE_1 dst_unused:UNUSED_PAD src0_sel:DWORD src1_sel:DWORD
	v_or_b32_e32 v4, 0x500, v0
	v_cndmask_b32_e64 v2, 0, v2, s[0:1]
	v_bitop3_b16 v3, v2, v3, s2 bitop3:0xec
	v_and_b32_e32 v3, 0xffff, v3
	v_and_or_b32 v3, v2, s8, v3
	v_cmp_gt_i32_e64 s[0:1], s38, v4
	v_xor_b32_e32 v4, -1, v12
	s_mov_b32 s9, 0x7000504
	v_cndmask_b32_e64 v2, v2, v3, s[0:1]
	v_or_b32_e32 v3, 0x600, v0
	v_perm_b32 v4, v2, v4, s9
	v_cmp_gt_i32_e64 s[0:1], s38, v3
	v_xor_b32_sdwa v9, v13, v8 dst_sel:BYTE_1 dst_unused:UNUSED_PAD src0_sel:DWORD src1_sel:DWORD
	v_xor_b32_sdwa v10, v17, v8 dst_sel:BYTE_1 dst_unused:UNUSED_PAD src0_sel:DWORD src1_sel:DWORD
	v_cndmask_b32_e64 v2, v2, v4, s[0:1]
	v_lshrrev_b32_e32 v3, 16, v2
	v_bitop3_b16 v3, v3, v9, s2 bitop3:0xec
	v_or_b32_e32 v4, 0x700, v0
	v_lshlrev_b32_e32 v3, 16, v3
	v_and_or_b32 v3, v2, s3, v3
	v_cmp_gt_i32_e64 s[0:1], s38, v4
	v_xor_b32_sdwa v9, v15, v8 dst_sel:BYTE_1 dst_unused:UNUSED_PAD src0_sel:DWORD src1_sel:DWORD
	v_xor_b32_sdwa v8, v19, v8 dst_sel:BYTE_1 dst_unused:UNUSED_PAD src0_sel:DWORD src1_sel:DWORD
	v_cndmask_b32_e64 v4, v2, v3, s[0:1]
	v_or_b32_e32 v2, 0x800, v0
	v_bitop3_b16 v3, v14, s2, v14 bitop3:0xc
	v_and_b32_e32 v3, 0xffff, v3
	v_cmp_gt_i32_e64 s[0:1], s38, v2
	s_nop 1
	v_cndmask_b32_e64 v2, 0, v3, s[0:1]
	v_or_b32_e32 v3, 0x900, v0
	v_or_b32_e32 v9, v2, v9
	v_and_b32_e32 v9, 0xffff, v9
	v_cmp_gt_i32_e64 s[0:1], s38, v3
	v_or_b32_e32 v3, 0xa00, v0
	s_nop 0
	v_cndmask_b32_e64 v2, v2, v9, s[0:1]
	v_xor_b32_e32 v9, -1, v16
	v_perm_b32 v9, v9, v2, s6
	v_lshl_or_b32 v9, v9, 16, v2
	v_cmp_gt_i32_e64 s[0:1], s38, v3
	s_nop 1
	v_cndmask_b32_e64 v2, v2, v9, s[0:1]
	v_lshrrev_b32_e32 v3, 16, v2
	v_bitop3_b16 v3, v3, v10, s2 bitop3:0xec
	v_or_b32_e32 v9, 0xb00, v0
	v_lshlrev_b32_e32 v3, 16, v3
	v_and_or_b32 v3, v2, s3, v3
	v_cmp_gt_i32_e64 s[0:1], s38, v9
	v_or_b32_e32 v9, 0xc00, v0
	s_nop 0
	v_cndmask_b32_e64 v3, v2, v3, s[0:1]
	v_xor_b32_e32 v2, -1, v18
	v_perm_b32 v2, v2, 0, s7
	v_cmp_gt_i32_e64 s[0:1], s38, v9
	v_or_b32_e32 v9, 0xd00, v0
	s_nop 0
	v_cndmask_b32_e64 v2, 0, v2, s[0:1]
	v_bitop3_b16 v8, v2, v8, s2 bitop3:0xec
	v_and_b32_e32 v8, 0xffff, v8
	v_and_or_b32 v8, v2, s8, v8
	v_cmp_gt_i32_e64 s[0:1], s38, v9
	v_xor_b32_e32 v9, -1, v20
	s_nop 0
	v_cndmask_b32_e64 v2, v2, v8, s[0:1]
	v_or_b32_e32 v8, 0xe00, v0
	v_perm_b32 v9, v2, v9, s9
	v_cmp_gt_i32_e64 s[0:1], s38, v8
	v_or_b32_e32 v8, 0xf00, v0
	s_nop 0
	v_cndmask_b32_e64 v2, v2, v9, s[0:1]
	s_mov_b32 s0, 0x60504
	v_perm_b32 v7, v2, v7, s0
	v_cmp_gt_i32_e64 s[0:1], s38, v8
	s_nop 1
	v_cndmask_b32_e64 v2, v2, v7, s[0:1]
	s_and_saveexec_b64 s[0:1], vcc
	s_cbranch_execnz .LBB11_53
; %bb.36:
	s_or_b64 exec, exec, s[0:1]
	v_cmp_gt_i32_e32 vcc, s38, v0
	s_and_saveexec_b64 s[0:1], vcc
	s_cbranch_execnz .LBB11_54
.LBB11_37:
	s_or_b64 exec, exec, s[0:1]
	v_cmp_gt_i32_e32 vcc, s38, v0
	s_and_saveexec_b64 s[0:1], vcc
	s_cbranch_execnz .LBB11_55
.LBB11_38:
	s_or_b64 exec, exec, s[0:1]
	v_cmp_gt_i32_e32 vcc, s38, v0
	s_and_saveexec_b64 s[0:1], vcc
	s_cbranch_execnz .LBB11_56
.LBB11_39:
	s_or_b64 exec, exec, s[0:1]
	v_cmp_gt_i32_e32 vcc, s38, v0
	s_and_saveexec_b64 s[0:1], vcc
	s_cbranch_execnz .LBB11_57
.LBB11_40:
	s_or_b64 exec, exec, s[0:1]
	v_cmp_gt_i32_e32 vcc, s38, v0
	s_and_saveexec_b64 s[0:1], vcc
	s_cbranch_execnz .LBB11_58
.LBB11_41:
	s_or_b64 exec, exec, s[0:1]
	v_cmp_gt_i32_e32 vcc, s38, v0
	s_and_saveexec_b64 s[0:1], vcc
	s_cbranch_execnz .LBB11_59
.LBB11_42:
	s_or_b64 exec, exec, s[0:1]
	v_cmp_gt_i32_e32 vcc, s38, v0
	s_and_saveexec_b64 s[0:1], vcc
	s_cbranch_execnz .LBB11_60
.LBB11_43:
	s_or_b64 exec, exec, s[0:1]
	v_cmp_gt_i32_e32 vcc, s38, v0
	s_and_saveexec_b64 s[0:1], vcc
	s_cbranch_execnz .LBB11_61
.LBB11_44:
	s_or_b64 exec, exec, s[0:1]
	v_cmp_gt_i32_e32 vcc, s38, v0
	s_and_saveexec_b64 s[0:1], vcc
	s_cbranch_execnz .LBB11_62
.LBB11_45:
	s_or_b64 exec, exec, s[0:1]
	v_cmp_gt_i32_e32 vcc, s38, v0
	s_and_saveexec_b64 s[0:1], vcc
	s_cbranch_execnz .LBB11_63
.LBB11_46:
	s_or_b64 exec, exec, s[0:1]
	v_cmp_gt_i32_e32 vcc, s38, v0
	s_and_saveexec_b64 s[0:1], vcc
	s_cbranch_execnz .LBB11_64
.LBB11_47:
	s_or_b64 exec, exec, s[0:1]
	v_cmp_gt_i32_e32 vcc, s38, v0
	s_and_saveexec_b64 s[0:1], vcc
	s_cbranch_execnz .LBB11_65
.LBB11_48:
	s_or_b64 exec, exec, s[0:1]
	v_cmp_gt_i32_e32 vcc, s38, v0
	s_and_saveexec_b64 s[0:1], vcc
	s_cbranch_execnz .LBB11_66
.LBB11_49:
	s_or_b64 exec, exec, s[0:1]
	v_cmp_gt_i32_e32 vcc, s38, v0
	s_and_saveexec_b64 s[0:1], vcc
	s_cbranch_execnz .LBB11_67
.LBB11_50:
	s_or_b64 exec, exec, s[0:1]
	v_cmp_gt_i32_e32 vcc, s38, v0
	s_and_saveexec_b64 s[0:1], vcc
	s_cbranch_execz .LBB11_52
.LBB11_51:
	v_lshrrev_b32_e32 v1, 24, v2
	v_add_u32_e32 v0, s33, v0
	global_store_byte v0, v1, s[4:5]
.LBB11_52:
	s_endpgm
.LBB11_53:
	v_mov_b32_e32 v0, v1
	global_store_byte v6, v5, s[4:5]
	s_or_b64 exec, exec, s[0:1]
	v_cmp_gt_i32_e32 vcc, s38, v0
	s_and_saveexec_b64 s[0:1], vcc
	s_cbranch_execz .LBB11_37
.LBB11_54:
	v_lshrrev_b32_e32 v1, 8, v5
	v_add_u32_e32 v6, s33, v0
	v_add_u32_e32 v0, 0x100, v0
	global_store_byte v6, v1, s[4:5]
	s_or_b64 exec, exec, s[0:1]
	v_cmp_gt_i32_e32 vcc, s38, v0
	s_and_saveexec_b64 s[0:1], vcc
	s_cbranch_execz .LBB11_38
.LBB11_55:
	v_add_u32_e32 v1, s33, v0
	v_add_u32_e32 v0, 0x100, v0
	global_store_byte_d16_hi v1, v5, s[4:5]
	s_or_b64 exec, exec, s[0:1]
	v_cmp_gt_i32_e32 vcc, s38, v0
	s_and_saveexec_b64 s[0:1], vcc
	s_cbranch_execz .LBB11_39
.LBB11_56:
	v_lshrrev_b32_e32 v1, 24, v5
	v_add_u32_e32 v5, s33, v0
	v_add_u32_e32 v0, 0x100, v0
	global_store_byte v5, v1, s[4:5]
	s_or_b64 exec, exec, s[0:1]
	v_cmp_gt_i32_e32 vcc, s38, v0
	s_and_saveexec_b64 s[0:1], vcc
	s_cbranch_execz .LBB11_40
.LBB11_57:
	v_add_u32_e32 v1, s33, v0
	v_add_u32_e32 v0, 0x100, v0
	global_store_byte v1, v4, s[4:5]
	s_or_b64 exec, exec, s[0:1]
	v_cmp_gt_i32_e32 vcc, s38, v0
	s_and_saveexec_b64 s[0:1], vcc
	s_cbranch_execz .LBB11_41
.LBB11_58:
	v_lshrrev_b32_e32 v1, 8, v4
	v_add_u32_e32 v5, s33, v0
	v_add_u32_e32 v0, 0x100, v0
	global_store_byte v5, v1, s[4:5]
	s_or_b64 exec, exec, s[0:1]
	v_cmp_gt_i32_e32 vcc, s38, v0
	s_and_saveexec_b64 s[0:1], vcc
	s_cbranch_execz .LBB11_42
.LBB11_59:
	v_add_u32_e32 v1, s33, v0
	v_add_u32_e32 v0, 0x100, v0
	global_store_byte_d16_hi v1, v4, s[4:5]
	s_or_b64 exec, exec, s[0:1]
	v_cmp_gt_i32_e32 vcc, s38, v0
	s_and_saveexec_b64 s[0:1], vcc
	s_cbranch_execz .LBB11_43
.LBB11_60:
	v_lshrrev_b32_e32 v1, 24, v4
	v_add_u32_e32 v4, s33, v0
	v_add_u32_e32 v0, 0x100, v0
	global_store_byte v4, v1, s[4:5]
	s_or_b64 exec, exec, s[0:1]
	v_cmp_gt_i32_e32 vcc, s38, v0
	s_and_saveexec_b64 s[0:1], vcc
	s_cbranch_execz .LBB11_44
.LBB11_61:
	v_add_u32_e32 v1, s33, v0
	v_add_u32_e32 v0, 0x100, v0
	global_store_byte v1, v3, s[4:5]
	s_or_b64 exec, exec, s[0:1]
	v_cmp_gt_i32_e32 vcc, s38, v0
	s_and_saveexec_b64 s[0:1], vcc
	s_cbranch_execz .LBB11_45
.LBB11_62:
	v_lshrrev_b32_e32 v1, 8, v3
	v_add_u32_e32 v4, s33, v0
	v_add_u32_e32 v0, 0x100, v0
	global_store_byte v4, v1, s[4:5]
	s_or_b64 exec, exec, s[0:1]
	v_cmp_gt_i32_e32 vcc, s38, v0
	s_and_saveexec_b64 s[0:1], vcc
	s_cbranch_execz .LBB11_46
.LBB11_63:
	v_add_u32_e32 v1, s33, v0
	v_add_u32_e32 v0, 0x100, v0
	global_store_byte_d16_hi v1, v3, s[4:5]
	s_or_b64 exec, exec, s[0:1]
	v_cmp_gt_i32_e32 vcc, s38, v0
	s_and_saveexec_b64 s[0:1], vcc
	s_cbranch_execz .LBB11_47
.LBB11_64:
	v_lshrrev_b32_e32 v1, 24, v3
	v_add_u32_e32 v3, s33, v0
	v_add_u32_e32 v0, 0x100, v0
	global_store_byte v3, v1, s[4:5]
	s_or_b64 exec, exec, s[0:1]
	v_cmp_gt_i32_e32 vcc, s38, v0
	s_and_saveexec_b64 s[0:1], vcc
	s_cbranch_execz .LBB11_48
.LBB11_65:
	v_add_u32_e32 v1, s33, v0
	v_add_u32_e32 v0, 0x100, v0
	global_store_byte v1, v2, s[4:5]
	s_or_b64 exec, exec, s[0:1]
	v_cmp_gt_i32_e32 vcc, s38, v0
	s_and_saveexec_b64 s[0:1], vcc
	s_cbranch_execz .LBB11_49
.LBB11_66:
	v_lshrrev_b32_e32 v1, 8, v2
	v_add_u32_e32 v3, s33, v0
	v_add_u32_e32 v0, 0x100, v0
	global_store_byte v3, v1, s[4:5]
	s_or_b64 exec, exec, s[0:1]
	v_cmp_gt_i32_e32 vcc, s38, v0
	s_and_saveexec_b64 s[0:1], vcc
	s_cbranch_execz .LBB11_50
.LBB11_67:
	v_add_u32_e32 v1, s33, v0
	v_add_u32_e32 v0, 0x100, v0
	global_store_byte_d16_hi v1, v2, s[4:5]
	s_or_b64 exec, exec, s[0:1]
	v_cmp_gt_i32_e32 vcc, s38, v0
	s_and_saveexec_b64 s[0:1], vcc
	s_cbranch_execnz .LBB11_51
	s_branch .LBB11_52
	.section	.rodata,"a",@progbits
	.p2align	6, 0x0
	.amdhsa_kernel _ZN2at6native29vectorized_elementwise_kernelILi2EZZZNS0_23bitwise_not_kernel_cudaERNS_18TensorIteratorBaseEENKUlvE_clEvENKUlvE_clEvEUlhE_St5arrayIPcLm2EEEEviT0_T1_
		.amdhsa_group_segment_fixed_size 0
		.amdhsa_private_segment_fixed_size 0
		.amdhsa_kernarg_size 24
		.amdhsa_user_sgpr_count 2
		.amdhsa_user_sgpr_dispatch_ptr 0
		.amdhsa_user_sgpr_queue_ptr 0
		.amdhsa_user_sgpr_kernarg_segment_ptr 1
		.amdhsa_user_sgpr_dispatch_id 0
		.amdhsa_user_sgpr_kernarg_preload_length 0
		.amdhsa_user_sgpr_kernarg_preload_offset 0
		.amdhsa_user_sgpr_private_segment_size 0
		.amdhsa_uses_dynamic_stack 0
		.amdhsa_enable_private_segment 0
		.amdhsa_system_sgpr_workgroup_id_x 1
		.amdhsa_system_sgpr_workgroup_id_y 0
		.amdhsa_system_sgpr_workgroup_id_z 0
		.amdhsa_system_sgpr_workgroup_info 0
		.amdhsa_system_vgpr_workitem_id 0
		.amdhsa_next_free_vgpr 21
		.amdhsa_next_free_sgpr 39
		.amdhsa_accum_offset 24
		.amdhsa_reserve_vcc 1
		.amdhsa_float_round_mode_32 0
		.amdhsa_float_round_mode_16_64 0
		.amdhsa_float_denorm_mode_32 3
		.amdhsa_float_denorm_mode_16_64 3
		.amdhsa_dx10_clamp 1
		.amdhsa_ieee_mode 1
		.amdhsa_fp16_overflow 0
		.amdhsa_tg_split 0
		.amdhsa_exception_fp_ieee_invalid_op 0
		.amdhsa_exception_fp_denorm_src 0
		.amdhsa_exception_fp_ieee_div_zero 0
		.amdhsa_exception_fp_ieee_overflow 0
		.amdhsa_exception_fp_ieee_underflow 0
		.amdhsa_exception_fp_ieee_inexact 0
		.amdhsa_exception_int_div_zero 0
	.end_amdhsa_kernel
	.section	.text._ZN2at6native29vectorized_elementwise_kernelILi2EZZZNS0_23bitwise_not_kernel_cudaERNS_18TensorIteratorBaseEENKUlvE_clEvENKUlvE_clEvEUlhE_St5arrayIPcLm2EEEEviT0_T1_,"axG",@progbits,_ZN2at6native29vectorized_elementwise_kernelILi2EZZZNS0_23bitwise_not_kernel_cudaERNS_18TensorIteratorBaseEENKUlvE_clEvENKUlvE_clEvEUlhE_St5arrayIPcLm2EEEEviT0_T1_,comdat
.Lfunc_end11:
	.size	_ZN2at6native29vectorized_elementwise_kernelILi2EZZZNS0_23bitwise_not_kernel_cudaERNS_18TensorIteratorBaseEENKUlvE_clEvENKUlvE_clEvEUlhE_St5arrayIPcLm2EEEEviT0_T1_, .Lfunc_end11-_ZN2at6native29vectorized_elementwise_kernelILi2EZZZNS0_23bitwise_not_kernel_cudaERNS_18TensorIteratorBaseEENKUlvE_clEvENKUlvE_clEvEUlhE_St5arrayIPcLm2EEEEviT0_T1_
                                        ; -- End function
	.set _ZN2at6native29vectorized_elementwise_kernelILi2EZZZNS0_23bitwise_not_kernel_cudaERNS_18TensorIteratorBaseEENKUlvE_clEvENKUlvE_clEvEUlhE_St5arrayIPcLm2EEEEviT0_T1_.num_vgpr, 21
	.set _ZN2at6native29vectorized_elementwise_kernelILi2EZZZNS0_23bitwise_not_kernel_cudaERNS_18TensorIteratorBaseEENKUlvE_clEvENKUlvE_clEvEUlhE_St5arrayIPcLm2EEEEviT0_T1_.num_agpr, 0
	.set _ZN2at6native29vectorized_elementwise_kernelILi2EZZZNS0_23bitwise_not_kernel_cudaERNS_18TensorIteratorBaseEENKUlvE_clEvENKUlvE_clEvEUlhE_St5arrayIPcLm2EEEEviT0_T1_.numbered_sgpr, 39
	.set _ZN2at6native29vectorized_elementwise_kernelILi2EZZZNS0_23bitwise_not_kernel_cudaERNS_18TensorIteratorBaseEENKUlvE_clEvENKUlvE_clEvEUlhE_St5arrayIPcLm2EEEEviT0_T1_.num_named_barrier, 0
	.set _ZN2at6native29vectorized_elementwise_kernelILi2EZZZNS0_23bitwise_not_kernel_cudaERNS_18TensorIteratorBaseEENKUlvE_clEvENKUlvE_clEvEUlhE_St5arrayIPcLm2EEEEviT0_T1_.private_seg_size, 0
	.set _ZN2at6native29vectorized_elementwise_kernelILi2EZZZNS0_23bitwise_not_kernel_cudaERNS_18TensorIteratorBaseEENKUlvE_clEvENKUlvE_clEvEUlhE_St5arrayIPcLm2EEEEviT0_T1_.uses_vcc, 1
	.set _ZN2at6native29vectorized_elementwise_kernelILi2EZZZNS0_23bitwise_not_kernel_cudaERNS_18TensorIteratorBaseEENKUlvE_clEvENKUlvE_clEvEUlhE_St5arrayIPcLm2EEEEviT0_T1_.uses_flat_scratch, 0
	.set _ZN2at6native29vectorized_elementwise_kernelILi2EZZZNS0_23bitwise_not_kernel_cudaERNS_18TensorIteratorBaseEENKUlvE_clEvENKUlvE_clEvEUlhE_St5arrayIPcLm2EEEEviT0_T1_.has_dyn_sized_stack, 0
	.set _ZN2at6native29vectorized_elementwise_kernelILi2EZZZNS0_23bitwise_not_kernel_cudaERNS_18TensorIteratorBaseEENKUlvE_clEvENKUlvE_clEvEUlhE_St5arrayIPcLm2EEEEviT0_T1_.has_recursion, 0
	.set _ZN2at6native29vectorized_elementwise_kernelILi2EZZZNS0_23bitwise_not_kernel_cudaERNS_18TensorIteratorBaseEENKUlvE_clEvENKUlvE_clEvEUlhE_St5arrayIPcLm2EEEEviT0_T1_.has_indirect_call, 0
	.section	.AMDGPU.csdata,"",@progbits
; Kernel info:
; codeLenInByte = 3168
; TotalNumSgprs: 45
; NumVgprs: 21
; NumAgprs: 0
; TotalNumVgprs: 21
; ScratchSize: 0
; MemoryBound: 0
; FloatMode: 240
; IeeeMode: 1
; LDSByteSize: 0 bytes/workgroup (compile time only)
; SGPRBlocks: 5
; VGPRBlocks: 2
; NumSGPRsForWavesPerEU: 45
; NumVGPRsForWavesPerEU: 21
; AccumOffset: 24
; Occupancy: 8
; WaveLimiterHint : 1
; COMPUTE_PGM_RSRC2:SCRATCH_EN: 0
; COMPUTE_PGM_RSRC2:USER_SGPR: 2
; COMPUTE_PGM_RSRC2:TRAP_HANDLER: 0
; COMPUTE_PGM_RSRC2:TGID_X_EN: 1
; COMPUTE_PGM_RSRC2:TGID_Y_EN: 0
; COMPUTE_PGM_RSRC2:TGID_Z_EN: 0
; COMPUTE_PGM_RSRC2:TIDIG_COMP_CNT: 0
; COMPUTE_PGM_RSRC3_GFX90A:ACCUM_OFFSET: 5
; COMPUTE_PGM_RSRC3_GFX90A:TG_SPLIT: 0
	.section	.text._ZN2at6native27unrolled_elementwise_kernelIZZZNS0_23bitwise_not_kernel_cudaERNS_18TensorIteratorBaseEENKUlvE_clEvENKUlvE_clEvEUlhE_St5arrayIPcLm2EELi4E23TrivialOffsetCalculatorILi1EjESB_NS0_6memory15LoadWithoutCastENSC_16StoreWithoutCastEEEviT_T0_T2_T3_T4_T5_,"axG",@progbits,_ZN2at6native27unrolled_elementwise_kernelIZZZNS0_23bitwise_not_kernel_cudaERNS_18TensorIteratorBaseEENKUlvE_clEvENKUlvE_clEvEUlhE_St5arrayIPcLm2EELi4E23TrivialOffsetCalculatorILi1EjESB_NS0_6memory15LoadWithoutCastENSC_16StoreWithoutCastEEEviT_T0_T2_T3_T4_T5_,comdat
	.globl	_ZN2at6native27unrolled_elementwise_kernelIZZZNS0_23bitwise_not_kernel_cudaERNS_18TensorIteratorBaseEENKUlvE_clEvENKUlvE_clEvEUlhE_St5arrayIPcLm2EELi4E23TrivialOffsetCalculatorILi1EjESB_NS0_6memory15LoadWithoutCastENSC_16StoreWithoutCastEEEviT_T0_T2_T3_T4_T5_ ; -- Begin function _ZN2at6native27unrolled_elementwise_kernelIZZZNS0_23bitwise_not_kernel_cudaERNS_18TensorIteratorBaseEENKUlvE_clEvENKUlvE_clEvEUlhE_St5arrayIPcLm2EELi4E23TrivialOffsetCalculatorILi1EjESB_NS0_6memory15LoadWithoutCastENSC_16StoreWithoutCastEEEviT_T0_T2_T3_T4_T5_
	.p2align	8
	.type	_ZN2at6native27unrolled_elementwise_kernelIZZZNS0_23bitwise_not_kernel_cudaERNS_18TensorIteratorBaseEENKUlvE_clEvENKUlvE_clEvEUlhE_St5arrayIPcLm2EELi4E23TrivialOffsetCalculatorILi1EjESB_NS0_6memory15LoadWithoutCastENSC_16StoreWithoutCastEEEviT_T0_T2_T3_T4_T5_,@function
_ZN2at6native27unrolled_elementwise_kernelIZZZNS0_23bitwise_not_kernel_cudaERNS_18TensorIteratorBaseEENKUlvE_clEvENKUlvE_clEvEUlhE_St5arrayIPcLm2EELi4E23TrivialOffsetCalculatorILi1EjESB_NS0_6memory15LoadWithoutCastENSC_16StoreWithoutCastEEEviT_T0_T2_T3_T4_T5_: ; @_ZN2at6native27unrolled_elementwise_kernelIZZZNS0_23bitwise_not_kernel_cudaERNS_18TensorIteratorBaseEENKUlvE_clEvENKUlvE_clEvEUlhE_St5arrayIPcLm2EELi4E23TrivialOffsetCalculatorILi1EjESB_NS0_6memory15LoadWithoutCastENSC_16StoreWithoutCastEEEviT_T0_T2_T3_T4_T5_
; %bb.0:
	s_load_dword s3, s[0:1], 0x0
	s_load_dwordx4 s[4:7], s[0:1], 0x8
	s_lshl_b32 s14, s2, 10
	v_or_b32_e32 v1, 0x100, v0
	v_mov_b32_e32 v4, 0
	s_waitcnt lgkmcnt(0)
	s_sub_i32 s15, s3, s14
	v_cmp_gt_i32_e32 vcc, s15, v0
	v_mov_b32_e32 v3, 0xff
	v_or_b32_e32 v2, s14, v0
	v_mov_b32_e32 v5, 0
	v_mov_b32_e32 v6, 0
	s_and_saveexec_b64 s[2:3], vcc
	s_cbranch_execz .LBB12_8
; %bb.1:
	global_load_ubyte v6, v2, s[6:7]
	v_cmp_gt_u32_e64 s[0:1], s15, v1
	v_mov_b32_e32 v3, 0xff
	v_mov_b32_e32 v5, 0
	;; [unrolled: 1-line block ×3, first 2 shown]
	s_and_saveexec_b64 s[8:9], s[0:1]
	s_cbranch_execz .LBB12_7
; %bb.2:
	v_add_u32_e32 v3, s14, v1
	global_load_ubyte v5, v3, s[6:7]
	v_or_b32_e32 v7, 0x200, v0
	v_cmp_gt_u32_e64 s[0:1], s15, v7
	v_mov_b32_e32 v3, 0xff
	v_mov_b32_e32 v4, 0
	s_and_saveexec_b64 s[10:11], s[0:1]
	s_cbranch_execz .LBB12_6
; %bb.3:
	v_add_u32_e32 v3, s14, v7
	global_load_ubyte v4, v3, s[6:7]
	v_or_b32_e32 v7, 0x300, v0
	v_cmp_gt_u32_e64 s[0:1], s15, v7
	v_mov_b32_e32 v3, 0xff
	s_and_saveexec_b64 s[12:13], s[0:1]
	s_cbranch_execz .LBB12_5
; %bb.4:
	v_add_u32_e32 v3, s14, v7
	global_load_ubyte v3, v3, s[6:7]
	s_waitcnt vmcnt(0)
	v_xor_b32_e32 v3, -1, v3
.LBB12_5:
	s_or_b64 exec, exec, s[12:13]
.LBB12_6:
	s_or_b64 exec, exec, s[10:11]
.LBB12_7:
	s_or_b64 exec, exec, s[8:9]
.LBB12_8:
	s_or_b64 exec, exec, s[2:3]
	s_movk_i32 s0, 0xff
	s_waitcnt vmcnt(0)
	v_bitop3_b16 v6, v6, s0, v6 bitop3:0xc
	v_and_b32_e32 v6, 0xffff, v6
	v_mov_b32_e32 v7, -1
	v_cndmask_b32_e32 v6, 0, v6, vcc
	v_xor_b32_sdwa v5, v5, v7 dst_sel:BYTE_1 dst_unused:UNUSED_PAD src0_sel:DWORD src1_sel:DWORD
	v_cmp_gt_i32_e64 s[0:1], s15, v1
	v_or_b32_e32 v5, v6, v5
	v_and_b32_e32 v5, 0xffff, v5
	v_cndmask_b32_e64 v5, v6, v5, s[0:1]
	v_xor_b32_e32 v4, -1, v4
	s_mov_b32 s0, 0xc0c0304
	v_or_b32_e32 v6, 0x200, v0
	v_perm_b32 v4, v4, v5, s0
	v_lshl_or_b32 v4, v4, 16, v5
	v_cmp_gt_i32_e64 s[0:1], s15, v6
	s_mov_b32 s2, 0xffff
	s_nop 0
	v_cndmask_b32_e64 v4, v5, v4, s[0:1]
	s_mov_b32 s0, 0xc0c0006
	v_perm_b32 v3, v4, v3, s0
	v_or_b32_e32 v5, 0x300, v0
	v_lshlrev_b32_e32 v3, 16, v3
	v_and_or_b32 v3, v4, s2, v3
	v_cmp_gt_i32_e64 s[0:1], s15, v5
	s_nop 1
	v_cndmask_b32_e64 v3, v4, v3, s[0:1]
	s_and_saveexec_b64 s[0:1], vcc
	s_cbranch_execnz .LBB12_13
; %bb.9:
	s_or_b64 exec, exec, s[0:1]
	v_cmp_gt_i32_e32 vcc, s15, v0
	s_and_saveexec_b64 s[0:1], vcc
	s_cbranch_execnz .LBB12_14
.LBB12_10:
	s_or_b64 exec, exec, s[0:1]
	v_cmp_gt_i32_e32 vcc, s15, v0
	s_and_saveexec_b64 s[0:1], vcc
	s_cbranch_execnz .LBB12_15
.LBB12_11:
	s_or_b64 exec, exec, s[0:1]
	v_cmp_gt_i32_e32 vcc, s15, v0
	s_and_saveexec_b64 s[0:1], vcc
	s_cbranch_execnz .LBB12_16
.LBB12_12:
	s_endpgm
.LBB12_13:
	v_mov_b32_e32 v0, v1
	global_store_byte v2, v3, s[4:5]
	s_or_b64 exec, exec, s[0:1]
	v_cmp_gt_i32_e32 vcc, s15, v0
	s_and_saveexec_b64 s[0:1], vcc
	s_cbranch_execz .LBB12_10
.LBB12_14:
	v_add_u32_e32 v1, 0x100, v0
	v_add_u32_e32 v0, s14, v0
	v_lshrrev_b32_e32 v2, 8, v3
	global_store_byte v0, v2, s[4:5]
	v_mov_b32_e32 v0, v1
	s_or_b64 exec, exec, s[0:1]
	v_cmp_gt_i32_e32 vcc, s15, v0
	s_and_saveexec_b64 s[0:1], vcc
	s_cbranch_execz .LBB12_11
.LBB12_15:
	v_add_u32_e32 v1, 0x100, v0
	v_add_u32_e32 v0, s14, v0
	global_store_byte_d16_hi v0, v3, s[4:5]
	v_mov_b32_e32 v0, v1
	s_or_b64 exec, exec, s[0:1]
	v_cmp_gt_i32_e32 vcc, s15, v0
	s_and_saveexec_b64 s[0:1], vcc
	s_cbranch_execz .LBB12_12
.LBB12_16:
	v_add_u32_e32 v0, s14, v0
	v_lshrrev_b32_e32 v1, 24, v3
	global_store_byte v0, v1, s[4:5]
	s_endpgm
	.section	.rodata,"a",@progbits
	.p2align	6, 0x0
	.amdhsa_kernel _ZN2at6native27unrolled_elementwise_kernelIZZZNS0_23bitwise_not_kernel_cudaERNS_18TensorIteratorBaseEENKUlvE_clEvENKUlvE_clEvEUlhE_St5arrayIPcLm2EELi4E23TrivialOffsetCalculatorILi1EjESB_NS0_6memory15LoadWithoutCastENSC_16StoreWithoutCastEEEviT_T0_T2_T3_T4_T5_
		.amdhsa_group_segment_fixed_size 0
		.amdhsa_private_segment_fixed_size 0
		.amdhsa_kernarg_size 28
		.amdhsa_user_sgpr_count 2
		.amdhsa_user_sgpr_dispatch_ptr 0
		.amdhsa_user_sgpr_queue_ptr 0
		.amdhsa_user_sgpr_kernarg_segment_ptr 1
		.amdhsa_user_sgpr_dispatch_id 0
		.amdhsa_user_sgpr_kernarg_preload_length 0
		.amdhsa_user_sgpr_kernarg_preload_offset 0
		.amdhsa_user_sgpr_private_segment_size 0
		.amdhsa_uses_dynamic_stack 0
		.amdhsa_enable_private_segment 0
		.amdhsa_system_sgpr_workgroup_id_x 1
		.amdhsa_system_sgpr_workgroup_id_y 0
		.amdhsa_system_sgpr_workgroup_id_z 0
		.amdhsa_system_sgpr_workgroup_info 0
		.amdhsa_system_vgpr_workitem_id 0
		.amdhsa_next_free_vgpr 8
		.amdhsa_next_free_sgpr 16
		.amdhsa_accum_offset 8
		.amdhsa_reserve_vcc 1
		.amdhsa_float_round_mode_32 0
		.amdhsa_float_round_mode_16_64 0
		.amdhsa_float_denorm_mode_32 3
		.amdhsa_float_denorm_mode_16_64 3
		.amdhsa_dx10_clamp 1
		.amdhsa_ieee_mode 1
		.amdhsa_fp16_overflow 0
		.amdhsa_tg_split 0
		.amdhsa_exception_fp_ieee_invalid_op 0
		.amdhsa_exception_fp_denorm_src 0
		.amdhsa_exception_fp_ieee_div_zero 0
		.amdhsa_exception_fp_ieee_overflow 0
		.amdhsa_exception_fp_ieee_underflow 0
		.amdhsa_exception_fp_ieee_inexact 0
		.amdhsa_exception_int_div_zero 0
	.end_amdhsa_kernel
	.section	.text._ZN2at6native27unrolled_elementwise_kernelIZZZNS0_23bitwise_not_kernel_cudaERNS_18TensorIteratorBaseEENKUlvE_clEvENKUlvE_clEvEUlhE_St5arrayIPcLm2EELi4E23TrivialOffsetCalculatorILi1EjESB_NS0_6memory15LoadWithoutCastENSC_16StoreWithoutCastEEEviT_T0_T2_T3_T4_T5_,"axG",@progbits,_ZN2at6native27unrolled_elementwise_kernelIZZZNS0_23bitwise_not_kernel_cudaERNS_18TensorIteratorBaseEENKUlvE_clEvENKUlvE_clEvEUlhE_St5arrayIPcLm2EELi4E23TrivialOffsetCalculatorILi1EjESB_NS0_6memory15LoadWithoutCastENSC_16StoreWithoutCastEEEviT_T0_T2_T3_T4_T5_,comdat
.Lfunc_end12:
	.size	_ZN2at6native27unrolled_elementwise_kernelIZZZNS0_23bitwise_not_kernel_cudaERNS_18TensorIteratorBaseEENKUlvE_clEvENKUlvE_clEvEUlhE_St5arrayIPcLm2EELi4E23TrivialOffsetCalculatorILi1EjESB_NS0_6memory15LoadWithoutCastENSC_16StoreWithoutCastEEEviT_T0_T2_T3_T4_T5_, .Lfunc_end12-_ZN2at6native27unrolled_elementwise_kernelIZZZNS0_23bitwise_not_kernel_cudaERNS_18TensorIteratorBaseEENKUlvE_clEvENKUlvE_clEvEUlhE_St5arrayIPcLm2EELi4E23TrivialOffsetCalculatorILi1EjESB_NS0_6memory15LoadWithoutCastENSC_16StoreWithoutCastEEEviT_T0_T2_T3_T4_T5_
                                        ; -- End function
	.set _ZN2at6native27unrolled_elementwise_kernelIZZZNS0_23bitwise_not_kernel_cudaERNS_18TensorIteratorBaseEENKUlvE_clEvENKUlvE_clEvEUlhE_St5arrayIPcLm2EELi4E23TrivialOffsetCalculatorILi1EjESB_NS0_6memory15LoadWithoutCastENSC_16StoreWithoutCastEEEviT_T0_T2_T3_T4_T5_.num_vgpr, 8
	.set _ZN2at6native27unrolled_elementwise_kernelIZZZNS0_23bitwise_not_kernel_cudaERNS_18TensorIteratorBaseEENKUlvE_clEvENKUlvE_clEvEUlhE_St5arrayIPcLm2EELi4E23TrivialOffsetCalculatorILi1EjESB_NS0_6memory15LoadWithoutCastENSC_16StoreWithoutCastEEEviT_T0_T2_T3_T4_T5_.num_agpr, 0
	.set _ZN2at6native27unrolled_elementwise_kernelIZZZNS0_23bitwise_not_kernel_cudaERNS_18TensorIteratorBaseEENKUlvE_clEvENKUlvE_clEvEUlhE_St5arrayIPcLm2EELi4E23TrivialOffsetCalculatorILi1EjESB_NS0_6memory15LoadWithoutCastENSC_16StoreWithoutCastEEEviT_T0_T2_T3_T4_T5_.numbered_sgpr, 16
	.set _ZN2at6native27unrolled_elementwise_kernelIZZZNS0_23bitwise_not_kernel_cudaERNS_18TensorIteratorBaseEENKUlvE_clEvENKUlvE_clEvEUlhE_St5arrayIPcLm2EELi4E23TrivialOffsetCalculatorILi1EjESB_NS0_6memory15LoadWithoutCastENSC_16StoreWithoutCastEEEviT_T0_T2_T3_T4_T5_.num_named_barrier, 0
	.set _ZN2at6native27unrolled_elementwise_kernelIZZZNS0_23bitwise_not_kernel_cudaERNS_18TensorIteratorBaseEENKUlvE_clEvENKUlvE_clEvEUlhE_St5arrayIPcLm2EELi4E23TrivialOffsetCalculatorILi1EjESB_NS0_6memory15LoadWithoutCastENSC_16StoreWithoutCastEEEviT_T0_T2_T3_T4_T5_.private_seg_size, 0
	.set _ZN2at6native27unrolled_elementwise_kernelIZZZNS0_23bitwise_not_kernel_cudaERNS_18TensorIteratorBaseEENKUlvE_clEvENKUlvE_clEvEUlhE_St5arrayIPcLm2EELi4E23TrivialOffsetCalculatorILi1EjESB_NS0_6memory15LoadWithoutCastENSC_16StoreWithoutCastEEEviT_T0_T2_T3_T4_T5_.uses_vcc, 1
	.set _ZN2at6native27unrolled_elementwise_kernelIZZZNS0_23bitwise_not_kernel_cudaERNS_18TensorIteratorBaseEENKUlvE_clEvENKUlvE_clEvEUlhE_St5arrayIPcLm2EELi4E23TrivialOffsetCalculatorILi1EjESB_NS0_6memory15LoadWithoutCastENSC_16StoreWithoutCastEEEviT_T0_T2_T3_T4_T5_.uses_flat_scratch, 0
	.set _ZN2at6native27unrolled_elementwise_kernelIZZZNS0_23bitwise_not_kernel_cudaERNS_18TensorIteratorBaseEENKUlvE_clEvENKUlvE_clEvEUlhE_St5arrayIPcLm2EELi4E23TrivialOffsetCalculatorILi1EjESB_NS0_6memory15LoadWithoutCastENSC_16StoreWithoutCastEEEviT_T0_T2_T3_T4_T5_.has_dyn_sized_stack, 0
	.set _ZN2at6native27unrolled_elementwise_kernelIZZZNS0_23bitwise_not_kernel_cudaERNS_18TensorIteratorBaseEENKUlvE_clEvENKUlvE_clEvEUlhE_St5arrayIPcLm2EELi4E23TrivialOffsetCalculatorILi1EjESB_NS0_6memory15LoadWithoutCastENSC_16StoreWithoutCastEEEviT_T0_T2_T3_T4_T5_.has_recursion, 0
	.set _ZN2at6native27unrolled_elementwise_kernelIZZZNS0_23bitwise_not_kernel_cudaERNS_18TensorIteratorBaseEENKUlvE_clEvENKUlvE_clEvEUlhE_St5arrayIPcLm2EELi4E23TrivialOffsetCalculatorILi1EjESB_NS0_6memory15LoadWithoutCastENSC_16StoreWithoutCastEEEviT_T0_T2_T3_T4_T5_.has_indirect_call, 0
	.section	.AMDGPU.csdata,"",@progbits
; Kernel info:
; codeLenInByte = 620
; TotalNumSgprs: 22
; NumVgprs: 8
; NumAgprs: 0
; TotalNumVgprs: 8
; ScratchSize: 0
; MemoryBound: 0
; FloatMode: 240
; IeeeMode: 1
; LDSByteSize: 0 bytes/workgroup (compile time only)
; SGPRBlocks: 2
; VGPRBlocks: 0
; NumSGPRsForWavesPerEU: 22
; NumVGPRsForWavesPerEU: 8
; AccumOffset: 8
; Occupancy: 8
; WaveLimiterHint : 0
; COMPUTE_PGM_RSRC2:SCRATCH_EN: 0
; COMPUTE_PGM_RSRC2:USER_SGPR: 2
; COMPUTE_PGM_RSRC2:TRAP_HANDLER: 0
; COMPUTE_PGM_RSRC2:TGID_X_EN: 1
; COMPUTE_PGM_RSRC2:TGID_Y_EN: 0
; COMPUTE_PGM_RSRC2:TGID_Z_EN: 0
; COMPUTE_PGM_RSRC2:TIDIG_COMP_CNT: 0
; COMPUTE_PGM_RSRC3_GFX90A:ACCUM_OFFSET: 1
; COMPUTE_PGM_RSRC3_GFX90A:TG_SPLIT: 0
	.section	.text._ZN2at6native32elementwise_kernel_manual_unrollILi128ELi8EZNS0_22gpu_kernel_impl_nocastIZZZNS0_23bitwise_not_kernel_cudaERNS_18TensorIteratorBaseEENKUlvE_clEvENKUlvE_clEvEUlhE_EEvS4_RKT_EUlibE_EEviT1_,"axG",@progbits,_ZN2at6native32elementwise_kernel_manual_unrollILi128ELi8EZNS0_22gpu_kernel_impl_nocastIZZZNS0_23bitwise_not_kernel_cudaERNS_18TensorIteratorBaseEENKUlvE_clEvENKUlvE_clEvEUlhE_EEvS4_RKT_EUlibE_EEviT1_,comdat
	.globl	_ZN2at6native32elementwise_kernel_manual_unrollILi128ELi8EZNS0_22gpu_kernel_impl_nocastIZZZNS0_23bitwise_not_kernel_cudaERNS_18TensorIteratorBaseEENKUlvE_clEvENKUlvE_clEvEUlhE_EEvS4_RKT_EUlibE_EEviT1_ ; -- Begin function _ZN2at6native32elementwise_kernel_manual_unrollILi128ELi8EZNS0_22gpu_kernel_impl_nocastIZZZNS0_23bitwise_not_kernel_cudaERNS_18TensorIteratorBaseEENKUlvE_clEvENKUlvE_clEvEUlhE_EEvS4_RKT_EUlibE_EEviT1_
	.p2align	8
	.type	_ZN2at6native32elementwise_kernel_manual_unrollILi128ELi8EZNS0_22gpu_kernel_impl_nocastIZZZNS0_23bitwise_not_kernel_cudaERNS_18TensorIteratorBaseEENKUlvE_clEvENKUlvE_clEvEUlhE_EEvS4_RKT_EUlibE_EEviT1_,@function
_ZN2at6native32elementwise_kernel_manual_unrollILi128ELi8EZNS0_22gpu_kernel_impl_nocastIZZZNS0_23bitwise_not_kernel_cudaERNS_18TensorIteratorBaseEENKUlvE_clEvENKUlvE_clEvEUlhE_EEvS4_RKT_EUlibE_EEviT1_: ; @_ZN2at6native32elementwise_kernel_manual_unrollILi128ELi8EZNS0_22gpu_kernel_impl_nocastIZZZNS0_23bitwise_not_kernel_cudaERNS_18TensorIteratorBaseEENKUlvE_clEvENKUlvE_clEvEUlhE_EEvS4_RKT_EUlibE_EEviT1_
; %bb.0:
	s_load_dword s55, s[0:1], 0x0
	s_load_dword s33, s[0:1], 0x8
	s_add_u32 s34, s0, 8
	s_addc_u32 s35, s1, 0
	v_lshl_or_b32 v24, s2, 10, v0
	v_or_b32_e32 v32, 0x380, v24
	s_waitcnt lgkmcnt(0)
	s_add_i32 s54, s33, -1
	s_cmp_gt_u32 s54, 1
	v_cmp_le_i32_e32 vcc, s55, v32
	s_cselect_b64 s[36:37], -1, 0
	s_and_saveexec_b64 s[0:1], vcc
	s_xor_b64 s[38:39], exec, s[0:1]
	s_cbranch_execz .LBB13_8
; %bb.1:
	s_load_dwordx4 s[24:27], s[34:35], 0x4
	s_load_dwordx2 s[40:41], s[34:35], 0x14
	s_load_dwordx4 s[20:23], s[34:35], 0xc4
	s_load_dwordx4 s[16:19], s[34:35], 0x148
	s_cmp_lg_u32 s33, 0
	s_cselect_b64 s[46:47], -1, 0
	s_add_u32 s44, s34, 0xc4
	s_addc_u32 s45, s35, 0
	s_min_u32 s56, s54, 15
	s_cmp_gt_u32 s33, 1
	s_cselect_b64 s[42:43], -1, 0
	v_cmp_gt_i32_e32 vcc, s55, v24
	s_and_saveexec_b64 s[48:49], vcc
	s_cbranch_execz .LBB13_15
; %bb.2:
	s_andn2_b64 vcc, exec, s[36:37]
	s_cbranch_vccnz .LBB13_23
; %bb.3:
	s_andn2_b64 vcc, exec, s[46:47]
	s_cbranch_vccnz .LBB13_131
; %bb.4:
	s_add_i32 s58, s56, 1
	s_cmp_eq_u32 s54, 2
	s_cbranch_scc1 .LBB13_133
; %bb.5:
	s_and_b32 s57, s58, 28
	s_mov_b32 s59, 0
	v_mov_b32_e32 v0, 0
	v_mov_b32_e32 v2, 0
	s_mov_b64 s[50:51], s[34:35]
	s_mov_b64 s[52:53], s[44:45]
	v_mov_b32_e32 v4, v24
.LBB13_6:                               ; =>This Inner Loop Header: Depth=1
	s_load_dwordx8 s[8:15], s[50:51], 0x4
	s_load_dwordx4 s[28:31], s[50:51], 0x24
	s_load_dwordx8 s[0:7], s[52:53], 0x0
	s_add_u32 s50, s50, 48
	s_addc_u32 s51, s51, 0
	s_waitcnt lgkmcnt(0)
	v_mul_hi_u32 v1, s9, v4
	v_add_u32_e32 v1, v4, v1
	v_lshrrev_b32_e32 v1, s10, v1
	v_mul_lo_u32 v3, v1, s8
	v_mul_hi_u32 v5, s12, v1
	v_sub_u32_e32 v3, v4, v3
	v_add_u32_e32 v4, v1, v5
	v_lshrrev_b32_e32 v4, s13, v4
	v_mul_lo_u32 v6, v4, s11
	v_mul_hi_u32 v7, s15, v4
	v_sub_u32_e32 v1, v1, v6
	v_add_u32_e32 v6, v4, v7
	v_mul_lo_u32 v5, v3, s1
	v_mul_lo_u32 v3, v3, s0
	;; [unrolled: 1-line block ×4, first 2 shown]
	v_lshrrev_b32_e32 v6, s28, v6
	v_add3_u32 v0, v3, v0, v1
	v_mul_hi_u32 v3, s30, v6
	v_add3_u32 v1, v5, v2, v7
	v_mul_lo_u32 v2, v6, s14
	v_add_u32_e32 v3, v6, v3
	v_sub_u32_e32 v2, v4, v2
	v_lshrrev_b32_e32 v4, s31, v3
	s_add_i32 s59, s59, 4
	v_mul_lo_u32 v3, v4, s29
	s_add_u32 s52, s52, 32
	v_sub_u32_e32 v3, v6, v3
	s_addc_u32 s53, s53, 0
	v_mul_lo_u32 v5, v2, s4
	v_mul_lo_u32 v2, v2, s5
	;; [unrolled: 1-line block ×4, first 2 shown]
	s_cmp_lg_u32 s57, s59
	v_add3_u32 v2, v2, v1, v3
	v_add3_u32 v0, v5, v0, v6
	s_cbranch_scc1 .LBB13_6
; %bb.7:
	v_mov_b32_e32 v1, v2
	s_branch .LBB13_134
.LBB13_8:
	s_andn2_saveexec_b64 s[0:1], s[38:39]
	s_cbranch_execz .LBB13_228
.LBB13_9:
	v_cndmask_b32_e64 v0, 0, 1, s[36:37]
	v_cmp_ne_u32_e64 s[0:1], 1, v0
	s_andn2_b64 vcc, exec, s[36:37]
	s_cbranch_vccnz .LBB13_22
; %bb.10:
	s_cmp_lg_u32 s33, 0
	s_waitcnt lgkmcnt(0)
	s_mov_b32 s26, 0
	s_cbranch_scc0 .LBB13_25
; %bb.11:
	s_min_u32 s27, s54, 15
	s_add_i32 s27, s27, 1
	s_cmp_eq_u32 s54, 2
	s_cbranch_scc1 .LBB13_26
; %bb.12:
	s_and_b32 s26, s27, 28
	s_add_u32 s2, s34, 0xc4
	s_addc_u32 s3, s35, 0
	s_mov_b32 s28, 0
	v_mov_b32_e32 v0, 0
	v_mov_b32_e32 v2, 0
	s_mov_b64 s[24:25], s[34:35]
	v_mov_b32_e32 v4, v24
.LBB13_13:                              ; =>This Inner Loop Header: Depth=1
	s_load_dwordx8 s[12:19], s[24:25], 0x4
	s_load_dwordx4 s[20:23], s[24:25], 0x24
	s_load_dwordx8 s[4:11], s[2:3], 0x0
	s_add_u32 s24, s24, 48
	s_addc_u32 s25, s25, 0
	s_waitcnt lgkmcnt(0)
	v_mul_hi_u32 v1, s13, v4
	v_add_u32_e32 v1, v4, v1
	v_lshrrev_b32_e32 v1, s14, v1
	v_mul_lo_u32 v3, v1, s12
	v_mul_hi_u32 v5, s16, v1
	v_sub_u32_e32 v3, v4, v3
	v_add_u32_e32 v4, v1, v5
	v_lshrrev_b32_e32 v4, s17, v4
	v_mul_lo_u32 v6, v4, s15
	v_mul_hi_u32 v7, s19, v4
	v_sub_u32_e32 v1, v1, v6
	v_add_u32_e32 v6, v4, v7
	v_mul_lo_u32 v5, v3, s5
	v_mul_lo_u32 v3, v3, s4
	;; [unrolled: 1-line block ×4, first 2 shown]
	v_lshrrev_b32_e32 v6, s20, v6
	v_add3_u32 v0, v3, v0, v1
	v_mul_hi_u32 v3, s22, v6
	v_add3_u32 v1, v5, v2, v7
	v_mul_lo_u32 v2, v6, s18
	v_add_u32_e32 v3, v6, v3
	v_sub_u32_e32 v2, v4, v2
	v_lshrrev_b32_e32 v4, s23, v3
	s_add_i32 s28, s28, 4
	v_mul_lo_u32 v3, v4, s21
	s_add_u32 s2, s2, 32
	v_sub_u32_e32 v3, v6, v3
	s_addc_u32 s3, s3, 0
	v_mul_lo_u32 v5, v2, s8
	v_mul_lo_u32 v2, v2, s9
	;; [unrolled: 1-line block ×4, first 2 shown]
	s_cmp_lg_u32 s26, s28
	v_add3_u32 v2, v2, v1, v3
	v_add3_u32 v0, v5, v0, v6
	s_cbranch_scc1 .LBB13_13
; %bb.14:
	v_mov_b32_e32 v1, v2
	s_and_b32 s6, s27, 3
	s_cmp_eq_u32 s6, 0
	s_cbranch_scc0 .LBB13_27
	s_branch .LBB13_29
.LBB13_15:
	s_or_b64 exec, exec, s[48:49]
	v_cmp_gt_i32_e32 vcc, s55, v24
	s_and_saveexec_b64 s[48:49], vcc
	s_cbranch_execz .LBB13_141
.LBB13_16:
	s_andn2_b64 vcc, exec, s[36:37]
	s_cbranch_vccnz .LBB13_24
; %bb.17:
	s_andn2_b64 vcc, exec, s[46:47]
	s_cbranch_vccnz .LBB13_132
; %bb.18:
	s_add_i32 s58, s56, 1
	s_cmp_eq_u32 s54, 2
	s_cbranch_scc1 .LBB13_150
; %bb.19:
	s_and_b32 s57, s58, 28
	s_mov_b32 s59, 0
	v_mov_b32_e32 v0, 0
	v_mov_b32_e32 v2, 0
	s_mov_b64 s[50:51], s[34:35]
	s_mov_b64 s[52:53], s[44:45]
	v_mov_b32_e32 v4, v24
.LBB13_20:                              ; =>This Inner Loop Header: Depth=1
	s_load_dwordx8 s[8:15], s[50:51], 0x4
	s_load_dwordx4 s[28:31], s[50:51], 0x24
	s_load_dwordx8 s[0:7], s[52:53], 0x0
	s_add_u32 s50, s50, 48
	s_addc_u32 s51, s51, 0
	s_waitcnt lgkmcnt(0)
	v_mul_hi_u32 v1, s9, v4
	v_add_u32_e32 v1, v4, v1
	v_lshrrev_b32_e32 v1, s10, v1
	v_mul_lo_u32 v3, v1, s8
	v_mul_hi_u32 v5, s12, v1
	v_sub_u32_e32 v3, v4, v3
	v_add_u32_e32 v4, v1, v5
	v_lshrrev_b32_e32 v4, s13, v4
	v_mul_lo_u32 v6, v4, s11
	v_mul_hi_u32 v7, s15, v4
	v_sub_u32_e32 v1, v1, v6
	v_add_u32_e32 v6, v4, v7
	v_mul_lo_u32 v5, v3, s1
	v_mul_lo_u32 v3, v3, s0
	;; [unrolled: 1-line block ×4, first 2 shown]
	v_lshrrev_b32_e32 v6, s28, v6
	v_add3_u32 v0, v3, v0, v1
	v_mul_hi_u32 v3, s30, v6
	v_add3_u32 v1, v5, v2, v7
	v_mul_lo_u32 v2, v6, s14
	v_add_u32_e32 v3, v6, v3
	v_sub_u32_e32 v2, v4, v2
	v_lshrrev_b32_e32 v4, s31, v3
	s_add_i32 s59, s59, 4
	v_mul_lo_u32 v3, v4, s29
	s_add_u32 s52, s52, 32
	v_sub_u32_e32 v3, v6, v3
	s_addc_u32 s53, s53, 0
	v_mul_lo_u32 v5, v2, s4
	v_mul_lo_u32 v2, v2, s5
	;; [unrolled: 1-line block ×4, first 2 shown]
	s_cmp_eq_u32 s57, s59
	v_add3_u32 v2, v2, v1, v3
	v_add3_u32 v0, v5, v0, v6
	s_cbranch_scc0 .LBB13_20
; %bb.21:
	v_mov_b32_e32 v1, v2
	s_branch .LBB13_151
.LBB13_22:
                                        ; implicit-def: $vgpr2
                                        ; implicit-def: $vgpr0
	s_branch .LBB13_30
.LBB13_23:
                                        ; implicit-def: $vgpr2
                                        ; implicit-def: $vgpr0
	s_branch .LBB13_138
.LBB13_24:
                                        ; implicit-def: $vgpr2
                                        ; implicit-def: $vgpr0
	s_branch .LBB13_155
.LBB13_25:
	v_mov_b32_e32 v2, 0
	v_mov_b32_e32 v0, 0
	s_branch .LBB13_29
.LBB13_26:
	v_mov_b32_e32 v0, 0
                                        ; implicit-def: $vgpr2
	v_mov_b32_e32 v1, v0
	v_mov_b32_e32 v4, v24
	s_and_b32 s6, s27, 3
	s_cmp_eq_u32 s6, 0
	s_cbranch_scc1 .LBB13_29
.LBB13_27:
	s_lshl_b32 s2, s26, 3
	s_add_u32 s2, s34, s2
	s_addc_u32 s3, s35, 0
	s_add_u32 s2, s2, 0xc4
	s_addc_u32 s3, s3, 0
	s_mul_i32 s4, s26, 12
	s_add_u32 s4, s34, s4
	s_addc_u32 s5, s35, 0
.LBB13_28:                              ; =>This Inner Loop Header: Depth=1
	s_load_dwordx2 s[8:9], s[4:5], 0x4
	s_load_dword s7, s[4:5], 0xc
	s_load_dwordx2 s[10:11], s[2:3], 0x0
	v_mov_b32_e32 v2, v1
	s_add_u32 s4, s4, 12
	s_waitcnt lgkmcnt(0)
	v_mul_hi_u32 v1, s9, v4
	v_add_u32_e32 v1, v4, v1
	v_lshrrev_b32_e32 v1, s7, v1
	s_addc_u32 s5, s5, 0
	v_mul_lo_u32 v3, v1, s8
	s_add_u32 s2, s2, 8
	v_sub_u32_e32 v5, v4, v3
	s_addc_u32 s3, s3, 0
	s_add_i32 s6, s6, -1
	v_mov_b32_e32 v4, v1
	v_mad_u64_u32 v[2:3], s[8:9], v5, s11, v[2:3]
	v_mad_u64_u32 v[0:1], s[8:9], v5, s10, v[0:1]
	s_cmp_lg_u32 s6, 0
	v_mov_b32_e32 v1, v2
	s_cbranch_scc1 .LBB13_28
.LBB13_29:
	s_cbranch_execnz .LBB13_32
.LBB13_30:
	s_load_dwordx4 s[4:7], s[34:35], 0x4
	s_load_dwordx2 s[2:3], s[34:35], 0xc4
	s_cmp_lt_u32 s33, 2
	s_waitcnt lgkmcnt(0)
	v_mul_hi_u32 v0, s5, v24
	v_add_u32_e32 v0, v24, v0
	v_lshrrev_b32_e32 v1, s6, v0
	v_mul_lo_u32 v0, v1, s4
	v_sub_u32_e32 v0, v24, v0
	v_mul_lo_u32 v2, v0, s3
	v_mul_lo_u32 v0, v0, s2
	s_cbranch_scc1 .LBB13_32
; %bb.31:
	s_load_dwordx4 s[4:7], s[34:35], 0x10
	s_load_dwordx2 s[2:3], s[34:35], 0xcc
	s_waitcnt lgkmcnt(0)
	v_mul_hi_u32 v3, s5, v1
	v_add_u32_e32 v3, v1, v3
	v_lshrrev_b32_e32 v3, s6, v3
	v_mul_lo_u32 v3, v3, s4
	v_sub_u32_e32 v3, v1, v3
	v_mad_u64_u32 v[0:1], s[4:5], v3, s2, v[0:1]
	v_mad_u64_u32 v[2:3], s[2:3], v3, s3, v[2:3]
.LBB13_32:
	s_and_b64 vcc, exec, s[0:1]
	v_add_u32_e32 v3, 0x80, v24
	s_cbranch_vccnz .LBB13_38
; %bb.33:
	s_cmp_lg_u32 s33, 0
	s_waitcnt lgkmcnt(0)
	s_mov_b32 s26, 0
	s_cbranch_scc0 .LBB13_39
; %bb.34:
	s_min_u32 s27, s54, 15
	s_add_i32 s27, s27, 1
	s_cmp_eq_u32 s54, 2
	s_cbranch_scc1 .LBB13_40
; %bb.35:
	s_and_b32 s26, s27, 28
	s_add_u32 s2, s34, 0xc4
	s_addc_u32 s3, s35, 0
	s_mov_b32 s28, 0
	v_mov_b32_e32 v4, 0
	v_mov_b32_e32 v6, 0
	s_mov_b64 s[24:25], s[34:35]
	v_mov_b32_e32 v8, v3
.LBB13_36:                              ; =>This Inner Loop Header: Depth=1
	s_load_dwordx8 s[12:19], s[24:25], 0x4
	s_load_dwordx4 s[20:23], s[24:25], 0x24
	s_load_dwordx8 s[4:11], s[2:3], 0x0
	s_add_u32 s24, s24, 48
	s_addc_u32 s25, s25, 0
	s_waitcnt lgkmcnt(0)
	v_mul_hi_u32 v1, s13, v8
	v_add_u32_e32 v1, v8, v1
	v_lshrrev_b32_e32 v1, s14, v1
	v_mul_hi_u32 v7, s16, v1
	v_add_u32_e32 v7, v1, v7
	v_lshrrev_b32_e32 v7, s17, v7
	v_mul_lo_u32 v5, v1, s12
	v_mul_lo_u32 v9, v7, s15
	v_mul_hi_u32 v10, s19, v7
	v_sub_u32_e32 v5, v8, v5
	v_sub_u32_e32 v1, v1, v9
	v_add_u32_e32 v9, v7, v10
	v_mul_lo_u32 v8, v5, s5
	v_mul_lo_u32 v5, v5, s4
	;; [unrolled: 1-line block ×4, first 2 shown]
	v_lshrrev_b32_e32 v9, s20, v9
	v_add3_u32 v1, v5, v4, v1
	v_add3_u32 v4, v8, v6, v10
	v_mul_hi_u32 v6, s22, v9
	v_add_u32_e32 v6, v9, v6
	v_lshrrev_b32_e32 v8, s23, v6
	s_add_i32 s28, s28, 4
	v_mul_lo_u32 v5, v9, s18
	v_mul_lo_u32 v6, v8, s21
	s_add_u32 s2, s2, 32
	v_sub_u32_e32 v5, v7, v5
	v_sub_u32_e32 v6, v9, v6
	s_addc_u32 s3, s3, 0
	v_mul_lo_u32 v7, v5, s8
	v_mul_lo_u32 v5, v5, s9
	;; [unrolled: 1-line block ×4, first 2 shown]
	s_cmp_lg_u32 s26, s28
	v_add3_u32 v6, v5, v4, v6
	v_add3_u32 v4, v7, v1, v9
	s_cbranch_scc1 .LBB13_36
; %bb.37:
	v_mov_b32_e32 v1, v6
	s_and_b32 s6, s27, 3
	s_cmp_eq_u32 s6, 0
	s_cbranch_scc0 .LBB13_41
	s_branch .LBB13_43
.LBB13_38:
                                        ; implicit-def: $vgpr6
                                        ; implicit-def: $vgpr4
	s_branch .LBB13_44
.LBB13_39:
	v_mov_b32_e32 v6, 0
	v_mov_b32_e32 v4, 0
	s_branch .LBB13_43
.LBB13_40:
	v_mov_b32_e32 v4, 0
                                        ; implicit-def: $vgpr6
	v_mov_b32_e32 v1, v4
	v_mov_b32_e32 v8, v3
	s_and_b32 s6, s27, 3
	s_cmp_eq_u32 s6, 0
	s_cbranch_scc1 .LBB13_43
.LBB13_41:
	s_lshl_b32 s2, s26, 3
	s_add_u32 s2, s34, s2
	s_addc_u32 s3, s35, 0
	s_add_u32 s2, s2, 0xc4
	s_addc_u32 s3, s3, 0
	s_mul_i32 s4, s26, 12
	s_add_u32 s4, s34, s4
	s_addc_u32 s5, s35, 0
.LBB13_42:                              ; =>This Inner Loop Header: Depth=1
	s_load_dwordx2 s[8:9], s[4:5], 0x4
	s_load_dword s7, s[4:5], 0xc
	s_load_dwordx2 s[10:11], s[2:3], 0x0
	v_mov_b32_e32 v6, v1
	s_add_u32 s4, s4, 12
	s_waitcnt lgkmcnt(0)
	v_mul_hi_u32 v1, s9, v8
	v_add_u32_e32 v1, v8, v1
	v_lshrrev_b32_e32 v1, s7, v1
	s_addc_u32 s5, s5, 0
	v_mul_lo_u32 v5, v1, s8
	s_add_u32 s2, s2, 8
	v_sub_u32_e32 v5, v8, v5
	s_addc_u32 s3, s3, 0
	s_add_i32 s6, s6, -1
	v_mad_u64_u32 v[6:7], s[8:9], v5, s11, v[6:7]
	s_cmp_lg_u32 s6, 0
	v_mov_b32_e32 v8, v1
	v_mad_u64_u32 v[4:5], s[8:9], v5, s10, v[4:5]
	v_mov_b32_e32 v1, v6
	s_cbranch_scc1 .LBB13_42
.LBB13_43:
	s_cbranch_execnz .LBB13_46
.LBB13_44:
	s_load_dwordx4 s[4:7], s[34:35], 0x4
	s_load_dwordx2 s[2:3], s[34:35], 0xc4
	s_cmp_lt_u32 s33, 2
	s_waitcnt lgkmcnt(0)
	v_mul_hi_u32 v1, s5, v3
	v_add_u32_e32 v1, v3, v1
	v_lshrrev_b32_e32 v1, s6, v1
	v_mul_lo_u32 v4, v1, s4
	v_sub_u32_e32 v3, v3, v4
	v_mul_lo_u32 v6, v3, s3
	v_mul_lo_u32 v4, v3, s2
	s_cbranch_scc1 .LBB13_46
; %bb.45:
	s_load_dwordx4 s[4:7], s[34:35], 0x10
	s_load_dwordx2 s[2:3], s[34:35], 0xcc
	s_waitcnt lgkmcnt(0)
	v_mul_hi_u32 v3, s5, v1
	v_add_u32_e32 v3, v1, v3
	v_lshrrev_b32_e32 v3, s6, v3
	v_mul_lo_u32 v3, v3, s4
	v_sub_u32_e32 v1, v1, v3
	v_mad_u64_u32 v[4:5], s[4:5], v1, s2, v[4:5]
	v_mad_u64_u32 v[6:7], s[2:3], v1, s3, v[6:7]
.LBB13_46:
	s_and_b64 vcc, exec, s[0:1]
	v_add_u32_e32 v3, 0x100, v24
	s_cbranch_vccnz .LBB13_52
; %bb.47:
	s_cmp_lg_u32 s33, 0
	s_waitcnt lgkmcnt(0)
	s_mov_b32 s26, 0
	s_cbranch_scc0 .LBB13_53
; %bb.48:
	s_min_u32 s27, s54, 15
	s_add_i32 s27, s27, 1
	s_cmp_eq_u32 s54, 2
	s_cbranch_scc1 .LBB13_54
; %bb.49:
	s_and_b32 s26, s27, 28
	s_add_u32 s2, s34, 0xc4
	s_addc_u32 s3, s35, 0
	s_mov_b32 s28, 0
	v_mov_b32_e32 v8, 0
	v_mov_b32_e32 v10, 0
	s_mov_b64 s[24:25], s[34:35]
	v_mov_b32_e32 v5, v3
.LBB13_50:                              ; =>This Inner Loop Header: Depth=1
	s_load_dwordx8 s[12:19], s[24:25], 0x4
	s_load_dwordx4 s[20:23], s[24:25], 0x24
	s_load_dwordx8 s[4:11], s[2:3], 0x0
	s_add_u32 s24, s24, 48
	s_addc_u32 s25, s25, 0
	s_waitcnt lgkmcnt(0)
	v_mul_hi_u32 v1, s13, v5
	v_add_u32_e32 v1, v5, v1
	v_lshrrev_b32_e32 v1, s14, v1
	v_mul_lo_u32 v7, v1, s12
	v_mul_hi_u32 v9, s16, v1
	v_sub_u32_e32 v5, v5, v7
	v_add_u32_e32 v7, v1, v9
	v_lshrrev_b32_e32 v7, s17, v7
	v_mul_lo_u32 v11, v7, s15
	v_mul_hi_u32 v12, s19, v7
	v_sub_u32_e32 v1, v1, v11
	v_add_u32_e32 v11, v7, v12
	v_mul_lo_u32 v9, v5, s5
	v_mul_lo_u32 v5, v5, s4
	;; [unrolled: 1-line block ×4, first 2 shown]
	v_lshrrev_b32_e32 v11, s20, v11
	v_add3_u32 v1, v5, v8, v1
	v_add3_u32 v8, v9, v10, v12
	v_mul_lo_u32 v5, v11, s18
	v_mul_hi_u32 v9, s22, v11
	v_sub_u32_e32 v5, v7, v5
	v_add_u32_e32 v7, v11, v9
	v_mul_lo_u32 v9, v5, s8
	v_mul_lo_u32 v10, v5, s9
	v_lshrrev_b32_e32 v5, s23, v7
	s_add_i32 s28, s28, 4
	v_mul_lo_u32 v7, v5, s21
	s_add_u32 s2, s2, 32
	v_sub_u32_e32 v7, v11, v7
	s_addc_u32 s3, s3, 0
	v_mul_lo_u32 v11, v7, s10
	v_mul_lo_u32 v7, v7, s11
	s_cmp_lg_u32 s26, s28
	v_add3_u32 v10, v10, v8, v7
	v_add3_u32 v8, v9, v1, v11
	s_cbranch_scc1 .LBB13_50
; %bb.51:
	v_mov_b32_e32 v1, v10
	s_and_b32 s6, s27, 3
	s_cmp_eq_u32 s6, 0
	s_cbranch_scc0 .LBB13_55
	s_branch .LBB13_57
.LBB13_52:
                                        ; implicit-def: $vgpr10
                                        ; implicit-def: $vgpr8
	s_branch .LBB13_58
.LBB13_53:
	v_mov_b32_e32 v10, 0
	v_mov_b32_e32 v8, 0
	s_branch .LBB13_57
.LBB13_54:
	v_mov_b32_e32 v8, 0
                                        ; implicit-def: $vgpr10
	v_mov_b32_e32 v1, v8
	v_mov_b32_e32 v5, v3
	s_and_b32 s6, s27, 3
	s_cmp_eq_u32 s6, 0
	s_cbranch_scc1 .LBB13_57
.LBB13_55:
	s_lshl_b32 s2, s26, 3
	s_add_u32 s2, s34, s2
	s_addc_u32 s3, s35, 0
	s_add_u32 s2, s2, 0xc4
	s_addc_u32 s3, s3, 0
	s_mul_i32 s4, s26, 12
	s_add_u32 s4, s34, s4
	s_addc_u32 s5, s35, 0
.LBB13_56:                              ; =>This Inner Loop Header: Depth=1
	s_load_dwordx2 s[8:9], s[4:5], 0x4
	s_load_dword s7, s[4:5], 0xc
	s_load_dwordx2 s[10:11], s[2:3], 0x0
	v_mov_b32_e32 v10, v1
	s_add_u32 s4, s4, 12
	s_waitcnt lgkmcnt(0)
	v_mul_hi_u32 v1, s9, v5
	v_add_u32_e32 v1, v5, v1
	v_lshrrev_b32_e32 v1, s7, v1
	s_addc_u32 s5, s5, 0
	v_mul_lo_u32 v7, v1, s8
	s_add_u32 s2, s2, 8
	v_sub_u32_e32 v7, v5, v7
	s_addc_u32 s3, s3, 0
	s_add_i32 s6, s6, -1
	v_mad_u64_u32 v[10:11], s[8:9], v7, s11, v[10:11]
	s_cmp_lg_u32 s6, 0
	v_mov_b32_e32 v5, v1
	v_mad_u64_u32 v[8:9], s[8:9], v7, s10, v[8:9]
	v_mov_b32_e32 v1, v10
	s_cbranch_scc1 .LBB13_56
.LBB13_57:
	s_cbranch_execnz .LBB13_60
.LBB13_58:
	s_load_dwordx4 s[4:7], s[34:35], 0x4
	s_load_dwordx2 s[2:3], s[34:35], 0xc4
	s_cmp_lt_u32 s33, 2
	s_waitcnt lgkmcnt(0)
	v_mul_hi_u32 v1, s5, v3
	v_add_u32_e32 v1, v3, v1
	v_lshrrev_b32_e32 v1, s6, v1
	v_mul_lo_u32 v5, v1, s4
	v_sub_u32_e32 v3, v3, v5
	v_mul_lo_u32 v10, v3, s3
	v_mul_lo_u32 v8, v3, s2
	s_cbranch_scc1 .LBB13_60
; %bb.59:
	s_load_dwordx4 s[4:7], s[34:35], 0x10
	s_load_dwordx2 s[2:3], s[34:35], 0xcc
	s_waitcnt lgkmcnt(0)
	v_mul_hi_u32 v3, s5, v1
	v_add_u32_e32 v3, v1, v3
	v_lshrrev_b32_e32 v3, s6, v3
	v_mul_lo_u32 v3, v3, s4
	v_sub_u32_e32 v1, v1, v3
	v_mad_u64_u32 v[8:9], s[4:5], v1, s2, v[8:9]
	v_mad_u64_u32 v[10:11], s[2:3], v1, s3, v[10:11]
.LBB13_60:
	s_and_b64 vcc, exec, s[0:1]
	v_add_u32_e32 v3, 0x180, v24
	s_cbranch_vccnz .LBB13_66
; %bb.61:
	s_cmp_lg_u32 s33, 0
	s_waitcnt lgkmcnt(0)
	s_mov_b32 s26, 0
	s_cbranch_scc0 .LBB13_67
; %bb.62:
	s_min_u32 s27, s54, 15
	s_add_i32 s27, s27, 1
	s_cmp_eq_u32 s54, 2
	s_cbranch_scc1 .LBB13_68
; %bb.63:
	s_and_b32 s26, s27, 28
	s_add_u32 s2, s34, 0xc4
	s_addc_u32 s3, s35, 0
	s_mov_b32 s28, 0
	v_mov_b32_e32 v12, 0
	v_mov_b32_e32 v14, 0
	s_mov_b64 s[24:25], s[34:35]
	v_mov_b32_e32 v5, v3
.LBB13_64:                              ; =>This Inner Loop Header: Depth=1
	s_load_dwordx8 s[12:19], s[24:25], 0x4
	s_load_dwordx4 s[20:23], s[24:25], 0x24
	s_load_dwordx8 s[4:11], s[2:3], 0x0
	s_add_u32 s24, s24, 48
	s_addc_u32 s25, s25, 0
	s_waitcnt lgkmcnt(0)
	v_mul_hi_u32 v1, s13, v5
	v_add_u32_e32 v1, v5, v1
	v_lshrrev_b32_e32 v1, s14, v1
	v_mul_lo_u32 v7, v1, s12
	v_mul_hi_u32 v9, s16, v1
	v_sub_u32_e32 v5, v5, v7
	v_add_u32_e32 v7, v1, v9
	v_lshrrev_b32_e32 v7, s17, v7
	v_mul_lo_u32 v11, v7, s15
	v_mul_hi_u32 v13, s19, v7
	v_sub_u32_e32 v1, v1, v11
	v_add_u32_e32 v11, v7, v13
	v_mul_lo_u32 v9, v5, s5
	v_mul_lo_u32 v5, v5, s4
	;; [unrolled: 1-line block ×4, first 2 shown]
	v_lshrrev_b32_e32 v11, s20, v11
	v_add3_u32 v1, v5, v12, v1
	v_mul_lo_u32 v5, v11, s18
	v_mul_hi_u32 v12, s22, v11
	v_sub_u32_e32 v5, v7, v5
	v_add_u32_e32 v7, v11, v12
	v_add3_u32 v9, v9, v14, v13
	v_mul_lo_u32 v12, v5, s8
	v_mul_lo_u32 v13, v5, s9
	v_lshrrev_b32_e32 v5, s23, v7
	s_add_i32 s28, s28, 4
	v_mul_lo_u32 v7, v5, s21
	s_add_u32 s2, s2, 32
	v_sub_u32_e32 v7, v11, v7
	s_addc_u32 s3, s3, 0
	v_mul_lo_u32 v11, v7, s10
	v_mul_lo_u32 v7, v7, s11
	s_cmp_lg_u32 s26, s28
	v_add3_u32 v14, v13, v9, v7
	v_add3_u32 v12, v12, v1, v11
	s_cbranch_scc1 .LBB13_64
; %bb.65:
	v_mov_b32_e32 v1, v14
	s_and_b32 s6, s27, 3
	s_cmp_eq_u32 s6, 0
	s_cbranch_scc0 .LBB13_69
	s_branch .LBB13_71
.LBB13_66:
                                        ; implicit-def: $vgpr14
                                        ; implicit-def: $vgpr12
	s_branch .LBB13_72
.LBB13_67:
	v_mov_b32_e32 v14, 0
	v_mov_b32_e32 v12, 0
	s_branch .LBB13_71
.LBB13_68:
	v_mov_b32_e32 v12, 0
                                        ; implicit-def: $vgpr14
	v_mov_b32_e32 v1, v12
	v_mov_b32_e32 v5, v3
	s_and_b32 s6, s27, 3
	s_cmp_eq_u32 s6, 0
	s_cbranch_scc1 .LBB13_71
.LBB13_69:
	s_lshl_b32 s2, s26, 3
	s_add_u32 s2, s34, s2
	s_addc_u32 s3, s35, 0
	s_add_u32 s2, s2, 0xc4
	s_addc_u32 s3, s3, 0
	s_mul_i32 s4, s26, 12
	s_add_u32 s4, s34, s4
	s_addc_u32 s5, s35, 0
.LBB13_70:                              ; =>This Inner Loop Header: Depth=1
	s_load_dwordx2 s[8:9], s[4:5], 0x4
	s_load_dword s7, s[4:5], 0xc
	s_load_dwordx2 s[10:11], s[2:3], 0x0
	v_mov_b32_e32 v14, v1
	s_add_u32 s4, s4, 12
	s_waitcnt lgkmcnt(0)
	v_mul_hi_u32 v1, s9, v5
	v_add_u32_e32 v1, v5, v1
	v_lshrrev_b32_e32 v1, s7, v1
	s_addc_u32 s5, s5, 0
	v_mul_lo_u32 v7, v1, s8
	s_add_u32 s2, s2, 8
	v_sub_u32_e32 v7, v5, v7
	s_addc_u32 s3, s3, 0
	s_add_i32 s6, s6, -1
	v_mad_u64_u32 v[14:15], s[8:9], v7, s11, v[14:15]
	s_cmp_lg_u32 s6, 0
	v_mov_b32_e32 v5, v1
	v_mad_u64_u32 v[12:13], s[8:9], v7, s10, v[12:13]
	v_mov_b32_e32 v1, v14
	s_cbranch_scc1 .LBB13_70
.LBB13_71:
	s_cbranch_execnz .LBB13_74
.LBB13_72:
	s_load_dwordx4 s[4:7], s[34:35], 0x4
	s_load_dwordx2 s[2:3], s[34:35], 0xc4
	s_cmp_lt_u32 s33, 2
	s_waitcnt lgkmcnt(0)
	v_mul_hi_u32 v1, s5, v3
	v_add_u32_e32 v1, v3, v1
	v_lshrrev_b32_e32 v1, s6, v1
	v_mul_lo_u32 v5, v1, s4
	v_sub_u32_e32 v3, v3, v5
	v_mul_lo_u32 v14, v3, s3
	v_mul_lo_u32 v12, v3, s2
	s_cbranch_scc1 .LBB13_74
; %bb.73:
	s_load_dwordx4 s[4:7], s[34:35], 0x10
	s_load_dwordx2 s[2:3], s[34:35], 0xcc
	s_waitcnt lgkmcnt(0)
	v_mul_hi_u32 v3, s5, v1
	v_add_u32_e32 v3, v1, v3
	v_lshrrev_b32_e32 v3, s6, v3
	v_mul_lo_u32 v3, v3, s4
	v_sub_u32_e32 v1, v1, v3
	v_mad_u64_u32 v[12:13], s[4:5], v1, s2, v[12:13]
	v_mad_u64_u32 v[14:15], s[2:3], v1, s3, v[14:15]
.LBB13_74:
	s_and_b64 vcc, exec, s[0:1]
	v_add_u32_e32 v3, 0x200, v24
	s_cbranch_vccnz .LBB13_80
; %bb.75:
	s_cmp_lg_u32 s33, 0
	s_waitcnt lgkmcnt(0)
	s_mov_b32 s26, 0
	s_cbranch_scc0 .LBB13_81
; %bb.76:
	s_min_u32 s27, s54, 15
	s_add_i32 s27, s27, 1
	s_cmp_eq_u32 s54, 2
	s_cbranch_scc1 .LBB13_82
; %bb.77:
	s_and_b32 s26, s27, 28
	s_add_u32 s2, s34, 0xc4
	s_addc_u32 s3, s35, 0
	s_mov_b32 s28, 0
	v_mov_b32_e32 v16, 0
	v_mov_b32_e32 v18, 0
	s_mov_b64 s[24:25], s[34:35]
	v_mov_b32_e32 v5, v3
.LBB13_78:                              ; =>This Inner Loop Header: Depth=1
	s_load_dwordx8 s[12:19], s[24:25], 0x4
	s_load_dwordx4 s[20:23], s[24:25], 0x24
	s_load_dwordx8 s[4:11], s[2:3], 0x0
	s_add_u32 s24, s24, 48
	s_addc_u32 s25, s25, 0
	s_waitcnt lgkmcnt(0)
	v_mul_hi_u32 v1, s13, v5
	v_add_u32_e32 v1, v5, v1
	v_lshrrev_b32_e32 v1, s14, v1
	v_mul_lo_u32 v7, v1, s12
	v_mul_hi_u32 v9, s16, v1
	v_sub_u32_e32 v5, v5, v7
	v_add_u32_e32 v7, v1, v9
	v_lshrrev_b32_e32 v7, s17, v7
	v_mul_lo_u32 v11, v7, s15
	v_mul_hi_u32 v13, s19, v7
	v_sub_u32_e32 v1, v1, v11
	v_add_u32_e32 v11, v7, v13
	v_mul_lo_u32 v9, v5, s5
	v_mul_lo_u32 v5, v5, s4
	;; [unrolled: 1-line block ×4, first 2 shown]
	v_lshrrev_b32_e32 v11, s20, v11
	v_add3_u32 v1, v5, v16, v1
	v_add3_u32 v9, v9, v18, v13
	v_mul_lo_u32 v5, v11, s18
	v_mul_hi_u32 v13, s22, v11
	v_sub_u32_e32 v5, v7, v5
	v_add_u32_e32 v7, v11, v13
	v_mul_lo_u32 v13, v5, s8
	v_mul_lo_u32 v15, v5, s9
	v_lshrrev_b32_e32 v5, s23, v7
	s_add_i32 s28, s28, 4
	v_mul_lo_u32 v7, v5, s21
	s_add_u32 s2, s2, 32
	v_sub_u32_e32 v7, v11, v7
	s_addc_u32 s3, s3, 0
	v_mul_lo_u32 v11, v7, s10
	v_mul_lo_u32 v7, v7, s11
	s_cmp_lg_u32 s26, s28
	v_add3_u32 v18, v15, v9, v7
	v_add3_u32 v16, v13, v1, v11
	s_cbranch_scc1 .LBB13_78
; %bb.79:
	v_mov_b32_e32 v1, v18
	s_and_b32 s6, s27, 3
	s_cmp_eq_u32 s6, 0
	s_cbranch_scc0 .LBB13_83
	s_branch .LBB13_85
.LBB13_80:
                                        ; implicit-def: $vgpr18
                                        ; implicit-def: $vgpr16
	s_branch .LBB13_86
.LBB13_81:
	v_mov_b32_e32 v18, 0
	v_mov_b32_e32 v16, 0
	s_branch .LBB13_85
.LBB13_82:
	v_mov_b32_e32 v16, 0
                                        ; implicit-def: $vgpr18
	v_mov_b32_e32 v1, v16
	v_mov_b32_e32 v5, v3
	s_and_b32 s6, s27, 3
	s_cmp_eq_u32 s6, 0
	s_cbranch_scc1 .LBB13_85
.LBB13_83:
	s_lshl_b32 s2, s26, 3
	s_add_u32 s2, s34, s2
	s_addc_u32 s3, s35, 0
	s_add_u32 s2, s2, 0xc4
	s_addc_u32 s3, s3, 0
	s_mul_i32 s4, s26, 12
	s_add_u32 s4, s34, s4
	s_addc_u32 s5, s35, 0
.LBB13_84:                              ; =>This Inner Loop Header: Depth=1
	s_load_dwordx2 s[8:9], s[4:5], 0x4
	s_load_dword s7, s[4:5], 0xc
	s_load_dwordx2 s[10:11], s[2:3], 0x0
	v_mov_b32_e32 v18, v1
	s_add_u32 s4, s4, 12
	s_waitcnt lgkmcnt(0)
	v_mul_hi_u32 v1, s9, v5
	v_add_u32_e32 v1, v5, v1
	v_lshrrev_b32_e32 v1, s7, v1
	s_addc_u32 s5, s5, 0
	v_mul_lo_u32 v7, v1, s8
	s_add_u32 s2, s2, 8
	v_sub_u32_e32 v7, v5, v7
	s_addc_u32 s3, s3, 0
	s_add_i32 s6, s6, -1
	v_mad_u64_u32 v[18:19], s[8:9], v7, s11, v[18:19]
	s_cmp_lg_u32 s6, 0
	v_mov_b32_e32 v5, v1
	v_mad_u64_u32 v[16:17], s[8:9], v7, s10, v[16:17]
	v_mov_b32_e32 v1, v18
	s_cbranch_scc1 .LBB13_84
.LBB13_85:
	s_cbranch_execnz .LBB13_88
.LBB13_86:
	s_load_dwordx4 s[4:7], s[34:35], 0x4
	s_load_dwordx2 s[2:3], s[34:35], 0xc4
	s_cmp_lt_u32 s33, 2
	s_waitcnt lgkmcnt(0)
	v_mul_hi_u32 v1, s5, v3
	v_add_u32_e32 v1, v3, v1
	v_lshrrev_b32_e32 v1, s6, v1
	v_mul_lo_u32 v5, v1, s4
	v_sub_u32_e32 v3, v3, v5
	v_mul_lo_u32 v18, v3, s3
	v_mul_lo_u32 v16, v3, s2
	s_cbranch_scc1 .LBB13_88
; %bb.87:
	s_load_dwordx4 s[4:7], s[34:35], 0x10
	s_load_dwordx2 s[2:3], s[34:35], 0xcc
	s_waitcnt lgkmcnt(0)
	v_mul_hi_u32 v3, s5, v1
	v_add_u32_e32 v3, v1, v3
	v_lshrrev_b32_e32 v3, s6, v3
	v_mul_lo_u32 v3, v3, s4
	v_sub_u32_e32 v1, v1, v3
	v_mad_u64_u32 v[16:17], s[4:5], v1, s2, v[16:17]
	v_mad_u64_u32 v[18:19], s[2:3], v1, s3, v[18:19]
.LBB13_88:
	s_and_b64 vcc, exec, s[0:1]
	v_add_u32_e32 v3, 0x280, v24
	s_cbranch_vccnz .LBB13_94
; %bb.89:
	s_cmp_lg_u32 s33, 0
	s_waitcnt lgkmcnt(0)
	s_mov_b32 s26, 0
	s_cbranch_scc0 .LBB13_95
; %bb.90:
	s_min_u32 s27, s54, 15
	s_add_i32 s27, s27, 1
	s_cmp_eq_u32 s54, 2
	s_cbranch_scc1 .LBB13_96
; %bb.91:
	s_and_b32 s26, s27, 28
	s_add_u32 s2, s34, 0xc4
	s_addc_u32 s3, s35, 0
	s_mov_b32 s28, 0
	v_mov_b32_e32 v20, 0
	v_mov_b32_e32 v22, 0
	s_mov_b64 s[24:25], s[34:35]
	v_mov_b32_e32 v5, v3
.LBB13_92:                              ; =>This Inner Loop Header: Depth=1
	s_load_dwordx8 s[12:19], s[24:25], 0x4
	s_load_dwordx4 s[20:23], s[24:25], 0x24
	s_load_dwordx8 s[4:11], s[2:3], 0x0
	s_add_u32 s24, s24, 48
	s_addc_u32 s25, s25, 0
	s_waitcnt lgkmcnt(0)
	v_mul_hi_u32 v1, s13, v5
	v_add_u32_e32 v1, v5, v1
	v_lshrrev_b32_e32 v1, s14, v1
	v_mul_lo_u32 v7, v1, s12
	v_mul_hi_u32 v9, s16, v1
	v_sub_u32_e32 v5, v5, v7
	v_add_u32_e32 v7, v1, v9
	v_lshrrev_b32_e32 v7, s17, v7
	v_mul_lo_u32 v11, v7, s15
	v_mul_hi_u32 v13, s19, v7
	v_sub_u32_e32 v1, v1, v11
	v_add_u32_e32 v11, v7, v13
	v_mul_lo_u32 v9, v5, s5
	v_mul_lo_u32 v5, v5, s4
	;; [unrolled: 1-line block ×4, first 2 shown]
	v_lshrrev_b32_e32 v11, s20, v11
	v_add3_u32 v1, v5, v20, v1
	v_add3_u32 v9, v9, v22, v13
	v_mul_lo_u32 v5, v11, s18
	v_mul_hi_u32 v13, s22, v11
	v_sub_u32_e32 v5, v7, v5
	v_add_u32_e32 v7, v11, v13
	v_mul_lo_u32 v13, v5, s8
	v_mul_lo_u32 v15, v5, s9
	v_lshrrev_b32_e32 v5, s23, v7
	s_add_i32 s28, s28, 4
	v_mul_lo_u32 v7, v5, s21
	s_add_u32 s2, s2, 32
	v_sub_u32_e32 v7, v11, v7
	s_addc_u32 s3, s3, 0
	v_mul_lo_u32 v11, v7, s10
	v_mul_lo_u32 v7, v7, s11
	s_cmp_lg_u32 s26, s28
	v_add3_u32 v22, v15, v9, v7
	v_add3_u32 v20, v13, v1, v11
	s_cbranch_scc1 .LBB13_92
; %bb.93:
	v_mov_b32_e32 v1, v22
	s_and_b32 s6, s27, 3
	s_cmp_eq_u32 s6, 0
	s_cbranch_scc0 .LBB13_97
	s_branch .LBB13_99
.LBB13_94:
                                        ; implicit-def: $vgpr22
                                        ; implicit-def: $vgpr20
	s_branch .LBB13_100
.LBB13_95:
	v_mov_b32_e32 v22, 0
	v_mov_b32_e32 v20, 0
	s_branch .LBB13_99
.LBB13_96:
	v_mov_b32_e32 v20, 0
                                        ; implicit-def: $vgpr22
	v_mov_b32_e32 v1, v20
	v_mov_b32_e32 v5, v3
	s_and_b32 s6, s27, 3
	s_cmp_eq_u32 s6, 0
	s_cbranch_scc1 .LBB13_99
.LBB13_97:
	s_lshl_b32 s2, s26, 3
	s_add_u32 s2, s34, s2
	s_addc_u32 s3, s35, 0
	s_add_u32 s2, s2, 0xc4
	s_addc_u32 s3, s3, 0
	s_mul_i32 s4, s26, 12
	s_add_u32 s4, s34, s4
	s_addc_u32 s5, s35, 0
.LBB13_98:                              ; =>This Inner Loop Header: Depth=1
	s_load_dwordx2 s[8:9], s[4:5], 0x4
	s_load_dword s7, s[4:5], 0xc
	s_load_dwordx2 s[10:11], s[2:3], 0x0
	v_mov_b32_e32 v22, v1
	s_add_u32 s4, s4, 12
	s_waitcnt lgkmcnt(0)
	v_mul_hi_u32 v1, s9, v5
	v_add_u32_e32 v1, v5, v1
	v_lshrrev_b32_e32 v1, s7, v1
	s_addc_u32 s5, s5, 0
	v_mul_lo_u32 v7, v1, s8
	s_add_u32 s2, s2, 8
	v_sub_u32_e32 v7, v5, v7
	s_addc_u32 s3, s3, 0
	s_add_i32 s6, s6, -1
	v_mad_u64_u32 v[22:23], s[8:9], v7, s11, v[22:23]
	s_cmp_lg_u32 s6, 0
	v_mov_b32_e32 v5, v1
	v_mad_u64_u32 v[20:21], s[8:9], v7, s10, v[20:21]
	v_mov_b32_e32 v1, v22
	s_cbranch_scc1 .LBB13_98
.LBB13_99:
	s_cbranch_execnz .LBB13_102
.LBB13_100:
	s_load_dwordx4 s[4:7], s[34:35], 0x4
	s_load_dwordx2 s[2:3], s[34:35], 0xc4
	s_cmp_lt_u32 s33, 2
	s_waitcnt lgkmcnt(0)
	v_mul_hi_u32 v1, s5, v3
	v_add_u32_e32 v1, v3, v1
	v_lshrrev_b32_e32 v1, s6, v1
	v_mul_lo_u32 v5, v1, s4
	v_sub_u32_e32 v3, v3, v5
	v_mul_lo_u32 v22, v3, s3
	v_mul_lo_u32 v20, v3, s2
	s_cbranch_scc1 .LBB13_102
; %bb.101:
	s_load_dwordx4 s[4:7], s[34:35], 0x10
	s_load_dwordx2 s[2:3], s[34:35], 0xcc
	s_waitcnt lgkmcnt(0)
	v_mul_hi_u32 v3, s5, v1
	v_add_u32_e32 v3, v1, v3
	v_lshrrev_b32_e32 v3, s6, v3
	v_mul_lo_u32 v3, v3, s4
	v_sub_u32_e32 v1, v1, v3
	v_mad_u64_u32 v[20:21], s[4:5], v1, s2, v[20:21]
	v_mad_u64_u32 v[22:23], s[2:3], v1, s3, v[22:23]
.LBB13_102:
	s_and_b64 vcc, exec, s[0:1]
	v_add_u32_e32 v3, 0x300, v24
	s_cbranch_vccnz .LBB13_108
; %bb.103:
	s_cmp_lg_u32 s33, 0
	s_waitcnt lgkmcnt(0)
	s_mov_b32 s26, 0
	s_cbranch_scc0 .LBB13_109
; %bb.104:
	s_min_u32 s27, s54, 15
	s_add_i32 s27, s27, 1
	s_cmp_eq_u32 s54, 2
	s_cbranch_scc1 .LBB13_110
; %bb.105:
	s_and_b32 s26, s27, 28
	s_add_u32 s2, s34, 0xc4
	s_addc_u32 s3, s35, 0
	s_mov_b32 s28, 0
	v_mov_b32_e32 v24, 0
	v_mov_b32_e32 v26, 0
	s_mov_b64 s[24:25], s[34:35]
	v_mov_b32_e32 v5, v3
.LBB13_106:                             ; =>This Inner Loop Header: Depth=1
	s_load_dwordx8 s[12:19], s[24:25], 0x4
	s_load_dwordx4 s[20:23], s[24:25], 0x24
	s_load_dwordx8 s[4:11], s[2:3], 0x0
	s_add_u32 s24, s24, 48
	s_addc_u32 s25, s25, 0
	s_waitcnt lgkmcnt(0)
	v_mul_hi_u32 v1, s13, v5
	v_add_u32_e32 v1, v5, v1
	v_lshrrev_b32_e32 v1, s14, v1
	v_mul_lo_u32 v7, v1, s12
	v_mul_hi_u32 v9, s16, v1
	v_sub_u32_e32 v5, v5, v7
	v_add_u32_e32 v7, v1, v9
	v_lshrrev_b32_e32 v7, s17, v7
	v_mul_lo_u32 v11, v7, s15
	v_mul_hi_u32 v13, s19, v7
	v_sub_u32_e32 v1, v1, v11
	v_add_u32_e32 v11, v7, v13
	v_mul_lo_u32 v9, v5, s5
	v_mul_lo_u32 v5, v5, s4
	;; [unrolled: 1-line block ×4, first 2 shown]
	v_lshrrev_b32_e32 v11, s20, v11
	v_add3_u32 v1, v5, v24, v1
	v_add3_u32 v9, v9, v26, v13
	v_mul_lo_u32 v5, v11, s18
	v_mul_hi_u32 v13, s22, v11
	v_sub_u32_e32 v5, v7, v5
	v_add_u32_e32 v7, v11, v13
	v_mul_lo_u32 v13, v5, s8
	v_mul_lo_u32 v15, v5, s9
	v_lshrrev_b32_e32 v5, s23, v7
	s_add_i32 s28, s28, 4
	v_mul_lo_u32 v7, v5, s21
	s_add_u32 s2, s2, 32
	v_sub_u32_e32 v7, v11, v7
	s_addc_u32 s3, s3, 0
	v_mul_lo_u32 v11, v7, s10
	v_mul_lo_u32 v7, v7, s11
	s_cmp_lg_u32 s26, s28
	v_add3_u32 v26, v15, v9, v7
	v_add3_u32 v24, v13, v1, v11
	s_cbranch_scc1 .LBB13_106
; %bb.107:
	v_mov_b32_e32 v1, v26
	s_and_b32 s6, s27, 3
	s_cmp_eq_u32 s6, 0
	s_cbranch_scc0 .LBB13_111
	s_branch .LBB13_113
.LBB13_108:
                                        ; implicit-def: $vgpr26
                                        ; implicit-def: $vgpr24
	s_branch .LBB13_114
.LBB13_109:
	v_mov_b32_e32 v26, 0
	v_mov_b32_e32 v24, 0
	s_branch .LBB13_113
.LBB13_110:
	v_mov_b32_e32 v24, 0
                                        ; implicit-def: $vgpr26
	v_mov_b32_e32 v1, v24
	v_mov_b32_e32 v5, v3
	s_and_b32 s6, s27, 3
	s_cmp_eq_u32 s6, 0
	s_cbranch_scc1 .LBB13_113
.LBB13_111:
	s_lshl_b32 s2, s26, 3
	s_add_u32 s2, s34, s2
	s_addc_u32 s3, s35, 0
	s_add_u32 s2, s2, 0xc4
	s_addc_u32 s3, s3, 0
	s_mul_i32 s4, s26, 12
	s_add_u32 s4, s34, s4
	s_addc_u32 s5, s35, 0
.LBB13_112:                             ; =>This Inner Loop Header: Depth=1
	s_load_dwordx2 s[8:9], s[4:5], 0x4
	s_load_dword s7, s[4:5], 0xc
	s_load_dwordx2 s[10:11], s[2:3], 0x0
	v_mov_b32_e32 v26, v1
	s_add_u32 s4, s4, 12
	s_waitcnt lgkmcnt(0)
	v_mul_hi_u32 v1, s9, v5
	v_add_u32_e32 v1, v5, v1
	v_lshrrev_b32_e32 v1, s7, v1
	s_addc_u32 s5, s5, 0
	v_mul_lo_u32 v7, v1, s8
	s_add_u32 s2, s2, 8
	v_sub_u32_e32 v7, v5, v7
	s_addc_u32 s3, s3, 0
	s_add_i32 s6, s6, -1
	v_mad_u64_u32 v[26:27], s[8:9], v7, s11, v[26:27]
	s_cmp_lg_u32 s6, 0
	v_mov_b32_e32 v5, v1
	v_mad_u64_u32 v[24:25], s[8:9], v7, s10, v[24:25]
	v_mov_b32_e32 v1, v26
	s_cbranch_scc1 .LBB13_112
.LBB13_113:
	s_cbranch_execnz .LBB13_116
.LBB13_114:
	s_load_dwordx4 s[4:7], s[34:35], 0x4
	s_load_dwordx2 s[2:3], s[34:35], 0xc4
	s_cmp_lt_u32 s33, 2
	s_waitcnt lgkmcnt(0)
	v_mul_hi_u32 v1, s5, v3
	v_add_u32_e32 v1, v3, v1
	v_lshrrev_b32_e32 v1, s6, v1
	v_mul_lo_u32 v5, v1, s4
	v_sub_u32_e32 v3, v3, v5
	v_mul_lo_u32 v26, v3, s3
	v_mul_lo_u32 v24, v3, s2
	s_cbranch_scc1 .LBB13_116
; %bb.115:
	s_load_dwordx4 s[4:7], s[34:35], 0x10
	s_load_dwordx2 s[2:3], s[34:35], 0xcc
	s_waitcnt lgkmcnt(0)
	v_mul_hi_u32 v3, s5, v1
	v_add_u32_e32 v3, v1, v3
	v_lshrrev_b32_e32 v3, s6, v3
	v_mul_lo_u32 v3, v3, s4
	v_sub_u32_e32 v1, v1, v3
	v_mad_u64_u32 v[24:25], s[4:5], v1, s2, v[24:25]
	v_mad_u64_u32 v[26:27], s[2:3], v1, s3, v[26:27]
.LBB13_116:
	s_and_b64 vcc, exec, s[0:1]
	s_cbranch_vccnz .LBB13_122
; %bb.117:
	s_cmp_lg_u32 s33, 0
	s_waitcnt lgkmcnt(0)
	s_mov_b32 s24, 0
	s_cbranch_scc0 .LBB13_123
; %bb.118:
	s_min_u32 s25, s54, 15
	s_add_i32 s25, s25, 1
	s_cmp_eq_u32 s54, 2
	s_cbranch_scc1 .LBB13_124
; %bb.119:
	s_and_b32 s24, s25, 28
	s_add_u32 s20, s34, 0xc4
	s_addc_u32 s21, s35, 0
	s_mov_b32 s26, 0
	v_mov_b32_e32 v28, 0
	v_mov_b32_e32 v30, 0
	s_mov_b64 s[22:23], s[34:35]
	v_mov_b32_e32 v3, v32
.LBB13_120:                             ; =>This Inner Loop Header: Depth=1
	s_load_dwordx8 s[8:15], s[22:23], 0x4
	s_load_dwordx4 s[16:19], s[22:23], 0x24
	s_load_dwordx8 s[0:7], s[20:21], 0x0
	s_add_u32 s22, s22, 48
	s_addc_u32 s23, s23, 0
	s_waitcnt lgkmcnt(0)
	v_mul_hi_u32 v1, s9, v3
	v_add_u32_e32 v1, v3, v1
	v_lshrrev_b32_e32 v1, s10, v1
	v_mul_lo_u32 v5, v1, s8
	v_mul_hi_u32 v7, s12, v1
	v_sub_u32_e32 v3, v3, v5
	v_add_u32_e32 v5, v1, v7
	v_lshrrev_b32_e32 v5, s13, v5
	v_mul_lo_u32 v9, v5, s11
	v_mul_hi_u32 v11, s15, v5
	v_sub_u32_e32 v1, v1, v9
	v_add_u32_e32 v9, v5, v11
	v_mul_lo_u32 v7, v3, s1
	v_mul_lo_u32 v3, v3, s0
	;; [unrolled: 1-line block ×4, first 2 shown]
	v_lshrrev_b32_e32 v9, s16, v9
	v_add3_u32 v1, v3, v28, v1
	v_add3_u32 v7, v7, v30, v11
	v_mul_lo_u32 v3, v9, s14
	v_mul_hi_u32 v11, s18, v9
	v_sub_u32_e32 v3, v5, v3
	v_add_u32_e32 v5, v9, v11
	v_mul_lo_u32 v11, v3, s4
	v_mul_lo_u32 v13, v3, s5
	v_lshrrev_b32_e32 v3, s19, v5
	s_add_i32 s26, s26, 4
	v_mul_lo_u32 v5, v3, s17
	s_add_u32 s20, s20, 32
	v_sub_u32_e32 v5, v9, v5
	s_addc_u32 s21, s21, 0
	v_mul_lo_u32 v9, v5, s6
	v_mul_lo_u32 v5, v5, s7
	s_cmp_lg_u32 s24, s26
	v_add3_u32 v30, v13, v7, v5
	v_add3_u32 v28, v11, v1, v9
	s_cbranch_scc1 .LBB13_120
; %bb.121:
	v_mov_b32_e32 v1, v30
	s_and_b32 s4, s25, 3
	s_cmp_eq_u32 s4, 0
	s_cbranch_scc0 .LBB13_125
	s_branch .LBB13_127
.LBB13_122:
                                        ; implicit-def: $vgpr30
                                        ; implicit-def: $vgpr28
	s_branch .LBB13_128
.LBB13_123:
	v_mov_b32_e32 v30, 0
	v_mov_b32_e32 v28, 0
	s_branch .LBB13_127
.LBB13_124:
	v_mov_b32_e32 v28, 0
                                        ; implicit-def: $vgpr30
	v_mov_b32_e32 v1, v28
	v_mov_b32_e32 v3, v32
	s_and_b32 s4, s25, 3
	s_cmp_eq_u32 s4, 0
	s_cbranch_scc1 .LBB13_127
.LBB13_125:
	s_lshl_b32 s0, s24, 3
	s_add_u32 s0, s34, s0
	s_addc_u32 s1, s35, 0
	s_add_u32 s0, s0, 0xc4
	s_addc_u32 s1, s1, 0
	s_mul_i32 s2, s24, 12
	s_add_u32 s2, s34, s2
	s_addc_u32 s3, s35, 0
.LBB13_126:                             ; =>This Inner Loop Header: Depth=1
	s_load_dwordx2 s[6:7], s[2:3], 0x4
	s_load_dword s5, s[2:3], 0xc
	s_load_dwordx2 s[8:9], s[0:1], 0x0
	v_mov_b32_e32 v30, v1
	s_add_u32 s2, s2, 12
	s_waitcnt lgkmcnt(0)
	v_mul_hi_u32 v1, s7, v3
	v_add_u32_e32 v1, v3, v1
	v_lshrrev_b32_e32 v1, s5, v1
	s_addc_u32 s3, s3, 0
	v_mul_lo_u32 v5, v1, s6
	s_add_u32 s0, s0, 8
	v_sub_u32_e32 v5, v3, v5
	s_addc_u32 s1, s1, 0
	s_add_i32 s4, s4, -1
	v_mad_u64_u32 v[30:31], s[6:7], v5, s9, v[30:31]
	s_cmp_lg_u32 s4, 0
	v_mov_b32_e32 v3, v1
	v_mad_u64_u32 v[28:29], s[6:7], v5, s8, v[28:29]
	v_mov_b32_e32 v1, v30
	s_cbranch_scc1 .LBB13_126
.LBB13_127:
	s_cbranch_execnz .LBB13_130
.LBB13_128:
	s_load_dwordx4 s[0:3], s[34:35], 0x4
	s_load_dwordx2 s[4:5], s[34:35], 0xc4
	s_cmp_lt_u32 s33, 2
	s_waitcnt lgkmcnt(0)
	v_mul_hi_u32 v1, s1, v32
	v_add_u32_e32 v1, v32, v1
	v_lshrrev_b32_e32 v1, s2, v1
	v_mul_lo_u32 v3, v1, s0
	v_sub_u32_e32 v3, v32, v3
	v_mul_lo_u32 v30, v3, s5
	v_mul_lo_u32 v28, v3, s4
	s_cbranch_scc1 .LBB13_130
; %bb.129:
	s_load_dwordx4 s[0:3], s[34:35], 0x10
	s_load_dwordx2 s[4:5], s[34:35], 0xcc
	s_waitcnt lgkmcnt(0)
	v_mul_hi_u32 v3, s1, v1
	v_add_u32_e32 v3, v1, v3
	v_lshrrev_b32_e32 v3, s2, v3
	v_mul_lo_u32 v3, v3, s0
	v_sub_u32_e32 v1, v1, v3
	v_mad_u64_u32 v[28:29], s[0:1], v1, s4, v[28:29]
	v_mad_u64_u32 v[30:31], s[0:1], v1, s5, v[30:31]
.LBB13_130:
	s_load_dwordx4 s[0:3], s[34:35], 0x148
	s_waitcnt lgkmcnt(0)
	global_load_ubyte v1, v2, s[2:3]
	global_load_ubyte v3, v6, s[2:3]
	;; [unrolled: 1-line block ×8, first 2 shown]
	s_waitcnt vmcnt(7)
	v_xor_b32_e32 v1, -1, v1
	s_waitcnt vmcnt(6)
	v_xor_b32_e32 v2, -1, v3
	;; [unrolled: 2-line block ×8, first 2 shown]
	global_store_byte v0, v1, s[0:1]
	global_store_byte v4, v2, s[0:1]
	;; [unrolled: 1-line block ×8, first 2 shown]
	s_endpgm
.LBB13_131:
	v_mov_b32_e32 v2, 0
	v_mov_b32_e32 v0, 0
	s_branch .LBB13_137
.LBB13_132:
	v_mov_b32_e32 v2, 0
	v_mov_b32_e32 v0, 0
	s_branch .LBB13_154
.LBB13_133:
	v_mov_b32_e32 v0, 0
	s_mov_b32 s57, 0
	v_mov_b32_e32 v1, v0
                                        ; implicit-def: $vgpr2
	v_mov_b32_e32 v4, v24
.LBB13_134:
	s_and_b32 s4, s58, 3
	s_cmp_eq_u32 s4, 0
	s_cbranch_scc1 .LBB13_137
; %bb.135:
	s_lshl_b32 s0, s57, 3
	s_add_u32 s0, s34, s0
	s_addc_u32 s1, s35, 0
	s_add_u32 s0, s0, 0xc4
	s_addc_u32 s1, s1, 0
	s_mul_i32 s2, s57, 12
	s_add_u32 s2, s34, s2
	s_addc_u32 s3, s35, 0
.LBB13_136:                             ; =>This Inner Loop Header: Depth=1
	s_load_dwordx2 s[6:7], s[2:3], 0x4
	s_load_dword s5, s[2:3], 0xc
	s_load_dwordx2 s[8:9], s[0:1], 0x0
	v_mov_b32_e32 v2, v1
	s_add_u32 s2, s2, 12
	s_waitcnt lgkmcnt(0)
	v_mul_hi_u32 v1, s7, v4
	v_add_u32_e32 v1, v4, v1
	v_lshrrev_b32_e32 v1, s5, v1
	s_addc_u32 s3, s3, 0
	v_mul_lo_u32 v3, v1, s6
	s_add_u32 s0, s0, 8
	v_sub_u32_e32 v5, v4, v3
	s_addc_u32 s1, s1, 0
	s_add_i32 s4, s4, -1
	v_mov_b32_e32 v4, v1
	v_mad_u64_u32 v[2:3], s[6:7], v5, s9, v[2:3]
	v_mad_u64_u32 v[0:1], s[6:7], v5, s8, v[0:1]
	s_cmp_lg_u32 s4, 0
	v_mov_b32_e32 v1, v2
	s_cbranch_scc1 .LBB13_136
.LBB13_137:
	s_cbranch_execnz .LBB13_140
.LBB13_138:
	s_waitcnt lgkmcnt(0)
	v_mul_hi_u32 v0, s25, v24
	v_add_u32_e32 v0, v24, v0
	v_lshrrev_b32_e32 v1, s26, v0
	v_mul_lo_u32 v0, v1, s24
	v_sub_u32_e32 v0, v24, v0
	v_mul_lo_u32 v2, v0, s21
	s_andn2_b64 vcc, exec, s[42:43]
	v_mul_lo_u32 v0, v0, s20
	s_cbranch_vccnz .LBB13_140
; %bb.139:
	v_mul_hi_u32 v3, s40, v1
	v_add_u32_e32 v3, v1, v3
	v_lshrrev_b32_e32 v3, s41, v3
	v_mul_lo_u32 v3, v3, s27
	v_sub_u32_e32 v3, v1, v3
	v_mad_u64_u32 v[0:1], s[0:1], v3, s22, v[0:1]
	v_mad_u64_u32 v[2:3], s[0:1], v3, s23, v[2:3]
.LBB13_140:
	s_waitcnt lgkmcnt(0)
	global_load_ubyte v1, v2, s[18:19]
	v_add_u32_e32 v24, 0x80, v24
	s_waitcnt vmcnt(0)
	v_xor_b32_e32 v1, -1, v1
	global_store_byte v0, v1, s[16:17]
	s_or_b64 exec, exec, s[48:49]
	v_cmp_gt_i32_e32 vcc, s55, v24
	s_and_saveexec_b64 s[48:49], vcc
	s_cbranch_execnz .LBB13_16
.LBB13_141:
	s_or_b64 exec, exec, s[48:49]
	v_cmp_gt_i32_e32 vcc, s55, v24
	s_and_saveexec_b64 s[48:49], vcc
	s_cbranch_execz .LBB13_158
.LBB13_142:
	s_andn2_b64 vcc, exec, s[36:37]
	s_cbranch_vccnz .LBB13_148
; %bb.143:
	s_andn2_b64 vcc, exec, s[46:47]
	s_cbranch_vccnz .LBB13_149
; %bb.144:
	s_add_i32 s58, s56, 1
	s_cmp_eq_u32 s54, 2
	s_cbranch_scc1 .LBB13_167
; %bb.145:
	s_and_b32 s57, s58, 28
	s_mov_b32 s59, 0
	v_mov_b32_e32 v0, 0
	v_mov_b32_e32 v2, 0
	s_mov_b64 s[50:51], s[34:35]
	s_mov_b64 s[52:53], s[44:45]
	v_mov_b32_e32 v4, v24
.LBB13_146:                             ; =>This Inner Loop Header: Depth=1
	s_load_dwordx8 s[8:15], s[50:51], 0x4
	s_load_dwordx4 s[28:31], s[50:51], 0x24
	s_load_dwordx8 s[0:7], s[52:53], 0x0
	s_add_u32 s50, s50, 48
	s_addc_u32 s51, s51, 0
	s_waitcnt lgkmcnt(0)
	v_mul_hi_u32 v1, s9, v4
	v_add_u32_e32 v1, v4, v1
	v_lshrrev_b32_e32 v1, s10, v1
	v_mul_lo_u32 v3, v1, s8
	v_mul_hi_u32 v5, s12, v1
	v_sub_u32_e32 v3, v4, v3
	v_add_u32_e32 v4, v1, v5
	v_lshrrev_b32_e32 v4, s13, v4
	v_mul_lo_u32 v6, v4, s11
	v_mul_hi_u32 v7, s15, v4
	v_sub_u32_e32 v1, v1, v6
	v_add_u32_e32 v6, v4, v7
	v_mul_lo_u32 v5, v3, s1
	v_mul_lo_u32 v3, v3, s0
	;; [unrolled: 1-line block ×4, first 2 shown]
	v_lshrrev_b32_e32 v6, s28, v6
	v_add3_u32 v0, v3, v0, v1
	v_mul_hi_u32 v3, s30, v6
	v_add3_u32 v1, v5, v2, v7
	v_mul_lo_u32 v2, v6, s14
	v_add_u32_e32 v3, v6, v3
	v_sub_u32_e32 v2, v4, v2
	v_lshrrev_b32_e32 v4, s31, v3
	s_add_i32 s59, s59, 4
	v_mul_lo_u32 v3, v4, s29
	s_add_u32 s52, s52, 32
	v_sub_u32_e32 v3, v6, v3
	s_addc_u32 s53, s53, 0
	v_mul_lo_u32 v5, v2, s4
	v_mul_lo_u32 v2, v2, s5
	;; [unrolled: 1-line block ×4, first 2 shown]
	s_cmp_eq_u32 s57, s59
	v_add3_u32 v2, v2, v1, v3
	v_add3_u32 v0, v5, v0, v6
	s_cbranch_scc0 .LBB13_146
; %bb.147:
	v_mov_b32_e32 v1, v2
	s_branch .LBB13_168
.LBB13_148:
                                        ; implicit-def: $vgpr2
                                        ; implicit-def: $vgpr0
	s_branch .LBB13_172
.LBB13_149:
	v_mov_b32_e32 v2, 0
	v_mov_b32_e32 v0, 0
	s_branch .LBB13_171
.LBB13_150:
	v_mov_b32_e32 v0, 0
	s_mov_b32 s57, 0
	v_mov_b32_e32 v1, v0
                                        ; implicit-def: $vgpr2
	v_mov_b32_e32 v4, v24
.LBB13_151:
	s_and_b32 s4, s58, 3
	s_cmp_eq_u32 s4, 0
	s_cbranch_scc1 .LBB13_154
; %bb.152:
	s_lshl_b32 s0, s57, 3
	s_add_u32 s0, s34, s0
	s_addc_u32 s1, s35, 0
	s_add_u32 s0, s0, 0xc4
	s_addc_u32 s1, s1, 0
	s_mul_i32 s2, s57, 12
	s_add_u32 s2, s34, s2
	s_addc_u32 s3, s35, 0
.LBB13_153:                             ; =>This Inner Loop Header: Depth=1
	s_load_dwordx2 s[6:7], s[2:3], 0x4
	s_load_dword s5, s[2:3], 0xc
	s_load_dwordx2 s[8:9], s[0:1], 0x0
	v_mov_b32_e32 v2, v1
	s_add_u32 s2, s2, 12
	s_waitcnt lgkmcnt(0)
	v_mul_hi_u32 v1, s7, v4
	v_add_u32_e32 v1, v4, v1
	v_lshrrev_b32_e32 v1, s5, v1
	s_addc_u32 s3, s3, 0
	v_mul_lo_u32 v3, v1, s6
	s_add_u32 s0, s0, 8
	v_sub_u32_e32 v5, v4, v3
	s_addc_u32 s1, s1, 0
	s_add_i32 s4, s4, -1
	v_mov_b32_e32 v4, v1
	v_mad_u64_u32 v[2:3], s[6:7], v5, s9, v[2:3]
	v_mad_u64_u32 v[0:1], s[6:7], v5, s8, v[0:1]
	s_cmp_lg_u32 s4, 0
	v_mov_b32_e32 v1, v2
	s_cbranch_scc1 .LBB13_153
.LBB13_154:
	s_cbranch_execnz .LBB13_157
.LBB13_155:
	s_waitcnt lgkmcnt(0)
	v_mul_hi_u32 v0, s25, v24
	v_add_u32_e32 v0, v24, v0
	v_lshrrev_b32_e32 v1, s26, v0
	v_mul_lo_u32 v0, v1, s24
	v_sub_u32_e32 v0, v24, v0
	v_mul_lo_u32 v2, v0, s21
	s_andn2_b64 vcc, exec, s[42:43]
	v_mul_lo_u32 v0, v0, s20
	s_cbranch_vccnz .LBB13_157
; %bb.156:
	v_mul_hi_u32 v3, s40, v1
	v_add_u32_e32 v3, v1, v3
	v_lshrrev_b32_e32 v3, s41, v3
	v_mul_lo_u32 v3, v3, s27
	v_sub_u32_e32 v3, v1, v3
	v_mad_u64_u32 v[0:1], s[0:1], v3, s22, v[0:1]
	v_mad_u64_u32 v[2:3], s[0:1], v3, s23, v[2:3]
.LBB13_157:
	s_waitcnt lgkmcnt(0)
	global_load_ubyte v1, v2, s[18:19]
	v_add_u32_e32 v24, 0x80, v24
	s_waitcnt vmcnt(0)
	v_xor_b32_e32 v1, -1, v1
	global_store_byte v0, v1, s[16:17]
	s_or_b64 exec, exec, s[48:49]
	v_cmp_gt_i32_e32 vcc, s55, v24
	s_and_saveexec_b64 s[48:49], vcc
	s_cbranch_execnz .LBB13_142
.LBB13_158:
	s_or_b64 exec, exec, s[48:49]
	v_cmp_gt_i32_e32 vcc, s55, v24
	s_and_saveexec_b64 s[48:49], vcc
	s_cbranch_execz .LBB13_175
.LBB13_159:
	s_andn2_b64 vcc, exec, s[36:37]
	s_cbranch_vccnz .LBB13_165
; %bb.160:
	s_andn2_b64 vcc, exec, s[46:47]
	s_cbranch_vccnz .LBB13_166
; %bb.161:
	s_add_i32 s58, s56, 1
	s_cmp_eq_u32 s54, 2
	s_cbranch_scc1 .LBB13_184
; %bb.162:
	s_and_b32 s57, s58, 28
	s_mov_b32 s59, 0
	v_mov_b32_e32 v0, 0
	v_mov_b32_e32 v2, 0
	s_mov_b64 s[50:51], s[34:35]
	s_mov_b64 s[52:53], s[44:45]
	v_mov_b32_e32 v4, v24
.LBB13_163:                             ; =>This Inner Loop Header: Depth=1
	s_load_dwordx8 s[8:15], s[50:51], 0x4
	s_load_dwordx4 s[28:31], s[50:51], 0x24
	s_load_dwordx8 s[0:7], s[52:53], 0x0
	s_add_u32 s50, s50, 48
	s_addc_u32 s51, s51, 0
	s_waitcnt lgkmcnt(0)
	v_mul_hi_u32 v1, s9, v4
	v_add_u32_e32 v1, v4, v1
	v_lshrrev_b32_e32 v1, s10, v1
	v_mul_lo_u32 v3, v1, s8
	v_mul_hi_u32 v5, s12, v1
	v_sub_u32_e32 v3, v4, v3
	v_add_u32_e32 v4, v1, v5
	v_lshrrev_b32_e32 v4, s13, v4
	v_mul_lo_u32 v6, v4, s11
	v_mul_hi_u32 v7, s15, v4
	v_sub_u32_e32 v1, v1, v6
	v_add_u32_e32 v6, v4, v7
	v_mul_lo_u32 v5, v3, s1
	v_mul_lo_u32 v3, v3, s0
	;; [unrolled: 1-line block ×4, first 2 shown]
	v_lshrrev_b32_e32 v6, s28, v6
	v_add3_u32 v0, v3, v0, v1
	v_mul_hi_u32 v3, s30, v6
	v_add3_u32 v1, v5, v2, v7
	v_mul_lo_u32 v2, v6, s14
	v_add_u32_e32 v3, v6, v3
	v_sub_u32_e32 v2, v4, v2
	v_lshrrev_b32_e32 v4, s31, v3
	s_add_i32 s59, s59, 4
	v_mul_lo_u32 v3, v4, s29
	s_add_u32 s52, s52, 32
	v_sub_u32_e32 v3, v6, v3
	s_addc_u32 s53, s53, 0
	v_mul_lo_u32 v5, v2, s4
	v_mul_lo_u32 v2, v2, s5
	;; [unrolled: 1-line block ×4, first 2 shown]
	s_cmp_eq_u32 s57, s59
	v_add3_u32 v2, v2, v1, v3
	v_add3_u32 v0, v5, v0, v6
	s_cbranch_scc0 .LBB13_163
; %bb.164:
	v_mov_b32_e32 v1, v2
	s_branch .LBB13_185
.LBB13_165:
                                        ; implicit-def: $vgpr2
                                        ; implicit-def: $vgpr0
	s_branch .LBB13_189
.LBB13_166:
	v_mov_b32_e32 v2, 0
	v_mov_b32_e32 v0, 0
	s_branch .LBB13_188
.LBB13_167:
	v_mov_b32_e32 v0, 0
	s_mov_b32 s57, 0
	v_mov_b32_e32 v1, v0
                                        ; implicit-def: $vgpr2
	v_mov_b32_e32 v4, v24
.LBB13_168:
	s_and_b32 s4, s58, 3
	s_cmp_eq_u32 s4, 0
	s_cbranch_scc1 .LBB13_171
; %bb.169:
	s_lshl_b32 s0, s57, 3
	s_add_u32 s0, s34, s0
	s_addc_u32 s1, s35, 0
	s_add_u32 s0, s0, 0xc4
	s_addc_u32 s1, s1, 0
	s_mul_i32 s2, s57, 12
	s_add_u32 s2, s34, s2
	s_addc_u32 s3, s35, 0
.LBB13_170:                             ; =>This Inner Loop Header: Depth=1
	s_load_dwordx2 s[6:7], s[2:3], 0x4
	s_load_dword s5, s[2:3], 0xc
	s_load_dwordx2 s[8:9], s[0:1], 0x0
	v_mov_b32_e32 v2, v1
	s_add_u32 s2, s2, 12
	s_waitcnt lgkmcnt(0)
	v_mul_hi_u32 v1, s7, v4
	v_add_u32_e32 v1, v4, v1
	v_lshrrev_b32_e32 v1, s5, v1
	s_addc_u32 s3, s3, 0
	v_mul_lo_u32 v3, v1, s6
	s_add_u32 s0, s0, 8
	v_sub_u32_e32 v5, v4, v3
	s_addc_u32 s1, s1, 0
	s_add_i32 s4, s4, -1
	v_mov_b32_e32 v4, v1
	v_mad_u64_u32 v[2:3], s[6:7], v5, s9, v[2:3]
	v_mad_u64_u32 v[0:1], s[6:7], v5, s8, v[0:1]
	s_cmp_lg_u32 s4, 0
	v_mov_b32_e32 v1, v2
	s_cbranch_scc1 .LBB13_170
.LBB13_171:
	s_cbranch_execnz .LBB13_174
.LBB13_172:
	s_waitcnt lgkmcnt(0)
	v_mul_hi_u32 v0, s25, v24
	v_add_u32_e32 v0, v24, v0
	v_lshrrev_b32_e32 v1, s26, v0
	v_mul_lo_u32 v0, v1, s24
	v_sub_u32_e32 v0, v24, v0
	v_mul_lo_u32 v2, v0, s21
	s_andn2_b64 vcc, exec, s[42:43]
	v_mul_lo_u32 v0, v0, s20
	s_cbranch_vccnz .LBB13_174
; %bb.173:
	v_mul_hi_u32 v3, s40, v1
	v_add_u32_e32 v3, v1, v3
	v_lshrrev_b32_e32 v3, s41, v3
	v_mul_lo_u32 v3, v3, s27
	v_sub_u32_e32 v3, v1, v3
	v_mad_u64_u32 v[0:1], s[0:1], v3, s22, v[0:1]
	v_mad_u64_u32 v[2:3], s[0:1], v3, s23, v[2:3]
.LBB13_174:
	s_waitcnt lgkmcnt(0)
	global_load_ubyte v1, v2, s[18:19]
	v_add_u32_e32 v24, 0x80, v24
	s_waitcnt vmcnt(0)
	v_xor_b32_e32 v1, -1, v1
	global_store_byte v0, v1, s[16:17]
	s_or_b64 exec, exec, s[48:49]
	v_cmp_gt_i32_e32 vcc, s55, v24
	s_and_saveexec_b64 s[48:49], vcc
	s_cbranch_execnz .LBB13_159
.LBB13_175:
	s_or_b64 exec, exec, s[48:49]
	v_cmp_gt_i32_e32 vcc, s55, v24
	s_and_saveexec_b64 s[48:49], vcc
	s_cbranch_execz .LBB13_192
.LBB13_176:
	s_andn2_b64 vcc, exec, s[36:37]
	s_cbranch_vccnz .LBB13_182
; %bb.177:
	s_andn2_b64 vcc, exec, s[46:47]
	s_cbranch_vccnz .LBB13_183
; %bb.178:
	s_add_i32 s58, s56, 1
	s_cmp_eq_u32 s54, 2
	s_cbranch_scc1 .LBB13_201
; %bb.179:
	s_and_b32 s57, s58, 28
	s_mov_b32 s59, 0
	v_mov_b32_e32 v0, 0
	v_mov_b32_e32 v2, 0
	s_mov_b64 s[50:51], s[34:35]
	s_mov_b64 s[52:53], s[44:45]
	v_mov_b32_e32 v4, v24
.LBB13_180:                             ; =>This Inner Loop Header: Depth=1
	s_load_dwordx8 s[8:15], s[50:51], 0x4
	s_load_dwordx4 s[28:31], s[50:51], 0x24
	s_load_dwordx8 s[0:7], s[52:53], 0x0
	s_add_u32 s50, s50, 48
	s_addc_u32 s51, s51, 0
	s_waitcnt lgkmcnt(0)
	v_mul_hi_u32 v1, s9, v4
	v_add_u32_e32 v1, v4, v1
	v_lshrrev_b32_e32 v1, s10, v1
	v_mul_lo_u32 v3, v1, s8
	v_mul_hi_u32 v5, s12, v1
	v_sub_u32_e32 v3, v4, v3
	v_add_u32_e32 v4, v1, v5
	v_lshrrev_b32_e32 v4, s13, v4
	v_mul_lo_u32 v6, v4, s11
	v_mul_hi_u32 v7, s15, v4
	v_sub_u32_e32 v1, v1, v6
	v_add_u32_e32 v6, v4, v7
	v_mul_lo_u32 v5, v3, s1
	v_mul_lo_u32 v3, v3, s0
	;; [unrolled: 1-line block ×4, first 2 shown]
	v_lshrrev_b32_e32 v6, s28, v6
	v_add3_u32 v0, v3, v0, v1
	v_mul_hi_u32 v3, s30, v6
	v_add3_u32 v1, v5, v2, v7
	v_mul_lo_u32 v2, v6, s14
	v_add_u32_e32 v3, v6, v3
	v_sub_u32_e32 v2, v4, v2
	v_lshrrev_b32_e32 v4, s31, v3
	s_add_i32 s59, s59, 4
	v_mul_lo_u32 v3, v4, s29
	s_add_u32 s52, s52, 32
	v_sub_u32_e32 v3, v6, v3
	s_addc_u32 s53, s53, 0
	v_mul_lo_u32 v5, v2, s4
	v_mul_lo_u32 v2, v2, s5
	;; [unrolled: 1-line block ×4, first 2 shown]
	s_cmp_eq_u32 s57, s59
	v_add3_u32 v2, v2, v1, v3
	v_add3_u32 v0, v5, v0, v6
	s_cbranch_scc0 .LBB13_180
; %bb.181:
	v_mov_b32_e32 v1, v2
	s_branch .LBB13_202
.LBB13_182:
                                        ; implicit-def: $vgpr2
                                        ; implicit-def: $vgpr0
	s_branch .LBB13_206
.LBB13_183:
	v_mov_b32_e32 v2, 0
	v_mov_b32_e32 v0, 0
	s_branch .LBB13_205
.LBB13_184:
	v_mov_b32_e32 v0, 0
	s_mov_b32 s57, 0
	v_mov_b32_e32 v1, v0
                                        ; implicit-def: $vgpr2
	v_mov_b32_e32 v4, v24
.LBB13_185:
	s_and_b32 s4, s58, 3
	s_cmp_eq_u32 s4, 0
	s_cbranch_scc1 .LBB13_188
; %bb.186:
	s_lshl_b32 s0, s57, 3
	s_add_u32 s0, s34, s0
	s_addc_u32 s1, s35, 0
	s_add_u32 s0, s0, 0xc4
	s_addc_u32 s1, s1, 0
	s_mul_i32 s2, s57, 12
	s_add_u32 s2, s34, s2
	s_addc_u32 s3, s35, 0
.LBB13_187:                             ; =>This Inner Loop Header: Depth=1
	s_load_dwordx2 s[6:7], s[2:3], 0x4
	s_load_dword s5, s[2:3], 0xc
	s_load_dwordx2 s[8:9], s[0:1], 0x0
	v_mov_b32_e32 v2, v1
	s_add_u32 s2, s2, 12
	s_waitcnt lgkmcnt(0)
	v_mul_hi_u32 v1, s7, v4
	v_add_u32_e32 v1, v4, v1
	v_lshrrev_b32_e32 v1, s5, v1
	s_addc_u32 s3, s3, 0
	v_mul_lo_u32 v3, v1, s6
	s_add_u32 s0, s0, 8
	v_sub_u32_e32 v5, v4, v3
	s_addc_u32 s1, s1, 0
	s_add_i32 s4, s4, -1
	v_mov_b32_e32 v4, v1
	v_mad_u64_u32 v[2:3], s[6:7], v5, s9, v[2:3]
	v_mad_u64_u32 v[0:1], s[6:7], v5, s8, v[0:1]
	s_cmp_lg_u32 s4, 0
	v_mov_b32_e32 v1, v2
	s_cbranch_scc1 .LBB13_187
.LBB13_188:
	s_cbranch_execnz .LBB13_191
.LBB13_189:
	s_waitcnt lgkmcnt(0)
	v_mul_hi_u32 v0, s25, v24
	v_add_u32_e32 v0, v24, v0
	v_lshrrev_b32_e32 v1, s26, v0
	v_mul_lo_u32 v0, v1, s24
	v_sub_u32_e32 v0, v24, v0
	v_mul_lo_u32 v2, v0, s21
	s_andn2_b64 vcc, exec, s[42:43]
	v_mul_lo_u32 v0, v0, s20
	s_cbranch_vccnz .LBB13_191
; %bb.190:
	v_mul_hi_u32 v3, s40, v1
	v_add_u32_e32 v3, v1, v3
	v_lshrrev_b32_e32 v3, s41, v3
	v_mul_lo_u32 v3, v3, s27
	v_sub_u32_e32 v3, v1, v3
	v_mad_u64_u32 v[0:1], s[0:1], v3, s22, v[0:1]
	v_mad_u64_u32 v[2:3], s[0:1], v3, s23, v[2:3]
.LBB13_191:
	s_waitcnt lgkmcnt(0)
	global_load_ubyte v1, v2, s[18:19]
	v_add_u32_e32 v24, 0x80, v24
	s_waitcnt vmcnt(0)
	v_xor_b32_e32 v1, -1, v1
	global_store_byte v0, v1, s[16:17]
	s_or_b64 exec, exec, s[48:49]
	v_cmp_gt_i32_e32 vcc, s55, v24
	s_and_saveexec_b64 s[48:49], vcc
	s_cbranch_execnz .LBB13_176
.LBB13_192:
	s_or_b64 exec, exec, s[48:49]
	v_cmp_gt_i32_e32 vcc, s55, v24
	s_and_saveexec_b64 s[48:49], vcc
	s_cbranch_execz .LBB13_209
.LBB13_193:
	s_andn2_b64 vcc, exec, s[36:37]
	s_cbranch_vccnz .LBB13_199
; %bb.194:
	s_andn2_b64 vcc, exec, s[46:47]
	s_cbranch_vccnz .LBB13_200
; %bb.195:
	s_add_i32 s58, s56, 1
	s_cmp_eq_u32 s54, 2
	s_cbranch_scc1 .LBB13_218
; %bb.196:
	s_and_b32 s57, s58, 28
	s_mov_b32 s59, 0
	v_mov_b32_e32 v0, 0
	v_mov_b32_e32 v2, 0
	s_mov_b64 s[50:51], s[34:35]
	s_mov_b64 s[52:53], s[44:45]
	v_mov_b32_e32 v4, v24
.LBB13_197:                             ; =>This Inner Loop Header: Depth=1
	s_load_dwordx8 s[8:15], s[50:51], 0x4
	s_load_dwordx4 s[28:31], s[50:51], 0x24
	s_load_dwordx8 s[0:7], s[52:53], 0x0
	s_add_u32 s50, s50, 48
	s_addc_u32 s51, s51, 0
	s_waitcnt lgkmcnt(0)
	v_mul_hi_u32 v1, s9, v4
	v_add_u32_e32 v1, v4, v1
	v_lshrrev_b32_e32 v1, s10, v1
	v_mul_lo_u32 v3, v1, s8
	v_mul_hi_u32 v5, s12, v1
	v_sub_u32_e32 v3, v4, v3
	v_add_u32_e32 v4, v1, v5
	v_lshrrev_b32_e32 v4, s13, v4
	v_mul_lo_u32 v6, v4, s11
	v_mul_hi_u32 v7, s15, v4
	v_sub_u32_e32 v1, v1, v6
	v_add_u32_e32 v6, v4, v7
	v_mul_lo_u32 v5, v3, s1
	v_mul_lo_u32 v3, v3, s0
	v_mul_lo_u32 v7, v1, s3
	v_mul_lo_u32 v1, v1, s2
	v_lshrrev_b32_e32 v6, s28, v6
	v_add3_u32 v0, v3, v0, v1
	v_mul_hi_u32 v3, s30, v6
	v_add3_u32 v1, v5, v2, v7
	v_mul_lo_u32 v2, v6, s14
	v_add_u32_e32 v3, v6, v3
	v_sub_u32_e32 v2, v4, v2
	v_lshrrev_b32_e32 v4, s31, v3
	s_add_i32 s59, s59, 4
	v_mul_lo_u32 v3, v4, s29
	s_add_u32 s52, s52, 32
	v_sub_u32_e32 v3, v6, v3
	s_addc_u32 s53, s53, 0
	v_mul_lo_u32 v5, v2, s4
	v_mul_lo_u32 v2, v2, s5
	;; [unrolled: 1-line block ×4, first 2 shown]
	s_cmp_eq_u32 s57, s59
	v_add3_u32 v2, v2, v1, v3
	v_add3_u32 v0, v5, v0, v6
	s_cbranch_scc0 .LBB13_197
; %bb.198:
	v_mov_b32_e32 v1, v2
	s_branch .LBB13_219
.LBB13_199:
                                        ; implicit-def: $vgpr2
                                        ; implicit-def: $vgpr0
	s_branch .LBB13_223
.LBB13_200:
	v_mov_b32_e32 v2, 0
	v_mov_b32_e32 v0, 0
	s_branch .LBB13_222
.LBB13_201:
	v_mov_b32_e32 v0, 0
	s_mov_b32 s57, 0
	v_mov_b32_e32 v1, v0
                                        ; implicit-def: $vgpr2
	v_mov_b32_e32 v4, v24
.LBB13_202:
	s_and_b32 s4, s58, 3
	s_cmp_eq_u32 s4, 0
	s_cbranch_scc1 .LBB13_205
; %bb.203:
	s_lshl_b32 s0, s57, 3
	s_add_u32 s0, s34, s0
	s_addc_u32 s1, s35, 0
	s_add_u32 s0, s0, 0xc4
	s_addc_u32 s1, s1, 0
	s_mul_i32 s2, s57, 12
	s_add_u32 s2, s34, s2
	s_addc_u32 s3, s35, 0
.LBB13_204:                             ; =>This Inner Loop Header: Depth=1
	s_load_dwordx2 s[6:7], s[2:3], 0x4
	s_load_dword s5, s[2:3], 0xc
	s_load_dwordx2 s[8:9], s[0:1], 0x0
	v_mov_b32_e32 v2, v1
	s_add_u32 s2, s2, 12
	s_waitcnt lgkmcnt(0)
	v_mul_hi_u32 v1, s7, v4
	v_add_u32_e32 v1, v4, v1
	v_lshrrev_b32_e32 v1, s5, v1
	s_addc_u32 s3, s3, 0
	v_mul_lo_u32 v3, v1, s6
	s_add_u32 s0, s0, 8
	v_sub_u32_e32 v5, v4, v3
	s_addc_u32 s1, s1, 0
	s_add_i32 s4, s4, -1
	v_mov_b32_e32 v4, v1
	v_mad_u64_u32 v[2:3], s[6:7], v5, s9, v[2:3]
	v_mad_u64_u32 v[0:1], s[6:7], v5, s8, v[0:1]
	s_cmp_lg_u32 s4, 0
	v_mov_b32_e32 v1, v2
	s_cbranch_scc1 .LBB13_204
.LBB13_205:
	s_cbranch_execnz .LBB13_208
.LBB13_206:
	s_waitcnt lgkmcnt(0)
	v_mul_hi_u32 v0, s25, v24
	v_add_u32_e32 v0, v24, v0
	v_lshrrev_b32_e32 v1, s26, v0
	v_mul_lo_u32 v0, v1, s24
	v_sub_u32_e32 v0, v24, v0
	v_mul_lo_u32 v2, v0, s21
	s_andn2_b64 vcc, exec, s[42:43]
	v_mul_lo_u32 v0, v0, s20
	s_cbranch_vccnz .LBB13_208
; %bb.207:
	v_mul_hi_u32 v3, s40, v1
	v_add_u32_e32 v3, v1, v3
	v_lshrrev_b32_e32 v3, s41, v3
	v_mul_lo_u32 v3, v3, s27
	v_sub_u32_e32 v3, v1, v3
	v_mad_u64_u32 v[0:1], s[0:1], v3, s22, v[0:1]
	v_mad_u64_u32 v[2:3], s[0:1], v3, s23, v[2:3]
.LBB13_208:
	s_waitcnt lgkmcnt(0)
	global_load_ubyte v1, v2, s[18:19]
	v_add_u32_e32 v24, 0x80, v24
	s_waitcnt vmcnt(0)
	v_xor_b32_e32 v1, -1, v1
	global_store_byte v0, v1, s[16:17]
	s_or_b64 exec, exec, s[48:49]
	v_cmp_gt_i32_e32 vcc, s55, v24
	s_and_saveexec_b64 s[48:49], vcc
	s_cbranch_execnz .LBB13_193
.LBB13_209:
	s_or_b64 exec, exec, s[48:49]
	v_cmp_gt_i32_e32 vcc, s55, v24
	s_and_saveexec_b64 s[48:49], vcc
	s_cbranch_execz .LBB13_226
.LBB13_210:
	s_andn2_b64 vcc, exec, s[36:37]
	s_cbranch_vccnz .LBB13_216
; %bb.211:
	s_andn2_b64 vcc, exec, s[46:47]
	s_cbranch_vccnz .LBB13_217
; %bb.212:
	s_add_i32 s58, s56, 1
	s_cmp_eq_u32 s54, 2
	s_cbranch_scc1 .LBB13_229
; %bb.213:
	s_and_b32 s57, s58, 28
	s_mov_b32 s59, 0
	v_mov_b32_e32 v0, 0
	v_mov_b32_e32 v2, 0
	s_mov_b64 s[50:51], s[34:35]
	s_mov_b64 s[52:53], s[44:45]
	v_mov_b32_e32 v4, v24
.LBB13_214:                             ; =>This Inner Loop Header: Depth=1
	s_load_dwordx8 s[8:15], s[50:51], 0x4
	s_load_dwordx4 s[28:31], s[50:51], 0x24
	s_load_dwordx8 s[0:7], s[52:53], 0x0
	s_add_u32 s50, s50, 48
	s_addc_u32 s51, s51, 0
	s_waitcnt lgkmcnt(0)
	v_mul_hi_u32 v1, s9, v4
	v_add_u32_e32 v1, v4, v1
	v_lshrrev_b32_e32 v1, s10, v1
	v_mul_lo_u32 v3, v1, s8
	v_mul_hi_u32 v5, s12, v1
	v_sub_u32_e32 v3, v4, v3
	v_add_u32_e32 v4, v1, v5
	v_lshrrev_b32_e32 v4, s13, v4
	v_mul_lo_u32 v6, v4, s11
	v_mul_hi_u32 v7, s15, v4
	v_sub_u32_e32 v1, v1, v6
	v_add_u32_e32 v6, v4, v7
	v_mul_lo_u32 v5, v3, s1
	v_mul_lo_u32 v3, v3, s0
	v_mul_lo_u32 v7, v1, s3
	v_mul_lo_u32 v1, v1, s2
	v_lshrrev_b32_e32 v6, s28, v6
	v_add3_u32 v0, v3, v0, v1
	v_mul_hi_u32 v3, s30, v6
	v_add3_u32 v1, v5, v2, v7
	v_mul_lo_u32 v2, v6, s14
	v_add_u32_e32 v3, v6, v3
	v_sub_u32_e32 v2, v4, v2
	v_lshrrev_b32_e32 v4, s31, v3
	s_add_i32 s59, s59, 4
	v_mul_lo_u32 v3, v4, s29
	s_add_u32 s52, s52, 32
	v_sub_u32_e32 v3, v6, v3
	s_addc_u32 s53, s53, 0
	v_mul_lo_u32 v5, v2, s4
	v_mul_lo_u32 v2, v2, s5
	v_mul_lo_u32 v6, v3, s6
	v_mul_lo_u32 v3, v3, s7
	s_cmp_eq_u32 s57, s59
	v_add3_u32 v2, v2, v1, v3
	v_add3_u32 v0, v5, v0, v6
	s_cbranch_scc0 .LBB13_214
; %bb.215:
	v_mov_b32_e32 v1, v2
	s_branch .LBB13_230
.LBB13_216:
                                        ; implicit-def: $vgpr2
                                        ; implicit-def: $vgpr0
	s_branch .LBB13_234
.LBB13_217:
	v_mov_b32_e32 v2, 0
	v_mov_b32_e32 v0, 0
	s_branch .LBB13_233
.LBB13_218:
	v_mov_b32_e32 v0, 0
	s_mov_b32 s57, 0
	v_mov_b32_e32 v1, v0
                                        ; implicit-def: $vgpr2
	v_mov_b32_e32 v4, v24
.LBB13_219:
	s_and_b32 s4, s58, 3
	s_cmp_eq_u32 s4, 0
	s_cbranch_scc1 .LBB13_222
; %bb.220:
	s_lshl_b32 s0, s57, 3
	s_add_u32 s0, s34, s0
	s_addc_u32 s1, s35, 0
	s_add_u32 s0, s0, 0xc4
	s_addc_u32 s1, s1, 0
	s_mul_i32 s2, s57, 12
	s_add_u32 s2, s34, s2
	s_addc_u32 s3, s35, 0
.LBB13_221:                             ; =>This Inner Loop Header: Depth=1
	s_load_dwordx2 s[6:7], s[2:3], 0x4
	s_load_dword s5, s[2:3], 0xc
	s_load_dwordx2 s[8:9], s[0:1], 0x0
	v_mov_b32_e32 v2, v1
	s_add_u32 s2, s2, 12
	s_waitcnt lgkmcnt(0)
	v_mul_hi_u32 v1, s7, v4
	v_add_u32_e32 v1, v4, v1
	v_lshrrev_b32_e32 v1, s5, v1
	s_addc_u32 s3, s3, 0
	v_mul_lo_u32 v3, v1, s6
	s_add_u32 s0, s0, 8
	v_sub_u32_e32 v5, v4, v3
	s_addc_u32 s1, s1, 0
	s_add_i32 s4, s4, -1
	v_mov_b32_e32 v4, v1
	v_mad_u64_u32 v[2:3], s[6:7], v5, s9, v[2:3]
	v_mad_u64_u32 v[0:1], s[6:7], v5, s8, v[0:1]
	s_cmp_lg_u32 s4, 0
	v_mov_b32_e32 v1, v2
	s_cbranch_scc1 .LBB13_221
.LBB13_222:
	s_cbranch_execnz .LBB13_225
.LBB13_223:
	s_waitcnt lgkmcnt(0)
	v_mul_hi_u32 v0, s25, v24
	v_add_u32_e32 v0, v24, v0
	v_lshrrev_b32_e32 v1, s26, v0
	v_mul_lo_u32 v0, v1, s24
	v_sub_u32_e32 v0, v24, v0
	v_mul_lo_u32 v2, v0, s21
	s_andn2_b64 vcc, exec, s[42:43]
	v_mul_lo_u32 v0, v0, s20
	s_cbranch_vccnz .LBB13_225
; %bb.224:
	v_mul_hi_u32 v3, s40, v1
	v_add_u32_e32 v3, v1, v3
	v_lshrrev_b32_e32 v3, s41, v3
	v_mul_lo_u32 v3, v3, s27
	v_sub_u32_e32 v3, v1, v3
	v_mad_u64_u32 v[0:1], s[0:1], v3, s22, v[0:1]
	v_mad_u64_u32 v[2:3], s[0:1], v3, s23, v[2:3]
.LBB13_225:
	s_waitcnt lgkmcnt(0)
	global_load_ubyte v1, v2, s[18:19]
	v_add_u32_e32 v24, 0x80, v24
	s_waitcnt vmcnt(0)
	v_xor_b32_e32 v1, -1, v1
	global_store_byte v0, v1, s[16:17]
	s_or_b64 exec, exec, s[48:49]
	v_cmp_gt_i32_e32 vcc, s55, v24
	s_and_saveexec_b64 s[48:49], vcc
	s_cbranch_execnz .LBB13_210
.LBB13_226:
	s_or_b64 exec, exec, s[48:49]
	v_cmp_gt_i32_e32 vcc, s55, v24
	s_and_saveexec_b64 s[48:49], vcc
	s_cbranch_execnz .LBB13_237
.LBB13_227:
	s_or_b64 exec, exec, s[48:49]
                                        ; implicit-def: $vgpr32
                                        ; implicit-def: $vgpr24
	s_andn2_saveexec_b64 s[0:1], s[38:39]
	s_cbranch_execnz .LBB13_9
.LBB13_228:
	s_endpgm
.LBB13_229:
	v_mov_b32_e32 v0, 0
	s_mov_b32 s57, 0
	v_mov_b32_e32 v1, v0
                                        ; implicit-def: $vgpr2
	v_mov_b32_e32 v4, v24
.LBB13_230:
	s_and_b32 s4, s58, 3
	s_cmp_eq_u32 s4, 0
	s_cbranch_scc1 .LBB13_233
; %bb.231:
	s_lshl_b32 s0, s57, 3
	s_add_u32 s0, s34, s0
	s_addc_u32 s1, s35, 0
	s_add_u32 s0, s0, 0xc4
	s_addc_u32 s1, s1, 0
	s_mul_i32 s2, s57, 12
	s_add_u32 s2, s34, s2
	s_addc_u32 s3, s35, 0
.LBB13_232:                             ; =>This Inner Loop Header: Depth=1
	s_load_dwordx2 s[6:7], s[2:3], 0x4
	s_load_dword s5, s[2:3], 0xc
	s_load_dwordx2 s[8:9], s[0:1], 0x0
	v_mov_b32_e32 v2, v1
	s_add_u32 s2, s2, 12
	s_waitcnt lgkmcnt(0)
	v_mul_hi_u32 v1, s7, v4
	v_add_u32_e32 v1, v4, v1
	v_lshrrev_b32_e32 v1, s5, v1
	s_addc_u32 s3, s3, 0
	v_mul_lo_u32 v3, v1, s6
	s_add_u32 s0, s0, 8
	v_sub_u32_e32 v5, v4, v3
	s_addc_u32 s1, s1, 0
	s_add_i32 s4, s4, -1
	v_mov_b32_e32 v4, v1
	v_mad_u64_u32 v[2:3], s[6:7], v5, s9, v[2:3]
	v_mad_u64_u32 v[0:1], s[6:7], v5, s8, v[0:1]
	s_cmp_lg_u32 s4, 0
	v_mov_b32_e32 v1, v2
	s_cbranch_scc1 .LBB13_232
.LBB13_233:
	s_cbranch_execnz .LBB13_236
.LBB13_234:
	s_waitcnt lgkmcnt(0)
	v_mul_hi_u32 v0, s25, v24
	v_add_u32_e32 v0, v24, v0
	v_lshrrev_b32_e32 v1, s26, v0
	v_mul_lo_u32 v0, v1, s24
	v_sub_u32_e32 v0, v24, v0
	v_mul_lo_u32 v2, v0, s21
	s_andn2_b64 vcc, exec, s[42:43]
	v_mul_lo_u32 v0, v0, s20
	s_cbranch_vccnz .LBB13_236
; %bb.235:
	v_mul_hi_u32 v3, s40, v1
	v_add_u32_e32 v3, v1, v3
	v_lshrrev_b32_e32 v3, s41, v3
	v_mul_lo_u32 v3, v3, s27
	v_sub_u32_e32 v3, v1, v3
	v_mad_u64_u32 v[0:1], s[0:1], v3, s22, v[0:1]
	v_mad_u64_u32 v[2:3], s[0:1], v3, s23, v[2:3]
.LBB13_236:
	s_waitcnt lgkmcnt(0)
	global_load_ubyte v1, v2, s[18:19]
	v_add_u32_e32 v24, 0x80, v24
	s_waitcnt vmcnt(0)
	v_xor_b32_e32 v1, -1, v1
	global_store_byte v0, v1, s[16:17]
	s_or_b64 exec, exec, s[48:49]
	v_cmp_gt_i32_e32 vcc, s55, v24
	s_and_saveexec_b64 s[48:49], vcc
	s_cbranch_execz .LBB13_227
.LBB13_237:
	s_andn2_b64 vcc, exec, s[36:37]
	s_cbranch_vccnz .LBB13_243
; %bb.238:
	s_andn2_b64 vcc, exec, s[46:47]
	s_cbranch_vccnz .LBB13_244
; %bb.239:
	s_add_i32 s56, s56, 1
	s_cmp_eq_u32 s54, 2
	s_cbranch_scc1 .LBB13_245
; %bb.240:
	s_and_b32 s50, s56, 28
	s_mov_b32 s51, 0
	v_mov_b32_e32 v0, 0
	v_mov_b32_e32 v2, 0
	s_mov_b64 s[46:47], s[34:35]
	v_mov_b32_e32 v4, v24
.LBB13_241:                             ; =>This Inner Loop Header: Depth=1
	s_load_dwordx8 s[8:15], s[46:47], 0x4
	s_load_dwordx4 s[28:31], s[46:47], 0x24
	s_load_dwordx8 s[0:7], s[44:45], 0x0
	s_add_u32 s46, s46, 48
	s_addc_u32 s47, s47, 0
	s_waitcnt lgkmcnt(0)
	v_mul_hi_u32 v1, s9, v4
	v_add_u32_e32 v1, v4, v1
	v_lshrrev_b32_e32 v1, s10, v1
	v_mul_lo_u32 v3, v1, s8
	v_mul_hi_u32 v5, s12, v1
	v_sub_u32_e32 v3, v4, v3
	v_add_u32_e32 v4, v1, v5
	v_lshrrev_b32_e32 v4, s13, v4
	v_mul_lo_u32 v6, v4, s11
	v_mul_hi_u32 v7, s15, v4
	v_sub_u32_e32 v1, v1, v6
	v_add_u32_e32 v6, v4, v7
	v_mul_lo_u32 v5, v3, s1
	v_mul_lo_u32 v3, v3, s0
	;; [unrolled: 1-line block ×4, first 2 shown]
	v_lshrrev_b32_e32 v6, s28, v6
	v_add3_u32 v0, v3, v0, v1
	v_mul_hi_u32 v3, s30, v6
	v_add3_u32 v1, v5, v2, v7
	v_mul_lo_u32 v2, v6, s14
	v_add_u32_e32 v3, v6, v3
	v_sub_u32_e32 v2, v4, v2
	v_lshrrev_b32_e32 v4, s31, v3
	s_add_i32 s51, s51, 4
	v_mul_lo_u32 v3, v4, s29
	s_add_u32 s44, s44, 32
	v_sub_u32_e32 v3, v6, v3
	s_addc_u32 s45, s45, 0
	v_mul_lo_u32 v5, v2, s4
	v_mul_lo_u32 v2, v2, s5
	;; [unrolled: 1-line block ×4, first 2 shown]
	s_cmp_eq_u32 s50, s51
	v_add3_u32 v2, v2, v1, v3
	v_add3_u32 v0, v5, v0, v6
	s_cbranch_scc0 .LBB13_241
; %bb.242:
	v_mov_b32_e32 v1, v2
	s_branch .LBB13_246
.LBB13_243:
                                        ; implicit-def: $vgpr2
                                        ; implicit-def: $vgpr0
	s_branch .LBB13_250
.LBB13_244:
	v_mov_b32_e32 v2, 0
	v_mov_b32_e32 v0, 0
	s_branch .LBB13_249
.LBB13_245:
	v_mov_b32_e32 v0, 0
	s_mov_b32 s50, 0
	v_mov_b32_e32 v1, v0
                                        ; implicit-def: $vgpr2
	v_mov_b32_e32 v4, v24
.LBB13_246:
	s_and_b32 s4, s56, 3
	s_cmp_eq_u32 s4, 0
	s_cbranch_scc1 .LBB13_249
; %bb.247:
	s_lshl_b32 s0, s50, 3
	s_add_u32 s0, s34, s0
	s_addc_u32 s1, s35, 0
	s_add_u32 s0, s0, 0xc4
	s_addc_u32 s1, s1, 0
	s_mul_i32 s2, s50, 12
	s_add_u32 s2, s34, s2
	s_addc_u32 s3, s35, 0
.LBB13_248:                             ; =>This Inner Loop Header: Depth=1
	s_load_dwordx2 s[6:7], s[2:3], 0x4
	s_load_dword s5, s[2:3], 0xc
	s_load_dwordx2 s[8:9], s[0:1], 0x0
	v_mov_b32_e32 v2, v1
	s_add_u32 s2, s2, 12
	s_waitcnt lgkmcnt(0)
	v_mul_hi_u32 v1, s7, v4
	v_add_u32_e32 v1, v4, v1
	v_lshrrev_b32_e32 v1, s5, v1
	s_addc_u32 s3, s3, 0
	v_mul_lo_u32 v3, v1, s6
	s_add_u32 s0, s0, 8
	v_sub_u32_e32 v5, v4, v3
	s_addc_u32 s1, s1, 0
	s_add_i32 s4, s4, -1
	v_mov_b32_e32 v4, v1
	v_mad_u64_u32 v[2:3], s[6:7], v5, s9, v[2:3]
	v_mad_u64_u32 v[0:1], s[6:7], v5, s8, v[0:1]
	s_cmp_lg_u32 s4, 0
	v_mov_b32_e32 v1, v2
	s_cbranch_scc1 .LBB13_248
.LBB13_249:
	s_cbranch_execnz .LBB13_252
.LBB13_250:
	s_waitcnt lgkmcnt(0)
	v_mul_hi_u32 v0, s25, v24
	v_add_u32_e32 v0, v24, v0
	v_lshrrev_b32_e32 v1, s26, v0
	v_mul_lo_u32 v0, v1, s24
	v_sub_u32_e32 v0, v24, v0
	v_mul_lo_u32 v2, v0, s21
	s_andn2_b64 vcc, exec, s[42:43]
	v_mul_lo_u32 v0, v0, s20
	s_cbranch_vccnz .LBB13_252
; %bb.251:
	v_mul_hi_u32 v3, s40, v1
	v_add_u32_e32 v3, v1, v3
	v_lshrrev_b32_e32 v3, s41, v3
	v_mul_lo_u32 v3, v3, s27
	v_sub_u32_e32 v3, v1, v3
	v_mad_u64_u32 v[0:1], s[0:1], v3, s22, v[0:1]
	v_mad_u64_u32 v[2:3], s[0:1], v3, s23, v[2:3]
.LBB13_252:
	s_waitcnt lgkmcnt(0)
	global_load_ubyte v1, v2, s[18:19]
	s_waitcnt vmcnt(0)
	v_xor_b32_e32 v1, -1, v1
	global_store_byte v0, v1, s[16:17]
	s_or_b64 exec, exec, s[48:49]
                                        ; implicit-def: $vgpr32
                                        ; implicit-def: $vgpr24
	s_andn2_saveexec_b64 s[0:1], s[38:39]
	s_cbranch_execz .LBB13_228
	s_branch .LBB13_9
	.section	.rodata,"a",@progbits
	.p2align	6, 0x0
	.amdhsa_kernel _ZN2at6native32elementwise_kernel_manual_unrollILi128ELi8EZNS0_22gpu_kernel_impl_nocastIZZZNS0_23bitwise_not_kernel_cudaERNS_18TensorIteratorBaseEENKUlvE_clEvENKUlvE_clEvEUlhE_EEvS4_RKT_EUlibE_EEviT1_
		.amdhsa_group_segment_fixed_size 0
		.amdhsa_private_segment_fixed_size 0
		.amdhsa_kernarg_size 360
		.amdhsa_user_sgpr_count 2
		.amdhsa_user_sgpr_dispatch_ptr 0
		.amdhsa_user_sgpr_queue_ptr 0
		.amdhsa_user_sgpr_kernarg_segment_ptr 1
		.amdhsa_user_sgpr_dispatch_id 0
		.amdhsa_user_sgpr_kernarg_preload_length 0
		.amdhsa_user_sgpr_kernarg_preload_offset 0
		.amdhsa_user_sgpr_private_segment_size 0
		.amdhsa_uses_dynamic_stack 0
		.amdhsa_enable_private_segment 0
		.amdhsa_system_sgpr_workgroup_id_x 1
		.amdhsa_system_sgpr_workgroup_id_y 0
		.amdhsa_system_sgpr_workgroup_id_z 0
		.amdhsa_system_sgpr_workgroup_info 0
		.amdhsa_system_vgpr_workitem_id 0
		.amdhsa_next_free_vgpr 33
		.amdhsa_next_free_sgpr 60
		.amdhsa_accum_offset 36
		.amdhsa_reserve_vcc 1
		.amdhsa_float_round_mode_32 0
		.amdhsa_float_round_mode_16_64 0
		.amdhsa_float_denorm_mode_32 3
		.amdhsa_float_denorm_mode_16_64 3
		.amdhsa_dx10_clamp 1
		.amdhsa_ieee_mode 1
		.amdhsa_fp16_overflow 0
		.amdhsa_tg_split 0
		.amdhsa_exception_fp_ieee_invalid_op 0
		.amdhsa_exception_fp_denorm_src 0
		.amdhsa_exception_fp_ieee_div_zero 0
		.amdhsa_exception_fp_ieee_overflow 0
		.amdhsa_exception_fp_ieee_underflow 0
		.amdhsa_exception_fp_ieee_inexact 0
		.amdhsa_exception_int_div_zero 0
	.end_amdhsa_kernel
	.section	.text._ZN2at6native32elementwise_kernel_manual_unrollILi128ELi8EZNS0_22gpu_kernel_impl_nocastIZZZNS0_23bitwise_not_kernel_cudaERNS_18TensorIteratorBaseEENKUlvE_clEvENKUlvE_clEvEUlhE_EEvS4_RKT_EUlibE_EEviT1_,"axG",@progbits,_ZN2at6native32elementwise_kernel_manual_unrollILi128ELi8EZNS0_22gpu_kernel_impl_nocastIZZZNS0_23bitwise_not_kernel_cudaERNS_18TensorIteratorBaseEENKUlvE_clEvENKUlvE_clEvEUlhE_EEvS4_RKT_EUlibE_EEviT1_,comdat
.Lfunc_end13:
	.size	_ZN2at6native32elementwise_kernel_manual_unrollILi128ELi8EZNS0_22gpu_kernel_impl_nocastIZZZNS0_23bitwise_not_kernel_cudaERNS_18TensorIteratorBaseEENKUlvE_clEvENKUlvE_clEvEUlhE_EEvS4_RKT_EUlibE_EEviT1_, .Lfunc_end13-_ZN2at6native32elementwise_kernel_manual_unrollILi128ELi8EZNS0_22gpu_kernel_impl_nocastIZZZNS0_23bitwise_not_kernel_cudaERNS_18TensorIteratorBaseEENKUlvE_clEvENKUlvE_clEvEUlhE_EEvS4_RKT_EUlibE_EEviT1_
                                        ; -- End function
	.set _ZN2at6native32elementwise_kernel_manual_unrollILi128ELi8EZNS0_22gpu_kernel_impl_nocastIZZZNS0_23bitwise_not_kernel_cudaERNS_18TensorIteratorBaseEENKUlvE_clEvENKUlvE_clEvEUlhE_EEvS4_RKT_EUlibE_EEviT1_.num_vgpr, 33
	.set _ZN2at6native32elementwise_kernel_manual_unrollILi128ELi8EZNS0_22gpu_kernel_impl_nocastIZZZNS0_23bitwise_not_kernel_cudaERNS_18TensorIteratorBaseEENKUlvE_clEvENKUlvE_clEvEUlhE_EEvS4_RKT_EUlibE_EEviT1_.num_agpr, 0
	.set _ZN2at6native32elementwise_kernel_manual_unrollILi128ELi8EZNS0_22gpu_kernel_impl_nocastIZZZNS0_23bitwise_not_kernel_cudaERNS_18TensorIteratorBaseEENKUlvE_clEvENKUlvE_clEvEUlhE_EEvS4_RKT_EUlibE_EEviT1_.numbered_sgpr, 60
	.set _ZN2at6native32elementwise_kernel_manual_unrollILi128ELi8EZNS0_22gpu_kernel_impl_nocastIZZZNS0_23bitwise_not_kernel_cudaERNS_18TensorIteratorBaseEENKUlvE_clEvENKUlvE_clEvEUlhE_EEvS4_RKT_EUlibE_EEviT1_.num_named_barrier, 0
	.set _ZN2at6native32elementwise_kernel_manual_unrollILi128ELi8EZNS0_22gpu_kernel_impl_nocastIZZZNS0_23bitwise_not_kernel_cudaERNS_18TensorIteratorBaseEENKUlvE_clEvENKUlvE_clEvEUlhE_EEvS4_RKT_EUlibE_EEviT1_.private_seg_size, 0
	.set _ZN2at6native32elementwise_kernel_manual_unrollILi128ELi8EZNS0_22gpu_kernel_impl_nocastIZZZNS0_23bitwise_not_kernel_cudaERNS_18TensorIteratorBaseEENKUlvE_clEvENKUlvE_clEvEUlhE_EEvS4_RKT_EUlibE_EEviT1_.uses_vcc, 1
	.set _ZN2at6native32elementwise_kernel_manual_unrollILi128ELi8EZNS0_22gpu_kernel_impl_nocastIZZZNS0_23bitwise_not_kernel_cudaERNS_18TensorIteratorBaseEENKUlvE_clEvENKUlvE_clEvEUlhE_EEvS4_RKT_EUlibE_EEviT1_.uses_flat_scratch, 0
	.set _ZN2at6native32elementwise_kernel_manual_unrollILi128ELi8EZNS0_22gpu_kernel_impl_nocastIZZZNS0_23bitwise_not_kernel_cudaERNS_18TensorIteratorBaseEENKUlvE_clEvENKUlvE_clEvEUlhE_EEvS4_RKT_EUlibE_EEviT1_.has_dyn_sized_stack, 0
	.set _ZN2at6native32elementwise_kernel_manual_unrollILi128ELi8EZNS0_22gpu_kernel_impl_nocastIZZZNS0_23bitwise_not_kernel_cudaERNS_18TensorIteratorBaseEENKUlvE_clEvENKUlvE_clEvEUlhE_EEvS4_RKT_EUlibE_EEviT1_.has_recursion, 0
	.set _ZN2at6native32elementwise_kernel_manual_unrollILi128ELi8EZNS0_22gpu_kernel_impl_nocastIZZZNS0_23bitwise_not_kernel_cudaERNS_18TensorIteratorBaseEENKUlvE_clEvENKUlvE_clEvEUlhE_EEvS4_RKT_EUlibE_EEviT1_.has_indirect_call, 0
	.section	.AMDGPU.csdata,"",@progbits
; Kernel info:
; codeLenInByte = 11456
; TotalNumSgprs: 66
; NumVgprs: 33
; NumAgprs: 0
; TotalNumVgprs: 33
; ScratchSize: 0
; MemoryBound: 0
; FloatMode: 240
; IeeeMode: 1
; LDSByteSize: 0 bytes/workgroup (compile time only)
; SGPRBlocks: 8
; VGPRBlocks: 4
; NumSGPRsForWavesPerEU: 66
; NumVGPRsForWavesPerEU: 33
; AccumOffset: 36
; Occupancy: 8
; WaveLimiterHint : 1
; COMPUTE_PGM_RSRC2:SCRATCH_EN: 0
; COMPUTE_PGM_RSRC2:USER_SGPR: 2
; COMPUTE_PGM_RSRC2:TRAP_HANDLER: 0
; COMPUTE_PGM_RSRC2:TGID_X_EN: 1
; COMPUTE_PGM_RSRC2:TGID_Y_EN: 0
; COMPUTE_PGM_RSRC2:TGID_Z_EN: 0
; COMPUTE_PGM_RSRC2:TIDIG_COMP_CNT: 0
; COMPUTE_PGM_RSRC3_GFX90A:ACCUM_OFFSET: 8
; COMPUTE_PGM_RSRC3_GFX90A:TG_SPLIT: 0
	.section	.text._ZN2at6native32elementwise_kernel_manual_unrollILi128ELi4EZNS0_15gpu_kernel_implIZZZNS0_23bitwise_not_kernel_cudaERNS_18TensorIteratorBaseEENKUlvE_clEvENKUlvE_clEvEUlhE_EEvS4_RKT_EUlibE_EEviT1_,"axG",@progbits,_ZN2at6native32elementwise_kernel_manual_unrollILi128ELi4EZNS0_15gpu_kernel_implIZZZNS0_23bitwise_not_kernel_cudaERNS_18TensorIteratorBaseEENKUlvE_clEvENKUlvE_clEvEUlhE_EEvS4_RKT_EUlibE_EEviT1_,comdat
	.globl	_ZN2at6native32elementwise_kernel_manual_unrollILi128ELi4EZNS0_15gpu_kernel_implIZZZNS0_23bitwise_not_kernel_cudaERNS_18TensorIteratorBaseEENKUlvE_clEvENKUlvE_clEvEUlhE_EEvS4_RKT_EUlibE_EEviT1_ ; -- Begin function _ZN2at6native32elementwise_kernel_manual_unrollILi128ELi4EZNS0_15gpu_kernel_implIZZZNS0_23bitwise_not_kernel_cudaERNS_18TensorIteratorBaseEENKUlvE_clEvENKUlvE_clEvEUlhE_EEvS4_RKT_EUlibE_EEviT1_
	.p2align	8
	.type	_ZN2at6native32elementwise_kernel_manual_unrollILi128ELi4EZNS0_15gpu_kernel_implIZZZNS0_23bitwise_not_kernel_cudaERNS_18TensorIteratorBaseEENKUlvE_clEvENKUlvE_clEvEUlhE_EEvS4_RKT_EUlibE_EEviT1_,@function
_ZN2at6native32elementwise_kernel_manual_unrollILi128ELi4EZNS0_15gpu_kernel_implIZZZNS0_23bitwise_not_kernel_cudaERNS_18TensorIteratorBaseEENKUlvE_clEvENKUlvE_clEvEUlhE_EEvS4_RKT_EUlibE_EEviT1_: ; @_ZN2at6native32elementwise_kernel_manual_unrollILi128ELi4EZNS0_15gpu_kernel_implIZZZNS0_23bitwise_not_kernel_cudaERNS_18TensorIteratorBaseEENKUlvE_clEvENKUlvE_clEvEUlhE_EEvS4_RKT_EUlibE_EEviT1_
; %bb.0:
	v_mov_b32_e32 v1, 0
	global_load_ushort v1, v1, s[0:1] offset:33
	s_load_dwordx4 s[4:7], s[0:1], 0x8
	s_load_dwordx2 s[8:9], s[0:1], 0x18
	s_load_dword s38, s[0:1], 0x0
	v_lshl_or_b32 v10, s2, 9, v0
	v_or_b32_e32 v0, 0x180, v10
	s_mov_b64 s[10:11], 0
	s_mov_b64 s[12:13], 0
	s_waitcnt lgkmcnt(0)
	v_cmp_le_i32_e32 vcc, s38, v0
	s_waitcnt vmcnt(0)
	v_readfirstlane_b32 s33, v1
	s_and_b32 s0, 0xffff, s33
	s_lshr_b32 s42, s0, 8
	s_and_saveexec_b64 s[0:1], vcc
	s_xor_b64 s[2:3], exec, s[0:1]
	s_cbranch_execz .LBB14_1011
; %bb.1:
	v_cmp_gt_i32_e32 vcc, s38, v10
	s_mov_b64 s[18:19], -1
	s_mov_b64 s[20:21], 0
	s_mov_b64 s[14:15], 0
	s_and_saveexec_b64 s[16:17], vcc
	s_cbranch_execz .LBB14_248
; %bb.2:
	v_mul_lo_u32 v0, v10, s9
	v_ashrrev_i32_e32 v1, 31, v0
	s_and_b32 s18, 0xffff, s42
	s_cmp_lt_i32 s18, 11
	v_lshl_add_u64 v[2:3], s[6:7], 0, v[0:1]
	s_cbranch_scc1 .LBB14_9
; %bb.3:
	s_cmp_gt_i32 s18, 25
	s_cbranch_scc0 .LBB14_18
; %bb.4:
	s_cmp_gt_i32 s18, 28
	s_cbranch_scc0 .LBB14_22
	;; [unrolled: 3-line block ×4, first 2 shown]
; %bb.7:
	s_cmp_eq_u32 s18, 46
	s_cbranch_scc0 .LBB14_28
; %bb.8:
	global_load_dword v0, v[2:3], off
	s_mov_b32 s0, 0x2f800000
	s_mov_b32 s1, 0xcf800000
	s_waitcnt vmcnt(0)
	v_lshlrev_b32_e32 v0, 16, v0
	v_trunc_f32_e32 v0, v0
	v_mul_f32_e64 v1, |v0|, s0
	v_floor_f32_e32 v1, v1
	v_fma_f32 v1, v1, s1, |v0|
	v_cvt_u32_f32_e32 v1, v1
	v_ashrrev_i32_e32 v0, 31, v0
	s_mov_b64 s[0:1], -1
	v_xor_b32_e32 v1, v1, v0
	v_sub_u32_e32 v0, v1, v0
	s_branch .LBB14_30
.LBB14_9:
                                        ; implicit-def: $vgpr0
	s_mov_b64 s[0:1], 0
	s_cbranch_execnz .LBB14_199
.LBB14_10:
	s_andn2_b64 vcc, exec, s[0:1]
	s_cbranch_vccnz .LBB14_246
.LBB14_11:
	v_mul_lo_u32 v2, v10, s8
	v_ashrrev_i32_e32 v3, 31, v2
	s_and_b32 s24, s33, 0xff
	s_waitcnt vmcnt(0)
	v_xor_b32_e32 v1, -1, v0
	s_cmp_lt_i32 s24, 11
	v_lshl_add_u64 v[2:3], s[4:5], 0, v[2:3]
	s_cbranch_scc1 .LBB14_19
; %bb.12:
	s_and_b32 s25, 0xffff, s24
	s_cmp_gt_i32 s25, 25
	s_cbranch_scc0 .LBB14_23
; %bb.13:
	s_cmp_gt_i32 s25, 28
	s_cbranch_scc0 .LBB14_25
; %bb.14:
	;; [unrolled: 3-line block ×4, first 2 shown]
	s_mov_b64 s[18:19], 0
	s_mov_b64 s[0:1], -1
	s_cmp_eq_u32 s25, 46
	s_mov_b64 s[12:13], 0
	s_cbranch_scc0 .LBB14_34
; %bb.17:
	v_cvt_f32_ubyte0_e32 v4, v1
	v_bfe_u32 v5, v4, 16, 1
	s_movk_i32 s0, 0x7fff
	v_add3_u32 v4, v4, v5, s0
	v_lshrrev_b32_e32 v4, 16, v4
	global_store_dword v[2:3], v4, off
	s_mov_b64 s[12:13], -1
	s_mov_b64 s[0:1], 0
	s_branch .LBB14_34
.LBB14_18:
	s_mov_b64 s[0:1], 0
                                        ; implicit-def: $vgpr0
	s_cbranch_execnz .LBB14_166
	s_branch .LBB14_198
.LBB14_19:
	s_mov_b64 s[0:1], 0
	s_mov_b64 s[12:13], 0
	s_cbranch_execnz .LBB14_103
.LBB14_20:
	s_andn2_b64 vcc, exec, s[12:13]
	s_cbranch_vccnz .LBB14_141
.LBB14_21:
	v_add_u32_e32 v10, 0x80, v10
	s_mov_b64 s[18:19], -1
	s_branch .LBB14_247
.LBB14_22:
	s_mov_b64 s[12:13], -1
	s_mov_b64 s[0:1], 0
                                        ; implicit-def: $vgpr0
	s_branch .LBB14_149
.LBB14_23:
	s_mov_b64 s[18:19], -1
	s_mov_b64 s[0:1], 0
	s_mov_b64 s[12:13], 0
	s_branch .LBB14_61
.LBB14_24:
	s_mov_b64 s[12:13], -1
	s_mov_b64 s[0:1], 0
                                        ; implicit-def: $vgpr0
	s_branch .LBB14_144
.LBB14_25:
	s_mov_b64 s[18:19], -1
	s_mov_b64 s[0:1], 0
	s_mov_b64 s[12:13], 0
	s_branch .LBB14_44
.LBB14_26:
	s_mov_b64 s[12:13], -1
	s_branch .LBB14_29
.LBB14_27:
	s_mov_b64 s[18:19], -1
	s_mov_b64 s[0:1], 0
	s_mov_b64 s[12:13], 0
	s_branch .LBB14_40
.LBB14_28:
	s_mov_b64 s[14:15], -1
.LBB14_29:
	s_mov_b64 s[0:1], 0
                                        ; implicit-def: $vgpr0
.LBB14_30:
	s_and_b64 vcc, exec, s[12:13]
	s_cbranch_vccz .LBB14_143
; %bb.31:
	s_cmp_eq_u32 s18, 44
	s_cbranch_scc0 .LBB14_142
; %bb.32:
	global_load_ubyte v0, v[2:3], off
	s_mov_b32 s0, 0x2f800000
	s_mov_b32 s1, 0xcf800000
	s_mov_b64 s[14:15], 0
	s_waitcnt vmcnt(0)
	v_lshlrev_b32_e32 v1, 23, v0
	v_trunc_f32_e32 v1, v1
	v_mul_f32_e64 v4, |v1|, s0
	v_floor_f32_e32 v4, v4
	v_fma_f32 v4, v4, s1, |v1|
	v_cvt_u32_f32_e32 v4, v4
	v_ashrrev_i32_e32 v1, 31, v1
	v_cmp_ne_u32_e32 vcc, 0, v0
	s_mov_b64 s[0:1], -1
	v_xor_b32_e32 v4, v4, v1
	v_sub_u32_e32 v1, v4, v1
	v_cndmask_b32_e32 v0, 0, v1, vcc
	s_branch .LBB14_143
.LBB14_33:
	s_mov_b64 s[18:19], -1
	s_mov_b64 s[0:1], 0
	s_mov_b64 s[12:13], 0
.LBB14_34:
	s_and_b64 vcc, exec, s[18:19]
	s_cbranch_vccz .LBB14_39
; %bb.35:
	s_cmp_eq_u32 s25, 44
	s_mov_b64 s[0:1], -1
	s_cbranch_scc0 .LBB14_39
; %bb.36:
	v_cvt_f32_ubyte0_e32 v5, v1
	v_lshrrev_b32_e32 v4, 23, v5
	s_movk_i32 s0, 0xff
	v_cmp_ne_u32_e32 vcc, s0, v4
	v_mov_b32_e32 v6, 0xff
	s_and_saveexec_b64 s[12:13], vcc
; %bb.37:
	s_mov_b32 s0, 0x3fffff
	v_and_b32_e32 v6, 0x400000, v5
	v_and_or_b32 v5, v5, s0, v4
	v_cmp_ne_u32_e32 vcc, 0, v6
	v_cmp_ne_u32_e64 s[0:1], 0, v5
	s_and_b64 s[0:1], vcc, s[0:1]
	s_nop 0
	v_cndmask_b32_e64 v5, 0, 1, s[0:1]
	v_add_u32_e32 v6, v4, v5
; %bb.38:
	s_or_b64 exec, exec, s[12:13]
	s_mov_b64 s[12:13], -1
	s_mov_b64 s[0:1], 0
	global_store_byte v[2:3], v6, off
.LBB14_39:
	s_mov_b64 s[18:19], 0
.LBB14_40:
	s_and_b64 vcc, exec, s[18:19]
	s_cbranch_vccz .LBB14_43
; %bb.41:
	s_cmp_eq_u32 s25, 29
	s_mov_b64 s[0:1], -1
	s_cbranch_scc0 .LBB14_43
; %bb.42:
	v_and_b32_e32 v4, 0xff, v1
	v_mov_b32_e32 v5, 0
	global_store_dwordx2 v[2:3], v[4:5], off
	s_mov_b64 s[12:13], -1
	s_mov_b64 s[0:1], 0
.LBB14_43:
	s_mov_b64 s[18:19], 0
.LBB14_44:
	s_and_b64 vcc, exec, s[18:19]
	s_cbranch_vccz .LBB14_60
; %bb.45:
	s_cmp_lt_i32 s25, 27
	s_mov_b64 s[12:13], -1
	s_cbranch_scc1 .LBB14_51
; %bb.46:
	s_cmp_gt_i32 s25, 27
	s_cbranch_scc0 .LBB14_48
; %bb.47:
	v_and_b32_e32 v4, 0xff, v1
	s_mov_b64 s[12:13], 0
	global_store_dword v[2:3], v4, off
.LBB14_48:
	s_andn2_b64 vcc, exec, s[12:13]
	s_cbranch_vccnz .LBB14_50
; %bb.49:
	v_and_b32_e32 v4, 0xff, v1
	global_store_short v[2:3], v4, off
.LBB14_50:
	s_mov_b64 s[12:13], 0
.LBB14_51:
	s_andn2_b64 vcc, exec, s[12:13]
	s_cbranch_vccnz .LBB14_59
; %bb.52:
	v_cvt_f32_ubyte0_e32 v5, v1
	s_mov_b32 s12, 0x43800000
	v_cmp_gt_u32_e32 vcc, s12, v5
	v_mov_b32_e32 v6, 0x80
	s_and_saveexec_b64 s[12:13], vcc
	s_cbranch_execz .LBB14_58
; %bb.53:
	s_mov_b32 s18, 0x3bffffff
	v_cmp_lt_u32_e32 vcc, s18, v5
	s_mov_b64 s[18:19], 0
                                        ; implicit-def: $vgpr4
	s_and_saveexec_b64 s[22:23], vcc
	s_xor_b64 s[22:23], exec, s[22:23]
	s_cbranch_execz .LBB14_275
; %bb.54:
	v_bfe_u32 v4, v5, 20, 1
	s_mov_b32 s26, 0x487ffff
	v_add3_u32 v4, v5, v4, s26
	s_mov_b64 s[18:19], exec
	v_lshrrev_b32_e32 v4, 20, v4
                                        ; implicit-def: $vgpr5
	s_andn2_saveexec_b64 s[22:23], s[22:23]
	s_cbranch_execnz .LBB14_276
.LBB14_55:
	s_or_b64 exec, exec, s[22:23]
	v_mov_b32_e32 v6, 0
	s_and_saveexec_b64 s[22:23], s[18:19]
.LBB14_56:
	v_mov_b32_e32 v6, v4
.LBB14_57:
	s_or_b64 exec, exec, s[22:23]
.LBB14_58:
	s_or_b64 exec, exec, s[12:13]
	global_store_byte v[2:3], v6, off
.LBB14_59:
	s_mov_b64 s[12:13], -1
.LBB14_60:
	s_mov_b64 s[18:19], 0
.LBB14_61:
	s_and_b64 vcc, exec, s[18:19]
	s_cbranch_vccz .LBB14_102
; %bb.62:
	s_cmp_gt_i32 s25, 22
	s_mov_b64 s[18:19], -1
	s_cbranch_scc0 .LBB14_94
; %bb.63:
	s_cmp_lt_i32 s25, 24
	s_mov_b64 s[12:13], -1
	s_cbranch_scc1 .LBB14_83
; %bb.64:
	s_cmp_gt_i32 s25, 24
	s_cbranch_scc0 .LBB14_72
; %bb.65:
	v_cvt_f32_ubyte0_e32 v5, v1
	s_mov_b32 s12, 0x47800000
	v_cmp_gt_u32_e32 vcc, s12, v5
	v_mov_b32_e32 v6, 0x80
	s_and_saveexec_b64 s[12:13], vcc
	s_cbranch_execz .LBB14_71
; %bb.66:
	s_mov_b32 s18, 0x37ffffff
	v_cmp_lt_u32_e32 vcc, s18, v5
	s_mov_b64 s[18:19], 0
                                        ; implicit-def: $vgpr4
	s_and_saveexec_b64 s[22:23], vcc
	s_xor_b64 s[22:23], exec, s[22:23]
	s_cbranch_execz .LBB14_279
; %bb.67:
	v_bfe_u32 v4, v5, 21, 1
	s_mov_b32 s26, 0x88fffff
	v_add3_u32 v4, v5, v4, s26
	s_mov_b64 s[18:19], exec
	v_lshrrev_b32_e32 v4, 21, v4
                                        ; implicit-def: $vgpr5
	s_andn2_saveexec_b64 s[22:23], s[22:23]
	s_cbranch_execnz .LBB14_280
.LBB14_68:
	s_or_b64 exec, exec, s[22:23]
	v_mov_b32_e32 v6, 0
	s_and_saveexec_b64 s[22:23], s[18:19]
.LBB14_69:
	v_mov_b32_e32 v6, v4
.LBB14_70:
	s_or_b64 exec, exec, s[22:23]
.LBB14_71:
	s_or_b64 exec, exec, s[12:13]
	s_mov_b64 s[12:13], 0
	global_store_byte v[2:3], v6, off
.LBB14_72:
	s_and_b64 vcc, exec, s[12:13]
	s_cbranch_vccz .LBB14_82
; %bb.73:
	v_cvt_f32_ubyte0_e32 v4, v1
	s_mov_b32 s12, 0x43f00000
	v_cmp_gt_u32_e32 vcc, s12, v4
                                        ; implicit-def: $vgpr5
	s_and_saveexec_b64 s[12:13], vcc
	s_xor_b64 s[12:13], exec, s[12:13]
	s_cbranch_execz .LBB14_79
; %bb.74:
	s_mov_b32 s18, 0x3c7fffff
	v_cmp_lt_u32_e32 vcc, s18, v4
                                        ; implicit-def: $vgpr5
	s_and_saveexec_b64 s[18:19], vcc
	s_xor_b64 s[18:19], exec, s[18:19]
; %bb.75:
	v_bfe_u32 v5, v4, 20, 1
	s_mov_b32 s22, 0x407ffff
	v_add3_u32 v4, v4, v5, s22
	v_lshrrev_b32_e32 v5, 20, v4
	v_and_b32_e32 v4, 0xff00000, v4
	s_mov_b32 s22, 0x7f00000
	v_mov_b32_e32 v6, 0x7e
	v_cmp_ne_u32_e32 vcc, s22, v4
                                        ; implicit-def: $vgpr4
	s_nop 1
	v_cndmask_b32_e32 v5, v6, v5, vcc
; %bb.76:
	s_andn2_saveexec_b64 s[18:19], s[18:19]
; %bb.77:
	v_add_f32_e32 v5, 0x46800000, v4
; %bb.78:
	s_or_b64 exec, exec, s[18:19]
                                        ; implicit-def: $vgpr4
.LBB14_79:
	s_andn2_saveexec_b64 s[12:13], s[12:13]
; %bb.80:
	s_mov_b32 s18, 0x7f800000
	v_mov_b32_e32 v5, 0x7e
	v_mov_b32_e32 v6, 0x7f
	v_cmp_lt_u32_e32 vcc, s18, v4
	s_nop 1
	v_cndmask_b32_e32 v5, v5, v6, vcc
; %bb.81:
	s_or_b64 exec, exec, s[12:13]
	global_store_byte v[2:3], v5, off
.LBB14_82:
	s_mov_b64 s[12:13], 0
.LBB14_83:
	s_andn2_b64 vcc, exec, s[12:13]
	s_cbranch_vccnz .LBB14_93
; %bb.84:
	v_cvt_f32_ubyte0_e32 v4, v1
	s_mov_b32 s12, 0x47800000
	v_cmp_gt_u32_e32 vcc, s12, v4
                                        ; implicit-def: $vgpr5
	s_and_saveexec_b64 s[12:13], vcc
	s_xor_b64 s[12:13], exec, s[12:13]
	s_cbranch_execz .LBB14_90
; %bb.85:
	s_mov_b32 s18, 0x387fffff
	v_cmp_lt_u32_e32 vcc, s18, v4
                                        ; implicit-def: $vgpr5
	s_and_saveexec_b64 s[18:19], vcc
	s_xor_b64 s[18:19], exec, s[18:19]
; %bb.86:
	v_bfe_u32 v5, v4, 21, 1
	s_mov_b32 s22, 0x80fffff
	v_add3_u32 v4, v4, v5, s22
	v_lshrrev_b32_e32 v5, 21, v4
                                        ; implicit-def: $vgpr4
; %bb.87:
	s_andn2_saveexec_b64 s[18:19], s[18:19]
; %bb.88:
	v_add_f32_e32 v5, 0x43000000, v4
; %bb.89:
	s_or_b64 exec, exec, s[18:19]
                                        ; implicit-def: $vgpr4
.LBB14_90:
	s_andn2_saveexec_b64 s[12:13], s[12:13]
; %bb.91:
	s_mov_b32 s18, 0x7f800000
	v_mov_b32_e32 v5, 0x7c
	v_mov_b32_e32 v6, 0x7f
	v_cmp_lt_u32_e32 vcc, s18, v4
	s_nop 1
	v_cndmask_b32_e32 v5, v5, v6, vcc
; %bb.92:
	s_or_b64 exec, exec, s[12:13]
	global_store_byte v[2:3], v5, off
.LBB14_93:
	s_mov_b64 s[18:19], 0
	s_mov_b64 s[12:13], -1
.LBB14_94:
	s_andn2_b64 vcc, exec, s[18:19]
	s_cbranch_vccnz .LBB14_102
; %bb.95:
	s_cmp_gt_i32 s25, 14
	s_mov_b64 s[18:19], -1
	s_cbranch_scc0 .LBB14_99
; %bb.96:
	s_cmp_eq_u32 s25, 15
	s_mov_b64 s[0:1], -1
	s_cbranch_scc0 .LBB14_98
; %bb.97:
	v_cvt_f32_ubyte0_e32 v4, v1
	v_bfe_u32 v5, v4, 16, 1
	s_movk_i32 s0, 0x7fff
	v_add3_u32 v4, v4, v5, s0
	global_store_short_d16_hi v[2:3], v4, off
	s_mov_b64 s[12:13], -1
	s_mov_b64 s[0:1], 0
.LBB14_98:
	s_mov_b64 s[18:19], 0
.LBB14_99:
	s_and_b64 vcc, exec, s[18:19]
	s_cbranch_vccz .LBB14_102
; %bb.100:
	s_cmp_eq_u32 s25, 11
	s_mov_b64 s[0:1], -1
	s_cbranch_scc0 .LBB14_102
; %bb.101:
	s_movk_i32 s0, 0xff
	v_cmp_ne_u16_sdwa s[0:1], v0, s0 src0_sel:BYTE_0 src1_sel:DWORD
	s_mov_b64 s[12:13], -1
	s_nop 0
	v_cndmask_b32_e64 v0, 0, 1, s[0:1]
	s_mov_b64 s[0:1], 0
	global_store_byte v[2:3], v0, off
.LBB14_102:
	s_branch .LBB14_20
.LBB14_103:
	s_and_b32 s18, 0xffff, s24
	s_cmp_lt_i32 s18, 5
	s_mov_b64 s[12:13], -1
	s_cbranch_scc1 .LBB14_124
; %bb.104:
	s_cmp_lt_i32 s18, 8
	s_cbranch_scc1 .LBB14_114
; %bb.105:
	s_cmp_lt_i32 s18, 9
	s_cbranch_scc1 .LBB14_111
; %bb.106:
	s_cmp_gt_i32 s18, 9
	s_cbranch_scc0 .LBB14_108
; %bb.107:
	s_mov_b32 s12, 0xffff
	v_and_b32_sdwa v0, s12, v1 dst_sel:DWORD dst_unused:UNUSED_PAD src0_sel:DWORD src1_sel:BYTE_0
	v_mov_b32_e32 v6, 0
	v_cvt_f64_u32_e32 v[4:5], v0
	v_mov_b32_e32 v7, v6
	global_store_dwordx4 v[2:3], v[4:7], off
	s_mov_b64 s[12:13], 0
.LBB14_108:
	s_andn2_b64 vcc, exec, s[12:13]
	s_cbranch_vccnz .LBB14_110
; %bb.109:
	v_cvt_f32_ubyte0_e32 v4, v1
	v_mov_b32_e32 v5, 0
	global_store_dwordx2 v[2:3], v[4:5], off
.LBB14_110:
	s_mov_b64 s[12:13], 0
.LBB14_111:
	s_andn2_b64 vcc, exec, s[12:13]
	s_cbranch_vccnz .LBB14_113
; %bb.112:
	v_cvt_f16_u16_sdwa v0, v1 dst_sel:DWORD dst_unused:UNUSED_PAD src0_sel:BYTE_0
	global_store_dword v[2:3], v0, off
.LBB14_113:
	s_mov_b64 s[12:13], 0
.LBB14_114:
	s_andn2_b64 vcc, exec, s[12:13]
	s_cbranch_vccnz .LBB14_123
; %bb.115:
	s_cmp_lt_i32 s18, 6
	s_mov_b64 s[12:13], -1
	s_cbranch_scc1 .LBB14_121
; %bb.116:
	s_cmp_gt_i32 s18, 6
	s_cbranch_scc0 .LBB14_118
; %bb.117:
	s_mov_b32 s12, 0xffff
	v_and_b32_sdwa v0, s12, v1 dst_sel:DWORD dst_unused:UNUSED_PAD src0_sel:DWORD src1_sel:BYTE_0
	v_cvt_f64_u32_e32 v[4:5], v0
	global_store_dwordx2 v[2:3], v[4:5], off
	s_mov_b64 s[12:13], 0
.LBB14_118:
	s_andn2_b64 vcc, exec, s[12:13]
	s_cbranch_vccnz .LBB14_120
; %bb.119:
	v_cvt_f32_ubyte0_e32 v0, v1
	global_store_dword v[2:3], v0, off
.LBB14_120:
	s_mov_b64 s[12:13], 0
.LBB14_121:
	s_andn2_b64 vcc, exec, s[12:13]
	s_cbranch_vccnz .LBB14_123
; %bb.122:
	v_cvt_f16_u16_sdwa v0, v1 dst_sel:DWORD dst_unused:UNUSED_PAD src0_sel:BYTE_0
	global_store_short v[2:3], v0, off
.LBB14_123:
	s_mov_b64 s[12:13], 0
.LBB14_124:
	s_andn2_b64 vcc, exec, s[12:13]
	s_cbranch_vccnz .LBB14_140
; %bb.125:
	s_cmp_lt_i32 s18, 2
	s_mov_b64 s[12:13], -1
	s_cbranch_scc1 .LBB14_135
; %bb.126:
	s_cmp_lt_i32 s18, 3
	s_cbranch_scc1 .LBB14_132
; %bb.127:
	s_cmp_gt_i32 s18, 3
	s_cbranch_scc0 .LBB14_129
; %bb.128:
	v_and_b32_e32 v4, 0xff, v1
	v_mov_b32_e32 v5, 0
	global_store_dwordx2 v[2:3], v[4:5], off
	s_mov_b64 s[12:13], 0
.LBB14_129:
	s_andn2_b64 vcc, exec, s[12:13]
	s_cbranch_vccnz .LBB14_131
; %bb.130:
	v_and_b32_e32 v0, 0xff, v1
	global_store_dword v[2:3], v0, off
.LBB14_131:
	s_mov_b64 s[12:13], 0
.LBB14_132:
	s_andn2_b64 vcc, exec, s[12:13]
	s_cbranch_vccnz .LBB14_134
; %bb.133:
	v_and_b32_e32 v0, 0xff, v1
	global_store_short v[2:3], v0, off
.LBB14_134:
	s_mov_b64 s[12:13], 0
.LBB14_135:
	s_andn2_b64 vcc, exec, s[12:13]
	s_cbranch_vccnz .LBB14_140
; %bb.136:
	s_cmp_gt_i32 s18, 0
	s_mov_b64 s[12:13], -1
	s_cbranch_scc0 .LBB14_138
; %bb.137:
	global_store_byte v[2:3], v1, off
	s_mov_b64 s[12:13], 0
.LBB14_138:
	s_andn2_b64 vcc, exec, s[12:13]
	s_cbranch_vccnz .LBB14_140
; %bb.139:
	global_store_byte v[2:3], v1, off
.LBB14_140:
	s_branch .LBB14_21
.LBB14_141:
	s_mov_b64 s[18:19], 0
                                        ; implicit-def: $vgpr10
	s_branch .LBB14_247
.LBB14_142:
	s_mov_b64 s[14:15], -1
                                        ; implicit-def: $vgpr0
.LBB14_143:
	s_mov_b64 s[12:13], 0
.LBB14_144:
	s_and_b64 vcc, exec, s[12:13]
	s_cbranch_vccz .LBB14_148
; %bb.145:
	s_cmp_eq_u32 s18, 29
	s_cbranch_scc0 .LBB14_147
; %bb.146:
	global_load_dwordx2 v[0:1], v[2:3], off
	s_mov_b64 s[0:1], -1
	s_mov_b64 s[14:15], 0
	s_branch .LBB14_148
.LBB14_147:
	s_mov_b64 s[14:15], -1
                                        ; implicit-def: $vgpr0
.LBB14_148:
	s_mov_b64 s[12:13], 0
.LBB14_149:
	s_and_b64 vcc, exec, s[12:13]
	s_cbranch_vccz .LBB14_165
; %bb.150:
	s_cmp_lt_i32 s18, 27
	s_cbranch_scc1 .LBB14_153
; %bb.151:
	s_cmp_gt_i32 s18, 27
	s_cbranch_scc0 .LBB14_154
; %bb.152:
	global_load_dword v0, v[2:3], off
	s_mov_b64 s[0:1], 0
	s_branch .LBB14_155
.LBB14_153:
	s_mov_b64 s[0:1], -1
                                        ; implicit-def: $vgpr0
	s_branch .LBB14_158
.LBB14_154:
	s_mov_b64 s[0:1], -1
                                        ; implicit-def: $vgpr0
.LBB14_155:
	s_andn2_b64 vcc, exec, s[0:1]
	s_cbranch_vccnz .LBB14_157
; %bb.156:
	global_load_ushort v0, v[2:3], off
.LBB14_157:
	s_mov_b64 s[0:1], 0
.LBB14_158:
	s_andn2_b64 vcc, exec, s[0:1]
	s_cbranch_vccnz .LBB14_164
; %bb.159:
	global_load_ubyte v1, v[2:3], off
	s_movk_i32 s0, 0x7f
	s_mov_b64 s[12:13], 0
	s_waitcnt vmcnt(0)
	v_cmp_lt_i16_e32 vcc, s0, v1
	s_and_saveexec_b64 s[0:1], vcc
	s_xor_b64 s[0:1], exec, s[0:1]
	s_cbranch_execz .LBB14_175
; %bb.160:
	s_movk_i32 s12, 0x80
	v_cmp_ne_u16_e32 vcc, s12, v1
	s_and_b64 s[12:13], vcc, exec
	s_andn2_saveexec_b64 s[0:1], s[0:1]
	s_cbranch_execnz .LBB14_176
.LBB14_161:
	s_or_b64 exec, exec, s[0:1]
	v_mov_b32_e32 v0, 0
	s_and_saveexec_b64 s[0:1], s[12:13]
	s_cbranch_execz .LBB14_163
.LBB14_162:
	v_lshlrev_b32_e32 v0, 24, v1
	v_and_b32_e32 v1, 0xffff, v1
	v_and_b32_e32 v4, 7, v1
	v_ffbh_u32_e32 v6, v4
	v_min_u32_e32 v6, 32, v6
	v_subrev_u32_e32 v7, 28, v6
	v_bfe_u32 v5, v1, 3, 4
	v_lshlrev_b32_e32 v1, v7, v1
	v_sub_u32_e32 v6, 29, v6
	v_and_b32_e32 v1, 7, v1
	v_cmp_eq_u32_e32 vcc, 0, v5
	v_and_b32_e32 v0, 0x80000000, v0
	s_mov_b32 s12, 0x2f800000
	v_cndmask_b32_e32 v5, v5, v6, vcc
	v_cndmask_b32_e32 v1, v4, v1, vcc
	v_mov_b32_e32 v4, 0x3b800000
	v_lshlrev_b32_e32 v1, 20, v1
	v_lshl_add_u32 v4, v5, 23, v4
	v_or3_b32 v0, v0, v4, v1
	v_trunc_f32_e32 v0, v0
	v_mul_f32_e64 v1, |v0|, s12
	v_floor_f32_e32 v1, v1
	s_mov_b32 s12, 0xcf800000
	v_fma_f32 v1, v1, s12, |v0|
	v_cvt_u32_f32_e32 v1, v1
	v_ashrrev_i32_e32 v0, 31, v0
	v_xor_b32_e32 v1, v1, v0
	v_sub_u32_e32 v0, v1, v0
.LBB14_163:
	s_or_b64 exec, exec, s[0:1]
.LBB14_164:
	s_mov_b64 s[0:1], -1
.LBB14_165:
	s_branch .LBB14_198
.LBB14_166:
	s_cmp_gt_i32 s18, 22
	s_cbranch_scc0 .LBB14_174
; %bb.167:
	s_cmp_lt_i32 s18, 24
	s_cbranch_scc1 .LBB14_177
; %bb.168:
	s_cmp_gt_i32 s18, 24
	s_cbranch_scc0 .LBB14_178
; %bb.169:
	global_load_ubyte v1, v[2:3], off
	s_movk_i32 s0, 0x7f
	s_mov_b64 s[12:13], 0
	s_waitcnt vmcnt(0)
	v_cmp_lt_i16_e32 vcc, s0, v1
	s_and_saveexec_b64 s[0:1], vcc
	s_xor_b64 s[0:1], exec, s[0:1]
	s_cbranch_execz .LBB14_190
; %bb.170:
	s_movk_i32 s12, 0x80
	v_cmp_ne_u16_e32 vcc, s12, v1
	s_and_b64 s[12:13], vcc, exec
	s_andn2_saveexec_b64 s[0:1], s[0:1]
	s_cbranch_execnz .LBB14_191
.LBB14_171:
	s_or_b64 exec, exec, s[0:1]
	v_mov_b32_e32 v0, 0
	s_and_saveexec_b64 s[0:1], s[12:13]
	s_cbranch_execz .LBB14_173
.LBB14_172:
	v_lshlrev_b32_e32 v0, 24, v1
	v_and_b32_e32 v1, 0xffff, v1
	v_and_b32_e32 v4, 3, v1
	v_ffbh_u32_e32 v6, v4
	v_min_u32_e32 v6, 32, v6
	v_subrev_u32_e32 v7, 29, v6
	v_bfe_u32 v5, v1, 2, 5
	v_lshlrev_b32_e32 v1, v7, v1
	v_sub_u32_e32 v6, 30, v6
	v_and_b32_e32 v1, 3, v1
	v_cmp_eq_u32_e32 vcc, 0, v5
	v_and_b32_e32 v0, 0x80000000, v0
	s_mov_b32 s12, 0x2f800000
	v_cndmask_b32_e32 v5, v5, v6, vcc
	v_cndmask_b32_e32 v1, v4, v1, vcc
	v_mov_b32_e32 v4, 0x37800000
	v_lshlrev_b32_e32 v1, 21, v1
	v_lshl_add_u32 v4, v5, 23, v4
	v_or3_b32 v0, v0, v4, v1
	v_trunc_f32_e32 v0, v0
	v_mul_f32_e64 v1, |v0|, s12
	v_floor_f32_e32 v1, v1
	s_mov_b32 s12, 0xcf800000
	v_fma_f32 v1, v1, s12, |v0|
	v_cvt_u32_f32_e32 v1, v1
	v_ashrrev_i32_e32 v0, 31, v0
	v_xor_b32_e32 v1, v1, v0
	v_sub_u32_e32 v0, v1, v0
.LBB14_173:
	s_or_b64 exec, exec, s[0:1]
	s_mov_b64 s[0:1], 0
	s_branch .LBB14_179
.LBB14_174:
	s_mov_b64 s[12:13], -1
                                        ; implicit-def: $vgpr0
	s_branch .LBB14_185
.LBB14_175:
	s_andn2_saveexec_b64 s[0:1], s[0:1]
	s_cbranch_execz .LBB14_161
.LBB14_176:
	v_cmp_ne_u16_e32 vcc, 0, v1
	s_andn2_b64 s[12:13], s[12:13], exec
	s_and_b64 s[22:23], vcc, exec
	s_or_b64 s[12:13], s[12:13], s[22:23]
	s_or_b64 exec, exec, s[0:1]
	v_mov_b32_e32 v0, 0
	s_and_saveexec_b64 s[0:1], s[12:13]
	s_cbranch_execnz .LBB14_162
	s_branch .LBB14_163
.LBB14_177:
	s_mov_b64 s[0:1], -1
                                        ; implicit-def: $vgpr0
	s_branch .LBB14_182
.LBB14_178:
	s_mov_b64 s[0:1], -1
                                        ; implicit-def: $vgpr0
.LBB14_179:
	s_and_b64 vcc, exec, s[0:1]
	s_cbranch_vccz .LBB14_181
; %bb.180:
	global_load_ubyte v0, v[2:3], off
	s_mov_b32 s0, 0x7f800000
	s_brev_b32 s1, 1
	s_mov_b32 s12, 0x2f800000
	s_waitcnt vmcnt(0)
	v_lshlrev_b32_e32 v0, 24, v0
	v_and_b32_e32 v1, 0x7f000000, v0
	v_ffbh_u32_e32 v4, v1
	v_min_u32_e32 v4, 32, v4
	v_sub_u32_e64 v4, v4, 4 clamp
	v_lshlrev_b32_e32 v6, v4, v1
	v_lshlrev_b32_e32 v4, 23, v4
	v_lshrrev_b32_e32 v6, 4, v6
	v_add_u32_e32 v5, 0x1000000, v1
	v_sub_u32_e32 v4, v6, v4
	v_ashrrev_i32_e32 v5, 8, v5
	v_add_u32_e32 v4, 0x3c000000, v4
	v_and_or_b32 v4, v5, s0, v4
	v_cmp_ne_u32_e32 vcc, 0, v1
	s_mov_b32 s0, 0xcf800000
	s_nop 0
	v_cndmask_b32_e32 v1, 0, v4, vcc
	v_and_or_b32 v0, v0, s1, v1
	v_trunc_f32_e32 v0, v0
	v_mul_f32_e64 v1, |v0|, s12
	v_floor_f32_e32 v1, v1
	v_fma_f32 v1, v1, s0, |v0|
	v_cvt_u32_f32_e32 v1, v1
	v_ashrrev_i32_e32 v0, 31, v0
	v_xor_b32_e32 v1, v1, v0
	v_sub_u32_e32 v0, v1, v0
.LBB14_181:
	s_mov_b64 s[0:1], 0
.LBB14_182:
	s_andn2_b64 vcc, exec, s[0:1]
	s_cbranch_vccnz .LBB14_184
; %bb.183:
	global_load_ubyte v0, v[2:3], off
	s_movk_i32 s0, 0x7f00
	s_brev_b32 s1, 16
	s_brev_b32 s12, 1
	s_mov_b32 s13, 0x2f800000
	s_waitcnt vmcnt(0)
	v_lshlrev_b16_e32 v1, 8, v0
	v_lshlrev_b32_e32 v0, 25, v0
	v_lshrrev_b32_e32 v4, 4, v0
	v_and_or_b32 v5, v1, s0, 0.5
	v_or_b32_e32 v4, 0x70000000, v4
	v_add_f32_e32 v5, -0.5, v5
	v_mul_f32_e32 v4, 0x7800000, v4
	v_cmp_gt_u32_e32 vcc, s1, v0
	v_bfe_i32 v1, v1, 0, 16
	s_mov_b32 s0, 0xcf800000
	v_cndmask_b32_e32 v0, v4, v5, vcc
	v_and_or_b32 v0, v1, s12, v0
	v_trunc_f32_e32 v0, v0
	v_mul_f32_e64 v1, |v0|, s13
	v_floor_f32_e32 v1, v1
	v_fma_f32 v1, v1, s0, |v0|
	v_cvt_u32_f32_e32 v1, v1
	v_ashrrev_i32_e32 v0, 31, v0
	v_xor_b32_e32 v1, v1, v0
	v_sub_u32_e32 v0, v1, v0
.LBB14_184:
	s_mov_b64 s[12:13], 0
	s_mov_b64 s[0:1], -1
.LBB14_185:
	s_andn2_b64 vcc, exec, s[12:13]
	s_cbranch_vccnz .LBB14_198
; %bb.186:
	s_cmp_gt_i32 s18, 14
	s_cbranch_scc0 .LBB14_189
; %bb.187:
	s_cmp_eq_u32 s18, 15
	s_cbranch_scc0 .LBB14_192
; %bb.188:
	global_load_ushort v0, v[2:3], off
	s_mov_b32 s0, 0x2f800000
	s_mov_b32 s1, 0xcf800000
	s_mov_b64 s[14:15], 0
	s_waitcnt vmcnt(0)
	v_lshlrev_b32_e32 v0, 16, v0
	v_trunc_f32_e32 v0, v0
	v_mul_f32_e64 v1, |v0|, s0
	v_floor_f32_e32 v1, v1
	v_fma_f32 v1, v1, s1, |v0|
	v_cvt_u32_f32_e32 v1, v1
	v_ashrrev_i32_e32 v0, 31, v0
	s_mov_b64 s[0:1], -1
	v_xor_b32_e32 v1, v1, v0
	v_sub_u32_e32 v0, v1, v0
	s_branch .LBB14_193
.LBB14_189:
	s_mov_b64 s[12:13], -1
                                        ; implicit-def: $vgpr0
	s_branch .LBB14_194
.LBB14_190:
	s_andn2_saveexec_b64 s[0:1], s[0:1]
	s_cbranch_execz .LBB14_171
.LBB14_191:
	v_cmp_ne_u16_e32 vcc, 0, v1
	s_andn2_b64 s[12:13], s[12:13], exec
	s_and_b64 s[22:23], vcc, exec
	s_or_b64 s[12:13], s[12:13], s[22:23]
	s_or_b64 exec, exec, s[0:1]
	v_mov_b32_e32 v0, 0
	s_and_saveexec_b64 s[0:1], s[12:13]
	s_cbranch_execnz .LBB14_172
	s_branch .LBB14_173
.LBB14_192:
	s_mov_b64 s[14:15], -1
                                        ; implicit-def: $vgpr0
.LBB14_193:
	s_mov_b64 s[12:13], 0
.LBB14_194:
	s_and_b64 vcc, exec, s[12:13]
	s_cbranch_vccz .LBB14_198
; %bb.195:
	s_cmp_eq_u32 s18, 11
	s_cbranch_scc0 .LBB14_197
; %bb.196:
	global_load_ubyte v0, v[2:3], off
	s_mov_b64 s[0:1], -1
	s_mov_b64 s[14:15], 0
	s_waitcnt vmcnt(0)
	v_cmp_ne_u16_e32 vcc, 0, v0
	s_nop 1
	v_cndmask_b32_e64 v0, 0, 1, vcc
	s_branch .LBB14_198
.LBB14_197:
	s_mov_b64 s[14:15], -1
                                        ; implicit-def: $vgpr0
.LBB14_198:
	s_branch .LBB14_10
.LBB14_199:
	s_cmp_lt_i32 s18, 5
	s_cbranch_scc1 .LBB14_204
; %bb.200:
	s_cmp_lt_i32 s18, 8
	s_cbranch_scc1 .LBB14_205
; %bb.201:
	;; [unrolled: 3-line block ×3, first 2 shown]
	s_cmp_gt_i32 s18, 9
	s_cbranch_scc0 .LBB14_207
; %bb.203:
	global_load_dwordx2 v[0:1], v[2:3], off
	s_movk_i32 s0, 0xffe0
	s_waitcnt vmcnt(0)
	v_trunc_f64_e32 v[0:1], v[0:1]
	v_ldexp_f64 v[4:5], v[0:1], s0
	v_floor_f64_e32 v[4:5], v[4:5]
	v_fmac_f64_e32 v[0:1], 0xc1f00000, v[4:5]
	v_cvt_u32_f64_e32 v0, v[0:1]
	s_mov_b64 s[0:1], 0
	s_branch .LBB14_208
.LBB14_204:
                                        ; implicit-def: $vgpr0
	s_branch .LBB14_226
.LBB14_205:
	s_mov_b64 s[0:1], -1
                                        ; implicit-def: $vgpr0
	s_branch .LBB14_214
.LBB14_206:
	s_mov_b64 s[0:1], -1
                                        ; implicit-def: $vgpr0
	s_branch .LBB14_211
.LBB14_207:
	s_mov_b64 s[0:1], -1
                                        ; implicit-def: $vgpr0
.LBB14_208:
	s_andn2_b64 vcc, exec, s[0:1]
	s_cbranch_vccnz .LBB14_210
; %bb.209:
	global_load_dword v0, v[2:3], off
	s_mov_b32 s0, 0x2f800000
	s_waitcnt vmcnt(0)
	v_trunc_f32_e32 v0, v0
	v_mul_f32_e64 v1, |v0|, s0
	v_floor_f32_e32 v1, v1
	s_mov_b32 s0, 0xcf800000
	v_fma_f32 v1, v1, s0, |v0|
	v_cvt_u32_f32_e32 v1, v1
	v_ashrrev_i32_e32 v0, 31, v0
	v_xor_b32_e32 v1, v1, v0
	v_sub_u32_e32 v0, v1, v0
.LBB14_210:
	s_mov_b64 s[0:1], 0
.LBB14_211:
	s_andn2_b64 vcc, exec, s[0:1]
	s_cbranch_vccnz .LBB14_213
; %bb.212:
	global_load_dword v0, v[2:3], off
	s_waitcnt vmcnt(0)
	v_cvt_f32_f16_e32 v0, v0
	v_cvt_i32_f32_e32 v0, v0
.LBB14_213:
	s_mov_b64 s[0:1], 0
.LBB14_214:
	s_andn2_b64 vcc, exec, s[0:1]
	s_cbranch_vccnz .LBB14_225
; %bb.215:
	s_cmp_lt_i32 s18, 6
	s_cbranch_scc1 .LBB14_218
; %bb.216:
	s_cmp_gt_i32 s18, 6
	s_cbranch_scc0 .LBB14_219
; %bb.217:
	global_load_dwordx2 v[0:1], v[2:3], off
	s_movk_i32 s0, 0xffe0
	s_waitcnt vmcnt(0)
	v_trunc_f64_e32 v[0:1], v[0:1]
	v_ldexp_f64 v[4:5], v[0:1], s0
	v_floor_f64_e32 v[4:5], v[4:5]
	v_fmac_f64_e32 v[0:1], 0xc1f00000, v[4:5]
	v_cvt_u32_f64_e32 v0, v[0:1]
	s_mov_b64 s[0:1], 0
	s_branch .LBB14_220
.LBB14_218:
	s_mov_b64 s[0:1], -1
                                        ; implicit-def: $vgpr0
	s_branch .LBB14_223
.LBB14_219:
	s_mov_b64 s[0:1], -1
                                        ; implicit-def: $vgpr0
.LBB14_220:
	s_andn2_b64 vcc, exec, s[0:1]
	s_cbranch_vccnz .LBB14_222
; %bb.221:
	global_load_dword v0, v[2:3], off
	s_mov_b32 s0, 0x2f800000
	s_waitcnt vmcnt(0)
	v_trunc_f32_e32 v0, v0
	v_mul_f32_e64 v1, |v0|, s0
	v_floor_f32_e32 v1, v1
	s_mov_b32 s0, 0xcf800000
	v_fma_f32 v1, v1, s0, |v0|
	v_cvt_u32_f32_e32 v1, v1
	v_ashrrev_i32_e32 v0, 31, v0
	v_xor_b32_e32 v1, v1, v0
	v_sub_u32_e32 v0, v1, v0
.LBB14_222:
	s_mov_b64 s[0:1], 0
.LBB14_223:
	s_andn2_b64 vcc, exec, s[0:1]
	s_cbranch_vccnz .LBB14_225
; %bb.224:
	global_load_ushort v0, v[2:3], off
	s_waitcnt vmcnt(0)
	v_cvt_f32_f16_e32 v0, v0
	v_cvt_i32_f32_e32 v0, v0
.LBB14_225:
	s_cbranch_execnz .LBB14_245
.LBB14_226:
	s_cmp_lt_i32 s18, 2
	s_cbranch_scc1 .LBB14_230
; %bb.227:
	s_cmp_lt_i32 s18, 3
	s_cbranch_scc1 .LBB14_231
; %bb.228:
	s_cmp_gt_i32 s18, 3
	s_cbranch_scc0 .LBB14_232
; %bb.229:
	global_load_dwordx2 v[0:1], v[2:3], off
	s_mov_b64 s[0:1], 0
	s_branch .LBB14_233
.LBB14_230:
	s_mov_b64 s[0:1], -1
                                        ; implicit-def: $vgpr0
	s_branch .LBB14_239
.LBB14_231:
	s_mov_b64 s[0:1], -1
                                        ; implicit-def: $vgpr0
	s_branch .LBB14_236
.LBB14_232:
	s_mov_b64 s[0:1], -1
                                        ; implicit-def: $vgpr0
.LBB14_233:
	s_andn2_b64 vcc, exec, s[0:1]
	s_cbranch_vccnz .LBB14_235
; %bb.234:
	global_load_dword v0, v[2:3], off
.LBB14_235:
	s_mov_b64 s[0:1], 0
.LBB14_236:
	s_andn2_b64 vcc, exec, s[0:1]
	s_cbranch_vccnz .LBB14_238
; %bb.237:
	global_load_ushort v0, v[2:3], off
.LBB14_238:
	s_mov_b64 s[0:1], 0
.LBB14_239:
	s_andn2_b64 vcc, exec, s[0:1]
	s_cbranch_vccnz .LBB14_245
; %bb.240:
	s_cmp_gt_i32 s18, 0
	s_cbranch_scc0 .LBB14_242
; %bb.241:
	global_load_ubyte v0, v[2:3], off
	s_mov_b64 s[0:1], 0
	s_branch .LBB14_243
.LBB14_242:
	s_mov_b64 s[0:1], -1
                                        ; implicit-def: $vgpr0
.LBB14_243:
	s_andn2_b64 vcc, exec, s[0:1]
	s_cbranch_vccnz .LBB14_245
; %bb.244:
	global_load_ubyte v0, v[2:3], off
.LBB14_245:
	s_branch .LBB14_11
.LBB14_246:
	s_mov_b64 s[0:1], 0
                                        ; implicit-def: $vgpr10
	s_mov_b64 s[18:19], 0
.LBB14_247:
	s_and_b64 s[12:13], s[0:1], exec
	s_and_b64 s[14:15], s[14:15], exec
	s_orn2_b64 s[18:19], s[18:19], exec
.LBB14_248:
	s_or_b64 exec, exec, s[16:17]
	s_mov_b64 s[22:23], 0
	s_mov_b64 s[0:1], 0
                                        ; implicit-def: $vgpr2_vgpr3
                                        ; implicit-def: $vgpr0
	s_and_saveexec_b64 s[16:17], s[18:19]
	s_cbranch_execz .LBB14_257
; %bb.249:
	v_cmp_gt_i32_e32 vcc, s38, v10
	s_mov_b64 s[0:1], -1
	s_mov_b64 s[18:19], s[14:15]
	s_mov_b64 s[20:21], s[12:13]
	s_and_saveexec_b64 s[22:23], vcc
	s_cbranch_execz .LBB14_505
; %bb.250:
	s_waitcnt vmcnt(0)
	v_mul_lo_u32 v0, v10, s9
	v_ashrrev_i32_e32 v1, 31, v0
	s_and_b32 s24, 0xffff, s42
	s_cmp_lt_i32 s24, 11
	v_lshl_add_u64 v[2:3], s[6:7], 0, v[0:1]
	s_cbranch_scc1 .LBB14_260
; %bb.251:
	s_cmp_gt_i32 s24, 25
	s_cbranch_scc0 .LBB14_269
; %bb.252:
	s_cmp_gt_i32 s24, 28
	s_cbranch_scc0 .LBB14_271
	;; [unrolled: 3-line block ×4, first 2 shown]
; %bb.255:
	s_cmp_eq_u32 s24, 46
	s_mov_b64 s[20:21], 0
	s_cbranch_scc0 .LBB14_281
; %bb.256:
	global_load_dword v0, v[2:3], off
	s_mov_b32 s0, 0x2f800000
	s_mov_b32 s1, 0xcf800000
	s_mov_b64 s[18:19], 0
	s_waitcnt vmcnt(0)
	v_lshlrev_b32_e32 v0, 16, v0
	v_trunc_f32_e32 v0, v0
	v_mul_f32_e64 v1, |v0|, s0
	v_floor_f32_e32 v1, v1
	v_fma_f32 v1, v1, s1, |v0|
	v_cvt_u32_f32_e32 v1, v1
	v_ashrrev_i32_e32 v0, 31, v0
	s_mov_b64 s[0:1], -1
	v_xor_b32_e32 v1, v1, v0
	v_sub_u32_e32 v0, v1, v0
	s_branch .LBB14_282
.LBB14_257:
	s_or_b64 exec, exec, s[16:17]
	s_mov_b64 s[16:17], 0
	s_and_saveexec_b64 s[18:19], s[14:15]
	s_cbranch_execnz .LBB14_843
.LBB14_258:
	s_or_b64 exec, exec, s[18:19]
	s_and_saveexec_b64 s[14:15], s[20:21]
	s_xor_b64 s[14:15], exec, s[14:15]
	s_cbranch_execz .LBB14_844
.LBB14_259:
	global_load_ubyte v0, v[2:3], off
	s_or_b64 s[0:1], s[0:1], exec
	s_waitcnt vmcnt(0)
	v_cmp_ne_u16_e32 vcc, 0, v0
	s_nop 1
	v_cndmask_b32_e64 v0, 0, 1, vcc
	s_or_b64 exec, exec, s[14:15]
	s_and_saveexec_b64 s[14:15], s[22:23]
	s_cbranch_execz .LBB14_890
	s_branch .LBB14_845
.LBB14_260:
	s_mov_b64 s[0:1], 0
                                        ; implicit-def: $vgpr0
	s_mov_b64 s[18:19], s[14:15]
	s_cbranch_execnz .LBB14_455
.LBB14_261:
	s_andn2_b64 vcc, exec, s[0:1]
	s_cbranch_vccnz .LBB14_503
.LBB14_262:
	v_mul_lo_u32 v2, v10, s8
	v_ashrrev_i32_e32 v3, 31, v2
	s_and_b32 s28, s33, 0xff
	s_waitcnt vmcnt(0)
	v_xor_b32_e32 v1, -1, v0
	s_cmp_lt_i32 s28, 11
	v_lshl_add_u64 v[2:3], s[4:5], 0, v[2:3]
	s_cbranch_scc1 .LBB14_270
; %bb.263:
	s_and_b32 s29, 0xffff, s28
	s_cmp_gt_i32 s29, 25
	s_cbranch_scc0 .LBB14_272
; %bb.264:
	s_cmp_gt_i32 s29, 28
	s_cbranch_scc0 .LBB14_274
; %bb.265:
	;; [unrolled: 3-line block ×4, first 2 shown]
	s_mov_b64 s[24:25], 0
	s_mov_b64 s[0:1], -1
	s_cmp_eq_u32 s29, 46
	s_mov_b64 s[20:21], 0
	s_cbranch_scc0 .LBB14_286
; %bb.268:
	v_cvt_f32_ubyte0_e32 v4, v1
	v_bfe_u32 v5, v4, 16, 1
	s_movk_i32 s0, 0x7fff
	v_add3_u32 v4, v4, v5, s0
	v_lshrrev_b32_e32 v4, 16, v4
	global_store_dword v[2:3], v4, off
	s_mov_b64 s[20:21], -1
	s_mov_b64 s[0:1], 0
	s_branch .LBB14_286
.LBB14_269:
	s_mov_b64 s[20:21], -1
	s_mov_b64 s[0:1], 0
	s_mov_b64 s[18:19], s[14:15]
                                        ; implicit-def: $vgpr0
	s_branch .LBB14_421
.LBB14_270:
	s_mov_b64 s[24:25], -1
	s_mov_b64 s[20:21], 0
	s_mov_b64 s[0:1], s[12:13]
	s_branch .LBB14_355
.LBB14_271:
	s_mov_b64 s[20:21], -1
	s_mov_b64 s[0:1], 0
	s_mov_b64 s[18:19], s[14:15]
                                        ; implicit-def: $vgpr0
	s_branch .LBB14_404
.LBB14_272:
	s_mov_b64 s[24:25], -1
	s_mov_b64 s[20:21], 0
	s_mov_b64 s[0:1], s[12:13]
	s_branch .LBB14_313
.LBB14_273:
	s_mov_b64 s[20:21], -1
	s_mov_b64 s[0:1], 0
	s_mov_b64 s[18:19], s[14:15]
                                        ; implicit-def: $vgpr0
	s_branch .LBB14_399
.LBB14_274:
	s_mov_b64 s[24:25], -1
	s_mov_b64 s[20:21], 0
	s_mov_b64 s[0:1], s[12:13]
	s_branch .LBB14_296
.LBB14_275:
	s_andn2_saveexec_b64 s[22:23], s[22:23]
	s_cbranch_execz .LBB14_55
.LBB14_276:
	v_add_f32_e32 v4, 0x46000000, v5
	v_and_b32_e32 v4, 0xff, v4
	v_cmp_ne_u32_e32 vcc, 0, v4
	s_andn2_b64 s[18:19], s[18:19], exec
	s_and_b64 s[26:27], vcc, exec
	s_or_b64 s[18:19], s[18:19], s[26:27]
	s_or_b64 exec, exec, s[22:23]
	v_mov_b32_e32 v6, 0
	s_and_saveexec_b64 s[22:23], s[18:19]
	s_cbranch_execnz .LBB14_56
	s_branch .LBB14_57
.LBB14_277:
	s_mov_b64 s[20:21], -1
	s_mov_b64 s[0:1], 0
	s_mov_b64 s[18:19], s[14:15]
                                        ; implicit-def: $vgpr0
	s_branch .LBB14_282
.LBB14_278:
	s_mov_b64 s[24:25], -1
	s_mov_b64 s[20:21], 0
	s_mov_b64 s[0:1], s[12:13]
	s_branch .LBB14_292
.LBB14_279:
	s_andn2_saveexec_b64 s[22:23], s[22:23]
	s_cbranch_execz .LBB14_68
.LBB14_280:
	v_add_f32_e32 v4, 0x42800000, v5
	v_and_b32_e32 v4, 0xff, v4
	v_cmp_ne_u32_e32 vcc, 0, v4
	s_andn2_b64 s[18:19], s[18:19], exec
	s_and_b64 s[26:27], vcc, exec
	s_or_b64 s[18:19], s[18:19], s[26:27]
	s_or_b64 exec, exec, s[22:23]
	v_mov_b32_e32 v6, 0
	s_and_saveexec_b64 s[22:23], s[18:19]
	s_cbranch_execnz .LBB14_69
	s_branch .LBB14_70
.LBB14_281:
	s_mov_b64 s[18:19], -1
                                        ; implicit-def: $vgpr0
	s_mov_b64 s[0:1], 0
.LBB14_282:
	s_and_b64 vcc, exec, s[20:21]
	s_cbranch_vccz .LBB14_398
; %bb.283:
	s_cmp_eq_u32 s24, 44
	s_cbranch_scc0 .LBB14_397
; %bb.284:
	global_load_ubyte v0, v[2:3], off
	s_mov_b32 s0, 0x2f800000
	s_mov_b32 s1, 0xcf800000
	s_mov_b64 s[18:19], 0
	s_waitcnt vmcnt(0)
	v_lshlrev_b32_e32 v1, 23, v0
	v_trunc_f32_e32 v1, v1
	v_mul_f32_e64 v4, |v1|, s0
	v_floor_f32_e32 v4, v4
	v_fma_f32 v4, v4, s1, |v1|
	v_cvt_u32_f32_e32 v4, v4
	v_ashrrev_i32_e32 v1, 31, v1
	v_cmp_ne_u32_e32 vcc, 0, v0
	s_mov_b64 s[0:1], -1
	v_xor_b32_e32 v4, v4, v1
	v_sub_u32_e32 v1, v4, v1
	v_cndmask_b32_e32 v0, 0, v1, vcc
	s_branch .LBB14_398
.LBB14_285:
	s_mov_b64 s[24:25], -1
	s_mov_b64 s[20:21], 0
	s_mov_b64 s[0:1], s[12:13]
.LBB14_286:
	s_and_b64 vcc, exec, s[24:25]
	s_cbranch_vccz .LBB14_291
; %bb.287:
	s_cmp_eq_u32 s29, 44
	s_mov_b64 s[0:1], -1
	s_cbranch_scc0 .LBB14_291
; %bb.288:
	v_cvt_f32_ubyte0_e32 v5, v1
	v_lshrrev_b32_e32 v4, 23, v5
	s_movk_i32 s0, 0xff
	v_cmp_ne_u32_e32 vcc, s0, v4
	v_mov_b32_e32 v6, 0xff
	s_and_saveexec_b64 s[20:21], vcc
; %bb.289:
	s_mov_b32 s0, 0x3fffff
	v_and_b32_e32 v6, 0x400000, v5
	v_and_or_b32 v5, v5, s0, v4
	v_cmp_ne_u32_e32 vcc, 0, v6
	v_cmp_ne_u32_e64 s[0:1], 0, v5
	s_and_b64 s[0:1], vcc, s[0:1]
	s_nop 0
	v_cndmask_b32_e64 v5, 0, 1, s[0:1]
	v_add_u32_e32 v6, v4, v5
; %bb.290:
	s_or_b64 exec, exec, s[20:21]
	s_mov_b64 s[20:21], -1
	s_mov_b64 s[0:1], 0
	global_store_byte v[2:3], v6, off
.LBB14_291:
	s_mov_b64 s[24:25], 0
.LBB14_292:
	s_and_b64 vcc, exec, s[24:25]
	s_cbranch_vccz .LBB14_295
; %bb.293:
	s_cmp_eq_u32 s29, 29
	s_mov_b64 s[0:1], -1
	s_cbranch_scc0 .LBB14_295
; %bb.294:
	v_and_b32_e32 v4, 0xff, v1
	v_mov_b32_e32 v5, 0
	global_store_dwordx2 v[2:3], v[4:5], off
	s_mov_b64 s[20:21], -1
	s_mov_b64 s[0:1], 0
.LBB14_295:
	s_mov_b64 s[24:25], 0
.LBB14_296:
	s_and_b64 vcc, exec, s[24:25]
	s_cbranch_vccz .LBB14_312
; %bb.297:
	s_cmp_lt_i32 s29, 27
	s_mov_b64 s[20:21], -1
	s_cbranch_scc1 .LBB14_303
; %bb.298:
	s_cmp_gt_i32 s29, 27
	s_cbranch_scc0 .LBB14_300
; %bb.299:
	v_and_b32_e32 v4, 0xff, v1
	s_mov_b64 s[20:21], 0
	global_store_dword v[2:3], v4, off
.LBB14_300:
	s_andn2_b64 vcc, exec, s[20:21]
	s_cbranch_vccnz .LBB14_302
; %bb.301:
	v_and_b32_e32 v4, 0xff, v1
	global_store_short v[2:3], v4, off
.LBB14_302:
	s_mov_b64 s[20:21], 0
.LBB14_303:
	s_andn2_b64 vcc, exec, s[20:21]
	s_cbranch_vccnz .LBB14_311
; %bb.304:
	v_cvt_f32_ubyte0_e32 v5, v1
	s_mov_b32 s20, 0x43800000
	v_cmp_gt_u32_e32 vcc, s20, v5
	v_mov_b32_e32 v6, 0x80
	s_and_saveexec_b64 s[20:21], vcc
	s_cbranch_execz .LBB14_310
; %bb.305:
	s_mov_b32 s24, 0x3bffffff
	v_cmp_lt_u32_e32 vcc, s24, v5
	s_mov_b64 s[24:25], 0
                                        ; implicit-def: $vgpr4
	s_and_saveexec_b64 s[26:27], vcc
	s_xor_b64 s[26:27], exec, s[26:27]
	s_cbranch_execz .LBB14_518
; %bb.306:
	v_bfe_u32 v4, v5, 20, 1
	s_mov_b32 s30, 0x487ffff
	v_add3_u32 v4, v5, v4, s30
	s_mov_b64 s[24:25], exec
	v_lshrrev_b32_e32 v4, 20, v4
                                        ; implicit-def: $vgpr5
	s_andn2_saveexec_b64 s[26:27], s[26:27]
	s_cbranch_execnz .LBB14_519
.LBB14_307:
	s_or_b64 exec, exec, s[26:27]
	v_mov_b32_e32 v6, 0
	s_and_saveexec_b64 s[26:27], s[24:25]
.LBB14_308:
	v_mov_b32_e32 v6, v4
.LBB14_309:
	s_or_b64 exec, exec, s[26:27]
.LBB14_310:
	s_or_b64 exec, exec, s[20:21]
	global_store_byte v[2:3], v6, off
.LBB14_311:
	s_mov_b64 s[20:21], -1
.LBB14_312:
	s_mov_b64 s[24:25], 0
.LBB14_313:
	s_and_b64 vcc, exec, s[24:25]
	s_cbranch_vccz .LBB14_354
; %bb.314:
	s_cmp_gt_i32 s29, 22
	s_mov_b64 s[24:25], -1
	s_cbranch_scc0 .LBB14_346
; %bb.315:
	s_cmp_lt_i32 s29, 24
	s_mov_b64 s[20:21], -1
	s_cbranch_scc1 .LBB14_335
; %bb.316:
	s_cmp_gt_i32 s29, 24
	s_cbranch_scc0 .LBB14_324
; %bb.317:
	v_cvt_f32_ubyte0_e32 v5, v1
	s_mov_b32 s20, 0x47800000
	v_cmp_gt_u32_e32 vcc, s20, v5
	v_mov_b32_e32 v6, 0x80
	s_and_saveexec_b64 s[20:21], vcc
	s_cbranch_execz .LBB14_323
; %bb.318:
	s_mov_b32 s24, 0x37ffffff
	v_cmp_lt_u32_e32 vcc, s24, v5
	s_mov_b64 s[24:25], 0
                                        ; implicit-def: $vgpr4
	s_and_saveexec_b64 s[26:27], vcc
	s_xor_b64 s[26:27], exec, s[26:27]
	s_cbranch_execz .LBB14_521
; %bb.319:
	v_bfe_u32 v4, v5, 21, 1
	s_mov_b32 s30, 0x88fffff
	v_add3_u32 v4, v5, v4, s30
	s_mov_b64 s[24:25], exec
	v_lshrrev_b32_e32 v4, 21, v4
                                        ; implicit-def: $vgpr5
	s_andn2_saveexec_b64 s[26:27], s[26:27]
	s_cbranch_execnz .LBB14_522
.LBB14_320:
	s_or_b64 exec, exec, s[26:27]
	v_mov_b32_e32 v6, 0
	s_and_saveexec_b64 s[26:27], s[24:25]
.LBB14_321:
	v_mov_b32_e32 v6, v4
.LBB14_322:
	s_or_b64 exec, exec, s[26:27]
.LBB14_323:
	s_or_b64 exec, exec, s[20:21]
	s_mov_b64 s[20:21], 0
	global_store_byte v[2:3], v6, off
.LBB14_324:
	s_and_b64 vcc, exec, s[20:21]
	s_cbranch_vccz .LBB14_334
; %bb.325:
	v_cvt_f32_ubyte0_e32 v4, v1
	s_mov_b32 s20, 0x43f00000
	v_cmp_gt_u32_e32 vcc, s20, v4
                                        ; implicit-def: $vgpr5
	s_and_saveexec_b64 s[20:21], vcc
	s_xor_b64 s[20:21], exec, s[20:21]
	s_cbranch_execz .LBB14_331
; %bb.326:
	s_mov_b32 s24, 0x3c7fffff
	v_cmp_lt_u32_e32 vcc, s24, v4
                                        ; implicit-def: $vgpr5
	s_and_saveexec_b64 s[24:25], vcc
	s_xor_b64 s[24:25], exec, s[24:25]
; %bb.327:
	v_bfe_u32 v5, v4, 20, 1
	s_mov_b32 s26, 0x407ffff
	v_add3_u32 v4, v4, v5, s26
	v_lshrrev_b32_e32 v5, 20, v4
	v_and_b32_e32 v4, 0xff00000, v4
	s_mov_b32 s26, 0x7f00000
	v_mov_b32_e32 v6, 0x7e
	v_cmp_ne_u32_e32 vcc, s26, v4
                                        ; implicit-def: $vgpr4
	s_nop 1
	v_cndmask_b32_e32 v5, v6, v5, vcc
; %bb.328:
	s_andn2_saveexec_b64 s[24:25], s[24:25]
; %bb.329:
	v_add_f32_e32 v5, 0x46800000, v4
; %bb.330:
	s_or_b64 exec, exec, s[24:25]
                                        ; implicit-def: $vgpr4
.LBB14_331:
	s_andn2_saveexec_b64 s[20:21], s[20:21]
; %bb.332:
	s_mov_b32 s24, 0x7f800000
	v_mov_b32_e32 v5, 0x7e
	v_mov_b32_e32 v6, 0x7f
	v_cmp_lt_u32_e32 vcc, s24, v4
	s_nop 1
	v_cndmask_b32_e32 v5, v5, v6, vcc
; %bb.333:
	s_or_b64 exec, exec, s[20:21]
	global_store_byte v[2:3], v5, off
.LBB14_334:
	s_mov_b64 s[20:21], 0
.LBB14_335:
	s_andn2_b64 vcc, exec, s[20:21]
	s_cbranch_vccnz .LBB14_345
; %bb.336:
	v_cvt_f32_ubyte0_e32 v4, v1
	s_mov_b32 s20, 0x47800000
	v_cmp_gt_u32_e32 vcc, s20, v4
                                        ; implicit-def: $vgpr5
	s_and_saveexec_b64 s[20:21], vcc
	s_xor_b64 s[20:21], exec, s[20:21]
	s_cbranch_execz .LBB14_342
; %bb.337:
	s_mov_b32 s24, 0x387fffff
	v_cmp_lt_u32_e32 vcc, s24, v4
                                        ; implicit-def: $vgpr5
	s_and_saveexec_b64 s[24:25], vcc
	s_xor_b64 s[24:25], exec, s[24:25]
; %bb.338:
	v_bfe_u32 v5, v4, 21, 1
	s_mov_b32 s26, 0x80fffff
	v_add3_u32 v4, v4, v5, s26
	v_lshrrev_b32_e32 v5, 21, v4
                                        ; implicit-def: $vgpr4
; %bb.339:
	s_andn2_saveexec_b64 s[24:25], s[24:25]
; %bb.340:
	v_add_f32_e32 v5, 0x43000000, v4
; %bb.341:
	s_or_b64 exec, exec, s[24:25]
                                        ; implicit-def: $vgpr4
.LBB14_342:
	s_andn2_saveexec_b64 s[20:21], s[20:21]
; %bb.343:
	s_mov_b32 s24, 0x7f800000
	v_mov_b32_e32 v5, 0x7c
	v_mov_b32_e32 v6, 0x7f
	v_cmp_lt_u32_e32 vcc, s24, v4
	s_nop 1
	v_cndmask_b32_e32 v5, v5, v6, vcc
; %bb.344:
	s_or_b64 exec, exec, s[20:21]
	global_store_byte v[2:3], v5, off
.LBB14_345:
	s_mov_b64 s[24:25], 0
	s_mov_b64 s[20:21], -1
.LBB14_346:
	s_andn2_b64 vcc, exec, s[24:25]
	s_cbranch_vccnz .LBB14_354
; %bb.347:
	s_cmp_gt_i32 s29, 14
	s_mov_b64 s[24:25], -1
	s_cbranch_scc0 .LBB14_351
; %bb.348:
	s_cmp_eq_u32 s29, 15
	s_mov_b64 s[0:1], -1
	s_cbranch_scc0 .LBB14_350
; %bb.349:
	v_cvt_f32_ubyte0_e32 v4, v1
	v_bfe_u32 v5, v4, 16, 1
	s_movk_i32 s0, 0x7fff
	v_add3_u32 v4, v4, v5, s0
	global_store_short_d16_hi v[2:3], v4, off
	s_mov_b64 s[20:21], -1
	s_mov_b64 s[0:1], 0
.LBB14_350:
	s_mov_b64 s[24:25], 0
.LBB14_351:
	s_and_b64 vcc, exec, s[24:25]
	s_cbranch_vccz .LBB14_354
; %bb.352:
	s_cmp_eq_u32 s29, 11
	s_mov_b64 s[0:1], -1
	s_cbranch_scc0 .LBB14_354
; %bb.353:
	s_movk_i32 s0, 0xff
	v_cmp_ne_u16_sdwa s[0:1], v0, s0 src0_sel:BYTE_0 src1_sel:DWORD
	s_mov_b64 s[20:21], -1
	s_nop 0
	v_cndmask_b32_e64 v0, 0, 1, s[0:1]
	s_mov_b64 s[0:1], 0
	global_store_byte v[2:3], v0, off
.LBB14_354:
	s_mov_b64 s[24:25], 0
.LBB14_355:
	s_and_b64 vcc, exec, s[24:25]
	s_cbranch_vccz .LBB14_394
; %bb.356:
	s_and_b32 s24, 0xffff, s28
	s_cmp_lt_i32 s24, 5
	s_mov_b64 s[20:21], -1
	s_cbranch_scc1 .LBB14_377
; %bb.357:
	s_cmp_lt_i32 s24, 8
	s_cbranch_scc1 .LBB14_367
; %bb.358:
	s_cmp_lt_i32 s24, 9
	s_cbranch_scc1 .LBB14_364
; %bb.359:
	s_cmp_gt_i32 s24, 9
	s_cbranch_scc0 .LBB14_361
; %bb.360:
	s_mov_b32 s20, 0xffff
	v_and_b32_sdwa v0, s20, v1 dst_sel:DWORD dst_unused:UNUSED_PAD src0_sel:DWORD src1_sel:BYTE_0
	v_mov_b32_e32 v6, 0
	v_cvt_f64_u32_e32 v[4:5], v0
	v_mov_b32_e32 v7, v6
	s_mov_b64 s[20:21], 0
	global_store_dwordx4 v[2:3], v[4:7], off
.LBB14_361:
	s_andn2_b64 vcc, exec, s[20:21]
	s_cbranch_vccnz .LBB14_363
; %bb.362:
	v_cvt_f32_ubyte0_e32 v4, v1
	v_mov_b32_e32 v5, 0
	global_store_dwordx2 v[2:3], v[4:5], off
.LBB14_363:
	s_mov_b64 s[20:21], 0
.LBB14_364:
	s_andn2_b64 vcc, exec, s[20:21]
	s_cbranch_vccnz .LBB14_366
; %bb.365:
	v_cvt_f16_u16_sdwa v0, v1 dst_sel:DWORD dst_unused:UNUSED_PAD src0_sel:BYTE_0
	global_store_dword v[2:3], v0, off
.LBB14_366:
	s_mov_b64 s[20:21], 0
.LBB14_367:
	s_andn2_b64 vcc, exec, s[20:21]
	s_cbranch_vccnz .LBB14_376
; %bb.368:
	s_cmp_lt_i32 s24, 6
	s_mov_b64 s[20:21], -1
	s_cbranch_scc1 .LBB14_374
; %bb.369:
	s_cmp_gt_i32 s24, 6
	s_cbranch_scc0 .LBB14_371
; %bb.370:
	s_mov_b32 s20, 0xffff
	v_and_b32_sdwa v0, s20, v1 dst_sel:DWORD dst_unused:UNUSED_PAD src0_sel:DWORD src1_sel:BYTE_0
	v_cvt_f64_u32_e32 v[4:5], v0
	s_mov_b64 s[20:21], 0
	global_store_dwordx2 v[2:3], v[4:5], off
.LBB14_371:
	s_andn2_b64 vcc, exec, s[20:21]
	s_cbranch_vccnz .LBB14_373
; %bb.372:
	v_cvt_f32_ubyte0_e32 v0, v1
	global_store_dword v[2:3], v0, off
.LBB14_373:
	s_mov_b64 s[20:21], 0
.LBB14_374:
	s_andn2_b64 vcc, exec, s[20:21]
	s_cbranch_vccnz .LBB14_376
; %bb.375:
	v_cvt_f16_u16_sdwa v0, v1 dst_sel:DWORD dst_unused:UNUSED_PAD src0_sel:BYTE_0
	global_store_short v[2:3], v0, off
.LBB14_376:
	s_mov_b64 s[20:21], 0
.LBB14_377:
	s_andn2_b64 vcc, exec, s[20:21]
	s_cbranch_vccnz .LBB14_393
; %bb.378:
	s_cmp_lt_i32 s24, 2
	s_mov_b64 s[20:21], -1
	s_cbranch_scc1 .LBB14_388
; %bb.379:
	s_cmp_lt_i32 s24, 3
	s_cbranch_scc1 .LBB14_385
; %bb.380:
	s_cmp_gt_i32 s24, 3
	s_cbranch_scc0 .LBB14_382
; %bb.381:
	v_and_b32_e32 v4, 0xff, v1
	v_mov_b32_e32 v5, 0
	s_mov_b64 s[20:21], 0
	global_store_dwordx2 v[2:3], v[4:5], off
.LBB14_382:
	s_andn2_b64 vcc, exec, s[20:21]
	s_cbranch_vccnz .LBB14_384
; %bb.383:
	v_and_b32_e32 v0, 0xff, v1
	global_store_dword v[2:3], v0, off
.LBB14_384:
	s_mov_b64 s[20:21], 0
.LBB14_385:
	s_andn2_b64 vcc, exec, s[20:21]
	s_cbranch_vccnz .LBB14_387
; %bb.386:
	v_and_b32_e32 v0, 0xff, v1
	global_store_short v[2:3], v0, off
.LBB14_387:
	s_mov_b64 s[20:21], 0
.LBB14_388:
	s_andn2_b64 vcc, exec, s[20:21]
	s_cbranch_vccnz .LBB14_393
; %bb.389:
	s_cmp_gt_i32 s24, 0
	s_mov_b64 s[20:21], -1
	s_cbranch_scc0 .LBB14_391
; %bb.390:
	s_mov_b64 s[20:21], 0
	global_store_byte v[2:3], v1, off
.LBB14_391:
	s_andn2_b64 vcc, exec, s[20:21]
	s_cbranch_vccnz .LBB14_393
; %bb.392:
	global_store_byte v[2:3], v1, off
.LBB14_393:
	s_mov_b64 s[20:21], -1
.LBB14_394:
	s_andn2_b64 vcc, exec, s[20:21]
	s_cbranch_vccnz .LBB14_396
; %bb.395:
	v_add_u32_e32 v10, 0x80, v10
	s_mov_b64 s[24:25], -1
	s_branch .LBB14_504
.LBB14_396:
	s_mov_b64 s[24:25], 0
                                        ; implicit-def: $vgpr10
	s_branch .LBB14_504
.LBB14_397:
	s_mov_b64 s[18:19], -1
                                        ; implicit-def: $vgpr0
.LBB14_398:
	s_mov_b64 s[20:21], 0
.LBB14_399:
	s_and_b64 vcc, exec, s[20:21]
	s_cbranch_vccz .LBB14_403
; %bb.400:
	s_cmp_eq_u32 s24, 29
	s_cbranch_scc0 .LBB14_402
; %bb.401:
	global_load_dwordx2 v[0:1], v[2:3], off
	s_mov_b64 s[0:1], -1
	s_mov_b64 s[18:19], 0
	s_branch .LBB14_403
.LBB14_402:
	s_mov_b64 s[18:19], -1
                                        ; implicit-def: $vgpr0
.LBB14_403:
	s_mov_b64 s[20:21], 0
.LBB14_404:
	s_and_b64 vcc, exec, s[20:21]
	s_cbranch_vccz .LBB14_420
; %bb.405:
	s_cmp_lt_i32 s24, 27
	s_cbranch_scc1 .LBB14_408
; %bb.406:
	s_cmp_gt_i32 s24, 27
	s_cbranch_scc0 .LBB14_409
; %bb.407:
	global_load_dword v0, v[2:3], off
	s_mov_b64 s[0:1], 0
	s_branch .LBB14_410
.LBB14_408:
	s_mov_b64 s[0:1], -1
                                        ; implicit-def: $vgpr0
	s_branch .LBB14_413
.LBB14_409:
	s_mov_b64 s[0:1], -1
                                        ; implicit-def: $vgpr0
.LBB14_410:
	s_andn2_b64 vcc, exec, s[0:1]
	s_cbranch_vccnz .LBB14_412
; %bb.411:
	global_load_ushort v0, v[2:3], off
.LBB14_412:
	s_mov_b64 s[0:1], 0
.LBB14_413:
	s_andn2_b64 vcc, exec, s[0:1]
	s_cbranch_vccnz .LBB14_419
; %bb.414:
	global_load_ubyte v1, v[2:3], off
	s_movk_i32 s0, 0x7f
	s_mov_b64 s[20:21], 0
	s_waitcnt vmcnt(0)
	v_cmp_lt_i16_e32 vcc, s0, v1
	s_and_saveexec_b64 s[0:1], vcc
	s_xor_b64 s[0:1], exec, s[0:1]
	s_cbranch_execz .LBB14_431
; %bb.415:
	s_movk_i32 s20, 0x80
	v_cmp_ne_u16_e32 vcc, s20, v1
	s_and_b64 s[20:21], vcc, exec
	s_andn2_saveexec_b64 s[0:1], s[0:1]
	s_cbranch_execnz .LBB14_432
.LBB14_416:
	s_or_b64 exec, exec, s[0:1]
	v_mov_b32_e32 v0, 0
	s_and_saveexec_b64 s[0:1], s[20:21]
	s_cbranch_execz .LBB14_418
.LBB14_417:
	v_lshlrev_b32_e32 v0, 24, v1
	v_and_b32_e32 v1, 0xffff, v1
	v_and_b32_e32 v4, 7, v1
	v_ffbh_u32_e32 v6, v4
	v_min_u32_e32 v6, 32, v6
	v_subrev_u32_e32 v7, 28, v6
	v_bfe_u32 v5, v1, 3, 4
	v_lshlrev_b32_e32 v1, v7, v1
	v_sub_u32_e32 v6, 29, v6
	v_and_b32_e32 v1, 7, v1
	v_cmp_eq_u32_e32 vcc, 0, v5
	v_and_b32_e32 v0, 0x80000000, v0
	s_mov_b32 s20, 0x2f800000
	v_cndmask_b32_e32 v5, v5, v6, vcc
	v_cndmask_b32_e32 v1, v4, v1, vcc
	v_mov_b32_e32 v4, 0x3b800000
	v_lshlrev_b32_e32 v1, 20, v1
	v_lshl_add_u32 v4, v5, 23, v4
	v_or3_b32 v0, v0, v4, v1
	v_trunc_f32_e32 v0, v0
	v_mul_f32_e64 v1, |v0|, s20
	v_floor_f32_e32 v1, v1
	s_mov_b32 s20, 0xcf800000
	v_fma_f32 v1, v1, s20, |v0|
	v_cvt_u32_f32_e32 v1, v1
	v_ashrrev_i32_e32 v0, 31, v0
	v_xor_b32_e32 v1, v1, v0
	v_sub_u32_e32 v0, v1, v0
.LBB14_418:
	s_or_b64 exec, exec, s[0:1]
.LBB14_419:
	s_mov_b64 s[0:1], -1
.LBB14_420:
	s_mov_b64 s[20:21], 0
.LBB14_421:
	s_and_b64 vcc, exec, s[20:21]
	s_cbranch_vccz .LBB14_454
; %bb.422:
	s_cmp_gt_i32 s24, 22
	s_cbranch_scc0 .LBB14_430
; %bb.423:
	s_cmp_lt_i32 s24, 24
	s_cbranch_scc1 .LBB14_433
; %bb.424:
	s_cmp_gt_i32 s24, 24
	s_cbranch_scc0 .LBB14_434
; %bb.425:
	global_load_ubyte v1, v[2:3], off
	s_movk_i32 s0, 0x7f
	s_mov_b64 s[20:21], 0
	s_waitcnt vmcnt(0)
	v_cmp_lt_i16_e32 vcc, s0, v1
	s_and_saveexec_b64 s[0:1], vcc
	s_xor_b64 s[0:1], exec, s[0:1]
	s_cbranch_execz .LBB14_446
; %bb.426:
	s_movk_i32 s20, 0x80
	v_cmp_ne_u16_e32 vcc, s20, v1
	s_and_b64 s[20:21], vcc, exec
	s_andn2_saveexec_b64 s[0:1], s[0:1]
	s_cbranch_execnz .LBB14_447
.LBB14_427:
	s_or_b64 exec, exec, s[0:1]
	v_mov_b32_e32 v0, 0
	s_and_saveexec_b64 s[0:1], s[20:21]
	s_cbranch_execz .LBB14_429
.LBB14_428:
	v_lshlrev_b32_e32 v0, 24, v1
	v_and_b32_e32 v1, 0xffff, v1
	v_and_b32_e32 v4, 3, v1
	v_ffbh_u32_e32 v6, v4
	v_min_u32_e32 v6, 32, v6
	v_subrev_u32_e32 v7, 29, v6
	v_bfe_u32 v5, v1, 2, 5
	v_lshlrev_b32_e32 v1, v7, v1
	v_sub_u32_e32 v6, 30, v6
	v_and_b32_e32 v1, 3, v1
	v_cmp_eq_u32_e32 vcc, 0, v5
	v_and_b32_e32 v0, 0x80000000, v0
	s_mov_b32 s20, 0x2f800000
	v_cndmask_b32_e32 v5, v5, v6, vcc
	v_cndmask_b32_e32 v1, v4, v1, vcc
	v_mov_b32_e32 v4, 0x37800000
	v_lshlrev_b32_e32 v1, 21, v1
	v_lshl_add_u32 v4, v5, 23, v4
	v_or3_b32 v0, v0, v4, v1
	v_trunc_f32_e32 v0, v0
	v_mul_f32_e64 v1, |v0|, s20
	v_floor_f32_e32 v1, v1
	s_mov_b32 s20, 0xcf800000
	v_fma_f32 v1, v1, s20, |v0|
	v_cvt_u32_f32_e32 v1, v1
	v_ashrrev_i32_e32 v0, 31, v0
	v_xor_b32_e32 v1, v1, v0
	v_sub_u32_e32 v0, v1, v0
.LBB14_429:
	s_or_b64 exec, exec, s[0:1]
	s_mov_b64 s[0:1], 0
	s_branch .LBB14_435
.LBB14_430:
	s_mov_b64 s[20:21], -1
                                        ; implicit-def: $vgpr0
	s_branch .LBB14_441
.LBB14_431:
	s_andn2_saveexec_b64 s[0:1], s[0:1]
	s_cbranch_execz .LBB14_416
.LBB14_432:
	v_cmp_ne_u16_e32 vcc, 0, v1
	s_andn2_b64 s[20:21], s[20:21], exec
	s_and_b64 s[26:27], vcc, exec
	s_or_b64 s[20:21], s[20:21], s[26:27]
	s_or_b64 exec, exec, s[0:1]
	v_mov_b32_e32 v0, 0
	s_and_saveexec_b64 s[0:1], s[20:21]
	s_cbranch_execnz .LBB14_417
	s_branch .LBB14_418
.LBB14_433:
	s_mov_b64 s[0:1], -1
                                        ; implicit-def: $vgpr0
	s_branch .LBB14_438
.LBB14_434:
	s_mov_b64 s[0:1], -1
                                        ; implicit-def: $vgpr0
.LBB14_435:
	s_and_b64 vcc, exec, s[0:1]
	s_cbranch_vccz .LBB14_437
; %bb.436:
	global_load_ubyte v0, v[2:3], off
	s_mov_b32 s0, 0x7f800000
	s_brev_b32 s1, 1
	s_mov_b32 s20, 0x2f800000
	s_waitcnt vmcnt(0)
	v_lshlrev_b32_e32 v0, 24, v0
	v_and_b32_e32 v1, 0x7f000000, v0
	v_ffbh_u32_e32 v4, v1
	v_min_u32_e32 v4, 32, v4
	v_sub_u32_e64 v4, v4, 4 clamp
	v_lshlrev_b32_e32 v6, v4, v1
	v_lshlrev_b32_e32 v4, 23, v4
	v_lshrrev_b32_e32 v6, 4, v6
	v_add_u32_e32 v5, 0x1000000, v1
	v_sub_u32_e32 v4, v6, v4
	v_ashrrev_i32_e32 v5, 8, v5
	v_add_u32_e32 v4, 0x3c000000, v4
	v_and_or_b32 v4, v5, s0, v4
	v_cmp_ne_u32_e32 vcc, 0, v1
	s_mov_b32 s0, 0xcf800000
	s_nop 0
	v_cndmask_b32_e32 v1, 0, v4, vcc
	v_and_or_b32 v0, v0, s1, v1
	v_trunc_f32_e32 v0, v0
	v_mul_f32_e64 v1, |v0|, s20
	v_floor_f32_e32 v1, v1
	v_fma_f32 v1, v1, s0, |v0|
	v_cvt_u32_f32_e32 v1, v1
	v_ashrrev_i32_e32 v0, 31, v0
	v_xor_b32_e32 v1, v1, v0
	v_sub_u32_e32 v0, v1, v0
.LBB14_437:
	s_mov_b64 s[0:1], 0
.LBB14_438:
	s_andn2_b64 vcc, exec, s[0:1]
	s_cbranch_vccnz .LBB14_440
; %bb.439:
	global_load_ubyte v0, v[2:3], off
	s_movk_i32 s0, 0x7f00
	s_brev_b32 s1, 16
	s_brev_b32 s20, 1
	s_mov_b32 s21, 0x2f800000
	s_waitcnt vmcnt(0)
	v_lshlrev_b16_e32 v1, 8, v0
	v_lshlrev_b32_e32 v0, 25, v0
	v_lshrrev_b32_e32 v4, 4, v0
	v_and_or_b32 v5, v1, s0, 0.5
	v_or_b32_e32 v4, 0x70000000, v4
	v_add_f32_e32 v5, -0.5, v5
	v_mul_f32_e32 v4, 0x7800000, v4
	v_cmp_gt_u32_e32 vcc, s1, v0
	v_bfe_i32 v1, v1, 0, 16
	s_mov_b32 s0, 0xcf800000
	v_cndmask_b32_e32 v0, v4, v5, vcc
	v_and_or_b32 v0, v1, s20, v0
	v_trunc_f32_e32 v0, v0
	v_mul_f32_e64 v1, |v0|, s21
	v_floor_f32_e32 v1, v1
	v_fma_f32 v1, v1, s0, |v0|
	v_cvt_u32_f32_e32 v1, v1
	v_ashrrev_i32_e32 v0, 31, v0
	v_xor_b32_e32 v1, v1, v0
	v_sub_u32_e32 v0, v1, v0
.LBB14_440:
	s_mov_b64 s[20:21], 0
	s_mov_b64 s[0:1], -1
.LBB14_441:
	s_andn2_b64 vcc, exec, s[20:21]
	s_cbranch_vccnz .LBB14_454
; %bb.442:
	s_cmp_gt_i32 s24, 14
	s_cbranch_scc0 .LBB14_445
; %bb.443:
	s_cmp_eq_u32 s24, 15
	s_cbranch_scc0 .LBB14_448
; %bb.444:
	global_load_ushort v0, v[2:3], off
	s_mov_b32 s0, 0x2f800000
	s_mov_b32 s1, 0xcf800000
	s_mov_b64 s[18:19], 0
	s_waitcnt vmcnt(0)
	v_lshlrev_b32_e32 v0, 16, v0
	v_trunc_f32_e32 v0, v0
	v_mul_f32_e64 v1, |v0|, s0
	v_floor_f32_e32 v1, v1
	v_fma_f32 v1, v1, s1, |v0|
	v_cvt_u32_f32_e32 v1, v1
	v_ashrrev_i32_e32 v0, 31, v0
	s_mov_b64 s[0:1], -1
	v_xor_b32_e32 v1, v1, v0
	v_sub_u32_e32 v0, v1, v0
	s_branch .LBB14_449
.LBB14_445:
	s_mov_b64 s[20:21], -1
                                        ; implicit-def: $vgpr0
	s_branch .LBB14_450
.LBB14_446:
	s_andn2_saveexec_b64 s[0:1], s[0:1]
	s_cbranch_execz .LBB14_427
.LBB14_447:
	v_cmp_ne_u16_e32 vcc, 0, v1
	s_andn2_b64 s[20:21], s[20:21], exec
	s_and_b64 s[26:27], vcc, exec
	s_or_b64 s[20:21], s[20:21], s[26:27]
	s_or_b64 exec, exec, s[0:1]
	v_mov_b32_e32 v0, 0
	s_and_saveexec_b64 s[0:1], s[20:21]
	s_cbranch_execnz .LBB14_428
	s_branch .LBB14_429
.LBB14_448:
	s_mov_b64 s[18:19], -1
                                        ; implicit-def: $vgpr0
.LBB14_449:
	s_mov_b64 s[20:21], 0
.LBB14_450:
	s_and_b64 vcc, exec, s[20:21]
	s_cbranch_vccz .LBB14_454
; %bb.451:
	s_cmp_eq_u32 s24, 11
	s_cbranch_scc0 .LBB14_453
; %bb.452:
	global_load_ubyte v0, v[2:3], off
	s_mov_b64 s[0:1], -1
	s_mov_b64 s[18:19], 0
	s_waitcnt vmcnt(0)
	v_cmp_ne_u16_e32 vcc, 0, v0
	s_nop 1
	v_cndmask_b32_e64 v0, 0, 1, vcc
	s_branch .LBB14_454
.LBB14_453:
	s_mov_b64 s[18:19], -1
                                        ; implicit-def: $vgpr0
.LBB14_454:
	s_branch .LBB14_261
.LBB14_455:
	s_cmp_lt_i32 s24, 5
	s_cbranch_scc1 .LBB14_460
; %bb.456:
	s_cmp_lt_i32 s24, 8
	s_cbranch_scc1 .LBB14_461
; %bb.457:
	;; [unrolled: 3-line block ×3, first 2 shown]
	s_cmp_gt_i32 s24, 9
	s_cbranch_scc0 .LBB14_463
; %bb.459:
	global_load_dwordx2 v[0:1], v[2:3], off
	s_movk_i32 s0, 0xffe0
	s_waitcnt vmcnt(0)
	v_trunc_f64_e32 v[0:1], v[0:1]
	v_ldexp_f64 v[4:5], v[0:1], s0
	v_floor_f64_e32 v[4:5], v[4:5]
	v_fmac_f64_e32 v[0:1], 0xc1f00000, v[4:5]
	v_cvt_u32_f64_e32 v0, v[0:1]
	s_mov_b64 s[0:1], 0
	s_branch .LBB14_464
.LBB14_460:
	s_mov_b64 s[0:1], -1
                                        ; implicit-def: $vgpr0
	s_branch .LBB14_482
.LBB14_461:
	s_mov_b64 s[0:1], -1
                                        ; implicit-def: $vgpr0
	s_branch .LBB14_470
.LBB14_462:
	s_mov_b64 s[0:1], -1
                                        ; implicit-def: $vgpr0
	s_branch .LBB14_467
.LBB14_463:
	s_mov_b64 s[0:1], -1
                                        ; implicit-def: $vgpr0
.LBB14_464:
	s_andn2_b64 vcc, exec, s[0:1]
	s_cbranch_vccnz .LBB14_466
; %bb.465:
	global_load_dword v0, v[2:3], off
	s_mov_b32 s0, 0x2f800000
	s_waitcnt vmcnt(0)
	v_trunc_f32_e32 v0, v0
	v_mul_f32_e64 v1, |v0|, s0
	v_floor_f32_e32 v1, v1
	s_mov_b32 s0, 0xcf800000
	v_fma_f32 v1, v1, s0, |v0|
	v_cvt_u32_f32_e32 v1, v1
	v_ashrrev_i32_e32 v0, 31, v0
	v_xor_b32_e32 v1, v1, v0
	v_sub_u32_e32 v0, v1, v0
.LBB14_466:
	s_mov_b64 s[0:1], 0
.LBB14_467:
	s_andn2_b64 vcc, exec, s[0:1]
	s_cbranch_vccnz .LBB14_469
; %bb.468:
	global_load_dword v0, v[2:3], off
	s_waitcnt vmcnt(0)
	v_cvt_f32_f16_e32 v0, v0
	v_cvt_i32_f32_e32 v0, v0
.LBB14_469:
	s_mov_b64 s[0:1], 0
.LBB14_470:
	s_andn2_b64 vcc, exec, s[0:1]
	s_cbranch_vccnz .LBB14_481
; %bb.471:
	s_cmp_lt_i32 s24, 6
	s_cbranch_scc1 .LBB14_474
; %bb.472:
	s_cmp_gt_i32 s24, 6
	s_cbranch_scc0 .LBB14_475
; %bb.473:
	global_load_dwordx2 v[0:1], v[2:3], off
	s_movk_i32 s0, 0xffe0
	s_waitcnt vmcnt(0)
	v_trunc_f64_e32 v[0:1], v[0:1]
	v_ldexp_f64 v[4:5], v[0:1], s0
	v_floor_f64_e32 v[4:5], v[4:5]
	v_fmac_f64_e32 v[0:1], 0xc1f00000, v[4:5]
	v_cvt_u32_f64_e32 v0, v[0:1]
	s_mov_b64 s[0:1], 0
	s_branch .LBB14_476
.LBB14_474:
	s_mov_b64 s[0:1], -1
                                        ; implicit-def: $vgpr0
	s_branch .LBB14_479
.LBB14_475:
	s_mov_b64 s[0:1], -1
                                        ; implicit-def: $vgpr0
.LBB14_476:
	s_andn2_b64 vcc, exec, s[0:1]
	s_cbranch_vccnz .LBB14_478
; %bb.477:
	global_load_dword v0, v[2:3], off
	s_mov_b32 s0, 0x2f800000
	s_waitcnt vmcnt(0)
	v_trunc_f32_e32 v0, v0
	v_mul_f32_e64 v1, |v0|, s0
	v_floor_f32_e32 v1, v1
	s_mov_b32 s0, 0xcf800000
	v_fma_f32 v1, v1, s0, |v0|
	v_cvt_u32_f32_e32 v1, v1
	v_ashrrev_i32_e32 v0, 31, v0
	v_xor_b32_e32 v1, v1, v0
	v_sub_u32_e32 v0, v1, v0
.LBB14_478:
	s_mov_b64 s[0:1], 0
.LBB14_479:
	s_andn2_b64 vcc, exec, s[0:1]
	s_cbranch_vccnz .LBB14_481
; %bb.480:
	global_load_ushort v0, v[2:3], off
	s_waitcnt vmcnt(0)
	v_cvt_f32_f16_e32 v0, v0
	v_cvt_i32_f32_e32 v0, v0
.LBB14_481:
	s_mov_b64 s[0:1], 0
.LBB14_482:
	s_andn2_b64 vcc, exec, s[0:1]
	s_cbranch_vccnz .LBB14_502
; %bb.483:
	s_cmp_lt_i32 s24, 2
	s_cbranch_scc1 .LBB14_487
; %bb.484:
	s_cmp_lt_i32 s24, 3
	s_cbranch_scc1 .LBB14_488
; %bb.485:
	s_cmp_gt_i32 s24, 3
	s_cbranch_scc0 .LBB14_489
; %bb.486:
	global_load_dwordx2 v[0:1], v[2:3], off
	s_mov_b64 s[0:1], 0
	s_branch .LBB14_490
.LBB14_487:
	s_mov_b64 s[0:1], -1
                                        ; implicit-def: $vgpr0
	s_branch .LBB14_496
.LBB14_488:
	s_mov_b64 s[0:1], -1
                                        ; implicit-def: $vgpr0
	s_branch .LBB14_493
.LBB14_489:
	s_mov_b64 s[0:1], -1
                                        ; implicit-def: $vgpr0
.LBB14_490:
	s_andn2_b64 vcc, exec, s[0:1]
	s_cbranch_vccnz .LBB14_492
; %bb.491:
	global_load_dword v0, v[2:3], off
.LBB14_492:
	s_mov_b64 s[0:1], 0
.LBB14_493:
	s_andn2_b64 vcc, exec, s[0:1]
	s_cbranch_vccnz .LBB14_495
; %bb.494:
	global_load_ushort v0, v[2:3], off
.LBB14_495:
	s_mov_b64 s[0:1], 0
.LBB14_496:
	s_andn2_b64 vcc, exec, s[0:1]
	s_cbranch_vccnz .LBB14_502
; %bb.497:
	s_cmp_gt_i32 s24, 0
	s_cbranch_scc0 .LBB14_499
; %bb.498:
	global_load_ubyte v0, v[2:3], off
	s_mov_b64 s[0:1], 0
	s_branch .LBB14_500
.LBB14_499:
	s_mov_b64 s[0:1], -1
                                        ; implicit-def: $vgpr0
.LBB14_500:
	s_andn2_b64 vcc, exec, s[0:1]
	s_cbranch_vccnz .LBB14_502
; %bb.501:
	global_load_ubyte v0, v[2:3], off
.LBB14_502:
	s_branch .LBB14_262
.LBB14_503:
	s_mov_b64 s[24:25], 0
                                        ; implicit-def: $vgpr10
	s_mov_b64 s[0:1], s[12:13]
.LBB14_504:
	s_andn2_b64 s[20:21], s[12:13], exec
	s_and_b64 s[0:1], s[0:1], exec
	s_or_b64 s[20:21], s[20:21], s[0:1]
	s_andn2_b64 s[0:1], s[14:15], exec
	s_and_b64 s[18:19], s[18:19], exec
	s_or_b64 s[18:19], s[0:1], s[18:19]
	s_orn2_b64 s[0:1], s[24:25], exec
.LBB14_505:
	s_or_b64 exec, exec, s[22:23]
	s_mov_b64 s[24:25], 0
	s_mov_b64 s[26:27], 0
	;; [unrolled: 1-line block ×3, first 2 shown]
                                        ; implicit-def: $vgpr2_vgpr3
                                        ; implicit-def: $vgpr0
	s_and_saveexec_b64 s[22:23], s[0:1]
	s_cbranch_execz .LBB14_842
; %bb.506:
	v_cmp_gt_i32_e32 vcc, s38, v10
	s_mov_b64 s[34:35], -1
	s_mov_b64 s[0:1], s[18:19]
	s_mov_b64 s[28:29], s[20:21]
	s_and_saveexec_b64 s[24:25], vcc
	s_cbranch_execz .LBB14_760
; %bb.507:
	s_waitcnt vmcnt(0)
	v_mul_lo_u32 v0, v10, s9
	v_ashrrev_i32_e32 v1, 31, v0
	s_and_b32 s30, 0xffff, s42
	s_cmp_lt_i32 s30, 11
	v_lshl_add_u64 v[2:3], s[6:7], 0, v[0:1]
	s_cbranch_scc1 .LBB14_514
; %bb.508:
	s_cmp_gt_i32 s30, 25
	s_cbranch_scc0 .LBB14_515
; %bb.509:
	s_cmp_gt_i32 s30, 28
	s_cbranch_scc0 .LBB14_516
	;; [unrolled: 3-line block ×4, first 2 shown]
; %bb.512:
	s_cmp_eq_u32 s30, 46
	s_mov_b64 s[28:29], 0
	s_cbranch_scc0 .LBB14_523
; %bb.513:
	global_load_dword v0, v[2:3], off
	s_mov_b32 s0, 0x2f800000
	s_mov_b32 s1, 0xcf800000
	s_waitcnt vmcnt(0)
	v_lshlrev_b32_e32 v0, 16, v0
	v_trunc_f32_e32 v0, v0
	v_mul_f32_e64 v1, |v0|, s0
	v_floor_f32_e32 v1, v1
	v_fma_f32 v1, v1, s1, |v0|
	v_cvt_u32_f32_e32 v1, v1
	v_ashrrev_i32_e32 v0, 31, v0
	s_mov_b64 s[0:1], -1
	v_xor_b32_e32 v1, v1, v0
	v_sub_u32_e32 v0, v1, v0
	s_branch .LBB14_524
.LBB14_514:
	s_mov_b64 s[28:29], -1
	s_mov_b64 s[0:1], 0
                                        ; implicit-def: $vgpr0
	s_mov_b64 s[26:27], s[18:19]
	s_branch .LBB14_585
.LBB14_515:
	s_mov_b64 s[28:29], -1
	s_mov_b64 s[0:1], 0
	s_mov_b64 s[26:27], s[18:19]
                                        ; implicit-def: $vgpr0
	s_branch .LBB14_551
.LBB14_516:
	s_mov_b64 s[28:29], -1
	s_mov_b64 s[0:1], 0
	s_mov_b64 s[26:27], s[18:19]
                                        ; implicit-def: $vgpr0
	s_branch .LBB14_534
.LBB14_517:
	s_mov_b64 s[28:29], -1
	s_mov_b64 s[0:1], 0
	s_mov_b64 s[26:27], s[18:19]
                                        ; implicit-def: $vgpr0
	s_branch .LBB14_529
.LBB14_518:
	s_andn2_saveexec_b64 s[26:27], s[26:27]
	s_cbranch_execz .LBB14_307
.LBB14_519:
	v_add_f32_e32 v4, 0x46000000, v5
	v_and_b32_e32 v4, 0xff, v4
	v_cmp_ne_u32_e32 vcc, 0, v4
	s_andn2_b64 s[24:25], s[24:25], exec
	s_and_b64 s[30:31], vcc, exec
	s_or_b64 s[24:25], s[24:25], s[30:31]
	s_or_b64 exec, exec, s[26:27]
	v_mov_b32_e32 v6, 0
	s_and_saveexec_b64 s[26:27], s[24:25]
	s_cbranch_execnz .LBB14_308
	s_branch .LBB14_309
.LBB14_520:
	s_mov_b64 s[28:29], -1
	s_mov_b64 s[0:1], 0
	s_mov_b64 s[26:27], s[18:19]
                                        ; implicit-def: $vgpr0
	s_branch .LBB14_524
.LBB14_521:
	s_andn2_saveexec_b64 s[26:27], s[26:27]
	s_cbranch_execz .LBB14_320
.LBB14_522:
	v_add_f32_e32 v4, 0x42800000, v5
	v_and_b32_e32 v4, 0xff, v4
	v_cmp_ne_u32_e32 vcc, 0, v4
	s_andn2_b64 s[24:25], s[24:25], exec
	s_and_b64 s[30:31], vcc, exec
	s_or_b64 s[24:25], s[24:25], s[30:31]
	s_or_b64 exec, exec, s[26:27]
	v_mov_b32_e32 v6, 0
	s_and_saveexec_b64 s[26:27], s[24:25]
	s_cbranch_execnz .LBB14_321
	s_branch .LBB14_322
.LBB14_523:
	s_mov_b64 s[26:27], -1
                                        ; implicit-def: $vgpr0
	s_mov_b64 s[0:1], 0
.LBB14_524:
	s_and_b64 vcc, exec, s[28:29]
	s_cbranch_vccz .LBB14_528
; %bb.525:
	s_cmp_eq_u32 s30, 44
	s_cbranch_scc0 .LBB14_527
; %bb.526:
	global_load_ubyte v0, v[2:3], off
	s_mov_b32 s0, 0x2f800000
	s_mov_b32 s1, 0xcf800000
	s_mov_b64 s[26:27], 0
	s_waitcnt vmcnt(0)
	v_lshlrev_b32_e32 v1, 23, v0
	v_trunc_f32_e32 v1, v1
	v_mul_f32_e64 v4, |v1|, s0
	v_floor_f32_e32 v4, v4
	v_fma_f32 v4, v4, s1, |v1|
	v_cvt_u32_f32_e32 v4, v4
	v_ashrrev_i32_e32 v1, 31, v1
	v_cmp_ne_u32_e32 vcc, 0, v0
	s_mov_b64 s[0:1], -1
	v_xor_b32_e32 v4, v4, v1
	v_sub_u32_e32 v1, v4, v1
	v_cndmask_b32_e32 v0, 0, v1, vcc
	s_branch .LBB14_528
.LBB14_527:
	s_mov_b64 s[26:27], -1
                                        ; implicit-def: $vgpr0
.LBB14_528:
	s_mov_b64 s[28:29], 0
.LBB14_529:
	s_and_b64 vcc, exec, s[28:29]
	s_cbranch_vccz .LBB14_533
; %bb.530:
	s_cmp_eq_u32 s30, 29
	s_cbranch_scc0 .LBB14_532
; %bb.531:
	global_load_dwordx2 v[0:1], v[2:3], off
	s_mov_b64 s[0:1], -1
	s_mov_b64 s[26:27], 0
	s_branch .LBB14_533
.LBB14_532:
	s_mov_b64 s[26:27], -1
                                        ; implicit-def: $vgpr0
.LBB14_533:
	s_mov_b64 s[28:29], 0
.LBB14_534:
	s_and_b64 vcc, exec, s[28:29]
	s_cbranch_vccz .LBB14_550
; %bb.535:
	s_cmp_lt_i32 s30, 27
	s_cbranch_scc1 .LBB14_538
; %bb.536:
	s_cmp_gt_i32 s30, 27
	s_cbranch_scc0 .LBB14_539
; %bb.537:
	global_load_dword v0, v[2:3], off
	s_mov_b64 s[0:1], 0
	s_branch .LBB14_540
.LBB14_538:
	s_mov_b64 s[0:1], -1
                                        ; implicit-def: $vgpr0
	s_branch .LBB14_543
.LBB14_539:
	s_mov_b64 s[0:1], -1
                                        ; implicit-def: $vgpr0
.LBB14_540:
	s_andn2_b64 vcc, exec, s[0:1]
	s_cbranch_vccnz .LBB14_542
; %bb.541:
	global_load_ushort v0, v[2:3], off
.LBB14_542:
	s_mov_b64 s[0:1], 0
.LBB14_543:
	s_andn2_b64 vcc, exec, s[0:1]
	s_cbranch_vccnz .LBB14_549
; %bb.544:
	global_load_ubyte v1, v[2:3], off
	s_movk_i32 s0, 0x7f
	s_mov_b64 s[28:29], 0
	s_waitcnt vmcnt(0)
	v_cmp_lt_i16_e32 vcc, s0, v1
	s_and_saveexec_b64 s[0:1], vcc
	s_xor_b64 s[0:1], exec, s[0:1]
	s_cbranch_execz .LBB14_561
; %bb.545:
	s_movk_i32 s28, 0x80
	v_cmp_ne_u16_e32 vcc, s28, v1
	s_and_b64 s[28:29], vcc, exec
	s_andn2_saveexec_b64 s[0:1], s[0:1]
	s_cbranch_execnz .LBB14_562
.LBB14_546:
	s_or_b64 exec, exec, s[0:1]
	v_mov_b32_e32 v0, 0
	s_and_saveexec_b64 s[0:1], s[28:29]
	s_cbranch_execz .LBB14_548
.LBB14_547:
	v_lshlrev_b32_e32 v0, 24, v1
	v_and_b32_e32 v1, 0xffff, v1
	v_and_b32_e32 v4, 7, v1
	v_ffbh_u32_e32 v6, v4
	v_min_u32_e32 v6, 32, v6
	v_subrev_u32_e32 v7, 28, v6
	v_bfe_u32 v5, v1, 3, 4
	v_lshlrev_b32_e32 v1, v7, v1
	v_sub_u32_e32 v6, 29, v6
	v_and_b32_e32 v1, 7, v1
	v_cmp_eq_u32_e32 vcc, 0, v5
	v_and_b32_e32 v0, 0x80000000, v0
	s_mov_b32 s28, 0x2f800000
	v_cndmask_b32_e32 v5, v5, v6, vcc
	v_cndmask_b32_e32 v1, v4, v1, vcc
	v_mov_b32_e32 v4, 0x3b800000
	v_lshlrev_b32_e32 v1, 20, v1
	v_lshl_add_u32 v4, v5, 23, v4
	v_or3_b32 v0, v0, v4, v1
	v_trunc_f32_e32 v0, v0
	v_mul_f32_e64 v1, |v0|, s28
	v_floor_f32_e32 v1, v1
	s_mov_b32 s28, 0xcf800000
	v_fma_f32 v1, v1, s28, |v0|
	v_cvt_u32_f32_e32 v1, v1
	v_ashrrev_i32_e32 v0, 31, v0
	v_xor_b32_e32 v1, v1, v0
	v_sub_u32_e32 v0, v1, v0
.LBB14_548:
	s_or_b64 exec, exec, s[0:1]
.LBB14_549:
	s_mov_b64 s[0:1], -1
.LBB14_550:
	s_mov_b64 s[28:29], 0
.LBB14_551:
	s_and_b64 vcc, exec, s[28:29]
	s_cbranch_vccz .LBB14_584
; %bb.552:
	s_cmp_gt_i32 s30, 22
	s_cbranch_scc0 .LBB14_560
; %bb.553:
	s_cmp_lt_i32 s30, 24
	s_cbranch_scc1 .LBB14_563
; %bb.554:
	s_cmp_gt_i32 s30, 24
	s_cbranch_scc0 .LBB14_564
; %bb.555:
	global_load_ubyte v1, v[2:3], off
	s_movk_i32 s0, 0x7f
	s_mov_b64 s[28:29], 0
	s_waitcnt vmcnt(0)
	v_cmp_lt_i16_e32 vcc, s0, v1
	s_and_saveexec_b64 s[0:1], vcc
	s_xor_b64 s[0:1], exec, s[0:1]
	s_cbranch_execz .LBB14_576
; %bb.556:
	s_movk_i32 s28, 0x80
	v_cmp_ne_u16_e32 vcc, s28, v1
	s_and_b64 s[28:29], vcc, exec
	s_andn2_saveexec_b64 s[0:1], s[0:1]
	s_cbranch_execnz .LBB14_577
.LBB14_557:
	s_or_b64 exec, exec, s[0:1]
	v_mov_b32_e32 v0, 0
	s_and_saveexec_b64 s[0:1], s[28:29]
	s_cbranch_execz .LBB14_559
.LBB14_558:
	v_lshlrev_b32_e32 v0, 24, v1
	v_and_b32_e32 v1, 0xffff, v1
	v_and_b32_e32 v4, 3, v1
	v_ffbh_u32_e32 v6, v4
	v_min_u32_e32 v6, 32, v6
	v_subrev_u32_e32 v7, 29, v6
	v_bfe_u32 v5, v1, 2, 5
	v_lshlrev_b32_e32 v1, v7, v1
	v_sub_u32_e32 v6, 30, v6
	v_and_b32_e32 v1, 3, v1
	v_cmp_eq_u32_e32 vcc, 0, v5
	v_and_b32_e32 v0, 0x80000000, v0
	s_mov_b32 s28, 0x2f800000
	v_cndmask_b32_e32 v5, v5, v6, vcc
	v_cndmask_b32_e32 v1, v4, v1, vcc
	v_mov_b32_e32 v4, 0x37800000
	v_lshlrev_b32_e32 v1, 21, v1
	v_lshl_add_u32 v4, v5, 23, v4
	v_or3_b32 v0, v0, v4, v1
	v_trunc_f32_e32 v0, v0
	v_mul_f32_e64 v1, |v0|, s28
	v_floor_f32_e32 v1, v1
	s_mov_b32 s28, 0xcf800000
	v_fma_f32 v1, v1, s28, |v0|
	v_cvt_u32_f32_e32 v1, v1
	v_ashrrev_i32_e32 v0, 31, v0
	v_xor_b32_e32 v1, v1, v0
	v_sub_u32_e32 v0, v1, v0
.LBB14_559:
	s_or_b64 exec, exec, s[0:1]
	s_mov_b64 s[0:1], 0
	s_branch .LBB14_565
.LBB14_560:
	s_mov_b64 s[28:29], -1
                                        ; implicit-def: $vgpr0
	s_branch .LBB14_571
.LBB14_561:
	s_andn2_saveexec_b64 s[0:1], s[0:1]
	s_cbranch_execz .LBB14_546
.LBB14_562:
	v_cmp_ne_u16_e32 vcc, 0, v1
	s_andn2_b64 s[28:29], s[28:29], exec
	s_and_b64 s[34:35], vcc, exec
	s_or_b64 s[28:29], s[28:29], s[34:35]
	s_or_b64 exec, exec, s[0:1]
	v_mov_b32_e32 v0, 0
	s_and_saveexec_b64 s[0:1], s[28:29]
	s_cbranch_execnz .LBB14_547
	s_branch .LBB14_548
.LBB14_563:
	s_mov_b64 s[0:1], -1
                                        ; implicit-def: $vgpr0
	s_branch .LBB14_568
.LBB14_564:
	s_mov_b64 s[0:1], -1
                                        ; implicit-def: $vgpr0
.LBB14_565:
	s_and_b64 vcc, exec, s[0:1]
	s_cbranch_vccz .LBB14_567
; %bb.566:
	global_load_ubyte v0, v[2:3], off
	s_mov_b32 s0, 0x7f800000
	s_brev_b32 s1, 1
	s_mov_b32 s28, 0x2f800000
	s_waitcnt vmcnt(0)
	v_lshlrev_b32_e32 v0, 24, v0
	v_and_b32_e32 v1, 0x7f000000, v0
	v_ffbh_u32_e32 v4, v1
	v_min_u32_e32 v4, 32, v4
	v_sub_u32_e64 v4, v4, 4 clamp
	v_lshlrev_b32_e32 v6, v4, v1
	v_lshlrev_b32_e32 v4, 23, v4
	v_lshrrev_b32_e32 v6, 4, v6
	v_add_u32_e32 v5, 0x1000000, v1
	v_sub_u32_e32 v4, v6, v4
	v_ashrrev_i32_e32 v5, 8, v5
	v_add_u32_e32 v4, 0x3c000000, v4
	v_and_or_b32 v4, v5, s0, v4
	v_cmp_ne_u32_e32 vcc, 0, v1
	s_mov_b32 s0, 0xcf800000
	s_nop 0
	v_cndmask_b32_e32 v1, 0, v4, vcc
	v_and_or_b32 v0, v0, s1, v1
	v_trunc_f32_e32 v0, v0
	v_mul_f32_e64 v1, |v0|, s28
	v_floor_f32_e32 v1, v1
	v_fma_f32 v1, v1, s0, |v0|
	v_cvt_u32_f32_e32 v1, v1
	v_ashrrev_i32_e32 v0, 31, v0
	v_xor_b32_e32 v1, v1, v0
	v_sub_u32_e32 v0, v1, v0
.LBB14_567:
	s_mov_b64 s[0:1], 0
.LBB14_568:
	s_andn2_b64 vcc, exec, s[0:1]
	s_cbranch_vccnz .LBB14_570
; %bb.569:
	global_load_ubyte v0, v[2:3], off
	s_movk_i32 s0, 0x7f00
	s_brev_b32 s1, 16
	s_brev_b32 s28, 1
	s_mov_b32 s29, 0x2f800000
	s_waitcnt vmcnt(0)
	v_lshlrev_b16_e32 v1, 8, v0
	v_lshlrev_b32_e32 v0, 25, v0
	v_lshrrev_b32_e32 v4, 4, v0
	v_and_or_b32 v5, v1, s0, 0.5
	v_or_b32_e32 v4, 0x70000000, v4
	v_add_f32_e32 v5, -0.5, v5
	v_mul_f32_e32 v4, 0x7800000, v4
	v_cmp_gt_u32_e32 vcc, s1, v0
	v_bfe_i32 v1, v1, 0, 16
	s_mov_b32 s0, 0xcf800000
	v_cndmask_b32_e32 v0, v4, v5, vcc
	v_and_or_b32 v0, v1, s28, v0
	v_trunc_f32_e32 v0, v0
	v_mul_f32_e64 v1, |v0|, s29
	v_floor_f32_e32 v1, v1
	v_fma_f32 v1, v1, s0, |v0|
	v_cvt_u32_f32_e32 v1, v1
	v_ashrrev_i32_e32 v0, 31, v0
	v_xor_b32_e32 v1, v1, v0
	v_sub_u32_e32 v0, v1, v0
.LBB14_570:
	s_mov_b64 s[28:29], 0
	s_mov_b64 s[0:1], -1
.LBB14_571:
	s_andn2_b64 vcc, exec, s[28:29]
	s_cbranch_vccnz .LBB14_584
; %bb.572:
	s_cmp_gt_i32 s30, 14
	s_cbranch_scc0 .LBB14_575
; %bb.573:
	s_cmp_eq_u32 s30, 15
	s_cbranch_scc0 .LBB14_578
; %bb.574:
	global_load_ushort v0, v[2:3], off
	s_mov_b32 s0, 0x2f800000
	s_mov_b32 s1, 0xcf800000
	s_mov_b64 s[26:27], 0
	s_waitcnt vmcnt(0)
	v_lshlrev_b32_e32 v0, 16, v0
	v_trunc_f32_e32 v0, v0
	v_mul_f32_e64 v1, |v0|, s0
	v_floor_f32_e32 v1, v1
	v_fma_f32 v1, v1, s1, |v0|
	v_cvt_u32_f32_e32 v1, v1
	v_ashrrev_i32_e32 v0, 31, v0
	s_mov_b64 s[0:1], -1
	v_xor_b32_e32 v1, v1, v0
	v_sub_u32_e32 v0, v1, v0
	s_branch .LBB14_579
.LBB14_575:
	s_mov_b64 s[28:29], -1
                                        ; implicit-def: $vgpr0
	s_branch .LBB14_580
.LBB14_576:
	s_andn2_saveexec_b64 s[0:1], s[0:1]
	s_cbranch_execz .LBB14_557
.LBB14_577:
	v_cmp_ne_u16_e32 vcc, 0, v1
	s_andn2_b64 s[28:29], s[28:29], exec
	s_and_b64 s[34:35], vcc, exec
	s_or_b64 s[28:29], s[28:29], s[34:35]
	s_or_b64 exec, exec, s[0:1]
	v_mov_b32_e32 v0, 0
	s_and_saveexec_b64 s[0:1], s[28:29]
	s_cbranch_execnz .LBB14_558
	s_branch .LBB14_559
.LBB14_578:
	s_mov_b64 s[26:27], -1
                                        ; implicit-def: $vgpr0
.LBB14_579:
	s_mov_b64 s[28:29], 0
.LBB14_580:
	s_and_b64 vcc, exec, s[28:29]
	s_cbranch_vccz .LBB14_584
; %bb.581:
	s_cmp_eq_u32 s30, 11
	s_cbranch_scc0 .LBB14_583
; %bb.582:
	global_load_ubyte v0, v[2:3], off
	s_mov_b64 s[0:1], -1
	s_mov_b64 s[26:27], 0
	s_waitcnt vmcnt(0)
	v_cmp_ne_u16_e32 vcc, 0, v0
	s_nop 1
	v_cndmask_b32_e64 v0, 0, 1, vcc
	s_branch .LBB14_584
.LBB14_583:
	s_mov_b64 s[26:27], -1
                                        ; implicit-def: $vgpr0
.LBB14_584:
	s_mov_b64 s[28:29], 0
.LBB14_585:
	s_and_b64 vcc, exec, s[28:29]
	s_cbranch_vccz .LBB14_634
; %bb.586:
	s_cmp_lt_i32 s30, 5
	s_cbranch_scc1 .LBB14_591
; %bb.587:
	s_cmp_lt_i32 s30, 8
	s_cbranch_scc1 .LBB14_592
	;; [unrolled: 3-line block ×3, first 2 shown]
; %bb.589:
	s_cmp_gt_i32 s30, 9
	s_cbranch_scc0 .LBB14_594
; %bb.590:
	global_load_dwordx2 v[0:1], v[2:3], off
	s_movk_i32 s0, 0xffe0
	s_waitcnt vmcnt(0)
	v_trunc_f64_e32 v[0:1], v[0:1]
	v_ldexp_f64 v[4:5], v[0:1], s0
	v_floor_f64_e32 v[4:5], v[4:5]
	v_fmac_f64_e32 v[0:1], 0xc1f00000, v[4:5]
	v_cvt_u32_f64_e32 v0, v[0:1]
	s_mov_b64 s[0:1], 0
	s_branch .LBB14_595
.LBB14_591:
	s_mov_b64 s[0:1], -1
                                        ; implicit-def: $vgpr0
	s_branch .LBB14_613
.LBB14_592:
	s_mov_b64 s[0:1], -1
                                        ; implicit-def: $vgpr0
	s_branch .LBB14_601
.LBB14_593:
	s_mov_b64 s[0:1], -1
                                        ; implicit-def: $vgpr0
	s_branch .LBB14_598
.LBB14_594:
	s_mov_b64 s[0:1], -1
                                        ; implicit-def: $vgpr0
.LBB14_595:
	s_andn2_b64 vcc, exec, s[0:1]
	s_cbranch_vccnz .LBB14_597
; %bb.596:
	global_load_dword v0, v[2:3], off
	s_mov_b32 s0, 0x2f800000
	s_waitcnt vmcnt(0)
	v_trunc_f32_e32 v0, v0
	v_mul_f32_e64 v1, |v0|, s0
	v_floor_f32_e32 v1, v1
	s_mov_b32 s0, 0xcf800000
	v_fma_f32 v1, v1, s0, |v0|
	v_cvt_u32_f32_e32 v1, v1
	v_ashrrev_i32_e32 v0, 31, v0
	v_xor_b32_e32 v1, v1, v0
	v_sub_u32_e32 v0, v1, v0
.LBB14_597:
	s_mov_b64 s[0:1], 0
.LBB14_598:
	s_andn2_b64 vcc, exec, s[0:1]
	s_cbranch_vccnz .LBB14_600
; %bb.599:
	global_load_dword v0, v[2:3], off
	s_waitcnt vmcnt(0)
	v_cvt_f32_f16_e32 v0, v0
	v_cvt_i32_f32_e32 v0, v0
.LBB14_600:
	s_mov_b64 s[0:1], 0
.LBB14_601:
	s_andn2_b64 vcc, exec, s[0:1]
	s_cbranch_vccnz .LBB14_612
; %bb.602:
	s_cmp_lt_i32 s30, 6
	s_cbranch_scc1 .LBB14_605
; %bb.603:
	s_cmp_gt_i32 s30, 6
	s_cbranch_scc0 .LBB14_606
; %bb.604:
	global_load_dwordx2 v[0:1], v[2:3], off
	s_movk_i32 s0, 0xffe0
	s_waitcnt vmcnt(0)
	v_trunc_f64_e32 v[0:1], v[0:1]
	v_ldexp_f64 v[4:5], v[0:1], s0
	v_floor_f64_e32 v[4:5], v[4:5]
	v_fmac_f64_e32 v[0:1], 0xc1f00000, v[4:5]
	v_cvt_u32_f64_e32 v0, v[0:1]
	s_mov_b64 s[0:1], 0
	s_branch .LBB14_607
.LBB14_605:
	s_mov_b64 s[0:1], -1
                                        ; implicit-def: $vgpr0
	s_branch .LBB14_610
.LBB14_606:
	s_mov_b64 s[0:1], -1
                                        ; implicit-def: $vgpr0
.LBB14_607:
	s_andn2_b64 vcc, exec, s[0:1]
	s_cbranch_vccnz .LBB14_609
; %bb.608:
	global_load_dword v0, v[2:3], off
	s_mov_b32 s0, 0x2f800000
	s_waitcnt vmcnt(0)
	v_trunc_f32_e32 v0, v0
	v_mul_f32_e64 v1, |v0|, s0
	v_floor_f32_e32 v1, v1
	s_mov_b32 s0, 0xcf800000
	v_fma_f32 v1, v1, s0, |v0|
	v_cvt_u32_f32_e32 v1, v1
	v_ashrrev_i32_e32 v0, 31, v0
	v_xor_b32_e32 v1, v1, v0
	v_sub_u32_e32 v0, v1, v0
.LBB14_609:
	s_mov_b64 s[0:1], 0
.LBB14_610:
	s_andn2_b64 vcc, exec, s[0:1]
	s_cbranch_vccnz .LBB14_612
; %bb.611:
	global_load_ushort v0, v[2:3], off
	s_waitcnt vmcnt(0)
	v_cvt_f32_f16_e32 v0, v0
	v_cvt_i32_f32_e32 v0, v0
.LBB14_612:
	s_mov_b64 s[0:1], 0
.LBB14_613:
	s_andn2_b64 vcc, exec, s[0:1]
	s_cbranch_vccnz .LBB14_633
; %bb.614:
	s_cmp_lt_i32 s30, 2
	s_cbranch_scc1 .LBB14_618
; %bb.615:
	s_cmp_lt_i32 s30, 3
	s_cbranch_scc1 .LBB14_619
; %bb.616:
	s_cmp_gt_i32 s30, 3
	s_cbranch_scc0 .LBB14_620
; %bb.617:
	global_load_dwordx2 v[0:1], v[2:3], off
	s_mov_b64 s[0:1], 0
	s_branch .LBB14_621
.LBB14_618:
	s_mov_b64 s[0:1], -1
                                        ; implicit-def: $vgpr0
	s_branch .LBB14_627
.LBB14_619:
	s_mov_b64 s[0:1], -1
                                        ; implicit-def: $vgpr0
	s_branch .LBB14_624
.LBB14_620:
	s_mov_b64 s[0:1], -1
                                        ; implicit-def: $vgpr0
.LBB14_621:
	s_andn2_b64 vcc, exec, s[0:1]
	s_cbranch_vccnz .LBB14_623
; %bb.622:
	global_load_dword v0, v[2:3], off
.LBB14_623:
	s_mov_b64 s[0:1], 0
.LBB14_624:
	s_andn2_b64 vcc, exec, s[0:1]
	s_cbranch_vccnz .LBB14_626
; %bb.625:
	global_load_ushort v0, v[2:3], off
.LBB14_626:
	s_mov_b64 s[0:1], 0
.LBB14_627:
	s_andn2_b64 vcc, exec, s[0:1]
	s_cbranch_vccnz .LBB14_633
; %bb.628:
	s_cmp_gt_i32 s30, 0
	s_cbranch_scc0 .LBB14_630
; %bb.629:
	global_load_ubyte v0, v[2:3], off
	s_mov_b64 s[0:1], 0
	s_branch .LBB14_631
.LBB14_630:
	s_mov_b64 s[0:1], -1
                                        ; implicit-def: $vgpr0
.LBB14_631:
	s_andn2_b64 vcc, exec, s[0:1]
	s_cbranch_vccnz .LBB14_633
; %bb.632:
	global_load_ubyte v0, v[2:3], off
.LBB14_633:
	s_mov_b64 s[0:1], -1
.LBB14_634:
	s_andn2_b64 vcc, exec, s[0:1]
	s_cbranch_vccnz .LBB14_642
; %bb.635:
	v_mul_lo_u32 v2, v10, s8
	v_ashrrev_i32_e32 v3, 31, v2
	s_and_b32 s36, s33, 0xff
	s_waitcnt vmcnt(0)
	v_xor_b32_e32 v1, -1, v0
	s_cmp_lt_i32 s36, 11
	v_lshl_add_u64 v[2:3], s[4:5], 0, v[2:3]
	s_cbranch_scc1 .LBB14_643
; %bb.636:
	s_and_b32 s37, 0xffff, s36
	s_cmp_gt_i32 s37, 25
	s_cbranch_scc0 .LBB14_644
; %bb.637:
	s_cmp_gt_i32 s37, 28
	s_cbranch_scc0 .LBB14_645
; %bb.638:
	;; [unrolled: 3-line block ×4, first 2 shown]
	s_mov_b64 s[30:31], 0
	s_mov_b64 s[0:1], -1
	s_cmp_eq_u32 s37, 46
	s_mov_b64 s[28:29], 0
	s_cbranch_scc0 .LBB14_648
; %bb.641:
	v_cvt_f32_ubyte0_e32 v4, v1
	v_bfe_u32 v5, v4, 16, 1
	s_movk_i32 s0, 0x7fff
	v_add3_u32 v4, v4, v5, s0
	v_lshrrev_b32_e32 v4, 16, v4
	global_store_dword v[2:3], v4, off
	s_mov_b64 s[28:29], -1
	s_mov_b64 s[0:1], 0
	s_branch .LBB14_648
.LBB14_642:
	s_mov_b64 s[30:31], 0
                                        ; implicit-def: $vgpr10
	s_mov_b64 s[0:1], s[20:21]
	s_branch .LBB14_759
.LBB14_643:
	s_mov_b64 s[30:31], -1
	s_mov_b64 s[28:29], 0
	s_mov_b64 s[0:1], s[20:21]
	s_branch .LBB14_717
.LBB14_644:
	s_mov_b64 s[30:31], -1
	s_mov_b64 s[28:29], 0
	s_mov_b64 s[0:1], s[20:21]
	s_branch .LBB14_675
.LBB14_645:
	s_mov_b64 s[30:31], -1
	s_mov_b64 s[28:29], 0
	s_mov_b64 s[0:1], s[20:21]
	s_branch .LBB14_658
.LBB14_646:
	s_mov_b64 s[30:31], -1
	s_mov_b64 s[28:29], 0
	s_mov_b64 s[0:1], s[20:21]
	s_branch .LBB14_654
.LBB14_647:
	s_mov_b64 s[30:31], -1
	s_mov_b64 s[28:29], 0
	s_mov_b64 s[0:1], s[20:21]
.LBB14_648:
	s_and_b64 vcc, exec, s[30:31]
	s_cbranch_vccz .LBB14_653
; %bb.649:
	s_cmp_eq_u32 s37, 44
	s_mov_b64 s[0:1], -1
	s_cbranch_scc0 .LBB14_653
; %bb.650:
	v_cvt_f32_ubyte0_e32 v5, v1
	v_lshrrev_b32_e32 v4, 23, v5
	s_movk_i32 s0, 0xff
	v_cmp_ne_u32_e32 vcc, s0, v4
	v_mov_b32_e32 v6, 0xff
	s_and_saveexec_b64 s[28:29], vcc
; %bb.651:
	s_mov_b32 s0, 0x3fffff
	v_and_b32_e32 v6, 0x400000, v5
	v_and_or_b32 v5, v5, s0, v4
	v_cmp_ne_u32_e32 vcc, 0, v6
	v_cmp_ne_u32_e64 s[0:1], 0, v5
	s_and_b64 s[0:1], vcc, s[0:1]
	s_nop 0
	v_cndmask_b32_e64 v5, 0, 1, s[0:1]
	v_add_u32_e32 v6, v4, v5
; %bb.652:
	s_or_b64 exec, exec, s[28:29]
	s_mov_b64 s[28:29], -1
	s_mov_b64 s[0:1], 0
	global_store_byte v[2:3], v6, off
.LBB14_653:
	s_mov_b64 s[30:31], 0
.LBB14_654:
	s_and_b64 vcc, exec, s[30:31]
	s_cbranch_vccz .LBB14_657
; %bb.655:
	s_cmp_eq_u32 s37, 29
	s_mov_b64 s[0:1], -1
	s_cbranch_scc0 .LBB14_657
; %bb.656:
	v_and_b32_e32 v4, 0xff, v1
	v_mov_b32_e32 v5, 0
	global_store_dwordx2 v[2:3], v[4:5], off
	s_mov_b64 s[28:29], -1
	s_mov_b64 s[0:1], 0
.LBB14_657:
	s_mov_b64 s[30:31], 0
.LBB14_658:
	s_and_b64 vcc, exec, s[30:31]
	s_cbranch_vccz .LBB14_674
; %bb.659:
	s_cmp_lt_i32 s37, 27
	s_mov_b64 s[28:29], -1
	s_cbranch_scc1 .LBB14_665
; %bb.660:
	s_cmp_gt_i32 s37, 27
	s_cbranch_scc0 .LBB14_662
; %bb.661:
	v_and_b32_e32 v4, 0xff, v1
	s_mov_b64 s[28:29], 0
	global_store_dword v[2:3], v4, off
.LBB14_662:
	s_andn2_b64 vcc, exec, s[28:29]
	s_cbranch_vccnz .LBB14_664
; %bb.663:
	v_and_b32_e32 v4, 0xff, v1
	global_store_short v[2:3], v4, off
.LBB14_664:
	s_mov_b64 s[28:29], 0
.LBB14_665:
	s_andn2_b64 vcc, exec, s[28:29]
	s_cbranch_vccnz .LBB14_673
; %bb.666:
	v_cvt_f32_ubyte0_e32 v5, v1
	s_mov_b32 s28, 0x43800000
	v_cmp_gt_u32_e32 vcc, s28, v5
	v_mov_b32_e32 v6, 0x80
	s_and_saveexec_b64 s[28:29], vcc
	s_cbranch_execz .LBB14_672
; %bb.667:
	s_mov_b32 s30, 0x3bffffff
	v_cmp_lt_u32_e32 vcc, s30, v5
	s_mov_b64 s[30:31], 0
                                        ; implicit-def: $vgpr4
	s_and_saveexec_b64 s[34:35], vcc
	s_xor_b64 s[34:35], exec, s[34:35]
	s_cbranch_execz .LBB14_773
; %bb.668:
	v_bfe_u32 v4, v5, 20, 1
	s_mov_b32 s39, 0x487ffff
	v_add3_u32 v4, v5, v4, s39
	s_mov_b64 s[30:31], exec
	v_lshrrev_b32_e32 v4, 20, v4
                                        ; implicit-def: $vgpr5
	s_andn2_saveexec_b64 s[34:35], s[34:35]
	s_cbranch_execnz .LBB14_774
.LBB14_669:
	s_or_b64 exec, exec, s[34:35]
	v_mov_b32_e32 v6, 0
	s_and_saveexec_b64 s[34:35], s[30:31]
.LBB14_670:
	v_mov_b32_e32 v6, v4
.LBB14_671:
	s_or_b64 exec, exec, s[34:35]
.LBB14_672:
	s_or_b64 exec, exec, s[28:29]
	global_store_byte v[2:3], v6, off
.LBB14_673:
	s_mov_b64 s[28:29], -1
.LBB14_674:
	s_mov_b64 s[30:31], 0
.LBB14_675:
	s_and_b64 vcc, exec, s[30:31]
	s_cbranch_vccz .LBB14_716
; %bb.676:
	s_cmp_gt_i32 s37, 22
	s_mov_b64 s[30:31], -1
	s_cbranch_scc0 .LBB14_708
; %bb.677:
	s_cmp_lt_i32 s37, 24
	s_mov_b64 s[28:29], -1
	s_cbranch_scc1 .LBB14_697
; %bb.678:
	s_cmp_gt_i32 s37, 24
	s_cbranch_scc0 .LBB14_686
; %bb.679:
	v_cvt_f32_ubyte0_e32 v5, v1
	s_mov_b32 s28, 0x47800000
	v_cmp_gt_u32_e32 vcc, s28, v5
	v_mov_b32_e32 v6, 0x80
	s_and_saveexec_b64 s[28:29], vcc
	s_cbranch_execz .LBB14_685
; %bb.680:
	s_mov_b32 s30, 0x37ffffff
	v_cmp_lt_u32_e32 vcc, s30, v5
	s_mov_b64 s[30:31], 0
                                        ; implicit-def: $vgpr4
	s_and_saveexec_b64 s[34:35], vcc
	s_xor_b64 s[34:35], exec, s[34:35]
	s_cbranch_execz .LBB14_776
; %bb.681:
	v_bfe_u32 v4, v5, 21, 1
	s_mov_b32 s39, 0x88fffff
	v_add3_u32 v4, v5, v4, s39
	s_mov_b64 s[30:31], exec
	v_lshrrev_b32_e32 v4, 21, v4
                                        ; implicit-def: $vgpr5
	s_andn2_saveexec_b64 s[34:35], s[34:35]
	s_cbranch_execnz .LBB14_777
.LBB14_682:
	s_or_b64 exec, exec, s[34:35]
	v_mov_b32_e32 v6, 0
	s_and_saveexec_b64 s[34:35], s[30:31]
.LBB14_683:
	v_mov_b32_e32 v6, v4
.LBB14_684:
	s_or_b64 exec, exec, s[34:35]
.LBB14_685:
	s_or_b64 exec, exec, s[28:29]
	s_mov_b64 s[28:29], 0
	global_store_byte v[2:3], v6, off
.LBB14_686:
	s_and_b64 vcc, exec, s[28:29]
	s_cbranch_vccz .LBB14_696
; %bb.687:
	v_cvt_f32_ubyte0_e32 v4, v1
	s_mov_b32 s28, 0x43f00000
	v_cmp_gt_u32_e32 vcc, s28, v4
                                        ; implicit-def: $vgpr5
	s_and_saveexec_b64 s[28:29], vcc
	s_xor_b64 s[28:29], exec, s[28:29]
	s_cbranch_execz .LBB14_693
; %bb.688:
	s_mov_b32 s30, 0x3c7fffff
	v_cmp_lt_u32_e32 vcc, s30, v4
                                        ; implicit-def: $vgpr5
	s_and_saveexec_b64 s[30:31], vcc
	s_xor_b64 s[30:31], exec, s[30:31]
; %bb.689:
	v_bfe_u32 v5, v4, 20, 1
	s_mov_b32 s34, 0x407ffff
	v_add3_u32 v4, v4, v5, s34
	v_lshrrev_b32_e32 v5, 20, v4
	v_and_b32_e32 v4, 0xff00000, v4
	s_mov_b32 s34, 0x7f00000
	v_mov_b32_e32 v6, 0x7e
	v_cmp_ne_u32_e32 vcc, s34, v4
                                        ; implicit-def: $vgpr4
	s_nop 1
	v_cndmask_b32_e32 v5, v6, v5, vcc
; %bb.690:
	s_andn2_saveexec_b64 s[30:31], s[30:31]
; %bb.691:
	v_add_f32_e32 v5, 0x46800000, v4
; %bb.692:
	s_or_b64 exec, exec, s[30:31]
                                        ; implicit-def: $vgpr4
.LBB14_693:
	s_andn2_saveexec_b64 s[28:29], s[28:29]
; %bb.694:
	s_mov_b32 s30, 0x7f800000
	v_mov_b32_e32 v5, 0x7e
	v_mov_b32_e32 v6, 0x7f
	v_cmp_lt_u32_e32 vcc, s30, v4
	s_nop 1
	v_cndmask_b32_e32 v5, v5, v6, vcc
; %bb.695:
	s_or_b64 exec, exec, s[28:29]
	global_store_byte v[2:3], v5, off
.LBB14_696:
	s_mov_b64 s[28:29], 0
.LBB14_697:
	s_andn2_b64 vcc, exec, s[28:29]
	s_cbranch_vccnz .LBB14_707
; %bb.698:
	v_cvt_f32_ubyte0_e32 v4, v1
	s_mov_b32 s28, 0x47800000
	v_cmp_gt_u32_e32 vcc, s28, v4
                                        ; implicit-def: $vgpr5
	s_and_saveexec_b64 s[28:29], vcc
	s_xor_b64 s[28:29], exec, s[28:29]
	s_cbranch_execz .LBB14_704
; %bb.699:
	s_mov_b32 s30, 0x387fffff
	v_cmp_lt_u32_e32 vcc, s30, v4
                                        ; implicit-def: $vgpr5
	s_and_saveexec_b64 s[30:31], vcc
	s_xor_b64 s[30:31], exec, s[30:31]
; %bb.700:
	v_bfe_u32 v5, v4, 21, 1
	s_mov_b32 s34, 0x80fffff
	v_add3_u32 v4, v4, v5, s34
	v_lshrrev_b32_e32 v5, 21, v4
                                        ; implicit-def: $vgpr4
; %bb.701:
	s_andn2_saveexec_b64 s[30:31], s[30:31]
; %bb.702:
	v_add_f32_e32 v5, 0x43000000, v4
; %bb.703:
	s_or_b64 exec, exec, s[30:31]
                                        ; implicit-def: $vgpr4
.LBB14_704:
	s_andn2_saveexec_b64 s[28:29], s[28:29]
; %bb.705:
	s_mov_b32 s30, 0x7f800000
	v_mov_b32_e32 v5, 0x7c
	v_mov_b32_e32 v6, 0x7f
	v_cmp_lt_u32_e32 vcc, s30, v4
	s_nop 1
	v_cndmask_b32_e32 v5, v5, v6, vcc
; %bb.706:
	s_or_b64 exec, exec, s[28:29]
	global_store_byte v[2:3], v5, off
.LBB14_707:
	s_mov_b64 s[30:31], 0
	s_mov_b64 s[28:29], -1
.LBB14_708:
	s_andn2_b64 vcc, exec, s[30:31]
	s_cbranch_vccnz .LBB14_716
; %bb.709:
	s_cmp_gt_i32 s37, 14
	s_mov_b64 s[30:31], -1
	s_cbranch_scc0 .LBB14_713
; %bb.710:
	s_cmp_eq_u32 s37, 15
	s_mov_b64 s[0:1], -1
	s_cbranch_scc0 .LBB14_712
; %bb.711:
	v_cvt_f32_ubyte0_e32 v4, v1
	v_bfe_u32 v5, v4, 16, 1
	s_movk_i32 s0, 0x7fff
	v_add3_u32 v4, v4, v5, s0
	global_store_short_d16_hi v[2:3], v4, off
	s_mov_b64 s[28:29], -1
	s_mov_b64 s[0:1], 0
.LBB14_712:
	s_mov_b64 s[30:31], 0
.LBB14_713:
	s_and_b64 vcc, exec, s[30:31]
	s_cbranch_vccz .LBB14_716
; %bb.714:
	s_cmp_eq_u32 s37, 11
	s_mov_b64 s[0:1], -1
	s_cbranch_scc0 .LBB14_716
; %bb.715:
	s_movk_i32 s0, 0xff
	v_cmp_ne_u16_sdwa s[0:1], v0, s0 src0_sel:BYTE_0 src1_sel:DWORD
	s_mov_b64 s[28:29], -1
	s_nop 0
	v_cndmask_b32_e64 v0, 0, 1, s[0:1]
	s_mov_b64 s[0:1], 0
	global_store_byte v[2:3], v0, off
.LBB14_716:
	s_mov_b64 s[30:31], 0
.LBB14_717:
	s_and_b64 vcc, exec, s[30:31]
	s_cbranch_vccz .LBB14_756
; %bb.718:
	s_and_b32 s30, 0xffff, s36
	s_cmp_lt_i32 s30, 5
	s_mov_b64 s[28:29], -1
	s_cbranch_scc1 .LBB14_739
; %bb.719:
	s_cmp_lt_i32 s30, 8
	s_cbranch_scc1 .LBB14_729
; %bb.720:
	s_cmp_lt_i32 s30, 9
	s_cbranch_scc1 .LBB14_726
; %bb.721:
	s_cmp_gt_i32 s30, 9
	s_cbranch_scc0 .LBB14_723
; %bb.722:
	s_mov_b32 s28, 0xffff
	v_and_b32_sdwa v0, s28, v1 dst_sel:DWORD dst_unused:UNUSED_PAD src0_sel:DWORD src1_sel:BYTE_0
	v_mov_b32_e32 v6, 0
	v_cvt_f64_u32_e32 v[4:5], v0
	v_mov_b32_e32 v7, v6
	s_mov_b64 s[28:29], 0
	global_store_dwordx4 v[2:3], v[4:7], off
.LBB14_723:
	s_andn2_b64 vcc, exec, s[28:29]
	s_cbranch_vccnz .LBB14_725
; %bb.724:
	v_cvt_f32_ubyte0_e32 v4, v1
	v_mov_b32_e32 v5, 0
	global_store_dwordx2 v[2:3], v[4:5], off
.LBB14_725:
	s_mov_b64 s[28:29], 0
.LBB14_726:
	s_andn2_b64 vcc, exec, s[28:29]
	s_cbranch_vccnz .LBB14_728
; %bb.727:
	v_cvt_f16_u16_sdwa v0, v1 dst_sel:DWORD dst_unused:UNUSED_PAD src0_sel:BYTE_0
	global_store_dword v[2:3], v0, off
.LBB14_728:
	s_mov_b64 s[28:29], 0
.LBB14_729:
	s_andn2_b64 vcc, exec, s[28:29]
	s_cbranch_vccnz .LBB14_738
; %bb.730:
	s_cmp_lt_i32 s30, 6
	s_mov_b64 s[28:29], -1
	s_cbranch_scc1 .LBB14_736
; %bb.731:
	s_cmp_gt_i32 s30, 6
	s_cbranch_scc0 .LBB14_733
; %bb.732:
	s_mov_b32 s28, 0xffff
	v_and_b32_sdwa v0, s28, v1 dst_sel:DWORD dst_unused:UNUSED_PAD src0_sel:DWORD src1_sel:BYTE_0
	v_cvt_f64_u32_e32 v[4:5], v0
	s_mov_b64 s[28:29], 0
	global_store_dwordx2 v[2:3], v[4:5], off
.LBB14_733:
	s_andn2_b64 vcc, exec, s[28:29]
	s_cbranch_vccnz .LBB14_735
; %bb.734:
	v_cvt_f32_ubyte0_e32 v0, v1
	global_store_dword v[2:3], v0, off
.LBB14_735:
	s_mov_b64 s[28:29], 0
.LBB14_736:
	s_andn2_b64 vcc, exec, s[28:29]
	s_cbranch_vccnz .LBB14_738
; %bb.737:
	v_cvt_f16_u16_sdwa v0, v1 dst_sel:DWORD dst_unused:UNUSED_PAD src0_sel:BYTE_0
	global_store_short v[2:3], v0, off
.LBB14_738:
	s_mov_b64 s[28:29], 0
.LBB14_739:
	s_andn2_b64 vcc, exec, s[28:29]
	s_cbranch_vccnz .LBB14_755
; %bb.740:
	s_cmp_lt_i32 s30, 2
	s_mov_b64 s[28:29], -1
	s_cbranch_scc1 .LBB14_750
; %bb.741:
	s_cmp_lt_i32 s30, 3
	s_cbranch_scc1 .LBB14_747
; %bb.742:
	s_cmp_gt_i32 s30, 3
	s_cbranch_scc0 .LBB14_744
; %bb.743:
	v_and_b32_e32 v4, 0xff, v1
	v_mov_b32_e32 v5, 0
	s_mov_b64 s[28:29], 0
	global_store_dwordx2 v[2:3], v[4:5], off
.LBB14_744:
	s_andn2_b64 vcc, exec, s[28:29]
	s_cbranch_vccnz .LBB14_746
; %bb.745:
	v_and_b32_e32 v0, 0xff, v1
	global_store_dword v[2:3], v0, off
.LBB14_746:
	s_mov_b64 s[28:29], 0
.LBB14_747:
	s_andn2_b64 vcc, exec, s[28:29]
	s_cbranch_vccnz .LBB14_749
; %bb.748:
	v_and_b32_e32 v0, 0xff, v1
	global_store_short v[2:3], v0, off
.LBB14_749:
	s_mov_b64 s[28:29], 0
.LBB14_750:
	s_andn2_b64 vcc, exec, s[28:29]
	s_cbranch_vccnz .LBB14_755
; %bb.751:
	s_cmp_gt_i32 s30, 0
	s_mov_b64 s[28:29], -1
	s_cbranch_scc0 .LBB14_753
; %bb.752:
	s_mov_b64 s[28:29], 0
	global_store_byte v[2:3], v1, off
.LBB14_753:
	s_andn2_b64 vcc, exec, s[28:29]
	s_cbranch_vccnz .LBB14_755
; %bb.754:
	global_store_byte v[2:3], v1, off
.LBB14_755:
	s_mov_b64 s[28:29], -1
.LBB14_756:
	s_andn2_b64 vcc, exec, s[28:29]
	s_cbranch_vccnz .LBB14_758
; %bb.757:
	v_add_u32_e32 v10, 0x80, v10
	s_mov_b64 s[30:31], -1
	s_branch .LBB14_759
.LBB14_758:
	s_mov_b64 s[30:31], 0
                                        ; implicit-def: $vgpr10
.LBB14_759:
	s_andn2_b64 s[28:29], s[20:21], exec
	s_and_b64 s[0:1], s[0:1], exec
	s_or_b64 s[28:29], s[28:29], s[0:1]
	s_andn2_b64 s[0:1], s[18:19], exec
	s_and_b64 s[26:27], s[26:27], exec
	s_or_b64 s[0:1], s[0:1], s[26:27]
	s_orn2_b64 s[34:35], s[30:31], exec
.LBB14_760:
	s_or_b64 exec, exec, s[24:25]
	s_mov_b64 s[30:31], 0
	s_mov_b64 s[26:27], 0
	;; [unrolled: 1-line block ×3, first 2 shown]
                                        ; implicit-def: $vgpr2_vgpr3
                                        ; implicit-def: $vgpr0
	s_and_saveexec_b64 s[24:25], s[34:35]
	s_cbranch_execz .LBB14_841
; %bb.761:
	v_cmp_gt_i32_e32 vcc, s38, v10
	s_mov_b64 s[34:35], 0
	s_mov_b64 s[38:39], s[0:1]
	s_mov_b64 s[40:41], 0
                                        ; implicit-def: $vgpr2_vgpr3
                                        ; implicit-def: $vgpr0
	s_and_saveexec_b64 s[26:27], vcc
	s_cbranch_execz .LBB14_840
; %bb.762:
	s_waitcnt vmcnt(0)
	v_mul_lo_u32 v0, v10, s9
	v_ashrrev_i32_e32 v1, 31, v0
	s_and_b32 s40, 0xffff, s42
	s_cmp_lt_i32 s40, 11
	v_lshl_add_u64 v[2:3], s[6:7], 0, v[0:1]
	s_cbranch_scc1 .LBB14_769
; %bb.763:
	s_cmp_gt_i32 s40, 25
	s_cbranch_scc0 .LBB14_770
; %bb.764:
	s_cmp_gt_i32 s40, 28
	s_cbranch_scc0 .LBB14_771
	;; [unrolled: 3-line block ×4, first 2 shown]
; %bb.767:
	s_cmp_eq_u32 s40, 46
	s_mov_b64 s[38:39], 0
	s_cbranch_scc0 .LBB14_778
; %bb.768:
	global_load_dword v0, v[2:3], off
	s_mov_b32 s30, 0x2f800000
	s_mov_b32 s31, 0xcf800000
	s_mov_b64 s[36:37], -1
	s_waitcnt vmcnt(0)
	v_lshlrev_b32_e32 v0, 16, v0
	v_trunc_f32_e32 v0, v0
	v_mul_f32_e64 v1, |v0|, s30
	v_floor_f32_e32 v1, v1
	v_fma_f32 v1, v1, s31, |v0|
	v_cvt_u32_f32_e32 v1, v1
	v_ashrrev_i32_e32 v0, 31, v0
	s_mov_b64 s[30:31], 0
	v_xor_b32_e32 v1, v1, v0
	v_sub_u32_e32 v0, v1, v0
	s_branch .LBB14_780
.LBB14_769:
	s_mov_b64 s[38:39], -1
                                        ; implicit-def: $vgpr0
	s_mov_b64 s[30:31], s[0:1]
	s_branch .LBB14_839
.LBB14_770:
	s_mov_b64 s[38:39], -1
	s_mov_b64 s[30:31], s[0:1]
                                        ; implicit-def: $vgpr0
	s_branch .LBB14_807
.LBB14_771:
	s_mov_b64 s[38:39], -1
	s_mov_b64 s[30:31], s[0:1]
                                        ; implicit-def: $vgpr0
	s_branch .LBB14_790
.LBB14_772:
	s_mov_b64 s[38:39], -1
	s_mov_b64 s[30:31], s[0:1]
                                        ; implicit-def: $vgpr0
	s_branch .LBB14_785
.LBB14_773:
	s_andn2_saveexec_b64 s[34:35], s[34:35]
	s_cbranch_execz .LBB14_669
.LBB14_774:
	v_add_f32_e32 v4, 0x46000000, v5
	v_and_b32_e32 v4, 0xff, v4
	v_cmp_ne_u32_e32 vcc, 0, v4
	s_andn2_b64 s[30:31], s[30:31], exec
	s_and_b64 s[40:41], vcc, exec
	s_or_b64 s[30:31], s[30:31], s[40:41]
	s_or_b64 exec, exec, s[34:35]
	v_mov_b32_e32 v6, 0
	s_and_saveexec_b64 s[34:35], s[30:31]
	s_cbranch_execnz .LBB14_670
	s_branch .LBB14_671
.LBB14_775:
	s_mov_b64 s[38:39], -1
	s_mov_b64 s[30:31], s[0:1]
	s_branch .LBB14_779
.LBB14_776:
	s_andn2_saveexec_b64 s[34:35], s[34:35]
	s_cbranch_execz .LBB14_682
.LBB14_777:
	v_add_f32_e32 v4, 0x42800000, v5
	v_and_b32_e32 v4, 0xff, v4
	v_cmp_ne_u32_e32 vcc, 0, v4
	s_andn2_b64 s[30:31], s[30:31], exec
	s_and_b64 s[40:41], vcc, exec
	s_or_b64 s[30:31], s[30:31], s[40:41]
	s_or_b64 exec, exec, s[34:35]
	v_mov_b32_e32 v6, 0
	s_and_saveexec_b64 s[34:35], s[30:31]
	s_cbranch_execnz .LBB14_683
	s_branch .LBB14_684
.LBB14_778:
	s_mov_b64 s[30:31], -1
.LBB14_779:
                                        ; implicit-def: $vgpr0
.LBB14_780:
	s_and_b64 vcc, exec, s[38:39]
	s_cbranch_vccz .LBB14_784
; %bb.781:
	s_cmp_eq_u32 s40, 44
	s_cbranch_scc0 .LBB14_783
; %bb.782:
	global_load_ubyte v0, v[2:3], off
	s_mov_b32 s30, 0x2f800000
	s_mov_b32 s31, 0xcf800000
	s_mov_b64 s[36:37], -1
	s_waitcnt vmcnt(0)
	v_lshlrev_b32_e32 v1, 23, v0
	v_trunc_f32_e32 v1, v1
	v_mul_f32_e64 v4, |v1|, s30
	v_floor_f32_e32 v4, v4
	v_fma_f32 v4, v4, s31, |v1|
	v_cvt_u32_f32_e32 v4, v4
	v_ashrrev_i32_e32 v1, 31, v1
	v_cmp_ne_u32_e32 vcc, 0, v0
	s_mov_b64 s[30:31], 0
	v_xor_b32_e32 v4, v4, v1
	v_sub_u32_e32 v1, v4, v1
	v_cndmask_b32_e32 v0, 0, v1, vcc
	s_branch .LBB14_784
.LBB14_783:
	s_mov_b64 s[30:31], -1
                                        ; implicit-def: $vgpr0
.LBB14_784:
	s_mov_b64 s[38:39], 0
.LBB14_785:
	s_and_b64 vcc, exec, s[38:39]
	s_cbranch_vccz .LBB14_789
; %bb.786:
	s_cmp_eq_u32 s40, 29
	s_cbranch_scc0 .LBB14_788
; %bb.787:
	global_load_dwordx2 v[0:1], v[2:3], off
	s_mov_b64 s[30:31], 0
	s_mov_b64 s[36:37], -1
	s_branch .LBB14_789
.LBB14_788:
	s_mov_b64 s[30:31], -1
                                        ; implicit-def: $vgpr0
.LBB14_789:
	s_mov_b64 s[38:39], 0
.LBB14_790:
	s_and_b64 vcc, exec, s[38:39]
	s_cbranch_vccz .LBB14_806
; %bb.791:
	s_cmp_lt_i32 s40, 27
	s_cbranch_scc1 .LBB14_794
; %bb.792:
	s_cmp_gt_i32 s40, 27
	s_cbranch_scc0 .LBB14_795
; %bb.793:
	global_load_dword v0, v[2:3], off
	s_mov_b64 s[36:37], 0
	s_branch .LBB14_796
.LBB14_794:
	s_mov_b64 s[36:37], -1
                                        ; implicit-def: $vgpr0
	s_branch .LBB14_799
.LBB14_795:
	s_mov_b64 s[36:37], -1
                                        ; implicit-def: $vgpr0
.LBB14_796:
	s_andn2_b64 vcc, exec, s[36:37]
	s_cbranch_vccnz .LBB14_798
; %bb.797:
	global_load_ushort v0, v[2:3], off
.LBB14_798:
	s_mov_b64 s[36:37], 0
.LBB14_799:
	s_andn2_b64 vcc, exec, s[36:37]
	s_cbranch_vccnz .LBB14_805
; %bb.800:
	global_load_ubyte v1, v[2:3], off
	s_movk_i32 s36, 0x7f
	s_mov_b64 s[38:39], 0
	s_waitcnt vmcnt(0)
	v_cmp_lt_i16_e32 vcc, s36, v1
	s_and_saveexec_b64 s[36:37], vcc
	s_xor_b64 s[36:37], exec, s[36:37]
	s_cbranch_execz .LBB14_817
; %bb.801:
	s_movk_i32 s38, 0x80
	v_cmp_ne_u16_e32 vcc, s38, v1
	s_and_b64 s[38:39], vcc, exec
	s_andn2_saveexec_b64 s[36:37], s[36:37]
	s_cbranch_execnz .LBB14_818
.LBB14_802:
	s_or_b64 exec, exec, s[36:37]
	v_mov_b32_e32 v0, 0
	s_and_saveexec_b64 s[36:37], s[38:39]
	s_cbranch_execz .LBB14_804
.LBB14_803:
	v_lshlrev_b32_e32 v0, 24, v1
	v_and_b32_e32 v1, 0xffff, v1
	v_and_b32_e32 v4, 7, v1
	v_ffbh_u32_e32 v6, v4
	v_min_u32_e32 v6, 32, v6
	v_subrev_u32_e32 v7, 28, v6
	v_bfe_u32 v5, v1, 3, 4
	v_lshlrev_b32_e32 v1, v7, v1
	v_sub_u32_e32 v6, 29, v6
	v_and_b32_e32 v1, 7, v1
	v_cmp_eq_u32_e32 vcc, 0, v5
	v_and_b32_e32 v0, 0x80000000, v0
	s_mov_b32 s38, 0x2f800000
	v_cndmask_b32_e32 v5, v5, v6, vcc
	v_cndmask_b32_e32 v1, v4, v1, vcc
	v_mov_b32_e32 v4, 0x3b800000
	v_lshlrev_b32_e32 v1, 20, v1
	v_lshl_add_u32 v4, v5, 23, v4
	v_or3_b32 v0, v0, v4, v1
	v_trunc_f32_e32 v0, v0
	v_mul_f32_e64 v1, |v0|, s38
	v_floor_f32_e32 v1, v1
	s_mov_b32 s38, 0xcf800000
	v_fma_f32 v1, v1, s38, |v0|
	v_cvt_u32_f32_e32 v1, v1
	v_ashrrev_i32_e32 v0, 31, v0
	v_xor_b32_e32 v1, v1, v0
	v_sub_u32_e32 v0, v1, v0
.LBB14_804:
	s_or_b64 exec, exec, s[36:37]
.LBB14_805:
	s_mov_b64 s[36:37], -1
.LBB14_806:
	s_mov_b64 s[38:39], 0
.LBB14_807:
	s_and_b64 vcc, exec, s[38:39]
	s_cbranch_vccz .LBB14_838
; %bb.808:
	s_cmp_gt_i32 s40, 22
	s_cbranch_scc0 .LBB14_816
; %bb.809:
	s_cmp_lt_i32 s40, 24
	s_cbranch_scc1 .LBB14_819
; %bb.810:
	s_cmp_gt_i32 s40, 24
	s_cbranch_scc0 .LBB14_820
; %bb.811:
	global_load_ubyte v1, v[2:3], off
	s_movk_i32 s34, 0x7f
	s_mov_b64 s[36:37], 0
	s_waitcnt vmcnt(0)
	v_cmp_lt_i16_e32 vcc, s34, v1
	s_and_saveexec_b64 s[34:35], vcc
	s_xor_b64 s[34:35], exec, s[34:35]
	s_cbranch_execz .LBB14_832
; %bb.812:
	s_movk_i32 s36, 0x80
	v_cmp_ne_u16_e32 vcc, s36, v1
	s_and_b64 s[36:37], vcc, exec
	s_andn2_saveexec_b64 s[34:35], s[34:35]
	s_cbranch_execnz .LBB14_833
.LBB14_813:
	s_or_b64 exec, exec, s[34:35]
	v_mov_b32_e32 v0, 0
	s_and_saveexec_b64 s[34:35], s[36:37]
	s_cbranch_execz .LBB14_815
.LBB14_814:
	v_lshlrev_b32_e32 v0, 24, v1
	v_and_b32_e32 v1, 0xffff, v1
	v_and_b32_e32 v4, 3, v1
	v_ffbh_u32_e32 v6, v4
	v_min_u32_e32 v6, 32, v6
	v_subrev_u32_e32 v7, 29, v6
	v_bfe_u32 v5, v1, 2, 5
	v_lshlrev_b32_e32 v1, v7, v1
	v_sub_u32_e32 v6, 30, v6
	v_and_b32_e32 v1, 3, v1
	v_cmp_eq_u32_e32 vcc, 0, v5
	v_and_b32_e32 v0, 0x80000000, v0
	s_mov_b32 s36, 0x2f800000
	v_cndmask_b32_e32 v5, v5, v6, vcc
	v_cndmask_b32_e32 v1, v4, v1, vcc
	v_mov_b32_e32 v4, 0x37800000
	v_lshlrev_b32_e32 v1, 21, v1
	v_lshl_add_u32 v4, v5, 23, v4
	v_or3_b32 v0, v0, v4, v1
	v_trunc_f32_e32 v0, v0
	v_mul_f32_e64 v1, |v0|, s36
	v_floor_f32_e32 v1, v1
	s_mov_b32 s36, 0xcf800000
	v_fma_f32 v1, v1, s36, |v0|
	v_cvt_u32_f32_e32 v1, v1
	v_ashrrev_i32_e32 v0, 31, v0
	v_xor_b32_e32 v1, v1, v0
	v_sub_u32_e32 v0, v1, v0
.LBB14_815:
	s_or_b64 exec, exec, s[34:35]
	s_mov_b64 s[34:35], 0
	s_branch .LBB14_821
.LBB14_816:
	s_mov_b64 s[34:35], -1
                                        ; implicit-def: $vgpr0
	s_branch .LBB14_827
.LBB14_817:
	s_andn2_saveexec_b64 s[36:37], s[36:37]
	s_cbranch_execz .LBB14_802
.LBB14_818:
	v_cmp_ne_u16_e32 vcc, 0, v1
	s_andn2_b64 s[38:39], s[38:39], exec
	s_and_b64 s[44:45], vcc, exec
	s_or_b64 s[38:39], s[38:39], s[44:45]
	s_or_b64 exec, exec, s[36:37]
	v_mov_b32_e32 v0, 0
	s_and_saveexec_b64 s[36:37], s[38:39]
	s_cbranch_execnz .LBB14_803
	s_branch .LBB14_804
.LBB14_819:
	s_mov_b64 s[34:35], -1
                                        ; implicit-def: $vgpr0
	s_branch .LBB14_824
.LBB14_820:
	s_mov_b64 s[34:35], -1
                                        ; implicit-def: $vgpr0
.LBB14_821:
	s_and_b64 vcc, exec, s[34:35]
	s_cbranch_vccz .LBB14_823
; %bb.822:
	global_load_ubyte v0, v[2:3], off
	s_mov_b32 s34, 0x7f800000
	s_brev_b32 s35, 1
	s_mov_b32 s36, 0x2f800000
	s_waitcnt vmcnt(0)
	v_lshlrev_b32_e32 v0, 24, v0
	v_and_b32_e32 v1, 0x7f000000, v0
	v_ffbh_u32_e32 v4, v1
	v_min_u32_e32 v4, 32, v4
	v_sub_u32_e64 v4, v4, 4 clamp
	v_lshlrev_b32_e32 v6, v4, v1
	v_lshlrev_b32_e32 v4, 23, v4
	v_lshrrev_b32_e32 v6, 4, v6
	v_add_u32_e32 v5, 0x1000000, v1
	v_sub_u32_e32 v4, v6, v4
	v_ashrrev_i32_e32 v5, 8, v5
	v_add_u32_e32 v4, 0x3c000000, v4
	v_and_or_b32 v4, v5, s34, v4
	v_cmp_ne_u32_e32 vcc, 0, v1
	s_mov_b32 s34, 0xcf800000
	s_nop 0
	v_cndmask_b32_e32 v1, 0, v4, vcc
	v_and_or_b32 v0, v0, s35, v1
	v_trunc_f32_e32 v0, v0
	v_mul_f32_e64 v1, |v0|, s36
	v_floor_f32_e32 v1, v1
	v_fma_f32 v1, v1, s34, |v0|
	v_cvt_u32_f32_e32 v1, v1
	v_ashrrev_i32_e32 v0, 31, v0
	v_xor_b32_e32 v1, v1, v0
	v_sub_u32_e32 v0, v1, v0
.LBB14_823:
	s_mov_b64 s[34:35], 0
.LBB14_824:
	s_andn2_b64 vcc, exec, s[34:35]
	s_cbranch_vccnz .LBB14_826
; %bb.825:
	global_load_ubyte v0, v[2:3], off
	s_movk_i32 s34, 0x7f00
	s_brev_b32 s35, 16
	s_brev_b32 s36, 1
	s_mov_b32 s37, 0x2f800000
	s_waitcnt vmcnt(0)
	v_lshlrev_b16_e32 v1, 8, v0
	v_lshlrev_b32_e32 v0, 25, v0
	v_lshrrev_b32_e32 v4, 4, v0
	v_and_or_b32 v5, v1, s34, 0.5
	v_or_b32_e32 v4, 0x70000000, v4
	v_add_f32_e32 v5, -0.5, v5
	v_mul_f32_e32 v4, 0x7800000, v4
	v_cmp_gt_u32_e32 vcc, s35, v0
	v_bfe_i32 v1, v1, 0, 16
	s_mov_b32 s34, 0xcf800000
	v_cndmask_b32_e32 v0, v4, v5, vcc
	v_and_or_b32 v0, v1, s36, v0
	v_trunc_f32_e32 v0, v0
	v_mul_f32_e64 v1, |v0|, s37
	v_floor_f32_e32 v1, v1
	v_fma_f32 v1, v1, s34, |v0|
	v_cvt_u32_f32_e32 v1, v1
	v_ashrrev_i32_e32 v0, 31, v0
	v_xor_b32_e32 v1, v1, v0
	v_sub_u32_e32 v0, v1, v0
.LBB14_826:
	s_mov_b64 s[34:35], 0
	s_mov_b64 s[36:37], -1
.LBB14_827:
	s_andn2_b64 vcc, exec, s[34:35]
	s_mov_b64 s[34:35], 0
	s_cbranch_vccnz .LBB14_838
; %bb.828:
	s_cmp_gt_i32 s40, 14
	s_cbranch_scc0 .LBB14_831
; %bb.829:
	s_cmp_eq_u32 s40, 15
	s_cbranch_scc0 .LBB14_834
; %bb.830:
	global_load_ushort v0, v[2:3], off
	s_mov_b32 s30, 0x2f800000
	s_mov_b32 s31, 0xcf800000
	s_mov_b64 s[36:37], -1
	s_waitcnt vmcnt(0)
	v_lshlrev_b32_e32 v0, 16, v0
	v_trunc_f32_e32 v0, v0
	v_mul_f32_e64 v1, |v0|, s30
	v_floor_f32_e32 v1, v1
	v_fma_f32 v1, v1, s31, |v0|
	v_cvt_u32_f32_e32 v1, v1
	v_ashrrev_i32_e32 v0, 31, v0
	s_mov_b64 s[30:31], 0
	v_xor_b32_e32 v1, v1, v0
	v_sub_u32_e32 v0, v1, v0
	s_branch .LBB14_835
.LBB14_831:
	s_mov_b64 s[38:39], -1
                                        ; implicit-def: $vgpr0
	s_branch .LBB14_836
.LBB14_832:
	s_andn2_saveexec_b64 s[34:35], s[34:35]
	s_cbranch_execz .LBB14_813
.LBB14_833:
	v_cmp_ne_u16_e32 vcc, 0, v1
	s_andn2_b64 s[36:37], s[36:37], exec
	s_and_b64 s[38:39], vcc, exec
	s_or_b64 s[36:37], s[36:37], s[38:39]
	s_or_b64 exec, exec, s[34:35]
	v_mov_b32_e32 v0, 0
	s_and_saveexec_b64 s[34:35], s[36:37]
	s_cbranch_execnz .LBB14_814
	s_branch .LBB14_815
.LBB14_834:
	s_mov_b64 s[30:31], -1
                                        ; implicit-def: $vgpr0
.LBB14_835:
	s_mov_b64 s[38:39], 0
.LBB14_836:
	s_and_b64 vcc, exec, s[38:39]
	s_cbranch_vccz .LBB14_838
; %bb.837:
	s_cmp_lg_u32 s40, 11
	s_cselect_b64 s[38:39], -1, 0
	s_andn2_b64 s[30:31], s[30:31], exec
	s_and_b64 s[38:39], s[38:39], exec
	s_mov_b64 s[34:35], -1
	s_or_b64 s[30:31], s[30:31], s[38:39]
.LBB14_838:
	s_mov_b64 s[38:39], 0
.LBB14_839:
	s_and_b64 s[40:41], s[38:39], exec
	s_andn2_b64 s[38:39], s[0:1], exec
	s_and_b64 s[30:31], s[30:31], exec
	s_and_b64 s[36:37], s[36:37], exec
	;; [unrolled: 1-line block ×3, first 2 shown]
	s_or_b64 s[38:39], s[38:39], s[30:31]
.LBB14_840:
	s_or_b64 exec, exec, s[26:27]
	s_and_b64 s[30:31], s[34:35], exec
	s_andn2_b64 s[0:1], s[0:1], exec
	s_and_b64 s[34:35], s[38:39], exec
	s_and_b64 s[36:37], s[36:37], exec
	;; [unrolled: 1-line block ×3, first 2 shown]
	s_or_b64 s[0:1], s[0:1], s[34:35]
.LBB14_841:
	s_or_b64 exec, exec, s[24:25]
	s_andn2_b64 s[20:21], s[20:21], exec
	s_and_b64 s[24:25], s[28:29], exec
	s_andn2_b64 s[18:19], s[18:19], exec
	s_and_b64 s[0:1], s[0:1], exec
	s_or_b64 s[20:21], s[20:21], s[24:25]
	s_and_b64 s[28:29], s[36:37], exec
	s_and_b64 s[26:27], s[26:27], exec
	;; [unrolled: 1-line block ×3, first 2 shown]
	s_or_b64 s[18:19], s[18:19], s[0:1]
.LBB14_842:
	s_or_b64 exec, exec, s[22:23]
	s_andn2_b64 s[0:1], s[12:13], exec
	s_and_b64 s[12:13], s[20:21], exec
	s_andn2_b64 s[14:15], s[14:15], exec
	s_and_b64 s[18:19], s[18:19], exec
	s_or_b64 s[12:13], s[0:1], s[12:13]
	s_and_b64 s[0:1], s[28:29], exec
	s_and_b64 s[22:23], s[26:27], exec
	;; [unrolled: 1-line block ×3, first 2 shown]
	s_or_b64 s[14:15], s[14:15], s[18:19]
	s_or_b64 exec, exec, s[16:17]
	s_mov_b64 s[16:17], 0
	s_and_saveexec_b64 s[18:19], s[14:15]
	s_cbranch_execz .LBB14_258
.LBB14_843:
	s_mov_b64 s[16:17], exec
	s_andn2_b64 s[20:21], s[20:21], exec
	s_trap 2
	s_or_b64 exec, exec, s[18:19]
	s_and_saveexec_b64 s[14:15], s[20:21]
	s_xor_b64 s[14:15], exec, s[14:15]
	s_cbranch_execnz .LBB14_259
.LBB14_844:
	s_or_b64 exec, exec, s[14:15]
	s_and_saveexec_b64 s[14:15], s[22:23]
	s_cbranch_execz .LBB14_890
.LBB14_845:
	s_sext_i32_i16 s18, s42
	s_cmp_lt_i32 s18, 5
	s_cbranch_scc1 .LBB14_850
; %bb.846:
	s_cmp_lt_i32 s18, 8
	s_cbranch_scc1 .LBB14_851
; %bb.847:
	;; [unrolled: 3-line block ×3, first 2 shown]
	s_cmp_gt_i32 s18, 9
	s_cbranch_scc0 .LBB14_853
; %bb.849:
	global_load_dwordx2 v[0:1], v[2:3], off
	s_movk_i32 s18, 0xffe0
	s_waitcnt vmcnt(0)
	v_trunc_f64_e32 v[0:1], v[0:1]
	v_ldexp_f64 v[4:5], v[0:1], s18
	v_floor_f64_e32 v[4:5], v[4:5]
	v_fmac_f64_e32 v[0:1], 0xc1f00000, v[4:5]
	v_cvt_u32_f64_e32 v0, v[0:1]
	s_mov_b64 s[18:19], 0
	s_branch .LBB14_854
.LBB14_850:
                                        ; implicit-def: $vgpr0
	s_branch .LBB14_871
.LBB14_851:
                                        ; implicit-def: $vgpr0
	s_branch .LBB14_860
.LBB14_852:
	s_mov_b64 s[18:19], -1
                                        ; implicit-def: $vgpr0
	s_branch .LBB14_857
.LBB14_853:
	s_mov_b64 s[18:19], -1
                                        ; implicit-def: $vgpr0
.LBB14_854:
	s_andn2_b64 vcc, exec, s[18:19]
	s_cbranch_vccnz .LBB14_856
; %bb.855:
	global_load_dword v0, v[2:3], off
	s_mov_b32 s18, 0x2f800000
	s_waitcnt vmcnt(0)
	v_trunc_f32_e32 v0, v0
	v_mul_f32_e64 v1, |v0|, s18
	v_floor_f32_e32 v1, v1
	s_mov_b32 s18, 0xcf800000
	v_fma_f32 v1, v1, s18, |v0|
	v_cvt_u32_f32_e32 v1, v1
	v_ashrrev_i32_e32 v0, 31, v0
	v_xor_b32_e32 v1, v1, v0
	v_sub_u32_e32 v0, v1, v0
.LBB14_856:
	s_mov_b64 s[18:19], 0
.LBB14_857:
	s_andn2_b64 vcc, exec, s[18:19]
	s_cbranch_vccnz .LBB14_859
; %bb.858:
	global_load_dword v0, v[2:3], off
	s_waitcnt vmcnt(0)
	v_cvt_f32_f16_e32 v0, v0
	v_cvt_i32_f32_e32 v0, v0
.LBB14_859:
	s_cbranch_execnz .LBB14_870
.LBB14_860:
	s_sext_i32_i16 s18, s42
	s_cmp_lt_i32 s18, 6
	s_cbranch_scc1 .LBB14_863
; %bb.861:
	s_cmp_gt_i32 s18, 6
	s_cbranch_scc0 .LBB14_864
; %bb.862:
	global_load_dwordx2 v[0:1], v[2:3], off
	s_movk_i32 s18, 0xffe0
	s_waitcnt vmcnt(0)
	v_trunc_f64_e32 v[0:1], v[0:1]
	v_ldexp_f64 v[4:5], v[0:1], s18
	v_floor_f64_e32 v[4:5], v[4:5]
	v_fmac_f64_e32 v[0:1], 0xc1f00000, v[4:5]
	v_cvt_u32_f64_e32 v0, v[0:1]
	s_mov_b64 s[18:19], 0
	s_branch .LBB14_865
.LBB14_863:
	s_mov_b64 s[18:19], -1
                                        ; implicit-def: $vgpr0
	s_branch .LBB14_868
.LBB14_864:
	s_mov_b64 s[18:19], -1
                                        ; implicit-def: $vgpr0
.LBB14_865:
	s_andn2_b64 vcc, exec, s[18:19]
	s_cbranch_vccnz .LBB14_867
; %bb.866:
	global_load_dword v0, v[2:3], off
	s_mov_b32 s18, 0x2f800000
	s_waitcnt vmcnt(0)
	v_trunc_f32_e32 v0, v0
	v_mul_f32_e64 v1, |v0|, s18
	v_floor_f32_e32 v1, v1
	s_mov_b32 s18, 0xcf800000
	v_fma_f32 v1, v1, s18, |v0|
	v_cvt_u32_f32_e32 v1, v1
	v_ashrrev_i32_e32 v0, 31, v0
	v_xor_b32_e32 v1, v1, v0
	v_sub_u32_e32 v0, v1, v0
.LBB14_867:
	s_mov_b64 s[18:19], 0
.LBB14_868:
	s_andn2_b64 vcc, exec, s[18:19]
	s_cbranch_vccnz .LBB14_870
; %bb.869:
	global_load_ushort v0, v[2:3], off
	s_waitcnt vmcnt(0)
	v_cvt_f32_f16_e32 v0, v0
	v_cvt_i32_f32_e32 v0, v0
.LBB14_870:
	s_cbranch_execnz .LBB14_889
.LBB14_871:
	s_sext_i32_i16 s18, s42
	s_cmp_lt_i32 s18, 2
	s_cbranch_scc1 .LBB14_875
; %bb.872:
	s_cmp_lt_i32 s18, 3
	s_cbranch_scc1 .LBB14_876
; %bb.873:
	s_cmp_gt_i32 s18, 3
	s_cbranch_scc0 .LBB14_877
; %bb.874:
	global_load_dwordx2 v[0:1], v[2:3], off
	s_mov_b64 s[18:19], 0
	s_branch .LBB14_878
.LBB14_875:
                                        ; implicit-def: $vgpr0
	s_branch .LBB14_884
.LBB14_876:
	s_mov_b64 s[18:19], -1
                                        ; implicit-def: $vgpr0
	s_branch .LBB14_881
.LBB14_877:
	s_mov_b64 s[18:19], -1
                                        ; implicit-def: $vgpr0
.LBB14_878:
	s_andn2_b64 vcc, exec, s[18:19]
	s_cbranch_vccnz .LBB14_880
; %bb.879:
	global_load_dword v0, v[2:3], off
.LBB14_880:
	s_mov_b64 s[18:19], 0
.LBB14_881:
	s_andn2_b64 vcc, exec, s[18:19]
	s_cbranch_vccnz .LBB14_883
; %bb.882:
	global_load_ushort v0, v[2:3], off
.LBB14_883:
	s_cbranch_execnz .LBB14_889
.LBB14_884:
	s_sext_i32_i16 s18, s42
	s_cmp_gt_i32 s18, 0
	s_cbranch_scc0 .LBB14_886
; %bb.885:
	global_load_ubyte v0, v[2:3], off
	s_mov_b64 s[18:19], 0
	s_branch .LBB14_887
.LBB14_886:
	s_mov_b64 s[18:19], -1
                                        ; implicit-def: $vgpr0
.LBB14_887:
	s_andn2_b64 vcc, exec, s[18:19]
	s_cbranch_vccnz .LBB14_889
; %bb.888:
	global_load_ubyte v0, v[2:3], off
.LBB14_889:
	s_or_b64 s[0:1], s[0:1], exec
.LBB14_890:
	s_or_b64 exec, exec, s[14:15]
	s_mov_b64 s[20:21], 0
	s_mov_b64 s[18:19], 0
                                        ; implicit-def: $sgpr26
                                        ; implicit-def: $vgpr2_vgpr3
                                        ; implicit-def: $vgpr1
	s_and_saveexec_b64 s[14:15], s[0:1]
	s_cbranch_execz .LBB14_965
; %bb.891:
	v_mul_lo_u32 v2, v10, s8
	v_ashrrev_i32_e32 v3, 31, v2
	s_and_b32 s26, s33, 0xff
	s_waitcnt vmcnt(0)
	v_xor_b32_e32 v1, -1, v0
	s_cmp_lt_i32 s26, 11
	v_lshl_add_u64 v[2:3], s[4:5], 0, v[2:3]
	s_cbranch_scc1 .LBB14_968
; %bb.892:
	s_and_b32 s27, 0xffff, s26
	s_mov_b64 s[20:21], -1
	s_cmp_gt_i32 s27, 25
	s_mov_b64 s[0:1], s[12:13]
	s_cbranch_scc0 .LBB14_925
; %bb.893:
	s_mov_b64 s[18:19], -1
	s_cmp_gt_i32 s27, 28
	s_mov_b64 s[0:1], s[12:13]
	s_cbranch_scc0 .LBB14_909
; %bb.894:
	s_cmp_gt_i32 s27, 43
	s_mov_b64 s[0:1], s[12:13]
	s_cbranch_scc0 .LBB14_905
; %bb.895:
	;; [unrolled: 4-line block ×3, first 2 shown]
	s_cmp_eq_u32 s27, 46
	s_mov_b64 s[0:1], -1
	s_cbranch_scc0 .LBB14_898
; %bb.897:
	v_cvt_f32_ubyte0_e32 v4, v1
	v_bfe_u32 v5, v4, 16, 1
	s_movk_i32 s0, 0x7fff
	v_add3_u32 v4, v4, v5, s0
	v_lshrrev_b32_e32 v4, 16, v4
	global_store_dword v[2:3], v4, off
	s_mov_b64 s[0:1], 0
.LBB14_898:
	s_mov_b64 s[18:19], 0
.LBB14_899:
	s_and_b64 vcc, exec, s[18:19]
	s_cbranch_vccz .LBB14_904
; %bb.900:
	s_cmp_eq_u32 s27, 44
	s_mov_b64 s[0:1], -1
	s_cbranch_scc0 .LBB14_904
; %bb.901:
	v_cvt_f32_ubyte0_e32 v5, v1
	v_lshrrev_b32_e32 v4, 23, v5
	s_movk_i32 s0, 0xff
	v_cmp_ne_u32_e32 vcc, s0, v4
	v_mov_b32_e32 v6, 0xff
	s_and_saveexec_b64 s[18:19], vcc
; %bb.902:
	s_mov_b32 s0, 0x3fffff
	v_and_b32_e32 v6, 0x400000, v5
	v_and_or_b32 v5, v5, s0, v4
	v_cmp_ne_u32_e32 vcc, 0, v6
	v_cmp_ne_u32_e64 s[0:1], 0, v5
	s_and_b64 s[0:1], vcc, s[0:1]
	s_nop 0
	v_cndmask_b32_e64 v5, 0, 1, s[0:1]
	v_add_u32_e32 v6, v4, v5
; %bb.903:
	s_or_b64 exec, exec, s[18:19]
	s_mov_b64 s[0:1], 0
	global_store_byte v[2:3], v6, off
.LBB14_904:
	s_mov_b64 s[18:19], 0
.LBB14_905:
	s_and_b64 vcc, exec, s[18:19]
	s_cbranch_vccz .LBB14_908
; %bb.906:
	s_cmp_eq_u32 s27, 29
	s_mov_b64 s[0:1], -1
	s_cbranch_scc0 .LBB14_908
; %bb.907:
	v_and_b32_e32 v4, 0xff, v1
	v_mov_b32_e32 v5, 0
	global_store_dwordx2 v[2:3], v[4:5], off
	s_mov_b64 s[0:1], 0
.LBB14_908:
	s_mov_b64 s[18:19], 0
.LBB14_909:
	s_and_b64 vcc, exec, s[18:19]
	s_cbranch_vccz .LBB14_924
; %bb.910:
	s_cmp_lt_i32 s27, 27
	s_mov_b64 s[18:19], -1
	s_cbranch_scc1 .LBB14_916
; %bb.911:
	s_cmp_gt_i32 s27, 27
	s_cbranch_scc0 .LBB14_913
; %bb.912:
	v_and_b32_e32 v4, 0xff, v1
	s_mov_b64 s[18:19], 0
	global_store_dword v[2:3], v4, off
.LBB14_913:
	s_andn2_b64 vcc, exec, s[18:19]
	s_cbranch_vccnz .LBB14_915
; %bb.914:
	v_and_b32_e32 v4, 0xff, v1
	global_store_short v[2:3], v4, off
.LBB14_915:
	s_mov_b64 s[18:19], 0
.LBB14_916:
	s_andn2_b64 vcc, exec, s[18:19]
	s_cbranch_vccnz .LBB14_924
; %bb.917:
	v_cvt_f32_ubyte0_e32 v5, v1
	s_mov_b32 s18, 0x43800000
	v_cmp_gt_u32_e32 vcc, s18, v5
	v_mov_b32_e32 v6, 0x80
	s_and_saveexec_b64 s[18:19], vcc
	s_cbranch_execz .LBB14_923
; %bb.918:
	s_mov_b32 s20, 0x3bffffff
	v_cmp_lt_u32_e32 vcc, s20, v5
	s_mov_b64 s[20:21], 0
                                        ; implicit-def: $vgpr4
	s_and_saveexec_b64 s[22:23], vcc
	s_xor_b64 s[22:23], exec, s[22:23]
	s_cbranch_execz .LBB14_1025
; %bb.919:
	v_bfe_u32 v4, v5, 20, 1
	s_mov_b32 s24, 0x487ffff
	v_add3_u32 v4, v5, v4, s24
	s_mov_b64 s[20:21], exec
	v_lshrrev_b32_e32 v4, 20, v4
                                        ; implicit-def: $vgpr5
	s_andn2_saveexec_b64 s[22:23], s[22:23]
	s_cbranch_execnz .LBB14_1026
.LBB14_920:
	s_or_b64 exec, exec, s[22:23]
	v_mov_b32_e32 v6, 0
	s_and_saveexec_b64 s[22:23], s[20:21]
.LBB14_921:
	v_mov_b32_e32 v6, v4
.LBB14_922:
	s_or_b64 exec, exec, s[22:23]
.LBB14_923:
	s_or_b64 exec, exec, s[18:19]
	global_store_byte v[2:3], v6, off
.LBB14_924:
	s_mov_b64 s[20:21], 0
.LBB14_925:
	s_mov_b64 s[18:19], 0
	s_and_b64 vcc, exec, s[20:21]
	s_cbranch_vccz .LBB14_969
; %bb.926:
	s_cmp_gt_i32 s27, 22
	s_mov_b64 s[20:21], -1
	s_cbranch_scc0 .LBB14_958
; %bb.927:
	s_cmp_lt_i32 s27, 24
	s_cbranch_scc1 .LBB14_947
; %bb.928:
	s_cmp_gt_i32 s27, 24
	s_cbranch_scc0 .LBB14_936
; %bb.929:
	v_cvt_f32_ubyte0_e32 v5, v1
	s_mov_b32 s20, 0x47800000
	v_cmp_gt_u32_e32 vcc, s20, v5
	v_mov_b32_e32 v6, 0x80
	s_and_saveexec_b64 s[20:21], vcc
	s_cbranch_execz .LBB14_935
; %bb.930:
	s_mov_b32 s22, 0x37ffffff
	v_cmp_lt_u32_e32 vcc, s22, v5
	s_mov_b64 s[22:23], 0
                                        ; implicit-def: $vgpr4
	s_and_saveexec_b64 s[24:25], vcc
	s_xor_b64 s[24:25], exec, s[24:25]
	s_cbranch_execz .LBB14_1145
; %bb.931:
	v_bfe_u32 v4, v5, 21, 1
	s_mov_b32 s28, 0x88fffff
	v_add3_u32 v4, v5, v4, s28
	s_mov_b64 s[22:23], exec
	v_lshrrev_b32_e32 v4, 21, v4
                                        ; implicit-def: $vgpr5
	s_andn2_saveexec_b64 s[24:25], s[24:25]
	s_cbranch_execnz .LBB14_1146
.LBB14_932:
	s_or_b64 exec, exec, s[24:25]
	v_mov_b32_e32 v6, 0
	s_and_saveexec_b64 s[24:25], s[22:23]
.LBB14_933:
	v_mov_b32_e32 v6, v4
.LBB14_934:
	s_or_b64 exec, exec, s[24:25]
.LBB14_935:
	s_or_b64 exec, exec, s[20:21]
	s_mov_b64 s[20:21], 0
	global_store_byte v[2:3], v6, off
.LBB14_936:
	s_and_b64 vcc, exec, s[20:21]
	s_cbranch_vccz .LBB14_946
; %bb.937:
	v_cvt_f32_ubyte0_e32 v4, v1
	s_mov_b32 s20, 0x43f00000
	v_cmp_gt_u32_e32 vcc, s20, v4
                                        ; implicit-def: $vgpr5
	s_and_saveexec_b64 s[20:21], vcc
	s_xor_b64 s[20:21], exec, s[20:21]
	s_cbranch_execz .LBB14_943
; %bb.938:
	s_mov_b32 s22, 0x3c7fffff
	v_cmp_lt_u32_e32 vcc, s22, v4
                                        ; implicit-def: $vgpr5
	s_and_saveexec_b64 s[22:23], vcc
	s_xor_b64 s[22:23], exec, s[22:23]
; %bb.939:
	v_bfe_u32 v5, v4, 20, 1
	s_mov_b32 s24, 0x407ffff
	v_add3_u32 v4, v4, v5, s24
	v_lshrrev_b32_e32 v5, 20, v4
	v_and_b32_e32 v4, 0xff00000, v4
	s_mov_b32 s24, 0x7f00000
	v_mov_b32_e32 v6, 0x7e
	v_cmp_ne_u32_e32 vcc, s24, v4
                                        ; implicit-def: $vgpr4
	s_nop 1
	v_cndmask_b32_e32 v5, v6, v5, vcc
; %bb.940:
	s_andn2_saveexec_b64 s[22:23], s[22:23]
; %bb.941:
	v_add_f32_e32 v5, 0x46800000, v4
; %bb.942:
	s_or_b64 exec, exec, s[22:23]
                                        ; implicit-def: $vgpr4
.LBB14_943:
	s_andn2_saveexec_b64 s[20:21], s[20:21]
; %bb.944:
	s_mov_b32 s22, 0x7f800000
	v_mov_b32_e32 v5, 0x7e
	v_mov_b32_e32 v6, 0x7f
	v_cmp_lt_u32_e32 vcc, s22, v4
	s_nop 1
	v_cndmask_b32_e32 v5, v5, v6, vcc
; %bb.945:
	s_or_b64 exec, exec, s[20:21]
	global_store_byte v[2:3], v5, off
.LBB14_946:
	s_mov_b64 s[20:21], 0
.LBB14_947:
	s_andn2_b64 vcc, exec, s[20:21]
	s_cbranch_vccnz .LBB14_957
; %bb.948:
	v_cvt_f32_ubyte0_e32 v4, v1
	s_mov_b32 s20, 0x47800000
	v_cmp_gt_u32_e32 vcc, s20, v4
                                        ; implicit-def: $vgpr5
	s_and_saveexec_b64 s[20:21], vcc
	s_xor_b64 s[20:21], exec, s[20:21]
	s_cbranch_execz .LBB14_954
; %bb.949:
	s_mov_b32 s22, 0x387fffff
	v_cmp_lt_u32_e32 vcc, s22, v4
                                        ; implicit-def: $vgpr5
	s_and_saveexec_b64 s[22:23], vcc
	s_xor_b64 s[22:23], exec, s[22:23]
; %bb.950:
	v_bfe_u32 v5, v4, 21, 1
	s_mov_b32 s24, 0x80fffff
	v_add3_u32 v4, v4, v5, s24
	v_lshrrev_b32_e32 v5, 21, v4
                                        ; implicit-def: $vgpr4
; %bb.951:
	s_andn2_saveexec_b64 s[22:23], s[22:23]
; %bb.952:
	v_add_f32_e32 v5, 0x43000000, v4
; %bb.953:
	s_or_b64 exec, exec, s[22:23]
                                        ; implicit-def: $vgpr4
.LBB14_954:
	s_andn2_saveexec_b64 s[20:21], s[20:21]
; %bb.955:
	s_mov_b32 s22, 0x7f800000
	v_mov_b32_e32 v5, 0x7c
	v_mov_b32_e32 v6, 0x7f
	v_cmp_lt_u32_e32 vcc, s22, v4
	s_nop 1
	v_cndmask_b32_e32 v5, v5, v6, vcc
; %bb.956:
	s_or_b64 exec, exec, s[20:21]
	global_store_byte v[2:3], v5, off
.LBB14_957:
	s_mov_b64 s[20:21], 0
.LBB14_958:
	s_andn2_b64 vcc, exec, s[20:21]
	s_mov_b64 s[20:21], 0
	s_cbranch_vccnz .LBB14_970
; %bb.959:
	s_cmp_gt_i32 s27, 14
	s_mov_b64 s[22:23], -1
	s_cbranch_scc0 .LBB14_963
; %bb.960:
	s_cmp_eq_u32 s27, 15
	s_mov_b64 s[0:1], -1
	s_cbranch_scc0 .LBB14_962
; %bb.961:
	v_cvt_f32_ubyte0_e32 v4, v1
	v_bfe_u32 v5, v4, 16, 1
	s_movk_i32 s0, 0x7fff
	v_add3_u32 v4, v4, v5, s0
	global_store_short_d16_hi v[2:3], v4, off
	s_mov_b64 s[0:1], 0
.LBB14_962:
	s_mov_b64 s[22:23], 0
.LBB14_963:
	s_and_b64 vcc, exec, s[22:23]
	s_cbranch_vccz .LBB14_970
; %bb.964:
	s_cmp_lg_u32 s27, 11
	s_cselect_b64 s[22:23], -1, 0
	s_andn2_b64 s[0:1], s[0:1], exec
	s_and_b64 s[22:23], s[22:23], exec
	s_mov_b64 s[20:21], -1
	s_or_b64 s[0:1], s[0:1], s[22:23]
	s_branch .LBB14_970
.LBB14_965:
	s_or_b64 exec, exec, s[14:15]
	s_and_saveexec_b64 s[0:1], s[12:13]
	s_cbranch_execnz .LBB14_971
.LBB14_966:
	s_or_b64 exec, exec, s[0:1]
	s_and_saveexec_b64 s[0:1], s[20:21]
	s_xor_b64 s[0:1], exec, s[0:1]
	s_cbranch_execz .LBB14_972
.LBB14_967:
	s_movk_i32 s12, 0xff
	s_waitcnt vmcnt(0)
	v_cmp_ne_u16_sdwa s[12:13], v0, s12 src0_sel:BYTE_0 src1_sel:DWORD
	s_nop 1
	v_cndmask_b32_e64 v0, 0, 1, s[12:13]
	global_store_byte v[2:3], v0, off
	s_or_b64 exec, exec, s[0:1]
	s_and_saveexec_b64 s[0:1], s[18:19]
	s_xor_b64 s[0:1], exec, s[0:1]
	s_cbranch_execz .LBB14_1010
	s_branch .LBB14_973
.LBB14_968:
	s_mov_b64 s[18:19], -1
	s_mov_b64 s[0:1], s[12:13]
	s_branch .LBB14_970
.LBB14_969:
	s_mov_b64 s[20:21], 0
.LBB14_970:
	s_andn2_b64 s[12:13], s[12:13], exec
	s_and_b64 s[0:1], s[0:1], exec
	s_and_b64 s[18:19], s[18:19], exec
	;; [unrolled: 1-line block ×3, first 2 shown]
	s_or_b64 s[12:13], s[12:13], s[0:1]
	s_or_b64 exec, exec, s[14:15]
	s_and_saveexec_b64 s[0:1], s[12:13]
	s_cbranch_execz .LBB14_966
.LBB14_971:
	s_or_b64 s[16:17], s[16:17], exec
	s_andn2_b64 s[20:21], s[20:21], exec
	s_trap 2
	s_or_b64 exec, exec, s[0:1]
	s_and_saveexec_b64 s[0:1], s[20:21]
	s_xor_b64 s[0:1], exec, s[0:1]
	s_cbranch_execnz .LBB14_967
.LBB14_972:
	s_or_b64 exec, exec, s[0:1]
	s_and_saveexec_b64 s[0:1], s[18:19]
	s_xor_b64 s[0:1], exec, s[0:1]
	s_cbranch_execz .LBB14_1010
.LBB14_973:
	s_sext_i32_i16 s14, s26
	s_cmp_lt_i32 s14, 5
	s_mov_b64 s[12:13], -1
	s_cbranch_scc1 .LBB14_994
; %bb.974:
	s_cmp_lt_i32 s14, 8
	s_cbranch_scc1 .LBB14_984
; %bb.975:
	s_cmp_lt_i32 s14, 9
	s_cbranch_scc1 .LBB14_981
; %bb.976:
	s_cmp_gt_i32 s14, 9
	s_cbranch_scc0 .LBB14_978
; %bb.977:
	s_mov_b32 s12, 0xffff
	s_waitcnt vmcnt(0)
	v_and_b32_sdwa v0, s12, v1 dst_sel:DWORD dst_unused:UNUSED_PAD src0_sel:DWORD src1_sel:BYTE_0
	v_mov_b32_e32 v6, 0
	v_cvt_f64_u32_e32 v[4:5], v0
	v_mov_b32_e32 v7, v6
	s_mov_b64 s[12:13], 0
	global_store_dwordx4 v[2:3], v[4:7], off
.LBB14_978:
	s_andn2_b64 vcc, exec, s[12:13]
	s_cbranch_vccnz .LBB14_980
; %bb.979:
	s_waitcnt vmcnt(0)
	v_cvt_f32_ubyte0_e32 v4, v1
	v_mov_b32_e32 v5, 0
	global_store_dwordx2 v[2:3], v[4:5], off
.LBB14_980:
	s_mov_b64 s[12:13], 0
.LBB14_981:
	s_andn2_b64 vcc, exec, s[12:13]
	s_cbranch_vccnz .LBB14_983
; %bb.982:
	s_waitcnt vmcnt(0)
	v_cvt_f16_u16_sdwa v0, v1 dst_sel:DWORD dst_unused:UNUSED_PAD src0_sel:BYTE_0
	global_store_dword v[2:3], v0, off
.LBB14_983:
	s_mov_b64 s[12:13], 0
.LBB14_984:
	s_andn2_b64 vcc, exec, s[12:13]
	s_cbranch_vccnz .LBB14_993
; %bb.985:
	s_sext_i32_i16 s14, s26
	s_cmp_lt_i32 s14, 6
	s_mov_b64 s[12:13], -1
	s_cbranch_scc1 .LBB14_991
; %bb.986:
	s_cmp_gt_i32 s14, 6
	s_cbranch_scc0 .LBB14_988
; %bb.987:
	s_mov_b32 s12, 0xffff
	s_waitcnt vmcnt(0)
	v_and_b32_sdwa v0, s12, v1 dst_sel:DWORD dst_unused:UNUSED_PAD src0_sel:DWORD src1_sel:BYTE_0
	v_cvt_f64_u32_e32 v[4:5], v0
	s_mov_b64 s[12:13], 0
	global_store_dwordx2 v[2:3], v[4:5], off
.LBB14_988:
	s_andn2_b64 vcc, exec, s[12:13]
	s_cbranch_vccnz .LBB14_990
; %bb.989:
	s_waitcnt vmcnt(0)
	v_cvt_f32_ubyte0_e32 v0, v1
	global_store_dword v[2:3], v0, off
.LBB14_990:
	s_mov_b64 s[12:13], 0
.LBB14_991:
	s_andn2_b64 vcc, exec, s[12:13]
	s_cbranch_vccnz .LBB14_993
; %bb.992:
	s_waitcnt vmcnt(0)
	v_cvt_f16_u16_sdwa v0, v1 dst_sel:DWORD dst_unused:UNUSED_PAD src0_sel:BYTE_0
	global_store_short v[2:3], v0, off
.LBB14_993:
	s_mov_b64 s[12:13], 0
.LBB14_994:
	s_andn2_b64 vcc, exec, s[12:13]
	s_cbranch_vccnz .LBB14_1010
; %bb.995:
	s_sext_i32_i16 s14, s26
	s_cmp_lt_i32 s14, 2
	s_mov_b64 s[12:13], -1
	s_cbranch_scc1 .LBB14_1005
; %bb.996:
	s_cmp_lt_i32 s14, 3
	s_cbranch_scc1 .LBB14_1002
; %bb.997:
	s_cmp_gt_i32 s14, 3
	s_cbranch_scc0 .LBB14_999
; %bb.998:
	s_waitcnt vmcnt(0)
	v_and_b32_e32 v4, 0xff, v1
	v_mov_b32_e32 v5, 0
	s_mov_b64 s[12:13], 0
	global_store_dwordx2 v[2:3], v[4:5], off
.LBB14_999:
	s_andn2_b64 vcc, exec, s[12:13]
	s_cbranch_vccnz .LBB14_1001
; %bb.1000:
	s_waitcnt vmcnt(0)
	v_and_b32_e32 v0, 0xff, v1
	global_store_dword v[2:3], v0, off
.LBB14_1001:
	s_mov_b64 s[12:13], 0
.LBB14_1002:
	s_andn2_b64 vcc, exec, s[12:13]
	s_cbranch_vccnz .LBB14_1004
; %bb.1003:
	s_waitcnt vmcnt(0)
	v_and_b32_e32 v0, 0xff, v1
	global_store_short v[2:3], v0, off
.LBB14_1004:
	s_mov_b64 s[12:13], 0
.LBB14_1005:
	s_andn2_b64 vcc, exec, s[12:13]
	s_cbranch_vccnz .LBB14_1010
; %bb.1006:
	s_sext_i32_i16 s12, s26
	s_cmp_gt_i32 s12, 0
	s_mov_b64 s[12:13], -1
	s_cbranch_scc0 .LBB14_1008
; %bb.1007:
	s_mov_b64 s[12:13], 0
	s_waitcnt vmcnt(0)
	global_store_byte v[2:3], v1, off
.LBB14_1008:
	s_andn2_b64 vcc, exec, s[12:13]
	s_cbranch_vccnz .LBB14_1010
; %bb.1009:
	s_waitcnt vmcnt(0)
	global_store_byte v[2:3], v1, off
.LBB14_1010:
	s_or_b64 exec, exec, s[0:1]
	s_and_b64 s[12:13], s[16:17], exec
                                        ; implicit-def: $vgpr10
.LBB14_1011:
	s_or_saveexec_b64 s[2:3], s[2:3]
	s_mov_b64 s[0:1], 0
                                        ; implicit-def: $sgpr20
                                        ; implicit-def: $vgpr0_vgpr1
                                        ; implicit-def: $vgpr2
                                        ; implicit-def: $vgpr4
	s_xor_b64 exec, exec, s[2:3]
	s_cbranch_execz .LBB14_1396
; %bb.1012:
	v_mul_lo_u32 v2, s9, v10
	v_ashrrev_i32_e32 v3, 31, v2
	s_and_b32 s20, 0xffff, s42
	s_cmp_lt_i32 s20, 11
	v_lshl_add_u64 v[4:5], s[6:7], 0, v[2:3]
	s_cbranch_scc1 .LBB14_1019
; %bb.1013:
	s_cmp_gt_i32 s20, 25
	s_cbranch_scc0 .LBB14_1021
; %bb.1014:
	s_cmp_gt_i32 s20, 28
	s_cbranch_scc0 .LBB14_1022
; %bb.1015:
	s_cmp_gt_i32 s20, 43
	s_cbranch_scc0 .LBB14_1023
; %bb.1016:
	s_cmp_gt_i32 s20, 45
	s_cbranch_scc0 .LBB14_1024
; %bb.1017:
	s_cmp_eq_u32 s20, 46
	s_mov_b64 s[14:15], 0
	s_cbranch_scc0 .LBB14_1027
; %bb.1018:
	global_load_dword v0, v[4:5], off
	s_mov_b32 s0, 0x2f800000
	s_mov_b32 s1, 0xcf800000
	s_mov_b64 s[16:17], -1
	s_waitcnt vmcnt(0)
	v_lshlrev_b32_e32 v0, 16, v0
	v_trunc_f32_e32 v0, v0
	v_mul_f32_e64 v1, |v0|, s0
	v_floor_f32_e32 v1, v1
	v_fma_f32 v1, v1, s1, |v0|
	v_cvt_u32_f32_e32 v1, v1
	v_ashrrev_i32_e32 v0, 31, v0
	s_mov_b64 s[0:1], 0
	v_xor_b32_e32 v1, v1, v0
	v_sub_u32_e32 v0, v1, v0
	s_branch .LBB14_1028
.LBB14_1019:
	s_mov_b64 s[16:17], 0
                                        ; implicit-def: $vgpr0
	s_mov_b64 s[14:15], s[12:13]
	s_cbranch_execnz .LBB14_1086
.LBB14_1020:
	s_andn2_b64 vcc, exec, s[16:17]
	s_cbranch_vccz .LBB14_1131
	s_branch .LBB14_1393
.LBB14_1021:
	s_mov_b64 s[16:17], 0
                                        ; implicit-def: $vgpr0
	s_cbranch_execnz .LBB14_1053
	s_branch .LBB14_1082
.LBB14_1022:
	s_mov_b64 s[16:17], 0
                                        ; implicit-def: $vgpr0
	s_cbranch_execz .LBB14_1052
	s_branch .LBB14_1037
.LBB14_1023:
	s_mov_b64 s[16:17], 0
                                        ; implicit-def: $vgpr0
	s_cbranch_execnz .LBB14_1033
	s_branch .LBB14_1036
.LBB14_1024:
	s_mov_b64 s[14:15], -1
	s_mov_b64 s[16:17], 0
                                        ; implicit-def: $vgpr0
	s_branch .LBB14_1028
.LBB14_1025:
	s_andn2_saveexec_b64 s[22:23], s[22:23]
	s_cbranch_execz .LBB14_920
.LBB14_1026:
	v_add_f32_e32 v4, 0x46000000, v5
	v_and_b32_e32 v4, 0xff, v4
	v_cmp_ne_u32_e32 vcc, 0, v4
	s_andn2_b64 s[20:21], s[20:21], exec
	s_and_b64 s[24:25], vcc, exec
	s_or_b64 s[20:21], s[20:21], s[24:25]
	s_or_b64 exec, exec, s[22:23]
	v_mov_b32_e32 v6, 0
	s_and_saveexec_b64 s[22:23], s[20:21]
	s_cbranch_execnz .LBB14_921
	s_branch .LBB14_922
.LBB14_1027:
	s_mov_b64 s[0:1], -1
                                        ; implicit-def: $vgpr0
	s_mov_b64 s[16:17], 0
.LBB14_1028:
	s_and_b64 vcc, exec, s[14:15]
	s_cbranch_vccz .LBB14_1031
; %bb.1029:
	s_cmp_eq_u32 s20, 44
	s_cbranch_scc0 .LBB14_1032
; %bb.1030:
	global_load_ubyte v0, v[4:5], off
	s_mov_b32 s0, 0x2f800000
	s_mov_b32 s1, 0xcf800000
	s_mov_b64 s[16:17], -1
	s_waitcnt vmcnt(0)
	v_lshlrev_b32_e32 v1, 23, v0
	v_trunc_f32_e32 v1, v1
	v_mul_f32_e64 v3, |v1|, s0
	v_floor_f32_e32 v3, v3
	v_fma_f32 v3, v3, s1, |v1|
	v_cvt_u32_f32_e32 v3, v3
	v_ashrrev_i32_e32 v1, 31, v1
	v_cmp_ne_u32_e32 vcc, 0, v0
	s_mov_b64 s[0:1], 0
	v_xor_b32_e32 v3, v3, v1
	v_sub_u32_e32 v1, v3, v1
	v_cndmask_b32_e32 v0, 0, v1, vcc
.LBB14_1031:
	s_branch .LBB14_1036
.LBB14_1032:
	s_mov_b64 s[0:1], -1
                                        ; implicit-def: $vgpr0
	s_branch .LBB14_1036
.LBB14_1033:
	s_cmp_eq_u32 s20, 29
	s_cbranch_scc0 .LBB14_1035
; %bb.1034:
	global_load_dwordx2 v[0:1], v[4:5], off
	s_mov_b64 s[0:1], 0
	s_mov_b64 s[16:17], -1
	s_branch .LBB14_1036
.LBB14_1035:
	s_mov_b64 s[0:1], -1
                                        ; implicit-def: $vgpr0
.LBB14_1036:
	s_branch .LBB14_1052
.LBB14_1037:
	s_cmp_lt_i32 s20, 27
	s_cbranch_scc1 .LBB14_1040
; %bb.1038:
	s_cmp_gt_i32 s20, 27
	s_cbranch_scc0 .LBB14_1041
; %bb.1039:
	global_load_dword v0, v[4:5], off
	s_mov_b64 s[14:15], 0
	s_branch .LBB14_1042
.LBB14_1040:
	s_mov_b64 s[14:15], -1
                                        ; implicit-def: $vgpr0
	s_branch .LBB14_1045
.LBB14_1041:
	s_mov_b64 s[14:15], -1
                                        ; implicit-def: $vgpr0
.LBB14_1042:
	s_andn2_b64 vcc, exec, s[14:15]
	s_cbranch_vccnz .LBB14_1044
; %bb.1043:
	global_load_ushort v0, v[4:5], off
.LBB14_1044:
	s_mov_b64 s[14:15], 0
.LBB14_1045:
	s_andn2_b64 vcc, exec, s[14:15]
	s_cbranch_vccnz .LBB14_1051
; %bb.1046:
	global_load_ubyte v1, v[4:5], off
	s_movk_i32 s14, 0x7f
	s_mov_b64 s[16:17], 0
	s_waitcnt vmcnt(0)
	v_cmp_lt_i16_e32 vcc, s14, v1
	s_and_saveexec_b64 s[14:15], vcc
	s_xor_b64 s[14:15], exec, s[14:15]
	s_cbranch_execz .LBB14_1062
; %bb.1047:
	s_movk_i32 s16, 0x80
	v_cmp_ne_u16_e32 vcc, s16, v1
	s_and_b64 s[16:17], vcc, exec
	s_andn2_saveexec_b64 s[14:15], s[14:15]
	s_cbranch_execnz .LBB14_1063
.LBB14_1048:
	s_or_b64 exec, exec, s[14:15]
	v_mov_b32_e32 v0, 0
	s_and_saveexec_b64 s[14:15], s[16:17]
	s_cbranch_execz .LBB14_1050
.LBB14_1049:
	v_lshlrev_b32_e32 v0, 24, v1
	v_and_b32_e32 v1, 0xffff, v1
	v_and_b32_e32 v3, 7, v1
	v_ffbh_u32_e32 v7, v3
	v_min_u32_e32 v7, 32, v7
	v_subrev_u32_e32 v8, 28, v7
	v_bfe_u32 v6, v1, 3, 4
	v_lshlrev_b32_e32 v1, v8, v1
	v_sub_u32_e32 v7, 29, v7
	v_and_b32_e32 v1, 7, v1
	v_cmp_eq_u32_e32 vcc, 0, v6
	v_and_b32_e32 v0, 0x80000000, v0
	s_mov_b32 s16, 0x2f800000
	v_cndmask_b32_e32 v6, v6, v7, vcc
	v_cndmask_b32_e32 v1, v3, v1, vcc
	v_mov_b32_e32 v3, 0x3b800000
	v_lshlrev_b32_e32 v1, 20, v1
	v_lshl_add_u32 v3, v6, 23, v3
	v_or3_b32 v0, v0, v3, v1
	v_trunc_f32_e32 v0, v0
	v_mul_f32_e64 v1, |v0|, s16
	v_floor_f32_e32 v1, v1
	s_mov_b32 s16, 0xcf800000
	v_fma_f32 v1, v1, s16, |v0|
	v_cvt_u32_f32_e32 v1, v1
	v_ashrrev_i32_e32 v0, 31, v0
	v_xor_b32_e32 v1, v1, v0
	v_sub_u32_e32 v0, v1, v0
.LBB14_1050:
	s_or_b64 exec, exec, s[14:15]
.LBB14_1051:
	s_mov_b64 s[16:17], -1
.LBB14_1052:
	s_branch .LBB14_1082
.LBB14_1053:
	s_cmp_gt_i32 s20, 22
	s_cbranch_scc0 .LBB14_1061
; %bb.1054:
	s_cmp_lt_i32 s20, 24
	s_cbranch_scc1 .LBB14_1064
; %bb.1055:
	s_cmp_gt_i32 s20, 24
	s_cbranch_scc0 .LBB14_1065
; %bb.1056:
	global_load_ubyte v1, v[4:5], off
	s_movk_i32 s10, 0x7f
	s_mov_b64 s[14:15], 0
	s_waitcnt vmcnt(0)
	v_cmp_lt_i16_e32 vcc, s10, v1
	s_and_saveexec_b64 s[10:11], vcc
	s_xor_b64 s[10:11], exec, s[10:11]
	s_cbranch_execz .LBB14_1076
; %bb.1057:
	s_movk_i32 s14, 0x80
	v_cmp_ne_u16_e32 vcc, s14, v1
	s_and_b64 s[14:15], vcc, exec
	s_andn2_saveexec_b64 s[10:11], s[10:11]
	s_cbranch_execnz .LBB14_1077
.LBB14_1058:
	s_or_b64 exec, exec, s[10:11]
	v_mov_b32_e32 v0, 0
	s_and_saveexec_b64 s[10:11], s[14:15]
	s_cbranch_execz .LBB14_1060
.LBB14_1059:
	v_lshlrev_b32_e32 v0, 24, v1
	v_and_b32_e32 v1, 0xffff, v1
	v_and_b32_e32 v3, 3, v1
	v_ffbh_u32_e32 v7, v3
	v_min_u32_e32 v7, 32, v7
	v_subrev_u32_e32 v8, 29, v7
	v_bfe_u32 v6, v1, 2, 5
	v_lshlrev_b32_e32 v1, v8, v1
	v_sub_u32_e32 v7, 30, v7
	v_and_b32_e32 v1, 3, v1
	v_cmp_eq_u32_e32 vcc, 0, v6
	v_and_b32_e32 v0, 0x80000000, v0
	s_mov_b32 s14, 0x2f800000
	v_cndmask_b32_e32 v6, v6, v7, vcc
	v_cndmask_b32_e32 v1, v3, v1, vcc
	v_mov_b32_e32 v3, 0x37800000
	v_lshlrev_b32_e32 v1, 21, v1
	v_lshl_add_u32 v3, v6, 23, v3
	v_or3_b32 v0, v0, v3, v1
	v_trunc_f32_e32 v0, v0
	v_mul_f32_e64 v1, |v0|, s14
	v_floor_f32_e32 v1, v1
	s_mov_b32 s14, 0xcf800000
	v_fma_f32 v1, v1, s14, |v0|
	v_cvt_u32_f32_e32 v1, v1
	v_ashrrev_i32_e32 v0, 31, v0
	v_xor_b32_e32 v1, v1, v0
	v_sub_u32_e32 v0, v1, v0
.LBB14_1060:
	s_or_b64 exec, exec, s[10:11]
	s_mov_b64 s[10:11], 0
	s_branch .LBB14_1066
.LBB14_1061:
                                        ; implicit-def: $vgpr0
	s_mov_b64 s[10:11], 0
	s_branch .LBB14_1072
.LBB14_1062:
	s_andn2_saveexec_b64 s[14:15], s[14:15]
	s_cbranch_execz .LBB14_1048
.LBB14_1063:
	v_cmp_ne_u16_e32 vcc, 0, v1
	s_andn2_b64 s[16:17], s[16:17], exec
	s_and_b64 s[18:19], vcc, exec
	s_or_b64 s[16:17], s[16:17], s[18:19]
	s_or_b64 exec, exec, s[14:15]
	v_mov_b32_e32 v0, 0
	s_and_saveexec_b64 s[14:15], s[16:17]
	s_cbranch_execnz .LBB14_1049
	s_branch .LBB14_1050
.LBB14_1064:
	s_mov_b64 s[10:11], -1
                                        ; implicit-def: $vgpr0
	s_branch .LBB14_1069
.LBB14_1065:
	s_mov_b64 s[10:11], -1
                                        ; implicit-def: $vgpr0
.LBB14_1066:
	s_and_b64 vcc, exec, s[10:11]
	s_cbranch_vccz .LBB14_1068
; %bb.1067:
	global_load_ubyte v0, v[4:5], off
	s_mov_b32 s10, 0x7f800000
	s_brev_b32 s11, 1
	s_mov_b32 s14, 0x2f800000
	s_waitcnt vmcnt(0)
	v_lshlrev_b32_e32 v0, 24, v0
	v_and_b32_e32 v1, 0x7f000000, v0
	v_ffbh_u32_e32 v3, v1
	v_min_u32_e32 v3, 32, v3
	v_sub_u32_e64 v3, v3, 4 clamp
	v_lshlrev_b32_e32 v7, v3, v1
	v_lshlrev_b32_e32 v3, 23, v3
	v_lshrrev_b32_e32 v7, 4, v7
	v_add_u32_e32 v6, 0x1000000, v1
	v_sub_u32_e32 v3, v7, v3
	v_ashrrev_i32_e32 v6, 8, v6
	v_add_u32_e32 v3, 0x3c000000, v3
	v_and_or_b32 v3, v6, s10, v3
	v_cmp_ne_u32_e32 vcc, 0, v1
	s_mov_b32 s10, 0xcf800000
	s_nop 0
	v_cndmask_b32_e32 v1, 0, v3, vcc
	v_and_or_b32 v0, v0, s11, v1
	v_trunc_f32_e32 v0, v0
	v_mul_f32_e64 v1, |v0|, s14
	v_floor_f32_e32 v1, v1
	v_fma_f32 v1, v1, s10, |v0|
	v_cvt_u32_f32_e32 v1, v1
	v_ashrrev_i32_e32 v0, 31, v0
	v_xor_b32_e32 v1, v1, v0
	v_sub_u32_e32 v0, v1, v0
.LBB14_1068:
	s_mov_b64 s[10:11], 0
.LBB14_1069:
	s_andn2_b64 vcc, exec, s[10:11]
	s_cbranch_vccnz .LBB14_1071
; %bb.1070:
	global_load_ubyte v0, v[4:5], off
	s_movk_i32 s10, 0x7f00
	s_brev_b32 s11, 16
	s_brev_b32 s14, 1
	s_mov_b32 s15, 0x2f800000
	s_waitcnt vmcnt(0)
	v_lshlrev_b16_e32 v1, 8, v0
	v_lshlrev_b32_e32 v0, 25, v0
	v_lshrrev_b32_e32 v3, 4, v0
	v_and_or_b32 v6, v1, s10, 0.5
	v_or_b32_e32 v3, 0x70000000, v3
	v_add_f32_e32 v6, -0.5, v6
	v_mul_f32_e32 v3, 0x7800000, v3
	v_cmp_gt_u32_e32 vcc, s11, v0
	v_bfe_i32 v1, v1, 0, 16
	s_mov_b32 s10, 0xcf800000
	v_cndmask_b32_e32 v0, v3, v6, vcc
	v_and_or_b32 v0, v1, s14, v0
	v_trunc_f32_e32 v0, v0
	v_mul_f32_e64 v1, |v0|, s15
	v_floor_f32_e32 v1, v1
	v_fma_f32 v1, v1, s10, |v0|
	v_cvt_u32_f32_e32 v1, v1
	v_ashrrev_i32_e32 v0, 31, v0
	v_xor_b32_e32 v1, v1, v0
	v_sub_u32_e32 v0, v1, v0
.LBB14_1071:
	s_mov_b64 s[16:17], -1
	s_mov_b64 s[10:11], 0
	s_cbranch_execnz .LBB14_1082
.LBB14_1072:
	s_cmp_gt_i32 s20, 14
	s_cbranch_scc0 .LBB14_1075
; %bb.1073:
	s_cmp_eq_u32 s20, 15
	s_cbranch_scc0 .LBB14_1078
; %bb.1074:
	global_load_ushort v0, v[4:5], off
	s_mov_b32 s0, 0x2f800000
	s_mov_b32 s1, 0xcf800000
	s_mov_b64 s[16:17], -1
	s_waitcnt vmcnt(0)
	v_lshlrev_b32_e32 v0, 16, v0
	v_trunc_f32_e32 v0, v0
	v_mul_f32_e64 v1, |v0|, s0
	v_floor_f32_e32 v1, v1
	v_fma_f32 v1, v1, s1, |v0|
	v_cvt_u32_f32_e32 v1, v1
	v_ashrrev_i32_e32 v0, 31, v0
	s_mov_b64 s[0:1], 0
	v_xor_b32_e32 v1, v1, v0
	v_sub_u32_e32 v0, v1, v0
	s_branch .LBB14_1079
.LBB14_1075:
	s_mov_b64 s[14:15], -1
                                        ; implicit-def: $vgpr0
	s_branch .LBB14_1080
.LBB14_1076:
	s_andn2_saveexec_b64 s[10:11], s[10:11]
	s_cbranch_execz .LBB14_1058
.LBB14_1077:
	v_cmp_ne_u16_e32 vcc, 0, v1
	s_andn2_b64 s[14:15], s[14:15], exec
	s_and_b64 s[16:17], vcc, exec
	s_or_b64 s[14:15], s[14:15], s[16:17]
	s_or_b64 exec, exec, s[10:11]
	v_mov_b32_e32 v0, 0
	s_and_saveexec_b64 s[10:11], s[14:15]
	s_cbranch_execnz .LBB14_1059
	s_branch .LBB14_1060
.LBB14_1078:
	s_mov_b64 s[0:1], -1
                                        ; implicit-def: $vgpr0
.LBB14_1079:
	s_mov_b64 s[14:15], 0
.LBB14_1080:
	s_and_b64 vcc, exec, s[14:15]
	s_cbranch_vccz .LBB14_1082
; %bb.1081:
	s_cmp_lg_u32 s20, 11
	s_mov_b64 s[10:11], -1
	s_cselect_b64 s[0:1], -1, 0
.LBB14_1082:
	s_and_b64 vcc, exec, s[0:1]
	s_mov_b64 s[14:15], s[12:13]
	s_cbranch_vccnz .LBB14_1143
; %bb.1083:
	s_andn2_b64 vcc, exec, s[10:11]
	s_cbranch_vccnz .LBB14_1085
.LBB14_1084:
	global_load_ubyte v0, v[4:5], off
	s_mov_b64 s[16:17], -1
	s_waitcnt vmcnt(0)
	v_cmp_ne_u16_e32 vcc, 0, v0
	s_nop 1
	v_cndmask_b32_e64 v0, 0, 1, vcc
.LBB14_1085:
	s_branch .LBB14_1020
.LBB14_1086:
	s_cmp_lt_i32 s20, 5
	s_cbranch_scc1 .LBB14_1091
; %bb.1087:
	s_cmp_lt_i32 s20, 8
	s_cbranch_scc1 .LBB14_1092
; %bb.1088:
	;; [unrolled: 3-line block ×3, first 2 shown]
	s_cmp_gt_i32 s20, 9
	s_cbranch_scc0 .LBB14_1094
; %bb.1090:
	global_load_dwordx2 v[0:1], v[4:5], off
	s_movk_i32 s0, 0xffe0
	s_waitcnt vmcnt(0)
	v_trunc_f64_e32 v[0:1], v[0:1]
	v_ldexp_f64 v[6:7], v[0:1], s0
	v_floor_f64_e32 v[6:7], v[6:7]
	v_fmac_f64_e32 v[0:1], 0xc1f00000, v[6:7]
	v_cvt_u32_f64_e32 v0, v[0:1]
	s_mov_b64 s[0:1], 0
	s_branch .LBB14_1095
.LBB14_1091:
                                        ; implicit-def: $vgpr0
	s_branch .LBB14_1112
.LBB14_1092:
                                        ; implicit-def: $vgpr0
	s_branch .LBB14_1101
.LBB14_1093:
	s_mov_b64 s[0:1], -1
                                        ; implicit-def: $vgpr0
	s_branch .LBB14_1098
.LBB14_1094:
	s_mov_b64 s[0:1], -1
                                        ; implicit-def: $vgpr0
.LBB14_1095:
	s_andn2_b64 vcc, exec, s[0:1]
	s_cbranch_vccnz .LBB14_1097
; %bb.1096:
	global_load_dword v0, v[4:5], off
	s_mov_b32 s0, 0x2f800000
	s_waitcnt vmcnt(0)
	v_trunc_f32_e32 v0, v0
	v_mul_f32_e64 v1, |v0|, s0
	v_floor_f32_e32 v1, v1
	s_mov_b32 s0, 0xcf800000
	v_fma_f32 v1, v1, s0, |v0|
	v_cvt_u32_f32_e32 v1, v1
	v_ashrrev_i32_e32 v0, 31, v0
	v_xor_b32_e32 v1, v1, v0
	v_sub_u32_e32 v0, v1, v0
.LBB14_1097:
	s_mov_b64 s[0:1], 0
.LBB14_1098:
	s_andn2_b64 vcc, exec, s[0:1]
	s_cbranch_vccnz .LBB14_1100
; %bb.1099:
	global_load_dword v0, v[4:5], off
	s_waitcnt vmcnt(0)
	v_cvt_f32_f16_e32 v0, v0
	v_cvt_i32_f32_e32 v0, v0
.LBB14_1100:
	s_cbranch_execnz .LBB14_1111
.LBB14_1101:
	s_cmp_lt_i32 s20, 6
	s_cbranch_scc1 .LBB14_1104
; %bb.1102:
	s_cmp_gt_i32 s20, 6
	s_cbranch_scc0 .LBB14_1105
; %bb.1103:
	global_load_dwordx2 v[0:1], v[4:5], off
	s_movk_i32 s0, 0xffe0
	s_waitcnt vmcnt(0)
	v_trunc_f64_e32 v[0:1], v[0:1]
	v_ldexp_f64 v[6:7], v[0:1], s0
	v_floor_f64_e32 v[6:7], v[6:7]
	v_fmac_f64_e32 v[0:1], 0xc1f00000, v[6:7]
	v_cvt_u32_f64_e32 v0, v[0:1]
	s_mov_b64 s[0:1], 0
	s_branch .LBB14_1106
.LBB14_1104:
	s_mov_b64 s[0:1], -1
                                        ; implicit-def: $vgpr0
	s_branch .LBB14_1109
.LBB14_1105:
	s_mov_b64 s[0:1], -1
                                        ; implicit-def: $vgpr0
.LBB14_1106:
	s_andn2_b64 vcc, exec, s[0:1]
	s_cbranch_vccnz .LBB14_1108
; %bb.1107:
	global_load_dword v0, v[4:5], off
	s_mov_b32 s0, 0x2f800000
	s_waitcnt vmcnt(0)
	v_trunc_f32_e32 v0, v0
	v_mul_f32_e64 v1, |v0|, s0
	v_floor_f32_e32 v1, v1
	s_mov_b32 s0, 0xcf800000
	v_fma_f32 v1, v1, s0, |v0|
	v_cvt_u32_f32_e32 v1, v1
	v_ashrrev_i32_e32 v0, 31, v0
	v_xor_b32_e32 v1, v1, v0
	v_sub_u32_e32 v0, v1, v0
.LBB14_1108:
	s_mov_b64 s[0:1], 0
.LBB14_1109:
	s_andn2_b64 vcc, exec, s[0:1]
	s_cbranch_vccnz .LBB14_1111
; %bb.1110:
	global_load_ushort v0, v[4:5], off
	s_waitcnt vmcnt(0)
	v_cvt_f32_f16_e32 v0, v0
	v_cvt_i32_f32_e32 v0, v0
.LBB14_1111:
	s_cbranch_execnz .LBB14_1130
.LBB14_1112:
	s_cmp_lt_i32 s20, 2
	s_cbranch_scc1 .LBB14_1116
; %bb.1113:
	s_cmp_lt_i32 s20, 3
	s_cbranch_scc1 .LBB14_1117
; %bb.1114:
	s_cmp_gt_i32 s20, 3
	s_cbranch_scc0 .LBB14_1118
; %bb.1115:
	global_load_dwordx2 v[0:1], v[4:5], off
	s_mov_b64 s[0:1], 0
	s_branch .LBB14_1119
.LBB14_1116:
                                        ; implicit-def: $vgpr0
	s_branch .LBB14_1125
.LBB14_1117:
	s_mov_b64 s[0:1], -1
                                        ; implicit-def: $vgpr0
	s_branch .LBB14_1122
.LBB14_1118:
	s_mov_b64 s[0:1], -1
                                        ; implicit-def: $vgpr0
.LBB14_1119:
	s_andn2_b64 vcc, exec, s[0:1]
	s_cbranch_vccnz .LBB14_1121
; %bb.1120:
	global_load_dword v0, v[4:5], off
.LBB14_1121:
	s_mov_b64 s[0:1], 0
.LBB14_1122:
	s_andn2_b64 vcc, exec, s[0:1]
	s_cbranch_vccnz .LBB14_1124
; %bb.1123:
	global_load_ushort v0, v[4:5], off
.LBB14_1124:
	s_cbranch_execnz .LBB14_1130
.LBB14_1125:
	s_cmp_gt_i32 s20, 0
	s_cbranch_scc0 .LBB14_1127
; %bb.1126:
	global_load_ubyte v0, v[4:5], off
	s_mov_b64 s[0:1], 0
	s_branch .LBB14_1128
.LBB14_1127:
	s_mov_b64 s[0:1], -1
                                        ; implicit-def: $vgpr0
.LBB14_1128:
	s_andn2_b64 vcc, exec, s[0:1]
	s_cbranch_vccnz .LBB14_1130
; %bb.1129:
	global_load_ubyte v0, v[4:5], off
.LBB14_1130:
.LBB14_1131:
	s_lshl_b32 s9, s9, 7
	v_add_u32_e32 v4, s9, v2
	v_ashrrev_i32_e32 v5, 31, v4
	s_cmp_lt_i32 s20, 11
	v_lshl_add_u64 v[6:7], s[6:7], 0, v[4:5]
	s_cbranch_scc1 .LBB14_1138
; %bb.1132:
	s_cmp_gt_i32 s20, 25
	s_mov_b64 s[10:11], 0
	s_cbranch_scc0 .LBB14_1140
; %bb.1133:
	s_cmp_gt_i32 s20, 28
	s_cbranch_scc0 .LBB14_1141
; %bb.1134:
	s_cmp_gt_i32 s20, 43
	;; [unrolled: 3-line block ×3, first 2 shown]
	s_cbranch_scc0 .LBB14_1144
; %bb.1136:
	s_cmp_eq_u32 s20, 46
	s_mov_b64 s[18:19], 0
	s_cbranch_scc0 .LBB14_1147
; %bb.1137:
	global_load_dword v1, v[6:7], off
	s_mov_b32 s0, 0x2f800000
	s_mov_b32 s1, 0xcf800000
	s_mov_b64 s[16:17], -1
	s_waitcnt vmcnt(0)
	v_lshlrev_b32_e32 v1, 16, v1
	v_trunc_f32_e32 v1, v1
	v_mul_f32_e64 v2, |v1|, s0
	v_floor_f32_e32 v2, v2
	v_fma_f32 v2, v2, s1, |v1|
	v_cvt_u32_f32_e32 v2, v2
	v_ashrrev_i32_e32 v1, 31, v1
	s_mov_b64 s[0:1], 0
	v_xor_b32_e32 v2, v2, v1
	v_sub_u32_e32 v2, v2, v1
	s_branch .LBB14_1148
.LBB14_1138:
	s_mov_b64 s[16:17], 0
                                        ; implicit-def: $vgpr2
	s_cbranch_execnz .LBB14_1209
.LBB14_1139:
	s_andn2_b64 vcc, exec, s[16:17]
	s_cbranch_vccz .LBB14_1256
	s_branch .LBB14_1393
.LBB14_1140:
	s_mov_b64 s[16:17], 0
	s_mov_b64 s[0:1], 0
                                        ; implicit-def: $vgpr2
	s_cbranch_execnz .LBB14_1175
	s_branch .LBB14_1205
.LBB14_1141:
	s_mov_b64 s[18:19], -1
	s_mov_b64 s[16:17], 0
	s_mov_b64 s[0:1], 0
                                        ; implicit-def: $vgpr2
	s_branch .LBB14_1158
.LBB14_1142:
	s_mov_b64 s[18:19], -1
	s_mov_b64 s[16:17], 0
	s_mov_b64 s[0:1], 0
                                        ; implicit-def: $vgpr2
	s_branch .LBB14_1153
.LBB14_1143:
	s_or_b64 s[14:15], s[12:13], exec
	s_trap 2
	s_cbranch_execz .LBB14_1084
	s_branch .LBB14_1085
.LBB14_1144:
	s_mov_b64 s[18:19], -1
	s_mov_b64 s[16:17], 0
	s_mov_b64 s[0:1], 0
                                        ; implicit-def: $vgpr2
	s_branch .LBB14_1148
.LBB14_1145:
	s_andn2_saveexec_b64 s[24:25], s[24:25]
	s_cbranch_execz .LBB14_932
.LBB14_1146:
	v_add_f32_e32 v4, 0x42800000, v5
	v_and_b32_e32 v4, 0xff, v4
	v_cmp_ne_u32_e32 vcc, 0, v4
	s_andn2_b64 s[22:23], s[22:23], exec
	s_and_b64 s[28:29], vcc, exec
	s_or_b64 s[22:23], s[22:23], s[28:29]
	s_or_b64 exec, exec, s[24:25]
	v_mov_b32_e32 v6, 0
	s_and_saveexec_b64 s[24:25], s[22:23]
	s_cbranch_execnz .LBB14_933
	s_branch .LBB14_934
.LBB14_1147:
	s_mov_b64 s[0:1], -1
                                        ; implicit-def: $vgpr2
	s_mov_b64 s[16:17], 0
.LBB14_1148:
	s_and_b64 vcc, exec, s[18:19]
	s_cbranch_vccz .LBB14_1152
; %bb.1149:
	s_cmp_eq_u32 s20, 44
	s_cbranch_scc0 .LBB14_1151
; %bb.1150:
	global_load_ubyte v1, v[6:7], off
	s_mov_b32 s0, 0x2f800000
	s_mov_b32 s1, 0xcf800000
	s_mov_b64 s[16:17], -1
	s_waitcnt vmcnt(0)
	v_lshlrev_b32_e32 v2, 23, v1
	v_trunc_f32_e32 v2, v2
	v_mul_f32_e64 v3, |v2|, s0
	v_floor_f32_e32 v3, v3
	v_fma_f32 v3, v3, s1, |v2|
	v_cvt_u32_f32_e32 v3, v3
	v_ashrrev_i32_e32 v2, 31, v2
	v_cmp_ne_u32_e32 vcc, 0, v1
	s_mov_b64 s[0:1], 0
	v_xor_b32_e32 v3, v3, v2
	v_sub_u32_e32 v2, v3, v2
	v_cndmask_b32_e32 v2, 0, v2, vcc
	s_branch .LBB14_1152
.LBB14_1151:
	s_mov_b64 s[0:1], -1
                                        ; implicit-def: $vgpr2
.LBB14_1152:
	s_mov_b64 s[18:19], 0
.LBB14_1153:
	s_and_b64 vcc, exec, s[18:19]
	s_cbranch_vccz .LBB14_1157
; %bb.1154:
	s_cmp_eq_u32 s20, 29
	s_cbranch_scc0 .LBB14_1156
; %bb.1155:
	global_load_dwordx2 v[2:3], v[6:7], off
	s_mov_b64 s[0:1], 0
	s_mov_b64 s[16:17], -1
	s_branch .LBB14_1157
.LBB14_1156:
	s_mov_b64 s[0:1], -1
                                        ; implicit-def: $vgpr2
.LBB14_1157:
	s_mov_b64 s[18:19], 0
.LBB14_1158:
	s_and_b64 vcc, exec, s[18:19]
	s_cbranch_vccz .LBB14_1174
; %bb.1159:
	s_cmp_lt_i32 s20, 27
	s_cbranch_scc1 .LBB14_1162
; %bb.1160:
	s_cmp_gt_i32 s20, 27
	s_cbranch_scc0 .LBB14_1163
; %bb.1161:
	global_load_dword v2, v[6:7], off
	s_mov_b64 s[16:17], 0
	s_branch .LBB14_1164
.LBB14_1162:
	s_mov_b64 s[16:17], -1
                                        ; implicit-def: $vgpr2
	s_branch .LBB14_1167
.LBB14_1163:
	s_mov_b64 s[16:17], -1
                                        ; implicit-def: $vgpr2
.LBB14_1164:
	s_andn2_b64 vcc, exec, s[16:17]
	s_cbranch_vccnz .LBB14_1166
; %bb.1165:
	global_load_ushort v2, v[6:7], off
.LBB14_1166:
	s_mov_b64 s[16:17], 0
.LBB14_1167:
	s_andn2_b64 vcc, exec, s[16:17]
	s_cbranch_vccnz .LBB14_1173
; %bb.1168:
	global_load_ubyte v1, v[6:7], off
	s_movk_i32 s16, 0x7f
	s_mov_b64 s[18:19], 0
	s_waitcnt vmcnt(0)
	v_cmp_lt_i16_e32 vcc, s16, v1
	s_and_saveexec_b64 s[16:17], vcc
	s_xor_b64 s[16:17], exec, s[16:17]
	s_cbranch_execz .LBB14_1184
; %bb.1169:
	s_movk_i32 s18, 0x80
	v_cmp_ne_u16_e32 vcc, s18, v1
	s_and_b64 s[18:19], vcc, exec
	s_andn2_saveexec_b64 s[16:17], s[16:17]
	s_cbranch_execnz .LBB14_1185
.LBB14_1170:
	s_or_b64 exec, exec, s[16:17]
	v_mov_b32_e32 v2, 0
	s_and_saveexec_b64 s[16:17], s[18:19]
	s_cbranch_execz .LBB14_1172
.LBB14_1171:
	v_lshlrev_b32_e32 v2, 24, v1
	v_and_b32_e32 v1, 0xffff, v1
	v_and_b32_e32 v3, 7, v1
	v_ffbh_u32_e32 v8, v3
	v_min_u32_e32 v8, 32, v8
	v_subrev_u32_e32 v9, 28, v8
	v_bfe_u32 v5, v1, 3, 4
	v_lshlrev_b32_e32 v1, v9, v1
	v_sub_u32_e32 v8, 29, v8
	v_and_b32_e32 v1, 7, v1
	v_cmp_eq_u32_e32 vcc, 0, v5
	v_and_b32_e32 v2, 0x80000000, v2
	s_mov_b32 s18, 0x2f800000
	v_cndmask_b32_e32 v5, v5, v8, vcc
	v_cndmask_b32_e32 v1, v3, v1, vcc
	v_mov_b32_e32 v3, 0x3b800000
	v_lshlrev_b32_e32 v1, 20, v1
	v_lshl_add_u32 v3, v5, 23, v3
	v_or3_b32 v1, v2, v3, v1
	v_trunc_f32_e32 v1, v1
	v_mul_f32_e64 v2, |v1|, s18
	v_floor_f32_e32 v2, v2
	s_mov_b32 s18, 0xcf800000
	v_fma_f32 v2, v2, s18, |v1|
	v_cvt_u32_f32_e32 v2, v2
	v_ashrrev_i32_e32 v1, 31, v1
	v_xor_b32_e32 v2, v2, v1
	v_sub_u32_e32 v2, v2, v1
.LBB14_1172:
	s_or_b64 exec, exec, s[16:17]
.LBB14_1173:
	s_mov_b64 s[16:17], -1
.LBB14_1174:
	s_branch .LBB14_1205
.LBB14_1175:
	s_cmp_gt_i32 s20, 22
	s_cbranch_scc0 .LBB14_1183
; %bb.1176:
	s_cmp_lt_i32 s20, 24
	s_cbranch_scc1 .LBB14_1186
; %bb.1177:
	s_cmp_gt_i32 s20, 24
	s_cbranch_scc0 .LBB14_1187
; %bb.1178:
	global_load_ubyte v1, v[6:7], off
	s_movk_i32 s10, 0x7f
	s_mov_b64 s[16:17], 0
	s_waitcnt vmcnt(0)
	v_cmp_lt_i16_e32 vcc, s10, v1
	s_and_saveexec_b64 s[10:11], vcc
	s_xor_b64 s[10:11], exec, s[10:11]
	s_cbranch_execz .LBB14_1199
; %bb.1179:
	s_movk_i32 s16, 0x80
	v_cmp_ne_u16_e32 vcc, s16, v1
	s_and_b64 s[16:17], vcc, exec
	s_andn2_saveexec_b64 s[10:11], s[10:11]
	s_cbranch_execnz .LBB14_1200
.LBB14_1180:
	s_or_b64 exec, exec, s[10:11]
	v_mov_b32_e32 v2, 0
	s_and_saveexec_b64 s[10:11], s[16:17]
	s_cbranch_execz .LBB14_1182
.LBB14_1181:
	v_lshlrev_b32_e32 v2, 24, v1
	v_and_b32_e32 v1, 0xffff, v1
	v_and_b32_e32 v3, 3, v1
	v_ffbh_u32_e32 v8, v3
	v_min_u32_e32 v8, 32, v8
	v_subrev_u32_e32 v9, 29, v8
	v_bfe_u32 v5, v1, 2, 5
	v_lshlrev_b32_e32 v1, v9, v1
	v_sub_u32_e32 v8, 30, v8
	v_and_b32_e32 v1, 3, v1
	v_cmp_eq_u32_e32 vcc, 0, v5
	v_and_b32_e32 v2, 0x80000000, v2
	s_mov_b32 s16, 0x2f800000
	v_cndmask_b32_e32 v5, v5, v8, vcc
	v_cndmask_b32_e32 v1, v3, v1, vcc
	v_mov_b32_e32 v3, 0x37800000
	v_lshlrev_b32_e32 v1, 21, v1
	v_lshl_add_u32 v3, v5, 23, v3
	v_or3_b32 v1, v2, v3, v1
	v_trunc_f32_e32 v1, v1
	v_mul_f32_e64 v2, |v1|, s16
	v_floor_f32_e32 v2, v2
	s_mov_b32 s16, 0xcf800000
	v_fma_f32 v2, v2, s16, |v1|
	v_cvt_u32_f32_e32 v2, v2
	v_ashrrev_i32_e32 v1, 31, v1
	v_xor_b32_e32 v2, v2, v1
	v_sub_u32_e32 v2, v2, v1
.LBB14_1182:
	s_or_b64 exec, exec, s[10:11]
	s_mov_b64 s[10:11], 0
	s_branch .LBB14_1188
.LBB14_1183:
	s_mov_b64 s[10:11], -1
                                        ; implicit-def: $vgpr2
	s_branch .LBB14_1194
.LBB14_1184:
	s_andn2_saveexec_b64 s[16:17], s[16:17]
	s_cbranch_execz .LBB14_1170
.LBB14_1185:
	v_cmp_ne_u16_e32 vcc, 0, v1
	s_andn2_b64 s[18:19], s[18:19], exec
	s_and_b64 s[22:23], vcc, exec
	s_or_b64 s[18:19], s[18:19], s[22:23]
	s_or_b64 exec, exec, s[16:17]
	v_mov_b32_e32 v2, 0
	s_and_saveexec_b64 s[16:17], s[18:19]
	s_cbranch_execnz .LBB14_1171
	s_branch .LBB14_1172
.LBB14_1186:
	s_mov_b64 s[10:11], -1
                                        ; implicit-def: $vgpr2
	s_branch .LBB14_1191
.LBB14_1187:
	s_mov_b64 s[10:11], -1
                                        ; implicit-def: $vgpr2
.LBB14_1188:
	s_and_b64 vcc, exec, s[10:11]
	s_cbranch_vccz .LBB14_1190
; %bb.1189:
	global_load_ubyte v1, v[6:7], off
	s_mov_b32 s10, 0x7f800000
	s_brev_b32 s11, 1
	s_mov_b32 s16, 0x2f800000
	s_waitcnt vmcnt(0)
	v_lshlrev_b32_e32 v1, 24, v1
	v_and_b32_e32 v2, 0x7f000000, v1
	v_ffbh_u32_e32 v3, v2
	v_min_u32_e32 v3, 32, v3
	v_sub_u32_e64 v3, v3, 4 clamp
	v_lshlrev_b32_e32 v8, v3, v2
	v_lshlrev_b32_e32 v3, 23, v3
	v_lshrrev_b32_e32 v8, 4, v8
	v_add_u32_e32 v5, 0x1000000, v2
	v_sub_u32_e32 v3, v8, v3
	v_ashrrev_i32_e32 v5, 8, v5
	v_add_u32_e32 v3, 0x3c000000, v3
	v_and_or_b32 v3, v5, s10, v3
	v_cmp_ne_u32_e32 vcc, 0, v2
	s_mov_b32 s10, 0xcf800000
	s_nop 0
	v_cndmask_b32_e32 v2, 0, v3, vcc
	v_and_or_b32 v1, v1, s11, v2
	v_trunc_f32_e32 v1, v1
	v_mul_f32_e64 v2, |v1|, s16
	v_floor_f32_e32 v2, v2
	v_fma_f32 v2, v2, s10, |v1|
	v_cvt_u32_f32_e32 v2, v2
	v_ashrrev_i32_e32 v1, 31, v1
	v_xor_b32_e32 v2, v2, v1
	v_sub_u32_e32 v2, v2, v1
.LBB14_1190:
	s_mov_b64 s[10:11], 0
.LBB14_1191:
	s_andn2_b64 vcc, exec, s[10:11]
	s_cbranch_vccnz .LBB14_1193
; %bb.1192:
	global_load_ubyte v1, v[6:7], off
	s_movk_i32 s10, 0x7f00
	s_brev_b32 s11, 16
	s_brev_b32 s16, 1
	s_mov_b32 s17, 0x2f800000
	s_waitcnt vmcnt(0)
	v_lshlrev_b16_e32 v2, 8, v1
	v_lshlrev_b32_e32 v1, 25, v1
	v_lshrrev_b32_e32 v3, 4, v1
	v_and_or_b32 v5, v2, s10, 0.5
	v_or_b32_e32 v3, 0x70000000, v3
	v_add_f32_e32 v5, -0.5, v5
	v_mul_f32_e32 v3, 0x7800000, v3
	v_cmp_gt_u32_e32 vcc, s11, v1
	v_bfe_i32 v2, v2, 0, 16
	s_mov_b32 s10, 0xcf800000
	v_cndmask_b32_e32 v1, v3, v5, vcc
	v_and_or_b32 v1, v2, s16, v1
	v_trunc_f32_e32 v1, v1
	v_mul_f32_e64 v2, |v1|, s17
	v_floor_f32_e32 v2, v2
	v_fma_f32 v2, v2, s10, |v1|
	v_cvt_u32_f32_e32 v2, v2
	v_ashrrev_i32_e32 v1, 31, v1
	v_xor_b32_e32 v2, v2, v1
	v_sub_u32_e32 v2, v2, v1
.LBB14_1193:
	s_mov_b64 s[10:11], 0
	s_mov_b64 s[16:17], -1
.LBB14_1194:
	s_andn2_b64 vcc, exec, s[10:11]
	s_mov_b64 s[10:11], 0
	s_cbranch_vccnz .LBB14_1205
; %bb.1195:
	s_cmp_gt_i32 s20, 14
	s_cbranch_scc0 .LBB14_1198
; %bb.1196:
	s_cmp_eq_u32 s20, 15
	s_cbranch_scc0 .LBB14_1201
; %bb.1197:
	global_load_ushort v1, v[6:7], off
	s_mov_b32 s0, 0x2f800000
	s_mov_b32 s1, 0xcf800000
	s_mov_b64 s[16:17], -1
	s_waitcnt vmcnt(0)
	v_lshlrev_b32_e32 v1, 16, v1
	v_trunc_f32_e32 v1, v1
	v_mul_f32_e64 v2, |v1|, s0
	v_floor_f32_e32 v2, v2
	v_fma_f32 v2, v2, s1, |v1|
	v_cvt_u32_f32_e32 v2, v2
	v_ashrrev_i32_e32 v1, 31, v1
	s_mov_b64 s[0:1], 0
	v_xor_b32_e32 v2, v2, v1
	v_sub_u32_e32 v2, v2, v1
	s_branch .LBB14_1202
.LBB14_1198:
	s_mov_b64 s[18:19], -1
                                        ; implicit-def: $vgpr2
	s_branch .LBB14_1203
.LBB14_1199:
	s_andn2_saveexec_b64 s[10:11], s[10:11]
	s_cbranch_execz .LBB14_1180
.LBB14_1200:
	v_cmp_ne_u16_e32 vcc, 0, v1
	s_andn2_b64 s[16:17], s[16:17], exec
	s_and_b64 s[18:19], vcc, exec
	s_or_b64 s[16:17], s[16:17], s[18:19]
	s_or_b64 exec, exec, s[10:11]
	v_mov_b32_e32 v2, 0
	s_and_saveexec_b64 s[10:11], s[16:17]
	s_cbranch_execnz .LBB14_1181
	s_branch .LBB14_1182
.LBB14_1201:
	s_mov_b64 s[0:1], -1
                                        ; implicit-def: $vgpr2
.LBB14_1202:
	s_mov_b64 s[18:19], 0
.LBB14_1203:
	s_and_b64 vcc, exec, s[18:19]
	s_cbranch_vccz .LBB14_1205
; %bb.1204:
	s_cmp_lg_u32 s20, 11
	s_mov_b64 s[10:11], -1
	s_cselect_b64 s[0:1], -1, 0
.LBB14_1205:
	s_and_b64 vcc, exec, s[0:1]
	s_cbranch_vccnz .LBB14_1278
; %bb.1206:
	s_andn2_b64 vcc, exec, s[10:11]
	s_cbranch_vccnz .LBB14_1208
.LBB14_1207:
	global_load_ubyte v1, v[6:7], off
	s_mov_b64 s[16:17], -1
	s_waitcnt vmcnt(0)
	v_cmp_ne_u16_e32 vcc, 0, v1
	s_nop 1
	v_cndmask_b32_e64 v2, 0, 1, vcc
.LBB14_1208:
	s_branch .LBB14_1139
.LBB14_1209:
	s_cmp_lt_i32 s20, 5
	s_cbranch_scc1 .LBB14_1214
; %bb.1210:
	s_cmp_lt_i32 s20, 8
	s_cbranch_scc1 .LBB14_1215
; %bb.1211:
	;; [unrolled: 3-line block ×3, first 2 shown]
	s_cmp_gt_i32 s20, 9
	s_cbranch_scc0 .LBB14_1217
; %bb.1213:
	global_load_dwordx2 v[2:3], v[6:7], off
	s_movk_i32 s0, 0xffe0
	s_waitcnt vmcnt(0)
	v_trunc_f64_e32 v[2:3], v[2:3]
	v_ldexp_f64 v[8:9], v[2:3], s0
	v_floor_f64_e32 v[8:9], v[8:9]
	v_fmac_f64_e32 v[2:3], 0xc1f00000, v[8:9]
	v_cvt_u32_f64_e32 v2, v[2:3]
	s_mov_b64 s[0:1], 0
	s_branch .LBB14_1218
.LBB14_1214:
                                        ; implicit-def: $vgpr2
	s_branch .LBB14_1236
.LBB14_1215:
	s_mov_b64 s[0:1], -1
                                        ; implicit-def: $vgpr2
	s_branch .LBB14_1224
.LBB14_1216:
	s_mov_b64 s[0:1], -1
                                        ; implicit-def: $vgpr2
	s_branch .LBB14_1221
.LBB14_1217:
	s_mov_b64 s[0:1], -1
                                        ; implicit-def: $vgpr2
.LBB14_1218:
	s_andn2_b64 vcc, exec, s[0:1]
	s_cbranch_vccnz .LBB14_1220
; %bb.1219:
	global_load_dword v1, v[6:7], off
	s_mov_b32 s0, 0x2f800000
	s_waitcnt vmcnt(0)
	v_trunc_f32_e32 v1, v1
	v_mul_f32_e64 v2, |v1|, s0
	v_floor_f32_e32 v2, v2
	s_mov_b32 s0, 0xcf800000
	v_fma_f32 v2, v2, s0, |v1|
	v_cvt_u32_f32_e32 v2, v2
	v_ashrrev_i32_e32 v1, 31, v1
	v_xor_b32_e32 v2, v2, v1
	v_sub_u32_e32 v2, v2, v1
.LBB14_1220:
	s_mov_b64 s[0:1], 0
.LBB14_1221:
	s_andn2_b64 vcc, exec, s[0:1]
	s_cbranch_vccnz .LBB14_1223
; %bb.1222:
	global_load_dword v1, v[6:7], off
	s_waitcnt vmcnt(0)
	v_cvt_f32_f16_e32 v1, v1
	v_cvt_i32_f32_e32 v2, v1
.LBB14_1223:
	s_mov_b64 s[0:1], 0
.LBB14_1224:
	s_andn2_b64 vcc, exec, s[0:1]
	s_cbranch_vccnz .LBB14_1235
; %bb.1225:
	s_cmp_lt_i32 s20, 6
	s_cbranch_scc1 .LBB14_1228
; %bb.1226:
	s_cmp_gt_i32 s20, 6
	s_cbranch_scc0 .LBB14_1229
; %bb.1227:
	global_load_dwordx2 v[2:3], v[6:7], off
	s_movk_i32 s0, 0xffe0
	s_waitcnt vmcnt(0)
	v_trunc_f64_e32 v[2:3], v[2:3]
	v_ldexp_f64 v[8:9], v[2:3], s0
	v_floor_f64_e32 v[8:9], v[8:9]
	v_fmac_f64_e32 v[2:3], 0xc1f00000, v[8:9]
	v_cvt_u32_f64_e32 v2, v[2:3]
	s_mov_b64 s[0:1], 0
	s_branch .LBB14_1230
.LBB14_1228:
	s_mov_b64 s[0:1], -1
                                        ; implicit-def: $vgpr2
	s_branch .LBB14_1233
.LBB14_1229:
	s_mov_b64 s[0:1], -1
                                        ; implicit-def: $vgpr2
.LBB14_1230:
	s_andn2_b64 vcc, exec, s[0:1]
	s_cbranch_vccnz .LBB14_1232
; %bb.1231:
	global_load_dword v1, v[6:7], off
	s_mov_b32 s0, 0x2f800000
	s_waitcnt vmcnt(0)
	v_trunc_f32_e32 v1, v1
	v_mul_f32_e64 v2, |v1|, s0
	v_floor_f32_e32 v2, v2
	s_mov_b32 s0, 0xcf800000
	v_fma_f32 v2, v2, s0, |v1|
	v_cvt_u32_f32_e32 v2, v2
	v_ashrrev_i32_e32 v1, 31, v1
	v_xor_b32_e32 v2, v2, v1
	v_sub_u32_e32 v2, v2, v1
.LBB14_1232:
	s_mov_b64 s[0:1], 0
.LBB14_1233:
	s_andn2_b64 vcc, exec, s[0:1]
	s_cbranch_vccnz .LBB14_1235
; %bb.1234:
	global_load_ushort v1, v[6:7], off
	s_waitcnt vmcnt(0)
	v_cvt_f32_f16_e32 v1, v1
	v_cvt_i32_f32_e32 v2, v1
.LBB14_1235:
	s_cbranch_execnz .LBB14_1255
.LBB14_1236:
	s_cmp_lt_i32 s20, 2
	s_cbranch_scc1 .LBB14_1240
; %bb.1237:
	s_cmp_lt_i32 s20, 3
	s_cbranch_scc1 .LBB14_1241
; %bb.1238:
	s_cmp_gt_i32 s20, 3
	s_cbranch_scc0 .LBB14_1242
; %bb.1239:
	global_load_dwordx2 v[2:3], v[6:7], off
	s_mov_b64 s[0:1], 0
	s_branch .LBB14_1243
.LBB14_1240:
	s_mov_b64 s[0:1], -1
                                        ; implicit-def: $vgpr2
	s_branch .LBB14_1249
.LBB14_1241:
	s_mov_b64 s[0:1], -1
                                        ; implicit-def: $vgpr2
	s_branch .LBB14_1246
.LBB14_1242:
	s_mov_b64 s[0:1], -1
                                        ; implicit-def: $vgpr2
.LBB14_1243:
	s_andn2_b64 vcc, exec, s[0:1]
	s_cbranch_vccnz .LBB14_1245
; %bb.1244:
	global_load_dword v2, v[6:7], off
.LBB14_1245:
	s_mov_b64 s[0:1], 0
.LBB14_1246:
	s_andn2_b64 vcc, exec, s[0:1]
	s_cbranch_vccnz .LBB14_1248
; %bb.1247:
	global_load_ushort v2, v[6:7], off
.LBB14_1248:
	s_mov_b64 s[0:1], 0
.LBB14_1249:
	s_andn2_b64 vcc, exec, s[0:1]
	s_cbranch_vccnz .LBB14_1255
; %bb.1250:
	s_cmp_gt_i32 s20, 0
	s_cbranch_scc0 .LBB14_1252
; %bb.1251:
	global_load_ubyte v2, v[6:7], off
	s_mov_b64 s[0:1], 0
	s_branch .LBB14_1253
.LBB14_1252:
	s_mov_b64 s[0:1], -1
                                        ; implicit-def: $vgpr2
.LBB14_1253:
	s_andn2_b64 vcc, exec, s[0:1]
	s_cbranch_vccnz .LBB14_1255
; %bb.1254:
	global_load_ubyte v2, v[6:7], off
.LBB14_1255:
.LBB14_1256:
	v_add_u32_e32 v4, s9, v4
	v_ashrrev_i32_e32 v5, 31, v4
	s_cmp_lt_i32 s20, 11
	v_lshl_add_u64 v[8:9], s[6:7], 0, v[4:5]
	s_cbranch_scc1 .LBB14_1263
; %bb.1257:
	s_cmp_gt_i32 s20, 25
	s_mov_b64 s[10:11], 0
	s_cbranch_scc0 .LBB14_1272
; %bb.1258:
	s_cmp_gt_i32 s20, 28
	s_cbranch_scc0 .LBB14_1274
; %bb.1259:
	s_cmp_gt_i32 s20, 43
	;; [unrolled: 3-line block ×3, first 2 shown]
	s_cbranch_scc0 .LBB14_1279
; %bb.1261:
	s_cmp_eq_u32 s20, 46
	s_mov_b64 s[18:19], 0
	s_cbranch_scc0 .LBB14_1281
; %bb.1262:
	global_load_dword v1, v[8:9], off
	s_mov_b32 s0, 0x2f800000
	s_mov_b32 s1, 0xcf800000
	s_mov_b64 s[16:17], -1
	s_waitcnt vmcnt(0)
	v_lshlrev_b32_e32 v1, 16, v1
	v_trunc_f32_e32 v1, v1
	v_mul_f32_e64 v3, |v1|, s0
	v_floor_f32_e32 v3, v3
	v_fma_f32 v3, v3, s1, |v1|
	v_cvt_u32_f32_e32 v3, v3
	v_ashrrev_i32_e32 v1, 31, v1
	s_mov_b64 s[0:1], 0
	v_xor_b32_e32 v3, v3, v1
	v_sub_u32_e32 v6, v3, v1
	s_branch .LBB14_1282
.LBB14_1263:
	s_mov_b64 s[16:17], 0
                                        ; implicit-def: $vgpr6
	s_cbranch_execnz .LBB14_1345
.LBB14_1264:
	s_andn2_b64 vcc, exec, s[16:17]
	s_cbranch_vccnz .LBB14_1393
.LBB14_1265:
	v_add_u32_e32 v4, s9, v4
	v_ashrrev_i32_e32 v5, 31, v4
	s_cmp_lt_i32 s20, 11
	v_lshl_add_u64 v[8:9], s[6:7], 0, v[4:5]
	s_cbranch_scc1 .LBB14_1273
; %bb.1266:
	s_cmp_gt_i32 s20, 25
	s_mov_b64 s[6:7], 0
	s_cbranch_scc0 .LBB14_1275
; %bb.1267:
	s_cmp_gt_i32 s20, 28
	s_cbranch_scc0 .LBB14_1277
; %bb.1268:
	s_cmp_gt_i32 s20, 43
	;; [unrolled: 3-line block ×3, first 2 shown]
	s_cbranch_scc0 .LBB14_1285
; %bb.1270:
	s_cmp_eq_u32 s20, 46
	s_mov_b64 s[16:17], 0
	s_cbranch_scc0 .LBB14_1440
; %bb.1271:
	global_load_dword v1, v[8:9], off
	s_mov_b32 s0, 0x2f800000
	s_mov_b32 s1, 0xcf800000
	s_mov_b64 s[10:11], -1
	s_waitcnt vmcnt(0)
	v_lshlrev_b32_e32 v1, 16, v1
	v_trunc_f32_e32 v1, v1
	v_mul_f32_e64 v3, |v1|, s0
	v_floor_f32_e32 v3, v3
	v_fma_f32 v3, v3, s1, |v1|
	v_cvt_u32_f32_e32 v3, v3
	v_ashrrev_i32_e32 v1, 31, v1
	s_mov_b64 s[0:1], 0
	v_xor_b32_e32 v3, v3, v1
	v_sub_u32_e32 v4, v3, v1
	s_branch .LBB14_1441
.LBB14_1272:
	s_mov_b64 s[18:19], -1
	s_mov_b64 s[16:17], 0
	s_mov_b64 s[0:1], 0
                                        ; implicit-def: $vgpr6
	s_branch .LBB14_1310
.LBB14_1273:
	s_mov_b64 s[0:1], -1
	s_mov_b64 s[10:11], 0
                                        ; implicit-def: $vgpr4
	s_branch .LBB14_1503
.LBB14_1274:
	s_mov_b64 s[18:19], -1
	s_mov_b64 s[16:17], 0
	s_mov_b64 s[0:1], 0
                                        ; implicit-def: $vgpr6
	s_branch .LBB14_1293
.LBB14_1275:
	s_mov_b64 s[16:17], -1
	s_mov_b64 s[10:11], 0
	s_mov_b64 s[0:1], 0
                                        ; implicit-def: $vgpr4
	s_branch .LBB14_1468
.LBB14_1276:
	s_mov_b64 s[18:19], -1
	s_mov_b64 s[16:17], 0
	s_mov_b64 s[0:1], 0
                                        ; implicit-def: $vgpr6
	s_branch .LBB14_1288
.LBB14_1277:
	s_mov_b64 s[16:17], -1
	s_mov_b64 s[10:11], 0
	s_mov_b64 s[0:1], 0
                                        ; implicit-def: $vgpr4
	s_branch .LBB14_1451
.LBB14_1278:
	s_trap 2
	s_or_b64 s[14:15], s[14:15], exec
	s_cbranch_execz .LBB14_1207
	s_branch .LBB14_1208
.LBB14_1279:
	s_mov_b64 s[18:19], -1
	s_mov_b64 s[16:17], 0
	s_mov_b64 s[0:1], 0
                                        ; implicit-def: $vgpr6
	s_branch .LBB14_1282
.LBB14_1280:
	s_mov_b64 s[16:17], -1
	s_mov_b64 s[10:11], 0
	s_mov_b64 s[0:1], 0
                                        ; implicit-def: $vgpr4
	s_branch .LBB14_1446
.LBB14_1281:
	s_mov_b64 s[0:1], -1
                                        ; implicit-def: $vgpr6
	s_mov_b64 s[16:17], 0
.LBB14_1282:
	s_and_b64 vcc, exec, s[18:19]
	s_cbranch_vccz .LBB14_1287
; %bb.1283:
	s_cmp_eq_u32 s20, 44
	s_cbranch_scc0 .LBB14_1286
; %bb.1284:
	global_load_ubyte v1, v[8:9], off
	s_mov_b32 s0, 0x2f800000
	s_mov_b32 s1, 0xcf800000
	s_mov_b64 s[16:17], -1
	s_waitcnt vmcnt(0)
	v_lshlrev_b32_e32 v3, 23, v1
	v_trunc_f32_e32 v3, v3
	v_mul_f32_e64 v5, |v3|, s0
	v_floor_f32_e32 v5, v5
	v_fma_f32 v5, v5, s1, |v3|
	v_cvt_u32_f32_e32 v5, v5
	v_ashrrev_i32_e32 v3, 31, v3
	v_cmp_ne_u32_e32 vcc, 0, v1
	s_mov_b64 s[0:1], 0
	v_xor_b32_e32 v5, v5, v3
	v_sub_u32_e32 v3, v5, v3
	v_cndmask_b32_e32 v6, 0, v3, vcc
	s_branch .LBB14_1287
.LBB14_1285:
	s_mov_b64 s[16:17], -1
	s_mov_b64 s[10:11], 0
	s_mov_b64 s[0:1], 0
                                        ; implicit-def: $vgpr4
	s_branch .LBB14_1441
.LBB14_1286:
	s_mov_b64 s[0:1], -1
                                        ; implicit-def: $vgpr6
.LBB14_1287:
	s_mov_b64 s[18:19], 0
.LBB14_1288:
	s_and_b64 vcc, exec, s[18:19]
	s_cbranch_vccz .LBB14_1292
; %bb.1289:
	s_cmp_eq_u32 s20, 29
	s_cbranch_scc0 .LBB14_1291
; %bb.1290:
	global_load_dwordx2 v[6:7], v[8:9], off
	s_mov_b64 s[0:1], 0
	s_mov_b64 s[16:17], -1
	s_branch .LBB14_1292
.LBB14_1291:
	s_mov_b64 s[0:1], -1
                                        ; implicit-def: $vgpr6
.LBB14_1292:
	s_mov_b64 s[18:19], 0
.LBB14_1293:
	s_and_b64 vcc, exec, s[18:19]
	s_cbranch_vccz .LBB14_1309
; %bb.1294:
	s_cmp_lt_i32 s20, 27
	s_cbranch_scc1 .LBB14_1297
; %bb.1295:
	s_cmp_gt_i32 s20, 27
	s_cbranch_scc0 .LBB14_1298
; %bb.1296:
	global_load_dword v6, v[8:9], off
	s_mov_b64 s[16:17], 0
	s_branch .LBB14_1299
.LBB14_1297:
	s_mov_b64 s[16:17], -1
                                        ; implicit-def: $vgpr6
	s_branch .LBB14_1302
.LBB14_1298:
	s_mov_b64 s[16:17], -1
                                        ; implicit-def: $vgpr6
.LBB14_1299:
	s_andn2_b64 vcc, exec, s[16:17]
	s_cbranch_vccnz .LBB14_1301
; %bb.1300:
	global_load_ushort v6, v[8:9], off
.LBB14_1301:
	s_mov_b64 s[16:17], 0
.LBB14_1302:
	s_andn2_b64 vcc, exec, s[16:17]
	s_cbranch_vccnz .LBB14_1308
; %bb.1303:
	global_load_ubyte v1, v[8:9], off
	s_movk_i32 s16, 0x7f
	s_mov_b64 s[18:19], 0
	s_waitcnt vmcnt(0)
	v_cmp_lt_i16_e32 vcc, s16, v1
	s_and_saveexec_b64 s[16:17], vcc
	s_xor_b64 s[16:17], exec, s[16:17]
	s_cbranch_execz .LBB14_1320
; %bb.1304:
	s_movk_i32 s18, 0x80
	v_cmp_ne_u16_e32 vcc, s18, v1
	s_and_b64 s[18:19], vcc, exec
	s_andn2_saveexec_b64 s[16:17], s[16:17]
	s_cbranch_execnz .LBB14_1321
.LBB14_1305:
	s_or_b64 exec, exec, s[16:17]
	v_mov_b32_e32 v6, 0
	s_and_saveexec_b64 s[16:17], s[18:19]
	s_cbranch_execz .LBB14_1307
.LBB14_1306:
	v_lshlrev_b32_e32 v3, 24, v1
	v_and_b32_e32 v1, 0xffff, v1
	v_and_b32_e32 v5, 7, v1
	v_ffbh_u32_e32 v7, v5
	v_min_u32_e32 v7, 32, v7
	v_subrev_u32_e32 v11, 28, v7
	v_bfe_u32 v6, v1, 3, 4
	v_lshlrev_b32_e32 v1, v11, v1
	v_sub_u32_e32 v7, 29, v7
	v_and_b32_e32 v1, 7, v1
	v_cmp_eq_u32_e32 vcc, 0, v6
	v_and_b32_e32 v3, 0x80000000, v3
	s_mov_b32 s18, 0x2f800000
	v_cndmask_b32_e32 v6, v6, v7, vcc
	v_cndmask_b32_e32 v1, v5, v1, vcc
	v_mov_b32_e32 v5, 0x3b800000
	v_lshlrev_b32_e32 v1, 20, v1
	v_lshl_add_u32 v5, v6, 23, v5
	v_or3_b32 v1, v3, v5, v1
	v_trunc_f32_e32 v1, v1
	v_mul_f32_e64 v3, |v1|, s18
	v_floor_f32_e32 v3, v3
	s_mov_b32 s18, 0xcf800000
	v_fma_f32 v3, v3, s18, |v1|
	v_cvt_u32_f32_e32 v3, v3
	v_ashrrev_i32_e32 v1, 31, v1
	v_xor_b32_e32 v3, v3, v1
	v_sub_u32_e32 v6, v3, v1
.LBB14_1307:
	s_or_b64 exec, exec, s[16:17]
.LBB14_1308:
	s_mov_b64 s[16:17], -1
.LBB14_1309:
	s_mov_b64 s[18:19], 0
.LBB14_1310:
	s_and_b64 vcc, exec, s[18:19]
	s_cbranch_vccz .LBB14_1341
; %bb.1311:
	s_cmp_gt_i32 s20, 22
	s_cbranch_scc0 .LBB14_1319
; %bb.1312:
	s_cmp_lt_i32 s20, 24
	s_cbranch_scc1 .LBB14_1322
; %bb.1313:
	s_cmp_gt_i32 s20, 24
	s_cbranch_scc0 .LBB14_1323
; %bb.1314:
	global_load_ubyte v1, v[8:9], off
	s_movk_i32 s10, 0x7f
	s_mov_b64 s[16:17], 0
	s_waitcnt vmcnt(0)
	v_cmp_lt_i16_e32 vcc, s10, v1
	s_and_saveexec_b64 s[10:11], vcc
	s_xor_b64 s[10:11], exec, s[10:11]
	s_cbranch_execz .LBB14_1335
; %bb.1315:
	s_movk_i32 s16, 0x80
	v_cmp_ne_u16_e32 vcc, s16, v1
	s_and_b64 s[16:17], vcc, exec
	s_andn2_saveexec_b64 s[10:11], s[10:11]
	s_cbranch_execnz .LBB14_1336
.LBB14_1316:
	s_or_b64 exec, exec, s[10:11]
	v_mov_b32_e32 v6, 0
	s_and_saveexec_b64 s[10:11], s[16:17]
	s_cbranch_execz .LBB14_1318
.LBB14_1317:
	v_lshlrev_b32_e32 v3, 24, v1
	v_and_b32_e32 v1, 0xffff, v1
	v_and_b32_e32 v5, 3, v1
	v_ffbh_u32_e32 v7, v5
	v_min_u32_e32 v7, 32, v7
	v_subrev_u32_e32 v11, 29, v7
	v_bfe_u32 v6, v1, 2, 5
	v_lshlrev_b32_e32 v1, v11, v1
	v_sub_u32_e32 v7, 30, v7
	v_and_b32_e32 v1, 3, v1
	v_cmp_eq_u32_e32 vcc, 0, v6
	v_and_b32_e32 v3, 0x80000000, v3
	s_mov_b32 s16, 0x2f800000
	v_cndmask_b32_e32 v6, v6, v7, vcc
	v_cndmask_b32_e32 v1, v5, v1, vcc
	v_mov_b32_e32 v5, 0x37800000
	v_lshlrev_b32_e32 v1, 21, v1
	v_lshl_add_u32 v5, v6, 23, v5
	v_or3_b32 v1, v3, v5, v1
	v_trunc_f32_e32 v1, v1
	v_mul_f32_e64 v3, |v1|, s16
	v_floor_f32_e32 v3, v3
	s_mov_b32 s16, 0xcf800000
	v_fma_f32 v3, v3, s16, |v1|
	v_cvt_u32_f32_e32 v3, v3
	v_ashrrev_i32_e32 v1, 31, v1
	v_xor_b32_e32 v3, v3, v1
	v_sub_u32_e32 v6, v3, v1
.LBB14_1318:
	s_or_b64 exec, exec, s[10:11]
	s_mov_b64 s[10:11], 0
	s_branch .LBB14_1324
.LBB14_1319:
	s_mov_b64 s[10:11], -1
                                        ; implicit-def: $vgpr6
	s_branch .LBB14_1330
.LBB14_1320:
	s_andn2_saveexec_b64 s[16:17], s[16:17]
	s_cbranch_execz .LBB14_1305
.LBB14_1321:
	v_cmp_ne_u16_e32 vcc, 0, v1
	s_andn2_b64 s[18:19], s[18:19], exec
	s_and_b64 s[22:23], vcc, exec
	s_or_b64 s[18:19], s[18:19], s[22:23]
	s_or_b64 exec, exec, s[16:17]
	v_mov_b32_e32 v6, 0
	s_and_saveexec_b64 s[16:17], s[18:19]
	s_cbranch_execnz .LBB14_1306
	s_branch .LBB14_1307
.LBB14_1322:
	s_mov_b64 s[10:11], -1
                                        ; implicit-def: $vgpr6
	s_branch .LBB14_1327
.LBB14_1323:
	s_mov_b64 s[10:11], -1
                                        ; implicit-def: $vgpr6
.LBB14_1324:
	s_and_b64 vcc, exec, s[10:11]
	s_cbranch_vccz .LBB14_1326
; %bb.1325:
	global_load_ubyte v1, v[8:9], off
	s_mov_b32 s10, 0x7f800000
	s_brev_b32 s11, 1
	s_mov_b32 s16, 0x2f800000
	s_waitcnt vmcnt(0)
	v_lshlrev_b32_e32 v1, 24, v1
	v_and_b32_e32 v3, 0x7f000000, v1
	v_ffbh_u32_e32 v5, v3
	v_min_u32_e32 v5, 32, v5
	v_sub_u32_e64 v5, v5, 4 clamp
	v_lshlrev_b32_e32 v7, v5, v3
	v_lshlrev_b32_e32 v5, 23, v5
	v_lshrrev_b32_e32 v7, 4, v7
	v_add_u32_e32 v6, 0x1000000, v3
	v_sub_u32_e32 v5, v7, v5
	v_ashrrev_i32_e32 v6, 8, v6
	v_add_u32_e32 v5, 0x3c000000, v5
	v_and_or_b32 v5, v6, s10, v5
	v_cmp_ne_u32_e32 vcc, 0, v3
	s_mov_b32 s10, 0xcf800000
	s_nop 0
	v_cndmask_b32_e32 v3, 0, v5, vcc
	v_and_or_b32 v1, v1, s11, v3
	v_trunc_f32_e32 v1, v1
	v_mul_f32_e64 v3, |v1|, s16
	v_floor_f32_e32 v3, v3
	v_fma_f32 v3, v3, s10, |v1|
	v_cvt_u32_f32_e32 v3, v3
	v_ashrrev_i32_e32 v1, 31, v1
	v_xor_b32_e32 v3, v3, v1
	v_sub_u32_e32 v6, v3, v1
.LBB14_1326:
	s_mov_b64 s[10:11], 0
.LBB14_1327:
	s_andn2_b64 vcc, exec, s[10:11]
	s_cbranch_vccnz .LBB14_1329
; %bb.1328:
	global_load_ubyte v1, v[8:9], off
	s_movk_i32 s10, 0x7f00
	s_brev_b32 s11, 16
	s_brev_b32 s16, 1
	s_mov_b32 s17, 0x2f800000
	s_waitcnt vmcnt(0)
	v_lshlrev_b16_e32 v3, 8, v1
	v_lshlrev_b32_e32 v1, 25, v1
	v_lshrrev_b32_e32 v5, 4, v1
	v_and_or_b32 v6, v3, s10, 0.5
	v_or_b32_e32 v5, 0x70000000, v5
	v_add_f32_e32 v6, -0.5, v6
	v_mul_f32_e32 v5, 0x7800000, v5
	v_cmp_gt_u32_e32 vcc, s11, v1
	v_bfe_i32 v3, v3, 0, 16
	s_mov_b32 s10, 0xcf800000
	v_cndmask_b32_e32 v1, v5, v6, vcc
	v_and_or_b32 v1, v3, s16, v1
	v_trunc_f32_e32 v1, v1
	v_mul_f32_e64 v3, |v1|, s17
	v_floor_f32_e32 v3, v3
	v_fma_f32 v3, v3, s10, |v1|
	v_cvt_u32_f32_e32 v3, v3
	v_ashrrev_i32_e32 v1, 31, v1
	v_xor_b32_e32 v3, v3, v1
	v_sub_u32_e32 v6, v3, v1
.LBB14_1329:
	s_mov_b64 s[10:11], 0
	s_mov_b64 s[16:17], -1
.LBB14_1330:
	s_andn2_b64 vcc, exec, s[10:11]
	s_mov_b64 s[10:11], 0
	s_cbranch_vccnz .LBB14_1341
; %bb.1331:
	s_cmp_gt_i32 s20, 14
	s_cbranch_scc0 .LBB14_1334
; %bb.1332:
	s_cmp_eq_u32 s20, 15
	s_cbranch_scc0 .LBB14_1337
; %bb.1333:
	global_load_ushort v1, v[8:9], off
	s_mov_b32 s0, 0x2f800000
	s_mov_b32 s1, 0xcf800000
	s_mov_b64 s[16:17], -1
	s_waitcnt vmcnt(0)
	v_lshlrev_b32_e32 v1, 16, v1
	v_trunc_f32_e32 v1, v1
	v_mul_f32_e64 v3, |v1|, s0
	v_floor_f32_e32 v3, v3
	v_fma_f32 v3, v3, s1, |v1|
	v_cvt_u32_f32_e32 v3, v3
	v_ashrrev_i32_e32 v1, 31, v1
	s_mov_b64 s[0:1], 0
	v_xor_b32_e32 v3, v3, v1
	v_sub_u32_e32 v6, v3, v1
	s_branch .LBB14_1338
.LBB14_1334:
	s_mov_b64 s[18:19], -1
                                        ; implicit-def: $vgpr6
	s_branch .LBB14_1339
.LBB14_1335:
	s_andn2_saveexec_b64 s[10:11], s[10:11]
	s_cbranch_execz .LBB14_1316
.LBB14_1336:
	v_cmp_ne_u16_e32 vcc, 0, v1
	s_andn2_b64 s[16:17], s[16:17], exec
	s_and_b64 s[18:19], vcc, exec
	s_or_b64 s[16:17], s[16:17], s[18:19]
	s_or_b64 exec, exec, s[10:11]
	v_mov_b32_e32 v6, 0
	s_and_saveexec_b64 s[10:11], s[16:17]
	s_cbranch_execnz .LBB14_1317
	s_branch .LBB14_1318
.LBB14_1337:
	s_mov_b64 s[0:1], -1
                                        ; implicit-def: $vgpr6
.LBB14_1338:
	s_mov_b64 s[18:19], 0
.LBB14_1339:
	s_and_b64 vcc, exec, s[18:19]
	s_cbranch_vccz .LBB14_1341
; %bb.1340:
	s_cmp_lg_u32 s20, 11
	s_mov_b64 s[10:11], -1
	s_cselect_b64 s[0:1], -1, 0
.LBB14_1341:
	s_and_b64 vcc, exec, s[0:1]
	s_cbranch_vccnz .LBB14_1439
; %bb.1342:
	s_andn2_b64 vcc, exec, s[10:11]
	s_cbranch_vccnz .LBB14_1344
.LBB14_1343:
	global_load_ubyte v1, v[8:9], off
	s_mov_b64 s[16:17], -1
	s_waitcnt vmcnt(0)
	v_cmp_ne_u16_e32 vcc, 0, v1
	s_nop 1
	v_cndmask_b32_e64 v6, 0, 1, vcc
.LBB14_1344:
	s_branch .LBB14_1264
.LBB14_1345:
	s_cmp_lt_i32 s20, 5
	s_cbranch_scc1 .LBB14_1350
; %bb.1346:
	s_cmp_lt_i32 s20, 8
	s_cbranch_scc1 .LBB14_1351
; %bb.1347:
	;; [unrolled: 3-line block ×3, first 2 shown]
	s_cmp_gt_i32 s20, 9
	s_cbranch_scc0 .LBB14_1353
; %bb.1349:
	global_load_dwordx2 v[6:7], v[8:9], off
	s_movk_i32 s0, 0xffe0
	s_waitcnt vmcnt(0)
	v_trunc_f64_e32 v[6:7], v[6:7]
	v_ldexp_f64 v[12:13], v[6:7], s0
	v_floor_f64_e32 v[12:13], v[12:13]
	v_fmac_f64_e32 v[6:7], 0xc1f00000, v[12:13]
	v_cvt_u32_f64_e32 v6, v[6:7]
	s_mov_b64 s[0:1], 0
	s_branch .LBB14_1354
.LBB14_1350:
	s_mov_b64 s[0:1], -1
                                        ; implicit-def: $vgpr6
	s_branch .LBB14_1372
.LBB14_1351:
	s_mov_b64 s[0:1], -1
                                        ; implicit-def: $vgpr6
	s_branch .LBB14_1360
.LBB14_1352:
	s_mov_b64 s[0:1], -1
                                        ; implicit-def: $vgpr6
	s_branch .LBB14_1357
.LBB14_1353:
	s_mov_b64 s[0:1], -1
                                        ; implicit-def: $vgpr6
.LBB14_1354:
	s_andn2_b64 vcc, exec, s[0:1]
	s_cbranch_vccnz .LBB14_1356
; %bb.1355:
	global_load_dword v1, v[8:9], off
	s_mov_b32 s0, 0x2f800000
	s_waitcnt vmcnt(0)
	v_trunc_f32_e32 v1, v1
	v_mul_f32_e64 v3, |v1|, s0
	v_floor_f32_e32 v3, v3
	s_mov_b32 s0, 0xcf800000
	v_fma_f32 v3, v3, s0, |v1|
	v_cvt_u32_f32_e32 v3, v3
	v_ashrrev_i32_e32 v1, 31, v1
	v_xor_b32_e32 v3, v3, v1
	v_sub_u32_e32 v6, v3, v1
.LBB14_1356:
	s_mov_b64 s[0:1], 0
.LBB14_1357:
	s_andn2_b64 vcc, exec, s[0:1]
	s_cbranch_vccnz .LBB14_1359
; %bb.1358:
	global_load_dword v1, v[8:9], off
	s_waitcnt vmcnt(0)
	v_cvt_f32_f16_e32 v1, v1
	v_cvt_i32_f32_e32 v6, v1
.LBB14_1359:
	s_mov_b64 s[0:1], 0
.LBB14_1360:
	s_andn2_b64 vcc, exec, s[0:1]
	s_cbranch_vccnz .LBB14_1371
; %bb.1361:
	s_cmp_lt_i32 s20, 6
	s_cbranch_scc1 .LBB14_1364
; %bb.1362:
	s_cmp_gt_i32 s20, 6
	s_cbranch_scc0 .LBB14_1365
; %bb.1363:
	global_load_dwordx2 v[6:7], v[8:9], off
	s_movk_i32 s0, 0xffe0
	s_waitcnt vmcnt(0)
	v_trunc_f64_e32 v[6:7], v[6:7]
	v_ldexp_f64 v[12:13], v[6:7], s0
	v_floor_f64_e32 v[12:13], v[12:13]
	v_fmac_f64_e32 v[6:7], 0xc1f00000, v[12:13]
	v_cvt_u32_f64_e32 v6, v[6:7]
	s_mov_b64 s[0:1], 0
	s_branch .LBB14_1366
.LBB14_1364:
	s_mov_b64 s[0:1], -1
                                        ; implicit-def: $vgpr6
	s_branch .LBB14_1369
.LBB14_1365:
	s_mov_b64 s[0:1], -1
                                        ; implicit-def: $vgpr6
.LBB14_1366:
	s_andn2_b64 vcc, exec, s[0:1]
	s_cbranch_vccnz .LBB14_1368
; %bb.1367:
	global_load_dword v1, v[8:9], off
	s_mov_b32 s0, 0x2f800000
	s_waitcnt vmcnt(0)
	v_trunc_f32_e32 v1, v1
	v_mul_f32_e64 v3, |v1|, s0
	v_floor_f32_e32 v3, v3
	s_mov_b32 s0, 0xcf800000
	v_fma_f32 v3, v3, s0, |v1|
	v_cvt_u32_f32_e32 v3, v3
	v_ashrrev_i32_e32 v1, 31, v1
	v_xor_b32_e32 v3, v3, v1
	v_sub_u32_e32 v6, v3, v1
.LBB14_1368:
	s_mov_b64 s[0:1], 0
.LBB14_1369:
	s_andn2_b64 vcc, exec, s[0:1]
	s_cbranch_vccnz .LBB14_1371
; %bb.1370:
	global_load_ushort v1, v[8:9], off
	s_waitcnt vmcnt(0)
	v_cvt_f32_f16_e32 v1, v1
	v_cvt_i32_f32_e32 v6, v1
.LBB14_1371:
	s_mov_b64 s[0:1], 0
.LBB14_1372:
	s_andn2_b64 vcc, exec, s[0:1]
	s_cbranch_vccnz .LBB14_1392
; %bb.1373:
	s_cmp_lt_i32 s20, 2
	s_cbranch_scc1 .LBB14_1377
; %bb.1374:
	s_cmp_lt_i32 s20, 3
	s_cbranch_scc1 .LBB14_1378
; %bb.1375:
	s_cmp_gt_i32 s20, 3
	s_cbranch_scc0 .LBB14_1379
; %bb.1376:
	global_load_dwordx2 v[6:7], v[8:9], off
	s_mov_b64 s[0:1], 0
	s_branch .LBB14_1380
.LBB14_1377:
	s_mov_b64 s[0:1], -1
                                        ; implicit-def: $vgpr6
	s_branch .LBB14_1386
.LBB14_1378:
	s_mov_b64 s[0:1], -1
                                        ; implicit-def: $vgpr6
	s_branch .LBB14_1383
.LBB14_1379:
	s_mov_b64 s[0:1], -1
                                        ; implicit-def: $vgpr6
.LBB14_1380:
	s_andn2_b64 vcc, exec, s[0:1]
	s_cbranch_vccnz .LBB14_1382
; %bb.1381:
	global_load_dword v6, v[8:9], off
.LBB14_1382:
	s_mov_b64 s[0:1], 0
.LBB14_1383:
	s_andn2_b64 vcc, exec, s[0:1]
	s_cbranch_vccnz .LBB14_1385
; %bb.1384:
	global_load_ushort v6, v[8:9], off
.LBB14_1385:
	s_mov_b64 s[0:1], 0
.LBB14_1386:
	s_andn2_b64 vcc, exec, s[0:1]
	s_cbranch_vccnz .LBB14_1392
; %bb.1387:
	s_cmp_gt_i32 s20, 0
	s_cbranch_scc0 .LBB14_1389
; %bb.1388:
	global_load_ubyte v6, v[8:9], off
	s_mov_b64 s[0:1], 0
	s_branch .LBB14_1390
.LBB14_1389:
	s_mov_b64 s[0:1], -1
                                        ; implicit-def: $vgpr6
.LBB14_1390:
	s_andn2_b64 vcc, exec, s[0:1]
	s_cbranch_vccnz .LBB14_1392
; %bb.1391:
	global_load_ubyte v6, v[8:9], off
.LBB14_1392:
	s_branch .LBB14_1265
.LBB14_1393:
	s_mov_b64 s[0:1], 0
                                        ; implicit-def: $sgpr20
                                        ; implicit-def: $vgpr0_vgpr1
                                        ; implicit-def: $vgpr2
                                        ; implicit-def: $vgpr4
.LBB14_1394:
	s_mov_b64 s[4:5], 0
.LBB14_1395:
	s_and_b64 s[10:11], s[4:5], exec
	s_andn2_b64 s[4:5], s[12:13], exec
	s_and_b64 s[6:7], s[14:15], exec
	s_and_b64 s[0:1], s[0:1], exec
	s_or_b64 s[12:13], s[4:5], s[6:7]
.LBB14_1396:
	s_or_b64 exec, exec, s[2:3]
	s_and_saveexec_b64 s[2:3], s[12:13]
	s_cbranch_execz .LBB14_1399
; %bb.1397:
	; divergent unreachable
	s_or_b64 exec, exec, s[2:3]
	s_and_saveexec_b64 s[2:3], s[10:11]
	s_xor_b64 s[2:3], exec, s[2:3]
	s_cbranch_execnz .LBB14_1400
.LBB14_1398:
	s_or_b64 exec, exec, s[2:3]
	s_and_saveexec_b64 s[2:3], s[0:1]
	s_cbranch_execnz .LBB14_1401
	s_branch .LBB14_1438
.LBB14_1399:
	s_or_b64 exec, exec, s[2:3]
	s_and_saveexec_b64 s[2:3], s[10:11]
	s_xor_b64 s[2:3], exec, s[2:3]
	s_cbranch_execz .LBB14_1398
.LBB14_1400:
	s_movk_i32 s4, 0xff
	s_waitcnt vmcnt(0)
	v_cmp_ne_u16_sdwa s[4:5], v4, s4 src0_sel:BYTE_0 src1_sel:DWORD
	s_nop 1
	v_cndmask_b32_e64 v3, 0, 1, s[4:5]
	global_store_byte v[0:1], v3, off
	s_or_b64 exec, exec, s[2:3]
	s_and_saveexec_b64 s[2:3], s[0:1]
	s_cbranch_execz .LBB14_1438
.LBB14_1401:
	s_sext_i32_i16 s2, s20
	s_cmp_lt_i32 s2, 5
	s_mov_b64 s[0:1], -1
	s_cbranch_scc1 .LBB14_1422
; %bb.1402:
	s_cmp_lt_i32 s2, 8
	s_cbranch_scc1 .LBB14_1412
; %bb.1403:
	s_cmp_lt_i32 s2, 9
	s_cbranch_scc1 .LBB14_1409
; %bb.1404:
	s_cmp_gt_i32 s2, 9
	s_cbranch_scc0 .LBB14_1406
; %bb.1405:
	s_mov_b32 s0, 0xffff
	s_waitcnt vmcnt(0)
	v_and_b32_sdwa v3, s0, v2 dst_sel:DWORD dst_unused:UNUSED_PAD src0_sel:DWORD src1_sel:BYTE_0
	v_mov_b32_e32 v6, 0
	v_cvt_f64_u32_e32 v[4:5], v3
	v_mov_b32_e32 v7, v6
	global_store_dwordx4 v[0:1], v[4:7], off
	s_mov_b64 s[0:1], 0
.LBB14_1406:
	s_andn2_b64 vcc, exec, s[0:1]
	s_cbranch_vccnz .LBB14_1408
; %bb.1407:
	s_waitcnt vmcnt(0)
	v_cvt_f32_ubyte0_e32 v4, v2
	v_mov_b32_e32 v5, 0
	global_store_dwordx2 v[0:1], v[4:5], off
.LBB14_1408:
	s_mov_b64 s[0:1], 0
.LBB14_1409:
	s_andn2_b64 vcc, exec, s[0:1]
	s_cbranch_vccnz .LBB14_1411
; %bb.1410:
	s_waitcnt vmcnt(0)
	v_cvt_f16_u16_sdwa v3, v2 dst_sel:DWORD dst_unused:UNUSED_PAD src0_sel:BYTE_0
	global_store_dword v[0:1], v3, off
.LBB14_1411:
	s_mov_b64 s[0:1], 0
.LBB14_1412:
	s_andn2_b64 vcc, exec, s[0:1]
	s_cbranch_vccnz .LBB14_1421
; %bb.1413:
	s_sext_i32_i16 s2, s20
	s_cmp_lt_i32 s2, 6
	s_mov_b64 s[0:1], -1
	s_cbranch_scc1 .LBB14_1419
; %bb.1414:
	s_cmp_gt_i32 s2, 6
	s_cbranch_scc0 .LBB14_1416
; %bb.1415:
	s_mov_b32 s0, 0xffff
	s_waitcnt vmcnt(0)
	v_and_b32_sdwa v3, s0, v2 dst_sel:DWORD dst_unused:UNUSED_PAD src0_sel:DWORD src1_sel:BYTE_0
	v_cvt_f64_u32_e32 v[4:5], v3
	global_store_dwordx2 v[0:1], v[4:5], off
	s_mov_b64 s[0:1], 0
.LBB14_1416:
	s_andn2_b64 vcc, exec, s[0:1]
	s_cbranch_vccnz .LBB14_1418
; %bb.1417:
	s_waitcnt vmcnt(0)
	v_cvt_f32_ubyte0_e32 v3, v2
	global_store_dword v[0:1], v3, off
.LBB14_1418:
	s_mov_b64 s[0:1], 0
.LBB14_1419:
	s_andn2_b64 vcc, exec, s[0:1]
	s_cbranch_vccnz .LBB14_1421
; %bb.1420:
	s_waitcnt vmcnt(0)
	v_cvt_f16_u16_sdwa v3, v2 dst_sel:DWORD dst_unused:UNUSED_PAD src0_sel:BYTE_0
	global_store_short v[0:1], v3, off
.LBB14_1421:
	s_mov_b64 s[0:1], 0
.LBB14_1422:
	s_andn2_b64 vcc, exec, s[0:1]
	s_cbranch_vccnz .LBB14_1438
; %bb.1423:
	s_sext_i32_i16 s2, s20
	s_cmp_lt_i32 s2, 2
	s_mov_b64 s[0:1], -1
	s_cbranch_scc1 .LBB14_1433
; %bb.1424:
	s_cmp_lt_i32 s2, 3
	s_cbranch_scc1 .LBB14_1430
; %bb.1425:
	s_cmp_gt_i32 s2, 3
	s_cbranch_scc0 .LBB14_1427
; %bb.1426:
	s_waitcnt vmcnt(0)
	v_and_b32_e32 v4, 0xff, v2
	v_mov_b32_e32 v5, 0
	global_store_dwordx2 v[0:1], v[4:5], off
	s_mov_b64 s[0:1], 0
.LBB14_1427:
	s_andn2_b64 vcc, exec, s[0:1]
	s_cbranch_vccnz .LBB14_1429
; %bb.1428:
	s_waitcnt vmcnt(0)
	v_and_b32_e32 v3, 0xff, v2
	global_store_dword v[0:1], v3, off
.LBB14_1429:
	s_mov_b64 s[0:1], 0
.LBB14_1430:
	s_andn2_b64 vcc, exec, s[0:1]
	s_cbranch_vccnz .LBB14_1432
; %bb.1431:
	s_waitcnt vmcnt(0)
	v_and_b32_e32 v3, 0xff, v2
	global_store_short v[0:1], v3, off
.LBB14_1432:
	s_mov_b64 s[0:1], 0
.LBB14_1433:
	s_andn2_b64 vcc, exec, s[0:1]
	s_cbranch_vccnz .LBB14_1438
; %bb.1434:
	s_sext_i32_i16 s0, s20
	s_cmp_gt_i32 s0, 0
	s_mov_b64 s[0:1], -1
	s_cbranch_scc0 .LBB14_1436
; %bb.1435:
	s_waitcnt vmcnt(0)
	global_store_byte v[0:1], v2, off
	s_mov_b64 s[0:1], 0
.LBB14_1436:
	s_andn2_b64 vcc, exec, s[0:1]
	s_cbranch_vccnz .LBB14_1438
; %bb.1437:
	s_waitcnt vmcnt(0)
	global_store_byte v[0:1], v2, off
	s_endpgm
.LBB14_1438:
	s_endpgm
.LBB14_1439:
	s_trap 2
	s_or_b64 s[14:15], s[14:15], exec
	s_cbranch_execz .LBB14_1343
	s_branch .LBB14_1344
.LBB14_1440:
	s_mov_b64 s[0:1], -1
                                        ; implicit-def: $vgpr4
	s_mov_b64 s[10:11], 0
.LBB14_1441:
	s_and_b64 vcc, exec, s[16:17]
	s_cbranch_vccz .LBB14_1445
; %bb.1442:
	s_cmp_eq_u32 s20, 44
	s_cbranch_scc0 .LBB14_1444
; %bb.1443:
	global_load_ubyte v1, v[8:9], off
	s_mov_b32 s0, 0x2f800000
	s_mov_b32 s1, 0xcf800000
	s_mov_b64 s[10:11], -1
	s_waitcnt vmcnt(0)
	v_lshlrev_b32_e32 v3, 23, v1
	v_trunc_f32_e32 v3, v3
	v_mul_f32_e64 v4, |v3|, s0
	v_floor_f32_e32 v4, v4
	v_fma_f32 v4, v4, s1, |v3|
	v_cvt_u32_f32_e32 v4, v4
	v_ashrrev_i32_e32 v3, 31, v3
	v_cmp_ne_u32_e32 vcc, 0, v1
	s_mov_b64 s[0:1], 0
	v_xor_b32_e32 v4, v4, v3
	v_sub_u32_e32 v3, v4, v3
	v_cndmask_b32_e32 v4, 0, v3, vcc
	s_branch .LBB14_1445
.LBB14_1444:
	s_mov_b64 s[0:1], -1
                                        ; implicit-def: $vgpr4
.LBB14_1445:
	s_mov_b64 s[16:17], 0
.LBB14_1446:
	s_and_b64 vcc, exec, s[16:17]
	s_cbranch_vccz .LBB14_1450
; %bb.1447:
	s_cmp_eq_u32 s20, 29
	s_cbranch_scc0 .LBB14_1449
; %bb.1448:
	global_load_dwordx2 v[4:5], v[8:9], off
	s_mov_b64 s[0:1], 0
	s_mov_b64 s[10:11], -1
	s_branch .LBB14_1450
.LBB14_1449:
	s_mov_b64 s[0:1], -1
                                        ; implicit-def: $vgpr4
.LBB14_1450:
	s_mov_b64 s[16:17], 0
.LBB14_1451:
	s_and_b64 vcc, exec, s[16:17]
	s_cbranch_vccz .LBB14_1467
; %bb.1452:
	s_cmp_lt_i32 s20, 27
	s_cbranch_scc1 .LBB14_1455
; %bb.1453:
	s_cmp_gt_i32 s20, 27
	s_cbranch_scc0 .LBB14_1456
; %bb.1454:
	global_load_dword v4, v[8:9], off
	s_mov_b64 s[10:11], 0
	s_branch .LBB14_1457
.LBB14_1455:
	s_mov_b64 s[10:11], -1
                                        ; implicit-def: $vgpr4
	s_branch .LBB14_1460
.LBB14_1456:
	s_mov_b64 s[10:11], -1
                                        ; implicit-def: $vgpr4
.LBB14_1457:
	s_andn2_b64 vcc, exec, s[10:11]
	s_cbranch_vccnz .LBB14_1459
; %bb.1458:
	global_load_ushort v4, v[8:9], off
.LBB14_1459:
	s_mov_b64 s[10:11], 0
.LBB14_1460:
	s_andn2_b64 vcc, exec, s[10:11]
	s_cbranch_vccnz .LBB14_1466
; %bb.1461:
	global_load_ubyte v1, v[8:9], off
	s_movk_i32 s9, 0x7f
	s_mov_b64 s[16:17], 0
	s_waitcnt vmcnt(0)
	v_cmp_lt_i16_e32 vcc, s9, v1
	s_and_saveexec_b64 s[10:11], vcc
	s_xor_b64 s[10:11], exec, s[10:11]
	s_cbranch_execz .LBB14_1478
; %bb.1462:
	s_movk_i32 s9, 0x80
	v_cmp_ne_u16_e32 vcc, s9, v1
	s_and_b64 s[16:17], vcc, exec
	s_andn2_saveexec_b64 s[10:11], s[10:11]
	s_cbranch_execnz .LBB14_1479
.LBB14_1463:
	s_or_b64 exec, exec, s[10:11]
	v_mov_b32_e32 v4, 0
	s_and_saveexec_b64 s[10:11], s[16:17]
	s_cbranch_execz .LBB14_1465
.LBB14_1464:
	v_lshlrev_b32_e32 v3, 24, v1
	v_and_b32_e32 v1, 0xffff, v1
	v_and_b32_e32 v4, 7, v1
	v_ffbh_u32_e32 v7, v4
	v_min_u32_e32 v7, 32, v7
	v_subrev_u32_e32 v11, 28, v7
	v_bfe_u32 v5, v1, 3, 4
	v_lshlrev_b32_e32 v1, v11, v1
	v_sub_u32_e32 v7, 29, v7
	v_and_b32_e32 v1, 7, v1
	v_cmp_eq_u32_e32 vcc, 0, v5
	v_and_b32_e32 v3, 0x80000000, v3
	s_mov_b32 s9, 0x2f800000
	v_cndmask_b32_e32 v5, v5, v7, vcc
	v_cndmask_b32_e32 v1, v4, v1, vcc
	v_mov_b32_e32 v4, 0x3b800000
	v_lshlrev_b32_e32 v1, 20, v1
	v_lshl_add_u32 v4, v5, 23, v4
	v_or3_b32 v1, v3, v4, v1
	v_trunc_f32_e32 v1, v1
	v_mul_f32_e64 v3, |v1|, s9
	v_floor_f32_e32 v3, v3
	s_mov_b32 s9, 0xcf800000
	v_fma_f32 v3, v3, s9, |v1|
	v_cvt_u32_f32_e32 v3, v3
	v_ashrrev_i32_e32 v1, 31, v1
	v_xor_b32_e32 v3, v3, v1
	v_sub_u32_e32 v4, v3, v1
.LBB14_1465:
	s_or_b64 exec, exec, s[10:11]
.LBB14_1466:
	s_mov_b64 s[10:11], -1
.LBB14_1467:
	s_mov_b64 s[16:17], 0
.LBB14_1468:
	s_and_b64 vcc, exec, s[16:17]
	s_cbranch_vccz .LBB14_1499
; %bb.1469:
	s_cmp_gt_i32 s20, 22
	s_cbranch_scc0 .LBB14_1477
; %bb.1470:
	s_cmp_lt_i32 s20, 24
	s_cbranch_scc1 .LBB14_1480
; %bb.1471:
	s_cmp_gt_i32 s20, 24
	s_cbranch_scc0 .LBB14_1481
; %bb.1472:
	global_load_ubyte v1, v[8:9], off
	s_movk_i32 s6, 0x7f
	s_mov_b64 s[10:11], 0
	s_waitcnt vmcnt(0)
	v_cmp_lt_i16_e32 vcc, s6, v1
	s_and_saveexec_b64 s[6:7], vcc
	s_xor_b64 s[6:7], exec, s[6:7]
	s_cbranch_execz .LBB14_1493
; %bb.1473:
	s_movk_i32 s9, 0x80
	v_cmp_ne_u16_e32 vcc, s9, v1
	s_and_b64 s[10:11], vcc, exec
	s_andn2_saveexec_b64 s[6:7], s[6:7]
	s_cbranch_execnz .LBB14_1494
.LBB14_1474:
	s_or_b64 exec, exec, s[6:7]
	v_mov_b32_e32 v4, 0
	s_and_saveexec_b64 s[6:7], s[10:11]
	s_cbranch_execz .LBB14_1476
.LBB14_1475:
	v_lshlrev_b32_e32 v3, 24, v1
	v_and_b32_e32 v1, 0xffff, v1
	v_and_b32_e32 v4, 3, v1
	v_ffbh_u32_e32 v7, v4
	v_min_u32_e32 v7, 32, v7
	v_subrev_u32_e32 v11, 29, v7
	v_bfe_u32 v5, v1, 2, 5
	v_lshlrev_b32_e32 v1, v11, v1
	v_sub_u32_e32 v7, 30, v7
	v_and_b32_e32 v1, 3, v1
	v_cmp_eq_u32_e32 vcc, 0, v5
	v_and_b32_e32 v3, 0x80000000, v3
	s_mov_b32 s9, 0x2f800000
	v_cndmask_b32_e32 v5, v5, v7, vcc
	v_cndmask_b32_e32 v1, v4, v1, vcc
	v_mov_b32_e32 v4, 0x37800000
	v_lshlrev_b32_e32 v1, 21, v1
	v_lshl_add_u32 v4, v5, 23, v4
	v_or3_b32 v1, v3, v4, v1
	v_trunc_f32_e32 v1, v1
	v_mul_f32_e64 v3, |v1|, s9
	v_floor_f32_e32 v3, v3
	s_mov_b32 s9, 0xcf800000
	v_fma_f32 v3, v3, s9, |v1|
	v_cvt_u32_f32_e32 v3, v3
	v_ashrrev_i32_e32 v1, 31, v1
	v_xor_b32_e32 v3, v3, v1
	v_sub_u32_e32 v4, v3, v1
.LBB14_1476:
	s_or_b64 exec, exec, s[6:7]
	s_mov_b64 s[6:7], 0
	s_branch .LBB14_1482
.LBB14_1477:
	s_mov_b64 s[6:7], -1
                                        ; implicit-def: $vgpr4
	s_branch .LBB14_1488
.LBB14_1478:
	s_andn2_saveexec_b64 s[10:11], s[10:11]
	s_cbranch_execz .LBB14_1463
.LBB14_1479:
	v_cmp_ne_u16_e32 vcc, 0, v1
	s_andn2_b64 s[16:17], s[16:17], exec
	s_and_b64 s[18:19], vcc, exec
	s_or_b64 s[16:17], s[16:17], s[18:19]
	s_or_b64 exec, exec, s[10:11]
	v_mov_b32_e32 v4, 0
	s_and_saveexec_b64 s[10:11], s[16:17]
	s_cbranch_execnz .LBB14_1464
	s_branch .LBB14_1465
.LBB14_1480:
	s_mov_b64 s[6:7], -1
                                        ; implicit-def: $vgpr4
	s_branch .LBB14_1485
.LBB14_1481:
	s_mov_b64 s[6:7], -1
                                        ; implicit-def: $vgpr4
.LBB14_1482:
	s_and_b64 vcc, exec, s[6:7]
	s_cbranch_vccz .LBB14_1484
; %bb.1483:
	global_load_ubyte v1, v[8:9], off
	s_mov_b32 s6, 0x7f800000
	s_brev_b32 s7, 1
	s_mov_b32 s9, 0x2f800000
	s_waitcnt vmcnt(0)
	v_lshlrev_b32_e32 v1, 24, v1
	v_and_b32_e32 v3, 0x7f000000, v1
	v_ffbh_u32_e32 v4, v3
	v_min_u32_e32 v4, 32, v4
	v_sub_u32_e64 v4, v4, 4 clamp
	v_lshlrev_b32_e32 v7, v4, v3
	v_lshlrev_b32_e32 v4, 23, v4
	v_lshrrev_b32_e32 v7, 4, v7
	v_add_u32_e32 v5, 0x1000000, v3
	v_sub_u32_e32 v4, v7, v4
	v_ashrrev_i32_e32 v5, 8, v5
	v_add_u32_e32 v4, 0x3c000000, v4
	v_and_or_b32 v4, v5, s6, v4
	v_cmp_ne_u32_e32 vcc, 0, v3
	s_mov_b32 s6, 0xcf800000
	s_nop 0
	v_cndmask_b32_e32 v3, 0, v4, vcc
	v_and_or_b32 v1, v1, s7, v3
	v_trunc_f32_e32 v1, v1
	v_mul_f32_e64 v3, |v1|, s9
	v_floor_f32_e32 v3, v3
	v_fma_f32 v3, v3, s6, |v1|
	v_cvt_u32_f32_e32 v3, v3
	v_ashrrev_i32_e32 v1, 31, v1
	v_xor_b32_e32 v3, v3, v1
	v_sub_u32_e32 v4, v3, v1
.LBB14_1484:
	s_mov_b64 s[6:7], 0
.LBB14_1485:
	s_andn2_b64 vcc, exec, s[6:7]
	s_cbranch_vccnz .LBB14_1487
; %bb.1486:
	global_load_ubyte v1, v[8:9], off
	s_movk_i32 s6, 0x7f00
	s_brev_b32 s7, 16
	s_brev_b32 s9, 1
	s_mov_b32 s10, 0x2f800000
	s_waitcnt vmcnt(0)
	v_lshlrev_b16_e32 v3, 8, v1
	v_lshlrev_b32_e32 v1, 25, v1
	v_lshrrev_b32_e32 v4, 4, v1
	v_and_or_b32 v5, v3, s6, 0.5
	v_or_b32_e32 v4, 0x70000000, v4
	v_add_f32_e32 v5, -0.5, v5
	v_mul_f32_e32 v4, 0x7800000, v4
	v_cmp_gt_u32_e32 vcc, s7, v1
	v_bfe_i32 v3, v3, 0, 16
	s_mov_b32 s6, 0xcf800000
	v_cndmask_b32_e32 v1, v4, v5, vcc
	v_and_or_b32 v1, v3, s9, v1
	v_trunc_f32_e32 v1, v1
	v_mul_f32_e64 v3, |v1|, s10
	v_floor_f32_e32 v3, v3
	v_fma_f32 v3, v3, s6, |v1|
	v_cvt_u32_f32_e32 v3, v3
	v_ashrrev_i32_e32 v1, 31, v1
	v_xor_b32_e32 v3, v3, v1
	v_sub_u32_e32 v4, v3, v1
.LBB14_1487:
	s_mov_b64 s[6:7], 0
	s_mov_b64 s[10:11], -1
.LBB14_1488:
	s_andn2_b64 vcc, exec, s[6:7]
	s_mov_b64 s[6:7], 0
	s_cbranch_vccnz .LBB14_1499
; %bb.1489:
	s_cmp_gt_i32 s20, 14
	s_cbranch_scc0 .LBB14_1492
; %bb.1490:
	s_cmp_eq_u32 s20, 15
	s_cbranch_scc0 .LBB14_1495
; %bb.1491:
	global_load_ushort v1, v[8:9], off
	s_mov_b32 s0, 0x2f800000
	s_mov_b32 s1, 0xcf800000
	s_mov_b64 s[10:11], -1
	s_waitcnt vmcnt(0)
	v_lshlrev_b32_e32 v1, 16, v1
	v_trunc_f32_e32 v1, v1
	v_mul_f32_e64 v3, |v1|, s0
	v_floor_f32_e32 v3, v3
	v_fma_f32 v3, v3, s1, |v1|
	v_cvt_u32_f32_e32 v3, v3
	v_ashrrev_i32_e32 v1, 31, v1
	s_mov_b64 s[0:1], 0
	v_xor_b32_e32 v3, v3, v1
	v_sub_u32_e32 v4, v3, v1
	s_branch .LBB14_1496
.LBB14_1492:
	s_mov_b64 s[16:17], -1
                                        ; implicit-def: $vgpr4
	s_branch .LBB14_1497
.LBB14_1493:
	s_andn2_saveexec_b64 s[6:7], s[6:7]
	s_cbranch_execz .LBB14_1474
.LBB14_1494:
	v_cmp_ne_u16_e32 vcc, 0, v1
	s_andn2_b64 s[10:11], s[10:11], exec
	s_and_b64 s[16:17], vcc, exec
	s_or_b64 s[10:11], s[10:11], s[16:17]
	s_or_b64 exec, exec, s[6:7]
	v_mov_b32_e32 v4, 0
	s_and_saveexec_b64 s[6:7], s[10:11]
	s_cbranch_execnz .LBB14_1475
	s_branch .LBB14_1476
.LBB14_1495:
	s_mov_b64 s[0:1], -1
                                        ; implicit-def: $vgpr4
.LBB14_1496:
	s_mov_b64 s[16:17], 0
.LBB14_1497:
	s_and_b64 vcc, exec, s[16:17]
	s_cbranch_vccz .LBB14_1499
; %bb.1498:
	s_cmp_lg_u32 s20, 11
	s_mov_b64 s[6:7], -1
	s_cselect_b64 s[0:1], -1, 0
.LBB14_1499:
	s_and_b64 vcc, exec, s[0:1]
	s_cbranch_vccnz .LBB14_1988
; %bb.1500:
	s_andn2_b64 vcc, exec, s[6:7]
	s_cbranch_vccnz .LBB14_1502
.LBB14_1501:
	global_load_ubyte v1, v[8:9], off
	s_mov_b64 s[10:11], -1
	s_waitcnt vmcnt(0)
	v_cmp_ne_u16_e32 vcc, 0, v1
	s_nop 1
	v_cndmask_b32_e64 v4, 0, 1, vcc
.LBB14_1502:
	s_mov_b64 s[0:1], 0
.LBB14_1503:
	s_and_b64 vcc, exec, s[0:1]
	s_cbranch_vccz .LBB14_1552
; %bb.1504:
	s_cmp_lt_i32 s20, 5
	s_cbranch_scc1 .LBB14_1509
; %bb.1505:
	s_cmp_lt_i32 s20, 8
	s_cbranch_scc1 .LBB14_1510
	;; [unrolled: 3-line block ×3, first 2 shown]
; %bb.1507:
	s_cmp_gt_i32 s20, 9
	s_cbranch_scc0 .LBB14_1512
; %bb.1508:
	global_load_dwordx2 v[4:5], v[8:9], off
	s_movk_i32 s0, 0xffe0
	s_waitcnt vmcnt(0)
	v_trunc_f64_e32 v[4:5], v[4:5]
	v_ldexp_f64 v[12:13], v[4:5], s0
	v_floor_f64_e32 v[12:13], v[12:13]
	v_fmac_f64_e32 v[4:5], 0xc1f00000, v[12:13]
	v_cvt_u32_f64_e32 v4, v[4:5]
	s_mov_b64 s[0:1], 0
	s_branch .LBB14_1513
.LBB14_1509:
	s_mov_b64 s[0:1], -1
                                        ; implicit-def: $vgpr4
	s_branch .LBB14_1531
.LBB14_1510:
	s_mov_b64 s[0:1], -1
                                        ; implicit-def: $vgpr4
	s_branch .LBB14_1519
.LBB14_1511:
	s_mov_b64 s[0:1], -1
                                        ; implicit-def: $vgpr4
	s_branch .LBB14_1516
.LBB14_1512:
	s_mov_b64 s[0:1], -1
                                        ; implicit-def: $vgpr4
.LBB14_1513:
	s_andn2_b64 vcc, exec, s[0:1]
	s_cbranch_vccnz .LBB14_1515
; %bb.1514:
	global_load_dword v1, v[8:9], off
	s_mov_b32 s0, 0x2f800000
	s_waitcnt vmcnt(0)
	v_trunc_f32_e32 v1, v1
	v_mul_f32_e64 v3, |v1|, s0
	v_floor_f32_e32 v3, v3
	s_mov_b32 s0, 0xcf800000
	v_fma_f32 v3, v3, s0, |v1|
	v_cvt_u32_f32_e32 v3, v3
	v_ashrrev_i32_e32 v1, 31, v1
	v_xor_b32_e32 v3, v3, v1
	v_sub_u32_e32 v4, v3, v1
.LBB14_1515:
	s_mov_b64 s[0:1], 0
.LBB14_1516:
	s_andn2_b64 vcc, exec, s[0:1]
	s_cbranch_vccnz .LBB14_1518
; %bb.1517:
	global_load_dword v1, v[8:9], off
	s_waitcnt vmcnt(0)
	v_cvt_f32_f16_e32 v1, v1
	v_cvt_i32_f32_e32 v4, v1
.LBB14_1518:
	s_mov_b64 s[0:1], 0
.LBB14_1519:
	s_andn2_b64 vcc, exec, s[0:1]
	s_cbranch_vccnz .LBB14_1530
; %bb.1520:
	s_cmp_lt_i32 s20, 6
	s_cbranch_scc1 .LBB14_1523
; %bb.1521:
	s_cmp_gt_i32 s20, 6
	s_cbranch_scc0 .LBB14_1524
; %bb.1522:
	global_load_dwordx2 v[4:5], v[8:9], off
	s_movk_i32 s0, 0xffe0
	s_waitcnt vmcnt(0)
	v_trunc_f64_e32 v[4:5], v[4:5]
	v_ldexp_f64 v[12:13], v[4:5], s0
	v_floor_f64_e32 v[12:13], v[12:13]
	v_fmac_f64_e32 v[4:5], 0xc1f00000, v[12:13]
	v_cvt_u32_f64_e32 v4, v[4:5]
	s_mov_b64 s[0:1], 0
	s_branch .LBB14_1525
.LBB14_1523:
	s_mov_b64 s[0:1], -1
                                        ; implicit-def: $vgpr4
	s_branch .LBB14_1528
.LBB14_1524:
	s_mov_b64 s[0:1], -1
                                        ; implicit-def: $vgpr4
.LBB14_1525:
	s_andn2_b64 vcc, exec, s[0:1]
	s_cbranch_vccnz .LBB14_1527
; %bb.1526:
	global_load_dword v1, v[8:9], off
	s_mov_b32 s0, 0x2f800000
	s_waitcnt vmcnt(0)
	v_trunc_f32_e32 v1, v1
	v_mul_f32_e64 v3, |v1|, s0
	v_floor_f32_e32 v3, v3
	s_mov_b32 s0, 0xcf800000
	v_fma_f32 v3, v3, s0, |v1|
	v_cvt_u32_f32_e32 v3, v3
	v_ashrrev_i32_e32 v1, 31, v1
	v_xor_b32_e32 v3, v3, v1
	v_sub_u32_e32 v4, v3, v1
.LBB14_1527:
	s_mov_b64 s[0:1], 0
.LBB14_1528:
	s_andn2_b64 vcc, exec, s[0:1]
	s_cbranch_vccnz .LBB14_1530
; %bb.1529:
	global_load_ushort v1, v[8:9], off
	s_waitcnt vmcnt(0)
	v_cvt_f32_f16_e32 v1, v1
	v_cvt_i32_f32_e32 v4, v1
.LBB14_1530:
	s_mov_b64 s[0:1], 0
.LBB14_1531:
	s_andn2_b64 vcc, exec, s[0:1]
	s_cbranch_vccnz .LBB14_1551
; %bb.1532:
	s_cmp_lt_i32 s20, 2
	s_cbranch_scc1 .LBB14_1536
; %bb.1533:
	s_cmp_lt_i32 s20, 3
	s_cbranch_scc1 .LBB14_1537
; %bb.1534:
	s_cmp_gt_i32 s20, 3
	s_cbranch_scc0 .LBB14_1538
; %bb.1535:
	global_load_dwordx2 v[4:5], v[8:9], off
	s_mov_b64 s[0:1], 0
	s_branch .LBB14_1539
.LBB14_1536:
	s_mov_b64 s[0:1], -1
                                        ; implicit-def: $vgpr4
	s_branch .LBB14_1545
.LBB14_1537:
	s_mov_b64 s[0:1], -1
                                        ; implicit-def: $vgpr4
	s_branch .LBB14_1542
.LBB14_1538:
	s_mov_b64 s[0:1], -1
                                        ; implicit-def: $vgpr4
.LBB14_1539:
	s_andn2_b64 vcc, exec, s[0:1]
	s_cbranch_vccnz .LBB14_1541
; %bb.1540:
	global_load_dword v4, v[8:9], off
.LBB14_1541:
	s_mov_b64 s[0:1], 0
.LBB14_1542:
	s_andn2_b64 vcc, exec, s[0:1]
	s_cbranch_vccnz .LBB14_1544
; %bb.1543:
	global_load_ushort v4, v[8:9], off
.LBB14_1544:
	s_mov_b64 s[0:1], 0
.LBB14_1545:
	s_andn2_b64 vcc, exec, s[0:1]
	s_cbranch_vccnz .LBB14_1551
; %bb.1546:
	s_cmp_gt_i32 s20, 0
	s_cbranch_scc0 .LBB14_1548
; %bb.1547:
	global_load_ubyte v4, v[8:9], off
	s_mov_b64 s[0:1], 0
	s_branch .LBB14_1549
.LBB14_1548:
	s_mov_b64 s[0:1], -1
                                        ; implicit-def: $vgpr4
.LBB14_1549:
	s_andn2_b64 vcc, exec, s[0:1]
	s_cbranch_vccnz .LBB14_1551
; %bb.1550:
	global_load_ubyte v4, v[8:9], off
.LBB14_1551:
	s_mov_b64 s[10:11], -1
.LBB14_1552:
	s_andn2_b64 vcc, exec, s[10:11]
	s_cbranch_vccnz .LBB14_1986
; %bb.1553:
	v_mul_lo_u32 v8, s8, v10
	v_ashrrev_i32_e32 v9, 31, v8
	s_and_b32 s20, s33, 0xff
	s_waitcnt vmcnt(0)
	v_xor_b32_e32 v1, -1, v0
	s_cmp_lt_i32 s20, 11
	v_lshl_add_u64 v[10:11], s[4:5], 0, v[8:9]
	s_cbranch_scc1 .LBB14_1631
; %bb.1554:
	s_and_b32 s9, 0xffff, s20
	s_mov_b64 s[16:17], -1
	s_mov_b64 s[6:7], 0
	s_cmp_gt_i32 s9, 25
	s_mov_b64 s[10:11], 0
	s_mov_b64 s[0:1], 0
	s_cbranch_scc0 .LBB14_1587
; %bb.1555:
	s_cmp_gt_i32 s9, 28
	s_cbranch_scc0 .LBB14_1570
; %bb.1556:
	s_cmp_gt_i32 s9, 43
	s_cbranch_scc0 .LBB14_1566
; %bb.1557:
	s_cmp_gt_i32 s9, 45
	s_cbranch_scc0 .LBB14_1560
; %bb.1558:
	s_mov_b64 s[0:1], -1
	s_mov_b64 s[16:17], 0
	s_cmp_eq_u32 s9, 46
	s_cbranch_scc0 .LBB14_1560
; %bb.1559:
	v_cvt_f32_ubyte0_e32 v3, v1
	v_bfe_u32 v5, v3, 16, 1
	s_movk_i32 s0, 0x7fff
	v_add3_u32 v3, v3, v5, s0
	v_lshrrev_b32_e32 v3, 16, v3
	global_store_dword v[10:11], v3, off
	s_mov_b64 s[0:1], 0
	s_mov_b64 s[10:11], -1
.LBB14_1560:
	s_and_b64 vcc, exec, s[16:17]
	s_cbranch_vccz .LBB14_1565
; %bb.1561:
	s_cmp_eq_u32 s9, 44
	s_mov_b64 s[0:1], -1
	s_cbranch_scc0 .LBB14_1565
; %bb.1562:
	v_cvt_f32_ubyte0_e32 v5, v1
	v_lshrrev_b32_e32 v3, 23, v5
	s_movk_i32 s0, 0xff
	v_cmp_ne_u32_e32 vcc, s0, v3
	v_mov_b32_e32 v7, 0xff
	s_and_saveexec_b64 s[10:11], vcc
; %bb.1563:
	s_mov_b32 s0, 0x3fffff
	v_and_b32_e32 v7, 0x400000, v5
	v_and_or_b32 v5, v5, s0, v3
	v_cmp_ne_u32_e32 vcc, 0, v7
	v_cmp_ne_u32_e64 s[0:1], 0, v5
	s_and_b64 s[0:1], vcc, s[0:1]
	s_nop 0
	v_cndmask_b32_e64 v5, 0, 1, s[0:1]
	v_add_u32_e32 v7, v3, v5
; %bb.1564:
	s_or_b64 exec, exec, s[10:11]
	s_mov_b64 s[0:1], 0
	s_mov_b64 s[10:11], -1
	global_store_byte v[10:11], v7, off
.LBB14_1565:
	s_mov_b64 s[16:17], 0
.LBB14_1566:
	s_and_b64 vcc, exec, s[16:17]
	s_cbranch_vccz .LBB14_1569
; %bb.1567:
	s_cmp_eq_u32 s9, 29
	s_mov_b64 s[0:1], -1
	s_cbranch_scc0 .LBB14_1569
; %bb.1568:
	v_and_b32_e32 v12, 0xff, v1
	v_mov_b32_e32 v13, 0
	global_store_dwordx2 v[10:11], v[12:13], off
	s_mov_b64 s[0:1], 0
	s_mov_b64 s[10:11], -1
.LBB14_1569:
	s_mov_b64 s[16:17], 0
.LBB14_1570:
	s_and_b64 vcc, exec, s[16:17]
	s_cbranch_vccz .LBB14_1586
; %bb.1571:
	s_cmp_lt_i32 s9, 27
	s_mov_b64 s[10:11], -1
	s_cbranch_scc1 .LBB14_1577
; %bb.1572:
	s_cmp_gt_i32 s9, 27
	s_cbranch_scc0 .LBB14_1574
; %bb.1573:
	v_and_b32_e32 v3, 0xff, v1
	s_mov_b64 s[10:11], 0
	global_store_dword v[10:11], v3, off
.LBB14_1574:
	s_andn2_b64 vcc, exec, s[10:11]
	s_cbranch_vccnz .LBB14_1576
; %bb.1575:
	v_and_b32_e32 v3, 0xff, v1
	global_store_short v[10:11], v3, off
.LBB14_1576:
	s_mov_b64 s[10:11], 0
.LBB14_1577:
	s_andn2_b64 vcc, exec, s[10:11]
	s_cbranch_vccnz .LBB14_1585
; %bb.1578:
	v_cvt_f32_ubyte0_e32 v5, v1
	s_mov_b32 s10, 0x43800000
	v_cmp_gt_u32_e32 vcc, s10, v5
	v_mov_b32_e32 v7, 0x80
	s_and_saveexec_b64 s[10:11], vcc
	s_cbranch_execz .LBB14_1584
; %bb.1579:
	s_mov_b32 s16, 0x3bffffff
	v_cmp_lt_u32_e32 vcc, s16, v5
	s_mov_b64 s[16:17], 0
                                        ; implicit-def: $vgpr3
	s_and_saveexec_b64 s[18:19], vcc
	s_xor_b64 s[18:19], exec, s[18:19]
	s_cbranch_execz .LBB14_1989
; %bb.1580:
	v_bfe_u32 v3, v5, 20, 1
	s_mov_b32 s21, 0x487ffff
	v_add3_u32 v3, v5, v3, s21
	s_mov_b64 s[16:17], exec
	v_lshrrev_b32_e32 v3, 20, v3
                                        ; implicit-def: $vgpr5
	s_andn2_saveexec_b64 s[18:19], s[18:19]
	s_cbranch_execnz .LBB14_1990
.LBB14_1581:
	s_or_b64 exec, exec, s[18:19]
	v_mov_b32_e32 v7, 0
	s_and_saveexec_b64 s[18:19], s[16:17]
.LBB14_1582:
	v_mov_b32_e32 v7, v3
.LBB14_1583:
	s_or_b64 exec, exec, s[18:19]
.LBB14_1584:
	s_or_b64 exec, exec, s[10:11]
	global_store_byte v[10:11], v7, off
.LBB14_1585:
	s_mov_b64 s[10:11], -1
.LBB14_1586:
	s_mov_b64 s[16:17], 0
.LBB14_1587:
	s_and_b64 vcc, exec, s[16:17]
	s_cbranch_vccz .LBB14_1627
; %bb.1588:
	s_cmp_gt_i32 s9, 22
	s_mov_b64 s[6:7], -1
	s_cbranch_scc0 .LBB14_1620
; %bb.1589:
	s_cmp_lt_i32 s9, 24
	s_cbranch_scc1 .LBB14_1609
; %bb.1590:
	s_cmp_gt_i32 s9, 24
	s_cbranch_scc0 .LBB14_1598
; %bb.1591:
	v_cvt_f32_ubyte0_e32 v5, v1
	s_mov_b32 s6, 0x47800000
	v_cmp_gt_u32_e32 vcc, s6, v5
	v_mov_b32_e32 v7, 0x80
	s_and_saveexec_b64 s[6:7], vcc
	s_cbranch_execz .LBB14_1597
; %bb.1592:
	s_mov_b32 s10, 0x37ffffff
	v_cmp_lt_u32_e32 vcc, s10, v5
	s_mov_b64 s[10:11], 0
                                        ; implicit-def: $vgpr3
	s_and_saveexec_b64 s[16:17], vcc
	s_xor_b64 s[16:17], exec, s[16:17]
	s_cbranch_execz .LBB14_1992
; %bb.1593:
	v_bfe_u32 v3, v5, 21, 1
	s_mov_b32 s18, 0x88fffff
	v_add3_u32 v3, v5, v3, s18
	s_mov_b64 s[10:11], exec
	v_lshrrev_b32_e32 v3, 21, v3
                                        ; implicit-def: $vgpr5
	s_andn2_saveexec_b64 s[16:17], s[16:17]
	s_cbranch_execnz .LBB14_1993
.LBB14_1594:
	s_or_b64 exec, exec, s[16:17]
	v_mov_b32_e32 v7, 0
	s_and_saveexec_b64 s[16:17], s[10:11]
.LBB14_1595:
	v_mov_b32_e32 v7, v3
.LBB14_1596:
	s_or_b64 exec, exec, s[16:17]
.LBB14_1597:
	s_or_b64 exec, exec, s[6:7]
	s_mov_b64 s[6:7], 0
	global_store_byte v[10:11], v7, off
.LBB14_1598:
	s_and_b64 vcc, exec, s[6:7]
	s_cbranch_vccz .LBB14_1608
; %bb.1599:
	v_cvt_f32_ubyte0_e32 v3, v1
	s_mov_b32 s6, 0x43f00000
	v_cmp_gt_u32_e32 vcc, s6, v3
                                        ; implicit-def: $vgpr5
	s_and_saveexec_b64 s[6:7], vcc
	s_xor_b64 s[6:7], exec, s[6:7]
	s_cbranch_execz .LBB14_1605
; %bb.1600:
	s_mov_b32 s10, 0x3c7fffff
	v_cmp_lt_u32_e32 vcc, s10, v3
                                        ; implicit-def: $vgpr5
	s_and_saveexec_b64 s[10:11], vcc
	s_xor_b64 s[10:11], exec, s[10:11]
; %bb.1601:
	v_bfe_u32 v5, v3, 20, 1
	s_mov_b32 s16, 0x407ffff
	v_add3_u32 v3, v3, v5, s16
	v_lshrrev_b32_e32 v5, 20, v3
	v_and_b32_e32 v3, 0xff00000, v3
	s_mov_b32 s16, 0x7f00000
	v_mov_b32_e32 v7, 0x7e
	v_cmp_ne_u32_e32 vcc, s16, v3
                                        ; implicit-def: $vgpr3
	s_nop 1
	v_cndmask_b32_e32 v5, v7, v5, vcc
; %bb.1602:
	s_andn2_saveexec_b64 s[10:11], s[10:11]
; %bb.1603:
	v_add_f32_e32 v5, 0x46800000, v3
; %bb.1604:
	s_or_b64 exec, exec, s[10:11]
                                        ; implicit-def: $vgpr3
.LBB14_1605:
	s_andn2_saveexec_b64 s[6:7], s[6:7]
; %bb.1606:
	s_mov_b32 s10, 0x7f800000
	v_mov_b32_e32 v5, 0x7e
	v_mov_b32_e32 v7, 0x7f
	v_cmp_lt_u32_e32 vcc, s10, v3
	s_nop 1
	v_cndmask_b32_e32 v5, v5, v7, vcc
; %bb.1607:
	s_or_b64 exec, exec, s[6:7]
	global_store_byte v[10:11], v5, off
.LBB14_1608:
	s_mov_b64 s[6:7], 0
.LBB14_1609:
	s_andn2_b64 vcc, exec, s[6:7]
	s_cbranch_vccnz .LBB14_1619
; %bb.1610:
	v_cvt_f32_ubyte0_e32 v3, v1
	s_mov_b32 s6, 0x47800000
	v_cmp_gt_u32_e32 vcc, s6, v3
                                        ; implicit-def: $vgpr5
	s_and_saveexec_b64 s[6:7], vcc
	s_xor_b64 s[6:7], exec, s[6:7]
	s_cbranch_execz .LBB14_1616
; %bb.1611:
	s_mov_b32 s10, 0x387fffff
	v_cmp_lt_u32_e32 vcc, s10, v3
                                        ; implicit-def: $vgpr5
	s_and_saveexec_b64 s[10:11], vcc
	s_xor_b64 s[10:11], exec, s[10:11]
; %bb.1612:
	v_bfe_u32 v5, v3, 21, 1
	s_mov_b32 s16, 0x80fffff
	v_add3_u32 v3, v3, v5, s16
	v_lshrrev_b32_e32 v5, 21, v3
                                        ; implicit-def: $vgpr3
; %bb.1613:
	s_andn2_saveexec_b64 s[10:11], s[10:11]
; %bb.1614:
	v_add_f32_e32 v5, 0x43000000, v3
; %bb.1615:
	s_or_b64 exec, exec, s[10:11]
                                        ; implicit-def: $vgpr3
.LBB14_1616:
	s_andn2_saveexec_b64 s[6:7], s[6:7]
; %bb.1617:
	s_mov_b32 s10, 0x7f800000
	v_mov_b32_e32 v5, 0x7c
	v_mov_b32_e32 v7, 0x7f
	v_cmp_lt_u32_e32 vcc, s10, v3
	s_nop 1
	v_cndmask_b32_e32 v5, v5, v7, vcc
; %bb.1618:
	s_or_b64 exec, exec, s[6:7]
	global_store_byte v[10:11], v5, off
.LBB14_1619:
	s_mov_b64 s[6:7], 0
	s_mov_b64 s[10:11], -1
.LBB14_1620:
	s_andn2_b64 vcc, exec, s[6:7]
	s_mov_b64 s[6:7], 0
	s_cbranch_vccnz .LBB14_1627
; %bb.1621:
	s_cmp_gt_i32 s9, 14
	s_mov_b64 s[16:17], -1
	s_cbranch_scc0 .LBB14_1625
; %bb.1622:
	s_cmp_eq_u32 s9, 15
	s_mov_b64 s[0:1], -1
	s_cbranch_scc0 .LBB14_1624
; %bb.1623:
	v_cvt_f32_ubyte0_e32 v3, v1
	v_bfe_u32 v5, v3, 16, 1
	s_movk_i32 s0, 0x7fff
	v_add3_u32 v3, v3, v5, s0
	global_store_short_d16_hi v[10:11], v3, off
	s_mov_b64 s[0:1], 0
	s_mov_b64 s[10:11], -1
.LBB14_1624:
	s_mov_b64 s[16:17], 0
.LBB14_1625:
	s_and_b64 vcc, exec, s[16:17]
	s_cbranch_vccz .LBB14_1627
; %bb.1626:
	s_cmp_lg_u32 s9, 11
	s_mov_b64 s[6:7], -1
	s_cselect_b64 s[0:1], -1, 0
.LBB14_1627:
	s_and_b64 vcc, exec, s[0:1]
	s_cbranch_vccnz .LBB14_1991
; %bb.1628:
	s_andn2_b64 vcc, exec, s[6:7]
	s_cbranch_vccnz .LBB14_1630
.LBB14_1629:
	s_movk_i32 s0, 0xff
	v_cmp_ne_u16_sdwa s[0:1], v0, s0 src0_sel:BYTE_0 src1_sel:DWORD
	s_mov_b64 s[10:11], -1
	s_nop 0
	v_cndmask_b32_e64 v0, 0, 1, s[0:1]
	global_store_byte v[10:11], v0, off
.LBB14_1630:
	s_mov_b64 s[0:1], 0
	s_branch .LBB14_1632
.LBB14_1631:
	s_mov_b64 s[0:1], -1
	s_mov_b64 s[10:11], 0
.LBB14_1632:
	s_and_b64 vcc, exec, s[0:1]
	s_cbranch_vccz .LBB14_1671
; %bb.1633:
	s_and_b32 s6, 0xffff, s20
	s_cmp_lt_i32 s6, 5
	s_mov_b64 s[0:1], -1
	s_cbranch_scc1 .LBB14_1654
; %bb.1634:
	s_cmp_lt_i32 s6, 8
	s_cbranch_scc1 .LBB14_1644
; %bb.1635:
	s_cmp_lt_i32 s6, 9
	s_cbranch_scc1 .LBB14_1641
; %bb.1636:
	s_cmp_gt_i32 s6, 9
	s_cbranch_scc0 .LBB14_1638
; %bb.1637:
	s_mov_b32 s0, 0xffff
	v_and_b32_sdwa v0, s0, v1 dst_sel:DWORD dst_unused:UNUSED_PAD src0_sel:DWORD src1_sel:BYTE_0
	v_mov_b32_e32 v14, 0
	v_cvt_f64_u32_e32 v[12:13], v0
	v_mov_b32_e32 v15, v14
	global_store_dwordx4 v[10:11], v[12:15], off
	s_mov_b64 s[0:1], 0
.LBB14_1638:
	s_andn2_b64 vcc, exec, s[0:1]
	s_cbranch_vccnz .LBB14_1640
; %bb.1639:
	v_cvt_f32_ubyte0_e32 v12, v1
	v_mov_b32_e32 v13, 0
	global_store_dwordx2 v[10:11], v[12:13], off
.LBB14_1640:
	s_mov_b64 s[0:1], 0
.LBB14_1641:
	s_andn2_b64 vcc, exec, s[0:1]
	s_cbranch_vccnz .LBB14_1643
; %bb.1642:
	v_cvt_f16_u16_sdwa v0, v1 dst_sel:DWORD dst_unused:UNUSED_PAD src0_sel:BYTE_0
	global_store_dword v[10:11], v0, off
.LBB14_1643:
	s_mov_b64 s[0:1], 0
.LBB14_1644:
	s_andn2_b64 vcc, exec, s[0:1]
	s_cbranch_vccnz .LBB14_1653
; %bb.1645:
	s_cmp_lt_i32 s6, 6
	s_mov_b64 s[0:1], -1
	s_cbranch_scc1 .LBB14_1651
; %bb.1646:
	s_cmp_gt_i32 s6, 6
	s_cbranch_scc0 .LBB14_1648
; %bb.1647:
	s_mov_b32 s0, 0xffff
	v_and_b32_sdwa v0, s0, v1 dst_sel:DWORD dst_unused:UNUSED_PAD src0_sel:DWORD src1_sel:BYTE_0
	v_cvt_f64_u32_e32 v[12:13], v0
	global_store_dwordx2 v[10:11], v[12:13], off
	s_mov_b64 s[0:1], 0
.LBB14_1648:
	s_andn2_b64 vcc, exec, s[0:1]
	s_cbranch_vccnz .LBB14_1650
; %bb.1649:
	v_cvt_f32_ubyte0_e32 v0, v1
	global_store_dword v[10:11], v0, off
.LBB14_1650:
	s_mov_b64 s[0:1], 0
.LBB14_1651:
	s_andn2_b64 vcc, exec, s[0:1]
	s_cbranch_vccnz .LBB14_1653
; %bb.1652:
	v_cvt_f16_u16_sdwa v0, v1 dst_sel:DWORD dst_unused:UNUSED_PAD src0_sel:BYTE_0
	global_store_short v[10:11], v0, off
.LBB14_1653:
	s_mov_b64 s[0:1], 0
.LBB14_1654:
	s_andn2_b64 vcc, exec, s[0:1]
	s_cbranch_vccnz .LBB14_1670
; %bb.1655:
	s_cmp_lt_i32 s6, 2
	s_mov_b64 s[0:1], -1
	s_cbranch_scc1 .LBB14_1665
; %bb.1656:
	s_cmp_lt_i32 s6, 3
	s_cbranch_scc1 .LBB14_1662
; %bb.1657:
	s_cmp_gt_i32 s6, 3
	s_cbranch_scc0 .LBB14_1659
; %bb.1658:
	v_and_b32_e32 v12, 0xff, v1
	v_mov_b32_e32 v13, 0
	global_store_dwordx2 v[10:11], v[12:13], off
	s_mov_b64 s[0:1], 0
.LBB14_1659:
	s_andn2_b64 vcc, exec, s[0:1]
	s_cbranch_vccnz .LBB14_1661
; %bb.1660:
	v_and_b32_e32 v0, 0xff, v1
	global_store_dword v[10:11], v0, off
.LBB14_1661:
	s_mov_b64 s[0:1], 0
.LBB14_1662:
	s_andn2_b64 vcc, exec, s[0:1]
	s_cbranch_vccnz .LBB14_1664
; %bb.1663:
	v_and_b32_e32 v0, 0xff, v1
	global_store_short v[10:11], v0, off
.LBB14_1664:
	s_mov_b64 s[0:1], 0
.LBB14_1665:
	s_andn2_b64 vcc, exec, s[0:1]
	s_cbranch_vccnz .LBB14_1670
; %bb.1666:
	s_cmp_gt_i32 s6, 0
	s_mov_b64 s[0:1], -1
	s_cbranch_scc0 .LBB14_1668
; %bb.1667:
	global_store_byte v[10:11], v1, off
	s_mov_b64 s[0:1], 0
.LBB14_1668:
	s_andn2_b64 vcc, exec, s[0:1]
	s_cbranch_vccnz .LBB14_1670
; %bb.1669:
	global_store_byte v[10:11], v1, off
.LBB14_1670:
	s_mov_b64 s[10:11], -1
.LBB14_1671:
	s_andn2_b64 vcc, exec, s[10:11]
	s_cbranch_vccnz .LBB14_1986
; %bb.1672:
	s_lshl_b32 s18, s8, 7
	v_add_u32_e32 v0, s18, v8
	v_ashrrev_i32_e32 v1, 31, v0
	v_xor_b32_e32 v3, -1, v2
	s_cmp_lt_i32 s20, 11
	v_lshl_add_u64 v[8:9], s[4:5], 0, v[0:1]
	s_cbranch_scc1 .LBB14_1750
; %bb.1673:
	s_and_b32 s19, 0xffff, s20
	s_mov_b64 s[10:11], -1
	s_mov_b64 s[6:7], 0
	s_cmp_gt_i32 s19, 25
	s_mov_b64 s[8:9], 0
	s_mov_b64 s[0:1], 0
	s_cbranch_scc0 .LBB14_1706
; %bb.1674:
	s_cmp_gt_i32 s19, 28
	s_cbranch_scc0 .LBB14_1689
; %bb.1675:
	s_cmp_gt_i32 s19, 43
	;; [unrolled: 3-line block ×3, first 2 shown]
	s_cbranch_scc0 .LBB14_1679
; %bb.1677:
	s_mov_b64 s[0:1], -1
	s_mov_b64 s[10:11], 0
	s_cmp_eq_u32 s19, 46
	s_cbranch_scc0 .LBB14_1679
; %bb.1678:
	v_cvt_f32_ubyte0_e32 v1, v3
	v_bfe_u32 v5, v1, 16, 1
	s_movk_i32 s0, 0x7fff
	v_add3_u32 v1, v1, v5, s0
	v_lshrrev_b32_e32 v1, 16, v1
	global_store_dword v[8:9], v1, off
	s_mov_b64 s[0:1], 0
	s_mov_b64 s[8:9], -1
.LBB14_1679:
	s_and_b64 vcc, exec, s[10:11]
	s_cbranch_vccz .LBB14_1684
; %bb.1680:
	s_cmp_eq_u32 s19, 44
	s_mov_b64 s[0:1], -1
	s_cbranch_scc0 .LBB14_1684
; %bb.1681:
	v_cvt_f32_ubyte0_e32 v5, v3
	v_lshrrev_b32_e32 v1, 23, v5
	s_movk_i32 s0, 0xff
	v_cmp_ne_u32_e32 vcc, s0, v1
	v_mov_b32_e32 v7, 0xff
	s_and_saveexec_b64 s[8:9], vcc
; %bb.1682:
	s_mov_b32 s0, 0x3fffff
	v_and_b32_e32 v7, 0x400000, v5
	v_and_or_b32 v5, v5, s0, v1
	v_cmp_ne_u32_e32 vcc, 0, v7
	v_cmp_ne_u32_e64 s[0:1], 0, v5
	s_and_b64 s[0:1], vcc, s[0:1]
	s_nop 0
	v_cndmask_b32_e64 v5, 0, 1, s[0:1]
	v_add_u32_e32 v7, v1, v5
; %bb.1683:
	s_or_b64 exec, exec, s[8:9]
	s_mov_b64 s[0:1], 0
	s_mov_b64 s[8:9], -1
	global_store_byte v[8:9], v7, off
.LBB14_1684:
	s_mov_b64 s[10:11], 0
.LBB14_1685:
	s_and_b64 vcc, exec, s[10:11]
	s_cbranch_vccz .LBB14_1688
; %bb.1686:
	s_cmp_eq_u32 s19, 29
	s_mov_b64 s[0:1], -1
	s_cbranch_scc0 .LBB14_1688
; %bb.1687:
	v_and_b32_e32 v10, 0xff, v3
	v_mov_b32_e32 v11, 0
	global_store_dwordx2 v[8:9], v[10:11], off
	s_mov_b64 s[0:1], 0
	s_mov_b64 s[8:9], -1
.LBB14_1688:
	s_mov_b64 s[10:11], 0
.LBB14_1689:
	s_and_b64 vcc, exec, s[10:11]
	s_cbranch_vccz .LBB14_1705
; %bb.1690:
	s_cmp_lt_i32 s19, 27
	s_mov_b64 s[8:9], -1
	s_cbranch_scc1 .LBB14_1696
; %bb.1691:
	s_cmp_gt_i32 s19, 27
	s_cbranch_scc0 .LBB14_1693
; %bb.1692:
	v_and_b32_e32 v1, 0xff, v3
	s_mov_b64 s[8:9], 0
	global_store_dword v[8:9], v1, off
.LBB14_1693:
	s_andn2_b64 vcc, exec, s[8:9]
	s_cbranch_vccnz .LBB14_1695
; %bb.1694:
	v_and_b32_e32 v1, 0xff, v3
	global_store_short v[8:9], v1, off
.LBB14_1695:
	s_mov_b64 s[8:9], 0
.LBB14_1696:
	s_andn2_b64 vcc, exec, s[8:9]
	s_cbranch_vccnz .LBB14_1704
; %bb.1697:
	v_cvt_f32_ubyte0_e32 v5, v3
	s_mov_b32 s8, 0x43800000
	v_cmp_gt_u32_e32 vcc, s8, v5
	v_mov_b32_e32 v7, 0x80
	s_and_saveexec_b64 s[8:9], vcc
	s_cbranch_execz .LBB14_1703
; %bb.1698:
	s_mov_b32 s10, 0x3bffffff
	v_cmp_lt_u32_e32 vcc, s10, v5
	s_mov_b64 s[10:11], 0
                                        ; implicit-def: $vgpr1
	s_and_saveexec_b64 s[16:17], vcc
	s_xor_b64 s[16:17], exec, s[16:17]
	s_cbranch_execz .LBB14_1994
; %bb.1699:
	v_bfe_u32 v1, v5, 20, 1
	s_mov_b32 s21, 0x487ffff
	v_add3_u32 v1, v5, v1, s21
	s_mov_b64 s[10:11], exec
	v_lshrrev_b32_e32 v1, 20, v1
                                        ; implicit-def: $vgpr5
	s_andn2_saveexec_b64 s[16:17], s[16:17]
	s_cbranch_execnz .LBB14_1995
.LBB14_1700:
	s_or_b64 exec, exec, s[16:17]
	v_mov_b32_e32 v7, 0
	s_and_saveexec_b64 s[16:17], s[10:11]
.LBB14_1701:
	v_mov_b32_e32 v7, v1
.LBB14_1702:
	s_or_b64 exec, exec, s[16:17]
.LBB14_1703:
	s_or_b64 exec, exec, s[8:9]
	global_store_byte v[8:9], v7, off
.LBB14_1704:
	s_mov_b64 s[8:9], -1
.LBB14_1705:
	s_mov_b64 s[10:11], 0
.LBB14_1706:
	s_and_b64 vcc, exec, s[10:11]
	s_cbranch_vccz .LBB14_1746
; %bb.1707:
	s_cmp_gt_i32 s19, 22
	s_mov_b64 s[6:7], -1
	s_cbranch_scc0 .LBB14_1739
; %bb.1708:
	s_cmp_lt_i32 s19, 24
	s_cbranch_scc1 .LBB14_1728
; %bb.1709:
	s_cmp_gt_i32 s19, 24
	s_cbranch_scc0 .LBB14_1717
; %bb.1710:
	v_cvt_f32_ubyte0_e32 v5, v3
	s_mov_b32 s6, 0x47800000
	v_cmp_gt_u32_e32 vcc, s6, v5
	v_mov_b32_e32 v7, 0x80
	s_and_saveexec_b64 s[6:7], vcc
	s_cbranch_execz .LBB14_1716
; %bb.1711:
	s_mov_b32 s8, 0x37ffffff
	v_cmp_lt_u32_e32 vcc, s8, v5
	s_mov_b64 s[8:9], 0
                                        ; implicit-def: $vgpr1
	s_and_saveexec_b64 s[10:11], vcc
	s_xor_b64 s[10:11], exec, s[10:11]
	s_cbranch_execz .LBB14_1997
; %bb.1712:
	v_bfe_u32 v1, v5, 21, 1
	s_mov_b32 s16, 0x88fffff
	v_add3_u32 v1, v5, v1, s16
	s_mov_b64 s[8:9], exec
	v_lshrrev_b32_e32 v1, 21, v1
                                        ; implicit-def: $vgpr5
	s_andn2_saveexec_b64 s[10:11], s[10:11]
	s_cbranch_execnz .LBB14_1998
.LBB14_1713:
	s_or_b64 exec, exec, s[10:11]
	v_mov_b32_e32 v7, 0
	s_and_saveexec_b64 s[10:11], s[8:9]
.LBB14_1714:
	v_mov_b32_e32 v7, v1
.LBB14_1715:
	s_or_b64 exec, exec, s[10:11]
.LBB14_1716:
	s_or_b64 exec, exec, s[6:7]
	s_mov_b64 s[6:7], 0
	global_store_byte v[8:9], v7, off
.LBB14_1717:
	s_and_b64 vcc, exec, s[6:7]
	s_cbranch_vccz .LBB14_1727
; %bb.1718:
	v_cvt_f32_ubyte0_e32 v1, v3
	s_mov_b32 s6, 0x43f00000
	v_cmp_gt_u32_e32 vcc, s6, v1
                                        ; implicit-def: $vgpr5
	s_and_saveexec_b64 s[6:7], vcc
	s_xor_b64 s[6:7], exec, s[6:7]
	s_cbranch_execz .LBB14_1724
; %bb.1719:
	s_mov_b32 s8, 0x3c7fffff
	v_cmp_lt_u32_e32 vcc, s8, v1
                                        ; implicit-def: $vgpr5
	s_and_saveexec_b64 s[8:9], vcc
	s_xor_b64 s[8:9], exec, s[8:9]
; %bb.1720:
	v_bfe_u32 v5, v1, 20, 1
	s_mov_b32 s10, 0x407ffff
	v_add3_u32 v1, v1, v5, s10
	v_lshrrev_b32_e32 v5, 20, v1
	v_and_b32_e32 v1, 0xff00000, v1
	s_mov_b32 s10, 0x7f00000
	v_mov_b32_e32 v7, 0x7e
	v_cmp_ne_u32_e32 vcc, s10, v1
                                        ; implicit-def: $vgpr1
	s_nop 1
	v_cndmask_b32_e32 v5, v7, v5, vcc
; %bb.1721:
	s_andn2_saveexec_b64 s[8:9], s[8:9]
; %bb.1722:
	v_add_f32_e32 v5, 0x46800000, v1
; %bb.1723:
	s_or_b64 exec, exec, s[8:9]
                                        ; implicit-def: $vgpr1
.LBB14_1724:
	s_andn2_saveexec_b64 s[6:7], s[6:7]
; %bb.1725:
	s_mov_b32 s8, 0x7f800000
	v_mov_b32_e32 v5, 0x7e
	v_mov_b32_e32 v7, 0x7f
	v_cmp_lt_u32_e32 vcc, s8, v1
	s_nop 1
	v_cndmask_b32_e32 v5, v5, v7, vcc
; %bb.1726:
	s_or_b64 exec, exec, s[6:7]
	global_store_byte v[8:9], v5, off
.LBB14_1727:
	s_mov_b64 s[6:7], 0
.LBB14_1728:
	s_andn2_b64 vcc, exec, s[6:7]
	s_cbranch_vccnz .LBB14_1738
; %bb.1729:
	v_cvt_f32_ubyte0_e32 v1, v3
	s_mov_b32 s6, 0x47800000
	v_cmp_gt_u32_e32 vcc, s6, v1
                                        ; implicit-def: $vgpr5
	s_and_saveexec_b64 s[6:7], vcc
	s_xor_b64 s[6:7], exec, s[6:7]
	s_cbranch_execz .LBB14_1735
; %bb.1730:
	s_mov_b32 s8, 0x387fffff
	v_cmp_lt_u32_e32 vcc, s8, v1
                                        ; implicit-def: $vgpr5
	s_and_saveexec_b64 s[8:9], vcc
	s_xor_b64 s[8:9], exec, s[8:9]
; %bb.1731:
	v_bfe_u32 v5, v1, 21, 1
	s_mov_b32 s10, 0x80fffff
	v_add3_u32 v1, v1, v5, s10
	v_lshrrev_b32_e32 v5, 21, v1
                                        ; implicit-def: $vgpr1
; %bb.1732:
	s_andn2_saveexec_b64 s[8:9], s[8:9]
; %bb.1733:
	v_add_f32_e32 v5, 0x43000000, v1
; %bb.1734:
	s_or_b64 exec, exec, s[8:9]
                                        ; implicit-def: $vgpr1
.LBB14_1735:
	s_andn2_saveexec_b64 s[6:7], s[6:7]
; %bb.1736:
	s_mov_b32 s8, 0x7f800000
	v_mov_b32_e32 v5, 0x7c
	v_mov_b32_e32 v7, 0x7f
	v_cmp_lt_u32_e32 vcc, s8, v1
	s_nop 1
	v_cndmask_b32_e32 v5, v5, v7, vcc
; %bb.1737:
	s_or_b64 exec, exec, s[6:7]
	global_store_byte v[8:9], v5, off
.LBB14_1738:
	s_mov_b64 s[6:7], 0
	s_mov_b64 s[8:9], -1
.LBB14_1739:
	s_andn2_b64 vcc, exec, s[6:7]
	s_mov_b64 s[6:7], 0
	s_cbranch_vccnz .LBB14_1746
; %bb.1740:
	s_cmp_gt_i32 s19, 14
	s_mov_b64 s[10:11], -1
	s_cbranch_scc0 .LBB14_1744
; %bb.1741:
	s_cmp_eq_u32 s19, 15
	s_mov_b64 s[0:1], -1
	s_cbranch_scc0 .LBB14_1743
; %bb.1742:
	v_cvt_f32_ubyte0_e32 v1, v3
	v_bfe_u32 v5, v1, 16, 1
	s_movk_i32 s0, 0x7fff
	v_add3_u32 v1, v1, v5, s0
	global_store_short_d16_hi v[8:9], v1, off
	s_mov_b64 s[0:1], 0
	s_mov_b64 s[8:9], -1
.LBB14_1743:
	s_mov_b64 s[10:11], 0
.LBB14_1744:
	s_and_b64 vcc, exec, s[10:11]
	s_cbranch_vccz .LBB14_1746
; %bb.1745:
	s_cmp_lg_u32 s19, 11
	s_mov_b64 s[6:7], -1
	s_cselect_b64 s[0:1], -1, 0
.LBB14_1746:
	s_and_b64 vcc, exec, s[0:1]
	s_cbranch_vccnz .LBB14_1996
; %bb.1747:
	s_andn2_b64 vcc, exec, s[6:7]
	s_cbranch_vccnz .LBB14_1749
.LBB14_1748:
	s_movk_i32 s0, 0xff
	v_cmp_ne_u16_sdwa s[0:1], v2, s0 src0_sel:BYTE_0 src1_sel:DWORD
	s_mov_b64 s[8:9], -1
	s_nop 0
	v_cndmask_b32_e64 v1, 0, 1, s[0:1]
	global_store_byte v[8:9], v1, off
.LBB14_1749:
	s_mov_b64 s[0:1], 0
	s_branch .LBB14_1751
.LBB14_1750:
	s_mov_b64 s[0:1], -1
	s_mov_b64 s[8:9], 0
.LBB14_1751:
	s_and_b64 vcc, exec, s[0:1]
	s_cbranch_vccz .LBB14_1790
; %bb.1752:
	s_and_b32 s6, 0xffff, s20
	s_cmp_lt_i32 s6, 5
	s_mov_b64 s[0:1], -1
	s_cbranch_scc1 .LBB14_1773
; %bb.1753:
	s_cmp_lt_i32 s6, 8
	s_cbranch_scc1 .LBB14_1763
; %bb.1754:
	s_cmp_lt_i32 s6, 9
	s_cbranch_scc1 .LBB14_1760
; %bb.1755:
	s_cmp_gt_i32 s6, 9
	s_cbranch_scc0 .LBB14_1757
; %bb.1756:
	s_mov_b32 s0, 0xffff
	v_and_b32_sdwa v1, s0, v3 dst_sel:DWORD dst_unused:UNUSED_PAD src0_sel:DWORD src1_sel:BYTE_0
	v_mov_b32_e32 v12, 0
	v_cvt_f64_u32_e32 v[10:11], v1
	v_mov_b32_e32 v13, v12
	global_store_dwordx4 v[8:9], v[10:13], off
	s_mov_b64 s[0:1], 0
.LBB14_1757:
	s_andn2_b64 vcc, exec, s[0:1]
	s_cbranch_vccnz .LBB14_1759
; %bb.1758:
	v_cvt_f32_ubyte0_e32 v10, v3
	v_mov_b32_e32 v11, 0
	global_store_dwordx2 v[8:9], v[10:11], off
.LBB14_1759:
	s_mov_b64 s[0:1], 0
.LBB14_1760:
	s_andn2_b64 vcc, exec, s[0:1]
	s_cbranch_vccnz .LBB14_1762
; %bb.1761:
	v_cvt_f16_u16_sdwa v1, v3 dst_sel:DWORD dst_unused:UNUSED_PAD src0_sel:BYTE_0
	global_store_dword v[8:9], v1, off
.LBB14_1762:
	s_mov_b64 s[0:1], 0
.LBB14_1763:
	s_andn2_b64 vcc, exec, s[0:1]
	s_cbranch_vccnz .LBB14_1772
; %bb.1764:
	s_cmp_lt_i32 s6, 6
	s_mov_b64 s[0:1], -1
	s_cbranch_scc1 .LBB14_1770
; %bb.1765:
	s_cmp_gt_i32 s6, 6
	s_cbranch_scc0 .LBB14_1767
; %bb.1766:
	s_mov_b32 s0, 0xffff
	v_and_b32_sdwa v1, s0, v3 dst_sel:DWORD dst_unused:UNUSED_PAD src0_sel:DWORD src1_sel:BYTE_0
	v_cvt_f64_u32_e32 v[10:11], v1
	global_store_dwordx2 v[8:9], v[10:11], off
	s_mov_b64 s[0:1], 0
.LBB14_1767:
	s_andn2_b64 vcc, exec, s[0:1]
	s_cbranch_vccnz .LBB14_1769
; %bb.1768:
	v_cvt_f32_ubyte0_e32 v1, v3
	global_store_dword v[8:9], v1, off
.LBB14_1769:
	s_mov_b64 s[0:1], 0
.LBB14_1770:
	s_andn2_b64 vcc, exec, s[0:1]
	s_cbranch_vccnz .LBB14_1772
; %bb.1771:
	v_cvt_f16_u16_sdwa v1, v3 dst_sel:DWORD dst_unused:UNUSED_PAD src0_sel:BYTE_0
	global_store_short v[8:9], v1, off
.LBB14_1772:
	s_mov_b64 s[0:1], 0
.LBB14_1773:
	s_andn2_b64 vcc, exec, s[0:1]
	s_cbranch_vccnz .LBB14_1789
; %bb.1774:
	s_cmp_lt_i32 s6, 2
	s_mov_b64 s[0:1], -1
	s_cbranch_scc1 .LBB14_1784
; %bb.1775:
	s_cmp_lt_i32 s6, 3
	s_cbranch_scc1 .LBB14_1781
; %bb.1776:
	s_cmp_gt_i32 s6, 3
	s_cbranch_scc0 .LBB14_1778
; %bb.1777:
	v_and_b32_e32 v10, 0xff, v3
	v_mov_b32_e32 v11, 0
	global_store_dwordx2 v[8:9], v[10:11], off
	s_mov_b64 s[0:1], 0
.LBB14_1778:
	s_andn2_b64 vcc, exec, s[0:1]
	s_cbranch_vccnz .LBB14_1780
; %bb.1779:
	v_and_b32_e32 v1, 0xff, v3
	global_store_dword v[8:9], v1, off
.LBB14_1780:
	s_mov_b64 s[0:1], 0
.LBB14_1781:
	s_andn2_b64 vcc, exec, s[0:1]
	s_cbranch_vccnz .LBB14_1783
; %bb.1782:
	v_and_b32_e32 v1, 0xff, v3
	global_store_short v[8:9], v1, off
.LBB14_1783:
	s_mov_b64 s[0:1], 0
.LBB14_1784:
	s_andn2_b64 vcc, exec, s[0:1]
	s_cbranch_vccnz .LBB14_1789
; %bb.1785:
	s_cmp_gt_i32 s6, 0
	s_mov_b64 s[0:1], -1
	s_cbranch_scc0 .LBB14_1787
; %bb.1786:
	global_store_byte v[8:9], v3, off
	s_mov_b64 s[0:1], 0
.LBB14_1787:
	s_andn2_b64 vcc, exec, s[0:1]
	s_cbranch_vccnz .LBB14_1789
; %bb.1788:
	global_store_byte v[8:9], v3, off
.LBB14_1789:
	s_mov_b64 s[8:9], -1
.LBB14_1790:
	s_andn2_b64 vcc, exec, s[8:9]
	s_cbranch_vccnz .LBB14_1986
; %bb.1791:
	v_add_u32_e32 v0, s18, v0
	v_ashrrev_i32_e32 v1, 31, v0
	v_xor_b32_e32 v5, -1, v6
	s_cmp_lt_i32 s20, 11
	v_lshl_add_u64 v[2:3], s[4:5], 0, v[0:1]
	s_cbranch_scc1 .LBB14_1869
; %bb.1792:
	s_and_b32 s19, 0xffff, s20
	s_mov_b64 s[10:11], -1
	s_mov_b64 s[6:7], 0
	s_cmp_gt_i32 s19, 25
	s_mov_b64 s[8:9], 0
	s_mov_b64 s[0:1], 0
	s_cbranch_scc0 .LBB14_1825
; %bb.1793:
	s_cmp_gt_i32 s19, 28
	s_cbranch_scc0 .LBB14_1808
; %bb.1794:
	s_cmp_gt_i32 s19, 43
	;; [unrolled: 3-line block ×3, first 2 shown]
	s_cbranch_scc0 .LBB14_1798
; %bb.1796:
	s_mov_b64 s[0:1], -1
	s_mov_b64 s[10:11], 0
	s_cmp_eq_u32 s19, 46
	s_cbranch_scc0 .LBB14_1798
; %bb.1797:
	v_cvt_f32_ubyte0_e32 v1, v5
	v_bfe_u32 v7, v1, 16, 1
	s_movk_i32 s0, 0x7fff
	v_add3_u32 v1, v1, v7, s0
	v_lshrrev_b32_e32 v1, 16, v1
	global_store_dword v[2:3], v1, off
	s_mov_b64 s[0:1], 0
	s_mov_b64 s[8:9], -1
.LBB14_1798:
	s_and_b64 vcc, exec, s[10:11]
	s_cbranch_vccz .LBB14_1803
; %bb.1799:
	s_cmp_eq_u32 s19, 44
	s_mov_b64 s[0:1], -1
	s_cbranch_scc0 .LBB14_1803
; %bb.1800:
	v_cvt_f32_ubyte0_e32 v7, v5
	v_lshrrev_b32_e32 v1, 23, v7
	s_movk_i32 s0, 0xff
	v_cmp_ne_u32_e32 vcc, s0, v1
	v_mov_b32_e32 v8, 0xff
	s_and_saveexec_b64 s[8:9], vcc
; %bb.1801:
	s_mov_b32 s0, 0x3fffff
	v_and_b32_e32 v8, 0x400000, v7
	v_and_or_b32 v7, v7, s0, v1
	v_cmp_ne_u32_e32 vcc, 0, v8
	v_cmp_ne_u32_e64 s[0:1], 0, v7
	s_and_b64 s[0:1], vcc, s[0:1]
	s_nop 0
	v_cndmask_b32_e64 v7, 0, 1, s[0:1]
	v_add_u32_e32 v8, v1, v7
; %bb.1802:
	s_or_b64 exec, exec, s[8:9]
	s_mov_b64 s[0:1], 0
	s_mov_b64 s[8:9], -1
	global_store_byte v[2:3], v8, off
.LBB14_1803:
	s_mov_b64 s[10:11], 0
.LBB14_1804:
	s_and_b64 vcc, exec, s[10:11]
	s_cbranch_vccz .LBB14_1807
; %bb.1805:
	s_cmp_eq_u32 s19, 29
	s_mov_b64 s[0:1], -1
	s_cbranch_scc0 .LBB14_1807
; %bb.1806:
	v_and_b32_e32 v8, 0xff, v5
	v_mov_b32_e32 v9, 0
	global_store_dwordx2 v[2:3], v[8:9], off
	s_mov_b64 s[0:1], 0
	s_mov_b64 s[8:9], -1
.LBB14_1807:
	s_mov_b64 s[10:11], 0
.LBB14_1808:
	s_and_b64 vcc, exec, s[10:11]
	s_cbranch_vccz .LBB14_1824
; %bb.1809:
	s_cmp_lt_i32 s19, 27
	s_mov_b64 s[8:9], -1
	s_cbranch_scc1 .LBB14_1815
; %bb.1810:
	s_cmp_gt_i32 s19, 27
	s_cbranch_scc0 .LBB14_1812
; %bb.1811:
	v_and_b32_e32 v1, 0xff, v5
	s_mov_b64 s[8:9], 0
	global_store_dword v[2:3], v1, off
.LBB14_1812:
	s_andn2_b64 vcc, exec, s[8:9]
	s_cbranch_vccnz .LBB14_1814
; %bb.1813:
	v_and_b32_e32 v1, 0xff, v5
	global_store_short v[2:3], v1, off
.LBB14_1814:
	s_mov_b64 s[8:9], 0
.LBB14_1815:
	s_andn2_b64 vcc, exec, s[8:9]
	s_cbranch_vccnz .LBB14_1823
; %bb.1816:
	v_cvt_f32_ubyte0_e32 v7, v5
	s_mov_b32 s8, 0x43800000
	v_cmp_gt_u32_e32 vcc, s8, v7
	v_mov_b32_e32 v8, 0x80
	s_and_saveexec_b64 s[8:9], vcc
	s_cbranch_execz .LBB14_1822
; %bb.1817:
	s_mov_b32 s10, 0x3bffffff
	v_cmp_lt_u32_e32 vcc, s10, v7
	s_mov_b64 s[10:11], 0
                                        ; implicit-def: $vgpr1
	s_and_saveexec_b64 s[16:17], vcc
	s_xor_b64 s[16:17], exec, s[16:17]
	s_cbranch_execz .LBB14_1999
; %bb.1818:
	v_bfe_u32 v1, v7, 20, 1
	s_mov_b32 s21, 0x487ffff
	v_add3_u32 v1, v7, v1, s21
	s_mov_b64 s[10:11], exec
	v_lshrrev_b32_e32 v1, 20, v1
                                        ; implicit-def: $vgpr7
	s_andn2_saveexec_b64 s[16:17], s[16:17]
	s_cbranch_execnz .LBB14_2000
.LBB14_1819:
	s_or_b64 exec, exec, s[16:17]
	v_mov_b32_e32 v8, 0
	s_and_saveexec_b64 s[16:17], s[10:11]
.LBB14_1820:
	v_mov_b32_e32 v8, v1
.LBB14_1821:
	s_or_b64 exec, exec, s[16:17]
.LBB14_1822:
	s_or_b64 exec, exec, s[8:9]
	global_store_byte v[2:3], v8, off
.LBB14_1823:
	s_mov_b64 s[8:9], -1
.LBB14_1824:
	s_mov_b64 s[10:11], 0
.LBB14_1825:
	s_and_b64 vcc, exec, s[10:11]
	s_cbranch_vccz .LBB14_1865
; %bb.1826:
	s_cmp_gt_i32 s19, 22
	s_mov_b64 s[6:7], -1
	s_cbranch_scc0 .LBB14_1858
; %bb.1827:
	s_cmp_lt_i32 s19, 24
	s_cbranch_scc1 .LBB14_1847
; %bb.1828:
	s_cmp_gt_i32 s19, 24
	s_cbranch_scc0 .LBB14_1836
; %bb.1829:
	v_cvt_f32_ubyte0_e32 v7, v5
	s_mov_b32 s6, 0x47800000
	v_cmp_gt_u32_e32 vcc, s6, v7
	v_mov_b32_e32 v8, 0x80
	s_and_saveexec_b64 s[6:7], vcc
	s_cbranch_execz .LBB14_1835
; %bb.1830:
	s_mov_b32 s8, 0x37ffffff
	v_cmp_lt_u32_e32 vcc, s8, v7
	s_mov_b64 s[8:9], 0
                                        ; implicit-def: $vgpr1
	s_and_saveexec_b64 s[10:11], vcc
	s_xor_b64 s[10:11], exec, s[10:11]
	s_cbranch_execz .LBB14_2002
; %bb.1831:
	v_bfe_u32 v1, v7, 21, 1
	s_mov_b32 s16, 0x88fffff
	v_add3_u32 v1, v7, v1, s16
	s_mov_b64 s[8:9], exec
	v_lshrrev_b32_e32 v1, 21, v1
                                        ; implicit-def: $vgpr7
	s_andn2_saveexec_b64 s[10:11], s[10:11]
	s_cbranch_execnz .LBB14_2003
.LBB14_1832:
	s_or_b64 exec, exec, s[10:11]
	v_mov_b32_e32 v8, 0
	s_and_saveexec_b64 s[10:11], s[8:9]
.LBB14_1833:
	v_mov_b32_e32 v8, v1
.LBB14_1834:
	s_or_b64 exec, exec, s[10:11]
.LBB14_1835:
	s_or_b64 exec, exec, s[6:7]
	s_mov_b64 s[6:7], 0
	global_store_byte v[2:3], v8, off
.LBB14_1836:
	s_and_b64 vcc, exec, s[6:7]
	s_cbranch_vccz .LBB14_1846
; %bb.1837:
	v_cvt_f32_ubyte0_e32 v1, v5
	s_mov_b32 s6, 0x43f00000
	v_cmp_gt_u32_e32 vcc, s6, v1
                                        ; implicit-def: $vgpr7
	s_and_saveexec_b64 s[6:7], vcc
	s_xor_b64 s[6:7], exec, s[6:7]
	s_cbranch_execz .LBB14_1843
; %bb.1838:
	s_mov_b32 s8, 0x3c7fffff
	v_cmp_lt_u32_e32 vcc, s8, v1
                                        ; implicit-def: $vgpr7
	s_and_saveexec_b64 s[8:9], vcc
	s_xor_b64 s[8:9], exec, s[8:9]
; %bb.1839:
	v_bfe_u32 v7, v1, 20, 1
	s_mov_b32 s10, 0x407ffff
	v_add3_u32 v1, v1, v7, s10
	v_lshrrev_b32_e32 v7, 20, v1
	v_and_b32_e32 v1, 0xff00000, v1
	s_mov_b32 s10, 0x7f00000
	v_mov_b32_e32 v8, 0x7e
	v_cmp_ne_u32_e32 vcc, s10, v1
                                        ; implicit-def: $vgpr1
	s_nop 1
	v_cndmask_b32_e32 v7, v8, v7, vcc
; %bb.1840:
	s_andn2_saveexec_b64 s[8:9], s[8:9]
; %bb.1841:
	v_add_f32_e32 v7, 0x46800000, v1
; %bb.1842:
	s_or_b64 exec, exec, s[8:9]
                                        ; implicit-def: $vgpr1
.LBB14_1843:
	s_andn2_saveexec_b64 s[6:7], s[6:7]
; %bb.1844:
	s_mov_b32 s8, 0x7f800000
	v_mov_b32_e32 v7, 0x7e
	v_mov_b32_e32 v8, 0x7f
	v_cmp_lt_u32_e32 vcc, s8, v1
	s_nop 1
	v_cndmask_b32_e32 v7, v7, v8, vcc
; %bb.1845:
	s_or_b64 exec, exec, s[6:7]
	global_store_byte v[2:3], v7, off
.LBB14_1846:
	s_mov_b64 s[6:7], 0
.LBB14_1847:
	s_andn2_b64 vcc, exec, s[6:7]
	s_cbranch_vccnz .LBB14_1857
; %bb.1848:
	v_cvt_f32_ubyte0_e32 v1, v5
	s_mov_b32 s6, 0x47800000
	v_cmp_gt_u32_e32 vcc, s6, v1
                                        ; implicit-def: $vgpr7
	s_and_saveexec_b64 s[6:7], vcc
	s_xor_b64 s[6:7], exec, s[6:7]
	s_cbranch_execz .LBB14_1854
; %bb.1849:
	s_mov_b32 s8, 0x387fffff
	v_cmp_lt_u32_e32 vcc, s8, v1
                                        ; implicit-def: $vgpr7
	s_and_saveexec_b64 s[8:9], vcc
	s_xor_b64 s[8:9], exec, s[8:9]
; %bb.1850:
	v_bfe_u32 v7, v1, 21, 1
	s_mov_b32 s10, 0x80fffff
	v_add3_u32 v1, v1, v7, s10
	v_lshrrev_b32_e32 v7, 21, v1
                                        ; implicit-def: $vgpr1
; %bb.1851:
	s_andn2_saveexec_b64 s[8:9], s[8:9]
; %bb.1852:
	v_add_f32_e32 v7, 0x43000000, v1
; %bb.1853:
	s_or_b64 exec, exec, s[8:9]
                                        ; implicit-def: $vgpr1
.LBB14_1854:
	s_andn2_saveexec_b64 s[6:7], s[6:7]
; %bb.1855:
	s_mov_b32 s8, 0x7f800000
	v_mov_b32_e32 v7, 0x7c
	v_mov_b32_e32 v8, 0x7f
	v_cmp_lt_u32_e32 vcc, s8, v1
	s_nop 1
	v_cndmask_b32_e32 v7, v7, v8, vcc
; %bb.1856:
	s_or_b64 exec, exec, s[6:7]
	global_store_byte v[2:3], v7, off
.LBB14_1857:
	s_mov_b64 s[6:7], 0
	s_mov_b64 s[8:9], -1
.LBB14_1858:
	s_andn2_b64 vcc, exec, s[6:7]
	s_mov_b64 s[6:7], 0
	s_cbranch_vccnz .LBB14_1865
; %bb.1859:
	s_cmp_gt_i32 s19, 14
	s_mov_b64 s[10:11], -1
	s_cbranch_scc0 .LBB14_1863
; %bb.1860:
	s_cmp_eq_u32 s19, 15
	s_mov_b64 s[0:1], -1
	s_cbranch_scc0 .LBB14_1862
; %bb.1861:
	v_cvt_f32_ubyte0_e32 v1, v5
	v_bfe_u32 v7, v1, 16, 1
	s_movk_i32 s0, 0x7fff
	v_add3_u32 v1, v1, v7, s0
	global_store_short_d16_hi v[2:3], v1, off
	s_mov_b64 s[0:1], 0
	s_mov_b64 s[8:9], -1
.LBB14_1862:
	s_mov_b64 s[10:11], 0
.LBB14_1863:
	s_and_b64 vcc, exec, s[10:11]
	s_cbranch_vccz .LBB14_1865
; %bb.1864:
	s_cmp_lg_u32 s19, 11
	s_mov_b64 s[6:7], -1
	s_cselect_b64 s[0:1], -1, 0
.LBB14_1865:
	s_and_b64 vcc, exec, s[0:1]
	s_cbranch_vccnz .LBB14_2001
; %bb.1866:
	s_andn2_b64 vcc, exec, s[6:7]
	s_cbranch_vccnz .LBB14_1868
.LBB14_1867:
	s_movk_i32 s0, 0xff
	v_cmp_ne_u16_sdwa s[0:1], v6, s0 src0_sel:BYTE_0 src1_sel:DWORD
	s_mov_b64 s[8:9], -1
	s_nop 0
	v_cndmask_b32_e64 v1, 0, 1, s[0:1]
	global_store_byte v[2:3], v1, off
.LBB14_1868:
	s_mov_b64 s[0:1], 0
	s_branch .LBB14_1870
.LBB14_1869:
	s_mov_b64 s[0:1], -1
	s_mov_b64 s[8:9], 0
.LBB14_1870:
	s_and_b64 vcc, exec, s[0:1]
	s_cbranch_vccz .LBB14_1909
; %bb.1871:
	s_and_b32 s6, 0xffff, s20
	s_cmp_lt_i32 s6, 5
	s_mov_b64 s[0:1], -1
	s_cbranch_scc1 .LBB14_1892
; %bb.1872:
	s_cmp_lt_i32 s6, 8
	s_cbranch_scc1 .LBB14_1882
; %bb.1873:
	s_cmp_lt_i32 s6, 9
	s_cbranch_scc1 .LBB14_1879
; %bb.1874:
	s_cmp_gt_i32 s6, 9
	s_cbranch_scc0 .LBB14_1876
; %bb.1875:
	s_mov_b32 s0, 0xffff
	v_and_b32_sdwa v1, s0, v5 dst_sel:DWORD dst_unused:UNUSED_PAD src0_sel:DWORD src1_sel:BYTE_0
	v_mov_b32_e32 v8, 0
	v_cvt_f64_u32_e32 v[6:7], v1
	v_mov_b32_e32 v9, v8
	global_store_dwordx4 v[2:3], v[6:9], off
	s_mov_b64 s[0:1], 0
.LBB14_1876:
	s_andn2_b64 vcc, exec, s[0:1]
	s_cbranch_vccnz .LBB14_1878
; %bb.1877:
	v_cvt_f32_ubyte0_e32 v6, v5
	v_mov_b32_e32 v7, 0
	global_store_dwordx2 v[2:3], v[6:7], off
.LBB14_1878:
	s_mov_b64 s[0:1], 0
.LBB14_1879:
	s_andn2_b64 vcc, exec, s[0:1]
	s_cbranch_vccnz .LBB14_1881
; %bb.1880:
	v_cvt_f16_u16_sdwa v1, v5 dst_sel:DWORD dst_unused:UNUSED_PAD src0_sel:BYTE_0
	global_store_dword v[2:3], v1, off
.LBB14_1881:
	s_mov_b64 s[0:1], 0
.LBB14_1882:
	s_andn2_b64 vcc, exec, s[0:1]
	s_cbranch_vccnz .LBB14_1891
; %bb.1883:
	s_cmp_lt_i32 s6, 6
	s_mov_b64 s[0:1], -1
	s_cbranch_scc1 .LBB14_1889
; %bb.1884:
	s_cmp_gt_i32 s6, 6
	s_cbranch_scc0 .LBB14_1886
; %bb.1885:
	s_mov_b32 s0, 0xffff
	v_and_b32_sdwa v1, s0, v5 dst_sel:DWORD dst_unused:UNUSED_PAD src0_sel:DWORD src1_sel:BYTE_0
	v_cvt_f64_u32_e32 v[6:7], v1
	global_store_dwordx2 v[2:3], v[6:7], off
	s_mov_b64 s[0:1], 0
.LBB14_1886:
	s_andn2_b64 vcc, exec, s[0:1]
	s_cbranch_vccnz .LBB14_1888
; %bb.1887:
	v_cvt_f32_ubyte0_e32 v1, v5
	global_store_dword v[2:3], v1, off
.LBB14_1888:
	s_mov_b64 s[0:1], 0
.LBB14_1889:
	s_andn2_b64 vcc, exec, s[0:1]
	s_cbranch_vccnz .LBB14_1891
; %bb.1890:
	v_cvt_f16_u16_sdwa v1, v5 dst_sel:DWORD dst_unused:UNUSED_PAD src0_sel:BYTE_0
	global_store_short v[2:3], v1, off
.LBB14_1891:
	s_mov_b64 s[0:1], 0
.LBB14_1892:
	s_andn2_b64 vcc, exec, s[0:1]
	s_cbranch_vccnz .LBB14_1908
; %bb.1893:
	s_cmp_lt_i32 s6, 2
	s_mov_b64 s[0:1], -1
	s_cbranch_scc1 .LBB14_1903
; %bb.1894:
	s_cmp_lt_i32 s6, 3
	s_cbranch_scc1 .LBB14_1900
; %bb.1895:
	s_cmp_gt_i32 s6, 3
	s_cbranch_scc0 .LBB14_1897
; %bb.1896:
	v_and_b32_e32 v6, 0xff, v5
	v_mov_b32_e32 v7, 0
	global_store_dwordx2 v[2:3], v[6:7], off
	s_mov_b64 s[0:1], 0
.LBB14_1897:
	s_andn2_b64 vcc, exec, s[0:1]
	s_cbranch_vccnz .LBB14_1899
; %bb.1898:
	v_and_b32_e32 v1, 0xff, v5
	global_store_dword v[2:3], v1, off
.LBB14_1899:
	s_mov_b64 s[0:1], 0
.LBB14_1900:
	s_andn2_b64 vcc, exec, s[0:1]
	s_cbranch_vccnz .LBB14_1902
; %bb.1901:
	v_and_b32_e32 v1, 0xff, v5
	global_store_short v[2:3], v1, off
.LBB14_1902:
	s_mov_b64 s[0:1], 0
.LBB14_1903:
	s_andn2_b64 vcc, exec, s[0:1]
	s_cbranch_vccnz .LBB14_1908
; %bb.1904:
	s_cmp_gt_i32 s6, 0
	s_mov_b64 s[0:1], -1
	s_cbranch_scc0 .LBB14_1906
; %bb.1905:
	global_store_byte v[2:3], v5, off
	s_mov_b64 s[0:1], 0
.LBB14_1906:
	s_andn2_b64 vcc, exec, s[0:1]
	s_cbranch_vccnz .LBB14_1908
; %bb.1907:
	global_store_byte v[2:3], v5, off
.LBB14_1908:
	s_mov_b64 s[8:9], -1
.LBB14_1909:
	s_andn2_b64 vcc, exec, s[8:9]
	s_cbranch_vccnz .LBB14_1986
; %bb.1910:
	v_add_u32_e32 v0, s18, v0
	v_ashrrev_i32_e32 v1, 31, v0
	v_xor_b32_e32 v2, -1, v4
	s_cmp_lt_i32 s20, 11
	v_lshl_add_u64 v[0:1], s[4:5], 0, v[0:1]
	s_cbranch_scc1 .LBB14_1987
; %bb.1911:
	s_and_b32 s16, 0xffff, s20
	s_mov_b64 s[6:7], -1
	s_mov_b64 s[4:5], 0
	s_cmp_gt_i32 s16, 25
	s_mov_b64 s[0:1], 0
	s_cbranch_scc0 .LBB14_1944
; %bb.1912:
	s_cmp_gt_i32 s16, 28
	s_cbranch_scc0 .LBB14_1928
; %bb.1913:
	s_cmp_gt_i32 s16, 43
	s_cbranch_scc0 .LBB14_1924
; %bb.1914:
	s_cmp_gt_i32 s16, 45
	s_cbranch_scc0 .LBB14_1918
; %bb.1915:
	s_cmp_eq_u32 s16, 46
	s_mov_b64 s[0:1], -1
	s_cbranch_scc0 .LBB14_1917
; %bb.1916:
	v_cvt_f32_ubyte0_e32 v3, v2
	v_bfe_u32 v5, v3, 16, 1
	s_movk_i32 s0, 0x7fff
	v_add3_u32 v3, v3, v5, s0
	v_lshrrev_b32_e32 v3, 16, v3
	global_store_dword v[0:1], v3, off
	s_mov_b64 s[0:1], 0
.LBB14_1917:
	s_mov_b64 s[6:7], 0
.LBB14_1918:
	s_and_b64 vcc, exec, s[6:7]
	s_cbranch_vccz .LBB14_1923
; %bb.1919:
	s_cmp_eq_u32 s16, 44
	s_mov_b64 s[0:1], -1
	s_cbranch_scc0 .LBB14_1923
; %bb.1920:
	v_cvt_f32_ubyte0_e32 v5, v2
	v_lshrrev_b32_e32 v3, 23, v5
	s_movk_i32 s0, 0xff
	v_cmp_ne_u32_e32 vcc, s0, v3
	v_mov_b32_e32 v6, 0xff
	s_and_saveexec_b64 s[6:7], vcc
; %bb.1921:
	s_mov_b32 s0, 0x3fffff
	v_and_b32_e32 v6, 0x400000, v5
	v_and_or_b32 v5, v5, s0, v3
	v_cmp_ne_u32_e32 vcc, 0, v6
	v_cmp_ne_u32_e64 s[0:1], 0, v5
	s_and_b64 s[0:1], vcc, s[0:1]
	s_nop 0
	v_cndmask_b32_e64 v5, 0, 1, s[0:1]
	v_add_u32_e32 v6, v3, v5
; %bb.1922:
	s_or_b64 exec, exec, s[6:7]
	s_mov_b64 s[0:1], 0
	global_store_byte v[0:1], v6, off
.LBB14_1923:
	s_mov_b64 s[6:7], 0
.LBB14_1924:
	s_and_b64 vcc, exec, s[6:7]
	s_cbranch_vccz .LBB14_1927
; %bb.1925:
	s_cmp_eq_u32 s16, 29
	s_mov_b64 s[0:1], -1
	s_cbranch_scc0 .LBB14_1927
; %bb.1926:
	v_and_b32_e32 v6, 0xff, v2
	v_mov_b32_e32 v7, 0
	global_store_dwordx2 v[0:1], v[6:7], off
	s_mov_b64 s[0:1], 0
.LBB14_1927:
	s_mov_b64 s[6:7], 0
.LBB14_1928:
	s_and_b64 vcc, exec, s[6:7]
	s_cbranch_vccz .LBB14_1943
; %bb.1929:
	s_cmp_lt_i32 s16, 27
	s_mov_b64 s[6:7], -1
	s_cbranch_scc1 .LBB14_1935
; %bb.1930:
	s_cmp_gt_i32 s16, 27
	s_cbranch_scc0 .LBB14_1932
; %bb.1931:
	v_and_b32_e32 v3, 0xff, v2
	global_store_dword v[0:1], v3, off
	s_mov_b64 s[6:7], 0
.LBB14_1932:
	s_andn2_b64 vcc, exec, s[6:7]
	s_cbranch_vccnz .LBB14_1934
; %bb.1933:
	v_and_b32_e32 v3, 0xff, v2
	global_store_short v[0:1], v3, off
.LBB14_1934:
	s_mov_b64 s[6:7], 0
.LBB14_1935:
	s_andn2_b64 vcc, exec, s[6:7]
	s_cbranch_vccnz .LBB14_1943
; %bb.1936:
	v_cvt_f32_ubyte0_e32 v5, v2
	s_mov_b32 s6, 0x43800000
	v_cmp_gt_u32_e32 vcc, s6, v5
	v_mov_b32_e32 v6, 0x80
	s_and_saveexec_b64 s[6:7], vcc
	s_cbranch_execz .LBB14_1942
; %bb.1937:
	s_mov_b32 s8, 0x3bffffff
	v_cmp_lt_u32_e32 vcc, s8, v5
	s_mov_b64 s[8:9], 0
                                        ; implicit-def: $vgpr3
	s_and_saveexec_b64 s[10:11], vcc
	s_xor_b64 s[10:11], exec, s[10:11]
	s_cbranch_execz .LBB14_2004
; %bb.1938:
	v_bfe_u32 v3, v5, 20, 1
	s_mov_b32 s17, 0x487ffff
	v_add3_u32 v3, v5, v3, s17
	s_mov_b64 s[8:9], exec
	v_lshrrev_b32_e32 v3, 20, v3
                                        ; implicit-def: $vgpr5
	s_andn2_saveexec_b64 s[10:11], s[10:11]
	s_cbranch_execnz .LBB14_2005
.LBB14_1939:
	s_or_b64 exec, exec, s[10:11]
	v_mov_b32_e32 v6, 0
	s_and_saveexec_b64 s[10:11], s[8:9]
.LBB14_1940:
	v_mov_b32_e32 v6, v3
.LBB14_1941:
	s_or_b64 exec, exec, s[10:11]
.LBB14_1942:
	s_or_b64 exec, exec, s[6:7]
	global_store_byte v[0:1], v6, off
.LBB14_1943:
	s_mov_b64 s[6:7], 0
.LBB14_1944:
	s_and_b64 vcc, exec, s[6:7]
	s_cbranch_vccz .LBB14_1984
; %bb.1945:
	s_cmp_gt_i32 s16, 22
	s_mov_b64 s[4:5], -1
	s_cbranch_scc0 .LBB14_1977
; %bb.1946:
	s_cmp_lt_i32 s16, 24
	s_cbranch_scc1 .LBB14_1966
; %bb.1947:
	s_cmp_gt_i32 s16, 24
	s_cbranch_scc0 .LBB14_1955
; %bb.1948:
	v_cvt_f32_ubyte0_e32 v5, v2
	s_mov_b32 s4, 0x47800000
	v_cmp_gt_u32_e32 vcc, s4, v5
	v_mov_b32_e32 v6, 0x80
	s_and_saveexec_b64 s[4:5], vcc
	s_cbranch_execz .LBB14_1954
; %bb.1949:
	s_mov_b32 s6, 0x37ffffff
	v_cmp_lt_u32_e32 vcc, s6, v5
	s_mov_b64 s[6:7], 0
                                        ; implicit-def: $vgpr3
	s_and_saveexec_b64 s[8:9], vcc
	s_xor_b64 s[8:9], exec, s[8:9]
	s_cbranch_execz .LBB14_2007
; %bb.1950:
	v_bfe_u32 v3, v5, 21, 1
	s_mov_b32 s10, 0x88fffff
	v_add3_u32 v3, v5, v3, s10
	s_mov_b64 s[6:7], exec
	v_lshrrev_b32_e32 v3, 21, v3
                                        ; implicit-def: $vgpr5
	s_andn2_saveexec_b64 s[8:9], s[8:9]
	s_cbranch_execnz .LBB14_2008
.LBB14_1951:
	s_or_b64 exec, exec, s[8:9]
	v_mov_b32_e32 v6, 0
	s_and_saveexec_b64 s[8:9], s[6:7]
.LBB14_1952:
	v_mov_b32_e32 v6, v3
.LBB14_1953:
	s_or_b64 exec, exec, s[8:9]
.LBB14_1954:
	s_or_b64 exec, exec, s[4:5]
	s_mov_b64 s[4:5], 0
	global_store_byte v[0:1], v6, off
.LBB14_1955:
	s_and_b64 vcc, exec, s[4:5]
	s_cbranch_vccz .LBB14_1965
; %bb.1956:
	v_cvt_f32_ubyte0_e32 v3, v2
	s_mov_b32 s4, 0x43f00000
	v_cmp_gt_u32_e32 vcc, s4, v3
                                        ; implicit-def: $vgpr5
	s_and_saveexec_b64 s[4:5], vcc
	s_xor_b64 s[4:5], exec, s[4:5]
	s_cbranch_execz .LBB14_1962
; %bb.1957:
	s_mov_b32 s6, 0x3c7fffff
	v_cmp_lt_u32_e32 vcc, s6, v3
                                        ; implicit-def: $vgpr5
	s_and_saveexec_b64 s[6:7], vcc
	s_xor_b64 s[6:7], exec, s[6:7]
; %bb.1958:
	v_bfe_u32 v5, v3, 20, 1
	s_mov_b32 s8, 0x407ffff
	v_add3_u32 v3, v3, v5, s8
	v_lshrrev_b32_e32 v5, 20, v3
	v_and_b32_e32 v3, 0xff00000, v3
	s_mov_b32 s8, 0x7f00000
	v_mov_b32_e32 v6, 0x7e
	v_cmp_ne_u32_e32 vcc, s8, v3
                                        ; implicit-def: $vgpr3
	s_nop 1
	v_cndmask_b32_e32 v5, v6, v5, vcc
; %bb.1959:
	s_andn2_saveexec_b64 s[6:7], s[6:7]
; %bb.1960:
	v_add_f32_e32 v5, 0x46800000, v3
; %bb.1961:
	s_or_b64 exec, exec, s[6:7]
                                        ; implicit-def: $vgpr3
.LBB14_1962:
	s_andn2_saveexec_b64 s[4:5], s[4:5]
; %bb.1963:
	s_mov_b32 s6, 0x7f800000
	v_mov_b32_e32 v5, 0x7e
	v_mov_b32_e32 v6, 0x7f
	v_cmp_lt_u32_e32 vcc, s6, v3
	s_nop 1
	v_cndmask_b32_e32 v5, v5, v6, vcc
; %bb.1964:
	s_or_b64 exec, exec, s[4:5]
	global_store_byte v[0:1], v5, off
.LBB14_1965:
	s_mov_b64 s[4:5], 0
.LBB14_1966:
	s_andn2_b64 vcc, exec, s[4:5]
	s_cbranch_vccnz .LBB14_1976
; %bb.1967:
	v_cvt_f32_ubyte0_e32 v3, v2
	s_mov_b32 s4, 0x47800000
	v_cmp_gt_u32_e32 vcc, s4, v3
                                        ; implicit-def: $vgpr5
	s_and_saveexec_b64 s[4:5], vcc
	s_xor_b64 s[4:5], exec, s[4:5]
	s_cbranch_execz .LBB14_1973
; %bb.1968:
	s_mov_b32 s6, 0x387fffff
	v_cmp_lt_u32_e32 vcc, s6, v3
                                        ; implicit-def: $vgpr5
	s_and_saveexec_b64 s[6:7], vcc
	s_xor_b64 s[6:7], exec, s[6:7]
; %bb.1969:
	v_bfe_u32 v5, v3, 21, 1
	s_mov_b32 s8, 0x80fffff
	v_add3_u32 v3, v3, v5, s8
	v_lshrrev_b32_e32 v5, 21, v3
                                        ; implicit-def: $vgpr3
; %bb.1970:
	s_andn2_saveexec_b64 s[6:7], s[6:7]
; %bb.1971:
	v_add_f32_e32 v5, 0x43000000, v3
; %bb.1972:
	s_or_b64 exec, exec, s[6:7]
                                        ; implicit-def: $vgpr3
.LBB14_1973:
	s_andn2_saveexec_b64 s[4:5], s[4:5]
; %bb.1974:
	s_mov_b32 s6, 0x7f800000
	v_mov_b32_e32 v5, 0x7c
	v_mov_b32_e32 v6, 0x7f
	v_cmp_lt_u32_e32 vcc, s6, v3
	s_nop 1
	v_cndmask_b32_e32 v5, v5, v6, vcc
; %bb.1975:
	s_or_b64 exec, exec, s[4:5]
	global_store_byte v[0:1], v5, off
.LBB14_1976:
	s_mov_b64 s[4:5], 0
.LBB14_1977:
	s_andn2_b64 vcc, exec, s[4:5]
	s_mov_b64 s[4:5], 0
	s_cbranch_vccnz .LBB14_1984
; %bb.1978:
	s_cmp_gt_i32 s16, 14
	s_mov_b64 s[6:7], -1
	s_cbranch_scc0 .LBB14_1982
; %bb.1979:
	s_cmp_eq_u32 s16, 15
	s_mov_b64 s[0:1], -1
	s_cbranch_scc0 .LBB14_1981
; %bb.1980:
	v_cvt_f32_ubyte0_e32 v3, v2
	v_bfe_u32 v5, v3, 16, 1
	s_movk_i32 s0, 0x7fff
	v_add3_u32 v3, v3, v5, s0
	global_store_short_d16_hi v[0:1], v3, off
	s_mov_b64 s[0:1], 0
.LBB14_1981:
	s_mov_b64 s[6:7], 0
.LBB14_1982:
	s_and_b64 vcc, exec, s[6:7]
	s_cbranch_vccz .LBB14_1984
; %bb.1983:
	s_cmp_lg_u32 s16, 11
	s_mov_b64 s[4:5], -1
	s_cselect_b64 s[0:1], -1, 0
.LBB14_1984:
	s_and_b64 vcc, exec, s[0:1]
	s_cbranch_vccnz .LBB14_2006
.LBB14_1985:
	s_mov_b64 s[0:1], 0
	s_branch .LBB14_1395
.LBB14_1986:
	s_mov_b64 s[0:1], 0
                                        ; implicit-def: $sgpr20
                                        ; implicit-def: $vgpr0_vgpr1
                                        ; implicit-def: $vgpr2
	s_branch .LBB14_1394
.LBB14_1987:
	s_mov_b64 s[4:5], 0
	s_mov_b64 s[0:1], -1
	s_branch .LBB14_1395
.LBB14_1988:
	s_trap 2
	s_or_b64 s[14:15], s[14:15], exec
	s_cbranch_execz .LBB14_1501
	s_branch .LBB14_1502
.LBB14_1989:
	s_andn2_saveexec_b64 s[18:19], s[18:19]
	s_cbranch_execz .LBB14_1581
.LBB14_1990:
	v_add_f32_e32 v3, 0x46000000, v5
	v_and_b32_e32 v3, 0xff, v3
	v_cmp_ne_u32_e32 vcc, 0, v3
	s_andn2_b64 s[16:17], s[16:17], exec
	s_and_b64 s[22:23], vcc, exec
	s_or_b64 s[16:17], s[16:17], s[22:23]
	s_or_b64 exec, exec, s[18:19]
	v_mov_b32_e32 v7, 0
	s_and_saveexec_b64 s[18:19], s[16:17]
	s_cbranch_execnz .LBB14_1582
	s_branch .LBB14_1583
.LBB14_1991:
	s_trap 2
	s_or_b64 s[14:15], s[14:15], exec
	s_cbranch_execz .LBB14_1629
	s_branch .LBB14_1630
.LBB14_1992:
	s_andn2_saveexec_b64 s[16:17], s[16:17]
	s_cbranch_execz .LBB14_1594
.LBB14_1993:
	v_add_f32_e32 v3, 0x42800000, v5
	v_and_b32_e32 v3, 0xff, v3
	v_cmp_ne_u32_e32 vcc, 0, v3
	s_andn2_b64 s[10:11], s[10:11], exec
	s_and_b64 s[18:19], vcc, exec
	s_or_b64 s[10:11], s[10:11], s[18:19]
	s_or_b64 exec, exec, s[16:17]
	v_mov_b32_e32 v7, 0
	s_and_saveexec_b64 s[16:17], s[10:11]
	s_cbranch_execnz .LBB14_1595
	s_branch .LBB14_1596
.LBB14_1994:
	s_andn2_saveexec_b64 s[16:17], s[16:17]
	s_cbranch_execz .LBB14_1700
.LBB14_1995:
	v_add_f32_e32 v1, 0x46000000, v5
	v_and_b32_e32 v1, 0xff, v1
	v_cmp_ne_u32_e32 vcc, 0, v1
	s_andn2_b64 s[10:11], s[10:11], exec
	s_and_b64 s[22:23], vcc, exec
	s_or_b64 s[10:11], s[10:11], s[22:23]
	s_or_b64 exec, exec, s[16:17]
	v_mov_b32_e32 v7, 0
	s_and_saveexec_b64 s[16:17], s[10:11]
	s_cbranch_execnz .LBB14_1701
	s_branch .LBB14_1702
.LBB14_1996:
	s_trap 2
	s_or_b64 s[14:15], s[14:15], exec
	s_cbranch_execz .LBB14_1748
	s_branch .LBB14_1749
.LBB14_1997:
	s_andn2_saveexec_b64 s[10:11], s[10:11]
	s_cbranch_execz .LBB14_1713
.LBB14_1998:
	v_add_f32_e32 v1, 0x42800000, v5
	v_and_b32_e32 v1, 0xff, v1
	v_cmp_ne_u32_e32 vcc, 0, v1
	s_andn2_b64 s[8:9], s[8:9], exec
	s_and_b64 s[16:17], vcc, exec
	s_or_b64 s[8:9], s[8:9], s[16:17]
	s_or_b64 exec, exec, s[10:11]
	v_mov_b32_e32 v7, 0
	s_and_saveexec_b64 s[10:11], s[8:9]
	s_cbranch_execnz .LBB14_1714
	s_branch .LBB14_1715
.LBB14_1999:
	s_andn2_saveexec_b64 s[16:17], s[16:17]
	s_cbranch_execz .LBB14_1819
.LBB14_2000:
	v_add_f32_e32 v1, 0x46000000, v7
	v_and_b32_e32 v1, 0xff, v1
	v_cmp_ne_u32_e32 vcc, 0, v1
	s_andn2_b64 s[10:11], s[10:11], exec
	s_and_b64 s[22:23], vcc, exec
	s_or_b64 s[10:11], s[10:11], s[22:23]
	s_or_b64 exec, exec, s[16:17]
	v_mov_b32_e32 v8, 0
	s_and_saveexec_b64 s[16:17], s[10:11]
	s_cbranch_execnz .LBB14_1820
	s_branch .LBB14_1821
.LBB14_2001:
	s_trap 2
	s_or_b64 s[14:15], s[14:15], exec
	s_cbranch_execz .LBB14_1867
	s_branch .LBB14_1868
.LBB14_2002:
	s_andn2_saveexec_b64 s[10:11], s[10:11]
	s_cbranch_execz .LBB14_1832
.LBB14_2003:
	v_add_f32_e32 v1, 0x42800000, v7
	v_and_b32_e32 v1, 0xff, v1
	v_cmp_ne_u32_e32 vcc, 0, v1
	s_andn2_b64 s[8:9], s[8:9], exec
	s_and_b64 s[16:17], vcc, exec
	s_or_b64 s[8:9], s[8:9], s[16:17]
	s_or_b64 exec, exec, s[10:11]
	v_mov_b32_e32 v8, 0
	s_and_saveexec_b64 s[10:11], s[8:9]
	s_cbranch_execnz .LBB14_1833
	s_branch .LBB14_1834
.LBB14_2004:
	s_andn2_saveexec_b64 s[10:11], s[10:11]
	s_cbranch_execz .LBB14_1939
.LBB14_2005:
	v_add_f32_e32 v3, 0x46000000, v5
	v_and_b32_e32 v3, 0xff, v3
	v_cmp_ne_u32_e32 vcc, 0, v3
	s_andn2_b64 s[8:9], s[8:9], exec
	s_and_b64 s[18:19], vcc, exec
	s_or_b64 s[8:9], s[8:9], s[18:19]
	s_or_b64 exec, exec, s[10:11]
	v_mov_b32_e32 v6, 0
	s_and_saveexec_b64 s[10:11], s[8:9]
	s_cbranch_execnz .LBB14_1940
	s_branch .LBB14_1941
.LBB14_2006:
	s_mov_b64 s[4:5], 0
	s_or_b64 s[14:15], s[14:15], exec
	s_trap 2
	s_branch .LBB14_1985
.LBB14_2007:
	s_andn2_saveexec_b64 s[8:9], s[8:9]
	s_cbranch_execz .LBB14_1951
.LBB14_2008:
	v_add_f32_e32 v3, 0x42800000, v5
	v_and_b32_e32 v3, 0xff, v3
	v_cmp_ne_u32_e32 vcc, 0, v3
	s_andn2_b64 s[6:7], s[6:7], exec
	s_and_b64 s[10:11], vcc, exec
	s_or_b64 s[6:7], s[6:7], s[10:11]
	s_or_b64 exec, exec, s[8:9]
	v_mov_b32_e32 v6, 0
	s_and_saveexec_b64 s[8:9], s[6:7]
	s_cbranch_execnz .LBB14_1952
	s_branch .LBB14_1953
	.section	.rodata,"a",@progbits
	.p2align	6, 0x0
	.amdhsa_kernel _ZN2at6native32elementwise_kernel_manual_unrollILi128ELi4EZNS0_15gpu_kernel_implIZZZNS0_23bitwise_not_kernel_cudaERNS_18TensorIteratorBaseEENKUlvE_clEvENKUlvE_clEvEUlhE_EEvS4_RKT_EUlibE_EEviT1_
		.amdhsa_group_segment_fixed_size 0
		.amdhsa_private_segment_fixed_size 0
		.amdhsa_kernarg_size 40
		.amdhsa_user_sgpr_count 2
		.amdhsa_user_sgpr_dispatch_ptr 0
		.amdhsa_user_sgpr_queue_ptr 0
		.amdhsa_user_sgpr_kernarg_segment_ptr 1
		.amdhsa_user_sgpr_dispatch_id 0
		.amdhsa_user_sgpr_kernarg_preload_length 0
		.amdhsa_user_sgpr_kernarg_preload_offset 0
		.amdhsa_user_sgpr_private_segment_size 0
		.amdhsa_uses_dynamic_stack 0
		.amdhsa_enable_private_segment 0
		.amdhsa_system_sgpr_workgroup_id_x 1
		.amdhsa_system_sgpr_workgroup_id_y 0
		.amdhsa_system_sgpr_workgroup_id_z 0
		.amdhsa_system_sgpr_workgroup_info 0
		.amdhsa_system_vgpr_workitem_id 0
		.amdhsa_next_free_vgpr 16
		.amdhsa_next_free_sgpr 46
		.amdhsa_accum_offset 16
		.amdhsa_reserve_vcc 1
		.amdhsa_float_round_mode_32 0
		.amdhsa_float_round_mode_16_64 0
		.amdhsa_float_denorm_mode_32 3
		.amdhsa_float_denorm_mode_16_64 3
		.amdhsa_dx10_clamp 1
		.amdhsa_ieee_mode 1
		.amdhsa_fp16_overflow 0
		.amdhsa_tg_split 0
		.amdhsa_exception_fp_ieee_invalid_op 0
		.amdhsa_exception_fp_denorm_src 0
		.amdhsa_exception_fp_ieee_div_zero 0
		.amdhsa_exception_fp_ieee_overflow 0
		.amdhsa_exception_fp_ieee_underflow 0
		.amdhsa_exception_fp_ieee_inexact 0
		.amdhsa_exception_int_div_zero 0
	.end_amdhsa_kernel
	.section	.text._ZN2at6native32elementwise_kernel_manual_unrollILi128ELi4EZNS0_15gpu_kernel_implIZZZNS0_23bitwise_not_kernel_cudaERNS_18TensorIteratorBaseEENKUlvE_clEvENKUlvE_clEvEUlhE_EEvS4_RKT_EUlibE_EEviT1_,"axG",@progbits,_ZN2at6native32elementwise_kernel_manual_unrollILi128ELi4EZNS0_15gpu_kernel_implIZZZNS0_23bitwise_not_kernel_cudaERNS_18TensorIteratorBaseEENKUlvE_clEvENKUlvE_clEvEUlhE_EEvS4_RKT_EUlibE_EEviT1_,comdat
.Lfunc_end14:
	.size	_ZN2at6native32elementwise_kernel_manual_unrollILi128ELi4EZNS0_15gpu_kernel_implIZZZNS0_23bitwise_not_kernel_cudaERNS_18TensorIteratorBaseEENKUlvE_clEvENKUlvE_clEvEUlhE_EEvS4_RKT_EUlibE_EEviT1_, .Lfunc_end14-_ZN2at6native32elementwise_kernel_manual_unrollILi128ELi4EZNS0_15gpu_kernel_implIZZZNS0_23bitwise_not_kernel_cudaERNS_18TensorIteratorBaseEENKUlvE_clEvENKUlvE_clEvEUlhE_EEvS4_RKT_EUlibE_EEviT1_
                                        ; -- End function
	.set _ZN2at6native32elementwise_kernel_manual_unrollILi128ELi4EZNS0_15gpu_kernel_implIZZZNS0_23bitwise_not_kernel_cudaERNS_18TensorIteratorBaseEENKUlvE_clEvENKUlvE_clEvEUlhE_EEvS4_RKT_EUlibE_EEviT1_.num_vgpr, 16
	.set _ZN2at6native32elementwise_kernel_manual_unrollILi128ELi4EZNS0_15gpu_kernel_implIZZZNS0_23bitwise_not_kernel_cudaERNS_18TensorIteratorBaseEENKUlvE_clEvENKUlvE_clEvEUlhE_EEvS4_RKT_EUlibE_EEviT1_.num_agpr, 0
	.set _ZN2at6native32elementwise_kernel_manual_unrollILi128ELi4EZNS0_15gpu_kernel_implIZZZNS0_23bitwise_not_kernel_cudaERNS_18TensorIteratorBaseEENKUlvE_clEvENKUlvE_clEvEUlhE_EEvS4_RKT_EUlibE_EEviT1_.numbered_sgpr, 46
	.set _ZN2at6native32elementwise_kernel_manual_unrollILi128ELi4EZNS0_15gpu_kernel_implIZZZNS0_23bitwise_not_kernel_cudaERNS_18TensorIteratorBaseEENKUlvE_clEvENKUlvE_clEvEUlhE_EEvS4_RKT_EUlibE_EEviT1_.num_named_barrier, 0
	.set _ZN2at6native32elementwise_kernel_manual_unrollILi128ELi4EZNS0_15gpu_kernel_implIZZZNS0_23bitwise_not_kernel_cudaERNS_18TensorIteratorBaseEENKUlvE_clEvENKUlvE_clEvEUlhE_EEvS4_RKT_EUlibE_EEviT1_.private_seg_size, 0
	.set _ZN2at6native32elementwise_kernel_manual_unrollILi128ELi4EZNS0_15gpu_kernel_implIZZZNS0_23bitwise_not_kernel_cudaERNS_18TensorIteratorBaseEENKUlvE_clEvENKUlvE_clEvEUlhE_EEvS4_RKT_EUlibE_EEviT1_.uses_vcc, 1
	.set _ZN2at6native32elementwise_kernel_manual_unrollILi128ELi4EZNS0_15gpu_kernel_implIZZZNS0_23bitwise_not_kernel_cudaERNS_18TensorIteratorBaseEENKUlvE_clEvENKUlvE_clEvEUlhE_EEvS4_RKT_EUlibE_EEviT1_.uses_flat_scratch, 0
	.set _ZN2at6native32elementwise_kernel_manual_unrollILi128ELi4EZNS0_15gpu_kernel_implIZZZNS0_23bitwise_not_kernel_cudaERNS_18TensorIteratorBaseEENKUlvE_clEvENKUlvE_clEvEUlhE_EEvS4_RKT_EUlibE_EEviT1_.has_dyn_sized_stack, 0
	.set _ZN2at6native32elementwise_kernel_manual_unrollILi128ELi4EZNS0_15gpu_kernel_implIZZZNS0_23bitwise_not_kernel_cudaERNS_18TensorIteratorBaseEENKUlvE_clEvENKUlvE_clEvEUlhE_EEvS4_RKT_EUlibE_EEviT1_.has_recursion, 0
	.set _ZN2at6native32elementwise_kernel_manual_unrollILi128ELi4EZNS0_15gpu_kernel_implIZZZNS0_23bitwise_not_kernel_cudaERNS_18TensorIteratorBaseEENKUlvE_clEvENKUlvE_clEvEUlhE_EEvS4_RKT_EUlibE_EEviT1_.has_indirect_call, 0
	.section	.AMDGPU.csdata,"",@progbits
; Kernel info:
; codeLenInByte = 33348
; TotalNumSgprs: 52
; NumVgprs: 16
; NumAgprs: 0
; TotalNumVgprs: 16
; ScratchSize: 0
; MemoryBound: 1
; FloatMode: 240
; IeeeMode: 1
; LDSByteSize: 0 bytes/workgroup (compile time only)
; SGPRBlocks: 6
; VGPRBlocks: 1
; NumSGPRsForWavesPerEU: 52
; NumVGPRsForWavesPerEU: 16
; AccumOffset: 16
; Occupancy: 8
; WaveLimiterHint : 0
; COMPUTE_PGM_RSRC2:SCRATCH_EN: 0
; COMPUTE_PGM_RSRC2:USER_SGPR: 2
; COMPUTE_PGM_RSRC2:TRAP_HANDLER: 0
; COMPUTE_PGM_RSRC2:TGID_X_EN: 1
; COMPUTE_PGM_RSRC2:TGID_Y_EN: 0
; COMPUTE_PGM_RSRC2:TGID_Z_EN: 0
; COMPUTE_PGM_RSRC2:TIDIG_COMP_CNT: 0
; COMPUTE_PGM_RSRC3_GFX90A:ACCUM_OFFSET: 3
; COMPUTE_PGM_RSRC3_GFX90A:TG_SPLIT: 0
	.section	.text._ZN2at6native32elementwise_kernel_manual_unrollILi128ELi4EZNS0_15gpu_kernel_implIZZZNS0_23bitwise_not_kernel_cudaERNS_18TensorIteratorBaseEENKUlvE_clEvENKUlvE_clEvEUlhE_EEvS4_RKT_EUlibE0_EEviT1_,"axG",@progbits,_ZN2at6native32elementwise_kernel_manual_unrollILi128ELi4EZNS0_15gpu_kernel_implIZZZNS0_23bitwise_not_kernel_cudaERNS_18TensorIteratorBaseEENKUlvE_clEvENKUlvE_clEvEUlhE_EEvS4_RKT_EUlibE0_EEviT1_,comdat
	.globl	_ZN2at6native32elementwise_kernel_manual_unrollILi128ELi4EZNS0_15gpu_kernel_implIZZZNS0_23bitwise_not_kernel_cudaERNS_18TensorIteratorBaseEENKUlvE_clEvENKUlvE_clEvEUlhE_EEvS4_RKT_EUlibE0_EEviT1_ ; -- Begin function _ZN2at6native32elementwise_kernel_manual_unrollILi128ELi4EZNS0_15gpu_kernel_implIZZZNS0_23bitwise_not_kernel_cudaERNS_18TensorIteratorBaseEENKUlvE_clEvENKUlvE_clEvEUlhE_EEvS4_RKT_EUlibE0_EEviT1_
	.p2align	8
	.type	_ZN2at6native32elementwise_kernel_manual_unrollILi128ELi4EZNS0_15gpu_kernel_implIZZZNS0_23bitwise_not_kernel_cudaERNS_18TensorIteratorBaseEENKUlvE_clEvENKUlvE_clEvEUlhE_EEvS4_RKT_EUlibE0_EEviT1_,@function
_ZN2at6native32elementwise_kernel_manual_unrollILi128ELi4EZNS0_15gpu_kernel_implIZZZNS0_23bitwise_not_kernel_cudaERNS_18TensorIteratorBaseEENKUlvE_clEvENKUlvE_clEvEUlhE_EEvS4_RKT_EUlibE0_EEviT1_: ; @_ZN2at6native32elementwise_kernel_manual_unrollILi128ELi4EZNS0_15gpu_kernel_implIZZZNS0_23bitwise_not_kernel_cudaERNS_18TensorIteratorBaseEENKUlvE_clEvENKUlvE_clEvEUlhE_EEvS4_RKT_EUlibE0_EEviT1_
; %bb.0:
	s_load_dword s70, s[0:1], 0x0
	s_load_dword s33, s[0:1], 0x8
	s_add_u32 s34, s0, 8
	s_addc_u32 s35, s1, 0
	v_lshl_or_b32 v13, s2, 9, v0
	v_or_b32_e32 v16, 0x180, v13
	s_waitcnt lgkmcnt(0)
	s_add_i32 s72, s33, -1
	s_cmp_gt_u32 s72, 1
	v_cmp_le_i32_e32 vcc, s70, v16
	s_cselect_b64 s[42:43], -1, 0
	s_mov_b64 s[40:41], 0
	s_mov_b64 s[24:25], 0
	s_and_saveexec_b64 s[2:3], vcc
	s_xor_b64 s[44:45], exec, s[2:3]
	s_cbranch_execz .LBB15_1074
; %bb.1:
	v_mov_b32_e32 v0, 0
	global_load_ushort v0, v0, s[34:35] offset:345
	s_load_dwordx4 s[28:31], s[34:35], 0x4
	s_load_dwordx2 s[46:47], s[34:35], 0x14
	s_load_dwordx4 s[24:27], s[34:35], 0xc4
	s_load_dwordx4 s[20:23], s[34:35], 0x148
	s_cmp_lg_u32 s33, 0
	s_cselect_b64 s[52:53], -1, 0
	s_add_u32 s50, s34, 0xc4
	s_addc_u32 s51, s35, 0
	s_min_u32 s75, s72, 15
	s_cmp_gt_u32 s33, 1
	s_cselect_b64 s[48:49], -1, 0
	v_cmp_gt_i32_e32 vcc, s70, v13
	s_mov_b64 s[4:5], -1
	s_mov_b64 s[62:63], 0
	s_mov_b64 s[56:57], 0
	s_mov_b64 s[54:55], 0
	s_waitcnt vmcnt(0)
	v_readfirstlane_b32 s73, v0
	s_and_b32 s2, 0xffff, s73
	s_lshr_b32 s74, s2, 8
	s_and_saveexec_b64 s[58:59], vcc
	s_cbranch_execz .LBB15_263
; %bb.2:
	s_andn2_b64 vcc, exec, s[42:43]
	s_cbranch_vccnz .LBB15_8
; %bb.3:
	s_andn2_b64 vcc, exec, s[52:53]
	s_cbranch_vccnz .LBB15_9
; %bb.4:
	s_add_i32 s57, s75, 1
	s_cmp_eq_u32 s72, 2
	s_cbranch_scc1 .LBB15_10
; %bb.5:
	s_and_b32 s56, s57, 28
	s_mov_b32 s60, 0
	v_mov_b32_e32 v0, 0
	v_mov_b32_e32 v2, 0
	s_mov_b64 s[2:3], s[34:35]
	s_mov_b64 s[54:55], s[50:51]
	v_mov_b32_e32 v4, v13
.LBB15_6:                               ; =>This Inner Loop Header: Depth=1
	s_load_dwordx8 s[12:19], s[2:3], 0x4
	s_load_dwordx4 s[36:39], s[2:3], 0x24
	s_load_dwordx8 s[4:11], s[54:55], 0x0
	s_add_u32 s2, s2, 48
	s_addc_u32 s3, s3, 0
	s_waitcnt lgkmcnt(0)
	v_mul_hi_u32 v1, s13, v4
	v_add_u32_e32 v1, v4, v1
	v_lshrrev_b32_e32 v1, s14, v1
	v_mul_lo_u32 v3, v1, s12
	v_mul_hi_u32 v5, s16, v1
	v_sub_u32_e32 v3, v4, v3
	v_add_u32_e32 v4, v1, v5
	v_lshrrev_b32_e32 v4, s17, v4
	v_mul_lo_u32 v6, v4, s15
	v_mul_hi_u32 v7, s19, v4
	v_sub_u32_e32 v1, v1, v6
	v_add_u32_e32 v6, v4, v7
	v_mul_lo_u32 v5, v3, s5
	v_mul_lo_u32 v3, v3, s4
	;; [unrolled: 1-line block ×4, first 2 shown]
	v_lshrrev_b32_e32 v6, s36, v6
	v_add3_u32 v0, v3, v0, v1
	v_mul_hi_u32 v3, s38, v6
	v_add3_u32 v1, v5, v2, v7
	v_mul_lo_u32 v2, v6, s18
	v_add_u32_e32 v3, v6, v3
	v_sub_u32_e32 v2, v4, v2
	v_lshrrev_b32_e32 v4, s39, v3
	s_add_i32 s60, s60, 4
	v_mul_lo_u32 v3, v4, s37
	s_add_u32 s54, s54, 32
	v_sub_u32_e32 v3, v6, v3
	s_addc_u32 s55, s55, 0
	v_mul_lo_u32 v5, v2, s8
	v_mul_lo_u32 v2, v2, s9
	;; [unrolled: 1-line block ×4, first 2 shown]
	s_cmp_lg_u32 s56, s60
	v_add3_u32 v2, v2, v1, v3
	v_add3_u32 v0, v5, v0, v6
	s_cbranch_scc1 .LBB15_6
; %bb.7:
	v_mov_b32_e32 v1, v2
	s_branch .LBB15_11
.LBB15_8:
                                        ; implicit-def: $vgpr2
                                        ; implicit-def: $vgpr0
	s_branch .LBB15_15
.LBB15_9:
	v_mov_b32_e32 v2, 0
	v_mov_b32_e32 v0, 0
	s_branch .LBB15_14
.LBB15_10:
	v_mov_b32_e32 v0, 0
	s_mov_b32 s56, 0
	v_mov_b32_e32 v1, v0
                                        ; implicit-def: $vgpr2
	v_mov_b32_e32 v4, v13
.LBB15_11:
	s_and_b32 s6, s57, 3
	s_cmp_eq_u32 s6, 0
	s_cbranch_scc1 .LBB15_14
; %bb.12:
	s_lshl_b32 s2, s56, 3
	s_add_u32 s2, s34, s2
	s_addc_u32 s3, s35, 0
	s_add_u32 s2, s2, 0xc4
	s_addc_u32 s3, s3, 0
	s_mul_i32 s4, s56, 12
	s_add_u32 s4, s34, s4
	s_addc_u32 s5, s35, 0
.LBB15_13:                              ; =>This Inner Loop Header: Depth=1
	s_load_dwordx2 s[8:9], s[4:5], 0x4
	s_load_dword s7, s[4:5], 0xc
	s_load_dwordx2 s[10:11], s[2:3], 0x0
	v_mov_b32_e32 v2, v1
	s_add_u32 s4, s4, 12
	s_waitcnt lgkmcnt(0)
	v_mul_hi_u32 v1, s9, v4
	v_add_u32_e32 v1, v4, v1
	v_lshrrev_b32_e32 v1, s7, v1
	s_addc_u32 s5, s5, 0
	v_mul_lo_u32 v3, v1, s8
	s_add_u32 s2, s2, 8
	v_sub_u32_e32 v5, v4, v3
	s_addc_u32 s3, s3, 0
	s_add_i32 s6, s6, -1
	v_mov_b32_e32 v4, v1
	v_mad_u64_u32 v[2:3], s[8:9], v5, s11, v[2:3]
	v_mad_u64_u32 v[0:1], s[8:9], v5, s10, v[0:1]
	s_cmp_lg_u32 s6, 0
	v_mov_b32_e32 v1, v2
	s_cbranch_scc1 .LBB15_13
.LBB15_14:
	s_cbranch_execnz .LBB15_17
.LBB15_15:
	s_waitcnt lgkmcnt(0)
	v_mul_hi_u32 v0, s29, v13
	v_add_u32_e32 v0, v13, v0
	v_lshrrev_b32_e32 v1, s30, v0
	v_mul_lo_u32 v0, v1, s28
	v_sub_u32_e32 v0, v13, v0
	v_mul_lo_u32 v2, v0, s25
	s_andn2_b64 vcc, exec, s[48:49]
	v_mul_lo_u32 v0, v0, s24
	s_cbranch_vccnz .LBB15_17
; %bb.16:
	v_mul_hi_u32 v3, s46, v1
	v_add_u32_e32 v3, v1, v3
	v_lshrrev_b32_e32 v3, s47, v3
	v_mul_lo_u32 v3, v3, s31
	v_sub_u32_e32 v3, v1, v3
	v_mad_u64_u32 v[0:1], s[2:3], v3, s26, v[0:1]
	v_mad_u64_u32 v[2:3], s[2:3], v3, s27, v[2:3]
.LBB15_17:
	v_mov_b32_e32 v3, 0
	s_and_b32 s8, 0xffff, s74
	s_cmp_lt_i32 s8, 11
	s_waitcnt lgkmcnt(0)
	v_lshl_add_u64 v[4:5], s[22:23], 0, v[2:3]
	s_cbranch_scc1 .LBB15_24
; %bb.18:
	s_cmp_gt_i32 s8, 25
	s_cbranch_scc0 .LBB15_33
; %bb.19:
	s_cmp_gt_i32 s8, 28
	s_cbranch_scc0 .LBB15_36
	;; [unrolled: 3-line block ×4, first 2 shown]
; %bb.22:
	s_cmp_eq_u32 s8, 46
	s_mov_b64 s[6:7], 0
	s_cbranch_scc0 .LBB15_42
; %bb.23:
	global_load_dword v1, v[4:5], off
	s_mov_b32 s2, 0x2f800000
	s_mov_b32 s3, 0xcf800000
	s_mov_b64 s[4:5], 0
	s_waitcnt vmcnt(0)
	v_lshlrev_b32_e32 v1, 16, v1
	v_trunc_f32_e32 v1, v1
	v_mul_f32_e64 v2, |v1|, s2
	v_floor_f32_e32 v2, v2
	v_fma_f32 v2, v2, s3, |v1|
	v_cvt_u32_f32_e32 v2, v2
	v_ashrrev_i32_e32 v1, 31, v1
	s_mov_b64 s[2:3], -1
	v_xor_b32_e32 v2, v2, v1
	v_sub_u32_e32 v2, v2, v1
	s_branch .LBB15_44
.LBB15_24:
	s_mov_b64 s[4:5], 0
                                        ; implicit-def: $vgpr2
	s_mov_b64 s[2:3], 0
	s_cbranch_execnz .LBB15_213
.LBB15_25:
	s_andn2_b64 vcc, exec, s[2:3]
	s_cbranch_vccnz .LBB15_260
.LBB15_26:
	v_mov_b32_e32 v1, 0
	s_and_b32 s12, s73, 0xff
	s_waitcnt vmcnt(0)
	v_xor_b32_e32 v3, -1, v2
	s_cmp_lt_i32 s12, 11
	v_lshl_add_u64 v[0:1], s[20:21], 0, v[0:1]
	s_cbranch_scc1 .LBB15_34
; %bb.27:
	s_and_b32 s13, 0xffff, s12
	s_cmp_gt_i32 s13, 25
	s_cbranch_scc0 .LBB15_37
; %bb.28:
	s_cmp_gt_i32 s13, 28
	s_cbranch_scc0 .LBB15_39
; %bb.29:
	s_cmp_gt_i32 s13, 43
	s_cbranch_scc0 .LBB15_41
; %bb.30:
	s_cmp_gt_i32 s13, 45
	s_cbranch_scc0 .LBB15_47
; %bb.31:
	s_mov_b64 s[8:9], 0
	s_mov_b64 s[2:3], -1
	s_cmp_eq_u32 s13, 46
	s_mov_b64 s[6:7], 0
	s_cbranch_scc0 .LBB15_48
; %bb.32:
	v_cvt_f32_ubyte0_e32 v4, v3
	v_bfe_u32 v5, v4, 16, 1
	s_movk_i32 s2, 0x7fff
	v_add3_u32 v4, v4, v5, s2
	v_lshrrev_b32_e32 v4, 16, v4
	global_store_dword v[0:1], v4, off
	s_mov_b64 s[6:7], -1
	s_mov_b64 s[2:3], 0
	s_branch .LBB15_48
.LBB15_33:
	s_mov_b64 s[4:5], 0
	s_mov_b64 s[2:3], 0
                                        ; implicit-def: $vgpr2
	s_cbranch_execnz .LBB15_180
	s_branch .LBB15_212
.LBB15_34:
	s_mov_b64 s[2:3], 0
	s_mov_b64 s[6:7], 0
	s_cbranch_execnz .LBB15_117
.LBB15_35:
	s_andn2_b64 vcc, exec, s[6:7]
	s_cbranch_vccnz .LBB15_261
	s_branch .LBB15_155
.LBB15_36:
	s_mov_b64 s[6:7], -1
	s_mov_b64 s[4:5], 0
	s_mov_b64 s[2:3], 0
                                        ; implicit-def: $vgpr2
	s_branch .LBB15_163
.LBB15_37:
	s_mov_b64 s[8:9], -1
	s_mov_b64 s[2:3], 0
	s_mov_b64 s[6:7], 0
	s_branch .LBB15_75
.LBB15_38:
	s_mov_b64 s[6:7], -1
	s_mov_b64 s[4:5], 0
	s_mov_b64 s[2:3], 0
                                        ; implicit-def: $vgpr2
	s_branch .LBB15_158
.LBB15_39:
	s_mov_b64 s[8:9], -1
	s_mov_b64 s[2:3], 0
	s_mov_b64 s[6:7], 0
	s_branch .LBB15_58
.LBB15_40:
	s_mov_b64 s[6:7], -1
	s_mov_b64 s[4:5], 0
	s_branch .LBB15_43
.LBB15_41:
	s_mov_b64 s[8:9], -1
	s_mov_b64 s[2:3], 0
	s_mov_b64 s[6:7], 0
	s_branch .LBB15_54
.LBB15_42:
	s_mov_b64 s[4:5], -1
.LBB15_43:
	s_mov_b64 s[2:3], 0
                                        ; implicit-def: $vgpr2
.LBB15_44:
	s_and_b64 vcc, exec, s[6:7]
	s_cbranch_vccz .LBB15_157
; %bb.45:
	s_cmp_eq_u32 s8, 44
	s_cbranch_scc0 .LBB15_156
; %bb.46:
	global_load_ubyte v1, v[4:5], off
	s_mov_b32 s2, 0x2f800000
	s_mov_b32 s3, 0xcf800000
	s_mov_b64 s[4:5], 0
	s_waitcnt vmcnt(0)
	v_lshlrev_b32_e32 v2, 23, v1
	v_trunc_f32_e32 v2, v2
	v_mul_f32_e64 v3, |v2|, s2
	v_floor_f32_e32 v3, v3
	v_fma_f32 v3, v3, s3, |v2|
	v_cvt_u32_f32_e32 v3, v3
	v_ashrrev_i32_e32 v2, 31, v2
	v_cmp_ne_u32_e32 vcc, 0, v1
	s_mov_b64 s[2:3], -1
	v_xor_b32_e32 v3, v3, v2
	v_sub_u32_e32 v2, v3, v2
	v_cndmask_b32_e32 v2, 0, v2, vcc
	s_branch .LBB15_157
.LBB15_47:
	s_mov_b64 s[8:9], -1
	s_mov_b64 s[2:3], 0
	s_mov_b64 s[6:7], 0
.LBB15_48:
	s_and_b64 vcc, exec, s[8:9]
	s_cbranch_vccz .LBB15_53
; %bb.49:
	s_cmp_eq_u32 s13, 44
	s_mov_b64 s[2:3], -1
	s_cbranch_scc0 .LBB15_53
; %bb.50:
	v_cvt_f32_ubyte0_e32 v5, v3
	v_lshrrev_b32_e32 v4, 23, v5
	s_movk_i32 s2, 0xff
	v_cmp_ne_u32_e32 vcc, s2, v4
	v_mov_b32_e32 v6, 0xff
	s_and_saveexec_b64 s[6:7], vcc
; %bb.51:
	s_mov_b32 s2, 0x3fffff
	v_and_b32_e32 v6, 0x400000, v5
	v_and_or_b32 v5, v5, s2, v4
	v_cmp_ne_u32_e32 vcc, 0, v6
	v_cmp_ne_u32_e64 s[2:3], 0, v5
	s_and_b64 s[2:3], vcc, s[2:3]
	s_nop 0
	v_cndmask_b32_e64 v5, 0, 1, s[2:3]
	v_add_u32_e32 v6, v4, v5
; %bb.52:
	s_or_b64 exec, exec, s[6:7]
	s_mov_b64 s[6:7], -1
	s_mov_b64 s[2:3], 0
	global_store_byte v[0:1], v6, off
.LBB15_53:
	s_mov_b64 s[8:9], 0
.LBB15_54:
	s_and_b64 vcc, exec, s[8:9]
	s_cbranch_vccz .LBB15_57
; %bb.55:
	s_cmp_eq_u32 s13, 29
	s_mov_b64 s[2:3], -1
	s_cbranch_scc0 .LBB15_57
; %bb.56:
	v_and_b32_e32 v4, 0xff, v3
	v_mov_b32_e32 v5, 0
	global_store_dwordx2 v[0:1], v[4:5], off
	s_mov_b64 s[6:7], -1
	s_mov_b64 s[2:3], 0
.LBB15_57:
	s_mov_b64 s[8:9], 0
.LBB15_58:
	s_and_b64 vcc, exec, s[8:9]
	s_cbranch_vccz .LBB15_74
; %bb.59:
	s_cmp_lt_i32 s13, 27
	s_mov_b64 s[6:7], -1
	s_cbranch_scc1 .LBB15_65
; %bb.60:
	s_cmp_gt_i32 s13, 27
	s_cbranch_scc0 .LBB15_62
; %bb.61:
	v_and_b32_e32 v4, 0xff, v3
	s_mov_b64 s[6:7], 0
	global_store_dword v[0:1], v4, off
.LBB15_62:
	s_andn2_b64 vcc, exec, s[6:7]
	s_cbranch_vccnz .LBB15_64
; %bb.63:
	v_and_b32_e32 v4, 0xff, v3
	global_store_short v[0:1], v4, off
.LBB15_64:
	s_mov_b64 s[6:7], 0
.LBB15_65:
	s_andn2_b64 vcc, exec, s[6:7]
	s_cbranch_vccnz .LBB15_73
; %bb.66:
	v_cvt_f32_ubyte0_e32 v5, v3
	s_mov_b32 s6, 0x43800000
	v_cmp_gt_u32_e32 vcc, s6, v5
	v_mov_b32_e32 v6, 0x80
	s_and_saveexec_b64 s[6:7], vcc
	s_cbranch_execz .LBB15_72
; %bb.67:
	s_mov_b32 s8, 0x3bffffff
	v_cmp_lt_u32_e32 vcc, s8, v5
	s_mov_b64 s[8:9], 0
                                        ; implicit-def: $vgpr4
	s_and_saveexec_b64 s[10:11], vcc
	s_xor_b64 s[10:11], exec, s[10:11]
	s_cbranch_execz .LBB15_305
; %bb.68:
	v_bfe_u32 v4, v5, 20, 1
	s_mov_b32 s14, 0x487ffff
	v_add3_u32 v4, v5, v4, s14
	s_mov_b64 s[8:9], exec
	v_lshrrev_b32_e32 v4, 20, v4
                                        ; implicit-def: $vgpr5
	s_andn2_saveexec_b64 s[10:11], s[10:11]
	s_cbranch_execnz .LBB15_306
.LBB15_69:
	s_or_b64 exec, exec, s[10:11]
	v_mov_b32_e32 v6, 0
	s_and_saveexec_b64 s[10:11], s[8:9]
.LBB15_70:
	v_mov_b32_e32 v6, v4
.LBB15_71:
	s_or_b64 exec, exec, s[10:11]
.LBB15_72:
	s_or_b64 exec, exec, s[6:7]
	global_store_byte v[0:1], v6, off
.LBB15_73:
	s_mov_b64 s[6:7], -1
.LBB15_74:
	s_mov_b64 s[8:9], 0
.LBB15_75:
	s_and_b64 vcc, exec, s[8:9]
	s_cbranch_vccz .LBB15_116
; %bb.76:
	s_cmp_gt_i32 s13, 22
	s_mov_b64 s[8:9], -1
	s_cbranch_scc0 .LBB15_108
; %bb.77:
	s_cmp_lt_i32 s13, 24
	s_mov_b64 s[6:7], -1
	s_cbranch_scc1 .LBB15_97
; %bb.78:
	s_cmp_gt_i32 s13, 24
	s_cbranch_scc0 .LBB15_86
; %bb.79:
	v_cvt_f32_ubyte0_e32 v5, v3
	s_mov_b32 s6, 0x47800000
	v_cmp_gt_u32_e32 vcc, s6, v5
	v_mov_b32_e32 v6, 0x80
	s_and_saveexec_b64 s[6:7], vcc
	s_cbranch_execz .LBB15_85
; %bb.80:
	s_mov_b32 s8, 0x37ffffff
	v_cmp_lt_u32_e32 vcc, s8, v5
	s_mov_b64 s[8:9], 0
                                        ; implicit-def: $vgpr4
	s_and_saveexec_b64 s[10:11], vcc
	s_xor_b64 s[10:11], exec, s[10:11]
	s_cbranch_execz .LBB15_309
; %bb.81:
	v_bfe_u32 v4, v5, 21, 1
	s_mov_b32 s14, 0x88fffff
	v_add3_u32 v4, v5, v4, s14
	s_mov_b64 s[8:9], exec
	v_lshrrev_b32_e32 v4, 21, v4
                                        ; implicit-def: $vgpr5
	s_andn2_saveexec_b64 s[10:11], s[10:11]
	s_cbranch_execnz .LBB15_310
.LBB15_82:
	s_or_b64 exec, exec, s[10:11]
	v_mov_b32_e32 v6, 0
	s_and_saveexec_b64 s[10:11], s[8:9]
.LBB15_83:
	v_mov_b32_e32 v6, v4
.LBB15_84:
	s_or_b64 exec, exec, s[10:11]
.LBB15_85:
	s_or_b64 exec, exec, s[6:7]
	s_mov_b64 s[6:7], 0
	global_store_byte v[0:1], v6, off
.LBB15_86:
	s_and_b64 vcc, exec, s[6:7]
	s_cbranch_vccz .LBB15_96
; %bb.87:
	v_cvt_f32_ubyte0_e32 v4, v3
	s_mov_b32 s6, 0x43f00000
	v_cmp_gt_u32_e32 vcc, s6, v4
                                        ; implicit-def: $vgpr5
	s_and_saveexec_b64 s[6:7], vcc
	s_xor_b64 s[6:7], exec, s[6:7]
	s_cbranch_execz .LBB15_93
; %bb.88:
	s_mov_b32 s8, 0x3c7fffff
	v_cmp_lt_u32_e32 vcc, s8, v4
                                        ; implicit-def: $vgpr5
	s_and_saveexec_b64 s[8:9], vcc
	s_xor_b64 s[8:9], exec, s[8:9]
; %bb.89:
	v_bfe_u32 v5, v4, 20, 1
	s_mov_b32 s10, 0x407ffff
	v_add3_u32 v4, v4, v5, s10
	v_lshrrev_b32_e32 v5, 20, v4
	v_and_b32_e32 v4, 0xff00000, v4
	s_mov_b32 s10, 0x7f00000
	v_mov_b32_e32 v6, 0x7e
	v_cmp_ne_u32_e32 vcc, s10, v4
                                        ; implicit-def: $vgpr4
	s_nop 1
	v_cndmask_b32_e32 v5, v6, v5, vcc
; %bb.90:
	s_andn2_saveexec_b64 s[8:9], s[8:9]
; %bb.91:
	v_add_f32_e32 v5, 0x46800000, v4
; %bb.92:
	s_or_b64 exec, exec, s[8:9]
                                        ; implicit-def: $vgpr4
.LBB15_93:
	s_andn2_saveexec_b64 s[6:7], s[6:7]
; %bb.94:
	s_mov_b32 s8, 0x7f800000
	v_mov_b32_e32 v5, 0x7e
	v_mov_b32_e32 v6, 0x7f
	v_cmp_lt_u32_e32 vcc, s8, v4
	s_nop 1
	v_cndmask_b32_e32 v5, v5, v6, vcc
; %bb.95:
	s_or_b64 exec, exec, s[6:7]
	global_store_byte v[0:1], v5, off
.LBB15_96:
	s_mov_b64 s[6:7], 0
.LBB15_97:
	s_andn2_b64 vcc, exec, s[6:7]
	s_cbranch_vccnz .LBB15_107
; %bb.98:
	v_cvt_f32_ubyte0_e32 v4, v3
	s_mov_b32 s6, 0x47800000
	v_cmp_gt_u32_e32 vcc, s6, v4
                                        ; implicit-def: $vgpr5
	s_and_saveexec_b64 s[6:7], vcc
	s_xor_b64 s[6:7], exec, s[6:7]
	s_cbranch_execz .LBB15_104
; %bb.99:
	s_mov_b32 s8, 0x387fffff
	v_cmp_lt_u32_e32 vcc, s8, v4
                                        ; implicit-def: $vgpr5
	s_and_saveexec_b64 s[8:9], vcc
	s_xor_b64 s[8:9], exec, s[8:9]
; %bb.100:
	v_bfe_u32 v5, v4, 21, 1
	s_mov_b32 s10, 0x80fffff
	v_add3_u32 v4, v4, v5, s10
	v_lshrrev_b32_e32 v5, 21, v4
                                        ; implicit-def: $vgpr4
; %bb.101:
	s_andn2_saveexec_b64 s[8:9], s[8:9]
; %bb.102:
	v_add_f32_e32 v5, 0x43000000, v4
; %bb.103:
	s_or_b64 exec, exec, s[8:9]
                                        ; implicit-def: $vgpr4
.LBB15_104:
	s_andn2_saveexec_b64 s[6:7], s[6:7]
; %bb.105:
	s_mov_b32 s8, 0x7f800000
	v_mov_b32_e32 v5, 0x7c
	v_mov_b32_e32 v6, 0x7f
	v_cmp_lt_u32_e32 vcc, s8, v4
	s_nop 1
	v_cndmask_b32_e32 v5, v5, v6, vcc
; %bb.106:
	s_or_b64 exec, exec, s[6:7]
	global_store_byte v[0:1], v5, off
.LBB15_107:
	s_mov_b64 s[8:9], 0
	s_mov_b64 s[6:7], -1
.LBB15_108:
	s_andn2_b64 vcc, exec, s[8:9]
	s_cbranch_vccnz .LBB15_116
; %bb.109:
	s_cmp_gt_i32 s13, 14
	s_mov_b64 s[8:9], -1
	s_cbranch_scc0 .LBB15_113
; %bb.110:
	s_cmp_eq_u32 s13, 15
	s_mov_b64 s[2:3], -1
	s_cbranch_scc0 .LBB15_112
; %bb.111:
	v_cvt_f32_ubyte0_e32 v4, v3
	v_bfe_u32 v5, v4, 16, 1
	s_movk_i32 s2, 0x7fff
	v_add3_u32 v4, v4, v5, s2
	global_store_short_d16_hi v[0:1], v4, off
	s_mov_b64 s[6:7], -1
	s_mov_b64 s[2:3], 0
.LBB15_112:
	s_mov_b64 s[8:9], 0
.LBB15_113:
	s_and_b64 vcc, exec, s[8:9]
	s_cbranch_vccz .LBB15_116
; %bb.114:
	s_cmp_eq_u32 s13, 11
	s_mov_b64 s[2:3], -1
	s_cbranch_scc0 .LBB15_116
; %bb.115:
	s_movk_i32 s2, 0xff
	v_cmp_ne_u16_sdwa s[2:3], v2, s2 src0_sel:BYTE_0 src1_sel:DWORD
	s_mov_b64 s[6:7], -1
	s_nop 0
	v_cndmask_b32_e64 v2, 0, 1, s[2:3]
	s_mov_b64 s[2:3], 0
	global_store_byte v[0:1], v2, off
.LBB15_116:
	s_branch .LBB15_35
.LBB15_117:
	s_and_b32 s8, 0xffff, s12
	s_cmp_lt_i32 s8, 5
	s_mov_b64 s[6:7], -1
	s_cbranch_scc1 .LBB15_138
; %bb.118:
	s_cmp_lt_i32 s8, 8
	s_cbranch_scc1 .LBB15_128
; %bb.119:
	s_cmp_lt_i32 s8, 9
	s_cbranch_scc1 .LBB15_125
; %bb.120:
	s_cmp_gt_i32 s8, 9
	s_cbranch_scc0 .LBB15_122
; %bb.121:
	s_mov_b32 s6, 0xffff
	v_and_b32_sdwa v2, s6, v3 dst_sel:DWORD dst_unused:UNUSED_PAD src0_sel:DWORD src1_sel:BYTE_0
	v_mov_b32_e32 v6, 0
	v_cvt_f64_u32_e32 v[4:5], v2
	v_mov_b32_e32 v7, v6
	global_store_dwordx4 v[0:1], v[4:7], off
	s_mov_b64 s[6:7], 0
.LBB15_122:
	s_andn2_b64 vcc, exec, s[6:7]
	s_cbranch_vccnz .LBB15_124
; %bb.123:
	v_cvt_f32_ubyte0_e32 v4, v3
	v_mov_b32_e32 v5, 0
	global_store_dwordx2 v[0:1], v[4:5], off
.LBB15_124:
	s_mov_b64 s[6:7], 0
.LBB15_125:
	s_andn2_b64 vcc, exec, s[6:7]
	s_cbranch_vccnz .LBB15_127
; %bb.126:
	v_cvt_f16_u16_sdwa v2, v3 dst_sel:DWORD dst_unused:UNUSED_PAD src0_sel:BYTE_0
	global_store_dword v[0:1], v2, off
.LBB15_127:
	s_mov_b64 s[6:7], 0
.LBB15_128:
	s_andn2_b64 vcc, exec, s[6:7]
	s_cbranch_vccnz .LBB15_137
; %bb.129:
	s_cmp_lt_i32 s8, 6
	s_mov_b64 s[6:7], -1
	s_cbranch_scc1 .LBB15_135
; %bb.130:
	s_cmp_gt_i32 s8, 6
	s_cbranch_scc0 .LBB15_132
; %bb.131:
	s_mov_b32 s6, 0xffff
	v_and_b32_sdwa v2, s6, v3 dst_sel:DWORD dst_unused:UNUSED_PAD src0_sel:DWORD src1_sel:BYTE_0
	v_cvt_f64_u32_e32 v[4:5], v2
	global_store_dwordx2 v[0:1], v[4:5], off
	s_mov_b64 s[6:7], 0
.LBB15_132:
	s_andn2_b64 vcc, exec, s[6:7]
	s_cbranch_vccnz .LBB15_134
; %bb.133:
	v_cvt_f32_ubyte0_e32 v2, v3
	global_store_dword v[0:1], v2, off
.LBB15_134:
	s_mov_b64 s[6:7], 0
.LBB15_135:
	s_andn2_b64 vcc, exec, s[6:7]
	s_cbranch_vccnz .LBB15_137
; %bb.136:
	v_cvt_f16_u16_sdwa v2, v3 dst_sel:DWORD dst_unused:UNUSED_PAD src0_sel:BYTE_0
	global_store_short v[0:1], v2, off
.LBB15_137:
	s_mov_b64 s[6:7], 0
.LBB15_138:
	s_andn2_b64 vcc, exec, s[6:7]
	s_cbranch_vccnz .LBB15_154
; %bb.139:
	s_cmp_lt_i32 s8, 2
	s_mov_b64 s[6:7], -1
	s_cbranch_scc1 .LBB15_149
; %bb.140:
	s_cmp_lt_i32 s8, 3
	s_cbranch_scc1 .LBB15_146
; %bb.141:
	s_cmp_gt_i32 s8, 3
	s_cbranch_scc0 .LBB15_143
; %bb.142:
	v_and_b32_e32 v4, 0xff, v3
	v_mov_b32_e32 v5, 0
	global_store_dwordx2 v[0:1], v[4:5], off
	s_mov_b64 s[6:7], 0
.LBB15_143:
	s_andn2_b64 vcc, exec, s[6:7]
	s_cbranch_vccnz .LBB15_145
; %bb.144:
	v_and_b32_e32 v2, 0xff, v3
	global_store_dword v[0:1], v2, off
.LBB15_145:
	s_mov_b64 s[6:7], 0
.LBB15_146:
	s_andn2_b64 vcc, exec, s[6:7]
	s_cbranch_vccnz .LBB15_148
; %bb.147:
	v_and_b32_e32 v2, 0xff, v3
	global_store_short v[0:1], v2, off
.LBB15_148:
	s_mov_b64 s[6:7], 0
.LBB15_149:
	s_andn2_b64 vcc, exec, s[6:7]
	s_cbranch_vccnz .LBB15_154
; %bb.150:
	s_cmp_gt_i32 s8, 0
	s_mov_b64 s[6:7], -1
	s_cbranch_scc0 .LBB15_152
; %bb.151:
	global_store_byte v[0:1], v3, off
	s_mov_b64 s[6:7], 0
.LBB15_152:
	s_andn2_b64 vcc, exec, s[6:7]
	s_cbranch_vccnz .LBB15_154
; %bb.153:
	global_store_byte v[0:1], v3, off
.LBB15_154:
.LBB15_155:
	v_add_u32_e32 v13, 0x80, v13
	s_mov_b64 s[6:7], -1
	s_branch .LBB15_262
.LBB15_156:
	s_mov_b64 s[4:5], -1
                                        ; implicit-def: $vgpr2
.LBB15_157:
	s_mov_b64 s[6:7], 0
.LBB15_158:
	s_and_b64 vcc, exec, s[6:7]
	s_cbranch_vccz .LBB15_162
; %bb.159:
	s_cmp_eq_u32 s8, 29
	s_cbranch_scc0 .LBB15_161
; %bb.160:
	global_load_dwordx2 v[2:3], v[4:5], off
	s_mov_b64 s[2:3], -1
	s_mov_b64 s[4:5], 0
	s_branch .LBB15_162
.LBB15_161:
	s_mov_b64 s[4:5], -1
                                        ; implicit-def: $vgpr2
.LBB15_162:
	s_mov_b64 s[6:7], 0
.LBB15_163:
	s_and_b64 vcc, exec, s[6:7]
	s_cbranch_vccz .LBB15_179
; %bb.164:
	s_cmp_lt_i32 s8, 27
	s_cbranch_scc1 .LBB15_167
; %bb.165:
	s_cmp_gt_i32 s8, 27
	s_cbranch_scc0 .LBB15_168
; %bb.166:
	global_load_dword v2, v[4:5], off
	s_mov_b64 s[2:3], 0
	s_branch .LBB15_169
.LBB15_167:
	s_mov_b64 s[2:3], -1
                                        ; implicit-def: $vgpr2
	s_branch .LBB15_172
.LBB15_168:
	s_mov_b64 s[2:3], -1
                                        ; implicit-def: $vgpr2
.LBB15_169:
	s_andn2_b64 vcc, exec, s[2:3]
	s_cbranch_vccnz .LBB15_171
; %bb.170:
	global_load_ushort v2, v[4:5], off
.LBB15_171:
	s_mov_b64 s[2:3], 0
.LBB15_172:
	s_andn2_b64 vcc, exec, s[2:3]
	s_cbranch_vccnz .LBB15_178
; %bb.173:
	global_load_ubyte v1, v[4:5], off
	s_movk_i32 s2, 0x7f
	s_mov_b64 s[6:7], 0
	s_waitcnt vmcnt(0)
	v_cmp_lt_i16_e32 vcc, s2, v1
	s_and_saveexec_b64 s[2:3], vcc
	s_xor_b64 s[2:3], exec, s[2:3]
	s_cbranch_execz .LBB15_189
; %bb.174:
	s_movk_i32 s6, 0x80
	v_cmp_ne_u16_e32 vcc, s6, v1
	s_and_b64 s[6:7], vcc, exec
	s_andn2_saveexec_b64 s[2:3], s[2:3]
	s_cbranch_execnz .LBB15_190
.LBB15_175:
	s_or_b64 exec, exec, s[2:3]
	v_mov_b32_e32 v2, 0
	s_and_saveexec_b64 s[2:3], s[6:7]
	s_cbranch_execz .LBB15_177
.LBB15_176:
	v_lshlrev_b32_e32 v2, 24, v1
	v_and_b32_e32 v1, 0xffff, v1
	v_and_b32_e32 v3, 7, v1
	v_ffbh_u32_e32 v7, v3
	v_min_u32_e32 v7, 32, v7
	v_subrev_u32_e32 v8, 28, v7
	v_bfe_u32 v6, v1, 3, 4
	v_lshlrev_b32_e32 v1, v8, v1
	v_sub_u32_e32 v7, 29, v7
	v_and_b32_e32 v1, 7, v1
	v_cmp_eq_u32_e32 vcc, 0, v6
	v_and_b32_e32 v2, 0x80000000, v2
	s_mov_b32 s6, 0x2f800000
	v_cndmask_b32_e32 v6, v6, v7, vcc
	v_cndmask_b32_e32 v1, v3, v1, vcc
	v_mov_b32_e32 v3, 0x3b800000
	v_lshlrev_b32_e32 v1, 20, v1
	v_lshl_add_u32 v3, v6, 23, v3
	v_or3_b32 v1, v2, v3, v1
	v_trunc_f32_e32 v1, v1
	v_mul_f32_e64 v2, |v1|, s6
	v_floor_f32_e32 v2, v2
	s_mov_b32 s6, 0xcf800000
	v_fma_f32 v2, v2, s6, |v1|
	v_cvt_u32_f32_e32 v2, v2
	v_ashrrev_i32_e32 v1, 31, v1
	v_xor_b32_e32 v2, v2, v1
	v_sub_u32_e32 v2, v2, v1
.LBB15_177:
	s_or_b64 exec, exec, s[2:3]
.LBB15_178:
	s_mov_b64 s[2:3], -1
.LBB15_179:
	s_branch .LBB15_212
.LBB15_180:
	s_cmp_gt_i32 s8, 22
	s_cbranch_scc0 .LBB15_188
; %bb.181:
	s_cmp_lt_i32 s8, 24
	s_cbranch_scc1 .LBB15_191
; %bb.182:
	s_cmp_gt_i32 s8, 24
	s_cbranch_scc0 .LBB15_192
; %bb.183:
	global_load_ubyte v1, v[4:5], off
	s_movk_i32 s2, 0x7f
	s_mov_b64 s[6:7], 0
	s_waitcnt vmcnt(0)
	v_cmp_lt_i16_e32 vcc, s2, v1
	s_and_saveexec_b64 s[2:3], vcc
	s_xor_b64 s[2:3], exec, s[2:3]
	s_cbranch_execz .LBB15_204
; %bb.184:
	s_movk_i32 s6, 0x80
	v_cmp_ne_u16_e32 vcc, s6, v1
	s_and_b64 s[6:7], vcc, exec
	s_andn2_saveexec_b64 s[2:3], s[2:3]
	s_cbranch_execnz .LBB15_205
.LBB15_185:
	s_or_b64 exec, exec, s[2:3]
	v_mov_b32_e32 v2, 0
	s_and_saveexec_b64 s[2:3], s[6:7]
	s_cbranch_execz .LBB15_187
.LBB15_186:
	v_lshlrev_b32_e32 v2, 24, v1
	v_and_b32_e32 v1, 0xffff, v1
	v_and_b32_e32 v3, 3, v1
	v_ffbh_u32_e32 v7, v3
	v_min_u32_e32 v7, 32, v7
	v_subrev_u32_e32 v8, 29, v7
	v_bfe_u32 v6, v1, 2, 5
	v_lshlrev_b32_e32 v1, v8, v1
	v_sub_u32_e32 v7, 30, v7
	v_and_b32_e32 v1, 3, v1
	v_cmp_eq_u32_e32 vcc, 0, v6
	v_and_b32_e32 v2, 0x80000000, v2
	s_mov_b32 s6, 0x2f800000
	v_cndmask_b32_e32 v6, v6, v7, vcc
	v_cndmask_b32_e32 v1, v3, v1, vcc
	v_mov_b32_e32 v3, 0x37800000
	v_lshlrev_b32_e32 v1, 21, v1
	v_lshl_add_u32 v3, v6, 23, v3
	v_or3_b32 v1, v2, v3, v1
	v_trunc_f32_e32 v1, v1
	v_mul_f32_e64 v2, |v1|, s6
	v_floor_f32_e32 v2, v2
	s_mov_b32 s6, 0xcf800000
	v_fma_f32 v2, v2, s6, |v1|
	v_cvt_u32_f32_e32 v2, v2
	v_ashrrev_i32_e32 v1, 31, v1
	v_xor_b32_e32 v2, v2, v1
	v_sub_u32_e32 v2, v2, v1
.LBB15_187:
	s_or_b64 exec, exec, s[2:3]
	s_mov_b64 s[2:3], 0
	s_branch .LBB15_193
.LBB15_188:
	s_mov_b64 s[6:7], -1
                                        ; implicit-def: $vgpr2
	s_branch .LBB15_199
.LBB15_189:
	s_andn2_saveexec_b64 s[2:3], s[2:3]
	s_cbranch_execz .LBB15_175
.LBB15_190:
	v_cmp_ne_u16_e32 vcc, 0, v1
	s_andn2_b64 s[6:7], s[6:7], exec
	s_and_b64 s[10:11], vcc, exec
	s_or_b64 s[6:7], s[6:7], s[10:11]
	s_or_b64 exec, exec, s[2:3]
	v_mov_b32_e32 v2, 0
	s_and_saveexec_b64 s[2:3], s[6:7]
	s_cbranch_execnz .LBB15_176
	s_branch .LBB15_177
.LBB15_191:
	s_mov_b64 s[2:3], -1
                                        ; implicit-def: $vgpr2
	s_branch .LBB15_196
.LBB15_192:
	s_mov_b64 s[2:3], -1
                                        ; implicit-def: $vgpr2
.LBB15_193:
	s_and_b64 vcc, exec, s[2:3]
	s_cbranch_vccz .LBB15_195
; %bb.194:
	global_load_ubyte v1, v[4:5], off
	s_mov_b32 s2, 0x7f800000
	s_brev_b32 s3, 1
	s_mov_b32 s6, 0x2f800000
	s_waitcnt vmcnt(0)
	v_lshlrev_b32_e32 v1, 24, v1
	v_and_b32_e32 v2, 0x7f000000, v1
	v_ffbh_u32_e32 v3, v2
	v_min_u32_e32 v3, 32, v3
	v_sub_u32_e64 v3, v3, 4 clamp
	v_lshlrev_b32_e32 v7, v3, v2
	v_lshlrev_b32_e32 v3, 23, v3
	v_lshrrev_b32_e32 v7, 4, v7
	v_add_u32_e32 v6, 0x1000000, v2
	v_sub_u32_e32 v3, v7, v3
	v_ashrrev_i32_e32 v6, 8, v6
	v_add_u32_e32 v3, 0x3c000000, v3
	v_and_or_b32 v3, v6, s2, v3
	v_cmp_ne_u32_e32 vcc, 0, v2
	s_mov_b32 s2, 0xcf800000
	s_nop 0
	v_cndmask_b32_e32 v2, 0, v3, vcc
	v_and_or_b32 v1, v1, s3, v2
	v_trunc_f32_e32 v1, v1
	v_mul_f32_e64 v2, |v1|, s6
	v_floor_f32_e32 v2, v2
	v_fma_f32 v2, v2, s2, |v1|
	v_cvt_u32_f32_e32 v2, v2
	v_ashrrev_i32_e32 v1, 31, v1
	v_xor_b32_e32 v2, v2, v1
	v_sub_u32_e32 v2, v2, v1
.LBB15_195:
	s_mov_b64 s[2:3], 0
.LBB15_196:
	s_andn2_b64 vcc, exec, s[2:3]
	s_cbranch_vccnz .LBB15_198
; %bb.197:
	global_load_ubyte v1, v[4:5], off
	s_movk_i32 s2, 0x7f00
	s_brev_b32 s3, 16
	s_brev_b32 s6, 1
	s_mov_b32 s7, 0x2f800000
	s_waitcnt vmcnt(0)
	v_lshlrev_b16_e32 v2, 8, v1
	v_lshlrev_b32_e32 v1, 25, v1
	v_lshrrev_b32_e32 v3, 4, v1
	v_and_or_b32 v6, v2, s2, 0.5
	v_or_b32_e32 v3, 0x70000000, v3
	v_add_f32_e32 v6, -0.5, v6
	v_mul_f32_e32 v3, 0x7800000, v3
	v_cmp_gt_u32_e32 vcc, s3, v1
	v_bfe_i32 v2, v2, 0, 16
	s_mov_b32 s2, 0xcf800000
	v_cndmask_b32_e32 v1, v3, v6, vcc
	v_and_or_b32 v1, v2, s6, v1
	v_trunc_f32_e32 v1, v1
	v_mul_f32_e64 v2, |v1|, s7
	v_floor_f32_e32 v2, v2
	v_fma_f32 v2, v2, s2, |v1|
	v_cvt_u32_f32_e32 v2, v2
	v_ashrrev_i32_e32 v1, 31, v1
	v_xor_b32_e32 v2, v2, v1
	v_sub_u32_e32 v2, v2, v1
.LBB15_198:
	s_mov_b64 s[6:7], 0
	s_mov_b64 s[2:3], -1
.LBB15_199:
	s_andn2_b64 vcc, exec, s[6:7]
	s_cbranch_vccnz .LBB15_212
; %bb.200:
	s_cmp_gt_i32 s8, 14
	s_cbranch_scc0 .LBB15_203
; %bb.201:
	s_cmp_eq_u32 s8, 15
	s_cbranch_scc0 .LBB15_206
; %bb.202:
	global_load_ushort v1, v[4:5], off
	s_mov_b32 s2, 0x2f800000
	s_mov_b32 s3, 0xcf800000
	s_mov_b64 s[4:5], 0
	s_waitcnt vmcnt(0)
	v_lshlrev_b32_e32 v1, 16, v1
	v_trunc_f32_e32 v1, v1
	v_mul_f32_e64 v2, |v1|, s2
	v_floor_f32_e32 v2, v2
	v_fma_f32 v2, v2, s3, |v1|
	v_cvt_u32_f32_e32 v2, v2
	v_ashrrev_i32_e32 v1, 31, v1
	s_mov_b64 s[2:3], -1
	v_xor_b32_e32 v2, v2, v1
	v_sub_u32_e32 v2, v2, v1
	s_branch .LBB15_207
.LBB15_203:
	s_mov_b64 s[6:7], -1
                                        ; implicit-def: $vgpr2
	s_branch .LBB15_208
.LBB15_204:
	s_andn2_saveexec_b64 s[2:3], s[2:3]
	s_cbranch_execz .LBB15_185
.LBB15_205:
	v_cmp_ne_u16_e32 vcc, 0, v1
	s_andn2_b64 s[6:7], s[6:7], exec
	s_and_b64 s[10:11], vcc, exec
	s_or_b64 s[6:7], s[6:7], s[10:11]
	s_or_b64 exec, exec, s[2:3]
	v_mov_b32_e32 v2, 0
	s_and_saveexec_b64 s[2:3], s[6:7]
	s_cbranch_execnz .LBB15_186
	s_branch .LBB15_187
.LBB15_206:
	s_mov_b64 s[4:5], -1
                                        ; implicit-def: $vgpr2
.LBB15_207:
	s_mov_b64 s[6:7], 0
.LBB15_208:
	s_and_b64 vcc, exec, s[6:7]
	s_cbranch_vccz .LBB15_212
; %bb.209:
	s_cmp_eq_u32 s8, 11
	s_cbranch_scc0 .LBB15_211
; %bb.210:
	global_load_ubyte v1, v[4:5], off
	s_mov_b64 s[2:3], -1
	s_mov_b64 s[4:5], 0
	s_waitcnt vmcnt(0)
	v_cmp_ne_u16_e32 vcc, 0, v1
	s_nop 1
	v_cndmask_b32_e64 v2, 0, 1, vcc
	s_branch .LBB15_212
.LBB15_211:
	s_mov_b64 s[4:5], -1
                                        ; implicit-def: $vgpr2
.LBB15_212:
	s_branch .LBB15_25
.LBB15_213:
	s_cmp_lt_i32 s8, 5
	s_cbranch_scc1 .LBB15_218
; %bb.214:
	s_cmp_lt_i32 s8, 8
	s_cbranch_scc1 .LBB15_219
; %bb.215:
	;; [unrolled: 3-line block ×3, first 2 shown]
	s_cmp_gt_i32 s8, 9
	s_cbranch_scc0 .LBB15_221
; %bb.217:
	global_load_dwordx2 v[2:3], v[4:5], off
	s_movk_i32 s2, 0xffe0
	s_waitcnt vmcnt(0)
	v_trunc_f64_e32 v[2:3], v[2:3]
	v_ldexp_f64 v[6:7], v[2:3], s2
	v_floor_f64_e32 v[6:7], v[6:7]
	v_fmac_f64_e32 v[2:3], 0xc1f00000, v[6:7]
	v_cvt_u32_f64_e32 v2, v[2:3]
	s_mov_b64 s[2:3], 0
	s_branch .LBB15_222
.LBB15_218:
                                        ; implicit-def: $vgpr2
	s_branch .LBB15_240
.LBB15_219:
	s_mov_b64 s[2:3], -1
                                        ; implicit-def: $vgpr2
	s_branch .LBB15_228
.LBB15_220:
	s_mov_b64 s[2:3], -1
                                        ; implicit-def: $vgpr2
	s_branch .LBB15_225
.LBB15_221:
	s_mov_b64 s[2:3], -1
                                        ; implicit-def: $vgpr2
.LBB15_222:
	s_andn2_b64 vcc, exec, s[2:3]
	s_cbranch_vccnz .LBB15_224
; %bb.223:
	global_load_dword v1, v[4:5], off
	s_mov_b32 s2, 0x2f800000
	s_waitcnt vmcnt(0)
	v_trunc_f32_e32 v1, v1
	v_mul_f32_e64 v2, |v1|, s2
	v_floor_f32_e32 v2, v2
	s_mov_b32 s2, 0xcf800000
	v_fma_f32 v2, v2, s2, |v1|
	v_cvt_u32_f32_e32 v2, v2
	v_ashrrev_i32_e32 v1, 31, v1
	v_xor_b32_e32 v2, v2, v1
	v_sub_u32_e32 v2, v2, v1
.LBB15_224:
	s_mov_b64 s[2:3], 0
.LBB15_225:
	s_andn2_b64 vcc, exec, s[2:3]
	s_cbranch_vccnz .LBB15_227
; %bb.226:
	global_load_dword v1, v[4:5], off
	s_waitcnt vmcnt(0)
	v_cvt_f32_f16_e32 v1, v1
	v_cvt_i32_f32_e32 v2, v1
.LBB15_227:
	s_mov_b64 s[2:3], 0
.LBB15_228:
	s_andn2_b64 vcc, exec, s[2:3]
	s_cbranch_vccnz .LBB15_239
; %bb.229:
	s_cmp_lt_i32 s8, 6
	s_cbranch_scc1 .LBB15_232
; %bb.230:
	s_cmp_gt_i32 s8, 6
	s_cbranch_scc0 .LBB15_233
; %bb.231:
	global_load_dwordx2 v[2:3], v[4:5], off
	s_movk_i32 s2, 0xffe0
	s_waitcnt vmcnt(0)
	v_trunc_f64_e32 v[2:3], v[2:3]
	v_ldexp_f64 v[6:7], v[2:3], s2
	v_floor_f64_e32 v[6:7], v[6:7]
	v_fmac_f64_e32 v[2:3], 0xc1f00000, v[6:7]
	v_cvt_u32_f64_e32 v2, v[2:3]
	s_mov_b64 s[2:3], 0
	s_branch .LBB15_234
.LBB15_232:
	s_mov_b64 s[2:3], -1
                                        ; implicit-def: $vgpr2
	s_branch .LBB15_237
.LBB15_233:
	s_mov_b64 s[2:3], -1
                                        ; implicit-def: $vgpr2
.LBB15_234:
	s_andn2_b64 vcc, exec, s[2:3]
	s_cbranch_vccnz .LBB15_236
; %bb.235:
	global_load_dword v1, v[4:5], off
	s_mov_b32 s2, 0x2f800000
	s_waitcnt vmcnt(0)
	v_trunc_f32_e32 v1, v1
	v_mul_f32_e64 v2, |v1|, s2
	v_floor_f32_e32 v2, v2
	s_mov_b32 s2, 0xcf800000
	v_fma_f32 v2, v2, s2, |v1|
	v_cvt_u32_f32_e32 v2, v2
	v_ashrrev_i32_e32 v1, 31, v1
	v_xor_b32_e32 v2, v2, v1
	v_sub_u32_e32 v2, v2, v1
.LBB15_236:
	s_mov_b64 s[2:3], 0
.LBB15_237:
	s_andn2_b64 vcc, exec, s[2:3]
	s_cbranch_vccnz .LBB15_239
; %bb.238:
	global_load_ushort v1, v[4:5], off
	s_waitcnt vmcnt(0)
	v_cvt_f32_f16_e32 v1, v1
	v_cvt_i32_f32_e32 v2, v1
.LBB15_239:
	s_cbranch_execnz .LBB15_259
.LBB15_240:
	s_cmp_lt_i32 s8, 2
	s_cbranch_scc1 .LBB15_244
; %bb.241:
	s_cmp_lt_i32 s8, 3
	s_cbranch_scc1 .LBB15_245
; %bb.242:
	s_cmp_gt_i32 s8, 3
	s_cbranch_scc0 .LBB15_246
; %bb.243:
	global_load_dwordx2 v[2:3], v[4:5], off
	s_mov_b64 s[2:3], 0
	s_branch .LBB15_247
.LBB15_244:
	s_mov_b64 s[2:3], -1
                                        ; implicit-def: $vgpr2
	s_branch .LBB15_253
.LBB15_245:
	s_mov_b64 s[2:3], -1
                                        ; implicit-def: $vgpr2
	s_branch .LBB15_250
.LBB15_246:
	s_mov_b64 s[2:3], -1
                                        ; implicit-def: $vgpr2
.LBB15_247:
	s_andn2_b64 vcc, exec, s[2:3]
	s_cbranch_vccnz .LBB15_249
; %bb.248:
	global_load_dword v2, v[4:5], off
.LBB15_249:
	s_mov_b64 s[2:3], 0
.LBB15_250:
	s_andn2_b64 vcc, exec, s[2:3]
	s_cbranch_vccnz .LBB15_252
; %bb.251:
	global_load_ushort v2, v[4:5], off
.LBB15_252:
	s_mov_b64 s[2:3], 0
.LBB15_253:
	s_andn2_b64 vcc, exec, s[2:3]
	s_cbranch_vccnz .LBB15_259
; %bb.254:
	s_cmp_gt_i32 s8, 0
	s_cbranch_scc0 .LBB15_256
; %bb.255:
	global_load_ubyte v2, v[4:5], off
	s_mov_b64 s[2:3], 0
	s_branch .LBB15_257
.LBB15_256:
	s_mov_b64 s[2:3], -1
                                        ; implicit-def: $vgpr2
.LBB15_257:
	s_andn2_b64 vcc, exec, s[2:3]
	s_cbranch_vccnz .LBB15_259
; %bb.258:
	global_load_ubyte v2, v[4:5], off
.LBB15_259:
	s_branch .LBB15_26
.LBB15_260:
	s_mov_b64 s[2:3], 0
.LBB15_261:
	s_mov_b64 s[6:7], 0
                                        ; implicit-def: $vgpr13
.LBB15_262:
	s_and_b64 s[54:55], s[2:3], exec
	s_and_b64 s[56:57], s[4:5], exec
	s_orn2_b64 s[4:5], s[6:7], exec
.LBB15_263:
	s_or_b64 exec, exec, s[58:59]
	s_mov_b64 s[8:9], 0
	s_mov_b64 s[2:3], 0
                                        ; implicit-def: $vgpr4_vgpr5
                                        ; implicit-def: $vgpr0
                                        ; implicit-def: $vgpr2
	s_and_saveexec_b64 s[58:59], s[4:5]
	s_cbranch_execz .LBB15_271
; %bb.264:
	v_cmp_gt_i32_e32 vcc, s70, v13
	s_mov_b64 s[2:3], -1
	s_mov_b64 s[60:61], s[56:57]
	s_mov_b64 s[62:63], s[54:55]
	s_and_saveexec_b64 s[64:65], vcc
	s_cbranch_execz .LBB15_536
; %bb.265:
	s_andn2_b64 vcc, exec, s[42:43]
	s_cbranch_vccnz .LBB15_274
; %bb.266:
	s_andn2_b64 vcc, exec, s[52:53]
	s_cbranch_vccnz .LBB15_275
; %bb.267:
	s_add_i32 s63, s75, 1
	s_cmp_eq_u32 s72, 2
	s_cbranch_scc1 .LBB15_276
; %bb.268:
	s_and_b32 s62, s63, 28
	s_mov_b32 s66, 0
	v_mov_b32_e32 v0, 0
	s_waitcnt vmcnt(0)
	v_mov_b32_e32 v2, 0
	s_mov_b64 s[2:3], s[34:35]
	s_mov_b64 s[60:61], s[50:51]
	v_mov_b32_e32 v4, v13
.LBB15_269:                             ; =>This Inner Loop Header: Depth=1
	s_load_dwordx8 s[12:19], s[2:3], 0x4
	s_load_dwordx4 s[36:39], s[2:3], 0x24
	s_load_dwordx8 s[4:11], s[60:61], 0x0
	s_add_u32 s2, s2, 48
	s_addc_u32 s3, s3, 0
	s_waitcnt lgkmcnt(0)
	v_mul_hi_u32 v1, s13, v4
	v_add_u32_e32 v1, v4, v1
	v_lshrrev_b32_e32 v1, s14, v1
	v_mul_lo_u32 v3, v1, s12
	v_mul_hi_u32 v5, s16, v1
	v_sub_u32_e32 v3, v4, v3
	v_add_u32_e32 v4, v1, v5
	v_lshrrev_b32_e32 v4, s17, v4
	v_mul_lo_u32 v6, v4, s15
	v_mul_hi_u32 v7, s19, v4
	v_sub_u32_e32 v1, v1, v6
	v_add_u32_e32 v6, v4, v7
	v_mul_lo_u32 v5, v3, s5
	v_mul_lo_u32 v3, v3, s4
	;; [unrolled: 1-line block ×4, first 2 shown]
	v_lshrrev_b32_e32 v6, s36, v6
	v_add3_u32 v0, v3, v0, v1
	v_mul_hi_u32 v3, s38, v6
	v_add3_u32 v1, v5, v2, v7
	v_mul_lo_u32 v2, v6, s18
	v_add_u32_e32 v3, v6, v3
	v_sub_u32_e32 v2, v4, v2
	v_lshrrev_b32_e32 v4, s39, v3
	s_add_i32 s66, s66, 4
	v_mul_lo_u32 v3, v4, s37
	s_add_u32 s60, s60, 32
	v_sub_u32_e32 v3, v6, v3
	s_addc_u32 s61, s61, 0
	v_mul_lo_u32 v5, v2, s8
	v_mul_lo_u32 v2, v2, s9
	;; [unrolled: 1-line block ×4, first 2 shown]
	s_cmp_eq_u32 s62, s66
	v_add3_u32 v2, v2, v1, v3
	v_add3_u32 v0, v5, v0, v6
	s_cbranch_scc0 .LBB15_269
; %bb.270:
	v_mov_b32_e32 v1, v2
	s_branch .LBB15_277
.LBB15_271:
	s_or_b64 exec, exec, s[58:59]
	s_mov_b64 s[4:5], 0
	s_and_saveexec_b64 s[6:7], s[56:57]
	s_cbranch_execnz .LBB15_906
.LBB15_272:
	s_or_b64 exec, exec, s[6:7]
	s_and_saveexec_b64 s[6:7], s[62:63]
	s_xor_b64 s[6:7], exec, s[6:7]
	s_cbranch_execz .LBB15_907
.LBB15_273:
	global_load_ubyte v1, v[4:5], off
	s_or_b64 s[2:3], s[2:3], exec
	s_waitcnt vmcnt(0)
	v_cmp_ne_u16_e32 vcc, 0, v1
	s_nop 1
	v_cndmask_b32_e64 v2, 0, 1, vcc
	s_or_b64 exec, exec, s[6:7]
	s_and_saveexec_b64 s[6:7], s[8:9]
	s_cbranch_execz .LBB15_953
	s_branch .LBB15_908
.LBB15_274:
                                        ; implicit-def: $vgpr2
                                        ; implicit-def: $vgpr0
	s_andn2_b64 vcc, exec, s[2:3]
	s_cbranch_vccz .LBB15_281
	s_branch .LBB15_283
.LBB15_275:
	s_waitcnt vmcnt(0)
	v_mov_b32_e32 v2, 0
	v_mov_b32_e32 v0, 0
	s_branch .LBB15_280
.LBB15_276:
	v_mov_b32_e32 v0, 0
	s_mov_b32 s62, 0
	v_mov_b32_e32 v1, v0
                                        ; implicit-def: $vgpr2
	v_mov_b32_e32 v4, v13
.LBB15_277:
	s_and_b32 s6, s63, 3
	s_cmp_eq_u32 s6, 0
	s_cbranch_scc1 .LBB15_280
; %bb.278:
	s_lshl_b32 s2, s62, 3
	s_add_u32 s2, s34, s2
	s_addc_u32 s3, s35, 0
	s_add_u32 s2, s2, 0xc4
	s_addc_u32 s3, s3, 0
	s_mul_i32 s4, s62, 12
	s_add_u32 s4, s34, s4
	s_addc_u32 s5, s35, 0
.LBB15_279:                             ; =>This Inner Loop Header: Depth=1
	s_load_dwordx2 s[8:9], s[4:5], 0x4
	s_load_dword s7, s[4:5], 0xc
	s_load_dwordx2 s[10:11], s[2:3], 0x0
	s_waitcnt vmcnt(0)
	v_mov_b32_e32 v2, v1
	s_add_u32 s4, s4, 12
	s_waitcnt lgkmcnt(0)
	v_mul_hi_u32 v1, s9, v4
	v_add_u32_e32 v1, v4, v1
	v_lshrrev_b32_e32 v1, s7, v1
	s_addc_u32 s5, s5, 0
	v_mul_lo_u32 v3, v1, s8
	s_add_u32 s2, s2, 8
	v_sub_u32_e32 v5, v4, v3
	s_addc_u32 s3, s3, 0
	s_add_i32 s6, s6, -1
	v_mov_b32_e32 v4, v1
	v_mad_u64_u32 v[2:3], s[8:9], v5, s11, v[2:3]
	v_mad_u64_u32 v[0:1], s[8:9], v5, s10, v[0:1]
	s_cmp_lg_u32 s6, 0
	v_mov_b32_e32 v1, v2
	s_cbranch_scc1 .LBB15_279
.LBB15_280:
	s_cbranch_execnz .LBB15_283
.LBB15_281:
	s_waitcnt lgkmcnt(0)
	v_mul_hi_u32 v0, s29, v13
	v_add_u32_e32 v0, v13, v0
	v_lshrrev_b32_e32 v1, s30, v0
	v_mul_lo_u32 v0, v1, s28
	v_sub_u32_e32 v0, v13, v0
	s_waitcnt vmcnt(0)
	v_mul_lo_u32 v2, v0, s25
	s_andn2_b64 vcc, exec, s[48:49]
	v_mul_lo_u32 v0, v0, s24
	s_cbranch_vccnz .LBB15_283
; %bb.282:
	v_mul_hi_u32 v3, s46, v1
	v_add_u32_e32 v3, v1, v3
	v_lshrrev_b32_e32 v3, s47, v3
	v_mul_lo_u32 v3, v3, s31
	v_sub_u32_e32 v3, v1, v3
	v_mad_u64_u32 v[0:1], s[2:3], v3, s26, v[0:1]
	v_mad_u64_u32 v[2:3], s[2:3], v3, s27, v[2:3]
.LBB15_283:
	s_waitcnt vmcnt(0)
	v_mov_b32_e32 v3, 0
	s_and_b32 s8, 0xffff, s74
	s_cmp_lt_i32 s8, 11
	s_waitcnt lgkmcnt(0)
	v_lshl_add_u64 v[4:5], s[22:23], 0, v[2:3]
	s_cbranch_scc1 .LBB15_290
; %bb.284:
	s_cmp_gt_i32 s8, 25
	s_cbranch_scc0 .LBB15_299
; %bb.285:
	s_cmp_gt_i32 s8, 28
	s_cbranch_scc0 .LBB15_301
; %bb.286:
	s_cmp_gt_i32 s8, 43
	s_cbranch_scc0 .LBB15_303
; %bb.287:
	s_cmp_gt_i32 s8, 45
	s_cbranch_scc0 .LBB15_307
; %bb.288:
	s_cmp_eq_u32 s8, 46
	s_mov_b64 s[6:7], 0
	s_cbranch_scc0 .LBB15_311
; %bb.289:
	global_load_dword v1, v[4:5], off
	s_mov_b32 s2, 0x2f800000
	s_mov_b32 s3, 0xcf800000
	s_mov_b64 s[4:5], 0
	s_waitcnt vmcnt(0)
	v_lshlrev_b32_e32 v1, 16, v1
	v_trunc_f32_e32 v1, v1
	v_mul_f32_e64 v2, |v1|, s2
	v_floor_f32_e32 v2, v2
	v_fma_f32 v2, v2, s3, |v1|
	v_cvt_u32_f32_e32 v2, v2
	v_ashrrev_i32_e32 v1, 31, v1
	s_mov_b64 s[2:3], -1
	v_xor_b32_e32 v2, v2, v1
	v_sub_u32_e32 v2, v2, v1
	s_branch .LBB15_312
.LBB15_290:
	s_mov_b64 s[2:3], 0
                                        ; implicit-def: $vgpr2
	s_mov_b64 s[4:5], s[56:57]
	s_cbranch_execnz .LBB15_485
.LBB15_291:
	s_andn2_b64 vcc, exec, s[2:3]
	s_cbranch_vccnz .LBB15_533
.LBB15_292:
	v_mov_b32_e32 v1, 0
	s_and_b32 s12, s73, 0xff
	s_waitcnt vmcnt(0)
	v_xor_b32_e32 v3, -1, v2
	s_cmp_lt_i32 s12, 11
	v_lshl_add_u64 v[0:1], s[20:21], 0, v[0:1]
	s_cbranch_scc1 .LBB15_300
; %bb.293:
	s_and_b32 s13, 0xffff, s12
	s_cmp_gt_i32 s13, 25
	s_cbranch_scc0 .LBB15_302
; %bb.294:
	s_cmp_gt_i32 s13, 28
	s_cbranch_scc0 .LBB15_304
; %bb.295:
	;; [unrolled: 3-line block ×4, first 2 shown]
	s_mov_b64 s[8:9], 0
	s_mov_b64 s[2:3], -1
	s_cmp_eq_u32 s13, 46
	s_mov_b64 s[6:7], 0
	s_cbranch_scc0 .LBB15_316
; %bb.298:
	v_cvt_f32_ubyte0_e32 v4, v3
	v_bfe_u32 v5, v4, 16, 1
	s_movk_i32 s2, 0x7fff
	v_add3_u32 v4, v4, v5, s2
	v_lshrrev_b32_e32 v4, 16, v4
	global_store_dword v[0:1], v4, off
	s_mov_b64 s[6:7], -1
	s_mov_b64 s[2:3], 0
	s_branch .LBB15_316
.LBB15_299:
	s_mov_b64 s[6:7], -1
	s_mov_b64 s[2:3], 0
	s_mov_b64 s[4:5], s[56:57]
                                        ; implicit-def: $vgpr2
	s_branch .LBB15_451
.LBB15_300:
	s_mov_b64 s[8:9], -1
	s_mov_b64 s[6:7], 0
	s_mov_b64 s[2:3], s[54:55]
	s_branch .LBB15_385
.LBB15_301:
	s_mov_b64 s[6:7], -1
	s_mov_b64 s[2:3], 0
	s_mov_b64 s[4:5], s[56:57]
                                        ; implicit-def: $vgpr2
	s_branch .LBB15_434
.LBB15_302:
	s_mov_b64 s[8:9], -1
	s_mov_b64 s[6:7], 0
	s_mov_b64 s[2:3], s[54:55]
	s_branch .LBB15_343
.LBB15_303:
	s_mov_b64 s[6:7], -1
	s_mov_b64 s[2:3], 0
	s_mov_b64 s[4:5], s[56:57]
                                        ; implicit-def: $vgpr2
	s_branch .LBB15_429
.LBB15_304:
	s_mov_b64 s[8:9], -1
	s_mov_b64 s[6:7], 0
	s_mov_b64 s[2:3], s[54:55]
	s_branch .LBB15_326
.LBB15_305:
	s_andn2_saveexec_b64 s[10:11], s[10:11]
	s_cbranch_execz .LBB15_69
.LBB15_306:
	v_add_f32_e32 v4, 0x46000000, v5
	v_and_b32_e32 v4, 0xff, v4
	v_cmp_ne_u32_e32 vcc, 0, v4
	s_andn2_b64 s[8:9], s[8:9], exec
	s_and_b64 s[14:15], vcc, exec
	s_or_b64 s[8:9], s[8:9], s[14:15]
	s_or_b64 exec, exec, s[10:11]
	v_mov_b32_e32 v6, 0
	s_and_saveexec_b64 s[10:11], s[8:9]
	s_cbranch_execnz .LBB15_70
	s_branch .LBB15_71
.LBB15_307:
	s_mov_b64 s[6:7], -1
	s_mov_b64 s[2:3], 0
	s_mov_b64 s[4:5], s[56:57]
                                        ; implicit-def: $vgpr2
	s_branch .LBB15_312
.LBB15_308:
	s_mov_b64 s[8:9], -1
	s_mov_b64 s[6:7], 0
	s_mov_b64 s[2:3], s[54:55]
	s_branch .LBB15_322
.LBB15_309:
	s_andn2_saveexec_b64 s[10:11], s[10:11]
	s_cbranch_execz .LBB15_82
.LBB15_310:
	v_add_f32_e32 v4, 0x42800000, v5
	v_and_b32_e32 v4, 0xff, v4
	v_cmp_ne_u32_e32 vcc, 0, v4
	s_andn2_b64 s[8:9], s[8:9], exec
	s_and_b64 s[14:15], vcc, exec
	s_or_b64 s[8:9], s[8:9], s[14:15]
	s_or_b64 exec, exec, s[10:11]
	v_mov_b32_e32 v6, 0
	s_and_saveexec_b64 s[10:11], s[8:9]
	s_cbranch_execnz .LBB15_83
	s_branch .LBB15_84
.LBB15_311:
	s_mov_b64 s[4:5], -1
                                        ; implicit-def: $vgpr2
	s_mov_b64 s[2:3], 0
.LBB15_312:
	s_and_b64 vcc, exec, s[6:7]
	s_cbranch_vccz .LBB15_428
; %bb.313:
	s_cmp_eq_u32 s8, 44
	s_cbranch_scc0 .LBB15_427
; %bb.314:
	global_load_ubyte v1, v[4:5], off
	s_mov_b32 s2, 0x2f800000
	s_mov_b32 s3, 0xcf800000
	s_mov_b64 s[4:5], 0
	s_waitcnt vmcnt(0)
	v_lshlrev_b32_e32 v2, 23, v1
	v_trunc_f32_e32 v2, v2
	v_mul_f32_e64 v3, |v2|, s2
	v_floor_f32_e32 v3, v3
	v_fma_f32 v3, v3, s3, |v2|
	v_cvt_u32_f32_e32 v3, v3
	v_ashrrev_i32_e32 v2, 31, v2
	v_cmp_ne_u32_e32 vcc, 0, v1
	s_mov_b64 s[2:3], -1
	v_xor_b32_e32 v3, v3, v2
	v_sub_u32_e32 v2, v3, v2
	v_cndmask_b32_e32 v2, 0, v2, vcc
	s_branch .LBB15_428
.LBB15_315:
	s_mov_b64 s[8:9], -1
	s_mov_b64 s[6:7], 0
	s_mov_b64 s[2:3], s[54:55]
.LBB15_316:
	s_and_b64 vcc, exec, s[8:9]
	s_cbranch_vccz .LBB15_321
; %bb.317:
	s_cmp_eq_u32 s13, 44
	s_mov_b64 s[2:3], -1
	s_cbranch_scc0 .LBB15_321
; %bb.318:
	v_cvt_f32_ubyte0_e32 v5, v3
	v_lshrrev_b32_e32 v4, 23, v5
	s_movk_i32 s2, 0xff
	v_cmp_ne_u32_e32 vcc, s2, v4
	v_mov_b32_e32 v6, 0xff
	s_and_saveexec_b64 s[6:7], vcc
; %bb.319:
	s_mov_b32 s2, 0x3fffff
	v_and_b32_e32 v6, 0x400000, v5
	v_and_or_b32 v5, v5, s2, v4
	v_cmp_ne_u32_e32 vcc, 0, v6
	v_cmp_ne_u32_e64 s[2:3], 0, v5
	s_and_b64 s[2:3], vcc, s[2:3]
	s_nop 0
	v_cndmask_b32_e64 v5, 0, 1, s[2:3]
	v_add_u32_e32 v6, v4, v5
; %bb.320:
	s_or_b64 exec, exec, s[6:7]
	s_mov_b64 s[6:7], -1
	s_mov_b64 s[2:3], 0
	global_store_byte v[0:1], v6, off
.LBB15_321:
	s_mov_b64 s[8:9], 0
.LBB15_322:
	s_and_b64 vcc, exec, s[8:9]
	s_cbranch_vccz .LBB15_325
; %bb.323:
	s_cmp_eq_u32 s13, 29
	s_mov_b64 s[2:3], -1
	s_cbranch_scc0 .LBB15_325
; %bb.324:
	v_and_b32_e32 v4, 0xff, v3
	v_mov_b32_e32 v5, 0
	global_store_dwordx2 v[0:1], v[4:5], off
	s_mov_b64 s[6:7], -1
	s_mov_b64 s[2:3], 0
.LBB15_325:
	s_mov_b64 s[8:9], 0
.LBB15_326:
	s_and_b64 vcc, exec, s[8:9]
	s_cbranch_vccz .LBB15_342
; %bb.327:
	s_cmp_lt_i32 s13, 27
	s_mov_b64 s[6:7], -1
	s_cbranch_scc1 .LBB15_333
; %bb.328:
	s_cmp_gt_i32 s13, 27
	s_cbranch_scc0 .LBB15_330
; %bb.329:
	v_and_b32_e32 v4, 0xff, v3
	s_mov_b64 s[6:7], 0
	global_store_dword v[0:1], v4, off
.LBB15_330:
	s_andn2_b64 vcc, exec, s[6:7]
	s_cbranch_vccnz .LBB15_332
; %bb.331:
	v_and_b32_e32 v4, 0xff, v3
	global_store_short v[0:1], v4, off
.LBB15_332:
	s_mov_b64 s[6:7], 0
.LBB15_333:
	s_andn2_b64 vcc, exec, s[6:7]
	s_cbranch_vccnz .LBB15_341
; %bb.334:
	v_cvt_f32_ubyte0_e32 v5, v3
	s_mov_b32 s6, 0x43800000
	v_cmp_gt_u32_e32 vcc, s6, v5
	v_mov_b32_e32 v6, 0x80
	s_and_saveexec_b64 s[6:7], vcc
	s_cbranch_execz .LBB15_340
; %bb.335:
	s_mov_b32 s8, 0x3bffffff
	v_cmp_lt_u32_e32 vcc, s8, v5
	s_mov_b64 s[8:9], 0
                                        ; implicit-def: $vgpr4
	s_and_saveexec_b64 s[10:11], vcc
	s_xor_b64 s[10:11], exec, s[10:11]
	s_cbranch_execz .LBB15_565
; %bb.336:
	v_bfe_u32 v4, v5, 20, 1
	s_mov_b32 s14, 0x487ffff
	v_add3_u32 v4, v5, v4, s14
	s_mov_b64 s[8:9], exec
	v_lshrrev_b32_e32 v4, 20, v4
                                        ; implicit-def: $vgpr5
	s_andn2_saveexec_b64 s[10:11], s[10:11]
	s_cbranch_execnz .LBB15_566
.LBB15_337:
	s_or_b64 exec, exec, s[10:11]
	v_mov_b32_e32 v6, 0
	s_and_saveexec_b64 s[10:11], s[8:9]
.LBB15_338:
	v_mov_b32_e32 v6, v4
.LBB15_339:
	s_or_b64 exec, exec, s[10:11]
.LBB15_340:
	s_or_b64 exec, exec, s[6:7]
	global_store_byte v[0:1], v6, off
.LBB15_341:
	s_mov_b64 s[6:7], -1
.LBB15_342:
	s_mov_b64 s[8:9], 0
.LBB15_343:
	s_and_b64 vcc, exec, s[8:9]
	s_cbranch_vccz .LBB15_384
; %bb.344:
	s_cmp_gt_i32 s13, 22
	s_mov_b64 s[8:9], -1
	s_cbranch_scc0 .LBB15_376
; %bb.345:
	s_cmp_lt_i32 s13, 24
	s_mov_b64 s[6:7], -1
	s_cbranch_scc1 .LBB15_365
; %bb.346:
	s_cmp_gt_i32 s13, 24
	s_cbranch_scc0 .LBB15_354
; %bb.347:
	v_cvt_f32_ubyte0_e32 v5, v3
	s_mov_b32 s6, 0x47800000
	v_cmp_gt_u32_e32 vcc, s6, v5
	v_mov_b32_e32 v6, 0x80
	s_and_saveexec_b64 s[6:7], vcc
	s_cbranch_execz .LBB15_353
; %bb.348:
	s_mov_b32 s8, 0x37ffffff
	v_cmp_lt_u32_e32 vcc, s8, v5
	s_mov_b64 s[8:9], 0
                                        ; implicit-def: $vgpr4
	s_and_saveexec_b64 s[10:11], vcc
	s_xor_b64 s[10:11], exec, s[10:11]
	s_cbranch_execz .LBB15_568
; %bb.349:
	v_bfe_u32 v4, v5, 21, 1
	s_mov_b32 s14, 0x88fffff
	v_add3_u32 v4, v5, v4, s14
	s_mov_b64 s[8:9], exec
	v_lshrrev_b32_e32 v4, 21, v4
                                        ; implicit-def: $vgpr5
	s_andn2_saveexec_b64 s[10:11], s[10:11]
	s_cbranch_execnz .LBB15_569
.LBB15_350:
	s_or_b64 exec, exec, s[10:11]
	v_mov_b32_e32 v6, 0
	s_and_saveexec_b64 s[10:11], s[8:9]
.LBB15_351:
	v_mov_b32_e32 v6, v4
.LBB15_352:
	s_or_b64 exec, exec, s[10:11]
.LBB15_353:
	s_or_b64 exec, exec, s[6:7]
	s_mov_b64 s[6:7], 0
	global_store_byte v[0:1], v6, off
.LBB15_354:
	s_and_b64 vcc, exec, s[6:7]
	s_cbranch_vccz .LBB15_364
; %bb.355:
	v_cvt_f32_ubyte0_e32 v4, v3
	s_mov_b32 s6, 0x43f00000
	v_cmp_gt_u32_e32 vcc, s6, v4
                                        ; implicit-def: $vgpr5
	s_and_saveexec_b64 s[6:7], vcc
	s_xor_b64 s[6:7], exec, s[6:7]
	s_cbranch_execz .LBB15_361
; %bb.356:
	s_mov_b32 s8, 0x3c7fffff
	v_cmp_lt_u32_e32 vcc, s8, v4
                                        ; implicit-def: $vgpr5
	s_and_saveexec_b64 s[8:9], vcc
	s_xor_b64 s[8:9], exec, s[8:9]
; %bb.357:
	v_bfe_u32 v5, v4, 20, 1
	s_mov_b32 s10, 0x407ffff
	v_add3_u32 v4, v4, v5, s10
	v_lshrrev_b32_e32 v5, 20, v4
	v_and_b32_e32 v4, 0xff00000, v4
	s_mov_b32 s10, 0x7f00000
	v_mov_b32_e32 v6, 0x7e
	v_cmp_ne_u32_e32 vcc, s10, v4
                                        ; implicit-def: $vgpr4
	s_nop 1
	v_cndmask_b32_e32 v5, v6, v5, vcc
; %bb.358:
	s_andn2_saveexec_b64 s[8:9], s[8:9]
; %bb.359:
	v_add_f32_e32 v5, 0x46800000, v4
; %bb.360:
	s_or_b64 exec, exec, s[8:9]
                                        ; implicit-def: $vgpr4
.LBB15_361:
	s_andn2_saveexec_b64 s[6:7], s[6:7]
; %bb.362:
	s_mov_b32 s8, 0x7f800000
	v_mov_b32_e32 v5, 0x7e
	v_mov_b32_e32 v6, 0x7f
	v_cmp_lt_u32_e32 vcc, s8, v4
	s_nop 1
	v_cndmask_b32_e32 v5, v5, v6, vcc
; %bb.363:
	s_or_b64 exec, exec, s[6:7]
	global_store_byte v[0:1], v5, off
.LBB15_364:
	s_mov_b64 s[6:7], 0
.LBB15_365:
	s_andn2_b64 vcc, exec, s[6:7]
	s_cbranch_vccnz .LBB15_375
; %bb.366:
	v_cvt_f32_ubyte0_e32 v4, v3
	s_mov_b32 s6, 0x47800000
	v_cmp_gt_u32_e32 vcc, s6, v4
                                        ; implicit-def: $vgpr5
	s_and_saveexec_b64 s[6:7], vcc
	s_xor_b64 s[6:7], exec, s[6:7]
	s_cbranch_execz .LBB15_372
; %bb.367:
	s_mov_b32 s8, 0x387fffff
	v_cmp_lt_u32_e32 vcc, s8, v4
                                        ; implicit-def: $vgpr5
	s_and_saveexec_b64 s[8:9], vcc
	s_xor_b64 s[8:9], exec, s[8:9]
; %bb.368:
	v_bfe_u32 v5, v4, 21, 1
	s_mov_b32 s10, 0x80fffff
	v_add3_u32 v4, v4, v5, s10
	v_lshrrev_b32_e32 v5, 21, v4
                                        ; implicit-def: $vgpr4
; %bb.369:
	s_andn2_saveexec_b64 s[8:9], s[8:9]
; %bb.370:
	v_add_f32_e32 v5, 0x43000000, v4
; %bb.371:
	s_or_b64 exec, exec, s[8:9]
                                        ; implicit-def: $vgpr4
.LBB15_372:
	s_andn2_saveexec_b64 s[6:7], s[6:7]
; %bb.373:
	s_mov_b32 s8, 0x7f800000
	v_mov_b32_e32 v5, 0x7c
	v_mov_b32_e32 v6, 0x7f
	v_cmp_lt_u32_e32 vcc, s8, v4
	s_nop 1
	v_cndmask_b32_e32 v5, v5, v6, vcc
; %bb.374:
	s_or_b64 exec, exec, s[6:7]
	global_store_byte v[0:1], v5, off
.LBB15_375:
	s_mov_b64 s[8:9], 0
	s_mov_b64 s[6:7], -1
.LBB15_376:
	s_andn2_b64 vcc, exec, s[8:9]
	s_cbranch_vccnz .LBB15_384
; %bb.377:
	s_cmp_gt_i32 s13, 14
	s_mov_b64 s[8:9], -1
	s_cbranch_scc0 .LBB15_381
; %bb.378:
	s_cmp_eq_u32 s13, 15
	s_mov_b64 s[2:3], -1
	s_cbranch_scc0 .LBB15_380
; %bb.379:
	v_cvt_f32_ubyte0_e32 v4, v3
	v_bfe_u32 v5, v4, 16, 1
	s_movk_i32 s2, 0x7fff
	v_add3_u32 v4, v4, v5, s2
	global_store_short_d16_hi v[0:1], v4, off
	s_mov_b64 s[6:7], -1
	s_mov_b64 s[2:3], 0
.LBB15_380:
	s_mov_b64 s[8:9], 0
.LBB15_381:
	s_and_b64 vcc, exec, s[8:9]
	s_cbranch_vccz .LBB15_384
; %bb.382:
	s_cmp_eq_u32 s13, 11
	s_mov_b64 s[2:3], -1
	s_cbranch_scc0 .LBB15_384
; %bb.383:
	s_movk_i32 s2, 0xff
	v_cmp_ne_u16_sdwa s[2:3], v2, s2 src0_sel:BYTE_0 src1_sel:DWORD
	s_mov_b64 s[6:7], -1
	s_nop 0
	v_cndmask_b32_e64 v2, 0, 1, s[2:3]
	s_mov_b64 s[2:3], 0
	global_store_byte v[0:1], v2, off
.LBB15_384:
	s_mov_b64 s[8:9], 0
.LBB15_385:
	s_and_b64 vcc, exec, s[8:9]
	s_cbranch_vccz .LBB15_424
; %bb.386:
	s_and_b32 s8, 0xffff, s12
	s_cmp_lt_i32 s8, 5
	s_mov_b64 s[6:7], -1
	s_cbranch_scc1 .LBB15_407
; %bb.387:
	s_cmp_lt_i32 s8, 8
	s_cbranch_scc1 .LBB15_397
; %bb.388:
	s_cmp_lt_i32 s8, 9
	s_cbranch_scc1 .LBB15_394
; %bb.389:
	s_cmp_gt_i32 s8, 9
	s_cbranch_scc0 .LBB15_391
; %bb.390:
	s_mov_b32 s6, 0xffff
	v_and_b32_sdwa v2, s6, v3 dst_sel:DWORD dst_unused:UNUSED_PAD src0_sel:DWORD src1_sel:BYTE_0
	v_mov_b32_e32 v6, 0
	v_cvt_f64_u32_e32 v[4:5], v2
	v_mov_b32_e32 v7, v6
	s_mov_b64 s[6:7], 0
	global_store_dwordx4 v[0:1], v[4:7], off
.LBB15_391:
	s_andn2_b64 vcc, exec, s[6:7]
	s_cbranch_vccnz .LBB15_393
; %bb.392:
	v_cvt_f32_ubyte0_e32 v4, v3
	v_mov_b32_e32 v5, 0
	global_store_dwordx2 v[0:1], v[4:5], off
.LBB15_393:
	s_mov_b64 s[6:7], 0
.LBB15_394:
	s_andn2_b64 vcc, exec, s[6:7]
	s_cbranch_vccnz .LBB15_396
; %bb.395:
	v_cvt_f16_u16_sdwa v2, v3 dst_sel:DWORD dst_unused:UNUSED_PAD src0_sel:BYTE_0
	global_store_dword v[0:1], v2, off
.LBB15_396:
	s_mov_b64 s[6:7], 0
.LBB15_397:
	s_andn2_b64 vcc, exec, s[6:7]
	s_cbranch_vccnz .LBB15_406
; %bb.398:
	s_cmp_lt_i32 s8, 6
	s_mov_b64 s[6:7], -1
	s_cbranch_scc1 .LBB15_404
; %bb.399:
	s_cmp_gt_i32 s8, 6
	s_cbranch_scc0 .LBB15_401
; %bb.400:
	s_mov_b32 s6, 0xffff
	v_and_b32_sdwa v2, s6, v3 dst_sel:DWORD dst_unused:UNUSED_PAD src0_sel:DWORD src1_sel:BYTE_0
	v_cvt_f64_u32_e32 v[4:5], v2
	s_mov_b64 s[6:7], 0
	global_store_dwordx2 v[0:1], v[4:5], off
.LBB15_401:
	s_andn2_b64 vcc, exec, s[6:7]
	s_cbranch_vccnz .LBB15_403
; %bb.402:
	v_cvt_f32_ubyte0_e32 v2, v3
	global_store_dword v[0:1], v2, off
.LBB15_403:
	s_mov_b64 s[6:7], 0
.LBB15_404:
	s_andn2_b64 vcc, exec, s[6:7]
	s_cbranch_vccnz .LBB15_406
; %bb.405:
	v_cvt_f16_u16_sdwa v2, v3 dst_sel:DWORD dst_unused:UNUSED_PAD src0_sel:BYTE_0
	global_store_short v[0:1], v2, off
.LBB15_406:
	s_mov_b64 s[6:7], 0
.LBB15_407:
	s_andn2_b64 vcc, exec, s[6:7]
	s_cbranch_vccnz .LBB15_423
; %bb.408:
	s_cmp_lt_i32 s8, 2
	s_mov_b64 s[6:7], -1
	s_cbranch_scc1 .LBB15_418
; %bb.409:
	s_cmp_lt_i32 s8, 3
	s_cbranch_scc1 .LBB15_415
; %bb.410:
	s_cmp_gt_i32 s8, 3
	s_cbranch_scc0 .LBB15_412
; %bb.411:
	v_and_b32_e32 v4, 0xff, v3
	v_mov_b32_e32 v5, 0
	s_mov_b64 s[6:7], 0
	global_store_dwordx2 v[0:1], v[4:5], off
.LBB15_412:
	s_andn2_b64 vcc, exec, s[6:7]
	s_cbranch_vccnz .LBB15_414
; %bb.413:
	v_and_b32_e32 v2, 0xff, v3
	global_store_dword v[0:1], v2, off
.LBB15_414:
	s_mov_b64 s[6:7], 0
.LBB15_415:
	s_andn2_b64 vcc, exec, s[6:7]
	s_cbranch_vccnz .LBB15_417
; %bb.416:
	v_and_b32_e32 v2, 0xff, v3
	global_store_short v[0:1], v2, off
.LBB15_417:
	s_mov_b64 s[6:7], 0
.LBB15_418:
	s_andn2_b64 vcc, exec, s[6:7]
	s_cbranch_vccnz .LBB15_423
; %bb.419:
	s_cmp_gt_i32 s8, 0
	s_mov_b64 s[6:7], -1
	s_cbranch_scc0 .LBB15_421
; %bb.420:
	s_mov_b64 s[6:7], 0
	global_store_byte v[0:1], v3, off
.LBB15_421:
	s_andn2_b64 vcc, exec, s[6:7]
	s_cbranch_vccnz .LBB15_423
; %bb.422:
	global_store_byte v[0:1], v3, off
.LBB15_423:
	s_mov_b64 s[6:7], -1
.LBB15_424:
	s_andn2_b64 vcc, exec, s[6:7]
	s_cbranch_vccnz .LBB15_426
; %bb.425:
	v_add_u32_e32 v13, 0x80, v13
	s_mov_b64 s[6:7], -1
	s_branch .LBB15_535
.LBB15_426:
	s_mov_b64 s[6:7], 0
	s_branch .LBB15_534
.LBB15_427:
	s_mov_b64 s[4:5], -1
                                        ; implicit-def: $vgpr2
.LBB15_428:
	s_mov_b64 s[6:7], 0
.LBB15_429:
	s_and_b64 vcc, exec, s[6:7]
	s_cbranch_vccz .LBB15_433
; %bb.430:
	s_cmp_eq_u32 s8, 29
	s_cbranch_scc0 .LBB15_432
; %bb.431:
	global_load_dwordx2 v[2:3], v[4:5], off
	s_mov_b64 s[2:3], -1
	s_mov_b64 s[4:5], 0
	s_branch .LBB15_433
.LBB15_432:
	s_mov_b64 s[4:5], -1
                                        ; implicit-def: $vgpr2
.LBB15_433:
	s_mov_b64 s[6:7], 0
.LBB15_434:
	s_and_b64 vcc, exec, s[6:7]
	s_cbranch_vccz .LBB15_450
; %bb.435:
	s_cmp_lt_i32 s8, 27
	s_cbranch_scc1 .LBB15_438
; %bb.436:
	s_cmp_gt_i32 s8, 27
	s_cbranch_scc0 .LBB15_439
; %bb.437:
	global_load_dword v2, v[4:5], off
	s_mov_b64 s[2:3], 0
	s_branch .LBB15_440
.LBB15_438:
	s_mov_b64 s[2:3], -1
                                        ; implicit-def: $vgpr2
	s_branch .LBB15_443
.LBB15_439:
	s_mov_b64 s[2:3], -1
                                        ; implicit-def: $vgpr2
.LBB15_440:
	s_andn2_b64 vcc, exec, s[2:3]
	s_cbranch_vccnz .LBB15_442
; %bb.441:
	global_load_ushort v2, v[4:5], off
.LBB15_442:
	s_mov_b64 s[2:3], 0
.LBB15_443:
	s_andn2_b64 vcc, exec, s[2:3]
	s_cbranch_vccnz .LBB15_449
; %bb.444:
	global_load_ubyte v1, v[4:5], off
	s_movk_i32 s2, 0x7f
	s_mov_b64 s[6:7], 0
	s_waitcnt vmcnt(0)
	v_cmp_lt_i16_e32 vcc, s2, v1
	s_and_saveexec_b64 s[2:3], vcc
	s_xor_b64 s[2:3], exec, s[2:3]
	s_cbranch_execz .LBB15_461
; %bb.445:
	s_movk_i32 s6, 0x80
	v_cmp_ne_u16_e32 vcc, s6, v1
	s_and_b64 s[6:7], vcc, exec
	s_andn2_saveexec_b64 s[2:3], s[2:3]
	s_cbranch_execnz .LBB15_462
.LBB15_446:
	s_or_b64 exec, exec, s[2:3]
	v_mov_b32_e32 v2, 0
	s_and_saveexec_b64 s[2:3], s[6:7]
	s_cbranch_execz .LBB15_448
.LBB15_447:
	v_lshlrev_b32_e32 v2, 24, v1
	v_and_b32_e32 v1, 0xffff, v1
	v_and_b32_e32 v3, 7, v1
	v_ffbh_u32_e32 v7, v3
	v_min_u32_e32 v7, 32, v7
	v_subrev_u32_e32 v8, 28, v7
	v_bfe_u32 v6, v1, 3, 4
	v_lshlrev_b32_e32 v1, v8, v1
	v_sub_u32_e32 v7, 29, v7
	v_and_b32_e32 v1, 7, v1
	v_cmp_eq_u32_e32 vcc, 0, v6
	v_and_b32_e32 v2, 0x80000000, v2
	s_mov_b32 s6, 0x2f800000
	v_cndmask_b32_e32 v6, v6, v7, vcc
	v_cndmask_b32_e32 v1, v3, v1, vcc
	v_mov_b32_e32 v3, 0x3b800000
	v_lshlrev_b32_e32 v1, 20, v1
	v_lshl_add_u32 v3, v6, 23, v3
	v_or3_b32 v1, v2, v3, v1
	v_trunc_f32_e32 v1, v1
	v_mul_f32_e64 v2, |v1|, s6
	v_floor_f32_e32 v2, v2
	s_mov_b32 s6, 0xcf800000
	v_fma_f32 v2, v2, s6, |v1|
	v_cvt_u32_f32_e32 v2, v2
	v_ashrrev_i32_e32 v1, 31, v1
	v_xor_b32_e32 v2, v2, v1
	v_sub_u32_e32 v2, v2, v1
.LBB15_448:
	s_or_b64 exec, exec, s[2:3]
.LBB15_449:
	s_mov_b64 s[2:3], -1
.LBB15_450:
	s_mov_b64 s[6:7], 0
.LBB15_451:
	s_and_b64 vcc, exec, s[6:7]
	s_cbranch_vccz .LBB15_484
; %bb.452:
	s_cmp_gt_i32 s8, 22
	s_cbranch_scc0 .LBB15_460
; %bb.453:
	s_cmp_lt_i32 s8, 24
	s_cbranch_scc1 .LBB15_463
; %bb.454:
	s_cmp_gt_i32 s8, 24
	s_cbranch_scc0 .LBB15_464
; %bb.455:
	global_load_ubyte v1, v[4:5], off
	s_movk_i32 s2, 0x7f
	s_mov_b64 s[6:7], 0
	s_waitcnt vmcnt(0)
	v_cmp_lt_i16_e32 vcc, s2, v1
	s_and_saveexec_b64 s[2:3], vcc
	s_xor_b64 s[2:3], exec, s[2:3]
	s_cbranch_execz .LBB15_476
; %bb.456:
	s_movk_i32 s6, 0x80
	v_cmp_ne_u16_e32 vcc, s6, v1
	s_and_b64 s[6:7], vcc, exec
	s_andn2_saveexec_b64 s[2:3], s[2:3]
	s_cbranch_execnz .LBB15_477
.LBB15_457:
	s_or_b64 exec, exec, s[2:3]
	v_mov_b32_e32 v2, 0
	s_and_saveexec_b64 s[2:3], s[6:7]
	s_cbranch_execz .LBB15_459
.LBB15_458:
	v_lshlrev_b32_e32 v2, 24, v1
	v_and_b32_e32 v1, 0xffff, v1
	v_and_b32_e32 v3, 3, v1
	v_ffbh_u32_e32 v7, v3
	v_min_u32_e32 v7, 32, v7
	v_subrev_u32_e32 v8, 29, v7
	v_bfe_u32 v6, v1, 2, 5
	v_lshlrev_b32_e32 v1, v8, v1
	v_sub_u32_e32 v7, 30, v7
	v_and_b32_e32 v1, 3, v1
	v_cmp_eq_u32_e32 vcc, 0, v6
	v_and_b32_e32 v2, 0x80000000, v2
	s_mov_b32 s6, 0x2f800000
	v_cndmask_b32_e32 v6, v6, v7, vcc
	v_cndmask_b32_e32 v1, v3, v1, vcc
	v_mov_b32_e32 v3, 0x37800000
	v_lshlrev_b32_e32 v1, 21, v1
	v_lshl_add_u32 v3, v6, 23, v3
	v_or3_b32 v1, v2, v3, v1
	v_trunc_f32_e32 v1, v1
	v_mul_f32_e64 v2, |v1|, s6
	v_floor_f32_e32 v2, v2
	s_mov_b32 s6, 0xcf800000
	v_fma_f32 v2, v2, s6, |v1|
	v_cvt_u32_f32_e32 v2, v2
	v_ashrrev_i32_e32 v1, 31, v1
	v_xor_b32_e32 v2, v2, v1
	v_sub_u32_e32 v2, v2, v1
.LBB15_459:
	s_or_b64 exec, exec, s[2:3]
	s_mov_b64 s[2:3], 0
	s_branch .LBB15_465
.LBB15_460:
	s_mov_b64 s[6:7], -1
                                        ; implicit-def: $vgpr2
	s_branch .LBB15_471
.LBB15_461:
	s_andn2_saveexec_b64 s[2:3], s[2:3]
	s_cbranch_execz .LBB15_446
.LBB15_462:
	v_cmp_ne_u16_e32 vcc, 0, v1
	s_andn2_b64 s[6:7], s[6:7], exec
	s_and_b64 s[10:11], vcc, exec
	s_or_b64 s[6:7], s[6:7], s[10:11]
	s_or_b64 exec, exec, s[2:3]
	v_mov_b32_e32 v2, 0
	s_and_saveexec_b64 s[2:3], s[6:7]
	s_cbranch_execnz .LBB15_447
	s_branch .LBB15_448
.LBB15_463:
	s_mov_b64 s[2:3], -1
                                        ; implicit-def: $vgpr2
	s_branch .LBB15_468
.LBB15_464:
	s_mov_b64 s[2:3], -1
                                        ; implicit-def: $vgpr2
.LBB15_465:
	s_and_b64 vcc, exec, s[2:3]
	s_cbranch_vccz .LBB15_467
; %bb.466:
	global_load_ubyte v1, v[4:5], off
	s_mov_b32 s2, 0x7f800000
	s_brev_b32 s3, 1
	s_mov_b32 s6, 0x2f800000
	s_waitcnt vmcnt(0)
	v_lshlrev_b32_e32 v1, 24, v1
	v_and_b32_e32 v2, 0x7f000000, v1
	v_ffbh_u32_e32 v3, v2
	v_min_u32_e32 v3, 32, v3
	v_sub_u32_e64 v3, v3, 4 clamp
	v_lshlrev_b32_e32 v7, v3, v2
	v_lshlrev_b32_e32 v3, 23, v3
	v_lshrrev_b32_e32 v7, 4, v7
	v_add_u32_e32 v6, 0x1000000, v2
	v_sub_u32_e32 v3, v7, v3
	v_ashrrev_i32_e32 v6, 8, v6
	v_add_u32_e32 v3, 0x3c000000, v3
	v_and_or_b32 v3, v6, s2, v3
	v_cmp_ne_u32_e32 vcc, 0, v2
	s_mov_b32 s2, 0xcf800000
	s_nop 0
	v_cndmask_b32_e32 v2, 0, v3, vcc
	v_and_or_b32 v1, v1, s3, v2
	v_trunc_f32_e32 v1, v1
	v_mul_f32_e64 v2, |v1|, s6
	v_floor_f32_e32 v2, v2
	v_fma_f32 v2, v2, s2, |v1|
	v_cvt_u32_f32_e32 v2, v2
	v_ashrrev_i32_e32 v1, 31, v1
	v_xor_b32_e32 v2, v2, v1
	v_sub_u32_e32 v2, v2, v1
.LBB15_467:
	s_mov_b64 s[2:3], 0
.LBB15_468:
	s_andn2_b64 vcc, exec, s[2:3]
	s_cbranch_vccnz .LBB15_470
; %bb.469:
	global_load_ubyte v1, v[4:5], off
	s_movk_i32 s2, 0x7f00
	s_brev_b32 s3, 16
	s_brev_b32 s6, 1
	s_mov_b32 s7, 0x2f800000
	s_waitcnt vmcnt(0)
	v_lshlrev_b16_e32 v2, 8, v1
	v_lshlrev_b32_e32 v1, 25, v1
	v_lshrrev_b32_e32 v3, 4, v1
	v_and_or_b32 v6, v2, s2, 0.5
	v_or_b32_e32 v3, 0x70000000, v3
	v_add_f32_e32 v6, -0.5, v6
	v_mul_f32_e32 v3, 0x7800000, v3
	v_cmp_gt_u32_e32 vcc, s3, v1
	v_bfe_i32 v2, v2, 0, 16
	s_mov_b32 s2, 0xcf800000
	v_cndmask_b32_e32 v1, v3, v6, vcc
	v_and_or_b32 v1, v2, s6, v1
	v_trunc_f32_e32 v1, v1
	v_mul_f32_e64 v2, |v1|, s7
	v_floor_f32_e32 v2, v2
	v_fma_f32 v2, v2, s2, |v1|
	v_cvt_u32_f32_e32 v2, v2
	v_ashrrev_i32_e32 v1, 31, v1
	v_xor_b32_e32 v2, v2, v1
	v_sub_u32_e32 v2, v2, v1
.LBB15_470:
	s_mov_b64 s[6:7], 0
	s_mov_b64 s[2:3], -1
.LBB15_471:
	s_andn2_b64 vcc, exec, s[6:7]
	s_cbranch_vccnz .LBB15_484
; %bb.472:
	s_cmp_gt_i32 s8, 14
	s_cbranch_scc0 .LBB15_475
; %bb.473:
	s_cmp_eq_u32 s8, 15
	s_cbranch_scc0 .LBB15_478
; %bb.474:
	global_load_ushort v1, v[4:5], off
	s_mov_b32 s2, 0x2f800000
	s_mov_b32 s3, 0xcf800000
	s_mov_b64 s[4:5], 0
	s_waitcnt vmcnt(0)
	v_lshlrev_b32_e32 v1, 16, v1
	v_trunc_f32_e32 v1, v1
	v_mul_f32_e64 v2, |v1|, s2
	v_floor_f32_e32 v2, v2
	v_fma_f32 v2, v2, s3, |v1|
	v_cvt_u32_f32_e32 v2, v2
	v_ashrrev_i32_e32 v1, 31, v1
	s_mov_b64 s[2:3], -1
	v_xor_b32_e32 v2, v2, v1
	v_sub_u32_e32 v2, v2, v1
	s_branch .LBB15_479
.LBB15_475:
	s_mov_b64 s[6:7], -1
                                        ; implicit-def: $vgpr2
	s_branch .LBB15_480
.LBB15_476:
	s_andn2_saveexec_b64 s[2:3], s[2:3]
	s_cbranch_execz .LBB15_457
.LBB15_477:
	v_cmp_ne_u16_e32 vcc, 0, v1
	s_andn2_b64 s[6:7], s[6:7], exec
	s_and_b64 s[10:11], vcc, exec
	s_or_b64 s[6:7], s[6:7], s[10:11]
	s_or_b64 exec, exec, s[2:3]
	v_mov_b32_e32 v2, 0
	s_and_saveexec_b64 s[2:3], s[6:7]
	s_cbranch_execnz .LBB15_458
	s_branch .LBB15_459
.LBB15_478:
	s_mov_b64 s[4:5], -1
                                        ; implicit-def: $vgpr2
.LBB15_479:
	s_mov_b64 s[6:7], 0
.LBB15_480:
	s_and_b64 vcc, exec, s[6:7]
	s_cbranch_vccz .LBB15_484
; %bb.481:
	s_cmp_eq_u32 s8, 11
	s_cbranch_scc0 .LBB15_483
; %bb.482:
	global_load_ubyte v1, v[4:5], off
	s_mov_b64 s[2:3], -1
	s_mov_b64 s[4:5], 0
	s_waitcnt vmcnt(0)
	v_cmp_ne_u16_e32 vcc, 0, v1
	s_nop 1
	v_cndmask_b32_e64 v2, 0, 1, vcc
	s_branch .LBB15_484
.LBB15_483:
	s_mov_b64 s[4:5], -1
                                        ; implicit-def: $vgpr2
.LBB15_484:
	s_branch .LBB15_291
.LBB15_485:
	s_cmp_lt_i32 s8, 5
	s_cbranch_scc1 .LBB15_490
; %bb.486:
	s_cmp_lt_i32 s8, 8
	s_cbranch_scc1 .LBB15_491
; %bb.487:
	;; [unrolled: 3-line block ×3, first 2 shown]
	s_cmp_gt_i32 s8, 9
	s_cbranch_scc0 .LBB15_493
; %bb.489:
	global_load_dwordx2 v[2:3], v[4:5], off
	s_movk_i32 s2, 0xffe0
	s_waitcnt vmcnt(0)
	v_trunc_f64_e32 v[2:3], v[2:3]
	v_ldexp_f64 v[6:7], v[2:3], s2
	v_floor_f64_e32 v[6:7], v[6:7]
	v_fmac_f64_e32 v[2:3], 0xc1f00000, v[6:7]
	v_cvt_u32_f64_e32 v2, v[2:3]
	s_mov_b64 s[2:3], 0
	s_branch .LBB15_494
.LBB15_490:
	s_mov_b64 s[2:3], -1
                                        ; implicit-def: $vgpr2
	s_branch .LBB15_512
.LBB15_491:
	s_mov_b64 s[2:3], -1
                                        ; implicit-def: $vgpr2
	s_branch .LBB15_500
.LBB15_492:
	s_mov_b64 s[2:3], -1
                                        ; implicit-def: $vgpr2
	s_branch .LBB15_497
.LBB15_493:
	s_mov_b64 s[2:3], -1
                                        ; implicit-def: $vgpr2
.LBB15_494:
	s_andn2_b64 vcc, exec, s[2:3]
	s_cbranch_vccnz .LBB15_496
; %bb.495:
	global_load_dword v1, v[4:5], off
	s_mov_b32 s2, 0x2f800000
	s_waitcnt vmcnt(0)
	v_trunc_f32_e32 v1, v1
	v_mul_f32_e64 v2, |v1|, s2
	v_floor_f32_e32 v2, v2
	s_mov_b32 s2, 0xcf800000
	v_fma_f32 v2, v2, s2, |v1|
	v_cvt_u32_f32_e32 v2, v2
	v_ashrrev_i32_e32 v1, 31, v1
	v_xor_b32_e32 v2, v2, v1
	v_sub_u32_e32 v2, v2, v1
.LBB15_496:
	s_mov_b64 s[2:3], 0
.LBB15_497:
	s_andn2_b64 vcc, exec, s[2:3]
	s_cbranch_vccnz .LBB15_499
; %bb.498:
	global_load_dword v1, v[4:5], off
	s_waitcnt vmcnt(0)
	v_cvt_f32_f16_e32 v1, v1
	v_cvt_i32_f32_e32 v2, v1
.LBB15_499:
	s_mov_b64 s[2:3], 0
.LBB15_500:
	s_andn2_b64 vcc, exec, s[2:3]
	s_cbranch_vccnz .LBB15_511
; %bb.501:
	s_cmp_lt_i32 s8, 6
	s_cbranch_scc1 .LBB15_504
; %bb.502:
	s_cmp_gt_i32 s8, 6
	s_cbranch_scc0 .LBB15_505
; %bb.503:
	global_load_dwordx2 v[2:3], v[4:5], off
	s_movk_i32 s2, 0xffe0
	s_waitcnt vmcnt(0)
	v_trunc_f64_e32 v[2:3], v[2:3]
	v_ldexp_f64 v[6:7], v[2:3], s2
	v_floor_f64_e32 v[6:7], v[6:7]
	v_fmac_f64_e32 v[2:3], 0xc1f00000, v[6:7]
	v_cvt_u32_f64_e32 v2, v[2:3]
	s_mov_b64 s[2:3], 0
	s_branch .LBB15_506
.LBB15_504:
	s_mov_b64 s[2:3], -1
                                        ; implicit-def: $vgpr2
	s_branch .LBB15_509
.LBB15_505:
	s_mov_b64 s[2:3], -1
                                        ; implicit-def: $vgpr2
.LBB15_506:
	s_andn2_b64 vcc, exec, s[2:3]
	s_cbranch_vccnz .LBB15_508
; %bb.507:
	global_load_dword v1, v[4:5], off
	s_mov_b32 s2, 0x2f800000
	s_waitcnt vmcnt(0)
	v_trunc_f32_e32 v1, v1
	v_mul_f32_e64 v2, |v1|, s2
	v_floor_f32_e32 v2, v2
	s_mov_b32 s2, 0xcf800000
	v_fma_f32 v2, v2, s2, |v1|
	v_cvt_u32_f32_e32 v2, v2
	v_ashrrev_i32_e32 v1, 31, v1
	v_xor_b32_e32 v2, v2, v1
	v_sub_u32_e32 v2, v2, v1
.LBB15_508:
	s_mov_b64 s[2:3], 0
.LBB15_509:
	s_andn2_b64 vcc, exec, s[2:3]
	s_cbranch_vccnz .LBB15_511
; %bb.510:
	global_load_ushort v1, v[4:5], off
	s_waitcnt vmcnt(0)
	v_cvt_f32_f16_e32 v1, v1
	v_cvt_i32_f32_e32 v2, v1
.LBB15_511:
	s_mov_b64 s[2:3], 0
.LBB15_512:
	s_andn2_b64 vcc, exec, s[2:3]
	s_cbranch_vccnz .LBB15_532
; %bb.513:
	s_cmp_lt_i32 s8, 2
	s_cbranch_scc1 .LBB15_517
; %bb.514:
	s_cmp_lt_i32 s8, 3
	s_cbranch_scc1 .LBB15_518
; %bb.515:
	s_cmp_gt_i32 s8, 3
	s_cbranch_scc0 .LBB15_519
; %bb.516:
	global_load_dwordx2 v[2:3], v[4:5], off
	s_mov_b64 s[2:3], 0
	s_branch .LBB15_520
.LBB15_517:
	s_mov_b64 s[2:3], -1
                                        ; implicit-def: $vgpr2
	s_branch .LBB15_526
.LBB15_518:
	s_mov_b64 s[2:3], -1
                                        ; implicit-def: $vgpr2
	s_branch .LBB15_523
.LBB15_519:
	s_mov_b64 s[2:3], -1
                                        ; implicit-def: $vgpr2
.LBB15_520:
	s_andn2_b64 vcc, exec, s[2:3]
	s_cbranch_vccnz .LBB15_522
; %bb.521:
	global_load_dword v2, v[4:5], off
.LBB15_522:
	s_mov_b64 s[2:3], 0
.LBB15_523:
	s_andn2_b64 vcc, exec, s[2:3]
	s_cbranch_vccnz .LBB15_525
; %bb.524:
	global_load_ushort v2, v[4:5], off
.LBB15_525:
	s_mov_b64 s[2:3], 0
.LBB15_526:
	s_andn2_b64 vcc, exec, s[2:3]
	s_cbranch_vccnz .LBB15_532
; %bb.527:
	s_cmp_gt_i32 s8, 0
	s_cbranch_scc0 .LBB15_529
; %bb.528:
	global_load_ubyte v2, v[4:5], off
	s_mov_b64 s[2:3], 0
	s_branch .LBB15_530
.LBB15_529:
	s_mov_b64 s[2:3], -1
                                        ; implicit-def: $vgpr2
.LBB15_530:
	s_andn2_b64 vcc, exec, s[2:3]
	s_cbranch_vccnz .LBB15_532
; %bb.531:
	global_load_ubyte v2, v[4:5], off
.LBB15_532:
	s_branch .LBB15_292
.LBB15_533:
	s_mov_b64 s[6:7], 0
	s_mov_b64 s[2:3], s[54:55]
.LBB15_534:
                                        ; implicit-def: $vgpr13
.LBB15_535:
	s_andn2_b64 s[8:9], s[54:55], exec
	s_and_b64 s[2:3], s[2:3], exec
	s_or_b64 s[62:63], s[8:9], s[2:3]
	s_andn2_b64 s[2:3], s[56:57], exec
	s_and_b64 s[4:5], s[4:5], exec
	s_or_b64 s[60:61], s[2:3], s[4:5]
	s_orn2_b64 s[2:3], s[6:7], exec
.LBB15_536:
	s_or_b64 exec, exec, s[64:65]
	s_mov_b64 s[4:5], 0
	s_mov_b64 s[6:7], 0
	;; [unrolled: 1-line block ×3, first 2 shown]
                                        ; implicit-def: $vgpr4_vgpr5
                                        ; implicit-def: $vgpr0
                                        ; implicit-def: $vgpr2
	s_and_saveexec_b64 s[64:65], s[2:3]
	s_cbranch_execz .LBB15_905
; %bb.537:
	v_cmp_gt_i32_e32 vcc, s70, v13
	s_mov_b64 s[6:7], -1
	s_mov_b64 s[2:3], s[60:61]
	s_mov_b64 s[68:69], s[62:63]
	s_and_saveexec_b64 s[66:67], vcc
	s_cbranch_execz .LBB15_808
; %bb.538:
	s_andn2_b64 vcc, exec, s[42:43]
	s_cbranch_vccnz .LBB15_544
; %bb.539:
	s_andn2_b64 vcc, exec, s[52:53]
	s_cbranch_vccnz .LBB15_545
; %bb.540:
	s_add_i32 s76, s75, 1
	s_cmp_eq_u32 s72, 2
	s_cbranch_scc1 .LBB15_546
; %bb.541:
	s_and_b32 s71, s76, 28
	s_mov_b32 s77, 0
	v_mov_b32_e32 v0, 0
	s_waitcnt vmcnt(0)
	v_mov_b32_e32 v2, 0
	s_mov_b64 s[2:3], s[34:35]
	s_mov_b64 s[68:69], s[50:51]
	v_mov_b32_e32 v4, v13
.LBB15_542:                             ; =>This Inner Loop Header: Depth=1
	s_load_dwordx8 s[12:19], s[2:3], 0x4
	s_load_dwordx4 s[36:39], s[2:3], 0x24
	s_load_dwordx8 s[4:11], s[68:69], 0x0
	s_add_u32 s2, s2, 48
	s_addc_u32 s3, s3, 0
	s_waitcnt lgkmcnt(0)
	v_mul_hi_u32 v1, s13, v4
	v_add_u32_e32 v1, v4, v1
	v_lshrrev_b32_e32 v1, s14, v1
	v_mul_lo_u32 v3, v1, s12
	v_mul_hi_u32 v5, s16, v1
	v_sub_u32_e32 v3, v4, v3
	v_add_u32_e32 v4, v1, v5
	v_lshrrev_b32_e32 v4, s17, v4
	v_mul_lo_u32 v6, v4, s15
	v_mul_hi_u32 v7, s19, v4
	v_sub_u32_e32 v1, v1, v6
	v_add_u32_e32 v6, v4, v7
	v_mul_lo_u32 v5, v3, s5
	v_mul_lo_u32 v3, v3, s4
	;; [unrolled: 1-line block ×4, first 2 shown]
	v_lshrrev_b32_e32 v6, s36, v6
	v_add3_u32 v0, v3, v0, v1
	v_mul_hi_u32 v3, s38, v6
	v_add3_u32 v1, v5, v2, v7
	v_mul_lo_u32 v2, v6, s18
	v_add_u32_e32 v3, v6, v3
	v_sub_u32_e32 v2, v4, v2
	v_lshrrev_b32_e32 v4, s39, v3
	s_add_i32 s77, s77, 4
	v_mul_lo_u32 v3, v4, s37
	s_add_u32 s68, s68, 32
	v_sub_u32_e32 v3, v6, v3
	s_addc_u32 s69, s69, 0
	v_mul_lo_u32 v5, v2, s8
	v_mul_lo_u32 v2, v2, s9
	;; [unrolled: 1-line block ×4, first 2 shown]
	s_cmp_eq_u32 s71, s77
	v_add3_u32 v2, v2, v1, v3
	v_add3_u32 v0, v5, v0, v6
	s_cbranch_scc0 .LBB15_542
; %bb.543:
	v_mov_b32_e32 v1, v2
	s_branch .LBB15_547
.LBB15_544:
	s_mov_b64 s[2:3], -1
                                        ; implicit-def: $vgpr2
                                        ; implicit-def: $vgpr0
	s_branch .LBB15_551
.LBB15_545:
	s_waitcnt vmcnt(0)
	v_mov_b32_e32 v2, 0
	v_mov_b32_e32 v0, 0
	s_branch .LBB15_550
.LBB15_546:
	v_mov_b32_e32 v0, 0
	s_mov_b32 s71, 0
	v_mov_b32_e32 v1, v0
                                        ; implicit-def: $vgpr2
	v_mov_b32_e32 v4, v13
.LBB15_547:
	s_and_b32 s6, s76, 3
	s_cmp_eq_u32 s6, 0
	s_cbranch_scc1 .LBB15_550
; %bb.548:
	s_lshl_b32 s2, s71, 3
	s_add_u32 s2, s34, s2
	s_addc_u32 s3, s35, 0
	s_add_u32 s2, s2, 0xc4
	s_addc_u32 s3, s3, 0
	s_mul_i32 s4, s71, 12
	s_add_u32 s4, s34, s4
	s_addc_u32 s5, s35, 0
.LBB15_549:                             ; =>This Inner Loop Header: Depth=1
	s_load_dwordx2 s[8:9], s[4:5], 0x4
	s_load_dword s7, s[4:5], 0xc
	s_load_dwordx2 s[10:11], s[2:3], 0x0
	s_waitcnt vmcnt(0)
	v_mov_b32_e32 v2, v1
	s_add_u32 s4, s4, 12
	s_waitcnt lgkmcnt(0)
	v_mul_hi_u32 v1, s9, v4
	v_add_u32_e32 v1, v4, v1
	v_lshrrev_b32_e32 v1, s7, v1
	s_addc_u32 s5, s5, 0
	v_mul_lo_u32 v3, v1, s8
	s_add_u32 s2, s2, 8
	v_sub_u32_e32 v5, v4, v3
	s_addc_u32 s3, s3, 0
	s_add_i32 s6, s6, -1
	v_mov_b32_e32 v4, v1
	v_mad_u64_u32 v[2:3], s[8:9], v5, s11, v[2:3]
	v_mad_u64_u32 v[0:1], s[8:9], v5, s10, v[0:1]
	s_cmp_lg_u32 s6, 0
	v_mov_b32_e32 v1, v2
	s_cbranch_scc1 .LBB15_549
.LBB15_550:
	s_mov_b64 s[2:3], 0
.LBB15_551:
	s_andn2_b64 vcc, exec, s[2:3]
	s_cbranch_vccnz .LBB15_554
; %bb.552:
	s_waitcnt lgkmcnt(0)
	v_mul_hi_u32 v0, s29, v13
	v_add_u32_e32 v0, v13, v0
	v_lshrrev_b32_e32 v1, s30, v0
	v_mul_lo_u32 v0, v1, s28
	v_sub_u32_e32 v0, v13, v0
	s_waitcnt vmcnt(0)
	v_mul_lo_u32 v2, v0, s25
	s_andn2_b64 vcc, exec, s[48:49]
	v_mul_lo_u32 v0, v0, s24
	s_cbranch_vccnz .LBB15_554
; %bb.553:
	v_mul_hi_u32 v3, s46, v1
	v_add_u32_e32 v3, v1, v3
	v_lshrrev_b32_e32 v3, s47, v3
	v_mul_lo_u32 v3, v3, s31
	v_sub_u32_e32 v3, v1, v3
	v_mad_u64_u32 v[0:1], s[2:3], v3, s26, v[0:1]
	v_mad_u64_u32 v[2:3], s[2:3], v3, s27, v[2:3]
.LBB15_554:
	s_waitcnt vmcnt(0)
	v_mov_b32_e32 v3, 0
	s_and_b32 s8, 0xffff, s74
	s_cmp_lt_i32 s8, 11
	s_waitcnt lgkmcnt(0)
	v_lshl_add_u64 v[4:5], s[22:23], 0, v[2:3]
	s_cbranch_scc1 .LBB15_561
; %bb.555:
	s_cmp_gt_i32 s8, 25
	s_cbranch_scc0 .LBB15_562
; %bb.556:
	s_cmp_gt_i32 s8, 28
	s_cbranch_scc0 .LBB15_563
	;; [unrolled: 3-line block ×4, first 2 shown]
; %bb.559:
	s_cmp_eq_u32 s8, 46
	s_mov_b64 s[6:7], 0
	s_cbranch_scc0 .LBB15_570
; %bb.560:
	global_load_dword v1, v[4:5], off
	s_mov_b32 s2, 0x2f800000
	s_mov_b32 s3, 0xcf800000
	s_mov_b64 s[4:5], 0
	s_waitcnt vmcnt(0)
	v_lshlrev_b32_e32 v1, 16, v1
	v_trunc_f32_e32 v1, v1
	v_mul_f32_e64 v2, |v1|, s2
	v_floor_f32_e32 v2, v2
	v_fma_f32 v2, v2, s3, |v1|
	v_cvt_u32_f32_e32 v2, v2
	v_ashrrev_i32_e32 v1, 31, v1
	s_mov_b64 s[2:3], -1
	v_xor_b32_e32 v2, v2, v1
	v_sub_u32_e32 v2, v2, v1
	s_branch .LBB15_571
.LBB15_561:
	s_mov_b64 s[6:7], -1
	s_mov_b64 s[2:3], 0
                                        ; implicit-def: $vgpr2
	s_mov_b64 s[4:5], s[60:61]
	s_branch .LBB15_632
.LBB15_562:
	s_mov_b64 s[6:7], -1
	s_mov_b64 s[2:3], 0
	s_mov_b64 s[4:5], s[60:61]
                                        ; implicit-def: $vgpr2
	s_branch .LBB15_598
.LBB15_563:
	s_mov_b64 s[6:7], -1
	s_mov_b64 s[2:3], 0
	s_mov_b64 s[4:5], s[60:61]
                                        ; implicit-def: $vgpr2
	s_branch .LBB15_581
.LBB15_564:
	s_mov_b64 s[6:7], -1
	s_mov_b64 s[2:3], 0
	s_mov_b64 s[4:5], s[60:61]
                                        ; implicit-def: $vgpr2
	s_branch .LBB15_576
.LBB15_565:
	s_andn2_saveexec_b64 s[10:11], s[10:11]
	s_cbranch_execz .LBB15_337
.LBB15_566:
	v_add_f32_e32 v4, 0x46000000, v5
	v_and_b32_e32 v4, 0xff, v4
	v_cmp_ne_u32_e32 vcc, 0, v4
	s_andn2_b64 s[8:9], s[8:9], exec
	s_and_b64 s[14:15], vcc, exec
	s_or_b64 s[8:9], s[8:9], s[14:15]
	s_or_b64 exec, exec, s[10:11]
	v_mov_b32_e32 v6, 0
	s_and_saveexec_b64 s[10:11], s[8:9]
	s_cbranch_execnz .LBB15_338
	s_branch .LBB15_339
.LBB15_567:
	s_mov_b64 s[6:7], -1
	s_mov_b64 s[2:3], 0
	s_mov_b64 s[4:5], s[60:61]
                                        ; implicit-def: $vgpr2
	s_branch .LBB15_571
.LBB15_568:
	s_andn2_saveexec_b64 s[10:11], s[10:11]
	s_cbranch_execz .LBB15_350
.LBB15_569:
	v_add_f32_e32 v4, 0x42800000, v5
	v_and_b32_e32 v4, 0xff, v4
	v_cmp_ne_u32_e32 vcc, 0, v4
	s_andn2_b64 s[8:9], s[8:9], exec
	s_and_b64 s[14:15], vcc, exec
	s_or_b64 s[8:9], s[8:9], s[14:15]
	s_or_b64 exec, exec, s[10:11]
	v_mov_b32_e32 v6, 0
	s_and_saveexec_b64 s[10:11], s[8:9]
	s_cbranch_execnz .LBB15_351
	s_branch .LBB15_352
.LBB15_570:
	s_mov_b64 s[4:5], -1
                                        ; implicit-def: $vgpr2
	s_mov_b64 s[2:3], 0
.LBB15_571:
	s_and_b64 vcc, exec, s[6:7]
	s_cbranch_vccz .LBB15_575
; %bb.572:
	s_cmp_eq_u32 s8, 44
	s_cbranch_scc0 .LBB15_574
; %bb.573:
	global_load_ubyte v1, v[4:5], off
	s_mov_b32 s2, 0x2f800000
	s_mov_b32 s3, 0xcf800000
	s_mov_b64 s[4:5], 0
	s_waitcnt vmcnt(0)
	v_lshlrev_b32_e32 v2, 23, v1
	v_trunc_f32_e32 v2, v2
	v_mul_f32_e64 v3, |v2|, s2
	v_floor_f32_e32 v3, v3
	v_fma_f32 v3, v3, s3, |v2|
	v_cvt_u32_f32_e32 v3, v3
	v_ashrrev_i32_e32 v2, 31, v2
	v_cmp_ne_u32_e32 vcc, 0, v1
	s_mov_b64 s[2:3], -1
	v_xor_b32_e32 v3, v3, v2
	v_sub_u32_e32 v2, v3, v2
	v_cndmask_b32_e32 v2, 0, v2, vcc
	s_branch .LBB15_575
.LBB15_574:
	s_mov_b64 s[4:5], -1
                                        ; implicit-def: $vgpr2
.LBB15_575:
	s_mov_b64 s[6:7], 0
.LBB15_576:
	s_and_b64 vcc, exec, s[6:7]
	s_cbranch_vccz .LBB15_580
; %bb.577:
	s_cmp_eq_u32 s8, 29
	s_cbranch_scc0 .LBB15_579
; %bb.578:
	global_load_dwordx2 v[2:3], v[4:5], off
	s_mov_b64 s[2:3], -1
	s_mov_b64 s[4:5], 0
	s_branch .LBB15_580
.LBB15_579:
	s_mov_b64 s[4:5], -1
                                        ; implicit-def: $vgpr2
.LBB15_580:
	s_mov_b64 s[6:7], 0
.LBB15_581:
	s_and_b64 vcc, exec, s[6:7]
	s_cbranch_vccz .LBB15_597
; %bb.582:
	s_cmp_lt_i32 s8, 27
	s_cbranch_scc1 .LBB15_585
; %bb.583:
	s_cmp_gt_i32 s8, 27
	s_cbranch_scc0 .LBB15_586
; %bb.584:
	global_load_dword v2, v[4:5], off
	s_mov_b64 s[2:3], 0
	s_branch .LBB15_587
.LBB15_585:
	s_mov_b64 s[2:3], -1
                                        ; implicit-def: $vgpr2
	s_branch .LBB15_590
.LBB15_586:
	s_mov_b64 s[2:3], -1
                                        ; implicit-def: $vgpr2
.LBB15_587:
	s_andn2_b64 vcc, exec, s[2:3]
	s_cbranch_vccnz .LBB15_589
; %bb.588:
	global_load_ushort v2, v[4:5], off
.LBB15_589:
	s_mov_b64 s[2:3], 0
.LBB15_590:
	s_andn2_b64 vcc, exec, s[2:3]
	s_cbranch_vccnz .LBB15_596
; %bb.591:
	global_load_ubyte v1, v[4:5], off
	s_movk_i32 s2, 0x7f
	s_mov_b64 s[6:7], 0
	s_waitcnt vmcnt(0)
	v_cmp_lt_i16_e32 vcc, s2, v1
	s_and_saveexec_b64 s[2:3], vcc
	s_xor_b64 s[2:3], exec, s[2:3]
	s_cbranch_execz .LBB15_608
; %bb.592:
	s_movk_i32 s6, 0x80
	v_cmp_ne_u16_e32 vcc, s6, v1
	s_and_b64 s[6:7], vcc, exec
	s_andn2_saveexec_b64 s[2:3], s[2:3]
	s_cbranch_execnz .LBB15_609
.LBB15_593:
	s_or_b64 exec, exec, s[2:3]
	v_mov_b32_e32 v2, 0
	s_and_saveexec_b64 s[2:3], s[6:7]
	s_cbranch_execz .LBB15_595
.LBB15_594:
	v_lshlrev_b32_e32 v2, 24, v1
	v_and_b32_e32 v1, 0xffff, v1
	v_and_b32_e32 v3, 7, v1
	v_ffbh_u32_e32 v7, v3
	v_min_u32_e32 v7, 32, v7
	v_subrev_u32_e32 v8, 28, v7
	v_bfe_u32 v6, v1, 3, 4
	v_lshlrev_b32_e32 v1, v8, v1
	v_sub_u32_e32 v7, 29, v7
	v_and_b32_e32 v1, 7, v1
	v_cmp_eq_u32_e32 vcc, 0, v6
	v_and_b32_e32 v2, 0x80000000, v2
	s_mov_b32 s6, 0x2f800000
	v_cndmask_b32_e32 v6, v6, v7, vcc
	v_cndmask_b32_e32 v1, v3, v1, vcc
	v_mov_b32_e32 v3, 0x3b800000
	v_lshlrev_b32_e32 v1, 20, v1
	v_lshl_add_u32 v3, v6, 23, v3
	v_or3_b32 v1, v2, v3, v1
	v_trunc_f32_e32 v1, v1
	v_mul_f32_e64 v2, |v1|, s6
	v_floor_f32_e32 v2, v2
	s_mov_b32 s6, 0xcf800000
	v_fma_f32 v2, v2, s6, |v1|
	v_cvt_u32_f32_e32 v2, v2
	v_ashrrev_i32_e32 v1, 31, v1
	v_xor_b32_e32 v2, v2, v1
	v_sub_u32_e32 v2, v2, v1
.LBB15_595:
	s_or_b64 exec, exec, s[2:3]
.LBB15_596:
	s_mov_b64 s[2:3], -1
.LBB15_597:
	s_mov_b64 s[6:7], 0
.LBB15_598:
	s_and_b64 vcc, exec, s[6:7]
	s_cbranch_vccz .LBB15_631
; %bb.599:
	s_cmp_gt_i32 s8, 22
	s_cbranch_scc0 .LBB15_607
; %bb.600:
	s_cmp_lt_i32 s8, 24
	s_cbranch_scc1 .LBB15_610
; %bb.601:
	s_cmp_gt_i32 s8, 24
	s_cbranch_scc0 .LBB15_611
; %bb.602:
	global_load_ubyte v1, v[4:5], off
	s_movk_i32 s2, 0x7f
	s_mov_b64 s[6:7], 0
	s_waitcnt vmcnt(0)
	v_cmp_lt_i16_e32 vcc, s2, v1
	s_and_saveexec_b64 s[2:3], vcc
	s_xor_b64 s[2:3], exec, s[2:3]
	s_cbranch_execz .LBB15_623
; %bb.603:
	s_movk_i32 s6, 0x80
	v_cmp_ne_u16_e32 vcc, s6, v1
	s_and_b64 s[6:7], vcc, exec
	s_andn2_saveexec_b64 s[2:3], s[2:3]
	s_cbranch_execnz .LBB15_624
.LBB15_604:
	s_or_b64 exec, exec, s[2:3]
	v_mov_b32_e32 v2, 0
	s_and_saveexec_b64 s[2:3], s[6:7]
	s_cbranch_execz .LBB15_606
.LBB15_605:
	v_lshlrev_b32_e32 v2, 24, v1
	v_and_b32_e32 v1, 0xffff, v1
	v_and_b32_e32 v3, 3, v1
	v_ffbh_u32_e32 v7, v3
	v_min_u32_e32 v7, 32, v7
	v_subrev_u32_e32 v8, 29, v7
	v_bfe_u32 v6, v1, 2, 5
	v_lshlrev_b32_e32 v1, v8, v1
	v_sub_u32_e32 v7, 30, v7
	v_and_b32_e32 v1, 3, v1
	v_cmp_eq_u32_e32 vcc, 0, v6
	v_and_b32_e32 v2, 0x80000000, v2
	s_mov_b32 s6, 0x2f800000
	v_cndmask_b32_e32 v6, v6, v7, vcc
	v_cndmask_b32_e32 v1, v3, v1, vcc
	v_mov_b32_e32 v3, 0x37800000
	v_lshlrev_b32_e32 v1, 21, v1
	v_lshl_add_u32 v3, v6, 23, v3
	v_or3_b32 v1, v2, v3, v1
	v_trunc_f32_e32 v1, v1
	v_mul_f32_e64 v2, |v1|, s6
	v_floor_f32_e32 v2, v2
	s_mov_b32 s6, 0xcf800000
	v_fma_f32 v2, v2, s6, |v1|
	v_cvt_u32_f32_e32 v2, v2
	v_ashrrev_i32_e32 v1, 31, v1
	v_xor_b32_e32 v2, v2, v1
	v_sub_u32_e32 v2, v2, v1
.LBB15_606:
	s_or_b64 exec, exec, s[2:3]
	s_mov_b64 s[2:3], 0
	s_branch .LBB15_612
.LBB15_607:
	s_mov_b64 s[6:7], -1
                                        ; implicit-def: $vgpr2
	s_branch .LBB15_618
.LBB15_608:
	s_andn2_saveexec_b64 s[2:3], s[2:3]
	s_cbranch_execz .LBB15_593
.LBB15_609:
	v_cmp_ne_u16_e32 vcc, 0, v1
	s_andn2_b64 s[6:7], s[6:7], exec
	s_and_b64 s[10:11], vcc, exec
	s_or_b64 s[6:7], s[6:7], s[10:11]
	s_or_b64 exec, exec, s[2:3]
	v_mov_b32_e32 v2, 0
	s_and_saveexec_b64 s[2:3], s[6:7]
	s_cbranch_execnz .LBB15_594
	s_branch .LBB15_595
.LBB15_610:
	s_mov_b64 s[2:3], -1
                                        ; implicit-def: $vgpr2
	s_branch .LBB15_615
.LBB15_611:
	s_mov_b64 s[2:3], -1
                                        ; implicit-def: $vgpr2
.LBB15_612:
	s_and_b64 vcc, exec, s[2:3]
	s_cbranch_vccz .LBB15_614
; %bb.613:
	global_load_ubyte v1, v[4:5], off
	s_mov_b32 s2, 0x7f800000
	s_brev_b32 s3, 1
	s_mov_b32 s6, 0x2f800000
	s_waitcnt vmcnt(0)
	v_lshlrev_b32_e32 v1, 24, v1
	v_and_b32_e32 v2, 0x7f000000, v1
	v_ffbh_u32_e32 v3, v2
	v_min_u32_e32 v3, 32, v3
	v_sub_u32_e64 v3, v3, 4 clamp
	v_lshlrev_b32_e32 v7, v3, v2
	v_lshlrev_b32_e32 v3, 23, v3
	v_lshrrev_b32_e32 v7, 4, v7
	v_add_u32_e32 v6, 0x1000000, v2
	v_sub_u32_e32 v3, v7, v3
	v_ashrrev_i32_e32 v6, 8, v6
	v_add_u32_e32 v3, 0x3c000000, v3
	v_and_or_b32 v3, v6, s2, v3
	v_cmp_ne_u32_e32 vcc, 0, v2
	s_mov_b32 s2, 0xcf800000
	s_nop 0
	v_cndmask_b32_e32 v2, 0, v3, vcc
	v_and_or_b32 v1, v1, s3, v2
	v_trunc_f32_e32 v1, v1
	v_mul_f32_e64 v2, |v1|, s6
	v_floor_f32_e32 v2, v2
	v_fma_f32 v2, v2, s2, |v1|
	v_cvt_u32_f32_e32 v2, v2
	v_ashrrev_i32_e32 v1, 31, v1
	v_xor_b32_e32 v2, v2, v1
	v_sub_u32_e32 v2, v2, v1
.LBB15_614:
	s_mov_b64 s[2:3], 0
.LBB15_615:
	s_andn2_b64 vcc, exec, s[2:3]
	s_cbranch_vccnz .LBB15_617
; %bb.616:
	global_load_ubyte v1, v[4:5], off
	s_movk_i32 s2, 0x7f00
	s_brev_b32 s3, 16
	s_brev_b32 s6, 1
	s_mov_b32 s7, 0x2f800000
	s_waitcnt vmcnt(0)
	v_lshlrev_b16_e32 v2, 8, v1
	v_lshlrev_b32_e32 v1, 25, v1
	v_lshrrev_b32_e32 v3, 4, v1
	v_and_or_b32 v6, v2, s2, 0.5
	v_or_b32_e32 v3, 0x70000000, v3
	v_add_f32_e32 v6, -0.5, v6
	v_mul_f32_e32 v3, 0x7800000, v3
	v_cmp_gt_u32_e32 vcc, s3, v1
	v_bfe_i32 v2, v2, 0, 16
	s_mov_b32 s2, 0xcf800000
	v_cndmask_b32_e32 v1, v3, v6, vcc
	v_and_or_b32 v1, v2, s6, v1
	v_trunc_f32_e32 v1, v1
	v_mul_f32_e64 v2, |v1|, s7
	v_floor_f32_e32 v2, v2
	v_fma_f32 v2, v2, s2, |v1|
	v_cvt_u32_f32_e32 v2, v2
	v_ashrrev_i32_e32 v1, 31, v1
	v_xor_b32_e32 v2, v2, v1
	v_sub_u32_e32 v2, v2, v1
.LBB15_617:
	s_mov_b64 s[6:7], 0
	s_mov_b64 s[2:3], -1
.LBB15_618:
	s_andn2_b64 vcc, exec, s[6:7]
	s_cbranch_vccnz .LBB15_631
; %bb.619:
	s_cmp_gt_i32 s8, 14
	s_cbranch_scc0 .LBB15_622
; %bb.620:
	s_cmp_eq_u32 s8, 15
	s_cbranch_scc0 .LBB15_625
; %bb.621:
	global_load_ushort v1, v[4:5], off
	s_mov_b32 s2, 0x2f800000
	s_mov_b32 s3, 0xcf800000
	s_mov_b64 s[4:5], 0
	s_waitcnt vmcnt(0)
	v_lshlrev_b32_e32 v1, 16, v1
	v_trunc_f32_e32 v1, v1
	v_mul_f32_e64 v2, |v1|, s2
	v_floor_f32_e32 v2, v2
	v_fma_f32 v2, v2, s3, |v1|
	v_cvt_u32_f32_e32 v2, v2
	v_ashrrev_i32_e32 v1, 31, v1
	s_mov_b64 s[2:3], -1
	v_xor_b32_e32 v2, v2, v1
	v_sub_u32_e32 v2, v2, v1
	s_branch .LBB15_626
.LBB15_622:
	s_mov_b64 s[6:7], -1
                                        ; implicit-def: $vgpr2
	s_branch .LBB15_627
.LBB15_623:
	s_andn2_saveexec_b64 s[2:3], s[2:3]
	s_cbranch_execz .LBB15_604
.LBB15_624:
	v_cmp_ne_u16_e32 vcc, 0, v1
	s_andn2_b64 s[6:7], s[6:7], exec
	s_and_b64 s[10:11], vcc, exec
	s_or_b64 s[6:7], s[6:7], s[10:11]
	s_or_b64 exec, exec, s[2:3]
	v_mov_b32_e32 v2, 0
	s_and_saveexec_b64 s[2:3], s[6:7]
	s_cbranch_execnz .LBB15_605
	s_branch .LBB15_606
.LBB15_625:
	s_mov_b64 s[4:5], -1
                                        ; implicit-def: $vgpr2
.LBB15_626:
	s_mov_b64 s[6:7], 0
.LBB15_627:
	s_and_b64 vcc, exec, s[6:7]
	s_cbranch_vccz .LBB15_631
; %bb.628:
	s_cmp_eq_u32 s8, 11
	s_cbranch_scc0 .LBB15_630
; %bb.629:
	global_load_ubyte v1, v[4:5], off
	s_mov_b64 s[2:3], -1
	s_mov_b64 s[4:5], 0
	s_waitcnt vmcnt(0)
	v_cmp_ne_u16_e32 vcc, 0, v1
	s_nop 1
	v_cndmask_b32_e64 v2, 0, 1, vcc
	s_branch .LBB15_631
.LBB15_630:
	s_mov_b64 s[4:5], -1
                                        ; implicit-def: $vgpr2
.LBB15_631:
	s_mov_b64 s[6:7], 0
.LBB15_632:
	s_and_b64 vcc, exec, s[6:7]
	s_cbranch_vccz .LBB15_681
; %bb.633:
	s_cmp_lt_i32 s8, 5
	s_cbranch_scc1 .LBB15_638
; %bb.634:
	s_cmp_lt_i32 s8, 8
	s_cbranch_scc1 .LBB15_639
	;; [unrolled: 3-line block ×3, first 2 shown]
; %bb.636:
	s_cmp_gt_i32 s8, 9
	s_cbranch_scc0 .LBB15_641
; %bb.637:
	global_load_dwordx2 v[2:3], v[4:5], off
	s_movk_i32 s2, 0xffe0
	s_waitcnt vmcnt(0)
	v_trunc_f64_e32 v[2:3], v[2:3]
	v_ldexp_f64 v[6:7], v[2:3], s2
	v_floor_f64_e32 v[6:7], v[6:7]
	v_fmac_f64_e32 v[2:3], 0xc1f00000, v[6:7]
	v_cvt_u32_f64_e32 v2, v[2:3]
	s_mov_b64 s[2:3], 0
	s_branch .LBB15_642
.LBB15_638:
	s_mov_b64 s[2:3], -1
                                        ; implicit-def: $vgpr2
	s_branch .LBB15_660
.LBB15_639:
	s_mov_b64 s[2:3], -1
                                        ; implicit-def: $vgpr2
	s_branch .LBB15_648
.LBB15_640:
	s_mov_b64 s[2:3], -1
                                        ; implicit-def: $vgpr2
	s_branch .LBB15_645
.LBB15_641:
	s_mov_b64 s[2:3], -1
                                        ; implicit-def: $vgpr2
.LBB15_642:
	s_andn2_b64 vcc, exec, s[2:3]
	s_cbranch_vccnz .LBB15_644
; %bb.643:
	global_load_dword v1, v[4:5], off
	s_mov_b32 s2, 0x2f800000
	s_waitcnt vmcnt(0)
	v_trunc_f32_e32 v1, v1
	v_mul_f32_e64 v2, |v1|, s2
	v_floor_f32_e32 v2, v2
	s_mov_b32 s2, 0xcf800000
	v_fma_f32 v2, v2, s2, |v1|
	v_cvt_u32_f32_e32 v2, v2
	v_ashrrev_i32_e32 v1, 31, v1
	v_xor_b32_e32 v2, v2, v1
	v_sub_u32_e32 v2, v2, v1
.LBB15_644:
	s_mov_b64 s[2:3], 0
.LBB15_645:
	s_andn2_b64 vcc, exec, s[2:3]
	s_cbranch_vccnz .LBB15_647
; %bb.646:
	global_load_dword v1, v[4:5], off
	s_waitcnt vmcnt(0)
	v_cvt_f32_f16_e32 v1, v1
	v_cvt_i32_f32_e32 v2, v1
.LBB15_647:
	s_mov_b64 s[2:3], 0
.LBB15_648:
	s_andn2_b64 vcc, exec, s[2:3]
	s_cbranch_vccnz .LBB15_659
; %bb.649:
	s_cmp_lt_i32 s8, 6
	s_cbranch_scc1 .LBB15_652
; %bb.650:
	s_cmp_gt_i32 s8, 6
	s_cbranch_scc0 .LBB15_653
; %bb.651:
	global_load_dwordx2 v[2:3], v[4:5], off
	s_movk_i32 s2, 0xffe0
	s_waitcnt vmcnt(0)
	v_trunc_f64_e32 v[2:3], v[2:3]
	v_ldexp_f64 v[6:7], v[2:3], s2
	v_floor_f64_e32 v[6:7], v[6:7]
	v_fmac_f64_e32 v[2:3], 0xc1f00000, v[6:7]
	v_cvt_u32_f64_e32 v2, v[2:3]
	s_mov_b64 s[2:3], 0
	s_branch .LBB15_654
.LBB15_652:
	s_mov_b64 s[2:3], -1
                                        ; implicit-def: $vgpr2
	s_branch .LBB15_657
.LBB15_653:
	s_mov_b64 s[2:3], -1
                                        ; implicit-def: $vgpr2
.LBB15_654:
	s_andn2_b64 vcc, exec, s[2:3]
	s_cbranch_vccnz .LBB15_656
; %bb.655:
	global_load_dword v1, v[4:5], off
	s_mov_b32 s2, 0x2f800000
	s_waitcnt vmcnt(0)
	v_trunc_f32_e32 v1, v1
	v_mul_f32_e64 v2, |v1|, s2
	v_floor_f32_e32 v2, v2
	s_mov_b32 s2, 0xcf800000
	v_fma_f32 v2, v2, s2, |v1|
	v_cvt_u32_f32_e32 v2, v2
	v_ashrrev_i32_e32 v1, 31, v1
	v_xor_b32_e32 v2, v2, v1
	v_sub_u32_e32 v2, v2, v1
.LBB15_656:
	s_mov_b64 s[2:3], 0
.LBB15_657:
	s_andn2_b64 vcc, exec, s[2:3]
	s_cbranch_vccnz .LBB15_659
; %bb.658:
	global_load_ushort v1, v[4:5], off
	s_waitcnt vmcnt(0)
	v_cvt_f32_f16_e32 v1, v1
	v_cvt_i32_f32_e32 v2, v1
.LBB15_659:
	s_mov_b64 s[2:3], 0
.LBB15_660:
	s_andn2_b64 vcc, exec, s[2:3]
	s_cbranch_vccnz .LBB15_680
; %bb.661:
	s_cmp_lt_i32 s8, 2
	s_cbranch_scc1 .LBB15_665
; %bb.662:
	s_cmp_lt_i32 s8, 3
	s_cbranch_scc1 .LBB15_666
; %bb.663:
	s_cmp_gt_i32 s8, 3
	s_cbranch_scc0 .LBB15_667
; %bb.664:
	global_load_dwordx2 v[2:3], v[4:5], off
	s_mov_b64 s[2:3], 0
	s_branch .LBB15_668
.LBB15_665:
	s_mov_b64 s[2:3], -1
                                        ; implicit-def: $vgpr2
	s_branch .LBB15_674
.LBB15_666:
	s_mov_b64 s[2:3], -1
                                        ; implicit-def: $vgpr2
	s_branch .LBB15_671
.LBB15_667:
	s_mov_b64 s[2:3], -1
                                        ; implicit-def: $vgpr2
.LBB15_668:
	s_andn2_b64 vcc, exec, s[2:3]
	s_cbranch_vccnz .LBB15_670
; %bb.669:
	global_load_dword v2, v[4:5], off
.LBB15_670:
	s_mov_b64 s[2:3], 0
.LBB15_671:
	s_andn2_b64 vcc, exec, s[2:3]
	s_cbranch_vccnz .LBB15_673
; %bb.672:
	global_load_ushort v2, v[4:5], off
.LBB15_673:
	s_mov_b64 s[2:3], 0
.LBB15_674:
	s_andn2_b64 vcc, exec, s[2:3]
	s_cbranch_vccnz .LBB15_680
; %bb.675:
	s_cmp_gt_i32 s8, 0
	s_cbranch_scc0 .LBB15_677
; %bb.676:
	global_load_ubyte v2, v[4:5], off
	s_mov_b64 s[2:3], 0
	s_branch .LBB15_678
.LBB15_677:
	s_mov_b64 s[2:3], -1
                                        ; implicit-def: $vgpr2
.LBB15_678:
	s_andn2_b64 vcc, exec, s[2:3]
	s_cbranch_vccnz .LBB15_680
; %bb.679:
	global_load_ubyte v2, v[4:5], off
.LBB15_680:
	s_mov_b64 s[2:3], -1
.LBB15_681:
	s_andn2_b64 vcc, exec, s[2:3]
	s_cbranch_vccnz .LBB15_689
; %bb.682:
	v_mov_b32_e32 v1, 0
	s_and_b32 s12, s73, 0xff
	s_waitcnt vmcnt(0)
	v_xor_b32_e32 v3, -1, v2
	s_cmp_lt_i32 s12, 11
	v_lshl_add_u64 v[0:1], s[20:21], 0, v[0:1]
	s_cbranch_scc1 .LBB15_690
; %bb.683:
	s_and_b32 s13, 0xffff, s12
	s_cmp_gt_i32 s13, 25
	s_cbranch_scc0 .LBB15_691
; %bb.684:
	s_cmp_gt_i32 s13, 28
	s_cbranch_scc0 .LBB15_692
; %bb.685:
	;; [unrolled: 3-line block ×4, first 2 shown]
	s_mov_b64 s[8:9], 0
	s_mov_b64 s[2:3], -1
	s_cmp_eq_u32 s13, 46
	s_mov_b64 s[6:7], 0
	s_cbranch_scc0 .LBB15_695
; %bb.688:
	v_cvt_f32_ubyte0_e32 v4, v3
	v_bfe_u32 v5, v4, 16, 1
	s_movk_i32 s2, 0x7fff
	v_add3_u32 v4, v4, v5, s2
	v_lshrrev_b32_e32 v4, 16, v4
	global_store_dword v[0:1], v4, off
	s_mov_b64 s[6:7], -1
	s_mov_b64 s[2:3], 0
	s_branch .LBB15_695
.LBB15_689:
	s_mov_b64 s[6:7], 0
	s_mov_b64 s[2:3], s[62:63]
	s_branch .LBB15_806
.LBB15_690:
	s_mov_b64 s[8:9], -1
	s_mov_b64 s[6:7], 0
	s_mov_b64 s[2:3], s[62:63]
	s_branch .LBB15_764
.LBB15_691:
	s_mov_b64 s[8:9], -1
	s_mov_b64 s[6:7], 0
	s_mov_b64 s[2:3], s[62:63]
	s_branch .LBB15_722
.LBB15_692:
	s_mov_b64 s[8:9], -1
	s_mov_b64 s[6:7], 0
	s_mov_b64 s[2:3], s[62:63]
	s_branch .LBB15_705
.LBB15_693:
	s_mov_b64 s[8:9], -1
	s_mov_b64 s[6:7], 0
	s_mov_b64 s[2:3], s[62:63]
	s_branch .LBB15_701
.LBB15_694:
	s_mov_b64 s[8:9], -1
	s_mov_b64 s[6:7], 0
	s_mov_b64 s[2:3], s[62:63]
.LBB15_695:
	s_and_b64 vcc, exec, s[8:9]
	s_cbranch_vccz .LBB15_700
; %bb.696:
	s_cmp_eq_u32 s13, 44
	s_mov_b64 s[2:3], -1
	s_cbranch_scc0 .LBB15_700
; %bb.697:
	v_cvt_f32_ubyte0_e32 v5, v3
	v_lshrrev_b32_e32 v4, 23, v5
	s_movk_i32 s2, 0xff
	v_cmp_ne_u32_e32 vcc, s2, v4
	v_mov_b32_e32 v6, 0xff
	s_and_saveexec_b64 s[6:7], vcc
; %bb.698:
	s_mov_b32 s2, 0x3fffff
	v_and_b32_e32 v6, 0x400000, v5
	v_and_or_b32 v5, v5, s2, v4
	v_cmp_ne_u32_e32 vcc, 0, v6
	v_cmp_ne_u32_e64 s[2:3], 0, v5
	s_and_b64 s[2:3], vcc, s[2:3]
	s_nop 0
	v_cndmask_b32_e64 v5, 0, 1, s[2:3]
	v_add_u32_e32 v6, v4, v5
; %bb.699:
	s_or_b64 exec, exec, s[6:7]
	s_mov_b64 s[6:7], -1
	s_mov_b64 s[2:3], 0
	global_store_byte v[0:1], v6, off
.LBB15_700:
	s_mov_b64 s[8:9], 0
.LBB15_701:
	s_and_b64 vcc, exec, s[8:9]
	s_cbranch_vccz .LBB15_704
; %bb.702:
	s_cmp_eq_u32 s13, 29
	s_mov_b64 s[2:3], -1
	s_cbranch_scc0 .LBB15_704
; %bb.703:
	v_and_b32_e32 v4, 0xff, v3
	v_mov_b32_e32 v5, 0
	global_store_dwordx2 v[0:1], v[4:5], off
	s_mov_b64 s[6:7], -1
	s_mov_b64 s[2:3], 0
.LBB15_704:
	s_mov_b64 s[8:9], 0
.LBB15_705:
	s_and_b64 vcc, exec, s[8:9]
	s_cbranch_vccz .LBB15_721
; %bb.706:
	s_cmp_lt_i32 s13, 27
	s_mov_b64 s[6:7], -1
	s_cbranch_scc1 .LBB15_712
; %bb.707:
	s_cmp_gt_i32 s13, 27
	s_cbranch_scc0 .LBB15_709
; %bb.708:
	v_and_b32_e32 v4, 0xff, v3
	s_mov_b64 s[6:7], 0
	global_store_dword v[0:1], v4, off
.LBB15_709:
	s_andn2_b64 vcc, exec, s[6:7]
	s_cbranch_vccnz .LBB15_711
; %bb.710:
	v_and_b32_e32 v4, 0xff, v3
	global_store_short v[0:1], v4, off
.LBB15_711:
	s_mov_b64 s[6:7], 0
.LBB15_712:
	s_andn2_b64 vcc, exec, s[6:7]
	s_cbranch_vccnz .LBB15_720
; %bb.713:
	v_cvt_f32_ubyte0_e32 v5, v3
	s_mov_b32 s6, 0x43800000
	v_cmp_gt_u32_e32 vcc, s6, v5
	v_mov_b32_e32 v6, 0x80
	s_and_saveexec_b64 s[6:7], vcc
	s_cbranch_execz .LBB15_719
; %bb.714:
	s_mov_b32 s8, 0x3bffffff
	v_cmp_lt_u32_e32 vcc, s8, v5
	s_mov_b64 s[8:9], 0
                                        ; implicit-def: $vgpr4
	s_and_saveexec_b64 s[10:11], vcc
	s_xor_b64 s[10:11], exec, s[10:11]
	s_cbranch_execz .LBB15_837
; %bb.715:
	v_bfe_u32 v4, v5, 20, 1
	s_mov_b32 s14, 0x487ffff
	v_add3_u32 v4, v5, v4, s14
	s_mov_b64 s[8:9], exec
	v_lshrrev_b32_e32 v4, 20, v4
                                        ; implicit-def: $vgpr5
	s_andn2_saveexec_b64 s[10:11], s[10:11]
	s_cbranch_execnz .LBB15_838
.LBB15_716:
	s_or_b64 exec, exec, s[10:11]
	v_mov_b32_e32 v6, 0
	s_and_saveexec_b64 s[10:11], s[8:9]
.LBB15_717:
	v_mov_b32_e32 v6, v4
.LBB15_718:
	s_or_b64 exec, exec, s[10:11]
.LBB15_719:
	s_or_b64 exec, exec, s[6:7]
	global_store_byte v[0:1], v6, off
.LBB15_720:
	s_mov_b64 s[6:7], -1
.LBB15_721:
	s_mov_b64 s[8:9], 0
.LBB15_722:
	s_and_b64 vcc, exec, s[8:9]
	s_cbranch_vccz .LBB15_763
; %bb.723:
	s_cmp_gt_i32 s13, 22
	s_mov_b64 s[8:9], -1
	s_cbranch_scc0 .LBB15_755
; %bb.724:
	s_cmp_lt_i32 s13, 24
	s_mov_b64 s[6:7], -1
	s_cbranch_scc1 .LBB15_744
; %bb.725:
	s_cmp_gt_i32 s13, 24
	s_cbranch_scc0 .LBB15_733
; %bb.726:
	v_cvt_f32_ubyte0_e32 v5, v3
	s_mov_b32 s6, 0x47800000
	v_cmp_gt_u32_e32 vcc, s6, v5
	v_mov_b32_e32 v6, 0x80
	s_and_saveexec_b64 s[6:7], vcc
	s_cbranch_execz .LBB15_732
; %bb.727:
	s_mov_b32 s8, 0x37ffffff
	v_cmp_lt_u32_e32 vcc, s8, v5
	s_mov_b64 s[8:9], 0
                                        ; implicit-def: $vgpr4
	s_and_saveexec_b64 s[10:11], vcc
	s_xor_b64 s[10:11], exec, s[10:11]
	s_cbranch_execz .LBB15_840
; %bb.728:
	v_bfe_u32 v4, v5, 21, 1
	s_mov_b32 s14, 0x88fffff
	v_add3_u32 v4, v5, v4, s14
	s_mov_b64 s[8:9], exec
	v_lshrrev_b32_e32 v4, 21, v4
                                        ; implicit-def: $vgpr5
	s_andn2_saveexec_b64 s[10:11], s[10:11]
	s_cbranch_execnz .LBB15_841
.LBB15_729:
	s_or_b64 exec, exec, s[10:11]
	v_mov_b32_e32 v6, 0
	s_and_saveexec_b64 s[10:11], s[8:9]
.LBB15_730:
	v_mov_b32_e32 v6, v4
.LBB15_731:
	s_or_b64 exec, exec, s[10:11]
.LBB15_732:
	s_or_b64 exec, exec, s[6:7]
	s_mov_b64 s[6:7], 0
	global_store_byte v[0:1], v6, off
.LBB15_733:
	s_and_b64 vcc, exec, s[6:7]
	s_cbranch_vccz .LBB15_743
; %bb.734:
	v_cvt_f32_ubyte0_e32 v4, v3
	s_mov_b32 s6, 0x43f00000
	v_cmp_gt_u32_e32 vcc, s6, v4
                                        ; implicit-def: $vgpr5
	s_and_saveexec_b64 s[6:7], vcc
	s_xor_b64 s[6:7], exec, s[6:7]
	s_cbranch_execz .LBB15_740
; %bb.735:
	s_mov_b32 s8, 0x3c7fffff
	v_cmp_lt_u32_e32 vcc, s8, v4
                                        ; implicit-def: $vgpr5
	s_and_saveexec_b64 s[8:9], vcc
	s_xor_b64 s[8:9], exec, s[8:9]
; %bb.736:
	v_bfe_u32 v5, v4, 20, 1
	s_mov_b32 s10, 0x407ffff
	v_add3_u32 v4, v4, v5, s10
	v_lshrrev_b32_e32 v5, 20, v4
	v_and_b32_e32 v4, 0xff00000, v4
	s_mov_b32 s10, 0x7f00000
	v_mov_b32_e32 v6, 0x7e
	v_cmp_ne_u32_e32 vcc, s10, v4
                                        ; implicit-def: $vgpr4
	s_nop 1
	v_cndmask_b32_e32 v5, v6, v5, vcc
; %bb.737:
	s_andn2_saveexec_b64 s[8:9], s[8:9]
; %bb.738:
	v_add_f32_e32 v5, 0x46800000, v4
; %bb.739:
	s_or_b64 exec, exec, s[8:9]
                                        ; implicit-def: $vgpr4
.LBB15_740:
	s_andn2_saveexec_b64 s[6:7], s[6:7]
; %bb.741:
	s_mov_b32 s8, 0x7f800000
	v_mov_b32_e32 v5, 0x7e
	v_mov_b32_e32 v6, 0x7f
	v_cmp_lt_u32_e32 vcc, s8, v4
	s_nop 1
	v_cndmask_b32_e32 v5, v5, v6, vcc
; %bb.742:
	s_or_b64 exec, exec, s[6:7]
	global_store_byte v[0:1], v5, off
.LBB15_743:
	s_mov_b64 s[6:7], 0
.LBB15_744:
	s_andn2_b64 vcc, exec, s[6:7]
	s_cbranch_vccnz .LBB15_754
; %bb.745:
	v_cvt_f32_ubyte0_e32 v4, v3
	s_mov_b32 s6, 0x47800000
	v_cmp_gt_u32_e32 vcc, s6, v4
                                        ; implicit-def: $vgpr5
	s_and_saveexec_b64 s[6:7], vcc
	s_xor_b64 s[6:7], exec, s[6:7]
	s_cbranch_execz .LBB15_751
; %bb.746:
	s_mov_b32 s8, 0x387fffff
	v_cmp_lt_u32_e32 vcc, s8, v4
                                        ; implicit-def: $vgpr5
	s_and_saveexec_b64 s[8:9], vcc
	s_xor_b64 s[8:9], exec, s[8:9]
; %bb.747:
	v_bfe_u32 v5, v4, 21, 1
	s_mov_b32 s10, 0x80fffff
	v_add3_u32 v4, v4, v5, s10
	v_lshrrev_b32_e32 v5, 21, v4
                                        ; implicit-def: $vgpr4
; %bb.748:
	s_andn2_saveexec_b64 s[8:9], s[8:9]
; %bb.749:
	v_add_f32_e32 v5, 0x43000000, v4
; %bb.750:
	s_or_b64 exec, exec, s[8:9]
                                        ; implicit-def: $vgpr4
.LBB15_751:
	s_andn2_saveexec_b64 s[6:7], s[6:7]
; %bb.752:
	s_mov_b32 s8, 0x7f800000
	v_mov_b32_e32 v5, 0x7c
	v_mov_b32_e32 v6, 0x7f
	v_cmp_lt_u32_e32 vcc, s8, v4
	s_nop 1
	v_cndmask_b32_e32 v5, v5, v6, vcc
; %bb.753:
	s_or_b64 exec, exec, s[6:7]
	global_store_byte v[0:1], v5, off
.LBB15_754:
	s_mov_b64 s[8:9], 0
	s_mov_b64 s[6:7], -1
.LBB15_755:
	s_andn2_b64 vcc, exec, s[8:9]
	s_cbranch_vccnz .LBB15_763
; %bb.756:
	s_cmp_gt_i32 s13, 14
	s_mov_b64 s[8:9], -1
	s_cbranch_scc0 .LBB15_760
; %bb.757:
	s_cmp_eq_u32 s13, 15
	s_mov_b64 s[2:3], -1
	s_cbranch_scc0 .LBB15_759
; %bb.758:
	v_cvt_f32_ubyte0_e32 v4, v3
	v_bfe_u32 v5, v4, 16, 1
	s_movk_i32 s2, 0x7fff
	v_add3_u32 v4, v4, v5, s2
	global_store_short_d16_hi v[0:1], v4, off
	s_mov_b64 s[6:7], -1
	s_mov_b64 s[2:3], 0
.LBB15_759:
	s_mov_b64 s[8:9], 0
.LBB15_760:
	s_and_b64 vcc, exec, s[8:9]
	s_cbranch_vccz .LBB15_763
; %bb.761:
	s_cmp_eq_u32 s13, 11
	s_mov_b64 s[2:3], -1
	s_cbranch_scc0 .LBB15_763
; %bb.762:
	s_movk_i32 s2, 0xff
	v_cmp_ne_u16_sdwa s[2:3], v2, s2 src0_sel:BYTE_0 src1_sel:DWORD
	s_mov_b64 s[6:7], -1
	s_nop 0
	v_cndmask_b32_e64 v2, 0, 1, s[2:3]
	s_mov_b64 s[2:3], 0
	global_store_byte v[0:1], v2, off
.LBB15_763:
	s_mov_b64 s[8:9], 0
.LBB15_764:
	s_and_b64 vcc, exec, s[8:9]
	s_cbranch_vccz .LBB15_803
; %bb.765:
	s_and_b32 s8, 0xffff, s12
	s_cmp_lt_i32 s8, 5
	s_mov_b64 s[6:7], -1
	s_cbranch_scc1 .LBB15_786
; %bb.766:
	s_cmp_lt_i32 s8, 8
	s_cbranch_scc1 .LBB15_776
; %bb.767:
	s_cmp_lt_i32 s8, 9
	s_cbranch_scc1 .LBB15_773
; %bb.768:
	s_cmp_gt_i32 s8, 9
	s_cbranch_scc0 .LBB15_770
; %bb.769:
	s_mov_b32 s6, 0xffff
	v_and_b32_sdwa v2, s6, v3 dst_sel:DWORD dst_unused:UNUSED_PAD src0_sel:DWORD src1_sel:BYTE_0
	v_mov_b32_e32 v6, 0
	v_cvt_f64_u32_e32 v[4:5], v2
	v_mov_b32_e32 v7, v6
	s_mov_b64 s[6:7], 0
	global_store_dwordx4 v[0:1], v[4:7], off
.LBB15_770:
	s_andn2_b64 vcc, exec, s[6:7]
	s_cbranch_vccnz .LBB15_772
; %bb.771:
	v_cvt_f32_ubyte0_e32 v4, v3
	v_mov_b32_e32 v5, 0
	global_store_dwordx2 v[0:1], v[4:5], off
.LBB15_772:
	s_mov_b64 s[6:7], 0
.LBB15_773:
	s_andn2_b64 vcc, exec, s[6:7]
	s_cbranch_vccnz .LBB15_775
; %bb.774:
	v_cvt_f16_u16_sdwa v2, v3 dst_sel:DWORD dst_unused:UNUSED_PAD src0_sel:BYTE_0
	global_store_dword v[0:1], v2, off
.LBB15_775:
	s_mov_b64 s[6:7], 0
.LBB15_776:
	s_andn2_b64 vcc, exec, s[6:7]
	s_cbranch_vccnz .LBB15_785
; %bb.777:
	s_cmp_lt_i32 s8, 6
	s_mov_b64 s[6:7], -1
	s_cbranch_scc1 .LBB15_783
; %bb.778:
	s_cmp_gt_i32 s8, 6
	s_cbranch_scc0 .LBB15_780
; %bb.779:
	s_mov_b32 s6, 0xffff
	v_and_b32_sdwa v2, s6, v3 dst_sel:DWORD dst_unused:UNUSED_PAD src0_sel:DWORD src1_sel:BYTE_0
	v_cvt_f64_u32_e32 v[4:5], v2
	s_mov_b64 s[6:7], 0
	global_store_dwordx2 v[0:1], v[4:5], off
.LBB15_780:
	s_andn2_b64 vcc, exec, s[6:7]
	s_cbranch_vccnz .LBB15_782
; %bb.781:
	v_cvt_f32_ubyte0_e32 v2, v3
	global_store_dword v[0:1], v2, off
.LBB15_782:
	s_mov_b64 s[6:7], 0
.LBB15_783:
	s_andn2_b64 vcc, exec, s[6:7]
	s_cbranch_vccnz .LBB15_785
; %bb.784:
	v_cvt_f16_u16_sdwa v2, v3 dst_sel:DWORD dst_unused:UNUSED_PAD src0_sel:BYTE_0
	global_store_short v[0:1], v2, off
.LBB15_785:
	s_mov_b64 s[6:7], 0
.LBB15_786:
	s_andn2_b64 vcc, exec, s[6:7]
	s_cbranch_vccnz .LBB15_802
; %bb.787:
	s_cmp_lt_i32 s8, 2
	s_mov_b64 s[6:7], -1
	s_cbranch_scc1 .LBB15_797
; %bb.788:
	s_cmp_lt_i32 s8, 3
	s_cbranch_scc1 .LBB15_794
; %bb.789:
	s_cmp_gt_i32 s8, 3
	s_cbranch_scc0 .LBB15_791
; %bb.790:
	v_and_b32_e32 v4, 0xff, v3
	v_mov_b32_e32 v5, 0
	s_mov_b64 s[6:7], 0
	global_store_dwordx2 v[0:1], v[4:5], off
.LBB15_791:
	s_andn2_b64 vcc, exec, s[6:7]
	s_cbranch_vccnz .LBB15_793
; %bb.792:
	v_and_b32_e32 v2, 0xff, v3
	global_store_dword v[0:1], v2, off
.LBB15_793:
	s_mov_b64 s[6:7], 0
.LBB15_794:
	s_andn2_b64 vcc, exec, s[6:7]
	s_cbranch_vccnz .LBB15_796
; %bb.795:
	v_and_b32_e32 v2, 0xff, v3
	global_store_short v[0:1], v2, off
.LBB15_796:
	s_mov_b64 s[6:7], 0
.LBB15_797:
	s_andn2_b64 vcc, exec, s[6:7]
	s_cbranch_vccnz .LBB15_802
; %bb.798:
	s_cmp_gt_i32 s8, 0
	s_mov_b64 s[6:7], -1
	s_cbranch_scc0 .LBB15_800
; %bb.799:
	s_mov_b64 s[6:7], 0
	global_store_byte v[0:1], v3, off
.LBB15_800:
	s_andn2_b64 vcc, exec, s[6:7]
	s_cbranch_vccnz .LBB15_802
; %bb.801:
	global_store_byte v[0:1], v3, off
.LBB15_802:
	s_mov_b64 s[6:7], -1
.LBB15_803:
	s_andn2_b64 vcc, exec, s[6:7]
	s_cbranch_vccnz .LBB15_805
; %bb.804:
	v_add_u32_e32 v13, 0x80, v13
	s_mov_b64 s[6:7], -1
	s_branch .LBB15_807
.LBB15_805:
	s_mov_b64 s[6:7], 0
.LBB15_806:
                                        ; implicit-def: $vgpr13
.LBB15_807:
	s_andn2_b64 s[8:9], s[62:63], exec
	s_and_b64 s[2:3], s[2:3], exec
	s_or_b64 s[68:69], s[8:9], s[2:3]
	s_andn2_b64 s[2:3], s[60:61], exec
	s_and_b64 s[4:5], s[4:5], exec
	s_or_b64 s[2:3], s[2:3], s[4:5]
	s_orn2_b64 s[6:7], s[6:7], exec
.LBB15_808:
	s_or_b64 exec, exec, s[66:67]
	s_mov_b64 s[4:5], 0
	s_mov_b64 s[10:11], 0
	;; [unrolled: 1-line block ×3, first 2 shown]
                                        ; implicit-def: $vgpr4_vgpr5
                                        ; implicit-def: $vgpr0
                                        ; implicit-def: $vgpr2
	s_and_saveexec_b64 s[66:67], s[6:7]
	s_cbranch_execz .LBB15_904
; %bb.809:
	v_cmp_gt_i32_e32 vcc, s70, v13
	s_mov_b64 s[6:7], 0
	s_mov_b64 s[12:13], s[2:3]
                                        ; implicit-def: $vgpr4_vgpr5
                                        ; implicit-def: $vgpr0
                                        ; implicit-def: $vgpr2
	s_and_saveexec_b64 s[70:71], vcc
	s_cbranch_execz .LBB15_903
; %bb.810:
	s_andn2_b64 vcc, exec, s[42:43]
	s_cbranch_vccnz .LBB15_816
; %bb.811:
	s_andn2_b64 vcc, exec, s[52:53]
	s_cbranch_vccnz .LBB15_817
; %bb.812:
	s_add_i32 s76, s75, 1
	s_cmp_eq_u32 s72, 2
	s_cbranch_scc1 .LBB15_818
; %bb.813:
	s_and_b32 s75, s76, 28
	s_mov_b32 s77, 0
	v_mov_b32_e32 v0, 0
	s_waitcnt vmcnt(0)
	v_mov_b32_e32 v2, 0
	s_mov_b64 s[52:53], s[34:35]
	v_mov_b32_e32 v4, v13
.LBB15_814:                             ; =>This Inner Loop Header: Depth=1
	s_load_dwordx8 s[12:19], s[52:53], 0x4
	s_load_dwordx4 s[36:39], s[52:53], 0x24
	s_load_dwordx8 s[4:11], s[50:51], 0x0
	s_add_u32 s52, s52, 48
	s_addc_u32 s53, s53, 0
	s_waitcnt lgkmcnt(0)
	v_mul_hi_u32 v1, s13, v4
	v_add_u32_e32 v1, v4, v1
	v_lshrrev_b32_e32 v1, s14, v1
	v_mul_lo_u32 v3, v1, s12
	v_mul_hi_u32 v5, s16, v1
	v_sub_u32_e32 v3, v4, v3
	v_add_u32_e32 v4, v1, v5
	v_lshrrev_b32_e32 v4, s17, v4
	v_mul_lo_u32 v6, v4, s15
	v_mul_hi_u32 v7, s19, v4
	v_sub_u32_e32 v1, v1, v6
	v_add_u32_e32 v6, v4, v7
	v_mul_lo_u32 v5, v3, s5
	v_mul_lo_u32 v3, v3, s4
	;; [unrolled: 1-line block ×4, first 2 shown]
	v_lshrrev_b32_e32 v6, s36, v6
	v_add3_u32 v0, v3, v0, v1
	v_mul_hi_u32 v3, s38, v6
	v_add3_u32 v1, v5, v2, v7
	v_mul_lo_u32 v2, v6, s18
	v_add_u32_e32 v3, v6, v3
	v_sub_u32_e32 v2, v4, v2
	v_lshrrev_b32_e32 v4, s39, v3
	s_add_i32 s77, s77, 4
	v_mul_lo_u32 v3, v4, s37
	s_add_u32 s50, s50, 32
	v_sub_u32_e32 v3, v6, v3
	s_addc_u32 s51, s51, 0
	v_mul_lo_u32 v5, v2, s8
	v_mul_lo_u32 v2, v2, s9
	;; [unrolled: 1-line block ×4, first 2 shown]
	s_cmp_eq_u32 s75, s77
	v_add3_u32 v2, v2, v1, v3
	v_add3_u32 v0, v5, v0, v6
	s_cbranch_scc0 .LBB15_814
; %bb.815:
	v_mov_b32_e32 v1, v2
	s_branch .LBB15_819
.LBB15_816:
	s_mov_b64 s[4:5], -1
                                        ; implicit-def: $vgpr2
                                        ; implicit-def: $vgpr0
	s_branch .LBB15_823
.LBB15_817:
	s_waitcnt vmcnt(0)
	v_mov_b32_e32 v2, 0
	v_mov_b32_e32 v0, 0
	s_branch .LBB15_822
.LBB15_818:
	v_mov_b32_e32 v0, 0
	s_mov_b32 s75, 0
	v_mov_b32_e32 v1, v0
                                        ; implicit-def: $vgpr2
	v_mov_b32_e32 v4, v13
.LBB15_819:
	s_and_b32 s8, s76, 3
	s_cmp_eq_u32 s8, 0
	s_cbranch_scc1 .LBB15_822
; %bb.820:
	s_lshl_b32 s4, s75, 3
	s_add_u32 s4, s34, s4
	s_addc_u32 s5, s35, 0
	s_add_u32 s4, s4, 0xc4
	s_addc_u32 s5, s5, 0
	s_mul_i32 s6, s75, 12
	s_add_u32 s6, s34, s6
	s_addc_u32 s7, s35, 0
.LBB15_821:                             ; =>This Inner Loop Header: Depth=1
	s_load_dwordx2 s[10:11], s[6:7], 0x4
	s_load_dword s9, s[6:7], 0xc
	s_load_dwordx2 s[12:13], s[4:5], 0x0
	s_waitcnt vmcnt(0)
	v_mov_b32_e32 v2, v1
	s_add_u32 s6, s6, 12
	s_waitcnt lgkmcnt(0)
	v_mul_hi_u32 v1, s11, v4
	v_add_u32_e32 v1, v4, v1
	v_lshrrev_b32_e32 v1, s9, v1
	s_addc_u32 s7, s7, 0
	v_mul_lo_u32 v3, v1, s10
	s_add_u32 s4, s4, 8
	v_sub_u32_e32 v5, v4, v3
	s_addc_u32 s5, s5, 0
	s_add_i32 s8, s8, -1
	v_mov_b32_e32 v4, v1
	v_mad_u64_u32 v[2:3], s[10:11], v5, s13, v[2:3]
	v_mad_u64_u32 v[0:1], s[10:11], v5, s12, v[0:1]
	s_cmp_lg_u32 s8, 0
	v_mov_b32_e32 v1, v2
	s_cbranch_scc1 .LBB15_821
.LBB15_822:
	s_mov_b64 s[4:5], 0
.LBB15_823:
	s_andn2_b64 vcc, exec, s[4:5]
	s_cbranch_vccnz .LBB15_826
; %bb.824:
	s_waitcnt lgkmcnt(0)
	v_mul_hi_u32 v0, s29, v13
	v_add_u32_e32 v0, v13, v0
	v_lshrrev_b32_e32 v1, s30, v0
	v_mul_lo_u32 v0, v1, s28
	v_sub_u32_e32 v0, v13, v0
	s_waitcnt vmcnt(0)
	v_mul_lo_u32 v2, v0, s25
	s_andn2_b64 vcc, exec, s[48:49]
	v_mul_lo_u32 v0, v0, s24
	s_cbranch_vccnz .LBB15_826
; %bb.825:
	v_mul_hi_u32 v3, s46, v1
	v_add_u32_e32 v3, v1, v3
	v_lshrrev_b32_e32 v3, s47, v3
	v_mul_lo_u32 v3, v3, s31
	v_sub_u32_e32 v3, v1, v3
	v_mad_u64_u32 v[0:1], s[4:5], v3, s26, v[0:1]
	v_mad_u64_u32 v[2:3], s[4:5], v3, s27, v[2:3]
.LBB15_826:
	s_waitcnt vmcnt(0)
	v_mov_b32_e32 v3, 0
	s_and_b32 s12, 0xffff, s74
	s_cmp_lt_i32 s12, 11
	s_waitcnt lgkmcnt(0)
	v_lshl_add_u64 v[4:5], s[22:23], 0, v[2:3]
	s_cbranch_scc1 .LBB15_833
; %bb.827:
	s_cmp_gt_i32 s12, 25
	s_mov_b64 s[6:7], 0
	s_cbranch_scc0 .LBB15_834
; %bb.828:
	s_cmp_gt_i32 s12, 28
	s_cbranch_scc0 .LBB15_835
; %bb.829:
	s_cmp_gt_i32 s12, 43
	;; [unrolled: 3-line block ×3, first 2 shown]
	s_cbranch_scc0 .LBB15_839
; %bb.831:
	s_cmp_eq_u32 s12, 46
	s_mov_b64 s[10:11], 0
	s_cbranch_scc0 .LBB15_842
; %bb.832:
	global_load_dword v1, v[4:5], off
	s_mov_b32 s4, 0x2f800000
	s_mov_b32 s5, 0xcf800000
	s_mov_b64 s[8:9], -1
	s_waitcnt vmcnt(0)
	v_lshlrev_b32_e32 v1, 16, v1
	v_trunc_f32_e32 v1, v1
	v_mul_f32_e64 v2, |v1|, s4
	v_floor_f32_e32 v2, v2
	v_fma_f32 v2, v2, s5, |v1|
	v_cvt_u32_f32_e32 v2, v2
	v_ashrrev_i32_e32 v1, 31, v1
	s_mov_b64 s[4:5], 0
	v_xor_b32_e32 v2, v2, v1
	v_sub_u32_e32 v2, v2, v1
	s_branch .LBB15_843
.LBB15_833:
	s_mov_b64 s[10:11], -1
	s_mov_b64 s[8:9], 0
	s_mov_b64 s[6:7], 0
	;; [unrolled: 1-line block ×3, first 2 shown]
                                        ; implicit-def: $vgpr2
	s_branch .LBB15_902
.LBB15_834:
	s_mov_b64 s[10:11], -1
	s_mov_b64 s[8:9], 0
	s_mov_b64 s[4:5], s[2:3]
                                        ; implicit-def: $vgpr2
	s_branch .LBB15_870
.LBB15_835:
	s_mov_b64 s[10:11], -1
	s_mov_b64 s[8:9], 0
	s_mov_b64 s[4:5], s[2:3]
                                        ; implicit-def: $vgpr2
	s_branch .LBB15_853
.LBB15_836:
	s_mov_b64 s[10:11], -1
	s_mov_b64 s[8:9], 0
	s_mov_b64 s[4:5], s[2:3]
                                        ; implicit-def: $vgpr2
	s_branch .LBB15_848
.LBB15_837:
	s_andn2_saveexec_b64 s[10:11], s[10:11]
	s_cbranch_execz .LBB15_716
.LBB15_838:
	v_add_f32_e32 v4, 0x46000000, v5
	v_and_b32_e32 v4, 0xff, v4
	v_cmp_ne_u32_e32 vcc, 0, v4
	s_andn2_b64 s[8:9], s[8:9], exec
	s_and_b64 s[14:15], vcc, exec
	s_or_b64 s[8:9], s[8:9], s[14:15]
	s_or_b64 exec, exec, s[10:11]
	v_mov_b32_e32 v6, 0
	s_and_saveexec_b64 s[10:11], s[8:9]
	s_cbranch_execnz .LBB15_717
	s_branch .LBB15_718
.LBB15_839:
	s_mov_b64 s[10:11], -1
	s_mov_b64 s[8:9], 0
	s_mov_b64 s[4:5], s[2:3]
                                        ; implicit-def: $vgpr2
	s_branch .LBB15_843
.LBB15_840:
	s_andn2_saveexec_b64 s[10:11], s[10:11]
	s_cbranch_execz .LBB15_729
.LBB15_841:
	v_add_f32_e32 v4, 0x42800000, v5
	v_and_b32_e32 v4, 0xff, v4
	v_cmp_ne_u32_e32 vcc, 0, v4
	s_andn2_b64 s[8:9], s[8:9], exec
	s_and_b64 s[14:15], vcc, exec
	s_or_b64 s[8:9], s[8:9], s[14:15]
	s_or_b64 exec, exec, s[10:11]
	v_mov_b32_e32 v6, 0
	s_and_saveexec_b64 s[10:11], s[8:9]
	s_cbranch_execnz .LBB15_730
	s_branch .LBB15_731
.LBB15_842:
	s_mov_b64 s[4:5], -1
                                        ; implicit-def: $vgpr2
	s_mov_b64 s[8:9], 0
.LBB15_843:
	s_and_b64 vcc, exec, s[10:11]
	s_cbranch_vccz .LBB15_847
; %bb.844:
	s_cmp_eq_u32 s12, 44
	s_cbranch_scc0 .LBB15_846
; %bb.845:
	global_load_ubyte v1, v[4:5], off
	s_mov_b32 s4, 0x2f800000
	s_mov_b32 s5, 0xcf800000
	s_mov_b64 s[8:9], -1
	s_waitcnt vmcnt(0)
	v_lshlrev_b32_e32 v2, 23, v1
	v_trunc_f32_e32 v2, v2
	v_mul_f32_e64 v3, |v2|, s4
	v_floor_f32_e32 v3, v3
	v_fma_f32 v3, v3, s5, |v2|
	v_cvt_u32_f32_e32 v3, v3
	v_ashrrev_i32_e32 v2, 31, v2
	v_cmp_ne_u32_e32 vcc, 0, v1
	s_mov_b64 s[4:5], 0
	v_xor_b32_e32 v3, v3, v2
	v_sub_u32_e32 v2, v3, v2
	v_cndmask_b32_e32 v2, 0, v2, vcc
	s_branch .LBB15_847
.LBB15_846:
	s_mov_b64 s[4:5], -1
                                        ; implicit-def: $vgpr2
.LBB15_847:
	s_mov_b64 s[10:11], 0
.LBB15_848:
	s_and_b64 vcc, exec, s[10:11]
	s_cbranch_vccz .LBB15_852
; %bb.849:
	s_cmp_eq_u32 s12, 29
	s_cbranch_scc0 .LBB15_851
; %bb.850:
	global_load_dwordx2 v[2:3], v[4:5], off
	s_mov_b64 s[4:5], 0
	s_mov_b64 s[8:9], -1
	s_branch .LBB15_852
.LBB15_851:
	s_mov_b64 s[4:5], -1
                                        ; implicit-def: $vgpr2
.LBB15_852:
	s_mov_b64 s[10:11], 0
.LBB15_853:
	s_and_b64 vcc, exec, s[10:11]
	s_cbranch_vccz .LBB15_869
; %bb.854:
	s_cmp_lt_i32 s12, 27
	s_cbranch_scc1 .LBB15_857
; %bb.855:
	s_cmp_gt_i32 s12, 27
	s_cbranch_scc0 .LBB15_858
; %bb.856:
	global_load_dword v2, v[4:5], off
	s_mov_b64 s[8:9], 0
	s_branch .LBB15_859
.LBB15_857:
	s_mov_b64 s[8:9], -1
                                        ; implicit-def: $vgpr2
	s_branch .LBB15_862
.LBB15_858:
	s_mov_b64 s[8:9], -1
                                        ; implicit-def: $vgpr2
.LBB15_859:
	s_andn2_b64 vcc, exec, s[8:9]
	s_cbranch_vccnz .LBB15_861
; %bb.860:
	global_load_ushort v2, v[4:5], off
.LBB15_861:
	s_mov_b64 s[8:9], 0
.LBB15_862:
	s_andn2_b64 vcc, exec, s[8:9]
	s_cbranch_vccnz .LBB15_868
; %bb.863:
	global_load_ubyte v1, v[4:5], off
	s_movk_i32 s8, 0x7f
	s_mov_b64 s[10:11], 0
	s_waitcnt vmcnt(0)
	v_cmp_lt_i16_e32 vcc, s8, v1
	s_and_saveexec_b64 s[8:9], vcc
	s_xor_b64 s[8:9], exec, s[8:9]
	s_cbranch_execz .LBB15_880
; %bb.864:
	s_movk_i32 s10, 0x80
	v_cmp_ne_u16_e32 vcc, s10, v1
	s_and_b64 s[10:11], vcc, exec
	s_andn2_saveexec_b64 s[8:9], s[8:9]
	s_cbranch_execnz .LBB15_881
.LBB15_865:
	s_or_b64 exec, exec, s[8:9]
	v_mov_b32_e32 v2, 0
	s_and_saveexec_b64 s[8:9], s[10:11]
	s_cbranch_execz .LBB15_867
.LBB15_866:
	v_lshlrev_b32_e32 v2, 24, v1
	v_and_b32_e32 v1, 0xffff, v1
	v_and_b32_e32 v3, 7, v1
	v_ffbh_u32_e32 v7, v3
	v_min_u32_e32 v7, 32, v7
	v_subrev_u32_e32 v8, 28, v7
	v_bfe_u32 v6, v1, 3, 4
	v_lshlrev_b32_e32 v1, v8, v1
	v_sub_u32_e32 v7, 29, v7
	v_and_b32_e32 v1, 7, v1
	v_cmp_eq_u32_e32 vcc, 0, v6
	v_and_b32_e32 v2, 0x80000000, v2
	s_mov_b32 s10, 0x2f800000
	v_cndmask_b32_e32 v6, v6, v7, vcc
	v_cndmask_b32_e32 v1, v3, v1, vcc
	v_mov_b32_e32 v3, 0x3b800000
	v_lshlrev_b32_e32 v1, 20, v1
	v_lshl_add_u32 v3, v6, 23, v3
	v_or3_b32 v1, v2, v3, v1
	v_trunc_f32_e32 v1, v1
	v_mul_f32_e64 v2, |v1|, s10
	v_floor_f32_e32 v2, v2
	s_mov_b32 s10, 0xcf800000
	v_fma_f32 v2, v2, s10, |v1|
	v_cvt_u32_f32_e32 v2, v2
	v_ashrrev_i32_e32 v1, 31, v1
	v_xor_b32_e32 v2, v2, v1
	v_sub_u32_e32 v2, v2, v1
.LBB15_867:
	s_or_b64 exec, exec, s[8:9]
.LBB15_868:
	s_mov_b64 s[8:9], -1
.LBB15_869:
	s_mov_b64 s[10:11], 0
.LBB15_870:
	s_and_b64 vcc, exec, s[10:11]
	s_cbranch_vccz .LBB15_901
; %bb.871:
	s_cmp_gt_i32 s12, 22
	s_cbranch_scc0 .LBB15_879
; %bb.872:
	s_cmp_lt_i32 s12, 24
	s_cbranch_scc1 .LBB15_882
; %bb.873:
	s_cmp_gt_i32 s12, 24
	s_cbranch_scc0 .LBB15_883
; %bb.874:
	global_load_ubyte v1, v[4:5], off
	s_movk_i32 s6, 0x7f
	s_mov_b64 s[8:9], 0
	s_waitcnt vmcnt(0)
	v_cmp_lt_i16_e32 vcc, s6, v1
	s_and_saveexec_b64 s[6:7], vcc
	s_xor_b64 s[6:7], exec, s[6:7]
	s_cbranch_execz .LBB15_895
; %bb.875:
	s_movk_i32 s8, 0x80
	v_cmp_ne_u16_e32 vcc, s8, v1
	s_and_b64 s[8:9], vcc, exec
	s_andn2_saveexec_b64 s[6:7], s[6:7]
	s_cbranch_execnz .LBB15_896
.LBB15_876:
	s_or_b64 exec, exec, s[6:7]
	v_mov_b32_e32 v2, 0
	s_and_saveexec_b64 s[6:7], s[8:9]
	s_cbranch_execz .LBB15_878
.LBB15_877:
	v_lshlrev_b32_e32 v2, 24, v1
	v_and_b32_e32 v1, 0xffff, v1
	v_and_b32_e32 v3, 3, v1
	v_ffbh_u32_e32 v7, v3
	v_min_u32_e32 v7, 32, v7
	v_subrev_u32_e32 v8, 29, v7
	v_bfe_u32 v6, v1, 2, 5
	v_lshlrev_b32_e32 v1, v8, v1
	v_sub_u32_e32 v7, 30, v7
	v_and_b32_e32 v1, 3, v1
	v_cmp_eq_u32_e32 vcc, 0, v6
	v_and_b32_e32 v2, 0x80000000, v2
	s_mov_b32 s8, 0x2f800000
	v_cndmask_b32_e32 v6, v6, v7, vcc
	v_cndmask_b32_e32 v1, v3, v1, vcc
	v_mov_b32_e32 v3, 0x37800000
	v_lshlrev_b32_e32 v1, 21, v1
	v_lshl_add_u32 v3, v6, 23, v3
	v_or3_b32 v1, v2, v3, v1
	v_trunc_f32_e32 v1, v1
	v_mul_f32_e64 v2, |v1|, s8
	v_floor_f32_e32 v2, v2
	s_mov_b32 s8, 0xcf800000
	v_fma_f32 v2, v2, s8, |v1|
	v_cvt_u32_f32_e32 v2, v2
	v_ashrrev_i32_e32 v1, 31, v1
	v_xor_b32_e32 v2, v2, v1
	v_sub_u32_e32 v2, v2, v1
.LBB15_878:
	s_or_b64 exec, exec, s[6:7]
	s_mov_b64 s[6:7], 0
	s_branch .LBB15_884
.LBB15_879:
	s_mov_b64 s[6:7], -1
                                        ; implicit-def: $vgpr2
	s_branch .LBB15_890
.LBB15_880:
	s_andn2_saveexec_b64 s[8:9], s[8:9]
	s_cbranch_execz .LBB15_865
.LBB15_881:
	v_cmp_ne_u16_e32 vcc, 0, v1
	s_andn2_b64 s[10:11], s[10:11], exec
	s_and_b64 s[14:15], vcc, exec
	s_or_b64 s[10:11], s[10:11], s[14:15]
	s_or_b64 exec, exec, s[8:9]
	v_mov_b32_e32 v2, 0
	s_and_saveexec_b64 s[8:9], s[10:11]
	s_cbranch_execnz .LBB15_866
	s_branch .LBB15_867
.LBB15_882:
	s_mov_b64 s[6:7], -1
                                        ; implicit-def: $vgpr2
	s_branch .LBB15_887
.LBB15_883:
	s_mov_b64 s[6:7], -1
                                        ; implicit-def: $vgpr2
.LBB15_884:
	s_and_b64 vcc, exec, s[6:7]
	s_cbranch_vccz .LBB15_886
; %bb.885:
	global_load_ubyte v1, v[4:5], off
	s_mov_b32 s6, 0x7f800000
	s_brev_b32 s7, 1
	s_mov_b32 s8, 0x2f800000
	s_waitcnt vmcnt(0)
	v_lshlrev_b32_e32 v1, 24, v1
	v_and_b32_e32 v2, 0x7f000000, v1
	v_ffbh_u32_e32 v3, v2
	v_min_u32_e32 v3, 32, v3
	v_sub_u32_e64 v3, v3, 4 clamp
	v_lshlrev_b32_e32 v7, v3, v2
	v_lshlrev_b32_e32 v3, 23, v3
	v_lshrrev_b32_e32 v7, 4, v7
	v_add_u32_e32 v6, 0x1000000, v2
	v_sub_u32_e32 v3, v7, v3
	v_ashrrev_i32_e32 v6, 8, v6
	v_add_u32_e32 v3, 0x3c000000, v3
	v_and_or_b32 v3, v6, s6, v3
	v_cmp_ne_u32_e32 vcc, 0, v2
	s_mov_b32 s6, 0xcf800000
	s_nop 0
	v_cndmask_b32_e32 v2, 0, v3, vcc
	v_and_or_b32 v1, v1, s7, v2
	v_trunc_f32_e32 v1, v1
	v_mul_f32_e64 v2, |v1|, s8
	v_floor_f32_e32 v2, v2
	v_fma_f32 v2, v2, s6, |v1|
	v_cvt_u32_f32_e32 v2, v2
	v_ashrrev_i32_e32 v1, 31, v1
	v_xor_b32_e32 v2, v2, v1
	v_sub_u32_e32 v2, v2, v1
.LBB15_886:
	s_mov_b64 s[6:7], 0
.LBB15_887:
	s_andn2_b64 vcc, exec, s[6:7]
	s_cbranch_vccnz .LBB15_889
; %bb.888:
	global_load_ubyte v1, v[4:5], off
	s_movk_i32 s6, 0x7f00
	s_brev_b32 s7, 16
	s_brev_b32 s8, 1
	s_mov_b32 s9, 0x2f800000
	s_waitcnt vmcnt(0)
	v_lshlrev_b16_e32 v2, 8, v1
	v_lshlrev_b32_e32 v1, 25, v1
	v_lshrrev_b32_e32 v3, 4, v1
	v_and_or_b32 v6, v2, s6, 0.5
	v_or_b32_e32 v3, 0x70000000, v3
	v_add_f32_e32 v6, -0.5, v6
	v_mul_f32_e32 v3, 0x7800000, v3
	v_cmp_gt_u32_e32 vcc, s7, v1
	v_bfe_i32 v2, v2, 0, 16
	s_mov_b32 s6, 0xcf800000
	v_cndmask_b32_e32 v1, v3, v6, vcc
	v_and_or_b32 v1, v2, s8, v1
	v_trunc_f32_e32 v1, v1
	v_mul_f32_e64 v2, |v1|, s9
	v_floor_f32_e32 v2, v2
	v_fma_f32 v2, v2, s6, |v1|
	v_cvt_u32_f32_e32 v2, v2
	v_ashrrev_i32_e32 v1, 31, v1
	v_xor_b32_e32 v2, v2, v1
	v_sub_u32_e32 v2, v2, v1
.LBB15_889:
	s_mov_b64 s[6:7], 0
	s_mov_b64 s[8:9], -1
.LBB15_890:
	s_andn2_b64 vcc, exec, s[6:7]
	s_mov_b64 s[6:7], 0
	s_cbranch_vccnz .LBB15_901
; %bb.891:
	s_cmp_gt_i32 s12, 14
	s_cbranch_scc0 .LBB15_894
; %bb.892:
	s_cmp_eq_u32 s12, 15
	s_cbranch_scc0 .LBB15_897
; %bb.893:
	global_load_ushort v1, v[4:5], off
	s_mov_b32 s4, 0x2f800000
	s_mov_b32 s5, 0xcf800000
	s_mov_b64 s[8:9], -1
	s_waitcnt vmcnt(0)
	v_lshlrev_b32_e32 v1, 16, v1
	v_trunc_f32_e32 v1, v1
	v_mul_f32_e64 v2, |v1|, s4
	v_floor_f32_e32 v2, v2
	v_fma_f32 v2, v2, s5, |v1|
	v_cvt_u32_f32_e32 v2, v2
	v_ashrrev_i32_e32 v1, 31, v1
	s_mov_b64 s[4:5], 0
	v_xor_b32_e32 v2, v2, v1
	v_sub_u32_e32 v2, v2, v1
	s_branch .LBB15_898
.LBB15_894:
	s_mov_b64 s[10:11], -1
                                        ; implicit-def: $vgpr2
	s_branch .LBB15_899
.LBB15_895:
	s_andn2_saveexec_b64 s[6:7], s[6:7]
	s_cbranch_execz .LBB15_876
.LBB15_896:
	v_cmp_ne_u16_e32 vcc, 0, v1
	s_andn2_b64 s[8:9], s[8:9], exec
	s_and_b64 s[10:11], vcc, exec
	s_or_b64 s[8:9], s[8:9], s[10:11]
	s_or_b64 exec, exec, s[6:7]
	v_mov_b32_e32 v2, 0
	s_and_saveexec_b64 s[6:7], s[8:9]
	s_cbranch_execnz .LBB15_877
	s_branch .LBB15_878
.LBB15_897:
	s_mov_b64 s[4:5], -1
                                        ; implicit-def: $vgpr2
.LBB15_898:
	s_mov_b64 s[10:11], 0
.LBB15_899:
	s_and_b64 vcc, exec, s[10:11]
	s_cbranch_vccz .LBB15_901
; %bb.900:
	s_cmp_lg_u32 s12, 11
	s_cselect_b64 s[10:11], -1, 0
	s_andn2_b64 s[4:5], s[4:5], exec
	s_and_b64 s[10:11], s[10:11], exec
	s_mov_b64 s[6:7], -1
	s_or_b64 s[4:5], s[4:5], s[10:11]
.LBB15_901:
	s_mov_b64 s[10:11], 0
.LBB15_902:
	s_andn2_b64 s[12:13], s[2:3], exec
	s_and_b64 s[4:5], s[4:5], exec
	s_and_b64 s[8:9], s[8:9], exec
	;; [unrolled: 1-line block ×4, first 2 shown]
	s_or_b64 s[12:13], s[12:13], s[4:5]
.LBB15_903:
	s_or_b64 exec, exec, s[70:71]
	s_and_b64 s[4:5], s[6:7], exec
	s_andn2_b64 s[2:3], s[2:3], exec
	s_and_b64 s[6:7], s[12:13], exec
	s_and_b64 s[8:9], s[8:9], exec
	;; [unrolled: 1-line block ×3, first 2 shown]
	s_or_b64 s[2:3], s[2:3], s[6:7]
.LBB15_904:
	s_or_b64 exec, exec, s[66:67]
	s_andn2_b64 s[6:7], s[62:63], exec
	s_and_b64 s[12:13], s[68:69], exec
	s_or_b64 s[62:63], s[6:7], s[12:13]
	s_and_b64 s[6:7], s[10:11], exec
	s_andn2_b64 s[10:11], s[60:61], exec
	s_and_b64 s[2:3], s[2:3], exec
	s_and_b64 s[8:9], s[8:9], exec
	;; [unrolled: 1-line block ×3, first 2 shown]
	s_or_b64 s[60:61], s[10:11], s[2:3]
.LBB15_905:
	s_or_b64 exec, exec, s[64:65]
	s_andn2_b64 s[2:3], s[54:55], exec
	s_and_b64 s[10:11], s[62:63], exec
	s_or_b64 s[54:55], s[2:3], s[10:11]
	s_and_b64 s[2:3], s[8:9], exec
	s_and_b64 s[8:9], s[6:7], exec
	;; [unrolled: 1-line block ×3, first 2 shown]
	s_andn2_b64 s[4:5], s[56:57], exec
	s_and_b64 s[6:7], s[60:61], exec
	s_or_b64 s[56:57], s[4:5], s[6:7]
	s_or_b64 exec, exec, s[58:59]
	s_mov_b64 s[4:5], 0
	s_and_saveexec_b64 s[6:7], s[56:57]
	s_cbranch_execz .LBB15_272
.LBB15_906:
	s_mov_b64 s[4:5], exec
	s_andn2_b64 s[62:63], s[62:63], exec
	s_trap 2
	s_or_b64 exec, exec, s[6:7]
	s_and_saveexec_b64 s[6:7], s[62:63]
	s_xor_b64 s[6:7], exec, s[6:7]
	s_cbranch_execnz .LBB15_273
.LBB15_907:
	s_or_b64 exec, exec, s[6:7]
	s_and_saveexec_b64 s[6:7], s[8:9]
	s_cbranch_execz .LBB15_953
.LBB15_908:
	s_sext_i32_i16 s8, s74
	s_cmp_lt_i32 s8, 5
	s_cbranch_scc1 .LBB15_913
; %bb.909:
	s_cmp_lt_i32 s8, 8
	s_cbranch_scc1 .LBB15_914
; %bb.910:
	;; [unrolled: 3-line block ×3, first 2 shown]
	s_cmp_gt_i32 s8, 9
	s_cbranch_scc0 .LBB15_916
; %bb.912:
	global_load_dwordx2 v[2:3], v[4:5], off
	s_movk_i32 s8, 0xffe0
	s_waitcnt vmcnt(0)
	v_trunc_f64_e32 v[2:3], v[2:3]
	v_ldexp_f64 v[6:7], v[2:3], s8
	v_floor_f64_e32 v[6:7], v[6:7]
	v_fmac_f64_e32 v[2:3], 0xc1f00000, v[6:7]
	v_cvt_u32_f64_e32 v2, v[2:3]
	s_mov_b64 s[8:9], 0
	s_branch .LBB15_917
.LBB15_913:
                                        ; implicit-def: $vgpr2
	s_branch .LBB15_934
.LBB15_914:
                                        ; implicit-def: $vgpr2
	s_branch .LBB15_923
.LBB15_915:
	s_mov_b64 s[8:9], -1
                                        ; implicit-def: $vgpr2
	s_branch .LBB15_920
.LBB15_916:
	s_mov_b64 s[8:9], -1
                                        ; implicit-def: $vgpr2
.LBB15_917:
	s_andn2_b64 vcc, exec, s[8:9]
	s_cbranch_vccnz .LBB15_919
; %bb.918:
	global_load_dword v1, v[4:5], off
	s_mov_b32 s8, 0x2f800000
	s_waitcnt vmcnt(0)
	v_trunc_f32_e32 v1, v1
	v_mul_f32_e64 v2, |v1|, s8
	v_floor_f32_e32 v2, v2
	s_mov_b32 s8, 0xcf800000
	v_fma_f32 v2, v2, s8, |v1|
	v_cvt_u32_f32_e32 v2, v2
	v_ashrrev_i32_e32 v1, 31, v1
	v_xor_b32_e32 v2, v2, v1
	v_sub_u32_e32 v2, v2, v1
.LBB15_919:
	s_mov_b64 s[8:9], 0
.LBB15_920:
	s_andn2_b64 vcc, exec, s[8:9]
	s_cbranch_vccnz .LBB15_922
; %bb.921:
	global_load_dword v1, v[4:5], off
	s_waitcnt vmcnt(0)
	v_cvt_f32_f16_e32 v1, v1
	v_cvt_i32_f32_e32 v2, v1
.LBB15_922:
	s_cbranch_execnz .LBB15_933
.LBB15_923:
	s_sext_i32_i16 s8, s74
	s_cmp_lt_i32 s8, 6
	s_cbranch_scc1 .LBB15_926
; %bb.924:
	s_cmp_gt_i32 s8, 6
	s_cbranch_scc0 .LBB15_927
; %bb.925:
	global_load_dwordx2 v[2:3], v[4:5], off
	s_movk_i32 s8, 0xffe0
	s_waitcnt vmcnt(0)
	v_trunc_f64_e32 v[2:3], v[2:3]
	v_ldexp_f64 v[6:7], v[2:3], s8
	v_floor_f64_e32 v[6:7], v[6:7]
	v_fmac_f64_e32 v[2:3], 0xc1f00000, v[6:7]
	v_cvt_u32_f64_e32 v2, v[2:3]
	s_mov_b64 s[8:9], 0
	s_branch .LBB15_928
.LBB15_926:
	s_mov_b64 s[8:9], -1
                                        ; implicit-def: $vgpr2
	s_branch .LBB15_931
.LBB15_927:
	s_mov_b64 s[8:9], -1
                                        ; implicit-def: $vgpr2
.LBB15_928:
	s_andn2_b64 vcc, exec, s[8:9]
	s_cbranch_vccnz .LBB15_930
; %bb.929:
	global_load_dword v1, v[4:5], off
	s_mov_b32 s8, 0x2f800000
	s_waitcnt vmcnt(0)
	v_trunc_f32_e32 v1, v1
	v_mul_f32_e64 v2, |v1|, s8
	v_floor_f32_e32 v2, v2
	s_mov_b32 s8, 0xcf800000
	v_fma_f32 v2, v2, s8, |v1|
	v_cvt_u32_f32_e32 v2, v2
	v_ashrrev_i32_e32 v1, 31, v1
	v_xor_b32_e32 v2, v2, v1
	v_sub_u32_e32 v2, v2, v1
.LBB15_930:
	s_mov_b64 s[8:9], 0
.LBB15_931:
	s_andn2_b64 vcc, exec, s[8:9]
	s_cbranch_vccnz .LBB15_933
; %bb.932:
	global_load_ushort v1, v[4:5], off
	s_waitcnt vmcnt(0)
	v_cvt_f32_f16_e32 v1, v1
	v_cvt_i32_f32_e32 v2, v1
.LBB15_933:
	s_cbranch_execnz .LBB15_952
.LBB15_934:
	s_sext_i32_i16 s8, s74
	s_cmp_lt_i32 s8, 2
	s_cbranch_scc1 .LBB15_938
; %bb.935:
	s_cmp_lt_i32 s8, 3
	s_cbranch_scc1 .LBB15_939
; %bb.936:
	s_cmp_gt_i32 s8, 3
	s_cbranch_scc0 .LBB15_940
; %bb.937:
	global_load_dwordx2 v[2:3], v[4:5], off
	s_mov_b64 s[8:9], 0
	s_branch .LBB15_941
.LBB15_938:
                                        ; implicit-def: $vgpr2
	s_branch .LBB15_947
.LBB15_939:
	s_mov_b64 s[8:9], -1
                                        ; implicit-def: $vgpr2
	s_branch .LBB15_944
.LBB15_940:
	s_mov_b64 s[8:9], -1
                                        ; implicit-def: $vgpr2
.LBB15_941:
	s_andn2_b64 vcc, exec, s[8:9]
	s_cbranch_vccnz .LBB15_943
; %bb.942:
	global_load_dword v2, v[4:5], off
.LBB15_943:
	s_mov_b64 s[8:9], 0
.LBB15_944:
	s_andn2_b64 vcc, exec, s[8:9]
	s_cbranch_vccnz .LBB15_946
; %bb.945:
	global_load_ushort v2, v[4:5], off
.LBB15_946:
	s_cbranch_execnz .LBB15_952
.LBB15_947:
	s_sext_i32_i16 s8, s74
	s_cmp_gt_i32 s8, 0
	s_cbranch_scc0 .LBB15_949
; %bb.948:
	global_load_ubyte v2, v[4:5], off
	s_mov_b64 s[8:9], 0
	s_branch .LBB15_950
.LBB15_949:
	s_mov_b64 s[8:9], -1
                                        ; implicit-def: $vgpr2
.LBB15_950:
	s_andn2_b64 vcc, exec, s[8:9]
	s_cbranch_vccnz .LBB15_952
; %bb.951:
	global_load_ubyte v2, v[4:5], off
.LBB15_952:
	s_or_b64 s[2:3], s[2:3], exec
.LBB15_953:
	s_or_b64 exec, exec, s[6:7]
	s_mov_b64 s[10:11], 0
	s_mov_b64 s[8:9], 0
                                        ; implicit-def: $sgpr16
                                        ; implicit-def: $vgpr4_vgpr5
                                        ; implicit-def: $vgpr3
	s_and_saveexec_b64 s[6:7], s[2:3]
	s_cbranch_execz .LBB15_1028
; %bb.954:
	v_mov_b32_e32 v1, 0
	s_and_b32 s16, s73, 0xff
	s_waitcnt vmcnt(0)
	v_xor_b32_e32 v3, -1, v2
	s_cmp_lt_i32 s16, 11
	s_waitcnt lgkmcnt(0)
	v_lshl_add_u64 v[4:5], s[20:21], 0, v[0:1]
	s_cbranch_scc1 .LBB15_1031
; %bb.955:
	s_and_b32 s17, 0xffff, s16
	s_mov_b64 s[10:11], -1
	s_cmp_gt_i32 s17, 25
	s_mov_b64 s[2:3], s[54:55]
	s_cbranch_scc0 .LBB15_988
; %bb.956:
	s_mov_b64 s[8:9], -1
	s_cmp_gt_i32 s17, 28
	s_mov_b64 s[2:3], s[54:55]
	s_cbranch_scc0 .LBB15_972
; %bb.957:
	s_cmp_gt_i32 s17, 43
	s_mov_b64 s[2:3], s[54:55]
	s_cbranch_scc0 .LBB15_968
; %bb.958:
	;; [unrolled: 4-line block ×3, first 2 shown]
	s_cmp_eq_u32 s17, 46
	s_mov_b64 s[2:3], -1
	s_cbranch_scc0 .LBB15_961
; %bb.960:
	v_cvt_f32_ubyte0_e32 v0, v3
	v_bfe_u32 v1, v0, 16, 1
	s_movk_i32 s2, 0x7fff
	v_add3_u32 v0, v0, v1, s2
	v_lshrrev_b32_e32 v0, 16, v0
	global_store_dword v[4:5], v0, off
	s_mov_b64 s[2:3], 0
.LBB15_961:
	s_mov_b64 s[8:9], 0
.LBB15_962:
	s_and_b64 vcc, exec, s[8:9]
	s_cbranch_vccz .LBB15_967
; %bb.963:
	s_cmp_eq_u32 s17, 44
	s_mov_b64 s[2:3], -1
	s_cbranch_scc0 .LBB15_967
; %bb.964:
	v_cvt_f32_ubyte0_e32 v1, v3
	v_lshrrev_b32_e32 v0, 23, v1
	s_movk_i32 s2, 0xff
	v_cmp_ne_u32_e32 vcc, s2, v0
	v_mov_b32_e32 v6, 0xff
	s_and_saveexec_b64 s[8:9], vcc
; %bb.965:
	s_mov_b32 s2, 0x3fffff
	v_and_b32_e32 v6, 0x400000, v1
	v_and_or_b32 v1, v1, s2, v0
	v_cmp_ne_u32_e32 vcc, 0, v6
	v_cmp_ne_u32_e64 s[2:3], 0, v1
	s_and_b64 s[2:3], vcc, s[2:3]
	s_nop 0
	v_cndmask_b32_e64 v1, 0, 1, s[2:3]
	v_add_u32_e32 v6, v0, v1
; %bb.966:
	s_or_b64 exec, exec, s[8:9]
	s_mov_b64 s[2:3], 0
	global_store_byte v[4:5], v6, off
.LBB15_967:
	s_mov_b64 s[8:9], 0
.LBB15_968:
	s_and_b64 vcc, exec, s[8:9]
	s_cbranch_vccz .LBB15_971
; %bb.969:
	s_cmp_eq_u32 s17, 29
	s_mov_b64 s[2:3], -1
	s_cbranch_scc0 .LBB15_971
; %bb.970:
	v_and_b32_e32 v0, 0xff, v3
	v_mov_b32_e32 v1, 0
	global_store_dwordx2 v[4:5], v[0:1], off
	s_mov_b64 s[2:3], 0
.LBB15_971:
	s_mov_b64 s[8:9], 0
.LBB15_972:
	s_and_b64 vcc, exec, s[8:9]
	s_cbranch_vccz .LBB15_987
; %bb.973:
	s_cmp_lt_i32 s17, 27
	s_mov_b64 s[8:9], -1
	s_cbranch_scc1 .LBB15_979
; %bb.974:
	s_cmp_gt_i32 s17, 27
	s_cbranch_scc0 .LBB15_976
; %bb.975:
	v_and_b32_e32 v0, 0xff, v3
	s_mov_b64 s[8:9], 0
	global_store_dword v[4:5], v0, off
.LBB15_976:
	s_andn2_b64 vcc, exec, s[8:9]
	s_cbranch_vccnz .LBB15_978
; %bb.977:
	v_and_b32_e32 v0, 0xff, v3
	global_store_short v[4:5], v0, off
.LBB15_978:
	s_mov_b64 s[8:9], 0
.LBB15_979:
	s_andn2_b64 vcc, exec, s[8:9]
	s_cbranch_vccnz .LBB15_987
; %bb.980:
	v_cvt_f32_ubyte0_e32 v1, v3
	s_mov_b32 s8, 0x43800000
	v_cmp_gt_u32_e32 vcc, s8, v1
	v_mov_b32_e32 v6, 0x80
	s_and_saveexec_b64 s[8:9], vcc
	s_cbranch_execz .LBB15_986
; %bb.981:
	s_mov_b32 s10, 0x3bffffff
	v_cmp_lt_u32_e32 vcc, s10, v1
	s_mov_b64 s[10:11], 0
                                        ; implicit-def: $vgpr0
	s_and_saveexec_b64 s[12:13], vcc
	s_xor_b64 s[12:13], exec, s[12:13]
	s_cbranch_execz .LBB15_1144
; %bb.982:
	v_bfe_u32 v0, v1, 20, 1
	s_mov_b32 s14, 0x487ffff
	v_add3_u32 v0, v1, v0, s14
	s_mov_b64 s[10:11], exec
	v_lshrrev_b32_e32 v0, 20, v0
                                        ; implicit-def: $vgpr1
	s_andn2_saveexec_b64 s[12:13], s[12:13]
	s_cbranch_execnz .LBB15_1145
.LBB15_983:
	s_or_b64 exec, exec, s[12:13]
	v_mov_b32_e32 v6, 0
	s_and_saveexec_b64 s[12:13], s[10:11]
.LBB15_984:
	v_mov_b32_e32 v6, v0
.LBB15_985:
	s_or_b64 exec, exec, s[12:13]
.LBB15_986:
	s_or_b64 exec, exec, s[8:9]
	global_store_byte v[4:5], v6, off
.LBB15_987:
	s_mov_b64 s[10:11], 0
.LBB15_988:
	s_mov_b64 s[8:9], 0
	s_and_b64 vcc, exec, s[10:11]
	s_cbranch_vccz .LBB15_1032
; %bb.989:
	s_cmp_gt_i32 s17, 22
	s_mov_b64 s[10:11], -1
	s_cbranch_scc0 .LBB15_1021
; %bb.990:
	s_cmp_lt_i32 s17, 24
	s_cbranch_scc1 .LBB15_1010
; %bb.991:
	s_cmp_gt_i32 s17, 24
	s_cbranch_scc0 .LBB15_999
; %bb.992:
	v_cvt_f32_ubyte0_e32 v1, v3
	s_mov_b32 s10, 0x47800000
	v_cmp_gt_u32_e32 vcc, s10, v1
	v_mov_b32_e32 v6, 0x80
	s_and_saveexec_b64 s[10:11], vcc
	s_cbranch_execz .LBB15_998
; %bb.993:
	s_mov_b32 s12, 0x37ffffff
	v_cmp_lt_u32_e32 vcc, s12, v1
	s_mov_b64 s[12:13], 0
                                        ; implicit-def: $vgpr0
	s_and_saveexec_b64 s[14:15], vcc
	s_xor_b64 s[14:15], exec, s[14:15]
	s_cbranch_execz .LBB15_1264
; %bb.994:
	v_bfe_u32 v0, v1, 21, 1
	s_mov_b32 s18, 0x88fffff
	v_add3_u32 v0, v1, v0, s18
	s_mov_b64 s[12:13], exec
	v_lshrrev_b32_e32 v0, 21, v0
                                        ; implicit-def: $vgpr1
	s_andn2_saveexec_b64 s[14:15], s[14:15]
	s_cbranch_execnz .LBB15_1265
.LBB15_995:
	s_or_b64 exec, exec, s[14:15]
	v_mov_b32_e32 v6, 0
	s_and_saveexec_b64 s[14:15], s[12:13]
.LBB15_996:
	v_mov_b32_e32 v6, v0
.LBB15_997:
	s_or_b64 exec, exec, s[14:15]
.LBB15_998:
	s_or_b64 exec, exec, s[10:11]
	s_mov_b64 s[10:11], 0
	global_store_byte v[4:5], v6, off
.LBB15_999:
	s_and_b64 vcc, exec, s[10:11]
	s_cbranch_vccz .LBB15_1009
; %bb.1000:
	v_cvt_f32_ubyte0_e32 v0, v3
	s_mov_b32 s10, 0x43f00000
	v_cmp_gt_u32_e32 vcc, s10, v0
                                        ; implicit-def: $vgpr1
	s_and_saveexec_b64 s[10:11], vcc
	s_xor_b64 s[10:11], exec, s[10:11]
	s_cbranch_execz .LBB15_1006
; %bb.1001:
	s_mov_b32 s12, 0x3c7fffff
	v_cmp_lt_u32_e32 vcc, s12, v0
                                        ; implicit-def: $vgpr1
	s_and_saveexec_b64 s[12:13], vcc
	s_xor_b64 s[12:13], exec, s[12:13]
; %bb.1002:
	v_bfe_u32 v1, v0, 20, 1
	s_mov_b32 s14, 0x407ffff
	v_add3_u32 v0, v0, v1, s14
	v_lshrrev_b32_e32 v1, 20, v0
	v_and_b32_e32 v0, 0xff00000, v0
	s_mov_b32 s14, 0x7f00000
	v_mov_b32_e32 v6, 0x7e
	v_cmp_ne_u32_e32 vcc, s14, v0
                                        ; implicit-def: $vgpr0
	s_nop 1
	v_cndmask_b32_e32 v1, v6, v1, vcc
; %bb.1003:
	s_andn2_saveexec_b64 s[12:13], s[12:13]
; %bb.1004:
	v_add_f32_e32 v1, 0x46800000, v0
; %bb.1005:
	s_or_b64 exec, exec, s[12:13]
                                        ; implicit-def: $vgpr0
.LBB15_1006:
	s_andn2_saveexec_b64 s[10:11], s[10:11]
; %bb.1007:
	s_mov_b32 s12, 0x7f800000
	v_mov_b32_e32 v1, 0x7e
	v_mov_b32_e32 v6, 0x7f
	v_cmp_lt_u32_e32 vcc, s12, v0
	s_nop 1
	v_cndmask_b32_e32 v1, v1, v6, vcc
; %bb.1008:
	s_or_b64 exec, exec, s[10:11]
	global_store_byte v[4:5], v1, off
.LBB15_1009:
	s_mov_b64 s[10:11], 0
.LBB15_1010:
	s_andn2_b64 vcc, exec, s[10:11]
	s_cbranch_vccnz .LBB15_1020
; %bb.1011:
	v_cvt_f32_ubyte0_e32 v0, v3
	s_mov_b32 s10, 0x47800000
	v_cmp_gt_u32_e32 vcc, s10, v0
                                        ; implicit-def: $vgpr1
	s_and_saveexec_b64 s[10:11], vcc
	s_xor_b64 s[10:11], exec, s[10:11]
	s_cbranch_execz .LBB15_1017
; %bb.1012:
	s_mov_b32 s12, 0x387fffff
	v_cmp_lt_u32_e32 vcc, s12, v0
                                        ; implicit-def: $vgpr1
	s_and_saveexec_b64 s[12:13], vcc
	s_xor_b64 s[12:13], exec, s[12:13]
; %bb.1013:
	v_bfe_u32 v1, v0, 21, 1
	s_mov_b32 s14, 0x80fffff
	v_add3_u32 v0, v0, v1, s14
	v_lshrrev_b32_e32 v1, 21, v0
                                        ; implicit-def: $vgpr0
; %bb.1014:
	s_andn2_saveexec_b64 s[12:13], s[12:13]
; %bb.1015:
	v_add_f32_e32 v1, 0x43000000, v0
; %bb.1016:
	s_or_b64 exec, exec, s[12:13]
                                        ; implicit-def: $vgpr0
.LBB15_1017:
	s_andn2_saveexec_b64 s[10:11], s[10:11]
; %bb.1018:
	s_mov_b32 s12, 0x7f800000
	v_mov_b32_e32 v1, 0x7c
	v_mov_b32_e32 v6, 0x7f
	v_cmp_lt_u32_e32 vcc, s12, v0
	s_nop 1
	v_cndmask_b32_e32 v1, v1, v6, vcc
; %bb.1019:
	s_or_b64 exec, exec, s[10:11]
	global_store_byte v[4:5], v1, off
.LBB15_1020:
	s_mov_b64 s[10:11], 0
.LBB15_1021:
	s_andn2_b64 vcc, exec, s[10:11]
	s_mov_b64 s[10:11], 0
	s_cbranch_vccnz .LBB15_1033
; %bb.1022:
	s_cmp_gt_i32 s17, 14
	s_mov_b64 s[12:13], -1
	s_cbranch_scc0 .LBB15_1026
; %bb.1023:
	s_cmp_eq_u32 s17, 15
	s_mov_b64 s[2:3], -1
	s_cbranch_scc0 .LBB15_1025
; %bb.1024:
	v_cvt_f32_ubyte0_e32 v0, v3
	v_bfe_u32 v1, v0, 16, 1
	s_movk_i32 s2, 0x7fff
	v_add3_u32 v0, v0, v1, s2
	global_store_short_d16_hi v[4:5], v0, off
	s_mov_b64 s[2:3], 0
.LBB15_1025:
	s_mov_b64 s[12:13], 0
.LBB15_1026:
	s_and_b64 vcc, exec, s[12:13]
	s_cbranch_vccz .LBB15_1033
; %bb.1027:
	s_cmp_lg_u32 s17, 11
	s_cselect_b64 s[12:13], -1, 0
	s_andn2_b64 s[2:3], s[2:3], exec
	s_and_b64 s[12:13], s[12:13], exec
	s_mov_b64 s[10:11], -1
	s_or_b64 s[2:3], s[2:3], s[12:13]
	s_branch .LBB15_1033
.LBB15_1028:
	s_or_b64 exec, exec, s[6:7]
	s_and_saveexec_b64 s[2:3], s[54:55]
	s_cbranch_execnz .LBB15_1034
.LBB15_1029:
	s_or_b64 exec, exec, s[2:3]
	s_and_saveexec_b64 s[2:3], s[10:11]
	s_xor_b64 s[2:3], exec, s[2:3]
	s_cbranch_execz .LBB15_1035
.LBB15_1030:
	s_movk_i32 s6, 0xff
	s_waitcnt vmcnt(0)
	v_cmp_ne_u16_sdwa s[6:7], v2, s6 src0_sel:BYTE_0 src1_sel:DWORD
	s_nop 1
	v_cndmask_b32_e64 v0, 0, 1, s[6:7]
	global_store_byte v[4:5], v0, off
	s_or_b64 exec, exec, s[2:3]
	s_and_saveexec_b64 s[2:3], s[8:9]
	s_xor_b64 s[2:3], exec, s[2:3]
	s_cbranch_execz .LBB15_1073
	s_branch .LBB15_1036
.LBB15_1031:
	s_mov_b64 s[8:9], -1
	s_mov_b64 s[2:3], s[54:55]
	s_branch .LBB15_1033
.LBB15_1032:
	s_mov_b64 s[10:11], 0
.LBB15_1033:
	s_andn2_b64 s[12:13], s[54:55], exec
	s_and_b64 s[2:3], s[2:3], exec
	s_and_b64 s[8:9], s[8:9], exec
	;; [unrolled: 1-line block ×3, first 2 shown]
	s_or_b64 s[54:55], s[12:13], s[2:3]
	s_or_b64 exec, exec, s[6:7]
	s_and_saveexec_b64 s[2:3], s[54:55]
	s_cbranch_execz .LBB15_1029
.LBB15_1034:
	s_or_b64 s[4:5], s[4:5], exec
	s_andn2_b64 s[10:11], s[10:11], exec
	s_trap 2
	s_or_b64 exec, exec, s[2:3]
	s_and_saveexec_b64 s[2:3], s[10:11]
	s_xor_b64 s[2:3], exec, s[2:3]
	s_cbranch_execnz .LBB15_1030
.LBB15_1035:
	s_or_b64 exec, exec, s[2:3]
	s_and_saveexec_b64 s[2:3], s[8:9]
	s_xor_b64 s[2:3], exec, s[2:3]
	s_cbranch_execz .LBB15_1073
.LBB15_1036:
	s_sext_i32_i16 s8, s16
	s_cmp_lt_i32 s8, 5
	s_mov_b64 s[6:7], -1
	s_cbranch_scc1 .LBB15_1057
; %bb.1037:
	s_cmp_lt_i32 s8, 8
	s_cbranch_scc1 .LBB15_1047
; %bb.1038:
	s_cmp_lt_i32 s8, 9
	s_cbranch_scc1 .LBB15_1044
; %bb.1039:
	s_cmp_gt_i32 s8, 9
	s_cbranch_scc0 .LBB15_1041
; %bb.1040:
	s_mov_b32 s6, 0xffff
	s_waitcnt vmcnt(0)
	v_and_b32_sdwa v0, s6, v3 dst_sel:DWORD dst_unused:UNUSED_PAD src0_sel:DWORD src1_sel:BYTE_0
	v_mov_b32_e32 v8, 0
	v_cvt_f64_u32_e32 v[6:7], v0
	v_mov_b32_e32 v9, v8
	s_mov_b64 s[6:7], 0
	global_store_dwordx4 v[4:5], v[6:9], off
.LBB15_1041:
	s_andn2_b64 vcc, exec, s[6:7]
	s_cbranch_vccnz .LBB15_1043
; %bb.1042:
	s_waitcnt vmcnt(0)
	v_cvt_f32_ubyte0_e32 v0, v3
	v_mov_b32_e32 v1, 0
	global_store_dwordx2 v[4:5], v[0:1], off
.LBB15_1043:
	s_mov_b64 s[6:7], 0
.LBB15_1044:
	s_andn2_b64 vcc, exec, s[6:7]
	s_cbranch_vccnz .LBB15_1046
; %bb.1045:
	s_waitcnt vmcnt(0)
	v_cvt_f16_u16_sdwa v0, v3 dst_sel:DWORD dst_unused:UNUSED_PAD src0_sel:BYTE_0
	global_store_dword v[4:5], v0, off
.LBB15_1046:
	s_mov_b64 s[6:7], 0
.LBB15_1047:
	s_andn2_b64 vcc, exec, s[6:7]
	s_cbranch_vccnz .LBB15_1056
; %bb.1048:
	s_sext_i32_i16 s8, s16
	s_cmp_lt_i32 s8, 6
	s_mov_b64 s[6:7], -1
	s_cbranch_scc1 .LBB15_1054
; %bb.1049:
	s_cmp_gt_i32 s8, 6
	s_cbranch_scc0 .LBB15_1051
; %bb.1050:
	s_mov_b32 s6, 0xffff
	s_waitcnt vmcnt(0)
	v_and_b32_sdwa v0, s6, v3 dst_sel:DWORD dst_unused:UNUSED_PAD src0_sel:DWORD src1_sel:BYTE_0
	v_cvt_f64_u32_e32 v[0:1], v0
	s_mov_b64 s[6:7], 0
	global_store_dwordx2 v[4:5], v[0:1], off
.LBB15_1051:
	s_andn2_b64 vcc, exec, s[6:7]
	s_cbranch_vccnz .LBB15_1053
; %bb.1052:
	s_waitcnt vmcnt(0)
	v_cvt_f32_ubyte0_e32 v0, v3
	global_store_dword v[4:5], v0, off
.LBB15_1053:
	s_mov_b64 s[6:7], 0
.LBB15_1054:
	s_andn2_b64 vcc, exec, s[6:7]
	s_cbranch_vccnz .LBB15_1056
; %bb.1055:
	s_waitcnt vmcnt(0)
	v_cvt_f16_u16_sdwa v0, v3 dst_sel:DWORD dst_unused:UNUSED_PAD src0_sel:BYTE_0
	global_store_short v[4:5], v0, off
.LBB15_1056:
	s_mov_b64 s[6:7], 0
.LBB15_1057:
	s_andn2_b64 vcc, exec, s[6:7]
	s_cbranch_vccnz .LBB15_1073
; %bb.1058:
	s_sext_i32_i16 s8, s16
	s_cmp_lt_i32 s8, 2
	s_mov_b64 s[6:7], -1
	s_cbranch_scc1 .LBB15_1068
; %bb.1059:
	s_cmp_lt_i32 s8, 3
	s_cbranch_scc1 .LBB15_1065
; %bb.1060:
	s_cmp_gt_i32 s8, 3
	s_cbranch_scc0 .LBB15_1062
; %bb.1061:
	s_waitcnt vmcnt(0)
	v_and_b32_e32 v0, 0xff, v3
	v_mov_b32_e32 v1, 0
	s_mov_b64 s[6:7], 0
	global_store_dwordx2 v[4:5], v[0:1], off
.LBB15_1062:
	s_andn2_b64 vcc, exec, s[6:7]
	s_cbranch_vccnz .LBB15_1064
; %bb.1063:
	s_waitcnt vmcnt(0)
	v_and_b32_e32 v0, 0xff, v3
	global_store_dword v[4:5], v0, off
.LBB15_1064:
	s_mov_b64 s[6:7], 0
.LBB15_1065:
	s_andn2_b64 vcc, exec, s[6:7]
	s_cbranch_vccnz .LBB15_1067
; %bb.1066:
	s_waitcnt vmcnt(0)
	v_and_b32_e32 v0, 0xff, v3
	global_store_short v[4:5], v0, off
.LBB15_1067:
	s_mov_b64 s[6:7], 0
.LBB15_1068:
	s_andn2_b64 vcc, exec, s[6:7]
	s_cbranch_vccnz .LBB15_1073
; %bb.1069:
	s_sext_i32_i16 s6, s16
	s_cmp_gt_i32 s6, 0
	s_mov_b64 s[6:7], -1
	s_cbranch_scc0 .LBB15_1071
; %bb.1070:
	s_mov_b64 s[6:7], 0
	s_waitcnt vmcnt(0)
	global_store_byte v[4:5], v3, off
.LBB15_1071:
	s_andn2_b64 vcc, exec, s[6:7]
	s_cbranch_vccnz .LBB15_1073
; %bb.1072:
	s_waitcnt vmcnt(0)
	global_store_byte v[4:5], v3, off
.LBB15_1073:
	s_or_b64 exec, exec, s[2:3]
	s_waitcnt lgkmcnt(0)
	s_and_b64 s[24:25], s[4:5], exec
                                        ; implicit-def: $vgpr16
                                        ; implicit-def: $vgpr13
.LBB15_1074:
	s_or_saveexec_b64 s[26:27], s[44:45]
	s_mov_b64 s[6:7], 0
                                        ; implicit-def: $vgpr0_vgpr1
                                        ; implicit-def: $sgpr14
                                        ; implicit-def: $vgpr2
                                        ; implicit-def: $vgpr12
	s_xor_b64 exec, exec, s[26:27]
	s_cbranch_execz .LBB15_1515
; %bb.1075:
	v_cndmask_b32_e64 v0, 0, 1, s[42:43]
	v_cmp_ne_u32_e64 s[2:3], 1, v0
	s_andn2_b64 vcc, exec, s[42:43]
	s_cbranch_vccnz .LBB15_1081
; %bb.1076:
	s_cmp_lg_u32 s33, 0
	s_mov_b32 s36, 0
	s_cbranch_scc0 .LBB15_1082
; %bb.1077:
	s_min_u32 s37, s72, 15
	s_add_i32 s37, s37, 1
	s_cmp_eq_u32 s72, 2
	s_cbranch_scc1 .LBB15_1083
; %bb.1078:
	s_and_b32 s36, s37, 28
	s_add_u32 s28, s34, 0xc4
	s_addc_u32 s29, s35, 0
	s_mov_b32 s38, 0
	v_mov_b32_e32 v6, 0
	v_mov_b32_e32 v8, 0
	s_mov_b64 s[30:31], s[34:35]
	v_mov_b32_e32 v0, v13
.LBB15_1079:                            ; =>This Inner Loop Header: Depth=1
	s_load_dwordx8 s[12:19], s[30:31], 0x4
	s_load_dwordx4 s[20:23], s[30:31], 0x24
	s_load_dwordx8 s[4:11], s[28:29], 0x0
	s_add_u32 s30, s30, 48
	s_addc_u32 s31, s31, 0
	s_waitcnt lgkmcnt(0)
	v_mul_hi_u32 v1, s13, v0
	v_add_u32_e32 v1, v0, v1
	v_lshrrev_b32_e32 v1, s14, v1
	s_waitcnt vmcnt(0)
	v_mul_lo_u32 v2, v1, s12
	v_mul_hi_u32 v3, s16, v1
	v_sub_u32_e32 v0, v0, v2
	v_add_u32_e32 v2, v1, v3
	v_lshrrev_b32_e32 v2, s17, v2
	v_mul_lo_u32 v4, v2, s15
	v_mul_hi_u32 v5, s19, v2
	v_sub_u32_e32 v1, v1, v4
	v_add_u32_e32 v4, v2, v5
	v_mul_lo_u32 v3, v0, s5
	v_mul_lo_u32 v0, v0, s4
	v_mul_lo_u32 v5, v1, s7
	v_mul_lo_u32 v1, v1, s6
	v_lshrrev_b32_e32 v4, s20, v4
	v_add3_u32 v1, v0, v6, v1
	v_add3_u32 v3, v3, v8, v5
	v_mul_lo_u32 v0, v4, s18
	v_mul_hi_u32 v5, s22, v4
	v_sub_u32_e32 v0, v2, v0
	v_add_u32_e32 v2, v4, v5
	v_mul_lo_u32 v5, v0, s8
	v_mul_lo_u32 v6, v0, s9
	v_lshrrev_b32_e32 v0, s23, v2
	s_add_i32 s38, s38, 4
	v_mul_lo_u32 v2, v0, s21
	s_add_u32 s28, s28, 32
	v_sub_u32_e32 v2, v4, v2
	s_addc_u32 s29, s29, 0
	v_mul_lo_u32 v4, v2, s10
	v_mul_lo_u32 v2, v2, s11
	s_cmp_lg_u32 s36, s38
	v_add3_u32 v8, v6, v3, v2
	v_add3_u32 v6, v5, v1, v4
	s_cbranch_scc1 .LBB15_1079
; %bb.1080:
	v_mov_b32_e32 v1, v8
	s_and_b32 s8, s37, 3
	s_cmp_eq_u32 s8, 0
	s_cbranch_scc0 .LBB15_1084
	s_branch .LBB15_1086
.LBB15_1081:
                                        ; implicit-def: $vgpr8
                                        ; implicit-def: $vgpr6
	s_branch .LBB15_1087
.LBB15_1082:
	v_mov_b32_e32 v8, 0
	v_mov_b32_e32 v6, 0
	s_branch .LBB15_1086
.LBB15_1083:
	v_mov_b32_e32 v6, 0
                                        ; implicit-def: $vgpr8
	v_mov_b32_e32 v1, v6
	v_mov_b32_e32 v0, v13
	s_and_b32 s8, s37, 3
	s_cmp_eq_u32 s8, 0
	s_cbranch_scc1 .LBB15_1086
.LBB15_1084:
	s_lshl_b32 s4, s36, 3
	s_add_u32 s4, s34, s4
	s_addc_u32 s5, s35, 0
	s_add_u32 s4, s4, 0xc4
	s_addc_u32 s5, s5, 0
	s_mul_i32 s6, s36, 12
	s_add_u32 s6, s34, s6
	s_addc_u32 s7, s35, 0
.LBB15_1085:                            ; =>This Inner Loop Header: Depth=1
	s_load_dwordx2 s[10:11], s[6:7], 0x4
	s_load_dword s9, s[6:7], 0xc
	s_load_dwordx2 s[12:13], s[4:5], 0x0
	s_waitcnt vmcnt(0)
	v_mov_b32_e32 v2, v1
	s_add_u32 s6, s6, 12
	s_waitcnt lgkmcnt(0)
	v_mul_hi_u32 v1, s11, v0
	v_add_u32_e32 v1, v0, v1
	v_lshrrev_b32_e32 v1, s9, v1
	s_addc_u32 s7, s7, 0
	v_mul_lo_u32 v3, v1, s10
	s_add_u32 s4, s4, 8
	v_sub_u32_e32 v3, v0, v3
	s_addc_u32 s5, s5, 0
	s_add_i32 s8, s8, -1
	v_mad_u64_u32 v[8:9], s[10:11], v3, s13, v[2:3]
	s_cmp_lg_u32 s8, 0
	v_mov_b32_e32 v0, v1
	v_mad_u64_u32 v[6:7], s[10:11], v3, s12, v[6:7]
	v_mov_b32_e32 v1, v8
	s_cbranch_scc1 .LBB15_1085
.LBB15_1086:
	s_cbranch_execnz .LBB15_1089
.LBB15_1087:
	s_load_dwordx4 s[4:7], s[34:35], 0x4
	s_load_dwordx2 s[8:9], s[34:35], 0xc4
	s_cmp_lt_u32 s33, 2
	s_waitcnt lgkmcnt(0)
	v_mul_hi_u32 v0, s5, v13
	v_add_u32_e32 v0, v13, v0
	v_lshrrev_b32_e32 v0, s6, v0
	v_mul_lo_u32 v1, v0, s4
	v_sub_u32_e32 v1, v13, v1
	v_mul_lo_u32 v8, v1, s9
	v_mul_lo_u32 v6, v1, s8
	s_cbranch_scc1 .LBB15_1089
; %bb.1088:
	s_load_dwordx4 s[4:7], s[34:35], 0x10
	s_load_dwordx2 s[8:9], s[34:35], 0xcc
	s_waitcnt lgkmcnt(0)
	v_mul_hi_u32 v1, s5, v0
	v_add_u32_e32 v1, v0, v1
	v_lshrrev_b32_e32 v1, s6, v1
	v_mul_lo_u32 v1, v1, s4
	v_sub_u32_e32 v0, v0, v1
	v_mad_u64_u32 v[6:7], s[4:5], v0, s8, v[6:7]
	v_mad_u64_u32 v[8:9], s[4:5], v0, s9, v[8:9]
.LBB15_1089:
	s_and_b64 vcc, exec, s[2:3]
	v_add_u32_e32 v0, 0x80, v13
	s_cbranch_vccnz .LBB15_1095
; %bb.1090:
	s_cmp_lg_u32 s33, 0
	s_mov_b32 s36, 0
	s_cbranch_scc0 .LBB15_1096
; %bb.1091:
	s_min_u32 s37, s72, 15
	s_add_i32 s37, s37, 1
	s_cmp_eq_u32 s72, 2
	s_cbranch_scc1 .LBB15_1097
; %bb.1092:
	s_and_b32 s36, s37, 28
	s_add_u32 s28, s34, 0xc4
	s_addc_u32 s29, s35, 0
	s_mov_b32 s38, 0
	v_mov_b32_e32 v4, 0
	v_mov_b32_e32 v10, 0
	s_mov_b64 s[30:31], s[34:35]
	s_waitcnt vmcnt(0)
	v_mov_b32_e32 v2, v0
.LBB15_1093:                            ; =>This Inner Loop Header: Depth=1
	s_load_dwordx8 s[12:19], s[30:31], 0x4
	s_load_dwordx4 s[20:23], s[30:31], 0x24
	s_load_dwordx8 s[4:11], s[28:29], 0x0
	s_add_u32 s30, s30, 48
	s_addc_u32 s31, s31, 0
	s_waitcnt lgkmcnt(0)
	v_mul_hi_u32 v1, s13, v2
	v_add_u32_e32 v1, v2, v1
	v_lshrrev_b32_e32 v1, s14, v1
	v_mul_lo_u32 v3, v1, s12
	v_mul_hi_u32 v5, s16, v1
	v_sub_u32_e32 v2, v2, v3
	v_add_u32_e32 v3, v1, v5
	v_lshrrev_b32_e32 v3, s17, v3
	v_mul_lo_u32 v7, v3, s15
	v_mul_hi_u32 v9, s19, v3
	v_sub_u32_e32 v1, v1, v7
	v_add_u32_e32 v7, v3, v9
	v_mul_lo_u32 v5, v2, s5
	v_mul_lo_u32 v2, v2, s4
	;; [unrolled: 1-line block ×4, first 2 shown]
	v_lshrrev_b32_e32 v7, s20, v7
	v_add3_u32 v1, v2, v4, v1
	v_add3_u32 v4, v5, v10, v9
	v_mul_lo_u32 v2, v7, s18
	v_mul_hi_u32 v5, s22, v7
	v_sub_u32_e32 v2, v3, v2
	v_add_u32_e32 v3, v7, v5
	v_mul_lo_u32 v5, v2, s8
	v_mul_lo_u32 v9, v2, s9
	v_lshrrev_b32_e32 v2, s23, v3
	s_add_i32 s38, s38, 4
	v_mul_lo_u32 v3, v2, s21
	s_add_u32 s28, s28, 32
	v_sub_u32_e32 v3, v7, v3
	s_addc_u32 s29, s29, 0
	v_mul_lo_u32 v7, v3, s10
	v_mul_lo_u32 v3, v3, s11
	s_cmp_lg_u32 s36, s38
	v_add3_u32 v10, v9, v4, v3
	v_add3_u32 v4, v5, v1, v7
	s_cbranch_scc1 .LBB15_1093
; %bb.1094:
	v_mov_b32_e32 v1, v10
	s_and_b32 s8, s37, 3
	s_cmp_eq_u32 s8, 0
	s_cbranch_scc0 .LBB15_1098
	s_branch .LBB15_1100
.LBB15_1095:
                                        ; implicit-def: $vgpr10
                                        ; implicit-def: $vgpr4
	s_branch .LBB15_1101
.LBB15_1096:
	v_mov_b32_e32 v10, 0
	v_mov_b32_e32 v4, 0
	s_branch .LBB15_1100
.LBB15_1097:
	v_mov_b32_e32 v4, 0
                                        ; implicit-def: $vgpr10
	v_mov_b32_e32 v1, v4
	s_waitcnt vmcnt(0)
	v_mov_b32_e32 v2, v0
	s_and_b32 s8, s37, 3
	s_cmp_eq_u32 s8, 0
	s_cbranch_scc1 .LBB15_1100
.LBB15_1098:
	s_lshl_b32 s4, s36, 3
	s_add_u32 s4, s34, s4
	s_addc_u32 s5, s35, 0
	s_add_u32 s4, s4, 0xc4
	s_addc_u32 s5, s5, 0
	s_mul_i32 s6, s36, 12
	s_add_u32 s6, s34, s6
	s_addc_u32 s7, s35, 0
.LBB15_1099:                            ; =>This Inner Loop Header: Depth=1
	s_load_dwordx2 s[10:11], s[6:7], 0x4
	s_load_dword s9, s[6:7], 0xc
	s_load_dwordx2 s[12:13], s[4:5], 0x0
	v_mov_b32_e32 v10, v1
	s_add_u32 s6, s6, 12
	s_waitcnt lgkmcnt(0)
	v_mul_hi_u32 v1, s11, v2
	v_add_u32_e32 v1, v2, v1
	v_lshrrev_b32_e32 v1, s9, v1
	s_addc_u32 s7, s7, 0
	v_mul_lo_u32 v3, v1, s10
	s_add_u32 s4, s4, 8
	v_sub_u32_e32 v3, v2, v3
	s_addc_u32 s5, s5, 0
	s_add_i32 s8, s8, -1
	v_mad_u64_u32 v[10:11], s[10:11], v3, s13, v[10:11]
	s_cmp_lg_u32 s8, 0
	v_mov_b32_e32 v2, v1
	v_mad_u64_u32 v[4:5], s[10:11], v3, s12, v[4:5]
	v_mov_b32_e32 v1, v10
	s_cbranch_scc1 .LBB15_1099
.LBB15_1100:
	s_cbranch_execnz .LBB15_1103
.LBB15_1101:
	s_load_dwordx4 s[4:7], s[34:35], 0x4
	s_load_dwordx2 s[8:9], s[34:35], 0xc4
	s_cmp_lt_u32 s33, 2
	s_waitcnt lgkmcnt(0)
	v_mul_hi_u32 v1, s5, v0
	v_add_u32_e32 v1, v0, v1
	v_lshrrev_b32_e32 v1, s6, v1
	s_waitcnt vmcnt(0)
	v_mul_lo_u32 v2, v1, s4
	v_sub_u32_e32 v0, v0, v2
	v_mul_lo_u32 v10, v0, s9
	v_mul_lo_u32 v4, v0, s8
	s_cbranch_scc1 .LBB15_1103
; %bb.1102:
	s_load_dwordx4 s[4:7], s[34:35], 0x10
	s_load_dwordx2 s[8:9], s[34:35], 0xcc
	s_waitcnt lgkmcnt(0)
	v_mul_hi_u32 v0, s5, v1
	v_add_u32_e32 v0, v1, v0
	v_lshrrev_b32_e32 v0, s6, v0
	v_mul_lo_u32 v0, v0, s4
	v_sub_u32_e32 v0, v1, v0
	v_mad_u64_u32 v[4:5], s[4:5], v0, s8, v[4:5]
	v_mad_u64_u32 v[10:11], s[4:5], v0, s9, v[10:11]
.LBB15_1103:
	s_and_b64 vcc, exec, s[2:3]
	v_add_u32_e32 v0, 0x100, v13
	s_cbranch_vccnz .LBB15_1109
; %bb.1104:
	s_cmp_lg_u32 s33, 0
	s_mov_b32 s36, 0
	s_cbranch_scc0 .LBB15_1110
; %bb.1105:
	s_min_u32 s37, s72, 15
	s_add_i32 s37, s37, 1
	s_cmp_eq_u32 s72, 2
	s_cbranch_scc1 .LBB15_1111
; %bb.1106:
	s_and_b32 s36, s37, 28
	s_add_u32 s28, s34, 0xc4
	s_addc_u32 s29, s35, 0
	s_mov_b32 s38, 0
	s_waitcnt vmcnt(0)
	v_mov_b32_e32 v2, 0
	v_mov_b32_e32 v14, 0
	s_mov_b64 s[30:31], s[34:35]
	v_mov_b32_e32 v5, v0
.LBB15_1107:                            ; =>This Inner Loop Header: Depth=1
	s_load_dwordx8 s[12:19], s[30:31], 0x4
	s_load_dwordx4 s[20:23], s[30:31], 0x24
	s_load_dwordx8 s[4:11], s[28:29], 0x0
	s_add_u32 s30, s30, 48
	s_addc_u32 s31, s31, 0
	s_waitcnt lgkmcnt(0)
	v_mul_hi_u32 v1, s13, v5
	v_add_u32_e32 v1, v5, v1
	v_lshrrev_b32_e32 v1, s14, v1
	v_mul_lo_u32 v3, v1, s12
	v_mul_hi_u32 v7, s16, v1
	v_sub_u32_e32 v3, v5, v3
	v_add_u32_e32 v5, v1, v7
	v_lshrrev_b32_e32 v5, s17, v5
	v_mul_lo_u32 v9, v5, s15
	v_mul_hi_u32 v11, s19, v5
	v_sub_u32_e32 v1, v1, v9
	v_add_u32_e32 v9, v5, v11
	v_mul_lo_u32 v7, v3, s5
	v_mul_lo_u32 v3, v3, s4
	;; [unrolled: 1-line block ×4, first 2 shown]
	v_lshrrev_b32_e32 v9, s20, v9
	v_add3_u32 v1, v3, v2, v1
	v_add3_u32 v2, v7, v14, v11
	v_mul_lo_u32 v3, v9, s18
	v_mul_hi_u32 v7, s22, v9
	v_sub_u32_e32 v3, v5, v3
	v_add_u32_e32 v5, v9, v7
	v_lshrrev_b32_e32 v5, s23, v5
	s_add_i32 s38, s38, 4
	v_mul_lo_u32 v11, v5, s21
	s_add_u32 s28, s28, 32
	v_sub_u32_e32 v9, v9, v11
	s_addc_u32 s29, s29, 0
	v_mul_lo_u32 v7, v3, s8
	v_mul_lo_u32 v3, v3, s9
	;; [unrolled: 1-line block ×4, first 2 shown]
	s_cmp_lg_u32 s36, s38
	v_add3_u32 v14, v3, v2, v9
	v_add3_u32 v2, v7, v1, v11
	s_cbranch_scc1 .LBB15_1107
; %bb.1108:
	v_mov_b32_e32 v1, v14
	s_and_b32 s8, s37, 3
	s_cmp_eq_u32 s8, 0
	s_cbranch_scc0 .LBB15_1112
	s_branch .LBB15_1114
.LBB15_1109:
                                        ; implicit-def: $vgpr14
                                        ; implicit-def: $vgpr2
	s_branch .LBB15_1115
.LBB15_1110:
	v_mov_b32_e32 v14, 0
	s_waitcnt vmcnt(0)
	v_mov_b32_e32 v2, 0
	s_branch .LBB15_1114
.LBB15_1111:
	s_waitcnt vmcnt(0)
	v_mov_b32_e32 v2, 0
                                        ; implicit-def: $vgpr14
	v_mov_b32_e32 v1, v2
	v_mov_b32_e32 v5, v0
	s_and_b32 s8, s37, 3
	s_cmp_eq_u32 s8, 0
	s_cbranch_scc1 .LBB15_1114
.LBB15_1112:
	s_lshl_b32 s4, s36, 3
	s_add_u32 s4, s34, s4
	s_addc_u32 s5, s35, 0
	s_add_u32 s4, s4, 0xc4
	s_addc_u32 s5, s5, 0
	s_mul_i32 s6, s36, 12
	s_add_u32 s6, s34, s6
	s_addc_u32 s7, s35, 0
.LBB15_1113:                            ; =>This Inner Loop Header: Depth=1
	s_load_dwordx2 s[10:11], s[6:7], 0x4
	s_load_dword s9, s[6:7], 0xc
	s_load_dwordx2 s[12:13], s[4:5], 0x0
	v_mov_b32_e32 v12, v1
	s_add_u32 s6, s6, 12
	s_waitcnt lgkmcnt(0)
	v_mul_hi_u32 v1, s11, v5
	v_add_u32_e32 v1, v5, v1
	v_lshrrev_b32_e32 v1, s9, v1
	s_addc_u32 s7, s7, 0
	v_mul_lo_u32 v3, v1, s10
	s_add_u32 s4, s4, 8
	v_sub_u32_e32 v3, v5, v3
	s_addc_u32 s5, s5, 0
	s_add_i32 s8, s8, -1
	v_mad_u64_u32 v[14:15], s[10:11], v3, s13, v[12:13]
	s_cmp_lg_u32 s8, 0
	v_mov_b32_e32 v5, v1
	v_mad_u64_u32 v[2:3], s[10:11], v3, s12, v[2:3]
	v_mov_b32_e32 v1, v14
	s_cbranch_scc1 .LBB15_1113
.LBB15_1114:
	s_cbranch_execnz .LBB15_1117
.LBB15_1115:
	s_load_dwordx4 s[4:7], s[34:35], 0x4
	s_load_dwordx2 s[8:9], s[34:35], 0xc4
	s_cmp_lt_u32 s33, 2
	s_waitcnt lgkmcnt(0)
	v_mul_hi_u32 v1, s5, v0
	v_add_u32_e32 v1, v0, v1
	v_lshrrev_b32_e32 v1, s6, v1
	s_waitcnt vmcnt(0)
	v_mul_lo_u32 v2, v1, s4
	v_sub_u32_e32 v0, v0, v2
	v_mul_lo_u32 v14, v0, s9
	v_mul_lo_u32 v2, v0, s8
	s_cbranch_scc1 .LBB15_1117
; %bb.1116:
	s_load_dwordx4 s[4:7], s[34:35], 0x10
	s_load_dwordx2 s[8:9], s[34:35], 0xcc
	s_waitcnt lgkmcnt(0)
	v_mul_hi_u32 v0, s5, v1
	v_add_u32_e32 v0, v1, v0
	v_lshrrev_b32_e32 v0, s6, v0
	v_mul_lo_u32 v0, v0, s4
	v_sub_u32_e32 v0, v1, v0
	v_mad_u64_u32 v[2:3], s[4:5], v0, s8, v[2:3]
	v_mad_u64_u32 v[14:15], s[4:5], v0, s9, v[14:15]
.LBB15_1117:
	s_and_b64 vcc, exec, s[2:3]
	s_cbranch_vccnz .LBB15_1123
; %bb.1118:
	s_cmp_lg_u32 s33, 0
	s_mov_b32 s30, 0
	s_cbranch_scc0 .LBB15_1124
; %bb.1119:
	s_min_u32 s31, s72, 15
	s_add_i32 s31, s31, 1
	s_cmp_eq_u32 s72, 2
	s_cbranch_scc1 .LBB15_1125
; %bb.1120:
	s_and_b32 s30, s31, 28
	s_add_u32 s2, s34, 0xc4
	s_addc_u32 s3, s35, 0
	s_mov_b32 s36, 0
	v_mov_b32_e32 v0, 0
	v_mov_b32_e32 v12, 0
	s_mov_b64 s[28:29], s[34:35]
	s_waitcnt vmcnt(0)
	v_mov_b32_e32 v3, v16
.LBB15_1121:                            ; =>This Inner Loop Header: Depth=1
	s_load_dwordx8 s[12:19], s[28:29], 0x4
	s_load_dwordx4 s[20:23], s[28:29], 0x24
	s_load_dwordx8 s[4:11], s[2:3], 0x0
	s_add_u32 s28, s28, 48
	s_addc_u32 s29, s29, 0
	s_waitcnt lgkmcnt(0)
	v_mul_hi_u32 v1, s13, v3
	v_add_u32_e32 v1, v3, v1
	v_lshrrev_b32_e32 v1, s14, v1
	v_mul_lo_u32 v5, v1, s12
	v_mul_hi_u32 v7, s16, v1
	v_sub_u32_e32 v3, v3, v5
	v_add_u32_e32 v5, v1, v7
	v_lshrrev_b32_e32 v5, s17, v5
	v_mul_lo_u32 v9, v5, s15
	v_mul_hi_u32 v11, s19, v5
	v_sub_u32_e32 v1, v1, v9
	v_add_u32_e32 v9, v5, v11
	v_mul_lo_u32 v7, v3, s5
	v_mul_lo_u32 v3, v3, s4
	;; [unrolled: 1-line block ×4, first 2 shown]
	v_lshrrev_b32_e32 v9, s20, v9
	v_add3_u32 v0, v3, v0, v1
	v_add3_u32 v1, v7, v12, v11
	v_mul_lo_u32 v3, v9, s18
	v_mul_hi_u32 v7, s22, v9
	v_sub_u32_e32 v3, v5, v3
	v_add_u32_e32 v5, v9, v7
	v_mul_lo_u32 v7, v3, s8
	v_mul_lo_u32 v11, v3, s9
	v_lshrrev_b32_e32 v3, s23, v5
	s_add_i32 s36, s36, 4
	v_mul_lo_u32 v5, v3, s21
	s_add_u32 s2, s2, 32
	v_sub_u32_e32 v5, v9, v5
	s_addc_u32 s3, s3, 0
	v_mul_lo_u32 v9, v5, s10
	v_mul_lo_u32 v5, v5, s11
	s_cmp_lg_u32 s30, s36
	v_add3_u32 v12, v11, v1, v5
	v_add3_u32 v0, v7, v0, v9
	s_cbranch_scc1 .LBB15_1121
; %bb.1122:
	v_mov_b32_e32 v1, v12
	s_and_b32 s6, s31, 3
	s_cmp_eq_u32 s6, 0
	s_cbranch_scc0 .LBB15_1126
	s_branch .LBB15_1128
.LBB15_1123:
                                        ; implicit-def: $vgpr12
                                        ; implicit-def: $vgpr0
	s_branch .LBB15_1129
.LBB15_1124:
	v_mov_b32_e32 v12, 0
	v_mov_b32_e32 v0, 0
	s_branch .LBB15_1128
.LBB15_1125:
	v_mov_b32_e32 v0, 0
                                        ; implicit-def: $vgpr12
	v_mov_b32_e32 v1, v0
	s_waitcnt vmcnt(0)
	v_mov_b32_e32 v3, v16
	s_and_b32 s6, s31, 3
	s_cmp_eq_u32 s6, 0
	s_cbranch_scc1 .LBB15_1128
.LBB15_1126:
	s_lshl_b32 s2, s30, 3
	s_add_u32 s2, s34, s2
	s_addc_u32 s3, s35, 0
	s_add_u32 s2, s2, 0xc4
	s_addc_u32 s3, s3, 0
	s_mul_i32 s4, s30, 12
	s_add_u32 s4, s34, s4
	s_addc_u32 s5, s35, 0
.LBB15_1127:                            ; =>This Inner Loop Header: Depth=1
	s_load_dwordx2 s[8:9], s[4:5], 0x4
	s_load_dword s7, s[4:5], 0xc
	s_load_dwordx2 s[10:11], s[2:3], 0x0
	v_mov_b32_e32 v12, v1
	s_add_u32 s4, s4, 12
	s_waitcnt lgkmcnt(0)
	v_mul_hi_u32 v1, s9, v3
	v_add_u32_e32 v1, v3, v1
	v_lshrrev_b32_e32 v1, s7, v1
	s_addc_u32 s5, s5, 0
	v_mul_lo_u32 v5, v1, s8
	s_add_u32 s2, s2, 8
	v_sub_u32_e32 v5, v3, v5
	s_addc_u32 s3, s3, 0
	s_add_i32 s6, s6, -1
	v_mov_b32_e32 v3, v1
	v_mad_u64_u32 v[12:13], s[8:9], v5, s11, v[12:13]
	v_mad_u64_u32 v[0:1], s[8:9], v5, s10, v[0:1]
	s_cmp_lg_u32 s6, 0
	v_mov_b32_e32 v1, v12
	s_cbranch_scc1 .LBB15_1127
.LBB15_1128:
	s_cbranch_execnz .LBB15_1131
.LBB15_1129:
	s_load_dwordx4 s[4:7], s[34:35], 0x4
	s_load_dwordx2 s[2:3], s[34:35], 0xc4
	s_cmp_lt_u32 s33, 2
	s_waitcnt lgkmcnt(0)
	v_mul_hi_u32 v0, s5, v16
	v_add_u32_e32 v0, v16, v0
	v_lshrrev_b32_e32 v1, s6, v0
	v_mul_lo_u32 v0, v1, s4
	v_sub_u32_e32 v0, v16, v0
	v_mul_lo_u32 v12, v0, s3
	v_mul_lo_u32 v0, v0, s2
	s_cbranch_scc1 .LBB15_1131
; %bb.1130:
	s_load_dwordx4 s[4:7], s[34:35], 0x10
	s_load_dwordx2 s[2:3], s[34:35], 0xcc
	s_waitcnt vmcnt(0) lgkmcnt(0)
	v_mul_hi_u32 v3, s5, v1
	v_add_u32_e32 v3, v1, v3
	v_lshrrev_b32_e32 v3, s6, v3
	v_mul_lo_u32 v3, v3, s4
	v_sub_u32_e32 v3, v1, v3
	v_mad_u64_u32 v[0:1], s[4:5], v3, s2, v[0:1]
	v_mad_u64_u32 v[12:13], s[2:3], v3, s3, v[12:13]
.LBB15_1131:
	s_load_dword s14, s[0:1], 0x160
	s_load_dwordx4 s[4:7], s[34:35], 0x148
	v_mov_b32_e32 v9, 0
	s_waitcnt lgkmcnt(0)
	s_bfe_u32 s12, s14, 0x80010
	s_cmp_lt_i32 s12, 11
	v_lshl_add_u64 v[16:17], s[6:7], 0, v[8:9]
	s_cbranch_scc1 .LBB15_1138
; %bb.1132:
	s_and_b32 s13, 0xffff, s12
	s_cmp_gt_i32 s13, 25
	s_mov_b64 s[8:9], 0
	s_cbranch_scc0 .LBB15_1140
; %bb.1133:
	s_cmp_gt_i32 s13, 28
	s_cbranch_scc0 .LBB15_1141
; %bb.1134:
	s_cmp_gt_i32 s13, 43
	;; [unrolled: 3-line block ×3, first 2 shown]
	s_cbranch_scc0 .LBB15_1143
; %bb.1136:
	s_cmp_eq_u32 s13, 46
	s_mov_b64 s[2:3], 0
	s_cbranch_scc0 .LBB15_1146
; %bb.1137:
	global_load_dword v1, v[16:17], off
	s_mov_b32 s0, 0x2f800000
	s_mov_b32 s1, 0xcf800000
	s_mov_b64 s[10:11], -1
	s_waitcnt vmcnt(0)
	v_lshlrev_b32_e32 v1, 16, v1
	v_trunc_f32_e32 v1, v1
	v_mul_f32_e64 v3, |v1|, s0
	v_floor_f32_e32 v3, v3
	v_fma_f32 v3, v3, s1, |v1|
	v_cvt_u32_f32_e32 v3, v3
	v_ashrrev_i32_e32 v1, 31, v1
	s_mov_b64 s[0:1], 0
	v_xor_b32_e32 v3, v3, v1
	v_sub_u32_e32 v8, v3, v1
	s_branch .LBB15_1147
.LBB15_1138:
	s_mov_b64 s[10:11], 0
                                        ; implicit-def: $vgpr8
	s_mov_b64 s[2:3], s[24:25]
	s_cbranch_execnz .LBB15_1205
.LBB15_1139:
	s_andn2_b64 vcc, exec, s[10:11]
	s_cbranch_vccz .LBB15_1250
	s_branch .LBB15_1512
.LBB15_1140:
	s_mov_b64 s[10:11], 0
	s_mov_b64 s[0:1], 0
                                        ; implicit-def: $vgpr8
	s_cbranch_execnz .LBB15_1172
	s_branch .LBB15_1201
.LBB15_1141:
	s_mov_b64 s[10:11], 0
	s_mov_b64 s[0:1], 0
                                        ; implicit-def: $vgpr8
	s_cbranch_execz .LBB15_1171
	s_branch .LBB15_1156
.LBB15_1142:
	s_mov_b64 s[10:11], 0
	s_mov_b64 s[0:1], 0
                                        ; implicit-def: $vgpr8
	s_cbranch_execnz .LBB15_1152
	s_branch .LBB15_1155
.LBB15_1143:
	s_mov_b64 s[2:3], -1
	s_mov_b64 s[10:11], 0
	s_mov_b64 s[0:1], 0
                                        ; implicit-def: $vgpr8
	s_branch .LBB15_1147
.LBB15_1144:
	s_andn2_saveexec_b64 s[12:13], s[12:13]
	s_cbranch_execz .LBB15_983
.LBB15_1145:
	v_add_f32_e32 v0, 0x46000000, v1
	v_and_b32_e32 v0, 0xff, v0
	v_cmp_ne_u32_e32 vcc, 0, v0
	s_andn2_b64 s[10:11], s[10:11], exec
	s_and_b64 s[14:15], vcc, exec
	s_or_b64 s[10:11], s[10:11], s[14:15]
	s_or_b64 exec, exec, s[12:13]
	v_mov_b32_e32 v6, 0
	s_and_saveexec_b64 s[12:13], s[10:11]
	s_cbranch_execnz .LBB15_984
	s_branch .LBB15_985
.LBB15_1146:
	s_mov_b64 s[0:1], -1
                                        ; implicit-def: $vgpr8
	s_mov_b64 s[10:11], 0
.LBB15_1147:
	s_and_b64 vcc, exec, s[2:3]
	s_cbranch_vccz .LBB15_1150
; %bb.1148:
	s_cmp_eq_u32 s13, 44
	s_cbranch_scc0 .LBB15_1151
; %bb.1149:
	global_load_ubyte v1, v[16:17], off
	s_mov_b32 s0, 0x2f800000
	s_mov_b32 s1, 0xcf800000
	s_mov_b64 s[10:11], -1
	s_waitcnt vmcnt(0)
	v_lshlrev_b32_e32 v3, 23, v1
	v_trunc_f32_e32 v3, v3
	v_mul_f32_e64 v5, |v3|, s0
	v_floor_f32_e32 v5, v5
	v_fma_f32 v5, v5, s1, |v3|
	v_cvt_u32_f32_e32 v5, v5
	v_ashrrev_i32_e32 v3, 31, v3
	v_cmp_ne_u32_e32 vcc, 0, v1
	s_mov_b64 s[0:1], 0
	v_xor_b32_e32 v5, v5, v3
	v_sub_u32_e32 v3, v5, v3
	v_cndmask_b32_e32 v8, 0, v3, vcc
.LBB15_1150:
	s_branch .LBB15_1155
.LBB15_1151:
	s_mov_b64 s[0:1], -1
                                        ; implicit-def: $vgpr8
	s_branch .LBB15_1155
.LBB15_1152:
	s_cmp_eq_u32 s13, 29
	s_cbranch_scc0 .LBB15_1154
; %bb.1153:
	global_load_dwordx2 v[8:9], v[16:17], off
	s_mov_b64 s[0:1], 0
	s_mov_b64 s[10:11], -1
	s_branch .LBB15_1155
.LBB15_1154:
	s_mov_b64 s[0:1], -1
                                        ; implicit-def: $vgpr8
.LBB15_1155:
	s_branch .LBB15_1171
.LBB15_1156:
	s_cmp_lt_i32 s13, 27
	s_cbranch_scc1 .LBB15_1159
; %bb.1157:
	s_cmp_gt_i32 s13, 27
	s_cbranch_scc0 .LBB15_1160
; %bb.1158:
	global_load_dword v8, v[16:17], off
	s_mov_b64 s[2:3], 0
	s_branch .LBB15_1161
.LBB15_1159:
	s_mov_b64 s[2:3], -1
                                        ; implicit-def: $vgpr8
	s_branch .LBB15_1164
.LBB15_1160:
	s_mov_b64 s[2:3], -1
                                        ; implicit-def: $vgpr8
.LBB15_1161:
	s_andn2_b64 vcc, exec, s[2:3]
	s_cbranch_vccnz .LBB15_1163
; %bb.1162:
	global_load_ushort v8, v[16:17], off
.LBB15_1163:
	s_mov_b64 s[2:3], 0
.LBB15_1164:
	s_andn2_b64 vcc, exec, s[2:3]
	s_cbranch_vccnz .LBB15_1170
; %bb.1165:
	global_load_ubyte v1, v[16:17], off
	s_movk_i32 s2, 0x7f
	s_mov_b64 s[10:11], 0
	s_waitcnt vmcnt(0)
	v_cmp_lt_i16_e32 vcc, s2, v1
	s_and_saveexec_b64 s[2:3], vcc
	s_xor_b64 s[2:3], exec, s[2:3]
	s_cbranch_execz .LBB15_1181
; %bb.1166:
	s_movk_i32 s10, 0x80
	v_cmp_ne_u16_e32 vcc, s10, v1
	s_and_b64 s[10:11], vcc, exec
	s_andn2_saveexec_b64 s[2:3], s[2:3]
	s_cbranch_execnz .LBB15_1182
.LBB15_1167:
	s_or_b64 exec, exec, s[2:3]
	v_mov_b32_e32 v8, 0
	s_and_saveexec_b64 s[2:3], s[10:11]
	s_cbranch_execz .LBB15_1169
.LBB15_1168:
	v_lshlrev_b32_e32 v3, 24, v1
	v_and_b32_e32 v1, 0xffff, v1
	v_and_b32_e32 v5, 7, v1
	v_ffbh_u32_e32 v8, v5
	v_min_u32_e32 v8, 32, v8
	v_subrev_u32_e32 v9, 28, v8
	v_bfe_u32 v7, v1, 3, 4
	v_lshlrev_b32_e32 v1, v9, v1
	v_sub_u32_e32 v8, 29, v8
	v_and_b32_e32 v1, 7, v1
	v_cmp_eq_u32_e32 vcc, 0, v7
	v_and_b32_e32 v3, 0x80000000, v3
	s_mov_b32 s10, 0x2f800000
	v_cndmask_b32_e32 v7, v7, v8, vcc
	v_cndmask_b32_e32 v1, v5, v1, vcc
	v_mov_b32_e32 v5, 0x3b800000
	v_lshlrev_b32_e32 v1, 20, v1
	v_lshl_add_u32 v5, v7, 23, v5
	v_or3_b32 v1, v3, v5, v1
	v_trunc_f32_e32 v1, v1
	v_mul_f32_e64 v3, |v1|, s10
	v_floor_f32_e32 v3, v3
	s_mov_b32 s10, 0xcf800000
	v_fma_f32 v3, v3, s10, |v1|
	v_cvt_u32_f32_e32 v3, v3
	v_ashrrev_i32_e32 v1, 31, v1
	v_xor_b32_e32 v3, v3, v1
	v_sub_u32_e32 v8, v3, v1
.LBB15_1169:
	s_or_b64 exec, exec, s[2:3]
.LBB15_1170:
	s_mov_b64 s[10:11], -1
.LBB15_1171:
	s_branch .LBB15_1201
.LBB15_1172:
	s_cmp_gt_i32 s13, 22
	s_cbranch_scc0 .LBB15_1180
; %bb.1173:
	s_cmp_lt_i32 s13, 24
	s_cbranch_scc1 .LBB15_1183
; %bb.1174:
	s_cmp_gt_i32 s13, 24
	s_cbranch_scc0 .LBB15_1184
; %bb.1175:
	global_load_ubyte v1, v[16:17], off
	s_movk_i32 s2, 0x7f
	s_waitcnt vmcnt(0)
	v_cmp_lt_i16_e32 vcc, s2, v1
	s_and_saveexec_b64 s[2:3], vcc
	s_xor_b64 s[2:3], exec, s[2:3]
	s_cbranch_execz .LBB15_1195
; %bb.1176:
	s_movk_i32 s8, 0x80
	v_cmp_ne_u16_e32 vcc, s8, v1
	s_and_b64 s[8:9], vcc, exec
	s_andn2_saveexec_b64 s[2:3], s[2:3]
	s_cbranch_execnz .LBB15_1196
.LBB15_1177:
	s_or_b64 exec, exec, s[2:3]
	v_mov_b32_e32 v8, 0
	s_and_saveexec_b64 s[2:3], s[8:9]
	s_cbranch_execz .LBB15_1179
.LBB15_1178:
	v_lshlrev_b32_e32 v3, 24, v1
	v_and_b32_e32 v1, 0xffff, v1
	v_and_b32_e32 v5, 3, v1
	v_ffbh_u32_e32 v8, v5
	v_min_u32_e32 v8, 32, v8
	v_subrev_u32_e32 v9, 29, v8
	v_bfe_u32 v7, v1, 2, 5
	v_lshlrev_b32_e32 v1, v9, v1
	v_sub_u32_e32 v8, 30, v8
	v_and_b32_e32 v1, 3, v1
	v_cmp_eq_u32_e32 vcc, 0, v7
	v_and_b32_e32 v3, 0x80000000, v3
	s_mov_b32 s8, 0x2f800000
	v_cndmask_b32_e32 v7, v7, v8, vcc
	v_cndmask_b32_e32 v1, v5, v1, vcc
	v_mov_b32_e32 v5, 0x37800000
	v_lshlrev_b32_e32 v1, 21, v1
	v_lshl_add_u32 v5, v7, 23, v5
	v_or3_b32 v1, v3, v5, v1
	v_trunc_f32_e32 v1, v1
	v_mul_f32_e64 v3, |v1|, s8
	v_floor_f32_e32 v3, v3
	s_mov_b32 s8, 0xcf800000
	v_fma_f32 v3, v3, s8, |v1|
	v_cvt_u32_f32_e32 v3, v3
	v_ashrrev_i32_e32 v1, 31, v1
	v_xor_b32_e32 v3, v3, v1
	v_sub_u32_e32 v8, v3, v1
.LBB15_1179:
	s_or_b64 exec, exec, s[2:3]
	s_mov_b64 s[2:3], 0
	s_branch .LBB15_1185
.LBB15_1180:
                                        ; implicit-def: $vgpr8
	s_mov_b64 s[8:9], 0
	s_branch .LBB15_1191
.LBB15_1181:
	s_andn2_saveexec_b64 s[2:3], s[2:3]
	s_cbranch_execz .LBB15_1167
.LBB15_1182:
	v_cmp_ne_u16_e32 vcc, 0, v1
	s_andn2_b64 s[10:11], s[10:11], exec
	s_and_b64 s[16:17], vcc, exec
	s_or_b64 s[10:11], s[10:11], s[16:17]
	s_or_b64 exec, exec, s[2:3]
	v_mov_b32_e32 v8, 0
	s_and_saveexec_b64 s[2:3], s[10:11]
	s_cbranch_execnz .LBB15_1168
	s_branch .LBB15_1169
.LBB15_1183:
	s_mov_b64 s[2:3], -1
                                        ; implicit-def: $vgpr8
	s_branch .LBB15_1188
.LBB15_1184:
	s_mov_b64 s[2:3], -1
                                        ; implicit-def: $vgpr8
.LBB15_1185:
	s_and_b64 vcc, exec, s[2:3]
	s_cbranch_vccz .LBB15_1187
; %bb.1186:
	global_load_ubyte v1, v[16:17], off
	s_mov_b32 s2, 0x7f800000
	s_brev_b32 s3, 1
	s_mov_b32 s8, 0x2f800000
	s_waitcnt vmcnt(0)
	v_lshlrev_b32_e32 v1, 24, v1
	v_and_b32_e32 v3, 0x7f000000, v1
	v_ffbh_u32_e32 v5, v3
	v_min_u32_e32 v5, 32, v5
	v_sub_u32_e64 v5, v5, 4 clamp
	v_lshlrev_b32_e32 v8, v5, v3
	v_lshlrev_b32_e32 v5, 23, v5
	v_lshrrev_b32_e32 v8, 4, v8
	v_add_u32_e32 v7, 0x1000000, v3
	v_sub_u32_e32 v5, v8, v5
	v_ashrrev_i32_e32 v7, 8, v7
	v_add_u32_e32 v5, 0x3c000000, v5
	v_and_or_b32 v5, v7, s2, v5
	v_cmp_ne_u32_e32 vcc, 0, v3
	s_mov_b32 s2, 0xcf800000
	s_nop 0
	v_cndmask_b32_e32 v3, 0, v5, vcc
	v_and_or_b32 v1, v1, s3, v3
	v_trunc_f32_e32 v1, v1
	v_mul_f32_e64 v3, |v1|, s8
	v_floor_f32_e32 v3, v3
	v_fma_f32 v3, v3, s2, |v1|
	v_cvt_u32_f32_e32 v3, v3
	v_ashrrev_i32_e32 v1, 31, v1
	v_xor_b32_e32 v3, v3, v1
	v_sub_u32_e32 v8, v3, v1
.LBB15_1187:
	s_mov_b64 s[2:3], 0
.LBB15_1188:
	s_andn2_b64 vcc, exec, s[2:3]
	s_cbranch_vccnz .LBB15_1190
; %bb.1189:
	global_load_ubyte v1, v[16:17], off
	s_movk_i32 s2, 0x7f00
	s_brev_b32 s3, 16
	s_brev_b32 s8, 1
	s_mov_b32 s9, 0x2f800000
	s_waitcnt vmcnt(0)
	v_lshlrev_b16_e32 v3, 8, v1
	v_lshlrev_b32_e32 v1, 25, v1
	v_lshrrev_b32_e32 v5, 4, v1
	v_and_or_b32 v7, v3, s2, 0.5
	v_or_b32_e32 v5, 0x70000000, v5
	v_add_f32_e32 v7, -0.5, v7
	v_mul_f32_e32 v5, 0x7800000, v5
	v_cmp_gt_u32_e32 vcc, s3, v1
	v_bfe_i32 v3, v3, 0, 16
	s_mov_b32 s2, 0xcf800000
	v_cndmask_b32_e32 v1, v5, v7, vcc
	v_and_or_b32 v1, v3, s8, v1
	v_trunc_f32_e32 v1, v1
	v_mul_f32_e64 v3, |v1|, s9
	v_floor_f32_e32 v3, v3
	v_fma_f32 v3, v3, s2, |v1|
	v_cvt_u32_f32_e32 v3, v3
	v_ashrrev_i32_e32 v1, 31, v1
	v_xor_b32_e32 v3, v3, v1
	v_sub_u32_e32 v8, v3, v1
.LBB15_1190:
	s_mov_b64 s[10:11], -1
	s_mov_b64 s[8:9], 0
	s_cbranch_execnz .LBB15_1201
.LBB15_1191:
	s_cmp_gt_i32 s13, 14
	s_cbranch_scc0 .LBB15_1194
; %bb.1192:
	s_cmp_eq_u32 s13, 15
	s_cbranch_scc0 .LBB15_1197
; %bb.1193:
	global_load_ushort v1, v[16:17], off
	s_mov_b32 s0, 0x2f800000
	s_mov_b32 s1, 0xcf800000
	s_mov_b64 s[10:11], -1
	s_waitcnt vmcnt(0)
	v_lshlrev_b32_e32 v1, 16, v1
	v_trunc_f32_e32 v1, v1
	v_mul_f32_e64 v3, |v1|, s0
	v_floor_f32_e32 v3, v3
	v_fma_f32 v3, v3, s1, |v1|
	v_cvt_u32_f32_e32 v3, v3
	v_ashrrev_i32_e32 v1, 31, v1
	s_mov_b64 s[0:1], 0
	v_xor_b32_e32 v3, v3, v1
	v_sub_u32_e32 v8, v3, v1
	s_branch .LBB15_1198
.LBB15_1194:
	s_mov_b64 s[2:3], -1
                                        ; implicit-def: $vgpr8
	s_branch .LBB15_1199
.LBB15_1195:
	s_andn2_saveexec_b64 s[2:3], s[2:3]
	s_cbranch_execz .LBB15_1177
.LBB15_1196:
	v_cmp_ne_u16_e32 vcc, 0, v1
	s_andn2_b64 s[8:9], s[8:9], exec
	s_and_b64 s[10:11], vcc, exec
	s_or_b64 s[8:9], s[8:9], s[10:11]
	s_or_b64 exec, exec, s[2:3]
	v_mov_b32_e32 v8, 0
	s_and_saveexec_b64 s[2:3], s[8:9]
	s_cbranch_execnz .LBB15_1178
	s_branch .LBB15_1179
.LBB15_1197:
	s_mov_b64 s[0:1], -1
                                        ; implicit-def: $vgpr8
.LBB15_1198:
	s_mov_b64 s[2:3], 0
.LBB15_1199:
	s_and_b64 vcc, exec, s[2:3]
	s_cbranch_vccz .LBB15_1201
; %bb.1200:
	s_cmp_lg_u32 s13, 11
	s_mov_b64 s[8:9], -1
	s_cselect_b64 s[0:1], -1, 0
.LBB15_1201:
	s_and_b64 vcc, exec, s[0:1]
	s_mov_b64 s[2:3], s[24:25]
	s_cbranch_vccnz .LBB15_1262
; %bb.1202:
	s_andn2_b64 vcc, exec, s[8:9]
	s_cbranch_vccnz .LBB15_1204
.LBB15_1203:
	global_load_ubyte v1, v[16:17], off
	s_mov_b64 s[10:11], -1
	s_waitcnt vmcnt(0)
	v_cmp_ne_u16_e32 vcc, 0, v1
	s_nop 1
	v_cndmask_b32_e64 v8, 0, 1, vcc
.LBB15_1204:
	s_branch .LBB15_1139
.LBB15_1205:
	s_and_b32 s8, 0xffff, s12
	s_cmp_lt_i32 s8, 5
	s_cbranch_scc1 .LBB15_1210
; %bb.1206:
	s_cmp_lt_i32 s8, 8
	s_cbranch_scc1 .LBB15_1211
; %bb.1207:
	;; [unrolled: 3-line block ×3, first 2 shown]
	s_cmp_gt_i32 s8, 9
	s_cbranch_scc0 .LBB15_1213
; %bb.1209:
	global_load_dwordx2 v[8:9], v[16:17], off
	s_movk_i32 s0, 0xffe0
	s_waitcnt vmcnt(0)
	v_trunc_f64_e32 v[8:9], v[8:9]
	v_ldexp_f64 v[18:19], v[8:9], s0
	v_floor_f64_e32 v[18:19], v[18:19]
	v_fmac_f64_e32 v[8:9], 0xc1f00000, v[18:19]
	v_cvt_u32_f64_e32 v8, v[8:9]
	s_mov_b64 s[0:1], 0
	s_branch .LBB15_1214
.LBB15_1210:
                                        ; implicit-def: $vgpr8
	s_branch .LBB15_1231
.LBB15_1211:
                                        ; implicit-def: $vgpr8
	s_branch .LBB15_1220
.LBB15_1212:
	s_mov_b64 s[0:1], -1
                                        ; implicit-def: $vgpr8
	s_branch .LBB15_1217
.LBB15_1213:
	s_mov_b64 s[0:1], -1
                                        ; implicit-def: $vgpr8
.LBB15_1214:
	s_andn2_b64 vcc, exec, s[0:1]
	s_cbranch_vccnz .LBB15_1216
; %bb.1215:
	global_load_dword v1, v[16:17], off
	s_mov_b32 s0, 0x2f800000
	s_waitcnt vmcnt(0)
	v_trunc_f32_e32 v1, v1
	v_mul_f32_e64 v3, |v1|, s0
	v_floor_f32_e32 v3, v3
	s_mov_b32 s0, 0xcf800000
	v_fma_f32 v3, v3, s0, |v1|
	v_cvt_u32_f32_e32 v3, v3
	v_ashrrev_i32_e32 v1, 31, v1
	v_xor_b32_e32 v3, v3, v1
	v_sub_u32_e32 v8, v3, v1
.LBB15_1216:
	s_mov_b64 s[0:1], 0
.LBB15_1217:
	s_andn2_b64 vcc, exec, s[0:1]
	s_cbranch_vccnz .LBB15_1219
; %bb.1218:
	global_load_dword v1, v[16:17], off
	s_waitcnt vmcnt(0)
	v_cvt_f32_f16_e32 v1, v1
	v_cvt_i32_f32_e32 v8, v1
.LBB15_1219:
	s_cbranch_execnz .LBB15_1230
.LBB15_1220:
	s_cmp_lt_i32 s8, 6
	s_cbranch_scc1 .LBB15_1223
; %bb.1221:
	s_cmp_gt_i32 s8, 6
	s_cbranch_scc0 .LBB15_1224
; %bb.1222:
	global_load_dwordx2 v[8:9], v[16:17], off
	s_movk_i32 s0, 0xffe0
	s_waitcnt vmcnt(0)
	v_trunc_f64_e32 v[8:9], v[8:9]
	v_ldexp_f64 v[18:19], v[8:9], s0
	v_floor_f64_e32 v[18:19], v[18:19]
	v_fmac_f64_e32 v[8:9], 0xc1f00000, v[18:19]
	v_cvt_u32_f64_e32 v8, v[8:9]
	s_mov_b64 s[0:1], 0
	s_branch .LBB15_1225
.LBB15_1223:
	s_mov_b64 s[0:1], -1
                                        ; implicit-def: $vgpr8
	s_branch .LBB15_1228
.LBB15_1224:
	s_mov_b64 s[0:1], -1
                                        ; implicit-def: $vgpr8
.LBB15_1225:
	s_andn2_b64 vcc, exec, s[0:1]
	s_cbranch_vccnz .LBB15_1227
; %bb.1226:
	global_load_dword v1, v[16:17], off
	s_mov_b32 s0, 0x2f800000
	s_waitcnt vmcnt(0)
	v_trunc_f32_e32 v1, v1
	v_mul_f32_e64 v3, |v1|, s0
	v_floor_f32_e32 v3, v3
	s_mov_b32 s0, 0xcf800000
	v_fma_f32 v3, v3, s0, |v1|
	v_cvt_u32_f32_e32 v3, v3
	v_ashrrev_i32_e32 v1, 31, v1
	v_xor_b32_e32 v3, v3, v1
	v_sub_u32_e32 v8, v3, v1
.LBB15_1227:
	s_mov_b64 s[0:1], 0
.LBB15_1228:
	s_andn2_b64 vcc, exec, s[0:1]
	s_cbranch_vccnz .LBB15_1230
; %bb.1229:
	global_load_ushort v1, v[16:17], off
	s_waitcnt vmcnt(0)
	v_cvt_f32_f16_e32 v1, v1
	v_cvt_i32_f32_e32 v8, v1
.LBB15_1230:
	s_cbranch_execnz .LBB15_1249
.LBB15_1231:
	s_cmp_lt_i32 s8, 2
	s_cbranch_scc1 .LBB15_1235
; %bb.1232:
	s_cmp_lt_i32 s8, 3
	s_cbranch_scc1 .LBB15_1236
; %bb.1233:
	s_cmp_gt_i32 s8, 3
	s_cbranch_scc0 .LBB15_1237
; %bb.1234:
	global_load_dwordx2 v[8:9], v[16:17], off
	s_mov_b64 s[0:1], 0
	s_branch .LBB15_1238
.LBB15_1235:
                                        ; implicit-def: $vgpr8
	s_branch .LBB15_1244
.LBB15_1236:
	s_mov_b64 s[0:1], -1
                                        ; implicit-def: $vgpr8
	s_branch .LBB15_1241
.LBB15_1237:
	s_mov_b64 s[0:1], -1
                                        ; implicit-def: $vgpr8
.LBB15_1238:
	s_andn2_b64 vcc, exec, s[0:1]
	s_cbranch_vccnz .LBB15_1240
; %bb.1239:
	global_load_dword v8, v[16:17], off
.LBB15_1240:
	s_mov_b64 s[0:1], 0
.LBB15_1241:
	s_andn2_b64 vcc, exec, s[0:1]
	s_cbranch_vccnz .LBB15_1243
; %bb.1242:
	global_load_ushort v8, v[16:17], off
.LBB15_1243:
	s_cbranch_execnz .LBB15_1249
.LBB15_1244:
	s_cmp_gt_i32 s8, 0
	s_cbranch_scc0 .LBB15_1246
; %bb.1245:
	global_load_ubyte v8, v[16:17], off
	s_mov_b64 s[0:1], 0
	s_branch .LBB15_1247
.LBB15_1246:
	s_mov_b64 s[0:1], -1
                                        ; implicit-def: $vgpr8
.LBB15_1247:
	s_andn2_b64 vcc, exec, s[0:1]
	s_cbranch_vccnz .LBB15_1249
; %bb.1248:
	global_load_ubyte v8, v[16:17], off
.LBB15_1249:
.LBB15_1250:
	s_lshr_b32 s0, s14, 16
	v_mov_b32_e32 v11, 0
	s_and_b32 s15, s0, 0xff
	s_cmp_lt_i32 s15, 11
	v_lshl_add_u64 v[16:17], s[6:7], 0, v[10:11]
	s_cbranch_scc1 .LBB15_1257
; %bb.1251:
	s_and_b32 s16, 0xffff, s15
	s_cmp_gt_i32 s16, 25
	s_mov_b64 s[8:9], 0
	s_cbranch_scc0 .LBB15_1259
; %bb.1252:
	s_cmp_gt_i32 s16, 28
	s_cbranch_scc0 .LBB15_1260
; %bb.1253:
	s_cmp_gt_i32 s16, 43
	s_cbranch_scc0 .LBB15_1261
; %bb.1254:
	s_cmp_gt_i32 s16, 45
	s_cbranch_scc0 .LBB15_1263
; %bb.1255:
	s_cmp_eq_u32 s16, 46
	s_mov_b64 s[12:13], 0
	s_cbranch_scc0 .LBB15_1266
; %bb.1256:
	global_load_dword v1, v[16:17], off
	s_mov_b32 s0, 0x2f800000
	s_mov_b32 s1, 0xcf800000
	s_mov_b64 s[10:11], -1
	s_waitcnt vmcnt(0)
	v_lshlrev_b32_e32 v1, 16, v1
	v_trunc_f32_e32 v1, v1
	v_mul_f32_e64 v3, |v1|, s0
	v_floor_f32_e32 v3, v3
	v_fma_f32 v3, v3, s1, |v1|
	v_cvt_u32_f32_e32 v3, v3
	v_ashrrev_i32_e32 v1, 31, v1
	s_mov_b64 s[0:1], 0
	v_xor_b32_e32 v3, v3, v1
	v_sub_u32_e32 v10, v3, v1
	s_branch .LBB15_1267
.LBB15_1257:
	s_mov_b64 s[10:11], 0
                                        ; implicit-def: $vgpr10
	s_cbranch_execnz .LBB15_1328
.LBB15_1258:
	s_andn2_b64 vcc, exec, s[10:11]
	s_cbranch_vccz .LBB15_1375
	s_branch .LBB15_1512
.LBB15_1259:
	s_mov_b64 s[10:11], 0
	s_mov_b64 s[0:1], 0
                                        ; implicit-def: $vgpr10
	s_cbranch_execnz .LBB15_1294
	s_branch .LBB15_1324
.LBB15_1260:
	s_mov_b64 s[12:13], -1
	s_mov_b64 s[10:11], 0
	s_mov_b64 s[0:1], 0
                                        ; implicit-def: $vgpr10
	s_branch .LBB15_1277
.LBB15_1261:
	s_mov_b64 s[12:13], -1
	s_mov_b64 s[10:11], 0
	s_mov_b64 s[0:1], 0
                                        ; implicit-def: $vgpr10
	s_branch .LBB15_1272
.LBB15_1262:
	s_or_b64 s[2:3], s[24:25], exec
	s_trap 2
	s_cbranch_execz .LBB15_1203
	s_branch .LBB15_1204
.LBB15_1263:
	s_mov_b64 s[12:13], -1
	s_mov_b64 s[10:11], 0
	s_mov_b64 s[0:1], 0
                                        ; implicit-def: $vgpr10
	s_branch .LBB15_1267
.LBB15_1264:
	s_andn2_saveexec_b64 s[14:15], s[14:15]
	s_cbranch_execz .LBB15_995
.LBB15_1265:
	v_add_f32_e32 v0, 0x42800000, v1
	v_and_b32_e32 v0, 0xff, v0
	v_cmp_ne_u32_e32 vcc, 0, v0
	s_andn2_b64 s[12:13], s[12:13], exec
	s_and_b64 s[18:19], vcc, exec
	s_or_b64 s[12:13], s[12:13], s[18:19]
	s_or_b64 exec, exec, s[14:15]
	v_mov_b32_e32 v6, 0
	s_and_saveexec_b64 s[14:15], s[12:13]
	s_cbranch_execnz .LBB15_996
	s_branch .LBB15_997
.LBB15_1266:
	s_mov_b64 s[0:1], -1
                                        ; implicit-def: $vgpr10
	s_mov_b64 s[10:11], 0
.LBB15_1267:
	s_and_b64 vcc, exec, s[12:13]
	s_cbranch_vccz .LBB15_1271
; %bb.1268:
	s_cmp_eq_u32 s16, 44
	s_cbranch_scc0 .LBB15_1270
; %bb.1269:
	global_load_ubyte v1, v[16:17], off
	s_mov_b32 s0, 0x2f800000
	s_mov_b32 s1, 0xcf800000
	s_mov_b64 s[10:11], -1
	s_waitcnt vmcnt(0)
	v_lshlrev_b32_e32 v3, 23, v1
	v_trunc_f32_e32 v3, v3
	v_mul_f32_e64 v5, |v3|, s0
	v_floor_f32_e32 v5, v5
	v_fma_f32 v5, v5, s1, |v3|
	v_cvt_u32_f32_e32 v5, v5
	v_ashrrev_i32_e32 v3, 31, v3
	v_cmp_ne_u32_e32 vcc, 0, v1
	s_mov_b64 s[0:1], 0
	v_xor_b32_e32 v5, v5, v3
	v_sub_u32_e32 v3, v5, v3
	v_cndmask_b32_e32 v10, 0, v3, vcc
	s_branch .LBB15_1271
.LBB15_1270:
	s_mov_b64 s[0:1], -1
                                        ; implicit-def: $vgpr10
.LBB15_1271:
	s_mov_b64 s[12:13], 0
.LBB15_1272:
	s_and_b64 vcc, exec, s[12:13]
	s_cbranch_vccz .LBB15_1276
; %bb.1273:
	s_cmp_eq_u32 s16, 29
	s_cbranch_scc0 .LBB15_1275
; %bb.1274:
	global_load_dwordx2 v[10:11], v[16:17], off
	s_mov_b64 s[0:1], 0
	s_mov_b64 s[10:11], -1
	s_branch .LBB15_1276
.LBB15_1275:
	s_mov_b64 s[0:1], -1
                                        ; implicit-def: $vgpr10
.LBB15_1276:
	s_mov_b64 s[12:13], 0
.LBB15_1277:
	s_and_b64 vcc, exec, s[12:13]
	s_cbranch_vccz .LBB15_1293
; %bb.1278:
	s_cmp_lt_i32 s16, 27
	s_cbranch_scc1 .LBB15_1281
; %bb.1279:
	s_cmp_gt_i32 s16, 27
	s_cbranch_scc0 .LBB15_1282
; %bb.1280:
	global_load_dword v10, v[16:17], off
	s_mov_b64 s[10:11], 0
	s_branch .LBB15_1283
.LBB15_1281:
	s_mov_b64 s[10:11], -1
                                        ; implicit-def: $vgpr10
	s_branch .LBB15_1286
.LBB15_1282:
	s_mov_b64 s[10:11], -1
                                        ; implicit-def: $vgpr10
.LBB15_1283:
	s_andn2_b64 vcc, exec, s[10:11]
	s_cbranch_vccnz .LBB15_1285
; %bb.1284:
	global_load_ushort v10, v[16:17], off
.LBB15_1285:
	s_mov_b64 s[10:11], 0
.LBB15_1286:
	s_andn2_b64 vcc, exec, s[10:11]
	s_cbranch_vccnz .LBB15_1292
; %bb.1287:
	global_load_ubyte v1, v[16:17], off
	s_movk_i32 s10, 0x7f
	s_mov_b64 s[12:13], 0
	s_waitcnt vmcnt(0)
	v_cmp_lt_i16_e32 vcc, s10, v1
	s_and_saveexec_b64 s[10:11], vcc
	s_xor_b64 s[10:11], exec, s[10:11]
	s_cbranch_execz .LBB15_1303
; %bb.1288:
	s_movk_i32 s12, 0x80
	v_cmp_ne_u16_e32 vcc, s12, v1
	s_and_b64 s[12:13], vcc, exec
	s_andn2_saveexec_b64 s[10:11], s[10:11]
	s_cbranch_execnz .LBB15_1304
.LBB15_1289:
	s_or_b64 exec, exec, s[10:11]
	v_mov_b32_e32 v10, 0
	s_and_saveexec_b64 s[10:11], s[12:13]
	s_cbranch_execz .LBB15_1291
.LBB15_1290:
	v_lshlrev_b32_e32 v3, 24, v1
	v_and_b32_e32 v1, 0xffff, v1
	v_and_b32_e32 v5, 7, v1
	v_ffbh_u32_e32 v9, v5
	v_min_u32_e32 v9, 32, v9
	v_subrev_u32_e32 v10, 28, v9
	v_bfe_u32 v7, v1, 3, 4
	v_lshlrev_b32_e32 v1, v10, v1
	v_sub_u32_e32 v9, 29, v9
	v_and_b32_e32 v1, 7, v1
	v_cmp_eq_u32_e32 vcc, 0, v7
	v_and_b32_e32 v3, 0x80000000, v3
	s_mov_b32 s12, 0x2f800000
	v_cndmask_b32_e32 v7, v7, v9, vcc
	v_cndmask_b32_e32 v1, v5, v1, vcc
	v_mov_b32_e32 v5, 0x3b800000
	v_lshlrev_b32_e32 v1, 20, v1
	v_lshl_add_u32 v5, v7, 23, v5
	v_or3_b32 v1, v3, v5, v1
	v_trunc_f32_e32 v1, v1
	v_mul_f32_e64 v3, |v1|, s12
	v_floor_f32_e32 v3, v3
	s_mov_b32 s12, 0xcf800000
	v_fma_f32 v3, v3, s12, |v1|
	v_cvt_u32_f32_e32 v3, v3
	v_ashrrev_i32_e32 v1, 31, v1
	v_xor_b32_e32 v3, v3, v1
	v_sub_u32_e32 v10, v3, v1
.LBB15_1291:
	s_or_b64 exec, exec, s[10:11]
.LBB15_1292:
	s_mov_b64 s[10:11], -1
.LBB15_1293:
	s_branch .LBB15_1324
.LBB15_1294:
	s_cmp_gt_i32 s16, 22
	s_cbranch_scc0 .LBB15_1302
; %bb.1295:
	s_cmp_lt_i32 s16, 24
	s_cbranch_scc1 .LBB15_1305
; %bb.1296:
	s_cmp_gt_i32 s16, 24
	s_cbranch_scc0 .LBB15_1306
; %bb.1297:
	global_load_ubyte v1, v[16:17], off
	s_movk_i32 s8, 0x7f
	s_mov_b64 s[10:11], 0
	s_waitcnt vmcnt(0)
	v_cmp_lt_i16_e32 vcc, s8, v1
	s_and_saveexec_b64 s[8:9], vcc
	s_xor_b64 s[8:9], exec, s[8:9]
	s_cbranch_execz .LBB15_1318
; %bb.1298:
	s_movk_i32 s10, 0x80
	v_cmp_ne_u16_e32 vcc, s10, v1
	s_and_b64 s[10:11], vcc, exec
	s_andn2_saveexec_b64 s[8:9], s[8:9]
	s_cbranch_execnz .LBB15_1319
.LBB15_1299:
	s_or_b64 exec, exec, s[8:9]
	v_mov_b32_e32 v10, 0
	s_and_saveexec_b64 s[8:9], s[10:11]
	s_cbranch_execz .LBB15_1301
.LBB15_1300:
	v_lshlrev_b32_e32 v3, 24, v1
	v_and_b32_e32 v1, 0xffff, v1
	v_and_b32_e32 v5, 3, v1
	v_ffbh_u32_e32 v9, v5
	v_min_u32_e32 v9, 32, v9
	v_subrev_u32_e32 v10, 29, v9
	v_bfe_u32 v7, v1, 2, 5
	v_lshlrev_b32_e32 v1, v10, v1
	v_sub_u32_e32 v9, 30, v9
	v_and_b32_e32 v1, 3, v1
	v_cmp_eq_u32_e32 vcc, 0, v7
	v_and_b32_e32 v3, 0x80000000, v3
	s_mov_b32 s10, 0x2f800000
	v_cndmask_b32_e32 v7, v7, v9, vcc
	v_cndmask_b32_e32 v1, v5, v1, vcc
	v_mov_b32_e32 v5, 0x37800000
	v_lshlrev_b32_e32 v1, 21, v1
	v_lshl_add_u32 v5, v7, 23, v5
	v_or3_b32 v1, v3, v5, v1
	v_trunc_f32_e32 v1, v1
	v_mul_f32_e64 v3, |v1|, s10
	v_floor_f32_e32 v3, v3
	s_mov_b32 s10, 0xcf800000
	v_fma_f32 v3, v3, s10, |v1|
	v_cvt_u32_f32_e32 v3, v3
	v_ashrrev_i32_e32 v1, 31, v1
	v_xor_b32_e32 v3, v3, v1
	v_sub_u32_e32 v10, v3, v1
.LBB15_1301:
	s_or_b64 exec, exec, s[8:9]
	s_mov_b64 s[8:9], 0
	s_branch .LBB15_1307
.LBB15_1302:
	s_mov_b64 s[8:9], -1
                                        ; implicit-def: $vgpr10
	s_branch .LBB15_1313
.LBB15_1303:
	s_andn2_saveexec_b64 s[10:11], s[10:11]
	s_cbranch_execz .LBB15_1289
.LBB15_1304:
	v_cmp_ne_u16_e32 vcc, 0, v1
	s_andn2_b64 s[12:13], s[12:13], exec
	s_and_b64 s[18:19], vcc, exec
	s_or_b64 s[12:13], s[12:13], s[18:19]
	s_or_b64 exec, exec, s[10:11]
	v_mov_b32_e32 v10, 0
	s_and_saveexec_b64 s[10:11], s[12:13]
	s_cbranch_execnz .LBB15_1290
	s_branch .LBB15_1291
.LBB15_1305:
	s_mov_b64 s[8:9], -1
                                        ; implicit-def: $vgpr10
	s_branch .LBB15_1310
.LBB15_1306:
	s_mov_b64 s[8:9], -1
                                        ; implicit-def: $vgpr10
.LBB15_1307:
	s_and_b64 vcc, exec, s[8:9]
	s_cbranch_vccz .LBB15_1309
; %bb.1308:
	global_load_ubyte v1, v[16:17], off
	s_mov_b32 s8, 0x7f800000
	s_brev_b32 s9, 1
	s_mov_b32 s10, 0x2f800000
	s_waitcnt vmcnt(0)
	v_lshlrev_b32_e32 v1, 24, v1
	v_and_b32_e32 v3, 0x7f000000, v1
	v_ffbh_u32_e32 v5, v3
	v_min_u32_e32 v5, 32, v5
	v_sub_u32_e64 v5, v5, 4 clamp
	v_lshlrev_b32_e32 v9, v5, v3
	v_lshlrev_b32_e32 v5, 23, v5
	v_lshrrev_b32_e32 v9, 4, v9
	v_add_u32_e32 v7, 0x1000000, v3
	v_sub_u32_e32 v5, v9, v5
	v_ashrrev_i32_e32 v7, 8, v7
	v_add_u32_e32 v5, 0x3c000000, v5
	v_and_or_b32 v5, v7, s8, v5
	v_cmp_ne_u32_e32 vcc, 0, v3
	s_mov_b32 s8, 0xcf800000
	s_nop 0
	v_cndmask_b32_e32 v3, 0, v5, vcc
	v_and_or_b32 v1, v1, s9, v3
	v_trunc_f32_e32 v1, v1
	v_mul_f32_e64 v3, |v1|, s10
	v_floor_f32_e32 v3, v3
	v_fma_f32 v3, v3, s8, |v1|
	v_cvt_u32_f32_e32 v3, v3
	v_ashrrev_i32_e32 v1, 31, v1
	v_xor_b32_e32 v3, v3, v1
	v_sub_u32_e32 v10, v3, v1
.LBB15_1309:
	s_mov_b64 s[8:9], 0
.LBB15_1310:
	s_andn2_b64 vcc, exec, s[8:9]
	s_cbranch_vccnz .LBB15_1312
; %bb.1311:
	global_load_ubyte v1, v[16:17], off
	s_movk_i32 s8, 0x7f00
	s_brev_b32 s9, 16
	s_brev_b32 s10, 1
	s_mov_b32 s11, 0x2f800000
	s_waitcnt vmcnt(0)
	v_lshlrev_b16_e32 v3, 8, v1
	v_lshlrev_b32_e32 v1, 25, v1
	v_lshrrev_b32_e32 v5, 4, v1
	v_and_or_b32 v7, v3, s8, 0.5
	v_or_b32_e32 v5, 0x70000000, v5
	v_add_f32_e32 v7, -0.5, v7
	v_mul_f32_e32 v5, 0x7800000, v5
	v_cmp_gt_u32_e32 vcc, s9, v1
	v_bfe_i32 v3, v3, 0, 16
	s_mov_b32 s8, 0xcf800000
	v_cndmask_b32_e32 v1, v5, v7, vcc
	v_and_or_b32 v1, v3, s10, v1
	v_trunc_f32_e32 v1, v1
	v_mul_f32_e64 v3, |v1|, s11
	v_floor_f32_e32 v3, v3
	v_fma_f32 v3, v3, s8, |v1|
	v_cvt_u32_f32_e32 v3, v3
	v_ashrrev_i32_e32 v1, 31, v1
	v_xor_b32_e32 v3, v3, v1
	v_sub_u32_e32 v10, v3, v1
.LBB15_1312:
	s_mov_b64 s[8:9], 0
	s_mov_b64 s[10:11], -1
.LBB15_1313:
	s_andn2_b64 vcc, exec, s[8:9]
	s_mov_b64 s[8:9], 0
	s_cbranch_vccnz .LBB15_1324
; %bb.1314:
	s_cmp_gt_i32 s16, 14
	s_cbranch_scc0 .LBB15_1317
; %bb.1315:
	s_cmp_eq_u32 s16, 15
	s_cbranch_scc0 .LBB15_1320
; %bb.1316:
	global_load_ushort v1, v[16:17], off
	s_mov_b32 s0, 0x2f800000
	s_mov_b32 s1, 0xcf800000
	s_mov_b64 s[10:11], -1
	s_waitcnt vmcnt(0)
	v_lshlrev_b32_e32 v1, 16, v1
	v_trunc_f32_e32 v1, v1
	v_mul_f32_e64 v3, |v1|, s0
	v_floor_f32_e32 v3, v3
	v_fma_f32 v3, v3, s1, |v1|
	v_cvt_u32_f32_e32 v3, v3
	v_ashrrev_i32_e32 v1, 31, v1
	s_mov_b64 s[0:1], 0
	v_xor_b32_e32 v3, v3, v1
	v_sub_u32_e32 v10, v3, v1
	s_branch .LBB15_1321
.LBB15_1317:
	s_mov_b64 s[12:13], -1
                                        ; implicit-def: $vgpr10
	s_branch .LBB15_1322
.LBB15_1318:
	s_andn2_saveexec_b64 s[8:9], s[8:9]
	s_cbranch_execz .LBB15_1299
.LBB15_1319:
	v_cmp_ne_u16_e32 vcc, 0, v1
	s_andn2_b64 s[10:11], s[10:11], exec
	s_and_b64 s[12:13], vcc, exec
	s_or_b64 s[10:11], s[10:11], s[12:13]
	s_or_b64 exec, exec, s[8:9]
	v_mov_b32_e32 v10, 0
	s_and_saveexec_b64 s[8:9], s[10:11]
	s_cbranch_execnz .LBB15_1300
	s_branch .LBB15_1301
.LBB15_1320:
	s_mov_b64 s[0:1], -1
                                        ; implicit-def: $vgpr10
.LBB15_1321:
	s_mov_b64 s[12:13], 0
.LBB15_1322:
	s_and_b64 vcc, exec, s[12:13]
	s_cbranch_vccz .LBB15_1324
; %bb.1323:
	s_cmp_lg_u32 s16, 11
	s_mov_b64 s[8:9], -1
	s_cselect_b64 s[0:1], -1, 0
.LBB15_1324:
	s_and_b64 vcc, exec, s[0:1]
	s_cbranch_vccnz .LBB15_1397
; %bb.1325:
	s_andn2_b64 vcc, exec, s[8:9]
	s_cbranch_vccnz .LBB15_1327
.LBB15_1326:
	global_load_ubyte v1, v[16:17], off
	s_mov_b64 s[10:11], -1
	s_waitcnt vmcnt(0)
	v_cmp_ne_u16_e32 vcc, 0, v1
	s_nop 1
	v_cndmask_b32_e64 v10, 0, 1, vcc
.LBB15_1327:
	s_branch .LBB15_1258
.LBB15_1328:
	s_and_b32 s8, 0xffff, s15
	s_cmp_lt_i32 s8, 5
	s_cbranch_scc1 .LBB15_1333
; %bb.1329:
	s_cmp_lt_i32 s8, 8
	s_cbranch_scc1 .LBB15_1334
; %bb.1330:
	;; [unrolled: 3-line block ×3, first 2 shown]
	s_cmp_gt_i32 s8, 9
	s_cbranch_scc0 .LBB15_1336
; %bb.1332:
	global_load_dwordx2 v[10:11], v[16:17], off
	s_movk_i32 s0, 0xffe0
	s_waitcnt vmcnt(0)
	v_trunc_f64_e32 v[10:11], v[10:11]
	v_ldexp_f64 v[18:19], v[10:11], s0
	v_floor_f64_e32 v[18:19], v[18:19]
	v_fmac_f64_e32 v[10:11], 0xc1f00000, v[18:19]
	v_cvt_u32_f64_e32 v10, v[10:11]
	s_mov_b64 s[0:1], 0
	s_branch .LBB15_1337
.LBB15_1333:
                                        ; implicit-def: $vgpr10
	s_branch .LBB15_1355
.LBB15_1334:
	s_mov_b64 s[0:1], -1
                                        ; implicit-def: $vgpr10
	s_branch .LBB15_1343
.LBB15_1335:
	s_mov_b64 s[0:1], -1
                                        ; implicit-def: $vgpr10
	s_branch .LBB15_1340
.LBB15_1336:
	s_mov_b64 s[0:1], -1
                                        ; implicit-def: $vgpr10
.LBB15_1337:
	s_andn2_b64 vcc, exec, s[0:1]
	s_cbranch_vccnz .LBB15_1339
; %bb.1338:
	global_load_dword v1, v[16:17], off
	s_mov_b32 s0, 0x2f800000
	s_waitcnt vmcnt(0)
	v_trunc_f32_e32 v1, v1
	v_mul_f32_e64 v3, |v1|, s0
	v_floor_f32_e32 v3, v3
	s_mov_b32 s0, 0xcf800000
	v_fma_f32 v3, v3, s0, |v1|
	v_cvt_u32_f32_e32 v3, v3
	v_ashrrev_i32_e32 v1, 31, v1
	v_xor_b32_e32 v3, v3, v1
	v_sub_u32_e32 v10, v3, v1
.LBB15_1339:
	s_mov_b64 s[0:1], 0
.LBB15_1340:
	s_andn2_b64 vcc, exec, s[0:1]
	s_cbranch_vccnz .LBB15_1342
; %bb.1341:
	global_load_dword v1, v[16:17], off
	s_waitcnt vmcnt(0)
	v_cvt_f32_f16_e32 v1, v1
	v_cvt_i32_f32_e32 v10, v1
.LBB15_1342:
	s_mov_b64 s[0:1], 0
.LBB15_1343:
	s_andn2_b64 vcc, exec, s[0:1]
	s_cbranch_vccnz .LBB15_1354
; %bb.1344:
	s_cmp_lt_i32 s8, 6
	s_cbranch_scc1 .LBB15_1347
; %bb.1345:
	s_cmp_gt_i32 s8, 6
	s_cbranch_scc0 .LBB15_1348
; %bb.1346:
	global_load_dwordx2 v[10:11], v[16:17], off
	s_movk_i32 s0, 0xffe0
	s_waitcnt vmcnt(0)
	v_trunc_f64_e32 v[10:11], v[10:11]
	v_ldexp_f64 v[18:19], v[10:11], s0
	v_floor_f64_e32 v[18:19], v[18:19]
	v_fmac_f64_e32 v[10:11], 0xc1f00000, v[18:19]
	v_cvt_u32_f64_e32 v10, v[10:11]
	s_mov_b64 s[0:1], 0
	s_branch .LBB15_1349
.LBB15_1347:
	s_mov_b64 s[0:1], -1
                                        ; implicit-def: $vgpr10
	s_branch .LBB15_1352
.LBB15_1348:
	s_mov_b64 s[0:1], -1
                                        ; implicit-def: $vgpr10
.LBB15_1349:
	s_andn2_b64 vcc, exec, s[0:1]
	s_cbranch_vccnz .LBB15_1351
; %bb.1350:
	global_load_dword v1, v[16:17], off
	s_mov_b32 s0, 0x2f800000
	s_waitcnt vmcnt(0)
	v_trunc_f32_e32 v1, v1
	v_mul_f32_e64 v3, |v1|, s0
	v_floor_f32_e32 v3, v3
	s_mov_b32 s0, 0xcf800000
	v_fma_f32 v3, v3, s0, |v1|
	v_cvt_u32_f32_e32 v3, v3
	v_ashrrev_i32_e32 v1, 31, v1
	v_xor_b32_e32 v3, v3, v1
	v_sub_u32_e32 v10, v3, v1
.LBB15_1351:
	s_mov_b64 s[0:1], 0
.LBB15_1352:
	s_andn2_b64 vcc, exec, s[0:1]
	s_cbranch_vccnz .LBB15_1354
; %bb.1353:
	global_load_ushort v1, v[16:17], off
	s_waitcnt vmcnt(0)
	v_cvt_f32_f16_e32 v1, v1
	v_cvt_i32_f32_e32 v10, v1
.LBB15_1354:
	s_cbranch_execnz .LBB15_1374
.LBB15_1355:
	s_cmp_lt_i32 s8, 2
	s_cbranch_scc1 .LBB15_1359
; %bb.1356:
	s_cmp_lt_i32 s8, 3
	s_cbranch_scc1 .LBB15_1360
; %bb.1357:
	s_cmp_gt_i32 s8, 3
	s_cbranch_scc0 .LBB15_1361
; %bb.1358:
	global_load_dwordx2 v[10:11], v[16:17], off
	s_mov_b64 s[0:1], 0
	s_branch .LBB15_1362
.LBB15_1359:
	s_mov_b64 s[0:1], -1
                                        ; implicit-def: $vgpr10
	s_branch .LBB15_1368
.LBB15_1360:
	s_mov_b64 s[0:1], -1
                                        ; implicit-def: $vgpr10
	s_branch .LBB15_1365
.LBB15_1361:
	s_mov_b64 s[0:1], -1
                                        ; implicit-def: $vgpr10
.LBB15_1362:
	s_andn2_b64 vcc, exec, s[0:1]
	s_cbranch_vccnz .LBB15_1364
; %bb.1363:
	global_load_dword v10, v[16:17], off
.LBB15_1364:
	s_mov_b64 s[0:1], 0
.LBB15_1365:
	s_andn2_b64 vcc, exec, s[0:1]
	s_cbranch_vccnz .LBB15_1367
; %bb.1366:
	global_load_ushort v10, v[16:17], off
.LBB15_1367:
	s_mov_b64 s[0:1], 0
.LBB15_1368:
	s_andn2_b64 vcc, exec, s[0:1]
	s_cbranch_vccnz .LBB15_1374
; %bb.1369:
	s_cmp_gt_i32 s8, 0
	s_cbranch_scc0 .LBB15_1371
; %bb.1370:
	global_load_ubyte v10, v[16:17], off
	s_mov_b64 s[0:1], 0
	s_branch .LBB15_1372
.LBB15_1371:
	s_mov_b64 s[0:1], -1
                                        ; implicit-def: $vgpr10
.LBB15_1372:
	s_andn2_b64 vcc, exec, s[0:1]
	s_cbranch_vccnz .LBB15_1374
; %bb.1373:
	global_load_ubyte v10, v[16:17], off
.LBB15_1374:
.LBB15_1375:
	v_mov_b32_e32 v15, 0
	s_cmp_lt_i32 s15, 11
	v_lshl_add_u64 v[16:17], s[6:7], 0, v[14:15]
	s_cbranch_scc1 .LBB15_1382
; %bb.1376:
	s_and_b32 s16, 0xffff, s15
	s_cmp_gt_i32 s16, 25
	s_mov_b64 s[8:9], 0
	s_cbranch_scc0 .LBB15_1391
; %bb.1377:
	s_cmp_gt_i32 s16, 28
	s_cbranch_scc0 .LBB15_1393
; %bb.1378:
	s_cmp_gt_i32 s16, 43
	;; [unrolled: 3-line block ×3, first 2 shown]
	s_cbranch_scc0 .LBB15_1398
; %bb.1380:
	s_cmp_eq_u32 s16, 46
	s_mov_b64 s[12:13], 0
	s_cbranch_scc0 .LBB15_1400
; %bb.1381:
	global_load_dword v1, v[16:17], off
	s_mov_b32 s0, 0x2f800000
	s_mov_b32 s1, 0xcf800000
	s_mov_b64 s[10:11], -1
	s_waitcnt vmcnt(0)
	v_lshlrev_b32_e32 v1, 16, v1
	v_trunc_f32_e32 v1, v1
	v_mul_f32_e64 v3, |v1|, s0
	v_floor_f32_e32 v3, v3
	v_fma_f32 v3, v3, s1, |v1|
	v_cvt_u32_f32_e32 v3, v3
	v_ashrrev_i32_e32 v1, 31, v1
	s_mov_b64 s[0:1], 0
	v_xor_b32_e32 v3, v3, v1
	v_sub_u32_e32 v14, v3, v1
	s_branch .LBB15_1401
.LBB15_1382:
	s_mov_b64 s[10:11], 0
                                        ; implicit-def: $vgpr14
	s_cbranch_execnz .LBB15_1464
.LBB15_1383:
	s_andn2_b64 vcc, exec, s[10:11]
	s_cbranch_vccnz .LBB15_1512
.LBB15_1384:
	v_mov_b32_e32 v13, 0
	s_cmp_lt_i32 s15, 11
	v_lshl_add_u64 v[16:17], s[6:7], 0, v[12:13]
	s_cbranch_scc1 .LBB15_1392
; %bb.1385:
	s_and_b32 s12, 0xffff, s15
	s_cmp_gt_i32 s12, 25
	s_mov_b64 s[6:7], 0
	s_cbranch_scc0 .LBB15_1394
; %bb.1386:
	s_cmp_gt_i32 s12, 28
	s_cbranch_scc0 .LBB15_1396
; %bb.1387:
	s_cmp_gt_i32 s12, 43
	;; [unrolled: 3-line block ×3, first 2 shown]
	s_cbranch_scc0 .LBB15_1404
; %bb.1389:
	s_cmp_eq_u32 s12, 46
	s_mov_b64 s[10:11], 0
	s_cbranch_scc0 .LBB15_1559
; %bb.1390:
	global_load_dword v1, v[16:17], off
	s_mov_b32 s0, 0x2f800000
	s_mov_b32 s1, 0xcf800000
	s_mov_b64 s[8:9], -1
	s_waitcnt vmcnt(0)
	v_lshlrev_b32_e32 v1, 16, v1
	v_trunc_f32_e32 v1, v1
	v_mul_f32_e64 v3, |v1|, s0
	v_floor_f32_e32 v3, v3
	v_fma_f32 v3, v3, s1, |v1|
	v_cvt_u32_f32_e32 v3, v3
	v_ashrrev_i32_e32 v1, 31, v1
	s_mov_b64 s[0:1], 0
	v_xor_b32_e32 v3, v3, v1
	v_sub_u32_e32 v12, v3, v1
	s_branch .LBB15_1560
.LBB15_1391:
	s_mov_b64 s[12:13], -1
	s_mov_b64 s[10:11], 0
	s_mov_b64 s[0:1], 0
                                        ; implicit-def: $vgpr14
	s_branch .LBB15_1429
.LBB15_1392:
	s_mov_b64 s[0:1], -1
	s_mov_b64 s[8:9], 0
                                        ; implicit-def: $vgpr12
	s_branch .LBB15_1622
.LBB15_1393:
	s_mov_b64 s[12:13], -1
	s_mov_b64 s[10:11], 0
	s_mov_b64 s[0:1], 0
                                        ; implicit-def: $vgpr14
	s_branch .LBB15_1412
.LBB15_1394:
	s_mov_b64 s[10:11], -1
	s_mov_b64 s[8:9], 0
	s_mov_b64 s[0:1], 0
                                        ; implicit-def: $vgpr12
	s_branch .LBB15_1587
.LBB15_1395:
	s_mov_b64 s[12:13], -1
	s_mov_b64 s[10:11], 0
	s_mov_b64 s[0:1], 0
                                        ; implicit-def: $vgpr14
	s_branch .LBB15_1407
.LBB15_1396:
	s_mov_b64 s[10:11], -1
	s_mov_b64 s[8:9], 0
	s_mov_b64 s[0:1], 0
                                        ; implicit-def: $vgpr12
	s_branch .LBB15_1570
.LBB15_1397:
	s_trap 2
	s_or_b64 s[2:3], s[2:3], exec
	s_cbranch_execz .LBB15_1326
	s_branch .LBB15_1327
.LBB15_1398:
	s_mov_b64 s[12:13], -1
	s_mov_b64 s[10:11], 0
	s_mov_b64 s[0:1], 0
                                        ; implicit-def: $vgpr14
	s_branch .LBB15_1401
.LBB15_1399:
	s_mov_b64 s[10:11], -1
	s_mov_b64 s[8:9], 0
	s_mov_b64 s[0:1], 0
                                        ; implicit-def: $vgpr12
	s_branch .LBB15_1565
.LBB15_1400:
	s_mov_b64 s[0:1], -1
                                        ; implicit-def: $vgpr14
	s_mov_b64 s[10:11], 0
.LBB15_1401:
	s_and_b64 vcc, exec, s[12:13]
	s_cbranch_vccz .LBB15_1406
; %bb.1402:
	s_cmp_eq_u32 s16, 44
	s_cbranch_scc0 .LBB15_1405
; %bb.1403:
	global_load_ubyte v1, v[16:17], off
	s_mov_b32 s0, 0x2f800000
	s_mov_b32 s1, 0xcf800000
	s_mov_b64 s[10:11], -1
	s_waitcnt vmcnt(0)
	v_lshlrev_b32_e32 v3, 23, v1
	v_trunc_f32_e32 v3, v3
	v_mul_f32_e64 v5, |v3|, s0
	v_floor_f32_e32 v5, v5
	v_fma_f32 v5, v5, s1, |v3|
	v_cvt_u32_f32_e32 v5, v5
	v_ashrrev_i32_e32 v3, 31, v3
	v_cmp_ne_u32_e32 vcc, 0, v1
	s_mov_b64 s[0:1], 0
	v_xor_b32_e32 v5, v5, v3
	v_sub_u32_e32 v3, v5, v3
	v_cndmask_b32_e32 v14, 0, v3, vcc
	s_branch .LBB15_1406
.LBB15_1404:
	s_mov_b64 s[10:11], -1
	s_mov_b64 s[8:9], 0
	s_mov_b64 s[0:1], 0
                                        ; implicit-def: $vgpr12
	s_branch .LBB15_1560
.LBB15_1405:
	s_mov_b64 s[0:1], -1
                                        ; implicit-def: $vgpr14
.LBB15_1406:
	s_mov_b64 s[12:13], 0
.LBB15_1407:
	s_and_b64 vcc, exec, s[12:13]
	s_cbranch_vccz .LBB15_1411
; %bb.1408:
	s_cmp_eq_u32 s16, 29
	s_cbranch_scc0 .LBB15_1410
; %bb.1409:
	global_load_dwordx2 v[14:15], v[16:17], off
	s_mov_b64 s[0:1], 0
	s_mov_b64 s[10:11], -1
	s_branch .LBB15_1411
.LBB15_1410:
	s_mov_b64 s[0:1], -1
                                        ; implicit-def: $vgpr14
.LBB15_1411:
	s_mov_b64 s[12:13], 0
.LBB15_1412:
	s_and_b64 vcc, exec, s[12:13]
	s_cbranch_vccz .LBB15_1428
; %bb.1413:
	s_cmp_lt_i32 s16, 27
	s_cbranch_scc1 .LBB15_1416
; %bb.1414:
	s_cmp_gt_i32 s16, 27
	s_cbranch_scc0 .LBB15_1417
; %bb.1415:
	global_load_dword v14, v[16:17], off
	s_mov_b64 s[10:11], 0
	s_branch .LBB15_1418
.LBB15_1416:
	s_mov_b64 s[10:11], -1
                                        ; implicit-def: $vgpr14
	s_branch .LBB15_1421
.LBB15_1417:
	s_mov_b64 s[10:11], -1
                                        ; implicit-def: $vgpr14
.LBB15_1418:
	s_andn2_b64 vcc, exec, s[10:11]
	s_cbranch_vccnz .LBB15_1420
; %bb.1419:
	global_load_ushort v14, v[16:17], off
.LBB15_1420:
	s_mov_b64 s[10:11], 0
.LBB15_1421:
	s_andn2_b64 vcc, exec, s[10:11]
	s_cbranch_vccnz .LBB15_1427
; %bb.1422:
	global_load_ubyte v1, v[16:17], off
	s_movk_i32 s10, 0x7f
	s_mov_b64 s[12:13], 0
	s_waitcnt vmcnt(0)
	v_cmp_lt_i16_e32 vcc, s10, v1
	s_and_saveexec_b64 s[10:11], vcc
	s_xor_b64 s[10:11], exec, s[10:11]
	s_cbranch_execz .LBB15_1439
; %bb.1423:
	s_movk_i32 s12, 0x80
	v_cmp_ne_u16_e32 vcc, s12, v1
	s_and_b64 s[12:13], vcc, exec
	s_andn2_saveexec_b64 s[10:11], s[10:11]
	s_cbranch_execnz .LBB15_1440
.LBB15_1424:
	s_or_b64 exec, exec, s[10:11]
	v_mov_b32_e32 v14, 0
	s_and_saveexec_b64 s[10:11], s[12:13]
	s_cbranch_execz .LBB15_1426
.LBB15_1425:
	v_lshlrev_b32_e32 v3, 24, v1
	v_and_b32_e32 v1, 0xffff, v1
	v_and_b32_e32 v5, 7, v1
	v_ffbh_u32_e32 v9, v5
	v_min_u32_e32 v9, 32, v9
	v_subrev_u32_e32 v11, 28, v9
	v_bfe_u32 v7, v1, 3, 4
	v_lshlrev_b32_e32 v1, v11, v1
	v_sub_u32_e32 v9, 29, v9
	v_and_b32_e32 v1, 7, v1
	v_cmp_eq_u32_e32 vcc, 0, v7
	v_and_b32_e32 v3, 0x80000000, v3
	s_mov_b32 s12, 0x2f800000
	v_cndmask_b32_e32 v7, v7, v9, vcc
	v_cndmask_b32_e32 v1, v5, v1, vcc
	v_mov_b32_e32 v5, 0x3b800000
	v_lshlrev_b32_e32 v1, 20, v1
	v_lshl_add_u32 v5, v7, 23, v5
	v_or3_b32 v1, v3, v5, v1
	v_trunc_f32_e32 v1, v1
	v_mul_f32_e64 v3, |v1|, s12
	v_floor_f32_e32 v3, v3
	s_mov_b32 s12, 0xcf800000
	v_fma_f32 v3, v3, s12, |v1|
	v_cvt_u32_f32_e32 v3, v3
	v_ashrrev_i32_e32 v1, 31, v1
	v_xor_b32_e32 v3, v3, v1
	v_sub_u32_e32 v14, v3, v1
.LBB15_1426:
	s_or_b64 exec, exec, s[10:11]
.LBB15_1427:
	s_mov_b64 s[10:11], -1
.LBB15_1428:
	s_mov_b64 s[12:13], 0
.LBB15_1429:
	s_and_b64 vcc, exec, s[12:13]
	s_cbranch_vccz .LBB15_1460
; %bb.1430:
	s_cmp_gt_i32 s16, 22
	s_cbranch_scc0 .LBB15_1438
; %bb.1431:
	s_cmp_lt_i32 s16, 24
	s_cbranch_scc1 .LBB15_1441
; %bb.1432:
	s_cmp_gt_i32 s16, 24
	s_cbranch_scc0 .LBB15_1442
; %bb.1433:
	global_load_ubyte v1, v[16:17], off
	s_movk_i32 s8, 0x7f
	s_mov_b64 s[10:11], 0
	s_waitcnt vmcnt(0)
	v_cmp_lt_i16_e32 vcc, s8, v1
	s_and_saveexec_b64 s[8:9], vcc
	s_xor_b64 s[8:9], exec, s[8:9]
	s_cbranch_execz .LBB15_1454
; %bb.1434:
	s_movk_i32 s10, 0x80
	v_cmp_ne_u16_e32 vcc, s10, v1
	s_and_b64 s[10:11], vcc, exec
	s_andn2_saveexec_b64 s[8:9], s[8:9]
	s_cbranch_execnz .LBB15_1455
.LBB15_1435:
	s_or_b64 exec, exec, s[8:9]
	v_mov_b32_e32 v14, 0
	s_and_saveexec_b64 s[8:9], s[10:11]
	s_cbranch_execz .LBB15_1437
.LBB15_1436:
	v_lshlrev_b32_e32 v3, 24, v1
	v_and_b32_e32 v1, 0xffff, v1
	v_and_b32_e32 v5, 3, v1
	v_ffbh_u32_e32 v9, v5
	v_min_u32_e32 v9, 32, v9
	v_subrev_u32_e32 v11, 29, v9
	v_bfe_u32 v7, v1, 2, 5
	v_lshlrev_b32_e32 v1, v11, v1
	v_sub_u32_e32 v9, 30, v9
	v_and_b32_e32 v1, 3, v1
	v_cmp_eq_u32_e32 vcc, 0, v7
	v_and_b32_e32 v3, 0x80000000, v3
	s_mov_b32 s10, 0x2f800000
	v_cndmask_b32_e32 v7, v7, v9, vcc
	v_cndmask_b32_e32 v1, v5, v1, vcc
	v_mov_b32_e32 v5, 0x37800000
	v_lshlrev_b32_e32 v1, 21, v1
	v_lshl_add_u32 v5, v7, 23, v5
	v_or3_b32 v1, v3, v5, v1
	v_trunc_f32_e32 v1, v1
	v_mul_f32_e64 v3, |v1|, s10
	v_floor_f32_e32 v3, v3
	s_mov_b32 s10, 0xcf800000
	v_fma_f32 v3, v3, s10, |v1|
	v_cvt_u32_f32_e32 v3, v3
	v_ashrrev_i32_e32 v1, 31, v1
	v_xor_b32_e32 v3, v3, v1
	v_sub_u32_e32 v14, v3, v1
.LBB15_1437:
	s_or_b64 exec, exec, s[8:9]
	s_mov_b64 s[8:9], 0
	s_branch .LBB15_1443
.LBB15_1438:
	s_mov_b64 s[8:9], -1
                                        ; implicit-def: $vgpr14
	s_branch .LBB15_1449
.LBB15_1439:
	s_andn2_saveexec_b64 s[10:11], s[10:11]
	s_cbranch_execz .LBB15_1424
.LBB15_1440:
	v_cmp_ne_u16_e32 vcc, 0, v1
	s_andn2_b64 s[12:13], s[12:13], exec
	s_and_b64 s[18:19], vcc, exec
	s_or_b64 s[12:13], s[12:13], s[18:19]
	s_or_b64 exec, exec, s[10:11]
	v_mov_b32_e32 v14, 0
	s_and_saveexec_b64 s[10:11], s[12:13]
	s_cbranch_execnz .LBB15_1425
	s_branch .LBB15_1426
.LBB15_1441:
	s_mov_b64 s[8:9], -1
                                        ; implicit-def: $vgpr14
	s_branch .LBB15_1446
.LBB15_1442:
	s_mov_b64 s[8:9], -1
                                        ; implicit-def: $vgpr14
.LBB15_1443:
	s_and_b64 vcc, exec, s[8:9]
	s_cbranch_vccz .LBB15_1445
; %bb.1444:
	global_load_ubyte v1, v[16:17], off
	s_mov_b32 s8, 0x7f800000
	s_brev_b32 s9, 1
	s_mov_b32 s10, 0x2f800000
	s_waitcnt vmcnt(0)
	v_lshlrev_b32_e32 v1, 24, v1
	v_and_b32_e32 v3, 0x7f000000, v1
	v_ffbh_u32_e32 v5, v3
	v_min_u32_e32 v5, 32, v5
	v_sub_u32_e64 v5, v5, 4 clamp
	v_lshlrev_b32_e32 v9, v5, v3
	v_lshlrev_b32_e32 v5, 23, v5
	v_lshrrev_b32_e32 v9, 4, v9
	v_add_u32_e32 v7, 0x1000000, v3
	v_sub_u32_e32 v5, v9, v5
	v_ashrrev_i32_e32 v7, 8, v7
	v_add_u32_e32 v5, 0x3c000000, v5
	v_and_or_b32 v5, v7, s8, v5
	v_cmp_ne_u32_e32 vcc, 0, v3
	s_mov_b32 s8, 0xcf800000
	s_nop 0
	v_cndmask_b32_e32 v3, 0, v5, vcc
	v_and_or_b32 v1, v1, s9, v3
	v_trunc_f32_e32 v1, v1
	v_mul_f32_e64 v3, |v1|, s10
	v_floor_f32_e32 v3, v3
	v_fma_f32 v3, v3, s8, |v1|
	v_cvt_u32_f32_e32 v3, v3
	v_ashrrev_i32_e32 v1, 31, v1
	v_xor_b32_e32 v3, v3, v1
	v_sub_u32_e32 v14, v3, v1
.LBB15_1445:
	s_mov_b64 s[8:9], 0
.LBB15_1446:
	s_andn2_b64 vcc, exec, s[8:9]
	s_cbranch_vccnz .LBB15_1448
; %bb.1447:
	global_load_ubyte v1, v[16:17], off
	s_movk_i32 s8, 0x7f00
	s_brev_b32 s9, 16
	s_brev_b32 s10, 1
	s_mov_b32 s11, 0x2f800000
	s_waitcnt vmcnt(0)
	v_lshlrev_b16_e32 v3, 8, v1
	v_lshlrev_b32_e32 v1, 25, v1
	v_lshrrev_b32_e32 v5, 4, v1
	v_and_or_b32 v7, v3, s8, 0.5
	v_or_b32_e32 v5, 0x70000000, v5
	v_add_f32_e32 v7, -0.5, v7
	v_mul_f32_e32 v5, 0x7800000, v5
	v_cmp_gt_u32_e32 vcc, s9, v1
	v_bfe_i32 v3, v3, 0, 16
	s_mov_b32 s8, 0xcf800000
	v_cndmask_b32_e32 v1, v5, v7, vcc
	v_and_or_b32 v1, v3, s10, v1
	v_trunc_f32_e32 v1, v1
	v_mul_f32_e64 v3, |v1|, s11
	v_floor_f32_e32 v3, v3
	v_fma_f32 v3, v3, s8, |v1|
	v_cvt_u32_f32_e32 v3, v3
	v_ashrrev_i32_e32 v1, 31, v1
	v_xor_b32_e32 v3, v3, v1
	v_sub_u32_e32 v14, v3, v1
.LBB15_1448:
	s_mov_b64 s[8:9], 0
	s_mov_b64 s[10:11], -1
.LBB15_1449:
	s_andn2_b64 vcc, exec, s[8:9]
	s_mov_b64 s[8:9], 0
	s_cbranch_vccnz .LBB15_1460
; %bb.1450:
	s_cmp_gt_i32 s16, 14
	s_cbranch_scc0 .LBB15_1453
; %bb.1451:
	s_cmp_eq_u32 s16, 15
	s_cbranch_scc0 .LBB15_1456
; %bb.1452:
	global_load_ushort v1, v[16:17], off
	s_mov_b32 s0, 0x2f800000
	s_mov_b32 s1, 0xcf800000
	s_mov_b64 s[10:11], -1
	s_waitcnt vmcnt(0)
	v_lshlrev_b32_e32 v1, 16, v1
	v_trunc_f32_e32 v1, v1
	v_mul_f32_e64 v3, |v1|, s0
	v_floor_f32_e32 v3, v3
	v_fma_f32 v3, v3, s1, |v1|
	v_cvt_u32_f32_e32 v3, v3
	v_ashrrev_i32_e32 v1, 31, v1
	s_mov_b64 s[0:1], 0
	v_xor_b32_e32 v3, v3, v1
	v_sub_u32_e32 v14, v3, v1
	s_branch .LBB15_1457
.LBB15_1453:
	s_mov_b64 s[12:13], -1
                                        ; implicit-def: $vgpr14
	s_branch .LBB15_1458
.LBB15_1454:
	s_andn2_saveexec_b64 s[8:9], s[8:9]
	s_cbranch_execz .LBB15_1435
.LBB15_1455:
	v_cmp_ne_u16_e32 vcc, 0, v1
	s_andn2_b64 s[10:11], s[10:11], exec
	s_and_b64 s[12:13], vcc, exec
	s_or_b64 s[10:11], s[10:11], s[12:13]
	s_or_b64 exec, exec, s[8:9]
	v_mov_b32_e32 v14, 0
	s_and_saveexec_b64 s[8:9], s[10:11]
	s_cbranch_execnz .LBB15_1436
	s_branch .LBB15_1437
.LBB15_1456:
	s_mov_b64 s[0:1], -1
                                        ; implicit-def: $vgpr14
.LBB15_1457:
	s_mov_b64 s[12:13], 0
.LBB15_1458:
	s_and_b64 vcc, exec, s[12:13]
	s_cbranch_vccz .LBB15_1460
; %bb.1459:
	s_cmp_lg_u32 s16, 11
	s_mov_b64 s[8:9], -1
	s_cselect_b64 s[0:1], -1, 0
.LBB15_1460:
	s_and_b64 vcc, exec, s[0:1]
	s_cbranch_vccnz .LBB15_1558
; %bb.1461:
	s_andn2_b64 vcc, exec, s[8:9]
	s_cbranch_vccnz .LBB15_1463
.LBB15_1462:
	global_load_ubyte v1, v[16:17], off
	s_mov_b64 s[10:11], -1
	s_waitcnt vmcnt(0)
	v_cmp_ne_u16_e32 vcc, 0, v1
	s_nop 1
	v_cndmask_b32_e64 v14, 0, 1, vcc
.LBB15_1463:
	s_branch .LBB15_1383
.LBB15_1464:
	s_and_b32 s8, 0xffff, s15
	s_cmp_lt_i32 s8, 5
	s_cbranch_scc1 .LBB15_1469
; %bb.1465:
	s_cmp_lt_i32 s8, 8
	s_cbranch_scc1 .LBB15_1470
; %bb.1466:
	;; [unrolled: 3-line block ×3, first 2 shown]
	s_cmp_gt_i32 s8, 9
	s_cbranch_scc0 .LBB15_1472
; %bb.1468:
	global_load_dwordx2 v[14:15], v[16:17], off
	s_movk_i32 s0, 0xffe0
	s_waitcnt vmcnt(0)
	v_trunc_f64_e32 v[14:15], v[14:15]
	v_ldexp_f64 v[18:19], v[14:15], s0
	v_floor_f64_e32 v[18:19], v[18:19]
	v_fmac_f64_e32 v[14:15], 0xc1f00000, v[18:19]
	v_cvt_u32_f64_e32 v14, v[14:15]
	s_mov_b64 s[0:1], 0
	s_branch .LBB15_1473
.LBB15_1469:
	s_mov_b64 s[0:1], -1
                                        ; implicit-def: $vgpr14
	s_branch .LBB15_1491
.LBB15_1470:
	s_mov_b64 s[0:1], -1
                                        ; implicit-def: $vgpr14
	s_branch .LBB15_1479
.LBB15_1471:
	s_mov_b64 s[0:1], -1
                                        ; implicit-def: $vgpr14
	s_branch .LBB15_1476
.LBB15_1472:
	s_mov_b64 s[0:1], -1
                                        ; implicit-def: $vgpr14
.LBB15_1473:
	s_andn2_b64 vcc, exec, s[0:1]
	s_cbranch_vccnz .LBB15_1475
; %bb.1474:
	global_load_dword v1, v[16:17], off
	s_mov_b32 s0, 0x2f800000
	s_waitcnt vmcnt(0)
	v_trunc_f32_e32 v1, v1
	v_mul_f32_e64 v3, |v1|, s0
	v_floor_f32_e32 v3, v3
	s_mov_b32 s0, 0xcf800000
	v_fma_f32 v3, v3, s0, |v1|
	v_cvt_u32_f32_e32 v3, v3
	v_ashrrev_i32_e32 v1, 31, v1
	v_xor_b32_e32 v3, v3, v1
	v_sub_u32_e32 v14, v3, v1
.LBB15_1475:
	s_mov_b64 s[0:1], 0
.LBB15_1476:
	s_andn2_b64 vcc, exec, s[0:1]
	s_cbranch_vccnz .LBB15_1478
; %bb.1477:
	global_load_dword v1, v[16:17], off
	s_waitcnt vmcnt(0)
	v_cvt_f32_f16_e32 v1, v1
	v_cvt_i32_f32_e32 v14, v1
.LBB15_1478:
	s_mov_b64 s[0:1], 0
.LBB15_1479:
	s_andn2_b64 vcc, exec, s[0:1]
	s_cbranch_vccnz .LBB15_1490
; %bb.1480:
	s_cmp_lt_i32 s8, 6
	s_cbranch_scc1 .LBB15_1483
; %bb.1481:
	s_cmp_gt_i32 s8, 6
	s_cbranch_scc0 .LBB15_1484
; %bb.1482:
	global_load_dwordx2 v[14:15], v[16:17], off
	s_movk_i32 s0, 0xffe0
	s_waitcnt vmcnt(0)
	v_trunc_f64_e32 v[14:15], v[14:15]
	v_ldexp_f64 v[18:19], v[14:15], s0
	v_floor_f64_e32 v[18:19], v[18:19]
	v_fmac_f64_e32 v[14:15], 0xc1f00000, v[18:19]
	v_cvt_u32_f64_e32 v14, v[14:15]
	s_mov_b64 s[0:1], 0
	s_branch .LBB15_1485
.LBB15_1483:
	s_mov_b64 s[0:1], -1
                                        ; implicit-def: $vgpr14
	s_branch .LBB15_1488
.LBB15_1484:
	s_mov_b64 s[0:1], -1
                                        ; implicit-def: $vgpr14
.LBB15_1485:
	s_andn2_b64 vcc, exec, s[0:1]
	s_cbranch_vccnz .LBB15_1487
; %bb.1486:
	global_load_dword v1, v[16:17], off
	s_mov_b32 s0, 0x2f800000
	s_waitcnt vmcnt(0)
	v_trunc_f32_e32 v1, v1
	v_mul_f32_e64 v3, |v1|, s0
	v_floor_f32_e32 v3, v3
	s_mov_b32 s0, 0xcf800000
	v_fma_f32 v3, v3, s0, |v1|
	v_cvt_u32_f32_e32 v3, v3
	v_ashrrev_i32_e32 v1, 31, v1
	v_xor_b32_e32 v3, v3, v1
	v_sub_u32_e32 v14, v3, v1
.LBB15_1487:
	s_mov_b64 s[0:1], 0
.LBB15_1488:
	s_andn2_b64 vcc, exec, s[0:1]
	s_cbranch_vccnz .LBB15_1490
; %bb.1489:
	global_load_ushort v1, v[16:17], off
	s_waitcnt vmcnt(0)
	v_cvt_f32_f16_e32 v1, v1
	v_cvt_i32_f32_e32 v14, v1
.LBB15_1490:
	s_mov_b64 s[0:1], 0
.LBB15_1491:
	s_andn2_b64 vcc, exec, s[0:1]
	s_cbranch_vccnz .LBB15_1511
; %bb.1492:
	s_cmp_lt_i32 s8, 2
	s_cbranch_scc1 .LBB15_1496
; %bb.1493:
	s_cmp_lt_i32 s8, 3
	s_cbranch_scc1 .LBB15_1497
; %bb.1494:
	s_cmp_gt_i32 s8, 3
	s_cbranch_scc0 .LBB15_1498
; %bb.1495:
	global_load_dwordx2 v[14:15], v[16:17], off
	s_mov_b64 s[0:1], 0
	s_branch .LBB15_1499
.LBB15_1496:
	s_mov_b64 s[0:1], -1
                                        ; implicit-def: $vgpr14
	s_branch .LBB15_1505
.LBB15_1497:
	s_mov_b64 s[0:1], -1
                                        ; implicit-def: $vgpr14
	s_branch .LBB15_1502
.LBB15_1498:
	s_mov_b64 s[0:1], -1
                                        ; implicit-def: $vgpr14
.LBB15_1499:
	s_andn2_b64 vcc, exec, s[0:1]
	s_cbranch_vccnz .LBB15_1501
; %bb.1500:
	global_load_dword v14, v[16:17], off
.LBB15_1501:
	s_mov_b64 s[0:1], 0
.LBB15_1502:
	s_andn2_b64 vcc, exec, s[0:1]
	s_cbranch_vccnz .LBB15_1504
; %bb.1503:
	global_load_ushort v14, v[16:17], off
.LBB15_1504:
	s_mov_b64 s[0:1], 0
.LBB15_1505:
	s_andn2_b64 vcc, exec, s[0:1]
	s_cbranch_vccnz .LBB15_1511
; %bb.1506:
	s_cmp_gt_i32 s8, 0
	s_cbranch_scc0 .LBB15_1508
; %bb.1507:
	global_load_ubyte v14, v[16:17], off
	s_mov_b64 s[0:1], 0
	s_branch .LBB15_1509
.LBB15_1508:
	s_mov_b64 s[0:1], -1
                                        ; implicit-def: $vgpr14
.LBB15_1509:
	s_andn2_b64 vcc, exec, s[0:1]
	s_cbranch_vccnz .LBB15_1511
; %bb.1510:
	global_load_ubyte v14, v[16:17], off
.LBB15_1511:
	s_branch .LBB15_1384
.LBB15_1512:
	s_mov_b64 s[0:1], 0
                                        ; implicit-def: $vgpr0_vgpr1
                                        ; implicit-def: $sgpr14
                                        ; implicit-def: $vgpr2
                                        ; implicit-def: $vgpr12
.LBB15_1513:
	s_mov_b64 s[4:5], 0
.LBB15_1514:
	s_and_b64 s[6:7], s[0:1], exec
	s_andn2_b64 s[0:1], s[24:25], exec
	s_and_b64 s[2:3], s[2:3], exec
	s_and_b64 s[40:41], s[4:5], exec
	s_or_b64 s[24:25], s[0:1], s[2:3]
.LBB15_1515:
	s_or_b64 exec, exec, s[26:27]
	s_and_saveexec_b64 s[0:1], s[24:25]
	s_cbranch_execz .LBB15_1518
; %bb.1516:
	; divergent unreachable
	s_or_b64 exec, exec, s[0:1]
	s_and_saveexec_b64 s[0:1], s[40:41]
	s_xor_b64 s[0:1], exec, s[0:1]
	s_cbranch_execnz .LBB15_1519
.LBB15_1517:
	s_or_b64 exec, exec, s[0:1]
	s_and_saveexec_b64 s[0:1], s[6:7]
	s_cbranch_execnz .LBB15_1520
	s_branch .LBB15_1557
.LBB15_1518:
	s_or_b64 exec, exec, s[0:1]
	s_and_saveexec_b64 s[0:1], s[40:41]
	s_xor_b64 s[0:1], exec, s[0:1]
	s_cbranch_execz .LBB15_1517
.LBB15_1519:
	s_movk_i32 s2, 0xff
	s_waitcnt vmcnt(0)
	v_cmp_ne_u16_sdwa s[2:3], v12, s2 src0_sel:BYTE_0 src1_sel:DWORD
	s_nop 1
	v_cndmask_b32_e64 v3, 0, 1, s[2:3]
	global_store_byte v[0:1], v3, off
	s_or_b64 exec, exec, s[0:1]
	s_and_saveexec_b64 s[0:1], s[6:7]
	s_cbranch_execz .LBB15_1557
.LBB15_1520:
	s_sext_i32_i16 s2, s14
	s_cmp_lt_i32 s2, 5
	s_mov_b64 s[0:1], -1
	s_cbranch_scc1 .LBB15_1541
; %bb.1521:
	s_cmp_lt_i32 s2, 8
	s_cbranch_scc1 .LBB15_1531
; %bb.1522:
	s_cmp_lt_i32 s2, 9
	s_cbranch_scc1 .LBB15_1528
; %bb.1523:
	s_cmp_gt_i32 s2, 9
	s_cbranch_scc0 .LBB15_1525
; %bb.1524:
	s_mov_b32 s0, 0xffff
	s_waitcnt vmcnt(0)
	v_and_b32_sdwa v3, s0, v2 dst_sel:DWORD dst_unused:UNUSED_PAD src0_sel:DWORD src1_sel:BYTE_0
	v_mov_b32_e32 v6, 0
	v_cvt_f64_u32_e32 v[4:5], v3
	v_mov_b32_e32 v7, v6
	global_store_dwordx4 v[0:1], v[4:7], off
	s_mov_b64 s[0:1], 0
.LBB15_1525:
	s_andn2_b64 vcc, exec, s[0:1]
	s_cbranch_vccnz .LBB15_1527
; %bb.1526:
	s_waitcnt vmcnt(0)
	v_cvt_f32_ubyte0_e32 v4, v2
	v_mov_b32_e32 v5, 0
	global_store_dwordx2 v[0:1], v[4:5], off
.LBB15_1527:
	s_mov_b64 s[0:1], 0
.LBB15_1528:
	s_andn2_b64 vcc, exec, s[0:1]
	s_cbranch_vccnz .LBB15_1530
; %bb.1529:
	s_waitcnt vmcnt(0)
	v_cvt_f16_u16_sdwa v3, v2 dst_sel:DWORD dst_unused:UNUSED_PAD src0_sel:BYTE_0
	global_store_dword v[0:1], v3, off
.LBB15_1530:
	s_mov_b64 s[0:1], 0
.LBB15_1531:
	s_andn2_b64 vcc, exec, s[0:1]
	s_cbranch_vccnz .LBB15_1540
; %bb.1532:
	s_sext_i32_i16 s2, s14
	s_cmp_lt_i32 s2, 6
	s_mov_b64 s[0:1], -1
	s_cbranch_scc1 .LBB15_1538
; %bb.1533:
	s_cmp_gt_i32 s2, 6
	s_cbranch_scc0 .LBB15_1535
; %bb.1534:
	s_mov_b32 s0, 0xffff
	s_waitcnt vmcnt(0)
	v_and_b32_sdwa v3, s0, v2 dst_sel:DWORD dst_unused:UNUSED_PAD src0_sel:DWORD src1_sel:BYTE_0
	v_cvt_f64_u32_e32 v[4:5], v3
	global_store_dwordx2 v[0:1], v[4:5], off
	s_mov_b64 s[0:1], 0
.LBB15_1535:
	s_andn2_b64 vcc, exec, s[0:1]
	s_cbranch_vccnz .LBB15_1537
; %bb.1536:
	s_waitcnt vmcnt(0)
	v_cvt_f32_ubyte0_e32 v3, v2
	global_store_dword v[0:1], v3, off
.LBB15_1537:
	s_mov_b64 s[0:1], 0
.LBB15_1538:
	s_andn2_b64 vcc, exec, s[0:1]
	s_cbranch_vccnz .LBB15_1540
; %bb.1539:
	s_waitcnt vmcnt(0)
	v_cvt_f16_u16_sdwa v3, v2 dst_sel:DWORD dst_unused:UNUSED_PAD src0_sel:BYTE_0
	global_store_short v[0:1], v3, off
.LBB15_1540:
	s_mov_b64 s[0:1], 0
.LBB15_1541:
	s_andn2_b64 vcc, exec, s[0:1]
	s_cbranch_vccnz .LBB15_1557
; %bb.1542:
	s_sext_i32_i16 s2, s14
	s_cmp_lt_i32 s2, 2
	s_mov_b64 s[0:1], -1
	s_cbranch_scc1 .LBB15_1552
; %bb.1543:
	s_cmp_lt_i32 s2, 3
	s_cbranch_scc1 .LBB15_1549
; %bb.1544:
	s_cmp_gt_i32 s2, 3
	s_cbranch_scc0 .LBB15_1546
; %bb.1545:
	s_waitcnt vmcnt(0)
	v_and_b32_e32 v4, 0xff, v2
	v_mov_b32_e32 v5, 0
	global_store_dwordx2 v[0:1], v[4:5], off
	s_mov_b64 s[0:1], 0
.LBB15_1546:
	s_andn2_b64 vcc, exec, s[0:1]
	s_cbranch_vccnz .LBB15_1548
; %bb.1547:
	s_waitcnt vmcnt(0)
	v_and_b32_e32 v3, 0xff, v2
	global_store_dword v[0:1], v3, off
.LBB15_1548:
	s_mov_b64 s[0:1], 0
.LBB15_1549:
	s_andn2_b64 vcc, exec, s[0:1]
	s_cbranch_vccnz .LBB15_1551
; %bb.1550:
	s_waitcnt vmcnt(0)
	v_and_b32_e32 v3, 0xff, v2
	global_store_short v[0:1], v3, off
.LBB15_1551:
	s_mov_b64 s[0:1], 0
.LBB15_1552:
	s_andn2_b64 vcc, exec, s[0:1]
	s_cbranch_vccnz .LBB15_1557
; %bb.1553:
	s_sext_i32_i16 s0, s14
	s_cmp_gt_i32 s0, 0
	s_mov_b64 s[0:1], -1
	s_cbranch_scc0 .LBB15_1555
; %bb.1554:
	s_waitcnt vmcnt(0)
	global_store_byte v[0:1], v2, off
	s_mov_b64 s[0:1], 0
.LBB15_1555:
	s_andn2_b64 vcc, exec, s[0:1]
	s_cbranch_vccnz .LBB15_1557
; %bb.1556:
	s_waitcnt vmcnt(0)
	global_store_byte v[0:1], v2, off
	s_endpgm
.LBB15_1557:
	s_endpgm
.LBB15_1558:
	s_trap 2
	s_or_b64 s[2:3], s[2:3], exec
	s_cbranch_execz .LBB15_1462
	s_branch .LBB15_1463
.LBB15_1559:
	s_mov_b64 s[0:1], -1
                                        ; implicit-def: $vgpr12
	s_mov_b64 s[8:9], 0
.LBB15_1560:
	s_and_b64 vcc, exec, s[10:11]
	s_cbranch_vccz .LBB15_1564
; %bb.1561:
	s_cmp_eq_u32 s12, 44
	s_cbranch_scc0 .LBB15_1563
; %bb.1562:
	global_load_ubyte v1, v[16:17], off
	s_mov_b32 s0, 0x2f800000
	s_mov_b32 s1, 0xcf800000
	s_mov_b64 s[8:9], -1
	s_waitcnt vmcnt(0)
	v_lshlrev_b32_e32 v3, 23, v1
	v_trunc_f32_e32 v3, v3
	v_mul_f32_e64 v5, |v3|, s0
	v_floor_f32_e32 v5, v5
	v_fma_f32 v5, v5, s1, |v3|
	v_cvt_u32_f32_e32 v5, v5
	v_ashrrev_i32_e32 v3, 31, v3
	v_cmp_ne_u32_e32 vcc, 0, v1
	s_mov_b64 s[0:1], 0
	v_xor_b32_e32 v5, v5, v3
	v_sub_u32_e32 v3, v5, v3
	v_cndmask_b32_e32 v12, 0, v3, vcc
	s_branch .LBB15_1564
.LBB15_1563:
	s_mov_b64 s[0:1], -1
                                        ; implicit-def: $vgpr12
.LBB15_1564:
	s_mov_b64 s[10:11], 0
.LBB15_1565:
	s_and_b64 vcc, exec, s[10:11]
	s_cbranch_vccz .LBB15_1569
; %bb.1566:
	s_cmp_eq_u32 s12, 29
	s_cbranch_scc0 .LBB15_1568
; %bb.1567:
	global_load_dwordx2 v[12:13], v[16:17], off
	s_mov_b64 s[0:1], 0
	s_mov_b64 s[8:9], -1
	s_branch .LBB15_1569
.LBB15_1568:
	s_mov_b64 s[0:1], -1
                                        ; implicit-def: $vgpr12
.LBB15_1569:
	s_mov_b64 s[10:11], 0
.LBB15_1570:
	s_and_b64 vcc, exec, s[10:11]
	s_cbranch_vccz .LBB15_1586
; %bb.1571:
	s_cmp_lt_i32 s12, 27
	s_cbranch_scc1 .LBB15_1574
; %bb.1572:
	s_cmp_gt_i32 s12, 27
	s_cbranch_scc0 .LBB15_1575
; %bb.1573:
	global_load_dword v12, v[16:17], off
	s_mov_b64 s[8:9], 0
	s_branch .LBB15_1576
.LBB15_1574:
	s_mov_b64 s[8:9], -1
                                        ; implicit-def: $vgpr12
	s_branch .LBB15_1579
.LBB15_1575:
	s_mov_b64 s[8:9], -1
                                        ; implicit-def: $vgpr12
.LBB15_1576:
	s_andn2_b64 vcc, exec, s[8:9]
	s_cbranch_vccnz .LBB15_1578
; %bb.1577:
	global_load_ushort v12, v[16:17], off
.LBB15_1578:
	s_mov_b64 s[8:9], 0
.LBB15_1579:
	s_andn2_b64 vcc, exec, s[8:9]
	s_cbranch_vccnz .LBB15_1585
; %bb.1580:
	global_load_ubyte v1, v[16:17], off
	s_movk_i32 s8, 0x7f
	s_mov_b64 s[10:11], 0
	s_waitcnt vmcnt(0)
	v_cmp_lt_i16_e32 vcc, s8, v1
	s_and_saveexec_b64 s[8:9], vcc
	s_xor_b64 s[8:9], exec, s[8:9]
	s_cbranch_execz .LBB15_1597
; %bb.1581:
	s_movk_i32 s10, 0x80
	v_cmp_ne_u16_e32 vcc, s10, v1
	s_and_b64 s[10:11], vcc, exec
	s_andn2_saveexec_b64 s[8:9], s[8:9]
	s_cbranch_execnz .LBB15_1598
.LBB15_1582:
	s_or_b64 exec, exec, s[8:9]
	v_mov_b32_e32 v12, 0
	s_and_saveexec_b64 s[8:9], s[10:11]
	s_cbranch_execz .LBB15_1584
.LBB15_1583:
	v_lshlrev_b32_e32 v3, 24, v1
	v_and_b32_e32 v1, 0xffff, v1
	v_and_b32_e32 v5, 7, v1
	v_ffbh_u32_e32 v9, v5
	v_min_u32_e32 v9, 32, v9
	v_subrev_u32_e32 v11, 28, v9
	v_bfe_u32 v7, v1, 3, 4
	v_lshlrev_b32_e32 v1, v11, v1
	v_sub_u32_e32 v9, 29, v9
	v_and_b32_e32 v1, 7, v1
	v_cmp_eq_u32_e32 vcc, 0, v7
	v_and_b32_e32 v3, 0x80000000, v3
	s_mov_b32 s10, 0x2f800000
	v_cndmask_b32_e32 v7, v7, v9, vcc
	v_cndmask_b32_e32 v1, v5, v1, vcc
	v_mov_b32_e32 v5, 0x3b800000
	v_lshlrev_b32_e32 v1, 20, v1
	v_lshl_add_u32 v5, v7, 23, v5
	v_or3_b32 v1, v3, v5, v1
	v_trunc_f32_e32 v1, v1
	v_mul_f32_e64 v3, |v1|, s10
	v_floor_f32_e32 v3, v3
	s_mov_b32 s10, 0xcf800000
	v_fma_f32 v3, v3, s10, |v1|
	v_cvt_u32_f32_e32 v3, v3
	v_ashrrev_i32_e32 v1, 31, v1
	v_xor_b32_e32 v3, v3, v1
	v_sub_u32_e32 v12, v3, v1
.LBB15_1584:
	s_or_b64 exec, exec, s[8:9]
.LBB15_1585:
	s_mov_b64 s[8:9], -1
.LBB15_1586:
	s_mov_b64 s[10:11], 0
.LBB15_1587:
	s_and_b64 vcc, exec, s[10:11]
	s_cbranch_vccz .LBB15_1618
; %bb.1588:
	s_cmp_gt_i32 s12, 22
	s_cbranch_scc0 .LBB15_1596
; %bb.1589:
	s_cmp_lt_i32 s12, 24
	s_cbranch_scc1 .LBB15_1599
; %bb.1590:
	s_cmp_gt_i32 s12, 24
	s_cbranch_scc0 .LBB15_1600
; %bb.1591:
	global_load_ubyte v1, v[16:17], off
	s_movk_i32 s6, 0x7f
	s_mov_b64 s[8:9], 0
	s_waitcnt vmcnt(0)
	v_cmp_lt_i16_e32 vcc, s6, v1
	s_and_saveexec_b64 s[6:7], vcc
	s_xor_b64 s[6:7], exec, s[6:7]
	s_cbranch_execz .LBB15_1612
; %bb.1592:
	s_movk_i32 s8, 0x80
	v_cmp_ne_u16_e32 vcc, s8, v1
	s_and_b64 s[8:9], vcc, exec
	s_andn2_saveexec_b64 s[6:7], s[6:7]
	s_cbranch_execnz .LBB15_1613
.LBB15_1593:
	s_or_b64 exec, exec, s[6:7]
	v_mov_b32_e32 v12, 0
	s_and_saveexec_b64 s[6:7], s[8:9]
	s_cbranch_execz .LBB15_1595
.LBB15_1594:
	v_lshlrev_b32_e32 v3, 24, v1
	v_and_b32_e32 v1, 0xffff, v1
	v_and_b32_e32 v5, 3, v1
	v_ffbh_u32_e32 v9, v5
	v_min_u32_e32 v9, 32, v9
	v_subrev_u32_e32 v11, 29, v9
	v_bfe_u32 v7, v1, 2, 5
	v_lshlrev_b32_e32 v1, v11, v1
	v_sub_u32_e32 v9, 30, v9
	v_and_b32_e32 v1, 3, v1
	v_cmp_eq_u32_e32 vcc, 0, v7
	v_and_b32_e32 v3, 0x80000000, v3
	s_mov_b32 s8, 0x2f800000
	v_cndmask_b32_e32 v7, v7, v9, vcc
	v_cndmask_b32_e32 v1, v5, v1, vcc
	v_mov_b32_e32 v5, 0x37800000
	v_lshlrev_b32_e32 v1, 21, v1
	v_lshl_add_u32 v5, v7, 23, v5
	v_or3_b32 v1, v3, v5, v1
	v_trunc_f32_e32 v1, v1
	v_mul_f32_e64 v3, |v1|, s8
	v_floor_f32_e32 v3, v3
	s_mov_b32 s8, 0xcf800000
	v_fma_f32 v3, v3, s8, |v1|
	v_cvt_u32_f32_e32 v3, v3
	v_ashrrev_i32_e32 v1, 31, v1
	v_xor_b32_e32 v3, v3, v1
	v_sub_u32_e32 v12, v3, v1
.LBB15_1595:
	s_or_b64 exec, exec, s[6:7]
	s_mov_b64 s[6:7], 0
	s_branch .LBB15_1601
.LBB15_1596:
	s_mov_b64 s[6:7], -1
                                        ; implicit-def: $vgpr12
	s_branch .LBB15_1607
.LBB15_1597:
	s_andn2_saveexec_b64 s[8:9], s[8:9]
	s_cbranch_execz .LBB15_1582
.LBB15_1598:
	v_cmp_ne_u16_e32 vcc, 0, v1
	s_andn2_b64 s[10:11], s[10:11], exec
	s_and_b64 s[16:17], vcc, exec
	s_or_b64 s[10:11], s[10:11], s[16:17]
	s_or_b64 exec, exec, s[8:9]
	v_mov_b32_e32 v12, 0
	s_and_saveexec_b64 s[8:9], s[10:11]
	s_cbranch_execnz .LBB15_1583
	s_branch .LBB15_1584
.LBB15_1599:
	s_mov_b64 s[6:7], -1
                                        ; implicit-def: $vgpr12
	s_branch .LBB15_1604
.LBB15_1600:
	s_mov_b64 s[6:7], -1
                                        ; implicit-def: $vgpr12
.LBB15_1601:
	s_and_b64 vcc, exec, s[6:7]
	s_cbranch_vccz .LBB15_1603
; %bb.1602:
	global_load_ubyte v1, v[16:17], off
	s_mov_b32 s6, 0x7f800000
	s_brev_b32 s7, 1
	s_mov_b32 s8, 0x2f800000
	s_waitcnt vmcnt(0)
	v_lshlrev_b32_e32 v1, 24, v1
	v_and_b32_e32 v3, 0x7f000000, v1
	v_ffbh_u32_e32 v5, v3
	v_min_u32_e32 v5, 32, v5
	v_sub_u32_e64 v5, v5, 4 clamp
	v_lshlrev_b32_e32 v9, v5, v3
	v_lshlrev_b32_e32 v5, 23, v5
	v_lshrrev_b32_e32 v9, 4, v9
	v_add_u32_e32 v7, 0x1000000, v3
	v_sub_u32_e32 v5, v9, v5
	v_ashrrev_i32_e32 v7, 8, v7
	v_add_u32_e32 v5, 0x3c000000, v5
	v_and_or_b32 v5, v7, s6, v5
	v_cmp_ne_u32_e32 vcc, 0, v3
	s_mov_b32 s6, 0xcf800000
	s_nop 0
	v_cndmask_b32_e32 v3, 0, v5, vcc
	v_and_or_b32 v1, v1, s7, v3
	v_trunc_f32_e32 v1, v1
	v_mul_f32_e64 v3, |v1|, s8
	v_floor_f32_e32 v3, v3
	v_fma_f32 v3, v3, s6, |v1|
	v_cvt_u32_f32_e32 v3, v3
	v_ashrrev_i32_e32 v1, 31, v1
	v_xor_b32_e32 v3, v3, v1
	v_sub_u32_e32 v12, v3, v1
.LBB15_1603:
	s_mov_b64 s[6:7], 0
.LBB15_1604:
	s_andn2_b64 vcc, exec, s[6:7]
	s_cbranch_vccnz .LBB15_1606
; %bb.1605:
	global_load_ubyte v1, v[16:17], off
	s_movk_i32 s6, 0x7f00
	s_brev_b32 s7, 16
	s_brev_b32 s8, 1
	s_mov_b32 s9, 0x2f800000
	s_waitcnt vmcnt(0)
	v_lshlrev_b16_e32 v3, 8, v1
	v_lshlrev_b32_e32 v1, 25, v1
	v_lshrrev_b32_e32 v5, 4, v1
	v_and_or_b32 v7, v3, s6, 0.5
	v_or_b32_e32 v5, 0x70000000, v5
	v_add_f32_e32 v7, -0.5, v7
	v_mul_f32_e32 v5, 0x7800000, v5
	v_cmp_gt_u32_e32 vcc, s7, v1
	v_bfe_i32 v3, v3, 0, 16
	s_mov_b32 s6, 0xcf800000
	v_cndmask_b32_e32 v1, v5, v7, vcc
	v_and_or_b32 v1, v3, s8, v1
	v_trunc_f32_e32 v1, v1
	v_mul_f32_e64 v3, |v1|, s9
	v_floor_f32_e32 v3, v3
	v_fma_f32 v3, v3, s6, |v1|
	v_cvt_u32_f32_e32 v3, v3
	v_ashrrev_i32_e32 v1, 31, v1
	v_xor_b32_e32 v3, v3, v1
	v_sub_u32_e32 v12, v3, v1
.LBB15_1606:
	s_mov_b64 s[6:7], 0
	s_mov_b64 s[8:9], -1
.LBB15_1607:
	s_andn2_b64 vcc, exec, s[6:7]
	s_mov_b64 s[6:7], 0
	s_cbranch_vccnz .LBB15_1618
; %bb.1608:
	s_cmp_gt_i32 s12, 14
	s_cbranch_scc0 .LBB15_1611
; %bb.1609:
	s_cmp_eq_u32 s12, 15
	s_cbranch_scc0 .LBB15_1614
; %bb.1610:
	global_load_ushort v1, v[16:17], off
	s_mov_b32 s0, 0x2f800000
	s_mov_b32 s1, 0xcf800000
	s_mov_b64 s[8:9], -1
	s_waitcnt vmcnt(0)
	v_lshlrev_b32_e32 v1, 16, v1
	v_trunc_f32_e32 v1, v1
	v_mul_f32_e64 v3, |v1|, s0
	v_floor_f32_e32 v3, v3
	v_fma_f32 v3, v3, s1, |v1|
	v_cvt_u32_f32_e32 v3, v3
	v_ashrrev_i32_e32 v1, 31, v1
	s_mov_b64 s[0:1], 0
	v_xor_b32_e32 v3, v3, v1
	v_sub_u32_e32 v12, v3, v1
	s_branch .LBB15_1615
.LBB15_1611:
	s_mov_b64 s[10:11], -1
                                        ; implicit-def: $vgpr12
	s_branch .LBB15_1616
.LBB15_1612:
	s_andn2_saveexec_b64 s[6:7], s[6:7]
	s_cbranch_execz .LBB15_1593
.LBB15_1613:
	v_cmp_ne_u16_e32 vcc, 0, v1
	s_andn2_b64 s[8:9], s[8:9], exec
	s_and_b64 s[10:11], vcc, exec
	s_or_b64 s[8:9], s[8:9], s[10:11]
	s_or_b64 exec, exec, s[6:7]
	v_mov_b32_e32 v12, 0
	s_and_saveexec_b64 s[6:7], s[8:9]
	s_cbranch_execnz .LBB15_1594
	s_branch .LBB15_1595
.LBB15_1614:
	s_mov_b64 s[0:1], -1
                                        ; implicit-def: $vgpr12
.LBB15_1615:
	s_mov_b64 s[10:11], 0
.LBB15_1616:
	s_and_b64 vcc, exec, s[10:11]
	s_cbranch_vccz .LBB15_1618
; %bb.1617:
	s_cmp_lg_u32 s12, 11
	s_mov_b64 s[6:7], -1
	s_cselect_b64 s[0:1], -1, 0
.LBB15_1618:
	s_and_b64 vcc, exec, s[0:1]
	s_cbranch_vccnz .LBB15_2107
; %bb.1619:
	s_andn2_b64 vcc, exec, s[6:7]
	s_cbranch_vccnz .LBB15_1621
.LBB15_1620:
	global_load_ubyte v1, v[16:17], off
	s_mov_b64 s[8:9], -1
	s_waitcnt vmcnt(0)
	v_cmp_ne_u16_e32 vcc, 0, v1
	s_nop 1
	v_cndmask_b32_e64 v12, 0, 1, vcc
.LBB15_1621:
	s_mov_b64 s[0:1], 0
.LBB15_1622:
	s_and_b64 vcc, exec, s[0:1]
	s_cbranch_vccz .LBB15_1671
; %bb.1623:
	s_and_b32 s6, 0xffff, s15
	s_cmp_lt_i32 s6, 5
	s_cbranch_scc1 .LBB15_1628
; %bb.1624:
	s_cmp_lt_i32 s6, 8
	s_cbranch_scc1 .LBB15_1629
; %bb.1625:
	;; [unrolled: 3-line block ×3, first 2 shown]
	s_cmp_gt_i32 s6, 9
	s_cbranch_scc0 .LBB15_1631
; %bb.1627:
	global_load_dwordx2 v[12:13], v[16:17], off
	s_movk_i32 s0, 0xffe0
	s_waitcnt vmcnt(0)
	v_trunc_f64_e32 v[12:13], v[12:13]
	v_ldexp_f64 v[18:19], v[12:13], s0
	v_floor_f64_e32 v[18:19], v[18:19]
	v_fmac_f64_e32 v[12:13], 0xc1f00000, v[18:19]
	v_cvt_u32_f64_e32 v12, v[12:13]
	s_mov_b64 s[0:1], 0
	s_branch .LBB15_1632
.LBB15_1628:
	s_mov_b64 s[0:1], -1
                                        ; implicit-def: $vgpr12
	s_branch .LBB15_1650
.LBB15_1629:
	s_mov_b64 s[0:1], -1
                                        ; implicit-def: $vgpr12
	s_branch .LBB15_1638
.LBB15_1630:
	s_mov_b64 s[0:1], -1
                                        ; implicit-def: $vgpr12
	s_branch .LBB15_1635
.LBB15_1631:
	s_mov_b64 s[0:1], -1
                                        ; implicit-def: $vgpr12
.LBB15_1632:
	s_andn2_b64 vcc, exec, s[0:1]
	s_cbranch_vccnz .LBB15_1634
; %bb.1633:
	global_load_dword v1, v[16:17], off
	s_mov_b32 s0, 0x2f800000
	s_waitcnt vmcnt(0)
	v_trunc_f32_e32 v1, v1
	v_mul_f32_e64 v3, |v1|, s0
	v_floor_f32_e32 v3, v3
	s_mov_b32 s0, 0xcf800000
	v_fma_f32 v3, v3, s0, |v1|
	v_cvt_u32_f32_e32 v3, v3
	v_ashrrev_i32_e32 v1, 31, v1
	v_xor_b32_e32 v3, v3, v1
	v_sub_u32_e32 v12, v3, v1
.LBB15_1634:
	s_mov_b64 s[0:1], 0
.LBB15_1635:
	s_andn2_b64 vcc, exec, s[0:1]
	s_cbranch_vccnz .LBB15_1637
; %bb.1636:
	global_load_dword v1, v[16:17], off
	s_waitcnt vmcnt(0)
	v_cvt_f32_f16_e32 v1, v1
	v_cvt_i32_f32_e32 v12, v1
.LBB15_1637:
	s_mov_b64 s[0:1], 0
.LBB15_1638:
	s_andn2_b64 vcc, exec, s[0:1]
	s_cbranch_vccnz .LBB15_1649
; %bb.1639:
	s_cmp_lt_i32 s6, 6
	s_cbranch_scc1 .LBB15_1642
; %bb.1640:
	s_cmp_gt_i32 s6, 6
	s_cbranch_scc0 .LBB15_1643
; %bb.1641:
	global_load_dwordx2 v[12:13], v[16:17], off
	s_movk_i32 s0, 0xffe0
	s_waitcnt vmcnt(0)
	v_trunc_f64_e32 v[12:13], v[12:13]
	v_ldexp_f64 v[18:19], v[12:13], s0
	v_floor_f64_e32 v[18:19], v[18:19]
	v_fmac_f64_e32 v[12:13], 0xc1f00000, v[18:19]
	v_cvt_u32_f64_e32 v12, v[12:13]
	s_mov_b64 s[0:1], 0
	s_branch .LBB15_1644
.LBB15_1642:
	s_mov_b64 s[0:1], -1
                                        ; implicit-def: $vgpr12
	s_branch .LBB15_1647
.LBB15_1643:
	s_mov_b64 s[0:1], -1
                                        ; implicit-def: $vgpr12
.LBB15_1644:
	s_andn2_b64 vcc, exec, s[0:1]
	s_cbranch_vccnz .LBB15_1646
; %bb.1645:
	global_load_dword v1, v[16:17], off
	s_mov_b32 s0, 0x2f800000
	s_waitcnt vmcnt(0)
	v_trunc_f32_e32 v1, v1
	v_mul_f32_e64 v3, |v1|, s0
	v_floor_f32_e32 v3, v3
	s_mov_b32 s0, 0xcf800000
	v_fma_f32 v3, v3, s0, |v1|
	v_cvt_u32_f32_e32 v3, v3
	v_ashrrev_i32_e32 v1, 31, v1
	v_xor_b32_e32 v3, v3, v1
	v_sub_u32_e32 v12, v3, v1
.LBB15_1646:
	s_mov_b64 s[0:1], 0
.LBB15_1647:
	s_andn2_b64 vcc, exec, s[0:1]
	s_cbranch_vccnz .LBB15_1649
; %bb.1648:
	global_load_ushort v1, v[16:17], off
	s_waitcnt vmcnt(0)
	v_cvt_f32_f16_e32 v1, v1
	v_cvt_i32_f32_e32 v12, v1
.LBB15_1649:
	s_mov_b64 s[0:1], 0
.LBB15_1650:
	s_andn2_b64 vcc, exec, s[0:1]
	s_cbranch_vccnz .LBB15_1670
; %bb.1651:
	s_cmp_lt_i32 s6, 2
	s_cbranch_scc1 .LBB15_1655
; %bb.1652:
	s_cmp_lt_i32 s6, 3
	s_cbranch_scc1 .LBB15_1656
; %bb.1653:
	s_cmp_gt_i32 s6, 3
	s_cbranch_scc0 .LBB15_1657
; %bb.1654:
	global_load_dwordx2 v[12:13], v[16:17], off
	s_mov_b64 s[0:1], 0
	s_branch .LBB15_1658
.LBB15_1655:
	s_mov_b64 s[0:1], -1
                                        ; implicit-def: $vgpr12
	s_branch .LBB15_1664
.LBB15_1656:
	s_mov_b64 s[0:1], -1
                                        ; implicit-def: $vgpr12
	s_branch .LBB15_1661
.LBB15_1657:
	s_mov_b64 s[0:1], -1
                                        ; implicit-def: $vgpr12
.LBB15_1658:
	s_andn2_b64 vcc, exec, s[0:1]
	s_cbranch_vccnz .LBB15_1660
; %bb.1659:
	global_load_dword v12, v[16:17], off
.LBB15_1660:
	s_mov_b64 s[0:1], 0
.LBB15_1661:
	s_andn2_b64 vcc, exec, s[0:1]
	s_cbranch_vccnz .LBB15_1663
; %bb.1662:
	global_load_ushort v12, v[16:17], off
.LBB15_1663:
	s_mov_b64 s[0:1], 0
.LBB15_1664:
	s_andn2_b64 vcc, exec, s[0:1]
	s_cbranch_vccnz .LBB15_1670
; %bb.1665:
	s_cmp_gt_i32 s6, 0
	s_cbranch_scc0 .LBB15_1667
; %bb.1666:
	global_load_ubyte v12, v[16:17], off
	s_mov_b64 s[0:1], 0
	s_branch .LBB15_1668
.LBB15_1667:
	s_mov_b64 s[0:1], -1
                                        ; implicit-def: $vgpr12
.LBB15_1668:
	s_andn2_b64 vcc, exec, s[0:1]
	s_cbranch_vccnz .LBB15_1670
; %bb.1669:
	global_load_ubyte v12, v[16:17], off
.LBB15_1670:
	s_mov_b64 s[8:9], -1
.LBB15_1671:
	s_andn2_b64 vcc, exec, s[8:9]
	s_cbranch_vccnz .LBB15_2105
; %bb.1672:
	s_bfe_u32 s15, s14, 0x80008
	v_mov_b32_e32 v7, 0
	s_waitcnt vmcnt(0)
	v_xor_b32_e32 v1, -1, v8
	s_cmp_lt_i32 s15, 11
	v_lshl_add_u64 v[6:7], s[4:5], 0, v[6:7]
	s_cbranch_scc1 .LBB15_1750
; %bb.1673:
	s_and_b32 s16, 0xffff, s15
	s_mov_b64 s[10:11], -1
	s_mov_b64 s[6:7], 0
	s_cmp_gt_i32 s16, 25
	s_mov_b64 s[8:9], 0
	s_mov_b64 s[0:1], 0
	s_cbranch_scc0 .LBB15_1706
; %bb.1674:
	s_cmp_gt_i32 s16, 28
	s_cbranch_scc0 .LBB15_1689
; %bb.1675:
	s_cmp_gt_i32 s16, 43
	;; [unrolled: 3-line block ×3, first 2 shown]
	s_cbranch_scc0 .LBB15_1679
; %bb.1677:
	s_mov_b64 s[0:1], -1
	s_mov_b64 s[10:11], 0
	s_cmp_eq_u32 s16, 46
	s_cbranch_scc0 .LBB15_1679
; %bb.1678:
	v_cvt_f32_ubyte0_e32 v3, v1
	v_bfe_u32 v5, v3, 16, 1
	s_movk_i32 s0, 0x7fff
	v_add3_u32 v3, v3, v5, s0
	v_lshrrev_b32_e32 v3, 16, v3
	global_store_dword v[6:7], v3, off
	s_mov_b64 s[0:1], 0
	s_mov_b64 s[8:9], -1
.LBB15_1679:
	s_and_b64 vcc, exec, s[10:11]
	s_cbranch_vccz .LBB15_1684
; %bb.1680:
	s_cmp_eq_u32 s16, 44
	s_mov_b64 s[0:1], -1
	s_cbranch_scc0 .LBB15_1684
; %bb.1681:
	v_cvt_f32_ubyte0_e32 v5, v1
	v_lshrrev_b32_e32 v3, 23, v5
	s_movk_i32 s0, 0xff
	v_cmp_ne_u32_e32 vcc, s0, v3
	v_mov_b32_e32 v9, 0xff
	s_and_saveexec_b64 s[8:9], vcc
; %bb.1682:
	s_mov_b32 s0, 0x3fffff
	v_and_b32_e32 v9, 0x400000, v5
	v_and_or_b32 v5, v5, s0, v3
	v_cmp_ne_u32_e32 vcc, 0, v9
	v_cmp_ne_u32_e64 s[0:1], 0, v5
	s_and_b64 s[0:1], vcc, s[0:1]
	s_nop 0
	v_cndmask_b32_e64 v5, 0, 1, s[0:1]
	v_add_u32_e32 v9, v3, v5
; %bb.1683:
	s_or_b64 exec, exec, s[8:9]
	s_mov_b64 s[0:1], 0
	s_mov_b64 s[8:9], -1
	global_store_byte v[6:7], v9, off
.LBB15_1684:
	s_mov_b64 s[10:11], 0
.LBB15_1685:
	s_and_b64 vcc, exec, s[10:11]
	s_cbranch_vccz .LBB15_1688
; %bb.1686:
	s_cmp_eq_u32 s16, 29
	s_mov_b64 s[0:1], -1
	s_cbranch_scc0 .LBB15_1688
; %bb.1687:
	v_and_b32_e32 v16, 0xff, v1
	v_mov_b32_e32 v17, 0
	global_store_dwordx2 v[6:7], v[16:17], off
	s_mov_b64 s[0:1], 0
	s_mov_b64 s[8:9], -1
.LBB15_1688:
	s_mov_b64 s[10:11], 0
.LBB15_1689:
	s_and_b64 vcc, exec, s[10:11]
	s_cbranch_vccz .LBB15_1705
; %bb.1690:
	s_cmp_lt_i32 s16, 27
	s_mov_b64 s[8:9], -1
	s_cbranch_scc1 .LBB15_1696
; %bb.1691:
	s_cmp_gt_i32 s16, 27
	s_cbranch_scc0 .LBB15_1693
; %bb.1692:
	v_and_b32_e32 v3, 0xff, v1
	s_mov_b64 s[8:9], 0
	global_store_dword v[6:7], v3, off
.LBB15_1693:
	s_andn2_b64 vcc, exec, s[8:9]
	s_cbranch_vccnz .LBB15_1695
; %bb.1694:
	v_and_b32_e32 v3, 0xff, v1
	global_store_short v[6:7], v3, off
.LBB15_1695:
	s_mov_b64 s[8:9], 0
.LBB15_1696:
	s_andn2_b64 vcc, exec, s[8:9]
	s_cbranch_vccnz .LBB15_1704
; %bb.1697:
	v_cvt_f32_ubyte0_e32 v5, v1
	s_mov_b32 s8, 0x43800000
	v_cmp_gt_u32_e32 vcc, s8, v5
	v_mov_b32_e32 v9, 0x80
	s_and_saveexec_b64 s[8:9], vcc
	s_cbranch_execz .LBB15_1703
; %bb.1698:
	s_mov_b32 s10, 0x3bffffff
	v_cmp_lt_u32_e32 vcc, s10, v5
	s_mov_b64 s[10:11], 0
                                        ; implicit-def: $vgpr3
	s_and_saveexec_b64 s[12:13], vcc
	s_xor_b64 s[12:13], exec, s[12:13]
	s_cbranch_execz .LBB15_2108
; %bb.1699:
	v_bfe_u32 v3, v5, 20, 1
	s_mov_b32 s17, 0x487ffff
	v_add3_u32 v3, v5, v3, s17
	s_mov_b64 s[10:11], exec
	v_lshrrev_b32_e32 v3, 20, v3
                                        ; implicit-def: $vgpr5
	s_andn2_saveexec_b64 s[12:13], s[12:13]
	s_cbranch_execnz .LBB15_2109
.LBB15_1700:
	s_or_b64 exec, exec, s[12:13]
	v_mov_b32_e32 v9, 0
	s_and_saveexec_b64 s[12:13], s[10:11]
.LBB15_1701:
	v_mov_b32_e32 v9, v3
.LBB15_1702:
	s_or_b64 exec, exec, s[12:13]
.LBB15_1703:
	s_or_b64 exec, exec, s[8:9]
	global_store_byte v[6:7], v9, off
.LBB15_1704:
	s_mov_b64 s[8:9], -1
.LBB15_1705:
	s_mov_b64 s[10:11], 0
.LBB15_1706:
	s_and_b64 vcc, exec, s[10:11]
	s_cbranch_vccz .LBB15_1746
; %bb.1707:
	s_cmp_gt_i32 s16, 22
	s_mov_b64 s[6:7], -1
	s_cbranch_scc0 .LBB15_1739
; %bb.1708:
	s_cmp_lt_i32 s16, 24
	s_cbranch_scc1 .LBB15_1728
; %bb.1709:
	s_cmp_gt_i32 s16, 24
	s_cbranch_scc0 .LBB15_1717
; %bb.1710:
	v_cvt_f32_ubyte0_e32 v5, v1
	s_mov_b32 s6, 0x47800000
	v_cmp_gt_u32_e32 vcc, s6, v5
	v_mov_b32_e32 v9, 0x80
	s_and_saveexec_b64 s[6:7], vcc
	s_cbranch_execz .LBB15_1716
; %bb.1711:
	s_mov_b32 s8, 0x37ffffff
	v_cmp_lt_u32_e32 vcc, s8, v5
	s_mov_b64 s[8:9], 0
                                        ; implicit-def: $vgpr3
	s_and_saveexec_b64 s[10:11], vcc
	s_xor_b64 s[10:11], exec, s[10:11]
	s_cbranch_execz .LBB15_2111
; %bb.1712:
	v_bfe_u32 v3, v5, 21, 1
	s_mov_b32 s12, 0x88fffff
	v_add3_u32 v3, v5, v3, s12
	s_mov_b64 s[8:9], exec
	v_lshrrev_b32_e32 v3, 21, v3
                                        ; implicit-def: $vgpr5
	s_andn2_saveexec_b64 s[10:11], s[10:11]
	s_cbranch_execnz .LBB15_2112
.LBB15_1713:
	s_or_b64 exec, exec, s[10:11]
	v_mov_b32_e32 v9, 0
	s_and_saveexec_b64 s[10:11], s[8:9]
.LBB15_1714:
	v_mov_b32_e32 v9, v3
.LBB15_1715:
	s_or_b64 exec, exec, s[10:11]
.LBB15_1716:
	s_or_b64 exec, exec, s[6:7]
	s_mov_b64 s[6:7], 0
	global_store_byte v[6:7], v9, off
.LBB15_1717:
	s_and_b64 vcc, exec, s[6:7]
	s_cbranch_vccz .LBB15_1727
; %bb.1718:
	v_cvt_f32_ubyte0_e32 v3, v1
	s_mov_b32 s6, 0x43f00000
	v_cmp_gt_u32_e32 vcc, s6, v3
                                        ; implicit-def: $vgpr5
	s_and_saveexec_b64 s[6:7], vcc
	s_xor_b64 s[6:7], exec, s[6:7]
	s_cbranch_execz .LBB15_1724
; %bb.1719:
	s_mov_b32 s8, 0x3c7fffff
	v_cmp_lt_u32_e32 vcc, s8, v3
                                        ; implicit-def: $vgpr5
	s_and_saveexec_b64 s[8:9], vcc
	s_xor_b64 s[8:9], exec, s[8:9]
; %bb.1720:
	v_bfe_u32 v5, v3, 20, 1
	s_mov_b32 s10, 0x407ffff
	v_add3_u32 v3, v3, v5, s10
	v_lshrrev_b32_e32 v5, 20, v3
	v_and_b32_e32 v3, 0xff00000, v3
	s_mov_b32 s10, 0x7f00000
	v_mov_b32_e32 v9, 0x7e
	v_cmp_ne_u32_e32 vcc, s10, v3
                                        ; implicit-def: $vgpr3
	s_nop 1
	v_cndmask_b32_e32 v5, v9, v5, vcc
; %bb.1721:
	s_andn2_saveexec_b64 s[8:9], s[8:9]
; %bb.1722:
	v_add_f32_e32 v5, 0x46800000, v3
; %bb.1723:
	s_or_b64 exec, exec, s[8:9]
                                        ; implicit-def: $vgpr3
.LBB15_1724:
	s_andn2_saveexec_b64 s[6:7], s[6:7]
; %bb.1725:
	s_mov_b32 s8, 0x7f800000
	v_mov_b32_e32 v5, 0x7e
	v_mov_b32_e32 v9, 0x7f
	v_cmp_lt_u32_e32 vcc, s8, v3
	s_nop 1
	v_cndmask_b32_e32 v5, v5, v9, vcc
; %bb.1726:
	s_or_b64 exec, exec, s[6:7]
	global_store_byte v[6:7], v5, off
.LBB15_1727:
	s_mov_b64 s[6:7], 0
.LBB15_1728:
	s_andn2_b64 vcc, exec, s[6:7]
	s_cbranch_vccnz .LBB15_1738
; %bb.1729:
	v_cvt_f32_ubyte0_e32 v3, v1
	s_mov_b32 s6, 0x47800000
	v_cmp_gt_u32_e32 vcc, s6, v3
                                        ; implicit-def: $vgpr5
	s_and_saveexec_b64 s[6:7], vcc
	s_xor_b64 s[6:7], exec, s[6:7]
	s_cbranch_execz .LBB15_1735
; %bb.1730:
	s_mov_b32 s8, 0x387fffff
	v_cmp_lt_u32_e32 vcc, s8, v3
                                        ; implicit-def: $vgpr5
	s_and_saveexec_b64 s[8:9], vcc
	s_xor_b64 s[8:9], exec, s[8:9]
; %bb.1731:
	v_bfe_u32 v5, v3, 21, 1
	s_mov_b32 s10, 0x80fffff
	v_add3_u32 v3, v3, v5, s10
	v_lshrrev_b32_e32 v5, 21, v3
                                        ; implicit-def: $vgpr3
; %bb.1732:
	s_andn2_saveexec_b64 s[8:9], s[8:9]
; %bb.1733:
	v_add_f32_e32 v5, 0x43000000, v3
; %bb.1734:
	s_or_b64 exec, exec, s[8:9]
                                        ; implicit-def: $vgpr3
.LBB15_1735:
	s_andn2_saveexec_b64 s[6:7], s[6:7]
; %bb.1736:
	s_mov_b32 s8, 0x7f800000
	v_mov_b32_e32 v5, 0x7c
	v_mov_b32_e32 v9, 0x7f
	v_cmp_lt_u32_e32 vcc, s8, v3
	s_nop 1
	v_cndmask_b32_e32 v5, v5, v9, vcc
; %bb.1737:
	s_or_b64 exec, exec, s[6:7]
	global_store_byte v[6:7], v5, off
.LBB15_1738:
	s_mov_b64 s[6:7], 0
	s_mov_b64 s[8:9], -1
.LBB15_1739:
	s_andn2_b64 vcc, exec, s[6:7]
	s_mov_b64 s[6:7], 0
	s_cbranch_vccnz .LBB15_1746
; %bb.1740:
	s_cmp_gt_i32 s16, 14
	s_mov_b64 s[10:11], -1
	s_cbranch_scc0 .LBB15_1744
; %bb.1741:
	s_cmp_eq_u32 s16, 15
	s_mov_b64 s[0:1], -1
	s_cbranch_scc0 .LBB15_1743
; %bb.1742:
	v_cvt_f32_ubyte0_e32 v3, v1
	v_bfe_u32 v5, v3, 16, 1
	s_movk_i32 s0, 0x7fff
	v_add3_u32 v3, v3, v5, s0
	global_store_short_d16_hi v[6:7], v3, off
	s_mov_b64 s[0:1], 0
	s_mov_b64 s[8:9], -1
.LBB15_1743:
	s_mov_b64 s[10:11], 0
.LBB15_1744:
	s_and_b64 vcc, exec, s[10:11]
	s_cbranch_vccz .LBB15_1746
; %bb.1745:
	s_cmp_lg_u32 s16, 11
	s_mov_b64 s[6:7], -1
	s_cselect_b64 s[0:1], -1, 0
.LBB15_1746:
	s_and_b64 vcc, exec, s[0:1]
	s_cbranch_vccnz .LBB15_2110
; %bb.1747:
	s_andn2_b64 vcc, exec, s[6:7]
	s_cbranch_vccnz .LBB15_1749
.LBB15_1748:
	s_movk_i32 s0, 0xff
	v_cmp_ne_u16_sdwa s[0:1], v8, s0 src0_sel:BYTE_0 src1_sel:DWORD
	s_mov_b64 s[8:9], -1
	s_nop 0
	v_cndmask_b32_e64 v3, 0, 1, s[0:1]
	global_store_byte v[6:7], v3, off
.LBB15_1749:
	s_mov_b64 s[0:1], 0
	s_branch .LBB15_1751
.LBB15_1750:
	s_mov_b64 s[0:1], -1
	s_mov_b64 s[8:9], 0
.LBB15_1751:
	s_and_b64 vcc, exec, s[0:1]
	s_cbranch_vccz .LBB15_1790
; %bb.1752:
	s_and_b32 s6, 0xffff, s15
	s_cmp_lt_i32 s6, 5
	s_mov_b64 s[0:1], -1
	s_cbranch_scc1 .LBB15_1773
; %bb.1753:
	s_cmp_lt_i32 s6, 8
	s_cbranch_scc1 .LBB15_1763
; %bb.1754:
	s_cmp_lt_i32 s6, 9
	s_cbranch_scc1 .LBB15_1760
; %bb.1755:
	s_cmp_gt_i32 s6, 9
	s_cbranch_scc0 .LBB15_1757
; %bb.1756:
	s_mov_b32 s0, 0xffff
	v_and_b32_sdwa v3, s0, v1 dst_sel:DWORD dst_unused:UNUSED_PAD src0_sel:DWORD src1_sel:BYTE_0
	v_mov_b32_e32 v18, 0
	v_cvt_f64_u32_e32 v[16:17], v3
	v_mov_b32_e32 v19, v18
	global_store_dwordx4 v[6:7], v[16:19], off
	s_mov_b64 s[0:1], 0
.LBB15_1757:
	s_andn2_b64 vcc, exec, s[0:1]
	s_cbranch_vccnz .LBB15_1759
; %bb.1758:
	v_cvt_f32_ubyte0_e32 v8, v1
	v_mov_b32_e32 v9, 0
	global_store_dwordx2 v[6:7], v[8:9], off
.LBB15_1759:
	s_mov_b64 s[0:1], 0
.LBB15_1760:
	s_andn2_b64 vcc, exec, s[0:1]
	s_cbranch_vccnz .LBB15_1762
; %bb.1761:
	v_cvt_f16_u16_sdwa v3, v1 dst_sel:DWORD dst_unused:UNUSED_PAD src0_sel:BYTE_0
	global_store_dword v[6:7], v3, off
.LBB15_1762:
	s_mov_b64 s[0:1], 0
.LBB15_1763:
	s_andn2_b64 vcc, exec, s[0:1]
	s_cbranch_vccnz .LBB15_1772
; %bb.1764:
	s_cmp_lt_i32 s6, 6
	s_mov_b64 s[0:1], -1
	s_cbranch_scc1 .LBB15_1770
; %bb.1765:
	s_cmp_gt_i32 s6, 6
	s_cbranch_scc0 .LBB15_1767
; %bb.1766:
	s_mov_b32 s0, 0xffff
	v_and_b32_sdwa v3, s0, v1 dst_sel:DWORD dst_unused:UNUSED_PAD src0_sel:DWORD src1_sel:BYTE_0
	v_cvt_f64_u32_e32 v[8:9], v3
	global_store_dwordx2 v[6:7], v[8:9], off
	s_mov_b64 s[0:1], 0
.LBB15_1767:
	s_andn2_b64 vcc, exec, s[0:1]
	s_cbranch_vccnz .LBB15_1769
; %bb.1768:
	v_cvt_f32_ubyte0_e32 v3, v1
	global_store_dword v[6:7], v3, off
.LBB15_1769:
	s_mov_b64 s[0:1], 0
.LBB15_1770:
	s_andn2_b64 vcc, exec, s[0:1]
	s_cbranch_vccnz .LBB15_1772
; %bb.1771:
	v_cvt_f16_u16_sdwa v3, v1 dst_sel:DWORD dst_unused:UNUSED_PAD src0_sel:BYTE_0
	global_store_short v[6:7], v3, off
.LBB15_1772:
	s_mov_b64 s[0:1], 0
.LBB15_1773:
	s_andn2_b64 vcc, exec, s[0:1]
	s_cbranch_vccnz .LBB15_1789
; %bb.1774:
	s_cmp_lt_i32 s6, 2
	s_mov_b64 s[0:1], -1
	s_cbranch_scc1 .LBB15_1784
; %bb.1775:
	s_cmp_lt_i32 s6, 3
	s_cbranch_scc1 .LBB15_1781
; %bb.1776:
	s_cmp_gt_i32 s6, 3
	s_cbranch_scc0 .LBB15_1778
; %bb.1777:
	v_and_b32_e32 v8, 0xff, v1
	v_mov_b32_e32 v9, 0
	global_store_dwordx2 v[6:7], v[8:9], off
	s_mov_b64 s[0:1], 0
.LBB15_1778:
	s_andn2_b64 vcc, exec, s[0:1]
	s_cbranch_vccnz .LBB15_1780
; %bb.1779:
	v_and_b32_e32 v3, 0xff, v1
	global_store_dword v[6:7], v3, off
.LBB15_1780:
	s_mov_b64 s[0:1], 0
.LBB15_1781:
	s_andn2_b64 vcc, exec, s[0:1]
	s_cbranch_vccnz .LBB15_1783
; %bb.1782:
	v_and_b32_e32 v3, 0xff, v1
	global_store_short v[6:7], v3, off
.LBB15_1783:
	s_mov_b64 s[0:1], 0
.LBB15_1784:
	s_andn2_b64 vcc, exec, s[0:1]
	s_cbranch_vccnz .LBB15_1789
; %bb.1785:
	s_cmp_gt_i32 s6, 0
	s_mov_b64 s[0:1], -1
	s_cbranch_scc0 .LBB15_1787
; %bb.1786:
	global_store_byte v[6:7], v1, off
	s_mov_b64 s[0:1], 0
.LBB15_1787:
	s_andn2_b64 vcc, exec, s[0:1]
	s_cbranch_vccnz .LBB15_1789
; %bb.1788:
	global_store_byte v[6:7], v1, off
.LBB15_1789:
	s_mov_b64 s[8:9], -1
.LBB15_1790:
	s_andn2_b64 vcc, exec, s[8:9]
	s_cbranch_vccnz .LBB15_2105
; %bb.1791:
	s_lshr_b32 s0, s14, 8
	s_and_b32 s14, s0, 0xff
	v_mov_b32_e32 v5, 0
	v_xor_b32_e32 v1, -1, v10
	s_cmp_lt_i32 s14, 11
	v_lshl_add_u64 v[4:5], s[4:5], 0, v[4:5]
	s_cbranch_scc1 .LBB15_1869
; %bb.1792:
	s_and_b32 s15, 0xffff, s14
	s_mov_b64 s[10:11], -1
	s_mov_b64 s[6:7], 0
	s_cmp_gt_i32 s15, 25
	s_mov_b64 s[8:9], 0
	s_mov_b64 s[0:1], 0
	s_cbranch_scc0 .LBB15_1825
; %bb.1793:
	s_cmp_gt_i32 s15, 28
	s_cbranch_scc0 .LBB15_1808
; %bb.1794:
	s_cmp_gt_i32 s15, 43
	;; [unrolled: 3-line block ×3, first 2 shown]
	s_cbranch_scc0 .LBB15_1798
; %bb.1796:
	s_mov_b64 s[0:1], -1
	s_mov_b64 s[10:11], 0
	s_cmp_eq_u32 s15, 46
	s_cbranch_scc0 .LBB15_1798
; %bb.1797:
	v_cvt_f32_ubyte0_e32 v3, v1
	v_bfe_u32 v6, v3, 16, 1
	s_movk_i32 s0, 0x7fff
	v_add3_u32 v3, v3, v6, s0
	v_lshrrev_b32_e32 v3, 16, v3
	global_store_dword v[4:5], v3, off
	s_mov_b64 s[0:1], 0
	s_mov_b64 s[8:9], -1
.LBB15_1798:
	s_and_b64 vcc, exec, s[10:11]
	s_cbranch_vccz .LBB15_1803
; %bb.1799:
	s_cmp_eq_u32 s15, 44
	s_mov_b64 s[0:1], -1
	s_cbranch_scc0 .LBB15_1803
; %bb.1800:
	v_cvt_f32_ubyte0_e32 v6, v1
	v_lshrrev_b32_e32 v3, 23, v6
	s_movk_i32 s0, 0xff
	v_cmp_ne_u32_e32 vcc, s0, v3
	v_mov_b32_e32 v7, 0xff
	s_and_saveexec_b64 s[8:9], vcc
; %bb.1801:
	s_mov_b32 s0, 0x3fffff
	v_and_b32_e32 v7, 0x400000, v6
	v_and_or_b32 v6, v6, s0, v3
	v_cmp_ne_u32_e32 vcc, 0, v7
	v_cmp_ne_u32_e64 s[0:1], 0, v6
	s_and_b64 s[0:1], vcc, s[0:1]
	s_nop 0
	v_cndmask_b32_e64 v6, 0, 1, s[0:1]
	v_add_u32_e32 v7, v3, v6
; %bb.1802:
	s_or_b64 exec, exec, s[8:9]
	s_mov_b64 s[0:1], 0
	s_mov_b64 s[8:9], -1
	global_store_byte v[4:5], v7, off
.LBB15_1803:
	s_mov_b64 s[10:11], 0
.LBB15_1804:
	s_and_b64 vcc, exec, s[10:11]
	s_cbranch_vccz .LBB15_1807
; %bb.1805:
	s_cmp_eq_u32 s15, 29
	s_mov_b64 s[0:1], -1
	s_cbranch_scc0 .LBB15_1807
; %bb.1806:
	v_and_b32_e32 v6, 0xff, v1
	v_mov_b32_e32 v7, 0
	global_store_dwordx2 v[4:5], v[6:7], off
	s_mov_b64 s[0:1], 0
	s_mov_b64 s[8:9], -1
.LBB15_1807:
	s_mov_b64 s[10:11], 0
.LBB15_1808:
	s_and_b64 vcc, exec, s[10:11]
	s_cbranch_vccz .LBB15_1824
; %bb.1809:
	s_cmp_lt_i32 s15, 27
	s_mov_b64 s[8:9], -1
	s_cbranch_scc1 .LBB15_1815
; %bb.1810:
	s_cmp_gt_i32 s15, 27
	s_cbranch_scc0 .LBB15_1812
; %bb.1811:
	v_and_b32_e32 v3, 0xff, v1
	s_mov_b64 s[8:9], 0
	global_store_dword v[4:5], v3, off
.LBB15_1812:
	s_andn2_b64 vcc, exec, s[8:9]
	s_cbranch_vccnz .LBB15_1814
; %bb.1813:
	v_and_b32_e32 v3, 0xff, v1
	global_store_short v[4:5], v3, off
.LBB15_1814:
	s_mov_b64 s[8:9], 0
.LBB15_1815:
	s_andn2_b64 vcc, exec, s[8:9]
	s_cbranch_vccnz .LBB15_1823
; %bb.1816:
	v_cvt_f32_ubyte0_e32 v6, v1
	s_mov_b32 s8, 0x43800000
	v_cmp_gt_u32_e32 vcc, s8, v6
	v_mov_b32_e32 v7, 0x80
	s_and_saveexec_b64 s[8:9], vcc
	s_cbranch_execz .LBB15_1822
; %bb.1817:
	s_mov_b32 s10, 0x3bffffff
	v_cmp_lt_u32_e32 vcc, s10, v6
	s_mov_b64 s[10:11], 0
                                        ; implicit-def: $vgpr3
	s_and_saveexec_b64 s[12:13], vcc
	s_xor_b64 s[12:13], exec, s[12:13]
	s_cbranch_execz .LBB15_2113
; %bb.1818:
	v_bfe_u32 v3, v6, 20, 1
	s_mov_b32 s16, 0x487ffff
	v_add3_u32 v3, v6, v3, s16
	s_mov_b64 s[10:11], exec
	v_lshrrev_b32_e32 v3, 20, v3
                                        ; implicit-def: $vgpr6
	s_andn2_saveexec_b64 s[12:13], s[12:13]
	s_cbranch_execnz .LBB15_2114
.LBB15_1819:
	s_or_b64 exec, exec, s[12:13]
	v_mov_b32_e32 v7, 0
	s_and_saveexec_b64 s[12:13], s[10:11]
.LBB15_1820:
	v_mov_b32_e32 v7, v3
.LBB15_1821:
	s_or_b64 exec, exec, s[12:13]
.LBB15_1822:
	s_or_b64 exec, exec, s[8:9]
	global_store_byte v[4:5], v7, off
.LBB15_1823:
	s_mov_b64 s[8:9], -1
.LBB15_1824:
	s_mov_b64 s[10:11], 0
.LBB15_1825:
	s_and_b64 vcc, exec, s[10:11]
	s_cbranch_vccz .LBB15_1865
; %bb.1826:
	s_cmp_gt_i32 s15, 22
	s_mov_b64 s[6:7], -1
	s_cbranch_scc0 .LBB15_1858
; %bb.1827:
	s_cmp_lt_i32 s15, 24
	s_cbranch_scc1 .LBB15_1847
; %bb.1828:
	s_cmp_gt_i32 s15, 24
	s_cbranch_scc0 .LBB15_1836
; %bb.1829:
	v_cvt_f32_ubyte0_e32 v6, v1
	s_mov_b32 s6, 0x47800000
	v_cmp_gt_u32_e32 vcc, s6, v6
	v_mov_b32_e32 v7, 0x80
	s_and_saveexec_b64 s[6:7], vcc
	s_cbranch_execz .LBB15_1835
; %bb.1830:
	s_mov_b32 s8, 0x37ffffff
	v_cmp_lt_u32_e32 vcc, s8, v6
	s_mov_b64 s[8:9], 0
                                        ; implicit-def: $vgpr3
	s_and_saveexec_b64 s[10:11], vcc
	s_xor_b64 s[10:11], exec, s[10:11]
	s_cbranch_execz .LBB15_2116
; %bb.1831:
	v_bfe_u32 v3, v6, 21, 1
	s_mov_b32 s12, 0x88fffff
	v_add3_u32 v3, v6, v3, s12
	s_mov_b64 s[8:9], exec
	v_lshrrev_b32_e32 v3, 21, v3
                                        ; implicit-def: $vgpr6
	s_andn2_saveexec_b64 s[10:11], s[10:11]
	s_cbranch_execnz .LBB15_2117
.LBB15_1832:
	s_or_b64 exec, exec, s[10:11]
	v_mov_b32_e32 v7, 0
	s_and_saveexec_b64 s[10:11], s[8:9]
.LBB15_1833:
	v_mov_b32_e32 v7, v3
.LBB15_1834:
	s_or_b64 exec, exec, s[10:11]
.LBB15_1835:
	s_or_b64 exec, exec, s[6:7]
	s_mov_b64 s[6:7], 0
	global_store_byte v[4:5], v7, off
.LBB15_1836:
	s_and_b64 vcc, exec, s[6:7]
	s_cbranch_vccz .LBB15_1846
; %bb.1837:
	v_cvt_f32_ubyte0_e32 v3, v1
	s_mov_b32 s6, 0x43f00000
	v_cmp_gt_u32_e32 vcc, s6, v3
                                        ; implicit-def: $vgpr6
	s_and_saveexec_b64 s[6:7], vcc
	s_xor_b64 s[6:7], exec, s[6:7]
	s_cbranch_execz .LBB15_1843
; %bb.1838:
	s_mov_b32 s8, 0x3c7fffff
	v_cmp_lt_u32_e32 vcc, s8, v3
                                        ; implicit-def: $vgpr6
	s_and_saveexec_b64 s[8:9], vcc
	s_xor_b64 s[8:9], exec, s[8:9]
; %bb.1839:
	v_bfe_u32 v6, v3, 20, 1
	s_mov_b32 s10, 0x407ffff
	v_add3_u32 v3, v3, v6, s10
	v_lshrrev_b32_e32 v6, 20, v3
	v_and_b32_e32 v3, 0xff00000, v3
	s_mov_b32 s10, 0x7f00000
	v_mov_b32_e32 v7, 0x7e
	v_cmp_ne_u32_e32 vcc, s10, v3
                                        ; implicit-def: $vgpr3
	s_nop 1
	v_cndmask_b32_e32 v6, v7, v6, vcc
; %bb.1840:
	s_andn2_saveexec_b64 s[8:9], s[8:9]
; %bb.1841:
	v_add_f32_e32 v6, 0x46800000, v3
; %bb.1842:
	s_or_b64 exec, exec, s[8:9]
                                        ; implicit-def: $vgpr3
.LBB15_1843:
	s_andn2_saveexec_b64 s[6:7], s[6:7]
; %bb.1844:
	s_mov_b32 s8, 0x7f800000
	v_mov_b32_e32 v6, 0x7e
	v_mov_b32_e32 v7, 0x7f
	v_cmp_lt_u32_e32 vcc, s8, v3
	s_nop 1
	v_cndmask_b32_e32 v6, v6, v7, vcc
; %bb.1845:
	s_or_b64 exec, exec, s[6:7]
	global_store_byte v[4:5], v6, off
.LBB15_1846:
	s_mov_b64 s[6:7], 0
.LBB15_1847:
	s_andn2_b64 vcc, exec, s[6:7]
	s_cbranch_vccnz .LBB15_1857
; %bb.1848:
	v_cvt_f32_ubyte0_e32 v3, v1
	s_mov_b32 s6, 0x47800000
	v_cmp_gt_u32_e32 vcc, s6, v3
                                        ; implicit-def: $vgpr6
	s_and_saveexec_b64 s[6:7], vcc
	s_xor_b64 s[6:7], exec, s[6:7]
	s_cbranch_execz .LBB15_1854
; %bb.1849:
	s_mov_b32 s8, 0x387fffff
	v_cmp_lt_u32_e32 vcc, s8, v3
                                        ; implicit-def: $vgpr6
	s_and_saveexec_b64 s[8:9], vcc
	s_xor_b64 s[8:9], exec, s[8:9]
; %bb.1850:
	v_bfe_u32 v6, v3, 21, 1
	s_mov_b32 s10, 0x80fffff
	v_add3_u32 v3, v3, v6, s10
	v_lshrrev_b32_e32 v6, 21, v3
                                        ; implicit-def: $vgpr3
; %bb.1851:
	s_andn2_saveexec_b64 s[8:9], s[8:9]
; %bb.1852:
	v_add_f32_e32 v6, 0x43000000, v3
; %bb.1853:
	s_or_b64 exec, exec, s[8:9]
                                        ; implicit-def: $vgpr3
.LBB15_1854:
	s_andn2_saveexec_b64 s[6:7], s[6:7]
; %bb.1855:
	s_mov_b32 s8, 0x7f800000
	v_mov_b32_e32 v6, 0x7c
	v_mov_b32_e32 v7, 0x7f
	v_cmp_lt_u32_e32 vcc, s8, v3
	s_nop 1
	v_cndmask_b32_e32 v6, v6, v7, vcc
; %bb.1856:
	s_or_b64 exec, exec, s[6:7]
	global_store_byte v[4:5], v6, off
.LBB15_1857:
	s_mov_b64 s[6:7], 0
	s_mov_b64 s[8:9], -1
.LBB15_1858:
	s_andn2_b64 vcc, exec, s[6:7]
	s_mov_b64 s[6:7], 0
	s_cbranch_vccnz .LBB15_1865
; %bb.1859:
	s_cmp_gt_i32 s15, 14
	s_mov_b64 s[10:11], -1
	s_cbranch_scc0 .LBB15_1863
; %bb.1860:
	s_cmp_eq_u32 s15, 15
	s_mov_b64 s[0:1], -1
	s_cbranch_scc0 .LBB15_1862
; %bb.1861:
	v_cvt_f32_ubyte0_e32 v3, v1
	v_bfe_u32 v6, v3, 16, 1
	s_movk_i32 s0, 0x7fff
	v_add3_u32 v3, v3, v6, s0
	global_store_short_d16_hi v[4:5], v3, off
	s_mov_b64 s[0:1], 0
	s_mov_b64 s[8:9], -1
.LBB15_1862:
	s_mov_b64 s[10:11], 0
.LBB15_1863:
	s_and_b64 vcc, exec, s[10:11]
	s_cbranch_vccz .LBB15_1865
; %bb.1864:
	s_cmp_lg_u32 s15, 11
	s_mov_b64 s[6:7], -1
	s_cselect_b64 s[0:1], -1, 0
.LBB15_1865:
	s_and_b64 vcc, exec, s[0:1]
	s_cbranch_vccnz .LBB15_2115
; %bb.1866:
	s_andn2_b64 vcc, exec, s[6:7]
	s_cbranch_vccnz .LBB15_1868
.LBB15_1867:
	s_movk_i32 s0, 0xff
	v_cmp_ne_u16_sdwa s[0:1], v10, s0 src0_sel:BYTE_0 src1_sel:DWORD
	s_mov_b64 s[8:9], -1
	s_nop 0
	v_cndmask_b32_e64 v3, 0, 1, s[0:1]
	global_store_byte v[4:5], v3, off
.LBB15_1868:
	s_mov_b64 s[0:1], 0
	s_branch .LBB15_1870
.LBB15_1869:
	s_mov_b64 s[0:1], -1
	s_mov_b64 s[8:9], 0
.LBB15_1870:
	s_and_b64 vcc, exec, s[0:1]
	s_cbranch_vccz .LBB15_1909
; %bb.1871:
	s_and_b32 s6, 0xffff, s14
	s_cmp_lt_i32 s6, 5
	s_mov_b64 s[0:1], -1
	s_cbranch_scc1 .LBB15_1892
; %bb.1872:
	s_cmp_lt_i32 s6, 8
	s_cbranch_scc1 .LBB15_1882
; %bb.1873:
	s_cmp_lt_i32 s6, 9
	s_cbranch_scc1 .LBB15_1879
; %bb.1874:
	s_cmp_gt_i32 s6, 9
	s_cbranch_scc0 .LBB15_1876
; %bb.1875:
	s_mov_b32 s0, 0xffff
	v_and_b32_sdwa v3, s0, v1 dst_sel:DWORD dst_unused:UNUSED_PAD src0_sel:DWORD src1_sel:BYTE_0
	v_mov_b32_e32 v8, 0
	v_cvt_f64_u32_e32 v[6:7], v3
	v_mov_b32_e32 v9, v8
	global_store_dwordx4 v[4:5], v[6:9], off
	s_mov_b64 s[0:1], 0
.LBB15_1876:
	s_andn2_b64 vcc, exec, s[0:1]
	s_cbranch_vccnz .LBB15_1878
; %bb.1877:
	v_cvt_f32_ubyte0_e32 v6, v1
	v_mov_b32_e32 v7, 0
	global_store_dwordx2 v[4:5], v[6:7], off
.LBB15_1878:
	s_mov_b64 s[0:1], 0
.LBB15_1879:
	s_andn2_b64 vcc, exec, s[0:1]
	s_cbranch_vccnz .LBB15_1881
; %bb.1880:
	v_cvt_f16_u16_sdwa v3, v1 dst_sel:DWORD dst_unused:UNUSED_PAD src0_sel:BYTE_0
	global_store_dword v[4:5], v3, off
.LBB15_1881:
	s_mov_b64 s[0:1], 0
.LBB15_1882:
	s_andn2_b64 vcc, exec, s[0:1]
	s_cbranch_vccnz .LBB15_1891
; %bb.1883:
	s_cmp_lt_i32 s6, 6
	s_mov_b64 s[0:1], -1
	s_cbranch_scc1 .LBB15_1889
; %bb.1884:
	s_cmp_gt_i32 s6, 6
	s_cbranch_scc0 .LBB15_1886
; %bb.1885:
	s_mov_b32 s0, 0xffff
	v_and_b32_sdwa v3, s0, v1 dst_sel:DWORD dst_unused:UNUSED_PAD src0_sel:DWORD src1_sel:BYTE_0
	v_cvt_f64_u32_e32 v[6:7], v3
	global_store_dwordx2 v[4:5], v[6:7], off
	s_mov_b64 s[0:1], 0
.LBB15_1886:
	s_andn2_b64 vcc, exec, s[0:1]
	s_cbranch_vccnz .LBB15_1888
; %bb.1887:
	v_cvt_f32_ubyte0_e32 v3, v1
	global_store_dword v[4:5], v3, off
.LBB15_1888:
	s_mov_b64 s[0:1], 0
.LBB15_1889:
	s_andn2_b64 vcc, exec, s[0:1]
	s_cbranch_vccnz .LBB15_1891
; %bb.1890:
	v_cvt_f16_u16_sdwa v3, v1 dst_sel:DWORD dst_unused:UNUSED_PAD src0_sel:BYTE_0
	global_store_short v[4:5], v3, off
.LBB15_1891:
	s_mov_b64 s[0:1], 0
.LBB15_1892:
	s_andn2_b64 vcc, exec, s[0:1]
	s_cbranch_vccnz .LBB15_1908
; %bb.1893:
	s_cmp_lt_i32 s6, 2
	s_mov_b64 s[0:1], -1
	s_cbranch_scc1 .LBB15_1903
; %bb.1894:
	s_cmp_lt_i32 s6, 3
	s_cbranch_scc1 .LBB15_1900
; %bb.1895:
	s_cmp_gt_i32 s6, 3
	s_cbranch_scc0 .LBB15_1897
; %bb.1896:
	v_and_b32_e32 v6, 0xff, v1
	v_mov_b32_e32 v7, 0
	global_store_dwordx2 v[4:5], v[6:7], off
	s_mov_b64 s[0:1], 0
.LBB15_1897:
	s_andn2_b64 vcc, exec, s[0:1]
	s_cbranch_vccnz .LBB15_1899
; %bb.1898:
	v_and_b32_e32 v3, 0xff, v1
	global_store_dword v[4:5], v3, off
.LBB15_1899:
	s_mov_b64 s[0:1], 0
.LBB15_1900:
	s_andn2_b64 vcc, exec, s[0:1]
	s_cbranch_vccnz .LBB15_1902
; %bb.1901:
	v_and_b32_e32 v3, 0xff, v1
	global_store_short v[4:5], v3, off
.LBB15_1902:
	s_mov_b64 s[0:1], 0
.LBB15_1903:
	s_andn2_b64 vcc, exec, s[0:1]
	s_cbranch_vccnz .LBB15_1908
; %bb.1904:
	s_cmp_gt_i32 s6, 0
	s_mov_b64 s[0:1], -1
	s_cbranch_scc0 .LBB15_1906
; %bb.1905:
	global_store_byte v[4:5], v1, off
	s_mov_b64 s[0:1], 0
.LBB15_1906:
	s_andn2_b64 vcc, exec, s[0:1]
	s_cbranch_vccnz .LBB15_1908
; %bb.1907:
	global_store_byte v[4:5], v1, off
.LBB15_1908:
	s_mov_b64 s[8:9], -1
.LBB15_1909:
	s_andn2_b64 vcc, exec, s[8:9]
	s_cbranch_vccnz .LBB15_2105
; %bb.1910:
	v_mov_b32_e32 v3, 0
	v_xor_b32_e32 v1, -1, v14
	s_cmp_lt_i32 s14, 11
	v_lshl_add_u64 v[2:3], s[4:5], 0, v[2:3]
	s_cbranch_scc1 .LBB15_1988
; %bb.1911:
	s_and_b32 s15, 0xffff, s14
	s_mov_b64 s[10:11], -1
	s_mov_b64 s[6:7], 0
	s_cmp_gt_i32 s15, 25
	s_mov_b64 s[8:9], 0
	s_mov_b64 s[0:1], 0
	s_cbranch_scc0 .LBB15_1944
; %bb.1912:
	s_cmp_gt_i32 s15, 28
	s_cbranch_scc0 .LBB15_1927
; %bb.1913:
	s_cmp_gt_i32 s15, 43
	;; [unrolled: 3-line block ×3, first 2 shown]
	s_cbranch_scc0 .LBB15_1917
; %bb.1915:
	s_mov_b64 s[0:1], -1
	s_mov_b64 s[10:11], 0
	s_cmp_eq_u32 s15, 46
	s_cbranch_scc0 .LBB15_1917
; %bb.1916:
	v_cvt_f32_ubyte0_e32 v4, v1
	v_bfe_u32 v5, v4, 16, 1
	s_movk_i32 s0, 0x7fff
	v_add3_u32 v4, v4, v5, s0
	v_lshrrev_b32_e32 v4, 16, v4
	global_store_dword v[2:3], v4, off
	s_mov_b64 s[0:1], 0
	s_mov_b64 s[8:9], -1
.LBB15_1917:
	s_and_b64 vcc, exec, s[10:11]
	s_cbranch_vccz .LBB15_1922
; %bb.1918:
	s_cmp_eq_u32 s15, 44
	s_mov_b64 s[0:1], -1
	s_cbranch_scc0 .LBB15_1922
; %bb.1919:
	v_cvt_f32_ubyte0_e32 v5, v1
	v_lshrrev_b32_e32 v4, 23, v5
	s_movk_i32 s0, 0xff
	v_cmp_ne_u32_e32 vcc, s0, v4
	v_mov_b32_e32 v6, 0xff
	s_and_saveexec_b64 s[8:9], vcc
; %bb.1920:
	s_mov_b32 s0, 0x3fffff
	v_and_b32_e32 v6, 0x400000, v5
	v_and_or_b32 v5, v5, s0, v4
	v_cmp_ne_u32_e32 vcc, 0, v6
	v_cmp_ne_u32_e64 s[0:1], 0, v5
	s_and_b64 s[0:1], vcc, s[0:1]
	s_nop 0
	v_cndmask_b32_e64 v5, 0, 1, s[0:1]
	v_add_u32_e32 v6, v4, v5
; %bb.1921:
	s_or_b64 exec, exec, s[8:9]
	s_mov_b64 s[0:1], 0
	s_mov_b64 s[8:9], -1
	global_store_byte v[2:3], v6, off
.LBB15_1922:
	s_mov_b64 s[10:11], 0
.LBB15_1923:
	s_and_b64 vcc, exec, s[10:11]
	s_cbranch_vccz .LBB15_1926
; %bb.1924:
	s_cmp_eq_u32 s15, 29
	s_mov_b64 s[0:1], -1
	s_cbranch_scc0 .LBB15_1926
; %bb.1925:
	v_and_b32_e32 v4, 0xff, v1
	v_mov_b32_e32 v5, 0
	global_store_dwordx2 v[2:3], v[4:5], off
	s_mov_b64 s[0:1], 0
	s_mov_b64 s[8:9], -1
.LBB15_1926:
	s_mov_b64 s[10:11], 0
.LBB15_1927:
	s_and_b64 vcc, exec, s[10:11]
	s_cbranch_vccz .LBB15_1943
; %bb.1928:
	s_cmp_lt_i32 s15, 27
	s_mov_b64 s[8:9], -1
	s_cbranch_scc1 .LBB15_1934
; %bb.1929:
	s_cmp_gt_i32 s15, 27
	s_cbranch_scc0 .LBB15_1931
; %bb.1930:
	v_and_b32_e32 v4, 0xff, v1
	s_mov_b64 s[8:9], 0
	global_store_dword v[2:3], v4, off
.LBB15_1931:
	s_andn2_b64 vcc, exec, s[8:9]
	s_cbranch_vccnz .LBB15_1933
; %bb.1932:
	v_and_b32_e32 v4, 0xff, v1
	global_store_short v[2:3], v4, off
.LBB15_1933:
	s_mov_b64 s[8:9], 0
.LBB15_1934:
	s_andn2_b64 vcc, exec, s[8:9]
	s_cbranch_vccnz .LBB15_1942
; %bb.1935:
	v_cvt_f32_ubyte0_e32 v5, v1
	s_mov_b32 s8, 0x43800000
	v_cmp_gt_u32_e32 vcc, s8, v5
	v_mov_b32_e32 v6, 0x80
	s_and_saveexec_b64 s[8:9], vcc
	s_cbranch_execz .LBB15_1941
; %bb.1936:
	s_mov_b32 s10, 0x3bffffff
	v_cmp_lt_u32_e32 vcc, s10, v5
	s_mov_b64 s[10:11], 0
                                        ; implicit-def: $vgpr4
	s_and_saveexec_b64 s[12:13], vcc
	s_xor_b64 s[12:13], exec, s[12:13]
	s_cbranch_execz .LBB15_2118
; %bb.1937:
	v_bfe_u32 v4, v5, 20, 1
	s_mov_b32 s16, 0x487ffff
	v_add3_u32 v4, v5, v4, s16
	s_mov_b64 s[10:11], exec
	v_lshrrev_b32_e32 v4, 20, v4
                                        ; implicit-def: $vgpr5
	s_andn2_saveexec_b64 s[12:13], s[12:13]
	s_cbranch_execnz .LBB15_2119
.LBB15_1938:
	s_or_b64 exec, exec, s[12:13]
	v_mov_b32_e32 v6, 0
	s_and_saveexec_b64 s[12:13], s[10:11]
.LBB15_1939:
	v_mov_b32_e32 v6, v4
.LBB15_1940:
	s_or_b64 exec, exec, s[12:13]
.LBB15_1941:
	s_or_b64 exec, exec, s[8:9]
	global_store_byte v[2:3], v6, off
.LBB15_1942:
	s_mov_b64 s[8:9], -1
.LBB15_1943:
	s_mov_b64 s[10:11], 0
.LBB15_1944:
	s_and_b64 vcc, exec, s[10:11]
	s_cbranch_vccz .LBB15_1984
; %bb.1945:
	s_cmp_gt_i32 s15, 22
	s_mov_b64 s[6:7], -1
	s_cbranch_scc0 .LBB15_1977
; %bb.1946:
	s_cmp_lt_i32 s15, 24
	s_cbranch_scc1 .LBB15_1966
; %bb.1947:
	s_cmp_gt_i32 s15, 24
	s_cbranch_scc0 .LBB15_1955
; %bb.1948:
	v_cvt_f32_ubyte0_e32 v5, v1
	s_mov_b32 s6, 0x47800000
	v_cmp_gt_u32_e32 vcc, s6, v5
	v_mov_b32_e32 v6, 0x80
	s_and_saveexec_b64 s[6:7], vcc
	s_cbranch_execz .LBB15_1954
; %bb.1949:
	s_mov_b32 s8, 0x37ffffff
	v_cmp_lt_u32_e32 vcc, s8, v5
	s_mov_b64 s[8:9], 0
                                        ; implicit-def: $vgpr4
	s_and_saveexec_b64 s[10:11], vcc
	s_xor_b64 s[10:11], exec, s[10:11]
	s_cbranch_execz .LBB15_2121
; %bb.1950:
	v_bfe_u32 v4, v5, 21, 1
	s_mov_b32 s12, 0x88fffff
	v_add3_u32 v4, v5, v4, s12
	s_mov_b64 s[8:9], exec
	v_lshrrev_b32_e32 v4, 21, v4
                                        ; implicit-def: $vgpr5
	s_andn2_saveexec_b64 s[10:11], s[10:11]
	s_cbranch_execnz .LBB15_2122
.LBB15_1951:
	s_or_b64 exec, exec, s[10:11]
	v_mov_b32_e32 v6, 0
	s_and_saveexec_b64 s[10:11], s[8:9]
.LBB15_1952:
	v_mov_b32_e32 v6, v4
.LBB15_1953:
	s_or_b64 exec, exec, s[10:11]
.LBB15_1954:
	s_or_b64 exec, exec, s[6:7]
	s_mov_b64 s[6:7], 0
	global_store_byte v[2:3], v6, off
.LBB15_1955:
	s_and_b64 vcc, exec, s[6:7]
	s_cbranch_vccz .LBB15_1965
; %bb.1956:
	v_cvt_f32_ubyte0_e32 v4, v1
	s_mov_b32 s6, 0x43f00000
	v_cmp_gt_u32_e32 vcc, s6, v4
                                        ; implicit-def: $vgpr5
	s_and_saveexec_b64 s[6:7], vcc
	s_xor_b64 s[6:7], exec, s[6:7]
	s_cbranch_execz .LBB15_1962
; %bb.1957:
	s_mov_b32 s8, 0x3c7fffff
	v_cmp_lt_u32_e32 vcc, s8, v4
                                        ; implicit-def: $vgpr5
	s_and_saveexec_b64 s[8:9], vcc
	s_xor_b64 s[8:9], exec, s[8:9]
; %bb.1958:
	v_bfe_u32 v5, v4, 20, 1
	s_mov_b32 s10, 0x407ffff
	v_add3_u32 v4, v4, v5, s10
	v_lshrrev_b32_e32 v5, 20, v4
	v_and_b32_e32 v4, 0xff00000, v4
	s_mov_b32 s10, 0x7f00000
	v_mov_b32_e32 v6, 0x7e
	v_cmp_ne_u32_e32 vcc, s10, v4
                                        ; implicit-def: $vgpr4
	s_nop 1
	v_cndmask_b32_e32 v5, v6, v5, vcc
; %bb.1959:
	s_andn2_saveexec_b64 s[8:9], s[8:9]
; %bb.1960:
	v_add_f32_e32 v5, 0x46800000, v4
; %bb.1961:
	s_or_b64 exec, exec, s[8:9]
                                        ; implicit-def: $vgpr4
.LBB15_1962:
	s_andn2_saveexec_b64 s[6:7], s[6:7]
; %bb.1963:
	s_mov_b32 s8, 0x7f800000
	v_mov_b32_e32 v5, 0x7e
	v_mov_b32_e32 v6, 0x7f
	v_cmp_lt_u32_e32 vcc, s8, v4
	s_nop 1
	v_cndmask_b32_e32 v5, v5, v6, vcc
; %bb.1964:
	s_or_b64 exec, exec, s[6:7]
	global_store_byte v[2:3], v5, off
.LBB15_1965:
	s_mov_b64 s[6:7], 0
.LBB15_1966:
	s_andn2_b64 vcc, exec, s[6:7]
	s_cbranch_vccnz .LBB15_1976
; %bb.1967:
	v_cvt_f32_ubyte0_e32 v4, v1
	s_mov_b32 s6, 0x47800000
	v_cmp_gt_u32_e32 vcc, s6, v4
                                        ; implicit-def: $vgpr5
	s_and_saveexec_b64 s[6:7], vcc
	s_xor_b64 s[6:7], exec, s[6:7]
	s_cbranch_execz .LBB15_1973
; %bb.1968:
	s_mov_b32 s8, 0x387fffff
	v_cmp_lt_u32_e32 vcc, s8, v4
                                        ; implicit-def: $vgpr5
	s_and_saveexec_b64 s[8:9], vcc
	s_xor_b64 s[8:9], exec, s[8:9]
; %bb.1969:
	v_bfe_u32 v5, v4, 21, 1
	s_mov_b32 s10, 0x80fffff
	v_add3_u32 v4, v4, v5, s10
	v_lshrrev_b32_e32 v5, 21, v4
                                        ; implicit-def: $vgpr4
; %bb.1970:
	s_andn2_saveexec_b64 s[8:9], s[8:9]
; %bb.1971:
	v_add_f32_e32 v5, 0x43000000, v4
; %bb.1972:
	s_or_b64 exec, exec, s[8:9]
                                        ; implicit-def: $vgpr4
.LBB15_1973:
	s_andn2_saveexec_b64 s[6:7], s[6:7]
; %bb.1974:
	s_mov_b32 s8, 0x7f800000
	v_mov_b32_e32 v5, 0x7c
	v_mov_b32_e32 v6, 0x7f
	v_cmp_lt_u32_e32 vcc, s8, v4
	s_nop 1
	v_cndmask_b32_e32 v5, v5, v6, vcc
; %bb.1975:
	s_or_b64 exec, exec, s[6:7]
	global_store_byte v[2:3], v5, off
.LBB15_1976:
	s_mov_b64 s[6:7], 0
	s_mov_b64 s[8:9], -1
.LBB15_1977:
	s_andn2_b64 vcc, exec, s[6:7]
	s_mov_b64 s[6:7], 0
	s_cbranch_vccnz .LBB15_1984
; %bb.1978:
	s_cmp_gt_i32 s15, 14
	s_mov_b64 s[10:11], -1
	s_cbranch_scc0 .LBB15_1982
; %bb.1979:
	s_cmp_eq_u32 s15, 15
	s_mov_b64 s[0:1], -1
	s_cbranch_scc0 .LBB15_1981
; %bb.1980:
	v_cvt_f32_ubyte0_e32 v4, v1
	v_bfe_u32 v5, v4, 16, 1
	s_movk_i32 s0, 0x7fff
	v_add3_u32 v4, v4, v5, s0
	global_store_short_d16_hi v[2:3], v4, off
	s_mov_b64 s[0:1], 0
	s_mov_b64 s[8:9], -1
.LBB15_1981:
	s_mov_b64 s[10:11], 0
.LBB15_1982:
	s_and_b64 vcc, exec, s[10:11]
	s_cbranch_vccz .LBB15_1984
; %bb.1983:
	s_cmp_lg_u32 s15, 11
	s_mov_b64 s[6:7], -1
	s_cselect_b64 s[0:1], -1, 0
.LBB15_1984:
	s_and_b64 vcc, exec, s[0:1]
	s_cbranch_vccnz .LBB15_2120
; %bb.1985:
	s_andn2_b64 vcc, exec, s[6:7]
	s_cbranch_vccnz .LBB15_1987
.LBB15_1986:
	s_movk_i32 s0, 0xff
	v_cmp_ne_u16_sdwa s[0:1], v14, s0 src0_sel:BYTE_0 src1_sel:DWORD
	s_mov_b64 s[8:9], -1
	s_nop 0
	v_cndmask_b32_e64 v4, 0, 1, s[0:1]
	global_store_byte v[2:3], v4, off
.LBB15_1987:
	s_mov_b64 s[0:1], 0
	s_branch .LBB15_1989
.LBB15_1988:
	s_mov_b64 s[0:1], -1
	s_mov_b64 s[8:9], 0
.LBB15_1989:
	s_and_b64 vcc, exec, s[0:1]
	s_cbranch_vccz .LBB15_2028
; %bb.1990:
	s_and_b32 s6, 0xffff, s14
	s_cmp_lt_i32 s6, 5
	s_mov_b64 s[0:1], -1
	s_cbranch_scc1 .LBB15_2011
; %bb.1991:
	s_cmp_lt_i32 s6, 8
	s_cbranch_scc1 .LBB15_2001
; %bb.1992:
	s_cmp_lt_i32 s6, 9
	s_cbranch_scc1 .LBB15_1998
; %bb.1993:
	s_cmp_gt_i32 s6, 9
	s_cbranch_scc0 .LBB15_1995
; %bb.1994:
	s_mov_b32 s0, 0xffff
	v_and_b32_sdwa v4, s0, v1 dst_sel:DWORD dst_unused:UNUSED_PAD src0_sel:DWORD src1_sel:BYTE_0
	v_mov_b32_e32 v6, 0
	v_cvt_f64_u32_e32 v[4:5], v4
	v_mov_b32_e32 v7, v6
	global_store_dwordx4 v[2:3], v[4:7], off
	s_mov_b64 s[0:1], 0
.LBB15_1995:
	s_andn2_b64 vcc, exec, s[0:1]
	s_cbranch_vccnz .LBB15_1997
; %bb.1996:
	v_cvt_f32_ubyte0_e32 v4, v1
	v_mov_b32_e32 v5, 0
	global_store_dwordx2 v[2:3], v[4:5], off
.LBB15_1997:
	s_mov_b64 s[0:1], 0
.LBB15_1998:
	s_andn2_b64 vcc, exec, s[0:1]
	s_cbranch_vccnz .LBB15_2000
; %bb.1999:
	v_cvt_f16_u16_sdwa v4, v1 dst_sel:DWORD dst_unused:UNUSED_PAD src0_sel:BYTE_0
	global_store_dword v[2:3], v4, off
.LBB15_2000:
	s_mov_b64 s[0:1], 0
.LBB15_2001:
	s_andn2_b64 vcc, exec, s[0:1]
	s_cbranch_vccnz .LBB15_2010
; %bb.2002:
	s_cmp_lt_i32 s6, 6
	s_mov_b64 s[0:1], -1
	s_cbranch_scc1 .LBB15_2008
; %bb.2003:
	s_cmp_gt_i32 s6, 6
	s_cbranch_scc0 .LBB15_2005
; %bb.2004:
	s_mov_b32 s0, 0xffff
	v_and_b32_sdwa v4, s0, v1 dst_sel:DWORD dst_unused:UNUSED_PAD src0_sel:DWORD src1_sel:BYTE_0
	v_cvt_f64_u32_e32 v[4:5], v4
	global_store_dwordx2 v[2:3], v[4:5], off
	s_mov_b64 s[0:1], 0
.LBB15_2005:
	s_andn2_b64 vcc, exec, s[0:1]
	s_cbranch_vccnz .LBB15_2007
; %bb.2006:
	v_cvt_f32_ubyte0_e32 v4, v1
	global_store_dword v[2:3], v4, off
.LBB15_2007:
	s_mov_b64 s[0:1], 0
.LBB15_2008:
	s_andn2_b64 vcc, exec, s[0:1]
	s_cbranch_vccnz .LBB15_2010
; %bb.2009:
	v_cvt_f16_u16_sdwa v4, v1 dst_sel:DWORD dst_unused:UNUSED_PAD src0_sel:BYTE_0
	global_store_short v[2:3], v4, off
.LBB15_2010:
	s_mov_b64 s[0:1], 0
.LBB15_2011:
	s_andn2_b64 vcc, exec, s[0:1]
	s_cbranch_vccnz .LBB15_2027
; %bb.2012:
	s_cmp_lt_i32 s6, 2
	s_mov_b64 s[0:1], -1
	s_cbranch_scc1 .LBB15_2022
; %bb.2013:
	s_cmp_lt_i32 s6, 3
	s_cbranch_scc1 .LBB15_2019
; %bb.2014:
	s_cmp_gt_i32 s6, 3
	s_cbranch_scc0 .LBB15_2016
; %bb.2015:
	v_and_b32_e32 v4, 0xff, v1
	v_mov_b32_e32 v5, 0
	global_store_dwordx2 v[2:3], v[4:5], off
	s_mov_b64 s[0:1], 0
.LBB15_2016:
	s_andn2_b64 vcc, exec, s[0:1]
	s_cbranch_vccnz .LBB15_2018
; %bb.2017:
	v_and_b32_e32 v4, 0xff, v1
	global_store_dword v[2:3], v4, off
.LBB15_2018:
	s_mov_b64 s[0:1], 0
.LBB15_2019:
	s_andn2_b64 vcc, exec, s[0:1]
	s_cbranch_vccnz .LBB15_2021
; %bb.2020:
	v_and_b32_e32 v4, 0xff, v1
	global_store_short v[2:3], v4, off
.LBB15_2021:
	s_mov_b64 s[0:1], 0
.LBB15_2022:
	s_andn2_b64 vcc, exec, s[0:1]
	s_cbranch_vccnz .LBB15_2027
; %bb.2023:
	s_cmp_gt_i32 s6, 0
	s_mov_b64 s[0:1], -1
	s_cbranch_scc0 .LBB15_2025
; %bb.2024:
	global_store_byte v[2:3], v1, off
	s_mov_b64 s[0:1], 0
.LBB15_2025:
	s_andn2_b64 vcc, exec, s[0:1]
	s_cbranch_vccnz .LBB15_2027
; %bb.2026:
	global_store_byte v[2:3], v1, off
.LBB15_2027:
	s_mov_b64 s[8:9], -1
.LBB15_2028:
	s_andn2_b64 vcc, exec, s[8:9]
	s_cbranch_vccnz .LBB15_2105
; %bb.2029:
	v_mov_b32_e32 v1, 0
	v_xor_b32_e32 v2, -1, v12
	s_cmp_lt_i32 s14, 11
	v_lshl_add_u64 v[0:1], s[4:5], 0, v[0:1]
	s_cbranch_scc1 .LBB15_2106
; %bb.2030:
	s_and_b32 s12, 0xffff, s14
	s_mov_b64 s[6:7], -1
	s_mov_b64 s[4:5], 0
	s_cmp_gt_i32 s12, 25
	s_mov_b64 s[0:1], 0
	s_cbranch_scc0 .LBB15_2063
; %bb.2031:
	s_cmp_gt_i32 s12, 28
	s_cbranch_scc0 .LBB15_2047
; %bb.2032:
	s_cmp_gt_i32 s12, 43
	;; [unrolled: 3-line block ×3, first 2 shown]
	s_cbranch_scc0 .LBB15_2037
; %bb.2034:
	s_cmp_eq_u32 s12, 46
	s_mov_b64 s[0:1], -1
	s_cbranch_scc0 .LBB15_2036
; %bb.2035:
	v_cvt_f32_ubyte0_e32 v3, v2
	v_bfe_u32 v4, v3, 16, 1
	s_movk_i32 s0, 0x7fff
	v_add3_u32 v3, v3, v4, s0
	v_lshrrev_b32_e32 v3, 16, v3
	global_store_dword v[0:1], v3, off
	s_mov_b64 s[0:1], 0
.LBB15_2036:
	s_mov_b64 s[6:7], 0
.LBB15_2037:
	s_and_b64 vcc, exec, s[6:7]
	s_cbranch_vccz .LBB15_2042
; %bb.2038:
	s_cmp_eq_u32 s12, 44
	s_mov_b64 s[0:1], -1
	s_cbranch_scc0 .LBB15_2042
; %bb.2039:
	v_cvt_f32_ubyte0_e32 v4, v2
	v_lshrrev_b32_e32 v3, 23, v4
	s_movk_i32 s0, 0xff
	v_cmp_ne_u32_e32 vcc, s0, v3
	v_mov_b32_e32 v5, 0xff
	s_and_saveexec_b64 s[6:7], vcc
; %bb.2040:
	s_mov_b32 s0, 0x3fffff
	v_and_b32_e32 v5, 0x400000, v4
	v_and_or_b32 v4, v4, s0, v3
	v_cmp_ne_u32_e32 vcc, 0, v5
	v_cmp_ne_u32_e64 s[0:1], 0, v4
	s_and_b64 s[0:1], vcc, s[0:1]
	s_nop 0
	v_cndmask_b32_e64 v4, 0, 1, s[0:1]
	v_add_u32_e32 v5, v3, v4
; %bb.2041:
	s_or_b64 exec, exec, s[6:7]
	s_mov_b64 s[0:1], 0
	global_store_byte v[0:1], v5, off
.LBB15_2042:
	s_mov_b64 s[6:7], 0
.LBB15_2043:
	s_and_b64 vcc, exec, s[6:7]
	s_cbranch_vccz .LBB15_2046
; %bb.2044:
	s_cmp_eq_u32 s12, 29
	s_mov_b64 s[0:1], -1
	s_cbranch_scc0 .LBB15_2046
; %bb.2045:
	v_and_b32_e32 v4, 0xff, v2
	v_mov_b32_e32 v5, 0
	global_store_dwordx2 v[0:1], v[4:5], off
	s_mov_b64 s[0:1], 0
.LBB15_2046:
	s_mov_b64 s[6:7], 0
.LBB15_2047:
	s_and_b64 vcc, exec, s[6:7]
	s_cbranch_vccz .LBB15_2062
; %bb.2048:
	s_cmp_lt_i32 s12, 27
	s_mov_b64 s[6:7], -1
	s_cbranch_scc1 .LBB15_2054
; %bb.2049:
	s_cmp_gt_i32 s12, 27
	s_cbranch_scc0 .LBB15_2051
; %bb.2050:
	v_and_b32_e32 v3, 0xff, v2
	global_store_dword v[0:1], v3, off
	s_mov_b64 s[6:7], 0
.LBB15_2051:
	s_andn2_b64 vcc, exec, s[6:7]
	s_cbranch_vccnz .LBB15_2053
; %bb.2052:
	v_and_b32_e32 v3, 0xff, v2
	global_store_short v[0:1], v3, off
.LBB15_2053:
	s_mov_b64 s[6:7], 0
.LBB15_2054:
	s_andn2_b64 vcc, exec, s[6:7]
	s_cbranch_vccnz .LBB15_2062
; %bb.2055:
	v_cvt_f32_ubyte0_e32 v4, v2
	s_mov_b32 s6, 0x43800000
	v_cmp_gt_u32_e32 vcc, s6, v4
	v_mov_b32_e32 v5, 0x80
	s_and_saveexec_b64 s[6:7], vcc
	s_cbranch_execz .LBB15_2061
; %bb.2056:
	s_mov_b32 s8, 0x3bffffff
	v_cmp_lt_u32_e32 vcc, s8, v4
	s_mov_b64 s[8:9], 0
                                        ; implicit-def: $vgpr3
	s_and_saveexec_b64 s[10:11], vcc
	s_xor_b64 s[10:11], exec, s[10:11]
	s_cbranch_execz .LBB15_2123
; %bb.2057:
	v_bfe_u32 v3, v4, 20, 1
	s_mov_b32 s13, 0x487ffff
	v_add3_u32 v3, v4, v3, s13
	s_mov_b64 s[8:9], exec
	v_lshrrev_b32_e32 v3, 20, v3
                                        ; implicit-def: $vgpr4
	s_andn2_saveexec_b64 s[10:11], s[10:11]
	s_cbranch_execnz .LBB15_2124
.LBB15_2058:
	s_or_b64 exec, exec, s[10:11]
	v_mov_b32_e32 v5, 0
	s_and_saveexec_b64 s[10:11], s[8:9]
.LBB15_2059:
	v_mov_b32_e32 v5, v3
.LBB15_2060:
	s_or_b64 exec, exec, s[10:11]
.LBB15_2061:
	s_or_b64 exec, exec, s[6:7]
	global_store_byte v[0:1], v5, off
.LBB15_2062:
	s_mov_b64 s[6:7], 0
.LBB15_2063:
	s_and_b64 vcc, exec, s[6:7]
	s_cbranch_vccz .LBB15_2103
; %bb.2064:
	s_cmp_gt_i32 s12, 22
	s_mov_b64 s[4:5], -1
	s_cbranch_scc0 .LBB15_2096
; %bb.2065:
	s_cmp_lt_i32 s12, 24
	s_cbranch_scc1 .LBB15_2085
; %bb.2066:
	s_cmp_gt_i32 s12, 24
	s_cbranch_scc0 .LBB15_2074
; %bb.2067:
	v_cvt_f32_ubyte0_e32 v4, v2
	s_mov_b32 s4, 0x47800000
	v_cmp_gt_u32_e32 vcc, s4, v4
	v_mov_b32_e32 v5, 0x80
	s_and_saveexec_b64 s[4:5], vcc
	s_cbranch_execz .LBB15_2073
; %bb.2068:
	s_mov_b32 s6, 0x37ffffff
	v_cmp_lt_u32_e32 vcc, s6, v4
	s_mov_b64 s[6:7], 0
                                        ; implicit-def: $vgpr3
	s_and_saveexec_b64 s[8:9], vcc
	s_xor_b64 s[8:9], exec, s[8:9]
	s_cbranch_execz .LBB15_2126
; %bb.2069:
	v_bfe_u32 v3, v4, 21, 1
	s_mov_b32 s10, 0x88fffff
	v_add3_u32 v3, v4, v3, s10
	s_mov_b64 s[6:7], exec
	v_lshrrev_b32_e32 v3, 21, v3
                                        ; implicit-def: $vgpr4
	s_andn2_saveexec_b64 s[8:9], s[8:9]
	s_cbranch_execnz .LBB15_2127
.LBB15_2070:
	s_or_b64 exec, exec, s[8:9]
	v_mov_b32_e32 v5, 0
	s_and_saveexec_b64 s[8:9], s[6:7]
.LBB15_2071:
	v_mov_b32_e32 v5, v3
.LBB15_2072:
	s_or_b64 exec, exec, s[8:9]
.LBB15_2073:
	s_or_b64 exec, exec, s[4:5]
	s_mov_b64 s[4:5], 0
	global_store_byte v[0:1], v5, off
.LBB15_2074:
	s_and_b64 vcc, exec, s[4:5]
	s_cbranch_vccz .LBB15_2084
; %bb.2075:
	v_cvt_f32_ubyte0_e32 v3, v2
	s_mov_b32 s4, 0x43f00000
	v_cmp_gt_u32_e32 vcc, s4, v3
                                        ; implicit-def: $vgpr4
	s_and_saveexec_b64 s[4:5], vcc
	s_xor_b64 s[4:5], exec, s[4:5]
	s_cbranch_execz .LBB15_2081
; %bb.2076:
	s_mov_b32 s6, 0x3c7fffff
	v_cmp_lt_u32_e32 vcc, s6, v3
                                        ; implicit-def: $vgpr4
	s_and_saveexec_b64 s[6:7], vcc
	s_xor_b64 s[6:7], exec, s[6:7]
; %bb.2077:
	v_bfe_u32 v4, v3, 20, 1
	s_mov_b32 s8, 0x407ffff
	v_add3_u32 v3, v3, v4, s8
	v_lshrrev_b32_e32 v4, 20, v3
	v_and_b32_e32 v3, 0xff00000, v3
	s_mov_b32 s8, 0x7f00000
	v_mov_b32_e32 v5, 0x7e
	v_cmp_ne_u32_e32 vcc, s8, v3
                                        ; implicit-def: $vgpr3
	s_nop 1
	v_cndmask_b32_e32 v4, v5, v4, vcc
; %bb.2078:
	s_andn2_saveexec_b64 s[6:7], s[6:7]
; %bb.2079:
	v_add_f32_e32 v4, 0x46800000, v3
; %bb.2080:
	s_or_b64 exec, exec, s[6:7]
                                        ; implicit-def: $vgpr3
.LBB15_2081:
	s_andn2_saveexec_b64 s[4:5], s[4:5]
; %bb.2082:
	s_mov_b32 s6, 0x7f800000
	v_mov_b32_e32 v4, 0x7e
	v_mov_b32_e32 v5, 0x7f
	v_cmp_lt_u32_e32 vcc, s6, v3
	s_nop 1
	v_cndmask_b32_e32 v4, v4, v5, vcc
; %bb.2083:
	s_or_b64 exec, exec, s[4:5]
	global_store_byte v[0:1], v4, off
.LBB15_2084:
	s_mov_b64 s[4:5], 0
.LBB15_2085:
	s_andn2_b64 vcc, exec, s[4:5]
	s_cbranch_vccnz .LBB15_2095
; %bb.2086:
	v_cvt_f32_ubyte0_e32 v3, v2
	s_mov_b32 s4, 0x47800000
	v_cmp_gt_u32_e32 vcc, s4, v3
                                        ; implicit-def: $vgpr4
	s_and_saveexec_b64 s[4:5], vcc
	s_xor_b64 s[4:5], exec, s[4:5]
	s_cbranch_execz .LBB15_2092
; %bb.2087:
	s_mov_b32 s6, 0x387fffff
	v_cmp_lt_u32_e32 vcc, s6, v3
                                        ; implicit-def: $vgpr4
	s_and_saveexec_b64 s[6:7], vcc
	s_xor_b64 s[6:7], exec, s[6:7]
; %bb.2088:
	v_bfe_u32 v4, v3, 21, 1
	s_mov_b32 s8, 0x80fffff
	v_add3_u32 v3, v3, v4, s8
	v_lshrrev_b32_e32 v4, 21, v3
                                        ; implicit-def: $vgpr3
; %bb.2089:
	s_andn2_saveexec_b64 s[6:7], s[6:7]
; %bb.2090:
	v_add_f32_e32 v4, 0x43000000, v3
; %bb.2091:
	s_or_b64 exec, exec, s[6:7]
                                        ; implicit-def: $vgpr3
.LBB15_2092:
	s_andn2_saveexec_b64 s[4:5], s[4:5]
; %bb.2093:
	s_mov_b32 s6, 0x7f800000
	v_mov_b32_e32 v4, 0x7c
	v_mov_b32_e32 v5, 0x7f
	v_cmp_lt_u32_e32 vcc, s6, v3
	s_nop 1
	v_cndmask_b32_e32 v4, v4, v5, vcc
; %bb.2094:
	s_or_b64 exec, exec, s[4:5]
	global_store_byte v[0:1], v4, off
.LBB15_2095:
	s_mov_b64 s[4:5], 0
.LBB15_2096:
	s_andn2_b64 vcc, exec, s[4:5]
	s_mov_b64 s[4:5], 0
	s_cbranch_vccnz .LBB15_2103
; %bb.2097:
	s_cmp_gt_i32 s12, 14
	s_mov_b64 s[6:7], -1
	s_cbranch_scc0 .LBB15_2101
; %bb.2098:
	s_cmp_eq_u32 s12, 15
	s_mov_b64 s[0:1], -1
	s_cbranch_scc0 .LBB15_2100
; %bb.2099:
	v_cvt_f32_ubyte0_e32 v3, v2
	v_bfe_u32 v4, v3, 16, 1
	s_movk_i32 s0, 0x7fff
	v_add3_u32 v3, v3, v4, s0
	global_store_short_d16_hi v[0:1], v3, off
	s_mov_b64 s[0:1], 0
.LBB15_2100:
	s_mov_b64 s[6:7], 0
.LBB15_2101:
	s_and_b64 vcc, exec, s[6:7]
	s_cbranch_vccz .LBB15_2103
; %bb.2102:
	s_cmp_lg_u32 s12, 11
	s_mov_b64 s[4:5], -1
	s_cselect_b64 s[0:1], -1, 0
.LBB15_2103:
	s_and_b64 vcc, exec, s[0:1]
	s_cbranch_vccnz .LBB15_2125
.LBB15_2104:
	s_mov_b64 s[0:1], 0
	s_branch .LBB15_1514
.LBB15_2105:
	s_mov_b64 s[0:1], 0
                                        ; implicit-def: $vgpr0_vgpr1
                                        ; implicit-def: $sgpr14
                                        ; implicit-def: $vgpr2
	s_branch .LBB15_1513
.LBB15_2106:
	s_mov_b64 s[4:5], 0
	s_mov_b64 s[0:1], -1
	s_branch .LBB15_1514
.LBB15_2107:
	s_trap 2
	s_or_b64 s[2:3], s[2:3], exec
	s_cbranch_execz .LBB15_1620
	s_branch .LBB15_1621
.LBB15_2108:
	s_andn2_saveexec_b64 s[12:13], s[12:13]
	s_cbranch_execz .LBB15_1700
.LBB15_2109:
	v_add_f32_e32 v3, 0x46000000, v5
	v_and_b32_e32 v3, 0xff, v3
	v_cmp_ne_u32_e32 vcc, 0, v3
	s_andn2_b64 s[10:11], s[10:11], exec
	s_and_b64 s[18:19], vcc, exec
	s_or_b64 s[10:11], s[10:11], s[18:19]
	s_or_b64 exec, exec, s[12:13]
	v_mov_b32_e32 v9, 0
	s_and_saveexec_b64 s[12:13], s[10:11]
	s_cbranch_execnz .LBB15_1701
	s_branch .LBB15_1702
.LBB15_2110:
	s_trap 2
	s_or_b64 s[2:3], s[2:3], exec
	s_cbranch_execz .LBB15_1748
	s_branch .LBB15_1749
.LBB15_2111:
	s_andn2_saveexec_b64 s[10:11], s[10:11]
	s_cbranch_execz .LBB15_1713
.LBB15_2112:
	v_add_f32_e32 v3, 0x42800000, v5
	v_and_b32_e32 v3, 0xff, v3
	v_cmp_ne_u32_e32 vcc, 0, v3
	s_andn2_b64 s[8:9], s[8:9], exec
	s_and_b64 s[12:13], vcc, exec
	s_or_b64 s[8:9], s[8:9], s[12:13]
	s_or_b64 exec, exec, s[10:11]
	v_mov_b32_e32 v9, 0
	s_and_saveexec_b64 s[10:11], s[8:9]
	s_cbranch_execnz .LBB15_1714
	s_branch .LBB15_1715
.LBB15_2113:
	s_andn2_saveexec_b64 s[12:13], s[12:13]
	s_cbranch_execz .LBB15_1819
.LBB15_2114:
	v_add_f32_e32 v3, 0x46000000, v6
	v_and_b32_e32 v3, 0xff, v3
	v_cmp_ne_u32_e32 vcc, 0, v3
	s_andn2_b64 s[10:11], s[10:11], exec
	s_and_b64 s[16:17], vcc, exec
	s_or_b64 s[10:11], s[10:11], s[16:17]
	s_or_b64 exec, exec, s[12:13]
	v_mov_b32_e32 v7, 0
	s_and_saveexec_b64 s[12:13], s[10:11]
	s_cbranch_execnz .LBB15_1820
	s_branch .LBB15_1821
.LBB15_2115:
	s_trap 2
	s_or_b64 s[2:3], s[2:3], exec
	s_cbranch_execz .LBB15_1867
	s_branch .LBB15_1868
.LBB15_2116:
	s_andn2_saveexec_b64 s[10:11], s[10:11]
	s_cbranch_execz .LBB15_1832
.LBB15_2117:
	v_add_f32_e32 v3, 0x42800000, v6
	v_and_b32_e32 v3, 0xff, v3
	v_cmp_ne_u32_e32 vcc, 0, v3
	s_andn2_b64 s[8:9], s[8:9], exec
	s_and_b64 s[12:13], vcc, exec
	s_or_b64 s[8:9], s[8:9], s[12:13]
	s_or_b64 exec, exec, s[10:11]
	v_mov_b32_e32 v7, 0
	s_and_saveexec_b64 s[10:11], s[8:9]
	s_cbranch_execnz .LBB15_1833
	s_branch .LBB15_1834
.LBB15_2118:
	s_andn2_saveexec_b64 s[12:13], s[12:13]
	s_cbranch_execz .LBB15_1938
.LBB15_2119:
	v_add_f32_e32 v4, 0x46000000, v5
	v_and_b32_e32 v4, 0xff, v4
	v_cmp_ne_u32_e32 vcc, 0, v4
	s_andn2_b64 s[10:11], s[10:11], exec
	s_and_b64 s[16:17], vcc, exec
	s_or_b64 s[10:11], s[10:11], s[16:17]
	s_or_b64 exec, exec, s[12:13]
	v_mov_b32_e32 v6, 0
	s_and_saveexec_b64 s[12:13], s[10:11]
	s_cbranch_execnz .LBB15_1939
	s_branch .LBB15_1940
.LBB15_2120:
	s_trap 2
	s_or_b64 s[2:3], s[2:3], exec
	s_cbranch_execz .LBB15_1986
	s_branch .LBB15_1987
.LBB15_2121:
	s_andn2_saveexec_b64 s[10:11], s[10:11]
	s_cbranch_execz .LBB15_1951
.LBB15_2122:
	v_add_f32_e32 v4, 0x42800000, v5
	v_and_b32_e32 v4, 0xff, v4
	v_cmp_ne_u32_e32 vcc, 0, v4
	s_andn2_b64 s[8:9], s[8:9], exec
	s_and_b64 s[12:13], vcc, exec
	s_or_b64 s[8:9], s[8:9], s[12:13]
	s_or_b64 exec, exec, s[10:11]
	v_mov_b32_e32 v6, 0
	s_and_saveexec_b64 s[10:11], s[8:9]
	s_cbranch_execnz .LBB15_1952
	s_branch .LBB15_1953
.LBB15_2123:
	s_andn2_saveexec_b64 s[10:11], s[10:11]
	s_cbranch_execz .LBB15_2058
.LBB15_2124:
	v_add_f32_e32 v3, 0x46000000, v4
	v_and_b32_e32 v3, 0xff, v3
	v_cmp_ne_u32_e32 vcc, 0, v3
	s_andn2_b64 s[8:9], s[8:9], exec
	s_and_b64 s[16:17], vcc, exec
	s_or_b64 s[8:9], s[8:9], s[16:17]
	s_or_b64 exec, exec, s[10:11]
	v_mov_b32_e32 v5, 0
	s_and_saveexec_b64 s[10:11], s[8:9]
	s_cbranch_execnz .LBB15_2059
	s_branch .LBB15_2060
.LBB15_2125:
	s_mov_b64 s[4:5], 0
	s_or_b64 s[2:3], s[2:3], exec
	s_trap 2
	s_branch .LBB15_2104
.LBB15_2126:
	s_andn2_saveexec_b64 s[8:9], s[8:9]
	s_cbranch_execz .LBB15_2070
.LBB15_2127:
	v_add_f32_e32 v3, 0x42800000, v4
	v_and_b32_e32 v3, 0xff, v3
	v_cmp_ne_u32_e32 vcc, 0, v3
	s_andn2_b64 s[6:7], s[6:7], exec
	s_and_b64 s[10:11], vcc, exec
	s_or_b64 s[6:7], s[6:7], s[10:11]
	s_or_b64 exec, exec, s[8:9]
	v_mov_b32_e32 v5, 0
	s_and_saveexec_b64 s[8:9], s[6:7]
	s_cbranch_execnz .LBB15_2071
	s_branch .LBB15_2072
	.section	.rodata,"a",@progbits
	.p2align	6, 0x0
	.amdhsa_kernel _ZN2at6native32elementwise_kernel_manual_unrollILi128ELi4EZNS0_15gpu_kernel_implIZZZNS0_23bitwise_not_kernel_cudaERNS_18TensorIteratorBaseEENKUlvE_clEvENKUlvE_clEvEUlhE_EEvS4_RKT_EUlibE0_EEviT1_
		.amdhsa_group_segment_fixed_size 0
		.amdhsa_private_segment_fixed_size 0
		.amdhsa_kernarg_size 360
		.amdhsa_user_sgpr_count 2
		.amdhsa_user_sgpr_dispatch_ptr 0
		.amdhsa_user_sgpr_queue_ptr 0
		.amdhsa_user_sgpr_kernarg_segment_ptr 1
		.amdhsa_user_sgpr_dispatch_id 0
		.amdhsa_user_sgpr_kernarg_preload_length 0
		.amdhsa_user_sgpr_kernarg_preload_offset 0
		.amdhsa_user_sgpr_private_segment_size 0
		.amdhsa_uses_dynamic_stack 0
		.amdhsa_enable_private_segment 0
		.amdhsa_system_sgpr_workgroup_id_x 1
		.amdhsa_system_sgpr_workgroup_id_y 0
		.amdhsa_system_sgpr_workgroup_id_z 0
		.amdhsa_system_sgpr_workgroup_info 0
		.amdhsa_system_vgpr_workitem_id 0
		.amdhsa_next_free_vgpr 20
		.amdhsa_next_free_sgpr 78
		.amdhsa_accum_offset 20
		.amdhsa_reserve_vcc 1
		.amdhsa_float_round_mode_32 0
		.amdhsa_float_round_mode_16_64 0
		.amdhsa_float_denorm_mode_32 3
		.amdhsa_float_denorm_mode_16_64 3
		.amdhsa_dx10_clamp 1
		.amdhsa_ieee_mode 1
		.amdhsa_fp16_overflow 0
		.amdhsa_tg_split 0
		.amdhsa_exception_fp_ieee_invalid_op 0
		.amdhsa_exception_fp_denorm_src 0
		.amdhsa_exception_fp_ieee_div_zero 0
		.amdhsa_exception_fp_ieee_overflow 0
		.amdhsa_exception_fp_ieee_underflow 0
		.amdhsa_exception_fp_ieee_inexact 0
		.amdhsa_exception_int_div_zero 0
	.end_amdhsa_kernel
	.section	.text._ZN2at6native32elementwise_kernel_manual_unrollILi128ELi4EZNS0_15gpu_kernel_implIZZZNS0_23bitwise_not_kernel_cudaERNS_18TensorIteratorBaseEENKUlvE_clEvENKUlvE_clEvEUlhE_EEvS4_RKT_EUlibE0_EEviT1_,"axG",@progbits,_ZN2at6native32elementwise_kernel_manual_unrollILi128ELi4EZNS0_15gpu_kernel_implIZZZNS0_23bitwise_not_kernel_cudaERNS_18TensorIteratorBaseEENKUlvE_clEvENKUlvE_clEvEUlhE_EEvS4_RKT_EUlibE0_EEviT1_,comdat
.Lfunc_end15:
	.size	_ZN2at6native32elementwise_kernel_manual_unrollILi128ELi4EZNS0_15gpu_kernel_implIZZZNS0_23bitwise_not_kernel_cudaERNS_18TensorIteratorBaseEENKUlvE_clEvENKUlvE_clEvEUlhE_EEvS4_RKT_EUlibE0_EEviT1_, .Lfunc_end15-_ZN2at6native32elementwise_kernel_manual_unrollILi128ELi4EZNS0_15gpu_kernel_implIZZZNS0_23bitwise_not_kernel_cudaERNS_18TensorIteratorBaseEENKUlvE_clEvENKUlvE_clEvEUlhE_EEvS4_RKT_EUlibE0_EEviT1_
                                        ; -- End function
	.set _ZN2at6native32elementwise_kernel_manual_unrollILi128ELi4EZNS0_15gpu_kernel_implIZZZNS0_23bitwise_not_kernel_cudaERNS_18TensorIteratorBaseEENKUlvE_clEvENKUlvE_clEvEUlhE_EEvS4_RKT_EUlibE0_EEviT1_.num_vgpr, 20
	.set _ZN2at6native32elementwise_kernel_manual_unrollILi128ELi4EZNS0_15gpu_kernel_implIZZZNS0_23bitwise_not_kernel_cudaERNS_18TensorIteratorBaseEENKUlvE_clEvENKUlvE_clEvEUlhE_EEvS4_RKT_EUlibE0_EEviT1_.num_agpr, 0
	.set _ZN2at6native32elementwise_kernel_manual_unrollILi128ELi4EZNS0_15gpu_kernel_implIZZZNS0_23bitwise_not_kernel_cudaERNS_18TensorIteratorBaseEENKUlvE_clEvENKUlvE_clEvEUlhE_EEvS4_RKT_EUlibE0_EEviT1_.numbered_sgpr, 78
	.set _ZN2at6native32elementwise_kernel_manual_unrollILi128ELi4EZNS0_15gpu_kernel_implIZZZNS0_23bitwise_not_kernel_cudaERNS_18TensorIteratorBaseEENKUlvE_clEvENKUlvE_clEvEUlhE_EEvS4_RKT_EUlibE0_EEviT1_.num_named_barrier, 0
	.set _ZN2at6native32elementwise_kernel_manual_unrollILi128ELi4EZNS0_15gpu_kernel_implIZZZNS0_23bitwise_not_kernel_cudaERNS_18TensorIteratorBaseEENKUlvE_clEvENKUlvE_clEvEUlhE_EEvS4_RKT_EUlibE0_EEviT1_.private_seg_size, 0
	.set _ZN2at6native32elementwise_kernel_manual_unrollILi128ELi4EZNS0_15gpu_kernel_implIZZZNS0_23bitwise_not_kernel_cudaERNS_18TensorIteratorBaseEENKUlvE_clEvENKUlvE_clEvEUlhE_EEvS4_RKT_EUlibE0_EEviT1_.uses_vcc, 1
	.set _ZN2at6native32elementwise_kernel_manual_unrollILi128ELi4EZNS0_15gpu_kernel_implIZZZNS0_23bitwise_not_kernel_cudaERNS_18TensorIteratorBaseEENKUlvE_clEvENKUlvE_clEvEUlhE_EEvS4_RKT_EUlibE0_EEviT1_.uses_flat_scratch, 0
	.set _ZN2at6native32elementwise_kernel_manual_unrollILi128ELi4EZNS0_15gpu_kernel_implIZZZNS0_23bitwise_not_kernel_cudaERNS_18TensorIteratorBaseEENKUlvE_clEvENKUlvE_clEvEUlhE_EEvS4_RKT_EUlibE0_EEviT1_.has_dyn_sized_stack, 0
	.set _ZN2at6native32elementwise_kernel_manual_unrollILi128ELi4EZNS0_15gpu_kernel_implIZZZNS0_23bitwise_not_kernel_cudaERNS_18TensorIteratorBaseEENKUlvE_clEvENKUlvE_clEvEUlhE_EEvS4_RKT_EUlibE0_EEviT1_.has_recursion, 0
	.set _ZN2at6native32elementwise_kernel_manual_unrollILi128ELi4EZNS0_15gpu_kernel_implIZZZNS0_23bitwise_not_kernel_cudaERNS_18TensorIteratorBaseEENKUlvE_clEvENKUlvE_clEvEUlhE_EEvS4_RKT_EUlibE0_EEviT1_.has_indirect_call, 0
	.section	.AMDGPU.csdata,"",@progbits
; Kernel info:
; codeLenInByte = 38900
; TotalNumSgprs: 84
; NumVgprs: 20
; NumAgprs: 0
; TotalNumVgprs: 20
; ScratchSize: 0
; MemoryBound: 1
; FloatMode: 240
; IeeeMode: 1
; LDSByteSize: 0 bytes/workgroup (compile time only)
; SGPRBlocks: 10
; VGPRBlocks: 2
; NumSGPRsForWavesPerEU: 84
; NumVGPRsForWavesPerEU: 20
; AccumOffset: 20
; Occupancy: 8
; WaveLimiterHint : 1
; COMPUTE_PGM_RSRC2:SCRATCH_EN: 0
; COMPUTE_PGM_RSRC2:USER_SGPR: 2
; COMPUTE_PGM_RSRC2:TRAP_HANDLER: 0
; COMPUTE_PGM_RSRC2:TGID_X_EN: 1
; COMPUTE_PGM_RSRC2:TGID_Y_EN: 0
; COMPUTE_PGM_RSRC2:TGID_Z_EN: 0
; COMPUTE_PGM_RSRC2:TIDIG_COMP_CNT: 0
; COMPUTE_PGM_RSRC3_GFX90A:ACCUM_OFFSET: 4
; COMPUTE_PGM_RSRC3_GFX90A:TG_SPLIT: 0
	.section	.text._ZN2at6native29vectorized_elementwise_kernelILi16EZZZNS0_23bitwise_not_kernel_cudaERNS_18TensorIteratorBaseEENKUlvE_clEvENKUlvE0_clEvEUlaE_St5arrayIPcLm2EEEEviT0_T1_,"axG",@progbits,_ZN2at6native29vectorized_elementwise_kernelILi16EZZZNS0_23bitwise_not_kernel_cudaERNS_18TensorIteratorBaseEENKUlvE_clEvENKUlvE0_clEvEUlaE_St5arrayIPcLm2EEEEviT0_T1_,comdat
	.globl	_ZN2at6native29vectorized_elementwise_kernelILi16EZZZNS0_23bitwise_not_kernel_cudaERNS_18TensorIteratorBaseEENKUlvE_clEvENKUlvE0_clEvEUlaE_St5arrayIPcLm2EEEEviT0_T1_ ; -- Begin function _ZN2at6native29vectorized_elementwise_kernelILi16EZZZNS0_23bitwise_not_kernel_cudaERNS_18TensorIteratorBaseEENKUlvE_clEvENKUlvE0_clEvEUlaE_St5arrayIPcLm2EEEEviT0_T1_
	.p2align	8
	.type	_ZN2at6native29vectorized_elementwise_kernelILi16EZZZNS0_23bitwise_not_kernel_cudaERNS_18TensorIteratorBaseEENKUlvE_clEvENKUlvE0_clEvEUlaE_St5arrayIPcLm2EEEEviT0_T1_,@function
_ZN2at6native29vectorized_elementwise_kernelILi16EZZZNS0_23bitwise_not_kernel_cudaERNS_18TensorIteratorBaseEENKUlvE_clEvENKUlvE0_clEvEUlaE_St5arrayIPcLm2EEEEviT0_T1_: ; @_ZN2at6native29vectorized_elementwise_kernelILi16EZZZNS0_23bitwise_not_kernel_cudaERNS_18TensorIteratorBaseEENKUlvE_clEvENKUlvE0_clEvEUlaE_St5arrayIPcLm2EEEEviT0_T1_
; %bb.0:
	s_load_dword s3, s[0:1], 0x0
	s_load_dwordx4 s[4:7], s[0:1], 0x8
	s_lshl_b32 s33, s2, 12
	s_mov_b64 s[0:1], -1
	s_waitcnt lgkmcnt(0)
	s_sub_i32 s38, s3, s33
	s_cmpk_gt_i32 s38, 0xfff
	s_cbranch_scc0 .LBB16_2
; %bb.1:
	s_ashr_i32 s2, s33, 31
	s_add_u32 s0, s6, s33
	s_addc_u32 s1, s7, s2
	v_lshlrev_b32_e32 v1, 4, v0
	global_load_dwordx4 v[2:5], v1, s[0:1]
	s_add_u32 s0, s4, s33
	s_addc_u32 s1, s5, s2
	s_waitcnt vmcnt(0)
	v_not_b32_e32 v3, v3
	v_not_b32_e32 v2, v2
	;; [unrolled: 1-line block ×4, first 2 shown]
	global_store_dwordx4 v1, v[2:5], s[0:1]
	s_mov_b64 s[0:1], 0
.LBB16_2:
	s_andn2_b64 vcc, exec, s[0:1]
	s_cbranch_vccnz .LBB16_52
; %bb.3:
	v_cmp_gt_i32_e32 vcc, s38, v0
	v_or_b32_e32 v1, 0x100, v0
	v_mov_b32_e32 v20, 0
	v_mov_b32_e32 v7, 0xff
	v_or_b32_e32 v6, s33, v0
	v_mov_b32_e32 v19, 0
	v_mov_b32_e32 v18, 0
	;; [unrolled: 1-line block ×14, first 2 shown]
	s_and_saveexec_b64 s[2:3], vcc
	s_cbranch_execz .LBB16_35
; %bb.4:
	global_load_ubyte v8, v6, s[6:7]
	v_cmp_gt_u32_e64 s[0:1], s38, v1
	v_mov_b32_e32 v7, 0xff
	v_mov_b32_e32 v9, 0
	;; [unrolled: 1-line block ×15, first 2 shown]
	s_and_saveexec_b64 s[8:9], s[0:1]
	s_cbranch_execz .LBB16_34
; %bb.5:
	v_add_u32_e32 v2, s33, v0
	global_load_ubyte v9, v2, s[6:7] offset:256
	v_or_b32_e32 v4, 0x200, v0
	v_mov_b32_e32 v3, 0
	v_cmp_gt_u32_e64 s[0:1], s38, v4
	v_mov_b32_e32 v7, 0xff
	v_mov_b32_e32 v4, 0
	;; [unrolled: 1-line block ×13, first 2 shown]
	s_and_saveexec_b64 s[10:11], s[0:1]
	s_cbranch_execz .LBB16_33
; %bb.6:
	v_lshl_add_u64 v[4:5], s[6:7], 0, v[2:3]
	global_load_ubyte v2, v[4:5], off offset:512
	v_or_b32_e32 v7, 0x300, v0
	v_cmp_gt_u32_e64 s[0:1], s38, v7
	v_mov_b32_e32 v7, 0xff
	v_mov_b32_e32 v10, 0
	;; [unrolled: 1-line block ×12, first 2 shown]
	s_and_saveexec_b64 s[6:7], s[0:1]
	s_cbranch_execz .LBB16_32
; %bb.7:
	global_load_ubyte v3, v[4:5], off offset:768
	v_or_b32_e32 v7, 0x400, v0
	v_cmp_gt_u32_e64 s[0:1], s38, v7
	v_mov_b32_e32 v7, 0xff
	v_mov_b32_e32 v10, 0
	;; [unrolled: 1-line block ×12, first 2 shown]
	s_and_saveexec_b64 s[12:13], s[0:1]
	s_cbranch_execz .LBB16_31
; %bb.8:
	global_load_ubyte v10, v[4:5], off offset:1024
	v_or_b32_e32 v7, 0x500, v0
	v_cmp_gt_u32_e64 s[0:1], s38, v7
	v_mov_b32_e32 v7, 0xff
	v_mov_b32_e32 v11, 0
	;; [unrolled: 1-line block ×11, first 2 shown]
	s_and_saveexec_b64 s[14:15], s[0:1]
	s_cbranch_execz .LBB16_30
; %bb.9:
	global_load_ubyte v11, v[4:5], off offset:1280
	v_or_b32_e32 v7, 0x600, v0
	v_cmp_gt_u32_e64 s[0:1], s38, v7
	v_mov_b32_e32 v7, 0xff
	v_mov_b32_e32 v12, 0
	v_mov_b32_e32 v13, 0
	v_mov_b32_e32 v14, 0
	v_mov_b32_e32 v15, 0
	v_mov_b32_e32 v16, 0
	v_mov_b32_e32 v17, 0
	v_mov_b32_e32 v18, 0
	v_mov_b32_e32 v19, 0
	v_mov_b32_e32 v20, 0
	s_and_saveexec_b64 s[16:17], s[0:1]
	s_cbranch_execz .LBB16_29
; %bb.10:
	global_load_ubyte v12, v[4:5], off offset:1536
	v_or_b32_e32 v7, 0x700, v0
	v_cmp_gt_u32_e64 s[0:1], s38, v7
	v_mov_b32_e32 v7, 0xff
	v_mov_b32_e32 v13, 0
	;; [unrolled: 1-line block ×9, first 2 shown]
	s_and_saveexec_b64 s[18:19], s[0:1]
	s_cbranch_execz .LBB16_28
; %bb.11:
	global_load_ubyte v13, v[4:5], off offset:1792
	v_or_b32_e32 v7, 0x800, v0
	v_cmp_gt_u32_e64 s[0:1], s38, v7
	v_mov_b32_e32 v7, 0xff
	v_mov_b32_e32 v14, 0
	v_mov_b32_e32 v15, 0
	v_mov_b32_e32 v16, 0
	v_mov_b32_e32 v17, 0
	v_mov_b32_e32 v18, 0
	v_mov_b32_e32 v19, 0
	v_mov_b32_e32 v20, 0
	s_and_saveexec_b64 s[20:21], s[0:1]
	s_cbranch_execz .LBB16_27
; %bb.12:
	global_load_ubyte v14, v[4:5], off offset:2048
	v_or_b32_e32 v7, 0x900, v0
	v_cmp_gt_u32_e64 s[0:1], s38, v7
	v_mov_b32_e32 v7, 0xff
	v_mov_b32_e32 v15, 0
	;; [unrolled: 1-line block ×7, first 2 shown]
	s_and_saveexec_b64 s[22:23], s[0:1]
	s_cbranch_execz .LBB16_26
; %bb.13:
	global_load_ubyte v15, v[4:5], off offset:2304
	v_or_b32_e32 v7, 0xa00, v0
	v_cmp_gt_u32_e64 s[0:1], s38, v7
	v_mov_b32_e32 v7, 0xff
	v_mov_b32_e32 v16, 0
	;; [unrolled: 1-line block ×6, first 2 shown]
	s_and_saveexec_b64 s[24:25], s[0:1]
	s_cbranch_execz .LBB16_25
; %bb.14:
	global_load_ubyte v16, v[4:5], off offset:2560
	v_or_b32_e32 v7, 0xb00, v0
	v_cmp_gt_u32_e64 s[0:1], s38, v7
	v_mov_b32_e32 v7, 0xff
	v_mov_b32_e32 v17, 0
	;; [unrolled: 1-line block ×5, first 2 shown]
	s_and_saveexec_b64 s[26:27], s[0:1]
	s_cbranch_execz .LBB16_24
; %bb.15:
	global_load_ubyte v17, v[4:5], off offset:2816
	v_or_b32_e32 v7, 0xc00, v0
	v_cmp_gt_u32_e64 s[0:1], s38, v7
	v_mov_b32_e32 v7, 0xff
	v_mov_b32_e32 v18, 0
	;; [unrolled: 1-line block ×4, first 2 shown]
	s_and_saveexec_b64 s[28:29], s[0:1]
	s_cbranch_execz .LBB16_23
; %bb.16:
	global_load_ubyte v18, v[4:5], off offset:3072
	v_or_b32_e32 v7, 0xd00, v0
	v_cmp_gt_u32_e64 s[0:1], s38, v7
	v_mov_b32_e32 v7, 0xff
	v_mov_b32_e32 v19, 0
	v_mov_b32_e32 v20, 0
	s_and_saveexec_b64 s[30:31], s[0:1]
	s_cbranch_execz .LBB16_22
; %bb.17:
	global_load_ubyte v19, v[4:5], off offset:3328
	v_or_b32_e32 v7, 0xe00, v0
	v_cmp_gt_u32_e64 s[0:1], s38, v7
	v_mov_b32_e32 v7, 0xff
	v_mov_b32_e32 v20, 0
	s_and_saveexec_b64 s[34:35], s[0:1]
	s_cbranch_execz .LBB16_21
; %bb.18:
	global_load_ubyte v20, v[4:5], off offset:3584
	v_or_b32_e32 v7, 0xf00, v0
	v_cmp_gt_u32_e64 s[0:1], s38, v7
	v_mov_b32_e32 v7, 0xff
	s_and_saveexec_b64 s[36:37], s[0:1]
	s_cbranch_execz .LBB16_20
; %bb.19:
	global_load_ubyte v4, v[4:5], off offset:3840
	s_waitcnt vmcnt(0)
	v_xor_b32_e32 v7, -1, v4
.LBB16_20:
	s_or_b64 exec, exec, s[36:37]
.LBB16_21:
	s_or_b64 exec, exec, s[34:35]
.LBB16_22:
	s_or_b64 exec, exec, s[30:31]
.LBB16_23:
	s_or_b64 exec, exec, s[28:29]
.LBB16_24:
	s_or_b64 exec, exec, s[26:27]
.LBB16_25:
	s_or_b64 exec, exec, s[24:25]
.LBB16_26:
	s_or_b64 exec, exec, s[22:23]
.LBB16_27:
	s_or_b64 exec, exec, s[20:21]
.LBB16_28:
	s_or_b64 exec, exec, s[18:19]
.LBB16_29:
	s_or_b64 exec, exec, s[16:17]
.LBB16_30:
	s_or_b64 exec, exec, s[14:15]
.LBB16_31:
	s_or_b64 exec, exec, s[12:13]
.LBB16_32:
	s_or_b64 exec, exec, s[6:7]
	s_waitcnt vmcnt(0)
	v_mov_b32_e32 v4, v3
	v_mov_b32_e32 v3, v2
.LBB16_33:
	s_or_b64 exec, exec, s[10:11]
.LBB16_34:
	s_or_b64 exec, exec, s[8:9]
.LBB16_35:
	s_or_b64 exec, exec, s[2:3]
	s_movk_i32 s2, 0xff
	s_waitcnt vmcnt(0)
	v_bitop3_b16 v2, v8, s2, v8 bitop3:0xc
	v_and_b32_e32 v2, 0xffff, v2
	v_mov_b32_e32 v8, -1
	v_cndmask_b32_e32 v2, 0, v2, vcc
	v_xor_b32_sdwa v5, v9, v8 dst_sel:BYTE_1 dst_unused:UNUSED_PAD src0_sel:DWORD src1_sel:DWORD
	v_cmp_gt_i32_e64 s[0:1], s38, v1
	v_or_b32_e32 v5, v2, v5
	v_and_b32_e32 v5, 0xffff, v5
	v_cndmask_b32_e64 v2, v2, v5, s[0:1]
	v_xor_b32_e32 v3, -1, v3
	s_mov_b32 s6, 0xc0c0304
	v_or_b32_e32 v5, 0x200, v0
	v_perm_b32 v3, v3, v2, s6
	v_lshl_or_b32 v3, v3, 16, v2
	v_cmp_gt_i32_e64 s[0:1], s38, v5
	v_xor_b32_sdwa v4, v4, v8 dst_sel:BYTE_1 dst_unused:UNUSED_PAD src0_sel:DWORD src1_sel:DWORD
	s_mov_b32 s3, 0xffff
	v_cndmask_b32_e64 v2, v2, v3, s[0:1]
	v_lshrrev_b32_e32 v3, 16, v2
	v_bitop3_b16 v3, v3, v4, s2 bitop3:0xec
	v_or_b32_e32 v5, 0x300, v0
	v_lshlrev_b32_e32 v3, 16, v3
	v_and_or_b32 v3, v2, s3, v3
	v_cmp_gt_i32_e64 s[0:1], s38, v5
	s_mov_b32 s7, 0x3020104
	s_mov_b32 s8, 0xffff0000
	v_cndmask_b32_e64 v5, v2, v3, s[0:1]
	v_xor_b32_e32 v2, -1, v10
	v_or_b32_e32 v3, 0x400, v0
	v_perm_b32 v2, v2, 0, s7
	v_cmp_gt_i32_e64 s[0:1], s38, v3
	v_xor_b32_sdwa v3, v11, v8 dst_sel:BYTE_1 dst_unused:UNUSED_PAD src0_sel:DWORD src1_sel:DWORD
	v_or_b32_e32 v4, 0x500, v0
	v_cndmask_b32_e64 v2, 0, v2, s[0:1]
	v_bitop3_b16 v3, v2, v3, s2 bitop3:0xec
	v_and_b32_e32 v3, 0xffff, v3
	v_and_or_b32 v3, v2, s8, v3
	v_cmp_gt_i32_e64 s[0:1], s38, v4
	v_xor_b32_e32 v4, -1, v12
	s_mov_b32 s9, 0x7000504
	v_cndmask_b32_e64 v2, v2, v3, s[0:1]
	v_or_b32_e32 v3, 0x600, v0
	v_perm_b32 v4, v2, v4, s9
	v_cmp_gt_i32_e64 s[0:1], s38, v3
	v_xor_b32_sdwa v9, v13, v8 dst_sel:BYTE_1 dst_unused:UNUSED_PAD src0_sel:DWORD src1_sel:DWORD
	v_xor_b32_sdwa v10, v17, v8 dst_sel:BYTE_1 dst_unused:UNUSED_PAD src0_sel:DWORD src1_sel:DWORD
	v_cndmask_b32_e64 v2, v2, v4, s[0:1]
	v_lshrrev_b32_e32 v3, 16, v2
	v_bitop3_b16 v3, v3, v9, s2 bitop3:0xec
	v_or_b32_e32 v4, 0x700, v0
	v_lshlrev_b32_e32 v3, 16, v3
	v_and_or_b32 v3, v2, s3, v3
	v_cmp_gt_i32_e64 s[0:1], s38, v4
	v_xor_b32_sdwa v9, v15, v8 dst_sel:BYTE_1 dst_unused:UNUSED_PAD src0_sel:DWORD src1_sel:DWORD
	v_xor_b32_sdwa v8, v19, v8 dst_sel:BYTE_1 dst_unused:UNUSED_PAD src0_sel:DWORD src1_sel:DWORD
	v_cndmask_b32_e64 v4, v2, v3, s[0:1]
	v_or_b32_e32 v2, 0x800, v0
	v_bitop3_b16 v3, v14, s2, v14 bitop3:0xc
	v_and_b32_e32 v3, 0xffff, v3
	v_cmp_gt_i32_e64 s[0:1], s38, v2
	s_nop 1
	v_cndmask_b32_e64 v2, 0, v3, s[0:1]
	v_or_b32_e32 v3, 0x900, v0
	v_or_b32_e32 v9, v2, v9
	v_and_b32_e32 v9, 0xffff, v9
	v_cmp_gt_i32_e64 s[0:1], s38, v3
	v_or_b32_e32 v3, 0xa00, v0
	s_nop 0
	v_cndmask_b32_e64 v2, v2, v9, s[0:1]
	v_xor_b32_e32 v9, -1, v16
	v_perm_b32 v9, v9, v2, s6
	v_lshl_or_b32 v9, v9, 16, v2
	v_cmp_gt_i32_e64 s[0:1], s38, v3
	s_nop 1
	v_cndmask_b32_e64 v2, v2, v9, s[0:1]
	v_lshrrev_b32_e32 v3, 16, v2
	v_bitop3_b16 v3, v3, v10, s2 bitop3:0xec
	v_or_b32_e32 v9, 0xb00, v0
	v_lshlrev_b32_e32 v3, 16, v3
	v_and_or_b32 v3, v2, s3, v3
	v_cmp_gt_i32_e64 s[0:1], s38, v9
	v_or_b32_e32 v9, 0xc00, v0
	s_nop 0
	v_cndmask_b32_e64 v3, v2, v3, s[0:1]
	v_xor_b32_e32 v2, -1, v18
	v_perm_b32 v2, v2, 0, s7
	v_cmp_gt_i32_e64 s[0:1], s38, v9
	v_or_b32_e32 v9, 0xd00, v0
	s_nop 0
	v_cndmask_b32_e64 v2, 0, v2, s[0:1]
	v_bitop3_b16 v8, v2, v8, s2 bitop3:0xec
	v_and_b32_e32 v8, 0xffff, v8
	v_and_or_b32 v8, v2, s8, v8
	v_cmp_gt_i32_e64 s[0:1], s38, v9
	v_xor_b32_e32 v9, -1, v20
	s_nop 0
	v_cndmask_b32_e64 v2, v2, v8, s[0:1]
	v_or_b32_e32 v8, 0xe00, v0
	v_perm_b32 v9, v2, v9, s9
	v_cmp_gt_i32_e64 s[0:1], s38, v8
	v_or_b32_e32 v8, 0xf00, v0
	s_nop 0
	v_cndmask_b32_e64 v2, v2, v9, s[0:1]
	s_mov_b32 s0, 0x60504
	v_perm_b32 v7, v2, v7, s0
	v_cmp_gt_i32_e64 s[0:1], s38, v8
	s_nop 1
	v_cndmask_b32_e64 v2, v2, v7, s[0:1]
	s_and_saveexec_b64 s[0:1], vcc
	s_cbranch_execnz .LBB16_53
; %bb.36:
	s_or_b64 exec, exec, s[0:1]
	v_cmp_gt_i32_e32 vcc, s38, v0
	s_and_saveexec_b64 s[0:1], vcc
	s_cbranch_execnz .LBB16_54
.LBB16_37:
	s_or_b64 exec, exec, s[0:1]
	v_cmp_gt_i32_e32 vcc, s38, v0
	s_and_saveexec_b64 s[0:1], vcc
	s_cbranch_execnz .LBB16_55
.LBB16_38:
	s_or_b64 exec, exec, s[0:1]
	v_cmp_gt_i32_e32 vcc, s38, v0
	s_and_saveexec_b64 s[0:1], vcc
	s_cbranch_execnz .LBB16_56
.LBB16_39:
	s_or_b64 exec, exec, s[0:1]
	v_cmp_gt_i32_e32 vcc, s38, v0
	s_and_saveexec_b64 s[0:1], vcc
	s_cbranch_execnz .LBB16_57
.LBB16_40:
	s_or_b64 exec, exec, s[0:1]
	v_cmp_gt_i32_e32 vcc, s38, v0
	s_and_saveexec_b64 s[0:1], vcc
	s_cbranch_execnz .LBB16_58
.LBB16_41:
	s_or_b64 exec, exec, s[0:1]
	v_cmp_gt_i32_e32 vcc, s38, v0
	s_and_saveexec_b64 s[0:1], vcc
	s_cbranch_execnz .LBB16_59
.LBB16_42:
	s_or_b64 exec, exec, s[0:1]
	v_cmp_gt_i32_e32 vcc, s38, v0
	s_and_saveexec_b64 s[0:1], vcc
	s_cbranch_execnz .LBB16_60
.LBB16_43:
	s_or_b64 exec, exec, s[0:1]
	v_cmp_gt_i32_e32 vcc, s38, v0
	s_and_saveexec_b64 s[0:1], vcc
	s_cbranch_execnz .LBB16_61
.LBB16_44:
	s_or_b64 exec, exec, s[0:1]
	v_cmp_gt_i32_e32 vcc, s38, v0
	s_and_saveexec_b64 s[0:1], vcc
	s_cbranch_execnz .LBB16_62
.LBB16_45:
	s_or_b64 exec, exec, s[0:1]
	v_cmp_gt_i32_e32 vcc, s38, v0
	s_and_saveexec_b64 s[0:1], vcc
	s_cbranch_execnz .LBB16_63
.LBB16_46:
	s_or_b64 exec, exec, s[0:1]
	v_cmp_gt_i32_e32 vcc, s38, v0
	s_and_saveexec_b64 s[0:1], vcc
	s_cbranch_execnz .LBB16_64
.LBB16_47:
	s_or_b64 exec, exec, s[0:1]
	v_cmp_gt_i32_e32 vcc, s38, v0
	s_and_saveexec_b64 s[0:1], vcc
	s_cbranch_execnz .LBB16_65
.LBB16_48:
	s_or_b64 exec, exec, s[0:1]
	v_cmp_gt_i32_e32 vcc, s38, v0
	s_and_saveexec_b64 s[0:1], vcc
	s_cbranch_execnz .LBB16_66
.LBB16_49:
	s_or_b64 exec, exec, s[0:1]
	v_cmp_gt_i32_e32 vcc, s38, v0
	s_and_saveexec_b64 s[0:1], vcc
	s_cbranch_execnz .LBB16_67
.LBB16_50:
	s_or_b64 exec, exec, s[0:1]
	v_cmp_gt_i32_e32 vcc, s38, v0
	s_and_saveexec_b64 s[0:1], vcc
	s_cbranch_execz .LBB16_52
.LBB16_51:
	v_lshrrev_b32_e32 v1, 24, v2
	v_add_u32_e32 v0, s33, v0
	global_store_byte v0, v1, s[4:5]
.LBB16_52:
	s_endpgm
.LBB16_53:
	v_mov_b32_e32 v0, v1
	global_store_byte v6, v5, s[4:5]
	s_or_b64 exec, exec, s[0:1]
	v_cmp_gt_i32_e32 vcc, s38, v0
	s_and_saveexec_b64 s[0:1], vcc
	s_cbranch_execz .LBB16_37
.LBB16_54:
	v_lshrrev_b32_e32 v1, 8, v5
	v_add_u32_e32 v6, s33, v0
	v_add_u32_e32 v0, 0x100, v0
	global_store_byte v6, v1, s[4:5]
	s_or_b64 exec, exec, s[0:1]
	v_cmp_gt_i32_e32 vcc, s38, v0
	s_and_saveexec_b64 s[0:1], vcc
	s_cbranch_execz .LBB16_38
.LBB16_55:
	v_add_u32_e32 v1, s33, v0
	v_add_u32_e32 v0, 0x100, v0
	global_store_byte_d16_hi v1, v5, s[4:5]
	s_or_b64 exec, exec, s[0:1]
	v_cmp_gt_i32_e32 vcc, s38, v0
	s_and_saveexec_b64 s[0:1], vcc
	s_cbranch_execz .LBB16_39
.LBB16_56:
	v_lshrrev_b32_e32 v1, 24, v5
	v_add_u32_e32 v5, s33, v0
	v_add_u32_e32 v0, 0x100, v0
	global_store_byte v5, v1, s[4:5]
	s_or_b64 exec, exec, s[0:1]
	v_cmp_gt_i32_e32 vcc, s38, v0
	s_and_saveexec_b64 s[0:1], vcc
	s_cbranch_execz .LBB16_40
.LBB16_57:
	v_add_u32_e32 v1, s33, v0
	v_add_u32_e32 v0, 0x100, v0
	global_store_byte v1, v4, s[4:5]
	s_or_b64 exec, exec, s[0:1]
	v_cmp_gt_i32_e32 vcc, s38, v0
	s_and_saveexec_b64 s[0:1], vcc
	s_cbranch_execz .LBB16_41
.LBB16_58:
	v_lshrrev_b32_e32 v1, 8, v4
	v_add_u32_e32 v5, s33, v0
	v_add_u32_e32 v0, 0x100, v0
	global_store_byte v5, v1, s[4:5]
	s_or_b64 exec, exec, s[0:1]
	v_cmp_gt_i32_e32 vcc, s38, v0
	s_and_saveexec_b64 s[0:1], vcc
	s_cbranch_execz .LBB16_42
.LBB16_59:
	v_add_u32_e32 v1, s33, v0
	v_add_u32_e32 v0, 0x100, v0
	global_store_byte_d16_hi v1, v4, s[4:5]
	s_or_b64 exec, exec, s[0:1]
	v_cmp_gt_i32_e32 vcc, s38, v0
	s_and_saveexec_b64 s[0:1], vcc
	s_cbranch_execz .LBB16_43
.LBB16_60:
	v_lshrrev_b32_e32 v1, 24, v4
	v_add_u32_e32 v4, s33, v0
	v_add_u32_e32 v0, 0x100, v0
	global_store_byte v4, v1, s[4:5]
	s_or_b64 exec, exec, s[0:1]
	v_cmp_gt_i32_e32 vcc, s38, v0
	s_and_saveexec_b64 s[0:1], vcc
	s_cbranch_execz .LBB16_44
.LBB16_61:
	v_add_u32_e32 v1, s33, v0
	v_add_u32_e32 v0, 0x100, v0
	global_store_byte v1, v3, s[4:5]
	s_or_b64 exec, exec, s[0:1]
	v_cmp_gt_i32_e32 vcc, s38, v0
	s_and_saveexec_b64 s[0:1], vcc
	s_cbranch_execz .LBB16_45
.LBB16_62:
	v_lshrrev_b32_e32 v1, 8, v3
	v_add_u32_e32 v4, s33, v0
	v_add_u32_e32 v0, 0x100, v0
	global_store_byte v4, v1, s[4:5]
	s_or_b64 exec, exec, s[0:1]
	v_cmp_gt_i32_e32 vcc, s38, v0
	s_and_saveexec_b64 s[0:1], vcc
	s_cbranch_execz .LBB16_46
.LBB16_63:
	v_add_u32_e32 v1, s33, v0
	v_add_u32_e32 v0, 0x100, v0
	global_store_byte_d16_hi v1, v3, s[4:5]
	s_or_b64 exec, exec, s[0:1]
	v_cmp_gt_i32_e32 vcc, s38, v0
	s_and_saveexec_b64 s[0:1], vcc
	s_cbranch_execz .LBB16_47
.LBB16_64:
	v_lshrrev_b32_e32 v1, 24, v3
	v_add_u32_e32 v3, s33, v0
	v_add_u32_e32 v0, 0x100, v0
	global_store_byte v3, v1, s[4:5]
	s_or_b64 exec, exec, s[0:1]
	v_cmp_gt_i32_e32 vcc, s38, v0
	s_and_saveexec_b64 s[0:1], vcc
	s_cbranch_execz .LBB16_48
.LBB16_65:
	v_add_u32_e32 v1, s33, v0
	v_add_u32_e32 v0, 0x100, v0
	global_store_byte v1, v2, s[4:5]
	s_or_b64 exec, exec, s[0:1]
	v_cmp_gt_i32_e32 vcc, s38, v0
	s_and_saveexec_b64 s[0:1], vcc
	s_cbranch_execz .LBB16_49
.LBB16_66:
	v_lshrrev_b32_e32 v1, 8, v2
	v_add_u32_e32 v3, s33, v0
	v_add_u32_e32 v0, 0x100, v0
	global_store_byte v3, v1, s[4:5]
	s_or_b64 exec, exec, s[0:1]
	v_cmp_gt_i32_e32 vcc, s38, v0
	s_and_saveexec_b64 s[0:1], vcc
	s_cbranch_execz .LBB16_50
.LBB16_67:
	v_add_u32_e32 v1, s33, v0
	v_add_u32_e32 v0, 0x100, v0
	global_store_byte_d16_hi v1, v2, s[4:5]
	s_or_b64 exec, exec, s[0:1]
	v_cmp_gt_i32_e32 vcc, s38, v0
	s_and_saveexec_b64 s[0:1], vcc
	s_cbranch_execnz .LBB16_51
	s_branch .LBB16_52
	.section	.rodata,"a",@progbits
	.p2align	6, 0x0
	.amdhsa_kernel _ZN2at6native29vectorized_elementwise_kernelILi16EZZZNS0_23bitwise_not_kernel_cudaERNS_18TensorIteratorBaseEENKUlvE_clEvENKUlvE0_clEvEUlaE_St5arrayIPcLm2EEEEviT0_T1_
		.amdhsa_group_segment_fixed_size 0
		.amdhsa_private_segment_fixed_size 0
		.amdhsa_kernarg_size 24
		.amdhsa_user_sgpr_count 2
		.amdhsa_user_sgpr_dispatch_ptr 0
		.amdhsa_user_sgpr_queue_ptr 0
		.amdhsa_user_sgpr_kernarg_segment_ptr 1
		.amdhsa_user_sgpr_dispatch_id 0
		.amdhsa_user_sgpr_kernarg_preload_length 0
		.amdhsa_user_sgpr_kernarg_preload_offset 0
		.amdhsa_user_sgpr_private_segment_size 0
		.amdhsa_uses_dynamic_stack 0
		.amdhsa_enable_private_segment 0
		.amdhsa_system_sgpr_workgroup_id_x 1
		.amdhsa_system_sgpr_workgroup_id_y 0
		.amdhsa_system_sgpr_workgroup_id_z 0
		.amdhsa_system_sgpr_workgroup_info 0
		.amdhsa_system_vgpr_workitem_id 0
		.amdhsa_next_free_vgpr 21
		.amdhsa_next_free_sgpr 39
		.amdhsa_accum_offset 24
		.amdhsa_reserve_vcc 1
		.amdhsa_float_round_mode_32 0
		.amdhsa_float_round_mode_16_64 0
		.amdhsa_float_denorm_mode_32 3
		.amdhsa_float_denorm_mode_16_64 3
		.amdhsa_dx10_clamp 1
		.amdhsa_ieee_mode 1
		.amdhsa_fp16_overflow 0
		.amdhsa_tg_split 0
		.amdhsa_exception_fp_ieee_invalid_op 0
		.amdhsa_exception_fp_denorm_src 0
		.amdhsa_exception_fp_ieee_div_zero 0
		.amdhsa_exception_fp_ieee_overflow 0
		.amdhsa_exception_fp_ieee_underflow 0
		.amdhsa_exception_fp_ieee_inexact 0
		.amdhsa_exception_int_div_zero 0
	.end_amdhsa_kernel
	.section	.text._ZN2at6native29vectorized_elementwise_kernelILi16EZZZNS0_23bitwise_not_kernel_cudaERNS_18TensorIteratorBaseEENKUlvE_clEvENKUlvE0_clEvEUlaE_St5arrayIPcLm2EEEEviT0_T1_,"axG",@progbits,_ZN2at6native29vectorized_elementwise_kernelILi16EZZZNS0_23bitwise_not_kernel_cudaERNS_18TensorIteratorBaseEENKUlvE_clEvENKUlvE0_clEvEUlaE_St5arrayIPcLm2EEEEviT0_T1_,comdat
.Lfunc_end16:
	.size	_ZN2at6native29vectorized_elementwise_kernelILi16EZZZNS0_23bitwise_not_kernel_cudaERNS_18TensorIteratorBaseEENKUlvE_clEvENKUlvE0_clEvEUlaE_St5arrayIPcLm2EEEEviT0_T1_, .Lfunc_end16-_ZN2at6native29vectorized_elementwise_kernelILi16EZZZNS0_23bitwise_not_kernel_cudaERNS_18TensorIteratorBaseEENKUlvE_clEvENKUlvE0_clEvEUlaE_St5arrayIPcLm2EEEEviT0_T1_
                                        ; -- End function
	.set _ZN2at6native29vectorized_elementwise_kernelILi16EZZZNS0_23bitwise_not_kernel_cudaERNS_18TensorIteratorBaseEENKUlvE_clEvENKUlvE0_clEvEUlaE_St5arrayIPcLm2EEEEviT0_T1_.num_vgpr, 21
	.set _ZN2at6native29vectorized_elementwise_kernelILi16EZZZNS0_23bitwise_not_kernel_cudaERNS_18TensorIteratorBaseEENKUlvE_clEvENKUlvE0_clEvEUlaE_St5arrayIPcLm2EEEEviT0_T1_.num_agpr, 0
	.set _ZN2at6native29vectorized_elementwise_kernelILi16EZZZNS0_23bitwise_not_kernel_cudaERNS_18TensorIteratorBaseEENKUlvE_clEvENKUlvE0_clEvEUlaE_St5arrayIPcLm2EEEEviT0_T1_.numbered_sgpr, 39
	.set _ZN2at6native29vectorized_elementwise_kernelILi16EZZZNS0_23bitwise_not_kernel_cudaERNS_18TensorIteratorBaseEENKUlvE_clEvENKUlvE0_clEvEUlaE_St5arrayIPcLm2EEEEviT0_T1_.num_named_barrier, 0
	.set _ZN2at6native29vectorized_elementwise_kernelILi16EZZZNS0_23bitwise_not_kernel_cudaERNS_18TensorIteratorBaseEENKUlvE_clEvENKUlvE0_clEvEUlaE_St5arrayIPcLm2EEEEviT0_T1_.private_seg_size, 0
	.set _ZN2at6native29vectorized_elementwise_kernelILi16EZZZNS0_23bitwise_not_kernel_cudaERNS_18TensorIteratorBaseEENKUlvE_clEvENKUlvE0_clEvEUlaE_St5arrayIPcLm2EEEEviT0_T1_.uses_vcc, 1
	.set _ZN2at6native29vectorized_elementwise_kernelILi16EZZZNS0_23bitwise_not_kernel_cudaERNS_18TensorIteratorBaseEENKUlvE_clEvENKUlvE0_clEvEUlaE_St5arrayIPcLm2EEEEviT0_T1_.uses_flat_scratch, 0
	.set _ZN2at6native29vectorized_elementwise_kernelILi16EZZZNS0_23bitwise_not_kernel_cudaERNS_18TensorIteratorBaseEENKUlvE_clEvENKUlvE0_clEvEUlaE_St5arrayIPcLm2EEEEviT0_T1_.has_dyn_sized_stack, 0
	.set _ZN2at6native29vectorized_elementwise_kernelILi16EZZZNS0_23bitwise_not_kernel_cudaERNS_18TensorIteratorBaseEENKUlvE_clEvENKUlvE0_clEvEUlaE_St5arrayIPcLm2EEEEviT0_T1_.has_recursion, 0
	.set _ZN2at6native29vectorized_elementwise_kernelILi16EZZZNS0_23bitwise_not_kernel_cudaERNS_18TensorIteratorBaseEENKUlvE_clEvENKUlvE0_clEvEUlaE_St5arrayIPcLm2EEEEviT0_T1_.has_indirect_call, 0
	.section	.AMDGPU.csdata,"",@progbits
; Kernel info:
; codeLenInByte = 2924
; TotalNumSgprs: 45
; NumVgprs: 21
; NumAgprs: 0
; TotalNumVgprs: 21
; ScratchSize: 0
; MemoryBound: 0
; FloatMode: 240
; IeeeMode: 1
; LDSByteSize: 0 bytes/workgroup (compile time only)
; SGPRBlocks: 5
; VGPRBlocks: 2
; NumSGPRsForWavesPerEU: 45
; NumVGPRsForWavesPerEU: 21
; AccumOffset: 24
; Occupancy: 8
; WaveLimiterHint : 0
; COMPUTE_PGM_RSRC2:SCRATCH_EN: 0
; COMPUTE_PGM_RSRC2:USER_SGPR: 2
; COMPUTE_PGM_RSRC2:TRAP_HANDLER: 0
; COMPUTE_PGM_RSRC2:TGID_X_EN: 1
; COMPUTE_PGM_RSRC2:TGID_Y_EN: 0
; COMPUTE_PGM_RSRC2:TGID_Z_EN: 0
; COMPUTE_PGM_RSRC2:TIDIG_COMP_CNT: 0
; COMPUTE_PGM_RSRC3_GFX90A:ACCUM_OFFSET: 5
; COMPUTE_PGM_RSRC3_GFX90A:TG_SPLIT: 0
	.section	.text._ZN2at6native29vectorized_elementwise_kernelILi8EZZZNS0_23bitwise_not_kernel_cudaERNS_18TensorIteratorBaseEENKUlvE_clEvENKUlvE0_clEvEUlaE_St5arrayIPcLm2EEEEviT0_T1_,"axG",@progbits,_ZN2at6native29vectorized_elementwise_kernelILi8EZZZNS0_23bitwise_not_kernel_cudaERNS_18TensorIteratorBaseEENKUlvE_clEvENKUlvE0_clEvEUlaE_St5arrayIPcLm2EEEEviT0_T1_,comdat
	.globl	_ZN2at6native29vectorized_elementwise_kernelILi8EZZZNS0_23bitwise_not_kernel_cudaERNS_18TensorIteratorBaseEENKUlvE_clEvENKUlvE0_clEvEUlaE_St5arrayIPcLm2EEEEviT0_T1_ ; -- Begin function _ZN2at6native29vectorized_elementwise_kernelILi8EZZZNS0_23bitwise_not_kernel_cudaERNS_18TensorIteratorBaseEENKUlvE_clEvENKUlvE0_clEvEUlaE_St5arrayIPcLm2EEEEviT0_T1_
	.p2align	8
	.type	_ZN2at6native29vectorized_elementwise_kernelILi8EZZZNS0_23bitwise_not_kernel_cudaERNS_18TensorIteratorBaseEENKUlvE_clEvENKUlvE0_clEvEUlaE_St5arrayIPcLm2EEEEviT0_T1_,@function
_ZN2at6native29vectorized_elementwise_kernelILi8EZZZNS0_23bitwise_not_kernel_cudaERNS_18TensorIteratorBaseEENKUlvE_clEvENKUlvE0_clEvEUlaE_St5arrayIPcLm2EEEEviT0_T1_: ; @_ZN2at6native29vectorized_elementwise_kernelILi8EZZZNS0_23bitwise_not_kernel_cudaERNS_18TensorIteratorBaseEENKUlvE_clEvENKUlvE0_clEvEUlaE_St5arrayIPcLm2EEEEviT0_T1_
; %bb.0:
	s_load_dword s3, s[0:1], 0x0
	s_load_dwordx4 s[4:7], s[0:1], 0x8
	s_lshl_b32 s33, s2, 12
	s_mov_b64 s[0:1], -1
	s_waitcnt lgkmcnt(0)
	s_sub_i32 s38, s3, s33
	s_cmpk_gt_i32 s38, 0xfff
	s_cbranch_scc0 .LBB17_2
; %bb.1:
	s_ashr_i32 s2, s33, 31
	s_add_u32 s0, s6, s33
	s_addc_u32 s1, s7, s2
	v_lshlrev_b32_e32 v1, 3, v0
	global_load_dwordx2 v[2:3], v1, s[0:1]
	global_load_dwordx2 v[4:5], v1, s[0:1] offset:2048
	v_mov_b32_e32 v6, -1
	s_movk_i32 s8, 0xff
	s_mov_b32 s3, 0xc0c0004
	s_add_u32 s0, s4, s33
	s_addc_u32 s1, s5, s2
	s_waitcnt vmcnt(1)
	v_xor_b32_e32 v7, -1, v2
	v_lshrrev_b32_e32 v8, 8, v2
	v_xor_b32_sdwa v9, v2, v6 dst_sel:DWORD dst_unused:UNUSED_PAD src0_sel:WORD_1 src1_sel:DWORD
	v_xor_b32_sdwa v2, v2, v6 dst_sel:BYTE_1 dst_unused:UNUSED_PAD src0_sel:BYTE_3 src1_sel:DWORD
	v_lshrrev_b32_e32 v10, 8, v3
	v_lshrrev_b32_e32 v11, 16, v3
	v_xor_b32_sdwa v12, v3, v6 dst_sel:BYTE_1 dst_unused:UNUSED_PAD src0_sel:BYTE_3 src1_sel:DWORD
	s_waitcnt vmcnt(0)
	v_lshrrev_b32_e32 v13, 8, v4
	v_lshrrev_b32_e32 v14, 16, v4
	v_xor_b32_sdwa v15, v4, v6 dst_sel:BYTE_1 dst_unused:UNUSED_PAD src0_sel:BYTE_3 src1_sel:DWORD
	v_lshrrev_b32_e32 v16, 8, v5
	v_lshrrev_b32_e32 v17, 16, v5
	v_xor_b32_sdwa v18, v5, v6 dst_sel:BYTE_1 dst_unused:UNUSED_PAD src0_sel:BYTE_3 src1_sel:DWORD
	v_xor_b32_e32 v8, -1, v8
	v_bitop3_b16 v2, v9, v2, s8 bitop3:0xec
	v_xor_b32_sdwa v9, v10, v6 dst_sel:BYTE_1 dst_unused:UNUSED_PAD src0_sel:DWORD src1_sel:DWORD
	v_bitop3_b16 v10, v11, v12, s8 bitop3:0xce
	v_xor_b32_sdwa v11, v13, v6 dst_sel:BYTE_1 dst_unused:UNUSED_PAD src0_sel:DWORD src1_sel:DWORD
	;; [unrolled: 2-line block ×3, first 2 shown]
	v_bitop3_b16 v13, v17, v18, s8 bitop3:0xce
	v_perm_b32 v7, v7, v8, s3
	v_lshlrev_b32_e32 v2, 16, v2
	v_bitop3_b16 v3, v3, v9, s8 bitop3:0xce
	v_lshlrev_b32_e32 v8, 16, v10
	v_bitop3_b16 v4, v4, v11, s8 bitop3:0xce
	;; [unrolled: 2-line block ×3, first 2 shown]
	v_lshlrev_b32_e32 v6, 16, v13
	v_or_b32_e32 v2, v7, v2
	v_or_b32_sdwa v3, v3, v8 dst_sel:DWORD dst_unused:UNUSED_PAD src0_sel:WORD_0 src1_sel:DWORD
	v_or_b32_sdwa v4, v4, v9 dst_sel:DWORD dst_unused:UNUSED_PAD src0_sel:WORD_0 src1_sel:DWORD
	;; [unrolled: 1-line block ×3, first 2 shown]
	global_store_dwordx2 v1, v[2:3], s[0:1]
	global_store_dwordx2 v1, v[4:5], s[0:1] offset:2048
	s_mov_b64 s[0:1], 0
.LBB17_2:
	s_andn2_b64 vcc, exec, s[0:1]
	s_cbranch_vccnz .LBB17_52
; %bb.3:
	v_cmp_gt_i32_e32 vcc, s38, v0
	v_or_b32_e32 v1, 0x100, v0
	v_mov_b32_e32 v20, 0
	v_mov_b32_e32 v7, 0xff
	v_or_b32_e32 v6, s33, v0
	v_mov_b32_e32 v19, 0
	v_mov_b32_e32 v18, 0
	;; [unrolled: 1-line block ×14, first 2 shown]
	s_and_saveexec_b64 s[2:3], vcc
	s_cbranch_execz .LBB17_35
; %bb.4:
	global_load_ubyte v8, v6, s[6:7]
	v_cmp_gt_u32_e64 s[0:1], s38, v1
	v_mov_b32_e32 v7, 0xff
	v_mov_b32_e32 v9, 0
	;; [unrolled: 1-line block ×15, first 2 shown]
	s_and_saveexec_b64 s[8:9], s[0:1]
	s_cbranch_execz .LBB17_34
; %bb.5:
	v_add_u32_e32 v2, s33, v0
	global_load_ubyte v9, v2, s[6:7] offset:256
	v_or_b32_e32 v4, 0x200, v0
	v_mov_b32_e32 v3, 0
	v_cmp_gt_u32_e64 s[0:1], s38, v4
	v_mov_b32_e32 v7, 0xff
	v_mov_b32_e32 v4, 0
	;; [unrolled: 1-line block ×13, first 2 shown]
	s_and_saveexec_b64 s[10:11], s[0:1]
	s_cbranch_execz .LBB17_33
; %bb.6:
	v_lshl_add_u64 v[4:5], s[6:7], 0, v[2:3]
	global_load_ubyte v2, v[4:5], off offset:512
	v_or_b32_e32 v7, 0x300, v0
	v_cmp_gt_u32_e64 s[0:1], s38, v7
	v_mov_b32_e32 v7, 0xff
	v_mov_b32_e32 v10, 0
	;; [unrolled: 1-line block ×12, first 2 shown]
	s_and_saveexec_b64 s[6:7], s[0:1]
	s_cbranch_execz .LBB17_32
; %bb.7:
	global_load_ubyte v3, v[4:5], off offset:768
	v_or_b32_e32 v7, 0x400, v0
	v_cmp_gt_u32_e64 s[0:1], s38, v7
	v_mov_b32_e32 v7, 0xff
	v_mov_b32_e32 v10, 0
	;; [unrolled: 1-line block ×12, first 2 shown]
	s_and_saveexec_b64 s[12:13], s[0:1]
	s_cbranch_execz .LBB17_31
; %bb.8:
	global_load_ubyte v10, v[4:5], off offset:1024
	v_or_b32_e32 v7, 0x500, v0
	v_cmp_gt_u32_e64 s[0:1], s38, v7
	v_mov_b32_e32 v7, 0xff
	v_mov_b32_e32 v11, 0
	;; [unrolled: 1-line block ×11, first 2 shown]
	s_and_saveexec_b64 s[14:15], s[0:1]
	s_cbranch_execz .LBB17_30
; %bb.9:
	global_load_ubyte v11, v[4:5], off offset:1280
	v_or_b32_e32 v7, 0x600, v0
	v_cmp_gt_u32_e64 s[0:1], s38, v7
	v_mov_b32_e32 v7, 0xff
	v_mov_b32_e32 v12, 0
	;; [unrolled: 1-line block ×10, first 2 shown]
	s_and_saveexec_b64 s[16:17], s[0:1]
	s_cbranch_execz .LBB17_29
; %bb.10:
	global_load_ubyte v12, v[4:5], off offset:1536
	v_or_b32_e32 v7, 0x700, v0
	v_cmp_gt_u32_e64 s[0:1], s38, v7
	v_mov_b32_e32 v7, 0xff
	v_mov_b32_e32 v13, 0
	v_mov_b32_e32 v14, 0
	v_mov_b32_e32 v15, 0
	v_mov_b32_e32 v16, 0
	v_mov_b32_e32 v17, 0
	v_mov_b32_e32 v18, 0
	v_mov_b32_e32 v19, 0
	v_mov_b32_e32 v20, 0
	s_and_saveexec_b64 s[18:19], s[0:1]
	s_cbranch_execz .LBB17_28
; %bb.11:
	global_load_ubyte v13, v[4:5], off offset:1792
	v_or_b32_e32 v7, 0x800, v0
	v_cmp_gt_u32_e64 s[0:1], s38, v7
	v_mov_b32_e32 v7, 0xff
	v_mov_b32_e32 v14, 0
	v_mov_b32_e32 v15, 0
	v_mov_b32_e32 v16, 0
	v_mov_b32_e32 v17, 0
	v_mov_b32_e32 v18, 0
	v_mov_b32_e32 v19, 0
	v_mov_b32_e32 v20, 0
	s_and_saveexec_b64 s[20:21], s[0:1]
	s_cbranch_execz .LBB17_27
; %bb.12:
	global_load_ubyte v14, v[4:5], off offset:2048
	v_or_b32_e32 v7, 0x900, v0
	v_cmp_gt_u32_e64 s[0:1], s38, v7
	v_mov_b32_e32 v7, 0xff
	v_mov_b32_e32 v15, 0
	v_mov_b32_e32 v16, 0
	v_mov_b32_e32 v17, 0
	v_mov_b32_e32 v18, 0
	v_mov_b32_e32 v19, 0
	v_mov_b32_e32 v20, 0
	s_and_saveexec_b64 s[22:23], s[0:1]
	s_cbranch_execz .LBB17_26
; %bb.13:
	global_load_ubyte v15, v[4:5], off offset:2304
	v_or_b32_e32 v7, 0xa00, v0
	v_cmp_gt_u32_e64 s[0:1], s38, v7
	v_mov_b32_e32 v7, 0xff
	v_mov_b32_e32 v16, 0
	v_mov_b32_e32 v17, 0
	v_mov_b32_e32 v18, 0
	v_mov_b32_e32 v19, 0
	v_mov_b32_e32 v20, 0
	s_and_saveexec_b64 s[24:25], s[0:1]
	s_cbranch_execz .LBB17_25
; %bb.14:
	global_load_ubyte v16, v[4:5], off offset:2560
	v_or_b32_e32 v7, 0xb00, v0
	v_cmp_gt_u32_e64 s[0:1], s38, v7
	v_mov_b32_e32 v7, 0xff
	v_mov_b32_e32 v17, 0
	;; [unrolled: 1-line block ×5, first 2 shown]
	s_and_saveexec_b64 s[26:27], s[0:1]
	s_cbranch_execz .LBB17_24
; %bb.15:
	global_load_ubyte v17, v[4:5], off offset:2816
	v_or_b32_e32 v7, 0xc00, v0
	v_cmp_gt_u32_e64 s[0:1], s38, v7
	v_mov_b32_e32 v7, 0xff
	v_mov_b32_e32 v18, 0
	;; [unrolled: 1-line block ×4, first 2 shown]
	s_and_saveexec_b64 s[28:29], s[0:1]
	s_cbranch_execz .LBB17_23
; %bb.16:
	global_load_ubyte v18, v[4:5], off offset:3072
	v_or_b32_e32 v7, 0xd00, v0
	v_cmp_gt_u32_e64 s[0:1], s38, v7
	v_mov_b32_e32 v7, 0xff
	v_mov_b32_e32 v19, 0
	;; [unrolled: 1-line block ×3, first 2 shown]
	s_and_saveexec_b64 s[30:31], s[0:1]
	s_cbranch_execz .LBB17_22
; %bb.17:
	global_load_ubyte v19, v[4:5], off offset:3328
	v_or_b32_e32 v7, 0xe00, v0
	v_cmp_gt_u32_e64 s[0:1], s38, v7
	v_mov_b32_e32 v7, 0xff
	v_mov_b32_e32 v20, 0
	s_and_saveexec_b64 s[34:35], s[0:1]
	s_cbranch_execz .LBB17_21
; %bb.18:
	global_load_ubyte v20, v[4:5], off offset:3584
	v_or_b32_e32 v7, 0xf00, v0
	v_cmp_gt_u32_e64 s[0:1], s38, v7
	v_mov_b32_e32 v7, 0xff
	s_and_saveexec_b64 s[36:37], s[0:1]
	s_cbranch_execz .LBB17_20
; %bb.19:
	global_load_ubyte v4, v[4:5], off offset:3840
	s_waitcnt vmcnt(0)
	v_xor_b32_e32 v7, -1, v4
.LBB17_20:
	s_or_b64 exec, exec, s[36:37]
.LBB17_21:
	s_or_b64 exec, exec, s[34:35]
.LBB17_22:
	s_or_b64 exec, exec, s[30:31]
.LBB17_23:
	s_or_b64 exec, exec, s[28:29]
.LBB17_24:
	s_or_b64 exec, exec, s[26:27]
.LBB17_25:
	s_or_b64 exec, exec, s[24:25]
.LBB17_26:
	s_or_b64 exec, exec, s[22:23]
.LBB17_27:
	s_or_b64 exec, exec, s[20:21]
.LBB17_28:
	s_or_b64 exec, exec, s[18:19]
.LBB17_29:
	s_or_b64 exec, exec, s[16:17]
.LBB17_30:
	s_or_b64 exec, exec, s[14:15]
.LBB17_31:
	s_or_b64 exec, exec, s[12:13]
.LBB17_32:
	s_or_b64 exec, exec, s[6:7]
	s_waitcnt vmcnt(0)
	v_mov_b32_e32 v4, v3
	v_mov_b32_e32 v3, v2
.LBB17_33:
	s_or_b64 exec, exec, s[10:11]
.LBB17_34:
	s_or_b64 exec, exec, s[8:9]
.LBB17_35:
	s_or_b64 exec, exec, s[2:3]
	s_movk_i32 s2, 0xff
	s_waitcnt vmcnt(0)
	v_bitop3_b16 v2, v8, s2, v8 bitop3:0xc
	v_and_b32_e32 v2, 0xffff, v2
	v_mov_b32_e32 v8, -1
	v_cndmask_b32_e32 v2, 0, v2, vcc
	v_xor_b32_sdwa v5, v9, v8 dst_sel:BYTE_1 dst_unused:UNUSED_PAD src0_sel:DWORD src1_sel:DWORD
	v_cmp_gt_i32_e64 s[0:1], s38, v1
	v_or_b32_e32 v5, v2, v5
	v_and_b32_e32 v5, 0xffff, v5
	v_cndmask_b32_e64 v2, v2, v5, s[0:1]
	v_xor_b32_e32 v3, -1, v3
	s_mov_b32 s6, 0xc0c0304
	v_or_b32_e32 v5, 0x200, v0
	v_perm_b32 v3, v3, v2, s6
	v_lshl_or_b32 v3, v3, 16, v2
	v_cmp_gt_i32_e64 s[0:1], s38, v5
	v_xor_b32_sdwa v4, v4, v8 dst_sel:BYTE_1 dst_unused:UNUSED_PAD src0_sel:DWORD src1_sel:DWORD
	s_mov_b32 s3, 0xffff
	v_cndmask_b32_e64 v2, v2, v3, s[0:1]
	v_lshrrev_b32_e32 v3, 16, v2
	v_bitop3_b16 v3, v3, v4, s2 bitop3:0xec
	v_or_b32_e32 v5, 0x300, v0
	v_lshlrev_b32_e32 v3, 16, v3
	v_and_or_b32 v3, v2, s3, v3
	v_cmp_gt_i32_e64 s[0:1], s38, v5
	s_mov_b32 s7, 0x3020104
	s_mov_b32 s8, 0xffff0000
	v_cndmask_b32_e64 v5, v2, v3, s[0:1]
	v_xor_b32_e32 v2, -1, v10
	v_or_b32_e32 v3, 0x400, v0
	v_perm_b32 v2, v2, 0, s7
	v_cmp_gt_i32_e64 s[0:1], s38, v3
	v_xor_b32_sdwa v3, v11, v8 dst_sel:BYTE_1 dst_unused:UNUSED_PAD src0_sel:DWORD src1_sel:DWORD
	v_or_b32_e32 v4, 0x500, v0
	v_cndmask_b32_e64 v2, 0, v2, s[0:1]
	v_bitop3_b16 v3, v2, v3, s2 bitop3:0xec
	v_and_b32_e32 v3, 0xffff, v3
	v_and_or_b32 v3, v2, s8, v3
	v_cmp_gt_i32_e64 s[0:1], s38, v4
	v_xor_b32_e32 v4, -1, v12
	s_mov_b32 s9, 0x7000504
	v_cndmask_b32_e64 v2, v2, v3, s[0:1]
	v_or_b32_e32 v3, 0x600, v0
	v_perm_b32 v4, v2, v4, s9
	v_cmp_gt_i32_e64 s[0:1], s38, v3
	v_xor_b32_sdwa v9, v13, v8 dst_sel:BYTE_1 dst_unused:UNUSED_PAD src0_sel:DWORD src1_sel:DWORD
	v_xor_b32_sdwa v10, v17, v8 dst_sel:BYTE_1 dst_unused:UNUSED_PAD src0_sel:DWORD src1_sel:DWORD
	v_cndmask_b32_e64 v2, v2, v4, s[0:1]
	v_lshrrev_b32_e32 v3, 16, v2
	v_bitop3_b16 v3, v3, v9, s2 bitop3:0xec
	v_or_b32_e32 v4, 0x700, v0
	v_lshlrev_b32_e32 v3, 16, v3
	v_and_or_b32 v3, v2, s3, v3
	v_cmp_gt_i32_e64 s[0:1], s38, v4
	v_xor_b32_sdwa v9, v15, v8 dst_sel:BYTE_1 dst_unused:UNUSED_PAD src0_sel:DWORD src1_sel:DWORD
	v_xor_b32_sdwa v8, v19, v8 dst_sel:BYTE_1 dst_unused:UNUSED_PAD src0_sel:DWORD src1_sel:DWORD
	v_cndmask_b32_e64 v4, v2, v3, s[0:1]
	v_or_b32_e32 v2, 0x800, v0
	v_bitop3_b16 v3, v14, s2, v14 bitop3:0xc
	v_and_b32_e32 v3, 0xffff, v3
	v_cmp_gt_i32_e64 s[0:1], s38, v2
	s_nop 1
	v_cndmask_b32_e64 v2, 0, v3, s[0:1]
	v_or_b32_e32 v3, 0x900, v0
	v_or_b32_e32 v9, v2, v9
	v_and_b32_e32 v9, 0xffff, v9
	v_cmp_gt_i32_e64 s[0:1], s38, v3
	v_or_b32_e32 v3, 0xa00, v0
	s_nop 0
	v_cndmask_b32_e64 v2, v2, v9, s[0:1]
	v_xor_b32_e32 v9, -1, v16
	v_perm_b32 v9, v9, v2, s6
	v_lshl_or_b32 v9, v9, 16, v2
	v_cmp_gt_i32_e64 s[0:1], s38, v3
	s_nop 1
	v_cndmask_b32_e64 v2, v2, v9, s[0:1]
	v_lshrrev_b32_e32 v3, 16, v2
	v_bitop3_b16 v3, v3, v10, s2 bitop3:0xec
	v_or_b32_e32 v9, 0xb00, v0
	v_lshlrev_b32_e32 v3, 16, v3
	v_and_or_b32 v3, v2, s3, v3
	v_cmp_gt_i32_e64 s[0:1], s38, v9
	v_or_b32_e32 v9, 0xc00, v0
	s_nop 0
	v_cndmask_b32_e64 v3, v2, v3, s[0:1]
	v_xor_b32_e32 v2, -1, v18
	v_perm_b32 v2, v2, 0, s7
	v_cmp_gt_i32_e64 s[0:1], s38, v9
	v_or_b32_e32 v9, 0xd00, v0
	s_nop 0
	v_cndmask_b32_e64 v2, 0, v2, s[0:1]
	v_bitop3_b16 v8, v2, v8, s2 bitop3:0xec
	v_and_b32_e32 v8, 0xffff, v8
	v_and_or_b32 v8, v2, s8, v8
	v_cmp_gt_i32_e64 s[0:1], s38, v9
	v_xor_b32_e32 v9, -1, v20
	s_nop 0
	v_cndmask_b32_e64 v2, v2, v8, s[0:1]
	v_or_b32_e32 v8, 0xe00, v0
	v_perm_b32 v9, v2, v9, s9
	v_cmp_gt_i32_e64 s[0:1], s38, v8
	v_or_b32_e32 v8, 0xf00, v0
	s_nop 0
	v_cndmask_b32_e64 v2, v2, v9, s[0:1]
	s_mov_b32 s0, 0x60504
	v_perm_b32 v7, v2, v7, s0
	v_cmp_gt_i32_e64 s[0:1], s38, v8
	s_nop 1
	v_cndmask_b32_e64 v2, v2, v7, s[0:1]
	s_and_saveexec_b64 s[0:1], vcc
	s_cbranch_execnz .LBB17_53
; %bb.36:
	s_or_b64 exec, exec, s[0:1]
	v_cmp_gt_i32_e32 vcc, s38, v0
	s_and_saveexec_b64 s[0:1], vcc
	s_cbranch_execnz .LBB17_54
.LBB17_37:
	s_or_b64 exec, exec, s[0:1]
	v_cmp_gt_i32_e32 vcc, s38, v0
	s_and_saveexec_b64 s[0:1], vcc
	s_cbranch_execnz .LBB17_55
.LBB17_38:
	s_or_b64 exec, exec, s[0:1]
	v_cmp_gt_i32_e32 vcc, s38, v0
	s_and_saveexec_b64 s[0:1], vcc
	s_cbranch_execnz .LBB17_56
.LBB17_39:
	s_or_b64 exec, exec, s[0:1]
	v_cmp_gt_i32_e32 vcc, s38, v0
	s_and_saveexec_b64 s[0:1], vcc
	s_cbranch_execnz .LBB17_57
.LBB17_40:
	s_or_b64 exec, exec, s[0:1]
	v_cmp_gt_i32_e32 vcc, s38, v0
	s_and_saveexec_b64 s[0:1], vcc
	s_cbranch_execnz .LBB17_58
.LBB17_41:
	s_or_b64 exec, exec, s[0:1]
	v_cmp_gt_i32_e32 vcc, s38, v0
	s_and_saveexec_b64 s[0:1], vcc
	s_cbranch_execnz .LBB17_59
.LBB17_42:
	s_or_b64 exec, exec, s[0:1]
	v_cmp_gt_i32_e32 vcc, s38, v0
	s_and_saveexec_b64 s[0:1], vcc
	s_cbranch_execnz .LBB17_60
.LBB17_43:
	s_or_b64 exec, exec, s[0:1]
	v_cmp_gt_i32_e32 vcc, s38, v0
	s_and_saveexec_b64 s[0:1], vcc
	s_cbranch_execnz .LBB17_61
.LBB17_44:
	s_or_b64 exec, exec, s[0:1]
	v_cmp_gt_i32_e32 vcc, s38, v0
	s_and_saveexec_b64 s[0:1], vcc
	s_cbranch_execnz .LBB17_62
.LBB17_45:
	s_or_b64 exec, exec, s[0:1]
	v_cmp_gt_i32_e32 vcc, s38, v0
	s_and_saveexec_b64 s[0:1], vcc
	s_cbranch_execnz .LBB17_63
.LBB17_46:
	s_or_b64 exec, exec, s[0:1]
	v_cmp_gt_i32_e32 vcc, s38, v0
	s_and_saveexec_b64 s[0:1], vcc
	s_cbranch_execnz .LBB17_64
.LBB17_47:
	s_or_b64 exec, exec, s[0:1]
	v_cmp_gt_i32_e32 vcc, s38, v0
	s_and_saveexec_b64 s[0:1], vcc
	s_cbranch_execnz .LBB17_65
.LBB17_48:
	s_or_b64 exec, exec, s[0:1]
	v_cmp_gt_i32_e32 vcc, s38, v0
	s_and_saveexec_b64 s[0:1], vcc
	s_cbranch_execnz .LBB17_66
.LBB17_49:
	s_or_b64 exec, exec, s[0:1]
	v_cmp_gt_i32_e32 vcc, s38, v0
	s_and_saveexec_b64 s[0:1], vcc
	s_cbranch_execnz .LBB17_67
.LBB17_50:
	s_or_b64 exec, exec, s[0:1]
	v_cmp_gt_i32_e32 vcc, s38, v0
	s_and_saveexec_b64 s[0:1], vcc
	s_cbranch_execz .LBB17_52
.LBB17_51:
	v_lshrrev_b32_e32 v1, 24, v2
	v_add_u32_e32 v0, s33, v0
	global_store_byte v0, v1, s[4:5]
.LBB17_52:
	s_endpgm
.LBB17_53:
	v_mov_b32_e32 v0, v1
	global_store_byte v6, v5, s[4:5]
	s_or_b64 exec, exec, s[0:1]
	v_cmp_gt_i32_e32 vcc, s38, v0
	s_and_saveexec_b64 s[0:1], vcc
	s_cbranch_execz .LBB17_37
.LBB17_54:
	v_lshrrev_b32_e32 v1, 8, v5
	v_add_u32_e32 v6, s33, v0
	v_add_u32_e32 v0, 0x100, v0
	global_store_byte v6, v1, s[4:5]
	s_or_b64 exec, exec, s[0:1]
	v_cmp_gt_i32_e32 vcc, s38, v0
	s_and_saveexec_b64 s[0:1], vcc
	s_cbranch_execz .LBB17_38
.LBB17_55:
	v_add_u32_e32 v1, s33, v0
	v_add_u32_e32 v0, 0x100, v0
	global_store_byte_d16_hi v1, v5, s[4:5]
	s_or_b64 exec, exec, s[0:1]
	v_cmp_gt_i32_e32 vcc, s38, v0
	s_and_saveexec_b64 s[0:1], vcc
	s_cbranch_execz .LBB17_39
.LBB17_56:
	v_lshrrev_b32_e32 v1, 24, v5
	v_add_u32_e32 v5, s33, v0
	v_add_u32_e32 v0, 0x100, v0
	global_store_byte v5, v1, s[4:5]
	s_or_b64 exec, exec, s[0:1]
	v_cmp_gt_i32_e32 vcc, s38, v0
	s_and_saveexec_b64 s[0:1], vcc
	s_cbranch_execz .LBB17_40
.LBB17_57:
	v_add_u32_e32 v1, s33, v0
	v_add_u32_e32 v0, 0x100, v0
	global_store_byte v1, v4, s[4:5]
	s_or_b64 exec, exec, s[0:1]
	v_cmp_gt_i32_e32 vcc, s38, v0
	s_and_saveexec_b64 s[0:1], vcc
	s_cbranch_execz .LBB17_41
.LBB17_58:
	v_lshrrev_b32_e32 v1, 8, v4
	v_add_u32_e32 v5, s33, v0
	v_add_u32_e32 v0, 0x100, v0
	global_store_byte v5, v1, s[4:5]
	s_or_b64 exec, exec, s[0:1]
	v_cmp_gt_i32_e32 vcc, s38, v0
	s_and_saveexec_b64 s[0:1], vcc
	s_cbranch_execz .LBB17_42
.LBB17_59:
	v_add_u32_e32 v1, s33, v0
	v_add_u32_e32 v0, 0x100, v0
	global_store_byte_d16_hi v1, v4, s[4:5]
	s_or_b64 exec, exec, s[0:1]
	v_cmp_gt_i32_e32 vcc, s38, v0
	s_and_saveexec_b64 s[0:1], vcc
	s_cbranch_execz .LBB17_43
.LBB17_60:
	v_lshrrev_b32_e32 v1, 24, v4
	v_add_u32_e32 v4, s33, v0
	v_add_u32_e32 v0, 0x100, v0
	global_store_byte v4, v1, s[4:5]
	s_or_b64 exec, exec, s[0:1]
	v_cmp_gt_i32_e32 vcc, s38, v0
	s_and_saveexec_b64 s[0:1], vcc
	s_cbranch_execz .LBB17_44
.LBB17_61:
	v_add_u32_e32 v1, s33, v0
	v_add_u32_e32 v0, 0x100, v0
	global_store_byte v1, v3, s[4:5]
	s_or_b64 exec, exec, s[0:1]
	v_cmp_gt_i32_e32 vcc, s38, v0
	s_and_saveexec_b64 s[0:1], vcc
	s_cbranch_execz .LBB17_45
.LBB17_62:
	v_lshrrev_b32_e32 v1, 8, v3
	v_add_u32_e32 v4, s33, v0
	v_add_u32_e32 v0, 0x100, v0
	global_store_byte v4, v1, s[4:5]
	s_or_b64 exec, exec, s[0:1]
	v_cmp_gt_i32_e32 vcc, s38, v0
	s_and_saveexec_b64 s[0:1], vcc
	s_cbranch_execz .LBB17_46
.LBB17_63:
	v_add_u32_e32 v1, s33, v0
	v_add_u32_e32 v0, 0x100, v0
	global_store_byte_d16_hi v1, v3, s[4:5]
	s_or_b64 exec, exec, s[0:1]
	v_cmp_gt_i32_e32 vcc, s38, v0
	s_and_saveexec_b64 s[0:1], vcc
	s_cbranch_execz .LBB17_47
.LBB17_64:
	v_lshrrev_b32_e32 v1, 24, v3
	v_add_u32_e32 v3, s33, v0
	v_add_u32_e32 v0, 0x100, v0
	global_store_byte v3, v1, s[4:5]
	s_or_b64 exec, exec, s[0:1]
	v_cmp_gt_i32_e32 vcc, s38, v0
	s_and_saveexec_b64 s[0:1], vcc
	s_cbranch_execz .LBB17_48
.LBB17_65:
	v_add_u32_e32 v1, s33, v0
	v_add_u32_e32 v0, 0x100, v0
	global_store_byte v1, v2, s[4:5]
	s_or_b64 exec, exec, s[0:1]
	v_cmp_gt_i32_e32 vcc, s38, v0
	s_and_saveexec_b64 s[0:1], vcc
	s_cbranch_execz .LBB17_49
.LBB17_66:
	v_lshrrev_b32_e32 v1, 8, v2
	v_add_u32_e32 v3, s33, v0
	v_add_u32_e32 v0, 0x100, v0
	global_store_byte v3, v1, s[4:5]
	s_or_b64 exec, exec, s[0:1]
	v_cmp_gt_i32_e32 vcc, s38, v0
	s_and_saveexec_b64 s[0:1], vcc
	s_cbranch_execz .LBB17_50
.LBB17_67:
	v_add_u32_e32 v1, s33, v0
	v_add_u32_e32 v0, 0x100, v0
	global_store_byte_d16_hi v1, v2, s[4:5]
	s_or_b64 exec, exec, s[0:1]
	v_cmp_gt_i32_e32 vcc, s38, v0
	s_and_saveexec_b64 s[0:1], vcc
	s_cbranch_execnz .LBB17_51
	s_branch .LBB17_52
	.section	.rodata,"a",@progbits
	.p2align	6, 0x0
	.amdhsa_kernel _ZN2at6native29vectorized_elementwise_kernelILi8EZZZNS0_23bitwise_not_kernel_cudaERNS_18TensorIteratorBaseEENKUlvE_clEvENKUlvE0_clEvEUlaE_St5arrayIPcLm2EEEEviT0_T1_
		.amdhsa_group_segment_fixed_size 0
		.amdhsa_private_segment_fixed_size 0
		.amdhsa_kernarg_size 24
		.amdhsa_user_sgpr_count 2
		.amdhsa_user_sgpr_dispatch_ptr 0
		.amdhsa_user_sgpr_queue_ptr 0
		.amdhsa_user_sgpr_kernarg_segment_ptr 1
		.amdhsa_user_sgpr_dispatch_id 0
		.amdhsa_user_sgpr_kernarg_preload_length 0
		.amdhsa_user_sgpr_kernarg_preload_offset 0
		.amdhsa_user_sgpr_private_segment_size 0
		.amdhsa_uses_dynamic_stack 0
		.amdhsa_enable_private_segment 0
		.amdhsa_system_sgpr_workgroup_id_x 1
		.amdhsa_system_sgpr_workgroup_id_y 0
		.amdhsa_system_sgpr_workgroup_id_z 0
		.amdhsa_system_sgpr_workgroup_info 0
		.amdhsa_system_vgpr_workitem_id 0
		.amdhsa_next_free_vgpr 21
		.amdhsa_next_free_sgpr 39
		.amdhsa_accum_offset 24
		.amdhsa_reserve_vcc 1
		.amdhsa_float_round_mode_32 0
		.amdhsa_float_round_mode_16_64 0
		.amdhsa_float_denorm_mode_32 3
		.amdhsa_float_denorm_mode_16_64 3
		.amdhsa_dx10_clamp 1
		.amdhsa_ieee_mode 1
		.amdhsa_fp16_overflow 0
		.amdhsa_tg_split 0
		.amdhsa_exception_fp_ieee_invalid_op 0
		.amdhsa_exception_fp_denorm_src 0
		.amdhsa_exception_fp_ieee_div_zero 0
		.amdhsa_exception_fp_ieee_overflow 0
		.amdhsa_exception_fp_ieee_underflow 0
		.amdhsa_exception_fp_ieee_inexact 0
		.amdhsa_exception_int_div_zero 0
	.end_amdhsa_kernel
	.section	.text._ZN2at6native29vectorized_elementwise_kernelILi8EZZZNS0_23bitwise_not_kernel_cudaERNS_18TensorIteratorBaseEENKUlvE_clEvENKUlvE0_clEvEUlaE_St5arrayIPcLm2EEEEviT0_T1_,"axG",@progbits,_ZN2at6native29vectorized_elementwise_kernelILi8EZZZNS0_23bitwise_not_kernel_cudaERNS_18TensorIteratorBaseEENKUlvE_clEvENKUlvE0_clEvEUlaE_St5arrayIPcLm2EEEEviT0_T1_,comdat
.Lfunc_end17:
	.size	_ZN2at6native29vectorized_elementwise_kernelILi8EZZZNS0_23bitwise_not_kernel_cudaERNS_18TensorIteratorBaseEENKUlvE_clEvENKUlvE0_clEvEUlaE_St5arrayIPcLm2EEEEviT0_T1_, .Lfunc_end17-_ZN2at6native29vectorized_elementwise_kernelILi8EZZZNS0_23bitwise_not_kernel_cudaERNS_18TensorIteratorBaseEENKUlvE_clEvENKUlvE0_clEvEUlaE_St5arrayIPcLm2EEEEviT0_T1_
                                        ; -- End function
	.set _ZN2at6native29vectorized_elementwise_kernelILi8EZZZNS0_23bitwise_not_kernel_cudaERNS_18TensorIteratorBaseEENKUlvE_clEvENKUlvE0_clEvEUlaE_St5arrayIPcLm2EEEEviT0_T1_.num_vgpr, 21
	.set _ZN2at6native29vectorized_elementwise_kernelILi8EZZZNS0_23bitwise_not_kernel_cudaERNS_18TensorIteratorBaseEENKUlvE_clEvENKUlvE0_clEvEUlaE_St5arrayIPcLm2EEEEviT0_T1_.num_agpr, 0
	.set _ZN2at6native29vectorized_elementwise_kernelILi8EZZZNS0_23bitwise_not_kernel_cudaERNS_18TensorIteratorBaseEENKUlvE_clEvENKUlvE0_clEvEUlaE_St5arrayIPcLm2EEEEviT0_T1_.numbered_sgpr, 39
	.set _ZN2at6native29vectorized_elementwise_kernelILi8EZZZNS0_23bitwise_not_kernel_cudaERNS_18TensorIteratorBaseEENKUlvE_clEvENKUlvE0_clEvEUlaE_St5arrayIPcLm2EEEEviT0_T1_.num_named_barrier, 0
	.set _ZN2at6native29vectorized_elementwise_kernelILi8EZZZNS0_23bitwise_not_kernel_cudaERNS_18TensorIteratorBaseEENKUlvE_clEvENKUlvE0_clEvEUlaE_St5arrayIPcLm2EEEEviT0_T1_.private_seg_size, 0
	.set _ZN2at6native29vectorized_elementwise_kernelILi8EZZZNS0_23bitwise_not_kernel_cudaERNS_18TensorIteratorBaseEENKUlvE_clEvENKUlvE0_clEvEUlaE_St5arrayIPcLm2EEEEviT0_T1_.uses_vcc, 1
	.set _ZN2at6native29vectorized_elementwise_kernelILi8EZZZNS0_23bitwise_not_kernel_cudaERNS_18TensorIteratorBaseEENKUlvE_clEvENKUlvE0_clEvEUlaE_St5arrayIPcLm2EEEEviT0_T1_.uses_flat_scratch, 0
	.set _ZN2at6native29vectorized_elementwise_kernelILi8EZZZNS0_23bitwise_not_kernel_cudaERNS_18TensorIteratorBaseEENKUlvE_clEvENKUlvE0_clEvEUlaE_St5arrayIPcLm2EEEEviT0_T1_.has_dyn_sized_stack, 0
	.set _ZN2at6native29vectorized_elementwise_kernelILi8EZZZNS0_23bitwise_not_kernel_cudaERNS_18TensorIteratorBaseEENKUlvE_clEvENKUlvE0_clEvEUlaE_St5arrayIPcLm2EEEEviT0_T1_.has_recursion, 0
	.set _ZN2at6native29vectorized_elementwise_kernelILi8EZZZNS0_23bitwise_not_kernel_cudaERNS_18TensorIteratorBaseEENKUlvE_clEvENKUlvE0_clEvEUlaE_St5arrayIPcLm2EEEEviT0_T1_.has_indirect_call, 0
	.section	.AMDGPU.csdata,"",@progbits
; Kernel info:
; codeLenInByte = 3152
; TotalNumSgprs: 45
; NumVgprs: 21
; NumAgprs: 0
; TotalNumVgprs: 21
; ScratchSize: 0
; MemoryBound: 0
; FloatMode: 240
; IeeeMode: 1
; LDSByteSize: 0 bytes/workgroup (compile time only)
; SGPRBlocks: 5
; VGPRBlocks: 2
; NumSGPRsForWavesPerEU: 45
; NumVGPRsForWavesPerEU: 21
; AccumOffset: 24
; Occupancy: 8
; WaveLimiterHint : 1
; COMPUTE_PGM_RSRC2:SCRATCH_EN: 0
; COMPUTE_PGM_RSRC2:USER_SGPR: 2
; COMPUTE_PGM_RSRC2:TRAP_HANDLER: 0
; COMPUTE_PGM_RSRC2:TGID_X_EN: 1
; COMPUTE_PGM_RSRC2:TGID_Y_EN: 0
; COMPUTE_PGM_RSRC2:TGID_Z_EN: 0
; COMPUTE_PGM_RSRC2:TIDIG_COMP_CNT: 0
; COMPUTE_PGM_RSRC3_GFX90A:ACCUM_OFFSET: 5
; COMPUTE_PGM_RSRC3_GFX90A:TG_SPLIT: 0
	.section	.text._ZN2at6native29vectorized_elementwise_kernelILi4EZZZNS0_23bitwise_not_kernel_cudaERNS_18TensorIteratorBaseEENKUlvE_clEvENKUlvE0_clEvEUlaE_St5arrayIPcLm2EEEEviT0_T1_,"axG",@progbits,_ZN2at6native29vectorized_elementwise_kernelILi4EZZZNS0_23bitwise_not_kernel_cudaERNS_18TensorIteratorBaseEENKUlvE_clEvENKUlvE0_clEvEUlaE_St5arrayIPcLm2EEEEviT0_T1_,comdat
	.globl	_ZN2at6native29vectorized_elementwise_kernelILi4EZZZNS0_23bitwise_not_kernel_cudaERNS_18TensorIteratorBaseEENKUlvE_clEvENKUlvE0_clEvEUlaE_St5arrayIPcLm2EEEEviT0_T1_ ; -- Begin function _ZN2at6native29vectorized_elementwise_kernelILi4EZZZNS0_23bitwise_not_kernel_cudaERNS_18TensorIteratorBaseEENKUlvE_clEvENKUlvE0_clEvEUlaE_St5arrayIPcLm2EEEEviT0_T1_
	.p2align	8
	.type	_ZN2at6native29vectorized_elementwise_kernelILi4EZZZNS0_23bitwise_not_kernel_cudaERNS_18TensorIteratorBaseEENKUlvE_clEvENKUlvE0_clEvEUlaE_St5arrayIPcLm2EEEEviT0_T1_,@function
_ZN2at6native29vectorized_elementwise_kernelILi4EZZZNS0_23bitwise_not_kernel_cudaERNS_18TensorIteratorBaseEENKUlvE_clEvENKUlvE0_clEvEUlaE_St5arrayIPcLm2EEEEviT0_T1_: ; @_ZN2at6native29vectorized_elementwise_kernelILi4EZZZNS0_23bitwise_not_kernel_cudaERNS_18TensorIteratorBaseEENKUlvE_clEvENKUlvE0_clEvEUlaE_St5arrayIPcLm2EEEEviT0_T1_
; %bb.0:
	s_load_dword s3, s[0:1], 0x0
	s_load_dwordx4 s[4:7], s[0:1], 0x8
	s_lshl_b32 s33, s2, 12
	s_mov_b64 s[0:1], -1
	s_waitcnt lgkmcnt(0)
	s_sub_i32 s38, s3, s33
	s_cmpk_gt_i32 s38, 0xfff
	s_cbranch_scc0 .LBB18_2
; %bb.1:
	s_ashr_i32 s2, s33, 31
	s_add_u32 s0, s6, s33
	s_addc_u32 s1, s7, s2
	v_lshlrev_b32_e32 v1, 2, v0
	global_load_dword v2, v1, s[0:1]
	global_load_dword v3, v1, s[0:1] offset:1024
	global_load_dword v4, v1, s[0:1] offset:2048
	;; [unrolled: 1-line block ×3, first 2 shown]
	v_mov_b32_e32 v6, -1
	s_movk_i32 s8, 0xff
	s_mov_b32 s3, 0xc0c0004
	s_add_u32 s0, s4, s33
	s_addc_u32 s1, s5, s2
	s_waitcnt vmcnt(3)
	v_xor_b32_e32 v7, -1, v2
	v_lshrrev_b32_e32 v8, 8, v2
	v_xor_b32_sdwa v9, v2, v6 dst_sel:DWORD dst_unused:UNUSED_PAD src0_sel:WORD_1 src1_sel:DWORD
	v_xor_b32_sdwa v2, v2, v6 dst_sel:BYTE_1 dst_unused:UNUSED_PAD src0_sel:BYTE_3 src1_sel:DWORD
	s_waitcnt vmcnt(2)
	v_lshrrev_b32_e32 v10, 8, v3
	v_lshrrev_b32_e32 v11, 16, v3
	v_xor_b32_sdwa v12, v3, v6 dst_sel:BYTE_1 dst_unused:UNUSED_PAD src0_sel:BYTE_3 src1_sel:DWORD
	s_waitcnt vmcnt(1)
	v_lshrrev_b32_e32 v13, 8, v4
	v_lshrrev_b32_e32 v14, 16, v4
	;; [unrolled: 4-line block ×3, first 2 shown]
	v_xor_b32_sdwa v18, v5, v6 dst_sel:BYTE_1 dst_unused:UNUSED_PAD src0_sel:BYTE_3 src1_sel:DWORD
	v_xor_b32_e32 v8, -1, v8
	v_bitop3_b16 v2, v9, v2, s8 bitop3:0xec
	v_xor_b32_sdwa v9, v10, v6 dst_sel:BYTE_1 dst_unused:UNUSED_PAD src0_sel:DWORD src1_sel:DWORD
	v_bitop3_b16 v10, v11, v12, s8 bitop3:0xce
	v_xor_b32_sdwa v11, v13, v6 dst_sel:BYTE_1 dst_unused:UNUSED_PAD src0_sel:DWORD src1_sel:DWORD
	;; [unrolled: 2-line block ×3, first 2 shown]
	v_bitop3_b16 v13, v17, v18, s8 bitop3:0xce
	v_perm_b32 v7, v7, v8, s3
	v_lshlrev_b32_e32 v2, 16, v2
	v_bitop3_b16 v3, v3, v9, s8 bitop3:0xce
	v_lshlrev_b32_e32 v8, 16, v10
	v_bitop3_b16 v4, v4, v11, s8 bitop3:0xce
	;; [unrolled: 2-line block ×3, first 2 shown]
	v_lshlrev_b32_e32 v6, 16, v13
	v_or_b32_e32 v2, v7, v2
	v_or_b32_sdwa v3, v3, v8 dst_sel:DWORD dst_unused:UNUSED_PAD src0_sel:WORD_0 src1_sel:DWORD
	v_or_b32_sdwa v4, v4, v9 dst_sel:DWORD dst_unused:UNUSED_PAD src0_sel:WORD_0 src1_sel:DWORD
	;; [unrolled: 1-line block ×3, first 2 shown]
	global_store_dword v1, v2, s[0:1]
	global_store_dword v1, v3, s[0:1] offset:1024
	global_store_dword v1, v4, s[0:1] offset:2048
	;; [unrolled: 1-line block ×3, first 2 shown]
	s_mov_b64 s[0:1], 0
.LBB18_2:
	s_andn2_b64 vcc, exec, s[0:1]
	s_cbranch_vccnz .LBB18_52
; %bb.3:
	v_cmp_gt_i32_e32 vcc, s38, v0
	v_or_b32_e32 v1, 0x100, v0
	v_mov_b32_e32 v20, 0
	v_mov_b32_e32 v7, 0xff
	v_or_b32_e32 v6, s33, v0
	v_mov_b32_e32 v19, 0
	v_mov_b32_e32 v18, 0
	;; [unrolled: 1-line block ×14, first 2 shown]
	s_and_saveexec_b64 s[2:3], vcc
	s_cbranch_execz .LBB18_35
; %bb.4:
	global_load_ubyte v8, v6, s[6:7]
	v_cmp_gt_u32_e64 s[0:1], s38, v1
	v_mov_b32_e32 v7, 0xff
	v_mov_b32_e32 v9, 0
	;; [unrolled: 1-line block ×15, first 2 shown]
	s_and_saveexec_b64 s[8:9], s[0:1]
	s_cbranch_execz .LBB18_34
; %bb.5:
	v_add_u32_e32 v2, s33, v0
	global_load_ubyte v9, v2, s[6:7] offset:256
	v_or_b32_e32 v4, 0x200, v0
	v_mov_b32_e32 v3, 0
	v_cmp_gt_u32_e64 s[0:1], s38, v4
	v_mov_b32_e32 v7, 0xff
	v_mov_b32_e32 v4, 0
	;; [unrolled: 1-line block ×13, first 2 shown]
	s_and_saveexec_b64 s[10:11], s[0:1]
	s_cbranch_execz .LBB18_33
; %bb.6:
	v_lshl_add_u64 v[4:5], s[6:7], 0, v[2:3]
	global_load_ubyte v2, v[4:5], off offset:512
	v_or_b32_e32 v7, 0x300, v0
	v_cmp_gt_u32_e64 s[0:1], s38, v7
	v_mov_b32_e32 v7, 0xff
	v_mov_b32_e32 v10, 0
	;; [unrolled: 1-line block ×12, first 2 shown]
	s_and_saveexec_b64 s[6:7], s[0:1]
	s_cbranch_execz .LBB18_32
; %bb.7:
	global_load_ubyte v3, v[4:5], off offset:768
	v_or_b32_e32 v7, 0x400, v0
	v_cmp_gt_u32_e64 s[0:1], s38, v7
	v_mov_b32_e32 v7, 0xff
	v_mov_b32_e32 v10, 0
	;; [unrolled: 1-line block ×12, first 2 shown]
	s_and_saveexec_b64 s[12:13], s[0:1]
	s_cbranch_execz .LBB18_31
; %bb.8:
	global_load_ubyte v10, v[4:5], off offset:1024
	v_or_b32_e32 v7, 0x500, v0
	v_cmp_gt_u32_e64 s[0:1], s38, v7
	v_mov_b32_e32 v7, 0xff
	v_mov_b32_e32 v11, 0
	;; [unrolled: 1-line block ×11, first 2 shown]
	s_and_saveexec_b64 s[14:15], s[0:1]
	s_cbranch_execz .LBB18_30
; %bb.9:
	global_load_ubyte v11, v[4:5], off offset:1280
	v_or_b32_e32 v7, 0x600, v0
	v_cmp_gt_u32_e64 s[0:1], s38, v7
	v_mov_b32_e32 v7, 0xff
	v_mov_b32_e32 v12, 0
	;; [unrolled: 1-line block ×10, first 2 shown]
	s_and_saveexec_b64 s[16:17], s[0:1]
	s_cbranch_execz .LBB18_29
; %bb.10:
	global_load_ubyte v12, v[4:5], off offset:1536
	v_or_b32_e32 v7, 0x700, v0
	v_cmp_gt_u32_e64 s[0:1], s38, v7
	v_mov_b32_e32 v7, 0xff
	v_mov_b32_e32 v13, 0
	;; [unrolled: 1-line block ×9, first 2 shown]
	s_and_saveexec_b64 s[18:19], s[0:1]
	s_cbranch_execz .LBB18_28
; %bb.11:
	global_load_ubyte v13, v[4:5], off offset:1792
	v_or_b32_e32 v7, 0x800, v0
	v_cmp_gt_u32_e64 s[0:1], s38, v7
	v_mov_b32_e32 v7, 0xff
	v_mov_b32_e32 v14, 0
	;; [unrolled: 1-line block ×8, first 2 shown]
	s_and_saveexec_b64 s[20:21], s[0:1]
	s_cbranch_execz .LBB18_27
; %bb.12:
	global_load_ubyte v14, v[4:5], off offset:2048
	v_or_b32_e32 v7, 0x900, v0
	v_cmp_gt_u32_e64 s[0:1], s38, v7
	v_mov_b32_e32 v7, 0xff
	v_mov_b32_e32 v15, 0
	v_mov_b32_e32 v16, 0
	v_mov_b32_e32 v17, 0
	v_mov_b32_e32 v18, 0
	v_mov_b32_e32 v19, 0
	v_mov_b32_e32 v20, 0
	s_and_saveexec_b64 s[22:23], s[0:1]
	s_cbranch_execz .LBB18_26
; %bb.13:
	global_load_ubyte v15, v[4:5], off offset:2304
	v_or_b32_e32 v7, 0xa00, v0
	v_cmp_gt_u32_e64 s[0:1], s38, v7
	v_mov_b32_e32 v7, 0xff
	v_mov_b32_e32 v16, 0
	;; [unrolled: 1-line block ×6, first 2 shown]
	s_and_saveexec_b64 s[24:25], s[0:1]
	s_cbranch_execz .LBB18_25
; %bb.14:
	global_load_ubyte v16, v[4:5], off offset:2560
	v_or_b32_e32 v7, 0xb00, v0
	v_cmp_gt_u32_e64 s[0:1], s38, v7
	v_mov_b32_e32 v7, 0xff
	v_mov_b32_e32 v17, 0
	;; [unrolled: 1-line block ×5, first 2 shown]
	s_and_saveexec_b64 s[26:27], s[0:1]
	s_cbranch_execz .LBB18_24
; %bb.15:
	global_load_ubyte v17, v[4:5], off offset:2816
	v_or_b32_e32 v7, 0xc00, v0
	v_cmp_gt_u32_e64 s[0:1], s38, v7
	v_mov_b32_e32 v7, 0xff
	v_mov_b32_e32 v18, 0
	;; [unrolled: 1-line block ×4, first 2 shown]
	s_and_saveexec_b64 s[28:29], s[0:1]
	s_cbranch_execz .LBB18_23
; %bb.16:
	global_load_ubyte v18, v[4:5], off offset:3072
	v_or_b32_e32 v7, 0xd00, v0
	v_cmp_gt_u32_e64 s[0:1], s38, v7
	v_mov_b32_e32 v7, 0xff
	v_mov_b32_e32 v19, 0
	;; [unrolled: 1-line block ×3, first 2 shown]
	s_and_saveexec_b64 s[30:31], s[0:1]
	s_cbranch_execz .LBB18_22
; %bb.17:
	global_load_ubyte v19, v[4:5], off offset:3328
	v_or_b32_e32 v7, 0xe00, v0
	v_cmp_gt_u32_e64 s[0:1], s38, v7
	v_mov_b32_e32 v7, 0xff
	v_mov_b32_e32 v20, 0
	s_and_saveexec_b64 s[34:35], s[0:1]
	s_cbranch_execz .LBB18_21
; %bb.18:
	global_load_ubyte v20, v[4:5], off offset:3584
	v_or_b32_e32 v7, 0xf00, v0
	v_cmp_gt_u32_e64 s[0:1], s38, v7
	v_mov_b32_e32 v7, 0xff
	s_and_saveexec_b64 s[36:37], s[0:1]
	s_cbranch_execz .LBB18_20
; %bb.19:
	global_load_ubyte v4, v[4:5], off offset:3840
	s_waitcnt vmcnt(0)
	v_xor_b32_e32 v7, -1, v4
.LBB18_20:
	s_or_b64 exec, exec, s[36:37]
.LBB18_21:
	s_or_b64 exec, exec, s[34:35]
.LBB18_22:
	s_or_b64 exec, exec, s[30:31]
.LBB18_23:
	s_or_b64 exec, exec, s[28:29]
.LBB18_24:
	s_or_b64 exec, exec, s[26:27]
.LBB18_25:
	s_or_b64 exec, exec, s[24:25]
.LBB18_26:
	s_or_b64 exec, exec, s[22:23]
.LBB18_27:
	s_or_b64 exec, exec, s[20:21]
.LBB18_28:
	s_or_b64 exec, exec, s[18:19]
.LBB18_29:
	s_or_b64 exec, exec, s[16:17]
.LBB18_30:
	s_or_b64 exec, exec, s[14:15]
.LBB18_31:
	s_or_b64 exec, exec, s[12:13]
.LBB18_32:
	s_or_b64 exec, exec, s[6:7]
	s_waitcnt vmcnt(0)
	v_mov_b32_e32 v4, v3
	v_mov_b32_e32 v3, v2
.LBB18_33:
	s_or_b64 exec, exec, s[10:11]
.LBB18_34:
	s_or_b64 exec, exec, s[8:9]
.LBB18_35:
	s_or_b64 exec, exec, s[2:3]
	s_movk_i32 s2, 0xff
	s_waitcnt vmcnt(0)
	v_bitop3_b16 v2, v8, s2, v8 bitop3:0xc
	v_and_b32_e32 v2, 0xffff, v2
	v_mov_b32_e32 v8, -1
	v_cndmask_b32_e32 v2, 0, v2, vcc
	v_xor_b32_sdwa v5, v9, v8 dst_sel:BYTE_1 dst_unused:UNUSED_PAD src0_sel:DWORD src1_sel:DWORD
	v_cmp_gt_i32_e64 s[0:1], s38, v1
	v_or_b32_e32 v5, v2, v5
	v_and_b32_e32 v5, 0xffff, v5
	v_cndmask_b32_e64 v2, v2, v5, s[0:1]
	v_xor_b32_e32 v3, -1, v3
	s_mov_b32 s6, 0xc0c0304
	v_or_b32_e32 v5, 0x200, v0
	v_perm_b32 v3, v3, v2, s6
	v_lshl_or_b32 v3, v3, 16, v2
	v_cmp_gt_i32_e64 s[0:1], s38, v5
	v_xor_b32_sdwa v4, v4, v8 dst_sel:BYTE_1 dst_unused:UNUSED_PAD src0_sel:DWORD src1_sel:DWORD
	s_mov_b32 s3, 0xffff
	v_cndmask_b32_e64 v2, v2, v3, s[0:1]
	v_lshrrev_b32_e32 v3, 16, v2
	v_bitop3_b16 v3, v3, v4, s2 bitop3:0xec
	v_or_b32_e32 v5, 0x300, v0
	v_lshlrev_b32_e32 v3, 16, v3
	v_and_or_b32 v3, v2, s3, v3
	v_cmp_gt_i32_e64 s[0:1], s38, v5
	s_mov_b32 s7, 0x3020104
	s_mov_b32 s8, 0xffff0000
	v_cndmask_b32_e64 v5, v2, v3, s[0:1]
	v_xor_b32_e32 v2, -1, v10
	v_or_b32_e32 v3, 0x400, v0
	v_perm_b32 v2, v2, 0, s7
	v_cmp_gt_i32_e64 s[0:1], s38, v3
	v_xor_b32_sdwa v3, v11, v8 dst_sel:BYTE_1 dst_unused:UNUSED_PAD src0_sel:DWORD src1_sel:DWORD
	v_or_b32_e32 v4, 0x500, v0
	v_cndmask_b32_e64 v2, 0, v2, s[0:1]
	v_bitop3_b16 v3, v2, v3, s2 bitop3:0xec
	v_and_b32_e32 v3, 0xffff, v3
	v_and_or_b32 v3, v2, s8, v3
	v_cmp_gt_i32_e64 s[0:1], s38, v4
	v_xor_b32_e32 v4, -1, v12
	s_mov_b32 s9, 0x7000504
	v_cndmask_b32_e64 v2, v2, v3, s[0:1]
	v_or_b32_e32 v3, 0x600, v0
	v_perm_b32 v4, v2, v4, s9
	v_cmp_gt_i32_e64 s[0:1], s38, v3
	v_xor_b32_sdwa v9, v13, v8 dst_sel:BYTE_1 dst_unused:UNUSED_PAD src0_sel:DWORD src1_sel:DWORD
	v_xor_b32_sdwa v10, v17, v8 dst_sel:BYTE_1 dst_unused:UNUSED_PAD src0_sel:DWORD src1_sel:DWORD
	v_cndmask_b32_e64 v2, v2, v4, s[0:1]
	v_lshrrev_b32_e32 v3, 16, v2
	v_bitop3_b16 v3, v3, v9, s2 bitop3:0xec
	v_or_b32_e32 v4, 0x700, v0
	v_lshlrev_b32_e32 v3, 16, v3
	v_and_or_b32 v3, v2, s3, v3
	v_cmp_gt_i32_e64 s[0:1], s38, v4
	v_xor_b32_sdwa v9, v15, v8 dst_sel:BYTE_1 dst_unused:UNUSED_PAD src0_sel:DWORD src1_sel:DWORD
	v_xor_b32_sdwa v8, v19, v8 dst_sel:BYTE_1 dst_unused:UNUSED_PAD src0_sel:DWORD src1_sel:DWORD
	v_cndmask_b32_e64 v4, v2, v3, s[0:1]
	v_or_b32_e32 v2, 0x800, v0
	v_bitop3_b16 v3, v14, s2, v14 bitop3:0xc
	v_and_b32_e32 v3, 0xffff, v3
	v_cmp_gt_i32_e64 s[0:1], s38, v2
	s_nop 1
	v_cndmask_b32_e64 v2, 0, v3, s[0:1]
	v_or_b32_e32 v3, 0x900, v0
	v_or_b32_e32 v9, v2, v9
	v_and_b32_e32 v9, 0xffff, v9
	v_cmp_gt_i32_e64 s[0:1], s38, v3
	v_or_b32_e32 v3, 0xa00, v0
	s_nop 0
	v_cndmask_b32_e64 v2, v2, v9, s[0:1]
	v_xor_b32_e32 v9, -1, v16
	v_perm_b32 v9, v9, v2, s6
	v_lshl_or_b32 v9, v9, 16, v2
	v_cmp_gt_i32_e64 s[0:1], s38, v3
	s_nop 1
	v_cndmask_b32_e64 v2, v2, v9, s[0:1]
	v_lshrrev_b32_e32 v3, 16, v2
	v_bitop3_b16 v3, v3, v10, s2 bitop3:0xec
	v_or_b32_e32 v9, 0xb00, v0
	v_lshlrev_b32_e32 v3, 16, v3
	v_and_or_b32 v3, v2, s3, v3
	v_cmp_gt_i32_e64 s[0:1], s38, v9
	v_or_b32_e32 v9, 0xc00, v0
	s_nop 0
	v_cndmask_b32_e64 v3, v2, v3, s[0:1]
	v_xor_b32_e32 v2, -1, v18
	v_perm_b32 v2, v2, 0, s7
	v_cmp_gt_i32_e64 s[0:1], s38, v9
	v_or_b32_e32 v9, 0xd00, v0
	s_nop 0
	v_cndmask_b32_e64 v2, 0, v2, s[0:1]
	v_bitop3_b16 v8, v2, v8, s2 bitop3:0xec
	v_and_b32_e32 v8, 0xffff, v8
	v_and_or_b32 v8, v2, s8, v8
	v_cmp_gt_i32_e64 s[0:1], s38, v9
	v_xor_b32_e32 v9, -1, v20
	s_nop 0
	v_cndmask_b32_e64 v2, v2, v8, s[0:1]
	v_or_b32_e32 v8, 0xe00, v0
	v_perm_b32 v9, v2, v9, s9
	v_cmp_gt_i32_e64 s[0:1], s38, v8
	v_or_b32_e32 v8, 0xf00, v0
	s_nop 0
	v_cndmask_b32_e64 v2, v2, v9, s[0:1]
	s_mov_b32 s0, 0x60504
	v_perm_b32 v7, v2, v7, s0
	v_cmp_gt_i32_e64 s[0:1], s38, v8
	s_nop 1
	v_cndmask_b32_e64 v2, v2, v7, s[0:1]
	s_and_saveexec_b64 s[0:1], vcc
	s_cbranch_execnz .LBB18_53
; %bb.36:
	s_or_b64 exec, exec, s[0:1]
	v_cmp_gt_i32_e32 vcc, s38, v0
	s_and_saveexec_b64 s[0:1], vcc
	s_cbranch_execnz .LBB18_54
.LBB18_37:
	s_or_b64 exec, exec, s[0:1]
	v_cmp_gt_i32_e32 vcc, s38, v0
	s_and_saveexec_b64 s[0:1], vcc
	s_cbranch_execnz .LBB18_55
.LBB18_38:
	s_or_b64 exec, exec, s[0:1]
	v_cmp_gt_i32_e32 vcc, s38, v0
	s_and_saveexec_b64 s[0:1], vcc
	s_cbranch_execnz .LBB18_56
.LBB18_39:
	s_or_b64 exec, exec, s[0:1]
	v_cmp_gt_i32_e32 vcc, s38, v0
	s_and_saveexec_b64 s[0:1], vcc
	s_cbranch_execnz .LBB18_57
.LBB18_40:
	s_or_b64 exec, exec, s[0:1]
	v_cmp_gt_i32_e32 vcc, s38, v0
	s_and_saveexec_b64 s[0:1], vcc
	s_cbranch_execnz .LBB18_58
.LBB18_41:
	s_or_b64 exec, exec, s[0:1]
	v_cmp_gt_i32_e32 vcc, s38, v0
	s_and_saveexec_b64 s[0:1], vcc
	s_cbranch_execnz .LBB18_59
.LBB18_42:
	s_or_b64 exec, exec, s[0:1]
	v_cmp_gt_i32_e32 vcc, s38, v0
	s_and_saveexec_b64 s[0:1], vcc
	s_cbranch_execnz .LBB18_60
.LBB18_43:
	s_or_b64 exec, exec, s[0:1]
	v_cmp_gt_i32_e32 vcc, s38, v0
	s_and_saveexec_b64 s[0:1], vcc
	s_cbranch_execnz .LBB18_61
.LBB18_44:
	s_or_b64 exec, exec, s[0:1]
	v_cmp_gt_i32_e32 vcc, s38, v0
	s_and_saveexec_b64 s[0:1], vcc
	s_cbranch_execnz .LBB18_62
.LBB18_45:
	s_or_b64 exec, exec, s[0:1]
	v_cmp_gt_i32_e32 vcc, s38, v0
	s_and_saveexec_b64 s[0:1], vcc
	s_cbranch_execnz .LBB18_63
.LBB18_46:
	s_or_b64 exec, exec, s[0:1]
	v_cmp_gt_i32_e32 vcc, s38, v0
	s_and_saveexec_b64 s[0:1], vcc
	s_cbranch_execnz .LBB18_64
.LBB18_47:
	s_or_b64 exec, exec, s[0:1]
	v_cmp_gt_i32_e32 vcc, s38, v0
	s_and_saveexec_b64 s[0:1], vcc
	s_cbranch_execnz .LBB18_65
.LBB18_48:
	s_or_b64 exec, exec, s[0:1]
	v_cmp_gt_i32_e32 vcc, s38, v0
	s_and_saveexec_b64 s[0:1], vcc
	s_cbranch_execnz .LBB18_66
.LBB18_49:
	s_or_b64 exec, exec, s[0:1]
	v_cmp_gt_i32_e32 vcc, s38, v0
	s_and_saveexec_b64 s[0:1], vcc
	s_cbranch_execnz .LBB18_67
.LBB18_50:
	s_or_b64 exec, exec, s[0:1]
	v_cmp_gt_i32_e32 vcc, s38, v0
	s_and_saveexec_b64 s[0:1], vcc
	s_cbranch_execz .LBB18_52
.LBB18_51:
	v_lshrrev_b32_e32 v1, 24, v2
	v_add_u32_e32 v0, s33, v0
	global_store_byte v0, v1, s[4:5]
.LBB18_52:
	s_endpgm
.LBB18_53:
	v_mov_b32_e32 v0, v1
	global_store_byte v6, v5, s[4:5]
	s_or_b64 exec, exec, s[0:1]
	v_cmp_gt_i32_e32 vcc, s38, v0
	s_and_saveexec_b64 s[0:1], vcc
	s_cbranch_execz .LBB18_37
.LBB18_54:
	v_lshrrev_b32_e32 v1, 8, v5
	v_add_u32_e32 v6, s33, v0
	v_add_u32_e32 v0, 0x100, v0
	global_store_byte v6, v1, s[4:5]
	s_or_b64 exec, exec, s[0:1]
	v_cmp_gt_i32_e32 vcc, s38, v0
	s_and_saveexec_b64 s[0:1], vcc
	s_cbranch_execz .LBB18_38
.LBB18_55:
	v_add_u32_e32 v1, s33, v0
	v_add_u32_e32 v0, 0x100, v0
	global_store_byte_d16_hi v1, v5, s[4:5]
	s_or_b64 exec, exec, s[0:1]
	v_cmp_gt_i32_e32 vcc, s38, v0
	s_and_saveexec_b64 s[0:1], vcc
	s_cbranch_execz .LBB18_39
.LBB18_56:
	v_lshrrev_b32_e32 v1, 24, v5
	v_add_u32_e32 v5, s33, v0
	v_add_u32_e32 v0, 0x100, v0
	global_store_byte v5, v1, s[4:5]
	s_or_b64 exec, exec, s[0:1]
	v_cmp_gt_i32_e32 vcc, s38, v0
	s_and_saveexec_b64 s[0:1], vcc
	s_cbranch_execz .LBB18_40
.LBB18_57:
	v_add_u32_e32 v1, s33, v0
	v_add_u32_e32 v0, 0x100, v0
	global_store_byte v1, v4, s[4:5]
	s_or_b64 exec, exec, s[0:1]
	v_cmp_gt_i32_e32 vcc, s38, v0
	s_and_saveexec_b64 s[0:1], vcc
	s_cbranch_execz .LBB18_41
.LBB18_58:
	v_lshrrev_b32_e32 v1, 8, v4
	v_add_u32_e32 v5, s33, v0
	v_add_u32_e32 v0, 0x100, v0
	global_store_byte v5, v1, s[4:5]
	s_or_b64 exec, exec, s[0:1]
	v_cmp_gt_i32_e32 vcc, s38, v0
	s_and_saveexec_b64 s[0:1], vcc
	s_cbranch_execz .LBB18_42
.LBB18_59:
	v_add_u32_e32 v1, s33, v0
	v_add_u32_e32 v0, 0x100, v0
	global_store_byte_d16_hi v1, v4, s[4:5]
	s_or_b64 exec, exec, s[0:1]
	v_cmp_gt_i32_e32 vcc, s38, v0
	s_and_saveexec_b64 s[0:1], vcc
	s_cbranch_execz .LBB18_43
.LBB18_60:
	v_lshrrev_b32_e32 v1, 24, v4
	v_add_u32_e32 v4, s33, v0
	v_add_u32_e32 v0, 0x100, v0
	global_store_byte v4, v1, s[4:5]
	s_or_b64 exec, exec, s[0:1]
	v_cmp_gt_i32_e32 vcc, s38, v0
	s_and_saveexec_b64 s[0:1], vcc
	s_cbranch_execz .LBB18_44
.LBB18_61:
	v_add_u32_e32 v1, s33, v0
	v_add_u32_e32 v0, 0x100, v0
	global_store_byte v1, v3, s[4:5]
	s_or_b64 exec, exec, s[0:1]
	v_cmp_gt_i32_e32 vcc, s38, v0
	s_and_saveexec_b64 s[0:1], vcc
	s_cbranch_execz .LBB18_45
.LBB18_62:
	v_lshrrev_b32_e32 v1, 8, v3
	v_add_u32_e32 v4, s33, v0
	v_add_u32_e32 v0, 0x100, v0
	global_store_byte v4, v1, s[4:5]
	s_or_b64 exec, exec, s[0:1]
	v_cmp_gt_i32_e32 vcc, s38, v0
	s_and_saveexec_b64 s[0:1], vcc
	s_cbranch_execz .LBB18_46
.LBB18_63:
	v_add_u32_e32 v1, s33, v0
	v_add_u32_e32 v0, 0x100, v0
	global_store_byte_d16_hi v1, v3, s[4:5]
	s_or_b64 exec, exec, s[0:1]
	v_cmp_gt_i32_e32 vcc, s38, v0
	s_and_saveexec_b64 s[0:1], vcc
	s_cbranch_execz .LBB18_47
.LBB18_64:
	v_lshrrev_b32_e32 v1, 24, v3
	v_add_u32_e32 v3, s33, v0
	v_add_u32_e32 v0, 0x100, v0
	global_store_byte v3, v1, s[4:5]
	s_or_b64 exec, exec, s[0:1]
	v_cmp_gt_i32_e32 vcc, s38, v0
	s_and_saveexec_b64 s[0:1], vcc
	s_cbranch_execz .LBB18_48
.LBB18_65:
	v_add_u32_e32 v1, s33, v0
	v_add_u32_e32 v0, 0x100, v0
	global_store_byte v1, v2, s[4:5]
	s_or_b64 exec, exec, s[0:1]
	v_cmp_gt_i32_e32 vcc, s38, v0
	s_and_saveexec_b64 s[0:1], vcc
	s_cbranch_execz .LBB18_49
.LBB18_66:
	v_lshrrev_b32_e32 v1, 8, v2
	v_add_u32_e32 v3, s33, v0
	v_add_u32_e32 v0, 0x100, v0
	global_store_byte v3, v1, s[4:5]
	s_or_b64 exec, exec, s[0:1]
	v_cmp_gt_i32_e32 vcc, s38, v0
	s_and_saveexec_b64 s[0:1], vcc
	s_cbranch_execz .LBB18_50
.LBB18_67:
	v_add_u32_e32 v1, s33, v0
	v_add_u32_e32 v0, 0x100, v0
	global_store_byte_d16_hi v1, v2, s[4:5]
	s_or_b64 exec, exec, s[0:1]
	v_cmp_gt_i32_e32 vcc, s38, v0
	s_and_saveexec_b64 s[0:1], vcc
	s_cbranch_execnz .LBB18_51
	s_branch .LBB18_52
	.section	.rodata,"a",@progbits
	.p2align	6, 0x0
	.amdhsa_kernel _ZN2at6native29vectorized_elementwise_kernelILi4EZZZNS0_23bitwise_not_kernel_cudaERNS_18TensorIteratorBaseEENKUlvE_clEvENKUlvE0_clEvEUlaE_St5arrayIPcLm2EEEEviT0_T1_
		.amdhsa_group_segment_fixed_size 0
		.amdhsa_private_segment_fixed_size 0
		.amdhsa_kernarg_size 24
		.amdhsa_user_sgpr_count 2
		.amdhsa_user_sgpr_dispatch_ptr 0
		.amdhsa_user_sgpr_queue_ptr 0
		.amdhsa_user_sgpr_kernarg_segment_ptr 1
		.amdhsa_user_sgpr_dispatch_id 0
		.amdhsa_user_sgpr_kernarg_preload_length 0
		.amdhsa_user_sgpr_kernarg_preload_offset 0
		.amdhsa_user_sgpr_private_segment_size 0
		.amdhsa_uses_dynamic_stack 0
		.amdhsa_enable_private_segment 0
		.amdhsa_system_sgpr_workgroup_id_x 1
		.amdhsa_system_sgpr_workgroup_id_y 0
		.amdhsa_system_sgpr_workgroup_id_z 0
		.amdhsa_system_sgpr_workgroup_info 0
		.amdhsa_system_vgpr_workitem_id 0
		.amdhsa_next_free_vgpr 21
		.amdhsa_next_free_sgpr 39
		.amdhsa_accum_offset 24
		.amdhsa_reserve_vcc 1
		.amdhsa_float_round_mode_32 0
		.amdhsa_float_round_mode_16_64 0
		.amdhsa_float_denorm_mode_32 3
		.amdhsa_float_denorm_mode_16_64 3
		.amdhsa_dx10_clamp 1
		.amdhsa_ieee_mode 1
		.amdhsa_fp16_overflow 0
		.amdhsa_tg_split 0
		.amdhsa_exception_fp_ieee_invalid_op 0
		.amdhsa_exception_fp_denorm_src 0
		.amdhsa_exception_fp_ieee_div_zero 0
		.amdhsa_exception_fp_ieee_overflow 0
		.amdhsa_exception_fp_ieee_underflow 0
		.amdhsa_exception_fp_ieee_inexact 0
		.amdhsa_exception_int_div_zero 0
	.end_amdhsa_kernel
	.section	.text._ZN2at6native29vectorized_elementwise_kernelILi4EZZZNS0_23bitwise_not_kernel_cudaERNS_18TensorIteratorBaseEENKUlvE_clEvENKUlvE0_clEvEUlaE_St5arrayIPcLm2EEEEviT0_T1_,"axG",@progbits,_ZN2at6native29vectorized_elementwise_kernelILi4EZZZNS0_23bitwise_not_kernel_cudaERNS_18TensorIteratorBaseEENKUlvE_clEvENKUlvE0_clEvEUlaE_St5arrayIPcLm2EEEEviT0_T1_,comdat
.Lfunc_end18:
	.size	_ZN2at6native29vectorized_elementwise_kernelILi4EZZZNS0_23bitwise_not_kernel_cudaERNS_18TensorIteratorBaseEENKUlvE_clEvENKUlvE0_clEvEUlaE_St5arrayIPcLm2EEEEviT0_T1_, .Lfunc_end18-_ZN2at6native29vectorized_elementwise_kernelILi4EZZZNS0_23bitwise_not_kernel_cudaERNS_18TensorIteratorBaseEENKUlvE_clEvENKUlvE0_clEvEUlaE_St5arrayIPcLm2EEEEviT0_T1_
                                        ; -- End function
	.set _ZN2at6native29vectorized_elementwise_kernelILi4EZZZNS0_23bitwise_not_kernel_cudaERNS_18TensorIteratorBaseEENKUlvE_clEvENKUlvE0_clEvEUlaE_St5arrayIPcLm2EEEEviT0_T1_.num_vgpr, 21
	.set _ZN2at6native29vectorized_elementwise_kernelILi4EZZZNS0_23bitwise_not_kernel_cudaERNS_18TensorIteratorBaseEENKUlvE_clEvENKUlvE0_clEvEUlaE_St5arrayIPcLm2EEEEviT0_T1_.num_agpr, 0
	.set _ZN2at6native29vectorized_elementwise_kernelILi4EZZZNS0_23bitwise_not_kernel_cudaERNS_18TensorIteratorBaseEENKUlvE_clEvENKUlvE0_clEvEUlaE_St5arrayIPcLm2EEEEviT0_T1_.numbered_sgpr, 39
	.set _ZN2at6native29vectorized_elementwise_kernelILi4EZZZNS0_23bitwise_not_kernel_cudaERNS_18TensorIteratorBaseEENKUlvE_clEvENKUlvE0_clEvEUlaE_St5arrayIPcLm2EEEEviT0_T1_.num_named_barrier, 0
	.set _ZN2at6native29vectorized_elementwise_kernelILi4EZZZNS0_23bitwise_not_kernel_cudaERNS_18TensorIteratorBaseEENKUlvE_clEvENKUlvE0_clEvEUlaE_St5arrayIPcLm2EEEEviT0_T1_.private_seg_size, 0
	.set _ZN2at6native29vectorized_elementwise_kernelILi4EZZZNS0_23bitwise_not_kernel_cudaERNS_18TensorIteratorBaseEENKUlvE_clEvENKUlvE0_clEvEUlaE_St5arrayIPcLm2EEEEviT0_T1_.uses_vcc, 1
	.set _ZN2at6native29vectorized_elementwise_kernelILi4EZZZNS0_23bitwise_not_kernel_cudaERNS_18TensorIteratorBaseEENKUlvE_clEvENKUlvE0_clEvEUlaE_St5arrayIPcLm2EEEEviT0_T1_.uses_flat_scratch, 0
	.set _ZN2at6native29vectorized_elementwise_kernelILi4EZZZNS0_23bitwise_not_kernel_cudaERNS_18TensorIteratorBaseEENKUlvE_clEvENKUlvE0_clEvEUlaE_St5arrayIPcLm2EEEEviT0_T1_.has_dyn_sized_stack, 0
	.set _ZN2at6native29vectorized_elementwise_kernelILi4EZZZNS0_23bitwise_not_kernel_cudaERNS_18TensorIteratorBaseEENKUlvE_clEvENKUlvE0_clEvEUlaE_St5arrayIPcLm2EEEEviT0_T1_.has_recursion, 0
	.set _ZN2at6native29vectorized_elementwise_kernelILi4EZZZNS0_23bitwise_not_kernel_cudaERNS_18TensorIteratorBaseEENKUlvE_clEvENKUlvE0_clEvEUlaE_St5arrayIPcLm2EEEEviT0_T1_.has_indirect_call, 0
	.section	.AMDGPU.csdata,"",@progbits
; Kernel info:
; codeLenInByte = 3192
; TotalNumSgprs: 45
; NumVgprs: 21
; NumAgprs: 0
; TotalNumVgprs: 21
; ScratchSize: 0
; MemoryBound: 0
; FloatMode: 240
; IeeeMode: 1
; LDSByteSize: 0 bytes/workgroup (compile time only)
; SGPRBlocks: 5
; VGPRBlocks: 2
; NumSGPRsForWavesPerEU: 45
; NumVGPRsForWavesPerEU: 21
; AccumOffset: 24
; Occupancy: 8
; WaveLimiterHint : 1
; COMPUTE_PGM_RSRC2:SCRATCH_EN: 0
; COMPUTE_PGM_RSRC2:USER_SGPR: 2
; COMPUTE_PGM_RSRC2:TRAP_HANDLER: 0
; COMPUTE_PGM_RSRC2:TGID_X_EN: 1
; COMPUTE_PGM_RSRC2:TGID_Y_EN: 0
; COMPUTE_PGM_RSRC2:TGID_Z_EN: 0
; COMPUTE_PGM_RSRC2:TIDIG_COMP_CNT: 0
; COMPUTE_PGM_RSRC3_GFX90A:ACCUM_OFFSET: 5
; COMPUTE_PGM_RSRC3_GFX90A:TG_SPLIT: 0
	.section	.text._ZN2at6native29vectorized_elementwise_kernelILi2EZZZNS0_23bitwise_not_kernel_cudaERNS_18TensorIteratorBaseEENKUlvE_clEvENKUlvE0_clEvEUlaE_St5arrayIPcLm2EEEEviT0_T1_,"axG",@progbits,_ZN2at6native29vectorized_elementwise_kernelILi2EZZZNS0_23bitwise_not_kernel_cudaERNS_18TensorIteratorBaseEENKUlvE_clEvENKUlvE0_clEvEUlaE_St5arrayIPcLm2EEEEviT0_T1_,comdat
	.globl	_ZN2at6native29vectorized_elementwise_kernelILi2EZZZNS0_23bitwise_not_kernel_cudaERNS_18TensorIteratorBaseEENKUlvE_clEvENKUlvE0_clEvEUlaE_St5arrayIPcLm2EEEEviT0_T1_ ; -- Begin function _ZN2at6native29vectorized_elementwise_kernelILi2EZZZNS0_23bitwise_not_kernel_cudaERNS_18TensorIteratorBaseEENKUlvE_clEvENKUlvE0_clEvEUlaE_St5arrayIPcLm2EEEEviT0_T1_
	.p2align	8
	.type	_ZN2at6native29vectorized_elementwise_kernelILi2EZZZNS0_23bitwise_not_kernel_cudaERNS_18TensorIteratorBaseEENKUlvE_clEvENKUlvE0_clEvEUlaE_St5arrayIPcLm2EEEEviT0_T1_,@function
_ZN2at6native29vectorized_elementwise_kernelILi2EZZZNS0_23bitwise_not_kernel_cudaERNS_18TensorIteratorBaseEENKUlvE_clEvENKUlvE0_clEvEUlaE_St5arrayIPcLm2EEEEviT0_T1_: ; @_ZN2at6native29vectorized_elementwise_kernelILi2EZZZNS0_23bitwise_not_kernel_cudaERNS_18TensorIteratorBaseEENKUlvE_clEvENKUlvE0_clEvEUlaE_St5arrayIPcLm2EEEEviT0_T1_
; %bb.0:
	s_load_dword s3, s[0:1], 0x0
	s_load_dwordx4 s[4:7], s[0:1], 0x8
	s_lshl_b32 s33, s2, 12
	s_mov_b64 s[0:1], -1
	s_waitcnt lgkmcnt(0)
	s_sub_i32 s38, s3, s33
	s_cmpk_gt_i32 s38, 0xfff
	s_cbranch_scc0 .LBB19_2
; %bb.1:
	s_ashr_i32 s2, s33, 31
	s_add_u32 s0, s6, s33
	s_addc_u32 s1, s7, s2
	v_lshlrev_b32_e32 v1, 1, v0
	global_load_ushort v2, v1, s[0:1]
	global_load_ushort v3, v1, s[0:1] offset:512
	global_load_ushort v4, v1, s[0:1] offset:3072
	;; [unrolled: 1-line block ×7, first 2 shown]
	s_mov_b32 s3, 0xc0c0204
	s_add_u32 s0, s4, s33
	s_addc_u32 s1, s5, s2
	s_waitcnt vmcnt(7)
	v_pk_lshrrev_b16 v2, 8, v2 op_sel:[1,0] op_sel_hi:[0,0]
	s_waitcnt vmcnt(6)
	v_pk_lshrrev_b16 v3, 8, v3 op_sel:[1,0] op_sel_hi:[0,0]
	;; [unrolled: 2-line block ×5, first 2 shown]
	v_xor_b32_e32 v2, -1, v2
	s_waitcnt vmcnt(2)
	v_xor_b32_e32 v7, -1, v7
	v_xor_b32_e32 v3, -1, v3
	;; [unrolled: 1-line block ×5, first 2 shown]
	v_perm_b32 v2, v2, v2, s3
	s_waitcnt vmcnt(1)
	v_xor_b32_e32 v8, -1, v8
	s_waitcnt vmcnt(0)
	v_xor_b32_e32 v9, -1, v9
	global_store_short v1, v7, s[0:1] offset:1536
	global_store_short v1, v8, s[0:1] offset:2560
	;; [unrolled: 1-line block ×3, first 2 shown]
	v_perm_b32 v3, v3, v3, s3
	v_perm_b32 v6, v6, v6, s3
	;; [unrolled: 1-line block ×4, first 2 shown]
	global_store_short v1, v2, s[0:1]
	global_store_short v1, v3, s[0:1] offset:512
	global_store_short v1, v6, s[0:1] offset:1024
	;; [unrolled: 1-line block ×4, first 2 shown]
	s_mov_b64 s[0:1], 0
.LBB19_2:
	s_andn2_b64 vcc, exec, s[0:1]
	s_cbranch_vccnz .LBB19_52
; %bb.3:
	v_cmp_gt_i32_e32 vcc, s38, v0
	v_or_b32_e32 v1, 0x100, v0
	v_mov_b32_e32 v20, 0
	v_mov_b32_e32 v7, 0xff
	v_or_b32_e32 v6, s33, v0
	v_mov_b32_e32 v19, 0
	v_mov_b32_e32 v18, 0
	;; [unrolled: 1-line block ×14, first 2 shown]
	s_and_saveexec_b64 s[2:3], vcc
	s_cbranch_execz .LBB19_35
; %bb.4:
	global_load_ubyte v8, v6, s[6:7]
	v_cmp_gt_u32_e64 s[0:1], s38, v1
	v_mov_b32_e32 v7, 0xff
	v_mov_b32_e32 v9, 0
	;; [unrolled: 1-line block ×15, first 2 shown]
	s_and_saveexec_b64 s[8:9], s[0:1]
	s_cbranch_execz .LBB19_34
; %bb.5:
	v_add_u32_e32 v2, s33, v0
	global_load_ubyte v9, v2, s[6:7] offset:256
	v_or_b32_e32 v4, 0x200, v0
	v_mov_b32_e32 v3, 0
	v_cmp_gt_u32_e64 s[0:1], s38, v4
	v_mov_b32_e32 v7, 0xff
	v_mov_b32_e32 v4, 0
	;; [unrolled: 1-line block ×13, first 2 shown]
	s_and_saveexec_b64 s[10:11], s[0:1]
	s_cbranch_execz .LBB19_33
; %bb.6:
	v_lshl_add_u64 v[4:5], s[6:7], 0, v[2:3]
	global_load_ubyte v2, v[4:5], off offset:512
	v_or_b32_e32 v7, 0x300, v0
	v_cmp_gt_u32_e64 s[0:1], s38, v7
	v_mov_b32_e32 v7, 0xff
	v_mov_b32_e32 v10, 0
	;; [unrolled: 1-line block ×12, first 2 shown]
	s_and_saveexec_b64 s[6:7], s[0:1]
	s_cbranch_execz .LBB19_32
; %bb.7:
	global_load_ubyte v3, v[4:5], off offset:768
	v_or_b32_e32 v7, 0x400, v0
	v_cmp_gt_u32_e64 s[0:1], s38, v7
	v_mov_b32_e32 v7, 0xff
	v_mov_b32_e32 v10, 0
	v_mov_b32_e32 v11, 0
	v_mov_b32_e32 v12, 0
	v_mov_b32_e32 v13, 0
	v_mov_b32_e32 v14, 0
	v_mov_b32_e32 v15, 0
	v_mov_b32_e32 v16, 0
	v_mov_b32_e32 v17, 0
	v_mov_b32_e32 v18, 0
	v_mov_b32_e32 v19, 0
	v_mov_b32_e32 v20, 0
	s_and_saveexec_b64 s[12:13], s[0:1]
	s_cbranch_execz .LBB19_31
; %bb.8:
	global_load_ubyte v10, v[4:5], off offset:1024
	v_or_b32_e32 v7, 0x500, v0
	v_cmp_gt_u32_e64 s[0:1], s38, v7
	v_mov_b32_e32 v7, 0xff
	v_mov_b32_e32 v11, 0
	;; [unrolled: 1-line block ×11, first 2 shown]
	s_and_saveexec_b64 s[14:15], s[0:1]
	s_cbranch_execz .LBB19_30
; %bb.9:
	global_load_ubyte v11, v[4:5], off offset:1280
	v_or_b32_e32 v7, 0x600, v0
	v_cmp_gt_u32_e64 s[0:1], s38, v7
	v_mov_b32_e32 v7, 0xff
	v_mov_b32_e32 v12, 0
	;; [unrolled: 1-line block ×10, first 2 shown]
	s_and_saveexec_b64 s[16:17], s[0:1]
	s_cbranch_execz .LBB19_29
; %bb.10:
	global_load_ubyte v12, v[4:5], off offset:1536
	v_or_b32_e32 v7, 0x700, v0
	v_cmp_gt_u32_e64 s[0:1], s38, v7
	v_mov_b32_e32 v7, 0xff
	v_mov_b32_e32 v13, 0
	;; [unrolled: 1-line block ×9, first 2 shown]
	s_and_saveexec_b64 s[18:19], s[0:1]
	s_cbranch_execz .LBB19_28
; %bb.11:
	global_load_ubyte v13, v[4:5], off offset:1792
	v_or_b32_e32 v7, 0x800, v0
	v_cmp_gt_u32_e64 s[0:1], s38, v7
	v_mov_b32_e32 v7, 0xff
	v_mov_b32_e32 v14, 0
	;; [unrolled: 1-line block ×8, first 2 shown]
	s_and_saveexec_b64 s[20:21], s[0:1]
	s_cbranch_execz .LBB19_27
; %bb.12:
	global_load_ubyte v14, v[4:5], off offset:2048
	v_or_b32_e32 v7, 0x900, v0
	v_cmp_gt_u32_e64 s[0:1], s38, v7
	v_mov_b32_e32 v7, 0xff
	v_mov_b32_e32 v15, 0
	;; [unrolled: 1-line block ×7, first 2 shown]
	s_and_saveexec_b64 s[22:23], s[0:1]
	s_cbranch_execz .LBB19_26
; %bb.13:
	global_load_ubyte v15, v[4:5], off offset:2304
	v_or_b32_e32 v7, 0xa00, v0
	v_cmp_gt_u32_e64 s[0:1], s38, v7
	v_mov_b32_e32 v7, 0xff
	v_mov_b32_e32 v16, 0
	;; [unrolled: 1-line block ×6, first 2 shown]
	s_and_saveexec_b64 s[24:25], s[0:1]
	s_cbranch_execz .LBB19_25
; %bb.14:
	global_load_ubyte v16, v[4:5], off offset:2560
	v_or_b32_e32 v7, 0xb00, v0
	v_cmp_gt_u32_e64 s[0:1], s38, v7
	v_mov_b32_e32 v7, 0xff
	v_mov_b32_e32 v17, 0
	;; [unrolled: 1-line block ×5, first 2 shown]
	s_and_saveexec_b64 s[26:27], s[0:1]
	s_cbranch_execz .LBB19_24
; %bb.15:
	global_load_ubyte v17, v[4:5], off offset:2816
	v_or_b32_e32 v7, 0xc00, v0
	v_cmp_gt_u32_e64 s[0:1], s38, v7
	v_mov_b32_e32 v7, 0xff
	v_mov_b32_e32 v18, 0
	;; [unrolled: 1-line block ×4, first 2 shown]
	s_and_saveexec_b64 s[28:29], s[0:1]
	s_cbranch_execz .LBB19_23
; %bb.16:
	global_load_ubyte v18, v[4:5], off offset:3072
	v_or_b32_e32 v7, 0xd00, v0
	v_cmp_gt_u32_e64 s[0:1], s38, v7
	v_mov_b32_e32 v7, 0xff
	v_mov_b32_e32 v19, 0
	v_mov_b32_e32 v20, 0
	s_and_saveexec_b64 s[30:31], s[0:1]
	s_cbranch_execz .LBB19_22
; %bb.17:
	global_load_ubyte v19, v[4:5], off offset:3328
	v_or_b32_e32 v7, 0xe00, v0
	v_cmp_gt_u32_e64 s[0:1], s38, v7
	v_mov_b32_e32 v7, 0xff
	v_mov_b32_e32 v20, 0
	s_and_saveexec_b64 s[34:35], s[0:1]
	s_cbranch_execz .LBB19_21
; %bb.18:
	global_load_ubyte v20, v[4:5], off offset:3584
	v_or_b32_e32 v7, 0xf00, v0
	v_cmp_gt_u32_e64 s[0:1], s38, v7
	v_mov_b32_e32 v7, 0xff
	s_and_saveexec_b64 s[36:37], s[0:1]
	s_cbranch_execz .LBB19_20
; %bb.19:
	global_load_ubyte v4, v[4:5], off offset:3840
	s_waitcnt vmcnt(0)
	v_xor_b32_e32 v7, -1, v4
.LBB19_20:
	s_or_b64 exec, exec, s[36:37]
.LBB19_21:
	s_or_b64 exec, exec, s[34:35]
.LBB19_22:
	s_or_b64 exec, exec, s[30:31]
.LBB19_23:
	s_or_b64 exec, exec, s[28:29]
.LBB19_24:
	s_or_b64 exec, exec, s[26:27]
.LBB19_25:
	s_or_b64 exec, exec, s[24:25]
.LBB19_26:
	s_or_b64 exec, exec, s[22:23]
.LBB19_27:
	s_or_b64 exec, exec, s[20:21]
.LBB19_28:
	s_or_b64 exec, exec, s[18:19]
.LBB19_29:
	s_or_b64 exec, exec, s[16:17]
.LBB19_30:
	s_or_b64 exec, exec, s[14:15]
.LBB19_31:
	s_or_b64 exec, exec, s[12:13]
.LBB19_32:
	s_or_b64 exec, exec, s[6:7]
	s_waitcnt vmcnt(0)
	v_mov_b32_e32 v4, v3
	v_mov_b32_e32 v3, v2
.LBB19_33:
	s_or_b64 exec, exec, s[10:11]
.LBB19_34:
	s_or_b64 exec, exec, s[8:9]
.LBB19_35:
	s_or_b64 exec, exec, s[2:3]
	s_movk_i32 s2, 0xff
	s_waitcnt vmcnt(0)
	v_bitop3_b16 v2, v8, s2, v8 bitop3:0xc
	v_and_b32_e32 v2, 0xffff, v2
	v_mov_b32_e32 v8, -1
	v_cndmask_b32_e32 v2, 0, v2, vcc
	v_xor_b32_sdwa v5, v9, v8 dst_sel:BYTE_1 dst_unused:UNUSED_PAD src0_sel:DWORD src1_sel:DWORD
	v_cmp_gt_i32_e64 s[0:1], s38, v1
	v_or_b32_e32 v5, v2, v5
	v_and_b32_e32 v5, 0xffff, v5
	v_cndmask_b32_e64 v2, v2, v5, s[0:1]
	v_xor_b32_e32 v3, -1, v3
	s_mov_b32 s6, 0xc0c0304
	v_or_b32_e32 v5, 0x200, v0
	v_perm_b32 v3, v3, v2, s6
	v_lshl_or_b32 v3, v3, 16, v2
	v_cmp_gt_i32_e64 s[0:1], s38, v5
	v_xor_b32_sdwa v4, v4, v8 dst_sel:BYTE_1 dst_unused:UNUSED_PAD src0_sel:DWORD src1_sel:DWORD
	s_mov_b32 s3, 0xffff
	v_cndmask_b32_e64 v2, v2, v3, s[0:1]
	v_lshrrev_b32_e32 v3, 16, v2
	v_bitop3_b16 v3, v3, v4, s2 bitop3:0xec
	v_or_b32_e32 v5, 0x300, v0
	v_lshlrev_b32_e32 v3, 16, v3
	v_and_or_b32 v3, v2, s3, v3
	v_cmp_gt_i32_e64 s[0:1], s38, v5
	s_mov_b32 s7, 0x3020104
	s_mov_b32 s8, 0xffff0000
	v_cndmask_b32_e64 v5, v2, v3, s[0:1]
	v_xor_b32_e32 v2, -1, v10
	v_or_b32_e32 v3, 0x400, v0
	v_perm_b32 v2, v2, 0, s7
	v_cmp_gt_i32_e64 s[0:1], s38, v3
	v_xor_b32_sdwa v3, v11, v8 dst_sel:BYTE_1 dst_unused:UNUSED_PAD src0_sel:DWORD src1_sel:DWORD
	v_or_b32_e32 v4, 0x500, v0
	v_cndmask_b32_e64 v2, 0, v2, s[0:1]
	v_bitop3_b16 v3, v2, v3, s2 bitop3:0xec
	v_and_b32_e32 v3, 0xffff, v3
	v_and_or_b32 v3, v2, s8, v3
	v_cmp_gt_i32_e64 s[0:1], s38, v4
	v_xor_b32_e32 v4, -1, v12
	s_mov_b32 s9, 0x7000504
	v_cndmask_b32_e64 v2, v2, v3, s[0:1]
	v_or_b32_e32 v3, 0x600, v0
	v_perm_b32 v4, v2, v4, s9
	v_cmp_gt_i32_e64 s[0:1], s38, v3
	v_xor_b32_sdwa v9, v13, v8 dst_sel:BYTE_1 dst_unused:UNUSED_PAD src0_sel:DWORD src1_sel:DWORD
	v_xor_b32_sdwa v10, v17, v8 dst_sel:BYTE_1 dst_unused:UNUSED_PAD src0_sel:DWORD src1_sel:DWORD
	v_cndmask_b32_e64 v2, v2, v4, s[0:1]
	v_lshrrev_b32_e32 v3, 16, v2
	v_bitop3_b16 v3, v3, v9, s2 bitop3:0xec
	v_or_b32_e32 v4, 0x700, v0
	v_lshlrev_b32_e32 v3, 16, v3
	v_and_or_b32 v3, v2, s3, v3
	v_cmp_gt_i32_e64 s[0:1], s38, v4
	v_xor_b32_sdwa v9, v15, v8 dst_sel:BYTE_1 dst_unused:UNUSED_PAD src0_sel:DWORD src1_sel:DWORD
	v_xor_b32_sdwa v8, v19, v8 dst_sel:BYTE_1 dst_unused:UNUSED_PAD src0_sel:DWORD src1_sel:DWORD
	v_cndmask_b32_e64 v4, v2, v3, s[0:1]
	v_or_b32_e32 v2, 0x800, v0
	v_bitop3_b16 v3, v14, s2, v14 bitop3:0xc
	v_and_b32_e32 v3, 0xffff, v3
	v_cmp_gt_i32_e64 s[0:1], s38, v2
	s_nop 1
	v_cndmask_b32_e64 v2, 0, v3, s[0:1]
	v_or_b32_e32 v3, 0x900, v0
	v_or_b32_e32 v9, v2, v9
	v_and_b32_e32 v9, 0xffff, v9
	v_cmp_gt_i32_e64 s[0:1], s38, v3
	v_or_b32_e32 v3, 0xa00, v0
	s_nop 0
	v_cndmask_b32_e64 v2, v2, v9, s[0:1]
	v_xor_b32_e32 v9, -1, v16
	v_perm_b32 v9, v9, v2, s6
	v_lshl_or_b32 v9, v9, 16, v2
	v_cmp_gt_i32_e64 s[0:1], s38, v3
	s_nop 1
	v_cndmask_b32_e64 v2, v2, v9, s[0:1]
	v_lshrrev_b32_e32 v3, 16, v2
	v_bitop3_b16 v3, v3, v10, s2 bitop3:0xec
	v_or_b32_e32 v9, 0xb00, v0
	v_lshlrev_b32_e32 v3, 16, v3
	v_and_or_b32 v3, v2, s3, v3
	v_cmp_gt_i32_e64 s[0:1], s38, v9
	v_or_b32_e32 v9, 0xc00, v0
	s_nop 0
	v_cndmask_b32_e64 v3, v2, v3, s[0:1]
	v_xor_b32_e32 v2, -1, v18
	v_perm_b32 v2, v2, 0, s7
	v_cmp_gt_i32_e64 s[0:1], s38, v9
	v_or_b32_e32 v9, 0xd00, v0
	s_nop 0
	v_cndmask_b32_e64 v2, 0, v2, s[0:1]
	v_bitop3_b16 v8, v2, v8, s2 bitop3:0xec
	v_and_b32_e32 v8, 0xffff, v8
	v_and_or_b32 v8, v2, s8, v8
	v_cmp_gt_i32_e64 s[0:1], s38, v9
	v_xor_b32_e32 v9, -1, v20
	s_nop 0
	v_cndmask_b32_e64 v2, v2, v8, s[0:1]
	v_or_b32_e32 v8, 0xe00, v0
	v_perm_b32 v9, v2, v9, s9
	v_cmp_gt_i32_e64 s[0:1], s38, v8
	v_or_b32_e32 v8, 0xf00, v0
	s_nop 0
	v_cndmask_b32_e64 v2, v2, v9, s[0:1]
	s_mov_b32 s0, 0x60504
	v_perm_b32 v7, v2, v7, s0
	v_cmp_gt_i32_e64 s[0:1], s38, v8
	s_nop 1
	v_cndmask_b32_e64 v2, v2, v7, s[0:1]
	s_and_saveexec_b64 s[0:1], vcc
	s_cbranch_execnz .LBB19_53
; %bb.36:
	s_or_b64 exec, exec, s[0:1]
	v_cmp_gt_i32_e32 vcc, s38, v0
	s_and_saveexec_b64 s[0:1], vcc
	s_cbranch_execnz .LBB19_54
.LBB19_37:
	s_or_b64 exec, exec, s[0:1]
	v_cmp_gt_i32_e32 vcc, s38, v0
	s_and_saveexec_b64 s[0:1], vcc
	s_cbranch_execnz .LBB19_55
.LBB19_38:
	s_or_b64 exec, exec, s[0:1]
	v_cmp_gt_i32_e32 vcc, s38, v0
	s_and_saveexec_b64 s[0:1], vcc
	s_cbranch_execnz .LBB19_56
.LBB19_39:
	s_or_b64 exec, exec, s[0:1]
	v_cmp_gt_i32_e32 vcc, s38, v0
	s_and_saveexec_b64 s[0:1], vcc
	s_cbranch_execnz .LBB19_57
.LBB19_40:
	s_or_b64 exec, exec, s[0:1]
	v_cmp_gt_i32_e32 vcc, s38, v0
	s_and_saveexec_b64 s[0:1], vcc
	s_cbranch_execnz .LBB19_58
.LBB19_41:
	s_or_b64 exec, exec, s[0:1]
	v_cmp_gt_i32_e32 vcc, s38, v0
	s_and_saveexec_b64 s[0:1], vcc
	s_cbranch_execnz .LBB19_59
.LBB19_42:
	s_or_b64 exec, exec, s[0:1]
	v_cmp_gt_i32_e32 vcc, s38, v0
	s_and_saveexec_b64 s[0:1], vcc
	s_cbranch_execnz .LBB19_60
.LBB19_43:
	s_or_b64 exec, exec, s[0:1]
	v_cmp_gt_i32_e32 vcc, s38, v0
	s_and_saveexec_b64 s[0:1], vcc
	s_cbranch_execnz .LBB19_61
.LBB19_44:
	s_or_b64 exec, exec, s[0:1]
	v_cmp_gt_i32_e32 vcc, s38, v0
	s_and_saveexec_b64 s[0:1], vcc
	s_cbranch_execnz .LBB19_62
.LBB19_45:
	s_or_b64 exec, exec, s[0:1]
	v_cmp_gt_i32_e32 vcc, s38, v0
	s_and_saveexec_b64 s[0:1], vcc
	s_cbranch_execnz .LBB19_63
.LBB19_46:
	s_or_b64 exec, exec, s[0:1]
	v_cmp_gt_i32_e32 vcc, s38, v0
	s_and_saveexec_b64 s[0:1], vcc
	s_cbranch_execnz .LBB19_64
.LBB19_47:
	s_or_b64 exec, exec, s[0:1]
	v_cmp_gt_i32_e32 vcc, s38, v0
	s_and_saveexec_b64 s[0:1], vcc
	s_cbranch_execnz .LBB19_65
.LBB19_48:
	s_or_b64 exec, exec, s[0:1]
	v_cmp_gt_i32_e32 vcc, s38, v0
	s_and_saveexec_b64 s[0:1], vcc
	s_cbranch_execnz .LBB19_66
.LBB19_49:
	s_or_b64 exec, exec, s[0:1]
	v_cmp_gt_i32_e32 vcc, s38, v0
	s_and_saveexec_b64 s[0:1], vcc
	s_cbranch_execnz .LBB19_67
.LBB19_50:
	s_or_b64 exec, exec, s[0:1]
	v_cmp_gt_i32_e32 vcc, s38, v0
	s_and_saveexec_b64 s[0:1], vcc
	s_cbranch_execz .LBB19_52
.LBB19_51:
	v_lshrrev_b32_e32 v1, 24, v2
	v_add_u32_e32 v0, s33, v0
	global_store_byte v0, v1, s[4:5]
.LBB19_52:
	s_endpgm
.LBB19_53:
	v_mov_b32_e32 v0, v1
	global_store_byte v6, v5, s[4:5]
	s_or_b64 exec, exec, s[0:1]
	v_cmp_gt_i32_e32 vcc, s38, v0
	s_and_saveexec_b64 s[0:1], vcc
	s_cbranch_execz .LBB19_37
.LBB19_54:
	v_lshrrev_b32_e32 v1, 8, v5
	v_add_u32_e32 v6, s33, v0
	v_add_u32_e32 v0, 0x100, v0
	global_store_byte v6, v1, s[4:5]
	s_or_b64 exec, exec, s[0:1]
	v_cmp_gt_i32_e32 vcc, s38, v0
	s_and_saveexec_b64 s[0:1], vcc
	s_cbranch_execz .LBB19_38
.LBB19_55:
	v_add_u32_e32 v1, s33, v0
	v_add_u32_e32 v0, 0x100, v0
	global_store_byte_d16_hi v1, v5, s[4:5]
	s_or_b64 exec, exec, s[0:1]
	v_cmp_gt_i32_e32 vcc, s38, v0
	s_and_saveexec_b64 s[0:1], vcc
	s_cbranch_execz .LBB19_39
.LBB19_56:
	v_lshrrev_b32_e32 v1, 24, v5
	v_add_u32_e32 v5, s33, v0
	v_add_u32_e32 v0, 0x100, v0
	global_store_byte v5, v1, s[4:5]
	s_or_b64 exec, exec, s[0:1]
	v_cmp_gt_i32_e32 vcc, s38, v0
	s_and_saveexec_b64 s[0:1], vcc
	s_cbranch_execz .LBB19_40
.LBB19_57:
	v_add_u32_e32 v1, s33, v0
	v_add_u32_e32 v0, 0x100, v0
	global_store_byte v1, v4, s[4:5]
	s_or_b64 exec, exec, s[0:1]
	v_cmp_gt_i32_e32 vcc, s38, v0
	s_and_saveexec_b64 s[0:1], vcc
	s_cbranch_execz .LBB19_41
.LBB19_58:
	v_lshrrev_b32_e32 v1, 8, v4
	v_add_u32_e32 v5, s33, v0
	v_add_u32_e32 v0, 0x100, v0
	global_store_byte v5, v1, s[4:5]
	s_or_b64 exec, exec, s[0:1]
	v_cmp_gt_i32_e32 vcc, s38, v0
	s_and_saveexec_b64 s[0:1], vcc
	s_cbranch_execz .LBB19_42
.LBB19_59:
	v_add_u32_e32 v1, s33, v0
	v_add_u32_e32 v0, 0x100, v0
	global_store_byte_d16_hi v1, v4, s[4:5]
	s_or_b64 exec, exec, s[0:1]
	v_cmp_gt_i32_e32 vcc, s38, v0
	s_and_saveexec_b64 s[0:1], vcc
	s_cbranch_execz .LBB19_43
.LBB19_60:
	v_lshrrev_b32_e32 v1, 24, v4
	v_add_u32_e32 v4, s33, v0
	v_add_u32_e32 v0, 0x100, v0
	global_store_byte v4, v1, s[4:5]
	s_or_b64 exec, exec, s[0:1]
	v_cmp_gt_i32_e32 vcc, s38, v0
	s_and_saveexec_b64 s[0:1], vcc
	s_cbranch_execz .LBB19_44
.LBB19_61:
	v_add_u32_e32 v1, s33, v0
	v_add_u32_e32 v0, 0x100, v0
	global_store_byte v1, v3, s[4:5]
	s_or_b64 exec, exec, s[0:1]
	v_cmp_gt_i32_e32 vcc, s38, v0
	s_and_saveexec_b64 s[0:1], vcc
	s_cbranch_execz .LBB19_45
.LBB19_62:
	v_lshrrev_b32_e32 v1, 8, v3
	v_add_u32_e32 v4, s33, v0
	v_add_u32_e32 v0, 0x100, v0
	global_store_byte v4, v1, s[4:5]
	s_or_b64 exec, exec, s[0:1]
	v_cmp_gt_i32_e32 vcc, s38, v0
	s_and_saveexec_b64 s[0:1], vcc
	s_cbranch_execz .LBB19_46
.LBB19_63:
	v_add_u32_e32 v1, s33, v0
	v_add_u32_e32 v0, 0x100, v0
	global_store_byte_d16_hi v1, v3, s[4:5]
	s_or_b64 exec, exec, s[0:1]
	v_cmp_gt_i32_e32 vcc, s38, v0
	s_and_saveexec_b64 s[0:1], vcc
	s_cbranch_execz .LBB19_47
.LBB19_64:
	v_lshrrev_b32_e32 v1, 24, v3
	v_add_u32_e32 v3, s33, v0
	v_add_u32_e32 v0, 0x100, v0
	global_store_byte v3, v1, s[4:5]
	s_or_b64 exec, exec, s[0:1]
	v_cmp_gt_i32_e32 vcc, s38, v0
	s_and_saveexec_b64 s[0:1], vcc
	s_cbranch_execz .LBB19_48
.LBB19_65:
	v_add_u32_e32 v1, s33, v0
	v_add_u32_e32 v0, 0x100, v0
	global_store_byte v1, v2, s[4:5]
	s_or_b64 exec, exec, s[0:1]
	v_cmp_gt_i32_e32 vcc, s38, v0
	s_and_saveexec_b64 s[0:1], vcc
	s_cbranch_execz .LBB19_49
.LBB19_66:
	v_lshrrev_b32_e32 v1, 8, v2
	v_add_u32_e32 v3, s33, v0
	v_add_u32_e32 v0, 0x100, v0
	global_store_byte v3, v1, s[4:5]
	s_or_b64 exec, exec, s[0:1]
	v_cmp_gt_i32_e32 vcc, s38, v0
	s_and_saveexec_b64 s[0:1], vcc
	s_cbranch_execz .LBB19_50
.LBB19_67:
	v_add_u32_e32 v1, s33, v0
	v_add_u32_e32 v0, 0x100, v0
	global_store_byte_d16_hi v1, v2, s[4:5]
	s_or_b64 exec, exec, s[0:1]
	v_cmp_gt_i32_e32 vcc, s38, v0
	s_and_saveexec_b64 s[0:1], vcc
	s_cbranch_execnz .LBB19_51
	s_branch .LBB19_52
	.section	.rodata,"a",@progbits
	.p2align	6, 0x0
	.amdhsa_kernel _ZN2at6native29vectorized_elementwise_kernelILi2EZZZNS0_23bitwise_not_kernel_cudaERNS_18TensorIteratorBaseEENKUlvE_clEvENKUlvE0_clEvEUlaE_St5arrayIPcLm2EEEEviT0_T1_
		.amdhsa_group_segment_fixed_size 0
		.amdhsa_private_segment_fixed_size 0
		.amdhsa_kernarg_size 24
		.amdhsa_user_sgpr_count 2
		.amdhsa_user_sgpr_dispatch_ptr 0
		.amdhsa_user_sgpr_queue_ptr 0
		.amdhsa_user_sgpr_kernarg_segment_ptr 1
		.amdhsa_user_sgpr_dispatch_id 0
		.amdhsa_user_sgpr_kernarg_preload_length 0
		.amdhsa_user_sgpr_kernarg_preload_offset 0
		.amdhsa_user_sgpr_private_segment_size 0
		.amdhsa_uses_dynamic_stack 0
		.amdhsa_enable_private_segment 0
		.amdhsa_system_sgpr_workgroup_id_x 1
		.amdhsa_system_sgpr_workgroup_id_y 0
		.amdhsa_system_sgpr_workgroup_id_z 0
		.amdhsa_system_sgpr_workgroup_info 0
		.amdhsa_system_vgpr_workitem_id 0
		.amdhsa_next_free_vgpr 21
		.amdhsa_next_free_sgpr 39
		.amdhsa_accum_offset 24
		.amdhsa_reserve_vcc 1
		.amdhsa_float_round_mode_32 0
		.amdhsa_float_round_mode_16_64 0
		.amdhsa_float_denorm_mode_32 3
		.amdhsa_float_denorm_mode_16_64 3
		.amdhsa_dx10_clamp 1
		.amdhsa_ieee_mode 1
		.amdhsa_fp16_overflow 0
		.amdhsa_tg_split 0
		.amdhsa_exception_fp_ieee_invalid_op 0
		.amdhsa_exception_fp_denorm_src 0
		.amdhsa_exception_fp_ieee_div_zero 0
		.amdhsa_exception_fp_ieee_overflow 0
		.amdhsa_exception_fp_ieee_underflow 0
		.amdhsa_exception_fp_ieee_inexact 0
		.amdhsa_exception_int_div_zero 0
	.end_amdhsa_kernel
	.section	.text._ZN2at6native29vectorized_elementwise_kernelILi2EZZZNS0_23bitwise_not_kernel_cudaERNS_18TensorIteratorBaseEENKUlvE_clEvENKUlvE0_clEvEUlaE_St5arrayIPcLm2EEEEviT0_T1_,"axG",@progbits,_ZN2at6native29vectorized_elementwise_kernelILi2EZZZNS0_23bitwise_not_kernel_cudaERNS_18TensorIteratorBaseEENKUlvE_clEvENKUlvE0_clEvEUlaE_St5arrayIPcLm2EEEEviT0_T1_,comdat
.Lfunc_end19:
	.size	_ZN2at6native29vectorized_elementwise_kernelILi2EZZZNS0_23bitwise_not_kernel_cudaERNS_18TensorIteratorBaseEENKUlvE_clEvENKUlvE0_clEvEUlaE_St5arrayIPcLm2EEEEviT0_T1_, .Lfunc_end19-_ZN2at6native29vectorized_elementwise_kernelILi2EZZZNS0_23bitwise_not_kernel_cudaERNS_18TensorIteratorBaseEENKUlvE_clEvENKUlvE0_clEvEUlaE_St5arrayIPcLm2EEEEviT0_T1_
                                        ; -- End function
	.set _ZN2at6native29vectorized_elementwise_kernelILi2EZZZNS0_23bitwise_not_kernel_cudaERNS_18TensorIteratorBaseEENKUlvE_clEvENKUlvE0_clEvEUlaE_St5arrayIPcLm2EEEEviT0_T1_.num_vgpr, 21
	.set _ZN2at6native29vectorized_elementwise_kernelILi2EZZZNS0_23bitwise_not_kernel_cudaERNS_18TensorIteratorBaseEENKUlvE_clEvENKUlvE0_clEvEUlaE_St5arrayIPcLm2EEEEviT0_T1_.num_agpr, 0
	.set _ZN2at6native29vectorized_elementwise_kernelILi2EZZZNS0_23bitwise_not_kernel_cudaERNS_18TensorIteratorBaseEENKUlvE_clEvENKUlvE0_clEvEUlaE_St5arrayIPcLm2EEEEviT0_T1_.numbered_sgpr, 39
	.set _ZN2at6native29vectorized_elementwise_kernelILi2EZZZNS0_23bitwise_not_kernel_cudaERNS_18TensorIteratorBaseEENKUlvE_clEvENKUlvE0_clEvEUlaE_St5arrayIPcLm2EEEEviT0_T1_.num_named_barrier, 0
	.set _ZN2at6native29vectorized_elementwise_kernelILi2EZZZNS0_23bitwise_not_kernel_cudaERNS_18TensorIteratorBaseEENKUlvE_clEvENKUlvE0_clEvEUlaE_St5arrayIPcLm2EEEEviT0_T1_.private_seg_size, 0
	.set _ZN2at6native29vectorized_elementwise_kernelILi2EZZZNS0_23bitwise_not_kernel_cudaERNS_18TensorIteratorBaseEENKUlvE_clEvENKUlvE0_clEvEUlaE_St5arrayIPcLm2EEEEviT0_T1_.uses_vcc, 1
	.set _ZN2at6native29vectorized_elementwise_kernelILi2EZZZNS0_23bitwise_not_kernel_cudaERNS_18TensorIteratorBaseEENKUlvE_clEvENKUlvE0_clEvEUlaE_St5arrayIPcLm2EEEEviT0_T1_.uses_flat_scratch, 0
	.set _ZN2at6native29vectorized_elementwise_kernelILi2EZZZNS0_23bitwise_not_kernel_cudaERNS_18TensorIteratorBaseEENKUlvE_clEvENKUlvE0_clEvEUlaE_St5arrayIPcLm2EEEEviT0_T1_.has_dyn_sized_stack, 0
	.set _ZN2at6native29vectorized_elementwise_kernelILi2EZZZNS0_23bitwise_not_kernel_cudaERNS_18TensorIteratorBaseEENKUlvE_clEvENKUlvE0_clEvEUlaE_St5arrayIPcLm2EEEEviT0_T1_.has_recursion, 0
	.set _ZN2at6native29vectorized_elementwise_kernelILi2EZZZNS0_23bitwise_not_kernel_cudaERNS_18TensorIteratorBaseEENKUlvE_clEvENKUlvE0_clEvEUlaE_St5arrayIPcLm2EEEEviT0_T1_.has_indirect_call, 0
	.section	.AMDGPU.csdata,"",@progbits
; Kernel info:
; codeLenInByte = 3168
; TotalNumSgprs: 45
; NumVgprs: 21
; NumAgprs: 0
; TotalNumVgprs: 21
; ScratchSize: 0
; MemoryBound: 0
; FloatMode: 240
; IeeeMode: 1
; LDSByteSize: 0 bytes/workgroup (compile time only)
; SGPRBlocks: 5
; VGPRBlocks: 2
; NumSGPRsForWavesPerEU: 45
; NumVGPRsForWavesPerEU: 21
; AccumOffset: 24
; Occupancy: 8
; WaveLimiterHint : 1
; COMPUTE_PGM_RSRC2:SCRATCH_EN: 0
; COMPUTE_PGM_RSRC2:USER_SGPR: 2
; COMPUTE_PGM_RSRC2:TRAP_HANDLER: 0
; COMPUTE_PGM_RSRC2:TGID_X_EN: 1
; COMPUTE_PGM_RSRC2:TGID_Y_EN: 0
; COMPUTE_PGM_RSRC2:TGID_Z_EN: 0
; COMPUTE_PGM_RSRC2:TIDIG_COMP_CNT: 0
; COMPUTE_PGM_RSRC3_GFX90A:ACCUM_OFFSET: 5
; COMPUTE_PGM_RSRC3_GFX90A:TG_SPLIT: 0
	.section	.text._ZN2at6native27unrolled_elementwise_kernelIZZZNS0_23bitwise_not_kernel_cudaERNS_18TensorIteratorBaseEENKUlvE_clEvENKUlvE0_clEvEUlaE_St5arrayIPcLm2EELi4E23TrivialOffsetCalculatorILi1EjESB_NS0_6memory15LoadWithoutCastENSC_16StoreWithoutCastEEEviT_T0_T2_T3_T4_T5_,"axG",@progbits,_ZN2at6native27unrolled_elementwise_kernelIZZZNS0_23bitwise_not_kernel_cudaERNS_18TensorIteratorBaseEENKUlvE_clEvENKUlvE0_clEvEUlaE_St5arrayIPcLm2EELi4E23TrivialOffsetCalculatorILi1EjESB_NS0_6memory15LoadWithoutCastENSC_16StoreWithoutCastEEEviT_T0_T2_T3_T4_T5_,comdat
	.globl	_ZN2at6native27unrolled_elementwise_kernelIZZZNS0_23bitwise_not_kernel_cudaERNS_18TensorIteratorBaseEENKUlvE_clEvENKUlvE0_clEvEUlaE_St5arrayIPcLm2EELi4E23TrivialOffsetCalculatorILi1EjESB_NS0_6memory15LoadWithoutCastENSC_16StoreWithoutCastEEEviT_T0_T2_T3_T4_T5_ ; -- Begin function _ZN2at6native27unrolled_elementwise_kernelIZZZNS0_23bitwise_not_kernel_cudaERNS_18TensorIteratorBaseEENKUlvE_clEvENKUlvE0_clEvEUlaE_St5arrayIPcLm2EELi4E23TrivialOffsetCalculatorILi1EjESB_NS0_6memory15LoadWithoutCastENSC_16StoreWithoutCastEEEviT_T0_T2_T3_T4_T5_
	.p2align	8
	.type	_ZN2at6native27unrolled_elementwise_kernelIZZZNS0_23bitwise_not_kernel_cudaERNS_18TensorIteratorBaseEENKUlvE_clEvENKUlvE0_clEvEUlaE_St5arrayIPcLm2EELi4E23TrivialOffsetCalculatorILi1EjESB_NS0_6memory15LoadWithoutCastENSC_16StoreWithoutCastEEEviT_T0_T2_T3_T4_T5_,@function
_ZN2at6native27unrolled_elementwise_kernelIZZZNS0_23bitwise_not_kernel_cudaERNS_18TensorIteratorBaseEENKUlvE_clEvENKUlvE0_clEvEUlaE_St5arrayIPcLm2EELi4E23TrivialOffsetCalculatorILi1EjESB_NS0_6memory15LoadWithoutCastENSC_16StoreWithoutCastEEEviT_T0_T2_T3_T4_T5_: ; @_ZN2at6native27unrolled_elementwise_kernelIZZZNS0_23bitwise_not_kernel_cudaERNS_18TensorIteratorBaseEENKUlvE_clEvENKUlvE0_clEvEUlaE_St5arrayIPcLm2EELi4E23TrivialOffsetCalculatorILi1EjESB_NS0_6memory15LoadWithoutCastENSC_16StoreWithoutCastEEEviT_T0_T2_T3_T4_T5_
; %bb.0:
	s_load_dword s3, s[0:1], 0x0
	s_load_dwordx4 s[4:7], s[0:1], 0x8
	s_lshl_b32 s14, s2, 10
	v_or_b32_e32 v1, 0x100, v0
	v_mov_b32_e32 v4, 0
	s_waitcnt lgkmcnt(0)
	s_sub_i32 s15, s3, s14
	v_cmp_gt_i32_e32 vcc, s15, v0
	v_mov_b32_e32 v3, 0xff
	v_or_b32_e32 v2, s14, v0
	v_mov_b32_e32 v5, 0
	v_mov_b32_e32 v6, 0
	s_and_saveexec_b64 s[2:3], vcc
	s_cbranch_execz .LBB20_8
; %bb.1:
	global_load_ubyte v6, v2, s[6:7]
	v_cmp_gt_u32_e64 s[0:1], s15, v1
	v_mov_b32_e32 v3, 0xff
	v_mov_b32_e32 v5, 0
	;; [unrolled: 1-line block ×3, first 2 shown]
	s_and_saveexec_b64 s[8:9], s[0:1]
	s_cbranch_execz .LBB20_7
; %bb.2:
	v_add_u32_e32 v3, s14, v1
	global_load_ubyte v5, v3, s[6:7]
	v_or_b32_e32 v7, 0x200, v0
	v_cmp_gt_u32_e64 s[0:1], s15, v7
	v_mov_b32_e32 v3, 0xff
	v_mov_b32_e32 v4, 0
	s_and_saveexec_b64 s[10:11], s[0:1]
	s_cbranch_execz .LBB20_6
; %bb.3:
	v_add_u32_e32 v3, s14, v7
	global_load_ubyte v4, v3, s[6:7]
	v_or_b32_e32 v7, 0x300, v0
	v_cmp_gt_u32_e64 s[0:1], s15, v7
	v_mov_b32_e32 v3, 0xff
	s_and_saveexec_b64 s[12:13], s[0:1]
	s_cbranch_execz .LBB20_5
; %bb.4:
	v_add_u32_e32 v3, s14, v7
	global_load_ubyte v3, v3, s[6:7]
	s_waitcnt vmcnt(0)
	v_xor_b32_e32 v3, -1, v3
.LBB20_5:
	s_or_b64 exec, exec, s[12:13]
.LBB20_6:
	s_or_b64 exec, exec, s[10:11]
.LBB20_7:
	s_or_b64 exec, exec, s[8:9]
.LBB20_8:
	s_or_b64 exec, exec, s[2:3]
	s_movk_i32 s0, 0xff
	s_waitcnt vmcnt(0)
	v_bitop3_b16 v6, v6, s0, v6 bitop3:0xc
	v_and_b32_e32 v6, 0xffff, v6
	v_mov_b32_e32 v7, -1
	v_cndmask_b32_e32 v6, 0, v6, vcc
	v_xor_b32_sdwa v5, v5, v7 dst_sel:BYTE_1 dst_unused:UNUSED_PAD src0_sel:DWORD src1_sel:DWORD
	v_cmp_gt_i32_e64 s[0:1], s15, v1
	v_or_b32_e32 v5, v6, v5
	v_and_b32_e32 v5, 0xffff, v5
	v_cndmask_b32_e64 v5, v6, v5, s[0:1]
	v_xor_b32_e32 v4, -1, v4
	s_mov_b32 s0, 0xc0c0304
	v_or_b32_e32 v6, 0x200, v0
	v_perm_b32 v4, v4, v5, s0
	v_lshl_or_b32 v4, v4, 16, v5
	v_cmp_gt_i32_e64 s[0:1], s15, v6
	s_mov_b32 s2, 0xffff
	s_nop 0
	v_cndmask_b32_e64 v4, v5, v4, s[0:1]
	s_mov_b32 s0, 0xc0c0006
	v_perm_b32 v3, v4, v3, s0
	v_or_b32_e32 v5, 0x300, v0
	v_lshlrev_b32_e32 v3, 16, v3
	v_and_or_b32 v3, v4, s2, v3
	v_cmp_gt_i32_e64 s[0:1], s15, v5
	s_nop 1
	v_cndmask_b32_e64 v3, v4, v3, s[0:1]
	s_and_saveexec_b64 s[0:1], vcc
	s_cbranch_execnz .LBB20_13
; %bb.9:
	s_or_b64 exec, exec, s[0:1]
	v_cmp_gt_i32_e32 vcc, s15, v0
	s_and_saveexec_b64 s[0:1], vcc
	s_cbranch_execnz .LBB20_14
.LBB20_10:
	s_or_b64 exec, exec, s[0:1]
	v_cmp_gt_i32_e32 vcc, s15, v0
	s_and_saveexec_b64 s[0:1], vcc
	s_cbranch_execnz .LBB20_15
.LBB20_11:
	s_or_b64 exec, exec, s[0:1]
	v_cmp_gt_i32_e32 vcc, s15, v0
	s_and_saveexec_b64 s[0:1], vcc
	s_cbranch_execnz .LBB20_16
.LBB20_12:
	s_endpgm
.LBB20_13:
	v_mov_b32_e32 v0, v1
	global_store_byte v2, v3, s[4:5]
	s_or_b64 exec, exec, s[0:1]
	v_cmp_gt_i32_e32 vcc, s15, v0
	s_and_saveexec_b64 s[0:1], vcc
	s_cbranch_execz .LBB20_10
.LBB20_14:
	v_add_u32_e32 v1, 0x100, v0
	v_add_u32_e32 v0, s14, v0
	v_lshrrev_b32_e32 v2, 8, v3
	global_store_byte v0, v2, s[4:5]
	v_mov_b32_e32 v0, v1
	s_or_b64 exec, exec, s[0:1]
	v_cmp_gt_i32_e32 vcc, s15, v0
	s_and_saveexec_b64 s[0:1], vcc
	s_cbranch_execz .LBB20_11
.LBB20_15:
	v_add_u32_e32 v1, 0x100, v0
	v_add_u32_e32 v0, s14, v0
	global_store_byte_d16_hi v0, v3, s[4:5]
	v_mov_b32_e32 v0, v1
	s_or_b64 exec, exec, s[0:1]
	v_cmp_gt_i32_e32 vcc, s15, v0
	s_and_saveexec_b64 s[0:1], vcc
	s_cbranch_execz .LBB20_12
.LBB20_16:
	v_add_u32_e32 v0, s14, v0
	v_lshrrev_b32_e32 v1, 24, v3
	global_store_byte v0, v1, s[4:5]
	s_endpgm
	.section	.rodata,"a",@progbits
	.p2align	6, 0x0
	.amdhsa_kernel _ZN2at6native27unrolled_elementwise_kernelIZZZNS0_23bitwise_not_kernel_cudaERNS_18TensorIteratorBaseEENKUlvE_clEvENKUlvE0_clEvEUlaE_St5arrayIPcLm2EELi4E23TrivialOffsetCalculatorILi1EjESB_NS0_6memory15LoadWithoutCastENSC_16StoreWithoutCastEEEviT_T0_T2_T3_T4_T5_
		.amdhsa_group_segment_fixed_size 0
		.amdhsa_private_segment_fixed_size 0
		.amdhsa_kernarg_size 28
		.amdhsa_user_sgpr_count 2
		.amdhsa_user_sgpr_dispatch_ptr 0
		.amdhsa_user_sgpr_queue_ptr 0
		.amdhsa_user_sgpr_kernarg_segment_ptr 1
		.amdhsa_user_sgpr_dispatch_id 0
		.amdhsa_user_sgpr_kernarg_preload_length 0
		.amdhsa_user_sgpr_kernarg_preload_offset 0
		.amdhsa_user_sgpr_private_segment_size 0
		.amdhsa_uses_dynamic_stack 0
		.amdhsa_enable_private_segment 0
		.amdhsa_system_sgpr_workgroup_id_x 1
		.amdhsa_system_sgpr_workgroup_id_y 0
		.amdhsa_system_sgpr_workgroup_id_z 0
		.amdhsa_system_sgpr_workgroup_info 0
		.amdhsa_system_vgpr_workitem_id 0
		.amdhsa_next_free_vgpr 8
		.amdhsa_next_free_sgpr 16
		.amdhsa_accum_offset 8
		.amdhsa_reserve_vcc 1
		.amdhsa_float_round_mode_32 0
		.amdhsa_float_round_mode_16_64 0
		.amdhsa_float_denorm_mode_32 3
		.amdhsa_float_denorm_mode_16_64 3
		.amdhsa_dx10_clamp 1
		.amdhsa_ieee_mode 1
		.amdhsa_fp16_overflow 0
		.amdhsa_tg_split 0
		.amdhsa_exception_fp_ieee_invalid_op 0
		.amdhsa_exception_fp_denorm_src 0
		.amdhsa_exception_fp_ieee_div_zero 0
		.amdhsa_exception_fp_ieee_overflow 0
		.amdhsa_exception_fp_ieee_underflow 0
		.amdhsa_exception_fp_ieee_inexact 0
		.amdhsa_exception_int_div_zero 0
	.end_amdhsa_kernel
	.section	.text._ZN2at6native27unrolled_elementwise_kernelIZZZNS0_23bitwise_not_kernel_cudaERNS_18TensorIteratorBaseEENKUlvE_clEvENKUlvE0_clEvEUlaE_St5arrayIPcLm2EELi4E23TrivialOffsetCalculatorILi1EjESB_NS0_6memory15LoadWithoutCastENSC_16StoreWithoutCastEEEviT_T0_T2_T3_T4_T5_,"axG",@progbits,_ZN2at6native27unrolled_elementwise_kernelIZZZNS0_23bitwise_not_kernel_cudaERNS_18TensorIteratorBaseEENKUlvE_clEvENKUlvE0_clEvEUlaE_St5arrayIPcLm2EELi4E23TrivialOffsetCalculatorILi1EjESB_NS0_6memory15LoadWithoutCastENSC_16StoreWithoutCastEEEviT_T0_T2_T3_T4_T5_,comdat
.Lfunc_end20:
	.size	_ZN2at6native27unrolled_elementwise_kernelIZZZNS0_23bitwise_not_kernel_cudaERNS_18TensorIteratorBaseEENKUlvE_clEvENKUlvE0_clEvEUlaE_St5arrayIPcLm2EELi4E23TrivialOffsetCalculatorILi1EjESB_NS0_6memory15LoadWithoutCastENSC_16StoreWithoutCastEEEviT_T0_T2_T3_T4_T5_, .Lfunc_end20-_ZN2at6native27unrolled_elementwise_kernelIZZZNS0_23bitwise_not_kernel_cudaERNS_18TensorIteratorBaseEENKUlvE_clEvENKUlvE0_clEvEUlaE_St5arrayIPcLm2EELi4E23TrivialOffsetCalculatorILi1EjESB_NS0_6memory15LoadWithoutCastENSC_16StoreWithoutCastEEEviT_T0_T2_T3_T4_T5_
                                        ; -- End function
	.set _ZN2at6native27unrolled_elementwise_kernelIZZZNS0_23bitwise_not_kernel_cudaERNS_18TensorIteratorBaseEENKUlvE_clEvENKUlvE0_clEvEUlaE_St5arrayIPcLm2EELi4E23TrivialOffsetCalculatorILi1EjESB_NS0_6memory15LoadWithoutCastENSC_16StoreWithoutCastEEEviT_T0_T2_T3_T4_T5_.num_vgpr, 8
	.set _ZN2at6native27unrolled_elementwise_kernelIZZZNS0_23bitwise_not_kernel_cudaERNS_18TensorIteratorBaseEENKUlvE_clEvENKUlvE0_clEvEUlaE_St5arrayIPcLm2EELi4E23TrivialOffsetCalculatorILi1EjESB_NS0_6memory15LoadWithoutCastENSC_16StoreWithoutCastEEEviT_T0_T2_T3_T4_T5_.num_agpr, 0
	.set _ZN2at6native27unrolled_elementwise_kernelIZZZNS0_23bitwise_not_kernel_cudaERNS_18TensorIteratorBaseEENKUlvE_clEvENKUlvE0_clEvEUlaE_St5arrayIPcLm2EELi4E23TrivialOffsetCalculatorILi1EjESB_NS0_6memory15LoadWithoutCastENSC_16StoreWithoutCastEEEviT_T0_T2_T3_T4_T5_.numbered_sgpr, 16
	.set _ZN2at6native27unrolled_elementwise_kernelIZZZNS0_23bitwise_not_kernel_cudaERNS_18TensorIteratorBaseEENKUlvE_clEvENKUlvE0_clEvEUlaE_St5arrayIPcLm2EELi4E23TrivialOffsetCalculatorILi1EjESB_NS0_6memory15LoadWithoutCastENSC_16StoreWithoutCastEEEviT_T0_T2_T3_T4_T5_.num_named_barrier, 0
	.set _ZN2at6native27unrolled_elementwise_kernelIZZZNS0_23bitwise_not_kernel_cudaERNS_18TensorIteratorBaseEENKUlvE_clEvENKUlvE0_clEvEUlaE_St5arrayIPcLm2EELi4E23TrivialOffsetCalculatorILi1EjESB_NS0_6memory15LoadWithoutCastENSC_16StoreWithoutCastEEEviT_T0_T2_T3_T4_T5_.private_seg_size, 0
	.set _ZN2at6native27unrolled_elementwise_kernelIZZZNS0_23bitwise_not_kernel_cudaERNS_18TensorIteratorBaseEENKUlvE_clEvENKUlvE0_clEvEUlaE_St5arrayIPcLm2EELi4E23TrivialOffsetCalculatorILi1EjESB_NS0_6memory15LoadWithoutCastENSC_16StoreWithoutCastEEEviT_T0_T2_T3_T4_T5_.uses_vcc, 1
	.set _ZN2at6native27unrolled_elementwise_kernelIZZZNS0_23bitwise_not_kernel_cudaERNS_18TensorIteratorBaseEENKUlvE_clEvENKUlvE0_clEvEUlaE_St5arrayIPcLm2EELi4E23TrivialOffsetCalculatorILi1EjESB_NS0_6memory15LoadWithoutCastENSC_16StoreWithoutCastEEEviT_T0_T2_T3_T4_T5_.uses_flat_scratch, 0
	.set _ZN2at6native27unrolled_elementwise_kernelIZZZNS0_23bitwise_not_kernel_cudaERNS_18TensorIteratorBaseEENKUlvE_clEvENKUlvE0_clEvEUlaE_St5arrayIPcLm2EELi4E23TrivialOffsetCalculatorILi1EjESB_NS0_6memory15LoadWithoutCastENSC_16StoreWithoutCastEEEviT_T0_T2_T3_T4_T5_.has_dyn_sized_stack, 0
	.set _ZN2at6native27unrolled_elementwise_kernelIZZZNS0_23bitwise_not_kernel_cudaERNS_18TensorIteratorBaseEENKUlvE_clEvENKUlvE0_clEvEUlaE_St5arrayIPcLm2EELi4E23TrivialOffsetCalculatorILi1EjESB_NS0_6memory15LoadWithoutCastENSC_16StoreWithoutCastEEEviT_T0_T2_T3_T4_T5_.has_recursion, 0
	.set _ZN2at6native27unrolled_elementwise_kernelIZZZNS0_23bitwise_not_kernel_cudaERNS_18TensorIteratorBaseEENKUlvE_clEvENKUlvE0_clEvEUlaE_St5arrayIPcLm2EELi4E23TrivialOffsetCalculatorILi1EjESB_NS0_6memory15LoadWithoutCastENSC_16StoreWithoutCastEEEviT_T0_T2_T3_T4_T5_.has_indirect_call, 0
	.section	.AMDGPU.csdata,"",@progbits
; Kernel info:
; codeLenInByte = 620
; TotalNumSgprs: 22
; NumVgprs: 8
; NumAgprs: 0
; TotalNumVgprs: 8
; ScratchSize: 0
; MemoryBound: 0
; FloatMode: 240
; IeeeMode: 1
; LDSByteSize: 0 bytes/workgroup (compile time only)
; SGPRBlocks: 2
; VGPRBlocks: 0
; NumSGPRsForWavesPerEU: 22
; NumVGPRsForWavesPerEU: 8
; AccumOffset: 8
; Occupancy: 8
; WaveLimiterHint : 0
; COMPUTE_PGM_RSRC2:SCRATCH_EN: 0
; COMPUTE_PGM_RSRC2:USER_SGPR: 2
; COMPUTE_PGM_RSRC2:TRAP_HANDLER: 0
; COMPUTE_PGM_RSRC2:TGID_X_EN: 1
; COMPUTE_PGM_RSRC2:TGID_Y_EN: 0
; COMPUTE_PGM_RSRC2:TGID_Z_EN: 0
; COMPUTE_PGM_RSRC2:TIDIG_COMP_CNT: 0
; COMPUTE_PGM_RSRC3_GFX90A:ACCUM_OFFSET: 1
; COMPUTE_PGM_RSRC3_GFX90A:TG_SPLIT: 0
	.section	.text._ZN2at6native32elementwise_kernel_manual_unrollILi128ELi8EZNS0_22gpu_kernel_impl_nocastIZZZNS0_23bitwise_not_kernel_cudaERNS_18TensorIteratorBaseEENKUlvE_clEvENKUlvE0_clEvEUlaE_EEvS4_RKT_EUlibE_EEviT1_,"axG",@progbits,_ZN2at6native32elementwise_kernel_manual_unrollILi128ELi8EZNS0_22gpu_kernel_impl_nocastIZZZNS0_23bitwise_not_kernel_cudaERNS_18TensorIteratorBaseEENKUlvE_clEvENKUlvE0_clEvEUlaE_EEvS4_RKT_EUlibE_EEviT1_,comdat
	.globl	_ZN2at6native32elementwise_kernel_manual_unrollILi128ELi8EZNS0_22gpu_kernel_impl_nocastIZZZNS0_23bitwise_not_kernel_cudaERNS_18TensorIteratorBaseEENKUlvE_clEvENKUlvE0_clEvEUlaE_EEvS4_RKT_EUlibE_EEviT1_ ; -- Begin function _ZN2at6native32elementwise_kernel_manual_unrollILi128ELi8EZNS0_22gpu_kernel_impl_nocastIZZZNS0_23bitwise_not_kernel_cudaERNS_18TensorIteratorBaseEENKUlvE_clEvENKUlvE0_clEvEUlaE_EEvS4_RKT_EUlibE_EEviT1_
	.p2align	8
	.type	_ZN2at6native32elementwise_kernel_manual_unrollILi128ELi8EZNS0_22gpu_kernel_impl_nocastIZZZNS0_23bitwise_not_kernel_cudaERNS_18TensorIteratorBaseEENKUlvE_clEvENKUlvE0_clEvEUlaE_EEvS4_RKT_EUlibE_EEviT1_,@function
_ZN2at6native32elementwise_kernel_manual_unrollILi128ELi8EZNS0_22gpu_kernel_impl_nocastIZZZNS0_23bitwise_not_kernel_cudaERNS_18TensorIteratorBaseEENKUlvE_clEvENKUlvE0_clEvEUlaE_EEvS4_RKT_EUlibE_EEviT1_: ; @_ZN2at6native32elementwise_kernel_manual_unrollILi128ELi8EZNS0_22gpu_kernel_impl_nocastIZZZNS0_23bitwise_not_kernel_cudaERNS_18TensorIteratorBaseEENKUlvE_clEvENKUlvE0_clEvEUlaE_EEvS4_RKT_EUlibE_EEviT1_
; %bb.0:
	s_load_dword s55, s[0:1], 0x0
	s_load_dword s33, s[0:1], 0x8
	s_add_u32 s34, s0, 8
	s_addc_u32 s35, s1, 0
	v_lshl_or_b32 v24, s2, 10, v0
	v_or_b32_e32 v32, 0x380, v24
	s_waitcnt lgkmcnt(0)
	s_add_i32 s54, s33, -1
	s_cmp_gt_u32 s54, 1
	v_cmp_le_i32_e32 vcc, s55, v32
	s_cselect_b64 s[36:37], -1, 0
	s_and_saveexec_b64 s[0:1], vcc
	s_xor_b64 s[38:39], exec, s[0:1]
	s_cbranch_execz .LBB21_8
; %bb.1:
	s_load_dwordx4 s[24:27], s[34:35], 0x4
	s_load_dwordx2 s[40:41], s[34:35], 0x14
	s_load_dwordx4 s[20:23], s[34:35], 0xc4
	s_load_dwordx4 s[16:19], s[34:35], 0x148
	s_cmp_lg_u32 s33, 0
	s_cselect_b64 s[46:47], -1, 0
	s_add_u32 s44, s34, 0xc4
	s_addc_u32 s45, s35, 0
	s_min_u32 s56, s54, 15
	s_cmp_gt_u32 s33, 1
	s_cselect_b64 s[42:43], -1, 0
	v_cmp_gt_i32_e32 vcc, s55, v24
	s_and_saveexec_b64 s[48:49], vcc
	s_cbranch_execz .LBB21_15
; %bb.2:
	s_andn2_b64 vcc, exec, s[36:37]
	s_cbranch_vccnz .LBB21_23
; %bb.3:
	s_andn2_b64 vcc, exec, s[46:47]
	s_cbranch_vccnz .LBB21_131
; %bb.4:
	s_add_i32 s58, s56, 1
	s_cmp_eq_u32 s54, 2
	s_cbranch_scc1 .LBB21_133
; %bb.5:
	s_and_b32 s57, s58, 28
	s_mov_b32 s59, 0
	v_mov_b32_e32 v0, 0
	v_mov_b32_e32 v2, 0
	s_mov_b64 s[50:51], s[34:35]
	s_mov_b64 s[52:53], s[44:45]
	v_mov_b32_e32 v4, v24
.LBB21_6:                               ; =>This Inner Loop Header: Depth=1
	s_load_dwordx8 s[8:15], s[50:51], 0x4
	s_load_dwordx4 s[28:31], s[50:51], 0x24
	s_load_dwordx8 s[0:7], s[52:53], 0x0
	s_add_u32 s50, s50, 48
	s_addc_u32 s51, s51, 0
	s_waitcnt lgkmcnt(0)
	v_mul_hi_u32 v1, s9, v4
	v_add_u32_e32 v1, v4, v1
	v_lshrrev_b32_e32 v1, s10, v1
	v_mul_lo_u32 v3, v1, s8
	v_mul_hi_u32 v5, s12, v1
	v_sub_u32_e32 v3, v4, v3
	v_add_u32_e32 v4, v1, v5
	v_lshrrev_b32_e32 v4, s13, v4
	v_mul_lo_u32 v6, v4, s11
	v_mul_hi_u32 v7, s15, v4
	v_sub_u32_e32 v1, v1, v6
	v_add_u32_e32 v6, v4, v7
	v_mul_lo_u32 v5, v3, s1
	v_mul_lo_u32 v3, v3, s0
	v_mul_lo_u32 v7, v1, s3
	v_mul_lo_u32 v1, v1, s2
	v_lshrrev_b32_e32 v6, s28, v6
	v_add3_u32 v0, v3, v0, v1
	v_mul_hi_u32 v3, s30, v6
	v_add3_u32 v1, v5, v2, v7
	v_mul_lo_u32 v2, v6, s14
	v_add_u32_e32 v3, v6, v3
	v_sub_u32_e32 v2, v4, v2
	v_lshrrev_b32_e32 v4, s31, v3
	s_add_i32 s59, s59, 4
	v_mul_lo_u32 v3, v4, s29
	s_add_u32 s52, s52, 32
	v_sub_u32_e32 v3, v6, v3
	s_addc_u32 s53, s53, 0
	v_mul_lo_u32 v5, v2, s4
	v_mul_lo_u32 v2, v2, s5
	;; [unrolled: 1-line block ×4, first 2 shown]
	s_cmp_lg_u32 s57, s59
	v_add3_u32 v2, v2, v1, v3
	v_add3_u32 v0, v5, v0, v6
	s_cbranch_scc1 .LBB21_6
; %bb.7:
	v_mov_b32_e32 v1, v2
	s_branch .LBB21_134
.LBB21_8:
	s_andn2_saveexec_b64 s[0:1], s[38:39]
	s_cbranch_execz .LBB21_228
.LBB21_9:
	v_cndmask_b32_e64 v0, 0, 1, s[36:37]
	v_cmp_ne_u32_e64 s[0:1], 1, v0
	s_andn2_b64 vcc, exec, s[36:37]
	s_cbranch_vccnz .LBB21_22
; %bb.10:
	s_cmp_lg_u32 s33, 0
	s_waitcnt lgkmcnt(0)
	s_mov_b32 s26, 0
	s_cbranch_scc0 .LBB21_25
; %bb.11:
	s_min_u32 s27, s54, 15
	s_add_i32 s27, s27, 1
	s_cmp_eq_u32 s54, 2
	s_cbranch_scc1 .LBB21_26
; %bb.12:
	s_and_b32 s26, s27, 28
	s_add_u32 s2, s34, 0xc4
	s_addc_u32 s3, s35, 0
	s_mov_b32 s28, 0
	v_mov_b32_e32 v0, 0
	v_mov_b32_e32 v2, 0
	s_mov_b64 s[24:25], s[34:35]
	v_mov_b32_e32 v4, v24
.LBB21_13:                              ; =>This Inner Loop Header: Depth=1
	s_load_dwordx8 s[12:19], s[24:25], 0x4
	s_load_dwordx4 s[20:23], s[24:25], 0x24
	s_load_dwordx8 s[4:11], s[2:3], 0x0
	s_add_u32 s24, s24, 48
	s_addc_u32 s25, s25, 0
	s_waitcnt lgkmcnt(0)
	v_mul_hi_u32 v1, s13, v4
	v_add_u32_e32 v1, v4, v1
	v_lshrrev_b32_e32 v1, s14, v1
	v_mul_lo_u32 v3, v1, s12
	v_mul_hi_u32 v5, s16, v1
	v_sub_u32_e32 v3, v4, v3
	v_add_u32_e32 v4, v1, v5
	v_lshrrev_b32_e32 v4, s17, v4
	v_mul_lo_u32 v6, v4, s15
	v_mul_hi_u32 v7, s19, v4
	v_sub_u32_e32 v1, v1, v6
	v_add_u32_e32 v6, v4, v7
	v_mul_lo_u32 v5, v3, s5
	v_mul_lo_u32 v3, v3, s4
	;; [unrolled: 1-line block ×4, first 2 shown]
	v_lshrrev_b32_e32 v6, s20, v6
	v_add3_u32 v0, v3, v0, v1
	v_mul_hi_u32 v3, s22, v6
	v_add3_u32 v1, v5, v2, v7
	v_mul_lo_u32 v2, v6, s18
	v_add_u32_e32 v3, v6, v3
	v_sub_u32_e32 v2, v4, v2
	v_lshrrev_b32_e32 v4, s23, v3
	s_add_i32 s28, s28, 4
	v_mul_lo_u32 v3, v4, s21
	s_add_u32 s2, s2, 32
	v_sub_u32_e32 v3, v6, v3
	s_addc_u32 s3, s3, 0
	v_mul_lo_u32 v5, v2, s8
	v_mul_lo_u32 v2, v2, s9
	;; [unrolled: 1-line block ×4, first 2 shown]
	s_cmp_lg_u32 s26, s28
	v_add3_u32 v2, v2, v1, v3
	v_add3_u32 v0, v5, v0, v6
	s_cbranch_scc1 .LBB21_13
; %bb.14:
	v_mov_b32_e32 v1, v2
	s_and_b32 s6, s27, 3
	s_cmp_eq_u32 s6, 0
	s_cbranch_scc0 .LBB21_27
	s_branch .LBB21_29
.LBB21_15:
	s_or_b64 exec, exec, s[48:49]
	v_cmp_gt_i32_e32 vcc, s55, v24
	s_and_saveexec_b64 s[48:49], vcc
	s_cbranch_execz .LBB21_141
.LBB21_16:
	s_andn2_b64 vcc, exec, s[36:37]
	s_cbranch_vccnz .LBB21_24
; %bb.17:
	s_andn2_b64 vcc, exec, s[46:47]
	s_cbranch_vccnz .LBB21_132
; %bb.18:
	s_add_i32 s58, s56, 1
	s_cmp_eq_u32 s54, 2
	s_cbranch_scc1 .LBB21_150
; %bb.19:
	s_and_b32 s57, s58, 28
	s_mov_b32 s59, 0
	v_mov_b32_e32 v0, 0
	v_mov_b32_e32 v2, 0
	s_mov_b64 s[50:51], s[34:35]
	s_mov_b64 s[52:53], s[44:45]
	v_mov_b32_e32 v4, v24
.LBB21_20:                              ; =>This Inner Loop Header: Depth=1
	s_load_dwordx8 s[8:15], s[50:51], 0x4
	s_load_dwordx4 s[28:31], s[50:51], 0x24
	s_load_dwordx8 s[0:7], s[52:53], 0x0
	s_add_u32 s50, s50, 48
	s_addc_u32 s51, s51, 0
	s_waitcnt lgkmcnt(0)
	v_mul_hi_u32 v1, s9, v4
	v_add_u32_e32 v1, v4, v1
	v_lshrrev_b32_e32 v1, s10, v1
	v_mul_lo_u32 v3, v1, s8
	v_mul_hi_u32 v5, s12, v1
	v_sub_u32_e32 v3, v4, v3
	v_add_u32_e32 v4, v1, v5
	v_lshrrev_b32_e32 v4, s13, v4
	v_mul_lo_u32 v6, v4, s11
	v_mul_hi_u32 v7, s15, v4
	v_sub_u32_e32 v1, v1, v6
	v_add_u32_e32 v6, v4, v7
	v_mul_lo_u32 v5, v3, s1
	v_mul_lo_u32 v3, v3, s0
	;; [unrolled: 1-line block ×4, first 2 shown]
	v_lshrrev_b32_e32 v6, s28, v6
	v_add3_u32 v0, v3, v0, v1
	v_mul_hi_u32 v3, s30, v6
	v_add3_u32 v1, v5, v2, v7
	v_mul_lo_u32 v2, v6, s14
	v_add_u32_e32 v3, v6, v3
	v_sub_u32_e32 v2, v4, v2
	v_lshrrev_b32_e32 v4, s31, v3
	s_add_i32 s59, s59, 4
	v_mul_lo_u32 v3, v4, s29
	s_add_u32 s52, s52, 32
	v_sub_u32_e32 v3, v6, v3
	s_addc_u32 s53, s53, 0
	v_mul_lo_u32 v5, v2, s4
	v_mul_lo_u32 v2, v2, s5
	;; [unrolled: 1-line block ×4, first 2 shown]
	s_cmp_eq_u32 s57, s59
	v_add3_u32 v2, v2, v1, v3
	v_add3_u32 v0, v5, v0, v6
	s_cbranch_scc0 .LBB21_20
; %bb.21:
	v_mov_b32_e32 v1, v2
	s_branch .LBB21_151
.LBB21_22:
                                        ; implicit-def: $vgpr2
                                        ; implicit-def: $vgpr0
	s_branch .LBB21_30
.LBB21_23:
                                        ; implicit-def: $vgpr2
                                        ; implicit-def: $vgpr0
	s_branch .LBB21_138
.LBB21_24:
                                        ; implicit-def: $vgpr2
                                        ; implicit-def: $vgpr0
	s_branch .LBB21_155
.LBB21_25:
	v_mov_b32_e32 v2, 0
	v_mov_b32_e32 v0, 0
	s_branch .LBB21_29
.LBB21_26:
	v_mov_b32_e32 v0, 0
                                        ; implicit-def: $vgpr2
	v_mov_b32_e32 v1, v0
	v_mov_b32_e32 v4, v24
	s_and_b32 s6, s27, 3
	s_cmp_eq_u32 s6, 0
	s_cbranch_scc1 .LBB21_29
.LBB21_27:
	s_lshl_b32 s2, s26, 3
	s_add_u32 s2, s34, s2
	s_addc_u32 s3, s35, 0
	s_add_u32 s2, s2, 0xc4
	s_addc_u32 s3, s3, 0
	s_mul_i32 s4, s26, 12
	s_add_u32 s4, s34, s4
	s_addc_u32 s5, s35, 0
.LBB21_28:                              ; =>This Inner Loop Header: Depth=1
	s_load_dwordx2 s[8:9], s[4:5], 0x4
	s_load_dword s7, s[4:5], 0xc
	s_load_dwordx2 s[10:11], s[2:3], 0x0
	v_mov_b32_e32 v2, v1
	s_add_u32 s4, s4, 12
	s_waitcnt lgkmcnt(0)
	v_mul_hi_u32 v1, s9, v4
	v_add_u32_e32 v1, v4, v1
	v_lshrrev_b32_e32 v1, s7, v1
	s_addc_u32 s5, s5, 0
	v_mul_lo_u32 v3, v1, s8
	s_add_u32 s2, s2, 8
	v_sub_u32_e32 v5, v4, v3
	s_addc_u32 s3, s3, 0
	s_add_i32 s6, s6, -1
	v_mov_b32_e32 v4, v1
	v_mad_u64_u32 v[2:3], s[8:9], v5, s11, v[2:3]
	v_mad_u64_u32 v[0:1], s[8:9], v5, s10, v[0:1]
	s_cmp_lg_u32 s6, 0
	v_mov_b32_e32 v1, v2
	s_cbranch_scc1 .LBB21_28
.LBB21_29:
	s_cbranch_execnz .LBB21_32
.LBB21_30:
	s_load_dwordx4 s[4:7], s[34:35], 0x4
	s_load_dwordx2 s[2:3], s[34:35], 0xc4
	s_cmp_lt_u32 s33, 2
	s_waitcnt lgkmcnt(0)
	v_mul_hi_u32 v0, s5, v24
	v_add_u32_e32 v0, v24, v0
	v_lshrrev_b32_e32 v1, s6, v0
	v_mul_lo_u32 v0, v1, s4
	v_sub_u32_e32 v0, v24, v0
	v_mul_lo_u32 v2, v0, s3
	v_mul_lo_u32 v0, v0, s2
	s_cbranch_scc1 .LBB21_32
; %bb.31:
	s_load_dwordx4 s[4:7], s[34:35], 0x10
	s_load_dwordx2 s[2:3], s[34:35], 0xcc
	s_waitcnt lgkmcnt(0)
	v_mul_hi_u32 v3, s5, v1
	v_add_u32_e32 v3, v1, v3
	v_lshrrev_b32_e32 v3, s6, v3
	v_mul_lo_u32 v3, v3, s4
	v_sub_u32_e32 v3, v1, v3
	v_mad_u64_u32 v[0:1], s[4:5], v3, s2, v[0:1]
	v_mad_u64_u32 v[2:3], s[2:3], v3, s3, v[2:3]
.LBB21_32:
	s_and_b64 vcc, exec, s[0:1]
	v_add_u32_e32 v3, 0x80, v24
	s_cbranch_vccnz .LBB21_38
; %bb.33:
	s_cmp_lg_u32 s33, 0
	s_waitcnt lgkmcnt(0)
	s_mov_b32 s26, 0
	s_cbranch_scc0 .LBB21_39
; %bb.34:
	s_min_u32 s27, s54, 15
	s_add_i32 s27, s27, 1
	s_cmp_eq_u32 s54, 2
	s_cbranch_scc1 .LBB21_40
; %bb.35:
	s_and_b32 s26, s27, 28
	s_add_u32 s2, s34, 0xc4
	s_addc_u32 s3, s35, 0
	s_mov_b32 s28, 0
	v_mov_b32_e32 v4, 0
	v_mov_b32_e32 v6, 0
	s_mov_b64 s[24:25], s[34:35]
	v_mov_b32_e32 v8, v3
.LBB21_36:                              ; =>This Inner Loop Header: Depth=1
	s_load_dwordx8 s[12:19], s[24:25], 0x4
	s_load_dwordx4 s[20:23], s[24:25], 0x24
	s_load_dwordx8 s[4:11], s[2:3], 0x0
	s_add_u32 s24, s24, 48
	s_addc_u32 s25, s25, 0
	s_waitcnt lgkmcnt(0)
	v_mul_hi_u32 v1, s13, v8
	v_add_u32_e32 v1, v8, v1
	v_lshrrev_b32_e32 v1, s14, v1
	v_mul_hi_u32 v7, s16, v1
	v_add_u32_e32 v7, v1, v7
	v_lshrrev_b32_e32 v7, s17, v7
	v_mul_lo_u32 v5, v1, s12
	v_mul_lo_u32 v9, v7, s15
	v_mul_hi_u32 v10, s19, v7
	v_sub_u32_e32 v5, v8, v5
	v_sub_u32_e32 v1, v1, v9
	v_add_u32_e32 v9, v7, v10
	v_mul_lo_u32 v8, v5, s5
	v_mul_lo_u32 v5, v5, s4
	;; [unrolled: 1-line block ×4, first 2 shown]
	v_lshrrev_b32_e32 v9, s20, v9
	v_add3_u32 v1, v5, v4, v1
	v_add3_u32 v4, v8, v6, v10
	v_mul_hi_u32 v6, s22, v9
	v_add_u32_e32 v6, v9, v6
	v_lshrrev_b32_e32 v8, s23, v6
	s_add_i32 s28, s28, 4
	v_mul_lo_u32 v5, v9, s18
	v_mul_lo_u32 v6, v8, s21
	s_add_u32 s2, s2, 32
	v_sub_u32_e32 v5, v7, v5
	v_sub_u32_e32 v6, v9, v6
	s_addc_u32 s3, s3, 0
	v_mul_lo_u32 v7, v5, s8
	v_mul_lo_u32 v5, v5, s9
	;; [unrolled: 1-line block ×4, first 2 shown]
	s_cmp_lg_u32 s26, s28
	v_add3_u32 v6, v5, v4, v6
	v_add3_u32 v4, v7, v1, v9
	s_cbranch_scc1 .LBB21_36
; %bb.37:
	v_mov_b32_e32 v1, v6
	s_and_b32 s6, s27, 3
	s_cmp_eq_u32 s6, 0
	s_cbranch_scc0 .LBB21_41
	s_branch .LBB21_43
.LBB21_38:
                                        ; implicit-def: $vgpr6
                                        ; implicit-def: $vgpr4
	s_branch .LBB21_44
.LBB21_39:
	v_mov_b32_e32 v6, 0
	v_mov_b32_e32 v4, 0
	s_branch .LBB21_43
.LBB21_40:
	v_mov_b32_e32 v4, 0
                                        ; implicit-def: $vgpr6
	v_mov_b32_e32 v1, v4
	v_mov_b32_e32 v8, v3
	s_and_b32 s6, s27, 3
	s_cmp_eq_u32 s6, 0
	s_cbranch_scc1 .LBB21_43
.LBB21_41:
	s_lshl_b32 s2, s26, 3
	s_add_u32 s2, s34, s2
	s_addc_u32 s3, s35, 0
	s_add_u32 s2, s2, 0xc4
	s_addc_u32 s3, s3, 0
	s_mul_i32 s4, s26, 12
	s_add_u32 s4, s34, s4
	s_addc_u32 s5, s35, 0
.LBB21_42:                              ; =>This Inner Loop Header: Depth=1
	s_load_dwordx2 s[8:9], s[4:5], 0x4
	s_load_dword s7, s[4:5], 0xc
	s_load_dwordx2 s[10:11], s[2:3], 0x0
	v_mov_b32_e32 v6, v1
	s_add_u32 s4, s4, 12
	s_waitcnt lgkmcnt(0)
	v_mul_hi_u32 v1, s9, v8
	v_add_u32_e32 v1, v8, v1
	v_lshrrev_b32_e32 v1, s7, v1
	s_addc_u32 s5, s5, 0
	v_mul_lo_u32 v5, v1, s8
	s_add_u32 s2, s2, 8
	v_sub_u32_e32 v5, v8, v5
	s_addc_u32 s3, s3, 0
	s_add_i32 s6, s6, -1
	v_mad_u64_u32 v[6:7], s[8:9], v5, s11, v[6:7]
	s_cmp_lg_u32 s6, 0
	v_mov_b32_e32 v8, v1
	v_mad_u64_u32 v[4:5], s[8:9], v5, s10, v[4:5]
	v_mov_b32_e32 v1, v6
	s_cbranch_scc1 .LBB21_42
.LBB21_43:
	s_cbranch_execnz .LBB21_46
.LBB21_44:
	s_load_dwordx4 s[4:7], s[34:35], 0x4
	s_load_dwordx2 s[2:3], s[34:35], 0xc4
	s_cmp_lt_u32 s33, 2
	s_waitcnt lgkmcnt(0)
	v_mul_hi_u32 v1, s5, v3
	v_add_u32_e32 v1, v3, v1
	v_lshrrev_b32_e32 v1, s6, v1
	v_mul_lo_u32 v4, v1, s4
	v_sub_u32_e32 v3, v3, v4
	v_mul_lo_u32 v6, v3, s3
	v_mul_lo_u32 v4, v3, s2
	s_cbranch_scc1 .LBB21_46
; %bb.45:
	s_load_dwordx4 s[4:7], s[34:35], 0x10
	s_load_dwordx2 s[2:3], s[34:35], 0xcc
	s_waitcnt lgkmcnt(0)
	v_mul_hi_u32 v3, s5, v1
	v_add_u32_e32 v3, v1, v3
	v_lshrrev_b32_e32 v3, s6, v3
	v_mul_lo_u32 v3, v3, s4
	v_sub_u32_e32 v1, v1, v3
	v_mad_u64_u32 v[4:5], s[4:5], v1, s2, v[4:5]
	v_mad_u64_u32 v[6:7], s[2:3], v1, s3, v[6:7]
.LBB21_46:
	s_and_b64 vcc, exec, s[0:1]
	v_add_u32_e32 v3, 0x100, v24
	s_cbranch_vccnz .LBB21_52
; %bb.47:
	s_cmp_lg_u32 s33, 0
	s_waitcnt lgkmcnt(0)
	s_mov_b32 s26, 0
	s_cbranch_scc0 .LBB21_53
; %bb.48:
	s_min_u32 s27, s54, 15
	s_add_i32 s27, s27, 1
	s_cmp_eq_u32 s54, 2
	s_cbranch_scc1 .LBB21_54
; %bb.49:
	s_and_b32 s26, s27, 28
	s_add_u32 s2, s34, 0xc4
	s_addc_u32 s3, s35, 0
	s_mov_b32 s28, 0
	v_mov_b32_e32 v8, 0
	v_mov_b32_e32 v10, 0
	s_mov_b64 s[24:25], s[34:35]
	v_mov_b32_e32 v5, v3
.LBB21_50:                              ; =>This Inner Loop Header: Depth=1
	s_load_dwordx8 s[12:19], s[24:25], 0x4
	s_load_dwordx4 s[20:23], s[24:25], 0x24
	s_load_dwordx8 s[4:11], s[2:3], 0x0
	s_add_u32 s24, s24, 48
	s_addc_u32 s25, s25, 0
	s_waitcnt lgkmcnt(0)
	v_mul_hi_u32 v1, s13, v5
	v_add_u32_e32 v1, v5, v1
	v_lshrrev_b32_e32 v1, s14, v1
	v_mul_lo_u32 v7, v1, s12
	v_mul_hi_u32 v9, s16, v1
	v_sub_u32_e32 v5, v5, v7
	v_add_u32_e32 v7, v1, v9
	v_lshrrev_b32_e32 v7, s17, v7
	v_mul_lo_u32 v11, v7, s15
	v_mul_hi_u32 v12, s19, v7
	v_sub_u32_e32 v1, v1, v11
	v_add_u32_e32 v11, v7, v12
	v_mul_lo_u32 v9, v5, s5
	v_mul_lo_u32 v5, v5, s4
	;; [unrolled: 1-line block ×4, first 2 shown]
	v_lshrrev_b32_e32 v11, s20, v11
	v_add3_u32 v1, v5, v8, v1
	v_add3_u32 v8, v9, v10, v12
	v_mul_lo_u32 v5, v11, s18
	v_mul_hi_u32 v9, s22, v11
	v_sub_u32_e32 v5, v7, v5
	v_add_u32_e32 v7, v11, v9
	v_mul_lo_u32 v9, v5, s8
	v_mul_lo_u32 v10, v5, s9
	v_lshrrev_b32_e32 v5, s23, v7
	s_add_i32 s28, s28, 4
	v_mul_lo_u32 v7, v5, s21
	s_add_u32 s2, s2, 32
	v_sub_u32_e32 v7, v11, v7
	s_addc_u32 s3, s3, 0
	v_mul_lo_u32 v11, v7, s10
	v_mul_lo_u32 v7, v7, s11
	s_cmp_lg_u32 s26, s28
	v_add3_u32 v10, v10, v8, v7
	v_add3_u32 v8, v9, v1, v11
	s_cbranch_scc1 .LBB21_50
; %bb.51:
	v_mov_b32_e32 v1, v10
	s_and_b32 s6, s27, 3
	s_cmp_eq_u32 s6, 0
	s_cbranch_scc0 .LBB21_55
	s_branch .LBB21_57
.LBB21_52:
                                        ; implicit-def: $vgpr10
                                        ; implicit-def: $vgpr8
	s_branch .LBB21_58
.LBB21_53:
	v_mov_b32_e32 v10, 0
	v_mov_b32_e32 v8, 0
	s_branch .LBB21_57
.LBB21_54:
	v_mov_b32_e32 v8, 0
                                        ; implicit-def: $vgpr10
	v_mov_b32_e32 v1, v8
	v_mov_b32_e32 v5, v3
	s_and_b32 s6, s27, 3
	s_cmp_eq_u32 s6, 0
	s_cbranch_scc1 .LBB21_57
.LBB21_55:
	s_lshl_b32 s2, s26, 3
	s_add_u32 s2, s34, s2
	s_addc_u32 s3, s35, 0
	s_add_u32 s2, s2, 0xc4
	s_addc_u32 s3, s3, 0
	s_mul_i32 s4, s26, 12
	s_add_u32 s4, s34, s4
	s_addc_u32 s5, s35, 0
.LBB21_56:                              ; =>This Inner Loop Header: Depth=1
	s_load_dwordx2 s[8:9], s[4:5], 0x4
	s_load_dword s7, s[4:5], 0xc
	s_load_dwordx2 s[10:11], s[2:3], 0x0
	v_mov_b32_e32 v10, v1
	s_add_u32 s4, s4, 12
	s_waitcnt lgkmcnt(0)
	v_mul_hi_u32 v1, s9, v5
	v_add_u32_e32 v1, v5, v1
	v_lshrrev_b32_e32 v1, s7, v1
	s_addc_u32 s5, s5, 0
	v_mul_lo_u32 v7, v1, s8
	s_add_u32 s2, s2, 8
	v_sub_u32_e32 v7, v5, v7
	s_addc_u32 s3, s3, 0
	s_add_i32 s6, s6, -1
	v_mad_u64_u32 v[10:11], s[8:9], v7, s11, v[10:11]
	s_cmp_lg_u32 s6, 0
	v_mov_b32_e32 v5, v1
	v_mad_u64_u32 v[8:9], s[8:9], v7, s10, v[8:9]
	v_mov_b32_e32 v1, v10
	s_cbranch_scc1 .LBB21_56
.LBB21_57:
	s_cbranch_execnz .LBB21_60
.LBB21_58:
	s_load_dwordx4 s[4:7], s[34:35], 0x4
	s_load_dwordx2 s[2:3], s[34:35], 0xc4
	s_cmp_lt_u32 s33, 2
	s_waitcnt lgkmcnt(0)
	v_mul_hi_u32 v1, s5, v3
	v_add_u32_e32 v1, v3, v1
	v_lshrrev_b32_e32 v1, s6, v1
	v_mul_lo_u32 v5, v1, s4
	v_sub_u32_e32 v3, v3, v5
	v_mul_lo_u32 v10, v3, s3
	v_mul_lo_u32 v8, v3, s2
	s_cbranch_scc1 .LBB21_60
; %bb.59:
	s_load_dwordx4 s[4:7], s[34:35], 0x10
	s_load_dwordx2 s[2:3], s[34:35], 0xcc
	s_waitcnt lgkmcnt(0)
	v_mul_hi_u32 v3, s5, v1
	v_add_u32_e32 v3, v1, v3
	v_lshrrev_b32_e32 v3, s6, v3
	v_mul_lo_u32 v3, v3, s4
	v_sub_u32_e32 v1, v1, v3
	v_mad_u64_u32 v[8:9], s[4:5], v1, s2, v[8:9]
	v_mad_u64_u32 v[10:11], s[2:3], v1, s3, v[10:11]
.LBB21_60:
	s_and_b64 vcc, exec, s[0:1]
	v_add_u32_e32 v3, 0x180, v24
	s_cbranch_vccnz .LBB21_66
; %bb.61:
	s_cmp_lg_u32 s33, 0
	s_waitcnt lgkmcnt(0)
	s_mov_b32 s26, 0
	s_cbranch_scc0 .LBB21_67
; %bb.62:
	s_min_u32 s27, s54, 15
	s_add_i32 s27, s27, 1
	s_cmp_eq_u32 s54, 2
	s_cbranch_scc1 .LBB21_68
; %bb.63:
	s_and_b32 s26, s27, 28
	s_add_u32 s2, s34, 0xc4
	s_addc_u32 s3, s35, 0
	s_mov_b32 s28, 0
	v_mov_b32_e32 v12, 0
	v_mov_b32_e32 v14, 0
	s_mov_b64 s[24:25], s[34:35]
	v_mov_b32_e32 v5, v3
.LBB21_64:                              ; =>This Inner Loop Header: Depth=1
	s_load_dwordx8 s[12:19], s[24:25], 0x4
	s_load_dwordx4 s[20:23], s[24:25], 0x24
	s_load_dwordx8 s[4:11], s[2:3], 0x0
	s_add_u32 s24, s24, 48
	s_addc_u32 s25, s25, 0
	s_waitcnt lgkmcnt(0)
	v_mul_hi_u32 v1, s13, v5
	v_add_u32_e32 v1, v5, v1
	v_lshrrev_b32_e32 v1, s14, v1
	v_mul_lo_u32 v7, v1, s12
	v_mul_hi_u32 v9, s16, v1
	v_sub_u32_e32 v5, v5, v7
	v_add_u32_e32 v7, v1, v9
	v_lshrrev_b32_e32 v7, s17, v7
	v_mul_lo_u32 v11, v7, s15
	v_mul_hi_u32 v13, s19, v7
	v_sub_u32_e32 v1, v1, v11
	v_add_u32_e32 v11, v7, v13
	v_mul_lo_u32 v9, v5, s5
	v_mul_lo_u32 v5, v5, s4
	;; [unrolled: 1-line block ×4, first 2 shown]
	v_lshrrev_b32_e32 v11, s20, v11
	v_add3_u32 v1, v5, v12, v1
	v_mul_lo_u32 v5, v11, s18
	v_mul_hi_u32 v12, s22, v11
	v_sub_u32_e32 v5, v7, v5
	v_add_u32_e32 v7, v11, v12
	v_add3_u32 v9, v9, v14, v13
	v_mul_lo_u32 v12, v5, s8
	v_mul_lo_u32 v13, v5, s9
	v_lshrrev_b32_e32 v5, s23, v7
	s_add_i32 s28, s28, 4
	v_mul_lo_u32 v7, v5, s21
	s_add_u32 s2, s2, 32
	v_sub_u32_e32 v7, v11, v7
	s_addc_u32 s3, s3, 0
	v_mul_lo_u32 v11, v7, s10
	v_mul_lo_u32 v7, v7, s11
	s_cmp_lg_u32 s26, s28
	v_add3_u32 v14, v13, v9, v7
	v_add3_u32 v12, v12, v1, v11
	s_cbranch_scc1 .LBB21_64
; %bb.65:
	v_mov_b32_e32 v1, v14
	s_and_b32 s6, s27, 3
	s_cmp_eq_u32 s6, 0
	s_cbranch_scc0 .LBB21_69
	s_branch .LBB21_71
.LBB21_66:
                                        ; implicit-def: $vgpr14
                                        ; implicit-def: $vgpr12
	s_branch .LBB21_72
.LBB21_67:
	v_mov_b32_e32 v14, 0
	v_mov_b32_e32 v12, 0
	s_branch .LBB21_71
.LBB21_68:
	v_mov_b32_e32 v12, 0
                                        ; implicit-def: $vgpr14
	v_mov_b32_e32 v1, v12
	v_mov_b32_e32 v5, v3
	s_and_b32 s6, s27, 3
	s_cmp_eq_u32 s6, 0
	s_cbranch_scc1 .LBB21_71
.LBB21_69:
	s_lshl_b32 s2, s26, 3
	s_add_u32 s2, s34, s2
	s_addc_u32 s3, s35, 0
	s_add_u32 s2, s2, 0xc4
	s_addc_u32 s3, s3, 0
	s_mul_i32 s4, s26, 12
	s_add_u32 s4, s34, s4
	s_addc_u32 s5, s35, 0
.LBB21_70:                              ; =>This Inner Loop Header: Depth=1
	s_load_dwordx2 s[8:9], s[4:5], 0x4
	s_load_dword s7, s[4:5], 0xc
	s_load_dwordx2 s[10:11], s[2:3], 0x0
	v_mov_b32_e32 v14, v1
	s_add_u32 s4, s4, 12
	s_waitcnt lgkmcnt(0)
	v_mul_hi_u32 v1, s9, v5
	v_add_u32_e32 v1, v5, v1
	v_lshrrev_b32_e32 v1, s7, v1
	s_addc_u32 s5, s5, 0
	v_mul_lo_u32 v7, v1, s8
	s_add_u32 s2, s2, 8
	v_sub_u32_e32 v7, v5, v7
	s_addc_u32 s3, s3, 0
	s_add_i32 s6, s6, -1
	v_mad_u64_u32 v[14:15], s[8:9], v7, s11, v[14:15]
	s_cmp_lg_u32 s6, 0
	v_mov_b32_e32 v5, v1
	v_mad_u64_u32 v[12:13], s[8:9], v7, s10, v[12:13]
	v_mov_b32_e32 v1, v14
	s_cbranch_scc1 .LBB21_70
.LBB21_71:
	s_cbranch_execnz .LBB21_74
.LBB21_72:
	s_load_dwordx4 s[4:7], s[34:35], 0x4
	s_load_dwordx2 s[2:3], s[34:35], 0xc4
	s_cmp_lt_u32 s33, 2
	s_waitcnt lgkmcnt(0)
	v_mul_hi_u32 v1, s5, v3
	v_add_u32_e32 v1, v3, v1
	v_lshrrev_b32_e32 v1, s6, v1
	v_mul_lo_u32 v5, v1, s4
	v_sub_u32_e32 v3, v3, v5
	v_mul_lo_u32 v14, v3, s3
	v_mul_lo_u32 v12, v3, s2
	s_cbranch_scc1 .LBB21_74
; %bb.73:
	s_load_dwordx4 s[4:7], s[34:35], 0x10
	s_load_dwordx2 s[2:3], s[34:35], 0xcc
	s_waitcnt lgkmcnt(0)
	v_mul_hi_u32 v3, s5, v1
	v_add_u32_e32 v3, v1, v3
	v_lshrrev_b32_e32 v3, s6, v3
	v_mul_lo_u32 v3, v3, s4
	v_sub_u32_e32 v1, v1, v3
	v_mad_u64_u32 v[12:13], s[4:5], v1, s2, v[12:13]
	v_mad_u64_u32 v[14:15], s[2:3], v1, s3, v[14:15]
.LBB21_74:
	s_and_b64 vcc, exec, s[0:1]
	v_add_u32_e32 v3, 0x200, v24
	s_cbranch_vccnz .LBB21_80
; %bb.75:
	s_cmp_lg_u32 s33, 0
	s_waitcnt lgkmcnt(0)
	s_mov_b32 s26, 0
	s_cbranch_scc0 .LBB21_81
; %bb.76:
	s_min_u32 s27, s54, 15
	s_add_i32 s27, s27, 1
	s_cmp_eq_u32 s54, 2
	s_cbranch_scc1 .LBB21_82
; %bb.77:
	s_and_b32 s26, s27, 28
	s_add_u32 s2, s34, 0xc4
	s_addc_u32 s3, s35, 0
	s_mov_b32 s28, 0
	v_mov_b32_e32 v16, 0
	v_mov_b32_e32 v18, 0
	s_mov_b64 s[24:25], s[34:35]
	v_mov_b32_e32 v5, v3
.LBB21_78:                              ; =>This Inner Loop Header: Depth=1
	s_load_dwordx8 s[12:19], s[24:25], 0x4
	s_load_dwordx4 s[20:23], s[24:25], 0x24
	s_load_dwordx8 s[4:11], s[2:3], 0x0
	s_add_u32 s24, s24, 48
	s_addc_u32 s25, s25, 0
	s_waitcnt lgkmcnt(0)
	v_mul_hi_u32 v1, s13, v5
	v_add_u32_e32 v1, v5, v1
	v_lshrrev_b32_e32 v1, s14, v1
	v_mul_lo_u32 v7, v1, s12
	v_mul_hi_u32 v9, s16, v1
	v_sub_u32_e32 v5, v5, v7
	v_add_u32_e32 v7, v1, v9
	v_lshrrev_b32_e32 v7, s17, v7
	v_mul_lo_u32 v11, v7, s15
	v_mul_hi_u32 v13, s19, v7
	v_sub_u32_e32 v1, v1, v11
	v_add_u32_e32 v11, v7, v13
	v_mul_lo_u32 v9, v5, s5
	v_mul_lo_u32 v5, v5, s4
	;; [unrolled: 1-line block ×4, first 2 shown]
	v_lshrrev_b32_e32 v11, s20, v11
	v_add3_u32 v1, v5, v16, v1
	v_add3_u32 v9, v9, v18, v13
	v_mul_lo_u32 v5, v11, s18
	v_mul_hi_u32 v13, s22, v11
	v_sub_u32_e32 v5, v7, v5
	v_add_u32_e32 v7, v11, v13
	v_mul_lo_u32 v13, v5, s8
	v_mul_lo_u32 v15, v5, s9
	v_lshrrev_b32_e32 v5, s23, v7
	s_add_i32 s28, s28, 4
	v_mul_lo_u32 v7, v5, s21
	s_add_u32 s2, s2, 32
	v_sub_u32_e32 v7, v11, v7
	s_addc_u32 s3, s3, 0
	v_mul_lo_u32 v11, v7, s10
	v_mul_lo_u32 v7, v7, s11
	s_cmp_lg_u32 s26, s28
	v_add3_u32 v18, v15, v9, v7
	v_add3_u32 v16, v13, v1, v11
	s_cbranch_scc1 .LBB21_78
; %bb.79:
	v_mov_b32_e32 v1, v18
	s_and_b32 s6, s27, 3
	s_cmp_eq_u32 s6, 0
	s_cbranch_scc0 .LBB21_83
	s_branch .LBB21_85
.LBB21_80:
                                        ; implicit-def: $vgpr18
                                        ; implicit-def: $vgpr16
	s_branch .LBB21_86
.LBB21_81:
	v_mov_b32_e32 v18, 0
	v_mov_b32_e32 v16, 0
	s_branch .LBB21_85
.LBB21_82:
	v_mov_b32_e32 v16, 0
                                        ; implicit-def: $vgpr18
	v_mov_b32_e32 v1, v16
	v_mov_b32_e32 v5, v3
	s_and_b32 s6, s27, 3
	s_cmp_eq_u32 s6, 0
	s_cbranch_scc1 .LBB21_85
.LBB21_83:
	s_lshl_b32 s2, s26, 3
	s_add_u32 s2, s34, s2
	s_addc_u32 s3, s35, 0
	s_add_u32 s2, s2, 0xc4
	s_addc_u32 s3, s3, 0
	s_mul_i32 s4, s26, 12
	s_add_u32 s4, s34, s4
	s_addc_u32 s5, s35, 0
.LBB21_84:                              ; =>This Inner Loop Header: Depth=1
	s_load_dwordx2 s[8:9], s[4:5], 0x4
	s_load_dword s7, s[4:5], 0xc
	s_load_dwordx2 s[10:11], s[2:3], 0x0
	v_mov_b32_e32 v18, v1
	s_add_u32 s4, s4, 12
	s_waitcnt lgkmcnt(0)
	v_mul_hi_u32 v1, s9, v5
	v_add_u32_e32 v1, v5, v1
	v_lshrrev_b32_e32 v1, s7, v1
	s_addc_u32 s5, s5, 0
	v_mul_lo_u32 v7, v1, s8
	s_add_u32 s2, s2, 8
	v_sub_u32_e32 v7, v5, v7
	s_addc_u32 s3, s3, 0
	s_add_i32 s6, s6, -1
	v_mad_u64_u32 v[18:19], s[8:9], v7, s11, v[18:19]
	s_cmp_lg_u32 s6, 0
	v_mov_b32_e32 v5, v1
	v_mad_u64_u32 v[16:17], s[8:9], v7, s10, v[16:17]
	v_mov_b32_e32 v1, v18
	s_cbranch_scc1 .LBB21_84
.LBB21_85:
	s_cbranch_execnz .LBB21_88
.LBB21_86:
	s_load_dwordx4 s[4:7], s[34:35], 0x4
	s_load_dwordx2 s[2:3], s[34:35], 0xc4
	s_cmp_lt_u32 s33, 2
	s_waitcnt lgkmcnt(0)
	v_mul_hi_u32 v1, s5, v3
	v_add_u32_e32 v1, v3, v1
	v_lshrrev_b32_e32 v1, s6, v1
	v_mul_lo_u32 v5, v1, s4
	v_sub_u32_e32 v3, v3, v5
	v_mul_lo_u32 v18, v3, s3
	v_mul_lo_u32 v16, v3, s2
	s_cbranch_scc1 .LBB21_88
; %bb.87:
	s_load_dwordx4 s[4:7], s[34:35], 0x10
	s_load_dwordx2 s[2:3], s[34:35], 0xcc
	s_waitcnt lgkmcnt(0)
	v_mul_hi_u32 v3, s5, v1
	v_add_u32_e32 v3, v1, v3
	v_lshrrev_b32_e32 v3, s6, v3
	v_mul_lo_u32 v3, v3, s4
	v_sub_u32_e32 v1, v1, v3
	v_mad_u64_u32 v[16:17], s[4:5], v1, s2, v[16:17]
	v_mad_u64_u32 v[18:19], s[2:3], v1, s3, v[18:19]
.LBB21_88:
	s_and_b64 vcc, exec, s[0:1]
	v_add_u32_e32 v3, 0x280, v24
	s_cbranch_vccnz .LBB21_94
; %bb.89:
	s_cmp_lg_u32 s33, 0
	s_waitcnt lgkmcnt(0)
	s_mov_b32 s26, 0
	s_cbranch_scc0 .LBB21_95
; %bb.90:
	s_min_u32 s27, s54, 15
	s_add_i32 s27, s27, 1
	s_cmp_eq_u32 s54, 2
	s_cbranch_scc1 .LBB21_96
; %bb.91:
	s_and_b32 s26, s27, 28
	s_add_u32 s2, s34, 0xc4
	s_addc_u32 s3, s35, 0
	s_mov_b32 s28, 0
	v_mov_b32_e32 v20, 0
	v_mov_b32_e32 v22, 0
	s_mov_b64 s[24:25], s[34:35]
	v_mov_b32_e32 v5, v3
.LBB21_92:                              ; =>This Inner Loop Header: Depth=1
	s_load_dwordx8 s[12:19], s[24:25], 0x4
	s_load_dwordx4 s[20:23], s[24:25], 0x24
	s_load_dwordx8 s[4:11], s[2:3], 0x0
	s_add_u32 s24, s24, 48
	s_addc_u32 s25, s25, 0
	s_waitcnt lgkmcnt(0)
	v_mul_hi_u32 v1, s13, v5
	v_add_u32_e32 v1, v5, v1
	v_lshrrev_b32_e32 v1, s14, v1
	v_mul_lo_u32 v7, v1, s12
	v_mul_hi_u32 v9, s16, v1
	v_sub_u32_e32 v5, v5, v7
	v_add_u32_e32 v7, v1, v9
	v_lshrrev_b32_e32 v7, s17, v7
	v_mul_lo_u32 v11, v7, s15
	v_mul_hi_u32 v13, s19, v7
	v_sub_u32_e32 v1, v1, v11
	v_add_u32_e32 v11, v7, v13
	v_mul_lo_u32 v9, v5, s5
	v_mul_lo_u32 v5, v5, s4
	;; [unrolled: 1-line block ×4, first 2 shown]
	v_lshrrev_b32_e32 v11, s20, v11
	v_add3_u32 v1, v5, v20, v1
	v_add3_u32 v9, v9, v22, v13
	v_mul_lo_u32 v5, v11, s18
	v_mul_hi_u32 v13, s22, v11
	v_sub_u32_e32 v5, v7, v5
	v_add_u32_e32 v7, v11, v13
	v_mul_lo_u32 v13, v5, s8
	v_mul_lo_u32 v15, v5, s9
	v_lshrrev_b32_e32 v5, s23, v7
	s_add_i32 s28, s28, 4
	v_mul_lo_u32 v7, v5, s21
	s_add_u32 s2, s2, 32
	v_sub_u32_e32 v7, v11, v7
	s_addc_u32 s3, s3, 0
	v_mul_lo_u32 v11, v7, s10
	v_mul_lo_u32 v7, v7, s11
	s_cmp_lg_u32 s26, s28
	v_add3_u32 v22, v15, v9, v7
	v_add3_u32 v20, v13, v1, v11
	s_cbranch_scc1 .LBB21_92
; %bb.93:
	v_mov_b32_e32 v1, v22
	s_and_b32 s6, s27, 3
	s_cmp_eq_u32 s6, 0
	s_cbranch_scc0 .LBB21_97
	s_branch .LBB21_99
.LBB21_94:
                                        ; implicit-def: $vgpr22
                                        ; implicit-def: $vgpr20
	s_branch .LBB21_100
.LBB21_95:
	v_mov_b32_e32 v22, 0
	v_mov_b32_e32 v20, 0
	s_branch .LBB21_99
.LBB21_96:
	v_mov_b32_e32 v20, 0
                                        ; implicit-def: $vgpr22
	v_mov_b32_e32 v1, v20
	v_mov_b32_e32 v5, v3
	s_and_b32 s6, s27, 3
	s_cmp_eq_u32 s6, 0
	s_cbranch_scc1 .LBB21_99
.LBB21_97:
	s_lshl_b32 s2, s26, 3
	s_add_u32 s2, s34, s2
	s_addc_u32 s3, s35, 0
	s_add_u32 s2, s2, 0xc4
	s_addc_u32 s3, s3, 0
	s_mul_i32 s4, s26, 12
	s_add_u32 s4, s34, s4
	s_addc_u32 s5, s35, 0
.LBB21_98:                              ; =>This Inner Loop Header: Depth=1
	s_load_dwordx2 s[8:9], s[4:5], 0x4
	s_load_dword s7, s[4:5], 0xc
	s_load_dwordx2 s[10:11], s[2:3], 0x0
	v_mov_b32_e32 v22, v1
	s_add_u32 s4, s4, 12
	s_waitcnt lgkmcnt(0)
	v_mul_hi_u32 v1, s9, v5
	v_add_u32_e32 v1, v5, v1
	v_lshrrev_b32_e32 v1, s7, v1
	s_addc_u32 s5, s5, 0
	v_mul_lo_u32 v7, v1, s8
	s_add_u32 s2, s2, 8
	v_sub_u32_e32 v7, v5, v7
	s_addc_u32 s3, s3, 0
	s_add_i32 s6, s6, -1
	v_mad_u64_u32 v[22:23], s[8:9], v7, s11, v[22:23]
	s_cmp_lg_u32 s6, 0
	v_mov_b32_e32 v5, v1
	v_mad_u64_u32 v[20:21], s[8:9], v7, s10, v[20:21]
	v_mov_b32_e32 v1, v22
	s_cbranch_scc1 .LBB21_98
.LBB21_99:
	s_cbranch_execnz .LBB21_102
.LBB21_100:
	s_load_dwordx4 s[4:7], s[34:35], 0x4
	s_load_dwordx2 s[2:3], s[34:35], 0xc4
	s_cmp_lt_u32 s33, 2
	s_waitcnt lgkmcnt(0)
	v_mul_hi_u32 v1, s5, v3
	v_add_u32_e32 v1, v3, v1
	v_lshrrev_b32_e32 v1, s6, v1
	v_mul_lo_u32 v5, v1, s4
	v_sub_u32_e32 v3, v3, v5
	v_mul_lo_u32 v22, v3, s3
	v_mul_lo_u32 v20, v3, s2
	s_cbranch_scc1 .LBB21_102
; %bb.101:
	s_load_dwordx4 s[4:7], s[34:35], 0x10
	s_load_dwordx2 s[2:3], s[34:35], 0xcc
	s_waitcnt lgkmcnt(0)
	v_mul_hi_u32 v3, s5, v1
	v_add_u32_e32 v3, v1, v3
	v_lshrrev_b32_e32 v3, s6, v3
	v_mul_lo_u32 v3, v3, s4
	v_sub_u32_e32 v1, v1, v3
	v_mad_u64_u32 v[20:21], s[4:5], v1, s2, v[20:21]
	v_mad_u64_u32 v[22:23], s[2:3], v1, s3, v[22:23]
.LBB21_102:
	s_and_b64 vcc, exec, s[0:1]
	v_add_u32_e32 v3, 0x300, v24
	s_cbranch_vccnz .LBB21_108
; %bb.103:
	s_cmp_lg_u32 s33, 0
	s_waitcnt lgkmcnt(0)
	s_mov_b32 s26, 0
	s_cbranch_scc0 .LBB21_109
; %bb.104:
	s_min_u32 s27, s54, 15
	s_add_i32 s27, s27, 1
	s_cmp_eq_u32 s54, 2
	s_cbranch_scc1 .LBB21_110
; %bb.105:
	s_and_b32 s26, s27, 28
	s_add_u32 s2, s34, 0xc4
	s_addc_u32 s3, s35, 0
	s_mov_b32 s28, 0
	v_mov_b32_e32 v24, 0
	v_mov_b32_e32 v26, 0
	s_mov_b64 s[24:25], s[34:35]
	v_mov_b32_e32 v5, v3
.LBB21_106:                             ; =>This Inner Loop Header: Depth=1
	s_load_dwordx8 s[12:19], s[24:25], 0x4
	s_load_dwordx4 s[20:23], s[24:25], 0x24
	s_load_dwordx8 s[4:11], s[2:3], 0x0
	s_add_u32 s24, s24, 48
	s_addc_u32 s25, s25, 0
	s_waitcnt lgkmcnt(0)
	v_mul_hi_u32 v1, s13, v5
	v_add_u32_e32 v1, v5, v1
	v_lshrrev_b32_e32 v1, s14, v1
	v_mul_lo_u32 v7, v1, s12
	v_mul_hi_u32 v9, s16, v1
	v_sub_u32_e32 v5, v5, v7
	v_add_u32_e32 v7, v1, v9
	v_lshrrev_b32_e32 v7, s17, v7
	v_mul_lo_u32 v11, v7, s15
	v_mul_hi_u32 v13, s19, v7
	v_sub_u32_e32 v1, v1, v11
	v_add_u32_e32 v11, v7, v13
	v_mul_lo_u32 v9, v5, s5
	v_mul_lo_u32 v5, v5, s4
	v_mul_lo_u32 v13, v1, s7
	v_mul_lo_u32 v1, v1, s6
	v_lshrrev_b32_e32 v11, s20, v11
	v_add3_u32 v1, v5, v24, v1
	v_add3_u32 v9, v9, v26, v13
	v_mul_lo_u32 v5, v11, s18
	v_mul_hi_u32 v13, s22, v11
	v_sub_u32_e32 v5, v7, v5
	v_add_u32_e32 v7, v11, v13
	v_mul_lo_u32 v13, v5, s8
	v_mul_lo_u32 v15, v5, s9
	v_lshrrev_b32_e32 v5, s23, v7
	s_add_i32 s28, s28, 4
	v_mul_lo_u32 v7, v5, s21
	s_add_u32 s2, s2, 32
	v_sub_u32_e32 v7, v11, v7
	s_addc_u32 s3, s3, 0
	v_mul_lo_u32 v11, v7, s10
	v_mul_lo_u32 v7, v7, s11
	s_cmp_lg_u32 s26, s28
	v_add3_u32 v26, v15, v9, v7
	v_add3_u32 v24, v13, v1, v11
	s_cbranch_scc1 .LBB21_106
; %bb.107:
	v_mov_b32_e32 v1, v26
	s_and_b32 s6, s27, 3
	s_cmp_eq_u32 s6, 0
	s_cbranch_scc0 .LBB21_111
	s_branch .LBB21_113
.LBB21_108:
                                        ; implicit-def: $vgpr26
                                        ; implicit-def: $vgpr24
	s_branch .LBB21_114
.LBB21_109:
	v_mov_b32_e32 v26, 0
	v_mov_b32_e32 v24, 0
	s_branch .LBB21_113
.LBB21_110:
	v_mov_b32_e32 v24, 0
                                        ; implicit-def: $vgpr26
	v_mov_b32_e32 v1, v24
	v_mov_b32_e32 v5, v3
	s_and_b32 s6, s27, 3
	s_cmp_eq_u32 s6, 0
	s_cbranch_scc1 .LBB21_113
.LBB21_111:
	s_lshl_b32 s2, s26, 3
	s_add_u32 s2, s34, s2
	s_addc_u32 s3, s35, 0
	s_add_u32 s2, s2, 0xc4
	s_addc_u32 s3, s3, 0
	s_mul_i32 s4, s26, 12
	s_add_u32 s4, s34, s4
	s_addc_u32 s5, s35, 0
.LBB21_112:                             ; =>This Inner Loop Header: Depth=1
	s_load_dwordx2 s[8:9], s[4:5], 0x4
	s_load_dword s7, s[4:5], 0xc
	s_load_dwordx2 s[10:11], s[2:3], 0x0
	v_mov_b32_e32 v26, v1
	s_add_u32 s4, s4, 12
	s_waitcnt lgkmcnt(0)
	v_mul_hi_u32 v1, s9, v5
	v_add_u32_e32 v1, v5, v1
	v_lshrrev_b32_e32 v1, s7, v1
	s_addc_u32 s5, s5, 0
	v_mul_lo_u32 v7, v1, s8
	s_add_u32 s2, s2, 8
	v_sub_u32_e32 v7, v5, v7
	s_addc_u32 s3, s3, 0
	s_add_i32 s6, s6, -1
	v_mad_u64_u32 v[26:27], s[8:9], v7, s11, v[26:27]
	s_cmp_lg_u32 s6, 0
	v_mov_b32_e32 v5, v1
	v_mad_u64_u32 v[24:25], s[8:9], v7, s10, v[24:25]
	v_mov_b32_e32 v1, v26
	s_cbranch_scc1 .LBB21_112
.LBB21_113:
	s_cbranch_execnz .LBB21_116
.LBB21_114:
	s_load_dwordx4 s[4:7], s[34:35], 0x4
	s_load_dwordx2 s[2:3], s[34:35], 0xc4
	s_cmp_lt_u32 s33, 2
	s_waitcnt lgkmcnt(0)
	v_mul_hi_u32 v1, s5, v3
	v_add_u32_e32 v1, v3, v1
	v_lshrrev_b32_e32 v1, s6, v1
	v_mul_lo_u32 v5, v1, s4
	v_sub_u32_e32 v3, v3, v5
	v_mul_lo_u32 v26, v3, s3
	v_mul_lo_u32 v24, v3, s2
	s_cbranch_scc1 .LBB21_116
; %bb.115:
	s_load_dwordx4 s[4:7], s[34:35], 0x10
	s_load_dwordx2 s[2:3], s[34:35], 0xcc
	s_waitcnt lgkmcnt(0)
	v_mul_hi_u32 v3, s5, v1
	v_add_u32_e32 v3, v1, v3
	v_lshrrev_b32_e32 v3, s6, v3
	v_mul_lo_u32 v3, v3, s4
	v_sub_u32_e32 v1, v1, v3
	v_mad_u64_u32 v[24:25], s[4:5], v1, s2, v[24:25]
	v_mad_u64_u32 v[26:27], s[2:3], v1, s3, v[26:27]
.LBB21_116:
	s_and_b64 vcc, exec, s[0:1]
	s_cbranch_vccnz .LBB21_122
; %bb.117:
	s_cmp_lg_u32 s33, 0
	s_waitcnt lgkmcnt(0)
	s_mov_b32 s24, 0
	s_cbranch_scc0 .LBB21_123
; %bb.118:
	s_min_u32 s25, s54, 15
	s_add_i32 s25, s25, 1
	s_cmp_eq_u32 s54, 2
	s_cbranch_scc1 .LBB21_124
; %bb.119:
	s_and_b32 s24, s25, 28
	s_add_u32 s20, s34, 0xc4
	s_addc_u32 s21, s35, 0
	s_mov_b32 s26, 0
	v_mov_b32_e32 v28, 0
	v_mov_b32_e32 v30, 0
	s_mov_b64 s[22:23], s[34:35]
	v_mov_b32_e32 v3, v32
.LBB21_120:                             ; =>This Inner Loop Header: Depth=1
	s_load_dwordx8 s[8:15], s[22:23], 0x4
	s_load_dwordx4 s[16:19], s[22:23], 0x24
	s_load_dwordx8 s[0:7], s[20:21], 0x0
	s_add_u32 s22, s22, 48
	s_addc_u32 s23, s23, 0
	s_waitcnt lgkmcnt(0)
	v_mul_hi_u32 v1, s9, v3
	v_add_u32_e32 v1, v3, v1
	v_lshrrev_b32_e32 v1, s10, v1
	v_mul_lo_u32 v5, v1, s8
	v_mul_hi_u32 v7, s12, v1
	v_sub_u32_e32 v3, v3, v5
	v_add_u32_e32 v5, v1, v7
	v_lshrrev_b32_e32 v5, s13, v5
	v_mul_lo_u32 v9, v5, s11
	v_mul_hi_u32 v11, s15, v5
	v_sub_u32_e32 v1, v1, v9
	v_add_u32_e32 v9, v5, v11
	v_mul_lo_u32 v7, v3, s1
	v_mul_lo_u32 v3, v3, s0
	;; [unrolled: 1-line block ×4, first 2 shown]
	v_lshrrev_b32_e32 v9, s16, v9
	v_add3_u32 v1, v3, v28, v1
	v_add3_u32 v7, v7, v30, v11
	v_mul_lo_u32 v3, v9, s14
	v_mul_hi_u32 v11, s18, v9
	v_sub_u32_e32 v3, v5, v3
	v_add_u32_e32 v5, v9, v11
	v_mul_lo_u32 v11, v3, s4
	v_mul_lo_u32 v13, v3, s5
	v_lshrrev_b32_e32 v3, s19, v5
	s_add_i32 s26, s26, 4
	v_mul_lo_u32 v5, v3, s17
	s_add_u32 s20, s20, 32
	v_sub_u32_e32 v5, v9, v5
	s_addc_u32 s21, s21, 0
	v_mul_lo_u32 v9, v5, s6
	v_mul_lo_u32 v5, v5, s7
	s_cmp_lg_u32 s24, s26
	v_add3_u32 v30, v13, v7, v5
	v_add3_u32 v28, v11, v1, v9
	s_cbranch_scc1 .LBB21_120
; %bb.121:
	v_mov_b32_e32 v1, v30
	s_and_b32 s4, s25, 3
	s_cmp_eq_u32 s4, 0
	s_cbranch_scc0 .LBB21_125
	s_branch .LBB21_127
.LBB21_122:
                                        ; implicit-def: $vgpr30
                                        ; implicit-def: $vgpr28
	s_branch .LBB21_128
.LBB21_123:
	v_mov_b32_e32 v30, 0
	v_mov_b32_e32 v28, 0
	s_branch .LBB21_127
.LBB21_124:
	v_mov_b32_e32 v28, 0
                                        ; implicit-def: $vgpr30
	v_mov_b32_e32 v1, v28
	v_mov_b32_e32 v3, v32
	s_and_b32 s4, s25, 3
	s_cmp_eq_u32 s4, 0
	s_cbranch_scc1 .LBB21_127
.LBB21_125:
	s_lshl_b32 s0, s24, 3
	s_add_u32 s0, s34, s0
	s_addc_u32 s1, s35, 0
	s_add_u32 s0, s0, 0xc4
	s_addc_u32 s1, s1, 0
	s_mul_i32 s2, s24, 12
	s_add_u32 s2, s34, s2
	s_addc_u32 s3, s35, 0
.LBB21_126:                             ; =>This Inner Loop Header: Depth=1
	s_load_dwordx2 s[6:7], s[2:3], 0x4
	s_load_dword s5, s[2:3], 0xc
	s_load_dwordx2 s[8:9], s[0:1], 0x0
	v_mov_b32_e32 v30, v1
	s_add_u32 s2, s2, 12
	s_waitcnt lgkmcnt(0)
	v_mul_hi_u32 v1, s7, v3
	v_add_u32_e32 v1, v3, v1
	v_lshrrev_b32_e32 v1, s5, v1
	s_addc_u32 s3, s3, 0
	v_mul_lo_u32 v5, v1, s6
	s_add_u32 s0, s0, 8
	v_sub_u32_e32 v5, v3, v5
	s_addc_u32 s1, s1, 0
	s_add_i32 s4, s4, -1
	v_mad_u64_u32 v[30:31], s[6:7], v5, s9, v[30:31]
	s_cmp_lg_u32 s4, 0
	v_mov_b32_e32 v3, v1
	v_mad_u64_u32 v[28:29], s[6:7], v5, s8, v[28:29]
	v_mov_b32_e32 v1, v30
	s_cbranch_scc1 .LBB21_126
.LBB21_127:
	s_cbranch_execnz .LBB21_130
.LBB21_128:
	s_load_dwordx4 s[0:3], s[34:35], 0x4
	s_load_dwordx2 s[4:5], s[34:35], 0xc4
	s_cmp_lt_u32 s33, 2
	s_waitcnt lgkmcnt(0)
	v_mul_hi_u32 v1, s1, v32
	v_add_u32_e32 v1, v32, v1
	v_lshrrev_b32_e32 v1, s2, v1
	v_mul_lo_u32 v3, v1, s0
	v_sub_u32_e32 v3, v32, v3
	v_mul_lo_u32 v30, v3, s5
	v_mul_lo_u32 v28, v3, s4
	s_cbranch_scc1 .LBB21_130
; %bb.129:
	s_load_dwordx4 s[0:3], s[34:35], 0x10
	s_load_dwordx2 s[4:5], s[34:35], 0xcc
	s_waitcnt lgkmcnt(0)
	v_mul_hi_u32 v3, s1, v1
	v_add_u32_e32 v3, v1, v3
	v_lshrrev_b32_e32 v3, s2, v3
	v_mul_lo_u32 v3, v3, s0
	v_sub_u32_e32 v1, v1, v3
	v_mad_u64_u32 v[28:29], s[0:1], v1, s4, v[28:29]
	v_mad_u64_u32 v[30:31], s[0:1], v1, s5, v[30:31]
.LBB21_130:
	s_load_dwordx4 s[0:3], s[34:35], 0x148
	s_waitcnt lgkmcnt(0)
	global_load_ubyte v1, v2, s[2:3]
	global_load_ubyte v3, v6, s[2:3]
	;; [unrolled: 1-line block ×8, first 2 shown]
	s_waitcnt vmcnt(7)
	v_xor_b32_e32 v1, -1, v1
	s_waitcnt vmcnt(6)
	v_xor_b32_e32 v2, -1, v3
	;; [unrolled: 2-line block ×8, first 2 shown]
	global_store_byte v0, v1, s[0:1]
	global_store_byte v4, v2, s[0:1]
	;; [unrolled: 1-line block ×8, first 2 shown]
	s_endpgm
.LBB21_131:
	v_mov_b32_e32 v2, 0
	v_mov_b32_e32 v0, 0
	s_branch .LBB21_137
.LBB21_132:
	v_mov_b32_e32 v2, 0
	v_mov_b32_e32 v0, 0
	s_branch .LBB21_154
.LBB21_133:
	v_mov_b32_e32 v0, 0
	s_mov_b32 s57, 0
	v_mov_b32_e32 v1, v0
                                        ; implicit-def: $vgpr2
	v_mov_b32_e32 v4, v24
.LBB21_134:
	s_and_b32 s4, s58, 3
	s_cmp_eq_u32 s4, 0
	s_cbranch_scc1 .LBB21_137
; %bb.135:
	s_lshl_b32 s0, s57, 3
	s_add_u32 s0, s34, s0
	s_addc_u32 s1, s35, 0
	s_add_u32 s0, s0, 0xc4
	s_addc_u32 s1, s1, 0
	s_mul_i32 s2, s57, 12
	s_add_u32 s2, s34, s2
	s_addc_u32 s3, s35, 0
.LBB21_136:                             ; =>This Inner Loop Header: Depth=1
	s_load_dwordx2 s[6:7], s[2:3], 0x4
	s_load_dword s5, s[2:3], 0xc
	s_load_dwordx2 s[8:9], s[0:1], 0x0
	v_mov_b32_e32 v2, v1
	s_add_u32 s2, s2, 12
	s_waitcnt lgkmcnt(0)
	v_mul_hi_u32 v1, s7, v4
	v_add_u32_e32 v1, v4, v1
	v_lshrrev_b32_e32 v1, s5, v1
	s_addc_u32 s3, s3, 0
	v_mul_lo_u32 v3, v1, s6
	s_add_u32 s0, s0, 8
	v_sub_u32_e32 v5, v4, v3
	s_addc_u32 s1, s1, 0
	s_add_i32 s4, s4, -1
	v_mov_b32_e32 v4, v1
	v_mad_u64_u32 v[2:3], s[6:7], v5, s9, v[2:3]
	v_mad_u64_u32 v[0:1], s[6:7], v5, s8, v[0:1]
	s_cmp_lg_u32 s4, 0
	v_mov_b32_e32 v1, v2
	s_cbranch_scc1 .LBB21_136
.LBB21_137:
	s_cbranch_execnz .LBB21_140
.LBB21_138:
	s_waitcnt lgkmcnt(0)
	v_mul_hi_u32 v0, s25, v24
	v_add_u32_e32 v0, v24, v0
	v_lshrrev_b32_e32 v1, s26, v0
	v_mul_lo_u32 v0, v1, s24
	v_sub_u32_e32 v0, v24, v0
	v_mul_lo_u32 v2, v0, s21
	s_andn2_b64 vcc, exec, s[42:43]
	v_mul_lo_u32 v0, v0, s20
	s_cbranch_vccnz .LBB21_140
; %bb.139:
	v_mul_hi_u32 v3, s40, v1
	v_add_u32_e32 v3, v1, v3
	v_lshrrev_b32_e32 v3, s41, v3
	v_mul_lo_u32 v3, v3, s27
	v_sub_u32_e32 v3, v1, v3
	v_mad_u64_u32 v[0:1], s[0:1], v3, s22, v[0:1]
	v_mad_u64_u32 v[2:3], s[0:1], v3, s23, v[2:3]
.LBB21_140:
	s_waitcnt lgkmcnt(0)
	global_load_ubyte v1, v2, s[18:19]
	v_add_u32_e32 v24, 0x80, v24
	s_waitcnt vmcnt(0)
	v_xor_b32_e32 v1, -1, v1
	global_store_byte v0, v1, s[16:17]
	s_or_b64 exec, exec, s[48:49]
	v_cmp_gt_i32_e32 vcc, s55, v24
	s_and_saveexec_b64 s[48:49], vcc
	s_cbranch_execnz .LBB21_16
.LBB21_141:
	s_or_b64 exec, exec, s[48:49]
	v_cmp_gt_i32_e32 vcc, s55, v24
	s_and_saveexec_b64 s[48:49], vcc
	s_cbranch_execz .LBB21_158
.LBB21_142:
	s_andn2_b64 vcc, exec, s[36:37]
	s_cbranch_vccnz .LBB21_148
; %bb.143:
	s_andn2_b64 vcc, exec, s[46:47]
	s_cbranch_vccnz .LBB21_149
; %bb.144:
	s_add_i32 s58, s56, 1
	s_cmp_eq_u32 s54, 2
	s_cbranch_scc1 .LBB21_167
; %bb.145:
	s_and_b32 s57, s58, 28
	s_mov_b32 s59, 0
	v_mov_b32_e32 v0, 0
	v_mov_b32_e32 v2, 0
	s_mov_b64 s[50:51], s[34:35]
	s_mov_b64 s[52:53], s[44:45]
	v_mov_b32_e32 v4, v24
.LBB21_146:                             ; =>This Inner Loop Header: Depth=1
	s_load_dwordx8 s[8:15], s[50:51], 0x4
	s_load_dwordx4 s[28:31], s[50:51], 0x24
	s_load_dwordx8 s[0:7], s[52:53], 0x0
	s_add_u32 s50, s50, 48
	s_addc_u32 s51, s51, 0
	s_waitcnt lgkmcnt(0)
	v_mul_hi_u32 v1, s9, v4
	v_add_u32_e32 v1, v4, v1
	v_lshrrev_b32_e32 v1, s10, v1
	v_mul_lo_u32 v3, v1, s8
	v_mul_hi_u32 v5, s12, v1
	v_sub_u32_e32 v3, v4, v3
	v_add_u32_e32 v4, v1, v5
	v_lshrrev_b32_e32 v4, s13, v4
	v_mul_lo_u32 v6, v4, s11
	v_mul_hi_u32 v7, s15, v4
	v_sub_u32_e32 v1, v1, v6
	v_add_u32_e32 v6, v4, v7
	v_mul_lo_u32 v5, v3, s1
	v_mul_lo_u32 v3, v3, s0
	;; [unrolled: 1-line block ×4, first 2 shown]
	v_lshrrev_b32_e32 v6, s28, v6
	v_add3_u32 v0, v3, v0, v1
	v_mul_hi_u32 v3, s30, v6
	v_add3_u32 v1, v5, v2, v7
	v_mul_lo_u32 v2, v6, s14
	v_add_u32_e32 v3, v6, v3
	v_sub_u32_e32 v2, v4, v2
	v_lshrrev_b32_e32 v4, s31, v3
	s_add_i32 s59, s59, 4
	v_mul_lo_u32 v3, v4, s29
	s_add_u32 s52, s52, 32
	v_sub_u32_e32 v3, v6, v3
	s_addc_u32 s53, s53, 0
	v_mul_lo_u32 v5, v2, s4
	v_mul_lo_u32 v2, v2, s5
	;; [unrolled: 1-line block ×4, first 2 shown]
	s_cmp_eq_u32 s57, s59
	v_add3_u32 v2, v2, v1, v3
	v_add3_u32 v0, v5, v0, v6
	s_cbranch_scc0 .LBB21_146
; %bb.147:
	v_mov_b32_e32 v1, v2
	s_branch .LBB21_168
.LBB21_148:
                                        ; implicit-def: $vgpr2
                                        ; implicit-def: $vgpr0
	s_branch .LBB21_172
.LBB21_149:
	v_mov_b32_e32 v2, 0
	v_mov_b32_e32 v0, 0
	s_branch .LBB21_171
.LBB21_150:
	v_mov_b32_e32 v0, 0
	s_mov_b32 s57, 0
	v_mov_b32_e32 v1, v0
                                        ; implicit-def: $vgpr2
	v_mov_b32_e32 v4, v24
.LBB21_151:
	s_and_b32 s4, s58, 3
	s_cmp_eq_u32 s4, 0
	s_cbranch_scc1 .LBB21_154
; %bb.152:
	s_lshl_b32 s0, s57, 3
	s_add_u32 s0, s34, s0
	s_addc_u32 s1, s35, 0
	s_add_u32 s0, s0, 0xc4
	s_addc_u32 s1, s1, 0
	s_mul_i32 s2, s57, 12
	s_add_u32 s2, s34, s2
	s_addc_u32 s3, s35, 0
.LBB21_153:                             ; =>This Inner Loop Header: Depth=1
	s_load_dwordx2 s[6:7], s[2:3], 0x4
	s_load_dword s5, s[2:3], 0xc
	s_load_dwordx2 s[8:9], s[0:1], 0x0
	v_mov_b32_e32 v2, v1
	s_add_u32 s2, s2, 12
	s_waitcnt lgkmcnt(0)
	v_mul_hi_u32 v1, s7, v4
	v_add_u32_e32 v1, v4, v1
	v_lshrrev_b32_e32 v1, s5, v1
	s_addc_u32 s3, s3, 0
	v_mul_lo_u32 v3, v1, s6
	s_add_u32 s0, s0, 8
	v_sub_u32_e32 v5, v4, v3
	s_addc_u32 s1, s1, 0
	s_add_i32 s4, s4, -1
	v_mov_b32_e32 v4, v1
	v_mad_u64_u32 v[2:3], s[6:7], v5, s9, v[2:3]
	v_mad_u64_u32 v[0:1], s[6:7], v5, s8, v[0:1]
	s_cmp_lg_u32 s4, 0
	v_mov_b32_e32 v1, v2
	s_cbranch_scc1 .LBB21_153
.LBB21_154:
	s_cbranch_execnz .LBB21_157
.LBB21_155:
	s_waitcnt lgkmcnt(0)
	v_mul_hi_u32 v0, s25, v24
	v_add_u32_e32 v0, v24, v0
	v_lshrrev_b32_e32 v1, s26, v0
	v_mul_lo_u32 v0, v1, s24
	v_sub_u32_e32 v0, v24, v0
	v_mul_lo_u32 v2, v0, s21
	s_andn2_b64 vcc, exec, s[42:43]
	v_mul_lo_u32 v0, v0, s20
	s_cbranch_vccnz .LBB21_157
; %bb.156:
	v_mul_hi_u32 v3, s40, v1
	v_add_u32_e32 v3, v1, v3
	v_lshrrev_b32_e32 v3, s41, v3
	v_mul_lo_u32 v3, v3, s27
	v_sub_u32_e32 v3, v1, v3
	v_mad_u64_u32 v[0:1], s[0:1], v3, s22, v[0:1]
	v_mad_u64_u32 v[2:3], s[0:1], v3, s23, v[2:3]
.LBB21_157:
	s_waitcnt lgkmcnt(0)
	global_load_ubyte v1, v2, s[18:19]
	v_add_u32_e32 v24, 0x80, v24
	s_waitcnt vmcnt(0)
	v_xor_b32_e32 v1, -1, v1
	global_store_byte v0, v1, s[16:17]
	s_or_b64 exec, exec, s[48:49]
	v_cmp_gt_i32_e32 vcc, s55, v24
	s_and_saveexec_b64 s[48:49], vcc
	s_cbranch_execnz .LBB21_142
.LBB21_158:
	s_or_b64 exec, exec, s[48:49]
	v_cmp_gt_i32_e32 vcc, s55, v24
	s_and_saveexec_b64 s[48:49], vcc
	s_cbranch_execz .LBB21_175
.LBB21_159:
	s_andn2_b64 vcc, exec, s[36:37]
	s_cbranch_vccnz .LBB21_165
; %bb.160:
	s_andn2_b64 vcc, exec, s[46:47]
	s_cbranch_vccnz .LBB21_166
; %bb.161:
	s_add_i32 s58, s56, 1
	s_cmp_eq_u32 s54, 2
	s_cbranch_scc1 .LBB21_184
; %bb.162:
	s_and_b32 s57, s58, 28
	s_mov_b32 s59, 0
	v_mov_b32_e32 v0, 0
	v_mov_b32_e32 v2, 0
	s_mov_b64 s[50:51], s[34:35]
	s_mov_b64 s[52:53], s[44:45]
	v_mov_b32_e32 v4, v24
.LBB21_163:                             ; =>This Inner Loop Header: Depth=1
	s_load_dwordx8 s[8:15], s[50:51], 0x4
	s_load_dwordx4 s[28:31], s[50:51], 0x24
	s_load_dwordx8 s[0:7], s[52:53], 0x0
	s_add_u32 s50, s50, 48
	s_addc_u32 s51, s51, 0
	s_waitcnt lgkmcnt(0)
	v_mul_hi_u32 v1, s9, v4
	v_add_u32_e32 v1, v4, v1
	v_lshrrev_b32_e32 v1, s10, v1
	v_mul_lo_u32 v3, v1, s8
	v_mul_hi_u32 v5, s12, v1
	v_sub_u32_e32 v3, v4, v3
	v_add_u32_e32 v4, v1, v5
	v_lshrrev_b32_e32 v4, s13, v4
	v_mul_lo_u32 v6, v4, s11
	v_mul_hi_u32 v7, s15, v4
	v_sub_u32_e32 v1, v1, v6
	v_add_u32_e32 v6, v4, v7
	v_mul_lo_u32 v5, v3, s1
	v_mul_lo_u32 v3, v3, s0
	;; [unrolled: 1-line block ×4, first 2 shown]
	v_lshrrev_b32_e32 v6, s28, v6
	v_add3_u32 v0, v3, v0, v1
	v_mul_hi_u32 v3, s30, v6
	v_add3_u32 v1, v5, v2, v7
	v_mul_lo_u32 v2, v6, s14
	v_add_u32_e32 v3, v6, v3
	v_sub_u32_e32 v2, v4, v2
	v_lshrrev_b32_e32 v4, s31, v3
	s_add_i32 s59, s59, 4
	v_mul_lo_u32 v3, v4, s29
	s_add_u32 s52, s52, 32
	v_sub_u32_e32 v3, v6, v3
	s_addc_u32 s53, s53, 0
	v_mul_lo_u32 v5, v2, s4
	v_mul_lo_u32 v2, v2, s5
	;; [unrolled: 1-line block ×4, first 2 shown]
	s_cmp_eq_u32 s57, s59
	v_add3_u32 v2, v2, v1, v3
	v_add3_u32 v0, v5, v0, v6
	s_cbranch_scc0 .LBB21_163
; %bb.164:
	v_mov_b32_e32 v1, v2
	s_branch .LBB21_185
.LBB21_165:
                                        ; implicit-def: $vgpr2
                                        ; implicit-def: $vgpr0
	s_branch .LBB21_189
.LBB21_166:
	v_mov_b32_e32 v2, 0
	v_mov_b32_e32 v0, 0
	s_branch .LBB21_188
.LBB21_167:
	v_mov_b32_e32 v0, 0
	s_mov_b32 s57, 0
	v_mov_b32_e32 v1, v0
                                        ; implicit-def: $vgpr2
	v_mov_b32_e32 v4, v24
.LBB21_168:
	s_and_b32 s4, s58, 3
	s_cmp_eq_u32 s4, 0
	s_cbranch_scc1 .LBB21_171
; %bb.169:
	s_lshl_b32 s0, s57, 3
	s_add_u32 s0, s34, s0
	s_addc_u32 s1, s35, 0
	s_add_u32 s0, s0, 0xc4
	s_addc_u32 s1, s1, 0
	s_mul_i32 s2, s57, 12
	s_add_u32 s2, s34, s2
	s_addc_u32 s3, s35, 0
.LBB21_170:                             ; =>This Inner Loop Header: Depth=1
	s_load_dwordx2 s[6:7], s[2:3], 0x4
	s_load_dword s5, s[2:3], 0xc
	s_load_dwordx2 s[8:9], s[0:1], 0x0
	v_mov_b32_e32 v2, v1
	s_add_u32 s2, s2, 12
	s_waitcnt lgkmcnt(0)
	v_mul_hi_u32 v1, s7, v4
	v_add_u32_e32 v1, v4, v1
	v_lshrrev_b32_e32 v1, s5, v1
	s_addc_u32 s3, s3, 0
	v_mul_lo_u32 v3, v1, s6
	s_add_u32 s0, s0, 8
	v_sub_u32_e32 v5, v4, v3
	s_addc_u32 s1, s1, 0
	s_add_i32 s4, s4, -1
	v_mov_b32_e32 v4, v1
	v_mad_u64_u32 v[2:3], s[6:7], v5, s9, v[2:3]
	v_mad_u64_u32 v[0:1], s[6:7], v5, s8, v[0:1]
	s_cmp_lg_u32 s4, 0
	v_mov_b32_e32 v1, v2
	s_cbranch_scc1 .LBB21_170
.LBB21_171:
	s_cbranch_execnz .LBB21_174
.LBB21_172:
	s_waitcnt lgkmcnt(0)
	v_mul_hi_u32 v0, s25, v24
	v_add_u32_e32 v0, v24, v0
	v_lshrrev_b32_e32 v1, s26, v0
	v_mul_lo_u32 v0, v1, s24
	v_sub_u32_e32 v0, v24, v0
	v_mul_lo_u32 v2, v0, s21
	s_andn2_b64 vcc, exec, s[42:43]
	v_mul_lo_u32 v0, v0, s20
	s_cbranch_vccnz .LBB21_174
; %bb.173:
	v_mul_hi_u32 v3, s40, v1
	v_add_u32_e32 v3, v1, v3
	v_lshrrev_b32_e32 v3, s41, v3
	v_mul_lo_u32 v3, v3, s27
	v_sub_u32_e32 v3, v1, v3
	v_mad_u64_u32 v[0:1], s[0:1], v3, s22, v[0:1]
	v_mad_u64_u32 v[2:3], s[0:1], v3, s23, v[2:3]
.LBB21_174:
	s_waitcnt lgkmcnt(0)
	global_load_ubyte v1, v2, s[18:19]
	v_add_u32_e32 v24, 0x80, v24
	s_waitcnt vmcnt(0)
	v_xor_b32_e32 v1, -1, v1
	global_store_byte v0, v1, s[16:17]
	s_or_b64 exec, exec, s[48:49]
	v_cmp_gt_i32_e32 vcc, s55, v24
	s_and_saveexec_b64 s[48:49], vcc
	s_cbranch_execnz .LBB21_159
.LBB21_175:
	s_or_b64 exec, exec, s[48:49]
	v_cmp_gt_i32_e32 vcc, s55, v24
	s_and_saveexec_b64 s[48:49], vcc
	s_cbranch_execz .LBB21_192
.LBB21_176:
	s_andn2_b64 vcc, exec, s[36:37]
	s_cbranch_vccnz .LBB21_182
; %bb.177:
	s_andn2_b64 vcc, exec, s[46:47]
	s_cbranch_vccnz .LBB21_183
; %bb.178:
	s_add_i32 s58, s56, 1
	s_cmp_eq_u32 s54, 2
	s_cbranch_scc1 .LBB21_201
; %bb.179:
	s_and_b32 s57, s58, 28
	s_mov_b32 s59, 0
	v_mov_b32_e32 v0, 0
	v_mov_b32_e32 v2, 0
	s_mov_b64 s[50:51], s[34:35]
	s_mov_b64 s[52:53], s[44:45]
	v_mov_b32_e32 v4, v24
.LBB21_180:                             ; =>This Inner Loop Header: Depth=1
	s_load_dwordx8 s[8:15], s[50:51], 0x4
	s_load_dwordx4 s[28:31], s[50:51], 0x24
	s_load_dwordx8 s[0:7], s[52:53], 0x0
	s_add_u32 s50, s50, 48
	s_addc_u32 s51, s51, 0
	s_waitcnt lgkmcnt(0)
	v_mul_hi_u32 v1, s9, v4
	v_add_u32_e32 v1, v4, v1
	v_lshrrev_b32_e32 v1, s10, v1
	v_mul_lo_u32 v3, v1, s8
	v_mul_hi_u32 v5, s12, v1
	v_sub_u32_e32 v3, v4, v3
	v_add_u32_e32 v4, v1, v5
	v_lshrrev_b32_e32 v4, s13, v4
	v_mul_lo_u32 v6, v4, s11
	v_mul_hi_u32 v7, s15, v4
	v_sub_u32_e32 v1, v1, v6
	v_add_u32_e32 v6, v4, v7
	v_mul_lo_u32 v5, v3, s1
	v_mul_lo_u32 v3, v3, s0
	;; [unrolled: 1-line block ×4, first 2 shown]
	v_lshrrev_b32_e32 v6, s28, v6
	v_add3_u32 v0, v3, v0, v1
	v_mul_hi_u32 v3, s30, v6
	v_add3_u32 v1, v5, v2, v7
	v_mul_lo_u32 v2, v6, s14
	v_add_u32_e32 v3, v6, v3
	v_sub_u32_e32 v2, v4, v2
	v_lshrrev_b32_e32 v4, s31, v3
	s_add_i32 s59, s59, 4
	v_mul_lo_u32 v3, v4, s29
	s_add_u32 s52, s52, 32
	v_sub_u32_e32 v3, v6, v3
	s_addc_u32 s53, s53, 0
	v_mul_lo_u32 v5, v2, s4
	v_mul_lo_u32 v2, v2, s5
	;; [unrolled: 1-line block ×4, first 2 shown]
	s_cmp_eq_u32 s57, s59
	v_add3_u32 v2, v2, v1, v3
	v_add3_u32 v0, v5, v0, v6
	s_cbranch_scc0 .LBB21_180
; %bb.181:
	v_mov_b32_e32 v1, v2
	s_branch .LBB21_202
.LBB21_182:
                                        ; implicit-def: $vgpr2
                                        ; implicit-def: $vgpr0
	s_branch .LBB21_206
.LBB21_183:
	v_mov_b32_e32 v2, 0
	v_mov_b32_e32 v0, 0
	s_branch .LBB21_205
.LBB21_184:
	v_mov_b32_e32 v0, 0
	s_mov_b32 s57, 0
	v_mov_b32_e32 v1, v0
                                        ; implicit-def: $vgpr2
	v_mov_b32_e32 v4, v24
.LBB21_185:
	s_and_b32 s4, s58, 3
	s_cmp_eq_u32 s4, 0
	s_cbranch_scc1 .LBB21_188
; %bb.186:
	s_lshl_b32 s0, s57, 3
	s_add_u32 s0, s34, s0
	s_addc_u32 s1, s35, 0
	s_add_u32 s0, s0, 0xc4
	s_addc_u32 s1, s1, 0
	s_mul_i32 s2, s57, 12
	s_add_u32 s2, s34, s2
	s_addc_u32 s3, s35, 0
.LBB21_187:                             ; =>This Inner Loop Header: Depth=1
	s_load_dwordx2 s[6:7], s[2:3], 0x4
	s_load_dword s5, s[2:3], 0xc
	s_load_dwordx2 s[8:9], s[0:1], 0x0
	v_mov_b32_e32 v2, v1
	s_add_u32 s2, s2, 12
	s_waitcnt lgkmcnt(0)
	v_mul_hi_u32 v1, s7, v4
	v_add_u32_e32 v1, v4, v1
	v_lshrrev_b32_e32 v1, s5, v1
	s_addc_u32 s3, s3, 0
	v_mul_lo_u32 v3, v1, s6
	s_add_u32 s0, s0, 8
	v_sub_u32_e32 v5, v4, v3
	s_addc_u32 s1, s1, 0
	s_add_i32 s4, s4, -1
	v_mov_b32_e32 v4, v1
	v_mad_u64_u32 v[2:3], s[6:7], v5, s9, v[2:3]
	v_mad_u64_u32 v[0:1], s[6:7], v5, s8, v[0:1]
	s_cmp_lg_u32 s4, 0
	v_mov_b32_e32 v1, v2
	s_cbranch_scc1 .LBB21_187
.LBB21_188:
	s_cbranch_execnz .LBB21_191
.LBB21_189:
	s_waitcnt lgkmcnt(0)
	v_mul_hi_u32 v0, s25, v24
	v_add_u32_e32 v0, v24, v0
	v_lshrrev_b32_e32 v1, s26, v0
	v_mul_lo_u32 v0, v1, s24
	v_sub_u32_e32 v0, v24, v0
	v_mul_lo_u32 v2, v0, s21
	s_andn2_b64 vcc, exec, s[42:43]
	v_mul_lo_u32 v0, v0, s20
	s_cbranch_vccnz .LBB21_191
; %bb.190:
	v_mul_hi_u32 v3, s40, v1
	v_add_u32_e32 v3, v1, v3
	v_lshrrev_b32_e32 v3, s41, v3
	v_mul_lo_u32 v3, v3, s27
	v_sub_u32_e32 v3, v1, v3
	v_mad_u64_u32 v[0:1], s[0:1], v3, s22, v[0:1]
	v_mad_u64_u32 v[2:3], s[0:1], v3, s23, v[2:3]
.LBB21_191:
	s_waitcnt lgkmcnt(0)
	global_load_ubyte v1, v2, s[18:19]
	v_add_u32_e32 v24, 0x80, v24
	s_waitcnt vmcnt(0)
	v_xor_b32_e32 v1, -1, v1
	global_store_byte v0, v1, s[16:17]
	s_or_b64 exec, exec, s[48:49]
	v_cmp_gt_i32_e32 vcc, s55, v24
	s_and_saveexec_b64 s[48:49], vcc
	s_cbranch_execnz .LBB21_176
.LBB21_192:
	s_or_b64 exec, exec, s[48:49]
	v_cmp_gt_i32_e32 vcc, s55, v24
	s_and_saveexec_b64 s[48:49], vcc
	s_cbranch_execz .LBB21_209
.LBB21_193:
	s_andn2_b64 vcc, exec, s[36:37]
	s_cbranch_vccnz .LBB21_199
; %bb.194:
	s_andn2_b64 vcc, exec, s[46:47]
	s_cbranch_vccnz .LBB21_200
; %bb.195:
	s_add_i32 s58, s56, 1
	s_cmp_eq_u32 s54, 2
	s_cbranch_scc1 .LBB21_218
; %bb.196:
	s_and_b32 s57, s58, 28
	s_mov_b32 s59, 0
	v_mov_b32_e32 v0, 0
	v_mov_b32_e32 v2, 0
	s_mov_b64 s[50:51], s[34:35]
	s_mov_b64 s[52:53], s[44:45]
	v_mov_b32_e32 v4, v24
.LBB21_197:                             ; =>This Inner Loop Header: Depth=1
	s_load_dwordx8 s[8:15], s[50:51], 0x4
	s_load_dwordx4 s[28:31], s[50:51], 0x24
	s_load_dwordx8 s[0:7], s[52:53], 0x0
	s_add_u32 s50, s50, 48
	s_addc_u32 s51, s51, 0
	s_waitcnt lgkmcnt(0)
	v_mul_hi_u32 v1, s9, v4
	v_add_u32_e32 v1, v4, v1
	v_lshrrev_b32_e32 v1, s10, v1
	v_mul_lo_u32 v3, v1, s8
	v_mul_hi_u32 v5, s12, v1
	v_sub_u32_e32 v3, v4, v3
	v_add_u32_e32 v4, v1, v5
	v_lshrrev_b32_e32 v4, s13, v4
	v_mul_lo_u32 v6, v4, s11
	v_mul_hi_u32 v7, s15, v4
	v_sub_u32_e32 v1, v1, v6
	v_add_u32_e32 v6, v4, v7
	v_mul_lo_u32 v5, v3, s1
	v_mul_lo_u32 v3, v3, s0
	;; [unrolled: 1-line block ×4, first 2 shown]
	v_lshrrev_b32_e32 v6, s28, v6
	v_add3_u32 v0, v3, v0, v1
	v_mul_hi_u32 v3, s30, v6
	v_add3_u32 v1, v5, v2, v7
	v_mul_lo_u32 v2, v6, s14
	v_add_u32_e32 v3, v6, v3
	v_sub_u32_e32 v2, v4, v2
	v_lshrrev_b32_e32 v4, s31, v3
	s_add_i32 s59, s59, 4
	v_mul_lo_u32 v3, v4, s29
	s_add_u32 s52, s52, 32
	v_sub_u32_e32 v3, v6, v3
	s_addc_u32 s53, s53, 0
	v_mul_lo_u32 v5, v2, s4
	v_mul_lo_u32 v2, v2, s5
	;; [unrolled: 1-line block ×4, first 2 shown]
	s_cmp_eq_u32 s57, s59
	v_add3_u32 v2, v2, v1, v3
	v_add3_u32 v0, v5, v0, v6
	s_cbranch_scc0 .LBB21_197
; %bb.198:
	v_mov_b32_e32 v1, v2
	s_branch .LBB21_219
.LBB21_199:
                                        ; implicit-def: $vgpr2
                                        ; implicit-def: $vgpr0
	s_branch .LBB21_223
.LBB21_200:
	v_mov_b32_e32 v2, 0
	v_mov_b32_e32 v0, 0
	s_branch .LBB21_222
.LBB21_201:
	v_mov_b32_e32 v0, 0
	s_mov_b32 s57, 0
	v_mov_b32_e32 v1, v0
                                        ; implicit-def: $vgpr2
	v_mov_b32_e32 v4, v24
.LBB21_202:
	s_and_b32 s4, s58, 3
	s_cmp_eq_u32 s4, 0
	s_cbranch_scc1 .LBB21_205
; %bb.203:
	s_lshl_b32 s0, s57, 3
	s_add_u32 s0, s34, s0
	s_addc_u32 s1, s35, 0
	s_add_u32 s0, s0, 0xc4
	s_addc_u32 s1, s1, 0
	s_mul_i32 s2, s57, 12
	s_add_u32 s2, s34, s2
	s_addc_u32 s3, s35, 0
.LBB21_204:                             ; =>This Inner Loop Header: Depth=1
	s_load_dwordx2 s[6:7], s[2:3], 0x4
	s_load_dword s5, s[2:3], 0xc
	s_load_dwordx2 s[8:9], s[0:1], 0x0
	v_mov_b32_e32 v2, v1
	s_add_u32 s2, s2, 12
	s_waitcnt lgkmcnt(0)
	v_mul_hi_u32 v1, s7, v4
	v_add_u32_e32 v1, v4, v1
	v_lshrrev_b32_e32 v1, s5, v1
	s_addc_u32 s3, s3, 0
	v_mul_lo_u32 v3, v1, s6
	s_add_u32 s0, s0, 8
	v_sub_u32_e32 v5, v4, v3
	s_addc_u32 s1, s1, 0
	s_add_i32 s4, s4, -1
	v_mov_b32_e32 v4, v1
	v_mad_u64_u32 v[2:3], s[6:7], v5, s9, v[2:3]
	v_mad_u64_u32 v[0:1], s[6:7], v5, s8, v[0:1]
	s_cmp_lg_u32 s4, 0
	v_mov_b32_e32 v1, v2
	s_cbranch_scc1 .LBB21_204
.LBB21_205:
	s_cbranch_execnz .LBB21_208
.LBB21_206:
	s_waitcnt lgkmcnt(0)
	v_mul_hi_u32 v0, s25, v24
	v_add_u32_e32 v0, v24, v0
	v_lshrrev_b32_e32 v1, s26, v0
	v_mul_lo_u32 v0, v1, s24
	v_sub_u32_e32 v0, v24, v0
	v_mul_lo_u32 v2, v0, s21
	s_andn2_b64 vcc, exec, s[42:43]
	v_mul_lo_u32 v0, v0, s20
	s_cbranch_vccnz .LBB21_208
; %bb.207:
	v_mul_hi_u32 v3, s40, v1
	v_add_u32_e32 v3, v1, v3
	v_lshrrev_b32_e32 v3, s41, v3
	v_mul_lo_u32 v3, v3, s27
	v_sub_u32_e32 v3, v1, v3
	v_mad_u64_u32 v[0:1], s[0:1], v3, s22, v[0:1]
	v_mad_u64_u32 v[2:3], s[0:1], v3, s23, v[2:3]
.LBB21_208:
	s_waitcnt lgkmcnt(0)
	global_load_ubyte v1, v2, s[18:19]
	v_add_u32_e32 v24, 0x80, v24
	s_waitcnt vmcnt(0)
	v_xor_b32_e32 v1, -1, v1
	global_store_byte v0, v1, s[16:17]
	s_or_b64 exec, exec, s[48:49]
	v_cmp_gt_i32_e32 vcc, s55, v24
	s_and_saveexec_b64 s[48:49], vcc
	s_cbranch_execnz .LBB21_193
.LBB21_209:
	s_or_b64 exec, exec, s[48:49]
	v_cmp_gt_i32_e32 vcc, s55, v24
	s_and_saveexec_b64 s[48:49], vcc
	s_cbranch_execz .LBB21_226
.LBB21_210:
	s_andn2_b64 vcc, exec, s[36:37]
	s_cbranch_vccnz .LBB21_216
; %bb.211:
	s_andn2_b64 vcc, exec, s[46:47]
	s_cbranch_vccnz .LBB21_217
; %bb.212:
	s_add_i32 s58, s56, 1
	s_cmp_eq_u32 s54, 2
	s_cbranch_scc1 .LBB21_229
; %bb.213:
	s_and_b32 s57, s58, 28
	s_mov_b32 s59, 0
	v_mov_b32_e32 v0, 0
	v_mov_b32_e32 v2, 0
	s_mov_b64 s[50:51], s[34:35]
	s_mov_b64 s[52:53], s[44:45]
	v_mov_b32_e32 v4, v24
.LBB21_214:                             ; =>This Inner Loop Header: Depth=1
	s_load_dwordx8 s[8:15], s[50:51], 0x4
	s_load_dwordx4 s[28:31], s[50:51], 0x24
	s_load_dwordx8 s[0:7], s[52:53], 0x0
	s_add_u32 s50, s50, 48
	s_addc_u32 s51, s51, 0
	s_waitcnt lgkmcnt(0)
	v_mul_hi_u32 v1, s9, v4
	v_add_u32_e32 v1, v4, v1
	v_lshrrev_b32_e32 v1, s10, v1
	v_mul_lo_u32 v3, v1, s8
	v_mul_hi_u32 v5, s12, v1
	v_sub_u32_e32 v3, v4, v3
	v_add_u32_e32 v4, v1, v5
	v_lshrrev_b32_e32 v4, s13, v4
	v_mul_lo_u32 v6, v4, s11
	v_mul_hi_u32 v7, s15, v4
	v_sub_u32_e32 v1, v1, v6
	v_add_u32_e32 v6, v4, v7
	v_mul_lo_u32 v5, v3, s1
	v_mul_lo_u32 v3, v3, s0
	;; [unrolled: 1-line block ×4, first 2 shown]
	v_lshrrev_b32_e32 v6, s28, v6
	v_add3_u32 v0, v3, v0, v1
	v_mul_hi_u32 v3, s30, v6
	v_add3_u32 v1, v5, v2, v7
	v_mul_lo_u32 v2, v6, s14
	v_add_u32_e32 v3, v6, v3
	v_sub_u32_e32 v2, v4, v2
	v_lshrrev_b32_e32 v4, s31, v3
	s_add_i32 s59, s59, 4
	v_mul_lo_u32 v3, v4, s29
	s_add_u32 s52, s52, 32
	v_sub_u32_e32 v3, v6, v3
	s_addc_u32 s53, s53, 0
	v_mul_lo_u32 v5, v2, s4
	v_mul_lo_u32 v2, v2, s5
	;; [unrolled: 1-line block ×4, first 2 shown]
	s_cmp_eq_u32 s57, s59
	v_add3_u32 v2, v2, v1, v3
	v_add3_u32 v0, v5, v0, v6
	s_cbranch_scc0 .LBB21_214
; %bb.215:
	v_mov_b32_e32 v1, v2
	s_branch .LBB21_230
.LBB21_216:
                                        ; implicit-def: $vgpr2
                                        ; implicit-def: $vgpr0
	s_branch .LBB21_234
.LBB21_217:
	v_mov_b32_e32 v2, 0
	v_mov_b32_e32 v0, 0
	s_branch .LBB21_233
.LBB21_218:
	v_mov_b32_e32 v0, 0
	s_mov_b32 s57, 0
	v_mov_b32_e32 v1, v0
                                        ; implicit-def: $vgpr2
	v_mov_b32_e32 v4, v24
.LBB21_219:
	s_and_b32 s4, s58, 3
	s_cmp_eq_u32 s4, 0
	s_cbranch_scc1 .LBB21_222
; %bb.220:
	s_lshl_b32 s0, s57, 3
	s_add_u32 s0, s34, s0
	s_addc_u32 s1, s35, 0
	s_add_u32 s0, s0, 0xc4
	s_addc_u32 s1, s1, 0
	s_mul_i32 s2, s57, 12
	s_add_u32 s2, s34, s2
	s_addc_u32 s3, s35, 0
.LBB21_221:                             ; =>This Inner Loop Header: Depth=1
	s_load_dwordx2 s[6:7], s[2:3], 0x4
	s_load_dword s5, s[2:3], 0xc
	s_load_dwordx2 s[8:9], s[0:1], 0x0
	v_mov_b32_e32 v2, v1
	s_add_u32 s2, s2, 12
	s_waitcnt lgkmcnt(0)
	v_mul_hi_u32 v1, s7, v4
	v_add_u32_e32 v1, v4, v1
	v_lshrrev_b32_e32 v1, s5, v1
	s_addc_u32 s3, s3, 0
	v_mul_lo_u32 v3, v1, s6
	s_add_u32 s0, s0, 8
	v_sub_u32_e32 v5, v4, v3
	s_addc_u32 s1, s1, 0
	s_add_i32 s4, s4, -1
	v_mov_b32_e32 v4, v1
	v_mad_u64_u32 v[2:3], s[6:7], v5, s9, v[2:3]
	v_mad_u64_u32 v[0:1], s[6:7], v5, s8, v[0:1]
	s_cmp_lg_u32 s4, 0
	v_mov_b32_e32 v1, v2
	s_cbranch_scc1 .LBB21_221
.LBB21_222:
	s_cbranch_execnz .LBB21_225
.LBB21_223:
	s_waitcnt lgkmcnt(0)
	v_mul_hi_u32 v0, s25, v24
	v_add_u32_e32 v0, v24, v0
	v_lshrrev_b32_e32 v1, s26, v0
	v_mul_lo_u32 v0, v1, s24
	v_sub_u32_e32 v0, v24, v0
	v_mul_lo_u32 v2, v0, s21
	s_andn2_b64 vcc, exec, s[42:43]
	v_mul_lo_u32 v0, v0, s20
	s_cbranch_vccnz .LBB21_225
; %bb.224:
	v_mul_hi_u32 v3, s40, v1
	v_add_u32_e32 v3, v1, v3
	v_lshrrev_b32_e32 v3, s41, v3
	v_mul_lo_u32 v3, v3, s27
	v_sub_u32_e32 v3, v1, v3
	v_mad_u64_u32 v[0:1], s[0:1], v3, s22, v[0:1]
	v_mad_u64_u32 v[2:3], s[0:1], v3, s23, v[2:3]
.LBB21_225:
	s_waitcnt lgkmcnt(0)
	global_load_ubyte v1, v2, s[18:19]
	v_add_u32_e32 v24, 0x80, v24
	s_waitcnt vmcnt(0)
	v_xor_b32_e32 v1, -1, v1
	global_store_byte v0, v1, s[16:17]
	s_or_b64 exec, exec, s[48:49]
	v_cmp_gt_i32_e32 vcc, s55, v24
	s_and_saveexec_b64 s[48:49], vcc
	s_cbranch_execnz .LBB21_210
.LBB21_226:
	s_or_b64 exec, exec, s[48:49]
	v_cmp_gt_i32_e32 vcc, s55, v24
	s_and_saveexec_b64 s[48:49], vcc
	s_cbranch_execnz .LBB21_237
.LBB21_227:
	s_or_b64 exec, exec, s[48:49]
                                        ; implicit-def: $vgpr32
                                        ; implicit-def: $vgpr24
	s_andn2_saveexec_b64 s[0:1], s[38:39]
	s_cbranch_execnz .LBB21_9
.LBB21_228:
	s_endpgm
.LBB21_229:
	v_mov_b32_e32 v0, 0
	s_mov_b32 s57, 0
	v_mov_b32_e32 v1, v0
                                        ; implicit-def: $vgpr2
	v_mov_b32_e32 v4, v24
.LBB21_230:
	s_and_b32 s4, s58, 3
	s_cmp_eq_u32 s4, 0
	s_cbranch_scc1 .LBB21_233
; %bb.231:
	s_lshl_b32 s0, s57, 3
	s_add_u32 s0, s34, s0
	s_addc_u32 s1, s35, 0
	s_add_u32 s0, s0, 0xc4
	s_addc_u32 s1, s1, 0
	s_mul_i32 s2, s57, 12
	s_add_u32 s2, s34, s2
	s_addc_u32 s3, s35, 0
.LBB21_232:                             ; =>This Inner Loop Header: Depth=1
	s_load_dwordx2 s[6:7], s[2:3], 0x4
	s_load_dword s5, s[2:3], 0xc
	s_load_dwordx2 s[8:9], s[0:1], 0x0
	v_mov_b32_e32 v2, v1
	s_add_u32 s2, s2, 12
	s_waitcnt lgkmcnt(0)
	v_mul_hi_u32 v1, s7, v4
	v_add_u32_e32 v1, v4, v1
	v_lshrrev_b32_e32 v1, s5, v1
	s_addc_u32 s3, s3, 0
	v_mul_lo_u32 v3, v1, s6
	s_add_u32 s0, s0, 8
	v_sub_u32_e32 v5, v4, v3
	s_addc_u32 s1, s1, 0
	s_add_i32 s4, s4, -1
	v_mov_b32_e32 v4, v1
	v_mad_u64_u32 v[2:3], s[6:7], v5, s9, v[2:3]
	v_mad_u64_u32 v[0:1], s[6:7], v5, s8, v[0:1]
	s_cmp_lg_u32 s4, 0
	v_mov_b32_e32 v1, v2
	s_cbranch_scc1 .LBB21_232
.LBB21_233:
	s_cbranch_execnz .LBB21_236
.LBB21_234:
	s_waitcnt lgkmcnt(0)
	v_mul_hi_u32 v0, s25, v24
	v_add_u32_e32 v0, v24, v0
	v_lshrrev_b32_e32 v1, s26, v0
	v_mul_lo_u32 v0, v1, s24
	v_sub_u32_e32 v0, v24, v0
	v_mul_lo_u32 v2, v0, s21
	s_andn2_b64 vcc, exec, s[42:43]
	v_mul_lo_u32 v0, v0, s20
	s_cbranch_vccnz .LBB21_236
; %bb.235:
	v_mul_hi_u32 v3, s40, v1
	v_add_u32_e32 v3, v1, v3
	v_lshrrev_b32_e32 v3, s41, v3
	v_mul_lo_u32 v3, v3, s27
	v_sub_u32_e32 v3, v1, v3
	v_mad_u64_u32 v[0:1], s[0:1], v3, s22, v[0:1]
	v_mad_u64_u32 v[2:3], s[0:1], v3, s23, v[2:3]
.LBB21_236:
	s_waitcnt lgkmcnt(0)
	global_load_ubyte v1, v2, s[18:19]
	v_add_u32_e32 v24, 0x80, v24
	s_waitcnt vmcnt(0)
	v_xor_b32_e32 v1, -1, v1
	global_store_byte v0, v1, s[16:17]
	s_or_b64 exec, exec, s[48:49]
	v_cmp_gt_i32_e32 vcc, s55, v24
	s_and_saveexec_b64 s[48:49], vcc
	s_cbranch_execz .LBB21_227
.LBB21_237:
	s_andn2_b64 vcc, exec, s[36:37]
	s_cbranch_vccnz .LBB21_243
; %bb.238:
	s_andn2_b64 vcc, exec, s[46:47]
	s_cbranch_vccnz .LBB21_244
; %bb.239:
	s_add_i32 s56, s56, 1
	s_cmp_eq_u32 s54, 2
	s_cbranch_scc1 .LBB21_245
; %bb.240:
	s_and_b32 s50, s56, 28
	s_mov_b32 s51, 0
	v_mov_b32_e32 v0, 0
	v_mov_b32_e32 v2, 0
	s_mov_b64 s[46:47], s[34:35]
	v_mov_b32_e32 v4, v24
.LBB21_241:                             ; =>This Inner Loop Header: Depth=1
	s_load_dwordx8 s[8:15], s[46:47], 0x4
	s_load_dwordx4 s[28:31], s[46:47], 0x24
	s_load_dwordx8 s[0:7], s[44:45], 0x0
	s_add_u32 s46, s46, 48
	s_addc_u32 s47, s47, 0
	s_waitcnt lgkmcnt(0)
	v_mul_hi_u32 v1, s9, v4
	v_add_u32_e32 v1, v4, v1
	v_lshrrev_b32_e32 v1, s10, v1
	v_mul_lo_u32 v3, v1, s8
	v_mul_hi_u32 v5, s12, v1
	v_sub_u32_e32 v3, v4, v3
	v_add_u32_e32 v4, v1, v5
	v_lshrrev_b32_e32 v4, s13, v4
	v_mul_lo_u32 v6, v4, s11
	v_mul_hi_u32 v7, s15, v4
	v_sub_u32_e32 v1, v1, v6
	v_add_u32_e32 v6, v4, v7
	v_mul_lo_u32 v5, v3, s1
	v_mul_lo_u32 v3, v3, s0
	;; [unrolled: 1-line block ×4, first 2 shown]
	v_lshrrev_b32_e32 v6, s28, v6
	v_add3_u32 v0, v3, v0, v1
	v_mul_hi_u32 v3, s30, v6
	v_add3_u32 v1, v5, v2, v7
	v_mul_lo_u32 v2, v6, s14
	v_add_u32_e32 v3, v6, v3
	v_sub_u32_e32 v2, v4, v2
	v_lshrrev_b32_e32 v4, s31, v3
	s_add_i32 s51, s51, 4
	v_mul_lo_u32 v3, v4, s29
	s_add_u32 s44, s44, 32
	v_sub_u32_e32 v3, v6, v3
	s_addc_u32 s45, s45, 0
	v_mul_lo_u32 v5, v2, s4
	v_mul_lo_u32 v2, v2, s5
	;; [unrolled: 1-line block ×4, first 2 shown]
	s_cmp_eq_u32 s50, s51
	v_add3_u32 v2, v2, v1, v3
	v_add3_u32 v0, v5, v0, v6
	s_cbranch_scc0 .LBB21_241
; %bb.242:
	v_mov_b32_e32 v1, v2
	s_branch .LBB21_246
.LBB21_243:
                                        ; implicit-def: $vgpr2
                                        ; implicit-def: $vgpr0
	s_branch .LBB21_250
.LBB21_244:
	v_mov_b32_e32 v2, 0
	v_mov_b32_e32 v0, 0
	s_branch .LBB21_249
.LBB21_245:
	v_mov_b32_e32 v0, 0
	s_mov_b32 s50, 0
	v_mov_b32_e32 v1, v0
                                        ; implicit-def: $vgpr2
	v_mov_b32_e32 v4, v24
.LBB21_246:
	s_and_b32 s4, s56, 3
	s_cmp_eq_u32 s4, 0
	s_cbranch_scc1 .LBB21_249
; %bb.247:
	s_lshl_b32 s0, s50, 3
	s_add_u32 s0, s34, s0
	s_addc_u32 s1, s35, 0
	s_add_u32 s0, s0, 0xc4
	s_addc_u32 s1, s1, 0
	s_mul_i32 s2, s50, 12
	s_add_u32 s2, s34, s2
	s_addc_u32 s3, s35, 0
.LBB21_248:                             ; =>This Inner Loop Header: Depth=1
	s_load_dwordx2 s[6:7], s[2:3], 0x4
	s_load_dword s5, s[2:3], 0xc
	s_load_dwordx2 s[8:9], s[0:1], 0x0
	v_mov_b32_e32 v2, v1
	s_add_u32 s2, s2, 12
	s_waitcnt lgkmcnt(0)
	v_mul_hi_u32 v1, s7, v4
	v_add_u32_e32 v1, v4, v1
	v_lshrrev_b32_e32 v1, s5, v1
	s_addc_u32 s3, s3, 0
	v_mul_lo_u32 v3, v1, s6
	s_add_u32 s0, s0, 8
	v_sub_u32_e32 v5, v4, v3
	s_addc_u32 s1, s1, 0
	s_add_i32 s4, s4, -1
	v_mov_b32_e32 v4, v1
	v_mad_u64_u32 v[2:3], s[6:7], v5, s9, v[2:3]
	v_mad_u64_u32 v[0:1], s[6:7], v5, s8, v[0:1]
	s_cmp_lg_u32 s4, 0
	v_mov_b32_e32 v1, v2
	s_cbranch_scc1 .LBB21_248
.LBB21_249:
	s_cbranch_execnz .LBB21_252
.LBB21_250:
	s_waitcnt lgkmcnt(0)
	v_mul_hi_u32 v0, s25, v24
	v_add_u32_e32 v0, v24, v0
	v_lshrrev_b32_e32 v1, s26, v0
	v_mul_lo_u32 v0, v1, s24
	v_sub_u32_e32 v0, v24, v0
	v_mul_lo_u32 v2, v0, s21
	s_andn2_b64 vcc, exec, s[42:43]
	v_mul_lo_u32 v0, v0, s20
	s_cbranch_vccnz .LBB21_252
; %bb.251:
	v_mul_hi_u32 v3, s40, v1
	v_add_u32_e32 v3, v1, v3
	v_lshrrev_b32_e32 v3, s41, v3
	v_mul_lo_u32 v3, v3, s27
	v_sub_u32_e32 v3, v1, v3
	v_mad_u64_u32 v[0:1], s[0:1], v3, s22, v[0:1]
	v_mad_u64_u32 v[2:3], s[0:1], v3, s23, v[2:3]
.LBB21_252:
	s_waitcnt lgkmcnt(0)
	global_load_ubyte v1, v2, s[18:19]
	s_waitcnt vmcnt(0)
	v_xor_b32_e32 v1, -1, v1
	global_store_byte v0, v1, s[16:17]
	s_or_b64 exec, exec, s[48:49]
                                        ; implicit-def: $vgpr32
                                        ; implicit-def: $vgpr24
	s_andn2_saveexec_b64 s[0:1], s[38:39]
	s_cbranch_execz .LBB21_228
	s_branch .LBB21_9
	.section	.rodata,"a",@progbits
	.p2align	6, 0x0
	.amdhsa_kernel _ZN2at6native32elementwise_kernel_manual_unrollILi128ELi8EZNS0_22gpu_kernel_impl_nocastIZZZNS0_23bitwise_not_kernel_cudaERNS_18TensorIteratorBaseEENKUlvE_clEvENKUlvE0_clEvEUlaE_EEvS4_RKT_EUlibE_EEviT1_
		.amdhsa_group_segment_fixed_size 0
		.amdhsa_private_segment_fixed_size 0
		.amdhsa_kernarg_size 360
		.amdhsa_user_sgpr_count 2
		.amdhsa_user_sgpr_dispatch_ptr 0
		.amdhsa_user_sgpr_queue_ptr 0
		.amdhsa_user_sgpr_kernarg_segment_ptr 1
		.amdhsa_user_sgpr_dispatch_id 0
		.amdhsa_user_sgpr_kernarg_preload_length 0
		.amdhsa_user_sgpr_kernarg_preload_offset 0
		.amdhsa_user_sgpr_private_segment_size 0
		.amdhsa_uses_dynamic_stack 0
		.amdhsa_enable_private_segment 0
		.amdhsa_system_sgpr_workgroup_id_x 1
		.amdhsa_system_sgpr_workgroup_id_y 0
		.amdhsa_system_sgpr_workgroup_id_z 0
		.amdhsa_system_sgpr_workgroup_info 0
		.amdhsa_system_vgpr_workitem_id 0
		.amdhsa_next_free_vgpr 33
		.amdhsa_next_free_sgpr 60
		.amdhsa_accum_offset 36
		.amdhsa_reserve_vcc 1
		.amdhsa_float_round_mode_32 0
		.amdhsa_float_round_mode_16_64 0
		.amdhsa_float_denorm_mode_32 3
		.amdhsa_float_denorm_mode_16_64 3
		.amdhsa_dx10_clamp 1
		.amdhsa_ieee_mode 1
		.amdhsa_fp16_overflow 0
		.amdhsa_tg_split 0
		.amdhsa_exception_fp_ieee_invalid_op 0
		.amdhsa_exception_fp_denorm_src 0
		.amdhsa_exception_fp_ieee_div_zero 0
		.amdhsa_exception_fp_ieee_overflow 0
		.amdhsa_exception_fp_ieee_underflow 0
		.amdhsa_exception_fp_ieee_inexact 0
		.amdhsa_exception_int_div_zero 0
	.end_amdhsa_kernel
	.section	.text._ZN2at6native32elementwise_kernel_manual_unrollILi128ELi8EZNS0_22gpu_kernel_impl_nocastIZZZNS0_23bitwise_not_kernel_cudaERNS_18TensorIteratorBaseEENKUlvE_clEvENKUlvE0_clEvEUlaE_EEvS4_RKT_EUlibE_EEviT1_,"axG",@progbits,_ZN2at6native32elementwise_kernel_manual_unrollILi128ELi8EZNS0_22gpu_kernel_impl_nocastIZZZNS0_23bitwise_not_kernel_cudaERNS_18TensorIteratorBaseEENKUlvE_clEvENKUlvE0_clEvEUlaE_EEvS4_RKT_EUlibE_EEviT1_,comdat
.Lfunc_end21:
	.size	_ZN2at6native32elementwise_kernel_manual_unrollILi128ELi8EZNS0_22gpu_kernel_impl_nocastIZZZNS0_23bitwise_not_kernel_cudaERNS_18TensorIteratorBaseEENKUlvE_clEvENKUlvE0_clEvEUlaE_EEvS4_RKT_EUlibE_EEviT1_, .Lfunc_end21-_ZN2at6native32elementwise_kernel_manual_unrollILi128ELi8EZNS0_22gpu_kernel_impl_nocastIZZZNS0_23bitwise_not_kernel_cudaERNS_18TensorIteratorBaseEENKUlvE_clEvENKUlvE0_clEvEUlaE_EEvS4_RKT_EUlibE_EEviT1_
                                        ; -- End function
	.set _ZN2at6native32elementwise_kernel_manual_unrollILi128ELi8EZNS0_22gpu_kernel_impl_nocastIZZZNS0_23bitwise_not_kernel_cudaERNS_18TensorIteratorBaseEENKUlvE_clEvENKUlvE0_clEvEUlaE_EEvS4_RKT_EUlibE_EEviT1_.num_vgpr, 33
	.set _ZN2at6native32elementwise_kernel_manual_unrollILi128ELi8EZNS0_22gpu_kernel_impl_nocastIZZZNS0_23bitwise_not_kernel_cudaERNS_18TensorIteratorBaseEENKUlvE_clEvENKUlvE0_clEvEUlaE_EEvS4_RKT_EUlibE_EEviT1_.num_agpr, 0
	.set _ZN2at6native32elementwise_kernel_manual_unrollILi128ELi8EZNS0_22gpu_kernel_impl_nocastIZZZNS0_23bitwise_not_kernel_cudaERNS_18TensorIteratorBaseEENKUlvE_clEvENKUlvE0_clEvEUlaE_EEvS4_RKT_EUlibE_EEviT1_.numbered_sgpr, 60
	.set _ZN2at6native32elementwise_kernel_manual_unrollILi128ELi8EZNS0_22gpu_kernel_impl_nocastIZZZNS0_23bitwise_not_kernel_cudaERNS_18TensorIteratorBaseEENKUlvE_clEvENKUlvE0_clEvEUlaE_EEvS4_RKT_EUlibE_EEviT1_.num_named_barrier, 0
	.set _ZN2at6native32elementwise_kernel_manual_unrollILi128ELi8EZNS0_22gpu_kernel_impl_nocastIZZZNS0_23bitwise_not_kernel_cudaERNS_18TensorIteratorBaseEENKUlvE_clEvENKUlvE0_clEvEUlaE_EEvS4_RKT_EUlibE_EEviT1_.private_seg_size, 0
	.set _ZN2at6native32elementwise_kernel_manual_unrollILi128ELi8EZNS0_22gpu_kernel_impl_nocastIZZZNS0_23bitwise_not_kernel_cudaERNS_18TensorIteratorBaseEENKUlvE_clEvENKUlvE0_clEvEUlaE_EEvS4_RKT_EUlibE_EEviT1_.uses_vcc, 1
	.set _ZN2at6native32elementwise_kernel_manual_unrollILi128ELi8EZNS0_22gpu_kernel_impl_nocastIZZZNS0_23bitwise_not_kernel_cudaERNS_18TensorIteratorBaseEENKUlvE_clEvENKUlvE0_clEvEUlaE_EEvS4_RKT_EUlibE_EEviT1_.uses_flat_scratch, 0
	.set _ZN2at6native32elementwise_kernel_manual_unrollILi128ELi8EZNS0_22gpu_kernel_impl_nocastIZZZNS0_23bitwise_not_kernel_cudaERNS_18TensorIteratorBaseEENKUlvE_clEvENKUlvE0_clEvEUlaE_EEvS4_RKT_EUlibE_EEviT1_.has_dyn_sized_stack, 0
	.set _ZN2at6native32elementwise_kernel_manual_unrollILi128ELi8EZNS0_22gpu_kernel_impl_nocastIZZZNS0_23bitwise_not_kernel_cudaERNS_18TensorIteratorBaseEENKUlvE_clEvENKUlvE0_clEvEUlaE_EEvS4_RKT_EUlibE_EEviT1_.has_recursion, 0
	.set _ZN2at6native32elementwise_kernel_manual_unrollILi128ELi8EZNS0_22gpu_kernel_impl_nocastIZZZNS0_23bitwise_not_kernel_cudaERNS_18TensorIteratorBaseEENKUlvE_clEvENKUlvE0_clEvEUlaE_EEvS4_RKT_EUlibE_EEviT1_.has_indirect_call, 0
	.section	.AMDGPU.csdata,"",@progbits
; Kernel info:
; codeLenInByte = 11456
; TotalNumSgprs: 66
; NumVgprs: 33
; NumAgprs: 0
; TotalNumVgprs: 33
; ScratchSize: 0
; MemoryBound: 0
; FloatMode: 240
; IeeeMode: 1
; LDSByteSize: 0 bytes/workgroup (compile time only)
; SGPRBlocks: 8
; VGPRBlocks: 4
; NumSGPRsForWavesPerEU: 66
; NumVGPRsForWavesPerEU: 33
; AccumOffset: 36
; Occupancy: 8
; WaveLimiterHint : 1
; COMPUTE_PGM_RSRC2:SCRATCH_EN: 0
; COMPUTE_PGM_RSRC2:USER_SGPR: 2
; COMPUTE_PGM_RSRC2:TRAP_HANDLER: 0
; COMPUTE_PGM_RSRC2:TGID_X_EN: 1
; COMPUTE_PGM_RSRC2:TGID_Y_EN: 0
; COMPUTE_PGM_RSRC2:TGID_Z_EN: 0
; COMPUTE_PGM_RSRC2:TIDIG_COMP_CNT: 0
; COMPUTE_PGM_RSRC3_GFX90A:ACCUM_OFFSET: 8
; COMPUTE_PGM_RSRC3_GFX90A:TG_SPLIT: 0
	.section	.text._ZN2at6native32elementwise_kernel_manual_unrollILi128ELi4EZNS0_15gpu_kernel_implIZZZNS0_23bitwise_not_kernel_cudaERNS_18TensorIteratorBaseEENKUlvE_clEvENKUlvE0_clEvEUlaE_EEvS4_RKT_EUlibE_EEviT1_,"axG",@progbits,_ZN2at6native32elementwise_kernel_manual_unrollILi128ELi4EZNS0_15gpu_kernel_implIZZZNS0_23bitwise_not_kernel_cudaERNS_18TensorIteratorBaseEENKUlvE_clEvENKUlvE0_clEvEUlaE_EEvS4_RKT_EUlibE_EEviT1_,comdat
	.globl	_ZN2at6native32elementwise_kernel_manual_unrollILi128ELi4EZNS0_15gpu_kernel_implIZZZNS0_23bitwise_not_kernel_cudaERNS_18TensorIteratorBaseEENKUlvE_clEvENKUlvE0_clEvEUlaE_EEvS4_RKT_EUlibE_EEviT1_ ; -- Begin function _ZN2at6native32elementwise_kernel_manual_unrollILi128ELi4EZNS0_15gpu_kernel_implIZZZNS0_23bitwise_not_kernel_cudaERNS_18TensorIteratorBaseEENKUlvE_clEvENKUlvE0_clEvEUlaE_EEvS4_RKT_EUlibE_EEviT1_
	.p2align	8
	.type	_ZN2at6native32elementwise_kernel_manual_unrollILi128ELi4EZNS0_15gpu_kernel_implIZZZNS0_23bitwise_not_kernel_cudaERNS_18TensorIteratorBaseEENKUlvE_clEvENKUlvE0_clEvEUlaE_EEvS4_RKT_EUlibE_EEviT1_,@function
_ZN2at6native32elementwise_kernel_manual_unrollILi128ELi4EZNS0_15gpu_kernel_implIZZZNS0_23bitwise_not_kernel_cudaERNS_18TensorIteratorBaseEENKUlvE_clEvENKUlvE0_clEvEUlaE_EEvS4_RKT_EUlibE_EEviT1_: ; @_ZN2at6native32elementwise_kernel_manual_unrollILi128ELi4EZNS0_15gpu_kernel_implIZZZNS0_23bitwise_not_kernel_cudaERNS_18TensorIteratorBaseEENKUlvE_clEvENKUlvE0_clEvEUlaE_EEvS4_RKT_EUlibE_EEviT1_
; %bb.0:
	v_mov_b32_e32 v1, 0
	global_load_ushort v1, v1, s[0:1] offset:33
	s_load_dwordx4 s[4:7], s[0:1], 0x8
	s_load_dwordx2 s[8:9], s[0:1], 0x18
	s_load_dword s38, s[0:1], 0x0
	v_lshl_or_b32 v10, s2, 9, v0
	v_or_b32_e32 v0, 0x180, v10
	s_mov_b64 s[10:11], 0
	s_mov_b64 s[12:13], 0
	s_waitcnt lgkmcnt(0)
	v_cmp_le_i32_e32 vcc, s38, v0
	s_waitcnt vmcnt(0)
	v_readfirstlane_b32 s33, v1
	s_and_b32 s0, 0xffff, s33
	s_lshr_b32 s42, s0, 8
	s_and_saveexec_b64 s[0:1], vcc
	s_xor_b64 s[2:3], exec, s[0:1]
	s_cbranch_execz .LBB22_1011
; %bb.1:
	v_cmp_gt_i32_e32 vcc, s38, v10
	s_mov_b64 s[18:19], -1
	s_mov_b64 s[20:21], 0
	s_mov_b64 s[14:15], 0
	s_and_saveexec_b64 s[16:17], vcc
	s_cbranch_execz .LBB22_248
; %bb.2:
	v_mul_lo_u32 v0, v10, s9
	v_ashrrev_i32_e32 v1, 31, v0
	s_and_b32 s18, 0xffff, s42
	s_cmp_lt_i32 s18, 11
	v_lshl_add_u64 v[2:3], s[6:7], 0, v[0:1]
	s_cbranch_scc1 .LBB22_9
; %bb.3:
	s_cmp_gt_i32 s18, 25
	s_cbranch_scc0 .LBB22_18
; %bb.4:
	s_cmp_gt_i32 s18, 28
	s_cbranch_scc0 .LBB22_22
	;; [unrolled: 3-line block ×4, first 2 shown]
; %bb.7:
	s_cmp_eq_u32 s18, 46
	s_cbranch_scc0 .LBB22_28
; %bb.8:
	global_load_dword v0, v[2:3], off
	s_mov_b64 s[0:1], -1
	s_waitcnt vmcnt(0)
	v_lshlrev_b32_e32 v0, 16, v0
	v_cvt_i32_f32_e32 v0, v0
	s_branch .LBB22_30
.LBB22_9:
                                        ; implicit-def: $vgpr0
	s_mov_b64 s[0:1], 0
	s_cbranch_execnz .LBB22_199
.LBB22_10:
	s_andn2_b64 vcc, exec, s[0:1]
	s_cbranch_vccnz .LBB22_246
.LBB22_11:
	v_mul_lo_u32 v2, v10, s8
	v_ashrrev_i32_e32 v3, 31, v2
	s_and_b32 s24, s33, 0xff
	s_waitcnt vmcnt(0)
	v_xor_b32_e32 v1, -1, v0
	s_cmp_lt_i32 s24, 11
	v_lshl_add_u64 v[2:3], s[4:5], 0, v[2:3]
	s_cbranch_scc1 .LBB22_19
; %bb.12:
	s_and_b32 s25, 0xffff, s24
	s_cmp_gt_i32 s25, 25
	s_cbranch_scc0 .LBB22_23
; %bb.13:
	s_cmp_gt_i32 s25, 28
	s_cbranch_scc0 .LBB22_25
; %bb.14:
	;; [unrolled: 3-line block ×4, first 2 shown]
	s_mov_b64 s[18:19], 0
	s_mov_b64 s[0:1], -1
	s_cmp_eq_u32 s25, 46
	s_mov_b64 s[12:13], 0
	s_cbranch_scc0 .LBB22_34
; %bb.17:
	v_bfe_i32 v4, v1, 0, 8
	v_cvt_f32_i32_sdwa v4, sext(v4) dst_sel:DWORD dst_unused:UNUSED_PAD src0_sel:WORD_0
	s_movk_i32 s0, 0x7fff
	s_mov_b64 s[12:13], -1
	v_bfe_u32 v5, v4, 16, 1
	v_add3_u32 v4, v4, v5, s0
	v_lshrrev_b32_e32 v4, 16, v4
	global_store_dword v[2:3], v4, off
	s_mov_b64 s[0:1], 0
	s_branch .LBB22_34
.LBB22_18:
	s_mov_b64 s[0:1], 0
                                        ; implicit-def: $vgpr0
	s_cbranch_execnz .LBB22_166
	s_branch .LBB22_198
.LBB22_19:
	s_mov_b64 s[0:1], 0
	s_mov_b64 s[12:13], 0
	s_cbranch_execnz .LBB22_103
.LBB22_20:
	s_andn2_b64 vcc, exec, s[12:13]
	s_cbranch_vccnz .LBB22_141
.LBB22_21:
	v_add_u32_e32 v10, 0x80, v10
	s_mov_b64 s[18:19], -1
	s_branch .LBB22_247
.LBB22_22:
	s_mov_b64 s[12:13], -1
	s_mov_b64 s[0:1], 0
                                        ; implicit-def: $vgpr0
	s_branch .LBB22_149
.LBB22_23:
	s_mov_b64 s[18:19], -1
	s_mov_b64 s[0:1], 0
	s_mov_b64 s[12:13], 0
	s_branch .LBB22_61
.LBB22_24:
	s_mov_b64 s[12:13], -1
	s_mov_b64 s[0:1], 0
                                        ; implicit-def: $vgpr0
	s_branch .LBB22_144
.LBB22_25:
	s_mov_b64 s[18:19], -1
	s_mov_b64 s[0:1], 0
	s_mov_b64 s[12:13], 0
	s_branch .LBB22_44
.LBB22_26:
	s_mov_b64 s[12:13], -1
	s_branch .LBB22_29
.LBB22_27:
	s_mov_b64 s[18:19], -1
	s_mov_b64 s[0:1], 0
	s_mov_b64 s[12:13], 0
	s_branch .LBB22_40
.LBB22_28:
	s_mov_b64 s[14:15], -1
.LBB22_29:
	s_mov_b64 s[0:1], 0
                                        ; implicit-def: $vgpr0
.LBB22_30:
	s_and_b64 vcc, exec, s[12:13]
	s_cbranch_vccz .LBB22_143
; %bb.31:
	s_cmp_eq_u32 s18, 44
	s_cbranch_scc0 .LBB22_142
; %bb.32:
	global_load_ubyte v0, v[2:3], off
	s_mov_b64 s[0:1], -1
	s_mov_b64 s[14:15], 0
	s_waitcnt vmcnt(0)
	v_lshlrev_b32_e32 v1, 23, v0
	v_cvt_i32_f32_e32 v1, v1
	v_cmp_ne_u32_e32 vcc, 0, v0
	s_nop 1
	v_cndmask_b32_e32 v0, 0, v1, vcc
	s_branch .LBB22_143
.LBB22_33:
	s_mov_b64 s[18:19], -1
	s_mov_b64 s[0:1], 0
	s_mov_b64 s[12:13], 0
.LBB22_34:
	s_and_b64 vcc, exec, s[18:19]
	s_cbranch_vccz .LBB22_39
; %bb.35:
	s_cmp_eq_u32 s25, 44
	s_mov_b64 s[0:1], -1
	s_cbranch_scc0 .LBB22_39
; %bb.36:
	v_bfe_i32 v4, v1, 0, 8
	v_cvt_f32_i32_sdwa v4, sext(v4) dst_sel:DWORD dst_unused:UNUSED_PAD src0_sel:WORD_0
	s_movk_i32 s0, 0xff
	v_mov_b32_e32 v6, 0xff
	v_bfe_u32 v5, v4, 23, 8
	v_cmp_ne_u32_e32 vcc, s0, v5
	s_and_saveexec_b64 s[12:13], vcc
; %bb.37:
	s_mov_b32 s0, 0x3fffff
	v_lshrrev_b32_e32 v6, 23, v4
	v_and_b32_e32 v7, 0x400000, v4
	v_and_or_b32 v4, v4, s0, v5
	v_cmp_ne_u32_e32 vcc, 0, v7
	v_cmp_ne_u32_e64 s[0:1], 0, v4
	s_and_b64 s[0:1], vcc, s[0:1]
	s_nop 0
	v_cndmask_b32_e64 v4, 0, 1, s[0:1]
	v_add_u32_e32 v6, v6, v4
; %bb.38:
	s_or_b64 exec, exec, s[12:13]
	s_mov_b64 s[12:13], -1
	s_mov_b64 s[0:1], 0
	global_store_byte v[2:3], v6, off
.LBB22_39:
	s_mov_b64 s[18:19], 0
.LBB22_40:
	s_and_b64 vcc, exec, s[18:19]
	s_cbranch_vccz .LBB22_43
; %bb.41:
	s_cmp_eq_u32 s25, 29
	s_mov_b64 s[0:1], -1
	s_cbranch_scc0 .LBB22_43
; %bb.42:
	v_bfe_i32 v4, v1, 0, 8
	v_ashrrev_i32_e32 v5, 31, v4
	global_store_dwordx2 v[2:3], v[4:5], off
	s_mov_b64 s[12:13], -1
	s_mov_b64 s[0:1], 0
.LBB22_43:
	s_mov_b64 s[18:19], 0
.LBB22_44:
	s_and_b64 vcc, exec, s[18:19]
	s_cbranch_vccz .LBB22_60
; %bb.45:
	s_cmp_lt_i32 s25, 27
	s_mov_b64 s[12:13], -1
	s_cbranch_scc1 .LBB22_51
; %bb.46:
	s_cmp_gt_i32 s25, 27
	s_cbranch_scc0 .LBB22_48
; %bb.47:
	v_bfe_i32 v4, v1, 0, 8
	s_mov_b64 s[12:13], 0
	global_store_dword v[2:3], v4, off
.LBB22_48:
	s_andn2_b64 vcc, exec, s[12:13]
	s_cbranch_vccnz .LBB22_50
; %bb.49:
	v_bfe_i32 v4, v1, 0, 8
	global_store_short v[2:3], v4, off
.LBB22_50:
	s_mov_b64 s[12:13], 0
.LBB22_51:
	s_andn2_b64 vcc, exec, s[12:13]
	s_cbranch_vccnz .LBB22_59
; %bb.52:
	v_bfe_i32 v4, v1, 0, 8
	v_cvt_f32_i32_sdwa v4, sext(v4) dst_sel:DWORD dst_unused:UNUSED_PAD src0_sel:WORD_0
	s_mov_b32 s12, 0x43800000
	v_mov_b32_e32 v6, 0x80
	v_and_b32_e32 v5, 0x7fffffff, v4
	v_cmp_gt_u32_e32 vcc, s12, v5
	s_and_saveexec_b64 s[12:13], vcc
	s_cbranch_execz .LBB22_58
; %bb.53:
	s_mov_b32 s18, 0x3bffffff
	v_cmp_lt_u32_e32 vcc, s18, v5
	s_mov_b64 s[18:19], 0
                                        ; implicit-def: $vgpr5
	s_and_saveexec_b64 s[22:23], vcc
	s_xor_b64 s[22:23], exec, s[22:23]
	s_cbranch_execz .LBB22_275
; %bb.54:
	v_bfe_u32 v5, v4, 20, 1
	s_mov_b32 s26, 0x487ffff
	v_add3_u32 v5, v4, v5, s26
	s_mov_b64 s[18:19], exec
	v_lshrrev_b32_e32 v5, 20, v5
	s_andn2_saveexec_b64 s[22:23], s[22:23]
	s_cbranch_execnz .LBB22_276
.LBB22_55:
	s_or_b64 exec, exec, s[22:23]
	v_mov_b32_e32 v6, 0
	s_and_saveexec_b64 s[22:23], s[18:19]
.LBB22_56:
	v_lshrrev_b32_e32 v4, 24, v4
	s_movk_i32 s18, 0x80
	v_and_or_b32 v6, v4, s18, v5
.LBB22_57:
	s_or_b64 exec, exec, s[22:23]
.LBB22_58:
	s_or_b64 exec, exec, s[12:13]
	global_store_byte v[2:3], v6, off
.LBB22_59:
	s_mov_b64 s[12:13], -1
.LBB22_60:
	s_mov_b64 s[18:19], 0
.LBB22_61:
	s_and_b64 vcc, exec, s[18:19]
	s_cbranch_vccz .LBB22_102
; %bb.62:
	s_cmp_gt_i32 s25, 22
	s_mov_b64 s[18:19], -1
	s_cbranch_scc0 .LBB22_94
; %bb.63:
	s_cmp_lt_i32 s25, 24
	s_mov_b64 s[12:13], -1
	s_cbranch_scc1 .LBB22_83
; %bb.64:
	s_cmp_gt_i32 s25, 24
	s_cbranch_scc0 .LBB22_72
; %bb.65:
	v_bfe_i32 v4, v1, 0, 8
	v_cvt_f32_i32_sdwa v4, sext(v4) dst_sel:DWORD dst_unused:UNUSED_PAD src0_sel:WORD_0
	s_mov_b32 s12, 0x47800000
	v_mov_b32_e32 v6, 0x80
	v_and_b32_e32 v5, 0x7fffffff, v4
	v_cmp_gt_u32_e32 vcc, s12, v5
	s_and_saveexec_b64 s[12:13], vcc
	s_cbranch_execz .LBB22_71
; %bb.66:
	s_mov_b32 s18, 0x37ffffff
	v_cmp_lt_u32_e32 vcc, s18, v5
	s_mov_b64 s[18:19], 0
                                        ; implicit-def: $vgpr5
	s_and_saveexec_b64 s[22:23], vcc
	s_xor_b64 s[22:23], exec, s[22:23]
	s_cbranch_execz .LBB22_279
; %bb.67:
	v_bfe_u32 v5, v4, 21, 1
	s_mov_b32 s26, 0x88fffff
	v_add3_u32 v5, v4, v5, s26
	s_mov_b64 s[18:19], exec
	v_lshrrev_b32_e32 v5, 21, v5
	s_andn2_saveexec_b64 s[22:23], s[22:23]
	s_cbranch_execnz .LBB22_280
.LBB22_68:
	s_or_b64 exec, exec, s[22:23]
	v_mov_b32_e32 v6, 0
	s_and_saveexec_b64 s[22:23], s[18:19]
.LBB22_69:
	v_lshrrev_b32_e32 v4, 24, v4
	s_movk_i32 s18, 0x80
	v_and_or_b32 v6, v4, s18, v5
.LBB22_70:
	s_or_b64 exec, exec, s[22:23]
.LBB22_71:
	s_or_b64 exec, exec, s[12:13]
	s_mov_b64 s[12:13], 0
	global_store_byte v[2:3], v6, off
.LBB22_72:
	s_and_b64 vcc, exec, s[12:13]
	s_cbranch_vccz .LBB22_82
; %bb.73:
	v_bfe_i32 v4, v1, 0, 8
	v_cvt_f32_i32_sdwa v4, sext(v4) dst_sel:DWORD dst_unused:UNUSED_PAD src0_sel:WORD_0
	s_mov_b32 s12, 0x43f00000
                                        ; implicit-def: $vgpr5
	v_and_b32_e32 v6, 0x7fffffff, v4
	v_cmp_gt_u32_e32 vcc, s12, v6
	s_and_saveexec_b64 s[12:13], vcc
	s_xor_b64 s[12:13], exec, s[12:13]
	s_cbranch_execz .LBB22_79
; %bb.74:
	s_mov_b32 s18, 0x3c7fffff
	v_cmp_lt_u32_e32 vcc, s18, v6
                                        ; implicit-def: $vgpr5
	s_and_saveexec_b64 s[18:19], vcc
	s_xor_b64 s[18:19], exec, s[18:19]
; %bb.75:
	v_bfe_u32 v5, v4, 20, 1
	s_mov_b32 s22, 0x407ffff
	v_add3_u32 v5, v4, v5, s22
	v_lshrrev_b32_e32 v6, 20, v5
	v_and_b32_e32 v5, 0xff00000, v5
	s_mov_b32 s22, 0x7f00000
	v_mov_b32_e32 v7, 0x7e
	v_cmp_ne_u32_e32 vcc, s22, v5
	s_nop 1
	v_cndmask_b32_e32 v5, v7, v6, vcc
; %bb.76:
	s_andn2_saveexec_b64 s[18:19], s[18:19]
; %bb.77:
	s_mov_b32 s22, 0x46800000
	v_add_f32_e64 v5, |v4|, s22
; %bb.78:
	s_or_b64 exec, exec, s[18:19]
                                        ; implicit-def: $vgpr6
.LBB22_79:
	s_andn2_saveexec_b64 s[12:13], s[12:13]
; %bb.80:
	s_mov_b32 s18, 0x7f800000
	v_mov_b32_e32 v5, 0x7e
	v_mov_b32_e32 v7, 0x7f
	v_cmp_lt_u32_e32 vcc, s18, v6
	s_nop 1
	v_cndmask_b32_e32 v5, v5, v7, vcc
; %bb.81:
	s_or_b64 exec, exec, s[12:13]
	v_lshrrev_b32_e32 v4, 24, v4
	s_movk_i32 s12, 0x80
	v_and_or_b32 v4, v4, s12, v5
	global_store_byte v[2:3], v4, off
.LBB22_82:
	s_mov_b64 s[12:13], 0
.LBB22_83:
	s_andn2_b64 vcc, exec, s[12:13]
	s_cbranch_vccnz .LBB22_93
; %bb.84:
	v_bfe_i32 v4, v1, 0, 8
	v_cvt_f32_i32_sdwa v4, sext(v4) dst_sel:DWORD dst_unused:UNUSED_PAD src0_sel:WORD_0
	s_mov_b32 s12, 0x47800000
                                        ; implicit-def: $vgpr5
	v_and_b32_e32 v6, 0x7fffffff, v4
	v_cmp_gt_u32_e32 vcc, s12, v6
	s_and_saveexec_b64 s[12:13], vcc
	s_xor_b64 s[12:13], exec, s[12:13]
	s_cbranch_execz .LBB22_90
; %bb.85:
	s_mov_b32 s18, 0x387fffff
	v_cmp_lt_u32_e32 vcc, s18, v6
                                        ; implicit-def: $vgpr5
	s_and_saveexec_b64 s[18:19], vcc
	s_xor_b64 s[18:19], exec, s[18:19]
; %bb.86:
	v_bfe_u32 v5, v4, 21, 1
	s_mov_b32 s22, 0x80fffff
	v_add3_u32 v5, v4, v5, s22
	v_lshrrev_b32_e32 v5, 21, v5
; %bb.87:
	s_andn2_saveexec_b64 s[18:19], s[18:19]
; %bb.88:
	s_mov_b32 s22, 0x43000000
	v_add_f32_e64 v5, |v4|, s22
; %bb.89:
	s_or_b64 exec, exec, s[18:19]
                                        ; implicit-def: $vgpr6
.LBB22_90:
	s_andn2_saveexec_b64 s[12:13], s[12:13]
; %bb.91:
	s_mov_b32 s18, 0x7f800000
	v_mov_b32_e32 v5, 0x7c
	v_mov_b32_e32 v7, 0x7f
	v_cmp_lt_u32_e32 vcc, s18, v6
	s_nop 1
	v_cndmask_b32_e32 v5, v5, v7, vcc
; %bb.92:
	s_or_b64 exec, exec, s[12:13]
	v_lshrrev_b32_e32 v4, 24, v4
	s_movk_i32 s12, 0x80
	v_and_or_b32 v4, v4, s12, v5
	global_store_byte v[2:3], v4, off
.LBB22_93:
	s_mov_b64 s[18:19], 0
	s_mov_b64 s[12:13], -1
.LBB22_94:
	s_andn2_b64 vcc, exec, s[18:19]
	s_cbranch_vccnz .LBB22_102
; %bb.95:
	s_cmp_gt_i32 s25, 14
	s_mov_b64 s[18:19], -1
	s_cbranch_scc0 .LBB22_99
; %bb.96:
	s_cmp_eq_u32 s25, 15
	s_mov_b64 s[0:1], -1
	s_cbranch_scc0 .LBB22_98
; %bb.97:
	v_bfe_i32 v4, v1, 0, 8
	v_cvt_f32_i32_sdwa v4, sext(v4) dst_sel:DWORD dst_unused:UNUSED_PAD src0_sel:WORD_0
	s_movk_i32 s0, 0x7fff
	s_mov_b64 s[12:13], -1
	v_bfe_u32 v5, v4, 16, 1
	v_add3_u32 v4, v4, v5, s0
	global_store_short_d16_hi v[2:3], v4, off
	s_mov_b64 s[0:1], 0
.LBB22_98:
	s_mov_b64 s[18:19], 0
.LBB22_99:
	s_and_b64 vcc, exec, s[18:19]
	s_cbranch_vccz .LBB22_102
; %bb.100:
	s_cmp_eq_u32 s25, 11
	s_mov_b64 s[0:1], -1
	s_cbranch_scc0 .LBB22_102
; %bb.101:
	s_movk_i32 s0, 0xff
	v_cmp_ne_u16_sdwa s[0:1], v0, s0 src0_sel:BYTE_0 src1_sel:DWORD
	s_mov_b64 s[12:13], -1
	s_nop 0
	v_cndmask_b32_e64 v0, 0, 1, s[0:1]
	s_mov_b64 s[0:1], 0
	global_store_byte v[2:3], v0, off
.LBB22_102:
	s_branch .LBB22_20
.LBB22_103:
	s_and_b32 s18, 0xffff, s24
	s_cmp_lt_i32 s18, 5
	s_mov_b64 s[12:13], -1
	s_cbranch_scc1 .LBB22_124
; %bb.104:
	s_cmp_lt_i32 s18, 8
	s_cbranch_scc1 .LBB22_114
; %bb.105:
	s_cmp_lt_i32 s18, 9
	s_cbranch_scc1 .LBB22_111
; %bb.106:
	s_cmp_gt_i32 s18, 9
	s_cbranch_scc0 .LBB22_108
; %bb.107:
	v_bfe_i32 v0, v1, 0, 8
	v_bfe_i32 v0, v0, 0, 16
	v_mov_b32_e32 v6, 0
	v_cvt_f64_i32_e32 v[4:5], v0
	v_mov_b32_e32 v7, v6
	global_store_dwordx4 v[2:3], v[4:7], off
	s_mov_b64 s[12:13], 0
.LBB22_108:
	s_andn2_b64 vcc, exec, s[12:13]
	s_cbranch_vccnz .LBB22_110
; %bb.109:
	v_bfe_i32 v0, v1, 0, 8
	v_cvt_f32_i32_sdwa v4, sext(v0) dst_sel:DWORD dst_unused:UNUSED_PAD src0_sel:WORD_0
	v_mov_b32_e32 v5, 0
	global_store_dwordx2 v[2:3], v[4:5], off
.LBB22_110:
	s_mov_b64 s[12:13], 0
.LBB22_111:
	s_andn2_b64 vcc, exec, s[12:13]
	s_cbranch_vccnz .LBB22_113
; %bb.112:
	v_cvt_f16_i16_sdwa v0, sext(v1) dst_sel:DWORD dst_unused:UNUSED_PAD src0_sel:BYTE_0
	global_store_dword v[2:3], v0, off
.LBB22_113:
	s_mov_b64 s[12:13], 0
.LBB22_114:
	s_andn2_b64 vcc, exec, s[12:13]
	s_cbranch_vccnz .LBB22_123
; %bb.115:
	s_cmp_lt_i32 s18, 6
	s_mov_b64 s[12:13], -1
	s_cbranch_scc1 .LBB22_121
; %bb.116:
	s_cmp_gt_i32 s18, 6
	s_cbranch_scc0 .LBB22_118
; %bb.117:
	v_bfe_i32 v0, v1, 0, 8
	v_bfe_i32 v0, v0, 0, 16
	v_cvt_f64_i32_e32 v[4:5], v0
	global_store_dwordx2 v[2:3], v[4:5], off
	s_mov_b64 s[12:13], 0
.LBB22_118:
	s_andn2_b64 vcc, exec, s[12:13]
	s_cbranch_vccnz .LBB22_120
; %bb.119:
	v_bfe_i32 v0, v1, 0, 8
	v_cvt_f32_i32_sdwa v0, sext(v0) dst_sel:DWORD dst_unused:UNUSED_PAD src0_sel:WORD_0
	global_store_dword v[2:3], v0, off
.LBB22_120:
	s_mov_b64 s[12:13], 0
.LBB22_121:
	s_andn2_b64 vcc, exec, s[12:13]
	s_cbranch_vccnz .LBB22_123
; %bb.122:
	v_cvt_f16_i16_sdwa v0, sext(v1) dst_sel:DWORD dst_unused:UNUSED_PAD src0_sel:BYTE_0
	global_store_short v[2:3], v0, off
.LBB22_123:
	s_mov_b64 s[12:13], 0
.LBB22_124:
	s_andn2_b64 vcc, exec, s[12:13]
	s_cbranch_vccnz .LBB22_140
; %bb.125:
	s_cmp_lt_i32 s18, 2
	s_mov_b64 s[12:13], -1
	s_cbranch_scc1 .LBB22_135
; %bb.126:
	s_cmp_lt_i32 s18, 3
	s_cbranch_scc1 .LBB22_132
; %bb.127:
	s_cmp_gt_i32 s18, 3
	s_cbranch_scc0 .LBB22_129
; %bb.128:
	v_bfe_i32 v4, v1, 0, 8
	v_ashrrev_i32_e32 v5, 31, v4
	global_store_dwordx2 v[2:3], v[4:5], off
	s_mov_b64 s[12:13], 0
.LBB22_129:
	s_andn2_b64 vcc, exec, s[12:13]
	s_cbranch_vccnz .LBB22_131
; %bb.130:
	v_bfe_i32 v0, v1, 0, 8
	global_store_dword v[2:3], v0, off
.LBB22_131:
	s_mov_b64 s[12:13], 0
.LBB22_132:
	s_andn2_b64 vcc, exec, s[12:13]
	s_cbranch_vccnz .LBB22_134
; %bb.133:
	v_bfe_i32 v0, v1, 0, 8
	global_store_short v[2:3], v0, off
.LBB22_134:
	s_mov_b64 s[12:13], 0
.LBB22_135:
	s_andn2_b64 vcc, exec, s[12:13]
	s_cbranch_vccnz .LBB22_140
; %bb.136:
	s_cmp_gt_i32 s18, 0
	s_mov_b64 s[12:13], -1
	s_cbranch_scc0 .LBB22_138
; %bb.137:
	global_store_byte v[2:3], v1, off
	s_mov_b64 s[12:13], 0
.LBB22_138:
	s_andn2_b64 vcc, exec, s[12:13]
	s_cbranch_vccnz .LBB22_140
; %bb.139:
	global_store_byte v[2:3], v1, off
.LBB22_140:
	s_branch .LBB22_21
.LBB22_141:
	s_mov_b64 s[18:19], 0
                                        ; implicit-def: $vgpr10
	s_branch .LBB22_247
.LBB22_142:
	s_mov_b64 s[14:15], -1
                                        ; implicit-def: $vgpr0
.LBB22_143:
	s_mov_b64 s[12:13], 0
.LBB22_144:
	s_and_b64 vcc, exec, s[12:13]
	s_cbranch_vccz .LBB22_148
; %bb.145:
	s_cmp_eq_u32 s18, 29
	s_cbranch_scc0 .LBB22_147
; %bb.146:
	global_load_dwordx2 v[0:1], v[2:3], off
	s_mov_b64 s[0:1], -1
	s_mov_b64 s[14:15], 0
	s_branch .LBB22_148
.LBB22_147:
	s_mov_b64 s[14:15], -1
                                        ; implicit-def: $vgpr0
.LBB22_148:
	s_mov_b64 s[12:13], 0
.LBB22_149:
	s_and_b64 vcc, exec, s[12:13]
	s_cbranch_vccz .LBB22_165
; %bb.150:
	s_cmp_lt_i32 s18, 27
	s_cbranch_scc1 .LBB22_153
; %bb.151:
	s_cmp_gt_i32 s18, 27
	s_cbranch_scc0 .LBB22_154
; %bb.152:
	global_load_dword v0, v[2:3], off
	s_mov_b64 s[0:1], 0
	s_branch .LBB22_155
.LBB22_153:
	s_mov_b64 s[0:1], -1
                                        ; implicit-def: $vgpr0
	s_branch .LBB22_158
.LBB22_154:
	s_mov_b64 s[0:1], -1
                                        ; implicit-def: $vgpr0
.LBB22_155:
	s_andn2_b64 vcc, exec, s[0:1]
	s_cbranch_vccnz .LBB22_157
; %bb.156:
	global_load_ushort v0, v[2:3], off
.LBB22_157:
	s_mov_b64 s[0:1], 0
.LBB22_158:
	s_andn2_b64 vcc, exec, s[0:1]
	s_cbranch_vccnz .LBB22_164
; %bb.159:
	global_load_ubyte v1, v[2:3], off
	s_movk_i32 s0, 0x7f
	s_mov_b64 s[12:13], 0
	s_waitcnt vmcnt(0)
	v_cmp_lt_i16_e32 vcc, s0, v1
	s_and_saveexec_b64 s[0:1], vcc
	s_xor_b64 s[0:1], exec, s[0:1]
	s_cbranch_execz .LBB22_175
; %bb.160:
	s_movk_i32 s12, 0x80
	v_cmp_ne_u16_e32 vcc, s12, v1
	s_and_b64 s[12:13], vcc, exec
	s_andn2_saveexec_b64 s[0:1], s[0:1]
	s_cbranch_execnz .LBB22_176
.LBB22_161:
	s_or_b64 exec, exec, s[0:1]
	v_mov_b32_e32 v0, 0
	s_and_saveexec_b64 s[0:1], s[12:13]
	s_cbranch_execz .LBB22_163
.LBB22_162:
	v_lshlrev_b32_e32 v0, 24, v1
	v_and_b32_e32 v1, 0xffff, v1
	v_and_b32_e32 v4, 7, v1
	v_ffbh_u32_e32 v6, v4
	v_min_u32_e32 v6, 32, v6
	v_subrev_u32_e32 v7, 28, v6
	v_bfe_u32 v5, v1, 3, 4
	v_lshlrev_b32_e32 v1, v7, v1
	v_sub_u32_e32 v6, 29, v6
	v_and_b32_e32 v1, 7, v1
	v_cmp_eq_u32_e32 vcc, 0, v5
	v_and_b32_e32 v0, 0x80000000, v0
	s_nop 0
	v_cndmask_b32_e32 v5, v5, v6, vcc
	v_cndmask_b32_e32 v1, v4, v1, vcc
	v_mov_b32_e32 v4, 0x3b800000
	v_lshlrev_b32_e32 v1, 20, v1
	v_lshl_add_u32 v4, v5, 23, v4
	v_or3_b32 v0, v0, v4, v1
	v_cvt_i32_f32_e32 v0, v0
.LBB22_163:
	s_or_b64 exec, exec, s[0:1]
.LBB22_164:
	s_mov_b64 s[0:1], -1
.LBB22_165:
	s_branch .LBB22_198
.LBB22_166:
	s_cmp_gt_i32 s18, 22
	s_cbranch_scc0 .LBB22_174
; %bb.167:
	s_cmp_lt_i32 s18, 24
	s_cbranch_scc1 .LBB22_177
; %bb.168:
	s_cmp_gt_i32 s18, 24
	s_cbranch_scc0 .LBB22_178
; %bb.169:
	global_load_ubyte v1, v[2:3], off
	s_movk_i32 s0, 0x7f
	s_mov_b64 s[12:13], 0
	s_waitcnt vmcnt(0)
	v_cmp_lt_i16_e32 vcc, s0, v1
	s_and_saveexec_b64 s[0:1], vcc
	s_xor_b64 s[0:1], exec, s[0:1]
	s_cbranch_execz .LBB22_190
; %bb.170:
	s_movk_i32 s12, 0x80
	v_cmp_ne_u16_e32 vcc, s12, v1
	s_and_b64 s[12:13], vcc, exec
	s_andn2_saveexec_b64 s[0:1], s[0:1]
	s_cbranch_execnz .LBB22_191
.LBB22_171:
	s_or_b64 exec, exec, s[0:1]
	v_mov_b32_e32 v0, 0
	s_and_saveexec_b64 s[0:1], s[12:13]
	s_cbranch_execz .LBB22_173
.LBB22_172:
	v_lshlrev_b32_e32 v0, 24, v1
	v_and_b32_e32 v1, 0xffff, v1
	v_and_b32_e32 v4, 3, v1
	v_ffbh_u32_e32 v6, v4
	v_min_u32_e32 v6, 32, v6
	v_subrev_u32_e32 v7, 29, v6
	v_bfe_u32 v5, v1, 2, 5
	v_lshlrev_b32_e32 v1, v7, v1
	v_sub_u32_e32 v6, 30, v6
	v_and_b32_e32 v1, 3, v1
	v_cmp_eq_u32_e32 vcc, 0, v5
	v_and_b32_e32 v0, 0x80000000, v0
	s_nop 0
	v_cndmask_b32_e32 v5, v5, v6, vcc
	v_cndmask_b32_e32 v1, v4, v1, vcc
	v_mov_b32_e32 v4, 0x37800000
	v_lshlrev_b32_e32 v1, 21, v1
	v_lshl_add_u32 v4, v5, 23, v4
	v_or3_b32 v0, v0, v4, v1
	v_cvt_i32_f32_e32 v0, v0
.LBB22_173:
	s_or_b64 exec, exec, s[0:1]
	s_mov_b64 s[0:1], 0
	s_branch .LBB22_179
.LBB22_174:
	s_mov_b64 s[12:13], -1
                                        ; implicit-def: $vgpr0
	s_branch .LBB22_185
.LBB22_175:
	s_andn2_saveexec_b64 s[0:1], s[0:1]
	s_cbranch_execz .LBB22_161
.LBB22_176:
	v_cmp_ne_u16_e32 vcc, 0, v1
	s_andn2_b64 s[12:13], s[12:13], exec
	s_and_b64 s[22:23], vcc, exec
	s_or_b64 s[12:13], s[12:13], s[22:23]
	s_or_b64 exec, exec, s[0:1]
	v_mov_b32_e32 v0, 0
	s_and_saveexec_b64 s[0:1], s[12:13]
	s_cbranch_execnz .LBB22_162
	s_branch .LBB22_163
.LBB22_177:
	s_mov_b64 s[0:1], -1
                                        ; implicit-def: $vgpr0
	s_branch .LBB22_182
.LBB22_178:
	s_mov_b64 s[0:1], -1
                                        ; implicit-def: $vgpr0
.LBB22_179:
	s_and_b64 vcc, exec, s[0:1]
	s_cbranch_vccz .LBB22_181
; %bb.180:
	global_load_ubyte v0, v[2:3], off
	s_mov_b32 s0, 0x7f800000
	s_waitcnt vmcnt(0)
	v_lshlrev_b32_e32 v0, 24, v0
	v_and_b32_e32 v1, 0x7f000000, v0
	v_ffbh_u32_e32 v4, v1
	v_min_u32_e32 v4, 32, v4
	v_sub_u32_e64 v4, v4, 4 clamp
	v_lshlrev_b32_e32 v6, v4, v1
	v_lshlrev_b32_e32 v4, 23, v4
	v_lshrrev_b32_e32 v6, 4, v6
	v_add_u32_e32 v5, 0x1000000, v1
	v_sub_u32_e32 v4, v6, v4
	v_ashrrev_i32_e32 v5, 8, v5
	v_add_u32_e32 v4, 0x3c000000, v4
	v_and_or_b32 v4, v5, s0, v4
	v_cmp_ne_u32_e32 vcc, 0, v1
	s_brev_b32 s0, 1
	s_nop 0
	v_cndmask_b32_e32 v1, 0, v4, vcc
	v_and_or_b32 v0, v0, s0, v1
	v_cvt_i32_f32_e32 v0, v0
.LBB22_181:
	s_mov_b64 s[0:1], 0
.LBB22_182:
	s_andn2_b64 vcc, exec, s[0:1]
	s_cbranch_vccnz .LBB22_184
; %bb.183:
	global_load_ubyte v0, v[2:3], off
	s_movk_i32 s0, 0x7f00
	s_brev_b32 s1, 16
	s_waitcnt vmcnt(0)
	v_lshlrev_b16_e32 v1, 8, v0
	v_lshlrev_b32_e32 v0, 25, v0
	v_lshrrev_b32_e32 v4, 4, v0
	v_and_or_b32 v5, v1, s0, 0.5
	v_or_b32_e32 v4, 0x70000000, v4
	v_add_f32_e32 v5, -0.5, v5
	v_mul_f32_e32 v4, 0x7800000, v4
	v_cmp_gt_u32_e32 vcc, s1, v0
	v_bfe_i32 v1, v1, 0, 16
	s_brev_b32 s0, 1
	v_cndmask_b32_e32 v0, v4, v5, vcc
	v_and_or_b32 v0, v1, s0, v0
	v_cvt_i32_f32_e32 v0, v0
.LBB22_184:
	s_mov_b64 s[12:13], 0
	s_mov_b64 s[0:1], -1
.LBB22_185:
	s_andn2_b64 vcc, exec, s[12:13]
	s_cbranch_vccnz .LBB22_198
; %bb.186:
	s_cmp_gt_i32 s18, 14
	s_cbranch_scc0 .LBB22_189
; %bb.187:
	s_cmp_eq_u32 s18, 15
	s_cbranch_scc0 .LBB22_192
; %bb.188:
	global_load_ushort v0, v[2:3], off
	s_mov_b64 s[0:1], -1
	s_mov_b64 s[14:15], 0
	s_waitcnt vmcnt(0)
	v_lshlrev_b32_e32 v0, 16, v0
	v_cvt_i32_f32_e32 v0, v0
	s_branch .LBB22_193
.LBB22_189:
	s_mov_b64 s[12:13], -1
                                        ; implicit-def: $vgpr0
	s_branch .LBB22_194
.LBB22_190:
	s_andn2_saveexec_b64 s[0:1], s[0:1]
	s_cbranch_execz .LBB22_171
.LBB22_191:
	v_cmp_ne_u16_e32 vcc, 0, v1
	s_andn2_b64 s[12:13], s[12:13], exec
	s_and_b64 s[22:23], vcc, exec
	s_or_b64 s[12:13], s[12:13], s[22:23]
	s_or_b64 exec, exec, s[0:1]
	v_mov_b32_e32 v0, 0
	s_and_saveexec_b64 s[0:1], s[12:13]
	s_cbranch_execnz .LBB22_172
	s_branch .LBB22_173
.LBB22_192:
	s_mov_b64 s[14:15], -1
                                        ; implicit-def: $vgpr0
.LBB22_193:
	s_mov_b64 s[12:13], 0
.LBB22_194:
	s_and_b64 vcc, exec, s[12:13]
	s_cbranch_vccz .LBB22_198
; %bb.195:
	s_cmp_eq_u32 s18, 11
	s_cbranch_scc0 .LBB22_197
; %bb.196:
	global_load_ubyte v0, v[2:3], off
	s_mov_b64 s[0:1], -1
	s_mov_b64 s[14:15], 0
	s_waitcnt vmcnt(0)
	v_cmp_ne_u16_e32 vcc, 0, v0
	s_nop 1
	v_cndmask_b32_e64 v0, 0, 1, vcc
	s_branch .LBB22_198
.LBB22_197:
	s_mov_b64 s[14:15], -1
                                        ; implicit-def: $vgpr0
.LBB22_198:
	s_branch .LBB22_10
.LBB22_199:
	s_cmp_lt_i32 s18, 5
	s_cbranch_scc1 .LBB22_204
; %bb.200:
	s_cmp_lt_i32 s18, 8
	s_cbranch_scc1 .LBB22_205
; %bb.201:
	;; [unrolled: 3-line block ×3, first 2 shown]
	s_cmp_gt_i32 s18, 9
	s_cbranch_scc0 .LBB22_207
; %bb.203:
	global_load_dwordx2 v[0:1], v[2:3], off
	s_mov_b64 s[0:1], 0
	s_waitcnt vmcnt(0)
	v_cvt_i32_f64_e32 v0, v[0:1]
	s_branch .LBB22_208
.LBB22_204:
                                        ; implicit-def: $vgpr0
	s_branch .LBB22_226
.LBB22_205:
	s_mov_b64 s[0:1], -1
                                        ; implicit-def: $vgpr0
	s_branch .LBB22_214
.LBB22_206:
	s_mov_b64 s[0:1], -1
                                        ; implicit-def: $vgpr0
	s_branch .LBB22_211
.LBB22_207:
	s_mov_b64 s[0:1], -1
                                        ; implicit-def: $vgpr0
.LBB22_208:
	s_andn2_b64 vcc, exec, s[0:1]
	s_cbranch_vccnz .LBB22_210
; %bb.209:
	global_load_dword v0, v[2:3], off
	s_waitcnt vmcnt(0)
	v_cvt_i32_f32_e32 v0, v0
.LBB22_210:
	s_mov_b64 s[0:1], 0
.LBB22_211:
	s_andn2_b64 vcc, exec, s[0:1]
	s_cbranch_vccnz .LBB22_213
; %bb.212:
	global_load_dword v0, v[2:3], off
	s_waitcnt vmcnt(0)
	v_cvt_i16_f16_e32 v0, v0
.LBB22_213:
	s_mov_b64 s[0:1], 0
.LBB22_214:
	s_andn2_b64 vcc, exec, s[0:1]
	s_cbranch_vccnz .LBB22_225
; %bb.215:
	s_cmp_lt_i32 s18, 6
	s_cbranch_scc1 .LBB22_218
; %bb.216:
	s_cmp_gt_i32 s18, 6
	s_cbranch_scc0 .LBB22_219
; %bb.217:
	global_load_dwordx2 v[0:1], v[2:3], off
	s_mov_b64 s[0:1], 0
	s_waitcnt vmcnt(0)
	v_cvt_i32_f64_e32 v0, v[0:1]
	s_branch .LBB22_220
.LBB22_218:
	s_mov_b64 s[0:1], -1
                                        ; implicit-def: $vgpr0
	s_branch .LBB22_223
.LBB22_219:
	s_mov_b64 s[0:1], -1
                                        ; implicit-def: $vgpr0
.LBB22_220:
	s_andn2_b64 vcc, exec, s[0:1]
	s_cbranch_vccnz .LBB22_222
; %bb.221:
	global_load_dword v0, v[2:3], off
	s_waitcnt vmcnt(0)
	v_cvt_i32_f32_e32 v0, v0
.LBB22_222:
	s_mov_b64 s[0:1], 0
.LBB22_223:
	s_andn2_b64 vcc, exec, s[0:1]
	s_cbranch_vccnz .LBB22_225
; %bb.224:
	global_load_ushort v0, v[2:3], off
	s_waitcnt vmcnt(0)
	v_cvt_i16_f16_e32 v0, v0
.LBB22_225:
	s_cbranch_execnz .LBB22_245
.LBB22_226:
	s_cmp_lt_i32 s18, 2
	s_cbranch_scc1 .LBB22_230
; %bb.227:
	s_cmp_lt_i32 s18, 3
	s_cbranch_scc1 .LBB22_231
; %bb.228:
	s_cmp_gt_i32 s18, 3
	s_cbranch_scc0 .LBB22_232
; %bb.229:
	global_load_dwordx2 v[0:1], v[2:3], off
	s_mov_b64 s[0:1], 0
	s_branch .LBB22_233
.LBB22_230:
	s_mov_b64 s[0:1], -1
                                        ; implicit-def: $vgpr0
	s_branch .LBB22_239
.LBB22_231:
	s_mov_b64 s[0:1], -1
                                        ; implicit-def: $vgpr0
	s_branch .LBB22_236
.LBB22_232:
	s_mov_b64 s[0:1], -1
                                        ; implicit-def: $vgpr0
.LBB22_233:
	s_andn2_b64 vcc, exec, s[0:1]
	s_cbranch_vccnz .LBB22_235
; %bb.234:
	global_load_dword v0, v[2:3], off
.LBB22_235:
	s_mov_b64 s[0:1], 0
.LBB22_236:
	s_andn2_b64 vcc, exec, s[0:1]
	s_cbranch_vccnz .LBB22_238
; %bb.237:
	global_load_ushort v0, v[2:3], off
.LBB22_238:
	s_mov_b64 s[0:1], 0
.LBB22_239:
	s_andn2_b64 vcc, exec, s[0:1]
	s_cbranch_vccnz .LBB22_245
; %bb.240:
	s_cmp_gt_i32 s18, 0
	s_cbranch_scc0 .LBB22_242
; %bb.241:
	global_load_ubyte v0, v[2:3], off
	s_mov_b64 s[0:1], 0
	s_branch .LBB22_243
.LBB22_242:
	s_mov_b64 s[0:1], -1
                                        ; implicit-def: $vgpr0
.LBB22_243:
	s_andn2_b64 vcc, exec, s[0:1]
	s_cbranch_vccnz .LBB22_245
; %bb.244:
	global_load_ubyte v0, v[2:3], off
.LBB22_245:
	s_branch .LBB22_11
.LBB22_246:
	s_mov_b64 s[0:1], 0
                                        ; implicit-def: $vgpr10
	s_mov_b64 s[18:19], 0
.LBB22_247:
	s_and_b64 s[12:13], s[0:1], exec
	s_and_b64 s[14:15], s[14:15], exec
	s_orn2_b64 s[18:19], s[18:19], exec
.LBB22_248:
	s_or_b64 exec, exec, s[16:17]
	s_mov_b64 s[22:23], 0
	s_mov_b64 s[0:1], 0
                                        ; implicit-def: $vgpr2_vgpr3
                                        ; implicit-def: $vgpr0
	s_and_saveexec_b64 s[16:17], s[18:19]
	s_cbranch_execz .LBB22_257
; %bb.249:
	v_cmp_gt_i32_e32 vcc, s38, v10
	s_mov_b64 s[0:1], -1
	s_mov_b64 s[18:19], s[14:15]
	s_mov_b64 s[20:21], s[12:13]
	s_and_saveexec_b64 s[22:23], vcc
	s_cbranch_execz .LBB22_505
; %bb.250:
	s_waitcnt vmcnt(0)
	v_mul_lo_u32 v0, v10, s9
	v_ashrrev_i32_e32 v1, 31, v0
	s_and_b32 s24, 0xffff, s42
	s_cmp_lt_i32 s24, 11
	v_lshl_add_u64 v[2:3], s[6:7], 0, v[0:1]
	s_cbranch_scc1 .LBB22_260
; %bb.251:
	s_cmp_gt_i32 s24, 25
	s_cbranch_scc0 .LBB22_269
; %bb.252:
	s_cmp_gt_i32 s24, 28
	s_cbranch_scc0 .LBB22_271
	;; [unrolled: 3-line block ×4, first 2 shown]
; %bb.255:
	s_cmp_eq_u32 s24, 46
	s_mov_b64 s[20:21], 0
	s_cbranch_scc0 .LBB22_281
; %bb.256:
	global_load_dword v0, v[2:3], off
	s_mov_b64 s[18:19], 0
	s_waitcnt vmcnt(0)
	v_lshlrev_b32_e32 v0, 16, v0
	v_cvt_i32_f32_e32 v0, v0
	s_branch .LBB22_282
.LBB22_257:
	s_or_b64 exec, exec, s[16:17]
	s_mov_b64 s[16:17], 0
	s_and_saveexec_b64 s[18:19], s[14:15]
	s_cbranch_execnz .LBB22_843
.LBB22_258:
	s_or_b64 exec, exec, s[18:19]
	s_and_saveexec_b64 s[14:15], s[20:21]
	s_xor_b64 s[14:15], exec, s[14:15]
	s_cbranch_execz .LBB22_844
.LBB22_259:
	global_load_ubyte v0, v[2:3], off
	s_or_b64 s[0:1], s[0:1], exec
	s_waitcnt vmcnt(0)
	v_cmp_ne_u16_e32 vcc, 0, v0
	s_nop 1
	v_cndmask_b32_e64 v0, 0, 1, vcc
	s_or_b64 exec, exec, s[14:15]
	s_and_saveexec_b64 s[14:15], s[22:23]
	s_cbranch_execz .LBB22_890
	s_branch .LBB22_845
.LBB22_260:
	s_mov_b64 s[0:1], 0
                                        ; implicit-def: $vgpr0
	s_mov_b64 s[18:19], s[14:15]
	s_cbranch_execnz .LBB22_455
.LBB22_261:
	s_andn2_b64 vcc, exec, s[0:1]
	s_cbranch_vccnz .LBB22_503
.LBB22_262:
	v_mul_lo_u32 v2, v10, s8
	v_ashrrev_i32_e32 v3, 31, v2
	s_and_b32 s28, s33, 0xff
	s_waitcnt vmcnt(0)
	v_xor_b32_e32 v1, -1, v0
	s_cmp_lt_i32 s28, 11
	v_lshl_add_u64 v[2:3], s[4:5], 0, v[2:3]
	s_cbranch_scc1 .LBB22_270
; %bb.263:
	s_and_b32 s29, 0xffff, s28
	s_cmp_gt_i32 s29, 25
	s_cbranch_scc0 .LBB22_272
; %bb.264:
	s_cmp_gt_i32 s29, 28
	s_cbranch_scc0 .LBB22_274
; %bb.265:
	;; [unrolled: 3-line block ×4, first 2 shown]
	s_mov_b64 s[24:25], 0
	s_mov_b64 s[0:1], -1
	s_cmp_eq_u32 s29, 46
	s_mov_b64 s[20:21], 0
	s_cbranch_scc0 .LBB22_286
; %bb.268:
	v_bfe_i32 v4, v1, 0, 8
	v_cvt_f32_i32_sdwa v4, sext(v4) dst_sel:DWORD dst_unused:UNUSED_PAD src0_sel:WORD_0
	s_movk_i32 s0, 0x7fff
	s_mov_b64 s[20:21], -1
	v_bfe_u32 v5, v4, 16, 1
	v_add3_u32 v4, v4, v5, s0
	v_lshrrev_b32_e32 v4, 16, v4
	global_store_dword v[2:3], v4, off
	s_mov_b64 s[0:1], 0
	s_branch .LBB22_286
.LBB22_269:
	s_mov_b64 s[20:21], -1
	s_mov_b64 s[0:1], 0
	s_mov_b64 s[18:19], s[14:15]
                                        ; implicit-def: $vgpr0
	s_branch .LBB22_421
.LBB22_270:
	s_mov_b64 s[24:25], -1
	s_mov_b64 s[20:21], 0
	s_mov_b64 s[0:1], s[12:13]
	s_branch .LBB22_355
.LBB22_271:
	s_mov_b64 s[20:21], -1
	s_mov_b64 s[0:1], 0
	s_mov_b64 s[18:19], s[14:15]
                                        ; implicit-def: $vgpr0
	s_branch .LBB22_404
.LBB22_272:
	s_mov_b64 s[24:25], -1
	s_mov_b64 s[20:21], 0
	s_mov_b64 s[0:1], s[12:13]
	s_branch .LBB22_313
.LBB22_273:
	s_mov_b64 s[20:21], -1
	s_mov_b64 s[0:1], 0
	s_mov_b64 s[18:19], s[14:15]
                                        ; implicit-def: $vgpr0
	s_branch .LBB22_399
.LBB22_274:
	s_mov_b64 s[24:25], -1
	s_mov_b64 s[20:21], 0
	s_mov_b64 s[0:1], s[12:13]
	s_branch .LBB22_296
.LBB22_275:
	s_andn2_saveexec_b64 s[22:23], s[22:23]
	s_cbranch_execz .LBB22_55
.LBB22_276:
	s_mov_b32 s26, 0x46000000
	v_add_f32_e64 v5, |v4|, s26
	v_and_b32_e32 v5, 0xff, v5
	v_cmp_ne_u32_e32 vcc, 0, v5
	s_andn2_b64 s[18:19], s[18:19], exec
	s_and_b64 s[26:27], vcc, exec
	s_or_b64 s[18:19], s[18:19], s[26:27]
	s_or_b64 exec, exec, s[22:23]
	v_mov_b32_e32 v6, 0
	s_and_saveexec_b64 s[22:23], s[18:19]
	s_cbranch_execnz .LBB22_56
	s_branch .LBB22_57
.LBB22_277:
	s_mov_b64 s[20:21], -1
	s_mov_b64 s[0:1], 0
	s_mov_b64 s[18:19], s[14:15]
                                        ; implicit-def: $vgpr0
	s_branch .LBB22_282
.LBB22_278:
	s_mov_b64 s[24:25], -1
	s_mov_b64 s[20:21], 0
	s_mov_b64 s[0:1], s[12:13]
	s_branch .LBB22_292
.LBB22_279:
	s_andn2_saveexec_b64 s[22:23], s[22:23]
	s_cbranch_execz .LBB22_68
.LBB22_280:
	s_mov_b32 s26, 0x42800000
	v_add_f32_e64 v5, |v4|, s26
	v_and_b32_e32 v5, 0xff, v5
	v_cmp_ne_u32_e32 vcc, 0, v5
	s_andn2_b64 s[18:19], s[18:19], exec
	s_and_b64 s[26:27], vcc, exec
	s_or_b64 s[18:19], s[18:19], s[26:27]
	s_or_b64 exec, exec, s[22:23]
	v_mov_b32_e32 v6, 0
	s_and_saveexec_b64 s[22:23], s[18:19]
	s_cbranch_execnz .LBB22_69
	s_branch .LBB22_70
.LBB22_281:
	s_mov_b64 s[18:19], -1
                                        ; implicit-def: $vgpr0
	s_mov_b64 s[0:1], 0
.LBB22_282:
	s_and_b64 vcc, exec, s[20:21]
	s_cbranch_vccz .LBB22_398
; %bb.283:
	s_cmp_eq_u32 s24, 44
	s_cbranch_scc0 .LBB22_397
; %bb.284:
	global_load_ubyte v0, v[2:3], off
	s_mov_b64 s[0:1], -1
	s_mov_b64 s[18:19], 0
	s_waitcnt vmcnt(0)
	v_lshlrev_b32_e32 v1, 23, v0
	v_cvt_i32_f32_e32 v1, v1
	v_cmp_ne_u32_e32 vcc, 0, v0
	s_nop 1
	v_cndmask_b32_e32 v0, 0, v1, vcc
	s_branch .LBB22_398
.LBB22_285:
	s_mov_b64 s[24:25], -1
	s_mov_b64 s[20:21], 0
	s_mov_b64 s[0:1], s[12:13]
.LBB22_286:
	s_and_b64 vcc, exec, s[24:25]
	s_cbranch_vccz .LBB22_291
; %bb.287:
	s_cmp_eq_u32 s29, 44
	s_mov_b64 s[0:1], -1
	s_cbranch_scc0 .LBB22_291
; %bb.288:
	v_bfe_i32 v4, v1, 0, 8
	v_cvt_f32_i32_sdwa v4, sext(v4) dst_sel:DWORD dst_unused:UNUSED_PAD src0_sel:WORD_0
	s_movk_i32 s0, 0xff
	v_mov_b32_e32 v6, 0xff
	v_bfe_u32 v5, v4, 23, 8
	v_cmp_ne_u32_e32 vcc, s0, v5
	s_and_saveexec_b64 s[20:21], vcc
; %bb.289:
	s_mov_b32 s0, 0x3fffff
	v_lshrrev_b32_e32 v6, 23, v4
	v_and_b32_e32 v7, 0x400000, v4
	v_and_or_b32 v4, v4, s0, v5
	v_cmp_ne_u32_e32 vcc, 0, v7
	v_cmp_ne_u32_e64 s[0:1], 0, v4
	s_and_b64 s[0:1], vcc, s[0:1]
	s_nop 0
	v_cndmask_b32_e64 v4, 0, 1, s[0:1]
	v_add_u32_e32 v6, v6, v4
; %bb.290:
	s_or_b64 exec, exec, s[20:21]
	s_mov_b64 s[20:21], -1
	s_mov_b64 s[0:1], 0
	global_store_byte v[2:3], v6, off
.LBB22_291:
	s_mov_b64 s[24:25], 0
.LBB22_292:
	s_and_b64 vcc, exec, s[24:25]
	s_cbranch_vccz .LBB22_295
; %bb.293:
	s_cmp_eq_u32 s29, 29
	s_mov_b64 s[0:1], -1
	s_cbranch_scc0 .LBB22_295
; %bb.294:
	v_bfe_i32 v4, v1, 0, 8
	v_ashrrev_i32_e32 v5, 31, v4
	global_store_dwordx2 v[2:3], v[4:5], off
	s_mov_b64 s[20:21], -1
	s_mov_b64 s[0:1], 0
.LBB22_295:
	s_mov_b64 s[24:25], 0
.LBB22_296:
	s_and_b64 vcc, exec, s[24:25]
	s_cbranch_vccz .LBB22_312
; %bb.297:
	s_cmp_lt_i32 s29, 27
	s_mov_b64 s[20:21], -1
	s_cbranch_scc1 .LBB22_303
; %bb.298:
	s_cmp_gt_i32 s29, 27
	s_cbranch_scc0 .LBB22_300
; %bb.299:
	v_bfe_i32 v4, v1, 0, 8
	s_mov_b64 s[20:21], 0
	global_store_dword v[2:3], v4, off
.LBB22_300:
	s_andn2_b64 vcc, exec, s[20:21]
	s_cbranch_vccnz .LBB22_302
; %bb.301:
	v_bfe_i32 v4, v1, 0, 8
	global_store_short v[2:3], v4, off
.LBB22_302:
	s_mov_b64 s[20:21], 0
.LBB22_303:
	s_andn2_b64 vcc, exec, s[20:21]
	s_cbranch_vccnz .LBB22_311
; %bb.304:
	v_bfe_i32 v4, v1, 0, 8
	v_cvt_f32_i32_sdwa v4, sext(v4) dst_sel:DWORD dst_unused:UNUSED_PAD src0_sel:WORD_0
	s_mov_b32 s20, 0x43800000
	v_mov_b32_e32 v6, 0x80
	v_and_b32_e32 v5, 0x7fffffff, v4
	v_cmp_gt_u32_e32 vcc, s20, v5
	s_and_saveexec_b64 s[20:21], vcc
	s_cbranch_execz .LBB22_310
; %bb.305:
	s_mov_b32 s24, 0x3bffffff
	v_cmp_lt_u32_e32 vcc, s24, v5
	s_mov_b64 s[24:25], 0
                                        ; implicit-def: $vgpr5
	s_and_saveexec_b64 s[26:27], vcc
	s_xor_b64 s[26:27], exec, s[26:27]
	s_cbranch_execz .LBB22_518
; %bb.306:
	v_bfe_u32 v5, v4, 20, 1
	s_mov_b32 s30, 0x487ffff
	v_add3_u32 v5, v4, v5, s30
	s_mov_b64 s[24:25], exec
	v_lshrrev_b32_e32 v5, 20, v5
	s_andn2_saveexec_b64 s[26:27], s[26:27]
	s_cbranch_execnz .LBB22_519
.LBB22_307:
	s_or_b64 exec, exec, s[26:27]
	v_mov_b32_e32 v6, 0
	s_and_saveexec_b64 s[26:27], s[24:25]
.LBB22_308:
	v_lshrrev_b32_e32 v4, 24, v4
	s_movk_i32 s24, 0x80
	v_and_or_b32 v6, v4, s24, v5
.LBB22_309:
	s_or_b64 exec, exec, s[26:27]
.LBB22_310:
	s_or_b64 exec, exec, s[20:21]
	global_store_byte v[2:3], v6, off
.LBB22_311:
	s_mov_b64 s[20:21], -1
.LBB22_312:
	s_mov_b64 s[24:25], 0
.LBB22_313:
	s_and_b64 vcc, exec, s[24:25]
	s_cbranch_vccz .LBB22_354
; %bb.314:
	s_cmp_gt_i32 s29, 22
	s_mov_b64 s[24:25], -1
	s_cbranch_scc0 .LBB22_346
; %bb.315:
	s_cmp_lt_i32 s29, 24
	s_mov_b64 s[20:21], -1
	s_cbranch_scc1 .LBB22_335
; %bb.316:
	s_cmp_gt_i32 s29, 24
	s_cbranch_scc0 .LBB22_324
; %bb.317:
	v_bfe_i32 v4, v1, 0, 8
	v_cvt_f32_i32_sdwa v4, sext(v4) dst_sel:DWORD dst_unused:UNUSED_PAD src0_sel:WORD_0
	s_mov_b32 s20, 0x47800000
	v_mov_b32_e32 v6, 0x80
	v_and_b32_e32 v5, 0x7fffffff, v4
	v_cmp_gt_u32_e32 vcc, s20, v5
	s_and_saveexec_b64 s[20:21], vcc
	s_cbranch_execz .LBB22_323
; %bb.318:
	s_mov_b32 s24, 0x37ffffff
	v_cmp_lt_u32_e32 vcc, s24, v5
	s_mov_b64 s[24:25], 0
                                        ; implicit-def: $vgpr5
	s_and_saveexec_b64 s[26:27], vcc
	s_xor_b64 s[26:27], exec, s[26:27]
	s_cbranch_execz .LBB22_521
; %bb.319:
	v_bfe_u32 v5, v4, 21, 1
	s_mov_b32 s30, 0x88fffff
	v_add3_u32 v5, v4, v5, s30
	s_mov_b64 s[24:25], exec
	v_lshrrev_b32_e32 v5, 21, v5
	s_andn2_saveexec_b64 s[26:27], s[26:27]
	s_cbranch_execnz .LBB22_522
.LBB22_320:
	s_or_b64 exec, exec, s[26:27]
	v_mov_b32_e32 v6, 0
	s_and_saveexec_b64 s[26:27], s[24:25]
.LBB22_321:
	v_lshrrev_b32_e32 v4, 24, v4
	s_movk_i32 s24, 0x80
	v_and_or_b32 v6, v4, s24, v5
.LBB22_322:
	s_or_b64 exec, exec, s[26:27]
.LBB22_323:
	s_or_b64 exec, exec, s[20:21]
	s_mov_b64 s[20:21], 0
	global_store_byte v[2:3], v6, off
.LBB22_324:
	s_and_b64 vcc, exec, s[20:21]
	s_cbranch_vccz .LBB22_334
; %bb.325:
	v_bfe_i32 v4, v1, 0, 8
	v_cvt_f32_i32_sdwa v4, sext(v4) dst_sel:DWORD dst_unused:UNUSED_PAD src0_sel:WORD_0
	s_mov_b32 s20, 0x43f00000
                                        ; implicit-def: $vgpr5
	v_and_b32_e32 v6, 0x7fffffff, v4
	v_cmp_gt_u32_e32 vcc, s20, v6
	s_and_saveexec_b64 s[20:21], vcc
	s_xor_b64 s[20:21], exec, s[20:21]
	s_cbranch_execz .LBB22_331
; %bb.326:
	s_mov_b32 s24, 0x3c7fffff
	v_cmp_lt_u32_e32 vcc, s24, v6
                                        ; implicit-def: $vgpr5
	s_and_saveexec_b64 s[24:25], vcc
	s_xor_b64 s[24:25], exec, s[24:25]
; %bb.327:
	v_bfe_u32 v5, v4, 20, 1
	s_mov_b32 s26, 0x407ffff
	v_add3_u32 v5, v4, v5, s26
	v_lshrrev_b32_e32 v6, 20, v5
	v_and_b32_e32 v5, 0xff00000, v5
	s_mov_b32 s26, 0x7f00000
	v_mov_b32_e32 v7, 0x7e
	v_cmp_ne_u32_e32 vcc, s26, v5
	s_nop 1
	v_cndmask_b32_e32 v5, v7, v6, vcc
; %bb.328:
	s_andn2_saveexec_b64 s[24:25], s[24:25]
; %bb.329:
	s_mov_b32 s26, 0x46800000
	v_add_f32_e64 v5, |v4|, s26
; %bb.330:
	s_or_b64 exec, exec, s[24:25]
                                        ; implicit-def: $vgpr6
.LBB22_331:
	s_andn2_saveexec_b64 s[20:21], s[20:21]
; %bb.332:
	s_mov_b32 s24, 0x7f800000
	v_mov_b32_e32 v5, 0x7e
	v_mov_b32_e32 v7, 0x7f
	v_cmp_lt_u32_e32 vcc, s24, v6
	s_nop 1
	v_cndmask_b32_e32 v5, v5, v7, vcc
; %bb.333:
	s_or_b64 exec, exec, s[20:21]
	v_lshrrev_b32_e32 v4, 24, v4
	s_movk_i32 s20, 0x80
	v_and_or_b32 v4, v4, s20, v5
	global_store_byte v[2:3], v4, off
.LBB22_334:
	s_mov_b64 s[20:21], 0
.LBB22_335:
	s_andn2_b64 vcc, exec, s[20:21]
	s_cbranch_vccnz .LBB22_345
; %bb.336:
	v_bfe_i32 v4, v1, 0, 8
	v_cvt_f32_i32_sdwa v4, sext(v4) dst_sel:DWORD dst_unused:UNUSED_PAD src0_sel:WORD_0
	s_mov_b32 s20, 0x47800000
                                        ; implicit-def: $vgpr5
	v_and_b32_e32 v6, 0x7fffffff, v4
	v_cmp_gt_u32_e32 vcc, s20, v6
	s_and_saveexec_b64 s[20:21], vcc
	s_xor_b64 s[20:21], exec, s[20:21]
	s_cbranch_execz .LBB22_342
; %bb.337:
	s_mov_b32 s24, 0x387fffff
	v_cmp_lt_u32_e32 vcc, s24, v6
                                        ; implicit-def: $vgpr5
	s_and_saveexec_b64 s[24:25], vcc
	s_xor_b64 s[24:25], exec, s[24:25]
; %bb.338:
	v_bfe_u32 v5, v4, 21, 1
	s_mov_b32 s26, 0x80fffff
	v_add3_u32 v5, v4, v5, s26
	v_lshrrev_b32_e32 v5, 21, v5
; %bb.339:
	s_andn2_saveexec_b64 s[24:25], s[24:25]
; %bb.340:
	s_mov_b32 s26, 0x43000000
	v_add_f32_e64 v5, |v4|, s26
; %bb.341:
	s_or_b64 exec, exec, s[24:25]
                                        ; implicit-def: $vgpr6
.LBB22_342:
	s_andn2_saveexec_b64 s[20:21], s[20:21]
; %bb.343:
	s_mov_b32 s24, 0x7f800000
	v_mov_b32_e32 v5, 0x7c
	v_mov_b32_e32 v7, 0x7f
	v_cmp_lt_u32_e32 vcc, s24, v6
	s_nop 1
	v_cndmask_b32_e32 v5, v5, v7, vcc
; %bb.344:
	s_or_b64 exec, exec, s[20:21]
	v_lshrrev_b32_e32 v4, 24, v4
	s_movk_i32 s20, 0x80
	v_and_or_b32 v4, v4, s20, v5
	global_store_byte v[2:3], v4, off
.LBB22_345:
	s_mov_b64 s[24:25], 0
	s_mov_b64 s[20:21], -1
.LBB22_346:
	s_andn2_b64 vcc, exec, s[24:25]
	s_cbranch_vccnz .LBB22_354
; %bb.347:
	s_cmp_gt_i32 s29, 14
	s_mov_b64 s[24:25], -1
	s_cbranch_scc0 .LBB22_351
; %bb.348:
	s_cmp_eq_u32 s29, 15
	s_mov_b64 s[0:1], -1
	s_cbranch_scc0 .LBB22_350
; %bb.349:
	v_bfe_i32 v4, v1, 0, 8
	v_cvt_f32_i32_sdwa v4, sext(v4) dst_sel:DWORD dst_unused:UNUSED_PAD src0_sel:WORD_0
	s_movk_i32 s0, 0x7fff
	s_mov_b64 s[20:21], -1
	v_bfe_u32 v5, v4, 16, 1
	v_add3_u32 v4, v4, v5, s0
	global_store_short_d16_hi v[2:3], v4, off
	s_mov_b64 s[0:1], 0
.LBB22_350:
	s_mov_b64 s[24:25], 0
.LBB22_351:
	s_and_b64 vcc, exec, s[24:25]
	s_cbranch_vccz .LBB22_354
; %bb.352:
	s_cmp_eq_u32 s29, 11
	s_mov_b64 s[0:1], -1
	s_cbranch_scc0 .LBB22_354
; %bb.353:
	s_movk_i32 s0, 0xff
	v_cmp_ne_u16_sdwa s[0:1], v0, s0 src0_sel:BYTE_0 src1_sel:DWORD
	s_mov_b64 s[20:21], -1
	s_nop 0
	v_cndmask_b32_e64 v0, 0, 1, s[0:1]
	s_mov_b64 s[0:1], 0
	global_store_byte v[2:3], v0, off
.LBB22_354:
	s_mov_b64 s[24:25], 0
.LBB22_355:
	s_and_b64 vcc, exec, s[24:25]
	s_cbranch_vccz .LBB22_394
; %bb.356:
	s_and_b32 s24, 0xffff, s28
	s_cmp_lt_i32 s24, 5
	s_mov_b64 s[20:21], -1
	s_cbranch_scc1 .LBB22_377
; %bb.357:
	s_cmp_lt_i32 s24, 8
	s_cbranch_scc1 .LBB22_367
; %bb.358:
	s_cmp_lt_i32 s24, 9
	s_cbranch_scc1 .LBB22_364
; %bb.359:
	s_cmp_gt_i32 s24, 9
	s_cbranch_scc0 .LBB22_361
; %bb.360:
	v_bfe_i32 v0, v1, 0, 8
	v_bfe_i32 v0, v0, 0, 16
	v_mov_b32_e32 v6, 0
	v_cvt_f64_i32_e32 v[4:5], v0
	v_mov_b32_e32 v7, v6
	s_mov_b64 s[20:21], 0
	global_store_dwordx4 v[2:3], v[4:7], off
.LBB22_361:
	s_andn2_b64 vcc, exec, s[20:21]
	s_cbranch_vccnz .LBB22_363
; %bb.362:
	v_bfe_i32 v0, v1, 0, 8
	v_cvt_f32_i32_sdwa v4, sext(v0) dst_sel:DWORD dst_unused:UNUSED_PAD src0_sel:WORD_0
	v_mov_b32_e32 v5, 0
	global_store_dwordx2 v[2:3], v[4:5], off
.LBB22_363:
	s_mov_b64 s[20:21], 0
.LBB22_364:
	s_andn2_b64 vcc, exec, s[20:21]
	s_cbranch_vccnz .LBB22_366
; %bb.365:
	v_cvt_f16_i16_sdwa v0, sext(v1) dst_sel:DWORD dst_unused:UNUSED_PAD src0_sel:BYTE_0
	global_store_dword v[2:3], v0, off
.LBB22_366:
	s_mov_b64 s[20:21], 0
.LBB22_367:
	s_andn2_b64 vcc, exec, s[20:21]
	s_cbranch_vccnz .LBB22_376
; %bb.368:
	s_cmp_lt_i32 s24, 6
	s_mov_b64 s[20:21], -1
	s_cbranch_scc1 .LBB22_374
; %bb.369:
	s_cmp_gt_i32 s24, 6
	s_cbranch_scc0 .LBB22_371
; %bb.370:
	v_bfe_i32 v0, v1, 0, 8
	v_bfe_i32 v0, v0, 0, 16
	v_cvt_f64_i32_e32 v[4:5], v0
	s_mov_b64 s[20:21], 0
	global_store_dwordx2 v[2:3], v[4:5], off
.LBB22_371:
	s_andn2_b64 vcc, exec, s[20:21]
	s_cbranch_vccnz .LBB22_373
; %bb.372:
	v_bfe_i32 v0, v1, 0, 8
	v_cvt_f32_i32_sdwa v0, sext(v0) dst_sel:DWORD dst_unused:UNUSED_PAD src0_sel:WORD_0
	global_store_dword v[2:3], v0, off
.LBB22_373:
	s_mov_b64 s[20:21], 0
.LBB22_374:
	s_andn2_b64 vcc, exec, s[20:21]
	s_cbranch_vccnz .LBB22_376
; %bb.375:
	v_cvt_f16_i16_sdwa v0, sext(v1) dst_sel:DWORD dst_unused:UNUSED_PAD src0_sel:BYTE_0
	global_store_short v[2:3], v0, off
.LBB22_376:
	s_mov_b64 s[20:21], 0
.LBB22_377:
	s_andn2_b64 vcc, exec, s[20:21]
	s_cbranch_vccnz .LBB22_393
; %bb.378:
	s_cmp_lt_i32 s24, 2
	s_mov_b64 s[20:21], -1
	s_cbranch_scc1 .LBB22_388
; %bb.379:
	s_cmp_lt_i32 s24, 3
	s_cbranch_scc1 .LBB22_385
; %bb.380:
	s_cmp_gt_i32 s24, 3
	s_cbranch_scc0 .LBB22_382
; %bb.381:
	v_bfe_i32 v4, v1, 0, 8
	v_ashrrev_i32_e32 v5, 31, v4
	s_mov_b64 s[20:21], 0
	global_store_dwordx2 v[2:3], v[4:5], off
.LBB22_382:
	s_andn2_b64 vcc, exec, s[20:21]
	s_cbranch_vccnz .LBB22_384
; %bb.383:
	v_bfe_i32 v0, v1, 0, 8
	global_store_dword v[2:3], v0, off
.LBB22_384:
	s_mov_b64 s[20:21], 0
.LBB22_385:
	s_andn2_b64 vcc, exec, s[20:21]
	s_cbranch_vccnz .LBB22_387
; %bb.386:
	v_bfe_i32 v0, v1, 0, 8
	global_store_short v[2:3], v0, off
.LBB22_387:
	s_mov_b64 s[20:21], 0
.LBB22_388:
	s_andn2_b64 vcc, exec, s[20:21]
	s_cbranch_vccnz .LBB22_393
; %bb.389:
	s_cmp_gt_i32 s24, 0
	s_mov_b64 s[20:21], -1
	s_cbranch_scc0 .LBB22_391
; %bb.390:
	s_mov_b64 s[20:21], 0
	global_store_byte v[2:3], v1, off
.LBB22_391:
	s_andn2_b64 vcc, exec, s[20:21]
	s_cbranch_vccnz .LBB22_393
; %bb.392:
	global_store_byte v[2:3], v1, off
.LBB22_393:
	s_mov_b64 s[20:21], -1
.LBB22_394:
	s_andn2_b64 vcc, exec, s[20:21]
	s_cbranch_vccnz .LBB22_396
; %bb.395:
	v_add_u32_e32 v10, 0x80, v10
	s_mov_b64 s[24:25], -1
	s_branch .LBB22_504
.LBB22_396:
	s_mov_b64 s[24:25], 0
                                        ; implicit-def: $vgpr10
	s_branch .LBB22_504
.LBB22_397:
	s_mov_b64 s[18:19], -1
                                        ; implicit-def: $vgpr0
.LBB22_398:
	s_mov_b64 s[20:21], 0
.LBB22_399:
	s_and_b64 vcc, exec, s[20:21]
	s_cbranch_vccz .LBB22_403
; %bb.400:
	s_cmp_eq_u32 s24, 29
	s_cbranch_scc0 .LBB22_402
; %bb.401:
	global_load_dwordx2 v[0:1], v[2:3], off
	s_mov_b64 s[0:1], -1
	s_mov_b64 s[18:19], 0
	s_branch .LBB22_403
.LBB22_402:
	s_mov_b64 s[18:19], -1
                                        ; implicit-def: $vgpr0
.LBB22_403:
	s_mov_b64 s[20:21], 0
.LBB22_404:
	s_and_b64 vcc, exec, s[20:21]
	s_cbranch_vccz .LBB22_420
; %bb.405:
	s_cmp_lt_i32 s24, 27
	s_cbranch_scc1 .LBB22_408
; %bb.406:
	s_cmp_gt_i32 s24, 27
	s_cbranch_scc0 .LBB22_409
; %bb.407:
	global_load_dword v0, v[2:3], off
	s_mov_b64 s[0:1], 0
	s_branch .LBB22_410
.LBB22_408:
	s_mov_b64 s[0:1], -1
                                        ; implicit-def: $vgpr0
	s_branch .LBB22_413
.LBB22_409:
	s_mov_b64 s[0:1], -1
                                        ; implicit-def: $vgpr0
.LBB22_410:
	s_andn2_b64 vcc, exec, s[0:1]
	s_cbranch_vccnz .LBB22_412
; %bb.411:
	global_load_ushort v0, v[2:3], off
.LBB22_412:
	s_mov_b64 s[0:1], 0
.LBB22_413:
	s_andn2_b64 vcc, exec, s[0:1]
	s_cbranch_vccnz .LBB22_419
; %bb.414:
	global_load_ubyte v1, v[2:3], off
	s_movk_i32 s0, 0x7f
	s_mov_b64 s[20:21], 0
	s_waitcnt vmcnt(0)
	v_cmp_lt_i16_e32 vcc, s0, v1
	s_and_saveexec_b64 s[0:1], vcc
	s_xor_b64 s[0:1], exec, s[0:1]
	s_cbranch_execz .LBB22_431
; %bb.415:
	s_movk_i32 s20, 0x80
	v_cmp_ne_u16_e32 vcc, s20, v1
	s_and_b64 s[20:21], vcc, exec
	s_andn2_saveexec_b64 s[0:1], s[0:1]
	s_cbranch_execnz .LBB22_432
.LBB22_416:
	s_or_b64 exec, exec, s[0:1]
	v_mov_b32_e32 v0, 0
	s_and_saveexec_b64 s[0:1], s[20:21]
	s_cbranch_execz .LBB22_418
.LBB22_417:
	v_lshlrev_b32_e32 v0, 24, v1
	v_and_b32_e32 v1, 0xffff, v1
	v_and_b32_e32 v4, 7, v1
	v_ffbh_u32_e32 v6, v4
	v_min_u32_e32 v6, 32, v6
	v_subrev_u32_e32 v7, 28, v6
	v_bfe_u32 v5, v1, 3, 4
	v_lshlrev_b32_e32 v1, v7, v1
	v_sub_u32_e32 v6, 29, v6
	v_and_b32_e32 v1, 7, v1
	v_cmp_eq_u32_e32 vcc, 0, v5
	v_and_b32_e32 v0, 0x80000000, v0
	s_nop 0
	v_cndmask_b32_e32 v5, v5, v6, vcc
	v_cndmask_b32_e32 v1, v4, v1, vcc
	v_mov_b32_e32 v4, 0x3b800000
	v_lshlrev_b32_e32 v1, 20, v1
	v_lshl_add_u32 v4, v5, 23, v4
	v_or3_b32 v0, v0, v4, v1
	v_cvt_i32_f32_e32 v0, v0
.LBB22_418:
	s_or_b64 exec, exec, s[0:1]
.LBB22_419:
	s_mov_b64 s[0:1], -1
.LBB22_420:
	s_mov_b64 s[20:21], 0
.LBB22_421:
	s_and_b64 vcc, exec, s[20:21]
	s_cbranch_vccz .LBB22_454
; %bb.422:
	s_cmp_gt_i32 s24, 22
	s_cbranch_scc0 .LBB22_430
; %bb.423:
	s_cmp_lt_i32 s24, 24
	s_cbranch_scc1 .LBB22_433
; %bb.424:
	s_cmp_gt_i32 s24, 24
	s_cbranch_scc0 .LBB22_434
; %bb.425:
	global_load_ubyte v1, v[2:3], off
	s_movk_i32 s0, 0x7f
	s_mov_b64 s[20:21], 0
	s_waitcnt vmcnt(0)
	v_cmp_lt_i16_e32 vcc, s0, v1
	s_and_saveexec_b64 s[0:1], vcc
	s_xor_b64 s[0:1], exec, s[0:1]
	s_cbranch_execz .LBB22_446
; %bb.426:
	s_movk_i32 s20, 0x80
	v_cmp_ne_u16_e32 vcc, s20, v1
	s_and_b64 s[20:21], vcc, exec
	s_andn2_saveexec_b64 s[0:1], s[0:1]
	s_cbranch_execnz .LBB22_447
.LBB22_427:
	s_or_b64 exec, exec, s[0:1]
	v_mov_b32_e32 v0, 0
	s_and_saveexec_b64 s[0:1], s[20:21]
	s_cbranch_execz .LBB22_429
.LBB22_428:
	v_lshlrev_b32_e32 v0, 24, v1
	v_and_b32_e32 v1, 0xffff, v1
	v_and_b32_e32 v4, 3, v1
	v_ffbh_u32_e32 v6, v4
	v_min_u32_e32 v6, 32, v6
	v_subrev_u32_e32 v7, 29, v6
	v_bfe_u32 v5, v1, 2, 5
	v_lshlrev_b32_e32 v1, v7, v1
	v_sub_u32_e32 v6, 30, v6
	v_and_b32_e32 v1, 3, v1
	v_cmp_eq_u32_e32 vcc, 0, v5
	v_and_b32_e32 v0, 0x80000000, v0
	s_nop 0
	v_cndmask_b32_e32 v5, v5, v6, vcc
	v_cndmask_b32_e32 v1, v4, v1, vcc
	v_mov_b32_e32 v4, 0x37800000
	v_lshlrev_b32_e32 v1, 21, v1
	v_lshl_add_u32 v4, v5, 23, v4
	v_or3_b32 v0, v0, v4, v1
	v_cvt_i32_f32_e32 v0, v0
.LBB22_429:
	s_or_b64 exec, exec, s[0:1]
	s_mov_b64 s[0:1], 0
	s_branch .LBB22_435
.LBB22_430:
	s_mov_b64 s[20:21], -1
                                        ; implicit-def: $vgpr0
	s_branch .LBB22_441
.LBB22_431:
	s_andn2_saveexec_b64 s[0:1], s[0:1]
	s_cbranch_execz .LBB22_416
.LBB22_432:
	v_cmp_ne_u16_e32 vcc, 0, v1
	s_andn2_b64 s[20:21], s[20:21], exec
	s_and_b64 s[26:27], vcc, exec
	s_or_b64 s[20:21], s[20:21], s[26:27]
	s_or_b64 exec, exec, s[0:1]
	v_mov_b32_e32 v0, 0
	s_and_saveexec_b64 s[0:1], s[20:21]
	s_cbranch_execnz .LBB22_417
	s_branch .LBB22_418
.LBB22_433:
	s_mov_b64 s[0:1], -1
                                        ; implicit-def: $vgpr0
	s_branch .LBB22_438
.LBB22_434:
	s_mov_b64 s[0:1], -1
                                        ; implicit-def: $vgpr0
.LBB22_435:
	s_and_b64 vcc, exec, s[0:1]
	s_cbranch_vccz .LBB22_437
; %bb.436:
	global_load_ubyte v0, v[2:3], off
	s_mov_b32 s0, 0x7f800000
	s_waitcnt vmcnt(0)
	v_lshlrev_b32_e32 v0, 24, v0
	v_and_b32_e32 v1, 0x7f000000, v0
	v_ffbh_u32_e32 v4, v1
	v_min_u32_e32 v4, 32, v4
	v_sub_u32_e64 v4, v4, 4 clamp
	v_lshlrev_b32_e32 v6, v4, v1
	v_lshlrev_b32_e32 v4, 23, v4
	v_lshrrev_b32_e32 v6, 4, v6
	v_add_u32_e32 v5, 0x1000000, v1
	v_sub_u32_e32 v4, v6, v4
	v_ashrrev_i32_e32 v5, 8, v5
	v_add_u32_e32 v4, 0x3c000000, v4
	v_and_or_b32 v4, v5, s0, v4
	v_cmp_ne_u32_e32 vcc, 0, v1
	s_brev_b32 s0, 1
	s_nop 0
	v_cndmask_b32_e32 v1, 0, v4, vcc
	v_and_or_b32 v0, v0, s0, v1
	v_cvt_i32_f32_e32 v0, v0
.LBB22_437:
	s_mov_b64 s[0:1], 0
.LBB22_438:
	s_andn2_b64 vcc, exec, s[0:1]
	s_cbranch_vccnz .LBB22_440
; %bb.439:
	global_load_ubyte v0, v[2:3], off
	s_movk_i32 s0, 0x7f00
	s_brev_b32 s1, 16
	s_waitcnt vmcnt(0)
	v_lshlrev_b16_e32 v1, 8, v0
	v_lshlrev_b32_e32 v0, 25, v0
	v_lshrrev_b32_e32 v4, 4, v0
	v_and_or_b32 v5, v1, s0, 0.5
	v_or_b32_e32 v4, 0x70000000, v4
	v_add_f32_e32 v5, -0.5, v5
	v_mul_f32_e32 v4, 0x7800000, v4
	v_cmp_gt_u32_e32 vcc, s1, v0
	v_bfe_i32 v1, v1, 0, 16
	s_brev_b32 s0, 1
	v_cndmask_b32_e32 v0, v4, v5, vcc
	v_and_or_b32 v0, v1, s0, v0
	v_cvt_i32_f32_e32 v0, v0
.LBB22_440:
	s_mov_b64 s[20:21], 0
	s_mov_b64 s[0:1], -1
.LBB22_441:
	s_andn2_b64 vcc, exec, s[20:21]
	s_cbranch_vccnz .LBB22_454
; %bb.442:
	s_cmp_gt_i32 s24, 14
	s_cbranch_scc0 .LBB22_445
; %bb.443:
	s_cmp_eq_u32 s24, 15
	s_cbranch_scc0 .LBB22_448
; %bb.444:
	global_load_ushort v0, v[2:3], off
	s_mov_b64 s[0:1], -1
	s_mov_b64 s[18:19], 0
	s_waitcnt vmcnt(0)
	v_lshlrev_b32_e32 v0, 16, v0
	v_cvt_i32_f32_e32 v0, v0
	s_branch .LBB22_449
.LBB22_445:
	s_mov_b64 s[20:21], -1
                                        ; implicit-def: $vgpr0
	s_branch .LBB22_450
.LBB22_446:
	s_andn2_saveexec_b64 s[0:1], s[0:1]
	s_cbranch_execz .LBB22_427
.LBB22_447:
	v_cmp_ne_u16_e32 vcc, 0, v1
	s_andn2_b64 s[20:21], s[20:21], exec
	s_and_b64 s[26:27], vcc, exec
	s_or_b64 s[20:21], s[20:21], s[26:27]
	s_or_b64 exec, exec, s[0:1]
	v_mov_b32_e32 v0, 0
	s_and_saveexec_b64 s[0:1], s[20:21]
	s_cbranch_execnz .LBB22_428
	s_branch .LBB22_429
.LBB22_448:
	s_mov_b64 s[18:19], -1
                                        ; implicit-def: $vgpr0
.LBB22_449:
	s_mov_b64 s[20:21], 0
.LBB22_450:
	s_and_b64 vcc, exec, s[20:21]
	s_cbranch_vccz .LBB22_454
; %bb.451:
	s_cmp_eq_u32 s24, 11
	s_cbranch_scc0 .LBB22_453
; %bb.452:
	global_load_ubyte v0, v[2:3], off
	s_mov_b64 s[0:1], -1
	s_mov_b64 s[18:19], 0
	s_waitcnt vmcnt(0)
	v_cmp_ne_u16_e32 vcc, 0, v0
	s_nop 1
	v_cndmask_b32_e64 v0, 0, 1, vcc
	s_branch .LBB22_454
.LBB22_453:
	s_mov_b64 s[18:19], -1
                                        ; implicit-def: $vgpr0
.LBB22_454:
	s_branch .LBB22_261
.LBB22_455:
	s_cmp_lt_i32 s24, 5
	s_cbranch_scc1 .LBB22_460
; %bb.456:
	s_cmp_lt_i32 s24, 8
	s_cbranch_scc1 .LBB22_461
; %bb.457:
	;; [unrolled: 3-line block ×3, first 2 shown]
	s_cmp_gt_i32 s24, 9
	s_cbranch_scc0 .LBB22_463
; %bb.459:
	global_load_dwordx2 v[0:1], v[2:3], off
	s_mov_b64 s[0:1], 0
	s_waitcnt vmcnt(0)
	v_cvt_i32_f64_e32 v0, v[0:1]
	s_branch .LBB22_464
.LBB22_460:
	s_mov_b64 s[0:1], -1
                                        ; implicit-def: $vgpr0
	s_branch .LBB22_482
.LBB22_461:
	s_mov_b64 s[0:1], -1
                                        ; implicit-def: $vgpr0
	s_branch .LBB22_470
.LBB22_462:
	s_mov_b64 s[0:1], -1
                                        ; implicit-def: $vgpr0
	s_branch .LBB22_467
.LBB22_463:
	s_mov_b64 s[0:1], -1
                                        ; implicit-def: $vgpr0
.LBB22_464:
	s_andn2_b64 vcc, exec, s[0:1]
	s_cbranch_vccnz .LBB22_466
; %bb.465:
	global_load_dword v0, v[2:3], off
	s_waitcnt vmcnt(0)
	v_cvt_i32_f32_e32 v0, v0
.LBB22_466:
	s_mov_b64 s[0:1], 0
.LBB22_467:
	s_andn2_b64 vcc, exec, s[0:1]
	s_cbranch_vccnz .LBB22_469
; %bb.468:
	global_load_dword v0, v[2:3], off
	s_waitcnt vmcnt(0)
	v_cvt_i16_f16_e32 v0, v0
.LBB22_469:
	s_mov_b64 s[0:1], 0
.LBB22_470:
	s_andn2_b64 vcc, exec, s[0:1]
	s_cbranch_vccnz .LBB22_481
; %bb.471:
	s_cmp_lt_i32 s24, 6
	s_cbranch_scc1 .LBB22_474
; %bb.472:
	s_cmp_gt_i32 s24, 6
	s_cbranch_scc0 .LBB22_475
; %bb.473:
	global_load_dwordx2 v[0:1], v[2:3], off
	s_mov_b64 s[0:1], 0
	s_waitcnt vmcnt(0)
	v_cvt_i32_f64_e32 v0, v[0:1]
	s_branch .LBB22_476
.LBB22_474:
	s_mov_b64 s[0:1], -1
                                        ; implicit-def: $vgpr0
	s_branch .LBB22_479
.LBB22_475:
	s_mov_b64 s[0:1], -1
                                        ; implicit-def: $vgpr0
.LBB22_476:
	s_andn2_b64 vcc, exec, s[0:1]
	s_cbranch_vccnz .LBB22_478
; %bb.477:
	global_load_dword v0, v[2:3], off
	s_waitcnt vmcnt(0)
	v_cvt_i32_f32_e32 v0, v0
.LBB22_478:
	s_mov_b64 s[0:1], 0
.LBB22_479:
	s_andn2_b64 vcc, exec, s[0:1]
	s_cbranch_vccnz .LBB22_481
; %bb.480:
	global_load_ushort v0, v[2:3], off
	s_waitcnt vmcnt(0)
	v_cvt_i16_f16_e32 v0, v0
.LBB22_481:
	s_mov_b64 s[0:1], 0
.LBB22_482:
	s_andn2_b64 vcc, exec, s[0:1]
	s_cbranch_vccnz .LBB22_502
; %bb.483:
	s_cmp_lt_i32 s24, 2
	s_cbranch_scc1 .LBB22_487
; %bb.484:
	s_cmp_lt_i32 s24, 3
	s_cbranch_scc1 .LBB22_488
; %bb.485:
	s_cmp_gt_i32 s24, 3
	s_cbranch_scc0 .LBB22_489
; %bb.486:
	global_load_dwordx2 v[0:1], v[2:3], off
	s_mov_b64 s[0:1], 0
	s_branch .LBB22_490
.LBB22_487:
	s_mov_b64 s[0:1], -1
                                        ; implicit-def: $vgpr0
	s_branch .LBB22_496
.LBB22_488:
	s_mov_b64 s[0:1], -1
                                        ; implicit-def: $vgpr0
	s_branch .LBB22_493
.LBB22_489:
	s_mov_b64 s[0:1], -1
                                        ; implicit-def: $vgpr0
.LBB22_490:
	s_andn2_b64 vcc, exec, s[0:1]
	s_cbranch_vccnz .LBB22_492
; %bb.491:
	global_load_dword v0, v[2:3], off
.LBB22_492:
	s_mov_b64 s[0:1], 0
.LBB22_493:
	s_andn2_b64 vcc, exec, s[0:1]
	s_cbranch_vccnz .LBB22_495
; %bb.494:
	global_load_ushort v0, v[2:3], off
.LBB22_495:
	s_mov_b64 s[0:1], 0
.LBB22_496:
	s_andn2_b64 vcc, exec, s[0:1]
	s_cbranch_vccnz .LBB22_502
; %bb.497:
	s_cmp_gt_i32 s24, 0
	s_cbranch_scc0 .LBB22_499
; %bb.498:
	global_load_ubyte v0, v[2:3], off
	s_mov_b64 s[0:1], 0
	s_branch .LBB22_500
.LBB22_499:
	s_mov_b64 s[0:1], -1
                                        ; implicit-def: $vgpr0
.LBB22_500:
	s_andn2_b64 vcc, exec, s[0:1]
	s_cbranch_vccnz .LBB22_502
; %bb.501:
	global_load_ubyte v0, v[2:3], off
.LBB22_502:
	s_branch .LBB22_262
.LBB22_503:
	s_mov_b64 s[24:25], 0
                                        ; implicit-def: $vgpr10
	s_mov_b64 s[0:1], s[12:13]
.LBB22_504:
	s_andn2_b64 s[20:21], s[12:13], exec
	s_and_b64 s[0:1], s[0:1], exec
	s_or_b64 s[20:21], s[20:21], s[0:1]
	s_andn2_b64 s[0:1], s[14:15], exec
	s_and_b64 s[18:19], s[18:19], exec
	s_or_b64 s[18:19], s[0:1], s[18:19]
	s_orn2_b64 s[0:1], s[24:25], exec
.LBB22_505:
	s_or_b64 exec, exec, s[22:23]
	s_mov_b64 s[24:25], 0
	s_mov_b64 s[26:27], 0
	;; [unrolled: 1-line block ×3, first 2 shown]
                                        ; implicit-def: $vgpr2_vgpr3
                                        ; implicit-def: $vgpr0
	s_and_saveexec_b64 s[22:23], s[0:1]
	s_cbranch_execz .LBB22_842
; %bb.506:
	v_cmp_gt_i32_e32 vcc, s38, v10
	s_mov_b64 s[34:35], -1
	s_mov_b64 s[0:1], s[18:19]
	s_mov_b64 s[28:29], s[20:21]
	s_and_saveexec_b64 s[24:25], vcc
	s_cbranch_execz .LBB22_760
; %bb.507:
	s_waitcnt vmcnt(0)
	v_mul_lo_u32 v0, v10, s9
	v_ashrrev_i32_e32 v1, 31, v0
	s_and_b32 s30, 0xffff, s42
	s_cmp_lt_i32 s30, 11
	v_lshl_add_u64 v[2:3], s[6:7], 0, v[0:1]
	s_cbranch_scc1 .LBB22_514
; %bb.508:
	s_cmp_gt_i32 s30, 25
	s_cbranch_scc0 .LBB22_515
; %bb.509:
	s_cmp_gt_i32 s30, 28
	s_cbranch_scc0 .LBB22_516
	;; [unrolled: 3-line block ×4, first 2 shown]
; %bb.512:
	s_cmp_eq_u32 s30, 46
	s_mov_b64 s[28:29], 0
	s_cbranch_scc0 .LBB22_523
; %bb.513:
	global_load_dword v0, v[2:3], off
	s_mov_b64 s[0:1], -1
	s_waitcnt vmcnt(0)
	v_lshlrev_b32_e32 v0, 16, v0
	v_cvt_i32_f32_e32 v0, v0
	s_branch .LBB22_524
.LBB22_514:
	s_mov_b64 s[28:29], -1
	s_mov_b64 s[0:1], 0
                                        ; implicit-def: $vgpr0
	s_mov_b64 s[26:27], s[18:19]
	s_branch .LBB22_585
.LBB22_515:
	s_mov_b64 s[28:29], -1
	s_mov_b64 s[0:1], 0
	s_mov_b64 s[26:27], s[18:19]
                                        ; implicit-def: $vgpr0
	s_branch .LBB22_551
.LBB22_516:
	s_mov_b64 s[28:29], -1
	s_mov_b64 s[0:1], 0
	s_mov_b64 s[26:27], s[18:19]
                                        ; implicit-def: $vgpr0
	s_branch .LBB22_534
.LBB22_517:
	s_mov_b64 s[28:29], -1
	s_mov_b64 s[0:1], 0
	s_mov_b64 s[26:27], s[18:19]
                                        ; implicit-def: $vgpr0
	s_branch .LBB22_529
.LBB22_518:
	s_andn2_saveexec_b64 s[26:27], s[26:27]
	s_cbranch_execz .LBB22_307
.LBB22_519:
	s_mov_b32 s30, 0x46000000
	v_add_f32_e64 v5, |v4|, s30
	v_and_b32_e32 v5, 0xff, v5
	v_cmp_ne_u32_e32 vcc, 0, v5
	s_andn2_b64 s[24:25], s[24:25], exec
	s_and_b64 s[30:31], vcc, exec
	s_or_b64 s[24:25], s[24:25], s[30:31]
	s_or_b64 exec, exec, s[26:27]
	v_mov_b32_e32 v6, 0
	s_and_saveexec_b64 s[26:27], s[24:25]
	s_cbranch_execnz .LBB22_308
	s_branch .LBB22_309
.LBB22_520:
	s_mov_b64 s[28:29], -1
	s_mov_b64 s[0:1], 0
	s_mov_b64 s[26:27], s[18:19]
                                        ; implicit-def: $vgpr0
	s_branch .LBB22_524
.LBB22_521:
	s_andn2_saveexec_b64 s[26:27], s[26:27]
	s_cbranch_execz .LBB22_320
.LBB22_522:
	s_mov_b32 s30, 0x42800000
	v_add_f32_e64 v5, |v4|, s30
	v_and_b32_e32 v5, 0xff, v5
	v_cmp_ne_u32_e32 vcc, 0, v5
	s_andn2_b64 s[24:25], s[24:25], exec
	s_and_b64 s[30:31], vcc, exec
	s_or_b64 s[24:25], s[24:25], s[30:31]
	s_or_b64 exec, exec, s[26:27]
	v_mov_b32_e32 v6, 0
	s_and_saveexec_b64 s[26:27], s[24:25]
	s_cbranch_execnz .LBB22_321
	s_branch .LBB22_322
.LBB22_523:
	s_mov_b64 s[26:27], -1
                                        ; implicit-def: $vgpr0
	s_mov_b64 s[0:1], 0
.LBB22_524:
	s_and_b64 vcc, exec, s[28:29]
	s_cbranch_vccz .LBB22_528
; %bb.525:
	s_cmp_eq_u32 s30, 44
	s_cbranch_scc0 .LBB22_527
; %bb.526:
	global_load_ubyte v0, v[2:3], off
	s_mov_b64 s[0:1], -1
	s_mov_b64 s[26:27], 0
	s_waitcnt vmcnt(0)
	v_lshlrev_b32_e32 v1, 23, v0
	v_cvt_i32_f32_e32 v1, v1
	v_cmp_ne_u32_e32 vcc, 0, v0
	s_nop 1
	v_cndmask_b32_e32 v0, 0, v1, vcc
	s_branch .LBB22_528
.LBB22_527:
	s_mov_b64 s[26:27], -1
                                        ; implicit-def: $vgpr0
.LBB22_528:
	s_mov_b64 s[28:29], 0
.LBB22_529:
	s_and_b64 vcc, exec, s[28:29]
	s_cbranch_vccz .LBB22_533
; %bb.530:
	s_cmp_eq_u32 s30, 29
	s_cbranch_scc0 .LBB22_532
; %bb.531:
	global_load_dwordx2 v[0:1], v[2:3], off
	s_mov_b64 s[0:1], -1
	s_mov_b64 s[26:27], 0
	s_branch .LBB22_533
.LBB22_532:
	s_mov_b64 s[26:27], -1
                                        ; implicit-def: $vgpr0
.LBB22_533:
	s_mov_b64 s[28:29], 0
.LBB22_534:
	s_and_b64 vcc, exec, s[28:29]
	s_cbranch_vccz .LBB22_550
; %bb.535:
	s_cmp_lt_i32 s30, 27
	s_cbranch_scc1 .LBB22_538
; %bb.536:
	s_cmp_gt_i32 s30, 27
	s_cbranch_scc0 .LBB22_539
; %bb.537:
	global_load_dword v0, v[2:3], off
	s_mov_b64 s[0:1], 0
	s_branch .LBB22_540
.LBB22_538:
	s_mov_b64 s[0:1], -1
                                        ; implicit-def: $vgpr0
	s_branch .LBB22_543
.LBB22_539:
	s_mov_b64 s[0:1], -1
                                        ; implicit-def: $vgpr0
.LBB22_540:
	s_andn2_b64 vcc, exec, s[0:1]
	s_cbranch_vccnz .LBB22_542
; %bb.541:
	global_load_ushort v0, v[2:3], off
.LBB22_542:
	s_mov_b64 s[0:1], 0
.LBB22_543:
	s_andn2_b64 vcc, exec, s[0:1]
	s_cbranch_vccnz .LBB22_549
; %bb.544:
	global_load_ubyte v1, v[2:3], off
	s_movk_i32 s0, 0x7f
	s_mov_b64 s[28:29], 0
	s_waitcnt vmcnt(0)
	v_cmp_lt_i16_e32 vcc, s0, v1
	s_and_saveexec_b64 s[0:1], vcc
	s_xor_b64 s[0:1], exec, s[0:1]
	s_cbranch_execz .LBB22_561
; %bb.545:
	s_movk_i32 s28, 0x80
	v_cmp_ne_u16_e32 vcc, s28, v1
	s_and_b64 s[28:29], vcc, exec
	s_andn2_saveexec_b64 s[0:1], s[0:1]
	s_cbranch_execnz .LBB22_562
.LBB22_546:
	s_or_b64 exec, exec, s[0:1]
	v_mov_b32_e32 v0, 0
	s_and_saveexec_b64 s[0:1], s[28:29]
	s_cbranch_execz .LBB22_548
.LBB22_547:
	v_lshlrev_b32_e32 v0, 24, v1
	v_and_b32_e32 v1, 0xffff, v1
	v_and_b32_e32 v4, 7, v1
	v_ffbh_u32_e32 v6, v4
	v_min_u32_e32 v6, 32, v6
	v_subrev_u32_e32 v7, 28, v6
	v_bfe_u32 v5, v1, 3, 4
	v_lshlrev_b32_e32 v1, v7, v1
	v_sub_u32_e32 v6, 29, v6
	v_and_b32_e32 v1, 7, v1
	v_cmp_eq_u32_e32 vcc, 0, v5
	v_and_b32_e32 v0, 0x80000000, v0
	s_nop 0
	v_cndmask_b32_e32 v5, v5, v6, vcc
	v_cndmask_b32_e32 v1, v4, v1, vcc
	v_mov_b32_e32 v4, 0x3b800000
	v_lshlrev_b32_e32 v1, 20, v1
	v_lshl_add_u32 v4, v5, 23, v4
	v_or3_b32 v0, v0, v4, v1
	v_cvt_i32_f32_e32 v0, v0
.LBB22_548:
	s_or_b64 exec, exec, s[0:1]
.LBB22_549:
	s_mov_b64 s[0:1], -1
.LBB22_550:
	s_mov_b64 s[28:29], 0
.LBB22_551:
	s_and_b64 vcc, exec, s[28:29]
	s_cbranch_vccz .LBB22_584
; %bb.552:
	s_cmp_gt_i32 s30, 22
	s_cbranch_scc0 .LBB22_560
; %bb.553:
	s_cmp_lt_i32 s30, 24
	s_cbranch_scc1 .LBB22_563
; %bb.554:
	s_cmp_gt_i32 s30, 24
	s_cbranch_scc0 .LBB22_564
; %bb.555:
	global_load_ubyte v1, v[2:3], off
	s_movk_i32 s0, 0x7f
	s_mov_b64 s[28:29], 0
	s_waitcnt vmcnt(0)
	v_cmp_lt_i16_e32 vcc, s0, v1
	s_and_saveexec_b64 s[0:1], vcc
	s_xor_b64 s[0:1], exec, s[0:1]
	s_cbranch_execz .LBB22_576
; %bb.556:
	s_movk_i32 s28, 0x80
	v_cmp_ne_u16_e32 vcc, s28, v1
	s_and_b64 s[28:29], vcc, exec
	s_andn2_saveexec_b64 s[0:1], s[0:1]
	s_cbranch_execnz .LBB22_577
.LBB22_557:
	s_or_b64 exec, exec, s[0:1]
	v_mov_b32_e32 v0, 0
	s_and_saveexec_b64 s[0:1], s[28:29]
	s_cbranch_execz .LBB22_559
.LBB22_558:
	v_lshlrev_b32_e32 v0, 24, v1
	v_and_b32_e32 v1, 0xffff, v1
	v_and_b32_e32 v4, 3, v1
	v_ffbh_u32_e32 v6, v4
	v_min_u32_e32 v6, 32, v6
	v_subrev_u32_e32 v7, 29, v6
	v_bfe_u32 v5, v1, 2, 5
	v_lshlrev_b32_e32 v1, v7, v1
	v_sub_u32_e32 v6, 30, v6
	v_and_b32_e32 v1, 3, v1
	v_cmp_eq_u32_e32 vcc, 0, v5
	v_and_b32_e32 v0, 0x80000000, v0
	s_nop 0
	v_cndmask_b32_e32 v5, v5, v6, vcc
	v_cndmask_b32_e32 v1, v4, v1, vcc
	v_mov_b32_e32 v4, 0x37800000
	v_lshlrev_b32_e32 v1, 21, v1
	v_lshl_add_u32 v4, v5, 23, v4
	v_or3_b32 v0, v0, v4, v1
	v_cvt_i32_f32_e32 v0, v0
.LBB22_559:
	s_or_b64 exec, exec, s[0:1]
	s_mov_b64 s[0:1], 0
	s_branch .LBB22_565
.LBB22_560:
	s_mov_b64 s[28:29], -1
                                        ; implicit-def: $vgpr0
	s_branch .LBB22_571
.LBB22_561:
	s_andn2_saveexec_b64 s[0:1], s[0:1]
	s_cbranch_execz .LBB22_546
.LBB22_562:
	v_cmp_ne_u16_e32 vcc, 0, v1
	s_andn2_b64 s[28:29], s[28:29], exec
	s_and_b64 s[34:35], vcc, exec
	s_or_b64 s[28:29], s[28:29], s[34:35]
	s_or_b64 exec, exec, s[0:1]
	v_mov_b32_e32 v0, 0
	s_and_saveexec_b64 s[0:1], s[28:29]
	s_cbranch_execnz .LBB22_547
	s_branch .LBB22_548
.LBB22_563:
	s_mov_b64 s[0:1], -1
                                        ; implicit-def: $vgpr0
	s_branch .LBB22_568
.LBB22_564:
	s_mov_b64 s[0:1], -1
                                        ; implicit-def: $vgpr0
.LBB22_565:
	s_and_b64 vcc, exec, s[0:1]
	s_cbranch_vccz .LBB22_567
; %bb.566:
	global_load_ubyte v0, v[2:3], off
	s_mov_b32 s0, 0x7f800000
	s_waitcnt vmcnt(0)
	v_lshlrev_b32_e32 v0, 24, v0
	v_and_b32_e32 v1, 0x7f000000, v0
	v_ffbh_u32_e32 v4, v1
	v_min_u32_e32 v4, 32, v4
	v_sub_u32_e64 v4, v4, 4 clamp
	v_lshlrev_b32_e32 v6, v4, v1
	v_lshlrev_b32_e32 v4, 23, v4
	v_lshrrev_b32_e32 v6, 4, v6
	v_add_u32_e32 v5, 0x1000000, v1
	v_sub_u32_e32 v4, v6, v4
	v_ashrrev_i32_e32 v5, 8, v5
	v_add_u32_e32 v4, 0x3c000000, v4
	v_and_or_b32 v4, v5, s0, v4
	v_cmp_ne_u32_e32 vcc, 0, v1
	s_brev_b32 s0, 1
	s_nop 0
	v_cndmask_b32_e32 v1, 0, v4, vcc
	v_and_or_b32 v0, v0, s0, v1
	v_cvt_i32_f32_e32 v0, v0
.LBB22_567:
	s_mov_b64 s[0:1], 0
.LBB22_568:
	s_andn2_b64 vcc, exec, s[0:1]
	s_cbranch_vccnz .LBB22_570
; %bb.569:
	global_load_ubyte v0, v[2:3], off
	s_movk_i32 s0, 0x7f00
	s_brev_b32 s1, 16
	s_waitcnt vmcnt(0)
	v_lshlrev_b16_e32 v1, 8, v0
	v_lshlrev_b32_e32 v0, 25, v0
	v_lshrrev_b32_e32 v4, 4, v0
	v_and_or_b32 v5, v1, s0, 0.5
	v_or_b32_e32 v4, 0x70000000, v4
	v_add_f32_e32 v5, -0.5, v5
	v_mul_f32_e32 v4, 0x7800000, v4
	v_cmp_gt_u32_e32 vcc, s1, v0
	v_bfe_i32 v1, v1, 0, 16
	s_brev_b32 s0, 1
	v_cndmask_b32_e32 v0, v4, v5, vcc
	v_and_or_b32 v0, v1, s0, v0
	v_cvt_i32_f32_e32 v0, v0
.LBB22_570:
	s_mov_b64 s[28:29], 0
	s_mov_b64 s[0:1], -1
.LBB22_571:
	s_andn2_b64 vcc, exec, s[28:29]
	s_cbranch_vccnz .LBB22_584
; %bb.572:
	s_cmp_gt_i32 s30, 14
	s_cbranch_scc0 .LBB22_575
; %bb.573:
	s_cmp_eq_u32 s30, 15
	s_cbranch_scc0 .LBB22_578
; %bb.574:
	global_load_ushort v0, v[2:3], off
	s_mov_b64 s[0:1], -1
	s_mov_b64 s[26:27], 0
	s_waitcnt vmcnt(0)
	v_lshlrev_b32_e32 v0, 16, v0
	v_cvt_i32_f32_e32 v0, v0
	s_branch .LBB22_579
.LBB22_575:
	s_mov_b64 s[28:29], -1
                                        ; implicit-def: $vgpr0
	s_branch .LBB22_580
.LBB22_576:
	s_andn2_saveexec_b64 s[0:1], s[0:1]
	s_cbranch_execz .LBB22_557
.LBB22_577:
	v_cmp_ne_u16_e32 vcc, 0, v1
	s_andn2_b64 s[28:29], s[28:29], exec
	s_and_b64 s[34:35], vcc, exec
	s_or_b64 s[28:29], s[28:29], s[34:35]
	s_or_b64 exec, exec, s[0:1]
	v_mov_b32_e32 v0, 0
	s_and_saveexec_b64 s[0:1], s[28:29]
	s_cbranch_execnz .LBB22_558
	s_branch .LBB22_559
.LBB22_578:
	s_mov_b64 s[26:27], -1
                                        ; implicit-def: $vgpr0
.LBB22_579:
	s_mov_b64 s[28:29], 0
.LBB22_580:
	s_and_b64 vcc, exec, s[28:29]
	s_cbranch_vccz .LBB22_584
; %bb.581:
	s_cmp_eq_u32 s30, 11
	s_cbranch_scc0 .LBB22_583
; %bb.582:
	global_load_ubyte v0, v[2:3], off
	s_mov_b64 s[0:1], -1
	s_mov_b64 s[26:27], 0
	s_waitcnt vmcnt(0)
	v_cmp_ne_u16_e32 vcc, 0, v0
	s_nop 1
	v_cndmask_b32_e64 v0, 0, 1, vcc
	s_branch .LBB22_584
.LBB22_583:
	s_mov_b64 s[26:27], -1
                                        ; implicit-def: $vgpr0
.LBB22_584:
	s_mov_b64 s[28:29], 0
.LBB22_585:
	s_and_b64 vcc, exec, s[28:29]
	s_cbranch_vccz .LBB22_634
; %bb.586:
	s_cmp_lt_i32 s30, 5
	s_cbranch_scc1 .LBB22_591
; %bb.587:
	s_cmp_lt_i32 s30, 8
	s_cbranch_scc1 .LBB22_592
	;; [unrolled: 3-line block ×3, first 2 shown]
; %bb.589:
	s_cmp_gt_i32 s30, 9
	s_cbranch_scc0 .LBB22_594
; %bb.590:
	global_load_dwordx2 v[0:1], v[2:3], off
	s_mov_b64 s[0:1], 0
	s_waitcnt vmcnt(0)
	v_cvt_i32_f64_e32 v0, v[0:1]
	s_branch .LBB22_595
.LBB22_591:
	s_mov_b64 s[0:1], -1
                                        ; implicit-def: $vgpr0
	s_branch .LBB22_613
.LBB22_592:
	s_mov_b64 s[0:1], -1
                                        ; implicit-def: $vgpr0
	s_branch .LBB22_601
.LBB22_593:
	s_mov_b64 s[0:1], -1
                                        ; implicit-def: $vgpr0
	s_branch .LBB22_598
.LBB22_594:
	s_mov_b64 s[0:1], -1
                                        ; implicit-def: $vgpr0
.LBB22_595:
	s_andn2_b64 vcc, exec, s[0:1]
	s_cbranch_vccnz .LBB22_597
; %bb.596:
	global_load_dword v0, v[2:3], off
	s_waitcnt vmcnt(0)
	v_cvt_i32_f32_e32 v0, v0
.LBB22_597:
	s_mov_b64 s[0:1], 0
.LBB22_598:
	s_andn2_b64 vcc, exec, s[0:1]
	s_cbranch_vccnz .LBB22_600
; %bb.599:
	global_load_dword v0, v[2:3], off
	s_waitcnt vmcnt(0)
	v_cvt_i16_f16_e32 v0, v0
.LBB22_600:
	s_mov_b64 s[0:1], 0
.LBB22_601:
	s_andn2_b64 vcc, exec, s[0:1]
	s_cbranch_vccnz .LBB22_612
; %bb.602:
	s_cmp_lt_i32 s30, 6
	s_cbranch_scc1 .LBB22_605
; %bb.603:
	s_cmp_gt_i32 s30, 6
	s_cbranch_scc0 .LBB22_606
; %bb.604:
	global_load_dwordx2 v[0:1], v[2:3], off
	s_mov_b64 s[0:1], 0
	s_waitcnt vmcnt(0)
	v_cvt_i32_f64_e32 v0, v[0:1]
	s_branch .LBB22_607
.LBB22_605:
	s_mov_b64 s[0:1], -1
                                        ; implicit-def: $vgpr0
	s_branch .LBB22_610
.LBB22_606:
	s_mov_b64 s[0:1], -1
                                        ; implicit-def: $vgpr0
.LBB22_607:
	s_andn2_b64 vcc, exec, s[0:1]
	s_cbranch_vccnz .LBB22_609
; %bb.608:
	global_load_dword v0, v[2:3], off
	s_waitcnt vmcnt(0)
	v_cvt_i32_f32_e32 v0, v0
.LBB22_609:
	s_mov_b64 s[0:1], 0
.LBB22_610:
	s_andn2_b64 vcc, exec, s[0:1]
	s_cbranch_vccnz .LBB22_612
; %bb.611:
	global_load_ushort v0, v[2:3], off
	s_waitcnt vmcnt(0)
	v_cvt_i16_f16_e32 v0, v0
.LBB22_612:
	s_mov_b64 s[0:1], 0
.LBB22_613:
	s_andn2_b64 vcc, exec, s[0:1]
	s_cbranch_vccnz .LBB22_633
; %bb.614:
	s_cmp_lt_i32 s30, 2
	s_cbranch_scc1 .LBB22_618
; %bb.615:
	s_cmp_lt_i32 s30, 3
	s_cbranch_scc1 .LBB22_619
; %bb.616:
	s_cmp_gt_i32 s30, 3
	s_cbranch_scc0 .LBB22_620
; %bb.617:
	global_load_dwordx2 v[0:1], v[2:3], off
	s_mov_b64 s[0:1], 0
	s_branch .LBB22_621
.LBB22_618:
	s_mov_b64 s[0:1], -1
                                        ; implicit-def: $vgpr0
	s_branch .LBB22_627
.LBB22_619:
	s_mov_b64 s[0:1], -1
                                        ; implicit-def: $vgpr0
	s_branch .LBB22_624
.LBB22_620:
	s_mov_b64 s[0:1], -1
                                        ; implicit-def: $vgpr0
.LBB22_621:
	s_andn2_b64 vcc, exec, s[0:1]
	s_cbranch_vccnz .LBB22_623
; %bb.622:
	global_load_dword v0, v[2:3], off
.LBB22_623:
	s_mov_b64 s[0:1], 0
.LBB22_624:
	s_andn2_b64 vcc, exec, s[0:1]
	s_cbranch_vccnz .LBB22_626
; %bb.625:
	global_load_ushort v0, v[2:3], off
.LBB22_626:
	s_mov_b64 s[0:1], 0
.LBB22_627:
	s_andn2_b64 vcc, exec, s[0:1]
	s_cbranch_vccnz .LBB22_633
; %bb.628:
	s_cmp_gt_i32 s30, 0
	s_cbranch_scc0 .LBB22_630
; %bb.629:
	global_load_ubyte v0, v[2:3], off
	s_mov_b64 s[0:1], 0
	s_branch .LBB22_631
.LBB22_630:
	s_mov_b64 s[0:1], -1
                                        ; implicit-def: $vgpr0
.LBB22_631:
	s_andn2_b64 vcc, exec, s[0:1]
	s_cbranch_vccnz .LBB22_633
; %bb.632:
	global_load_ubyte v0, v[2:3], off
.LBB22_633:
	s_mov_b64 s[0:1], -1
.LBB22_634:
	s_andn2_b64 vcc, exec, s[0:1]
	s_cbranch_vccnz .LBB22_642
; %bb.635:
	v_mul_lo_u32 v2, v10, s8
	v_ashrrev_i32_e32 v3, 31, v2
	s_and_b32 s36, s33, 0xff
	s_waitcnt vmcnt(0)
	v_xor_b32_e32 v1, -1, v0
	s_cmp_lt_i32 s36, 11
	v_lshl_add_u64 v[2:3], s[4:5], 0, v[2:3]
	s_cbranch_scc1 .LBB22_643
; %bb.636:
	s_and_b32 s37, 0xffff, s36
	s_cmp_gt_i32 s37, 25
	s_cbranch_scc0 .LBB22_644
; %bb.637:
	s_cmp_gt_i32 s37, 28
	s_cbranch_scc0 .LBB22_645
; %bb.638:
	;; [unrolled: 3-line block ×4, first 2 shown]
	s_mov_b64 s[30:31], 0
	s_mov_b64 s[0:1], -1
	s_cmp_eq_u32 s37, 46
	s_mov_b64 s[28:29], 0
	s_cbranch_scc0 .LBB22_648
; %bb.641:
	v_bfe_i32 v4, v1, 0, 8
	v_cvt_f32_i32_sdwa v4, sext(v4) dst_sel:DWORD dst_unused:UNUSED_PAD src0_sel:WORD_0
	s_movk_i32 s0, 0x7fff
	s_mov_b64 s[28:29], -1
	v_bfe_u32 v5, v4, 16, 1
	v_add3_u32 v4, v4, v5, s0
	v_lshrrev_b32_e32 v4, 16, v4
	global_store_dword v[2:3], v4, off
	s_mov_b64 s[0:1], 0
	s_branch .LBB22_648
.LBB22_642:
	s_mov_b64 s[30:31], 0
                                        ; implicit-def: $vgpr10
	s_mov_b64 s[0:1], s[20:21]
	s_branch .LBB22_759
.LBB22_643:
	s_mov_b64 s[30:31], -1
	s_mov_b64 s[28:29], 0
	s_mov_b64 s[0:1], s[20:21]
	s_branch .LBB22_717
.LBB22_644:
	s_mov_b64 s[30:31], -1
	s_mov_b64 s[28:29], 0
	s_mov_b64 s[0:1], s[20:21]
	s_branch .LBB22_675
.LBB22_645:
	s_mov_b64 s[30:31], -1
	s_mov_b64 s[28:29], 0
	s_mov_b64 s[0:1], s[20:21]
	s_branch .LBB22_658
.LBB22_646:
	s_mov_b64 s[30:31], -1
	s_mov_b64 s[28:29], 0
	s_mov_b64 s[0:1], s[20:21]
	s_branch .LBB22_654
.LBB22_647:
	s_mov_b64 s[30:31], -1
	s_mov_b64 s[28:29], 0
	s_mov_b64 s[0:1], s[20:21]
.LBB22_648:
	s_and_b64 vcc, exec, s[30:31]
	s_cbranch_vccz .LBB22_653
; %bb.649:
	s_cmp_eq_u32 s37, 44
	s_mov_b64 s[0:1], -1
	s_cbranch_scc0 .LBB22_653
; %bb.650:
	v_bfe_i32 v4, v1, 0, 8
	v_cvt_f32_i32_sdwa v4, sext(v4) dst_sel:DWORD dst_unused:UNUSED_PAD src0_sel:WORD_0
	s_movk_i32 s0, 0xff
	v_mov_b32_e32 v6, 0xff
	v_bfe_u32 v5, v4, 23, 8
	v_cmp_ne_u32_e32 vcc, s0, v5
	s_and_saveexec_b64 s[28:29], vcc
; %bb.651:
	s_mov_b32 s0, 0x3fffff
	v_lshrrev_b32_e32 v6, 23, v4
	v_and_b32_e32 v7, 0x400000, v4
	v_and_or_b32 v4, v4, s0, v5
	v_cmp_ne_u32_e32 vcc, 0, v7
	v_cmp_ne_u32_e64 s[0:1], 0, v4
	s_and_b64 s[0:1], vcc, s[0:1]
	s_nop 0
	v_cndmask_b32_e64 v4, 0, 1, s[0:1]
	v_add_u32_e32 v6, v6, v4
; %bb.652:
	s_or_b64 exec, exec, s[28:29]
	s_mov_b64 s[28:29], -1
	s_mov_b64 s[0:1], 0
	global_store_byte v[2:3], v6, off
.LBB22_653:
	s_mov_b64 s[30:31], 0
.LBB22_654:
	s_and_b64 vcc, exec, s[30:31]
	s_cbranch_vccz .LBB22_657
; %bb.655:
	s_cmp_eq_u32 s37, 29
	s_mov_b64 s[0:1], -1
	s_cbranch_scc0 .LBB22_657
; %bb.656:
	v_bfe_i32 v4, v1, 0, 8
	v_ashrrev_i32_e32 v5, 31, v4
	global_store_dwordx2 v[2:3], v[4:5], off
	s_mov_b64 s[28:29], -1
	s_mov_b64 s[0:1], 0
.LBB22_657:
	s_mov_b64 s[30:31], 0
.LBB22_658:
	s_and_b64 vcc, exec, s[30:31]
	s_cbranch_vccz .LBB22_674
; %bb.659:
	s_cmp_lt_i32 s37, 27
	s_mov_b64 s[28:29], -1
	s_cbranch_scc1 .LBB22_665
; %bb.660:
	s_cmp_gt_i32 s37, 27
	s_cbranch_scc0 .LBB22_662
; %bb.661:
	v_bfe_i32 v4, v1, 0, 8
	s_mov_b64 s[28:29], 0
	global_store_dword v[2:3], v4, off
.LBB22_662:
	s_andn2_b64 vcc, exec, s[28:29]
	s_cbranch_vccnz .LBB22_664
; %bb.663:
	v_bfe_i32 v4, v1, 0, 8
	global_store_short v[2:3], v4, off
.LBB22_664:
	s_mov_b64 s[28:29], 0
.LBB22_665:
	s_andn2_b64 vcc, exec, s[28:29]
	s_cbranch_vccnz .LBB22_673
; %bb.666:
	v_bfe_i32 v4, v1, 0, 8
	v_cvt_f32_i32_sdwa v4, sext(v4) dst_sel:DWORD dst_unused:UNUSED_PAD src0_sel:WORD_0
	s_mov_b32 s28, 0x43800000
	v_mov_b32_e32 v6, 0x80
	v_and_b32_e32 v5, 0x7fffffff, v4
	v_cmp_gt_u32_e32 vcc, s28, v5
	s_and_saveexec_b64 s[28:29], vcc
	s_cbranch_execz .LBB22_672
; %bb.667:
	s_mov_b32 s30, 0x3bffffff
	v_cmp_lt_u32_e32 vcc, s30, v5
	s_mov_b64 s[30:31], 0
                                        ; implicit-def: $vgpr5
	s_and_saveexec_b64 s[34:35], vcc
	s_xor_b64 s[34:35], exec, s[34:35]
	s_cbranch_execz .LBB22_773
; %bb.668:
	v_bfe_u32 v5, v4, 20, 1
	s_mov_b32 s39, 0x487ffff
	v_add3_u32 v5, v4, v5, s39
	s_mov_b64 s[30:31], exec
	v_lshrrev_b32_e32 v5, 20, v5
	s_andn2_saveexec_b64 s[34:35], s[34:35]
	s_cbranch_execnz .LBB22_774
.LBB22_669:
	s_or_b64 exec, exec, s[34:35]
	v_mov_b32_e32 v6, 0
	s_and_saveexec_b64 s[34:35], s[30:31]
.LBB22_670:
	v_lshrrev_b32_e32 v4, 24, v4
	s_movk_i32 s30, 0x80
	v_and_or_b32 v6, v4, s30, v5
.LBB22_671:
	s_or_b64 exec, exec, s[34:35]
.LBB22_672:
	s_or_b64 exec, exec, s[28:29]
	global_store_byte v[2:3], v6, off
.LBB22_673:
	s_mov_b64 s[28:29], -1
.LBB22_674:
	s_mov_b64 s[30:31], 0
.LBB22_675:
	s_and_b64 vcc, exec, s[30:31]
	s_cbranch_vccz .LBB22_716
; %bb.676:
	s_cmp_gt_i32 s37, 22
	s_mov_b64 s[30:31], -1
	s_cbranch_scc0 .LBB22_708
; %bb.677:
	s_cmp_lt_i32 s37, 24
	s_mov_b64 s[28:29], -1
	s_cbranch_scc1 .LBB22_697
; %bb.678:
	s_cmp_gt_i32 s37, 24
	s_cbranch_scc0 .LBB22_686
; %bb.679:
	v_bfe_i32 v4, v1, 0, 8
	v_cvt_f32_i32_sdwa v4, sext(v4) dst_sel:DWORD dst_unused:UNUSED_PAD src0_sel:WORD_0
	s_mov_b32 s28, 0x47800000
	v_mov_b32_e32 v6, 0x80
	v_and_b32_e32 v5, 0x7fffffff, v4
	v_cmp_gt_u32_e32 vcc, s28, v5
	s_and_saveexec_b64 s[28:29], vcc
	s_cbranch_execz .LBB22_685
; %bb.680:
	s_mov_b32 s30, 0x37ffffff
	v_cmp_lt_u32_e32 vcc, s30, v5
	s_mov_b64 s[30:31], 0
                                        ; implicit-def: $vgpr5
	s_and_saveexec_b64 s[34:35], vcc
	s_xor_b64 s[34:35], exec, s[34:35]
	s_cbranch_execz .LBB22_776
; %bb.681:
	v_bfe_u32 v5, v4, 21, 1
	s_mov_b32 s39, 0x88fffff
	v_add3_u32 v5, v4, v5, s39
	s_mov_b64 s[30:31], exec
	v_lshrrev_b32_e32 v5, 21, v5
	s_andn2_saveexec_b64 s[34:35], s[34:35]
	s_cbranch_execnz .LBB22_777
.LBB22_682:
	s_or_b64 exec, exec, s[34:35]
	v_mov_b32_e32 v6, 0
	s_and_saveexec_b64 s[34:35], s[30:31]
.LBB22_683:
	v_lshrrev_b32_e32 v4, 24, v4
	s_movk_i32 s30, 0x80
	v_and_or_b32 v6, v4, s30, v5
.LBB22_684:
	s_or_b64 exec, exec, s[34:35]
.LBB22_685:
	s_or_b64 exec, exec, s[28:29]
	s_mov_b64 s[28:29], 0
	global_store_byte v[2:3], v6, off
.LBB22_686:
	s_and_b64 vcc, exec, s[28:29]
	s_cbranch_vccz .LBB22_696
; %bb.687:
	v_bfe_i32 v4, v1, 0, 8
	v_cvt_f32_i32_sdwa v4, sext(v4) dst_sel:DWORD dst_unused:UNUSED_PAD src0_sel:WORD_0
	s_mov_b32 s28, 0x43f00000
                                        ; implicit-def: $vgpr5
	v_and_b32_e32 v6, 0x7fffffff, v4
	v_cmp_gt_u32_e32 vcc, s28, v6
	s_and_saveexec_b64 s[28:29], vcc
	s_xor_b64 s[28:29], exec, s[28:29]
	s_cbranch_execz .LBB22_693
; %bb.688:
	s_mov_b32 s30, 0x3c7fffff
	v_cmp_lt_u32_e32 vcc, s30, v6
                                        ; implicit-def: $vgpr5
	s_and_saveexec_b64 s[30:31], vcc
	s_xor_b64 s[30:31], exec, s[30:31]
; %bb.689:
	v_bfe_u32 v5, v4, 20, 1
	s_mov_b32 s34, 0x407ffff
	v_add3_u32 v5, v4, v5, s34
	v_lshrrev_b32_e32 v6, 20, v5
	v_and_b32_e32 v5, 0xff00000, v5
	s_mov_b32 s34, 0x7f00000
	v_mov_b32_e32 v7, 0x7e
	v_cmp_ne_u32_e32 vcc, s34, v5
	s_nop 1
	v_cndmask_b32_e32 v5, v7, v6, vcc
; %bb.690:
	s_andn2_saveexec_b64 s[30:31], s[30:31]
; %bb.691:
	s_mov_b32 s34, 0x46800000
	v_add_f32_e64 v5, |v4|, s34
; %bb.692:
	s_or_b64 exec, exec, s[30:31]
                                        ; implicit-def: $vgpr6
.LBB22_693:
	s_andn2_saveexec_b64 s[28:29], s[28:29]
; %bb.694:
	s_mov_b32 s30, 0x7f800000
	v_mov_b32_e32 v5, 0x7e
	v_mov_b32_e32 v7, 0x7f
	v_cmp_lt_u32_e32 vcc, s30, v6
	s_nop 1
	v_cndmask_b32_e32 v5, v5, v7, vcc
; %bb.695:
	s_or_b64 exec, exec, s[28:29]
	v_lshrrev_b32_e32 v4, 24, v4
	s_movk_i32 s28, 0x80
	v_and_or_b32 v4, v4, s28, v5
	global_store_byte v[2:3], v4, off
.LBB22_696:
	s_mov_b64 s[28:29], 0
.LBB22_697:
	s_andn2_b64 vcc, exec, s[28:29]
	s_cbranch_vccnz .LBB22_707
; %bb.698:
	v_bfe_i32 v4, v1, 0, 8
	v_cvt_f32_i32_sdwa v4, sext(v4) dst_sel:DWORD dst_unused:UNUSED_PAD src0_sel:WORD_0
	s_mov_b32 s28, 0x47800000
                                        ; implicit-def: $vgpr5
	v_and_b32_e32 v6, 0x7fffffff, v4
	v_cmp_gt_u32_e32 vcc, s28, v6
	s_and_saveexec_b64 s[28:29], vcc
	s_xor_b64 s[28:29], exec, s[28:29]
	s_cbranch_execz .LBB22_704
; %bb.699:
	s_mov_b32 s30, 0x387fffff
	v_cmp_lt_u32_e32 vcc, s30, v6
                                        ; implicit-def: $vgpr5
	s_and_saveexec_b64 s[30:31], vcc
	s_xor_b64 s[30:31], exec, s[30:31]
; %bb.700:
	v_bfe_u32 v5, v4, 21, 1
	s_mov_b32 s34, 0x80fffff
	v_add3_u32 v5, v4, v5, s34
	v_lshrrev_b32_e32 v5, 21, v5
; %bb.701:
	s_andn2_saveexec_b64 s[30:31], s[30:31]
; %bb.702:
	s_mov_b32 s34, 0x43000000
	v_add_f32_e64 v5, |v4|, s34
; %bb.703:
	s_or_b64 exec, exec, s[30:31]
                                        ; implicit-def: $vgpr6
.LBB22_704:
	s_andn2_saveexec_b64 s[28:29], s[28:29]
; %bb.705:
	s_mov_b32 s30, 0x7f800000
	v_mov_b32_e32 v5, 0x7c
	v_mov_b32_e32 v7, 0x7f
	v_cmp_lt_u32_e32 vcc, s30, v6
	s_nop 1
	v_cndmask_b32_e32 v5, v5, v7, vcc
; %bb.706:
	s_or_b64 exec, exec, s[28:29]
	v_lshrrev_b32_e32 v4, 24, v4
	s_movk_i32 s28, 0x80
	v_and_or_b32 v4, v4, s28, v5
	global_store_byte v[2:3], v4, off
.LBB22_707:
	s_mov_b64 s[30:31], 0
	s_mov_b64 s[28:29], -1
.LBB22_708:
	s_andn2_b64 vcc, exec, s[30:31]
	s_cbranch_vccnz .LBB22_716
; %bb.709:
	s_cmp_gt_i32 s37, 14
	s_mov_b64 s[30:31], -1
	s_cbranch_scc0 .LBB22_713
; %bb.710:
	s_cmp_eq_u32 s37, 15
	s_mov_b64 s[0:1], -1
	s_cbranch_scc0 .LBB22_712
; %bb.711:
	v_bfe_i32 v4, v1, 0, 8
	v_cvt_f32_i32_sdwa v4, sext(v4) dst_sel:DWORD dst_unused:UNUSED_PAD src0_sel:WORD_0
	s_movk_i32 s0, 0x7fff
	s_mov_b64 s[28:29], -1
	v_bfe_u32 v5, v4, 16, 1
	v_add3_u32 v4, v4, v5, s0
	global_store_short_d16_hi v[2:3], v4, off
	s_mov_b64 s[0:1], 0
.LBB22_712:
	s_mov_b64 s[30:31], 0
.LBB22_713:
	s_and_b64 vcc, exec, s[30:31]
	s_cbranch_vccz .LBB22_716
; %bb.714:
	s_cmp_eq_u32 s37, 11
	s_mov_b64 s[0:1], -1
	s_cbranch_scc0 .LBB22_716
; %bb.715:
	s_movk_i32 s0, 0xff
	v_cmp_ne_u16_sdwa s[0:1], v0, s0 src0_sel:BYTE_0 src1_sel:DWORD
	s_mov_b64 s[28:29], -1
	s_nop 0
	v_cndmask_b32_e64 v0, 0, 1, s[0:1]
	s_mov_b64 s[0:1], 0
	global_store_byte v[2:3], v0, off
.LBB22_716:
	s_mov_b64 s[30:31], 0
.LBB22_717:
	s_and_b64 vcc, exec, s[30:31]
	s_cbranch_vccz .LBB22_756
; %bb.718:
	s_and_b32 s30, 0xffff, s36
	s_cmp_lt_i32 s30, 5
	s_mov_b64 s[28:29], -1
	s_cbranch_scc1 .LBB22_739
; %bb.719:
	s_cmp_lt_i32 s30, 8
	s_cbranch_scc1 .LBB22_729
; %bb.720:
	s_cmp_lt_i32 s30, 9
	s_cbranch_scc1 .LBB22_726
; %bb.721:
	s_cmp_gt_i32 s30, 9
	s_cbranch_scc0 .LBB22_723
; %bb.722:
	v_bfe_i32 v0, v1, 0, 8
	v_bfe_i32 v0, v0, 0, 16
	v_mov_b32_e32 v6, 0
	v_cvt_f64_i32_e32 v[4:5], v0
	v_mov_b32_e32 v7, v6
	s_mov_b64 s[28:29], 0
	global_store_dwordx4 v[2:3], v[4:7], off
.LBB22_723:
	s_andn2_b64 vcc, exec, s[28:29]
	s_cbranch_vccnz .LBB22_725
; %bb.724:
	v_bfe_i32 v0, v1, 0, 8
	v_cvt_f32_i32_sdwa v4, sext(v0) dst_sel:DWORD dst_unused:UNUSED_PAD src0_sel:WORD_0
	v_mov_b32_e32 v5, 0
	global_store_dwordx2 v[2:3], v[4:5], off
.LBB22_725:
	s_mov_b64 s[28:29], 0
.LBB22_726:
	s_andn2_b64 vcc, exec, s[28:29]
	s_cbranch_vccnz .LBB22_728
; %bb.727:
	v_cvt_f16_i16_sdwa v0, sext(v1) dst_sel:DWORD dst_unused:UNUSED_PAD src0_sel:BYTE_0
	global_store_dword v[2:3], v0, off
.LBB22_728:
	s_mov_b64 s[28:29], 0
.LBB22_729:
	s_andn2_b64 vcc, exec, s[28:29]
	s_cbranch_vccnz .LBB22_738
; %bb.730:
	s_cmp_lt_i32 s30, 6
	s_mov_b64 s[28:29], -1
	s_cbranch_scc1 .LBB22_736
; %bb.731:
	s_cmp_gt_i32 s30, 6
	s_cbranch_scc0 .LBB22_733
; %bb.732:
	v_bfe_i32 v0, v1, 0, 8
	v_bfe_i32 v0, v0, 0, 16
	v_cvt_f64_i32_e32 v[4:5], v0
	s_mov_b64 s[28:29], 0
	global_store_dwordx2 v[2:3], v[4:5], off
.LBB22_733:
	s_andn2_b64 vcc, exec, s[28:29]
	s_cbranch_vccnz .LBB22_735
; %bb.734:
	v_bfe_i32 v0, v1, 0, 8
	v_cvt_f32_i32_sdwa v0, sext(v0) dst_sel:DWORD dst_unused:UNUSED_PAD src0_sel:WORD_0
	global_store_dword v[2:3], v0, off
.LBB22_735:
	s_mov_b64 s[28:29], 0
.LBB22_736:
	s_andn2_b64 vcc, exec, s[28:29]
	s_cbranch_vccnz .LBB22_738
; %bb.737:
	v_cvt_f16_i16_sdwa v0, sext(v1) dst_sel:DWORD dst_unused:UNUSED_PAD src0_sel:BYTE_0
	global_store_short v[2:3], v0, off
.LBB22_738:
	s_mov_b64 s[28:29], 0
.LBB22_739:
	s_andn2_b64 vcc, exec, s[28:29]
	s_cbranch_vccnz .LBB22_755
; %bb.740:
	s_cmp_lt_i32 s30, 2
	s_mov_b64 s[28:29], -1
	s_cbranch_scc1 .LBB22_750
; %bb.741:
	s_cmp_lt_i32 s30, 3
	s_cbranch_scc1 .LBB22_747
; %bb.742:
	s_cmp_gt_i32 s30, 3
	s_cbranch_scc0 .LBB22_744
; %bb.743:
	v_bfe_i32 v4, v1, 0, 8
	v_ashrrev_i32_e32 v5, 31, v4
	s_mov_b64 s[28:29], 0
	global_store_dwordx2 v[2:3], v[4:5], off
.LBB22_744:
	s_andn2_b64 vcc, exec, s[28:29]
	s_cbranch_vccnz .LBB22_746
; %bb.745:
	v_bfe_i32 v0, v1, 0, 8
	global_store_dword v[2:3], v0, off
.LBB22_746:
	s_mov_b64 s[28:29], 0
.LBB22_747:
	s_andn2_b64 vcc, exec, s[28:29]
	s_cbranch_vccnz .LBB22_749
; %bb.748:
	v_bfe_i32 v0, v1, 0, 8
	global_store_short v[2:3], v0, off
.LBB22_749:
	s_mov_b64 s[28:29], 0
.LBB22_750:
	s_andn2_b64 vcc, exec, s[28:29]
	s_cbranch_vccnz .LBB22_755
; %bb.751:
	s_cmp_gt_i32 s30, 0
	s_mov_b64 s[28:29], -1
	s_cbranch_scc0 .LBB22_753
; %bb.752:
	s_mov_b64 s[28:29], 0
	global_store_byte v[2:3], v1, off
.LBB22_753:
	s_andn2_b64 vcc, exec, s[28:29]
	s_cbranch_vccnz .LBB22_755
; %bb.754:
	global_store_byte v[2:3], v1, off
.LBB22_755:
	s_mov_b64 s[28:29], -1
.LBB22_756:
	s_andn2_b64 vcc, exec, s[28:29]
	s_cbranch_vccnz .LBB22_758
; %bb.757:
	v_add_u32_e32 v10, 0x80, v10
	s_mov_b64 s[30:31], -1
	s_branch .LBB22_759
.LBB22_758:
	s_mov_b64 s[30:31], 0
                                        ; implicit-def: $vgpr10
.LBB22_759:
	s_andn2_b64 s[28:29], s[20:21], exec
	s_and_b64 s[0:1], s[0:1], exec
	s_or_b64 s[28:29], s[28:29], s[0:1]
	s_andn2_b64 s[0:1], s[18:19], exec
	s_and_b64 s[26:27], s[26:27], exec
	s_or_b64 s[0:1], s[0:1], s[26:27]
	s_orn2_b64 s[34:35], s[30:31], exec
.LBB22_760:
	s_or_b64 exec, exec, s[24:25]
	s_mov_b64 s[30:31], 0
	s_mov_b64 s[26:27], 0
	;; [unrolled: 1-line block ×3, first 2 shown]
                                        ; implicit-def: $vgpr2_vgpr3
                                        ; implicit-def: $vgpr0
	s_and_saveexec_b64 s[24:25], s[34:35]
	s_cbranch_execz .LBB22_841
; %bb.761:
	v_cmp_gt_i32_e32 vcc, s38, v10
	s_mov_b64 s[34:35], 0
	s_mov_b64 s[38:39], s[0:1]
	;; [unrolled: 1-line block ×3, first 2 shown]
                                        ; implicit-def: $vgpr2_vgpr3
                                        ; implicit-def: $vgpr0
	s_and_saveexec_b64 s[26:27], vcc
	s_cbranch_execz .LBB22_840
; %bb.762:
	s_waitcnt vmcnt(0)
	v_mul_lo_u32 v0, v10, s9
	v_ashrrev_i32_e32 v1, 31, v0
	s_and_b32 s40, 0xffff, s42
	s_cmp_lt_i32 s40, 11
	v_lshl_add_u64 v[2:3], s[6:7], 0, v[0:1]
	s_cbranch_scc1 .LBB22_769
; %bb.763:
	s_cmp_gt_i32 s40, 25
	s_cbranch_scc0 .LBB22_770
; %bb.764:
	s_cmp_gt_i32 s40, 28
	s_cbranch_scc0 .LBB22_771
	;; [unrolled: 3-line block ×4, first 2 shown]
; %bb.767:
	s_cmp_eq_u32 s40, 46
	s_mov_b64 s[38:39], 0
	s_cbranch_scc0 .LBB22_778
; %bb.768:
	global_load_dword v0, v[2:3], off
	s_mov_b64 s[36:37], -1
	s_waitcnt vmcnt(0)
	v_lshlrev_b32_e32 v0, 16, v0
	v_cvt_i32_f32_e32 v0, v0
	s_branch .LBB22_780
.LBB22_769:
	s_mov_b64 s[38:39], -1
                                        ; implicit-def: $vgpr0
	s_mov_b64 s[30:31], s[0:1]
	s_branch .LBB22_839
.LBB22_770:
	s_mov_b64 s[38:39], -1
	s_mov_b64 s[30:31], s[0:1]
                                        ; implicit-def: $vgpr0
	s_branch .LBB22_807
.LBB22_771:
	s_mov_b64 s[38:39], -1
	s_mov_b64 s[30:31], s[0:1]
                                        ; implicit-def: $vgpr0
	s_branch .LBB22_790
.LBB22_772:
	s_mov_b64 s[38:39], -1
	s_mov_b64 s[30:31], s[0:1]
                                        ; implicit-def: $vgpr0
	s_branch .LBB22_785
.LBB22_773:
	s_andn2_saveexec_b64 s[34:35], s[34:35]
	s_cbranch_execz .LBB22_669
.LBB22_774:
	s_mov_b32 s39, 0x46000000
	v_add_f32_e64 v5, |v4|, s39
	v_and_b32_e32 v5, 0xff, v5
	v_cmp_ne_u32_e32 vcc, 0, v5
	s_andn2_b64 s[30:31], s[30:31], exec
	s_and_b64 s[40:41], vcc, exec
	s_or_b64 s[30:31], s[30:31], s[40:41]
	s_or_b64 exec, exec, s[34:35]
	v_mov_b32_e32 v6, 0
	s_and_saveexec_b64 s[34:35], s[30:31]
	s_cbranch_execnz .LBB22_670
	s_branch .LBB22_671
.LBB22_775:
	s_mov_b64 s[38:39], -1
	s_mov_b64 s[30:31], s[0:1]
	s_branch .LBB22_779
.LBB22_776:
	s_andn2_saveexec_b64 s[34:35], s[34:35]
	s_cbranch_execz .LBB22_682
.LBB22_777:
	s_mov_b32 s39, 0x42800000
	v_add_f32_e64 v5, |v4|, s39
	v_and_b32_e32 v5, 0xff, v5
	v_cmp_ne_u32_e32 vcc, 0, v5
	s_andn2_b64 s[30:31], s[30:31], exec
	s_and_b64 s[40:41], vcc, exec
	s_or_b64 s[30:31], s[30:31], s[40:41]
	s_or_b64 exec, exec, s[34:35]
	v_mov_b32_e32 v6, 0
	s_and_saveexec_b64 s[34:35], s[30:31]
	s_cbranch_execnz .LBB22_683
	s_branch .LBB22_684
.LBB22_778:
	s_mov_b64 s[30:31], -1
.LBB22_779:
                                        ; implicit-def: $vgpr0
.LBB22_780:
	s_and_b64 vcc, exec, s[38:39]
	s_cbranch_vccz .LBB22_784
; %bb.781:
	s_cmp_eq_u32 s40, 44
	s_cbranch_scc0 .LBB22_783
; %bb.782:
	global_load_ubyte v0, v[2:3], off
	s_mov_b64 s[30:31], 0
	s_mov_b64 s[36:37], -1
	s_waitcnt vmcnt(0)
	v_lshlrev_b32_e32 v1, 23, v0
	v_cvt_i32_f32_e32 v1, v1
	v_cmp_ne_u32_e32 vcc, 0, v0
	s_nop 1
	v_cndmask_b32_e32 v0, 0, v1, vcc
	s_branch .LBB22_784
.LBB22_783:
	s_mov_b64 s[30:31], -1
                                        ; implicit-def: $vgpr0
.LBB22_784:
	s_mov_b64 s[38:39], 0
.LBB22_785:
	s_and_b64 vcc, exec, s[38:39]
	s_cbranch_vccz .LBB22_789
; %bb.786:
	s_cmp_eq_u32 s40, 29
	s_cbranch_scc0 .LBB22_788
; %bb.787:
	global_load_dwordx2 v[0:1], v[2:3], off
	s_mov_b64 s[30:31], 0
	s_mov_b64 s[36:37], -1
	s_branch .LBB22_789
.LBB22_788:
	s_mov_b64 s[30:31], -1
                                        ; implicit-def: $vgpr0
.LBB22_789:
	s_mov_b64 s[38:39], 0
.LBB22_790:
	s_and_b64 vcc, exec, s[38:39]
	s_cbranch_vccz .LBB22_806
; %bb.791:
	s_cmp_lt_i32 s40, 27
	s_cbranch_scc1 .LBB22_794
; %bb.792:
	s_cmp_gt_i32 s40, 27
	s_cbranch_scc0 .LBB22_795
; %bb.793:
	global_load_dword v0, v[2:3], off
	s_mov_b64 s[36:37], 0
	s_branch .LBB22_796
.LBB22_794:
	s_mov_b64 s[36:37], -1
                                        ; implicit-def: $vgpr0
	s_branch .LBB22_799
.LBB22_795:
	s_mov_b64 s[36:37], -1
                                        ; implicit-def: $vgpr0
.LBB22_796:
	s_andn2_b64 vcc, exec, s[36:37]
	s_cbranch_vccnz .LBB22_798
; %bb.797:
	global_load_ushort v0, v[2:3], off
.LBB22_798:
	s_mov_b64 s[36:37], 0
.LBB22_799:
	s_andn2_b64 vcc, exec, s[36:37]
	s_cbranch_vccnz .LBB22_805
; %bb.800:
	global_load_ubyte v1, v[2:3], off
	s_movk_i32 s36, 0x7f
	s_mov_b64 s[38:39], 0
	s_waitcnt vmcnt(0)
	v_cmp_lt_i16_e32 vcc, s36, v1
	s_and_saveexec_b64 s[36:37], vcc
	s_xor_b64 s[36:37], exec, s[36:37]
	s_cbranch_execz .LBB22_817
; %bb.801:
	s_movk_i32 s38, 0x80
	v_cmp_ne_u16_e32 vcc, s38, v1
	s_and_b64 s[38:39], vcc, exec
	s_andn2_saveexec_b64 s[36:37], s[36:37]
	s_cbranch_execnz .LBB22_818
.LBB22_802:
	s_or_b64 exec, exec, s[36:37]
	v_mov_b32_e32 v0, 0
	s_and_saveexec_b64 s[36:37], s[38:39]
	s_cbranch_execz .LBB22_804
.LBB22_803:
	v_lshlrev_b32_e32 v0, 24, v1
	v_and_b32_e32 v1, 0xffff, v1
	v_and_b32_e32 v4, 7, v1
	v_ffbh_u32_e32 v6, v4
	v_min_u32_e32 v6, 32, v6
	v_subrev_u32_e32 v7, 28, v6
	v_bfe_u32 v5, v1, 3, 4
	v_lshlrev_b32_e32 v1, v7, v1
	v_sub_u32_e32 v6, 29, v6
	v_and_b32_e32 v1, 7, v1
	v_cmp_eq_u32_e32 vcc, 0, v5
	v_and_b32_e32 v0, 0x80000000, v0
	s_nop 0
	v_cndmask_b32_e32 v5, v5, v6, vcc
	v_cndmask_b32_e32 v1, v4, v1, vcc
	v_mov_b32_e32 v4, 0x3b800000
	v_lshlrev_b32_e32 v1, 20, v1
	v_lshl_add_u32 v4, v5, 23, v4
	v_or3_b32 v0, v0, v4, v1
	v_cvt_i32_f32_e32 v0, v0
.LBB22_804:
	s_or_b64 exec, exec, s[36:37]
.LBB22_805:
	s_mov_b64 s[36:37], -1
.LBB22_806:
	s_mov_b64 s[38:39], 0
.LBB22_807:
	s_and_b64 vcc, exec, s[38:39]
	s_cbranch_vccz .LBB22_838
; %bb.808:
	s_cmp_gt_i32 s40, 22
	s_cbranch_scc0 .LBB22_816
; %bb.809:
	s_cmp_lt_i32 s40, 24
	s_cbranch_scc1 .LBB22_819
; %bb.810:
	s_cmp_gt_i32 s40, 24
	s_cbranch_scc0 .LBB22_820
; %bb.811:
	global_load_ubyte v1, v[2:3], off
	s_movk_i32 s34, 0x7f
	s_mov_b64 s[36:37], 0
	s_waitcnt vmcnt(0)
	v_cmp_lt_i16_e32 vcc, s34, v1
	s_and_saveexec_b64 s[34:35], vcc
	s_xor_b64 s[34:35], exec, s[34:35]
	s_cbranch_execz .LBB22_832
; %bb.812:
	s_movk_i32 s36, 0x80
	v_cmp_ne_u16_e32 vcc, s36, v1
	s_and_b64 s[36:37], vcc, exec
	s_andn2_saveexec_b64 s[34:35], s[34:35]
	s_cbranch_execnz .LBB22_833
.LBB22_813:
	s_or_b64 exec, exec, s[34:35]
	v_mov_b32_e32 v0, 0
	s_and_saveexec_b64 s[34:35], s[36:37]
	s_cbranch_execz .LBB22_815
.LBB22_814:
	v_lshlrev_b32_e32 v0, 24, v1
	v_and_b32_e32 v1, 0xffff, v1
	v_and_b32_e32 v4, 3, v1
	v_ffbh_u32_e32 v6, v4
	v_min_u32_e32 v6, 32, v6
	v_subrev_u32_e32 v7, 29, v6
	v_bfe_u32 v5, v1, 2, 5
	v_lshlrev_b32_e32 v1, v7, v1
	v_sub_u32_e32 v6, 30, v6
	v_and_b32_e32 v1, 3, v1
	v_cmp_eq_u32_e32 vcc, 0, v5
	v_and_b32_e32 v0, 0x80000000, v0
	s_nop 0
	v_cndmask_b32_e32 v5, v5, v6, vcc
	v_cndmask_b32_e32 v1, v4, v1, vcc
	v_mov_b32_e32 v4, 0x37800000
	v_lshlrev_b32_e32 v1, 21, v1
	v_lshl_add_u32 v4, v5, 23, v4
	v_or3_b32 v0, v0, v4, v1
	v_cvt_i32_f32_e32 v0, v0
.LBB22_815:
	s_or_b64 exec, exec, s[34:35]
	s_mov_b64 s[34:35], 0
	s_branch .LBB22_821
.LBB22_816:
	s_mov_b64 s[34:35], -1
                                        ; implicit-def: $vgpr0
	s_branch .LBB22_827
.LBB22_817:
	s_andn2_saveexec_b64 s[36:37], s[36:37]
	s_cbranch_execz .LBB22_802
.LBB22_818:
	v_cmp_ne_u16_e32 vcc, 0, v1
	s_andn2_b64 s[38:39], s[38:39], exec
	s_and_b64 s[44:45], vcc, exec
	s_or_b64 s[38:39], s[38:39], s[44:45]
	s_or_b64 exec, exec, s[36:37]
	v_mov_b32_e32 v0, 0
	s_and_saveexec_b64 s[36:37], s[38:39]
	s_cbranch_execnz .LBB22_803
	s_branch .LBB22_804
.LBB22_819:
	s_mov_b64 s[34:35], -1
                                        ; implicit-def: $vgpr0
	s_branch .LBB22_824
.LBB22_820:
	s_mov_b64 s[34:35], -1
                                        ; implicit-def: $vgpr0
.LBB22_821:
	s_and_b64 vcc, exec, s[34:35]
	s_cbranch_vccz .LBB22_823
; %bb.822:
	global_load_ubyte v0, v[2:3], off
	s_mov_b32 s34, 0x7f800000
	s_waitcnt vmcnt(0)
	v_lshlrev_b32_e32 v0, 24, v0
	v_and_b32_e32 v1, 0x7f000000, v0
	v_ffbh_u32_e32 v4, v1
	v_min_u32_e32 v4, 32, v4
	v_sub_u32_e64 v4, v4, 4 clamp
	v_lshlrev_b32_e32 v6, v4, v1
	v_lshlrev_b32_e32 v4, 23, v4
	v_lshrrev_b32_e32 v6, 4, v6
	v_add_u32_e32 v5, 0x1000000, v1
	v_sub_u32_e32 v4, v6, v4
	v_ashrrev_i32_e32 v5, 8, v5
	v_add_u32_e32 v4, 0x3c000000, v4
	v_and_or_b32 v4, v5, s34, v4
	v_cmp_ne_u32_e32 vcc, 0, v1
	s_brev_b32 s34, 1
	s_nop 0
	v_cndmask_b32_e32 v1, 0, v4, vcc
	v_and_or_b32 v0, v0, s34, v1
	v_cvt_i32_f32_e32 v0, v0
.LBB22_823:
	s_mov_b64 s[34:35], 0
.LBB22_824:
	s_andn2_b64 vcc, exec, s[34:35]
	s_cbranch_vccnz .LBB22_826
; %bb.825:
	global_load_ubyte v0, v[2:3], off
	s_movk_i32 s34, 0x7f00
	s_brev_b32 s35, 16
	s_waitcnt vmcnt(0)
	v_lshlrev_b16_e32 v1, 8, v0
	v_lshlrev_b32_e32 v0, 25, v0
	v_lshrrev_b32_e32 v4, 4, v0
	v_and_or_b32 v5, v1, s34, 0.5
	v_or_b32_e32 v4, 0x70000000, v4
	v_add_f32_e32 v5, -0.5, v5
	v_mul_f32_e32 v4, 0x7800000, v4
	v_cmp_gt_u32_e32 vcc, s35, v0
	v_bfe_i32 v1, v1, 0, 16
	s_brev_b32 s34, 1
	v_cndmask_b32_e32 v0, v4, v5, vcc
	v_and_or_b32 v0, v1, s34, v0
	v_cvt_i32_f32_e32 v0, v0
.LBB22_826:
	s_mov_b64 s[34:35], 0
	s_mov_b64 s[36:37], -1
.LBB22_827:
	s_andn2_b64 vcc, exec, s[34:35]
	s_mov_b64 s[34:35], 0
	s_cbranch_vccnz .LBB22_838
; %bb.828:
	s_cmp_gt_i32 s40, 14
	s_cbranch_scc0 .LBB22_831
; %bb.829:
	s_cmp_eq_u32 s40, 15
	s_cbranch_scc0 .LBB22_834
; %bb.830:
	global_load_ushort v0, v[2:3], off
	s_mov_b64 s[30:31], 0
	s_mov_b64 s[36:37], -1
	s_waitcnt vmcnt(0)
	v_lshlrev_b32_e32 v0, 16, v0
	v_cvt_i32_f32_e32 v0, v0
	s_branch .LBB22_835
.LBB22_831:
	s_mov_b64 s[38:39], -1
                                        ; implicit-def: $vgpr0
	s_branch .LBB22_836
.LBB22_832:
	s_andn2_saveexec_b64 s[34:35], s[34:35]
	s_cbranch_execz .LBB22_813
.LBB22_833:
	v_cmp_ne_u16_e32 vcc, 0, v1
	s_andn2_b64 s[36:37], s[36:37], exec
	s_and_b64 s[38:39], vcc, exec
	s_or_b64 s[36:37], s[36:37], s[38:39]
	s_or_b64 exec, exec, s[34:35]
	v_mov_b32_e32 v0, 0
	s_and_saveexec_b64 s[34:35], s[36:37]
	s_cbranch_execnz .LBB22_814
	s_branch .LBB22_815
.LBB22_834:
	s_mov_b64 s[30:31], -1
                                        ; implicit-def: $vgpr0
.LBB22_835:
	s_mov_b64 s[38:39], 0
.LBB22_836:
	s_and_b64 vcc, exec, s[38:39]
	s_cbranch_vccz .LBB22_838
; %bb.837:
	s_cmp_lg_u32 s40, 11
	s_cselect_b64 s[38:39], -1, 0
	s_andn2_b64 s[30:31], s[30:31], exec
	s_and_b64 s[38:39], s[38:39], exec
	s_mov_b64 s[34:35], -1
	s_or_b64 s[30:31], s[30:31], s[38:39]
.LBB22_838:
	s_mov_b64 s[38:39], 0
.LBB22_839:
	s_and_b64 s[40:41], s[38:39], exec
	s_andn2_b64 s[38:39], s[0:1], exec
	s_and_b64 s[30:31], s[30:31], exec
	s_and_b64 s[36:37], s[36:37], exec
	;; [unrolled: 1-line block ×3, first 2 shown]
	s_or_b64 s[38:39], s[38:39], s[30:31]
.LBB22_840:
	s_or_b64 exec, exec, s[26:27]
	s_and_b64 s[30:31], s[34:35], exec
	s_andn2_b64 s[0:1], s[0:1], exec
	s_and_b64 s[34:35], s[38:39], exec
	s_and_b64 s[36:37], s[36:37], exec
	;; [unrolled: 1-line block ×3, first 2 shown]
	s_or_b64 s[0:1], s[0:1], s[34:35]
.LBB22_841:
	s_or_b64 exec, exec, s[24:25]
	s_andn2_b64 s[20:21], s[20:21], exec
	s_and_b64 s[24:25], s[28:29], exec
	s_andn2_b64 s[18:19], s[18:19], exec
	s_and_b64 s[0:1], s[0:1], exec
	s_or_b64 s[20:21], s[20:21], s[24:25]
	s_and_b64 s[28:29], s[36:37], exec
	s_and_b64 s[26:27], s[26:27], exec
	;; [unrolled: 1-line block ×3, first 2 shown]
	s_or_b64 s[18:19], s[18:19], s[0:1]
.LBB22_842:
	s_or_b64 exec, exec, s[22:23]
	s_andn2_b64 s[0:1], s[12:13], exec
	s_and_b64 s[12:13], s[20:21], exec
	s_andn2_b64 s[14:15], s[14:15], exec
	s_and_b64 s[18:19], s[18:19], exec
	s_or_b64 s[12:13], s[0:1], s[12:13]
	s_and_b64 s[0:1], s[28:29], exec
	s_and_b64 s[22:23], s[26:27], exec
	;; [unrolled: 1-line block ×3, first 2 shown]
	s_or_b64 s[14:15], s[14:15], s[18:19]
	s_or_b64 exec, exec, s[16:17]
	s_mov_b64 s[16:17], 0
	s_and_saveexec_b64 s[18:19], s[14:15]
	s_cbranch_execz .LBB22_258
.LBB22_843:
	s_mov_b64 s[16:17], exec
	s_andn2_b64 s[20:21], s[20:21], exec
	s_trap 2
	s_or_b64 exec, exec, s[18:19]
	s_and_saveexec_b64 s[14:15], s[20:21]
	s_xor_b64 s[14:15], exec, s[14:15]
	s_cbranch_execnz .LBB22_259
.LBB22_844:
	s_or_b64 exec, exec, s[14:15]
	s_and_saveexec_b64 s[14:15], s[22:23]
	s_cbranch_execz .LBB22_890
.LBB22_845:
	s_sext_i32_i16 s18, s42
	s_cmp_lt_i32 s18, 5
	s_cbranch_scc1 .LBB22_850
; %bb.846:
	s_cmp_lt_i32 s18, 8
	s_cbranch_scc1 .LBB22_851
; %bb.847:
	;; [unrolled: 3-line block ×3, first 2 shown]
	s_cmp_gt_i32 s18, 9
	s_cbranch_scc0 .LBB22_853
; %bb.849:
	global_load_dwordx2 v[0:1], v[2:3], off
	s_mov_b64 s[18:19], 0
	s_waitcnt vmcnt(0)
	v_cvt_i32_f64_e32 v0, v[0:1]
	s_branch .LBB22_854
.LBB22_850:
                                        ; implicit-def: $vgpr0
	s_branch .LBB22_871
.LBB22_851:
                                        ; implicit-def: $vgpr0
	s_branch .LBB22_860
.LBB22_852:
	s_mov_b64 s[18:19], -1
                                        ; implicit-def: $vgpr0
	s_branch .LBB22_857
.LBB22_853:
	s_mov_b64 s[18:19], -1
                                        ; implicit-def: $vgpr0
.LBB22_854:
	s_andn2_b64 vcc, exec, s[18:19]
	s_cbranch_vccnz .LBB22_856
; %bb.855:
	global_load_dword v0, v[2:3], off
	s_waitcnt vmcnt(0)
	v_cvt_i32_f32_e32 v0, v0
.LBB22_856:
	s_mov_b64 s[18:19], 0
.LBB22_857:
	s_andn2_b64 vcc, exec, s[18:19]
	s_cbranch_vccnz .LBB22_859
; %bb.858:
	global_load_dword v0, v[2:3], off
	s_waitcnt vmcnt(0)
	v_cvt_i16_f16_e32 v0, v0
.LBB22_859:
	s_cbranch_execnz .LBB22_870
.LBB22_860:
	s_sext_i32_i16 s18, s42
	s_cmp_lt_i32 s18, 6
	s_cbranch_scc1 .LBB22_863
; %bb.861:
	s_cmp_gt_i32 s18, 6
	s_cbranch_scc0 .LBB22_864
; %bb.862:
	global_load_dwordx2 v[0:1], v[2:3], off
	s_mov_b64 s[18:19], 0
	s_waitcnt vmcnt(0)
	v_cvt_i32_f64_e32 v0, v[0:1]
	s_branch .LBB22_865
.LBB22_863:
	s_mov_b64 s[18:19], -1
                                        ; implicit-def: $vgpr0
	s_branch .LBB22_868
.LBB22_864:
	s_mov_b64 s[18:19], -1
                                        ; implicit-def: $vgpr0
.LBB22_865:
	s_andn2_b64 vcc, exec, s[18:19]
	s_cbranch_vccnz .LBB22_867
; %bb.866:
	global_load_dword v0, v[2:3], off
	s_waitcnt vmcnt(0)
	v_cvt_i32_f32_e32 v0, v0
.LBB22_867:
	s_mov_b64 s[18:19], 0
.LBB22_868:
	s_andn2_b64 vcc, exec, s[18:19]
	s_cbranch_vccnz .LBB22_870
; %bb.869:
	global_load_ushort v0, v[2:3], off
	s_waitcnt vmcnt(0)
	v_cvt_i16_f16_e32 v0, v0
.LBB22_870:
	s_cbranch_execnz .LBB22_889
.LBB22_871:
	s_sext_i32_i16 s18, s42
	s_cmp_lt_i32 s18, 2
	s_cbranch_scc1 .LBB22_875
; %bb.872:
	s_cmp_lt_i32 s18, 3
	s_cbranch_scc1 .LBB22_876
; %bb.873:
	s_cmp_gt_i32 s18, 3
	s_cbranch_scc0 .LBB22_877
; %bb.874:
	global_load_dwordx2 v[0:1], v[2:3], off
	s_mov_b64 s[18:19], 0
	s_branch .LBB22_878
.LBB22_875:
                                        ; implicit-def: $vgpr0
	s_branch .LBB22_884
.LBB22_876:
	s_mov_b64 s[18:19], -1
                                        ; implicit-def: $vgpr0
	s_branch .LBB22_881
.LBB22_877:
	s_mov_b64 s[18:19], -1
                                        ; implicit-def: $vgpr0
.LBB22_878:
	s_andn2_b64 vcc, exec, s[18:19]
	s_cbranch_vccnz .LBB22_880
; %bb.879:
	global_load_dword v0, v[2:3], off
.LBB22_880:
	s_mov_b64 s[18:19], 0
.LBB22_881:
	s_andn2_b64 vcc, exec, s[18:19]
	s_cbranch_vccnz .LBB22_883
; %bb.882:
	global_load_ushort v0, v[2:3], off
.LBB22_883:
	s_cbranch_execnz .LBB22_889
.LBB22_884:
	s_sext_i32_i16 s18, s42
	s_cmp_gt_i32 s18, 0
	s_cbranch_scc0 .LBB22_886
; %bb.885:
	global_load_ubyte v0, v[2:3], off
	s_mov_b64 s[18:19], 0
	s_branch .LBB22_887
.LBB22_886:
	s_mov_b64 s[18:19], -1
                                        ; implicit-def: $vgpr0
.LBB22_887:
	s_andn2_b64 vcc, exec, s[18:19]
	s_cbranch_vccnz .LBB22_889
; %bb.888:
	global_load_ubyte v0, v[2:3], off
.LBB22_889:
	s_or_b64 s[0:1], s[0:1], exec
.LBB22_890:
	s_or_b64 exec, exec, s[14:15]
	s_mov_b64 s[20:21], 0
	s_mov_b64 s[18:19], 0
                                        ; implicit-def: $sgpr26
                                        ; implicit-def: $vgpr2_vgpr3
                                        ; implicit-def: $vgpr1
	s_and_saveexec_b64 s[14:15], s[0:1]
	s_cbranch_execz .LBB22_898
; %bb.891:
	v_mul_lo_u32 v2, v10, s8
	v_ashrrev_i32_e32 v3, 31, v2
	s_and_b32 s26, s33, 0xff
	s_waitcnt vmcnt(0)
	v_xor_b32_e32 v1, -1, v0
	s_cmp_lt_i32 s26, 11
	v_lshl_add_u64 v[2:3], s[4:5], 0, v[2:3]
	s_cbranch_scc1 .LBB22_901
; %bb.892:
	s_and_b32 s27, 0xffff, s26
	s_mov_b64 s[20:21], -1
	s_cmp_gt_i32 s27, 25
	s_mov_b64 s[0:1], s[12:13]
	s_cbranch_scc0 .LBB22_929
; %bb.893:
	s_mov_b64 s[18:19], -1
	s_cmp_gt_i32 s27, 28
	s_mov_b64 s[0:1], s[12:13]
	s_cbranch_scc0 .LBB22_913
; %bb.894:
	s_cmp_gt_i32 s27, 43
	s_mov_b64 s[0:1], s[12:13]
	s_cbranch_scc0 .LBB22_909
; %bb.895:
	;; [unrolled: 4-line block ×3, first 2 shown]
	s_cmp_eq_u32 s27, 46
	s_mov_b64 s[0:1], -1
	s_cbranch_scc0 .LBB22_902
; %bb.897:
	v_bfe_i32 v4, v1, 0, 8
	v_cvt_f32_i32_sdwa v4, sext(v4) dst_sel:DWORD dst_unused:UNUSED_PAD src0_sel:WORD_0
	s_movk_i32 s0, 0x7fff
	s_mov_b64 s[18:19], 0
	v_bfe_u32 v5, v4, 16, 1
	v_add3_u32 v4, v4, v5, s0
	v_lshrrev_b32_e32 v4, 16, v4
	global_store_dword v[2:3], v4, off
	s_mov_b64 s[0:1], 0
	s_branch .LBB22_903
.LBB22_898:
	s_or_b64 exec, exec, s[14:15]
	s_and_saveexec_b64 s[0:1], s[12:13]
	s_cbranch_execnz .LBB22_971
.LBB22_899:
	s_or_b64 exec, exec, s[0:1]
	s_and_saveexec_b64 s[0:1], s[20:21]
	s_xor_b64 s[0:1], exec, s[0:1]
	s_cbranch_execz .LBB22_972
.LBB22_900:
	s_movk_i32 s12, 0xff
	s_waitcnt vmcnt(0)
	v_cmp_ne_u16_sdwa s[12:13], v0, s12 src0_sel:BYTE_0 src1_sel:DWORD
	s_nop 1
	v_cndmask_b32_e64 v0, 0, 1, s[12:13]
	global_store_byte v[2:3], v0, off
	s_or_b64 exec, exec, s[0:1]
	s_and_saveexec_b64 s[0:1], s[18:19]
	s_xor_b64 s[0:1], exec, s[0:1]
	s_cbranch_execz .LBB22_1010
	s_branch .LBB22_973
.LBB22_901:
	s_mov_b64 s[18:19], -1
	s_mov_b64 s[0:1], s[12:13]
	s_branch .LBB22_970
.LBB22_902:
	s_mov_b64 s[18:19], 0
.LBB22_903:
	s_and_b64 vcc, exec, s[18:19]
	s_cbranch_vccz .LBB22_908
; %bb.904:
	s_cmp_eq_u32 s27, 44
	s_mov_b64 s[0:1], -1
	s_cbranch_scc0 .LBB22_908
; %bb.905:
	v_bfe_i32 v4, v1, 0, 8
	v_cvt_f32_i32_sdwa v4, sext(v4) dst_sel:DWORD dst_unused:UNUSED_PAD src0_sel:WORD_0
	s_movk_i32 s0, 0xff
	v_mov_b32_e32 v6, 0xff
	v_bfe_u32 v5, v4, 23, 8
	v_cmp_ne_u32_e32 vcc, s0, v5
	s_and_saveexec_b64 s[18:19], vcc
; %bb.906:
	s_mov_b32 s0, 0x3fffff
	v_lshrrev_b32_e32 v6, 23, v4
	v_and_b32_e32 v7, 0x400000, v4
	v_and_or_b32 v4, v4, s0, v5
	v_cmp_ne_u32_e32 vcc, 0, v7
	v_cmp_ne_u32_e64 s[0:1], 0, v4
	s_and_b64 s[0:1], vcc, s[0:1]
	s_nop 0
	v_cndmask_b32_e64 v4, 0, 1, s[0:1]
	v_add_u32_e32 v6, v6, v4
; %bb.907:
	s_or_b64 exec, exec, s[18:19]
	s_mov_b64 s[0:1], 0
	global_store_byte v[2:3], v6, off
.LBB22_908:
	s_mov_b64 s[18:19], 0
.LBB22_909:
	s_and_b64 vcc, exec, s[18:19]
	s_cbranch_vccz .LBB22_912
; %bb.910:
	s_cmp_eq_u32 s27, 29
	s_mov_b64 s[0:1], -1
	s_cbranch_scc0 .LBB22_912
; %bb.911:
	v_bfe_i32 v4, v1, 0, 8
	v_ashrrev_i32_e32 v5, 31, v4
	global_store_dwordx2 v[2:3], v[4:5], off
	s_mov_b64 s[0:1], 0
.LBB22_912:
	s_mov_b64 s[18:19], 0
.LBB22_913:
	s_and_b64 vcc, exec, s[18:19]
	s_cbranch_vccz .LBB22_928
; %bb.914:
	s_cmp_lt_i32 s27, 27
	s_mov_b64 s[18:19], -1
	s_cbranch_scc1 .LBB22_920
; %bb.915:
	s_cmp_gt_i32 s27, 27
	s_cbranch_scc0 .LBB22_917
; %bb.916:
	v_bfe_i32 v4, v1, 0, 8
	s_mov_b64 s[18:19], 0
	global_store_dword v[2:3], v4, off
.LBB22_917:
	s_andn2_b64 vcc, exec, s[18:19]
	s_cbranch_vccnz .LBB22_919
; %bb.918:
	v_bfe_i32 v4, v1, 0, 8
	global_store_short v[2:3], v4, off
.LBB22_919:
	s_mov_b64 s[18:19], 0
.LBB22_920:
	s_andn2_b64 vcc, exec, s[18:19]
	s_cbranch_vccnz .LBB22_928
; %bb.921:
	v_bfe_i32 v4, v1, 0, 8
	v_cvt_f32_i32_sdwa v4, sext(v4) dst_sel:DWORD dst_unused:UNUSED_PAD src0_sel:WORD_0
	s_mov_b32 s18, 0x43800000
	v_mov_b32_e32 v6, 0x80
	v_and_b32_e32 v5, 0x7fffffff, v4
	v_cmp_gt_u32_e32 vcc, s18, v5
	s_and_saveexec_b64 s[18:19], vcc
	s_cbranch_execz .LBB22_927
; %bb.922:
	s_mov_b32 s20, 0x3bffffff
	v_cmp_lt_u32_e32 vcc, s20, v5
	s_mov_b64 s[20:21], 0
                                        ; implicit-def: $vgpr5
	s_and_saveexec_b64 s[22:23], vcc
	s_xor_b64 s[22:23], exec, s[22:23]
	s_cbranch_execz .LBB22_1025
; %bb.923:
	v_bfe_u32 v5, v4, 20, 1
	s_mov_b32 s24, 0x487ffff
	v_add3_u32 v5, v4, v5, s24
	s_mov_b64 s[20:21], exec
	v_lshrrev_b32_e32 v5, 20, v5
	s_andn2_saveexec_b64 s[22:23], s[22:23]
	s_cbranch_execnz .LBB22_1026
.LBB22_924:
	s_or_b64 exec, exec, s[22:23]
	v_mov_b32_e32 v6, 0
	s_and_saveexec_b64 s[22:23], s[20:21]
.LBB22_925:
	v_lshrrev_b32_e32 v4, 24, v4
	s_movk_i32 s20, 0x80
	v_and_or_b32 v6, v4, s20, v5
.LBB22_926:
	s_or_b64 exec, exec, s[22:23]
.LBB22_927:
	s_or_b64 exec, exec, s[18:19]
	global_store_byte v[2:3], v6, off
.LBB22_928:
	s_mov_b64 s[20:21], 0
.LBB22_929:
	s_mov_b64 s[18:19], 0
	s_and_b64 vcc, exec, s[20:21]
	s_cbranch_vccz .LBB22_969
; %bb.930:
	s_cmp_gt_i32 s27, 22
	s_mov_b64 s[20:21], -1
	s_cbranch_scc0 .LBB22_962
; %bb.931:
	s_cmp_lt_i32 s27, 24
	s_cbranch_scc1 .LBB22_951
; %bb.932:
	s_cmp_gt_i32 s27, 24
	s_cbranch_scc0 .LBB22_940
; %bb.933:
	v_bfe_i32 v4, v1, 0, 8
	v_cvt_f32_i32_sdwa v4, sext(v4) dst_sel:DWORD dst_unused:UNUSED_PAD src0_sel:WORD_0
	s_mov_b32 s20, 0x47800000
	v_mov_b32_e32 v6, 0x80
	v_and_b32_e32 v5, 0x7fffffff, v4
	v_cmp_gt_u32_e32 vcc, s20, v5
	s_and_saveexec_b64 s[20:21], vcc
	s_cbranch_execz .LBB22_939
; %bb.934:
	s_mov_b32 s22, 0x37ffffff
	v_cmp_lt_u32_e32 vcc, s22, v5
	s_mov_b64 s[22:23], 0
                                        ; implicit-def: $vgpr5
	s_and_saveexec_b64 s[24:25], vcc
	s_xor_b64 s[24:25], exec, s[24:25]
	s_cbranch_execz .LBB22_1145
; %bb.935:
	v_bfe_u32 v5, v4, 21, 1
	s_mov_b32 s28, 0x88fffff
	v_add3_u32 v5, v4, v5, s28
	s_mov_b64 s[22:23], exec
	v_lshrrev_b32_e32 v5, 21, v5
	s_andn2_saveexec_b64 s[24:25], s[24:25]
	s_cbranch_execnz .LBB22_1146
.LBB22_936:
	s_or_b64 exec, exec, s[24:25]
	v_mov_b32_e32 v6, 0
	s_and_saveexec_b64 s[24:25], s[22:23]
.LBB22_937:
	v_lshrrev_b32_e32 v4, 24, v4
	s_movk_i32 s22, 0x80
	v_and_or_b32 v6, v4, s22, v5
.LBB22_938:
	s_or_b64 exec, exec, s[24:25]
.LBB22_939:
	s_or_b64 exec, exec, s[20:21]
	s_mov_b64 s[20:21], 0
	global_store_byte v[2:3], v6, off
.LBB22_940:
	s_and_b64 vcc, exec, s[20:21]
	s_cbranch_vccz .LBB22_950
; %bb.941:
	v_bfe_i32 v4, v1, 0, 8
	v_cvt_f32_i32_sdwa v4, sext(v4) dst_sel:DWORD dst_unused:UNUSED_PAD src0_sel:WORD_0
	s_mov_b32 s20, 0x43f00000
                                        ; implicit-def: $vgpr5
	v_and_b32_e32 v6, 0x7fffffff, v4
	v_cmp_gt_u32_e32 vcc, s20, v6
	s_and_saveexec_b64 s[20:21], vcc
	s_xor_b64 s[20:21], exec, s[20:21]
	s_cbranch_execz .LBB22_947
; %bb.942:
	s_mov_b32 s22, 0x3c7fffff
	v_cmp_lt_u32_e32 vcc, s22, v6
                                        ; implicit-def: $vgpr5
	s_and_saveexec_b64 s[22:23], vcc
	s_xor_b64 s[22:23], exec, s[22:23]
; %bb.943:
	v_bfe_u32 v5, v4, 20, 1
	s_mov_b32 s24, 0x407ffff
	v_add3_u32 v5, v4, v5, s24
	v_lshrrev_b32_e32 v6, 20, v5
	v_and_b32_e32 v5, 0xff00000, v5
	s_mov_b32 s24, 0x7f00000
	v_mov_b32_e32 v7, 0x7e
	v_cmp_ne_u32_e32 vcc, s24, v5
	s_nop 1
	v_cndmask_b32_e32 v5, v7, v6, vcc
; %bb.944:
	s_andn2_saveexec_b64 s[22:23], s[22:23]
; %bb.945:
	s_mov_b32 s24, 0x46800000
	v_add_f32_e64 v5, |v4|, s24
; %bb.946:
	s_or_b64 exec, exec, s[22:23]
                                        ; implicit-def: $vgpr6
.LBB22_947:
	s_andn2_saveexec_b64 s[20:21], s[20:21]
; %bb.948:
	s_mov_b32 s22, 0x7f800000
	v_mov_b32_e32 v5, 0x7e
	v_mov_b32_e32 v7, 0x7f
	v_cmp_lt_u32_e32 vcc, s22, v6
	s_nop 1
	v_cndmask_b32_e32 v5, v5, v7, vcc
; %bb.949:
	s_or_b64 exec, exec, s[20:21]
	v_lshrrev_b32_e32 v4, 24, v4
	s_movk_i32 s20, 0x80
	v_and_or_b32 v4, v4, s20, v5
	global_store_byte v[2:3], v4, off
.LBB22_950:
	s_mov_b64 s[20:21], 0
.LBB22_951:
	s_andn2_b64 vcc, exec, s[20:21]
	s_cbranch_vccnz .LBB22_961
; %bb.952:
	v_bfe_i32 v4, v1, 0, 8
	v_cvt_f32_i32_sdwa v4, sext(v4) dst_sel:DWORD dst_unused:UNUSED_PAD src0_sel:WORD_0
	s_mov_b32 s20, 0x47800000
                                        ; implicit-def: $vgpr5
	v_and_b32_e32 v6, 0x7fffffff, v4
	v_cmp_gt_u32_e32 vcc, s20, v6
	s_and_saveexec_b64 s[20:21], vcc
	s_xor_b64 s[20:21], exec, s[20:21]
	s_cbranch_execz .LBB22_958
; %bb.953:
	s_mov_b32 s22, 0x387fffff
	v_cmp_lt_u32_e32 vcc, s22, v6
                                        ; implicit-def: $vgpr5
	s_and_saveexec_b64 s[22:23], vcc
	s_xor_b64 s[22:23], exec, s[22:23]
; %bb.954:
	v_bfe_u32 v5, v4, 21, 1
	s_mov_b32 s24, 0x80fffff
	v_add3_u32 v5, v4, v5, s24
	v_lshrrev_b32_e32 v5, 21, v5
; %bb.955:
	s_andn2_saveexec_b64 s[22:23], s[22:23]
; %bb.956:
	s_mov_b32 s24, 0x43000000
	v_add_f32_e64 v5, |v4|, s24
; %bb.957:
	s_or_b64 exec, exec, s[22:23]
                                        ; implicit-def: $vgpr6
.LBB22_958:
	s_andn2_saveexec_b64 s[20:21], s[20:21]
; %bb.959:
	s_mov_b32 s22, 0x7f800000
	v_mov_b32_e32 v5, 0x7c
	v_mov_b32_e32 v7, 0x7f
	v_cmp_lt_u32_e32 vcc, s22, v6
	s_nop 1
	v_cndmask_b32_e32 v5, v5, v7, vcc
; %bb.960:
	s_or_b64 exec, exec, s[20:21]
	v_lshrrev_b32_e32 v4, 24, v4
	s_movk_i32 s20, 0x80
	v_and_or_b32 v4, v4, s20, v5
	global_store_byte v[2:3], v4, off
.LBB22_961:
	s_mov_b64 s[20:21], 0
.LBB22_962:
	s_andn2_b64 vcc, exec, s[20:21]
	s_mov_b64 s[20:21], 0
	s_cbranch_vccnz .LBB22_970
; %bb.963:
	s_cmp_gt_i32 s27, 14
	s_mov_b64 s[22:23], -1
	s_cbranch_scc0 .LBB22_967
; %bb.964:
	s_cmp_eq_u32 s27, 15
	s_mov_b64 s[0:1], -1
	s_cbranch_scc0 .LBB22_966
; %bb.965:
	v_bfe_i32 v4, v1, 0, 8
	v_cvt_f32_i32_sdwa v4, sext(v4) dst_sel:DWORD dst_unused:UNUSED_PAD src0_sel:WORD_0
	s_movk_i32 s0, 0x7fff
	v_bfe_u32 v5, v4, 16, 1
	v_add3_u32 v4, v4, v5, s0
	global_store_short_d16_hi v[2:3], v4, off
	s_mov_b64 s[0:1], 0
.LBB22_966:
	s_mov_b64 s[22:23], 0
.LBB22_967:
	s_and_b64 vcc, exec, s[22:23]
	s_cbranch_vccz .LBB22_970
; %bb.968:
	s_cmp_lg_u32 s27, 11
	s_cselect_b64 s[22:23], -1, 0
	s_andn2_b64 s[0:1], s[0:1], exec
	s_and_b64 s[22:23], s[22:23], exec
	s_mov_b64 s[20:21], -1
	s_or_b64 s[0:1], s[0:1], s[22:23]
	s_branch .LBB22_970
.LBB22_969:
	s_mov_b64 s[20:21], 0
.LBB22_970:
	s_andn2_b64 s[12:13], s[12:13], exec
	s_and_b64 s[0:1], s[0:1], exec
	s_and_b64 s[18:19], s[18:19], exec
	;; [unrolled: 1-line block ×3, first 2 shown]
	s_or_b64 s[12:13], s[12:13], s[0:1]
	s_or_b64 exec, exec, s[14:15]
	s_and_saveexec_b64 s[0:1], s[12:13]
	s_cbranch_execz .LBB22_899
.LBB22_971:
	s_or_b64 s[16:17], s[16:17], exec
	s_andn2_b64 s[20:21], s[20:21], exec
	s_trap 2
	s_or_b64 exec, exec, s[0:1]
	s_and_saveexec_b64 s[0:1], s[20:21]
	s_xor_b64 s[0:1], exec, s[0:1]
	s_cbranch_execnz .LBB22_900
.LBB22_972:
	s_or_b64 exec, exec, s[0:1]
	s_and_saveexec_b64 s[0:1], s[18:19]
	s_xor_b64 s[0:1], exec, s[0:1]
	s_cbranch_execz .LBB22_1010
.LBB22_973:
	s_sext_i32_i16 s14, s26
	s_cmp_lt_i32 s14, 5
	s_mov_b64 s[12:13], -1
	s_cbranch_scc1 .LBB22_994
; %bb.974:
	s_cmp_lt_i32 s14, 8
	s_cbranch_scc1 .LBB22_984
; %bb.975:
	s_cmp_lt_i32 s14, 9
	s_cbranch_scc1 .LBB22_981
; %bb.976:
	s_cmp_gt_i32 s14, 9
	s_cbranch_scc0 .LBB22_978
; %bb.977:
	s_waitcnt vmcnt(0)
	v_bfe_i32 v0, v1, 0, 8
	v_bfe_i32 v0, v0, 0, 16
	v_mov_b32_e32 v6, 0
	v_cvt_f64_i32_e32 v[4:5], v0
	v_mov_b32_e32 v7, v6
	s_mov_b64 s[12:13], 0
	global_store_dwordx4 v[2:3], v[4:7], off
.LBB22_978:
	s_andn2_b64 vcc, exec, s[12:13]
	s_cbranch_vccnz .LBB22_980
; %bb.979:
	s_waitcnt vmcnt(0)
	v_bfe_i32 v0, v1, 0, 8
	v_cvt_f32_i32_sdwa v4, sext(v0) dst_sel:DWORD dst_unused:UNUSED_PAD src0_sel:WORD_0
	v_mov_b32_e32 v5, 0
	global_store_dwordx2 v[2:3], v[4:5], off
.LBB22_980:
	s_mov_b64 s[12:13], 0
.LBB22_981:
	s_andn2_b64 vcc, exec, s[12:13]
	s_cbranch_vccnz .LBB22_983
; %bb.982:
	s_waitcnt vmcnt(0)
	v_cvt_f16_i16_sdwa v0, sext(v1) dst_sel:DWORD dst_unused:UNUSED_PAD src0_sel:BYTE_0
	global_store_dword v[2:3], v0, off
.LBB22_983:
	s_mov_b64 s[12:13], 0
.LBB22_984:
	s_andn2_b64 vcc, exec, s[12:13]
	s_cbranch_vccnz .LBB22_993
; %bb.985:
	s_sext_i32_i16 s14, s26
	s_cmp_lt_i32 s14, 6
	s_mov_b64 s[12:13], -1
	s_cbranch_scc1 .LBB22_991
; %bb.986:
	s_cmp_gt_i32 s14, 6
	s_cbranch_scc0 .LBB22_988
; %bb.987:
	s_waitcnt vmcnt(0)
	v_bfe_i32 v0, v1, 0, 8
	v_bfe_i32 v0, v0, 0, 16
	v_cvt_f64_i32_e32 v[4:5], v0
	s_mov_b64 s[12:13], 0
	global_store_dwordx2 v[2:3], v[4:5], off
.LBB22_988:
	s_andn2_b64 vcc, exec, s[12:13]
	s_cbranch_vccnz .LBB22_990
; %bb.989:
	s_waitcnt vmcnt(0)
	v_bfe_i32 v0, v1, 0, 8
	v_cvt_f32_i32_sdwa v0, sext(v0) dst_sel:DWORD dst_unused:UNUSED_PAD src0_sel:WORD_0
	global_store_dword v[2:3], v0, off
.LBB22_990:
	s_mov_b64 s[12:13], 0
.LBB22_991:
	s_andn2_b64 vcc, exec, s[12:13]
	s_cbranch_vccnz .LBB22_993
; %bb.992:
	s_waitcnt vmcnt(0)
	v_cvt_f16_i16_sdwa v0, sext(v1) dst_sel:DWORD dst_unused:UNUSED_PAD src0_sel:BYTE_0
	global_store_short v[2:3], v0, off
.LBB22_993:
	s_mov_b64 s[12:13], 0
.LBB22_994:
	s_andn2_b64 vcc, exec, s[12:13]
	s_cbranch_vccnz .LBB22_1010
; %bb.995:
	s_sext_i32_i16 s14, s26
	s_cmp_lt_i32 s14, 2
	s_mov_b64 s[12:13], -1
	s_cbranch_scc1 .LBB22_1005
; %bb.996:
	s_cmp_lt_i32 s14, 3
	s_cbranch_scc1 .LBB22_1002
; %bb.997:
	s_cmp_gt_i32 s14, 3
	s_cbranch_scc0 .LBB22_999
; %bb.998:
	s_waitcnt vmcnt(0)
	v_bfe_i32 v4, v1, 0, 8
	v_ashrrev_i32_e32 v5, 31, v4
	s_mov_b64 s[12:13], 0
	global_store_dwordx2 v[2:3], v[4:5], off
.LBB22_999:
	s_andn2_b64 vcc, exec, s[12:13]
	s_cbranch_vccnz .LBB22_1001
; %bb.1000:
	s_waitcnt vmcnt(0)
	v_bfe_i32 v0, v1, 0, 8
	global_store_dword v[2:3], v0, off
.LBB22_1001:
	s_mov_b64 s[12:13], 0
.LBB22_1002:
	s_andn2_b64 vcc, exec, s[12:13]
	s_cbranch_vccnz .LBB22_1004
; %bb.1003:
	s_waitcnt vmcnt(0)
	v_bfe_i32 v0, v1, 0, 8
	global_store_short v[2:3], v0, off
.LBB22_1004:
	s_mov_b64 s[12:13], 0
.LBB22_1005:
	s_andn2_b64 vcc, exec, s[12:13]
	s_cbranch_vccnz .LBB22_1010
; %bb.1006:
	s_sext_i32_i16 s12, s26
	s_cmp_gt_i32 s12, 0
	s_mov_b64 s[12:13], -1
	s_cbranch_scc0 .LBB22_1008
; %bb.1007:
	s_mov_b64 s[12:13], 0
	s_waitcnt vmcnt(0)
	global_store_byte v[2:3], v1, off
.LBB22_1008:
	s_andn2_b64 vcc, exec, s[12:13]
	s_cbranch_vccnz .LBB22_1010
; %bb.1009:
	s_waitcnt vmcnt(0)
	global_store_byte v[2:3], v1, off
.LBB22_1010:
	s_or_b64 exec, exec, s[0:1]
	s_and_b64 s[12:13], s[16:17], exec
                                        ; implicit-def: $vgpr10
.LBB22_1011:
	s_or_saveexec_b64 s[2:3], s[2:3]
	s_mov_b64 s[0:1], 0
                                        ; implicit-def: $sgpr20
                                        ; implicit-def: $vgpr2_vgpr3
                                        ; implicit-def: $vgpr1
                                        ; implicit-def: $vgpr0
	s_xor_b64 exec, exec, s[2:3]
	s_cbranch_execz .LBB22_1396
; %bb.1012:
	s_waitcnt vmcnt(0)
	v_mul_lo_u32 v0, s9, v10
	v_ashrrev_i32_e32 v1, 31, v0
	s_and_b32 s20, 0xffff, s42
	s_cmp_lt_i32 s20, 11
	v_lshl_add_u64 v[2:3], s[6:7], 0, v[0:1]
	s_cbranch_scc1 .LBB22_1019
; %bb.1013:
	s_cmp_gt_i32 s20, 25
	s_cbranch_scc0 .LBB22_1021
; %bb.1014:
	s_cmp_gt_i32 s20, 28
	s_cbranch_scc0 .LBB22_1022
; %bb.1015:
	s_cmp_gt_i32 s20, 43
	s_cbranch_scc0 .LBB22_1023
; %bb.1016:
	s_cmp_gt_i32 s20, 45
	s_cbranch_scc0 .LBB22_1024
; %bb.1017:
	s_cmp_eq_u32 s20, 46
	s_mov_b64 s[14:15], 0
	s_cbranch_scc0 .LBB22_1027
; %bb.1018:
	global_load_dword v1, v[2:3], off
	s_mov_b64 s[16:17], -1
	s_waitcnt vmcnt(0)
	v_lshlrev_b32_e32 v1, 16, v1
	v_cvt_i32_f32_e32 v6, v1
	s_branch .LBB22_1028
.LBB22_1019:
	s_mov_b64 s[16:17], 0
                                        ; implicit-def: $vgpr6
	s_mov_b64 s[14:15], s[12:13]
	s_cbranch_execnz .LBB22_1086
.LBB22_1020:
	s_andn2_b64 vcc, exec, s[16:17]
	s_cbranch_vccz .LBB22_1131
	s_branch .LBB22_1393
.LBB22_1021:
	s_mov_b64 s[16:17], 0
                                        ; implicit-def: $vgpr6
	s_cbranch_execnz .LBB22_1053
	s_branch .LBB22_1082
.LBB22_1022:
	s_mov_b64 s[16:17], 0
                                        ; implicit-def: $vgpr6
	s_cbranch_execz .LBB22_1052
	s_branch .LBB22_1037
.LBB22_1023:
	s_mov_b64 s[16:17], 0
                                        ; implicit-def: $vgpr6
	s_cbranch_execnz .LBB22_1033
	s_branch .LBB22_1036
.LBB22_1024:
	s_mov_b64 s[14:15], -1
	s_mov_b64 s[16:17], 0
                                        ; implicit-def: $vgpr6
	s_branch .LBB22_1028
.LBB22_1025:
	s_andn2_saveexec_b64 s[22:23], s[22:23]
	s_cbranch_execz .LBB22_924
.LBB22_1026:
	s_mov_b32 s24, 0x46000000
	v_add_f32_e64 v5, |v4|, s24
	v_and_b32_e32 v5, 0xff, v5
	v_cmp_ne_u32_e32 vcc, 0, v5
	s_andn2_b64 s[20:21], s[20:21], exec
	s_and_b64 s[24:25], vcc, exec
	s_or_b64 s[20:21], s[20:21], s[24:25]
	s_or_b64 exec, exec, s[22:23]
	v_mov_b32_e32 v6, 0
	s_and_saveexec_b64 s[22:23], s[20:21]
	s_cbranch_execnz .LBB22_925
	s_branch .LBB22_926
.LBB22_1027:
	s_mov_b64 s[0:1], -1
                                        ; implicit-def: $vgpr6
	s_mov_b64 s[16:17], 0
.LBB22_1028:
	s_and_b64 vcc, exec, s[14:15]
	s_cbranch_vccz .LBB22_1031
; %bb.1029:
	s_cmp_eq_u32 s20, 44
	s_cbranch_scc0 .LBB22_1032
; %bb.1030:
	global_load_ubyte v1, v[2:3], off
	s_mov_b64 s[0:1], 0
	s_mov_b64 s[16:17], -1
	s_waitcnt vmcnt(0)
	v_lshlrev_b32_e32 v4, 23, v1
	v_cvt_i32_f32_e32 v4, v4
	v_cmp_ne_u32_e32 vcc, 0, v1
	s_nop 1
	v_cndmask_b32_e32 v6, 0, v4, vcc
.LBB22_1031:
	s_branch .LBB22_1036
.LBB22_1032:
	s_mov_b64 s[0:1], -1
                                        ; implicit-def: $vgpr6
	s_branch .LBB22_1036
.LBB22_1033:
	s_cmp_eq_u32 s20, 29
	s_cbranch_scc0 .LBB22_1035
; %bb.1034:
	global_load_dwordx2 v[6:7], v[2:3], off
	s_mov_b64 s[0:1], 0
	s_mov_b64 s[16:17], -1
	s_branch .LBB22_1036
.LBB22_1035:
	s_mov_b64 s[0:1], -1
                                        ; implicit-def: $vgpr6
.LBB22_1036:
	s_branch .LBB22_1052
.LBB22_1037:
	s_cmp_lt_i32 s20, 27
	s_cbranch_scc1 .LBB22_1040
; %bb.1038:
	s_cmp_gt_i32 s20, 27
	s_cbranch_scc0 .LBB22_1041
; %bb.1039:
	global_load_dword v6, v[2:3], off
	s_mov_b64 s[14:15], 0
	s_branch .LBB22_1042
.LBB22_1040:
	s_mov_b64 s[14:15], -1
                                        ; implicit-def: $vgpr6
	s_branch .LBB22_1045
.LBB22_1041:
	s_mov_b64 s[14:15], -1
                                        ; implicit-def: $vgpr6
.LBB22_1042:
	s_andn2_b64 vcc, exec, s[14:15]
	s_cbranch_vccnz .LBB22_1044
; %bb.1043:
	global_load_ushort v6, v[2:3], off
.LBB22_1044:
	s_mov_b64 s[14:15], 0
.LBB22_1045:
	s_andn2_b64 vcc, exec, s[14:15]
	s_cbranch_vccnz .LBB22_1051
; %bb.1046:
	global_load_ubyte v1, v[2:3], off
	s_movk_i32 s14, 0x7f
	s_mov_b64 s[16:17], 0
	s_waitcnt vmcnt(0)
	v_cmp_lt_i16_e32 vcc, s14, v1
	s_and_saveexec_b64 s[14:15], vcc
	s_xor_b64 s[14:15], exec, s[14:15]
	s_cbranch_execz .LBB22_1062
; %bb.1047:
	s_movk_i32 s16, 0x80
	v_cmp_ne_u16_e32 vcc, s16, v1
	s_and_b64 s[16:17], vcc, exec
	s_andn2_saveexec_b64 s[14:15], s[14:15]
	s_cbranch_execnz .LBB22_1063
.LBB22_1048:
	s_or_b64 exec, exec, s[14:15]
	v_mov_b32_e32 v6, 0
	s_and_saveexec_b64 s[14:15], s[16:17]
	s_cbranch_execz .LBB22_1050
.LBB22_1049:
	v_lshlrev_b32_e32 v4, 24, v1
	v_and_b32_e32 v1, 0xffff, v1
	v_and_b32_e32 v5, 7, v1
	v_ffbh_u32_e32 v7, v5
	v_min_u32_e32 v7, 32, v7
	v_subrev_u32_e32 v8, 28, v7
	v_bfe_u32 v6, v1, 3, 4
	v_lshlrev_b32_e32 v1, v8, v1
	v_sub_u32_e32 v7, 29, v7
	v_and_b32_e32 v1, 7, v1
	v_cmp_eq_u32_e32 vcc, 0, v6
	v_and_b32_e32 v4, 0x80000000, v4
	s_nop 0
	v_cndmask_b32_e32 v6, v6, v7, vcc
	v_cndmask_b32_e32 v1, v5, v1, vcc
	v_mov_b32_e32 v5, 0x3b800000
	v_lshlrev_b32_e32 v1, 20, v1
	v_lshl_add_u32 v5, v6, 23, v5
	v_or3_b32 v1, v4, v5, v1
	v_cvt_i32_f32_e32 v6, v1
.LBB22_1050:
	s_or_b64 exec, exec, s[14:15]
.LBB22_1051:
	s_mov_b64 s[16:17], -1
.LBB22_1052:
	s_branch .LBB22_1082
.LBB22_1053:
	s_cmp_gt_i32 s20, 22
	s_cbranch_scc0 .LBB22_1061
; %bb.1054:
	s_cmp_lt_i32 s20, 24
	s_cbranch_scc1 .LBB22_1064
; %bb.1055:
	s_cmp_gt_i32 s20, 24
	s_cbranch_scc0 .LBB22_1065
; %bb.1056:
	global_load_ubyte v1, v[2:3], off
	s_movk_i32 s10, 0x7f
	s_mov_b64 s[14:15], 0
	s_waitcnt vmcnt(0)
	v_cmp_lt_i16_e32 vcc, s10, v1
	s_and_saveexec_b64 s[10:11], vcc
	s_xor_b64 s[10:11], exec, s[10:11]
	s_cbranch_execz .LBB22_1076
; %bb.1057:
	s_movk_i32 s14, 0x80
	v_cmp_ne_u16_e32 vcc, s14, v1
	s_and_b64 s[14:15], vcc, exec
	s_andn2_saveexec_b64 s[10:11], s[10:11]
	s_cbranch_execnz .LBB22_1077
.LBB22_1058:
	s_or_b64 exec, exec, s[10:11]
	v_mov_b32_e32 v6, 0
	s_and_saveexec_b64 s[10:11], s[14:15]
	s_cbranch_execz .LBB22_1060
.LBB22_1059:
	v_lshlrev_b32_e32 v4, 24, v1
	v_and_b32_e32 v1, 0xffff, v1
	v_and_b32_e32 v5, 3, v1
	v_ffbh_u32_e32 v7, v5
	v_min_u32_e32 v7, 32, v7
	v_subrev_u32_e32 v8, 29, v7
	v_bfe_u32 v6, v1, 2, 5
	v_lshlrev_b32_e32 v1, v8, v1
	v_sub_u32_e32 v7, 30, v7
	v_and_b32_e32 v1, 3, v1
	v_cmp_eq_u32_e32 vcc, 0, v6
	v_and_b32_e32 v4, 0x80000000, v4
	s_nop 0
	v_cndmask_b32_e32 v6, v6, v7, vcc
	v_cndmask_b32_e32 v1, v5, v1, vcc
	v_mov_b32_e32 v5, 0x37800000
	v_lshlrev_b32_e32 v1, 21, v1
	v_lshl_add_u32 v5, v6, 23, v5
	v_or3_b32 v1, v4, v5, v1
	v_cvt_i32_f32_e32 v6, v1
.LBB22_1060:
	s_or_b64 exec, exec, s[10:11]
	s_mov_b64 s[10:11], 0
	s_branch .LBB22_1066
.LBB22_1061:
                                        ; implicit-def: $vgpr6
	s_mov_b64 s[10:11], 0
	s_branch .LBB22_1072
.LBB22_1062:
	s_andn2_saveexec_b64 s[14:15], s[14:15]
	s_cbranch_execz .LBB22_1048
.LBB22_1063:
	v_cmp_ne_u16_e32 vcc, 0, v1
	s_andn2_b64 s[16:17], s[16:17], exec
	s_and_b64 s[18:19], vcc, exec
	s_or_b64 s[16:17], s[16:17], s[18:19]
	s_or_b64 exec, exec, s[14:15]
	v_mov_b32_e32 v6, 0
	s_and_saveexec_b64 s[14:15], s[16:17]
	s_cbranch_execnz .LBB22_1049
	s_branch .LBB22_1050
.LBB22_1064:
	s_mov_b64 s[10:11], -1
                                        ; implicit-def: $vgpr6
	s_branch .LBB22_1069
.LBB22_1065:
	s_mov_b64 s[10:11], -1
                                        ; implicit-def: $vgpr6
.LBB22_1066:
	s_and_b64 vcc, exec, s[10:11]
	s_cbranch_vccz .LBB22_1068
; %bb.1067:
	global_load_ubyte v1, v[2:3], off
	s_mov_b32 s10, 0x7f800000
	s_waitcnt vmcnt(0)
	v_lshlrev_b32_e32 v1, 24, v1
	v_and_b32_e32 v4, 0x7f000000, v1
	v_ffbh_u32_e32 v5, v4
	v_min_u32_e32 v5, 32, v5
	v_sub_u32_e64 v5, v5, 4 clamp
	v_lshlrev_b32_e32 v7, v5, v4
	v_lshlrev_b32_e32 v5, 23, v5
	v_lshrrev_b32_e32 v7, 4, v7
	v_add_u32_e32 v6, 0x1000000, v4
	v_sub_u32_e32 v5, v7, v5
	v_ashrrev_i32_e32 v6, 8, v6
	v_add_u32_e32 v5, 0x3c000000, v5
	v_and_or_b32 v5, v6, s10, v5
	v_cmp_ne_u32_e32 vcc, 0, v4
	s_brev_b32 s10, 1
	s_nop 0
	v_cndmask_b32_e32 v4, 0, v5, vcc
	v_and_or_b32 v1, v1, s10, v4
	v_cvt_i32_f32_e32 v6, v1
.LBB22_1068:
	s_mov_b64 s[10:11], 0
.LBB22_1069:
	s_andn2_b64 vcc, exec, s[10:11]
	s_cbranch_vccnz .LBB22_1071
; %bb.1070:
	global_load_ubyte v1, v[2:3], off
	s_movk_i32 s10, 0x7f00
	s_brev_b32 s11, 16
	s_waitcnt vmcnt(0)
	v_lshlrev_b16_e32 v4, 8, v1
	v_lshlrev_b32_e32 v1, 25, v1
	v_lshrrev_b32_e32 v5, 4, v1
	v_and_or_b32 v6, v4, s10, 0.5
	v_or_b32_e32 v5, 0x70000000, v5
	v_add_f32_e32 v6, -0.5, v6
	v_mul_f32_e32 v5, 0x7800000, v5
	v_cmp_gt_u32_e32 vcc, s11, v1
	v_bfe_i32 v4, v4, 0, 16
	s_brev_b32 s10, 1
	v_cndmask_b32_e32 v1, v5, v6, vcc
	v_and_or_b32 v1, v4, s10, v1
	v_cvt_i32_f32_e32 v6, v1
.LBB22_1071:
	s_mov_b64 s[16:17], -1
	s_mov_b64 s[10:11], 0
	s_cbranch_execnz .LBB22_1082
.LBB22_1072:
	s_cmp_gt_i32 s20, 14
	s_cbranch_scc0 .LBB22_1075
; %bb.1073:
	s_cmp_eq_u32 s20, 15
	s_cbranch_scc0 .LBB22_1078
; %bb.1074:
	global_load_ushort v1, v[2:3], off
	s_mov_b64 s[0:1], 0
	s_mov_b64 s[16:17], -1
	s_waitcnt vmcnt(0)
	v_lshlrev_b32_e32 v1, 16, v1
	v_cvt_i32_f32_e32 v6, v1
	s_branch .LBB22_1079
.LBB22_1075:
	s_mov_b64 s[14:15], -1
                                        ; implicit-def: $vgpr6
	s_branch .LBB22_1080
.LBB22_1076:
	s_andn2_saveexec_b64 s[10:11], s[10:11]
	s_cbranch_execz .LBB22_1058
.LBB22_1077:
	v_cmp_ne_u16_e32 vcc, 0, v1
	s_andn2_b64 s[14:15], s[14:15], exec
	s_and_b64 s[16:17], vcc, exec
	s_or_b64 s[14:15], s[14:15], s[16:17]
	s_or_b64 exec, exec, s[10:11]
	v_mov_b32_e32 v6, 0
	s_and_saveexec_b64 s[10:11], s[14:15]
	s_cbranch_execnz .LBB22_1059
	s_branch .LBB22_1060
.LBB22_1078:
	s_mov_b64 s[0:1], -1
                                        ; implicit-def: $vgpr6
.LBB22_1079:
	s_mov_b64 s[14:15], 0
.LBB22_1080:
	s_and_b64 vcc, exec, s[14:15]
	s_cbranch_vccz .LBB22_1082
; %bb.1081:
	s_cmp_lg_u32 s20, 11
	s_mov_b64 s[10:11], -1
	s_cselect_b64 s[0:1], -1, 0
.LBB22_1082:
	s_and_b64 vcc, exec, s[0:1]
	s_mov_b64 s[14:15], s[12:13]
	s_cbranch_vccnz .LBB22_1143
; %bb.1083:
	s_andn2_b64 vcc, exec, s[10:11]
	s_cbranch_vccnz .LBB22_1085
.LBB22_1084:
	global_load_ubyte v1, v[2:3], off
	s_mov_b64 s[16:17], -1
	s_waitcnt vmcnt(0)
	v_cmp_ne_u16_e32 vcc, 0, v1
	s_nop 1
	v_cndmask_b32_e64 v6, 0, 1, vcc
.LBB22_1085:
	s_branch .LBB22_1020
.LBB22_1086:
	s_cmp_lt_i32 s20, 5
	s_cbranch_scc1 .LBB22_1091
; %bb.1087:
	s_cmp_lt_i32 s20, 8
	s_cbranch_scc1 .LBB22_1092
; %bb.1088:
	;; [unrolled: 3-line block ×3, first 2 shown]
	s_cmp_gt_i32 s20, 9
	s_cbranch_scc0 .LBB22_1094
; %bb.1090:
	global_load_dwordx2 v[4:5], v[2:3], off
	s_mov_b64 s[0:1], 0
	s_waitcnt vmcnt(0)
	v_cvt_i32_f64_e32 v6, v[4:5]
	s_branch .LBB22_1095
.LBB22_1091:
                                        ; implicit-def: $vgpr6
	s_branch .LBB22_1112
.LBB22_1092:
                                        ; implicit-def: $vgpr6
	s_branch .LBB22_1101
.LBB22_1093:
	s_mov_b64 s[0:1], -1
                                        ; implicit-def: $vgpr6
	s_branch .LBB22_1098
.LBB22_1094:
	s_mov_b64 s[0:1], -1
                                        ; implicit-def: $vgpr6
.LBB22_1095:
	s_andn2_b64 vcc, exec, s[0:1]
	s_cbranch_vccnz .LBB22_1097
; %bb.1096:
	global_load_dword v1, v[2:3], off
	s_waitcnt vmcnt(0)
	v_cvt_i32_f32_e32 v6, v1
.LBB22_1097:
	s_mov_b64 s[0:1], 0
.LBB22_1098:
	s_andn2_b64 vcc, exec, s[0:1]
	s_cbranch_vccnz .LBB22_1100
; %bb.1099:
	global_load_dword v1, v[2:3], off
	s_waitcnt vmcnt(0)
	v_cvt_i16_f16_e32 v6, v1
.LBB22_1100:
	s_cbranch_execnz .LBB22_1111
.LBB22_1101:
	s_cmp_lt_i32 s20, 6
	s_cbranch_scc1 .LBB22_1104
; %bb.1102:
	s_cmp_gt_i32 s20, 6
	s_cbranch_scc0 .LBB22_1105
; %bb.1103:
	global_load_dwordx2 v[4:5], v[2:3], off
	s_mov_b64 s[0:1], 0
	s_waitcnt vmcnt(0)
	v_cvt_i32_f64_e32 v6, v[4:5]
	s_branch .LBB22_1106
.LBB22_1104:
	s_mov_b64 s[0:1], -1
                                        ; implicit-def: $vgpr6
	s_branch .LBB22_1109
.LBB22_1105:
	s_mov_b64 s[0:1], -1
                                        ; implicit-def: $vgpr6
.LBB22_1106:
	s_andn2_b64 vcc, exec, s[0:1]
	s_cbranch_vccnz .LBB22_1108
; %bb.1107:
	global_load_dword v1, v[2:3], off
	s_waitcnt vmcnt(0)
	v_cvt_i32_f32_e32 v6, v1
.LBB22_1108:
	s_mov_b64 s[0:1], 0
.LBB22_1109:
	s_andn2_b64 vcc, exec, s[0:1]
	s_cbranch_vccnz .LBB22_1111
; %bb.1110:
	global_load_ushort v1, v[2:3], off
	s_waitcnt vmcnt(0)
	v_cvt_i16_f16_e32 v6, v1
.LBB22_1111:
	s_cbranch_execnz .LBB22_1130
.LBB22_1112:
	s_cmp_lt_i32 s20, 2
	s_cbranch_scc1 .LBB22_1116
; %bb.1113:
	s_cmp_lt_i32 s20, 3
	s_cbranch_scc1 .LBB22_1117
; %bb.1114:
	s_cmp_gt_i32 s20, 3
	s_cbranch_scc0 .LBB22_1118
; %bb.1115:
	global_load_dwordx2 v[6:7], v[2:3], off
	s_mov_b64 s[0:1], 0
	s_branch .LBB22_1119
.LBB22_1116:
                                        ; implicit-def: $vgpr6
	s_branch .LBB22_1125
.LBB22_1117:
	s_mov_b64 s[0:1], -1
                                        ; implicit-def: $vgpr6
	s_branch .LBB22_1122
.LBB22_1118:
	s_mov_b64 s[0:1], -1
                                        ; implicit-def: $vgpr6
.LBB22_1119:
	s_andn2_b64 vcc, exec, s[0:1]
	s_cbranch_vccnz .LBB22_1121
; %bb.1120:
	global_load_dword v6, v[2:3], off
.LBB22_1121:
	s_mov_b64 s[0:1], 0
.LBB22_1122:
	s_andn2_b64 vcc, exec, s[0:1]
	s_cbranch_vccnz .LBB22_1124
; %bb.1123:
	global_load_ushort v6, v[2:3], off
.LBB22_1124:
	s_cbranch_execnz .LBB22_1130
.LBB22_1125:
	s_cmp_gt_i32 s20, 0
	s_cbranch_scc0 .LBB22_1127
; %bb.1126:
	global_load_ubyte v6, v[2:3], off
	s_mov_b64 s[0:1], 0
	s_branch .LBB22_1128
.LBB22_1127:
	s_mov_b64 s[0:1], -1
                                        ; implicit-def: $vgpr6
.LBB22_1128:
	s_andn2_b64 vcc, exec, s[0:1]
	s_cbranch_vccnz .LBB22_1130
; %bb.1129:
	global_load_ubyte v6, v[2:3], off
.LBB22_1130:
.LBB22_1131:
	s_lshl_b32 s9, s9, 7
	v_add_u32_e32 v0, s9, v0
	v_ashrrev_i32_e32 v1, 31, v0
	s_cmp_lt_i32 s20, 11
	v_lshl_add_u64 v[2:3], s[6:7], 0, v[0:1]
	s_cbranch_scc1 .LBB22_1138
; %bb.1132:
	s_cmp_gt_i32 s20, 25
	s_mov_b64 s[10:11], 0
	s_cbranch_scc0 .LBB22_1140
; %bb.1133:
	s_cmp_gt_i32 s20, 28
	s_cbranch_scc0 .LBB22_1141
; %bb.1134:
	s_cmp_gt_i32 s20, 43
	;; [unrolled: 3-line block ×3, first 2 shown]
	s_cbranch_scc0 .LBB22_1144
; %bb.1136:
	s_cmp_eq_u32 s20, 46
	s_mov_b64 s[18:19], 0
	s_cbranch_scc0 .LBB22_1147
; %bb.1137:
	global_load_dword v1, v[2:3], off
	s_mov_b64 s[0:1], 0
	s_mov_b64 s[16:17], -1
	s_waitcnt vmcnt(0)
	v_lshlrev_b32_e32 v1, 16, v1
	v_cvt_i32_f32_e32 v4, v1
	s_branch .LBB22_1148
.LBB22_1138:
	s_mov_b64 s[16:17], 0
                                        ; implicit-def: $vgpr4
	s_cbranch_execnz .LBB22_1209
.LBB22_1139:
	s_andn2_b64 vcc, exec, s[16:17]
	s_cbranch_vccz .LBB22_1256
	s_branch .LBB22_1393
.LBB22_1140:
	s_mov_b64 s[16:17], 0
	s_mov_b64 s[0:1], 0
                                        ; implicit-def: $vgpr4
	s_cbranch_execnz .LBB22_1175
	s_branch .LBB22_1205
.LBB22_1141:
	s_mov_b64 s[18:19], -1
	s_mov_b64 s[16:17], 0
	s_mov_b64 s[0:1], 0
                                        ; implicit-def: $vgpr4
	s_branch .LBB22_1158
.LBB22_1142:
	s_mov_b64 s[18:19], -1
	s_mov_b64 s[16:17], 0
	s_mov_b64 s[0:1], 0
                                        ; implicit-def: $vgpr4
	s_branch .LBB22_1153
.LBB22_1143:
	s_or_b64 s[14:15], s[12:13], exec
	s_trap 2
	s_cbranch_execz .LBB22_1084
	s_branch .LBB22_1085
.LBB22_1144:
	s_mov_b64 s[18:19], -1
	s_mov_b64 s[16:17], 0
	s_mov_b64 s[0:1], 0
                                        ; implicit-def: $vgpr4
	s_branch .LBB22_1148
.LBB22_1145:
	s_andn2_saveexec_b64 s[24:25], s[24:25]
	s_cbranch_execz .LBB22_936
.LBB22_1146:
	s_mov_b32 s28, 0x42800000
	v_add_f32_e64 v5, |v4|, s28
	v_and_b32_e32 v5, 0xff, v5
	v_cmp_ne_u32_e32 vcc, 0, v5
	s_andn2_b64 s[22:23], s[22:23], exec
	s_and_b64 s[28:29], vcc, exec
	s_or_b64 s[22:23], s[22:23], s[28:29]
	s_or_b64 exec, exec, s[24:25]
	v_mov_b32_e32 v6, 0
	s_and_saveexec_b64 s[24:25], s[22:23]
	s_cbranch_execnz .LBB22_937
	s_branch .LBB22_938
.LBB22_1147:
	s_mov_b64 s[0:1], -1
                                        ; implicit-def: $vgpr4
	s_mov_b64 s[16:17], 0
.LBB22_1148:
	s_and_b64 vcc, exec, s[18:19]
	s_cbranch_vccz .LBB22_1152
; %bb.1149:
	s_cmp_eq_u32 s20, 44
	s_cbranch_scc0 .LBB22_1151
; %bb.1150:
	global_load_ubyte v1, v[2:3], off
	s_mov_b64 s[0:1], 0
	s_mov_b64 s[16:17], -1
	s_waitcnt vmcnt(0)
	v_lshlrev_b32_e32 v4, 23, v1
	v_cvt_i32_f32_e32 v4, v4
	v_cmp_ne_u32_e32 vcc, 0, v1
	s_nop 1
	v_cndmask_b32_e32 v4, 0, v4, vcc
	s_branch .LBB22_1152
.LBB22_1151:
	s_mov_b64 s[0:1], -1
                                        ; implicit-def: $vgpr4
.LBB22_1152:
	s_mov_b64 s[18:19], 0
.LBB22_1153:
	s_and_b64 vcc, exec, s[18:19]
	s_cbranch_vccz .LBB22_1157
; %bb.1154:
	s_cmp_eq_u32 s20, 29
	s_cbranch_scc0 .LBB22_1156
; %bb.1155:
	global_load_dwordx2 v[4:5], v[2:3], off
	s_mov_b64 s[0:1], 0
	s_mov_b64 s[16:17], -1
	s_branch .LBB22_1157
.LBB22_1156:
	s_mov_b64 s[0:1], -1
                                        ; implicit-def: $vgpr4
.LBB22_1157:
	s_mov_b64 s[18:19], 0
.LBB22_1158:
	s_and_b64 vcc, exec, s[18:19]
	s_cbranch_vccz .LBB22_1174
; %bb.1159:
	s_cmp_lt_i32 s20, 27
	s_cbranch_scc1 .LBB22_1162
; %bb.1160:
	s_cmp_gt_i32 s20, 27
	s_cbranch_scc0 .LBB22_1163
; %bb.1161:
	global_load_dword v4, v[2:3], off
	s_mov_b64 s[16:17], 0
	s_branch .LBB22_1164
.LBB22_1162:
	s_mov_b64 s[16:17], -1
                                        ; implicit-def: $vgpr4
	s_branch .LBB22_1167
.LBB22_1163:
	s_mov_b64 s[16:17], -1
                                        ; implicit-def: $vgpr4
.LBB22_1164:
	s_andn2_b64 vcc, exec, s[16:17]
	s_cbranch_vccnz .LBB22_1166
; %bb.1165:
	global_load_ushort v4, v[2:3], off
.LBB22_1166:
	s_mov_b64 s[16:17], 0
.LBB22_1167:
	s_andn2_b64 vcc, exec, s[16:17]
	s_cbranch_vccnz .LBB22_1173
; %bb.1168:
	global_load_ubyte v1, v[2:3], off
	s_movk_i32 s16, 0x7f
	s_mov_b64 s[18:19], 0
	s_waitcnt vmcnt(0)
	v_cmp_lt_i16_e32 vcc, s16, v1
	s_and_saveexec_b64 s[16:17], vcc
	s_xor_b64 s[16:17], exec, s[16:17]
	s_cbranch_execz .LBB22_1184
; %bb.1169:
	s_movk_i32 s18, 0x80
	v_cmp_ne_u16_e32 vcc, s18, v1
	s_and_b64 s[18:19], vcc, exec
	s_andn2_saveexec_b64 s[16:17], s[16:17]
	s_cbranch_execnz .LBB22_1185
.LBB22_1170:
	s_or_b64 exec, exec, s[16:17]
	v_mov_b32_e32 v4, 0
	s_and_saveexec_b64 s[16:17], s[18:19]
	s_cbranch_execz .LBB22_1172
.LBB22_1171:
	v_lshlrev_b32_e32 v4, 24, v1
	v_and_b32_e32 v1, 0xffff, v1
	v_and_b32_e32 v5, 7, v1
	v_ffbh_u32_e32 v8, v5
	v_min_u32_e32 v8, 32, v8
	v_subrev_u32_e32 v9, 28, v8
	v_bfe_u32 v7, v1, 3, 4
	v_lshlrev_b32_e32 v1, v9, v1
	v_sub_u32_e32 v8, 29, v8
	v_and_b32_e32 v1, 7, v1
	v_cmp_eq_u32_e32 vcc, 0, v7
	v_and_b32_e32 v4, 0x80000000, v4
	s_nop 0
	v_cndmask_b32_e32 v7, v7, v8, vcc
	v_cndmask_b32_e32 v1, v5, v1, vcc
	v_mov_b32_e32 v5, 0x3b800000
	v_lshlrev_b32_e32 v1, 20, v1
	v_lshl_add_u32 v5, v7, 23, v5
	v_or3_b32 v1, v4, v5, v1
	v_cvt_i32_f32_e32 v4, v1
.LBB22_1172:
	s_or_b64 exec, exec, s[16:17]
.LBB22_1173:
	s_mov_b64 s[16:17], -1
.LBB22_1174:
	s_branch .LBB22_1205
.LBB22_1175:
	s_cmp_gt_i32 s20, 22
	s_cbranch_scc0 .LBB22_1183
; %bb.1176:
	s_cmp_lt_i32 s20, 24
	s_cbranch_scc1 .LBB22_1186
; %bb.1177:
	s_cmp_gt_i32 s20, 24
	s_cbranch_scc0 .LBB22_1187
; %bb.1178:
	global_load_ubyte v1, v[2:3], off
	s_movk_i32 s10, 0x7f
	s_mov_b64 s[16:17], 0
	s_waitcnt vmcnt(0)
	v_cmp_lt_i16_e32 vcc, s10, v1
	s_and_saveexec_b64 s[10:11], vcc
	s_xor_b64 s[10:11], exec, s[10:11]
	s_cbranch_execz .LBB22_1199
; %bb.1179:
	s_movk_i32 s16, 0x80
	v_cmp_ne_u16_e32 vcc, s16, v1
	s_and_b64 s[16:17], vcc, exec
	s_andn2_saveexec_b64 s[10:11], s[10:11]
	s_cbranch_execnz .LBB22_1200
.LBB22_1180:
	s_or_b64 exec, exec, s[10:11]
	v_mov_b32_e32 v4, 0
	s_and_saveexec_b64 s[10:11], s[16:17]
	s_cbranch_execz .LBB22_1182
.LBB22_1181:
	v_lshlrev_b32_e32 v4, 24, v1
	v_and_b32_e32 v1, 0xffff, v1
	v_and_b32_e32 v5, 3, v1
	v_ffbh_u32_e32 v8, v5
	v_min_u32_e32 v8, 32, v8
	v_subrev_u32_e32 v9, 29, v8
	v_bfe_u32 v7, v1, 2, 5
	v_lshlrev_b32_e32 v1, v9, v1
	v_sub_u32_e32 v8, 30, v8
	v_and_b32_e32 v1, 3, v1
	v_cmp_eq_u32_e32 vcc, 0, v7
	v_and_b32_e32 v4, 0x80000000, v4
	s_nop 0
	v_cndmask_b32_e32 v7, v7, v8, vcc
	v_cndmask_b32_e32 v1, v5, v1, vcc
	v_mov_b32_e32 v5, 0x37800000
	v_lshlrev_b32_e32 v1, 21, v1
	v_lshl_add_u32 v5, v7, 23, v5
	v_or3_b32 v1, v4, v5, v1
	v_cvt_i32_f32_e32 v4, v1
.LBB22_1182:
	s_or_b64 exec, exec, s[10:11]
	s_mov_b64 s[10:11], 0
	s_branch .LBB22_1188
.LBB22_1183:
	s_mov_b64 s[10:11], -1
                                        ; implicit-def: $vgpr4
	s_branch .LBB22_1194
.LBB22_1184:
	s_andn2_saveexec_b64 s[16:17], s[16:17]
	s_cbranch_execz .LBB22_1170
.LBB22_1185:
	v_cmp_ne_u16_e32 vcc, 0, v1
	s_andn2_b64 s[18:19], s[18:19], exec
	s_and_b64 s[22:23], vcc, exec
	s_or_b64 s[18:19], s[18:19], s[22:23]
	s_or_b64 exec, exec, s[16:17]
	v_mov_b32_e32 v4, 0
	s_and_saveexec_b64 s[16:17], s[18:19]
	s_cbranch_execnz .LBB22_1171
	s_branch .LBB22_1172
.LBB22_1186:
	s_mov_b64 s[10:11], -1
                                        ; implicit-def: $vgpr4
	s_branch .LBB22_1191
.LBB22_1187:
	s_mov_b64 s[10:11], -1
                                        ; implicit-def: $vgpr4
.LBB22_1188:
	s_and_b64 vcc, exec, s[10:11]
	s_cbranch_vccz .LBB22_1190
; %bb.1189:
	global_load_ubyte v1, v[2:3], off
	s_mov_b32 s10, 0x7f800000
	s_waitcnt vmcnt(0)
	v_lshlrev_b32_e32 v1, 24, v1
	v_and_b32_e32 v4, 0x7f000000, v1
	v_ffbh_u32_e32 v5, v4
	v_min_u32_e32 v5, 32, v5
	v_sub_u32_e64 v5, v5, 4 clamp
	v_lshlrev_b32_e32 v8, v5, v4
	v_lshlrev_b32_e32 v5, 23, v5
	v_lshrrev_b32_e32 v8, 4, v8
	v_add_u32_e32 v7, 0x1000000, v4
	v_sub_u32_e32 v5, v8, v5
	v_ashrrev_i32_e32 v7, 8, v7
	v_add_u32_e32 v5, 0x3c000000, v5
	v_and_or_b32 v5, v7, s10, v5
	v_cmp_ne_u32_e32 vcc, 0, v4
	s_brev_b32 s10, 1
	s_nop 0
	v_cndmask_b32_e32 v4, 0, v5, vcc
	v_and_or_b32 v1, v1, s10, v4
	v_cvt_i32_f32_e32 v4, v1
.LBB22_1190:
	s_mov_b64 s[10:11], 0
.LBB22_1191:
	s_andn2_b64 vcc, exec, s[10:11]
	s_cbranch_vccnz .LBB22_1193
; %bb.1192:
	global_load_ubyte v1, v[2:3], off
	s_movk_i32 s10, 0x7f00
	s_brev_b32 s11, 16
	s_waitcnt vmcnt(0)
	v_lshlrev_b16_e32 v4, 8, v1
	v_lshlrev_b32_e32 v1, 25, v1
	v_lshrrev_b32_e32 v5, 4, v1
	v_and_or_b32 v7, v4, s10, 0.5
	v_or_b32_e32 v5, 0x70000000, v5
	v_add_f32_e32 v7, -0.5, v7
	v_mul_f32_e32 v5, 0x7800000, v5
	v_cmp_gt_u32_e32 vcc, s11, v1
	v_bfe_i32 v4, v4, 0, 16
	s_brev_b32 s10, 1
	v_cndmask_b32_e32 v1, v5, v7, vcc
	v_and_or_b32 v1, v4, s10, v1
	v_cvt_i32_f32_e32 v4, v1
.LBB22_1193:
	s_mov_b64 s[10:11], 0
	s_mov_b64 s[16:17], -1
.LBB22_1194:
	s_andn2_b64 vcc, exec, s[10:11]
	s_mov_b64 s[10:11], 0
	s_cbranch_vccnz .LBB22_1205
; %bb.1195:
	s_cmp_gt_i32 s20, 14
	s_cbranch_scc0 .LBB22_1198
; %bb.1196:
	s_cmp_eq_u32 s20, 15
	s_cbranch_scc0 .LBB22_1201
; %bb.1197:
	global_load_ushort v1, v[2:3], off
	s_mov_b64 s[0:1], 0
	s_mov_b64 s[16:17], -1
	s_waitcnt vmcnt(0)
	v_lshlrev_b32_e32 v1, 16, v1
	v_cvt_i32_f32_e32 v4, v1
	s_branch .LBB22_1202
.LBB22_1198:
	s_mov_b64 s[18:19], -1
                                        ; implicit-def: $vgpr4
	s_branch .LBB22_1203
.LBB22_1199:
	s_andn2_saveexec_b64 s[10:11], s[10:11]
	s_cbranch_execz .LBB22_1180
.LBB22_1200:
	v_cmp_ne_u16_e32 vcc, 0, v1
	s_andn2_b64 s[16:17], s[16:17], exec
	s_and_b64 s[18:19], vcc, exec
	s_or_b64 s[16:17], s[16:17], s[18:19]
	s_or_b64 exec, exec, s[10:11]
	v_mov_b32_e32 v4, 0
	s_and_saveexec_b64 s[10:11], s[16:17]
	s_cbranch_execnz .LBB22_1181
	s_branch .LBB22_1182
.LBB22_1201:
	s_mov_b64 s[0:1], -1
                                        ; implicit-def: $vgpr4
.LBB22_1202:
	s_mov_b64 s[18:19], 0
.LBB22_1203:
	s_and_b64 vcc, exec, s[18:19]
	s_cbranch_vccz .LBB22_1205
; %bb.1204:
	s_cmp_lg_u32 s20, 11
	s_mov_b64 s[10:11], -1
	s_cselect_b64 s[0:1], -1, 0
.LBB22_1205:
	s_and_b64 vcc, exec, s[0:1]
	s_cbranch_vccnz .LBB22_1278
; %bb.1206:
	s_andn2_b64 vcc, exec, s[10:11]
	s_cbranch_vccnz .LBB22_1208
.LBB22_1207:
	global_load_ubyte v1, v[2:3], off
	s_mov_b64 s[16:17], -1
	s_waitcnt vmcnt(0)
	v_cmp_ne_u16_e32 vcc, 0, v1
	s_nop 1
	v_cndmask_b32_e64 v4, 0, 1, vcc
.LBB22_1208:
	s_branch .LBB22_1139
.LBB22_1209:
	s_cmp_lt_i32 s20, 5
	s_cbranch_scc1 .LBB22_1214
; %bb.1210:
	s_cmp_lt_i32 s20, 8
	s_cbranch_scc1 .LBB22_1215
; %bb.1211:
	;; [unrolled: 3-line block ×3, first 2 shown]
	s_cmp_gt_i32 s20, 9
	s_cbranch_scc0 .LBB22_1217
; %bb.1213:
	global_load_dwordx2 v[4:5], v[2:3], off
	s_mov_b64 s[0:1], 0
	s_waitcnt vmcnt(0)
	v_cvt_i32_f64_e32 v4, v[4:5]
	s_branch .LBB22_1218
.LBB22_1214:
                                        ; implicit-def: $vgpr4
	s_branch .LBB22_1236
.LBB22_1215:
	s_mov_b64 s[0:1], -1
                                        ; implicit-def: $vgpr4
	s_branch .LBB22_1224
.LBB22_1216:
	s_mov_b64 s[0:1], -1
                                        ; implicit-def: $vgpr4
	s_branch .LBB22_1221
.LBB22_1217:
	s_mov_b64 s[0:1], -1
                                        ; implicit-def: $vgpr4
.LBB22_1218:
	s_andn2_b64 vcc, exec, s[0:1]
	s_cbranch_vccnz .LBB22_1220
; %bb.1219:
	global_load_dword v1, v[2:3], off
	s_waitcnt vmcnt(0)
	v_cvt_i32_f32_e32 v4, v1
.LBB22_1220:
	s_mov_b64 s[0:1], 0
.LBB22_1221:
	s_andn2_b64 vcc, exec, s[0:1]
	s_cbranch_vccnz .LBB22_1223
; %bb.1222:
	global_load_dword v1, v[2:3], off
	s_waitcnt vmcnt(0)
	v_cvt_i16_f16_e32 v4, v1
.LBB22_1223:
	s_mov_b64 s[0:1], 0
.LBB22_1224:
	s_andn2_b64 vcc, exec, s[0:1]
	s_cbranch_vccnz .LBB22_1235
; %bb.1225:
	s_cmp_lt_i32 s20, 6
	s_cbranch_scc1 .LBB22_1228
; %bb.1226:
	s_cmp_gt_i32 s20, 6
	s_cbranch_scc0 .LBB22_1229
; %bb.1227:
	global_load_dwordx2 v[4:5], v[2:3], off
	s_mov_b64 s[0:1], 0
	s_waitcnt vmcnt(0)
	v_cvt_i32_f64_e32 v4, v[4:5]
	s_branch .LBB22_1230
.LBB22_1228:
	s_mov_b64 s[0:1], -1
                                        ; implicit-def: $vgpr4
	s_branch .LBB22_1233
.LBB22_1229:
	s_mov_b64 s[0:1], -1
                                        ; implicit-def: $vgpr4
.LBB22_1230:
	s_andn2_b64 vcc, exec, s[0:1]
	s_cbranch_vccnz .LBB22_1232
; %bb.1231:
	global_load_dword v1, v[2:3], off
	s_waitcnt vmcnt(0)
	v_cvt_i32_f32_e32 v4, v1
.LBB22_1232:
	s_mov_b64 s[0:1], 0
.LBB22_1233:
	s_andn2_b64 vcc, exec, s[0:1]
	s_cbranch_vccnz .LBB22_1235
; %bb.1234:
	global_load_ushort v1, v[2:3], off
	s_waitcnt vmcnt(0)
	v_cvt_i16_f16_e32 v4, v1
.LBB22_1235:
	s_cbranch_execnz .LBB22_1255
.LBB22_1236:
	s_cmp_lt_i32 s20, 2
	s_cbranch_scc1 .LBB22_1240
; %bb.1237:
	s_cmp_lt_i32 s20, 3
	s_cbranch_scc1 .LBB22_1241
; %bb.1238:
	s_cmp_gt_i32 s20, 3
	s_cbranch_scc0 .LBB22_1242
; %bb.1239:
	global_load_dwordx2 v[4:5], v[2:3], off
	s_mov_b64 s[0:1], 0
	s_branch .LBB22_1243
.LBB22_1240:
	s_mov_b64 s[0:1], -1
                                        ; implicit-def: $vgpr4
	s_branch .LBB22_1249
.LBB22_1241:
	s_mov_b64 s[0:1], -1
                                        ; implicit-def: $vgpr4
	s_branch .LBB22_1246
.LBB22_1242:
	s_mov_b64 s[0:1], -1
                                        ; implicit-def: $vgpr4
.LBB22_1243:
	s_andn2_b64 vcc, exec, s[0:1]
	s_cbranch_vccnz .LBB22_1245
; %bb.1244:
	global_load_dword v4, v[2:3], off
.LBB22_1245:
	s_mov_b64 s[0:1], 0
.LBB22_1246:
	s_andn2_b64 vcc, exec, s[0:1]
	s_cbranch_vccnz .LBB22_1248
; %bb.1247:
	global_load_ushort v4, v[2:3], off
.LBB22_1248:
	s_mov_b64 s[0:1], 0
.LBB22_1249:
	s_andn2_b64 vcc, exec, s[0:1]
	s_cbranch_vccnz .LBB22_1255
; %bb.1250:
	s_cmp_gt_i32 s20, 0
	s_cbranch_scc0 .LBB22_1252
; %bb.1251:
	global_load_ubyte v4, v[2:3], off
	s_mov_b64 s[0:1], 0
	s_branch .LBB22_1253
.LBB22_1252:
	s_mov_b64 s[0:1], -1
                                        ; implicit-def: $vgpr4
.LBB22_1253:
	s_andn2_b64 vcc, exec, s[0:1]
	s_cbranch_vccnz .LBB22_1255
; %bb.1254:
	global_load_ubyte v4, v[2:3], off
.LBB22_1255:
.LBB22_1256:
	v_add_u32_e32 v0, s9, v0
	v_ashrrev_i32_e32 v1, 31, v0
	s_cmp_lt_i32 s20, 11
	v_lshl_add_u64 v[8:9], s[6:7], 0, v[0:1]
	s_cbranch_scc1 .LBB22_1263
; %bb.1257:
	s_cmp_gt_i32 s20, 25
	s_mov_b64 s[10:11], 0
	s_cbranch_scc0 .LBB22_1272
; %bb.1258:
	s_cmp_gt_i32 s20, 28
	s_cbranch_scc0 .LBB22_1274
; %bb.1259:
	s_cmp_gt_i32 s20, 43
	;; [unrolled: 3-line block ×3, first 2 shown]
	s_cbranch_scc0 .LBB22_1279
; %bb.1261:
	s_cmp_eq_u32 s20, 46
	s_mov_b64 s[18:19], 0
	s_cbranch_scc0 .LBB22_1281
; %bb.1262:
	global_load_dword v1, v[8:9], off
	s_mov_b64 s[0:1], 0
	s_mov_b64 s[16:17], -1
	s_waitcnt vmcnt(0)
	v_lshlrev_b32_e32 v1, 16, v1
	v_cvt_i32_f32_e32 v2, v1
	s_branch .LBB22_1282
.LBB22_1263:
	s_mov_b64 s[16:17], 0
                                        ; implicit-def: $vgpr2
	s_cbranch_execnz .LBB22_1345
.LBB22_1264:
	s_andn2_b64 vcc, exec, s[16:17]
	s_cbranch_vccnz .LBB22_1393
.LBB22_1265:
	v_add_u32_e32 v0, s9, v0
	v_ashrrev_i32_e32 v1, 31, v0
	s_cmp_lt_i32 s20, 11
	v_lshl_add_u64 v[8:9], s[6:7], 0, v[0:1]
	s_cbranch_scc1 .LBB22_1273
; %bb.1266:
	s_cmp_gt_i32 s20, 25
	s_mov_b64 s[6:7], 0
	s_cbranch_scc0 .LBB22_1275
; %bb.1267:
	s_cmp_gt_i32 s20, 28
	s_cbranch_scc0 .LBB22_1277
; %bb.1268:
	s_cmp_gt_i32 s20, 43
	;; [unrolled: 3-line block ×3, first 2 shown]
	s_cbranch_scc0 .LBB22_1285
; %bb.1270:
	s_cmp_eq_u32 s20, 46
	s_mov_b64 s[16:17], 0
	s_cbranch_scc0 .LBB22_1440
; %bb.1271:
	global_load_dword v0, v[8:9], off
	s_mov_b64 s[0:1], 0
	s_mov_b64 s[10:11], -1
	s_waitcnt vmcnt(0)
	v_lshlrev_b32_e32 v0, 16, v0
	v_cvt_i32_f32_e32 v0, v0
	s_branch .LBB22_1441
.LBB22_1272:
	s_mov_b64 s[18:19], -1
	s_mov_b64 s[16:17], 0
	s_mov_b64 s[0:1], 0
                                        ; implicit-def: $vgpr2
	s_branch .LBB22_1310
.LBB22_1273:
	s_mov_b64 s[0:1], -1
	s_mov_b64 s[10:11], 0
                                        ; implicit-def: $vgpr0
	s_branch .LBB22_1503
.LBB22_1274:
	s_mov_b64 s[18:19], -1
	s_mov_b64 s[16:17], 0
	s_mov_b64 s[0:1], 0
                                        ; implicit-def: $vgpr2
	s_branch .LBB22_1293
.LBB22_1275:
	s_mov_b64 s[16:17], -1
	s_mov_b64 s[10:11], 0
	s_mov_b64 s[0:1], 0
                                        ; implicit-def: $vgpr0
	s_branch .LBB22_1468
.LBB22_1276:
	s_mov_b64 s[18:19], -1
	s_mov_b64 s[16:17], 0
	s_mov_b64 s[0:1], 0
                                        ; implicit-def: $vgpr2
	s_branch .LBB22_1288
.LBB22_1277:
	s_mov_b64 s[16:17], -1
	s_mov_b64 s[10:11], 0
	s_mov_b64 s[0:1], 0
                                        ; implicit-def: $vgpr0
	s_branch .LBB22_1451
.LBB22_1278:
	s_trap 2
	s_or_b64 s[14:15], s[14:15], exec
	s_cbranch_execz .LBB22_1207
	s_branch .LBB22_1208
.LBB22_1279:
	s_mov_b64 s[18:19], -1
	s_mov_b64 s[16:17], 0
	s_mov_b64 s[0:1], 0
                                        ; implicit-def: $vgpr2
	s_branch .LBB22_1282
.LBB22_1280:
	s_mov_b64 s[16:17], -1
	s_mov_b64 s[10:11], 0
	s_mov_b64 s[0:1], 0
                                        ; implicit-def: $vgpr0
	s_branch .LBB22_1446
.LBB22_1281:
	s_mov_b64 s[0:1], -1
                                        ; implicit-def: $vgpr2
	s_mov_b64 s[16:17], 0
.LBB22_1282:
	s_and_b64 vcc, exec, s[18:19]
	s_cbranch_vccz .LBB22_1287
; %bb.1283:
	s_cmp_eq_u32 s20, 44
	s_cbranch_scc0 .LBB22_1286
; %bb.1284:
	global_load_ubyte v1, v[8:9], off
	s_mov_b64 s[0:1], 0
	s_mov_b64 s[16:17], -1
	s_waitcnt vmcnt(0)
	v_lshlrev_b32_e32 v2, 23, v1
	v_cvt_i32_f32_e32 v2, v2
	v_cmp_ne_u32_e32 vcc, 0, v1
	s_nop 1
	v_cndmask_b32_e32 v2, 0, v2, vcc
	s_branch .LBB22_1287
.LBB22_1285:
	s_mov_b64 s[16:17], -1
	s_mov_b64 s[10:11], 0
	s_mov_b64 s[0:1], 0
                                        ; implicit-def: $vgpr0
	s_branch .LBB22_1441
.LBB22_1286:
	s_mov_b64 s[0:1], -1
                                        ; implicit-def: $vgpr2
.LBB22_1287:
	s_mov_b64 s[18:19], 0
.LBB22_1288:
	s_and_b64 vcc, exec, s[18:19]
	s_cbranch_vccz .LBB22_1292
; %bb.1289:
	s_cmp_eq_u32 s20, 29
	s_cbranch_scc0 .LBB22_1291
; %bb.1290:
	global_load_dwordx2 v[2:3], v[8:9], off
	s_mov_b64 s[0:1], 0
	s_mov_b64 s[16:17], -1
	s_branch .LBB22_1292
.LBB22_1291:
	s_mov_b64 s[0:1], -1
                                        ; implicit-def: $vgpr2
.LBB22_1292:
	s_mov_b64 s[18:19], 0
.LBB22_1293:
	s_and_b64 vcc, exec, s[18:19]
	s_cbranch_vccz .LBB22_1309
; %bb.1294:
	s_cmp_lt_i32 s20, 27
	s_cbranch_scc1 .LBB22_1297
; %bb.1295:
	s_cmp_gt_i32 s20, 27
	s_cbranch_scc0 .LBB22_1298
; %bb.1296:
	global_load_dword v2, v[8:9], off
	s_mov_b64 s[16:17], 0
	s_branch .LBB22_1299
.LBB22_1297:
	s_mov_b64 s[16:17], -1
                                        ; implicit-def: $vgpr2
	s_branch .LBB22_1302
.LBB22_1298:
	s_mov_b64 s[16:17], -1
                                        ; implicit-def: $vgpr2
.LBB22_1299:
	s_andn2_b64 vcc, exec, s[16:17]
	s_cbranch_vccnz .LBB22_1301
; %bb.1300:
	global_load_ushort v2, v[8:9], off
.LBB22_1301:
	s_mov_b64 s[16:17], 0
.LBB22_1302:
	s_andn2_b64 vcc, exec, s[16:17]
	s_cbranch_vccnz .LBB22_1308
; %bb.1303:
	global_load_ubyte v1, v[8:9], off
	s_movk_i32 s16, 0x7f
	s_mov_b64 s[18:19], 0
	s_waitcnt vmcnt(0)
	v_cmp_lt_i16_e32 vcc, s16, v1
	s_and_saveexec_b64 s[16:17], vcc
	s_xor_b64 s[16:17], exec, s[16:17]
	s_cbranch_execz .LBB22_1320
; %bb.1304:
	s_movk_i32 s18, 0x80
	v_cmp_ne_u16_e32 vcc, s18, v1
	s_and_b64 s[18:19], vcc, exec
	s_andn2_saveexec_b64 s[16:17], s[16:17]
	s_cbranch_execnz .LBB22_1321
.LBB22_1305:
	s_or_b64 exec, exec, s[16:17]
	v_mov_b32_e32 v2, 0
	s_and_saveexec_b64 s[16:17], s[18:19]
	s_cbranch_execz .LBB22_1307
.LBB22_1306:
	v_lshlrev_b32_e32 v2, 24, v1
	v_and_b32_e32 v1, 0xffff, v1
	v_and_b32_e32 v3, 7, v1
	v_ffbh_u32_e32 v7, v3
	v_min_u32_e32 v7, 32, v7
	v_subrev_u32_e32 v11, 28, v7
	v_bfe_u32 v5, v1, 3, 4
	v_lshlrev_b32_e32 v1, v11, v1
	v_sub_u32_e32 v7, 29, v7
	v_and_b32_e32 v1, 7, v1
	v_cmp_eq_u32_e32 vcc, 0, v5
	v_and_b32_e32 v2, 0x80000000, v2
	s_nop 0
	v_cndmask_b32_e32 v5, v5, v7, vcc
	v_cndmask_b32_e32 v1, v3, v1, vcc
	v_mov_b32_e32 v3, 0x3b800000
	v_lshlrev_b32_e32 v1, 20, v1
	v_lshl_add_u32 v3, v5, 23, v3
	v_or3_b32 v1, v2, v3, v1
	v_cvt_i32_f32_e32 v2, v1
.LBB22_1307:
	s_or_b64 exec, exec, s[16:17]
.LBB22_1308:
	s_mov_b64 s[16:17], -1
.LBB22_1309:
	s_mov_b64 s[18:19], 0
.LBB22_1310:
	s_and_b64 vcc, exec, s[18:19]
	s_cbranch_vccz .LBB22_1341
; %bb.1311:
	s_cmp_gt_i32 s20, 22
	s_cbranch_scc0 .LBB22_1319
; %bb.1312:
	s_cmp_lt_i32 s20, 24
	s_cbranch_scc1 .LBB22_1322
; %bb.1313:
	s_cmp_gt_i32 s20, 24
	s_cbranch_scc0 .LBB22_1323
; %bb.1314:
	global_load_ubyte v1, v[8:9], off
	s_movk_i32 s10, 0x7f
	s_mov_b64 s[16:17], 0
	s_waitcnt vmcnt(0)
	v_cmp_lt_i16_e32 vcc, s10, v1
	s_and_saveexec_b64 s[10:11], vcc
	s_xor_b64 s[10:11], exec, s[10:11]
	s_cbranch_execz .LBB22_1335
; %bb.1315:
	s_movk_i32 s16, 0x80
	v_cmp_ne_u16_e32 vcc, s16, v1
	s_and_b64 s[16:17], vcc, exec
	s_andn2_saveexec_b64 s[10:11], s[10:11]
	s_cbranch_execnz .LBB22_1336
.LBB22_1316:
	s_or_b64 exec, exec, s[10:11]
	v_mov_b32_e32 v2, 0
	s_and_saveexec_b64 s[10:11], s[16:17]
	s_cbranch_execz .LBB22_1318
.LBB22_1317:
	v_lshlrev_b32_e32 v2, 24, v1
	v_and_b32_e32 v1, 0xffff, v1
	v_and_b32_e32 v3, 3, v1
	v_ffbh_u32_e32 v7, v3
	v_min_u32_e32 v7, 32, v7
	v_subrev_u32_e32 v11, 29, v7
	v_bfe_u32 v5, v1, 2, 5
	v_lshlrev_b32_e32 v1, v11, v1
	v_sub_u32_e32 v7, 30, v7
	v_and_b32_e32 v1, 3, v1
	v_cmp_eq_u32_e32 vcc, 0, v5
	v_and_b32_e32 v2, 0x80000000, v2
	s_nop 0
	v_cndmask_b32_e32 v5, v5, v7, vcc
	v_cndmask_b32_e32 v1, v3, v1, vcc
	v_mov_b32_e32 v3, 0x37800000
	v_lshlrev_b32_e32 v1, 21, v1
	v_lshl_add_u32 v3, v5, 23, v3
	v_or3_b32 v1, v2, v3, v1
	v_cvt_i32_f32_e32 v2, v1
.LBB22_1318:
	s_or_b64 exec, exec, s[10:11]
	s_mov_b64 s[10:11], 0
	s_branch .LBB22_1324
.LBB22_1319:
	s_mov_b64 s[10:11], -1
                                        ; implicit-def: $vgpr2
	s_branch .LBB22_1330
.LBB22_1320:
	s_andn2_saveexec_b64 s[16:17], s[16:17]
	s_cbranch_execz .LBB22_1305
.LBB22_1321:
	v_cmp_ne_u16_e32 vcc, 0, v1
	s_andn2_b64 s[18:19], s[18:19], exec
	s_and_b64 s[22:23], vcc, exec
	s_or_b64 s[18:19], s[18:19], s[22:23]
	s_or_b64 exec, exec, s[16:17]
	v_mov_b32_e32 v2, 0
	s_and_saveexec_b64 s[16:17], s[18:19]
	s_cbranch_execnz .LBB22_1306
	s_branch .LBB22_1307
.LBB22_1322:
	s_mov_b64 s[10:11], -1
                                        ; implicit-def: $vgpr2
	s_branch .LBB22_1327
.LBB22_1323:
	s_mov_b64 s[10:11], -1
                                        ; implicit-def: $vgpr2
.LBB22_1324:
	s_and_b64 vcc, exec, s[10:11]
	s_cbranch_vccz .LBB22_1326
; %bb.1325:
	global_load_ubyte v1, v[8:9], off
	s_mov_b32 s10, 0x7f800000
	s_waitcnt vmcnt(0)
	v_lshlrev_b32_e32 v1, 24, v1
	v_and_b32_e32 v2, 0x7f000000, v1
	v_ffbh_u32_e32 v3, v2
	v_min_u32_e32 v3, 32, v3
	v_sub_u32_e64 v3, v3, 4 clamp
	v_lshlrev_b32_e32 v7, v3, v2
	v_lshlrev_b32_e32 v3, 23, v3
	v_lshrrev_b32_e32 v7, 4, v7
	v_add_u32_e32 v5, 0x1000000, v2
	v_sub_u32_e32 v3, v7, v3
	v_ashrrev_i32_e32 v5, 8, v5
	v_add_u32_e32 v3, 0x3c000000, v3
	v_and_or_b32 v3, v5, s10, v3
	v_cmp_ne_u32_e32 vcc, 0, v2
	s_brev_b32 s10, 1
	s_nop 0
	v_cndmask_b32_e32 v2, 0, v3, vcc
	v_and_or_b32 v1, v1, s10, v2
	v_cvt_i32_f32_e32 v2, v1
.LBB22_1326:
	s_mov_b64 s[10:11], 0
.LBB22_1327:
	s_andn2_b64 vcc, exec, s[10:11]
	s_cbranch_vccnz .LBB22_1329
; %bb.1328:
	global_load_ubyte v1, v[8:9], off
	s_movk_i32 s10, 0x7f00
	s_brev_b32 s11, 16
	s_waitcnt vmcnt(0)
	v_lshlrev_b16_e32 v2, 8, v1
	v_lshlrev_b32_e32 v1, 25, v1
	v_lshrrev_b32_e32 v3, 4, v1
	v_and_or_b32 v5, v2, s10, 0.5
	v_or_b32_e32 v3, 0x70000000, v3
	v_add_f32_e32 v5, -0.5, v5
	v_mul_f32_e32 v3, 0x7800000, v3
	v_cmp_gt_u32_e32 vcc, s11, v1
	v_bfe_i32 v2, v2, 0, 16
	s_brev_b32 s10, 1
	v_cndmask_b32_e32 v1, v3, v5, vcc
	v_and_or_b32 v1, v2, s10, v1
	v_cvt_i32_f32_e32 v2, v1
.LBB22_1329:
	s_mov_b64 s[10:11], 0
	s_mov_b64 s[16:17], -1
.LBB22_1330:
	s_andn2_b64 vcc, exec, s[10:11]
	s_mov_b64 s[10:11], 0
	s_cbranch_vccnz .LBB22_1341
; %bb.1331:
	s_cmp_gt_i32 s20, 14
	s_cbranch_scc0 .LBB22_1334
; %bb.1332:
	s_cmp_eq_u32 s20, 15
	s_cbranch_scc0 .LBB22_1337
; %bb.1333:
	global_load_ushort v1, v[8:9], off
	s_mov_b64 s[0:1], 0
	s_mov_b64 s[16:17], -1
	s_waitcnt vmcnt(0)
	v_lshlrev_b32_e32 v1, 16, v1
	v_cvt_i32_f32_e32 v2, v1
	s_branch .LBB22_1338
.LBB22_1334:
	s_mov_b64 s[18:19], -1
                                        ; implicit-def: $vgpr2
	s_branch .LBB22_1339
.LBB22_1335:
	s_andn2_saveexec_b64 s[10:11], s[10:11]
	s_cbranch_execz .LBB22_1316
.LBB22_1336:
	v_cmp_ne_u16_e32 vcc, 0, v1
	s_andn2_b64 s[16:17], s[16:17], exec
	s_and_b64 s[18:19], vcc, exec
	s_or_b64 s[16:17], s[16:17], s[18:19]
	s_or_b64 exec, exec, s[10:11]
	v_mov_b32_e32 v2, 0
	s_and_saveexec_b64 s[10:11], s[16:17]
	s_cbranch_execnz .LBB22_1317
	s_branch .LBB22_1318
.LBB22_1337:
	s_mov_b64 s[0:1], -1
                                        ; implicit-def: $vgpr2
.LBB22_1338:
	s_mov_b64 s[18:19], 0
.LBB22_1339:
	s_and_b64 vcc, exec, s[18:19]
	s_cbranch_vccz .LBB22_1341
; %bb.1340:
	s_cmp_lg_u32 s20, 11
	s_mov_b64 s[10:11], -1
	s_cselect_b64 s[0:1], -1, 0
.LBB22_1341:
	s_and_b64 vcc, exec, s[0:1]
	s_cbranch_vccnz .LBB22_1439
; %bb.1342:
	s_andn2_b64 vcc, exec, s[10:11]
	s_cbranch_vccnz .LBB22_1344
.LBB22_1343:
	global_load_ubyte v1, v[8:9], off
	s_mov_b64 s[16:17], -1
	s_waitcnt vmcnt(0)
	v_cmp_ne_u16_e32 vcc, 0, v1
	s_nop 1
	v_cndmask_b32_e64 v2, 0, 1, vcc
.LBB22_1344:
	s_branch .LBB22_1264
.LBB22_1345:
	s_cmp_lt_i32 s20, 5
	s_cbranch_scc1 .LBB22_1350
; %bb.1346:
	s_cmp_lt_i32 s20, 8
	s_cbranch_scc1 .LBB22_1351
; %bb.1347:
	;; [unrolled: 3-line block ×3, first 2 shown]
	s_cmp_gt_i32 s20, 9
	s_cbranch_scc0 .LBB22_1353
; %bb.1349:
	global_load_dwordx2 v[2:3], v[8:9], off
	s_mov_b64 s[0:1], 0
	s_waitcnt vmcnt(0)
	v_cvt_i32_f64_e32 v2, v[2:3]
	s_branch .LBB22_1354
.LBB22_1350:
	s_mov_b64 s[0:1], -1
                                        ; implicit-def: $vgpr2
	s_branch .LBB22_1372
.LBB22_1351:
	s_mov_b64 s[0:1], -1
                                        ; implicit-def: $vgpr2
	s_branch .LBB22_1360
.LBB22_1352:
	s_mov_b64 s[0:1], -1
                                        ; implicit-def: $vgpr2
	s_branch .LBB22_1357
.LBB22_1353:
	s_mov_b64 s[0:1], -1
                                        ; implicit-def: $vgpr2
.LBB22_1354:
	s_andn2_b64 vcc, exec, s[0:1]
	s_cbranch_vccnz .LBB22_1356
; %bb.1355:
	global_load_dword v1, v[8:9], off
	s_waitcnt vmcnt(0)
	v_cvt_i32_f32_e32 v2, v1
.LBB22_1356:
	s_mov_b64 s[0:1], 0
.LBB22_1357:
	s_andn2_b64 vcc, exec, s[0:1]
	s_cbranch_vccnz .LBB22_1359
; %bb.1358:
	global_load_dword v1, v[8:9], off
	s_waitcnt vmcnt(0)
	v_cvt_i16_f16_e32 v2, v1
.LBB22_1359:
	s_mov_b64 s[0:1], 0
.LBB22_1360:
	s_andn2_b64 vcc, exec, s[0:1]
	s_cbranch_vccnz .LBB22_1371
; %bb.1361:
	s_cmp_lt_i32 s20, 6
	s_cbranch_scc1 .LBB22_1364
; %bb.1362:
	s_cmp_gt_i32 s20, 6
	s_cbranch_scc0 .LBB22_1365
; %bb.1363:
	global_load_dwordx2 v[2:3], v[8:9], off
	s_mov_b64 s[0:1], 0
	s_waitcnt vmcnt(0)
	v_cvt_i32_f64_e32 v2, v[2:3]
	s_branch .LBB22_1366
.LBB22_1364:
	s_mov_b64 s[0:1], -1
                                        ; implicit-def: $vgpr2
	s_branch .LBB22_1369
.LBB22_1365:
	s_mov_b64 s[0:1], -1
                                        ; implicit-def: $vgpr2
.LBB22_1366:
	s_andn2_b64 vcc, exec, s[0:1]
	s_cbranch_vccnz .LBB22_1368
; %bb.1367:
	global_load_dword v1, v[8:9], off
	s_waitcnt vmcnt(0)
	v_cvt_i32_f32_e32 v2, v1
.LBB22_1368:
	s_mov_b64 s[0:1], 0
.LBB22_1369:
	s_andn2_b64 vcc, exec, s[0:1]
	s_cbranch_vccnz .LBB22_1371
; %bb.1370:
	global_load_ushort v1, v[8:9], off
	s_waitcnt vmcnt(0)
	v_cvt_i16_f16_e32 v2, v1
.LBB22_1371:
	s_mov_b64 s[0:1], 0
.LBB22_1372:
	s_andn2_b64 vcc, exec, s[0:1]
	s_cbranch_vccnz .LBB22_1392
; %bb.1373:
	s_cmp_lt_i32 s20, 2
	s_cbranch_scc1 .LBB22_1377
; %bb.1374:
	s_cmp_lt_i32 s20, 3
	s_cbranch_scc1 .LBB22_1378
; %bb.1375:
	s_cmp_gt_i32 s20, 3
	s_cbranch_scc0 .LBB22_1379
; %bb.1376:
	global_load_dwordx2 v[2:3], v[8:9], off
	s_mov_b64 s[0:1], 0
	s_branch .LBB22_1380
.LBB22_1377:
	s_mov_b64 s[0:1], -1
                                        ; implicit-def: $vgpr2
	s_branch .LBB22_1386
.LBB22_1378:
	s_mov_b64 s[0:1], -1
                                        ; implicit-def: $vgpr2
	s_branch .LBB22_1383
.LBB22_1379:
	s_mov_b64 s[0:1], -1
                                        ; implicit-def: $vgpr2
.LBB22_1380:
	s_andn2_b64 vcc, exec, s[0:1]
	s_cbranch_vccnz .LBB22_1382
; %bb.1381:
	global_load_dword v2, v[8:9], off
.LBB22_1382:
	s_mov_b64 s[0:1], 0
.LBB22_1383:
	s_andn2_b64 vcc, exec, s[0:1]
	s_cbranch_vccnz .LBB22_1385
; %bb.1384:
	global_load_ushort v2, v[8:9], off
.LBB22_1385:
	s_mov_b64 s[0:1], 0
.LBB22_1386:
	s_andn2_b64 vcc, exec, s[0:1]
	s_cbranch_vccnz .LBB22_1392
; %bb.1387:
	s_cmp_gt_i32 s20, 0
	s_cbranch_scc0 .LBB22_1389
; %bb.1388:
	global_load_ubyte v2, v[8:9], off
	s_mov_b64 s[0:1], 0
	s_branch .LBB22_1390
.LBB22_1389:
	s_mov_b64 s[0:1], -1
                                        ; implicit-def: $vgpr2
.LBB22_1390:
	s_andn2_b64 vcc, exec, s[0:1]
	s_cbranch_vccnz .LBB22_1392
; %bb.1391:
	global_load_ubyte v2, v[8:9], off
.LBB22_1392:
	s_branch .LBB22_1265
.LBB22_1393:
	s_mov_b64 s[0:1], 0
                                        ; implicit-def: $sgpr20
                                        ; implicit-def: $vgpr2_vgpr3
                                        ; implicit-def: $vgpr1
                                        ; implicit-def: $vgpr0
.LBB22_1394:
	s_mov_b64 s[4:5], 0
.LBB22_1395:
	s_and_b64 s[10:11], s[4:5], exec
	s_andn2_b64 s[4:5], s[12:13], exec
	s_and_b64 s[6:7], s[14:15], exec
	s_and_b64 s[0:1], s[0:1], exec
	s_or_b64 s[12:13], s[4:5], s[6:7]
.LBB22_1396:
	s_or_b64 exec, exec, s[2:3]
	s_and_saveexec_b64 s[2:3], s[12:13]
	s_cbranch_execz .LBB22_1399
; %bb.1397:
	; divergent unreachable
	s_or_b64 exec, exec, s[2:3]
	s_and_saveexec_b64 s[2:3], s[10:11]
	s_xor_b64 s[2:3], exec, s[2:3]
	s_cbranch_execnz .LBB22_1400
.LBB22_1398:
	s_or_b64 exec, exec, s[2:3]
	s_and_saveexec_b64 s[2:3], s[0:1]
	s_cbranch_execnz .LBB22_1401
	s_branch .LBB22_1438
.LBB22_1399:
	s_or_b64 exec, exec, s[2:3]
	s_and_saveexec_b64 s[2:3], s[10:11]
	s_xor_b64 s[2:3], exec, s[2:3]
	s_cbranch_execz .LBB22_1398
.LBB22_1400:
	s_movk_i32 s4, 0xff
	s_waitcnt vmcnt(0)
	v_cmp_ne_u16_sdwa s[4:5], v0, s4 src0_sel:BYTE_0 src1_sel:DWORD
	s_nop 1
	v_cndmask_b32_e64 v0, 0, 1, s[4:5]
	global_store_byte v[2:3], v0, off
	s_or_b64 exec, exec, s[2:3]
	s_and_saveexec_b64 s[2:3], s[0:1]
	s_cbranch_execz .LBB22_1438
.LBB22_1401:
	s_sext_i32_i16 s2, s20
	s_cmp_lt_i32 s2, 5
	s_mov_b64 s[0:1], -1
	s_cbranch_scc1 .LBB22_1422
; %bb.1402:
	s_cmp_lt_i32 s2, 8
	s_cbranch_scc1 .LBB22_1412
; %bb.1403:
	s_cmp_lt_i32 s2, 9
	s_cbranch_scc1 .LBB22_1409
; %bb.1404:
	s_cmp_gt_i32 s2, 9
	s_cbranch_scc0 .LBB22_1406
; %bb.1405:
	s_waitcnt vmcnt(0)
	v_bfe_i32 v0, v1, 0, 8
	v_bfe_i32 v0, v0, 0, 16
	v_mov_b32_e32 v6, 0
	v_cvt_f64_i32_e32 v[4:5], v0
	v_mov_b32_e32 v7, v6
	global_store_dwordx4 v[2:3], v[4:7], off
	s_mov_b64 s[0:1], 0
.LBB22_1406:
	s_andn2_b64 vcc, exec, s[0:1]
	s_cbranch_vccnz .LBB22_1408
; %bb.1407:
	s_waitcnt vmcnt(0)
	v_bfe_i32 v0, v1, 0, 8
	v_cvt_f32_i32_sdwa v4, sext(v0) dst_sel:DWORD dst_unused:UNUSED_PAD src0_sel:WORD_0
	v_mov_b32_e32 v5, 0
	global_store_dwordx2 v[2:3], v[4:5], off
.LBB22_1408:
	s_mov_b64 s[0:1], 0
.LBB22_1409:
	s_andn2_b64 vcc, exec, s[0:1]
	s_cbranch_vccnz .LBB22_1411
; %bb.1410:
	s_waitcnt vmcnt(0)
	v_cvt_f16_i16_sdwa v0, sext(v1) dst_sel:DWORD dst_unused:UNUSED_PAD src0_sel:BYTE_0
	global_store_dword v[2:3], v0, off
.LBB22_1411:
	s_mov_b64 s[0:1], 0
.LBB22_1412:
	s_andn2_b64 vcc, exec, s[0:1]
	s_cbranch_vccnz .LBB22_1421
; %bb.1413:
	s_sext_i32_i16 s2, s20
	s_cmp_lt_i32 s2, 6
	s_mov_b64 s[0:1], -1
	s_cbranch_scc1 .LBB22_1419
; %bb.1414:
	s_cmp_gt_i32 s2, 6
	s_cbranch_scc0 .LBB22_1416
; %bb.1415:
	s_waitcnt vmcnt(0)
	v_bfe_i32 v0, v1, 0, 8
	v_bfe_i32 v0, v0, 0, 16
	v_cvt_f64_i32_e32 v[4:5], v0
	global_store_dwordx2 v[2:3], v[4:5], off
	s_mov_b64 s[0:1], 0
.LBB22_1416:
	s_andn2_b64 vcc, exec, s[0:1]
	s_cbranch_vccnz .LBB22_1418
; %bb.1417:
	s_waitcnt vmcnt(0)
	v_bfe_i32 v0, v1, 0, 8
	v_cvt_f32_i32_sdwa v0, sext(v0) dst_sel:DWORD dst_unused:UNUSED_PAD src0_sel:WORD_0
	global_store_dword v[2:3], v0, off
.LBB22_1418:
	s_mov_b64 s[0:1], 0
.LBB22_1419:
	s_andn2_b64 vcc, exec, s[0:1]
	s_cbranch_vccnz .LBB22_1421
; %bb.1420:
	s_waitcnt vmcnt(0)
	v_cvt_f16_i16_sdwa v0, sext(v1) dst_sel:DWORD dst_unused:UNUSED_PAD src0_sel:BYTE_0
	global_store_short v[2:3], v0, off
.LBB22_1421:
	s_mov_b64 s[0:1], 0
.LBB22_1422:
	s_andn2_b64 vcc, exec, s[0:1]
	s_cbranch_vccnz .LBB22_1438
; %bb.1423:
	s_sext_i32_i16 s2, s20
	s_cmp_lt_i32 s2, 2
	s_mov_b64 s[0:1], -1
	s_cbranch_scc1 .LBB22_1433
; %bb.1424:
	s_cmp_lt_i32 s2, 3
	s_cbranch_scc1 .LBB22_1430
; %bb.1425:
	s_cmp_gt_i32 s2, 3
	s_cbranch_scc0 .LBB22_1427
; %bb.1426:
	s_waitcnt vmcnt(0)
	v_bfe_i32 v4, v1, 0, 8
	v_ashrrev_i32_e32 v5, 31, v4
	global_store_dwordx2 v[2:3], v[4:5], off
	s_mov_b64 s[0:1], 0
.LBB22_1427:
	s_andn2_b64 vcc, exec, s[0:1]
	s_cbranch_vccnz .LBB22_1429
; %bb.1428:
	s_waitcnt vmcnt(0)
	v_bfe_i32 v0, v1, 0, 8
	global_store_dword v[2:3], v0, off
.LBB22_1429:
	s_mov_b64 s[0:1], 0
.LBB22_1430:
	s_andn2_b64 vcc, exec, s[0:1]
	s_cbranch_vccnz .LBB22_1432
; %bb.1431:
	s_waitcnt vmcnt(0)
	v_bfe_i32 v0, v1, 0, 8
	global_store_short v[2:3], v0, off
.LBB22_1432:
	s_mov_b64 s[0:1], 0
.LBB22_1433:
	s_andn2_b64 vcc, exec, s[0:1]
	s_cbranch_vccnz .LBB22_1438
; %bb.1434:
	s_sext_i32_i16 s0, s20
	s_cmp_gt_i32 s0, 0
	s_mov_b64 s[0:1], -1
	s_cbranch_scc0 .LBB22_1436
; %bb.1435:
	s_waitcnt vmcnt(0)
	global_store_byte v[2:3], v1, off
	s_mov_b64 s[0:1], 0
.LBB22_1436:
	s_andn2_b64 vcc, exec, s[0:1]
	s_cbranch_vccnz .LBB22_1438
; %bb.1437:
	s_waitcnt vmcnt(0)
	global_store_byte v[2:3], v1, off
	s_endpgm
.LBB22_1438:
	s_endpgm
.LBB22_1439:
	s_trap 2
	s_or_b64 s[14:15], s[14:15], exec
	s_cbranch_execz .LBB22_1343
	s_branch .LBB22_1344
.LBB22_1440:
	s_mov_b64 s[0:1], -1
                                        ; implicit-def: $vgpr0
	s_mov_b64 s[10:11], 0
.LBB22_1441:
	s_and_b64 vcc, exec, s[16:17]
	s_cbranch_vccz .LBB22_1445
; %bb.1442:
	s_cmp_eq_u32 s20, 44
	s_cbranch_scc0 .LBB22_1444
; %bb.1443:
	global_load_ubyte v0, v[8:9], off
	s_mov_b64 s[0:1], 0
	s_mov_b64 s[10:11], -1
	s_waitcnt vmcnt(0)
	v_lshlrev_b32_e32 v1, 23, v0
	v_cvt_i32_f32_e32 v1, v1
	v_cmp_ne_u32_e32 vcc, 0, v0
	s_nop 1
	v_cndmask_b32_e32 v0, 0, v1, vcc
	s_branch .LBB22_1445
.LBB22_1444:
	s_mov_b64 s[0:1], -1
                                        ; implicit-def: $vgpr0
.LBB22_1445:
	s_mov_b64 s[16:17], 0
.LBB22_1446:
	s_and_b64 vcc, exec, s[16:17]
	s_cbranch_vccz .LBB22_1450
; %bb.1447:
	s_cmp_eq_u32 s20, 29
	s_cbranch_scc0 .LBB22_1449
; %bb.1448:
	global_load_dwordx2 v[0:1], v[8:9], off
	s_mov_b64 s[0:1], 0
	s_mov_b64 s[10:11], -1
	s_branch .LBB22_1450
.LBB22_1449:
	s_mov_b64 s[0:1], -1
                                        ; implicit-def: $vgpr0
.LBB22_1450:
	s_mov_b64 s[16:17], 0
.LBB22_1451:
	s_and_b64 vcc, exec, s[16:17]
	s_cbranch_vccz .LBB22_1467
; %bb.1452:
	s_cmp_lt_i32 s20, 27
	s_cbranch_scc1 .LBB22_1455
; %bb.1453:
	s_cmp_gt_i32 s20, 27
	s_cbranch_scc0 .LBB22_1456
; %bb.1454:
	global_load_dword v0, v[8:9], off
	s_mov_b64 s[10:11], 0
	s_branch .LBB22_1457
.LBB22_1455:
	s_mov_b64 s[10:11], -1
                                        ; implicit-def: $vgpr0
	s_branch .LBB22_1460
.LBB22_1456:
	s_mov_b64 s[10:11], -1
                                        ; implicit-def: $vgpr0
.LBB22_1457:
	s_andn2_b64 vcc, exec, s[10:11]
	s_cbranch_vccnz .LBB22_1459
; %bb.1458:
	global_load_ushort v0, v[8:9], off
.LBB22_1459:
	s_mov_b64 s[10:11], 0
.LBB22_1460:
	s_andn2_b64 vcc, exec, s[10:11]
	s_cbranch_vccnz .LBB22_1466
; %bb.1461:
	global_load_ubyte v1, v[8:9], off
	s_movk_i32 s9, 0x7f
	s_mov_b64 s[16:17], 0
	s_waitcnt vmcnt(0)
	v_cmp_lt_i16_e32 vcc, s9, v1
	s_and_saveexec_b64 s[10:11], vcc
	s_xor_b64 s[10:11], exec, s[10:11]
	s_cbranch_execz .LBB22_1478
; %bb.1462:
	s_movk_i32 s9, 0x80
	v_cmp_ne_u16_e32 vcc, s9, v1
	s_and_b64 s[16:17], vcc, exec
	s_andn2_saveexec_b64 s[10:11], s[10:11]
	s_cbranch_execnz .LBB22_1479
.LBB22_1463:
	s_or_b64 exec, exec, s[10:11]
	v_mov_b32_e32 v0, 0
	s_and_saveexec_b64 s[10:11], s[16:17]
	s_cbranch_execz .LBB22_1465
.LBB22_1464:
	v_lshlrev_b32_e32 v0, 24, v1
	v_and_b32_e32 v1, 0xffff, v1
	v_and_b32_e32 v3, 7, v1
	v_ffbh_u32_e32 v7, v3
	v_min_u32_e32 v7, 32, v7
	v_subrev_u32_e32 v11, 28, v7
	v_bfe_u32 v5, v1, 3, 4
	v_lshlrev_b32_e32 v1, v11, v1
	v_sub_u32_e32 v7, 29, v7
	v_and_b32_e32 v1, 7, v1
	v_cmp_eq_u32_e32 vcc, 0, v5
	v_and_b32_e32 v0, 0x80000000, v0
	s_nop 0
	v_cndmask_b32_e32 v5, v5, v7, vcc
	v_cndmask_b32_e32 v1, v3, v1, vcc
	v_mov_b32_e32 v3, 0x3b800000
	v_lshlrev_b32_e32 v1, 20, v1
	v_lshl_add_u32 v3, v5, 23, v3
	v_or3_b32 v0, v0, v3, v1
	v_cvt_i32_f32_e32 v0, v0
.LBB22_1465:
	s_or_b64 exec, exec, s[10:11]
.LBB22_1466:
	s_mov_b64 s[10:11], -1
.LBB22_1467:
	s_mov_b64 s[16:17], 0
.LBB22_1468:
	s_and_b64 vcc, exec, s[16:17]
	s_cbranch_vccz .LBB22_1499
; %bb.1469:
	s_cmp_gt_i32 s20, 22
	s_cbranch_scc0 .LBB22_1477
; %bb.1470:
	s_cmp_lt_i32 s20, 24
	s_cbranch_scc1 .LBB22_1480
; %bb.1471:
	s_cmp_gt_i32 s20, 24
	s_cbranch_scc0 .LBB22_1481
; %bb.1472:
	global_load_ubyte v1, v[8:9], off
	s_movk_i32 s6, 0x7f
	s_mov_b64 s[10:11], 0
	s_waitcnt vmcnt(0)
	v_cmp_lt_i16_e32 vcc, s6, v1
	s_and_saveexec_b64 s[6:7], vcc
	s_xor_b64 s[6:7], exec, s[6:7]
	s_cbranch_execz .LBB22_1493
; %bb.1473:
	s_movk_i32 s9, 0x80
	v_cmp_ne_u16_e32 vcc, s9, v1
	s_and_b64 s[10:11], vcc, exec
	s_andn2_saveexec_b64 s[6:7], s[6:7]
	s_cbranch_execnz .LBB22_1494
.LBB22_1474:
	s_or_b64 exec, exec, s[6:7]
	v_mov_b32_e32 v0, 0
	s_and_saveexec_b64 s[6:7], s[10:11]
	s_cbranch_execz .LBB22_1476
.LBB22_1475:
	v_lshlrev_b32_e32 v0, 24, v1
	v_and_b32_e32 v1, 0xffff, v1
	v_and_b32_e32 v3, 3, v1
	v_ffbh_u32_e32 v7, v3
	v_min_u32_e32 v7, 32, v7
	v_subrev_u32_e32 v11, 29, v7
	v_bfe_u32 v5, v1, 2, 5
	v_lshlrev_b32_e32 v1, v11, v1
	v_sub_u32_e32 v7, 30, v7
	v_and_b32_e32 v1, 3, v1
	v_cmp_eq_u32_e32 vcc, 0, v5
	v_and_b32_e32 v0, 0x80000000, v0
	s_nop 0
	v_cndmask_b32_e32 v5, v5, v7, vcc
	v_cndmask_b32_e32 v1, v3, v1, vcc
	v_mov_b32_e32 v3, 0x37800000
	v_lshlrev_b32_e32 v1, 21, v1
	v_lshl_add_u32 v3, v5, 23, v3
	v_or3_b32 v0, v0, v3, v1
	v_cvt_i32_f32_e32 v0, v0
.LBB22_1476:
	s_or_b64 exec, exec, s[6:7]
	s_mov_b64 s[6:7], 0
	s_branch .LBB22_1482
.LBB22_1477:
	s_mov_b64 s[6:7], -1
                                        ; implicit-def: $vgpr0
	s_branch .LBB22_1488
.LBB22_1478:
	s_andn2_saveexec_b64 s[10:11], s[10:11]
	s_cbranch_execz .LBB22_1463
.LBB22_1479:
	v_cmp_ne_u16_e32 vcc, 0, v1
	s_andn2_b64 s[16:17], s[16:17], exec
	s_and_b64 s[18:19], vcc, exec
	s_or_b64 s[16:17], s[16:17], s[18:19]
	s_or_b64 exec, exec, s[10:11]
	v_mov_b32_e32 v0, 0
	s_and_saveexec_b64 s[10:11], s[16:17]
	s_cbranch_execnz .LBB22_1464
	s_branch .LBB22_1465
.LBB22_1480:
	s_mov_b64 s[6:7], -1
                                        ; implicit-def: $vgpr0
	s_branch .LBB22_1485
.LBB22_1481:
	s_mov_b64 s[6:7], -1
                                        ; implicit-def: $vgpr0
.LBB22_1482:
	s_and_b64 vcc, exec, s[6:7]
	s_cbranch_vccz .LBB22_1484
; %bb.1483:
	global_load_ubyte v0, v[8:9], off
	s_mov_b32 s6, 0x7f800000
	s_waitcnt vmcnt(0)
	v_lshlrev_b32_e32 v0, 24, v0
	v_and_b32_e32 v1, 0x7f000000, v0
	v_ffbh_u32_e32 v3, v1
	v_min_u32_e32 v3, 32, v3
	v_sub_u32_e64 v3, v3, 4 clamp
	v_lshlrev_b32_e32 v7, v3, v1
	v_lshlrev_b32_e32 v3, 23, v3
	v_lshrrev_b32_e32 v7, 4, v7
	v_add_u32_e32 v5, 0x1000000, v1
	v_sub_u32_e32 v3, v7, v3
	v_ashrrev_i32_e32 v5, 8, v5
	v_add_u32_e32 v3, 0x3c000000, v3
	v_and_or_b32 v3, v5, s6, v3
	v_cmp_ne_u32_e32 vcc, 0, v1
	s_brev_b32 s6, 1
	s_nop 0
	v_cndmask_b32_e32 v1, 0, v3, vcc
	v_and_or_b32 v0, v0, s6, v1
	v_cvt_i32_f32_e32 v0, v0
.LBB22_1484:
	s_mov_b64 s[6:7], 0
.LBB22_1485:
	s_andn2_b64 vcc, exec, s[6:7]
	s_cbranch_vccnz .LBB22_1487
; %bb.1486:
	global_load_ubyte v0, v[8:9], off
	s_movk_i32 s6, 0x7f00
	s_brev_b32 s7, 16
	s_waitcnt vmcnt(0)
	v_lshlrev_b16_e32 v1, 8, v0
	v_lshlrev_b32_e32 v0, 25, v0
	v_lshrrev_b32_e32 v3, 4, v0
	v_and_or_b32 v5, v1, s6, 0.5
	v_or_b32_e32 v3, 0x70000000, v3
	v_add_f32_e32 v5, -0.5, v5
	v_mul_f32_e32 v3, 0x7800000, v3
	v_cmp_gt_u32_e32 vcc, s7, v0
	v_bfe_i32 v1, v1, 0, 16
	s_brev_b32 s6, 1
	v_cndmask_b32_e32 v0, v3, v5, vcc
	v_and_or_b32 v0, v1, s6, v0
	v_cvt_i32_f32_e32 v0, v0
.LBB22_1487:
	s_mov_b64 s[6:7], 0
	s_mov_b64 s[10:11], -1
.LBB22_1488:
	s_andn2_b64 vcc, exec, s[6:7]
	s_mov_b64 s[6:7], 0
	s_cbranch_vccnz .LBB22_1499
; %bb.1489:
	s_cmp_gt_i32 s20, 14
	s_cbranch_scc0 .LBB22_1492
; %bb.1490:
	s_cmp_eq_u32 s20, 15
	s_cbranch_scc0 .LBB22_1495
; %bb.1491:
	global_load_ushort v0, v[8:9], off
	s_mov_b64 s[0:1], 0
	s_mov_b64 s[10:11], -1
	s_waitcnt vmcnt(0)
	v_lshlrev_b32_e32 v0, 16, v0
	v_cvt_i32_f32_e32 v0, v0
	s_branch .LBB22_1496
.LBB22_1492:
	s_mov_b64 s[16:17], -1
                                        ; implicit-def: $vgpr0
	s_branch .LBB22_1497
.LBB22_1493:
	s_andn2_saveexec_b64 s[6:7], s[6:7]
	s_cbranch_execz .LBB22_1474
.LBB22_1494:
	v_cmp_ne_u16_e32 vcc, 0, v1
	s_andn2_b64 s[10:11], s[10:11], exec
	s_and_b64 s[16:17], vcc, exec
	s_or_b64 s[10:11], s[10:11], s[16:17]
	s_or_b64 exec, exec, s[6:7]
	v_mov_b32_e32 v0, 0
	s_and_saveexec_b64 s[6:7], s[10:11]
	s_cbranch_execnz .LBB22_1475
	s_branch .LBB22_1476
.LBB22_1495:
	s_mov_b64 s[0:1], -1
                                        ; implicit-def: $vgpr0
.LBB22_1496:
	s_mov_b64 s[16:17], 0
.LBB22_1497:
	s_and_b64 vcc, exec, s[16:17]
	s_cbranch_vccz .LBB22_1499
; %bb.1498:
	s_cmp_lg_u32 s20, 11
	s_mov_b64 s[6:7], -1
	s_cselect_b64 s[0:1], -1, 0
.LBB22_1499:
	s_and_b64 vcc, exec, s[0:1]
	s_cbranch_vccnz .LBB22_1988
; %bb.1500:
	s_andn2_b64 vcc, exec, s[6:7]
	s_cbranch_vccnz .LBB22_1502
.LBB22_1501:
	global_load_ubyte v0, v[8:9], off
	s_mov_b64 s[10:11], -1
	s_waitcnt vmcnt(0)
	v_cmp_ne_u16_e32 vcc, 0, v0
	s_nop 1
	v_cndmask_b32_e64 v0, 0, 1, vcc
.LBB22_1502:
	s_mov_b64 s[0:1], 0
.LBB22_1503:
	s_and_b64 vcc, exec, s[0:1]
	s_cbranch_vccz .LBB22_1552
; %bb.1504:
	s_cmp_lt_i32 s20, 5
	s_cbranch_scc1 .LBB22_1509
; %bb.1505:
	s_cmp_lt_i32 s20, 8
	s_cbranch_scc1 .LBB22_1510
	;; [unrolled: 3-line block ×3, first 2 shown]
; %bb.1507:
	s_cmp_gt_i32 s20, 9
	s_cbranch_scc0 .LBB22_1512
; %bb.1508:
	global_load_dwordx2 v[0:1], v[8:9], off
	s_mov_b64 s[0:1], 0
	s_waitcnt vmcnt(0)
	v_cvt_i32_f64_e32 v0, v[0:1]
	s_branch .LBB22_1513
.LBB22_1509:
	s_mov_b64 s[0:1], -1
                                        ; implicit-def: $vgpr0
	s_branch .LBB22_1531
.LBB22_1510:
	s_mov_b64 s[0:1], -1
                                        ; implicit-def: $vgpr0
	s_branch .LBB22_1519
.LBB22_1511:
	s_mov_b64 s[0:1], -1
                                        ; implicit-def: $vgpr0
	s_branch .LBB22_1516
.LBB22_1512:
	s_mov_b64 s[0:1], -1
                                        ; implicit-def: $vgpr0
.LBB22_1513:
	s_andn2_b64 vcc, exec, s[0:1]
	s_cbranch_vccnz .LBB22_1515
; %bb.1514:
	global_load_dword v0, v[8:9], off
	s_waitcnt vmcnt(0)
	v_cvt_i32_f32_e32 v0, v0
.LBB22_1515:
	s_mov_b64 s[0:1], 0
.LBB22_1516:
	s_andn2_b64 vcc, exec, s[0:1]
	s_cbranch_vccnz .LBB22_1518
; %bb.1517:
	global_load_dword v0, v[8:9], off
	s_waitcnt vmcnt(0)
	v_cvt_i16_f16_e32 v0, v0
.LBB22_1518:
	s_mov_b64 s[0:1], 0
.LBB22_1519:
	s_andn2_b64 vcc, exec, s[0:1]
	s_cbranch_vccnz .LBB22_1530
; %bb.1520:
	s_cmp_lt_i32 s20, 6
	s_cbranch_scc1 .LBB22_1523
; %bb.1521:
	s_cmp_gt_i32 s20, 6
	s_cbranch_scc0 .LBB22_1524
; %bb.1522:
	global_load_dwordx2 v[0:1], v[8:9], off
	s_mov_b64 s[0:1], 0
	s_waitcnt vmcnt(0)
	v_cvt_i32_f64_e32 v0, v[0:1]
	s_branch .LBB22_1525
.LBB22_1523:
	s_mov_b64 s[0:1], -1
                                        ; implicit-def: $vgpr0
	s_branch .LBB22_1528
.LBB22_1524:
	s_mov_b64 s[0:1], -1
                                        ; implicit-def: $vgpr0
.LBB22_1525:
	s_andn2_b64 vcc, exec, s[0:1]
	s_cbranch_vccnz .LBB22_1527
; %bb.1526:
	global_load_dword v0, v[8:9], off
	s_waitcnt vmcnt(0)
	v_cvt_i32_f32_e32 v0, v0
.LBB22_1527:
	s_mov_b64 s[0:1], 0
.LBB22_1528:
	s_andn2_b64 vcc, exec, s[0:1]
	s_cbranch_vccnz .LBB22_1530
; %bb.1529:
	global_load_ushort v0, v[8:9], off
	s_waitcnt vmcnt(0)
	v_cvt_i16_f16_e32 v0, v0
.LBB22_1530:
	s_mov_b64 s[0:1], 0
.LBB22_1531:
	s_andn2_b64 vcc, exec, s[0:1]
	s_cbranch_vccnz .LBB22_1551
; %bb.1532:
	s_cmp_lt_i32 s20, 2
	s_cbranch_scc1 .LBB22_1536
; %bb.1533:
	s_cmp_lt_i32 s20, 3
	s_cbranch_scc1 .LBB22_1537
; %bb.1534:
	s_cmp_gt_i32 s20, 3
	s_cbranch_scc0 .LBB22_1538
; %bb.1535:
	global_load_dwordx2 v[0:1], v[8:9], off
	s_mov_b64 s[0:1], 0
	s_branch .LBB22_1539
.LBB22_1536:
	s_mov_b64 s[0:1], -1
                                        ; implicit-def: $vgpr0
	s_branch .LBB22_1545
.LBB22_1537:
	s_mov_b64 s[0:1], -1
                                        ; implicit-def: $vgpr0
	s_branch .LBB22_1542
.LBB22_1538:
	s_mov_b64 s[0:1], -1
                                        ; implicit-def: $vgpr0
.LBB22_1539:
	s_andn2_b64 vcc, exec, s[0:1]
	s_cbranch_vccnz .LBB22_1541
; %bb.1540:
	global_load_dword v0, v[8:9], off
.LBB22_1541:
	s_mov_b64 s[0:1], 0
.LBB22_1542:
	s_andn2_b64 vcc, exec, s[0:1]
	s_cbranch_vccnz .LBB22_1544
; %bb.1543:
	global_load_ushort v0, v[8:9], off
.LBB22_1544:
	s_mov_b64 s[0:1], 0
.LBB22_1545:
	s_andn2_b64 vcc, exec, s[0:1]
	s_cbranch_vccnz .LBB22_1551
; %bb.1546:
	s_cmp_gt_i32 s20, 0
	s_cbranch_scc0 .LBB22_1548
; %bb.1547:
	global_load_ubyte v0, v[8:9], off
	s_mov_b64 s[0:1], 0
	s_branch .LBB22_1549
.LBB22_1548:
	s_mov_b64 s[0:1], -1
                                        ; implicit-def: $vgpr0
.LBB22_1549:
	s_andn2_b64 vcc, exec, s[0:1]
	s_cbranch_vccnz .LBB22_1551
; %bb.1550:
	global_load_ubyte v0, v[8:9], off
.LBB22_1551:
	s_mov_b64 s[10:11], -1
.LBB22_1552:
	s_andn2_b64 vcc, exec, s[10:11]
	s_cbranch_vccnz .LBB22_1986
; %bb.1553:
	v_mul_lo_u32 v8, s8, v10
	v_ashrrev_i32_e32 v9, 31, v8
	s_and_b32 s20, s33, 0xff
	s_waitcnt vmcnt(0)
	v_xor_b32_e32 v1, -1, v6
	s_cmp_lt_i32 s20, 11
	v_lshl_add_u64 v[10:11], s[4:5], 0, v[8:9]
	s_cbranch_scc1 .LBB22_1631
; %bb.1554:
	s_and_b32 s9, 0xffff, s20
	s_mov_b64 s[16:17], -1
	s_mov_b64 s[6:7], 0
	s_cmp_gt_i32 s9, 25
	s_mov_b64 s[10:11], 0
	s_mov_b64 s[0:1], 0
	s_cbranch_scc0 .LBB22_1587
; %bb.1555:
	s_cmp_gt_i32 s9, 28
	s_cbranch_scc0 .LBB22_1570
; %bb.1556:
	s_cmp_gt_i32 s9, 43
	s_cbranch_scc0 .LBB22_1566
; %bb.1557:
	s_cmp_gt_i32 s9, 45
	s_cbranch_scc0 .LBB22_1560
; %bb.1558:
	s_mov_b64 s[0:1], -1
	s_mov_b64 s[16:17], 0
	s_cmp_eq_u32 s9, 46
	s_cbranch_scc0 .LBB22_1560
; %bb.1559:
	v_bfe_i32 v3, v1, 0, 8
	v_cvt_f32_i32_sdwa v3, sext(v3) dst_sel:DWORD dst_unused:UNUSED_PAD src0_sel:WORD_0
	s_movk_i32 s10, 0x7fff
	s_mov_b64 s[0:1], 0
	v_bfe_u32 v5, v3, 16, 1
	v_add3_u32 v3, v3, v5, s10
	v_lshrrev_b32_e32 v3, 16, v3
	global_store_dword v[10:11], v3, off
	s_mov_b64 s[10:11], -1
.LBB22_1560:
	s_and_b64 vcc, exec, s[16:17]
	s_cbranch_vccz .LBB22_1565
; %bb.1561:
	s_cmp_eq_u32 s9, 44
	s_mov_b64 s[0:1], -1
	s_cbranch_scc0 .LBB22_1565
; %bb.1562:
	v_bfe_i32 v3, v1, 0, 8
	v_cvt_f32_i32_sdwa v3, sext(v3) dst_sel:DWORD dst_unused:UNUSED_PAD src0_sel:WORD_0
	s_movk_i32 s0, 0xff
	v_mov_b32_e32 v7, 0xff
	v_bfe_u32 v5, v3, 23, 8
	v_cmp_ne_u32_e32 vcc, s0, v5
	s_and_saveexec_b64 s[10:11], vcc
; %bb.1563:
	s_mov_b32 s0, 0x3fffff
	v_lshrrev_b32_e32 v7, 23, v3
	v_and_b32_e32 v9, 0x400000, v3
	v_and_or_b32 v3, v3, s0, v5
	v_cmp_ne_u32_e32 vcc, 0, v9
	v_cmp_ne_u32_e64 s[0:1], 0, v3
	s_and_b64 s[0:1], vcc, s[0:1]
	s_nop 0
	v_cndmask_b32_e64 v3, 0, 1, s[0:1]
	v_add_u32_e32 v7, v7, v3
; %bb.1564:
	s_or_b64 exec, exec, s[10:11]
	s_mov_b64 s[0:1], 0
	s_mov_b64 s[10:11], -1
	global_store_byte v[10:11], v7, off
.LBB22_1565:
	s_mov_b64 s[16:17], 0
.LBB22_1566:
	s_and_b64 vcc, exec, s[16:17]
	s_cbranch_vccz .LBB22_1569
; %bb.1567:
	s_cmp_eq_u32 s9, 29
	s_mov_b64 s[0:1], -1
	s_cbranch_scc0 .LBB22_1569
; %bb.1568:
	v_bfe_i32 v12, v1, 0, 8
	v_ashrrev_i32_e32 v13, 31, v12
	global_store_dwordx2 v[10:11], v[12:13], off
	s_mov_b64 s[0:1], 0
	s_mov_b64 s[10:11], -1
.LBB22_1569:
	s_mov_b64 s[16:17], 0
.LBB22_1570:
	s_and_b64 vcc, exec, s[16:17]
	s_cbranch_vccz .LBB22_1586
; %bb.1571:
	s_cmp_lt_i32 s9, 27
	s_mov_b64 s[10:11], -1
	s_cbranch_scc1 .LBB22_1577
; %bb.1572:
	s_cmp_gt_i32 s9, 27
	s_cbranch_scc0 .LBB22_1574
; %bb.1573:
	v_bfe_i32 v3, v1, 0, 8
	s_mov_b64 s[10:11], 0
	global_store_dword v[10:11], v3, off
.LBB22_1574:
	s_andn2_b64 vcc, exec, s[10:11]
	s_cbranch_vccnz .LBB22_1576
; %bb.1575:
	v_bfe_i32 v3, v1, 0, 8
	global_store_short v[10:11], v3, off
.LBB22_1576:
	s_mov_b64 s[10:11], 0
.LBB22_1577:
	s_andn2_b64 vcc, exec, s[10:11]
	s_cbranch_vccnz .LBB22_1585
; %bb.1578:
	v_bfe_i32 v3, v1, 0, 8
	v_cvt_f32_i32_sdwa v3, sext(v3) dst_sel:DWORD dst_unused:UNUSED_PAD src0_sel:WORD_0
	s_mov_b32 s10, 0x43800000
	v_mov_b32_e32 v7, 0x80
	v_and_b32_e32 v5, 0x7fffffff, v3
	v_cmp_gt_u32_e32 vcc, s10, v5
	s_and_saveexec_b64 s[10:11], vcc
	s_cbranch_execz .LBB22_1584
; %bb.1579:
	s_mov_b32 s16, 0x3bffffff
	v_cmp_lt_u32_e32 vcc, s16, v5
	s_mov_b64 s[16:17], 0
                                        ; implicit-def: $vgpr5
	s_and_saveexec_b64 s[18:19], vcc
	s_xor_b64 s[18:19], exec, s[18:19]
	s_cbranch_execz .LBB22_1989
; %bb.1580:
	v_bfe_u32 v5, v3, 20, 1
	s_mov_b32 s21, 0x487ffff
	v_add3_u32 v5, v3, v5, s21
	s_mov_b64 s[16:17], exec
	v_lshrrev_b32_e32 v5, 20, v5
	s_andn2_saveexec_b64 s[18:19], s[18:19]
	s_cbranch_execnz .LBB22_1990
.LBB22_1581:
	s_or_b64 exec, exec, s[18:19]
	v_mov_b32_e32 v7, 0
	s_and_saveexec_b64 s[18:19], s[16:17]
.LBB22_1582:
	v_lshrrev_b32_e32 v3, 24, v3
	s_movk_i32 s16, 0x80
	v_and_or_b32 v7, v3, s16, v5
.LBB22_1583:
	s_or_b64 exec, exec, s[18:19]
.LBB22_1584:
	s_or_b64 exec, exec, s[10:11]
	global_store_byte v[10:11], v7, off
.LBB22_1585:
	s_mov_b64 s[10:11], -1
.LBB22_1586:
	s_mov_b64 s[16:17], 0
.LBB22_1587:
	s_and_b64 vcc, exec, s[16:17]
	s_cbranch_vccz .LBB22_1627
; %bb.1588:
	s_cmp_gt_i32 s9, 22
	s_mov_b64 s[6:7], -1
	s_cbranch_scc0 .LBB22_1620
; %bb.1589:
	s_cmp_lt_i32 s9, 24
	s_cbranch_scc1 .LBB22_1609
; %bb.1590:
	s_cmp_gt_i32 s9, 24
	s_cbranch_scc0 .LBB22_1598
; %bb.1591:
	v_bfe_i32 v3, v1, 0, 8
	v_cvt_f32_i32_sdwa v3, sext(v3) dst_sel:DWORD dst_unused:UNUSED_PAD src0_sel:WORD_0
	s_mov_b32 s6, 0x47800000
	v_mov_b32_e32 v7, 0x80
	v_and_b32_e32 v5, 0x7fffffff, v3
	v_cmp_gt_u32_e32 vcc, s6, v5
	s_and_saveexec_b64 s[6:7], vcc
	s_cbranch_execz .LBB22_1597
; %bb.1592:
	s_mov_b32 s10, 0x37ffffff
	v_cmp_lt_u32_e32 vcc, s10, v5
	s_mov_b64 s[10:11], 0
                                        ; implicit-def: $vgpr5
	s_and_saveexec_b64 s[16:17], vcc
	s_xor_b64 s[16:17], exec, s[16:17]
	s_cbranch_execz .LBB22_1992
; %bb.1593:
	v_bfe_u32 v5, v3, 21, 1
	s_mov_b32 s18, 0x88fffff
	v_add3_u32 v5, v3, v5, s18
	s_mov_b64 s[10:11], exec
	v_lshrrev_b32_e32 v5, 21, v5
	s_andn2_saveexec_b64 s[16:17], s[16:17]
	s_cbranch_execnz .LBB22_1993
.LBB22_1594:
	s_or_b64 exec, exec, s[16:17]
	v_mov_b32_e32 v7, 0
	s_and_saveexec_b64 s[16:17], s[10:11]
.LBB22_1595:
	v_lshrrev_b32_e32 v3, 24, v3
	s_movk_i32 s10, 0x80
	v_and_or_b32 v7, v3, s10, v5
.LBB22_1596:
	s_or_b64 exec, exec, s[16:17]
.LBB22_1597:
	s_or_b64 exec, exec, s[6:7]
	s_mov_b64 s[6:7], 0
	global_store_byte v[10:11], v7, off
.LBB22_1598:
	s_and_b64 vcc, exec, s[6:7]
	s_cbranch_vccz .LBB22_1608
; %bb.1599:
	v_bfe_i32 v3, v1, 0, 8
	v_cvt_f32_i32_sdwa v3, sext(v3) dst_sel:DWORD dst_unused:UNUSED_PAD src0_sel:WORD_0
	s_mov_b32 s6, 0x43f00000
                                        ; implicit-def: $vgpr5
	v_and_b32_e32 v7, 0x7fffffff, v3
	v_cmp_gt_u32_e32 vcc, s6, v7
	s_and_saveexec_b64 s[6:7], vcc
	s_xor_b64 s[6:7], exec, s[6:7]
	s_cbranch_execz .LBB22_1605
; %bb.1600:
	s_mov_b32 s10, 0x3c7fffff
	v_cmp_lt_u32_e32 vcc, s10, v7
                                        ; implicit-def: $vgpr5
	s_and_saveexec_b64 s[10:11], vcc
	s_xor_b64 s[10:11], exec, s[10:11]
; %bb.1601:
	v_bfe_u32 v5, v3, 20, 1
	s_mov_b32 s16, 0x407ffff
	v_add3_u32 v5, v3, v5, s16
	v_lshrrev_b32_e32 v7, 20, v5
	v_and_b32_e32 v5, 0xff00000, v5
	s_mov_b32 s16, 0x7f00000
	v_mov_b32_e32 v9, 0x7e
	v_cmp_ne_u32_e32 vcc, s16, v5
	s_nop 1
	v_cndmask_b32_e32 v5, v9, v7, vcc
; %bb.1602:
	s_andn2_saveexec_b64 s[10:11], s[10:11]
; %bb.1603:
	s_mov_b32 s16, 0x46800000
	v_add_f32_e64 v5, |v3|, s16
; %bb.1604:
	s_or_b64 exec, exec, s[10:11]
                                        ; implicit-def: $vgpr7
.LBB22_1605:
	s_andn2_saveexec_b64 s[6:7], s[6:7]
; %bb.1606:
	s_mov_b32 s10, 0x7f800000
	v_mov_b32_e32 v5, 0x7e
	v_mov_b32_e32 v9, 0x7f
	v_cmp_lt_u32_e32 vcc, s10, v7
	s_nop 1
	v_cndmask_b32_e32 v5, v5, v9, vcc
; %bb.1607:
	s_or_b64 exec, exec, s[6:7]
	v_lshrrev_b32_e32 v3, 24, v3
	s_movk_i32 s6, 0x80
	v_and_or_b32 v3, v3, s6, v5
	global_store_byte v[10:11], v3, off
.LBB22_1608:
	s_mov_b64 s[6:7], 0
.LBB22_1609:
	s_andn2_b64 vcc, exec, s[6:7]
	s_cbranch_vccnz .LBB22_1619
; %bb.1610:
	v_bfe_i32 v3, v1, 0, 8
	v_cvt_f32_i32_sdwa v3, sext(v3) dst_sel:DWORD dst_unused:UNUSED_PAD src0_sel:WORD_0
	s_mov_b32 s6, 0x47800000
                                        ; implicit-def: $vgpr5
	v_and_b32_e32 v7, 0x7fffffff, v3
	v_cmp_gt_u32_e32 vcc, s6, v7
	s_and_saveexec_b64 s[6:7], vcc
	s_xor_b64 s[6:7], exec, s[6:7]
	s_cbranch_execz .LBB22_1616
; %bb.1611:
	s_mov_b32 s10, 0x387fffff
	v_cmp_lt_u32_e32 vcc, s10, v7
                                        ; implicit-def: $vgpr5
	s_and_saveexec_b64 s[10:11], vcc
	s_xor_b64 s[10:11], exec, s[10:11]
; %bb.1612:
	v_bfe_u32 v5, v3, 21, 1
	s_mov_b32 s16, 0x80fffff
	v_add3_u32 v5, v3, v5, s16
	v_lshrrev_b32_e32 v5, 21, v5
; %bb.1613:
	s_andn2_saveexec_b64 s[10:11], s[10:11]
; %bb.1614:
	s_mov_b32 s16, 0x43000000
	v_add_f32_e64 v5, |v3|, s16
; %bb.1615:
	s_or_b64 exec, exec, s[10:11]
                                        ; implicit-def: $vgpr7
.LBB22_1616:
	s_andn2_saveexec_b64 s[6:7], s[6:7]
; %bb.1617:
	s_mov_b32 s10, 0x7f800000
	v_mov_b32_e32 v5, 0x7c
	v_mov_b32_e32 v9, 0x7f
	v_cmp_lt_u32_e32 vcc, s10, v7
	s_nop 1
	v_cndmask_b32_e32 v5, v5, v9, vcc
; %bb.1618:
	s_or_b64 exec, exec, s[6:7]
	v_lshrrev_b32_e32 v3, 24, v3
	s_movk_i32 s6, 0x80
	v_and_or_b32 v3, v3, s6, v5
	global_store_byte v[10:11], v3, off
.LBB22_1619:
	s_mov_b64 s[6:7], 0
	s_mov_b64 s[10:11], -1
.LBB22_1620:
	s_andn2_b64 vcc, exec, s[6:7]
	s_mov_b64 s[6:7], 0
	s_cbranch_vccnz .LBB22_1627
; %bb.1621:
	s_cmp_gt_i32 s9, 14
	s_mov_b64 s[16:17], -1
	s_cbranch_scc0 .LBB22_1625
; %bb.1622:
	s_cmp_eq_u32 s9, 15
	s_mov_b64 s[0:1], -1
	s_cbranch_scc0 .LBB22_1624
; %bb.1623:
	v_bfe_i32 v3, v1, 0, 8
	v_cvt_f32_i32_sdwa v3, sext(v3) dst_sel:DWORD dst_unused:UNUSED_PAD src0_sel:WORD_0
	s_movk_i32 s6, 0x7fff
	s_mov_b64 s[0:1], 0
	s_mov_b64 s[10:11], -1
	v_bfe_u32 v5, v3, 16, 1
	v_add3_u32 v3, v3, v5, s6
	global_store_short_d16_hi v[10:11], v3, off
.LBB22_1624:
	s_mov_b64 s[16:17], 0
.LBB22_1625:
	s_mov_b64 s[6:7], 0
	s_and_b64 vcc, exec, s[16:17]
	s_cbranch_vccz .LBB22_1627
; %bb.1626:
	s_cmp_lg_u32 s9, 11
	s_mov_b64 s[6:7], -1
	s_cselect_b64 s[0:1], -1, 0
.LBB22_1627:
	s_and_b64 vcc, exec, s[0:1]
	s_cbranch_vccnz .LBB22_1991
; %bb.1628:
	s_andn2_b64 vcc, exec, s[6:7]
	s_cbranch_vccnz .LBB22_1630
.LBB22_1629:
	s_movk_i32 s0, 0xff
	v_cmp_ne_u16_sdwa s[0:1], v6, s0 src0_sel:BYTE_0 src1_sel:DWORD
	s_mov_b64 s[10:11], -1
	s_nop 0
	v_cndmask_b32_e64 v3, 0, 1, s[0:1]
	global_store_byte v[10:11], v3, off
.LBB22_1630:
	s_mov_b64 s[0:1], 0
	s_branch .LBB22_1632
.LBB22_1631:
	s_mov_b64 s[0:1], -1
	s_mov_b64 s[10:11], 0
.LBB22_1632:
	s_and_b64 vcc, exec, s[0:1]
	s_cbranch_vccz .LBB22_1671
; %bb.1633:
	s_and_b32 s6, 0xffff, s20
	s_cmp_lt_i32 s6, 5
	s_mov_b64 s[0:1], -1
	s_cbranch_scc1 .LBB22_1654
; %bb.1634:
	s_cmp_lt_i32 s6, 8
	s_cbranch_scc1 .LBB22_1644
; %bb.1635:
	s_cmp_lt_i32 s6, 9
	s_cbranch_scc1 .LBB22_1641
; %bb.1636:
	s_cmp_gt_i32 s6, 9
	s_cbranch_scc0 .LBB22_1638
; %bb.1637:
	v_bfe_i32 v3, v1, 0, 8
	v_bfe_i32 v3, v3, 0, 16
	v_mov_b32_e32 v14, 0
	v_cvt_f64_i32_e32 v[12:13], v3
	v_mov_b32_e32 v15, v14
	global_store_dwordx4 v[10:11], v[12:15], off
	s_mov_b64 s[0:1], 0
.LBB22_1638:
	s_andn2_b64 vcc, exec, s[0:1]
	s_cbranch_vccnz .LBB22_1640
; %bb.1639:
	v_bfe_i32 v3, v1, 0, 8
	v_cvt_f32_i32_sdwa v6, sext(v3) dst_sel:DWORD dst_unused:UNUSED_PAD src0_sel:WORD_0
	v_mov_b32_e32 v7, 0
	global_store_dwordx2 v[10:11], v[6:7], off
.LBB22_1640:
	s_mov_b64 s[0:1], 0
.LBB22_1641:
	s_andn2_b64 vcc, exec, s[0:1]
	s_cbranch_vccnz .LBB22_1643
; %bb.1642:
	v_cvt_f16_i16_sdwa v3, sext(v1) dst_sel:DWORD dst_unused:UNUSED_PAD src0_sel:BYTE_0
	global_store_dword v[10:11], v3, off
.LBB22_1643:
	s_mov_b64 s[0:1], 0
.LBB22_1644:
	s_andn2_b64 vcc, exec, s[0:1]
	s_cbranch_vccnz .LBB22_1653
; %bb.1645:
	s_cmp_lt_i32 s6, 6
	s_mov_b64 s[0:1], -1
	s_cbranch_scc1 .LBB22_1651
; %bb.1646:
	s_cmp_gt_i32 s6, 6
	s_cbranch_scc0 .LBB22_1648
; %bb.1647:
	v_bfe_i32 v3, v1, 0, 8
	v_bfe_i32 v3, v3, 0, 16
	v_cvt_f64_i32_e32 v[6:7], v3
	global_store_dwordx2 v[10:11], v[6:7], off
	s_mov_b64 s[0:1], 0
.LBB22_1648:
	s_andn2_b64 vcc, exec, s[0:1]
	s_cbranch_vccnz .LBB22_1650
; %bb.1649:
	v_bfe_i32 v3, v1, 0, 8
	v_cvt_f32_i32_sdwa v3, sext(v3) dst_sel:DWORD dst_unused:UNUSED_PAD src0_sel:WORD_0
	global_store_dword v[10:11], v3, off
.LBB22_1650:
	s_mov_b64 s[0:1], 0
.LBB22_1651:
	s_andn2_b64 vcc, exec, s[0:1]
	s_cbranch_vccnz .LBB22_1653
; %bb.1652:
	v_cvt_f16_i16_sdwa v3, sext(v1) dst_sel:DWORD dst_unused:UNUSED_PAD src0_sel:BYTE_0
	global_store_short v[10:11], v3, off
.LBB22_1653:
	s_mov_b64 s[0:1], 0
.LBB22_1654:
	s_andn2_b64 vcc, exec, s[0:1]
	s_cbranch_vccnz .LBB22_1670
; %bb.1655:
	s_cmp_lt_i32 s6, 2
	s_mov_b64 s[0:1], -1
	s_cbranch_scc1 .LBB22_1665
; %bb.1656:
	s_cmp_lt_i32 s6, 3
	s_cbranch_scc1 .LBB22_1662
; %bb.1657:
	s_cmp_gt_i32 s6, 3
	s_cbranch_scc0 .LBB22_1659
; %bb.1658:
	v_bfe_i32 v6, v1, 0, 8
	v_ashrrev_i32_e32 v7, 31, v6
	global_store_dwordx2 v[10:11], v[6:7], off
	s_mov_b64 s[0:1], 0
.LBB22_1659:
	s_andn2_b64 vcc, exec, s[0:1]
	s_cbranch_vccnz .LBB22_1661
; %bb.1660:
	v_bfe_i32 v3, v1, 0, 8
	global_store_dword v[10:11], v3, off
.LBB22_1661:
	s_mov_b64 s[0:1], 0
.LBB22_1662:
	s_andn2_b64 vcc, exec, s[0:1]
	s_cbranch_vccnz .LBB22_1664
; %bb.1663:
	v_bfe_i32 v3, v1, 0, 8
	global_store_short v[10:11], v3, off
.LBB22_1664:
	s_mov_b64 s[0:1], 0
.LBB22_1665:
	s_andn2_b64 vcc, exec, s[0:1]
	s_cbranch_vccnz .LBB22_1670
; %bb.1666:
	s_cmp_gt_i32 s6, 0
	s_mov_b64 s[0:1], -1
	s_cbranch_scc0 .LBB22_1668
; %bb.1667:
	global_store_byte v[10:11], v1, off
	s_mov_b64 s[0:1], 0
.LBB22_1668:
	s_andn2_b64 vcc, exec, s[0:1]
	s_cbranch_vccnz .LBB22_1670
; %bb.1669:
	global_store_byte v[10:11], v1, off
.LBB22_1670:
	s_mov_b64 s[10:11], -1
.LBB22_1671:
	s_andn2_b64 vcc, exec, s[10:11]
	s_cbranch_vccnz .LBB22_1986
; %bb.1672:
	s_lshl_b32 s18, s8, 7
	v_add_u32_e32 v6, s18, v8
	v_ashrrev_i32_e32 v7, 31, v6
	v_xor_b32_e32 v1, -1, v4
	s_cmp_lt_i32 s20, 11
	v_lshl_add_u64 v[8:9], s[4:5], 0, v[6:7]
	s_cbranch_scc1 .LBB22_1750
; %bb.1673:
	s_and_b32 s19, 0xffff, s20
	s_mov_b64 s[10:11], -1
	s_mov_b64 s[6:7], 0
	s_cmp_gt_i32 s19, 25
	s_mov_b64 s[8:9], 0
	s_mov_b64 s[0:1], 0
	s_cbranch_scc0 .LBB22_1706
; %bb.1674:
	s_cmp_gt_i32 s19, 28
	s_cbranch_scc0 .LBB22_1689
; %bb.1675:
	s_cmp_gt_i32 s19, 43
	;; [unrolled: 3-line block ×3, first 2 shown]
	s_cbranch_scc0 .LBB22_1679
; %bb.1677:
	s_mov_b64 s[0:1], -1
	s_mov_b64 s[10:11], 0
	s_cmp_eq_u32 s19, 46
	s_cbranch_scc0 .LBB22_1679
; %bb.1678:
	v_bfe_i32 v3, v1, 0, 8
	v_cvt_f32_i32_sdwa v3, sext(v3) dst_sel:DWORD dst_unused:UNUSED_PAD src0_sel:WORD_0
	s_movk_i32 s8, 0x7fff
	s_mov_b64 s[0:1], 0
	v_bfe_u32 v5, v3, 16, 1
	v_add3_u32 v3, v3, v5, s8
	v_lshrrev_b32_e32 v3, 16, v3
	global_store_dword v[8:9], v3, off
	s_mov_b64 s[8:9], -1
.LBB22_1679:
	s_and_b64 vcc, exec, s[10:11]
	s_cbranch_vccz .LBB22_1684
; %bb.1680:
	s_cmp_eq_u32 s19, 44
	s_mov_b64 s[0:1], -1
	s_cbranch_scc0 .LBB22_1684
; %bb.1681:
	v_bfe_i32 v3, v1, 0, 8
	v_cvt_f32_i32_sdwa v3, sext(v3) dst_sel:DWORD dst_unused:UNUSED_PAD src0_sel:WORD_0
	s_movk_i32 s0, 0xff
	v_mov_b32_e32 v7, 0xff
	v_bfe_u32 v5, v3, 23, 8
	v_cmp_ne_u32_e32 vcc, s0, v5
	s_and_saveexec_b64 s[8:9], vcc
; %bb.1682:
	s_mov_b32 s0, 0x3fffff
	v_lshrrev_b32_e32 v7, 23, v3
	v_and_b32_e32 v10, 0x400000, v3
	v_and_or_b32 v3, v3, s0, v5
	v_cmp_ne_u32_e32 vcc, 0, v10
	v_cmp_ne_u32_e64 s[0:1], 0, v3
	s_and_b64 s[0:1], vcc, s[0:1]
	s_nop 0
	v_cndmask_b32_e64 v3, 0, 1, s[0:1]
	v_add_u32_e32 v7, v7, v3
; %bb.1683:
	s_or_b64 exec, exec, s[8:9]
	s_mov_b64 s[0:1], 0
	s_mov_b64 s[8:9], -1
	global_store_byte v[8:9], v7, off
.LBB22_1684:
	s_mov_b64 s[10:11], 0
.LBB22_1685:
	s_and_b64 vcc, exec, s[10:11]
	s_cbranch_vccz .LBB22_1688
; %bb.1686:
	s_cmp_eq_u32 s19, 29
	s_mov_b64 s[0:1], -1
	s_cbranch_scc0 .LBB22_1688
; %bb.1687:
	v_bfe_i32 v10, v1, 0, 8
	v_ashrrev_i32_e32 v11, 31, v10
	global_store_dwordx2 v[8:9], v[10:11], off
	s_mov_b64 s[0:1], 0
	s_mov_b64 s[8:9], -1
.LBB22_1688:
	s_mov_b64 s[10:11], 0
.LBB22_1689:
	s_and_b64 vcc, exec, s[10:11]
	s_cbranch_vccz .LBB22_1705
; %bb.1690:
	s_cmp_lt_i32 s19, 27
	s_mov_b64 s[8:9], -1
	s_cbranch_scc1 .LBB22_1696
; %bb.1691:
	s_cmp_gt_i32 s19, 27
	s_cbranch_scc0 .LBB22_1693
; %bb.1692:
	v_bfe_i32 v3, v1, 0, 8
	s_mov_b64 s[8:9], 0
	global_store_dword v[8:9], v3, off
.LBB22_1693:
	s_andn2_b64 vcc, exec, s[8:9]
	s_cbranch_vccnz .LBB22_1695
; %bb.1694:
	v_bfe_i32 v3, v1, 0, 8
	global_store_short v[8:9], v3, off
.LBB22_1695:
	s_mov_b64 s[8:9], 0
.LBB22_1696:
	s_andn2_b64 vcc, exec, s[8:9]
	s_cbranch_vccnz .LBB22_1704
; %bb.1697:
	v_bfe_i32 v3, v1, 0, 8
	v_cvt_f32_i32_sdwa v3, sext(v3) dst_sel:DWORD dst_unused:UNUSED_PAD src0_sel:WORD_0
	s_mov_b32 s8, 0x43800000
	v_mov_b32_e32 v7, 0x80
	v_and_b32_e32 v5, 0x7fffffff, v3
	v_cmp_gt_u32_e32 vcc, s8, v5
	s_and_saveexec_b64 s[8:9], vcc
	s_cbranch_execz .LBB22_1703
; %bb.1698:
	s_mov_b32 s10, 0x3bffffff
	v_cmp_lt_u32_e32 vcc, s10, v5
	s_mov_b64 s[10:11], 0
                                        ; implicit-def: $vgpr5
	s_and_saveexec_b64 s[16:17], vcc
	s_xor_b64 s[16:17], exec, s[16:17]
	s_cbranch_execz .LBB22_1994
; %bb.1699:
	v_bfe_u32 v5, v3, 20, 1
	s_mov_b32 s21, 0x487ffff
	v_add3_u32 v5, v3, v5, s21
	s_mov_b64 s[10:11], exec
	v_lshrrev_b32_e32 v5, 20, v5
	s_andn2_saveexec_b64 s[16:17], s[16:17]
	s_cbranch_execnz .LBB22_1995
.LBB22_1700:
	s_or_b64 exec, exec, s[16:17]
	v_mov_b32_e32 v7, 0
	s_and_saveexec_b64 s[16:17], s[10:11]
.LBB22_1701:
	v_lshrrev_b32_e32 v3, 24, v3
	s_movk_i32 s10, 0x80
	v_and_or_b32 v7, v3, s10, v5
.LBB22_1702:
	s_or_b64 exec, exec, s[16:17]
.LBB22_1703:
	s_or_b64 exec, exec, s[8:9]
	global_store_byte v[8:9], v7, off
.LBB22_1704:
	s_mov_b64 s[8:9], -1
.LBB22_1705:
	s_mov_b64 s[10:11], 0
.LBB22_1706:
	s_and_b64 vcc, exec, s[10:11]
	s_cbranch_vccz .LBB22_1746
; %bb.1707:
	s_cmp_gt_i32 s19, 22
	s_mov_b64 s[6:7], -1
	s_cbranch_scc0 .LBB22_1739
; %bb.1708:
	s_cmp_lt_i32 s19, 24
	s_cbranch_scc1 .LBB22_1728
; %bb.1709:
	s_cmp_gt_i32 s19, 24
	s_cbranch_scc0 .LBB22_1717
; %bb.1710:
	v_bfe_i32 v3, v1, 0, 8
	v_cvt_f32_i32_sdwa v3, sext(v3) dst_sel:DWORD dst_unused:UNUSED_PAD src0_sel:WORD_0
	s_mov_b32 s6, 0x47800000
	v_mov_b32_e32 v7, 0x80
	v_and_b32_e32 v5, 0x7fffffff, v3
	v_cmp_gt_u32_e32 vcc, s6, v5
	s_and_saveexec_b64 s[6:7], vcc
	s_cbranch_execz .LBB22_1716
; %bb.1711:
	s_mov_b32 s8, 0x37ffffff
	v_cmp_lt_u32_e32 vcc, s8, v5
	s_mov_b64 s[8:9], 0
                                        ; implicit-def: $vgpr5
	s_and_saveexec_b64 s[10:11], vcc
	s_xor_b64 s[10:11], exec, s[10:11]
	s_cbranch_execz .LBB22_1997
; %bb.1712:
	v_bfe_u32 v5, v3, 21, 1
	s_mov_b32 s16, 0x88fffff
	v_add3_u32 v5, v3, v5, s16
	s_mov_b64 s[8:9], exec
	v_lshrrev_b32_e32 v5, 21, v5
	s_andn2_saveexec_b64 s[10:11], s[10:11]
	s_cbranch_execnz .LBB22_1998
.LBB22_1713:
	s_or_b64 exec, exec, s[10:11]
	v_mov_b32_e32 v7, 0
	s_and_saveexec_b64 s[10:11], s[8:9]
.LBB22_1714:
	v_lshrrev_b32_e32 v3, 24, v3
	s_movk_i32 s8, 0x80
	v_and_or_b32 v7, v3, s8, v5
.LBB22_1715:
	s_or_b64 exec, exec, s[10:11]
.LBB22_1716:
	s_or_b64 exec, exec, s[6:7]
	s_mov_b64 s[6:7], 0
	global_store_byte v[8:9], v7, off
.LBB22_1717:
	s_and_b64 vcc, exec, s[6:7]
	s_cbranch_vccz .LBB22_1727
; %bb.1718:
	v_bfe_i32 v3, v1, 0, 8
	v_cvt_f32_i32_sdwa v3, sext(v3) dst_sel:DWORD dst_unused:UNUSED_PAD src0_sel:WORD_0
	s_mov_b32 s6, 0x43f00000
                                        ; implicit-def: $vgpr5
	v_and_b32_e32 v7, 0x7fffffff, v3
	v_cmp_gt_u32_e32 vcc, s6, v7
	s_and_saveexec_b64 s[6:7], vcc
	s_xor_b64 s[6:7], exec, s[6:7]
	s_cbranch_execz .LBB22_1724
; %bb.1719:
	s_mov_b32 s8, 0x3c7fffff
	v_cmp_lt_u32_e32 vcc, s8, v7
                                        ; implicit-def: $vgpr5
	s_and_saveexec_b64 s[8:9], vcc
	s_xor_b64 s[8:9], exec, s[8:9]
; %bb.1720:
	v_bfe_u32 v5, v3, 20, 1
	s_mov_b32 s10, 0x407ffff
	v_add3_u32 v5, v3, v5, s10
	v_lshrrev_b32_e32 v7, 20, v5
	v_and_b32_e32 v5, 0xff00000, v5
	s_mov_b32 s10, 0x7f00000
	v_mov_b32_e32 v10, 0x7e
	v_cmp_ne_u32_e32 vcc, s10, v5
	s_nop 1
	v_cndmask_b32_e32 v5, v10, v7, vcc
; %bb.1721:
	s_andn2_saveexec_b64 s[8:9], s[8:9]
; %bb.1722:
	s_mov_b32 s10, 0x46800000
	v_add_f32_e64 v5, |v3|, s10
; %bb.1723:
	s_or_b64 exec, exec, s[8:9]
                                        ; implicit-def: $vgpr7
.LBB22_1724:
	s_andn2_saveexec_b64 s[6:7], s[6:7]
; %bb.1725:
	s_mov_b32 s8, 0x7f800000
	v_mov_b32_e32 v5, 0x7e
	v_mov_b32_e32 v10, 0x7f
	v_cmp_lt_u32_e32 vcc, s8, v7
	s_nop 1
	v_cndmask_b32_e32 v5, v5, v10, vcc
; %bb.1726:
	s_or_b64 exec, exec, s[6:7]
	v_lshrrev_b32_e32 v3, 24, v3
	s_movk_i32 s6, 0x80
	v_and_or_b32 v3, v3, s6, v5
	global_store_byte v[8:9], v3, off
.LBB22_1727:
	s_mov_b64 s[6:7], 0
.LBB22_1728:
	s_andn2_b64 vcc, exec, s[6:7]
	s_cbranch_vccnz .LBB22_1738
; %bb.1729:
	v_bfe_i32 v3, v1, 0, 8
	v_cvt_f32_i32_sdwa v3, sext(v3) dst_sel:DWORD dst_unused:UNUSED_PAD src0_sel:WORD_0
	s_mov_b32 s6, 0x47800000
                                        ; implicit-def: $vgpr5
	v_and_b32_e32 v7, 0x7fffffff, v3
	v_cmp_gt_u32_e32 vcc, s6, v7
	s_and_saveexec_b64 s[6:7], vcc
	s_xor_b64 s[6:7], exec, s[6:7]
	s_cbranch_execz .LBB22_1735
; %bb.1730:
	s_mov_b32 s8, 0x387fffff
	v_cmp_lt_u32_e32 vcc, s8, v7
                                        ; implicit-def: $vgpr5
	s_and_saveexec_b64 s[8:9], vcc
	s_xor_b64 s[8:9], exec, s[8:9]
; %bb.1731:
	v_bfe_u32 v5, v3, 21, 1
	s_mov_b32 s10, 0x80fffff
	v_add3_u32 v5, v3, v5, s10
	v_lshrrev_b32_e32 v5, 21, v5
; %bb.1732:
	s_andn2_saveexec_b64 s[8:9], s[8:9]
; %bb.1733:
	s_mov_b32 s10, 0x43000000
	v_add_f32_e64 v5, |v3|, s10
; %bb.1734:
	s_or_b64 exec, exec, s[8:9]
                                        ; implicit-def: $vgpr7
.LBB22_1735:
	s_andn2_saveexec_b64 s[6:7], s[6:7]
; %bb.1736:
	s_mov_b32 s8, 0x7f800000
	v_mov_b32_e32 v5, 0x7c
	v_mov_b32_e32 v10, 0x7f
	v_cmp_lt_u32_e32 vcc, s8, v7
	s_nop 1
	v_cndmask_b32_e32 v5, v5, v10, vcc
; %bb.1737:
	s_or_b64 exec, exec, s[6:7]
	v_lshrrev_b32_e32 v3, 24, v3
	s_movk_i32 s6, 0x80
	v_and_or_b32 v3, v3, s6, v5
	global_store_byte v[8:9], v3, off
.LBB22_1738:
	s_mov_b64 s[6:7], 0
	s_mov_b64 s[8:9], -1
.LBB22_1739:
	s_andn2_b64 vcc, exec, s[6:7]
	s_mov_b64 s[6:7], 0
	s_cbranch_vccnz .LBB22_1746
; %bb.1740:
	s_cmp_gt_i32 s19, 14
	s_mov_b64 s[10:11], -1
	s_cbranch_scc0 .LBB22_1744
; %bb.1741:
	s_cmp_eq_u32 s19, 15
	s_mov_b64 s[0:1], -1
	s_cbranch_scc0 .LBB22_1743
; %bb.1742:
	v_bfe_i32 v3, v1, 0, 8
	v_cvt_f32_i32_sdwa v3, sext(v3) dst_sel:DWORD dst_unused:UNUSED_PAD src0_sel:WORD_0
	s_movk_i32 s6, 0x7fff
	s_mov_b64 s[0:1], 0
	s_mov_b64 s[8:9], -1
	v_bfe_u32 v5, v3, 16, 1
	v_add3_u32 v3, v3, v5, s6
	global_store_short_d16_hi v[8:9], v3, off
.LBB22_1743:
	s_mov_b64 s[10:11], 0
.LBB22_1744:
	s_mov_b64 s[6:7], 0
	s_and_b64 vcc, exec, s[10:11]
	s_cbranch_vccz .LBB22_1746
; %bb.1745:
	s_cmp_lg_u32 s19, 11
	s_mov_b64 s[6:7], -1
	s_cselect_b64 s[0:1], -1, 0
.LBB22_1746:
	s_and_b64 vcc, exec, s[0:1]
	s_cbranch_vccnz .LBB22_1996
; %bb.1747:
	s_andn2_b64 vcc, exec, s[6:7]
	s_cbranch_vccnz .LBB22_1749
.LBB22_1748:
	s_movk_i32 s0, 0xff
	v_cmp_ne_u16_sdwa s[0:1], v4, s0 src0_sel:BYTE_0 src1_sel:DWORD
	s_mov_b64 s[8:9], -1
	s_nop 0
	v_cndmask_b32_e64 v3, 0, 1, s[0:1]
	global_store_byte v[8:9], v3, off
.LBB22_1749:
	s_mov_b64 s[0:1], 0
	s_branch .LBB22_1751
.LBB22_1750:
	s_mov_b64 s[0:1], -1
	s_mov_b64 s[8:9], 0
.LBB22_1751:
	s_and_b64 vcc, exec, s[0:1]
	s_cbranch_vccz .LBB22_1790
; %bb.1752:
	s_and_b32 s6, 0xffff, s20
	s_cmp_lt_i32 s6, 5
	s_mov_b64 s[0:1], -1
	s_cbranch_scc1 .LBB22_1773
; %bb.1753:
	s_cmp_lt_i32 s6, 8
	s_cbranch_scc1 .LBB22_1763
; %bb.1754:
	s_cmp_lt_i32 s6, 9
	s_cbranch_scc1 .LBB22_1760
; %bb.1755:
	s_cmp_gt_i32 s6, 9
	s_cbranch_scc0 .LBB22_1757
; %bb.1756:
	v_bfe_i32 v3, v1, 0, 8
	v_bfe_i32 v3, v3, 0, 16
	v_mov_b32_e32 v12, 0
	v_cvt_f64_i32_e32 v[10:11], v3
	v_mov_b32_e32 v13, v12
	global_store_dwordx4 v[8:9], v[10:13], off
	s_mov_b64 s[0:1], 0
.LBB22_1757:
	s_andn2_b64 vcc, exec, s[0:1]
	s_cbranch_vccnz .LBB22_1759
; %bb.1758:
	v_bfe_i32 v3, v1, 0, 8
	v_cvt_f32_i32_sdwa v4, sext(v3) dst_sel:DWORD dst_unused:UNUSED_PAD src0_sel:WORD_0
	v_mov_b32_e32 v5, 0
	global_store_dwordx2 v[8:9], v[4:5], off
.LBB22_1759:
	s_mov_b64 s[0:1], 0
.LBB22_1760:
	s_andn2_b64 vcc, exec, s[0:1]
	s_cbranch_vccnz .LBB22_1762
; %bb.1761:
	v_cvt_f16_i16_sdwa v3, sext(v1) dst_sel:DWORD dst_unused:UNUSED_PAD src0_sel:BYTE_0
	global_store_dword v[8:9], v3, off
.LBB22_1762:
	s_mov_b64 s[0:1], 0
.LBB22_1763:
	s_andn2_b64 vcc, exec, s[0:1]
	s_cbranch_vccnz .LBB22_1772
; %bb.1764:
	s_cmp_lt_i32 s6, 6
	s_mov_b64 s[0:1], -1
	s_cbranch_scc1 .LBB22_1770
; %bb.1765:
	s_cmp_gt_i32 s6, 6
	s_cbranch_scc0 .LBB22_1767
; %bb.1766:
	v_bfe_i32 v3, v1, 0, 8
	v_bfe_i32 v3, v3, 0, 16
	v_cvt_f64_i32_e32 v[4:5], v3
	global_store_dwordx2 v[8:9], v[4:5], off
	s_mov_b64 s[0:1], 0
.LBB22_1767:
	s_andn2_b64 vcc, exec, s[0:1]
	s_cbranch_vccnz .LBB22_1769
; %bb.1768:
	v_bfe_i32 v3, v1, 0, 8
	v_cvt_f32_i32_sdwa v3, sext(v3) dst_sel:DWORD dst_unused:UNUSED_PAD src0_sel:WORD_0
	global_store_dword v[8:9], v3, off
.LBB22_1769:
	s_mov_b64 s[0:1], 0
.LBB22_1770:
	s_andn2_b64 vcc, exec, s[0:1]
	s_cbranch_vccnz .LBB22_1772
; %bb.1771:
	v_cvt_f16_i16_sdwa v3, sext(v1) dst_sel:DWORD dst_unused:UNUSED_PAD src0_sel:BYTE_0
	global_store_short v[8:9], v3, off
.LBB22_1772:
	s_mov_b64 s[0:1], 0
.LBB22_1773:
	s_andn2_b64 vcc, exec, s[0:1]
	s_cbranch_vccnz .LBB22_1789
; %bb.1774:
	s_cmp_lt_i32 s6, 2
	s_mov_b64 s[0:1], -1
	s_cbranch_scc1 .LBB22_1784
; %bb.1775:
	s_cmp_lt_i32 s6, 3
	s_cbranch_scc1 .LBB22_1781
; %bb.1776:
	s_cmp_gt_i32 s6, 3
	s_cbranch_scc0 .LBB22_1778
; %bb.1777:
	v_bfe_i32 v4, v1, 0, 8
	v_ashrrev_i32_e32 v5, 31, v4
	global_store_dwordx2 v[8:9], v[4:5], off
	s_mov_b64 s[0:1], 0
.LBB22_1778:
	s_andn2_b64 vcc, exec, s[0:1]
	s_cbranch_vccnz .LBB22_1780
; %bb.1779:
	v_bfe_i32 v3, v1, 0, 8
	global_store_dword v[8:9], v3, off
.LBB22_1780:
	s_mov_b64 s[0:1], 0
.LBB22_1781:
	s_andn2_b64 vcc, exec, s[0:1]
	s_cbranch_vccnz .LBB22_1783
; %bb.1782:
	v_bfe_i32 v3, v1, 0, 8
	global_store_short v[8:9], v3, off
.LBB22_1783:
	s_mov_b64 s[0:1], 0
.LBB22_1784:
	s_andn2_b64 vcc, exec, s[0:1]
	s_cbranch_vccnz .LBB22_1789
; %bb.1785:
	s_cmp_gt_i32 s6, 0
	s_mov_b64 s[0:1], -1
	s_cbranch_scc0 .LBB22_1787
; %bb.1786:
	global_store_byte v[8:9], v1, off
	s_mov_b64 s[0:1], 0
.LBB22_1787:
	s_andn2_b64 vcc, exec, s[0:1]
	s_cbranch_vccnz .LBB22_1789
; %bb.1788:
	global_store_byte v[8:9], v1, off
.LBB22_1789:
	s_mov_b64 s[8:9], -1
.LBB22_1790:
	s_andn2_b64 vcc, exec, s[8:9]
	s_cbranch_vccnz .LBB22_1986
; %bb.1791:
	v_add_u32_e32 v4, s18, v6
	v_ashrrev_i32_e32 v5, 31, v4
	v_xor_b32_e32 v1, -1, v2
	s_cmp_lt_i32 s20, 11
	v_lshl_add_u64 v[6:7], s[4:5], 0, v[4:5]
	s_cbranch_scc1 .LBB22_1869
; %bb.1792:
	s_and_b32 s19, 0xffff, s20
	s_mov_b64 s[10:11], -1
	s_mov_b64 s[6:7], 0
	s_cmp_gt_i32 s19, 25
	s_mov_b64 s[8:9], 0
	s_mov_b64 s[0:1], 0
	s_cbranch_scc0 .LBB22_1825
; %bb.1793:
	s_cmp_gt_i32 s19, 28
	s_cbranch_scc0 .LBB22_1808
; %bb.1794:
	s_cmp_gt_i32 s19, 43
	;; [unrolled: 3-line block ×3, first 2 shown]
	s_cbranch_scc0 .LBB22_1798
; %bb.1796:
	s_mov_b64 s[0:1], -1
	s_mov_b64 s[10:11], 0
	s_cmp_eq_u32 s19, 46
	s_cbranch_scc0 .LBB22_1798
; %bb.1797:
	v_bfe_i32 v3, v1, 0, 8
	v_cvt_f32_i32_sdwa v3, sext(v3) dst_sel:DWORD dst_unused:UNUSED_PAD src0_sel:WORD_0
	s_movk_i32 s8, 0x7fff
	s_mov_b64 s[0:1], 0
	v_bfe_u32 v5, v3, 16, 1
	v_add3_u32 v3, v3, v5, s8
	v_lshrrev_b32_e32 v3, 16, v3
	global_store_dword v[6:7], v3, off
	s_mov_b64 s[8:9], -1
.LBB22_1798:
	s_and_b64 vcc, exec, s[10:11]
	s_cbranch_vccz .LBB22_1803
; %bb.1799:
	s_cmp_eq_u32 s19, 44
	s_mov_b64 s[0:1], -1
	s_cbranch_scc0 .LBB22_1803
; %bb.1800:
	v_bfe_i32 v3, v1, 0, 8
	v_cvt_f32_i32_sdwa v3, sext(v3) dst_sel:DWORD dst_unused:UNUSED_PAD src0_sel:WORD_0
	s_movk_i32 s0, 0xff
	v_mov_b32_e32 v8, 0xff
	v_bfe_u32 v5, v3, 23, 8
	v_cmp_ne_u32_e32 vcc, s0, v5
	s_and_saveexec_b64 s[8:9], vcc
; %bb.1801:
	s_mov_b32 s0, 0x3fffff
	v_lshrrev_b32_e32 v8, 23, v3
	v_and_b32_e32 v9, 0x400000, v3
	v_and_or_b32 v3, v3, s0, v5
	v_cmp_ne_u32_e32 vcc, 0, v9
	v_cmp_ne_u32_e64 s[0:1], 0, v3
	s_and_b64 s[0:1], vcc, s[0:1]
	s_nop 0
	v_cndmask_b32_e64 v3, 0, 1, s[0:1]
	v_add_u32_e32 v8, v8, v3
; %bb.1802:
	s_or_b64 exec, exec, s[8:9]
	s_mov_b64 s[0:1], 0
	s_mov_b64 s[8:9], -1
	global_store_byte v[6:7], v8, off
.LBB22_1803:
	s_mov_b64 s[10:11], 0
.LBB22_1804:
	s_and_b64 vcc, exec, s[10:11]
	s_cbranch_vccz .LBB22_1807
; %bb.1805:
	s_cmp_eq_u32 s19, 29
	s_mov_b64 s[0:1], -1
	s_cbranch_scc0 .LBB22_1807
; %bb.1806:
	v_bfe_i32 v8, v1, 0, 8
	v_ashrrev_i32_e32 v9, 31, v8
	global_store_dwordx2 v[6:7], v[8:9], off
	s_mov_b64 s[0:1], 0
	s_mov_b64 s[8:9], -1
.LBB22_1807:
	s_mov_b64 s[10:11], 0
.LBB22_1808:
	s_and_b64 vcc, exec, s[10:11]
	s_cbranch_vccz .LBB22_1824
; %bb.1809:
	s_cmp_lt_i32 s19, 27
	s_mov_b64 s[8:9], -1
	s_cbranch_scc1 .LBB22_1815
; %bb.1810:
	s_cmp_gt_i32 s19, 27
	s_cbranch_scc0 .LBB22_1812
; %bb.1811:
	v_bfe_i32 v3, v1, 0, 8
	s_mov_b64 s[8:9], 0
	global_store_dword v[6:7], v3, off
.LBB22_1812:
	s_andn2_b64 vcc, exec, s[8:9]
	s_cbranch_vccnz .LBB22_1814
; %bb.1813:
	v_bfe_i32 v3, v1, 0, 8
	global_store_short v[6:7], v3, off
.LBB22_1814:
	s_mov_b64 s[8:9], 0
.LBB22_1815:
	s_andn2_b64 vcc, exec, s[8:9]
	s_cbranch_vccnz .LBB22_1823
; %bb.1816:
	v_bfe_i32 v3, v1, 0, 8
	v_cvt_f32_i32_sdwa v3, sext(v3) dst_sel:DWORD dst_unused:UNUSED_PAD src0_sel:WORD_0
	s_mov_b32 s8, 0x43800000
	v_mov_b32_e32 v8, 0x80
	v_and_b32_e32 v5, 0x7fffffff, v3
	v_cmp_gt_u32_e32 vcc, s8, v5
	s_and_saveexec_b64 s[8:9], vcc
	s_cbranch_execz .LBB22_1822
; %bb.1817:
	s_mov_b32 s10, 0x3bffffff
	v_cmp_lt_u32_e32 vcc, s10, v5
	s_mov_b64 s[10:11], 0
                                        ; implicit-def: $vgpr5
	s_and_saveexec_b64 s[16:17], vcc
	s_xor_b64 s[16:17], exec, s[16:17]
	s_cbranch_execz .LBB22_1999
; %bb.1818:
	v_bfe_u32 v5, v3, 20, 1
	s_mov_b32 s21, 0x487ffff
	v_add3_u32 v5, v3, v5, s21
	s_mov_b64 s[10:11], exec
	v_lshrrev_b32_e32 v5, 20, v5
	s_andn2_saveexec_b64 s[16:17], s[16:17]
	s_cbranch_execnz .LBB22_2000
.LBB22_1819:
	s_or_b64 exec, exec, s[16:17]
	v_mov_b32_e32 v8, 0
	s_and_saveexec_b64 s[16:17], s[10:11]
.LBB22_1820:
	v_lshrrev_b32_e32 v3, 24, v3
	s_movk_i32 s10, 0x80
	v_and_or_b32 v8, v3, s10, v5
.LBB22_1821:
	s_or_b64 exec, exec, s[16:17]
.LBB22_1822:
	s_or_b64 exec, exec, s[8:9]
	global_store_byte v[6:7], v8, off
.LBB22_1823:
	s_mov_b64 s[8:9], -1
.LBB22_1824:
	s_mov_b64 s[10:11], 0
.LBB22_1825:
	s_and_b64 vcc, exec, s[10:11]
	s_cbranch_vccz .LBB22_1865
; %bb.1826:
	s_cmp_gt_i32 s19, 22
	s_mov_b64 s[6:7], -1
	s_cbranch_scc0 .LBB22_1858
; %bb.1827:
	s_cmp_lt_i32 s19, 24
	s_cbranch_scc1 .LBB22_1847
; %bb.1828:
	s_cmp_gt_i32 s19, 24
	s_cbranch_scc0 .LBB22_1836
; %bb.1829:
	v_bfe_i32 v3, v1, 0, 8
	v_cvt_f32_i32_sdwa v3, sext(v3) dst_sel:DWORD dst_unused:UNUSED_PAD src0_sel:WORD_0
	s_mov_b32 s6, 0x47800000
	v_mov_b32_e32 v8, 0x80
	v_and_b32_e32 v5, 0x7fffffff, v3
	v_cmp_gt_u32_e32 vcc, s6, v5
	s_and_saveexec_b64 s[6:7], vcc
	s_cbranch_execz .LBB22_1835
; %bb.1830:
	s_mov_b32 s8, 0x37ffffff
	v_cmp_lt_u32_e32 vcc, s8, v5
	s_mov_b64 s[8:9], 0
                                        ; implicit-def: $vgpr5
	s_and_saveexec_b64 s[10:11], vcc
	s_xor_b64 s[10:11], exec, s[10:11]
	s_cbranch_execz .LBB22_2002
; %bb.1831:
	v_bfe_u32 v5, v3, 21, 1
	s_mov_b32 s16, 0x88fffff
	v_add3_u32 v5, v3, v5, s16
	s_mov_b64 s[8:9], exec
	v_lshrrev_b32_e32 v5, 21, v5
	s_andn2_saveexec_b64 s[10:11], s[10:11]
	s_cbranch_execnz .LBB22_2003
.LBB22_1832:
	s_or_b64 exec, exec, s[10:11]
	v_mov_b32_e32 v8, 0
	s_and_saveexec_b64 s[10:11], s[8:9]
.LBB22_1833:
	v_lshrrev_b32_e32 v3, 24, v3
	s_movk_i32 s8, 0x80
	v_and_or_b32 v8, v3, s8, v5
.LBB22_1834:
	s_or_b64 exec, exec, s[10:11]
.LBB22_1835:
	s_or_b64 exec, exec, s[6:7]
	s_mov_b64 s[6:7], 0
	global_store_byte v[6:7], v8, off
.LBB22_1836:
	s_and_b64 vcc, exec, s[6:7]
	s_cbranch_vccz .LBB22_1846
; %bb.1837:
	v_bfe_i32 v3, v1, 0, 8
	v_cvt_f32_i32_sdwa v3, sext(v3) dst_sel:DWORD dst_unused:UNUSED_PAD src0_sel:WORD_0
	s_mov_b32 s6, 0x43f00000
                                        ; implicit-def: $vgpr5
	v_and_b32_e32 v8, 0x7fffffff, v3
	v_cmp_gt_u32_e32 vcc, s6, v8
	s_and_saveexec_b64 s[6:7], vcc
	s_xor_b64 s[6:7], exec, s[6:7]
	s_cbranch_execz .LBB22_1843
; %bb.1838:
	s_mov_b32 s8, 0x3c7fffff
	v_cmp_lt_u32_e32 vcc, s8, v8
                                        ; implicit-def: $vgpr5
	s_and_saveexec_b64 s[8:9], vcc
	s_xor_b64 s[8:9], exec, s[8:9]
; %bb.1839:
	v_bfe_u32 v5, v3, 20, 1
	s_mov_b32 s10, 0x407ffff
	v_add3_u32 v5, v3, v5, s10
	v_lshrrev_b32_e32 v8, 20, v5
	v_and_b32_e32 v5, 0xff00000, v5
	s_mov_b32 s10, 0x7f00000
	v_mov_b32_e32 v9, 0x7e
	v_cmp_ne_u32_e32 vcc, s10, v5
	s_nop 1
	v_cndmask_b32_e32 v5, v9, v8, vcc
; %bb.1840:
	s_andn2_saveexec_b64 s[8:9], s[8:9]
; %bb.1841:
	s_mov_b32 s10, 0x46800000
	v_add_f32_e64 v5, |v3|, s10
; %bb.1842:
	s_or_b64 exec, exec, s[8:9]
                                        ; implicit-def: $vgpr8
.LBB22_1843:
	s_andn2_saveexec_b64 s[6:7], s[6:7]
; %bb.1844:
	s_mov_b32 s8, 0x7f800000
	v_mov_b32_e32 v5, 0x7e
	v_mov_b32_e32 v9, 0x7f
	v_cmp_lt_u32_e32 vcc, s8, v8
	s_nop 1
	v_cndmask_b32_e32 v5, v5, v9, vcc
; %bb.1845:
	s_or_b64 exec, exec, s[6:7]
	v_lshrrev_b32_e32 v3, 24, v3
	s_movk_i32 s6, 0x80
	v_and_or_b32 v3, v3, s6, v5
	global_store_byte v[6:7], v3, off
.LBB22_1846:
	s_mov_b64 s[6:7], 0
.LBB22_1847:
	s_andn2_b64 vcc, exec, s[6:7]
	s_cbranch_vccnz .LBB22_1857
; %bb.1848:
	v_bfe_i32 v3, v1, 0, 8
	v_cvt_f32_i32_sdwa v3, sext(v3) dst_sel:DWORD dst_unused:UNUSED_PAD src0_sel:WORD_0
	s_mov_b32 s6, 0x47800000
                                        ; implicit-def: $vgpr5
	v_and_b32_e32 v8, 0x7fffffff, v3
	v_cmp_gt_u32_e32 vcc, s6, v8
	s_and_saveexec_b64 s[6:7], vcc
	s_xor_b64 s[6:7], exec, s[6:7]
	s_cbranch_execz .LBB22_1854
; %bb.1849:
	s_mov_b32 s8, 0x387fffff
	v_cmp_lt_u32_e32 vcc, s8, v8
                                        ; implicit-def: $vgpr5
	s_and_saveexec_b64 s[8:9], vcc
	s_xor_b64 s[8:9], exec, s[8:9]
; %bb.1850:
	v_bfe_u32 v5, v3, 21, 1
	s_mov_b32 s10, 0x80fffff
	v_add3_u32 v5, v3, v5, s10
	v_lshrrev_b32_e32 v5, 21, v5
; %bb.1851:
	s_andn2_saveexec_b64 s[8:9], s[8:9]
; %bb.1852:
	s_mov_b32 s10, 0x43000000
	v_add_f32_e64 v5, |v3|, s10
; %bb.1853:
	s_or_b64 exec, exec, s[8:9]
                                        ; implicit-def: $vgpr8
.LBB22_1854:
	s_andn2_saveexec_b64 s[6:7], s[6:7]
; %bb.1855:
	s_mov_b32 s8, 0x7f800000
	v_mov_b32_e32 v5, 0x7c
	v_mov_b32_e32 v9, 0x7f
	v_cmp_lt_u32_e32 vcc, s8, v8
	s_nop 1
	v_cndmask_b32_e32 v5, v5, v9, vcc
; %bb.1856:
	s_or_b64 exec, exec, s[6:7]
	v_lshrrev_b32_e32 v3, 24, v3
	s_movk_i32 s6, 0x80
	v_and_or_b32 v3, v3, s6, v5
	global_store_byte v[6:7], v3, off
.LBB22_1857:
	s_mov_b64 s[6:7], 0
	s_mov_b64 s[8:9], -1
.LBB22_1858:
	s_andn2_b64 vcc, exec, s[6:7]
	s_mov_b64 s[6:7], 0
	s_cbranch_vccnz .LBB22_1865
; %bb.1859:
	s_cmp_gt_i32 s19, 14
	s_mov_b64 s[10:11], -1
	s_cbranch_scc0 .LBB22_1863
; %bb.1860:
	s_cmp_eq_u32 s19, 15
	s_mov_b64 s[0:1], -1
	s_cbranch_scc0 .LBB22_1862
; %bb.1861:
	v_bfe_i32 v3, v1, 0, 8
	v_cvt_f32_i32_sdwa v3, sext(v3) dst_sel:DWORD dst_unused:UNUSED_PAD src0_sel:WORD_0
	s_movk_i32 s6, 0x7fff
	s_mov_b64 s[0:1], 0
	s_mov_b64 s[8:9], -1
	v_bfe_u32 v5, v3, 16, 1
	v_add3_u32 v3, v3, v5, s6
	global_store_short_d16_hi v[6:7], v3, off
.LBB22_1862:
	s_mov_b64 s[10:11], 0
.LBB22_1863:
	s_mov_b64 s[6:7], 0
	s_and_b64 vcc, exec, s[10:11]
	s_cbranch_vccz .LBB22_1865
; %bb.1864:
	s_cmp_lg_u32 s19, 11
	s_mov_b64 s[6:7], -1
	s_cselect_b64 s[0:1], -1, 0
.LBB22_1865:
	s_and_b64 vcc, exec, s[0:1]
	s_cbranch_vccnz .LBB22_2001
; %bb.1866:
	s_andn2_b64 vcc, exec, s[6:7]
	s_cbranch_vccnz .LBB22_1868
.LBB22_1867:
	s_movk_i32 s0, 0xff
	v_cmp_ne_u16_sdwa s[0:1], v2, s0 src0_sel:BYTE_0 src1_sel:DWORD
	s_mov_b64 s[8:9], -1
	s_nop 0
	v_cndmask_b32_e64 v2, 0, 1, s[0:1]
	global_store_byte v[6:7], v2, off
.LBB22_1868:
	s_mov_b64 s[0:1], 0
	s_branch .LBB22_1870
.LBB22_1869:
	s_mov_b64 s[0:1], -1
	s_mov_b64 s[8:9], 0
.LBB22_1870:
	s_and_b64 vcc, exec, s[0:1]
	s_cbranch_vccz .LBB22_1909
; %bb.1871:
	s_and_b32 s6, 0xffff, s20
	s_cmp_lt_i32 s6, 5
	s_mov_b64 s[0:1], -1
	s_cbranch_scc1 .LBB22_1892
; %bb.1872:
	s_cmp_lt_i32 s6, 8
	s_cbranch_scc1 .LBB22_1882
; %bb.1873:
	s_cmp_lt_i32 s6, 9
	s_cbranch_scc1 .LBB22_1879
; %bb.1874:
	s_cmp_gt_i32 s6, 9
	s_cbranch_scc0 .LBB22_1876
; %bb.1875:
	v_bfe_i32 v2, v1, 0, 8
	v_bfe_i32 v2, v2, 0, 16
	v_mov_b32_e32 v10, 0
	v_cvt_f64_i32_e32 v[8:9], v2
	v_mov_b32_e32 v11, v10
	global_store_dwordx4 v[6:7], v[8:11], off
	s_mov_b64 s[0:1], 0
.LBB22_1876:
	s_andn2_b64 vcc, exec, s[0:1]
	s_cbranch_vccnz .LBB22_1878
; %bb.1877:
	v_bfe_i32 v2, v1, 0, 8
	v_cvt_f32_i32_sdwa v2, sext(v2) dst_sel:DWORD dst_unused:UNUSED_PAD src0_sel:WORD_0
	v_mov_b32_e32 v3, 0
	global_store_dwordx2 v[6:7], v[2:3], off
.LBB22_1878:
	s_mov_b64 s[0:1], 0
.LBB22_1879:
	s_andn2_b64 vcc, exec, s[0:1]
	s_cbranch_vccnz .LBB22_1881
; %bb.1880:
	v_cvt_f16_i16_sdwa v2, sext(v1) dst_sel:DWORD dst_unused:UNUSED_PAD src0_sel:BYTE_0
	global_store_dword v[6:7], v2, off
.LBB22_1881:
	s_mov_b64 s[0:1], 0
.LBB22_1882:
	s_andn2_b64 vcc, exec, s[0:1]
	s_cbranch_vccnz .LBB22_1891
; %bb.1883:
	s_cmp_lt_i32 s6, 6
	s_mov_b64 s[0:1], -1
	s_cbranch_scc1 .LBB22_1889
; %bb.1884:
	s_cmp_gt_i32 s6, 6
	s_cbranch_scc0 .LBB22_1886
; %bb.1885:
	v_bfe_i32 v2, v1, 0, 8
	v_bfe_i32 v2, v2, 0, 16
	v_cvt_f64_i32_e32 v[2:3], v2
	global_store_dwordx2 v[6:7], v[2:3], off
	s_mov_b64 s[0:1], 0
.LBB22_1886:
	s_andn2_b64 vcc, exec, s[0:1]
	s_cbranch_vccnz .LBB22_1888
; %bb.1887:
	v_bfe_i32 v2, v1, 0, 8
	v_cvt_f32_i32_sdwa v2, sext(v2) dst_sel:DWORD dst_unused:UNUSED_PAD src0_sel:WORD_0
	global_store_dword v[6:7], v2, off
.LBB22_1888:
	s_mov_b64 s[0:1], 0
.LBB22_1889:
	s_andn2_b64 vcc, exec, s[0:1]
	s_cbranch_vccnz .LBB22_1891
; %bb.1890:
	v_cvt_f16_i16_sdwa v2, sext(v1) dst_sel:DWORD dst_unused:UNUSED_PAD src0_sel:BYTE_0
	global_store_short v[6:7], v2, off
.LBB22_1891:
	s_mov_b64 s[0:1], 0
.LBB22_1892:
	s_andn2_b64 vcc, exec, s[0:1]
	s_cbranch_vccnz .LBB22_1908
; %bb.1893:
	s_cmp_lt_i32 s6, 2
	s_mov_b64 s[0:1], -1
	s_cbranch_scc1 .LBB22_1903
; %bb.1894:
	s_cmp_lt_i32 s6, 3
	s_cbranch_scc1 .LBB22_1900
; %bb.1895:
	s_cmp_gt_i32 s6, 3
	s_cbranch_scc0 .LBB22_1897
; %bb.1896:
	v_bfe_i32 v2, v1, 0, 8
	v_ashrrev_i32_e32 v3, 31, v2
	global_store_dwordx2 v[6:7], v[2:3], off
	s_mov_b64 s[0:1], 0
.LBB22_1897:
	s_andn2_b64 vcc, exec, s[0:1]
	s_cbranch_vccnz .LBB22_1899
; %bb.1898:
	v_bfe_i32 v2, v1, 0, 8
	global_store_dword v[6:7], v2, off
.LBB22_1899:
	s_mov_b64 s[0:1], 0
.LBB22_1900:
	s_andn2_b64 vcc, exec, s[0:1]
	s_cbranch_vccnz .LBB22_1902
; %bb.1901:
	v_bfe_i32 v2, v1, 0, 8
	global_store_short v[6:7], v2, off
.LBB22_1902:
	s_mov_b64 s[0:1], 0
.LBB22_1903:
	s_andn2_b64 vcc, exec, s[0:1]
	s_cbranch_vccnz .LBB22_1908
; %bb.1904:
	s_cmp_gt_i32 s6, 0
	s_mov_b64 s[0:1], -1
	s_cbranch_scc0 .LBB22_1906
; %bb.1905:
	global_store_byte v[6:7], v1, off
	s_mov_b64 s[0:1], 0
.LBB22_1906:
	s_andn2_b64 vcc, exec, s[0:1]
	s_cbranch_vccnz .LBB22_1908
; %bb.1907:
	global_store_byte v[6:7], v1, off
.LBB22_1908:
	s_mov_b64 s[8:9], -1
.LBB22_1909:
	s_andn2_b64 vcc, exec, s[8:9]
	s_cbranch_vccnz .LBB22_1986
; %bb.1910:
	v_add_u32_e32 v2, s18, v4
	v_ashrrev_i32_e32 v3, 31, v2
	v_xor_b32_e32 v1, -1, v0
	s_cmp_lt_i32 s20, 11
	v_lshl_add_u64 v[2:3], s[4:5], 0, v[2:3]
	s_cbranch_scc1 .LBB22_1987
; %bb.1911:
	s_and_b32 s16, 0xffff, s20
	s_mov_b64 s[6:7], -1
	s_mov_b64 s[4:5], 0
	s_cmp_gt_i32 s16, 25
	s_mov_b64 s[0:1], 0
	s_cbranch_scc0 .LBB22_1944
; %bb.1912:
	s_cmp_gt_i32 s16, 28
	s_cbranch_scc0 .LBB22_1928
; %bb.1913:
	s_cmp_gt_i32 s16, 43
	;; [unrolled: 3-line block ×3, first 2 shown]
	s_cbranch_scc0 .LBB22_1918
; %bb.1915:
	s_cmp_eq_u32 s16, 46
	s_mov_b64 s[0:1], -1
	s_cbranch_scc0 .LBB22_1917
; %bb.1916:
	v_bfe_i32 v4, v1, 0, 8
	v_cvt_f32_i32_sdwa v4, sext(v4) dst_sel:DWORD dst_unused:UNUSED_PAD src0_sel:WORD_0
	s_movk_i32 s0, 0x7fff
	v_bfe_u32 v5, v4, 16, 1
	v_add3_u32 v4, v4, v5, s0
	v_lshrrev_b32_e32 v4, 16, v4
	global_store_dword v[2:3], v4, off
	s_mov_b64 s[0:1], 0
.LBB22_1917:
	s_mov_b64 s[6:7], 0
.LBB22_1918:
	s_and_b64 vcc, exec, s[6:7]
	s_cbranch_vccz .LBB22_1923
; %bb.1919:
	s_cmp_eq_u32 s16, 44
	s_mov_b64 s[0:1], -1
	s_cbranch_scc0 .LBB22_1923
; %bb.1920:
	v_bfe_i32 v4, v1, 0, 8
	v_cvt_f32_i32_sdwa v4, sext(v4) dst_sel:DWORD dst_unused:UNUSED_PAD src0_sel:WORD_0
	s_movk_i32 s0, 0xff
	v_mov_b32_e32 v6, 0xff
	v_bfe_u32 v5, v4, 23, 8
	v_cmp_ne_u32_e32 vcc, s0, v5
	s_and_saveexec_b64 s[6:7], vcc
; %bb.1921:
	s_mov_b32 s0, 0x3fffff
	v_lshrrev_b32_e32 v6, 23, v4
	v_and_b32_e32 v7, 0x400000, v4
	v_and_or_b32 v4, v4, s0, v5
	v_cmp_ne_u32_e32 vcc, 0, v7
	v_cmp_ne_u32_e64 s[0:1], 0, v4
	s_and_b64 s[0:1], vcc, s[0:1]
	s_nop 0
	v_cndmask_b32_e64 v4, 0, 1, s[0:1]
	v_add_u32_e32 v6, v6, v4
; %bb.1922:
	s_or_b64 exec, exec, s[6:7]
	s_mov_b64 s[0:1], 0
	global_store_byte v[2:3], v6, off
.LBB22_1923:
	s_mov_b64 s[6:7], 0
.LBB22_1924:
	s_and_b64 vcc, exec, s[6:7]
	s_cbranch_vccz .LBB22_1927
; %bb.1925:
	s_cmp_eq_u32 s16, 29
	s_mov_b64 s[0:1], -1
	s_cbranch_scc0 .LBB22_1927
; %bb.1926:
	v_bfe_i32 v4, v1, 0, 8
	v_ashrrev_i32_e32 v5, 31, v4
	global_store_dwordx2 v[2:3], v[4:5], off
	s_mov_b64 s[0:1], 0
.LBB22_1927:
	s_mov_b64 s[6:7], 0
.LBB22_1928:
	s_and_b64 vcc, exec, s[6:7]
	s_cbranch_vccz .LBB22_1943
; %bb.1929:
	s_cmp_lt_i32 s16, 27
	s_mov_b64 s[6:7], -1
	s_cbranch_scc1 .LBB22_1935
; %bb.1930:
	s_cmp_gt_i32 s16, 27
	s_cbranch_scc0 .LBB22_1932
; %bb.1931:
	v_bfe_i32 v4, v1, 0, 8
	global_store_dword v[2:3], v4, off
	s_mov_b64 s[6:7], 0
.LBB22_1932:
	s_andn2_b64 vcc, exec, s[6:7]
	s_cbranch_vccnz .LBB22_1934
; %bb.1933:
	v_bfe_i32 v4, v1, 0, 8
	global_store_short v[2:3], v4, off
.LBB22_1934:
	s_mov_b64 s[6:7], 0
.LBB22_1935:
	s_andn2_b64 vcc, exec, s[6:7]
	s_cbranch_vccnz .LBB22_1943
; %bb.1936:
	v_bfe_i32 v4, v1, 0, 8
	v_cvt_f32_i32_sdwa v4, sext(v4) dst_sel:DWORD dst_unused:UNUSED_PAD src0_sel:WORD_0
	s_mov_b32 s6, 0x43800000
	v_mov_b32_e32 v6, 0x80
	v_and_b32_e32 v5, 0x7fffffff, v4
	v_cmp_gt_u32_e32 vcc, s6, v5
	s_and_saveexec_b64 s[6:7], vcc
	s_cbranch_execz .LBB22_1942
; %bb.1937:
	s_mov_b32 s8, 0x3bffffff
	v_cmp_lt_u32_e32 vcc, s8, v5
	s_mov_b64 s[8:9], 0
                                        ; implicit-def: $vgpr5
	s_and_saveexec_b64 s[10:11], vcc
	s_xor_b64 s[10:11], exec, s[10:11]
	s_cbranch_execz .LBB22_2004
; %bb.1938:
	v_bfe_u32 v5, v4, 20, 1
	s_mov_b32 s17, 0x487ffff
	v_add3_u32 v5, v4, v5, s17
	s_mov_b64 s[8:9], exec
	v_lshrrev_b32_e32 v5, 20, v5
	s_andn2_saveexec_b64 s[10:11], s[10:11]
	s_cbranch_execnz .LBB22_2005
.LBB22_1939:
	s_or_b64 exec, exec, s[10:11]
	v_mov_b32_e32 v6, 0
	s_and_saveexec_b64 s[10:11], s[8:9]
.LBB22_1940:
	v_lshrrev_b32_e32 v4, 24, v4
	s_movk_i32 s8, 0x80
	v_and_or_b32 v6, v4, s8, v5
.LBB22_1941:
	s_or_b64 exec, exec, s[10:11]
.LBB22_1942:
	s_or_b64 exec, exec, s[6:7]
	global_store_byte v[2:3], v6, off
.LBB22_1943:
	s_mov_b64 s[6:7], 0
.LBB22_1944:
	s_and_b64 vcc, exec, s[6:7]
	s_cbranch_vccz .LBB22_1984
; %bb.1945:
	s_cmp_gt_i32 s16, 22
	s_mov_b64 s[4:5], -1
	s_cbranch_scc0 .LBB22_1977
; %bb.1946:
	s_cmp_lt_i32 s16, 24
	s_cbranch_scc1 .LBB22_1966
; %bb.1947:
	s_cmp_gt_i32 s16, 24
	s_cbranch_scc0 .LBB22_1955
; %bb.1948:
	v_bfe_i32 v4, v1, 0, 8
	v_cvt_f32_i32_sdwa v4, sext(v4) dst_sel:DWORD dst_unused:UNUSED_PAD src0_sel:WORD_0
	s_mov_b32 s4, 0x47800000
	v_mov_b32_e32 v6, 0x80
	v_and_b32_e32 v5, 0x7fffffff, v4
	v_cmp_gt_u32_e32 vcc, s4, v5
	s_and_saveexec_b64 s[4:5], vcc
	s_cbranch_execz .LBB22_1954
; %bb.1949:
	s_mov_b32 s6, 0x37ffffff
	v_cmp_lt_u32_e32 vcc, s6, v5
	s_mov_b64 s[6:7], 0
                                        ; implicit-def: $vgpr5
	s_and_saveexec_b64 s[8:9], vcc
	s_xor_b64 s[8:9], exec, s[8:9]
	s_cbranch_execz .LBB22_2007
; %bb.1950:
	v_bfe_u32 v5, v4, 21, 1
	s_mov_b32 s10, 0x88fffff
	v_add3_u32 v5, v4, v5, s10
	s_mov_b64 s[6:7], exec
	v_lshrrev_b32_e32 v5, 21, v5
	s_andn2_saveexec_b64 s[8:9], s[8:9]
	s_cbranch_execnz .LBB22_2008
.LBB22_1951:
	s_or_b64 exec, exec, s[8:9]
	v_mov_b32_e32 v6, 0
	s_and_saveexec_b64 s[8:9], s[6:7]
.LBB22_1952:
	v_lshrrev_b32_e32 v4, 24, v4
	s_movk_i32 s6, 0x80
	v_and_or_b32 v6, v4, s6, v5
.LBB22_1953:
	s_or_b64 exec, exec, s[8:9]
.LBB22_1954:
	s_or_b64 exec, exec, s[4:5]
	s_mov_b64 s[4:5], 0
	global_store_byte v[2:3], v6, off
.LBB22_1955:
	s_and_b64 vcc, exec, s[4:5]
	s_cbranch_vccz .LBB22_1965
; %bb.1956:
	v_bfe_i32 v4, v1, 0, 8
	v_cvt_f32_i32_sdwa v4, sext(v4) dst_sel:DWORD dst_unused:UNUSED_PAD src0_sel:WORD_0
	s_mov_b32 s4, 0x43f00000
                                        ; implicit-def: $vgpr5
	v_and_b32_e32 v6, 0x7fffffff, v4
	v_cmp_gt_u32_e32 vcc, s4, v6
	s_and_saveexec_b64 s[4:5], vcc
	s_xor_b64 s[4:5], exec, s[4:5]
	s_cbranch_execz .LBB22_1962
; %bb.1957:
	s_mov_b32 s6, 0x3c7fffff
	v_cmp_lt_u32_e32 vcc, s6, v6
                                        ; implicit-def: $vgpr5
	s_and_saveexec_b64 s[6:7], vcc
	s_xor_b64 s[6:7], exec, s[6:7]
; %bb.1958:
	v_bfe_u32 v5, v4, 20, 1
	s_mov_b32 s8, 0x407ffff
	v_add3_u32 v5, v4, v5, s8
	v_lshrrev_b32_e32 v6, 20, v5
	v_and_b32_e32 v5, 0xff00000, v5
	s_mov_b32 s8, 0x7f00000
	v_mov_b32_e32 v7, 0x7e
	v_cmp_ne_u32_e32 vcc, s8, v5
	s_nop 1
	v_cndmask_b32_e32 v5, v7, v6, vcc
; %bb.1959:
	s_andn2_saveexec_b64 s[6:7], s[6:7]
; %bb.1960:
	s_mov_b32 s8, 0x46800000
	v_add_f32_e64 v5, |v4|, s8
; %bb.1961:
	s_or_b64 exec, exec, s[6:7]
                                        ; implicit-def: $vgpr6
.LBB22_1962:
	s_andn2_saveexec_b64 s[4:5], s[4:5]
; %bb.1963:
	s_mov_b32 s6, 0x7f800000
	v_mov_b32_e32 v5, 0x7e
	v_mov_b32_e32 v7, 0x7f
	v_cmp_lt_u32_e32 vcc, s6, v6
	s_nop 1
	v_cndmask_b32_e32 v5, v5, v7, vcc
; %bb.1964:
	s_or_b64 exec, exec, s[4:5]
	v_lshrrev_b32_e32 v4, 24, v4
	s_movk_i32 s4, 0x80
	v_and_or_b32 v4, v4, s4, v5
	global_store_byte v[2:3], v4, off
.LBB22_1965:
	s_mov_b64 s[4:5], 0
.LBB22_1966:
	s_andn2_b64 vcc, exec, s[4:5]
	s_cbranch_vccnz .LBB22_1976
; %bb.1967:
	v_bfe_i32 v4, v1, 0, 8
	v_cvt_f32_i32_sdwa v4, sext(v4) dst_sel:DWORD dst_unused:UNUSED_PAD src0_sel:WORD_0
	s_mov_b32 s4, 0x47800000
                                        ; implicit-def: $vgpr5
	v_and_b32_e32 v6, 0x7fffffff, v4
	v_cmp_gt_u32_e32 vcc, s4, v6
	s_and_saveexec_b64 s[4:5], vcc
	s_xor_b64 s[4:5], exec, s[4:5]
	s_cbranch_execz .LBB22_1973
; %bb.1968:
	s_mov_b32 s6, 0x387fffff
	v_cmp_lt_u32_e32 vcc, s6, v6
                                        ; implicit-def: $vgpr5
	s_and_saveexec_b64 s[6:7], vcc
	s_xor_b64 s[6:7], exec, s[6:7]
; %bb.1969:
	v_bfe_u32 v5, v4, 21, 1
	s_mov_b32 s8, 0x80fffff
	v_add3_u32 v5, v4, v5, s8
	v_lshrrev_b32_e32 v5, 21, v5
; %bb.1970:
	s_andn2_saveexec_b64 s[6:7], s[6:7]
; %bb.1971:
	s_mov_b32 s8, 0x43000000
	v_add_f32_e64 v5, |v4|, s8
; %bb.1972:
	s_or_b64 exec, exec, s[6:7]
                                        ; implicit-def: $vgpr6
.LBB22_1973:
	s_andn2_saveexec_b64 s[4:5], s[4:5]
; %bb.1974:
	s_mov_b32 s6, 0x7f800000
	v_mov_b32_e32 v5, 0x7c
	v_mov_b32_e32 v7, 0x7f
	v_cmp_lt_u32_e32 vcc, s6, v6
	s_nop 1
	v_cndmask_b32_e32 v5, v5, v7, vcc
; %bb.1975:
	s_or_b64 exec, exec, s[4:5]
	v_lshrrev_b32_e32 v4, 24, v4
	s_movk_i32 s4, 0x80
	v_and_or_b32 v4, v4, s4, v5
	global_store_byte v[2:3], v4, off
.LBB22_1976:
	s_mov_b64 s[4:5], 0
.LBB22_1977:
	s_andn2_b64 vcc, exec, s[4:5]
	s_mov_b64 s[4:5], 0
	s_cbranch_vccnz .LBB22_1984
; %bb.1978:
	s_cmp_gt_i32 s16, 14
	s_mov_b64 s[6:7], -1
	s_cbranch_scc0 .LBB22_1982
; %bb.1979:
	s_cmp_eq_u32 s16, 15
	s_mov_b64 s[0:1], -1
	s_cbranch_scc0 .LBB22_1981
; %bb.1980:
	v_bfe_i32 v4, v1, 0, 8
	v_cvt_f32_i32_sdwa v4, sext(v4) dst_sel:DWORD dst_unused:UNUSED_PAD src0_sel:WORD_0
	s_movk_i32 s0, 0x7fff
	v_bfe_u32 v5, v4, 16, 1
	v_add3_u32 v4, v4, v5, s0
	global_store_short_d16_hi v[2:3], v4, off
	s_mov_b64 s[0:1], 0
.LBB22_1981:
	s_mov_b64 s[6:7], 0
.LBB22_1982:
	s_and_b64 vcc, exec, s[6:7]
	s_cbranch_vccz .LBB22_1984
; %bb.1983:
	s_cmp_lg_u32 s16, 11
	s_mov_b64 s[4:5], -1
	s_cselect_b64 s[0:1], -1, 0
.LBB22_1984:
	s_and_b64 vcc, exec, s[0:1]
	s_cbranch_vccnz .LBB22_2006
.LBB22_1985:
	s_mov_b64 s[0:1], 0
	s_branch .LBB22_1395
.LBB22_1986:
	s_mov_b64 s[0:1], 0
                                        ; implicit-def: $sgpr20
                                        ; implicit-def: $vgpr2_vgpr3
                                        ; implicit-def: $vgpr1
	s_branch .LBB22_1394
.LBB22_1987:
	s_mov_b64 s[4:5], 0
	s_mov_b64 s[0:1], -1
	s_branch .LBB22_1395
.LBB22_1988:
	s_trap 2
	s_or_b64 s[14:15], s[14:15], exec
	s_cbranch_execz .LBB22_1501
	s_branch .LBB22_1502
.LBB22_1989:
	s_andn2_saveexec_b64 s[18:19], s[18:19]
	s_cbranch_execz .LBB22_1581
.LBB22_1990:
	s_mov_b32 s21, 0x46000000
	v_add_f32_e64 v5, |v3|, s21
	v_and_b32_e32 v5, 0xff, v5
	v_cmp_ne_u32_e32 vcc, 0, v5
	s_andn2_b64 s[16:17], s[16:17], exec
	s_and_b64 s[22:23], vcc, exec
	s_or_b64 s[16:17], s[16:17], s[22:23]
	s_or_b64 exec, exec, s[18:19]
	v_mov_b32_e32 v7, 0
	s_and_saveexec_b64 s[18:19], s[16:17]
	s_cbranch_execnz .LBB22_1582
	s_branch .LBB22_1583
.LBB22_1991:
	s_trap 2
	s_or_b64 s[14:15], s[14:15], exec
	s_cbranch_execz .LBB22_1629
	s_branch .LBB22_1630
.LBB22_1992:
	s_andn2_saveexec_b64 s[16:17], s[16:17]
	s_cbranch_execz .LBB22_1594
.LBB22_1993:
	s_mov_b32 s18, 0x42800000
	v_add_f32_e64 v5, |v3|, s18
	v_and_b32_e32 v5, 0xff, v5
	v_cmp_ne_u32_e32 vcc, 0, v5
	s_andn2_b64 s[10:11], s[10:11], exec
	s_and_b64 s[18:19], vcc, exec
	s_or_b64 s[10:11], s[10:11], s[18:19]
	s_or_b64 exec, exec, s[16:17]
	v_mov_b32_e32 v7, 0
	s_and_saveexec_b64 s[16:17], s[10:11]
	s_cbranch_execnz .LBB22_1595
	s_branch .LBB22_1596
.LBB22_1994:
	s_andn2_saveexec_b64 s[16:17], s[16:17]
	s_cbranch_execz .LBB22_1700
.LBB22_1995:
	s_mov_b32 s21, 0x46000000
	v_add_f32_e64 v5, |v3|, s21
	v_and_b32_e32 v5, 0xff, v5
	v_cmp_ne_u32_e32 vcc, 0, v5
	s_andn2_b64 s[10:11], s[10:11], exec
	s_and_b64 s[22:23], vcc, exec
	s_or_b64 s[10:11], s[10:11], s[22:23]
	s_or_b64 exec, exec, s[16:17]
	v_mov_b32_e32 v7, 0
	s_and_saveexec_b64 s[16:17], s[10:11]
	s_cbranch_execnz .LBB22_1701
	s_branch .LBB22_1702
.LBB22_1996:
	s_trap 2
	s_or_b64 s[14:15], s[14:15], exec
	s_cbranch_execz .LBB22_1748
	s_branch .LBB22_1749
.LBB22_1997:
	s_andn2_saveexec_b64 s[10:11], s[10:11]
	s_cbranch_execz .LBB22_1713
.LBB22_1998:
	s_mov_b32 s16, 0x42800000
	v_add_f32_e64 v5, |v3|, s16
	v_and_b32_e32 v5, 0xff, v5
	v_cmp_ne_u32_e32 vcc, 0, v5
	s_andn2_b64 s[8:9], s[8:9], exec
	s_and_b64 s[16:17], vcc, exec
	s_or_b64 s[8:9], s[8:9], s[16:17]
	s_or_b64 exec, exec, s[10:11]
	v_mov_b32_e32 v7, 0
	s_and_saveexec_b64 s[10:11], s[8:9]
	s_cbranch_execnz .LBB22_1714
	s_branch .LBB22_1715
.LBB22_1999:
	s_andn2_saveexec_b64 s[16:17], s[16:17]
	s_cbranch_execz .LBB22_1819
.LBB22_2000:
	s_mov_b32 s21, 0x46000000
	v_add_f32_e64 v5, |v3|, s21
	v_and_b32_e32 v5, 0xff, v5
	v_cmp_ne_u32_e32 vcc, 0, v5
	s_andn2_b64 s[10:11], s[10:11], exec
	s_and_b64 s[22:23], vcc, exec
	s_or_b64 s[10:11], s[10:11], s[22:23]
	s_or_b64 exec, exec, s[16:17]
	v_mov_b32_e32 v8, 0
	s_and_saveexec_b64 s[16:17], s[10:11]
	s_cbranch_execnz .LBB22_1820
	s_branch .LBB22_1821
.LBB22_2001:
	s_trap 2
	s_or_b64 s[14:15], s[14:15], exec
	s_cbranch_execz .LBB22_1867
	s_branch .LBB22_1868
.LBB22_2002:
	s_andn2_saveexec_b64 s[10:11], s[10:11]
	s_cbranch_execz .LBB22_1832
.LBB22_2003:
	s_mov_b32 s16, 0x42800000
	v_add_f32_e64 v5, |v3|, s16
	v_and_b32_e32 v5, 0xff, v5
	v_cmp_ne_u32_e32 vcc, 0, v5
	s_andn2_b64 s[8:9], s[8:9], exec
	s_and_b64 s[16:17], vcc, exec
	s_or_b64 s[8:9], s[8:9], s[16:17]
	s_or_b64 exec, exec, s[10:11]
	v_mov_b32_e32 v8, 0
	s_and_saveexec_b64 s[10:11], s[8:9]
	s_cbranch_execnz .LBB22_1833
	s_branch .LBB22_1834
.LBB22_2004:
	s_andn2_saveexec_b64 s[10:11], s[10:11]
	s_cbranch_execz .LBB22_1939
.LBB22_2005:
	s_mov_b32 s17, 0x46000000
	v_add_f32_e64 v5, |v4|, s17
	v_and_b32_e32 v5, 0xff, v5
	v_cmp_ne_u32_e32 vcc, 0, v5
	s_andn2_b64 s[8:9], s[8:9], exec
	s_and_b64 s[18:19], vcc, exec
	s_or_b64 s[8:9], s[8:9], s[18:19]
	s_or_b64 exec, exec, s[10:11]
	v_mov_b32_e32 v6, 0
	s_and_saveexec_b64 s[10:11], s[8:9]
	s_cbranch_execnz .LBB22_1940
	s_branch .LBB22_1941
.LBB22_2006:
	s_mov_b64 s[4:5], 0
	s_or_b64 s[14:15], s[14:15], exec
	s_trap 2
	s_branch .LBB22_1985
.LBB22_2007:
	s_andn2_saveexec_b64 s[8:9], s[8:9]
	s_cbranch_execz .LBB22_1951
.LBB22_2008:
	s_mov_b32 s10, 0x42800000
	v_add_f32_e64 v5, |v4|, s10
	v_and_b32_e32 v5, 0xff, v5
	v_cmp_ne_u32_e32 vcc, 0, v5
	s_andn2_b64 s[6:7], s[6:7], exec
	s_and_b64 s[10:11], vcc, exec
	s_or_b64 s[6:7], s[6:7], s[10:11]
	s_or_b64 exec, exec, s[8:9]
	v_mov_b32_e32 v6, 0
	s_and_saveexec_b64 s[8:9], s[6:7]
	s_cbranch_execnz .LBB22_1952
	s_branch .LBB22_1953
	.section	.rodata,"a",@progbits
	.p2align	6, 0x0
	.amdhsa_kernel _ZN2at6native32elementwise_kernel_manual_unrollILi128ELi4EZNS0_15gpu_kernel_implIZZZNS0_23bitwise_not_kernel_cudaERNS_18TensorIteratorBaseEENKUlvE_clEvENKUlvE0_clEvEUlaE_EEvS4_RKT_EUlibE_EEviT1_
		.amdhsa_group_segment_fixed_size 0
		.amdhsa_private_segment_fixed_size 0
		.amdhsa_kernarg_size 40
		.amdhsa_user_sgpr_count 2
		.amdhsa_user_sgpr_dispatch_ptr 0
		.amdhsa_user_sgpr_queue_ptr 0
		.amdhsa_user_sgpr_kernarg_segment_ptr 1
		.amdhsa_user_sgpr_dispatch_id 0
		.amdhsa_user_sgpr_kernarg_preload_length 0
		.amdhsa_user_sgpr_kernarg_preload_offset 0
		.amdhsa_user_sgpr_private_segment_size 0
		.amdhsa_uses_dynamic_stack 0
		.amdhsa_enable_private_segment 0
		.amdhsa_system_sgpr_workgroup_id_x 1
		.amdhsa_system_sgpr_workgroup_id_y 0
		.amdhsa_system_sgpr_workgroup_id_z 0
		.amdhsa_system_sgpr_workgroup_info 0
		.amdhsa_system_vgpr_workitem_id 0
		.amdhsa_next_free_vgpr 16
		.amdhsa_next_free_sgpr 46
		.amdhsa_accum_offset 16
		.amdhsa_reserve_vcc 1
		.amdhsa_float_round_mode_32 0
		.amdhsa_float_round_mode_16_64 0
		.amdhsa_float_denorm_mode_32 3
		.amdhsa_float_denorm_mode_16_64 3
		.amdhsa_dx10_clamp 1
		.amdhsa_ieee_mode 1
		.amdhsa_fp16_overflow 0
		.amdhsa_tg_split 0
		.amdhsa_exception_fp_ieee_invalid_op 0
		.amdhsa_exception_fp_denorm_src 0
		.amdhsa_exception_fp_ieee_div_zero 0
		.amdhsa_exception_fp_ieee_overflow 0
		.amdhsa_exception_fp_ieee_underflow 0
		.amdhsa_exception_fp_ieee_inexact 0
		.amdhsa_exception_int_div_zero 0
	.end_amdhsa_kernel
	.section	.text._ZN2at6native32elementwise_kernel_manual_unrollILi128ELi4EZNS0_15gpu_kernel_implIZZZNS0_23bitwise_not_kernel_cudaERNS_18TensorIteratorBaseEENKUlvE_clEvENKUlvE0_clEvEUlaE_EEvS4_RKT_EUlibE_EEviT1_,"axG",@progbits,_ZN2at6native32elementwise_kernel_manual_unrollILi128ELi4EZNS0_15gpu_kernel_implIZZZNS0_23bitwise_not_kernel_cudaERNS_18TensorIteratorBaseEENKUlvE_clEvENKUlvE0_clEvEUlaE_EEvS4_RKT_EUlibE_EEviT1_,comdat
.Lfunc_end22:
	.size	_ZN2at6native32elementwise_kernel_manual_unrollILi128ELi4EZNS0_15gpu_kernel_implIZZZNS0_23bitwise_not_kernel_cudaERNS_18TensorIteratorBaseEENKUlvE_clEvENKUlvE0_clEvEUlaE_EEvS4_RKT_EUlibE_EEviT1_, .Lfunc_end22-_ZN2at6native32elementwise_kernel_manual_unrollILi128ELi4EZNS0_15gpu_kernel_implIZZZNS0_23bitwise_not_kernel_cudaERNS_18TensorIteratorBaseEENKUlvE_clEvENKUlvE0_clEvEUlaE_EEvS4_RKT_EUlibE_EEviT1_
                                        ; -- End function
	.set _ZN2at6native32elementwise_kernel_manual_unrollILi128ELi4EZNS0_15gpu_kernel_implIZZZNS0_23bitwise_not_kernel_cudaERNS_18TensorIteratorBaseEENKUlvE_clEvENKUlvE0_clEvEUlaE_EEvS4_RKT_EUlibE_EEviT1_.num_vgpr, 16
	.set _ZN2at6native32elementwise_kernel_manual_unrollILi128ELi4EZNS0_15gpu_kernel_implIZZZNS0_23bitwise_not_kernel_cudaERNS_18TensorIteratorBaseEENKUlvE_clEvENKUlvE0_clEvEUlaE_EEvS4_RKT_EUlibE_EEviT1_.num_agpr, 0
	.set _ZN2at6native32elementwise_kernel_manual_unrollILi128ELi4EZNS0_15gpu_kernel_implIZZZNS0_23bitwise_not_kernel_cudaERNS_18TensorIteratorBaseEENKUlvE_clEvENKUlvE0_clEvEUlaE_EEvS4_RKT_EUlibE_EEviT1_.numbered_sgpr, 46
	.set _ZN2at6native32elementwise_kernel_manual_unrollILi128ELi4EZNS0_15gpu_kernel_implIZZZNS0_23bitwise_not_kernel_cudaERNS_18TensorIteratorBaseEENKUlvE_clEvENKUlvE0_clEvEUlaE_EEvS4_RKT_EUlibE_EEviT1_.num_named_barrier, 0
	.set _ZN2at6native32elementwise_kernel_manual_unrollILi128ELi4EZNS0_15gpu_kernel_implIZZZNS0_23bitwise_not_kernel_cudaERNS_18TensorIteratorBaseEENKUlvE_clEvENKUlvE0_clEvEUlaE_EEvS4_RKT_EUlibE_EEviT1_.private_seg_size, 0
	.set _ZN2at6native32elementwise_kernel_manual_unrollILi128ELi4EZNS0_15gpu_kernel_implIZZZNS0_23bitwise_not_kernel_cudaERNS_18TensorIteratorBaseEENKUlvE_clEvENKUlvE0_clEvEUlaE_EEvS4_RKT_EUlibE_EEviT1_.uses_vcc, 1
	.set _ZN2at6native32elementwise_kernel_manual_unrollILi128ELi4EZNS0_15gpu_kernel_implIZZZNS0_23bitwise_not_kernel_cudaERNS_18TensorIteratorBaseEENKUlvE_clEvENKUlvE0_clEvEUlaE_EEvS4_RKT_EUlibE_EEviT1_.uses_flat_scratch, 0
	.set _ZN2at6native32elementwise_kernel_manual_unrollILi128ELi4EZNS0_15gpu_kernel_implIZZZNS0_23bitwise_not_kernel_cudaERNS_18TensorIteratorBaseEENKUlvE_clEvENKUlvE0_clEvEUlaE_EEvS4_RKT_EUlibE_EEviT1_.has_dyn_sized_stack, 0
	.set _ZN2at6native32elementwise_kernel_manual_unrollILi128ELi4EZNS0_15gpu_kernel_implIZZZNS0_23bitwise_not_kernel_cudaERNS_18TensorIteratorBaseEENKUlvE_clEvENKUlvE0_clEvEUlaE_EEvS4_RKT_EUlibE_EEviT1_.has_recursion, 0
	.set _ZN2at6native32elementwise_kernel_manual_unrollILi128ELi4EZNS0_15gpu_kernel_implIZZZNS0_23bitwise_not_kernel_cudaERNS_18TensorIteratorBaseEENKUlvE_clEvENKUlvE0_clEvEUlaE_EEvS4_RKT_EUlibE_EEviT1_.has_indirect_call, 0
	.section	.AMDGPU.csdata,"",@progbits
; Kernel info:
; codeLenInByte = 31088
; TotalNumSgprs: 52
; NumVgprs: 16
; NumAgprs: 0
; TotalNumVgprs: 16
; ScratchSize: 0
; MemoryBound: 1
; FloatMode: 240
; IeeeMode: 1
; LDSByteSize: 0 bytes/workgroup (compile time only)
; SGPRBlocks: 6
; VGPRBlocks: 1
; NumSGPRsForWavesPerEU: 52
; NumVGPRsForWavesPerEU: 16
; AccumOffset: 16
; Occupancy: 8
; WaveLimiterHint : 0
; COMPUTE_PGM_RSRC2:SCRATCH_EN: 0
; COMPUTE_PGM_RSRC2:USER_SGPR: 2
; COMPUTE_PGM_RSRC2:TRAP_HANDLER: 0
; COMPUTE_PGM_RSRC2:TGID_X_EN: 1
; COMPUTE_PGM_RSRC2:TGID_Y_EN: 0
; COMPUTE_PGM_RSRC2:TGID_Z_EN: 0
; COMPUTE_PGM_RSRC2:TIDIG_COMP_CNT: 0
; COMPUTE_PGM_RSRC3_GFX90A:ACCUM_OFFSET: 3
; COMPUTE_PGM_RSRC3_GFX90A:TG_SPLIT: 0
	.section	.text._ZN2at6native32elementwise_kernel_manual_unrollILi128ELi4EZNS0_15gpu_kernel_implIZZZNS0_23bitwise_not_kernel_cudaERNS_18TensorIteratorBaseEENKUlvE_clEvENKUlvE0_clEvEUlaE_EEvS4_RKT_EUlibE0_EEviT1_,"axG",@progbits,_ZN2at6native32elementwise_kernel_manual_unrollILi128ELi4EZNS0_15gpu_kernel_implIZZZNS0_23bitwise_not_kernel_cudaERNS_18TensorIteratorBaseEENKUlvE_clEvENKUlvE0_clEvEUlaE_EEvS4_RKT_EUlibE0_EEviT1_,comdat
	.globl	_ZN2at6native32elementwise_kernel_manual_unrollILi128ELi4EZNS0_15gpu_kernel_implIZZZNS0_23bitwise_not_kernel_cudaERNS_18TensorIteratorBaseEENKUlvE_clEvENKUlvE0_clEvEUlaE_EEvS4_RKT_EUlibE0_EEviT1_ ; -- Begin function _ZN2at6native32elementwise_kernel_manual_unrollILi128ELi4EZNS0_15gpu_kernel_implIZZZNS0_23bitwise_not_kernel_cudaERNS_18TensorIteratorBaseEENKUlvE_clEvENKUlvE0_clEvEUlaE_EEvS4_RKT_EUlibE0_EEviT1_
	.p2align	8
	.type	_ZN2at6native32elementwise_kernel_manual_unrollILi128ELi4EZNS0_15gpu_kernel_implIZZZNS0_23bitwise_not_kernel_cudaERNS_18TensorIteratorBaseEENKUlvE_clEvENKUlvE0_clEvEUlaE_EEvS4_RKT_EUlibE0_EEviT1_,@function
_ZN2at6native32elementwise_kernel_manual_unrollILi128ELi4EZNS0_15gpu_kernel_implIZZZNS0_23bitwise_not_kernel_cudaERNS_18TensorIteratorBaseEENKUlvE_clEvENKUlvE0_clEvEUlaE_EEvS4_RKT_EUlibE0_EEviT1_: ; @_ZN2at6native32elementwise_kernel_manual_unrollILi128ELi4EZNS0_15gpu_kernel_implIZZZNS0_23bitwise_not_kernel_cudaERNS_18TensorIteratorBaseEENKUlvE_clEvENKUlvE0_clEvEUlaE_EEvS4_RKT_EUlibE0_EEviT1_
; %bb.0:
	s_load_dword s70, s[0:1], 0x0
	s_load_dword s33, s[0:1], 0x8
	s_add_u32 s34, s0, 8
	s_addc_u32 s35, s1, 0
	v_lshl_or_b32 v9, s2, 9, v0
	v_or_b32_e32 v16, 0x180, v9
	s_waitcnt lgkmcnt(0)
	s_add_i32 s72, s33, -1
	s_cmp_gt_u32 s72, 1
	v_cmp_le_i32_e32 vcc, s70, v16
	s_cselect_b64 s[42:43], -1, 0
	s_mov_b64 s[40:41], 0
	s_mov_b64 s[24:25], 0
	s_and_saveexec_b64 s[2:3], vcc
	s_xor_b64 s[44:45], exec, s[2:3]
	s_cbranch_execz .LBB23_1074
; %bb.1:
	v_mov_b32_e32 v0, 0
	global_load_ushort v0, v0, s[34:35] offset:345
	s_load_dwordx4 s[28:31], s[34:35], 0x4
	s_load_dwordx2 s[46:47], s[34:35], 0x14
	s_load_dwordx4 s[24:27], s[34:35], 0xc4
	s_load_dwordx4 s[20:23], s[34:35], 0x148
	s_cmp_lg_u32 s33, 0
	s_cselect_b64 s[52:53], -1, 0
	s_add_u32 s50, s34, 0xc4
	s_addc_u32 s51, s35, 0
	s_min_u32 s75, s72, 15
	s_cmp_gt_u32 s33, 1
	s_cselect_b64 s[48:49], -1, 0
	v_cmp_gt_i32_e32 vcc, s70, v9
	s_mov_b64 s[4:5], -1
	s_mov_b64 s[62:63], 0
	s_mov_b64 s[56:57], 0
	;; [unrolled: 1-line block ×3, first 2 shown]
	s_waitcnt vmcnt(0)
	v_readfirstlane_b32 s73, v0
	s_and_b32 s2, 0xffff, s73
	s_lshr_b32 s74, s2, 8
	s_and_saveexec_b64 s[58:59], vcc
	s_cbranch_execz .LBB23_263
; %bb.2:
	s_andn2_b64 vcc, exec, s[42:43]
	s_cbranch_vccnz .LBB23_8
; %bb.3:
	s_andn2_b64 vcc, exec, s[52:53]
	s_cbranch_vccnz .LBB23_9
; %bb.4:
	s_add_i32 s57, s75, 1
	s_cmp_eq_u32 s72, 2
	s_cbranch_scc1 .LBB23_10
; %bb.5:
	s_and_b32 s56, s57, 28
	s_mov_b32 s60, 0
	v_mov_b32_e32 v2, 0
	v_mov_b32_e32 v0, 0
	s_mov_b64 s[2:3], s[34:35]
	s_mov_b64 s[54:55], s[50:51]
	v_mov_b32_e32 v4, v9
.LBB23_6:                               ; =>This Inner Loop Header: Depth=1
	s_load_dwordx8 s[12:19], s[2:3], 0x4
	s_load_dwordx4 s[36:39], s[2:3], 0x24
	s_load_dwordx8 s[4:11], s[54:55], 0x0
	s_add_u32 s2, s2, 48
	s_addc_u32 s3, s3, 0
	s_waitcnt lgkmcnt(0)
	v_mul_hi_u32 v1, s13, v4
	v_add_u32_e32 v1, v4, v1
	v_lshrrev_b32_e32 v1, s14, v1
	v_mul_lo_u32 v3, v1, s12
	v_mul_hi_u32 v5, s16, v1
	v_sub_u32_e32 v3, v4, v3
	v_add_u32_e32 v4, v1, v5
	v_lshrrev_b32_e32 v4, s17, v4
	v_mul_lo_u32 v6, v4, s15
	v_mul_hi_u32 v7, s19, v4
	v_sub_u32_e32 v1, v1, v6
	v_add_u32_e32 v6, v4, v7
	v_mul_lo_u32 v5, v3, s5
	v_mul_lo_u32 v3, v3, s4
	;; [unrolled: 1-line block ×4, first 2 shown]
	v_lshrrev_b32_e32 v6, s36, v6
	v_add3_u32 v1, v3, v2, v1
	v_mul_hi_u32 v3, s38, v6
	v_mul_lo_u32 v2, v6, s18
	v_add_u32_e32 v3, v6, v3
	v_sub_u32_e32 v2, v4, v2
	v_lshrrev_b32_e32 v4, s39, v3
	s_add_i32 s60, s60, 4
	v_mul_lo_u32 v3, v4, s37
	s_add_u32 s54, s54, 32
	v_sub_u32_e32 v3, v6, v3
	s_addc_u32 s55, s55, 0
	v_add3_u32 v0, v5, v0, v7
	v_mul_lo_u32 v5, v2, s8
	v_mul_lo_u32 v2, v2, s9
	;; [unrolled: 1-line block ×4, first 2 shown]
	s_cmp_lg_u32 s56, s60
	v_add3_u32 v0, v2, v0, v3
	v_add3_u32 v2, v5, v1, v6
	s_cbranch_scc1 .LBB23_6
; %bb.7:
	v_mov_b32_e32 v1, v0
	s_branch .LBB23_11
.LBB23_8:
                                        ; implicit-def: $vgpr0
                                        ; implicit-def: $vgpr2
	s_branch .LBB23_15
.LBB23_9:
	v_mov_b32_e32 v0, 0
	v_mov_b32_e32 v2, 0
	s_branch .LBB23_14
.LBB23_10:
	v_mov_b32_e32 v2, 0
	s_mov_b32 s56, 0
	v_mov_b32_e32 v1, v2
                                        ; implicit-def: $vgpr0
	v_mov_b32_e32 v4, v9
.LBB23_11:
	s_and_b32 s6, s57, 3
	s_cmp_eq_u32 s6, 0
	s_cbranch_scc1 .LBB23_14
; %bb.12:
	s_lshl_b32 s2, s56, 3
	s_add_u32 s2, s34, s2
	s_addc_u32 s3, s35, 0
	s_add_u32 s2, s2, 0xc4
	s_addc_u32 s3, s3, 0
	s_mul_i32 s4, s56, 12
	s_add_u32 s4, s34, s4
	s_addc_u32 s5, s35, 0
.LBB23_13:                              ; =>This Inner Loop Header: Depth=1
	s_load_dwordx2 s[8:9], s[4:5], 0x4
	s_load_dword s7, s[4:5], 0xc
	s_load_dwordx2 s[10:11], s[2:3], 0x0
	v_mov_b32_e32 v0, v1
	s_add_u32 s4, s4, 12
	s_waitcnt lgkmcnt(0)
	v_mul_hi_u32 v1, s9, v4
	v_add_u32_e32 v1, v4, v1
	v_lshrrev_b32_e32 v1, s7, v1
	s_addc_u32 s5, s5, 0
	v_mul_lo_u32 v3, v1, s8
	s_add_u32 s2, s2, 8
	v_sub_u32_e32 v3, v4, v3
	s_addc_u32 s3, s3, 0
	s_add_i32 s6, s6, -1
	v_mov_b32_e32 v4, v1
	v_mad_u64_u32 v[0:1], s[8:9], v3, s11, v[0:1]
	s_cmp_lg_u32 s6, 0
	v_mad_u64_u32 v[2:3], s[8:9], v3, s10, v[2:3]
	v_mov_b32_e32 v1, v0
	s_cbranch_scc1 .LBB23_13
.LBB23_14:
	s_cbranch_execnz .LBB23_17
.LBB23_15:
	s_waitcnt lgkmcnt(0)
	v_mul_hi_u32 v0, s29, v9
	v_add_u32_e32 v0, v9, v0
	v_lshrrev_b32_e32 v1, s30, v0
	v_mul_lo_u32 v0, v1, s28
	v_sub_u32_e32 v2, v9, v0
	v_mul_lo_u32 v0, v2, s25
	s_andn2_b64 vcc, exec, s[48:49]
	v_mul_lo_u32 v2, v2, s24
	s_cbranch_vccnz .LBB23_17
; %bb.16:
	v_mul_hi_u32 v3, s46, v1
	v_add_u32_e32 v3, v1, v3
	v_lshrrev_b32_e32 v3, s47, v3
	v_mul_lo_u32 v3, v3, s31
	v_sub_u32_e32 v1, v1, v3
	v_mad_u64_u32 v[2:3], s[2:3], v1, s26, v[2:3]
	v_mad_u64_u32 v[0:1], s[2:3], v1, s27, v[0:1]
.LBB23_17:
	v_mov_b32_e32 v1, 0
	s_and_b32 s8, 0xffff, s74
	s_cmp_lt_i32 s8, 11
	s_waitcnt lgkmcnt(0)
	v_lshl_add_u64 v[4:5], s[22:23], 0, v[0:1]
	s_cbranch_scc1 .LBB23_24
; %bb.18:
	s_cmp_gt_i32 s8, 25
	s_cbranch_scc0 .LBB23_33
; %bb.19:
	s_cmp_gt_i32 s8, 28
	s_cbranch_scc0 .LBB23_36
	;; [unrolled: 3-line block ×4, first 2 shown]
; %bb.22:
	s_cmp_eq_u32 s8, 46
	s_mov_b64 s[6:7], 0
	s_cbranch_scc0 .LBB23_42
; %bb.23:
	global_load_dword v0, v[4:5], off
	s_mov_b64 s[2:3], -1
	s_mov_b64 s[4:5], 0
	s_waitcnt vmcnt(0)
	v_lshlrev_b32_e32 v0, 16, v0
	v_cvt_i32_f32_e32 v0, v0
	s_branch .LBB23_44
.LBB23_24:
	s_mov_b64 s[4:5], 0
                                        ; implicit-def: $vgpr0
	s_mov_b64 s[2:3], 0
	s_cbranch_execnz .LBB23_213
.LBB23_25:
	s_andn2_b64 vcc, exec, s[2:3]
	s_cbranch_vccnz .LBB23_260
.LBB23_26:
	v_mov_b32_e32 v3, 0
	s_and_b32 s12, s73, 0xff
	s_waitcnt vmcnt(0)
	v_xor_b32_e32 v1, -1, v0
	s_cmp_lt_i32 s12, 11
	v_lshl_add_u64 v[2:3], s[20:21], 0, v[2:3]
	s_cbranch_scc1 .LBB23_34
; %bb.27:
	s_and_b32 s13, 0xffff, s12
	s_cmp_gt_i32 s13, 25
	s_cbranch_scc0 .LBB23_37
; %bb.28:
	s_cmp_gt_i32 s13, 28
	s_cbranch_scc0 .LBB23_39
; %bb.29:
	;; [unrolled: 3-line block ×4, first 2 shown]
	s_mov_b64 s[8:9], 0
	s_mov_b64 s[2:3], -1
	s_cmp_eq_u32 s13, 46
	s_mov_b64 s[6:7], 0
	s_cbranch_scc0 .LBB23_48
; %bb.32:
	v_bfe_i32 v4, v1, 0, 8
	v_cvt_f32_i32_sdwa v4, sext(v4) dst_sel:DWORD dst_unused:UNUSED_PAD src0_sel:WORD_0
	s_movk_i32 s2, 0x7fff
	s_mov_b64 s[6:7], -1
	v_bfe_u32 v5, v4, 16, 1
	v_add3_u32 v4, v4, v5, s2
	v_lshrrev_b32_e32 v4, 16, v4
	global_store_dword v[2:3], v4, off
	s_mov_b64 s[2:3], 0
	s_branch .LBB23_48
.LBB23_33:
	s_mov_b64 s[4:5], 0
	s_mov_b64 s[2:3], 0
                                        ; implicit-def: $vgpr0
	s_cbranch_execnz .LBB23_180
	s_branch .LBB23_212
.LBB23_34:
	s_mov_b64 s[2:3], 0
	s_mov_b64 s[6:7], 0
	s_cbranch_execnz .LBB23_117
.LBB23_35:
	s_andn2_b64 vcc, exec, s[6:7]
	s_cbranch_vccnz .LBB23_261
	s_branch .LBB23_155
.LBB23_36:
	s_mov_b64 s[6:7], -1
	s_mov_b64 s[4:5], 0
	s_mov_b64 s[2:3], 0
                                        ; implicit-def: $vgpr0
	s_branch .LBB23_163
.LBB23_37:
	s_mov_b64 s[8:9], -1
	s_mov_b64 s[2:3], 0
	s_mov_b64 s[6:7], 0
	s_branch .LBB23_75
.LBB23_38:
	s_mov_b64 s[6:7], -1
	s_mov_b64 s[4:5], 0
	s_mov_b64 s[2:3], 0
                                        ; implicit-def: $vgpr0
	s_branch .LBB23_158
.LBB23_39:
	s_mov_b64 s[8:9], -1
	s_mov_b64 s[2:3], 0
	s_mov_b64 s[6:7], 0
	s_branch .LBB23_58
.LBB23_40:
	s_mov_b64 s[6:7], -1
	s_mov_b64 s[4:5], 0
	s_branch .LBB23_43
.LBB23_41:
	s_mov_b64 s[8:9], -1
	s_mov_b64 s[2:3], 0
	s_mov_b64 s[6:7], 0
	s_branch .LBB23_54
.LBB23_42:
	s_mov_b64 s[4:5], -1
.LBB23_43:
	s_mov_b64 s[2:3], 0
                                        ; implicit-def: $vgpr0
.LBB23_44:
	s_and_b64 vcc, exec, s[6:7]
	s_cbranch_vccz .LBB23_157
; %bb.45:
	s_cmp_eq_u32 s8, 44
	s_cbranch_scc0 .LBB23_156
; %bb.46:
	global_load_ubyte v0, v[4:5], off
	s_mov_b64 s[2:3], -1
	s_mov_b64 s[4:5], 0
	s_waitcnt vmcnt(0)
	v_lshlrev_b32_e32 v1, 23, v0
	v_cvt_i32_f32_e32 v1, v1
	v_cmp_ne_u32_e32 vcc, 0, v0
	s_nop 1
	v_cndmask_b32_e32 v0, 0, v1, vcc
	s_branch .LBB23_157
.LBB23_47:
	s_mov_b64 s[8:9], -1
	s_mov_b64 s[2:3], 0
	s_mov_b64 s[6:7], 0
.LBB23_48:
	s_and_b64 vcc, exec, s[8:9]
	s_cbranch_vccz .LBB23_53
; %bb.49:
	s_cmp_eq_u32 s13, 44
	s_mov_b64 s[2:3], -1
	s_cbranch_scc0 .LBB23_53
; %bb.50:
	v_bfe_i32 v4, v1, 0, 8
	v_cvt_f32_i32_sdwa v4, sext(v4) dst_sel:DWORD dst_unused:UNUSED_PAD src0_sel:WORD_0
	s_movk_i32 s2, 0xff
	v_mov_b32_e32 v6, 0xff
	v_bfe_u32 v5, v4, 23, 8
	v_cmp_ne_u32_e32 vcc, s2, v5
	s_and_saveexec_b64 s[6:7], vcc
; %bb.51:
	s_mov_b32 s2, 0x3fffff
	v_lshrrev_b32_e32 v6, 23, v4
	v_and_b32_e32 v7, 0x400000, v4
	v_and_or_b32 v4, v4, s2, v5
	v_cmp_ne_u32_e32 vcc, 0, v7
	v_cmp_ne_u32_e64 s[2:3], 0, v4
	s_and_b64 s[2:3], vcc, s[2:3]
	s_nop 0
	v_cndmask_b32_e64 v4, 0, 1, s[2:3]
	v_add_u32_e32 v6, v6, v4
; %bb.52:
	s_or_b64 exec, exec, s[6:7]
	s_mov_b64 s[6:7], -1
	s_mov_b64 s[2:3], 0
	global_store_byte v[2:3], v6, off
.LBB23_53:
	s_mov_b64 s[8:9], 0
.LBB23_54:
	s_and_b64 vcc, exec, s[8:9]
	s_cbranch_vccz .LBB23_57
; %bb.55:
	s_cmp_eq_u32 s13, 29
	s_mov_b64 s[2:3], -1
	s_cbranch_scc0 .LBB23_57
; %bb.56:
	v_bfe_i32 v4, v1, 0, 8
	v_ashrrev_i32_e32 v5, 31, v4
	global_store_dwordx2 v[2:3], v[4:5], off
	s_mov_b64 s[6:7], -1
	s_mov_b64 s[2:3], 0
.LBB23_57:
	s_mov_b64 s[8:9], 0
.LBB23_58:
	s_and_b64 vcc, exec, s[8:9]
	s_cbranch_vccz .LBB23_74
; %bb.59:
	s_cmp_lt_i32 s13, 27
	s_mov_b64 s[6:7], -1
	s_cbranch_scc1 .LBB23_65
; %bb.60:
	s_cmp_gt_i32 s13, 27
	s_cbranch_scc0 .LBB23_62
; %bb.61:
	v_bfe_i32 v4, v1, 0, 8
	s_mov_b64 s[6:7], 0
	global_store_dword v[2:3], v4, off
.LBB23_62:
	s_andn2_b64 vcc, exec, s[6:7]
	s_cbranch_vccnz .LBB23_64
; %bb.63:
	v_bfe_i32 v4, v1, 0, 8
	global_store_short v[2:3], v4, off
.LBB23_64:
	s_mov_b64 s[6:7], 0
.LBB23_65:
	s_andn2_b64 vcc, exec, s[6:7]
	s_cbranch_vccnz .LBB23_73
; %bb.66:
	v_bfe_i32 v4, v1, 0, 8
	v_cvt_f32_i32_sdwa v4, sext(v4) dst_sel:DWORD dst_unused:UNUSED_PAD src0_sel:WORD_0
	s_mov_b32 s6, 0x43800000
	v_mov_b32_e32 v6, 0x80
	v_and_b32_e32 v5, 0x7fffffff, v4
	v_cmp_gt_u32_e32 vcc, s6, v5
	s_and_saveexec_b64 s[6:7], vcc
	s_cbranch_execz .LBB23_72
; %bb.67:
	s_mov_b32 s8, 0x3bffffff
	v_cmp_lt_u32_e32 vcc, s8, v5
	s_mov_b64 s[8:9], 0
                                        ; implicit-def: $vgpr5
	s_and_saveexec_b64 s[10:11], vcc
	s_xor_b64 s[10:11], exec, s[10:11]
	s_cbranch_execz .LBB23_305
; %bb.68:
	v_bfe_u32 v5, v4, 20, 1
	s_mov_b32 s14, 0x487ffff
	v_add3_u32 v5, v4, v5, s14
	s_mov_b64 s[8:9], exec
	v_lshrrev_b32_e32 v5, 20, v5
	s_andn2_saveexec_b64 s[10:11], s[10:11]
	s_cbranch_execnz .LBB23_306
.LBB23_69:
	s_or_b64 exec, exec, s[10:11]
	v_mov_b32_e32 v6, 0
	s_and_saveexec_b64 s[10:11], s[8:9]
.LBB23_70:
	v_lshrrev_b32_e32 v4, 24, v4
	s_movk_i32 s8, 0x80
	v_and_or_b32 v6, v4, s8, v5
.LBB23_71:
	s_or_b64 exec, exec, s[10:11]
.LBB23_72:
	s_or_b64 exec, exec, s[6:7]
	global_store_byte v[2:3], v6, off
.LBB23_73:
	s_mov_b64 s[6:7], -1
.LBB23_74:
	s_mov_b64 s[8:9], 0
.LBB23_75:
	s_and_b64 vcc, exec, s[8:9]
	s_cbranch_vccz .LBB23_116
; %bb.76:
	s_cmp_gt_i32 s13, 22
	s_mov_b64 s[8:9], -1
	s_cbranch_scc0 .LBB23_108
; %bb.77:
	s_cmp_lt_i32 s13, 24
	s_mov_b64 s[6:7], -1
	s_cbranch_scc1 .LBB23_97
; %bb.78:
	s_cmp_gt_i32 s13, 24
	s_cbranch_scc0 .LBB23_86
; %bb.79:
	v_bfe_i32 v4, v1, 0, 8
	v_cvt_f32_i32_sdwa v4, sext(v4) dst_sel:DWORD dst_unused:UNUSED_PAD src0_sel:WORD_0
	s_mov_b32 s6, 0x47800000
	v_mov_b32_e32 v6, 0x80
	v_and_b32_e32 v5, 0x7fffffff, v4
	v_cmp_gt_u32_e32 vcc, s6, v5
	s_and_saveexec_b64 s[6:7], vcc
	s_cbranch_execz .LBB23_85
; %bb.80:
	s_mov_b32 s8, 0x37ffffff
	v_cmp_lt_u32_e32 vcc, s8, v5
	s_mov_b64 s[8:9], 0
                                        ; implicit-def: $vgpr5
	s_and_saveexec_b64 s[10:11], vcc
	s_xor_b64 s[10:11], exec, s[10:11]
	s_cbranch_execz .LBB23_309
; %bb.81:
	v_bfe_u32 v5, v4, 21, 1
	s_mov_b32 s14, 0x88fffff
	v_add3_u32 v5, v4, v5, s14
	s_mov_b64 s[8:9], exec
	v_lshrrev_b32_e32 v5, 21, v5
	s_andn2_saveexec_b64 s[10:11], s[10:11]
	s_cbranch_execnz .LBB23_310
.LBB23_82:
	s_or_b64 exec, exec, s[10:11]
	v_mov_b32_e32 v6, 0
	s_and_saveexec_b64 s[10:11], s[8:9]
.LBB23_83:
	v_lshrrev_b32_e32 v4, 24, v4
	s_movk_i32 s8, 0x80
	v_and_or_b32 v6, v4, s8, v5
.LBB23_84:
	s_or_b64 exec, exec, s[10:11]
.LBB23_85:
	s_or_b64 exec, exec, s[6:7]
	s_mov_b64 s[6:7], 0
	global_store_byte v[2:3], v6, off
.LBB23_86:
	s_and_b64 vcc, exec, s[6:7]
	s_cbranch_vccz .LBB23_96
; %bb.87:
	v_bfe_i32 v4, v1, 0, 8
	v_cvt_f32_i32_sdwa v4, sext(v4) dst_sel:DWORD dst_unused:UNUSED_PAD src0_sel:WORD_0
	s_mov_b32 s6, 0x43f00000
                                        ; implicit-def: $vgpr5
	v_and_b32_e32 v6, 0x7fffffff, v4
	v_cmp_gt_u32_e32 vcc, s6, v6
	s_and_saveexec_b64 s[6:7], vcc
	s_xor_b64 s[6:7], exec, s[6:7]
	s_cbranch_execz .LBB23_93
; %bb.88:
	s_mov_b32 s8, 0x3c7fffff
	v_cmp_lt_u32_e32 vcc, s8, v6
                                        ; implicit-def: $vgpr5
	s_and_saveexec_b64 s[8:9], vcc
	s_xor_b64 s[8:9], exec, s[8:9]
; %bb.89:
	v_bfe_u32 v5, v4, 20, 1
	s_mov_b32 s10, 0x407ffff
	v_add3_u32 v5, v4, v5, s10
	v_lshrrev_b32_e32 v6, 20, v5
	v_and_b32_e32 v5, 0xff00000, v5
	s_mov_b32 s10, 0x7f00000
	v_mov_b32_e32 v7, 0x7e
	v_cmp_ne_u32_e32 vcc, s10, v5
	s_nop 1
	v_cndmask_b32_e32 v5, v7, v6, vcc
; %bb.90:
	s_andn2_saveexec_b64 s[8:9], s[8:9]
; %bb.91:
	s_mov_b32 s10, 0x46800000
	v_add_f32_e64 v5, |v4|, s10
; %bb.92:
	s_or_b64 exec, exec, s[8:9]
                                        ; implicit-def: $vgpr6
.LBB23_93:
	s_andn2_saveexec_b64 s[6:7], s[6:7]
; %bb.94:
	s_mov_b32 s8, 0x7f800000
	v_mov_b32_e32 v5, 0x7e
	v_mov_b32_e32 v7, 0x7f
	v_cmp_lt_u32_e32 vcc, s8, v6
	s_nop 1
	v_cndmask_b32_e32 v5, v5, v7, vcc
; %bb.95:
	s_or_b64 exec, exec, s[6:7]
	v_lshrrev_b32_e32 v4, 24, v4
	s_movk_i32 s6, 0x80
	v_and_or_b32 v4, v4, s6, v5
	global_store_byte v[2:3], v4, off
.LBB23_96:
	s_mov_b64 s[6:7], 0
.LBB23_97:
	s_andn2_b64 vcc, exec, s[6:7]
	s_cbranch_vccnz .LBB23_107
; %bb.98:
	v_bfe_i32 v4, v1, 0, 8
	v_cvt_f32_i32_sdwa v4, sext(v4) dst_sel:DWORD dst_unused:UNUSED_PAD src0_sel:WORD_0
	s_mov_b32 s6, 0x47800000
                                        ; implicit-def: $vgpr5
	v_and_b32_e32 v6, 0x7fffffff, v4
	v_cmp_gt_u32_e32 vcc, s6, v6
	s_and_saveexec_b64 s[6:7], vcc
	s_xor_b64 s[6:7], exec, s[6:7]
	s_cbranch_execz .LBB23_104
; %bb.99:
	s_mov_b32 s8, 0x387fffff
	v_cmp_lt_u32_e32 vcc, s8, v6
                                        ; implicit-def: $vgpr5
	s_and_saveexec_b64 s[8:9], vcc
	s_xor_b64 s[8:9], exec, s[8:9]
; %bb.100:
	v_bfe_u32 v5, v4, 21, 1
	s_mov_b32 s10, 0x80fffff
	v_add3_u32 v5, v4, v5, s10
	v_lshrrev_b32_e32 v5, 21, v5
; %bb.101:
	s_andn2_saveexec_b64 s[8:9], s[8:9]
; %bb.102:
	s_mov_b32 s10, 0x43000000
	v_add_f32_e64 v5, |v4|, s10
; %bb.103:
	s_or_b64 exec, exec, s[8:9]
                                        ; implicit-def: $vgpr6
.LBB23_104:
	s_andn2_saveexec_b64 s[6:7], s[6:7]
; %bb.105:
	s_mov_b32 s8, 0x7f800000
	v_mov_b32_e32 v5, 0x7c
	v_mov_b32_e32 v7, 0x7f
	v_cmp_lt_u32_e32 vcc, s8, v6
	s_nop 1
	v_cndmask_b32_e32 v5, v5, v7, vcc
; %bb.106:
	s_or_b64 exec, exec, s[6:7]
	v_lshrrev_b32_e32 v4, 24, v4
	s_movk_i32 s6, 0x80
	v_and_or_b32 v4, v4, s6, v5
	global_store_byte v[2:3], v4, off
.LBB23_107:
	s_mov_b64 s[8:9], 0
	s_mov_b64 s[6:7], -1
.LBB23_108:
	s_andn2_b64 vcc, exec, s[8:9]
	s_cbranch_vccnz .LBB23_116
; %bb.109:
	s_cmp_gt_i32 s13, 14
	s_mov_b64 s[8:9], -1
	s_cbranch_scc0 .LBB23_113
; %bb.110:
	s_cmp_eq_u32 s13, 15
	s_mov_b64 s[2:3], -1
	s_cbranch_scc0 .LBB23_112
; %bb.111:
	v_bfe_i32 v4, v1, 0, 8
	v_cvt_f32_i32_sdwa v4, sext(v4) dst_sel:DWORD dst_unused:UNUSED_PAD src0_sel:WORD_0
	s_movk_i32 s2, 0x7fff
	s_mov_b64 s[6:7], -1
	v_bfe_u32 v5, v4, 16, 1
	v_add3_u32 v4, v4, v5, s2
	global_store_short_d16_hi v[2:3], v4, off
	s_mov_b64 s[2:3], 0
.LBB23_112:
	s_mov_b64 s[8:9], 0
.LBB23_113:
	s_and_b64 vcc, exec, s[8:9]
	s_cbranch_vccz .LBB23_116
; %bb.114:
	s_cmp_eq_u32 s13, 11
	s_mov_b64 s[2:3], -1
	s_cbranch_scc0 .LBB23_116
; %bb.115:
	s_movk_i32 s2, 0xff
	v_cmp_ne_u16_sdwa s[2:3], v0, s2 src0_sel:BYTE_0 src1_sel:DWORD
	s_mov_b64 s[6:7], -1
	s_nop 0
	v_cndmask_b32_e64 v0, 0, 1, s[2:3]
	s_mov_b64 s[2:3], 0
	global_store_byte v[2:3], v0, off
.LBB23_116:
	s_branch .LBB23_35
.LBB23_117:
	s_and_b32 s8, 0xffff, s12
	s_cmp_lt_i32 s8, 5
	s_mov_b64 s[6:7], -1
	s_cbranch_scc1 .LBB23_138
; %bb.118:
	s_cmp_lt_i32 s8, 8
	s_cbranch_scc1 .LBB23_128
; %bb.119:
	s_cmp_lt_i32 s8, 9
	s_cbranch_scc1 .LBB23_125
; %bb.120:
	s_cmp_gt_i32 s8, 9
	s_cbranch_scc0 .LBB23_122
; %bb.121:
	v_bfe_i32 v0, v1, 0, 8
	v_bfe_i32 v0, v0, 0, 16
	v_mov_b32_e32 v6, 0
	v_cvt_f64_i32_e32 v[4:5], v0
	v_mov_b32_e32 v7, v6
	global_store_dwordx4 v[2:3], v[4:7], off
	s_mov_b64 s[6:7], 0
.LBB23_122:
	s_andn2_b64 vcc, exec, s[6:7]
	s_cbranch_vccnz .LBB23_124
; %bb.123:
	v_bfe_i32 v0, v1, 0, 8
	v_cvt_f32_i32_sdwa v4, sext(v0) dst_sel:DWORD dst_unused:UNUSED_PAD src0_sel:WORD_0
	v_mov_b32_e32 v5, 0
	global_store_dwordx2 v[2:3], v[4:5], off
.LBB23_124:
	s_mov_b64 s[6:7], 0
.LBB23_125:
	s_andn2_b64 vcc, exec, s[6:7]
	s_cbranch_vccnz .LBB23_127
; %bb.126:
	v_cvt_f16_i16_sdwa v0, sext(v1) dst_sel:DWORD dst_unused:UNUSED_PAD src0_sel:BYTE_0
	global_store_dword v[2:3], v0, off
.LBB23_127:
	s_mov_b64 s[6:7], 0
.LBB23_128:
	s_andn2_b64 vcc, exec, s[6:7]
	s_cbranch_vccnz .LBB23_137
; %bb.129:
	s_cmp_lt_i32 s8, 6
	s_mov_b64 s[6:7], -1
	s_cbranch_scc1 .LBB23_135
; %bb.130:
	s_cmp_gt_i32 s8, 6
	s_cbranch_scc0 .LBB23_132
; %bb.131:
	v_bfe_i32 v0, v1, 0, 8
	v_bfe_i32 v0, v0, 0, 16
	v_cvt_f64_i32_e32 v[4:5], v0
	global_store_dwordx2 v[2:3], v[4:5], off
	s_mov_b64 s[6:7], 0
.LBB23_132:
	s_andn2_b64 vcc, exec, s[6:7]
	s_cbranch_vccnz .LBB23_134
; %bb.133:
	v_bfe_i32 v0, v1, 0, 8
	v_cvt_f32_i32_sdwa v0, sext(v0) dst_sel:DWORD dst_unused:UNUSED_PAD src0_sel:WORD_0
	global_store_dword v[2:3], v0, off
.LBB23_134:
	s_mov_b64 s[6:7], 0
.LBB23_135:
	s_andn2_b64 vcc, exec, s[6:7]
	s_cbranch_vccnz .LBB23_137
; %bb.136:
	v_cvt_f16_i16_sdwa v0, sext(v1) dst_sel:DWORD dst_unused:UNUSED_PAD src0_sel:BYTE_0
	global_store_short v[2:3], v0, off
.LBB23_137:
	s_mov_b64 s[6:7], 0
.LBB23_138:
	s_andn2_b64 vcc, exec, s[6:7]
	s_cbranch_vccnz .LBB23_154
; %bb.139:
	s_cmp_lt_i32 s8, 2
	s_mov_b64 s[6:7], -1
	s_cbranch_scc1 .LBB23_149
; %bb.140:
	s_cmp_lt_i32 s8, 3
	s_cbranch_scc1 .LBB23_146
; %bb.141:
	s_cmp_gt_i32 s8, 3
	s_cbranch_scc0 .LBB23_143
; %bb.142:
	v_bfe_i32 v4, v1, 0, 8
	v_ashrrev_i32_e32 v5, 31, v4
	global_store_dwordx2 v[2:3], v[4:5], off
	s_mov_b64 s[6:7], 0
.LBB23_143:
	s_andn2_b64 vcc, exec, s[6:7]
	s_cbranch_vccnz .LBB23_145
; %bb.144:
	v_bfe_i32 v0, v1, 0, 8
	global_store_dword v[2:3], v0, off
.LBB23_145:
	s_mov_b64 s[6:7], 0
.LBB23_146:
	s_andn2_b64 vcc, exec, s[6:7]
	s_cbranch_vccnz .LBB23_148
; %bb.147:
	v_bfe_i32 v0, v1, 0, 8
	global_store_short v[2:3], v0, off
.LBB23_148:
	s_mov_b64 s[6:7], 0
.LBB23_149:
	s_andn2_b64 vcc, exec, s[6:7]
	s_cbranch_vccnz .LBB23_154
; %bb.150:
	s_cmp_gt_i32 s8, 0
	s_mov_b64 s[6:7], -1
	s_cbranch_scc0 .LBB23_152
; %bb.151:
	global_store_byte v[2:3], v1, off
	s_mov_b64 s[6:7], 0
.LBB23_152:
	s_andn2_b64 vcc, exec, s[6:7]
	s_cbranch_vccnz .LBB23_154
; %bb.153:
	global_store_byte v[2:3], v1, off
.LBB23_154:
.LBB23_155:
	v_add_u32_e32 v9, 0x80, v9
	s_mov_b64 s[6:7], -1
	s_branch .LBB23_262
.LBB23_156:
	s_mov_b64 s[4:5], -1
                                        ; implicit-def: $vgpr0
.LBB23_157:
	s_mov_b64 s[6:7], 0
.LBB23_158:
	s_and_b64 vcc, exec, s[6:7]
	s_cbranch_vccz .LBB23_162
; %bb.159:
	s_cmp_eq_u32 s8, 29
	s_cbranch_scc0 .LBB23_161
; %bb.160:
	global_load_dwordx2 v[0:1], v[4:5], off
	s_mov_b64 s[2:3], -1
	s_mov_b64 s[4:5], 0
	s_branch .LBB23_162
.LBB23_161:
	s_mov_b64 s[4:5], -1
                                        ; implicit-def: $vgpr0
.LBB23_162:
	s_mov_b64 s[6:7], 0
.LBB23_163:
	s_and_b64 vcc, exec, s[6:7]
	s_cbranch_vccz .LBB23_179
; %bb.164:
	s_cmp_lt_i32 s8, 27
	s_cbranch_scc1 .LBB23_167
; %bb.165:
	s_cmp_gt_i32 s8, 27
	s_cbranch_scc0 .LBB23_168
; %bb.166:
	global_load_dword v0, v[4:5], off
	s_mov_b64 s[2:3], 0
	s_branch .LBB23_169
.LBB23_167:
	s_mov_b64 s[2:3], -1
                                        ; implicit-def: $vgpr0
	s_branch .LBB23_172
.LBB23_168:
	s_mov_b64 s[2:3], -1
                                        ; implicit-def: $vgpr0
.LBB23_169:
	s_andn2_b64 vcc, exec, s[2:3]
	s_cbranch_vccnz .LBB23_171
; %bb.170:
	global_load_ushort v0, v[4:5], off
.LBB23_171:
	s_mov_b64 s[2:3], 0
.LBB23_172:
	s_andn2_b64 vcc, exec, s[2:3]
	s_cbranch_vccnz .LBB23_178
; %bb.173:
	global_load_ubyte v1, v[4:5], off
	s_movk_i32 s2, 0x7f
	s_mov_b64 s[6:7], 0
	s_waitcnt vmcnt(0)
	v_cmp_lt_i16_e32 vcc, s2, v1
	s_and_saveexec_b64 s[2:3], vcc
	s_xor_b64 s[2:3], exec, s[2:3]
	s_cbranch_execz .LBB23_189
; %bb.174:
	s_movk_i32 s6, 0x80
	v_cmp_ne_u16_e32 vcc, s6, v1
	s_and_b64 s[6:7], vcc, exec
	s_andn2_saveexec_b64 s[2:3], s[2:3]
	s_cbranch_execnz .LBB23_190
.LBB23_175:
	s_or_b64 exec, exec, s[2:3]
	v_mov_b32_e32 v0, 0
	s_and_saveexec_b64 s[2:3], s[6:7]
	s_cbranch_execz .LBB23_177
.LBB23_176:
	v_lshlrev_b32_e32 v0, 24, v1
	v_and_b32_e32 v1, 0xffff, v1
	v_and_b32_e32 v3, 7, v1
	v_ffbh_u32_e32 v7, v3
	v_min_u32_e32 v7, 32, v7
	v_subrev_u32_e32 v8, 28, v7
	v_bfe_u32 v6, v1, 3, 4
	v_lshlrev_b32_e32 v1, v8, v1
	v_sub_u32_e32 v7, 29, v7
	v_and_b32_e32 v1, 7, v1
	v_cmp_eq_u32_e32 vcc, 0, v6
	v_and_b32_e32 v0, 0x80000000, v0
	s_nop 0
	v_cndmask_b32_e32 v6, v6, v7, vcc
	v_cndmask_b32_e32 v1, v3, v1, vcc
	v_mov_b32_e32 v3, 0x3b800000
	v_lshlrev_b32_e32 v1, 20, v1
	v_lshl_add_u32 v3, v6, 23, v3
	v_or3_b32 v0, v0, v3, v1
	v_cvt_i32_f32_e32 v0, v0
.LBB23_177:
	s_or_b64 exec, exec, s[2:3]
.LBB23_178:
	s_mov_b64 s[2:3], -1
.LBB23_179:
	s_branch .LBB23_212
.LBB23_180:
	s_cmp_gt_i32 s8, 22
	s_cbranch_scc0 .LBB23_188
; %bb.181:
	s_cmp_lt_i32 s8, 24
	s_cbranch_scc1 .LBB23_191
; %bb.182:
	s_cmp_gt_i32 s8, 24
	s_cbranch_scc0 .LBB23_192
; %bb.183:
	global_load_ubyte v1, v[4:5], off
	s_movk_i32 s2, 0x7f
	s_mov_b64 s[6:7], 0
	s_waitcnt vmcnt(0)
	v_cmp_lt_i16_e32 vcc, s2, v1
	s_and_saveexec_b64 s[2:3], vcc
	s_xor_b64 s[2:3], exec, s[2:3]
	s_cbranch_execz .LBB23_204
; %bb.184:
	s_movk_i32 s6, 0x80
	v_cmp_ne_u16_e32 vcc, s6, v1
	s_and_b64 s[6:7], vcc, exec
	s_andn2_saveexec_b64 s[2:3], s[2:3]
	s_cbranch_execnz .LBB23_205
.LBB23_185:
	s_or_b64 exec, exec, s[2:3]
	v_mov_b32_e32 v0, 0
	s_and_saveexec_b64 s[2:3], s[6:7]
	s_cbranch_execz .LBB23_187
.LBB23_186:
	v_lshlrev_b32_e32 v0, 24, v1
	v_and_b32_e32 v1, 0xffff, v1
	v_and_b32_e32 v3, 3, v1
	v_ffbh_u32_e32 v7, v3
	v_min_u32_e32 v7, 32, v7
	v_subrev_u32_e32 v8, 29, v7
	v_bfe_u32 v6, v1, 2, 5
	v_lshlrev_b32_e32 v1, v8, v1
	v_sub_u32_e32 v7, 30, v7
	v_and_b32_e32 v1, 3, v1
	v_cmp_eq_u32_e32 vcc, 0, v6
	v_and_b32_e32 v0, 0x80000000, v0
	s_nop 0
	v_cndmask_b32_e32 v6, v6, v7, vcc
	v_cndmask_b32_e32 v1, v3, v1, vcc
	v_mov_b32_e32 v3, 0x37800000
	v_lshlrev_b32_e32 v1, 21, v1
	v_lshl_add_u32 v3, v6, 23, v3
	v_or3_b32 v0, v0, v3, v1
	v_cvt_i32_f32_e32 v0, v0
.LBB23_187:
	s_or_b64 exec, exec, s[2:3]
	s_mov_b64 s[2:3], 0
	s_branch .LBB23_193
.LBB23_188:
	s_mov_b64 s[6:7], -1
                                        ; implicit-def: $vgpr0
	s_branch .LBB23_199
.LBB23_189:
	s_andn2_saveexec_b64 s[2:3], s[2:3]
	s_cbranch_execz .LBB23_175
.LBB23_190:
	v_cmp_ne_u16_e32 vcc, 0, v1
	s_andn2_b64 s[6:7], s[6:7], exec
	s_and_b64 s[10:11], vcc, exec
	s_or_b64 s[6:7], s[6:7], s[10:11]
	s_or_b64 exec, exec, s[2:3]
	v_mov_b32_e32 v0, 0
	s_and_saveexec_b64 s[2:3], s[6:7]
	s_cbranch_execnz .LBB23_176
	s_branch .LBB23_177
.LBB23_191:
	s_mov_b64 s[2:3], -1
                                        ; implicit-def: $vgpr0
	s_branch .LBB23_196
.LBB23_192:
	s_mov_b64 s[2:3], -1
                                        ; implicit-def: $vgpr0
.LBB23_193:
	s_and_b64 vcc, exec, s[2:3]
	s_cbranch_vccz .LBB23_195
; %bb.194:
	global_load_ubyte v0, v[4:5], off
	s_mov_b32 s2, 0x7f800000
	s_waitcnt vmcnt(0)
	v_lshlrev_b32_e32 v0, 24, v0
	v_and_b32_e32 v1, 0x7f000000, v0
	v_ffbh_u32_e32 v3, v1
	v_min_u32_e32 v3, 32, v3
	v_sub_u32_e64 v3, v3, 4 clamp
	v_lshlrev_b32_e32 v7, v3, v1
	v_lshlrev_b32_e32 v3, 23, v3
	v_lshrrev_b32_e32 v7, 4, v7
	v_add_u32_e32 v6, 0x1000000, v1
	v_sub_u32_e32 v3, v7, v3
	v_ashrrev_i32_e32 v6, 8, v6
	v_add_u32_e32 v3, 0x3c000000, v3
	v_and_or_b32 v3, v6, s2, v3
	v_cmp_ne_u32_e32 vcc, 0, v1
	s_brev_b32 s2, 1
	s_nop 0
	v_cndmask_b32_e32 v1, 0, v3, vcc
	v_and_or_b32 v0, v0, s2, v1
	v_cvt_i32_f32_e32 v0, v0
.LBB23_195:
	s_mov_b64 s[2:3], 0
.LBB23_196:
	s_andn2_b64 vcc, exec, s[2:3]
	s_cbranch_vccnz .LBB23_198
; %bb.197:
	global_load_ubyte v0, v[4:5], off
	s_movk_i32 s2, 0x7f00
	s_brev_b32 s3, 16
	s_waitcnt vmcnt(0)
	v_lshlrev_b16_e32 v1, 8, v0
	v_lshlrev_b32_e32 v0, 25, v0
	v_lshrrev_b32_e32 v3, 4, v0
	v_and_or_b32 v6, v1, s2, 0.5
	v_or_b32_e32 v3, 0x70000000, v3
	v_add_f32_e32 v6, -0.5, v6
	v_mul_f32_e32 v3, 0x7800000, v3
	v_cmp_gt_u32_e32 vcc, s3, v0
	v_bfe_i32 v1, v1, 0, 16
	s_brev_b32 s2, 1
	v_cndmask_b32_e32 v0, v3, v6, vcc
	v_and_or_b32 v0, v1, s2, v0
	v_cvt_i32_f32_e32 v0, v0
.LBB23_198:
	s_mov_b64 s[6:7], 0
	s_mov_b64 s[2:3], -1
.LBB23_199:
	s_andn2_b64 vcc, exec, s[6:7]
	s_cbranch_vccnz .LBB23_212
; %bb.200:
	s_cmp_gt_i32 s8, 14
	s_cbranch_scc0 .LBB23_203
; %bb.201:
	s_cmp_eq_u32 s8, 15
	s_cbranch_scc0 .LBB23_206
; %bb.202:
	global_load_ushort v0, v[4:5], off
	s_mov_b64 s[2:3], -1
	s_mov_b64 s[4:5], 0
	s_waitcnt vmcnt(0)
	v_lshlrev_b32_e32 v0, 16, v0
	v_cvt_i32_f32_e32 v0, v0
	s_branch .LBB23_207
.LBB23_203:
	s_mov_b64 s[6:7], -1
                                        ; implicit-def: $vgpr0
	s_branch .LBB23_208
.LBB23_204:
	s_andn2_saveexec_b64 s[2:3], s[2:3]
	s_cbranch_execz .LBB23_185
.LBB23_205:
	v_cmp_ne_u16_e32 vcc, 0, v1
	s_andn2_b64 s[6:7], s[6:7], exec
	s_and_b64 s[10:11], vcc, exec
	s_or_b64 s[6:7], s[6:7], s[10:11]
	s_or_b64 exec, exec, s[2:3]
	v_mov_b32_e32 v0, 0
	s_and_saveexec_b64 s[2:3], s[6:7]
	s_cbranch_execnz .LBB23_186
	s_branch .LBB23_187
.LBB23_206:
	s_mov_b64 s[4:5], -1
                                        ; implicit-def: $vgpr0
.LBB23_207:
	s_mov_b64 s[6:7], 0
.LBB23_208:
	s_and_b64 vcc, exec, s[6:7]
	s_cbranch_vccz .LBB23_212
; %bb.209:
	s_cmp_eq_u32 s8, 11
	s_cbranch_scc0 .LBB23_211
; %bb.210:
	global_load_ubyte v0, v[4:5], off
	s_mov_b64 s[2:3], -1
	s_mov_b64 s[4:5], 0
	s_waitcnt vmcnt(0)
	v_cmp_ne_u16_e32 vcc, 0, v0
	s_nop 1
	v_cndmask_b32_e64 v0, 0, 1, vcc
	s_branch .LBB23_212
.LBB23_211:
	s_mov_b64 s[4:5], -1
                                        ; implicit-def: $vgpr0
.LBB23_212:
	s_branch .LBB23_25
.LBB23_213:
	s_cmp_lt_i32 s8, 5
	s_cbranch_scc1 .LBB23_218
; %bb.214:
	s_cmp_lt_i32 s8, 8
	s_cbranch_scc1 .LBB23_219
; %bb.215:
	;; [unrolled: 3-line block ×3, first 2 shown]
	s_cmp_gt_i32 s8, 9
	s_cbranch_scc0 .LBB23_221
; %bb.217:
	global_load_dwordx2 v[0:1], v[4:5], off
	s_mov_b64 s[2:3], 0
	s_waitcnt vmcnt(0)
	v_cvt_i32_f64_e32 v0, v[0:1]
	s_branch .LBB23_222
.LBB23_218:
                                        ; implicit-def: $vgpr0
	s_branch .LBB23_240
.LBB23_219:
	s_mov_b64 s[2:3], -1
                                        ; implicit-def: $vgpr0
	s_branch .LBB23_228
.LBB23_220:
	s_mov_b64 s[2:3], -1
                                        ; implicit-def: $vgpr0
	s_branch .LBB23_225
.LBB23_221:
	s_mov_b64 s[2:3], -1
                                        ; implicit-def: $vgpr0
.LBB23_222:
	s_andn2_b64 vcc, exec, s[2:3]
	s_cbranch_vccnz .LBB23_224
; %bb.223:
	global_load_dword v0, v[4:5], off
	s_waitcnt vmcnt(0)
	v_cvt_i32_f32_e32 v0, v0
.LBB23_224:
	s_mov_b64 s[2:3], 0
.LBB23_225:
	s_andn2_b64 vcc, exec, s[2:3]
	s_cbranch_vccnz .LBB23_227
; %bb.226:
	global_load_dword v0, v[4:5], off
	s_waitcnt vmcnt(0)
	v_cvt_i16_f16_e32 v0, v0
.LBB23_227:
	s_mov_b64 s[2:3], 0
.LBB23_228:
	s_andn2_b64 vcc, exec, s[2:3]
	s_cbranch_vccnz .LBB23_239
; %bb.229:
	s_cmp_lt_i32 s8, 6
	s_cbranch_scc1 .LBB23_232
; %bb.230:
	s_cmp_gt_i32 s8, 6
	s_cbranch_scc0 .LBB23_233
; %bb.231:
	global_load_dwordx2 v[0:1], v[4:5], off
	s_mov_b64 s[2:3], 0
	s_waitcnt vmcnt(0)
	v_cvt_i32_f64_e32 v0, v[0:1]
	s_branch .LBB23_234
.LBB23_232:
	s_mov_b64 s[2:3], -1
                                        ; implicit-def: $vgpr0
	s_branch .LBB23_237
.LBB23_233:
	s_mov_b64 s[2:3], -1
                                        ; implicit-def: $vgpr0
.LBB23_234:
	s_andn2_b64 vcc, exec, s[2:3]
	s_cbranch_vccnz .LBB23_236
; %bb.235:
	global_load_dword v0, v[4:5], off
	s_waitcnt vmcnt(0)
	v_cvt_i32_f32_e32 v0, v0
.LBB23_236:
	s_mov_b64 s[2:3], 0
.LBB23_237:
	s_andn2_b64 vcc, exec, s[2:3]
	s_cbranch_vccnz .LBB23_239
; %bb.238:
	global_load_ushort v0, v[4:5], off
	s_waitcnt vmcnt(0)
	v_cvt_i16_f16_e32 v0, v0
.LBB23_239:
	s_cbranch_execnz .LBB23_259
.LBB23_240:
	s_cmp_lt_i32 s8, 2
	s_cbranch_scc1 .LBB23_244
; %bb.241:
	s_cmp_lt_i32 s8, 3
	s_cbranch_scc1 .LBB23_245
; %bb.242:
	s_cmp_gt_i32 s8, 3
	s_cbranch_scc0 .LBB23_246
; %bb.243:
	global_load_dwordx2 v[0:1], v[4:5], off
	s_mov_b64 s[2:3], 0
	s_branch .LBB23_247
.LBB23_244:
	s_mov_b64 s[2:3], -1
                                        ; implicit-def: $vgpr0
	s_branch .LBB23_253
.LBB23_245:
	s_mov_b64 s[2:3], -1
                                        ; implicit-def: $vgpr0
	s_branch .LBB23_250
.LBB23_246:
	s_mov_b64 s[2:3], -1
                                        ; implicit-def: $vgpr0
.LBB23_247:
	s_andn2_b64 vcc, exec, s[2:3]
	s_cbranch_vccnz .LBB23_249
; %bb.248:
	global_load_dword v0, v[4:5], off
.LBB23_249:
	s_mov_b64 s[2:3], 0
.LBB23_250:
	s_andn2_b64 vcc, exec, s[2:3]
	s_cbranch_vccnz .LBB23_252
; %bb.251:
	global_load_ushort v0, v[4:5], off
.LBB23_252:
	s_mov_b64 s[2:3], 0
.LBB23_253:
	s_andn2_b64 vcc, exec, s[2:3]
	s_cbranch_vccnz .LBB23_259
; %bb.254:
	s_cmp_gt_i32 s8, 0
	s_cbranch_scc0 .LBB23_256
; %bb.255:
	global_load_ubyte v0, v[4:5], off
	s_mov_b64 s[2:3], 0
	s_branch .LBB23_257
.LBB23_256:
	s_mov_b64 s[2:3], -1
                                        ; implicit-def: $vgpr0
.LBB23_257:
	s_andn2_b64 vcc, exec, s[2:3]
	s_cbranch_vccnz .LBB23_259
; %bb.258:
	global_load_ubyte v0, v[4:5], off
.LBB23_259:
	s_branch .LBB23_26
.LBB23_260:
	s_mov_b64 s[2:3], 0
.LBB23_261:
	s_mov_b64 s[6:7], 0
                                        ; implicit-def: $vgpr9
.LBB23_262:
	s_and_b64 s[54:55], s[2:3], exec
	s_and_b64 s[56:57], s[4:5], exec
	s_orn2_b64 s[4:5], s[6:7], exec
.LBB23_263:
	s_or_b64 exec, exec, s[58:59]
	s_mov_b64 s[8:9], 0
	s_mov_b64 s[2:3], 0
                                        ; implicit-def: $vgpr4_vgpr5
                                        ; implicit-def: $vgpr2
                                        ; implicit-def: $vgpr0
	s_and_saveexec_b64 s[58:59], s[4:5]
	s_cbranch_execz .LBB23_271
; %bb.264:
	v_cmp_gt_i32_e32 vcc, s70, v9
	s_mov_b64 s[2:3], -1
	s_mov_b64 s[60:61], s[56:57]
	s_mov_b64 s[62:63], s[54:55]
	s_and_saveexec_b64 s[64:65], vcc
	s_cbranch_execz .LBB23_536
; %bb.265:
	s_andn2_b64 vcc, exec, s[42:43]
	s_cbranch_vccnz .LBB23_274
; %bb.266:
	s_andn2_b64 vcc, exec, s[52:53]
	s_cbranch_vccnz .LBB23_275
; %bb.267:
	s_add_i32 s63, s75, 1
	s_cmp_eq_u32 s72, 2
	s_cbranch_scc1 .LBB23_276
; %bb.268:
	s_and_b32 s62, s63, 28
	s_mov_b32 s66, 0
	v_mov_b32_e32 v2, 0
	s_waitcnt vmcnt(0)
	v_mov_b32_e32 v0, 0
	s_mov_b64 s[2:3], s[34:35]
	s_mov_b64 s[60:61], s[50:51]
	v_mov_b32_e32 v4, v9
.LBB23_269:                             ; =>This Inner Loop Header: Depth=1
	s_load_dwordx8 s[12:19], s[2:3], 0x4
	s_load_dwordx4 s[36:39], s[2:3], 0x24
	s_load_dwordx8 s[4:11], s[60:61], 0x0
	s_add_u32 s2, s2, 48
	s_addc_u32 s3, s3, 0
	s_waitcnt lgkmcnt(0)
	v_mul_hi_u32 v1, s13, v4
	v_add_u32_e32 v1, v4, v1
	v_lshrrev_b32_e32 v1, s14, v1
	v_mul_lo_u32 v3, v1, s12
	v_mul_hi_u32 v5, s16, v1
	v_sub_u32_e32 v3, v4, v3
	v_add_u32_e32 v4, v1, v5
	v_lshrrev_b32_e32 v4, s17, v4
	v_mul_lo_u32 v6, v4, s15
	v_mul_hi_u32 v7, s19, v4
	v_sub_u32_e32 v1, v1, v6
	v_add_u32_e32 v6, v4, v7
	v_mul_lo_u32 v5, v3, s5
	v_mul_lo_u32 v3, v3, s4
	;; [unrolled: 1-line block ×4, first 2 shown]
	v_lshrrev_b32_e32 v6, s36, v6
	v_add3_u32 v1, v3, v2, v1
	v_mul_hi_u32 v3, s38, v6
	v_mul_lo_u32 v2, v6, s18
	v_add_u32_e32 v3, v6, v3
	v_sub_u32_e32 v2, v4, v2
	v_lshrrev_b32_e32 v4, s39, v3
	s_add_i32 s66, s66, 4
	v_mul_lo_u32 v3, v4, s37
	s_add_u32 s60, s60, 32
	v_sub_u32_e32 v3, v6, v3
	s_addc_u32 s61, s61, 0
	v_add3_u32 v0, v5, v0, v7
	v_mul_lo_u32 v5, v2, s8
	v_mul_lo_u32 v2, v2, s9
	;; [unrolled: 1-line block ×4, first 2 shown]
	s_cmp_eq_u32 s62, s66
	v_add3_u32 v0, v2, v0, v3
	v_add3_u32 v2, v5, v1, v6
	s_cbranch_scc0 .LBB23_269
; %bb.270:
	v_mov_b32_e32 v1, v0
	s_branch .LBB23_277
.LBB23_271:
	s_or_b64 exec, exec, s[58:59]
	s_mov_b64 s[4:5], 0
	s_and_saveexec_b64 s[6:7], s[56:57]
	s_cbranch_execnz .LBB23_906
.LBB23_272:
	s_or_b64 exec, exec, s[6:7]
	s_and_saveexec_b64 s[6:7], s[62:63]
	s_xor_b64 s[6:7], exec, s[6:7]
	s_cbranch_execz .LBB23_907
.LBB23_273:
	global_load_ubyte v0, v[4:5], off
	s_or_b64 s[2:3], s[2:3], exec
	s_waitcnt vmcnt(0)
	v_cmp_ne_u16_e32 vcc, 0, v0
	s_nop 1
	v_cndmask_b32_e64 v0, 0, 1, vcc
	s_or_b64 exec, exec, s[6:7]
	s_and_saveexec_b64 s[6:7], s[8:9]
	s_cbranch_execz .LBB23_953
	s_branch .LBB23_908
.LBB23_274:
                                        ; implicit-def: $vgpr0
                                        ; implicit-def: $vgpr2
	s_andn2_b64 vcc, exec, s[2:3]
	s_cbranch_vccz .LBB23_281
	s_branch .LBB23_283
.LBB23_275:
	s_waitcnt vmcnt(0)
	v_mov_b32_e32 v0, 0
	v_mov_b32_e32 v2, 0
	s_branch .LBB23_280
.LBB23_276:
	v_mov_b32_e32 v2, 0
	s_mov_b32 s62, 0
	s_waitcnt vmcnt(0)
	v_mov_b32_e32 v1, v2
                                        ; implicit-def: $vgpr0
	v_mov_b32_e32 v4, v9
.LBB23_277:
	s_and_b32 s6, s63, 3
	s_cmp_eq_u32 s6, 0
	s_cbranch_scc1 .LBB23_280
; %bb.278:
	s_lshl_b32 s2, s62, 3
	s_add_u32 s2, s34, s2
	s_addc_u32 s3, s35, 0
	s_add_u32 s2, s2, 0xc4
	s_addc_u32 s3, s3, 0
	s_mul_i32 s4, s62, 12
	s_add_u32 s4, s34, s4
	s_addc_u32 s5, s35, 0
.LBB23_279:                             ; =>This Inner Loop Header: Depth=1
	s_load_dwordx2 s[8:9], s[4:5], 0x4
	s_load_dword s7, s[4:5], 0xc
	s_load_dwordx2 s[10:11], s[2:3], 0x0
	v_mov_b32_e32 v0, v1
	s_add_u32 s4, s4, 12
	s_waitcnt lgkmcnt(0)
	v_mul_hi_u32 v1, s9, v4
	v_add_u32_e32 v1, v4, v1
	v_lshrrev_b32_e32 v1, s7, v1
	s_addc_u32 s5, s5, 0
	v_mul_lo_u32 v3, v1, s8
	s_add_u32 s2, s2, 8
	v_sub_u32_e32 v3, v4, v3
	s_addc_u32 s3, s3, 0
	s_add_i32 s6, s6, -1
	v_mov_b32_e32 v4, v1
	v_mad_u64_u32 v[0:1], s[8:9], v3, s11, v[0:1]
	s_cmp_lg_u32 s6, 0
	v_mad_u64_u32 v[2:3], s[8:9], v3, s10, v[2:3]
	v_mov_b32_e32 v1, v0
	s_cbranch_scc1 .LBB23_279
.LBB23_280:
	s_cbranch_execnz .LBB23_283
.LBB23_281:
	s_waitcnt vmcnt(0) lgkmcnt(0)
	v_mul_hi_u32 v0, s29, v9
	v_add_u32_e32 v0, v9, v0
	v_lshrrev_b32_e32 v1, s30, v0
	v_mul_lo_u32 v0, v1, s28
	v_sub_u32_e32 v2, v9, v0
	v_mul_lo_u32 v0, v2, s25
	s_andn2_b64 vcc, exec, s[48:49]
	v_mul_lo_u32 v2, v2, s24
	s_cbranch_vccnz .LBB23_283
; %bb.282:
	v_mul_hi_u32 v3, s46, v1
	v_add_u32_e32 v3, v1, v3
	v_lshrrev_b32_e32 v3, s47, v3
	v_mul_lo_u32 v3, v3, s31
	v_sub_u32_e32 v1, v1, v3
	v_mad_u64_u32 v[2:3], s[2:3], v1, s26, v[2:3]
	v_mad_u64_u32 v[0:1], s[2:3], v1, s27, v[0:1]
.LBB23_283:
	s_waitcnt vmcnt(0)
	v_mov_b32_e32 v1, 0
	s_and_b32 s8, 0xffff, s74
	s_cmp_lt_i32 s8, 11
	s_waitcnt lgkmcnt(0)
	v_lshl_add_u64 v[4:5], s[22:23], 0, v[0:1]
	s_cbranch_scc1 .LBB23_290
; %bb.284:
	s_cmp_gt_i32 s8, 25
	s_cbranch_scc0 .LBB23_299
; %bb.285:
	s_cmp_gt_i32 s8, 28
	s_cbranch_scc0 .LBB23_301
	;; [unrolled: 3-line block ×4, first 2 shown]
; %bb.288:
	s_cmp_eq_u32 s8, 46
	s_mov_b64 s[6:7], 0
	s_cbranch_scc0 .LBB23_311
; %bb.289:
	global_load_dword v0, v[4:5], off
	s_mov_b64 s[2:3], -1
	s_mov_b64 s[4:5], 0
	s_waitcnt vmcnt(0)
	v_lshlrev_b32_e32 v0, 16, v0
	v_cvt_i32_f32_e32 v0, v0
	s_branch .LBB23_312
.LBB23_290:
	s_mov_b64 s[2:3], 0
                                        ; implicit-def: $vgpr0
	s_mov_b64 s[4:5], s[56:57]
	s_cbranch_execnz .LBB23_485
.LBB23_291:
	s_andn2_b64 vcc, exec, s[2:3]
	s_cbranch_vccnz .LBB23_533
.LBB23_292:
	v_mov_b32_e32 v3, 0
	s_and_b32 s12, s73, 0xff
	s_waitcnt vmcnt(0)
	v_xor_b32_e32 v1, -1, v0
	s_cmp_lt_i32 s12, 11
	v_lshl_add_u64 v[2:3], s[20:21], 0, v[2:3]
	s_cbranch_scc1 .LBB23_300
; %bb.293:
	s_and_b32 s13, 0xffff, s12
	s_cmp_gt_i32 s13, 25
	s_cbranch_scc0 .LBB23_302
; %bb.294:
	s_cmp_gt_i32 s13, 28
	s_cbranch_scc0 .LBB23_304
; %bb.295:
	;; [unrolled: 3-line block ×4, first 2 shown]
	s_mov_b64 s[8:9], 0
	s_mov_b64 s[2:3], -1
	s_cmp_eq_u32 s13, 46
	s_mov_b64 s[6:7], 0
	s_cbranch_scc0 .LBB23_316
; %bb.298:
	v_bfe_i32 v4, v1, 0, 8
	v_cvt_f32_i32_sdwa v4, sext(v4) dst_sel:DWORD dst_unused:UNUSED_PAD src0_sel:WORD_0
	s_movk_i32 s2, 0x7fff
	s_mov_b64 s[6:7], -1
	v_bfe_u32 v5, v4, 16, 1
	v_add3_u32 v4, v4, v5, s2
	v_lshrrev_b32_e32 v4, 16, v4
	global_store_dword v[2:3], v4, off
	s_mov_b64 s[2:3], 0
	s_branch .LBB23_316
.LBB23_299:
	s_mov_b64 s[6:7], -1
	s_mov_b64 s[2:3], 0
	s_mov_b64 s[4:5], s[56:57]
                                        ; implicit-def: $vgpr0
	s_branch .LBB23_451
.LBB23_300:
	s_mov_b64 s[8:9], -1
	s_mov_b64 s[6:7], 0
	s_mov_b64 s[2:3], s[54:55]
	s_branch .LBB23_385
.LBB23_301:
	s_mov_b64 s[6:7], -1
	s_mov_b64 s[2:3], 0
	s_mov_b64 s[4:5], s[56:57]
                                        ; implicit-def: $vgpr0
	s_branch .LBB23_434
.LBB23_302:
	s_mov_b64 s[8:9], -1
	s_mov_b64 s[6:7], 0
	s_mov_b64 s[2:3], s[54:55]
	s_branch .LBB23_343
.LBB23_303:
	s_mov_b64 s[6:7], -1
	s_mov_b64 s[2:3], 0
	s_mov_b64 s[4:5], s[56:57]
                                        ; implicit-def: $vgpr0
	s_branch .LBB23_429
.LBB23_304:
	s_mov_b64 s[8:9], -1
	s_mov_b64 s[6:7], 0
	s_mov_b64 s[2:3], s[54:55]
	s_branch .LBB23_326
.LBB23_305:
	s_andn2_saveexec_b64 s[10:11], s[10:11]
	s_cbranch_execz .LBB23_69
.LBB23_306:
	s_mov_b32 s14, 0x46000000
	v_add_f32_e64 v5, |v4|, s14
	v_and_b32_e32 v5, 0xff, v5
	v_cmp_ne_u32_e32 vcc, 0, v5
	s_andn2_b64 s[8:9], s[8:9], exec
	s_and_b64 s[14:15], vcc, exec
	s_or_b64 s[8:9], s[8:9], s[14:15]
	s_or_b64 exec, exec, s[10:11]
	v_mov_b32_e32 v6, 0
	s_and_saveexec_b64 s[10:11], s[8:9]
	s_cbranch_execnz .LBB23_70
	s_branch .LBB23_71
.LBB23_307:
	s_mov_b64 s[6:7], -1
	s_mov_b64 s[2:3], 0
	s_mov_b64 s[4:5], s[56:57]
                                        ; implicit-def: $vgpr0
	s_branch .LBB23_312
.LBB23_308:
	s_mov_b64 s[8:9], -1
	s_mov_b64 s[6:7], 0
	s_mov_b64 s[2:3], s[54:55]
	s_branch .LBB23_322
.LBB23_309:
	s_andn2_saveexec_b64 s[10:11], s[10:11]
	s_cbranch_execz .LBB23_82
.LBB23_310:
	s_mov_b32 s14, 0x42800000
	v_add_f32_e64 v5, |v4|, s14
	v_and_b32_e32 v5, 0xff, v5
	v_cmp_ne_u32_e32 vcc, 0, v5
	s_andn2_b64 s[8:9], s[8:9], exec
	s_and_b64 s[14:15], vcc, exec
	s_or_b64 s[8:9], s[8:9], s[14:15]
	s_or_b64 exec, exec, s[10:11]
	v_mov_b32_e32 v6, 0
	s_and_saveexec_b64 s[10:11], s[8:9]
	s_cbranch_execnz .LBB23_83
	s_branch .LBB23_84
.LBB23_311:
	s_mov_b64 s[4:5], -1
                                        ; implicit-def: $vgpr0
	s_mov_b64 s[2:3], 0
.LBB23_312:
	s_and_b64 vcc, exec, s[6:7]
	s_cbranch_vccz .LBB23_428
; %bb.313:
	s_cmp_eq_u32 s8, 44
	s_cbranch_scc0 .LBB23_427
; %bb.314:
	global_load_ubyte v0, v[4:5], off
	s_mov_b64 s[2:3], -1
	s_mov_b64 s[4:5], 0
	s_waitcnt vmcnt(0)
	v_lshlrev_b32_e32 v1, 23, v0
	v_cvt_i32_f32_e32 v1, v1
	v_cmp_ne_u32_e32 vcc, 0, v0
	s_nop 1
	v_cndmask_b32_e32 v0, 0, v1, vcc
	s_branch .LBB23_428
.LBB23_315:
	s_mov_b64 s[8:9], -1
	s_mov_b64 s[6:7], 0
	s_mov_b64 s[2:3], s[54:55]
.LBB23_316:
	s_and_b64 vcc, exec, s[8:9]
	s_cbranch_vccz .LBB23_321
; %bb.317:
	s_cmp_eq_u32 s13, 44
	s_mov_b64 s[2:3], -1
	s_cbranch_scc0 .LBB23_321
; %bb.318:
	v_bfe_i32 v4, v1, 0, 8
	v_cvt_f32_i32_sdwa v4, sext(v4) dst_sel:DWORD dst_unused:UNUSED_PAD src0_sel:WORD_0
	s_movk_i32 s2, 0xff
	v_mov_b32_e32 v6, 0xff
	v_bfe_u32 v5, v4, 23, 8
	v_cmp_ne_u32_e32 vcc, s2, v5
	s_and_saveexec_b64 s[6:7], vcc
; %bb.319:
	s_mov_b32 s2, 0x3fffff
	v_lshrrev_b32_e32 v6, 23, v4
	v_and_b32_e32 v7, 0x400000, v4
	v_and_or_b32 v4, v4, s2, v5
	v_cmp_ne_u32_e32 vcc, 0, v7
	v_cmp_ne_u32_e64 s[2:3], 0, v4
	s_and_b64 s[2:3], vcc, s[2:3]
	s_nop 0
	v_cndmask_b32_e64 v4, 0, 1, s[2:3]
	v_add_u32_e32 v6, v6, v4
; %bb.320:
	s_or_b64 exec, exec, s[6:7]
	s_mov_b64 s[6:7], -1
	s_mov_b64 s[2:3], 0
	global_store_byte v[2:3], v6, off
.LBB23_321:
	s_mov_b64 s[8:9], 0
.LBB23_322:
	s_and_b64 vcc, exec, s[8:9]
	s_cbranch_vccz .LBB23_325
; %bb.323:
	s_cmp_eq_u32 s13, 29
	s_mov_b64 s[2:3], -1
	s_cbranch_scc0 .LBB23_325
; %bb.324:
	v_bfe_i32 v4, v1, 0, 8
	v_ashrrev_i32_e32 v5, 31, v4
	global_store_dwordx2 v[2:3], v[4:5], off
	s_mov_b64 s[6:7], -1
	s_mov_b64 s[2:3], 0
.LBB23_325:
	s_mov_b64 s[8:9], 0
.LBB23_326:
	s_and_b64 vcc, exec, s[8:9]
	s_cbranch_vccz .LBB23_342
; %bb.327:
	s_cmp_lt_i32 s13, 27
	s_mov_b64 s[6:7], -1
	s_cbranch_scc1 .LBB23_333
; %bb.328:
	s_cmp_gt_i32 s13, 27
	s_cbranch_scc0 .LBB23_330
; %bb.329:
	v_bfe_i32 v4, v1, 0, 8
	s_mov_b64 s[6:7], 0
	global_store_dword v[2:3], v4, off
.LBB23_330:
	s_andn2_b64 vcc, exec, s[6:7]
	s_cbranch_vccnz .LBB23_332
; %bb.331:
	v_bfe_i32 v4, v1, 0, 8
	global_store_short v[2:3], v4, off
.LBB23_332:
	s_mov_b64 s[6:7], 0
.LBB23_333:
	s_andn2_b64 vcc, exec, s[6:7]
	s_cbranch_vccnz .LBB23_341
; %bb.334:
	v_bfe_i32 v4, v1, 0, 8
	v_cvt_f32_i32_sdwa v4, sext(v4) dst_sel:DWORD dst_unused:UNUSED_PAD src0_sel:WORD_0
	s_mov_b32 s6, 0x43800000
	v_mov_b32_e32 v6, 0x80
	v_and_b32_e32 v5, 0x7fffffff, v4
	v_cmp_gt_u32_e32 vcc, s6, v5
	s_and_saveexec_b64 s[6:7], vcc
	s_cbranch_execz .LBB23_340
; %bb.335:
	s_mov_b32 s8, 0x3bffffff
	v_cmp_lt_u32_e32 vcc, s8, v5
	s_mov_b64 s[8:9], 0
                                        ; implicit-def: $vgpr5
	s_and_saveexec_b64 s[10:11], vcc
	s_xor_b64 s[10:11], exec, s[10:11]
	s_cbranch_execz .LBB23_565
; %bb.336:
	v_bfe_u32 v5, v4, 20, 1
	s_mov_b32 s14, 0x487ffff
	v_add3_u32 v5, v4, v5, s14
	s_mov_b64 s[8:9], exec
	v_lshrrev_b32_e32 v5, 20, v5
	s_andn2_saveexec_b64 s[10:11], s[10:11]
	s_cbranch_execnz .LBB23_566
.LBB23_337:
	s_or_b64 exec, exec, s[10:11]
	v_mov_b32_e32 v6, 0
	s_and_saveexec_b64 s[10:11], s[8:9]
.LBB23_338:
	v_lshrrev_b32_e32 v4, 24, v4
	s_movk_i32 s8, 0x80
	v_and_or_b32 v6, v4, s8, v5
.LBB23_339:
	s_or_b64 exec, exec, s[10:11]
.LBB23_340:
	s_or_b64 exec, exec, s[6:7]
	global_store_byte v[2:3], v6, off
.LBB23_341:
	s_mov_b64 s[6:7], -1
.LBB23_342:
	s_mov_b64 s[8:9], 0
.LBB23_343:
	s_and_b64 vcc, exec, s[8:9]
	s_cbranch_vccz .LBB23_384
; %bb.344:
	s_cmp_gt_i32 s13, 22
	s_mov_b64 s[8:9], -1
	s_cbranch_scc0 .LBB23_376
; %bb.345:
	s_cmp_lt_i32 s13, 24
	s_mov_b64 s[6:7], -1
	s_cbranch_scc1 .LBB23_365
; %bb.346:
	s_cmp_gt_i32 s13, 24
	s_cbranch_scc0 .LBB23_354
; %bb.347:
	v_bfe_i32 v4, v1, 0, 8
	v_cvt_f32_i32_sdwa v4, sext(v4) dst_sel:DWORD dst_unused:UNUSED_PAD src0_sel:WORD_0
	s_mov_b32 s6, 0x47800000
	v_mov_b32_e32 v6, 0x80
	v_and_b32_e32 v5, 0x7fffffff, v4
	v_cmp_gt_u32_e32 vcc, s6, v5
	s_and_saveexec_b64 s[6:7], vcc
	s_cbranch_execz .LBB23_353
; %bb.348:
	s_mov_b32 s8, 0x37ffffff
	v_cmp_lt_u32_e32 vcc, s8, v5
	s_mov_b64 s[8:9], 0
                                        ; implicit-def: $vgpr5
	s_and_saveexec_b64 s[10:11], vcc
	s_xor_b64 s[10:11], exec, s[10:11]
	s_cbranch_execz .LBB23_568
; %bb.349:
	v_bfe_u32 v5, v4, 21, 1
	s_mov_b32 s14, 0x88fffff
	v_add3_u32 v5, v4, v5, s14
	s_mov_b64 s[8:9], exec
	v_lshrrev_b32_e32 v5, 21, v5
	s_andn2_saveexec_b64 s[10:11], s[10:11]
	s_cbranch_execnz .LBB23_569
.LBB23_350:
	s_or_b64 exec, exec, s[10:11]
	v_mov_b32_e32 v6, 0
	s_and_saveexec_b64 s[10:11], s[8:9]
.LBB23_351:
	v_lshrrev_b32_e32 v4, 24, v4
	s_movk_i32 s8, 0x80
	v_and_or_b32 v6, v4, s8, v5
.LBB23_352:
	s_or_b64 exec, exec, s[10:11]
.LBB23_353:
	s_or_b64 exec, exec, s[6:7]
	s_mov_b64 s[6:7], 0
	global_store_byte v[2:3], v6, off
.LBB23_354:
	s_and_b64 vcc, exec, s[6:7]
	s_cbranch_vccz .LBB23_364
; %bb.355:
	v_bfe_i32 v4, v1, 0, 8
	v_cvt_f32_i32_sdwa v4, sext(v4) dst_sel:DWORD dst_unused:UNUSED_PAD src0_sel:WORD_0
	s_mov_b32 s6, 0x43f00000
                                        ; implicit-def: $vgpr5
	v_and_b32_e32 v6, 0x7fffffff, v4
	v_cmp_gt_u32_e32 vcc, s6, v6
	s_and_saveexec_b64 s[6:7], vcc
	s_xor_b64 s[6:7], exec, s[6:7]
	s_cbranch_execz .LBB23_361
; %bb.356:
	s_mov_b32 s8, 0x3c7fffff
	v_cmp_lt_u32_e32 vcc, s8, v6
                                        ; implicit-def: $vgpr5
	s_and_saveexec_b64 s[8:9], vcc
	s_xor_b64 s[8:9], exec, s[8:9]
; %bb.357:
	v_bfe_u32 v5, v4, 20, 1
	s_mov_b32 s10, 0x407ffff
	v_add3_u32 v5, v4, v5, s10
	v_lshrrev_b32_e32 v6, 20, v5
	v_and_b32_e32 v5, 0xff00000, v5
	s_mov_b32 s10, 0x7f00000
	v_mov_b32_e32 v7, 0x7e
	v_cmp_ne_u32_e32 vcc, s10, v5
	s_nop 1
	v_cndmask_b32_e32 v5, v7, v6, vcc
; %bb.358:
	s_andn2_saveexec_b64 s[8:9], s[8:9]
; %bb.359:
	s_mov_b32 s10, 0x46800000
	v_add_f32_e64 v5, |v4|, s10
; %bb.360:
	s_or_b64 exec, exec, s[8:9]
                                        ; implicit-def: $vgpr6
.LBB23_361:
	s_andn2_saveexec_b64 s[6:7], s[6:7]
; %bb.362:
	s_mov_b32 s8, 0x7f800000
	v_mov_b32_e32 v5, 0x7e
	v_mov_b32_e32 v7, 0x7f
	v_cmp_lt_u32_e32 vcc, s8, v6
	s_nop 1
	v_cndmask_b32_e32 v5, v5, v7, vcc
; %bb.363:
	s_or_b64 exec, exec, s[6:7]
	v_lshrrev_b32_e32 v4, 24, v4
	s_movk_i32 s6, 0x80
	v_and_or_b32 v4, v4, s6, v5
	global_store_byte v[2:3], v4, off
.LBB23_364:
	s_mov_b64 s[6:7], 0
.LBB23_365:
	s_andn2_b64 vcc, exec, s[6:7]
	s_cbranch_vccnz .LBB23_375
; %bb.366:
	v_bfe_i32 v4, v1, 0, 8
	v_cvt_f32_i32_sdwa v4, sext(v4) dst_sel:DWORD dst_unused:UNUSED_PAD src0_sel:WORD_0
	s_mov_b32 s6, 0x47800000
                                        ; implicit-def: $vgpr5
	v_and_b32_e32 v6, 0x7fffffff, v4
	v_cmp_gt_u32_e32 vcc, s6, v6
	s_and_saveexec_b64 s[6:7], vcc
	s_xor_b64 s[6:7], exec, s[6:7]
	s_cbranch_execz .LBB23_372
; %bb.367:
	s_mov_b32 s8, 0x387fffff
	v_cmp_lt_u32_e32 vcc, s8, v6
                                        ; implicit-def: $vgpr5
	s_and_saveexec_b64 s[8:9], vcc
	s_xor_b64 s[8:9], exec, s[8:9]
; %bb.368:
	v_bfe_u32 v5, v4, 21, 1
	s_mov_b32 s10, 0x80fffff
	v_add3_u32 v5, v4, v5, s10
	v_lshrrev_b32_e32 v5, 21, v5
; %bb.369:
	s_andn2_saveexec_b64 s[8:9], s[8:9]
; %bb.370:
	s_mov_b32 s10, 0x43000000
	v_add_f32_e64 v5, |v4|, s10
; %bb.371:
	s_or_b64 exec, exec, s[8:9]
                                        ; implicit-def: $vgpr6
.LBB23_372:
	s_andn2_saveexec_b64 s[6:7], s[6:7]
; %bb.373:
	s_mov_b32 s8, 0x7f800000
	v_mov_b32_e32 v5, 0x7c
	v_mov_b32_e32 v7, 0x7f
	v_cmp_lt_u32_e32 vcc, s8, v6
	s_nop 1
	v_cndmask_b32_e32 v5, v5, v7, vcc
; %bb.374:
	s_or_b64 exec, exec, s[6:7]
	v_lshrrev_b32_e32 v4, 24, v4
	s_movk_i32 s6, 0x80
	v_and_or_b32 v4, v4, s6, v5
	global_store_byte v[2:3], v4, off
.LBB23_375:
	s_mov_b64 s[8:9], 0
	s_mov_b64 s[6:7], -1
.LBB23_376:
	s_andn2_b64 vcc, exec, s[8:9]
	s_cbranch_vccnz .LBB23_384
; %bb.377:
	s_cmp_gt_i32 s13, 14
	s_mov_b64 s[8:9], -1
	s_cbranch_scc0 .LBB23_381
; %bb.378:
	s_cmp_eq_u32 s13, 15
	s_mov_b64 s[2:3], -1
	s_cbranch_scc0 .LBB23_380
; %bb.379:
	v_bfe_i32 v4, v1, 0, 8
	v_cvt_f32_i32_sdwa v4, sext(v4) dst_sel:DWORD dst_unused:UNUSED_PAD src0_sel:WORD_0
	s_movk_i32 s2, 0x7fff
	s_mov_b64 s[6:7], -1
	v_bfe_u32 v5, v4, 16, 1
	v_add3_u32 v4, v4, v5, s2
	global_store_short_d16_hi v[2:3], v4, off
	s_mov_b64 s[2:3], 0
.LBB23_380:
	s_mov_b64 s[8:9], 0
.LBB23_381:
	s_and_b64 vcc, exec, s[8:9]
	s_cbranch_vccz .LBB23_384
; %bb.382:
	s_cmp_eq_u32 s13, 11
	s_mov_b64 s[2:3], -1
	s_cbranch_scc0 .LBB23_384
; %bb.383:
	s_movk_i32 s2, 0xff
	v_cmp_ne_u16_sdwa s[2:3], v0, s2 src0_sel:BYTE_0 src1_sel:DWORD
	s_mov_b64 s[6:7], -1
	s_nop 0
	v_cndmask_b32_e64 v0, 0, 1, s[2:3]
	s_mov_b64 s[2:3], 0
	global_store_byte v[2:3], v0, off
.LBB23_384:
	s_mov_b64 s[8:9], 0
.LBB23_385:
	s_and_b64 vcc, exec, s[8:9]
	s_cbranch_vccz .LBB23_424
; %bb.386:
	s_and_b32 s8, 0xffff, s12
	s_cmp_lt_i32 s8, 5
	s_mov_b64 s[6:7], -1
	s_cbranch_scc1 .LBB23_407
; %bb.387:
	s_cmp_lt_i32 s8, 8
	s_cbranch_scc1 .LBB23_397
; %bb.388:
	s_cmp_lt_i32 s8, 9
	s_cbranch_scc1 .LBB23_394
; %bb.389:
	s_cmp_gt_i32 s8, 9
	s_cbranch_scc0 .LBB23_391
; %bb.390:
	v_bfe_i32 v0, v1, 0, 8
	v_bfe_i32 v0, v0, 0, 16
	v_mov_b32_e32 v6, 0
	v_cvt_f64_i32_e32 v[4:5], v0
	v_mov_b32_e32 v7, v6
	s_mov_b64 s[6:7], 0
	global_store_dwordx4 v[2:3], v[4:7], off
.LBB23_391:
	s_andn2_b64 vcc, exec, s[6:7]
	s_cbranch_vccnz .LBB23_393
; %bb.392:
	v_bfe_i32 v0, v1, 0, 8
	v_cvt_f32_i32_sdwa v4, sext(v0) dst_sel:DWORD dst_unused:UNUSED_PAD src0_sel:WORD_0
	v_mov_b32_e32 v5, 0
	global_store_dwordx2 v[2:3], v[4:5], off
.LBB23_393:
	s_mov_b64 s[6:7], 0
.LBB23_394:
	s_andn2_b64 vcc, exec, s[6:7]
	s_cbranch_vccnz .LBB23_396
; %bb.395:
	v_cvt_f16_i16_sdwa v0, sext(v1) dst_sel:DWORD dst_unused:UNUSED_PAD src0_sel:BYTE_0
	global_store_dword v[2:3], v0, off
.LBB23_396:
	s_mov_b64 s[6:7], 0
.LBB23_397:
	s_andn2_b64 vcc, exec, s[6:7]
	s_cbranch_vccnz .LBB23_406
; %bb.398:
	s_cmp_lt_i32 s8, 6
	s_mov_b64 s[6:7], -1
	s_cbranch_scc1 .LBB23_404
; %bb.399:
	s_cmp_gt_i32 s8, 6
	s_cbranch_scc0 .LBB23_401
; %bb.400:
	v_bfe_i32 v0, v1, 0, 8
	v_bfe_i32 v0, v0, 0, 16
	v_cvt_f64_i32_e32 v[4:5], v0
	s_mov_b64 s[6:7], 0
	global_store_dwordx2 v[2:3], v[4:5], off
.LBB23_401:
	s_andn2_b64 vcc, exec, s[6:7]
	s_cbranch_vccnz .LBB23_403
; %bb.402:
	v_bfe_i32 v0, v1, 0, 8
	v_cvt_f32_i32_sdwa v0, sext(v0) dst_sel:DWORD dst_unused:UNUSED_PAD src0_sel:WORD_0
	global_store_dword v[2:3], v0, off
.LBB23_403:
	s_mov_b64 s[6:7], 0
.LBB23_404:
	s_andn2_b64 vcc, exec, s[6:7]
	s_cbranch_vccnz .LBB23_406
; %bb.405:
	v_cvt_f16_i16_sdwa v0, sext(v1) dst_sel:DWORD dst_unused:UNUSED_PAD src0_sel:BYTE_0
	global_store_short v[2:3], v0, off
.LBB23_406:
	s_mov_b64 s[6:7], 0
.LBB23_407:
	s_andn2_b64 vcc, exec, s[6:7]
	s_cbranch_vccnz .LBB23_423
; %bb.408:
	s_cmp_lt_i32 s8, 2
	s_mov_b64 s[6:7], -1
	s_cbranch_scc1 .LBB23_418
; %bb.409:
	s_cmp_lt_i32 s8, 3
	s_cbranch_scc1 .LBB23_415
; %bb.410:
	s_cmp_gt_i32 s8, 3
	s_cbranch_scc0 .LBB23_412
; %bb.411:
	v_bfe_i32 v4, v1, 0, 8
	v_ashrrev_i32_e32 v5, 31, v4
	s_mov_b64 s[6:7], 0
	global_store_dwordx2 v[2:3], v[4:5], off
.LBB23_412:
	s_andn2_b64 vcc, exec, s[6:7]
	s_cbranch_vccnz .LBB23_414
; %bb.413:
	v_bfe_i32 v0, v1, 0, 8
	global_store_dword v[2:3], v0, off
.LBB23_414:
	s_mov_b64 s[6:7], 0
.LBB23_415:
	s_andn2_b64 vcc, exec, s[6:7]
	s_cbranch_vccnz .LBB23_417
; %bb.416:
	v_bfe_i32 v0, v1, 0, 8
	global_store_short v[2:3], v0, off
.LBB23_417:
	s_mov_b64 s[6:7], 0
.LBB23_418:
	s_andn2_b64 vcc, exec, s[6:7]
	s_cbranch_vccnz .LBB23_423
; %bb.419:
	s_cmp_gt_i32 s8, 0
	s_mov_b64 s[6:7], -1
	s_cbranch_scc0 .LBB23_421
; %bb.420:
	s_mov_b64 s[6:7], 0
	global_store_byte v[2:3], v1, off
.LBB23_421:
	s_andn2_b64 vcc, exec, s[6:7]
	s_cbranch_vccnz .LBB23_423
; %bb.422:
	global_store_byte v[2:3], v1, off
.LBB23_423:
	s_mov_b64 s[6:7], -1
.LBB23_424:
	s_andn2_b64 vcc, exec, s[6:7]
	s_cbranch_vccnz .LBB23_426
; %bb.425:
	v_add_u32_e32 v9, 0x80, v9
	s_mov_b64 s[6:7], -1
	s_branch .LBB23_535
.LBB23_426:
	s_mov_b64 s[6:7], 0
	s_branch .LBB23_534
.LBB23_427:
	s_mov_b64 s[4:5], -1
                                        ; implicit-def: $vgpr0
.LBB23_428:
	s_mov_b64 s[6:7], 0
.LBB23_429:
	s_and_b64 vcc, exec, s[6:7]
	s_cbranch_vccz .LBB23_433
; %bb.430:
	s_cmp_eq_u32 s8, 29
	s_cbranch_scc0 .LBB23_432
; %bb.431:
	global_load_dwordx2 v[0:1], v[4:5], off
	s_mov_b64 s[2:3], -1
	s_mov_b64 s[4:5], 0
	s_branch .LBB23_433
.LBB23_432:
	s_mov_b64 s[4:5], -1
                                        ; implicit-def: $vgpr0
.LBB23_433:
	s_mov_b64 s[6:7], 0
.LBB23_434:
	s_and_b64 vcc, exec, s[6:7]
	s_cbranch_vccz .LBB23_450
; %bb.435:
	s_cmp_lt_i32 s8, 27
	s_cbranch_scc1 .LBB23_438
; %bb.436:
	s_cmp_gt_i32 s8, 27
	s_cbranch_scc0 .LBB23_439
; %bb.437:
	global_load_dword v0, v[4:5], off
	s_mov_b64 s[2:3], 0
	s_branch .LBB23_440
.LBB23_438:
	s_mov_b64 s[2:3], -1
                                        ; implicit-def: $vgpr0
	s_branch .LBB23_443
.LBB23_439:
	s_mov_b64 s[2:3], -1
                                        ; implicit-def: $vgpr0
.LBB23_440:
	s_andn2_b64 vcc, exec, s[2:3]
	s_cbranch_vccnz .LBB23_442
; %bb.441:
	global_load_ushort v0, v[4:5], off
.LBB23_442:
	s_mov_b64 s[2:3], 0
.LBB23_443:
	s_andn2_b64 vcc, exec, s[2:3]
	s_cbranch_vccnz .LBB23_449
; %bb.444:
	global_load_ubyte v1, v[4:5], off
	s_movk_i32 s2, 0x7f
	s_mov_b64 s[6:7], 0
	s_waitcnt vmcnt(0)
	v_cmp_lt_i16_e32 vcc, s2, v1
	s_and_saveexec_b64 s[2:3], vcc
	s_xor_b64 s[2:3], exec, s[2:3]
	s_cbranch_execz .LBB23_461
; %bb.445:
	s_movk_i32 s6, 0x80
	v_cmp_ne_u16_e32 vcc, s6, v1
	s_and_b64 s[6:7], vcc, exec
	s_andn2_saveexec_b64 s[2:3], s[2:3]
	s_cbranch_execnz .LBB23_462
.LBB23_446:
	s_or_b64 exec, exec, s[2:3]
	v_mov_b32_e32 v0, 0
	s_and_saveexec_b64 s[2:3], s[6:7]
	s_cbranch_execz .LBB23_448
.LBB23_447:
	v_lshlrev_b32_e32 v0, 24, v1
	v_and_b32_e32 v1, 0xffff, v1
	v_and_b32_e32 v3, 7, v1
	v_ffbh_u32_e32 v7, v3
	v_min_u32_e32 v7, 32, v7
	v_subrev_u32_e32 v8, 28, v7
	v_bfe_u32 v6, v1, 3, 4
	v_lshlrev_b32_e32 v1, v8, v1
	v_sub_u32_e32 v7, 29, v7
	v_and_b32_e32 v1, 7, v1
	v_cmp_eq_u32_e32 vcc, 0, v6
	v_and_b32_e32 v0, 0x80000000, v0
	s_nop 0
	v_cndmask_b32_e32 v6, v6, v7, vcc
	v_cndmask_b32_e32 v1, v3, v1, vcc
	v_mov_b32_e32 v3, 0x3b800000
	v_lshlrev_b32_e32 v1, 20, v1
	v_lshl_add_u32 v3, v6, 23, v3
	v_or3_b32 v0, v0, v3, v1
	v_cvt_i32_f32_e32 v0, v0
.LBB23_448:
	s_or_b64 exec, exec, s[2:3]
.LBB23_449:
	s_mov_b64 s[2:3], -1
.LBB23_450:
	s_mov_b64 s[6:7], 0
.LBB23_451:
	s_and_b64 vcc, exec, s[6:7]
	s_cbranch_vccz .LBB23_484
; %bb.452:
	s_cmp_gt_i32 s8, 22
	s_cbranch_scc0 .LBB23_460
; %bb.453:
	s_cmp_lt_i32 s8, 24
	s_cbranch_scc1 .LBB23_463
; %bb.454:
	s_cmp_gt_i32 s8, 24
	s_cbranch_scc0 .LBB23_464
; %bb.455:
	global_load_ubyte v1, v[4:5], off
	s_movk_i32 s2, 0x7f
	s_mov_b64 s[6:7], 0
	s_waitcnt vmcnt(0)
	v_cmp_lt_i16_e32 vcc, s2, v1
	s_and_saveexec_b64 s[2:3], vcc
	s_xor_b64 s[2:3], exec, s[2:3]
	s_cbranch_execz .LBB23_476
; %bb.456:
	s_movk_i32 s6, 0x80
	v_cmp_ne_u16_e32 vcc, s6, v1
	s_and_b64 s[6:7], vcc, exec
	s_andn2_saveexec_b64 s[2:3], s[2:3]
	s_cbranch_execnz .LBB23_477
.LBB23_457:
	s_or_b64 exec, exec, s[2:3]
	v_mov_b32_e32 v0, 0
	s_and_saveexec_b64 s[2:3], s[6:7]
	s_cbranch_execz .LBB23_459
.LBB23_458:
	v_lshlrev_b32_e32 v0, 24, v1
	v_and_b32_e32 v1, 0xffff, v1
	v_and_b32_e32 v3, 3, v1
	v_ffbh_u32_e32 v7, v3
	v_min_u32_e32 v7, 32, v7
	v_subrev_u32_e32 v8, 29, v7
	v_bfe_u32 v6, v1, 2, 5
	v_lshlrev_b32_e32 v1, v8, v1
	v_sub_u32_e32 v7, 30, v7
	v_and_b32_e32 v1, 3, v1
	v_cmp_eq_u32_e32 vcc, 0, v6
	v_and_b32_e32 v0, 0x80000000, v0
	s_nop 0
	v_cndmask_b32_e32 v6, v6, v7, vcc
	v_cndmask_b32_e32 v1, v3, v1, vcc
	v_mov_b32_e32 v3, 0x37800000
	v_lshlrev_b32_e32 v1, 21, v1
	v_lshl_add_u32 v3, v6, 23, v3
	v_or3_b32 v0, v0, v3, v1
	v_cvt_i32_f32_e32 v0, v0
.LBB23_459:
	s_or_b64 exec, exec, s[2:3]
	s_mov_b64 s[2:3], 0
	s_branch .LBB23_465
.LBB23_460:
	s_mov_b64 s[6:7], -1
                                        ; implicit-def: $vgpr0
	s_branch .LBB23_471
.LBB23_461:
	s_andn2_saveexec_b64 s[2:3], s[2:3]
	s_cbranch_execz .LBB23_446
.LBB23_462:
	v_cmp_ne_u16_e32 vcc, 0, v1
	s_andn2_b64 s[6:7], s[6:7], exec
	s_and_b64 s[10:11], vcc, exec
	s_or_b64 s[6:7], s[6:7], s[10:11]
	s_or_b64 exec, exec, s[2:3]
	v_mov_b32_e32 v0, 0
	s_and_saveexec_b64 s[2:3], s[6:7]
	s_cbranch_execnz .LBB23_447
	s_branch .LBB23_448
.LBB23_463:
	s_mov_b64 s[2:3], -1
                                        ; implicit-def: $vgpr0
	s_branch .LBB23_468
.LBB23_464:
	s_mov_b64 s[2:3], -1
                                        ; implicit-def: $vgpr0
.LBB23_465:
	s_and_b64 vcc, exec, s[2:3]
	s_cbranch_vccz .LBB23_467
; %bb.466:
	global_load_ubyte v0, v[4:5], off
	s_mov_b32 s2, 0x7f800000
	s_waitcnt vmcnt(0)
	v_lshlrev_b32_e32 v0, 24, v0
	v_and_b32_e32 v1, 0x7f000000, v0
	v_ffbh_u32_e32 v3, v1
	v_min_u32_e32 v3, 32, v3
	v_sub_u32_e64 v3, v3, 4 clamp
	v_lshlrev_b32_e32 v7, v3, v1
	v_lshlrev_b32_e32 v3, 23, v3
	v_lshrrev_b32_e32 v7, 4, v7
	v_add_u32_e32 v6, 0x1000000, v1
	v_sub_u32_e32 v3, v7, v3
	v_ashrrev_i32_e32 v6, 8, v6
	v_add_u32_e32 v3, 0x3c000000, v3
	v_and_or_b32 v3, v6, s2, v3
	v_cmp_ne_u32_e32 vcc, 0, v1
	s_brev_b32 s2, 1
	s_nop 0
	v_cndmask_b32_e32 v1, 0, v3, vcc
	v_and_or_b32 v0, v0, s2, v1
	v_cvt_i32_f32_e32 v0, v0
.LBB23_467:
	s_mov_b64 s[2:3], 0
.LBB23_468:
	s_andn2_b64 vcc, exec, s[2:3]
	s_cbranch_vccnz .LBB23_470
; %bb.469:
	global_load_ubyte v0, v[4:5], off
	s_movk_i32 s2, 0x7f00
	s_brev_b32 s3, 16
	s_waitcnt vmcnt(0)
	v_lshlrev_b16_e32 v1, 8, v0
	v_lshlrev_b32_e32 v0, 25, v0
	v_lshrrev_b32_e32 v3, 4, v0
	v_and_or_b32 v6, v1, s2, 0.5
	v_or_b32_e32 v3, 0x70000000, v3
	v_add_f32_e32 v6, -0.5, v6
	v_mul_f32_e32 v3, 0x7800000, v3
	v_cmp_gt_u32_e32 vcc, s3, v0
	v_bfe_i32 v1, v1, 0, 16
	s_brev_b32 s2, 1
	v_cndmask_b32_e32 v0, v3, v6, vcc
	v_and_or_b32 v0, v1, s2, v0
	v_cvt_i32_f32_e32 v0, v0
.LBB23_470:
	s_mov_b64 s[6:7], 0
	s_mov_b64 s[2:3], -1
.LBB23_471:
	s_andn2_b64 vcc, exec, s[6:7]
	s_cbranch_vccnz .LBB23_484
; %bb.472:
	s_cmp_gt_i32 s8, 14
	s_cbranch_scc0 .LBB23_475
; %bb.473:
	s_cmp_eq_u32 s8, 15
	s_cbranch_scc0 .LBB23_478
; %bb.474:
	global_load_ushort v0, v[4:5], off
	s_mov_b64 s[2:3], -1
	s_mov_b64 s[4:5], 0
	s_waitcnt vmcnt(0)
	v_lshlrev_b32_e32 v0, 16, v0
	v_cvt_i32_f32_e32 v0, v0
	s_branch .LBB23_479
.LBB23_475:
	s_mov_b64 s[6:7], -1
                                        ; implicit-def: $vgpr0
	s_branch .LBB23_480
.LBB23_476:
	s_andn2_saveexec_b64 s[2:3], s[2:3]
	s_cbranch_execz .LBB23_457
.LBB23_477:
	v_cmp_ne_u16_e32 vcc, 0, v1
	s_andn2_b64 s[6:7], s[6:7], exec
	s_and_b64 s[10:11], vcc, exec
	s_or_b64 s[6:7], s[6:7], s[10:11]
	s_or_b64 exec, exec, s[2:3]
	v_mov_b32_e32 v0, 0
	s_and_saveexec_b64 s[2:3], s[6:7]
	s_cbranch_execnz .LBB23_458
	s_branch .LBB23_459
.LBB23_478:
	s_mov_b64 s[4:5], -1
                                        ; implicit-def: $vgpr0
.LBB23_479:
	s_mov_b64 s[6:7], 0
.LBB23_480:
	s_and_b64 vcc, exec, s[6:7]
	s_cbranch_vccz .LBB23_484
; %bb.481:
	s_cmp_eq_u32 s8, 11
	s_cbranch_scc0 .LBB23_483
; %bb.482:
	global_load_ubyte v0, v[4:5], off
	s_mov_b64 s[2:3], -1
	s_mov_b64 s[4:5], 0
	s_waitcnt vmcnt(0)
	v_cmp_ne_u16_e32 vcc, 0, v0
	s_nop 1
	v_cndmask_b32_e64 v0, 0, 1, vcc
	s_branch .LBB23_484
.LBB23_483:
	s_mov_b64 s[4:5], -1
                                        ; implicit-def: $vgpr0
.LBB23_484:
	s_branch .LBB23_291
.LBB23_485:
	s_cmp_lt_i32 s8, 5
	s_cbranch_scc1 .LBB23_490
; %bb.486:
	s_cmp_lt_i32 s8, 8
	s_cbranch_scc1 .LBB23_491
; %bb.487:
	;; [unrolled: 3-line block ×3, first 2 shown]
	s_cmp_gt_i32 s8, 9
	s_cbranch_scc0 .LBB23_493
; %bb.489:
	global_load_dwordx2 v[0:1], v[4:5], off
	s_mov_b64 s[2:3], 0
	s_waitcnt vmcnt(0)
	v_cvt_i32_f64_e32 v0, v[0:1]
	s_branch .LBB23_494
.LBB23_490:
	s_mov_b64 s[2:3], -1
                                        ; implicit-def: $vgpr0
	s_branch .LBB23_512
.LBB23_491:
	s_mov_b64 s[2:3], -1
                                        ; implicit-def: $vgpr0
	s_branch .LBB23_500
.LBB23_492:
	s_mov_b64 s[2:3], -1
                                        ; implicit-def: $vgpr0
	s_branch .LBB23_497
.LBB23_493:
	s_mov_b64 s[2:3], -1
                                        ; implicit-def: $vgpr0
.LBB23_494:
	s_andn2_b64 vcc, exec, s[2:3]
	s_cbranch_vccnz .LBB23_496
; %bb.495:
	global_load_dword v0, v[4:5], off
	s_waitcnt vmcnt(0)
	v_cvt_i32_f32_e32 v0, v0
.LBB23_496:
	s_mov_b64 s[2:3], 0
.LBB23_497:
	s_andn2_b64 vcc, exec, s[2:3]
	s_cbranch_vccnz .LBB23_499
; %bb.498:
	global_load_dword v0, v[4:5], off
	s_waitcnt vmcnt(0)
	v_cvt_i16_f16_e32 v0, v0
.LBB23_499:
	s_mov_b64 s[2:3], 0
.LBB23_500:
	s_andn2_b64 vcc, exec, s[2:3]
	s_cbranch_vccnz .LBB23_511
; %bb.501:
	s_cmp_lt_i32 s8, 6
	s_cbranch_scc1 .LBB23_504
; %bb.502:
	s_cmp_gt_i32 s8, 6
	s_cbranch_scc0 .LBB23_505
; %bb.503:
	global_load_dwordx2 v[0:1], v[4:5], off
	s_mov_b64 s[2:3], 0
	s_waitcnt vmcnt(0)
	v_cvt_i32_f64_e32 v0, v[0:1]
	s_branch .LBB23_506
.LBB23_504:
	s_mov_b64 s[2:3], -1
                                        ; implicit-def: $vgpr0
	s_branch .LBB23_509
.LBB23_505:
	s_mov_b64 s[2:3], -1
                                        ; implicit-def: $vgpr0
.LBB23_506:
	s_andn2_b64 vcc, exec, s[2:3]
	s_cbranch_vccnz .LBB23_508
; %bb.507:
	global_load_dword v0, v[4:5], off
	s_waitcnt vmcnt(0)
	v_cvt_i32_f32_e32 v0, v0
.LBB23_508:
	s_mov_b64 s[2:3], 0
.LBB23_509:
	s_andn2_b64 vcc, exec, s[2:3]
	s_cbranch_vccnz .LBB23_511
; %bb.510:
	global_load_ushort v0, v[4:5], off
	s_waitcnt vmcnt(0)
	v_cvt_i16_f16_e32 v0, v0
.LBB23_511:
	s_mov_b64 s[2:3], 0
.LBB23_512:
	s_andn2_b64 vcc, exec, s[2:3]
	s_cbranch_vccnz .LBB23_532
; %bb.513:
	s_cmp_lt_i32 s8, 2
	s_cbranch_scc1 .LBB23_517
; %bb.514:
	s_cmp_lt_i32 s8, 3
	s_cbranch_scc1 .LBB23_518
; %bb.515:
	s_cmp_gt_i32 s8, 3
	s_cbranch_scc0 .LBB23_519
; %bb.516:
	global_load_dwordx2 v[0:1], v[4:5], off
	s_mov_b64 s[2:3], 0
	s_branch .LBB23_520
.LBB23_517:
	s_mov_b64 s[2:3], -1
                                        ; implicit-def: $vgpr0
	s_branch .LBB23_526
.LBB23_518:
	s_mov_b64 s[2:3], -1
                                        ; implicit-def: $vgpr0
	s_branch .LBB23_523
.LBB23_519:
	s_mov_b64 s[2:3], -1
                                        ; implicit-def: $vgpr0
.LBB23_520:
	s_andn2_b64 vcc, exec, s[2:3]
	s_cbranch_vccnz .LBB23_522
; %bb.521:
	global_load_dword v0, v[4:5], off
.LBB23_522:
	s_mov_b64 s[2:3], 0
.LBB23_523:
	s_andn2_b64 vcc, exec, s[2:3]
	s_cbranch_vccnz .LBB23_525
; %bb.524:
	global_load_ushort v0, v[4:5], off
.LBB23_525:
	s_mov_b64 s[2:3], 0
.LBB23_526:
	s_andn2_b64 vcc, exec, s[2:3]
	s_cbranch_vccnz .LBB23_532
; %bb.527:
	s_cmp_gt_i32 s8, 0
	s_cbranch_scc0 .LBB23_529
; %bb.528:
	global_load_ubyte v0, v[4:5], off
	s_mov_b64 s[2:3], 0
	s_branch .LBB23_530
.LBB23_529:
	s_mov_b64 s[2:3], -1
                                        ; implicit-def: $vgpr0
.LBB23_530:
	s_andn2_b64 vcc, exec, s[2:3]
	s_cbranch_vccnz .LBB23_532
; %bb.531:
	global_load_ubyte v0, v[4:5], off
.LBB23_532:
	s_branch .LBB23_292
.LBB23_533:
	s_mov_b64 s[6:7], 0
	s_mov_b64 s[2:3], s[54:55]
.LBB23_534:
                                        ; implicit-def: $vgpr9
.LBB23_535:
	s_andn2_b64 s[8:9], s[54:55], exec
	s_and_b64 s[2:3], s[2:3], exec
	s_or_b64 s[62:63], s[8:9], s[2:3]
	s_andn2_b64 s[2:3], s[56:57], exec
	s_and_b64 s[4:5], s[4:5], exec
	s_or_b64 s[60:61], s[2:3], s[4:5]
	s_orn2_b64 s[2:3], s[6:7], exec
.LBB23_536:
	s_or_b64 exec, exec, s[64:65]
	s_mov_b64 s[4:5], 0
	s_mov_b64 s[6:7], 0
	;; [unrolled: 1-line block ×3, first 2 shown]
                                        ; implicit-def: $vgpr4_vgpr5
                                        ; implicit-def: $vgpr2
                                        ; implicit-def: $vgpr0
	s_and_saveexec_b64 s[64:65], s[2:3]
	s_cbranch_execz .LBB23_905
; %bb.537:
	v_cmp_gt_i32_e32 vcc, s70, v9
	s_mov_b64 s[6:7], -1
	s_mov_b64 s[2:3], s[60:61]
	s_mov_b64 s[68:69], s[62:63]
	s_and_saveexec_b64 s[66:67], vcc
	s_cbranch_execz .LBB23_808
; %bb.538:
	s_andn2_b64 vcc, exec, s[42:43]
	s_cbranch_vccnz .LBB23_544
; %bb.539:
	s_andn2_b64 vcc, exec, s[52:53]
	s_cbranch_vccnz .LBB23_545
; %bb.540:
	s_add_i32 s76, s75, 1
	s_cmp_eq_u32 s72, 2
	s_cbranch_scc1 .LBB23_546
; %bb.541:
	s_and_b32 s71, s76, 28
	s_mov_b32 s77, 0
	v_mov_b32_e32 v2, 0
	s_waitcnt vmcnt(0)
	v_mov_b32_e32 v0, 0
	s_mov_b64 s[2:3], s[34:35]
	s_mov_b64 s[68:69], s[50:51]
	v_mov_b32_e32 v4, v9
.LBB23_542:                             ; =>This Inner Loop Header: Depth=1
	s_load_dwordx8 s[12:19], s[2:3], 0x4
	s_load_dwordx4 s[36:39], s[2:3], 0x24
	s_load_dwordx8 s[4:11], s[68:69], 0x0
	s_add_u32 s2, s2, 48
	s_addc_u32 s3, s3, 0
	s_waitcnt lgkmcnt(0)
	v_mul_hi_u32 v1, s13, v4
	v_add_u32_e32 v1, v4, v1
	v_lshrrev_b32_e32 v1, s14, v1
	v_mul_lo_u32 v3, v1, s12
	v_mul_hi_u32 v5, s16, v1
	v_sub_u32_e32 v3, v4, v3
	v_add_u32_e32 v4, v1, v5
	v_lshrrev_b32_e32 v4, s17, v4
	v_mul_lo_u32 v6, v4, s15
	v_mul_hi_u32 v7, s19, v4
	v_sub_u32_e32 v1, v1, v6
	v_add_u32_e32 v6, v4, v7
	v_mul_lo_u32 v5, v3, s5
	v_mul_lo_u32 v3, v3, s4
	v_mul_lo_u32 v7, v1, s7
	v_mul_lo_u32 v1, v1, s6
	v_lshrrev_b32_e32 v6, s36, v6
	v_add3_u32 v1, v3, v2, v1
	v_mul_hi_u32 v3, s38, v6
	v_mul_lo_u32 v2, v6, s18
	v_add_u32_e32 v3, v6, v3
	v_sub_u32_e32 v2, v4, v2
	v_lshrrev_b32_e32 v4, s39, v3
	s_add_i32 s77, s77, 4
	v_mul_lo_u32 v3, v4, s37
	s_add_u32 s68, s68, 32
	v_sub_u32_e32 v3, v6, v3
	s_addc_u32 s69, s69, 0
	v_add3_u32 v0, v5, v0, v7
	v_mul_lo_u32 v5, v2, s8
	v_mul_lo_u32 v2, v2, s9
	;; [unrolled: 1-line block ×4, first 2 shown]
	s_cmp_eq_u32 s71, s77
	v_add3_u32 v0, v2, v0, v3
	v_add3_u32 v2, v5, v1, v6
	s_cbranch_scc0 .LBB23_542
; %bb.543:
	v_mov_b32_e32 v1, v0
	s_branch .LBB23_547
.LBB23_544:
	s_mov_b64 s[2:3], -1
                                        ; implicit-def: $vgpr0
                                        ; implicit-def: $vgpr2
	s_branch .LBB23_551
.LBB23_545:
	s_waitcnt vmcnt(0)
	v_mov_b32_e32 v0, 0
	v_mov_b32_e32 v2, 0
	s_branch .LBB23_550
.LBB23_546:
	v_mov_b32_e32 v2, 0
	s_mov_b32 s71, 0
	s_waitcnt vmcnt(0)
	v_mov_b32_e32 v1, v2
                                        ; implicit-def: $vgpr0
	v_mov_b32_e32 v4, v9
.LBB23_547:
	s_and_b32 s6, s76, 3
	s_cmp_eq_u32 s6, 0
	s_cbranch_scc1 .LBB23_550
; %bb.548:
	s_lshl_b32 s2, s71, 3
	s_add_u32 s2, s34, s2
	s_addc_u32 s3, s35, 0
	s_add_u32 s2, s2, 0xc4
	s_addc_u32 s3, s3, 0
	s_mul_i32 s4, s71, 12
	s_add_u32 s4, s34, s4
	s_addc_u32 s5, s35, 0
.LBB23_549:                             ; =>This Inner Loop Header: Depth=1
	s_load_dwordx2 s[8:9], s[4:5], 0x4
	s_load_dword s7, s[4:5], 0xc
	s_load_dwordx2 s[10:11], s[2:3], 0x0
	v_mov_b32_e32 v0, v1
	s_add_u32 s4, s4, 12
	s_waitcnt lgkmcnt(0)
	v_mul_hi_u32 v1, s9, v4
	v_add_u32_e32 v1, v4, v1
	v_lshrrev_b32_e32 v1, s7, v1
	s_addc_u32 s5, s5, 0
	v_mul_lo_u32 v3, v1, s8
	s_add_u32 s2, s2, 8
	v_sub_u32_e32 v3, v4, v3
	s_addc_u32 s3, s3, 0
	s_add_i32 s6, s6, -1
	v_mov_b32_e32 v4, v1
	v_mad_u64_u32 v[0:1], s[8:9], v3, s11, v[0:1]
	s_cmp_lg_u32 s6, 0
	v_mad_u64_u32 v[2:3], s[8:9], v3, s10, v[2:3]
	v_mov_b32_e32 v1, v0
	s_cbranch_scc1 .LBB23_549
.LBB23_550:
	s_mov_b64 s[2:3], 0
.LBB23_551:
	s_andn2_b64 vcc, exec, s[2:3]
	s_cbranch_vccnz .LBB23_554
; %bb.552:
	s_waitcnt vmcnt(0) lgkmcnt(0)
	v_mul_hi_u32 v0, s29, v9
	v_add_u32_e32 v0, v9, v0
	v_lshrrev_b32_e32 v1, s30, v0
	v_mul_lo_u32 v0, v1, s28
	v_sub_u32_e32 v2, v9, v0
	v_mul_lo_u32 v0, v2, s25
	s_andn2_b64 vcc, exec, s[48:49]
	v_mul_lo_u32 v2, v2, s24
	s_cbranch_vccnz .LBB23_554
; %bb.553:
	v_mul_hi_u32 v3, s46, v1
	v_add_u32_e32 v3, v1, v3
	v_lshrrev_b32_e32 v3, s47, v3
	v_mul_lo_u32 v3, v3, s31
	v_sub_u32_e32 v1, v1, v3
	v_mad_u64_u32 v[2:3], s[2:3], v1, s26, v[2:3]
	v_mad_u64_u32 v[0:1], s[2:3], v1, s27, v[0:1]
.LBB23_554:
	s_waitcnt vmcnt(0)
	v_mov_b32_e32 v1, 0
	s_and_b32 s8, 0xffff, s74
	s_cmp_lt_i32 s8, 11
	s_waitcnt lgkmcnt(0)
	v_lshl_add_u64 v[4:5], s[22:23], 0, v[0:1]
	s_cbranch_scc1 .LBB23_561
; %bb.555:
	s_cmp_gt_i32 s8, 25
	s_cbranch_scc0 .LBB23_562
; %bb.556:
	s_cmp_gt_i32 s8, 28
	s_cbranch_scc0 .LBB23_563
	;; [unrolled: 3-line block ×4, first 2 shown]
; %bb.559:
	s_cmp_eq_u32 s8, 46
	s_mov_b64 s[6:7], 0
	s_cbranch_scc0 .LBB23_570
; %bb.560:
	global_load_dword v0, v[4:5], off
	s_mov_b64 s[2:3], -1
	s_mov_b64 s[4:5], 0
	s_waitcnt vmcnt(0)
	v_lshlrev_b32_e32 v0, 16, v0
	v_cvt_i32_f32_e32 v0, v0
	s_branch .LBB23_571
.LBB23_561:
	s_mov_b64 s[6:7], -1
	s_mov_b64 s[2:3], 0
                                        ; implicit-def: $vgpr0
	s_mov_b64 s[4:5], s[60:61]
	s_branch .LBB23_632
.LBB23_562:
	s_mov_b64 s[6:7], -1
	s_mov_b64 s[2:3], 0
	s_mov_b64 s[4:5], s[60:61]
                                        ; implicit-def: $vgpr0
	s_branch .LBB23_598
.LBB23_563:
	s_mov_b64 s[6:7], -1
	s_mov_b64 s[2:3], 0
	s_mov_b64 s[4:5], s[60:61]
                                        ; implicit-def: $vgpr0
	s_branch .LBB23_581
.LBB23_564:
	s_mov_b64 s[6:7], -1
	s_mov_b64 s[2:3], 0
	s_mov_b64 s[4:5], s[60:61]
                                        ; implicit-def: $vgpr0
	s_branch .LBB23_576
.LBB23_565:
	s_andn2_saveexec_b64 s[10:11], s[10:11]
	s_cbranch_execz .LBB23_337
.LBB23_566:
	s_mov_b32 s14, 0x46000000
	v_add_f32_e64 v5, |v4|, s14
	v_and_b32_e32 v5, 0xff, v5
	v_cmp_ne_u32_e32 vcc, 0, v5
	s_andn2_b64 s[8:9], s[8:9], exec
	s_and_b64 s[14:15], vcc, exec
	s_or_b64 s[8:9], s[8:9], s[14:15]
	s_or_b64 exec, exec, s[10:11]
	v_mov_b32_e32 v6, 0
	s_and_saveexec_b64 s[10:11], s[8:9]
	s_cbranch_execnz .LBB23_338
	s_branch .LBB23_339
.LBB23_567:
	s_mov_b64 s[6:7], -1
	s_mov_b64 s[2:3], 0
	s_mov_b64 s[4:5], s[60:61]
                                        ; implicit-def: $vgpr0
	s_branch .LBB23_571
.LBB23_568:
	s_andn2_saveexec_b64 s[10:11], s[10:11]
	s_cbranch_execz .LBB23_350
.LBB23_569:
	s_mov_b32 s14, 0x42800000
	v_add_f32_e64 v5, |v4|, s14
	v_and_b32_e32 v5, 0xff, v5
	v_cmp_ne_u32_e32 vcc, 0, v5
	s_andn2_b64 s[8:9], s[8:9], exec
	s_and_b64 s[14:15], vcc, exec
	s_or_b64 s[8:9], s[8:9], s[14:15]
	s_or_b64 exec, exec, s[10:11]
	v_mov_b32_e32 v6, 0
	s_and_saveexec_b64 s[10:11], s[8:9]
	s_cbranch_execnz .LBB23_351
	s_branch .LBB23_352
.LBB23_570:
	s_mov_b64 s[4:5], -1
                                        ; implicit-def: $vgpr0
	s_mov_b64 s[2:3], 0
.LBB23_571:
	s_and_b64 vcc, exec, s[6:7]
	s_cbranch_vccz .LBB23_575
; %bb.572:
	s_cmp_eq_u32 s8, 44
	s_cbranch_scc0 .LBB23_574
; %bb.573:
	global_load_ubyte v0, v[4:5], off
	s_mov_b64 s[2:3], -1
	s_mov_b64 s[4:5], 0
	s_waitcnt vmcnt(0)
	v_lshlrev_b32_e32 v1, 23, v0
	v_cvt_i32_f32_e32 v1, v1
	v_cmp_ne_u32_e32 vcc, 0, v0
	s_nop 1
	v_cndmask_b32_e32 v0, 0, v1, vcc
	s_branch .LBB23_575
.LBB23_574:
	s_mov_b64 s[4:5], -1
                                        ; implicit-def: $vgpr0
.LBB23_575:
	s_mov_b64 s[6:7], 0
.LBB23_576:
	s_and_b64 vcc, exec, s[6:7]
	s_cbranch_vccz .LBB23_580
; %bb.577:
	s_cmp_eq_u32 s8, 29
	s_cbranch_scc0 .LBB23_579
; %bb.578:
	global_load_dwordx2 v[0:1], v[4:5], off
	s_mov_b64 s[2:3], -1
	s_mov_b64 s[4:5], 0
	s_branch .LBB23_580
.LBB23_579:
	s_mov_b64 s[4:5], -1
                                        ; implicit-def: $vgpr0
.LBB23_580:
	s_mov_b64 s[6:7], 0
.LBB23_581:
	s_and_b64 vcc, exec, s[6:7]
	s_cbranch_vccz .LBB23_597
; %bb.582:
	s_cmp_lt_i32 s8, 27
	s_cbranch_scc1 .LBB23_585
; %bb.583:
	s_cmp_gt_i32 s8, 27
	s_cbranch_scc0 .LBB23_586
; %bb.584:
	global_load_dword v0, v[4:5], off
	s_mov_b64 s[2:3], 0
	s_branch .LBB23_587
.LBB23_585:
	s_mov_b64 s[2:3], -1
                                        ; implicit-def: $vgpr0
	s_branch .LBB23_590
.LBB23_586:
	s_mov_b64 s[2:3], -1
                                        ; implicit-def: $vgpr0
.LBB23_587:
	s_andn2_b64 vcc, exec, s[2:3]
	s_cbranch_vccnz .LBB23_589
; %bb.588:
	global_load_ushort v0, v[4:5], off
.LBB23_589:
	s_mov_b64 s[2:3], 0
.LBB23_590:
	s_andn2_b64 vcc, exec, s[2:3]
	s_cbranch_vccnz .LBB23_596
; %bb.591:
	global_load_ubyte v1, v[4:5], off
	s_movk_i32 s2, 0x7f
	s_mov_b64 s[6:7], 0
	s_waitcnt vmcnt(0)
	v_cmp_lt_i16_e32 vcc, s2, v1
	s_and_saveexec_b64 s[2:3], vcc
	s_xor_b64 s[2:3], exec, s[2:3]
	s_cbranch_execz .LBB23_608
; %bb.592:
	s_movk_i32 s6, 0x80
	v_cmp_ne_u16_e32 vcc, s6, v1
	s_and_b64 s[6:7], vcc, exec
	s_andn2_saveexec_b64 s[2:3], s[2:3]
	s_cbranch_execnz .LBB23_609
.LBB23_593:
	s_or_b64 exec, exec, s[2:3]
	v_mov_b32_e32 v0, 0
	s_and_saveexec_b64 s[2:3], s[6:7]
	s_cbranch_execz .LBB23_595
.LBB23_594:
	v_lshlrev_b32_e32 v0, 24, v1
	v_and_b32_e32 v1, 0xffff, v1
	v_and_b32_e32 v3, 7, v1
	v_ffbh_u32_e32 v7, v3
	v_min_u32_e32 v7, 32, v7
	v_subrev_u32_e32 v8, 28, v7
	v_bfe_u32 v6, v1, 3, 4
	v_lshlrev_b32_e32 v1, v8, v1
	v_sub_u32_e32 v7, 29, v7
	v_and_b32_e32 v1, 7, v1
	v_cmp_eq_u32_e32 vcc, 0, v6
	v_and_b32_e32 v0, 0x80000000, v0
	s_nop 0
	v_cndmask_b32_e32 v6, v6, v7, vcc
	v_cndmask_b32_e32 v1, v3, v1, vcc
	v_mov_b32_e32 v3, 0x3b800000
	v_lshlrev_b32_e32 v1, 20, v1
	v_lshl_add_u32 v3, v6, 23, v3
	v_or3_b32 v0, v0, v3, v1
	v_cvt_i32_f32_e32 v0, v0
.LBB23_595:
	s_or_b64 exec, exec, s[2:3]
.LBB23_596:
	s_mov_b64 s[2:3], -1
.LBB23_597:
	s_mov_b64 s[6:7], 0
.LBB23_598:
	s_and_b64 vcc, exec, s[6:7]
	s_cbranch_vccz .LBB23_631
; %bb.599:
	s_cmp_gt_i32 s8, 22
	s_cbranch_scc0 .LBB23_607
; %bb.600:
	s_cmp_lt_i32 s8, 24
	s_cbranch_scc1 .LBB23_610
; %bb.601:
	s_cmp_gt_i32 s8, 24
	s_cbranch_scc0 .LBB23_611
; %bb.602:
	global_load_ubyte v1, v[4:5], off
	s_movk_i32 s2, 0x7f
	s_mov_b64 s[6:7], 0
	s_waitcnt vmcnt(0)
	v_cmp_lt_i16_e32 vcc, s2, v1
	s_and_saveexec_b64 s[2:3], vcc
	s_xor_b64 s[2:3], exec, s[2:3]
	s_cbranch_execz .LBB23_623
; %bb.603:
	s_movk_i32 s6, 0x80
	v_cmp_ne_u16_e32 vcc, s6, v1
	s_and_b64 s[6:7], vcc, exec
	s_andn2_saveexec_b64 s[2:3], s[2:3]
	s_cbranch_execnz .LBB23_624
.LBB23_604:
	s_or_b64 exec, exec, s[2:3]
	v_mov_b32_e32 v0, 0
	s_and_saveexec_b64 s[2:3], s[6:7]
	s_cbranch_execz .LBB23_606
.LBB23_605:
	v_lshlrev_b32_e32 v0, 24, v1
	v_and_b32_e32 v1, 0xffff, v1
	v_and_b32_e32 v3, 3, v1
	v_ffbh_u32_e32 v7, v3
	v_min_u32_e32 v7, 32, v7
	v_subrev_u32_e32 v8, 29, v7
	v_bfe_u32 v6, v1, 2, 5
	v_lshlrev_b32_e32 v1, v8, v1
	v_sub_u32_e32 v7, 30, v7
	v_and_b32_e32 v1, 3, v1
	v_cmp_eq_u32_e32 vcc, 0, v6
	v_and_b32_e32 v0, 0x80000000, v0
	s_nop 0
	v_cndmask_b32_e32 v6, v6, v7, vcc
	v_cndmask_b32_e32 v1, v3, v1, vcc
	v_mov_b32_e32 v3, 0x37800000
	v_lshlrev_b32_e32 v1, 21, v1
	v_lshl_add_u32 v3, v6, 23, v3
	v_or3_b32 v0, v0, v3, v1
	v_cvt_i32_f32_e32 v0, v0
.LBB23_606:
	s_or_b64 exec, exec, s[2:3]
	s_mov_b64 s[2:3], 0
	s_branch .LBB23_612
.LBB23_607:
	s_mov_b64 s[6:7], -1
                                        ; implicit-def: $vgpr0
	s_branch .LBB23_618
.LBB23_608:
	s_andn2_saveexec_b64 s[2:3], s[2:3]
	s_cbranch_execz .LBB23_593
.LBB23_609:
	v_cmp_ne_u16_e32 vcc, 0, v1
	s_andn2_b64 s[6:7], s[6:7], exec
	s_and_b64 s[10:11], vcc, exec
	s_or_b64 s[6:7], s[6:7], s[10:11]
	s_or_b64 exec, exec, s[2:3]
	v_mov_b32_e32 v0, 0
	s_and_saveexec_b64 s[2:3], s[6:7]
	s_cbranch_execnz .LBB23_594
	s_branch .LBB23_595
.LBB23_610:
	s_mov_b64 s[2:3], -1
                                        ; implicit-def: $vgpr0
	s_branch .LBB23_615
.LBB23_611:
	s_mov_b64 s[2:3], -1
                                        ; implicit-def: $vgpr0
.LBB23_612:
	s_and_b64 vcc, exec, s[2:3]
	s_cbranch_vccz .LBB23_614
; %bb.613:
	global_load_ubyte v0, v[4:5], off
	s_mov_b32 s2, 0x7f800000
	s_waitcnt vmcnt(0)
	v_lshlrev_b32_e32 v0, 24, v0
	v_and_b32_e32 v1, 0x7f000000, v0
	v_ffbh_u32_e32 v3, v1
	v_min_u32_e32 v3, 32, v3
	v_sub_u32_e64 v3, v3, 4 clamp
	v_lshlrev_b32_e32 v7, v3, v1
	v_lshlrev_b32_e32 v3, 23, v3
	v_lshrrev_b32_e32 v7, 4, v7
	v_add_u32_e32 v6, 0x1000000, v1
	v_sub_u32_e32 v3, v7, v3
	v_ashrrev_i32_e32 v6, 8, v6
	v_add_u32_e32 v3, 0x3c000000, v3
	v_and_or_b32 v3, v6, s2, v3
	v_cmp_ne_u32_e32 vcc, 0, v1
	s_brev_b32 s2, 1
	s_nop 0
	v_cndmask_b32_e32 v1, 0, v3, vcc
	v_and_or_b32 v0, v0, s2, v1
	v_cvt_i32_f32_e32 v0, v0
.LBB23_614:
	s_mov_b64 s[2:3], 0
.LBB23_615:
	s_andn2_b64 vcc, exec, s[2:3]
	s_cbranch_vccnz .LBB23_617
; %bb.616:
	global_load_ubyte v0, v[4:5], off
	s_movk_i32 s2, 0x7f00
	s_brev_b32 s3, 16
	s_waitcnt vmcnt(0)
	v_lshlrev_b16_e32 v1, 8, v0
	v_lshlrev_b32_e32 v0, 25, v0
	v_lshrrev_b32_e32 v3, 4, v0
	v_and_or_b32 v6, v1, s2, 0.5
	v_or_b32_e32 v3, 0x70000000, v3
	v_add_f32_e32 v6, -0.5, v6
	v_mul_f32_e32 v3, 0x7800000, v3
	v_cmp_gt_u32_e32 vcc, s3, v0
	v_bfe_i32 v1, v1, 0, 16
	s_brev_b32 s2, 1
	v_cndmask_b32_e32 v0, v3, v6, vcc
	v_and_or_b32 v0, v1, s2, v0
	v_cvt_i32_f32_e32 v0, v0
.LBB23_617:
	s_mov_b64 s[6:7], 0
	s_mov_b64 s[2:3], -1
.LBB23_618:
	s_andn2_b64 vcc, exec, s[6:7]
	s_cbranch_vccnz .LBB23_631
; %bb.619:
	s_cmp_gt_i32 s8, 14
	s_cbranch_scc0 .LBB23_622
; %bb.620:
	s_cmp_eq_u32 s8, 15
	s_cbranch_scc0 .LBB23_625
; %bb.621:
	global_load_ushort v0, v[4:5], off
	s_mov_b64 s[2:3], -1
	s_mov_b64 s[4:5], 0
	s_waitcnt vmcnt(0)
	v_lshlrev_b32_e32 v0, 16, v0
	v_cvt_i32_f32_e32 v0, v0
	s_branch .LBB23_626
.LBB23_622:
	s_mov_b64 s[6:7], -1
                                        ; implicit-def: $vgpr0
	s_branch .LBB23_627
.LBB23_623:
	s_andn2_saveexec_b64 s[2:3], s[2:3]
	s_cbranch_execz .LBB23_604
.LBB23_624:
	v_cmp_ne_u16_e32 vcc, 0, v1
	s_andn2_b64 s[6:7], s[6:7], exec
	s_and_b64 s[10:11], vcc, exec
	s_or_b64 s[6:7], s[6:7], s[10:11]
	s_or_b64 exec, exec, s[2:3]
	v_mov_b32_e32 v0, 0
	s_and_saveexec_b64 s[2:3], s[6:7]
	s_cbranch_execnz .LBB23_605
	s_branch .LBB23_606
.LBB23_625:
	s_mov_b64 s[4:5], -1
                                        ; implicit-def: $vgpr0
.LBB23_626:
	s_mov_b64 s[6:7], 0
.LBB23_627:
	s_and_b64 vcc, exec, s[6:7]
	s_cbranch_vccz .LBB23_631
; %bb.628:
	s_cmp_eq_u32 s8, 11
	s_cbranch_scc0 .LBB23_630
; %bb.629:
	global_load_ubyte v0, v[4:5], off
	s_mov_b64 s[2:3], -1
	s_mov_b64 s[4:5], 0
	s_waitcnt vmcnt(0)
	v_cmp_ne_u16_e32 vcc, 0, v0
	s_nop 1
	v_cndmask_b32_e64 v0, 0, 1, vcc
	s_branch .LBB23_631
.LBB23_630:
	s_mov_b64 s[4:5], -1
                                        ; implicit-def: $vgpr0
.LBB23_631:
	s_mov_b64 s[6:7], 0
.LBB23_632:
	s_and_b64 vcc, exec, s[6:7]
	s_cbranch_vccz .LBB23_681
; %bb.633:
	s_cmp_lt_i32 s8, 5
	s_cbranch_scc1 .LBB23_638
; %bb.634:
	s_cmp_lt_i32 s8, 8
	s_cbranch_scc1 .LBB23_639
	;; [unrolled: 3-line block ×3, first 2 shown]
; %bb.636:
	s_cmp_gt_i32 s8, 9
	s_cbranch_scc0 .LBB23_641
; %bb.637:
	global_load_dwordx2 v[0:1], v[4:5], off
	s_mov_b64 s[2:3], 0
	s_waitcnt vmcnt(0)
	v_cvt_i32_f64_e32 v0, v[0:1]
	s_branch .LBB23_642
.LBB23_638:
	s_mov_b64 s[2:3], -1
                                        ; implicit-def: $vgpr0
	s_branch .LBB23_660
.LBB23_639:
	s_mov_b64 s[2:3], -1
                                        ; implicit-def: $vgpr0
	s_branch .LBB23_648
.LBB23_640:
	s_mov_b64 s[2:3], -1
                                        ; implicit-def: $vgpr0
	s_branch .LBB23_645
.LBB23_641:
	s_mov_b64 s[2:3], -1
                                        ; implicit-def: $vgpr0
.LBB23_642:
	s_andn2_b64 vcc, exec, s[2:3]
	s_cbranch_vccnz .LBB23_644
; %bb.643:
	global_load_dword v0, v[4:5], off
	s_waitcnt vmcnt(0)
	v_cvt_i32_f32_e32 v0, v0
.LBB23_644:
	s_mov_b64 s[2:3], 0
.LBB23_645:
	s_andn2_b64 vcc, exec, s[2:3]
	s_cbranch_vccnz .LBB23_647
; %bb.646:
	global_load_dword v0, v[4:5], off
	s_waitcnt vmcnt(0)
	v_cvt_i16_f16_e32 v0, v0
.LBB23_647:
	s_mov_b64 s[2:3], 0
.LBB23_648:
	s_andn2_b64 vcc, exec, s[2:3]
	s_cbranch_vccnz .LBB23_659
; %bb.649:
	s_cmp_lt_i32 s8, 6
	s_cbranch_scc1 .LBB23_652
; %bb.650:
	s_cmp_gt_i32 s8, 6
	s_cbranch_scc0 .LBB23_653
; %bb.651:
	global_load_dwordx2 v[0:1], v[4:5], off
	s_mov_b64 s[2:3], 0
	s_waitcnt vmcnt(0)
	v_cvt_i32_f64_e32 v0, v[0:1]
	s_branch .LBB23_654
.LBB23_652:
	s_mov_b64 s[2:3], -1
                                        ; implicit-def: $vgpr0
	s_branch .LBB23_657
.LBB23_653:
	s_mov_b64 s[2:3], -1
                                        ; implicit-def: $vgpr0
.LBB23_654:
	s_andn2_b64 vcc, exec, s[2:3]
	s_cbranch_vccnz .LBB23_656
; %bb.655:
	global_load_dword v0, v[4:5], off
	s_waitcnt vmcnt(0)
	v_cvt_i32_f32_e32 v0, v0
.LBB23_656:
	s_mov_b64 s[2:3], 0
.LBB23_657:
	s_andn2_b64 vcc, exec, s[2:3]
	s_cbranch_vccnz .LBB23_659
; %bb.658:
	global_load_ushort v0, v[4:5], off
	s_waitcnt vmcnt(0)
	v_cvt_i16_f16_e32 v0, v0
.LBB23_659:
	s_mov_b64 s[2:3], 0
.LBB23_660:
	s_andn2_b64 vcc, exec, s[2:3]
	s_cbranch_vccnz .LBB23_680
; %bb.661:
	s_cmp_lt_i32 s8, 2
	s_cbranch_scc1 .LBB23_665
; %bb.662:
	s_cmp_lt_i32 s8, 3
	s_cbranch_scc1 .LBB23_666
; %bb.663:
	s_cmp_gt_i32 s8, 3
	s_cbranch_scc0 .LBB23_667
; %bb.664:
	global_load_dwordx2 v[0:1], v[4:5], off
	s_mov_b64 s[2:3], 0
	s_branch .LBB23_668
.LBB23_665:
	s_mov_b64 s[2:3], -1
                                        ; implicit-def: $vgpr0
	s_branch .LBB23_674
.LBB23_666:
	s_mov_b64 s[2:3], -1
                                        ; implicit-def: $vgpr0
	s_branch .LBB23_671
.LBB23_667:
	s_mov_b64 s[2:3], -1
                                        ; implicit-def: $vgpr0
.LBB23_668:
	s_andn2_b64 vcc, exec, s[2:3]
	s_cbranch_vccnz .LBB23_670
; %bb.669:
	global_load_dword v0, v[4:5], off
.LBB23_670:
	s_mov_b64 s[2:3], 0
.LBB23_671:
	s_andn2_b64 vcc, exec, s[2:3]
	s_cbranch_vccnz .LBB23_673
; %bb.672:
	global_load_ushort v0, v[4:5], off
.LBB23_673:
	s_mov_b64 s[2:3], 0
.LBB23_674:
	s_andn2_b64 vcc, exec, s[2:3]
	s_cbranch_vccnz .LBB23_680
; %bb.675:
	s_cmp_gt_i32 s8, 0
	s_cbranch_scc0 .LBB23_677
; %bb.676:
	global_load_ubyte v0, v[4:5], off
	s_mov_b64 s[2:3], 0
	s_branch .LBB23_678
.LBB23_677:
	s_mov_b64 s[2:3], -1
                                        ; implicit-def: $vgpr0
.LBB23_678:
	s_andn2_b64 vcc, exec, s[2:3]
	s_cbranch_vccnz .LBB23_680
; %bb.679:
	global_load_ubyte v0, v[4:5], off
.LBB23_680:
	s_mov_b64 s[2:3], -1
.LBB23_681:
	s_andn2_b64 vcc, exec, s[2:3]
	s_cbranch_vccnz .LBB23_689
; %bb.682:
	v_mov_b32_e32 v3, 0
	s_and_b32 s12, s73, 0xff
	s_waitcnt vmcnt(0)
	v_xor_b32_e32 v1, -1, v0
	s_cmp_lt_i32 s12, 11
	v_lshl_add_u64 v[2:3], s[20:21], 0, v[2:3]
	s_cbranch_scc1 .LBB23_690
; %bb.683:
	s_and_b32 s13, 0xffff, s12
	s_cmp_gt_i32 s13, 25
	s_cbranch_scc0 .LBB23_691
; %bb.684:
	s_cmp_gt_i32 s13, 28
	s_cbranch_scc0 .LBB23_692
; %bb.685:
	;; [unrolled: 3-line block ×4, first 2 shown]
	s_mov_b64 s[8:9], 0
	s_mov_b64 s[2:3], -1
	s_cmp_eq_u32 s13, 46
	s_mov_b64 s[6:7], 0
	s_cbranch_scc0 .LBB23_695
; %bb.688:
	v_bfe_i32 v4, v1, 0, 8
	v_cvt_f32_i32_sdwa v4, sext(v4) dst_sel:DWORD dst_unused:UNUSED_PAD src0_sel:WORD_0
	s_movk_i32 s2, 0x7fff
	s_mov_b64 s[6:7], -1
	v_bfe_u32 v5, v4, 16, 1
	v_add3_u32 v4, v4, v5, s2
	v_lshrrev_b32_e32 v4, 16, v4
	global_store_dword v[2:3], v4, off
	s_mov_b64 s[2:3], 0
	s_branch .LBB23_695
.LBB23_689:
	s_mov_b64 s[6:7], 0
	s_mov_b64 s[2:3], s[62:63]
	s_branch .LBB23_806
.LBB23_690:
	s_mov_b64 s[8:9], -1
	s_mov_b64 s[6:7], 0
	s_mov_b64 s[2:3], s[62:63]
	s_branch .LBB23_764
.LBB23_691:
	s_mov_b64 s[8:9], -1
	s_mov_b64 s[6:7], 0
	s_mov_b64 s[2:3], s[62:63]
	s_branch .LBB23_722
.LBB23_692:
	s_mov_b64 s[8:9], -1
	s_mov_b64 s[6:7], 0
	s_mov_b64 s[2:3], s[62:63]
	s_branch .LBB23_705
.LBB23_693:
	s_mov_b64 s[8:9], -1
	s_mov_b64 s[6:7], 0
	s_mov_b64 s[2:3], s[62:63]
	s_branch .LBB23_701
.LBB23_694:
	s_mov_b64 s[8:9], -1
	s_mov_b64 s[6:7], 0
	s_mov_b64 s[2:3], s[62:63]
.LBB23_695:
	s_and_b64 vcc, exec, s[8:9]
	s_cbranch_vccz .LBB23_700
; %bb.696:
	s_cmp_eq_u32 s13, 44
	s_mov_b64 s[2:3], -1
	s_cbranch_scc0 .LBB23_700
; %bb.697:
	v_bfe_i32 v4, v1, 0, 8
	v_cvt_f32_i32_sdwa v4, sext(v4) dst_sel:DWORD dst_unused:UNUSED_PAD src0_sel:WORD_0
	s_movk_i32 s2, 0xff
	v_mov_b32_e32 v6, 0xff
	v_bfe_u32 v5, v4, 23, 8
	v_cmp_ne_u32_e32 vcc, s2, v5
	s_and_saveexec_b64 s[6:7], vcc
; %bb.698:
	s_mov_b32 s2, 0x3fffff
	v_lshrrev_b32_e32 v6, 23, v4
	v_and_b32_e32 v7, 0x400000, v4
	v_and_or_b32 v4, v4, s2, v5
	v_cmp_ne_u32_e32 vcc, 0, v7
	v_cmp_ne_u32_e64 s[2:3], 0, v4
	s_and_b64 s[2:3], vcc, s[2:3]
	s_nop 0
	v_cndmask_b32_e64 v4, 0, 1, s[2:3]
	v_add_u32_e32 v6, v6, v4
; %bb.699:
	s_or_b64 exec, exec, s[6:7]
	s_mov_b64 s[6:7], -1
	s_mov_b64 s[2:3], 0
	global_store_byte v[2:3], v6, off
.LBB23_700:
	s_mov_b64 s[8:9], 0
.LBB23_701:
	s_and_b64 vcc, exec, s[8:9]
	s_cbranch_vccz .LBB23_704
; %bb.702:
	s_cmp_eq_u32 s13, 29
	s_mov_b64 s[2:3], -1
	s_cbranch_scc0 .LBB23_704
; %bb.703:
	v_bfe_i32 v4, v1, 0, 8
	v_ashrrev_i32_e32 v5, 31, v4
	global_store_dwordx2 v[2:3], v[4:5], off
	s_mov_b64 s[6:7], -1
	s_mov_b64 s[2:3], 0
.LBB23_704:
	s_mov_b64 s[8:9], 0
.LBB23_705:
	s_and_b64 vcc, exec, s[8:9]
	s_cbranch_vccz .LBB23_721
; %bb.706:
	s_cmp_lt_i32 s13, 27
	s_mov_b64 s[6:7], -1
	s_cbranch_scc1 .LBB23_712
; %bb.707:
	s_cmp_gt_i32 s13, 27
	s_cbranch_scc0 .LBB23_709
; %bb.708:
	v_bfe_i32 v4, v1, 0, 8
	s_mov_b64 s[6:7], 0
	global_store_dword v[2:3], v4, off
.LBB23_709:
	s_andn2_b64 vcc, exec, s[6:7]
	s_cbranch_vccnz .LBB23_711
; %bb.710:
	v_bfe_i32 v4, v1, 0, 8
	global_store_short v[2:3], v4, off
.LBB23_711:
	s_mov_b64 s[6:7], 0
.LBB23_712:
	s_andn2_b64 vcc, exec, s[6:7]
	s_cbranch_vccnz .LBB23_720
; %bb.713:
	v_bfe_i32 v4, v1, 0, 8
	v_cvt_f32_i32_sdwa v4, sext(v4) dst_sel:DWORD dst_unused:UNUSED_PAD src0_sel:WORD_0
	s_mov_b32 s6, 0x43800000
	v_mov_b32_e32 v6, 0x80
	v_and_b32_e32 v5, 0x7fffffff, v4
	v_cmp_gt_u32_e32 vcc, s6, v5
	s_and_saveexec_b64 s[6:7], vcc
	s_cbranch_execz .LBB23_719
; %bb.714:
	s_mov_b32 s8, 0x3bffffff
	v_cmp_lt_u32_e32 vcc, s8, v5
	s_mov_b64 s[8:9], 0
                                        ; implicit-def: $vgpr5
	s_and_saveexec_b64 s[10:11], vcc
	s_xor_b64 s[10:11], exec, s[10:11]
	s_cbranch_execz .LBB23_837
; %bb.715:
	v_bfe_u32 v5, v4, 20, 1
	s_mov_b32 s14, 0x487ffff
	v_add3_u32 v5, v4, v5, s14
	s_mov_b64 s[8:9], exec
	v_lshrrev_b32_e32 v5, 20, v5
	s_andn2_saveexec_b64 s[10:11], s[10:11]
	s_cbranch_execnz .LBB23_838
.LBB23_716:
	s_or_b64 exec, exec, s[10:11]
	v_mov_b32_e32 v6, 0
	s_and_saveexec_b64 s[10:11], s[8:9]
.LBB23_717:
	v_lshrrev_b32_e32 v4, 24, v4
	s_movk_i32 s8, 0x80
	v_and_or_b32 v6, v4, s8, v5
.LBB23_718:
	s_or_b64 exec, exec, s[10:11]
.LBB23_719:
	s_or_b64 exec, exec, s[6:7]
	global_store_byte v[2:3], v6, off
.LBB23_720:
	s_mov_b64 s[6:7], -1
.LBB23_721:
	s_mov_b64 s[8:9], 0
.LBB23_722:
	s_and_b64 vcc, exec, s[8:9]
	s_cbranch_vccz .LBB23_763
; %bb.723:
	s_cmp_gt_i32 s13, 22
	s_mov_b64 s[8:9], -1
	s_cbranch_scc0 .LBB23_755
; %bb.724:
	s_cmp_lt_i32 s13, 24
	s_mov_b64 s[6:7], -1
	s_cbranch_scc1 .LBB23_744
; %bb.725:
	s_cmp_gt_i32 s13, 24
	s_cbranch_scc0 .LBB23_733
; %bb.726:
	v_bfe_i32 v4, v1, 0, 8
	v_cvt_f32_i32_sdwa v4, sext(v4) dst_sel:DWORD dst_unused:UNUSED_PAD src0_sel:WORD_0
	s_mov_b32 s6, 0x47800000
	v_mov_b32_e32 v6, 0x80
	v_and_b32_e32 v5, 0x7fffffff, v4
	v_cmp_gt_u32_e32 vcc, s6, v5
	s_and_saveexec_b64 s[6:7], vcc
	s_cbranch_execz .LBB23_732
; %bb.727:
	s_mov_b32 s8, 0x37ffffff
	v_cmp_lt_u32_e32 vcc, s8, v5
	s_mov_b64 s[8:9], 0
                                        ; implicit-def: $vgpr5
	s_and_saveexec_b64 s[10:11], vcc
	s_xor_b64 s[10:11], exec, s[10:11]
	s_cbranch_execz .LBB23_840
; %bb.728:
	v_bfe_u32 v5, v4, 21, 1
	s_mov_b32 s14, 0x88fffff
	v_add3_u32 v5, v4, v5, s14
	s_mov_b64 s[8:9], exec
	v_lshrrev_b32_e32 v5, 21, v5
	s_andn2_saveexec_b64 s[10:11], s[10:11]
	s_cbranch_execnz .LBB23_841
.LBB23_729:
	s_or_b64 exec, exec, s[10:11]
	v_mov_b32_e32 v6, 0
	s_and_saveexec_b64 s[10:11], s[8:9]
.LBB23_730:
	v_lshrrev_b32_e32 v4, 24, v4
	s_movk_i32 s8, 0x80
	v_and_or_b32 v6, v4, s8, v5
.LBB23_731:
	s_or_b64 exec, exec, s[10:11]
.LBB23_732:
	s_or_b64 exec, exec, s[6:7]
	s_mov_b64 s[6:7], 0
	global_store_byte v[2:3], v6, off
.LBB23_733:
	s_and_b64 vcc, exec, s[6:7]
	s_cbranch_vccz .LBB23_743
; %bb.734:
	v_bfe_i32 v4, v1, 0, 8
	v_cvt_f32_i32_sdwa v4, sext(v4) dst_sel:DWORD dst_unused:UNUSED_PAD src0_sel:WORD_0
	s_mov_b32 s6, 0x43f00000
                                        ; implicit-def: $vgpr5
	v_and_b32_e32 v6, 0x7fffffff, v4
	v_cmp_gt_u32_e32 vcc, s6, v6
	s_and_saveexec_b64 s[6:7], vcc
	s_xor_b64 s[6:7], exec, s[6:7]
	s_cbranch_execz .LBB23_740
; %bb.735:
	s_mov_b32 s8, 0x3c7fffff
	v_cmp_lt_u32_e32 vcc, s8, v6
                                        ; implicit-def: $vgpr5
	s_and_saveexec_b64 s[8:9], vcc
	s_xor_b64 s[8:9], exec, s[8:9]
; %bb.736:
	v_bfe_u32 v5, v4, 20, 1
	s_mov_b32 s10, 0x407ffff
	v_add3_u32 v5, v4, v5, s10
	v_lshrrev_b32_e32 v6, 20, v5
	v_and_b32_e32 v5, 0xff00000, v5
	s_mov_b32 s10, 0x7f00000
	v_mov_b32_e32 v7, 0x7e
	v_cmp_ne_u32_e32 vcc, s10, v5
	s_nop 1
	v_cndmask_b32_e32 v5, v7, v6, vcc
; %bb.737:
	s_andn2_saveexec_b64 s[8:9], s[8:9]
; %bb.738:
	s_mov_b32 s10, 0x46800000
	v_add_f32_e64 v5, |v4|, s10
; %bb.739:
	s_or_b64 exec, exec, s[8:9]
                                        ; implicit-def: $vgpr6
.LBB23_740:
	s_andn2_saveexec_b64 s[6:7], s[6:7]
; %bb.741:
	s_mov_b32 s8, 0x7f800000
	v_mov_b32_e32 v5, 0x7e
	v_mov_b32_e32 v7, 0x7f
	v_cmp_lt_u32_e32 vcc, s8, v6
	s_nop 1
	v_cndmask_b32_e32 v5, v5, v7, vcc
; %bb.742:
	s_or_b64 exec, exec, s[6:7]
	v_lshrrev_b32_e32 v4, 24, v4
	s_movk_i32 s6, 0x80
	v_and_or_b32 v4, v4, s6, v5
	global_store_byte v[2:3], v4, off
.LBB23_743:
	s_mov_b64 s[6:7], 0
.LBB23_744:
	s_andn2_b64 vcc, exec, s[6:7]
	s_cbranch_vccnz .LBB23_754
; %bb.745:
	v_bfe_i32 v4, v1, 0, 8
	v_cvt_f32_i32_sdwa v4, sext(v4) dst_sel:DWORD dst_unused:UNUSED_PAD src0_sel:WORD_0
	s_mov_b32 s6, 0x47800000
                                        ; implicit-def: $vgpr5
	v_and_b32_e32 v6, 0x7fffffff, v4
	v_cmp_gt_u32_e32 vcc, s6, v6
	s_and_saveexec_b64 s[6:7], vcc
	s_xor_b64 s[6:7], exec, s[6:7]
	s_cbranch_execz .LBB23_751
; %bb.746:
	s_mov_b32 s8, 0x387fffff
	v_cmp_lt_u32_e32 vcc, s8, v6
                                        ; implicit-def: $vgpr5
	s_and_saveexec_b64 s[8:9], vcc
	s_xor_b64 s[8:9], exec, s[8:9]
; %bb.747:
	v_bfe_u32 v5, v4, 21, 1
	s_mov_b32 s10, 0x80fffff
	v_add3_u32 v5, v4, v5, s10
	v_lshrrev_b32_e32 v5, 21, v5
; %bb.748:
	s_andn2_saveexec_b64 s[8:9], s[8:9]
; %bb.749:
	s_mov_b32 s10, 0x43000000
	v_add_f32_e64 v5, |v4|, s10
; %bb.750:
	s_or_b64 exec, exec, s[8:9]
                                        ; implicit-def: $vgpr6
.LBB23_751:
	s_andn2_saveexec_b64 s[6:7], s[6:7]
; %bb.752:
	s_mov_b32 s8, 0x7f800000
	v_mov_b32_e32 v5, 0x7c
	v_mov_b32_e32 v7, 0x7f
	v_cmp_lt_u32_e32 vcc, s8, v6
	s_nop 1
	v_cndmask_b32_e32 v5, v5, v7, vcc
; %bb.753:
	s_or_b64 exec, exec, s[6:7]
	v_lshrrev_b32_e32 v4, 24, v4
	s_movk_i32 s6, 0x80
	v_and_or_b32 v4, v4, s6, v5
	global_store_byte v[2:3], v4, off
.LBB23_754:
	s_mov_b64 s[8:9], 0
	s_mov_b64 s[6:7], -1
.LBB23_755:
	s_andn2_b64 vcc, exec, s[8:9]
	s_cbranch_vccnz .LBB23_763
; %bb.756:
	s_cmp_gt_i32 s13, 14
	s_mov_b64 s[8:9], -1
	s_cbranch_scc0 .LBB23_760
; %bb.757:
	s_cmp_eq_u32 s13, 15
	s_mov_b64 s[2:3], -1
	s_cbranch_scc0 .LBB23_759
; %bb.758:
	v_bfe_i32 v4, v1, 0, 8
	v_cvt_f32_i32_sdwa v4, sext(v4) dst_sel:DWORD dst_unused:UNUSED_PAD src0_sel:WORD_0
	s_movk_i32 s2, 0x7fff
	s_mov_b64 s[6:7], -1
	v_bfe_u32 v5, v4, 16, 1
	v_add3_u32 v4, v4, v5, s2
	global_store_short_d16_hi v[2:3], v4, off
	s_mov_b64 s[2:3], 0
.LBB23_759:
	s_mov_b64 s[8:9], 0
.LBB23_760:
	s_and_b64 vcc, exec, s[8:9]
	s_cbranch_vccz .LBB23_763
; %bb.761:
	s_cmp_eq_u32 s13, 11
	s_mov_b64 s[2:3], -1
	s_cbranch_scc0 .LBB23_763
; %bb.762:
	s_movk_i32 s2, 0xff
	v_cmp_ne_u16_sdwa s[2:3], v0, s2 src0_sel:BYTE_0 src1_sel:DWORD
	s_mov_b64 s[6:7], -1
	s_nop 0
	v_cndmask_b32_e64 v0, 0, 1, s[2:3]
	s_mov_b64 s[2:3], 0
	global_store_byte v[2:3], v0, off
.LBB23_763:
	s_mov_b64 s[8:9], 0
.LBB23_764:
	s_and_b64 vcc, exec, s[8:9]
	s_cbranch_vccz .LBB23_803
; %bb.765:
	s_and_b32 s8, 0xffff, s12
	s_cmp_lt_i32 s8, 5
	s_mov_b64 s[6:7], -1
	s_cbranch_scc1 .LBB23_786
; %bb.766:
	s_cmp_lt_i32 s8, 8
	s_cbranch_scc1 .LBB23_776
; %bb.767:
	s_cmp_lt_i32 s8, 9
	s_cbranch_scc1 .LBB23_773
; %bb.768:
	s_cmp_gt_i32 s8, 9
	s_cbranch_scc0 .LBB23_770
; %bb.769:
	v_bfe_i32 v0, v1, 0, 8
	v_bfe_i32 v0, v0, 0, 16
	v_mov_b32_e32 v6, 0
	v_cvt_f64_i32_e32 v[4:5], v0
	v_mov_b32_e32 v7, v6
	s_mov_b64 s[6:7], 0
	global_store_dwordx4 v[2:3], v[4:7], off
.LBB23_770:
	s_andn2_b64 vcc, exec, s[6:7]
	s_cbranch_vccnz .LBB23_772
; %bb.771:
	v_bfe_i32 v0, v1, 0, 8
	v_cvt_f32_i32_sdwa v4, sext(v0) dst_sel:DWORD dst_unused:UNUSED_PAD src0_sel:WORD_0
	v_mov_b32_e32 v5, 0
	global_store_dwordx2 v[2:3], v[4:5], off
.LBB23_772:
	s_mov_b64 s[6:7], 0
.LBB23_773:
	s_andn2_b64 vcc, exec, s[6:7]
	s_cbranch_vccnz .LBB23_775
; %bb.774:
	v_cvt_f16_i16_sdwa v0, sext(v1) dst_sel:DWORD dst_unused:UNUSED_PAD src0_sel:BYTE_0
	global_store_dword v[2:3], v0, off
.LBB23_775:
	s_mov_b64 s[6:7], 0
.LBB23_776:
	s_andn2_b64 vcc, exec, s[6:7]
	s_cbranch_vccnz .LBB23_785
; %bb.777:
	s_cmp_lt_i32 s8, 6
	s_mov_b64 s[6:7], -1
	s_cbranch_scc1 .LBB23_783
; %bb.778:
	s_cmp_gt_i32 s8, 6
	s_cbranch_scc0 .LBB23_780
; %bb.779:
	v_bfe_i32 v0, v1, 0, 8
	v_bfe_i32 v0, v0, 0, 16
	v_cvt_f64_i32_e32 v[4:5], v0
	s_mov_b64 s[6:7], 0
	global_store_dwordx2 v[2:3], v[4:5], off
.LBB23_780:
	s_andn2_b64 vcc, exec, s[6:7]
	s_cbranch_vccnz .LBB23_782
; %bb.781:
	v_bfe_i32 v0, v1, 0, 8
	v_cvt_f32_i32_sdwa v0, sext(v0) dst_sel:DWORD dst_unused:UNUSED_PAD src0_sel:WORD_0
	global_store_dword v[2:3], v0, off
.LBB23_782:
	s_mov_b64 s[6:7], 0
.LBB23_783:
	s_andn2_b64 vcc, exec, s[6:7]
	s_cbranch_vccnz .LBB23_785
; %bb.784:
	v_cvt_f16_i16_sdwa v0, sext(v1) dst_sel:DWORD dst_unused:UNUSED_PAD src0_sel:BYTE_0
	global_store_short v[2:3], v0, off
.LBB23_785:
	s_mov_b64 s[6:7], 0
.LBB23_786:
	s_andn2_b64 vcc, exec, s[6:7]
	s_cbranch_vccnz .LBB23_802
; %bb.787:
	s_cmp_lt_i32 s8, 2
	s_mov_b64 s[6:7], -1
	s_cbranch_scc1 .LBB23_797
; %bb.788:
	s_cmp_lt_i32 s8, 3
	s_cbranch_scc1 .LBB23_794
; %bb.789:
	s_cmp_gt_i32 s8, 3
	s_cbranch_scc0 .LBB23_791
; %bb.790:
	v_bfe_i32 v4, v1, 0, 8
	v_ashrrev_i32_e32 v5, 31, v4
	s_mov_b64 s[6:7], 0
	global_store_dwordx2 v[2:3], v[4:5], off
.LBB23_791:
	s_andn2_b64 vcc, exec, s[6:7]
	s_cbranch_vccnz .LBB23_793
; %bb.792:
	v_bfe_i32 v0, v1, 0, 8
	global_store_dword v[2:3], v0, off
.LBB23_793:
	s_mov_b64 s[6:7], 0
.LBB23_794:
	s_andn2_b64 vcc, exec, s[6:7]
	s_cbranch_vccnz .LBB23_796
; %bb.795:
	v_bfe_i32 v0, v1, 0, 8
	global_store_short v[2:3], v0, off
.LBB23_796:
	s_mov_b64 s[6:7], 0
.LBB23_797:
	s_andn2_b64 vcc, exec, s[6:7]
	s_cbranch_vccnz .LBB23_802
; %bb.798:
	s_cmp_gt_i32 s8, 0
	s_mov_b64 s[6:7], -1
	s_cbranch_scc0 .LBB23_800
; %bb.799:
	s_mov_b64 s[6:7], 0
	global_store_byte v[2:3], v1, off
.LBB23_800:
	s_andn2_b64 vcc, exec, s[6:7]
	s_cbranch_vccnz .LBB23_802
; %bb.801:
	global_store_byte v[2:3], v1, off
.LBB23_802:
	s_mov_b64 s[6:7], -1
.LBB23_803:
	s_andn2_b64 vcc, exec, s[6:7]
	s_cbranch_vccnz .LBB23_805
; %bb.804:
	v_add_u32_e32 v9, 0x80, v9
	s_mov_b64 s[6:7], -1
	s_branch .LBB23_807
.LBB23_805:
	s_mov_b64 s[6:7], 0
.LBB23_806:
                                        ; implicit-def: $vgpr9
.LBB23_807:
	s_andn2_b64 s[8:9], s[62:63], exec
	s_and_b64 s[2:3], s[2:3], exec
	s_or_b64 s[68:69], s[8:9], s[2:3]
	s_andn2_b64 s[2:3], s[60:61], exec
	s_and_b64 s[4:5], s[4:5], exec
	s_or_b64 s[2:3], s[2:3], s[4:5]
	s_orn2_b64 s[6:7], s[6:7], exec
.LBB23_808:
	s_or_b64 exec, exec, s[66:67]
	s_mov_b64 s[4:5], 0
	s_mov_b64 s[10:11], 0
	s_mov_b64 s[8:9], 0
                                        ; implicit-def: $vgpr4_vgpr5
                                        ; implicit-def: $vgpr2
                                        ; implicit-def: $vgpr0
	s_and_saveexec_b64 s[66:67], s[6:7]
	s_cbranch_execz .LBB23_904
; %bb.809:
	v_cmp_gt_i32_e32 vcc, s70, v9
	s_mov_b64 s[6:7], 0
	s_mov_b64 s[12:13], s[2:3]
                                        ; implicit-def: $vgpr4_vgpr5
                                        ; implicit-def: $vgpr2
                                        ; implicit-def: $vgpr0
	s_and_saveexec_b64 s[70:71], vcc
	s_cbranch_execz .LBB23_903
; %bb.810:
	s_andn2_b64 vcc, exec, s[42:43]
	s_cbranch_vccnz .LBB23_816
; %bb.811:
	s_andn2_b64 vcc, exec, s[52:53]
	s_cbranch_vccnz .LBB23_817
; %bb.812:
	s_add_i32 s76, s75, 1
	s_cmp_eq_u32 s72, 2
	s_cbranch_scc1 .LBB23_818
; %bb.813:
	s_and_b32 s75, s76, 28
	s_mov_b32 s77, 0
	v_mov_b32_e32 v2, 0
	s_waitcnt vmcnt(0)
	v_mov_b32_e32 v0, 0
	s_mov_b64 s[52:53], s[34:35]
	v_mov_b32_e32 v4, v9
.LBB23_814:                             ; =>This Inner Loop Header: Depth=1
	s_load_dwordx8 s[12:19], s[52:53], 0x4
	s_load_dwordx4 s[36:39], s[52:53], 0x24
	s_load_dwordx8 s[4:11], s[50:51], 0x0
	s_add_u32 s52, s52, 48
	s_addc_u32 s53, s53, 0
	s_waitcnt lgkmcnt(0)
	v_mul_hi_u32 v1, s13, v4
	v_add_u32_e32 v1, v4, v1
	v_lshrrev_b32_e32 v1, s14, v1
	v_mul_lo_u32 v3, v1, s12
	v_mul_hi_u32 v5, s16, v1
	v_sub_u32_e32 v3, v4, v3
	v_add_u32_e32 v4, v1, v5
	v_lshrrev_b32_e32 v4, s17, v4
	v_mul_lo_u32 v6, v4, s15
	v_mul_hi_u32 v7, s19, v4
	v_sub_u32_e32 v1, v1, v6
	v_add_u32_e32 v6, v4, v7
	v_mul_lo_u32 v5, v3, s5
	v_mul_lo_u32 v3, v3, s4
	;; [unrolled: 1-line block ×4, first 2 shown]
	v_lshrrev_b32_e32 v6, s36, v6
	v_add3_u32 v1, v3, v2, v1
	v_mul_hi_u32 v3, s38, v6
	v_mul_lo_u32 v2, v6, s18
	v_add_u32_e32 v3, v6, v3
	v_sub_u32_e32 v2, v4, v2
	v_lshrrev_b32_e32 v4, s39, v3
	s_add_i32 s77, s77, 4
	v_mul_lo_u32 v3, v4, s37
	s_add_u32 s50, s50, 32
	v_sub_u32_e32 v3, v6, v3
	s_addc_u32 s51, s51, 0
	v_add3_u32 v0, v5, v0, v7
	v_mul_lo_u32 v5, v2, s8
	v_mul_lo_u32 v2, v2, s9
	v_mul_lo_u32 v6, v3, s10
	v_mul_lo_u32 v3, v3, s11
	s_cmp_eq_u32 s75, s77
	v_add3_u32 v0, v2, v0, v3
	v_add3_u32 v2, v5, v1, v6
	s_cbranch_scc0 .LBB23_814
; %bb.815:
	v_mov_b32_e32 v1, v0
	s_branch .LBB23_819
.LBB23_816:
	s_mov_b64 s[4:5], -1
                                        ; implicit-def: $vgpr0
                                        ; implicit-def: $vgpr2
	s_branch .LBB23_823
.LBB23_817:
	s_waitcnt vmcnt(0)
	v_mov_b32_e32 v0, 0
	v_mov_b32_e32 v2, 0
	s_branch .LBB23_822
.LBB23_818:
	v_mov_b32_e32 v2, 0
	s_mov_b32 s75, 0
	s_waitcnt vmcnt(0)
	v_mov_b32_e32 v1, v2
                                        ; implicit-def: $vgpr0
	v_mov_b32_e32 v4, v9
.LBB23_819:
	s_and_b32 s8, s76, 3
	s_cmp_eq_u32 s8, 0
	s_cbranch_scc1 .LBB23_822
; %bb.820:
	s_lshl_b32 s4, s75, 3
	s_add_u32 s4, s34, s4
	s_addc_u32 s5, s35, 0
	s_add_u32 s4, s4, 0xc4
	s_addc_u32 s5, s5, 0
	s_mul_i32 s6, s75, 12
	s_add_u32 s6, s34, s6
	s_addc_u32 s7, s35, 0
.LBB23_821:                             ; =>This Inner Loop Header: Depth=1
	s_load_dwordx2 s[10:11], s[6:7], 0x4
	s_load_dword s9, s[6:7], 0xc
	s_load_dwordx2 s[12:13], s[4:5], 0x0
	v_mov_b32_e32 v0, v1
	s_add_u32 s6, s6, 12
	s_waitcnt lgkmcnt(0)
	v_mul_hi_u32 v1, s11, v4
	v_add_u32_e32 v1, v4, v1
	v_lshrrev_b32_e32 v1, s9, v1
	s_addc_u32 s7, s7, 0
	v_mul_lo_u32 v3, v1, s10
	s_add_u32 s4, s4, 8
	v_sub_u32_e32 v3, v4, v3
	s_addc_u32 s5, s5, 0
	s_add_i32 s8, s8, -1
	v_mov_b32_e32 v4, v1
	v_mad_u64_u32 v[0:1], s[10:11], v3, s13, v[0:1]
	s_cmp_lg_u32 s8, 0
	v_mad_u64_u32 v[2:3], s[10:11], v3, s12, v[2:3]
	v_mov_b32_e32 v1, v0
	s_cbranch_scc1 .LBB23_821
.LBB23_822:
	s_mov_b64 s[4:5], 0
.LBB23_823:
	s_andn2_b64 vcc, exec, s[4:5]
	s_cbranch_vccnz .LBB23_826
; %bb.824:
	s_waitcnt vmcnt(0) lgkmcnt(0)
	v_mul_hi_u32 v0, s29, v9
	v_add_u32_e32 v0, v9, v0
	v_lshrrev_b32_e32 v1, s30, v0
	v_mul_lo_u32 v0, v1, s28
	v_sub_u32_e32 v2, v9, v0
	v_mul_lo_u32 v0, v2, s25
	s_andn2_b64 vcc, exec, s[48:49]
	v_mul_lo_u32 v2, v2, s24
	s_cbranch_vccnz .LBB23_826
; %bb.825:
	v_mul_hi_u32 v3, s46, v1
	v_add_u32_e32 v3, v1, v3
	v_lshrrev_b32_e32 v3, s47, v3
	v_mul_lo_u32 v3, v3, s31
	v_sub_u32_e32 v1, v1, v3
	v_mad_u64_u32 v[2:3], s[4:5], v1, s26, v[2:3]
	v_mad_u64_u32 v[0:1], s[4:5], v1, s27, v[0:1]
.LBB23_826:
	s_waitcnt vmcnt(0)
	v_mov_b32_e32 v1, 0
	s_and_b32 s12, 0xffff, s74
	s_cmp_lt_i32 s12, 11
	s_waitcnt lgkmcnt(0)
	v_lshl_add_u64 v[4:5], s[22:23], 0, v[0:1]
	s_cbranch_scc1 .LBB23_833
; %bb.827:
	s_cmp_gt_i32 s12, 25
	s_mov_b64 s[6:7], 0
	s_cbranch_scc0 .LBB23_834
; %bb.828:
	s_cmp_gt_i32 s12, 28
	s_cbranch_scc0 .LBB23_835
; %bb.829:
	s_cmp_gt_i32 s12, 43
	;; [unrolled: 3-line block ×3, first 2 shown]
	s_cbranch_scc0 .LBB23_839
; %bb.831:
	s_cmp_eq_u32 s12, 46
	s_mov_b64 s[10:11], 0
	s_cbranch_scc0 .LBB23_842
; %bb.832:
	global_load_dword v0, v[4:5], off
	s_mov_b64 s[4:5], 0
	s_mov_b64 s[8:9], -1
	s_waitcnt vmcnt(0)
	v_lshlrev_b32_e32 v0, 16, v0
	v_cvt_i32_f32_e32 v0, v0
	s_branch .LBB23_843
.LBB23_833:
	s_mov_b64 s[10:11], -1
	s_mov_b64 s[8:9], 0
	s_mov_b64 s[6:7], 0
	;; [unrolled: 1-line block ×3, first 2 shown]
                                        ; implicit-def: $vgpr0
	s_branch .LBB23_902
.LBB23_834:
	s_mov_b64 s[10:11], -1
	s_mov_b64 s[8:9], 0
	s_mov_b64 s[4:5], s[2:3]
                                        ; implicit-def: $vgpr0
	s_branch .LBB23_870
.LBB23_835:
	s_mov_b64 s[10:11], -1
	s_mov_b64 s[8:9], 0
	s_mov_b64 s[4:5], s[2:3]
                                        ; implicit-def: $vgpr0
	s_branch .LBB23_853
.LBB23_836:
	s_mov_b64 s[10:11], -1
	s_mov_b64 s[8:9], 0
	s_mov_b64 s[4:5], s[2:3]
                                        ; implicit-def: $vgpr0
	s_branch .LBB23_848
.LBB23_837:
	s_andn2_saveexec_b64 s[10:11], s[10:11]
	s_cbranch_execz .LBB23_716
.LBB23_838:
	s_mov_b32 s14, 0x46000000
	v_add_f32_e64 v5, |v4|, s14
	v_and_b32_e32 v5, 0xff, v5
	v_cmp_ne_u32_e32 vcc, 0, v5
	s_andn2_b64 s[8:9], s[8:9], exec
	s_and_b64 s[14:15], vcc, exec
	s_or_b64 s[8:9], s[8:9], s[14:15]
	s_or_b64 exec, exec, s[10:11]
	v_mov_b32_e32 v6, 0
	s_and_saveexec_b64 s[10:11], s[8:9]
	s_cbranch_execnz .LBB23_717
	s_branch .LBB23_718
.LBB23_839:
	s_mov_b64 s[10:11], -1
	s_mov_b64 s[8:9], 0
	s_mov_b64 s[4:5], s[2:3]
                                        ; implicit-def: $vgpr0
	s_branch .LBB23_843
.LBB23_840:
	s_andn2_saveexec_b64 s[10:11], s[10:11]
	s_cbranch_execz .LBB23_729
.LBB23_841:
	s_mov_b32 s14, 0x42800000
	v_add_f32_e64 v5, |v4|, s14
	v_and_b32_e32 v5, 0xff, v5
	v_cmp_ne_u32_e32 vcc, 0, v5
	s_andn2_b64 s[8:9], s[8:9], exec
	s_and_b64 s[14:15], vcc, exec
	s_or_b64 s[8:9], s[8:9], s[14:15]
	s_or_b64 exec, exec, s[10:11]
	v_mov_b32_e32 v6, 0
	s_and_saveexec_b64 s[10:11], s[8:9]
	s_cbranch_execnz .LBB23_730
	s_branch .LBB23_731
.LBB23_842:
	s_mov_b64 s[4:5], -1
                                        ; implicit-def: $vgpr0
	s_mov_b64 s[8:9], 0
.LBB23_843:
	s_and_b64 vcc, exec, s[10:11]
	s_cbranch_vccz .LBB23_847
; %bb.844:
	s_cmp_eq_u32 s12, 44
	s_cbranch_scc0 .LBB23_846
; %bb.845:
	global_load_ubyte v0, v[4:5], off
	s_mov_b64 s[4:5], 0
	s_mov_b64 s[8:9], -1
	s_waitcnt vmcnt(0)
	v_lshlrev_b32_e32 v1, 23, v0
	v_cvt_i32_f32_e32 v1, v1
	v_cmp_ne_u32_e32 vcc, 0, v0
	s_nop 1
	v_cndmask_b32_e32 v0, 0, v1, vcc
	s_branch .LBB23_847
.LBB23_846:
	s_mov_b64 s[4:5], -1
                                        ; implicit-def: $vgpr0
.LBB23_847:
	s_mov_b64 s[10:11], 0
.LBB23_848:
	s_and_b64 vcc, exec, s[10:11]
	s_cbranch_vccz .LBB23_852
; %bb.849:
	s_cmp_eq_u32 s12, 29
	s_cbranch_scc0 .LBB23_851
; %bb.850:
	global_load_dwordx2 v[0:1], v[4:5], off
	s_mov_b64 s[4:5], 0
	s_mov_b64 s[8:9], -1
	s_branch .LBB23_852
.LBB23_851:
	s_mov_b64 s[4:5], -1
                                        ; implicit-def: $vgpr0
.LBB23_852:
	s_mov_b64 s[10:11], 0
.LBB23_853:
	s_and_b64 vcc, exec, s[10:11]
	s_cbranch_vccz .LBB23_869
; %bb.854:
	s_cmp_lt_i32 s12, 27
	s_cbranch_scc1 .LBB23_857
; %bb.855:
	s_cmp_gt_i32 s12, 27
	s_cbranch_scc0 .LBB23_858
; %bb.856:
	global_load_dword v0, v[4:5], off
	s_mov_b64 s[8:9], 0
	s_branch .LBB23_859
.LBB23_857:
	s_mov_b64 s[8:9], -1
                                        ; implicit-def: $vgpr0
	s_branch .LBB23_862
.LBB23_858:
	s_mov_b64 s[8:9], -1
                                        ; implicit-def: $vgpr0
.LBB23_859:
	s_andn2_b64 vcc, exec, s[8:9]
	s_cbranch_vccnz .LBB23_861
; %bb.860:
	global_load_ushort v0, v[4:5], off
.LBB23_861:
	s_mov_b64 s[8:9], 0
.LBB23_862:
	s_andn2_b64 vcc, exec, s[8:9]
	s_cbranch_vccnz .LBB23_868
; %bb.863:
	global_load_ubyte v1, v[4:5], off
	s_movk_i32 s8, 0x7f
	s_mov_b64 s[10:11], 0
	s_waitcnt vmcnt(0)
	v_cmp_lt_i16_e32 vcc, s8, v1
	s_and_saveexec_b64 s[8:9], vcc
	s_xor_b64 s[8:9], exec, s[8:9]
	s_cbranch_execz .LBB23_880
; %bb.864:
	s_movk_i32 s10, 0x80
	v_cmp_ne_u16_e32 vcc, s10, v1
	s_and_b64 s[10:11], vcc, exec
	s_andn2_saveexec_b64 s[8:9], s[8:9]
	s_cbranch_execnz .LBB23_881
.LBB23_865:
	s_or_b64 exec, exec, s[8:9]
	v_mov_b32_e32 v0, 0
	s_and_saveexec_b64 s[8:9], s[10:11]
	s_cbranch_execz .LBB23_867
.LBB23_866:
	v_lshlrev_b32_e32 v0, 24, v1
	v_and_b32_e32 v1, 0xffff, v1
	v_and_b32_e32 v3, 7, v1
	v_ffbh_u32_e32 v7, v3
	v_min_u32_e32 v7, 32, v7
	v_subrev_u32_e32 v8, 28, v7
	v_bfe_u32 v6, v1, 3, 4
	v_lshlrev_b32_e32 v1, v8, v1
	v_sub_u32_e32 v7, 29, v7
	v_and_b32_e32 v1, 7, v1
	v_cmp_eq_u32_e32 vcc, 0, v6
	v_and_b32_e32 v0, 0x80000000, v0
	s_nop 0
	v_cndmask_b32_e32 v6, v6, v7, vcc
	v_cndmask_b32_e32 v1, v3, v1, vcc
	v_mov_b32_e32 v3, 0x3b800000
	v_lshlrev_b32_e32 v1, 20, v1
	v_lshl_add_u32 v3, v6, 23, v3
	v_or3_b32 v0, v0, v3, v1
	v_cvt_i32_f32_e32 v0, v0
.LBB23_867:
	s_or_b64 exec, exec, s[8:9]
.LBB23_868:
	s_mov_b64 s[8:9], -1
.LBB23_869:
	s_mov_b64 s[10:11], 0
.LBB23_870:
	s_and_b64 vcc, exec, s[10:11]
	s_cbranch_vccz .LBB23_901
; %bb.871:
	s_cmp_gt_i32 s12, 22
	s_cbranch_scc0 .LBB23_879
; %bb.872:
	s_cmp_lt_i32 s12, 24
	s_cbranch_scc1 .LBB23_882
; %bb.873:
	s_cmp_gt_i32 s12, 24
	s_cbranch_scc0 .LBB23_883
; %bb.874:
	global_load_ubyte v1, v[4:5], off
	s_movk_i32 s6, 0x7f
	s_mov_b64 s[8:9], 0
	s_waitcnt vmcnt(0)
	v_cmp_lt_i16_e32 vcc, s6, v1
	s_and_saveexec_b64 s[6:7], vcc
	s_xor_b64 s[6:7], exec, s[6:7]
	s_cbranch_execz .LBB23_895
; %bb.875:
	s_movk_i32 s8, 0x80
	v_cmp_ne_u16_e32 vcc, s8, v1
	s_and_b64 s[8:9], vcc, exec
	s_andn2_saveexec_b64 s[6:7], s[6:7]
	s_cbranch_execnz .LBB23_896
.LBB23_876:
	s_or_b64 exec, exec, s[6:7]
	v_mov_b32_e32 v0, 0
	s_and_saveexec_b64 s[6:7], s[8:9]
	s_cbranch_execz .LBB23_878
.LBB23_877:
	v_lshlrev_b32_e32 v0, 24, v1
	v_and_b32_e32 v1, 0xffff, v1
	v_and_b32_e32 v3, 3, v1
	v_ffbh_u32_e32 v7, v3
	v_min_u32_e32 v7, 32, v7
	v_subrev_u32_e32 v8, 29, v7
	v_bfe_u32 v6, v1, 2, 5
	v_lshlrev_b32_e32 v1, v8, v1
	v_sub_u32_e32 v7, 30, v7
	v_and_b32_e32 v1, 3, v1
	v_cmp_eq_u32_e32 vcc, 0, v6
	v_and_b32_e32 v0, 0x80000000, v0
	s_nop 0
	v_cndmask_b32_e32 v6, v6, v7, vcc
	v_cndmask_b32_e32 v1, v3, v1, vcc
	v_mov_b32_e32 v3, 0x37800000
	v_lshlrev_b32_e32 v1, 21, v1
	v_lshl_add_u32 v3, v6, 23, v3
	v_or3_b32 v0, v0, v3, v1
	v_cvt_i32_f32_e32 v0, v0
.LBB23_878:
	s_or_b64 exec, exec, s[6:7]
	s_mov_b64 s[6:7], 0
	s_branch .LBB23_884
.LBB23_879:
	s_mov_b64 s[6:7], -1
                                        ; implicit-def: $vgpr0
	s_branch .LBB23_890
.LBB23_880:
	s_andn2_saveexec_b64 s[8:9], s[8:9]
	s_cbranch_execz .LBB23_865
.LBB23_881:
	v_cmp_ne_u16_e32 vcc, 0, v1
	s_andn2_b64 s[10:11], s[10:11], exec
	s_and_b64 s[14:15], vcc, exec
	s_or_b64 s[10:11], s[10:11], s[14:15]
	s_or_b64 exec, exec, s[8:9]
	v_mov_b32_e32 v0, 0
	s_and_saveexec_b64 s[8:9], s[10:11]
	s_cbranch_execnz .LBB23_866
	s_branch .LBB23_867
.LBB23_882:
	s_mov_b64 s[6:7], -1
                                        ; implicit-def: $vgpr0
	s_branch .LBB23_887
.LBB23_883:
	s_mov_b64 s[6:7], -1
                                        ; implicit-def: $vgpr0
.LBB23_884:
	s_and_b64 vcc, exec, s[6:7]
	s_cbranch_vccz .LBB23_886
; %bb.885:
	global_load_ubyte v0, v[4:5], off
	s_mov_b32 s6, 0x7f800000
	s_waitcnt vmcnt(0)
	v_lshlrev_b32_e32 v0, 24, v0
	v_and_b32_e32 v1, 0x7f000000, v0
	v_ffbh_u32_e32 v3, v1
	v_min_u32_e32 v3, 32, v3
	v_sub_u32_e64 v3, v3, 4 clamp
	v_lshlrev_b32_e32 v7, v3, v1
	v_lshlrev_b32_e32 v3, 23, v3
	v_lshrrev_b32_e32 v7, 4, v7
	v_add_u32_e32 v6, 0x1000000, v1
	v_sub_u32_e32 v3, v7, v3
	v_ashrrev_i32_e32 v6, 8, v6
	v_add_u32_e32 v3, 0x3c000000, v3
	v_and_or_b32 v3, v6, s6, v3
	v_cmp_ne_u32_e32 vcc, 0, v1
	s_brev_b32 s6, 1
	s_nop 0
	v_cndmask_b32_e32 v1, 0, v3, vcc
	v_and_or_b32 v0, v0, s6, v1
	v_cvt_i32_f32_e32 v0, v0
.LBB23_886:
	s_mov_b64 s[6:7], 0
.LBB23_887:
	s_andn2_b64 vcc, exec, s[6:7]
	s_cbranch_vccnz .LBB23_889
; %bb.888:
	global_load_ubyte v0, v[4:5], off
	s_movk_i32 s6, 0x7f00
	s_brev_b32 s7, 16
	s_waitcnt vmcnt(0)
	v_lshlrev_b16_e32 v1, 8, v0
	v_lshlrev_b32_e32 v0, 25, v0
	v_lshrrev_b32_e32 v3, 4, v0
	v_and_or_b32 v6, v1, s6, 0.5
	v_or_b32_e32 v3, 0x70000000, v3
	v_add_f32_e32 v6, -0.5, v6
	v_mul_f32_e32 v3, 0x7800000, v3
	v_cmp_gt_u32_e32 vcc, s7, v0
	v_bfe_i32 v1, v1, 0, 16
	s_brev_b32 s6, 1
	v_cndmask_b32_e32 v0, v3, v6, vcc
	v_and_or_b32 v0, v1, s6, v0
	v_cvt_i32_f32_e32 v0, v0
.LBB23_889:
	s_mov_b64 s[6:7], 0
	s_mov_b64 s[8:9], -1
.LBB23_890:
	s_andn2_b64 vcc, exec, s[6:7]
	s_mov_b64 s[6:7], 0
	s_cbranch_vccnz .LBB23_901
; %bb.891:
	s_cmp_gt_i32 s12, 14
	s_cbranch_scc0 .LBB23_894
; %bb.892:
	s_cmp_eq_u32 s12, 15
	s_cbranch_scc0 .LBB23_897
; %bb.893:
	global_load_ushort v0, v[4:5], off
	s_mov_b64 s[4:5], 0
	s_mov_b64 s[8:9], -1
	s_waitcnt vmcnt(0)
	v_lshlrev_b32_e32 v0, 16, v0
	v_cvt_i32_f32_e32 v0, v0
	s_branch .LBB23_898
.LBB23_894:
	s_mov_b64 s[10:11], -1
                                        ; implicit-def: $vgpr0
	s_branch .LBB23_899
.LBB23_895:
	s_andn2_saveexec_b64 s[6:7], s[6:7]
	s_cbranch_execz .LBB23_876
.LBB23_896:
	v_cmp_ne_u16_e32 vcc, 0, v1
	s_andn2_b64 s[8:9], s[8:9], exec
	s_and_b64 s[10:11], vcc, exec
	s_or_b64 s[8:9], s[8:9], s[10:11]
	s_or_b64 exec, exec, s[6:7]
	v_mov_b32_e32 v0, 0
	s_and_saveexec_b64 s[6:7], s[8:9]
	s_cbranch_execnz .LBB23_877
	s_branch .LBB23_878
.LBB23_897:
	s_mov_b64 s[4:5], -1
                                        ; implicit-def: $vgpr0
.LBB23_898:
	s_mov_b64 s[10:11], 0
.LBB23_899:
	s_and_b64 vcc, exec, s[10:11]
	s_cbranch_vccz .LBB23_901
; %bb.900:
	s_cmp_lg_u32 s12, 11
	s_cselect_b64 s[10:11], -1, 0
	s_andn2_b64 s[4:5], s[4:5], exec
	s_and_b64 s[10:11], s[10:11], exec
	s_mov_b64 s[6:7], -1
	s_or_b64 s[4:5], s[4:5], s[10:11]
.LBB23_901:
	s_mov_b64 s[10:11], 0
.LBB23_902:
	s_andn2_b64 s[12:13], s[2:3], exec
	s_and_b64 s[4:5], s[4:5], exec
	s_and_b64 s[8:9], s[8:9], exec
	;; [unrolled: 1-line block ×4, first 2 shown]
	s_or_b64 s[12:13], s[12:13], s[4:5]
.LBB23_903:
	s_or_b64 exec, exec, s[70:71]
	s_and_b64 s[4:5], s[6:7], exec
	s_andn2_b64 s[2:3], s[2:3], exec
	s_and_b64 s[6:7], s[12:13], exec
	s_and_b64 s[8:9], s[8:9], exec
	;; [unrolled: 1-line block ×3, first 2 shown]
	s_or_b64 s[2:3], s[2:3], s[6:7]
.LBB23_904:
	s_or_b64 exec, exec, s[66:67]
	s_andn2_b64 s[6:7], s[62:63], exec
	s_and_b64 s[12:13], s[68:69], exec
	s_or_b64 s[62:63], s[6:7], s[12:13]
	s_and_b64 s[6:7], s[10:11], exec
	s_andn2_b64 s[10:11], s[60:61], exec
	s_and_b64 s[2:3], s[2:3], exec
	s_and_b64 s[8:9], s[8:9], exec
	;; [unrolled: 1-line block ×3, first 2 shown]
	s_or_b64 s[60:61], s[10:11], s[2:3]
.LBB23_905:
	s_or_b64 exec, exec, s[64:65]
	s_andn2_b64 s[2:3], s[54:55], exec
	s_and_b64 s[10:11], s[62:63], exec
	s_or_b64 s[54:55], s[2:3], s[10:11]
	s_and_b64 s[2:3], s[8:9], exec
	s_and_b64 s[8:9], s[6:7], exec
	;; [unrolled: 1-line block ×3, first 2 shown]
	s_andn2_b64 s[4:5], s[56:57], exec
	s_and_b64 s[6:7], s[60:61], exec
	s_or_b64 s[56:57], s[4:5], s[6:7]
	s_or_b64 exec, exec, s[58:59]
	s_mov_b64 s[4:5], 0
	s_and_saveexec_b64 s[6:7], s[56:57]
	s_cbranch_execz .LBB23_272
.LBB23_906:
	s_mov_b64 s[4:5], exec
	s_andn2_b64 s[62:63], s[62:63], exec
	s_trap 2
	s_or_b64 exec, exec, s[6:7]
	s_and_saveexec_b64 s[6:7], s[62:63]
	s_xor_b64 s[6:7], exec, s[6:7]
	s_cbranch_execnz .LBB23_273
.LBB23_907:
	s_or_b64 exec, exec, s[6:7]
	s_and_saveexec_b64 s[6:7], s[8:9]
	s_cbranch_execz .LBB23_953
.LBB23_908:
	s_sext_i32_i16 s8, s74
	s_cmp_lt_i32 s8, 5
	s_cbranch_scc1 .LBB23_913
; %bb.909:
	s_cmp_lt_i32 s8, 8
	s_cbranch_scc1 .LBB23_914
; %bb.910:
	;; [unrolled: 3-line block ×3, first 2 shown]
	s_cmp_gt_i32 s8, 9
	s_cbranch_scc0 .LBB23_916
; %bb.912:
	global_load_dwordx2 v[0:1], v[4:5], off
	s_mov_b64 s[8:9], 0
	s_waitcnt vmcnt(0)
	v_cvt_i32_f64_e32 v0, v[0:1]
	s_branch .LBB23_917
.LBB23_913:
                                        ; implicit-def: $vgpr0
	s_branch .LBB23_934
.LBB23_914:
                                        ; implicit-def: $vgpr0
	s_branch .LBB23_923
.LBB23_915:
	s_mov_b64 s[8:9], -1
                                        ; implicit-def: $vgpr0
	s_branch .LBB23_920
.LBB23_916:
	s_mov_b64 s[8:9], -1
                                        ; implicit-def: $vgpr0
.LBB23_917:
	s_andn2_b64 vcc, exec, s[8:9]
	s_cbranch_vccnz .LBB23_919
; %bb.918:
	global_load_dword v0, v[4:5], off
	s_waitcnt vmcnt(0)
	v_cvt_i32_f32_e32 v0, v0
.LBB23_919:
	s_mov_b64 s[8:9], 0
.LBB23_920:
	s_andn2_b64 vcc, exec, s[8:9]
	s_cbranch_vccnz .LBB23_922
; %bb.921:
	global_load_dword v0, v[4:5], off
	s_waitcnt vmcnt(0)
	v_cvt_i16_f16_e32 v0, v0
.LBB23_922:
	s_cbranch_execnz .LBB23_933
.LBB23_923:
	s_sext_i32_i16 s8, s74
	s_cmp_lt_i32 s8, 6
	s_cbranch_scc1 .LBB23_926
; %bb.924:
	s_cmp_gt_i32 s8, 6
	s_cbranch_scc0 .LBB23_927
; %bb.925:
	global_load_dwordx2 v[0:1], v[4:5], off
	s_mov_b64 s[8:9], 0
	s_waitcnt vmcnt(0)
	v_cvt_i32_f64_e32 v0, v[0:1]
	s_branch .LBB23_928
.LBB23_926:
	s_mov_b64 s[8:9], -1
                                        ; implicit-def: $vgpr0
	s_branch .LBB23_931
.LBB23_927:
	s_mov_b64 s[8:9], -1
                                        ; implicit-def: $vgpr0
.LBB23_928:
	s_andn2_b64 vcc, exec, s[8:9]
	s_cbranch_vccnz .LBB23_930
; %bb.929:
	global_load_dword v0, v[4:5], off
	s_waitcnt vmcnt(0)
	v_cvt_i32_f32_e32 v0, v0
.LBB23_930:
	s_mov_b64 s[8:9], 0
.LBB23_931:
	s_andn2_b64 vcc, exec, s[8:9]
	s_cbranch_vccnz .LBB23_933
; %bb.932:
	global_load_ushort v0, v[4:5], off
	s_waitcnt vmcnt(0)
	v_cvt_i16_f16_e32 v0, v0
.LBB23_933:
	s_cbranch_execnz .LBB23_952
.LBB23_934:
	s_sext_i32_i16 s8, s74
	s_cmp_lt_i32 s8, 2
	s_cbranch_scc1 .LBB23_938
; %bb.935:
	s_cmp_lt_i32 s8, 3
	s_cbranch_scc1 .LBB23_939
; %bb.936:
	s_cmp_gt_i32 s8, 3
	s_cbranch_scc0 .LBB23_940
; %bb.937:
	global_load_dwordx2 v[0:1], v[4:5], off
	s_mov_b64 s[8:9], 0
	s_branch .LBB23_941
.LBB23_938:
                                        ; implicit-def: $vgpr0
	s_branch .LBB23_947
.LBB23_939:
	s_mov_b64 s[8:9], -1
                                        ; implicit-def: $vgpr0
	s_branch .LBB23_944
.LBB23_940:
	s_mov_b64 s[8:9], -1
                                        ; implicit-def: $vgpr0
.LBB23_941:
	s_andn2_b64 vcc, exec, s[8:9]
	s_cbranch_vccnz .LBB23_943
; %bb.942:
	global_load_dword v0, v[4:5], off
.LBB23_943:
	s_mov_b64 s[8:9], 0
.LBB23_944:
	s_andn2_b64 vcc, exec, s[8:9]
	s_cbranch_vccnz .LBB23_946
; %bb.945:
	global_load_ushort v0, v[4:5], off
.LBB23_946:
	s_cbranch_execnz .LBB23_952
.LBB23_947:
	s_sext_i32_i16 s8, s74
	s_cmp_gt_i32 s8, 0
	s_cbranch_scc0 .LBB23_949
; %bb.948:
	global_load_ubyte v0, v[4:5], off
	s_mov_b64 s[8:9], 0
	s_branch .LBB23_950
.LBB23_949:
	s_mov_b64 s[8:9], -1
                                        ; implicit-def: $vgpr0
.LBB23_950:
	s_andn2_b64 vcc, exec, s[8:9]
	s_cbranch_vccnz .LBB23_952
; %bb.951:
	global_load_ubyte v0, v[4:5], off
.LBB23_952:
	s_or_b64 s[2:3], s[2:3], exec
.LBB23_953:
	s_or_b64 exec, exec, s[6:7]
	s_mov_b64 s[10:11], 0
	s_mov_b64 s[8:9], 0
                                        ; implicit-def: $sgpr16
                                        ; implicit-def: $vgpr4_vgpr5
                                        ; implicit-def: $vgpr1
	s_and_saveexec_b64 s[6:7], s[2:3]
	s_cbranch_execz .LBB23_961
; %bb.954:
	v_mov_b32_e32 v3, 0
	s_and_b32 s16, s73, 0xff
	s_waitcnt vmcnt(0)
	v_xor_b32_e32 v1, -1, v0
	s_cmp_lt_i32 s16, 11
	s_waitcnt lgkmcnt(0)
	v_lshl_add_u64 v[4:5], s[20:21], 0, v[2:3]
	s_cbranch_scc1 .LBB23_964
; %bb.955:
	s_and_b32 s17, 0xffff, s16
	s_mov_b64 s[10:11], -1
	s_cmp_gt_i32 s17, 25
	s_mov_b64 s[2:3], s[54:55]
	s_cbranch_scc0 .LBB23_992
; %bb.956:
	s_mov_b64 s[8:9], -1
	s_cmp_gt_i32 s17, 28
	s_mov_b64 s[2:3], s[54:55]
	s_cbranch_scc0 .LBB23_976
; %bb.957:
	s_cmp_gt_i32 s17, 43
	s_mov_b64 s[2:3], s[54:55]
	s_cbranch_scc0 .LBB23_972
; %bb.958:
	;; [unrolled: 4-line block ×3, first 2 shown]
	s_cmp_eq_u32 s17, 46
	s_mov_b64 s[2:3], -1
	s_cbranch_scc0 .LBB23_965
; %bb.960:
	v_bfe_i32 v2, v1, 0, 8
	v_cvt_f32_i32_sdwa v2, sext(v2) dst_sel:DWORD dst_unused:UNUSED_PAD src0_sel:WORD_0
	s_movk_i32 s2, 0x7fff
	s_mov_b64 s[8:9], 0
	v_bfe_u32 v3, v2, 16, 1
	v_add3_u32 v2, v2, v3, s2
	v_lshrrev_b32_e32 v2, 16, v2
	global_store_dword v[4:5], v2, off
	s_mov_b64 s[2:3], 0
	s_branch .LBB23_966
.LBB23_961:
	s_or_b64 exec, exec, s[6:7]
	s_and_saveexec_b64 s[2:3], s[54:55]
	s_cbranch_execnz .LBB23_1034
.LBB23_962:
	s_or_b64 exec, exec, s[2:3]
	s_and_saveexec_b64 s[2:3], s[10:11]
	s_xor_b64 s[2:3], exec, s[2:3]
	s_cbranch_execz .LBB23_1035
.LBB23_963:
	s_movk_i32 s6, 0xff
	s_waitcnt vmcnt(0)
	v_cmp_ne_u16_sdwa s[6:7], v0, s6 src0_sel:BYTE_0 src1_sel:DWORD
	s_nop 1
	v_cndmask_b32_e64 v0, 0, 1, s[6:7]
	global_store_byte v[4:5], v0, off
	s_or_b64 exec, exec, s[2:3]
	s_and_saveexec_b64 s[2:3], s[8:9]
	s_xor_b64 s[2:3], exec, s[2:3]
	s_cbranch_execz .LBB23_1073
	s_branch .LBB23_1036
.LBB23_964:
	s_mov_b64 s[8:9], -1
	s_mov_b64 s[2:3], s[54:55]
	s_branch .LBB23_1033
.LBB23_965:
	s_mov_b64 s[8:9], 0
.LBB23_966:
	s_and_b64 vcc, exec, s[8:9]
	s_cbranch_vccz .LBB23_971
; %bb.967:
	s_cmp_eq_u32 s17, 44
	s_mov_b64 s[2:3], -1
	s_cbranch_scc0 .LBB23_971
; %bb.968:
	v_bfe_i32 v2, v1, 0, 8
	v_cvt_f32_i32_sdwa v2, sext(v2) dst_sel:DWORD dst_unused:UNUSED_PAD src0_sel:WORD_0
	s_movk_i32 s2, 0xff
	v_mov_b32_e32 v6, 0xff
	v_bfe_u32 v3, v2, 23, 8
	v_cmp_ne_u32_e32 vcc, s2, v3
	s_and_saveexec_b64 s[8:9], vcc
; %bb.969:
	s_mov_b32 s2, 0x3fffff
	v_lshrrev_b32_e32 v6, 23, v2
	v_and_b32_e32 v7, 0x400000, v2
	v_and_or_b32 v2, v2, s2, v3
	v_cmp_ne_u32_e32 vcc, 0, v7
	v_cmp_ne_u32_e64 s[2:3], 0, v2
	s_and_b64 s[2:3], vcc, s[2:3]
	s_nop 0
	v_cndmask_b32_e64 v2, 0, 1, s[2:3]
	v_add_u32_e32 v6, v6, v2
; %bb.970:
	s_or_b64 exec, exec, s[8:9]
	s_mov_b64 s[2:3], 0
	global_store_byte v[4:5], v6, off
.LBB23_971:
	s_mov_b64 s[8:9], 0
.LBB23_972:
	s_and_b64 vcc, exec, s[8:9]
	s_cbranch_vccz .LBB23_975
; %bb.973:
	s_cmp_eq_u32 s17, 29
	s_mov_b64 s[2:3], -1
	s_cbranch_scc0 .LBB23_975
; %bb.974:
	v_bfe_i32 v2, v1, 0, 8
	v_ashrrev_i32_e32 v3, 31, v2
	global_store_dwordx2 v[4:5], v[2:3], off
	s_mov_b64 s[2:3], 0
.LBB23_975:
	s_mov_b64 s[8:9], 0
.LBB23_976:
	s_and_b64 vcc, exec, s[8:9]
	s_cbranch_vccz .LBB23_991
; %bb.977:
	s_cmp_lt_i32 s17, 27
	s_mov_b64 s[8:9], -1
	s_cbranch_scc1 .LBB23_983
; %bb.978:
	s_cmp_gt_i32 s17, 27
	s_cbranch_scc0 .LBB23_980
; %bb.979:
	v_bfe_i32 v2, v1, 0, 8
	s_mov_b64 s[8:9], 0
	global_store_dword v[4:5], v2, off
.LBB23_980:
	s_andn2_b64 vcc, exec, s[8:9]
	s_cbranch_vccnz .LBB23_982
; %bb.981:
	v_bfe_i32 v2, v1, 0, 8
	global_store_short v[4:5], v2, off
.LBB23_982:
	s_mov_b64 s[8:9], 0
.LBB23_983:
	s_andn2_b64 vcc, exec, s[8:9]
	s_cbranch_vccnz .LBB23_991
; %bb.984:
	v_bfe_i32 v2, v1, 0, 8
	v_cvt_f32_i32_sdwa v2, sext(v2) dst_sel:DWORD dst_unused:UNUSED_PAD src0_sel:WORD_0
	s_mov_b32 s8, 0x43800000
	v_mov_b32_e32 v6, 0x80
	v_and_b32_e32 v3, 0x7fffffff, v2
	v_cmp_gt_u32_e32 vcc, s8, v3
	s_and_saveexec_b64 s[8:9], vcc
	s_cbranch_execz .LBB23_990
; %bb.985:
	s_mov_b32 s10, 0x3bffffff
	v_cmp_lt_u32_e32 vcc, s10, v3
	s_mov_b64 s[10:11], 0
                                        ; implicit-def: $vgpr3
	s_and_saveexec_b64 s[12:13], vcc
	s_xor_b64 s[12:13], exec, s[12:13]
	s_cbranch_execz .LBB23_1144
; %bb.986:
	v_bfe_u32 v3, v2, 20, 1
	s_mov_b32 s14, 0x487ffff
	v_add3_u32 v3, v2, v3, s14
	s_mov_b64 s[10:11], exec
	v_lshrrev_b32_e32 v3, 20, v3
	s_andn2_saveexec_b64 s[12:13], s[12:13]
	s_cbranch_execnz .LBB23_1145
.LBB23_987:
	s_or_b64 exec, exec, s[12:13]
	v_mov_b32_e32 v6, 0
	s_and_saveexec_b64 s[12:13], s[10:11]
.LBB23_988:
	v_lshrrev_b32_e32 v2, 24, v2
	s_movk_i32 s10, 0x80
	v_and_or_b32 v6, v2, s10, v3
.LBB23_989:
	s_or_b64 exec, exec, s[12:13]
.LBB23_990:
	s_or_b64 exec, exec, s[8:9]
	global_store_byte v[4:5], v6, off
.LBB23_991:
	s_mov_b64 s[10:11], 0
.LBB23_992:
	s_mov_b64 s[8:9], 0
	s_and_b64 vcc, exec, s[10:11]
	s_cbranch_vccz .LBB23_1032
; %bb.993:
	s_cmp_gt_i32 s17, 22
	s_mov_b64 s[10:11], -1
	s_cbranch_scc0 .LBB23_1025
; %bb.994:
	s_cmp_lt_i32 s17, 24
	s_cbranch_scc1 .LBB23_1014
; %bb.995:
	s_cmp_gt_i32 s17, 24
	s_cbranch_scc0 .LBB23_1003
; %bb.996:
	v_bfe_i32 v2, v1, 0, 8
	v_cvt_f32_i32_sdwa v2, sext(v2) dst_sel:DWORD dst_unused:UNUSED_PAD src0_sel:WORD_0
	s_mov_b32 s10, 0x47800000
	v_mov_b32_e32 v6, 0x80
	v_and_b32_e32 v3, 0x7fffffff, v2
	v_cmp_gt_u32_e32 vcc, s10, v3
	s_and_saveexec_b64 s[10:11], vcc
	s_cbranch_execz .LBB23_1002
; %bb.997:
	s_mov_b32 s12, 0x37ffffff
	v_cmp_lt_u32_e32 vcc, s12, v3
	s_mov_b64 s[12:13], 0
                                        ; implicit-def: $vgpr3
	s_and_saveexec_b64 s[14:15], vcc
	s_xor_b64 s[14:15], exec, s[14:15]
	s_cbranch_execz .LBB23_1264
; %bb.998:
	v_bfe_u32 v3, v2, 21, 1
	s_mov_b32 s18, 0x88fffff
	v_add3_u32 v3, v2, v3, s18
	s_mov_b64 s[12:13], exec
	v_lshrrev_b32_e32 v3, 21, v3
	s_andn2_saveexec_b64 s[14:15], s[14:15]
	s_cbranch_execnz .LBB23_1265
.LBB23_999:
	s_or_b64 exec, exec, s[14:15]
	v_mov_b32_e32 v6, 0
	s_and_saveexec_b64 s[14:15], s[12:13]
.LBB23_1000:
	v_lshrrev_b32_e32 v2, 24, v2
	s_movk_i32 s12, 0x80
	v_and_or_b32 v6, v2, s12, v3
.LBB23_1001:
	s_or_b64 exec, exec, s[14:15]
.LBB23_1002:
	s_or_b64 exec, exec, s[10:11]
	s_mov_b64 s[10:11], 0
	global_store_byte v[4:5], v6, off
.LBB23_1003:
	s_and_b64 vcc, exec, s[10:11]
	s_cbranch_vccz .LBB23_1013
; %bb.1004:
	v_bfe_i32 v2, v1, 0, 8
	v_cvt_f32_i32_sdwa v2, sext(v2) dst_sel:DWORD dst_unused:UNUSED_PAD src0_sel:WORD_0
	s_mov_b32 s10, 0x43f00000
                                        ; implicit-def: $vgpr3
	v_and_b32_e32 v6, 0x7fffffff, v2
	v_cmp_gt_u32_e32 vcc, s10, v6
	s_and_saveexec_b64 s[10:11], vcc
	s_xor_b64 s[10:11], exec, s[10:11]
	s_cbranch_execz .LBB23_1010
; %bb.1005:
	s_mov_b32 s12, 0x3c7fffff
	v_cmp_lt_u32_e32 vcc, s12, v6
                                        ; implicit-def: $vgpr3
	s_and_saveexec_b64 s[12:13], vcc
	s_xor_b64 s[12:13], exec, s[12:13]
; %bb.1006:
	v_bfe_u32 v3, v2, 20, 1
	s_mov_b32 s14, 0x407ffff
	v_add3_u32 v3, v2, v3, s14
	v_lshrrev_b32_e32 v6, 20, v3
	v_and_b32_e32 v3, 0xff00000, v3
	s_mov_b32 s14, 0x7f00000
	v_mov_b32_e32 v7, 0x7e
	v_cmp_ne_u32_e32 vcc, s14, v3
	s_nop 1
	v_cndmask_b32_e32 v3, v7, v6, vcc
; %bb.1007:
	s_andn2_saveexec_b64 s[12:13], s[12:13]
; %bb.1008:
	s_mov_b32 s14, 0x46800000
	v_add_f32_e64 v3, |v2|, s14
; %bb.1009:
	s_or_b64 exec, exec, s[12:13]
                                        ; implicit-def: $vgpr6
.LBB23_1010:
	s_andn2_saveexec_b64 s[10:11], s[10:11]
; %bb.1011:
	s_mov_b32 s12, 0x7f800000
	v_mov_b32_e32 v3, 0x7e
	v_mov_b32_e32 v7, 0x7f
	v_cmp_lt_u32_e32 vcc, s12, v6
	s_nop 1
	v_cndmask_b32_e32 v3, v3, v7, vcc
; %bb.1012:
	s_or_b64 exec, exec, s[10:11]
	v_lshrrev_b32_e32 v2, 24, v2
	s_movk_i32 s10, 0x80
	v_and_or_b32 v2, v2, s10, v3
	global_store_byte v[4:5], v2, off
.LBB23_1013:
	s_mov_b64 s[10:11], 0
.LBB23_1014:
	s_andn2_b64 vcc, exec, s[10:11]
	s_cbranch_vccnz .LBB23_1024
; %bb.1015:
	v_bfe_i32 v2, v1, 0, 8
	v_cvt_f32_i32_sdwa v2, sext(v2) dst_sel:DWORD dst_unused:UNUSED_PAD src0_sel:WORD_0
	s_mov_b32 s10, 0x47800000
                                        ; implicit-def: $vgpr3
	v_and_b32_e32 v6, 0x7fffffff, v2
	v_cmp_gt_u32_e32 vcc, s10, v6
	s_and_saveexec_b64 s[10:11], vcc
	s_xor_b64 s[10:11], exec, s[10:11]
	s_cbranch_execz .LBB23_1021
; %bb.1016:
	s_mov_b32 s12, 0x387fffff
	v_cmp_lt_u32_e32 vcc, s12, v6
                                        ; implicit-def: $vgpr3
	s_and_saveexec_b64 s[12:13], vcc
	s_xor_b64 s[12:13], exec, s[12:13]
; %bb.1017:
	v_bfe_u32 v3, v2, 21, 1
	s_mov_b32 s14, 0x80fffff
	v_add3_u32 v3, v2, v3, s14
	v_lshrrev_b32_e32 v3, 21, v3
; %bb.1018:
	s_andn2_saveexec_b64 s[12:13], s[12:13]
; %bb.1019:
	s_mov_b32 s14, 0x43000000
	v_add_f32_e64 v3, |v2|, s14
; %bb.1020:
	s_or_b64 exec, exec, s[12:13]
                                        ; implicit-def: $vgpr6
.LBB23_1021:
	s_andn2_saveexec_b64 s[10:11], s[10:11]
; %bb.1022:
	s_mov_b32 s12, 0x7f800000
	v_mov_b32_e32 v3, 0x7c
	v_mov_b32_e32 v7, 0x7f
	v_cmp_lt_u32_e32 vcc, s12, v6
	s_nop 1
	v_cndmask_b32_e32 v3, v3, v7, vcc
; %bb.1023:
	s_or_b64 exec, exec, s[10:11]
	v_lshrrev_b32_e32 v2, 24, v2
	s_movk_i32 s10, 0x80
	v_and_or_b32 v2, v2, s10, v3
	global_store_byte v[4:5], v2, off
.LBB23_1024:
	s_mov_b64 s[10:11], 0
.LBB23_1025:
	s_andn2_b64 vcc, exec, s[10:11]
	s_mov_b64 s[10:11], 0
	s_cbranch_vccnz .LBB23_1033
; %bb.1026:
	s_cmp_gt_i32 s17, 14
	s_mov_b64 s[12:13], -1
	s_cbranch_scc0 .LBB23_1030
; %bb.1027:
	s_cmp_eq_u32 s17, 15
	s_mov_b64 s[2:3], -1
	s_cbranch_scc0 .LBB23_1029
; %bb.1028:
	v_bfe_i32 v2, v1, 0, 8
	v_cvt_f32_i32_sdwa v2, sext(v2) dst_sel:DWORD dst_unused:UNUSED_PAD src0_sel:WORD_0
	s_movk_i32 s2, 0x7fff
	v_bfe_u32 v3, v2, 16, 1
	v_add3_u32 v2, v2, v3, s2
	global_store_short_d16_hi v[4:5], v2, off
	s_mov_b64 s[2:3], 0
.LBB23_1029:
	s_mov_b64 s[12:13], 0
.LBB23_1030:
	s_and_b64 vcc, exec, s[12:13]
	s_cbranch_vccz .LBB23_1033
; %bb.1031:
	s_cmp_lg_u32 s17, 11
	s_cselect_b64 s[12:13], -1, 0
	s_andn2_b64 s[2:3], s[2:3], exec
	s_and_b64 s[12:13], s[12:13], exec
	s_mov_b64 s[10:11], -1
	s_or_b64 s[2:3], s[2:3], s[12:13]
	s_branch .LBB23_1033
.LBB23_1032:
	s_mov_b64 s[10:11], 0
.LBB23_1033:
	s_andn2_b64 s[12:13], s[54:55], exec
	s_and_b64 s[2:3], s[2:3], exec
	s_and_b64 s[8:9], s[8:9], exec
	;; [unrolled: 1-line block ×3, first 2 shown]
	s_or_b64 s[54:55], s[12:13], s[2:3]
	s_or_b64 exec, exec, s[6:7]
	s_and_saveexec_b64 s[2:3], s[54:55]
	s_cbranch_execz .LBB23_962
.LBB23_1034:
	s_or_b64 s[4:5], s[4:5], exec
	s_andn2_b64 s[10:11], s[10:11], exec
	s_trap 2
	s_or_b64 exec, exec, s[2:3]
	s_and_saveexec_b64 s[2:3], s[10:11]
	s_xor_b64 s[2:3], exec, s[2:3]
	s_cbranch_execnz .LBB23_963
.LBB23_1035:
	s_or_b64 exec, exec, s[2:3]
	s_and_saveexec_b64 s[2:3], s[8:9]
	s_xor_b64 s[2:3], exec, s[2:3]
	s_cbranch_execz .LBB23_1073
.LBB23_1036:
	s_sext_i32_i16 s8, s16
	s_cmp_lt_i32 s8, 5
	s_mov_b64 s[6:7], -1
	s_cbranch_scc1 .LBB23_1057
; %bb.1037:
	s_cmp_lt_i32 s8, 8
	s_cbranch_scc1 .LBB23_1047
; %bb.1038:
	s_cmp_lt_i32 s8, 9
	s_cbranch_scc1 .LBB23_1044
; %bb.1039:
	s_cmp_gt_i32 s8, 9
	s_cbranch_scc0 .LBB23_1041
; %bb.1040:
	s_waitcnt vmcnt(0)
	v_bfe_i32 v0, v1, 0, 8
	v_bfe_i32 v0, v0, 0, 16
	v_mov_b32_e32 v8, 0
	v_cvt_f64_i32_e32 v[6:7], v0
	v_mov_b32_e32 v9, v8
	s_mov_b64 s[6:7], 0
	global_store_dwordx4 v[4:5], v[6:9], off
.LBB23_1041:
	s_andn2_b64 vcc, exec, s[6:7]
	s_cbranch_vccnz .LBB23_1043
; %bb.1042:
	s_waitcnt vmcnt(0)
	v_bfe_i32 v0, v1, 0, 8
	v_cvt_f32_i32_sdwa v2, sext(v0) dst_sel:DWORD dst_unused:UNUSED_PAD src0_sel:WORD_0
	v_mov_b32_e32 v3, 0
	global_store_dwordx2 v[4:5], v[2:3], off
.LBB23_1043:
	s_mov_b64 s[6:7], 0
.LBB23_1044:
	s_andn2_b64 vcc, exec, s[6:7]
	s_cbranch_vccnz .LBB23_1046
; %bb.1045:
	s_waitcnt vmcnt(0)
	v_cvt_f16_i16_sdwa v0, sext(v1) dst_sel:DWORD dst_unused:UNUSED_PAD src0_sel:BYTE_0
	global_store_dword v[4:5], v0, off
.LBB23_1046:
	s_mov_b64 s[6:7], 0
.LBB23_1047:
	s_andn2_b64 vcc, exec, s[6:7]
	s_cbranch_vccnz .LBB23_1056
; %bb.1048:
	s_sext_i32_i16 s8, s16
	s_cmp_lt_i32 s8, 6
	s_mov_b64 s[6:7], -1
	s_cbranch_scc1 .LBB23_1054
; %bb.1049:
	s_cmp_gt_i32 s8, 6
	s_cbranch_scc0 .LBB23_1051
; %bb.1050:
	s_waitcnt vmcnt(0)
	v_bfe_i32 v0, v1, 0, 8
	v_bfe_i32 v0, v0, 0, 16
	v_cvt_f64_i32_e32 v[2:3], v0
	s_mov_b64 s[6:7], 0
	global_store_dwordx2 v[4:5], v[2:3], off
.LBB23_1051:
	s_andn2_b64 vcc, exec, s[6:7]
	s_cbranch_vccnz .LBB23_1053
; %bb.1052:
	s_waitcnt vmcnt(0)
	v_bfe_i32 v0, v1, 0, 8
	v_cvt_f32_i32_sdwa v0, sext(v0) dst_sel:DWORD dst_unused:UNUSED_PAD src0_sel:WORD_0
	global_store_dword v[4:5], v0, off
.LBB23_1053:
	s_mov_b64 s[6:7], 0
.LBB23_1054:
	s_andn2_b64 vcc, exec, s[6:7]
	s_cbranch_vccnz .LBB23_1056
; %bb.1055:
	s_waitcnt vmcnt(0)
	v_cvt_f16_i16_sdwa v0, sext(v1) dst_sel:DWORD dst_unused:UNUSED_PAD src0_sel:BYTE_0
	global_store_short v[4:5], v0, off
.LBB23_1056:
	s_mov_b64 s[6:7], 0
.LBB23_1057:
	s_andn2_b64 vcc, exec, s[6:7]
	s_cbranch_vccnz .LBB23_1073
; %bb.1058:
	s_sext_i32_i16 s8, s16
	s_cmp_lt_i32 s8, 2
	s_mov_b64 s[6:7], -1
	s_cbranch_scc1 .LBB23_1068
; %bb.1059:
	s_cmp_lt_i32 s8, 3
	s_cbranch_scc1 .LBB23_1065
; %bb.1060:
	s_cmp_gt_i32 s8, 3
	s_cbranch_scc0 .LBB23_1062
; %bb.1061:
	s_waitcnt vmcnt(0)
	v_bfe_i32 v2, v1, 0, 8
	v_ashrrev_i32_e32 v3, 31, v2
	s_mov_b64 s[6:7], 0
	global_store_dwordx2 v[4:5], v[2:3], off
.LBB23_1062:
	s_andn2_b64 vcc, exec, s[6:7]
	s_cbranch_vccnz .LBB23_1064
; %bb.1063:
	s_waitcnt vmcnt(0)
	v_bfe_i32 v0, v1, 0, 8
	global_store_dword v[4:5], v0, off
.LBB23_1064:
	s_mov_b64 s[6:7], 0
.LBB23_1065:
	s_andn2_b64 vcc, exec, s[6:7]
	s_cbranch_vccnz .LBB23_1067
; %bb.1066:
	s_waitcnt vmcnt(0)
	v_bfe_i32 v0, v1, 0, 8
	global_store_short v[4:5], v0, off
.LBB23_1067:
	s_mov_b64 s[6:7], 0
.LBB23_1068:
	s_andn2_b64 vcc, exec, s[6:7]
	s_cbranch_vccnz .LBB23_1073
; %bb.1069:
	s_sext_i32_i16 s6, s16
	s_cmp_gt_i32 s6, 0
	s_mov_b64 s[6:7], -1
	s_cbranch_scc0 .LBB23_1071
; %bb.1070:
	s_mov_b64 s[6:7], 0
	s_waitcnt vmcnt(0)
	global_store_byte v[4:5], v1, off
.LBB23_1071:
	s_andn2_b64 vcc, exec, s[6:7]
	s_cbranch_vccnz .LBB23_1073
; %bb.1072:
	s_waitcnt vmcnt(0)
	global_store_byte v[4:5], v1, off
.LBB23_1073:
	s_or_b64 exec, exec, s[2:3]
	s_waitcnt lgkmcnt(0)
	s_and_b64 s[24:25], s[4:5], exec
                                        ; implicit-def: $vgpr16
                                        ; implicit-def: $vgpr9
.LBB23_1074:
	s_or_saveexec_b64 s[26:27], s[44:45]
	s_mov_b64 s[6:7], 0
                                        ; implicit-def: $vgpr0_vgpr1
                                        ; implicit-def: $sgpr14
                                        ; implicit-def: $vgpr2
                                        ; implicit-def: $vgpr8
	s_xor_b64 exec, exec, s[26:27]
	s_cbranch_execz .LBB23_1515
; %bb.1075:
	s_waitcnt vmcnt(0)
	v_cndmask_b32_e64 v0, 0, 1, s[42:43]
	v_cmp_ne_u32_e64 s[2:3], 1, v0
	s_andn2_b64 vcc, exec, s[42:43]
	s_cbranch_vccnz .LBB23_1081
; %bb.1076:
	s_cmp_lg_u32 s33, 0
	s_mov_b32 s36, 0
	s_cbranch_scc0 .LBB23_1082
; %bb.1077:
	s_min_u32 s37, s72, 15
	s_add_i32 s37, s37, 1
	s_cmp_eq_u32 s72, 2
	s_cbranch_scc1 .LBB23_1083
; %bb.1078:
	s_and_b32 s36, s37, 28
	s_add_u32 s28, s34, 0xc4
	s_addc_u32 s29, s35, 0
	s_mov_b32 s38, 0
	v_mov_b32_e32 v6, 0
	v_mov_b32_e32 v14, 0
	s_mov_b64 s[30:31], s[34:35]
	v_mov_b32_e32 v0, v9
.LBB23_1079:                            ; =>This Inner Loop Header: Depth=1
	s_load_dwordx8 s[12:19], s[30:31], 0x4
	s_load_dwordx4 s[20:23], s[30:31], 0x24
	s_load_dwordx8 s[4:11], s[28:29], 0x0
	s_add_u32 s30, s30, 48
	s_addc_u32 s31, s31, 0
	s_waitcnt lgkmcnt(0)
	v_mul_hi_u32 v1, s13, v0
	v_add_u32_e32 v1, v0, v1
	v_lshrrev_b32_e32 v1, s14, v1
	v_mul_lo_u32 v2, v1, s12
	v_mul_hi_u32 v3, s16, v1
	v_sub_u32_e32 v0, v0, v2
	v_add_u32_e32 v2, v1, v3
	v_lshrrev_b32_e32 v2, s17, v2
	v_mul_lo_u32 v4, v2, s15
	v_mul_hi_u32 v5, s19, v2
	v_sub_u32_e32 v1, v1, v4
	v_add_u32_e32 v4, v2, v5
	v_mul_lo_u32 v3, v0, s5
	v_mul_lo_u32 v0, v0, s4
	;; [unrolled: 1-line block ×4, first 2 shown]
	v_lshrrev_b32_e32 v4, s20, v4
	v_add3_u32 v1, v0, v6, v1
	v_add3_u32 v3, v3, v14, v5
	v_mul_lo_u32 v0, v4, s18
	v_mul_hi_u32 v5, s22, v4
	v_sub_u32_e32 v0, v2, v0
	v_add_u32_e32 v2, v4, v5
	v_mul_lo_u32 v5, v0, s8
	v_mul_lo_u32 v6, v0, s9
	v_lshrrev_b32_e32 v0, s23, v2
	s_add_i32 s38, s38, 4
	v_mul_lo_u32 v2, v0, s21
	s_add_u32 s28, s28, 32
	v_sub_u32_e32 v2, v4, v2
	s_addc_u32 s29, s29, 0
	v_mul_lo_u32 v4, v2, s10
	v_mul_lo_u32 v2, v2, s11
	s_cmp_lg_u32 s36, s38
	v_add3_u32 v14, v6, v3, v2
	v_add3_u32 v6, v5, v1, v4
	s_cbranch_scc1 .LBB23_1079
; %bb.1080:
	v_mov_b32_e32 v1, v14
	s_and_b32 s8, s37, 3
	s_cmp_eq_u32 s8, 0
	s_cbranch_scc0 .LBB23_1084
	s_branch .LBB23_1086
.LBB23_1081:
                                        ; implicit-def: $vgpr14
                                        ; implicit-def: $vgpr6
	s_branch .LBB23_1087
.LBB23_1082:
	v_mov_b32_e32 v14, 0
	v_mov_b32_e32 v6, 0
	s_branch .LBB23_1086
.LBB23_1083:
	v_mov_b32_e32 v6, 0
                                        ; implicit-def: $vgpr14
	v_mov_b32_e32 v1, v6
	v_mov_b32_e32 v0, v9
	s_and_b32 s8, s37, 3
	s_cmp_eq_u32 s8, 0
	s_cbranch_scc1 .LBB23_1086
.LBB23_1084:
	s_lshl_b32 s4, s36, 3
	s_add_u32 s4, s34, s4
	s_addc_u32 s5, s35, 0
	s_add_u32 s4, s4, 0xc4
	s_addc_u32 s5, s5, 0
	s_mul_i32 s6, s36, 12
	s_add_u32 s6, s34, s6
	s_addc_u32 s7, s35, 0
.LBB23_1085:                            ; =>This Inner Loop Header: Depth=1
	s_load_dwordx2 s[10:11], s[6:7], 0x4
	s_load_dword s9, s[6:7], 0xc
	s_load_dwordx2 s[12:13], s[4:5], 0x0
	v_mov_b32_e32 v2, v1
	s_add_u32 s6, s6, 12
	s_waitcnt lgkmcnt(0)
	v_mul_hi_u32 v1, s11, v0
	v_add_u32_e32 v1, v0, v1
	v_lshrrev_b32_e32 v1, s9, v1
	s_addc_u32 s7, s7, 0
	v_mul_lo_u32 v3, v1, s10
	s_add_u32 s4, s4, 8
	v_sub_u32_e32 v3, v0, v3
	s_addc_u32 s5, s5, 0
	s_add_i32 s8, s8, -1
	v_mad_u64_u32 v[14:15], s[10:11], v3, s13, v[2:3]
	s_cmp_lg_u32 s8, 0
	v_mov_b32_e32 v0, v1
	v_mad_u64_u32 v[6:7], s[10:11], v3, s12, v[6:7]
	v_mov_b32_e32 v1, v14
	s_cbranch_scc1 .LBB23_1085
.LBB23_1086:
	s_cbranch_execnz .LBB23_1089
.LBB23_1087:
	s_load_dwordx4 s[4:7], s[34:35], 0x4
	s_load_dwordx2 s[8:9], s[34:35], 0xc4
	s_cmp_lt_u32 s33, 2
	s_waitcnt lgkmcnt(0)
	v_mul_hi_u32 v0, s5, v9
	v_add_u32_e32 v0, v9, v0
	v_lshrrev_b32_e32 v0, s6, v0
	v_mul_lo_u32 v1, v0, s4
	v_sub_u32_e32 v1, v9, v1
	v_mul_lo_u32 v14, v1, s9
	v_mul_lo_u32 v6, v1, s8
	s_cbranch_scc1 .LBB23_1089
; %bb.1088:
	s_load_dwordx4 s[4:7], s[34:35], 0x10
	s_load_dwordx2 s[8:9], s[34:35], 0xcc
	s_waitcnt lgkmcnt(0)
	v_mul_hi_u32 v1, s5, v0
	v_add_u32_e32 v1, v0, v1
	v_lshrrev_b32_e32 v1, s6, v1
	v_mul_lo_u32 v1, v1, s4
	v_sub_u32_e32 v0, v0, v1
	v_mad_u64_u32 v[6:7], s[4:5], v0, s8, v[6:7]
	v_mad_u64_u32 v[14:15], s[4:5], v0, s9, v[14:15]
.LBB23_1089:
	s_and_b64 vcc, exec, s[2:3]
	v_add_u32_e32 v0, 0x80, v9
	s_cbranch_vccnz .LBB23_1095
; %bb.1090:
	s_cmp_lg_u32 s33, 0
	s_mov_b32 s36, 0
	s_cbranch_scc0 .LBB23_1096
; %bb.1091:
	s_min_u32 s37, s72, 15
	s_add_i32 s37, s37, 1
	s_cmp_eq_u32 s72, 2
	s_cbranch_scc1 .LBB23_1097
; %bb.1092:
	s_and_b32 s36, s37, 28
	s_add_u32 s28, s34, 0xc4
	s_addc_u32 s29, s35, 0
	s_mov_b32 s38, 0
	v_mov_b32_e32 v4, 0
	v_mov_b32_e32 v12, 0
	s_mov_b64 s[30:31], s[34:35]
	v_mov_b32_e32 v2, v0
.LBB23_1093:                            ; =>This Inner Loop Header: Depth=1
	s_load_dwordx8 s[12:19], s[30:31], 0x4
	s_load_dwordx4 s[20:23], s[30:31], 0x24
	s_load_dwordx8 s[4:11], s[28:29], 0x0
	s_add_u32 s30, s30, 48
	s_addc_u32 s31, s31, 0
	s_waitcnt lgkmcnt(0)
	v_mul_hi_u32 v1, s13, v2
	v_add_u32_e32 v1, v2, v1
	v_lshrrev_b32_e32 v1, s14, v1
	v_mul_lo_u32 v3, v1, s12
	v_mul_hi_u32 v5, s16, v1
	v_sub_u32_e32 v2, v2, v3
	v_add_u32_e32 v3, v1, v5
	v_lshrrev_b32_e32 v3, s17, v3
	v_mul_lo_u32 v7, v3, s15
	v_mul_hi_u32 v8, s19, v3
	v_sub_u32_e32 v1, v1, v7
	v_add_u32_e32 v7, v3, v8
	v_mul_lo_u32 v5, v2, s5
	v_mul_lo_u32 v2, v2, s4
	;; [unrolled: 1-line block ×4, first 2 shown]
	v_lshrrev_b32_e32 v7, s20, v7
	v_add3_u32 v1, v2, v4, v1
	v_add3_u32 v4, v5, v12, v8
	v_mul_lo_u32 v2, v7, s18
	v_mul_hi_u32 v5, s22, v7
	v_sub_u32_e32 v2, v3, v2
	v_add_u32_e32 v3, v7, v5
	v_mul_lo_u32 v5, v2, s8
	v_mul_lo_u32 v8, v2, s9
	v_lshrrev_b32_e32 v2, s23, v3
	s_add_i32 s38, s38, 4
	v_mul_lo_u32 v3, v2, s21
	s_add_u32 s28, s28, 32
	v_sub_u32_e32 v3, v7, v3
	s_addc_u32 s29, s29, 0
	v_mul_lo_u32 v7, v3, s10
	v_mul_lo_u32 v3, v3, s11
	s_cmp_lg_u32 s36, s38
	v_add3_u32 v12, v8, v4, v3
	v_add3_u32 v4, v5, v1, v7
	s_cbranch_scc1 .LBB23_1093
; %bb.1094:
	v_mov_b32_e32 v1, v12
	s_and_b32 s8, s37, 3
	s_cmp_eq_u32 s8, 0
	s_cbranch_scc0 .LBB23_1098
	s_branch .LBB23_1100
.LBB23_1095:
                                        ; implicit-def: $vgpr12
                                        ; implicit-def: $vgpr4
	s_branch .LBB23_1101
.LBB23_1096:
	v_mov_b32_e32 v12, 0
	v_mov_b32_e32 v4, 0
	s_branch .LBB23_1100
.LBB23_1097:
	v_mov_b32_e32 v4, 0
                                        ; implicit-def: $vgpr12
	v_mov_b32_e32 v1, v4
	v_mov_b32_e32 v2, v0
	s_and_b32 s8, s37, 3
	s_cmp_eq_u32 s8, 0
	s_cbranch_scc1 .LBB23_1100
.LBB23_1098:
	s_lshl_b32 s4, s36, 3
	s_add_u32 s4, s34, s4
	s_addc_u32 s5, s35, 0
	s_add_u32 s4, s4, 0xc4
	s_addc_u32 s5, s5, 0
	s_mul_i32 s6, s36, 12
	s_add_u32 s6, s34, s6
	s_addc_u32 s7, s35, 0
.LBB23_1099:                            ; =>This Inner Loop Header: Depth=1
	s_load_dwordx2 s[10:11], s[6:7], 0x4
	s_load_dword s9, s[6:7], 0xc
	s_load_dwordx2 s[12:13], s[4:5], 0x0
	v_mov_b32_e32 v8, v1
	s_add_u32 s6, s6, 12
	s_waitcnt lgkmcnt(0)
	v_mul_hi_u32 v1, s11, v2
	v_add_u32_e32 v1, v2, v1
	v_lshrrev_b32_e32 v1, s9, v1
	s_addc_u32 s7, s7, 0
	v_mul_lo_u32 v3, v1, s10
	s_add_u32 s4, s4, 8
	v_sub_u32_e32 v3, v2, v3
	s_addc_u32 s5, s5, 0
	s_add_i32 s8, s8, -1
	v_mad_u64_u32 v[12:13], s[10:11], v3, s13, v[8:9]
	s_cmp_lg_u32 s8, 0
	v_mov_b32_e32 v2, v1
	v_mad_u64_u32 v[4:5], s[10:11], v3, s12, v[4:5]
	v_mov_b32_e32 v1, v12
	s_cbranch_scc1 .LBB23_1099
.LBB23_1100:
	s_cbranch_execnz .LBB23_1103
.LBB23_1101:
	s_load_dwordx4 s[4:7], s[34:35], 0x4
	s_load_dwordx2 s[8:9], s[34:35], 0xc4
	s_cmp_lt_u32 s33, 2
	s_waitcnt lgkmcnt(0)
	v_mul_hi_u32 v1, s5, v0
	v_add_u32_e32 v1, v0, v1
	v_lshrrev_b32_e32 v1, s6, v1
	v_mul_lo_u32 v2, v1, s4
	v_sub_u32_e32 v0, v0, v2
	v_mul_lo_u32 v12, v0, s9
	v_mul_lo_u32 v4, v0, s8
	s_cbranch_scc1 .LBB23_1103
; %bb.1102:
	s_load_dwordx4 s[4:7], s[34:35], 0x10
	s_load_dwordx2 s[8:9], s[34:35], 0xcc
	s_waitcnt lgkmcnt(0)
	v_mul_hi_u32 v0, s5, v1
	v_add_u32_e32 v0, v1, v0
	v_lshrrev_b32_e32 v0, s6, v0
	v_mul_lo_u32 v0, v0, s4
	v_sub_u32_e32 v0, v1, v0
	v_mad_u64_u32 v[4:5], s[4:5], v0, s8, v[4:5]
	v_mad_u64_u32 v[12:13], s[4:5], v0, s9, v[12:13]
.LBB23_1103:
	s_and_b64 vcc, exec, s[2:3]
	v_add_u32_e32 v0, 0x100, v9
	s_cbranch_vccnz .LBB23_1109
; %bb.1104:
	s_cmp_lg_u32 s33, 0
	s_mov_b32 s36, 0
	s_cbranch_scc0 .LBB23_1110
; %bb.1105:
	s_min_u32 s37, s72, 15
	s_add_i32 s37, s37, 1
	s_cmp_eq_u32 s72, 2
	s_cbranch_scc1 .LBB23_1111
; %bb.1106:
	s_and_b32 s36, s37, 28
	s_add_u32 s28, s34, 0xc4
	s_addc_u32 s29, s35, 0
	s_mov_b32 s38, 0
	v_mov_b32_e32 v2, 0
	v_mov_b32_e32 v10, 0
	s_mov_b64 s[30:31], s[34:35]
	v_mov_b32_e32 v5, v0
.LBB23_1107:                            ; =>This Inner Loop Header: Depth=1
	s_load_dwordx8 s[12:19], s[30:31], 0x4
	s_load_dwordx4 s[20:23], s[30:31], 0x24
	s_load_dwordx8 s[4:11], s[28:29], 0x0
	s_add_u32 s30, s30, 48
	s_addc_u32 s31, s31, 0
	s_waitcnt lgkmcnt(0)
	v_mul_hi_u32 v1, s13, v5
	v_add_u32_e32 v1, v5, v1
	v_lshrrev_b32_e32 v1, s14, v1
	v_mul_lo_u32 v3, v1, s12
	v_mul_hi_u32 v7, s16, v1
	v_sub_u32_e32 v3, v5, v3
	v_add_u32_e32 v5, v1, v7
	v_lshrrev_b32_e32 v5, s17, v5
	v_mul_lo_u32 v8, v5, s15
	v_mul_hi_u32 v9, s19, v5
	v_sub_u32_e32 v1, v1, v8
	v_add_u32_e32 v8, v5, v9
	v_mul_lo_u32 v7, v3, s5
	v_mul_lo_u32 v3, v3, s4
	;; [unrolled: 1-line block ×4, first 2 shown]
	v_lshrrev_b32_e32 v8, s20, v8
	v_add3_u32 v1, v3, v2, v1
	v_add3_u32 v2, v7, v10, v9
	v_mul_lo_u32 v3, v8, s18
	v_mul_hi_u32 v7, s22, v8
	v_sub_u32_e32 v3, v5, v3
	v_add_u32_e32 v5, v8, v7
	v_lshrrev_b32_e32 v5, s23, v5
	s_add_i32 s38, s38, 4
	v_mul_lo_u32 v9, v5, s21
	s_add_u32 s28, s28, 32
	v_sub_u32_e32 v8, v8, v9
	s_addc_u32 s29, s29, 0
	v_mul_lo_u32 v7, v3, s8
	v_mul_lo_u32 v3, v3, s9
	v_mul_lo_u32 v9, v8, s10
	v_mul_lo_u32 v8, v8, s11
	s_cmp_lg_u32 s36, s38
	v_add3_u32 v10, v3, v2, v8
	v_add3_u32 v2, v7, v1, v9
	s_cbranch_scc1 .LBB23_1107
; %bb.1108:
	v_mov_b32_e32 v1, v10
	s_and_b32 s8, s37, 3
	s_cmp_eq_u32 s8, 0
	s_cbranch_scc0 .LBB23_1112
	s_branch .LBB23_1114
.LBB23_1109:
                                        ; implicit-def: $vgpr10
                                        ; implicit-def: $vgpr2
	s_branch .LBB23_1115
.LBB23_1110:
	v_mov_b32_e32 v10, 0
	v_mov_b32_e32 v2, 0
	s_branch .LBB23_1114
.LBB23_1111:
	v_mov_b32_e32 v2, 0
                                        ; implicit-def: $vgpr10
	v_mov_b32_e32 v1, v2
	v_mov_b32_e32 v5, v0
	s_and_b32 s8, s37, 3
	s_cmp_eq_u32 s8, 0
	s_cbranch_scc1 .LBB23_1114
.LBB23_1112:
	s_lshl_b32 s4, s36, 3
	s_add_u32 s4, s34, s4
	s_addc_u32 s5, s35, 0
	s_add_u32 s4, s4, 0xc4
	s_addc_u32 s5, s5, 0
	s_mul_i32 s6, s36, 12
	s_add_u32 s6, s34, s6
	s_addc_u32 s7, s35, 0
.LBB23_1113:                            ; =>This Inner Loop Header: Depth=1
	s_load_dwordx2 s[10:11], s[6:7], 0x4
	s_load_dword s9, s[6:7], 0xc
	s_load_dwordx2 s[12:13], s[4:5], 0x0
	v_mov_b32_e32 v8, v1
	s_add_u32 s6, s6, 12
	s_waitcnt lgkmcnt(0)
	v_mul_hi_u32 v1, s11, v5
	v_add_u32_e32 v1, v5, v1
	v_lshrrev_b32_e32 v1, s9, v1
	s_addc_u32 s7, s7, 0
	v_mul_lo_u32 v3, v1, s10
	s_add_u32 s4, s4, 8
	v_sub_u32_e32 v3, v5, v3
	s_addc_u32 s5, s5, 0
	s_add_i32 s8, s8, -1
	v_mad_u64_u32 v[10:11], s[10:11], v3, s13, v[8:9]
	s_cmp_lg_u32 s8, 0
	v_mov_b32_e32 v5, v1
	v_mad_u64_u32 v[2:3], s[10:11], v3, s12, v[2:3]
	v_mov_b32_e32 v1, v10
	s_cbranch_scc1 .LBB23_1113
.LBB23_1114:
	s_cbranch_execnz .LBB23_1117
.LBB23_1115:
	s_load_dwordx4 s[4:7], s[34:35], 0x4
	s_load_dwordx2 s[8:9], s[34:35], 0xc4
	s_cmp_lt_u32 s33, 2
	s_waitcnt lgkmcnt(0)
	v_mul_hi_u32 v1, s5, v0
	v_add_u32_e32 v1, v0, v1
	v_lshrrev_b32_e32 v1, s6, v1
	v_mul_lo_u32 v2, v1, s4
	v_sub_u32_e32 v0, v0, v2
	v_mul_lo_u32 v10, v0, s9
	v_mul_lo_u32 v2, v0, s8
	s_cbranch_scc1 .LBB23_1117
; %bb.1116:
	s_load_dwordx4 s[4:7], s[34:35], 0x10
	s_load_dwordx2 s[8:9], s[34:35], 0xcc
	s_waitcnt lgkmcnt(0)
	v_mul_hi_u32 v0, s5, v1
	v_add_u32_e32 v0, v1, v0
	v_lshrrev_b32_e32 v0, s6, v0
	v_mul_lo_u32 v0, v0, s4
	v_sub_u32_e32 v0, v1, v0
	v_mad_u64_u32 v[2:3], s[4:5], v0, s8, v[2:3]
	v_mad_u64_u32 v[10:11], s[4:5], v0, s9, v[10:11]
.LBB23_1117:
	s_and_b64 vcc, exec, s[2:3]
	s_cbranch_vccnz .LBB23_1123
; %bb.1118:
	s_cmp_lg_u32 s33, 0
	s_mov_b32 s30, 0
	s_cbranch_scc0 .LBB23_1124
; %bb.1119:
	s_min_u32 s31, s72, 15
	s_add_i32 s31, s31, 1
	s_cmp_eq_u32 s72, 2
	s_cbranch_scc1 .LBB23_1125
; %bb.1120:
	s_and_b32 s30, s31, 28
	s_add_u32 s2, s34, 0xc4
	s_addc_u32 s3, s35, 0
	s_mov_b32 s36, 0
	v_mov_b32_e32 v0, 0
	v_mov_b32_e32 v8, 0
	s_mov_b64 s[28:29], s[34:35]
	v_mov_b32_e32 v3, v16
.LBB23_1121:                            ; =>This Inner Loop Header: Depth=1
	s_load_dwordx8 s[12:19], s[28:29], 0x4
	s_load_dwordx4 s[20:23], s[28:29], 0x24
	s_load_dwordx8 s[4:11], s[2:3], 0x0
	s_add_u32 s28, s28, 48
	s_addc_u32 s29, s29, 0
	s_waitcnt lgkmcnt(0)
	v_mul_hi_u32 v1, s13, v3
	v_add_u32_e32 v1, v3, v1
	v_lshrrev_b32_e32 v1, s14, v1
	v_mul_lo_u32 v5, v1, s12
	v_mul_hi_u32 v7, s16, v1
	v_sub_u32_e32 v3, v3, v5
	v_add_u32_e32 v5, v1, v7
	v_lshrrev_b32_e32 v5, s17, v5
	v_mul_lo_u32 v9, v5, s15
	v_mul_hi_u32 v11, s19, v5
	v_sub_u32_e32 v1, v1, v9
	v_add_u32_e32 v9, v5, v11
	v_mul_lo_u32 v7, v3, s5
	v_mul_lo_u32 v3, v3, s4
	;; [unrolled: 1-line block ×4, first 2 shown]
	v_lshrrev_b32_e32 v9, s20, v9
	v_add3_u32 v0, v3, v0, v1
	v_add3_u32 v1, v7, v8, v11
	v_mul_lo_u32 v3, v9, s18
	v_mul_hi_u32 v7, s22, v9
	v_sub_u32_e32 v3, v5, v3
	v_add_u32_e32 v5, v9, v7
	v_mul_lo_u32 v7, v3, s8
	v_mul_lo_u32 v8, v3, s9
	v_lshrrev_b32_e32 v3, s23, v5
	s_add_i32 s36, s36, 4
	v_mul_lo_u32 v5, v3, s21
	s_add_u32 s2, s2, 32
	v_sub_u32_e32 v5, v9, v5
	s_addc_u32 s3, s3, 0
	v_mul_lo_u32 v9, v5, s10
	v_mul_lo_u32 v5, v5, s11
	s_cmp_lg_u32 s30, s36
	v_add3_u32 v8, v8, v1, v5
	v_add3_u32 v0, v7, v0, v9
	s_cbranch_scc1 .LBB23_1121
; %bb.1122:
	v_mov_b32_e32 v1, v8
	s_and_b32 s6, s31, 3
	s_cmp_eq_u32 s6, 0
	s_cbranch_scc0 .LBB23_1126
	s_branch .LBB23_1128
.LBB23_1123:
                                        ; implicit-def: $vgpr8
                                        ; implicit-def: $vgpr0
	s_branch .LBB23_1129
.LBB23_1124:
	v_mov_b32_e32 v8, 0
	v_mov_b32_e32 v0, 0
	s_branch .LBB23_1128
.LBB23_1125:
	v_mov_b32_e32 v0, 0
                                        ; implicit-def: $vgpr8
	v_mov_b32_e32 v1, v0
	v_mov_b32_e32 v3, v16
	s_and_b32 s6, s31, 3
	s_cmp_eq_u32 s6, 0
	s_cbranch_scc1 .LBB23_1128
.LBB23_1126:
	s_lshl_b32 s2, s30, 3
	s_add_u32 s2, s34, s2
	s_addc_u32 s3, s35, 0
	s_add_u32 s2, s2, 0xc4
	s_addc_u32 s3, s3, 0
	s_mul_i32 s4, s30, 12
	s_add_u32 s4, s34, s4
	s_addc_u32 s5, s35, 0
.LBB23_1127:                            ; =>This Inner Loop Header: Depth=1
	s_load_dwordx2 s[8:9], s[4:5], 0x4
	s_load_dword s7, s[4:5], 0xc
	s_load_dwordx2 s[10:11], s[2:3], 0x0
	v_mov_b32_e32 v8, v1
	s_add_u32 s4, s4, 12
	s_waitcnt lgkmcnt(0)
	v_mul_hi_u32 v1, s9, v3
	v_add_u32_e32 v1, v3, v1
	v_lshrrev_b32_e32 v1, s7, v1
	s_addc_u32 s5, s5, 0
	v_mul_lo_u32 v5, v1, s8
	s_add_u32 s2, s2, 8
	v_sub_u32_e32 v5, v3, v5
	s_addc_u32 s3, s3, 0
	s_add_i32 s6, s6, -1
	v_mov_b32_e32 v3, v1
	v_mad_u64_u32 v[8:9], s[8:9], v5, s11, v[8:9]
	v_mad_u64_u32 v[0:1], s[8:9], v5, s10, v[0:1]
	s_cmp_lg_u32 s6, 0
	v_mov_b32_e32 v1, v8
	s_cbranch_scc1 .LBB23_1127
.LBB23_1128:
	s_cbranch_execnz .LBB23_1131
.LBB23_1129:
	s_load_dwordx4 s[4:7], s[34:35], 0x4
	s_load_dwordx2 s[2:3], s[34:35], 0xc4
	s_cmp_lt_u32 s33, 2
	s_waitcnt lgkmcnt(0)
	v_mul_hi_u32 v0, s5, v16
	v_add_u32_e32 v0, v16, v0
	v_lshrrev_b32_e32 v1, s6, v0
	v_mul_lo_u32 v0, v1, s4
	v_sub_u32_e32 v0, v16, v0
	v_mul_lo_u32 v8, v0, s3
	v_mul_lo_u32 v0, v0, s2
	s_cbranch_scc1 .LBB23_1131
; %bb.1130:
	s_load_dwordx4 s[4:7], s[34:35], 0x10
	s_load_dwordx2 s[2:3], s[34:35], 0xcc
	s_waitcnt lgkmcnt(0)
	v_mul_hi_u32 v3, s5, v1
	v_add_u32_e32 v3, v1, v3
	v_lshrrev_b32_e32 v3, s6, v3
	v_mul_lo_u32 v3, v3, s4
	v_sub_u32_e32 v3, v1, v3
	v_mad_u64_u32 v[0:1], s[4:5], v3, s2, v[0:1]
	v_mad_u64_u32 v[8:9], s[2:3], v3, s3, v[8:9]
.LBB23_1131:
	s_load_dword s14, s[0:1], 0x160
	s_load_dwordx4 s[4:7], s[34:35], 0x148
	v_mov_b32_e32 v15, 0
	s_waitcnt lgkmcnt(0)
	s_bfe_u32 s12, s14, 0x80010
	s_cmp_lt_i32 s12, 11
	v_lshl_add_u64 v[16:17], s[6:7], 0, v[14:15]
	s_cbranch_scc1 .LBB23_1138
; %bb.1132:
	s_and_b32 s13, 0xffff, s12
	s_cmp_gt_i32 s13, 25
	s_mov_b64 s[8:9], 0
	s_cbranch_scc0 .LBB23_1140
; %bb.1133:
	s_cmp_gt_i32 s13, 28
	s_cbranch_scc0 .LBB23_1141
; %bb.1134:
	s_cmp_gt_i32 s13, 43
	;; [unrolled: 3-line block ×3, first 2 shown]
	s_cbranch_scc0 .LBB23_1143
; %bb.1136:
	s_cmp_eq_u32 s13, 46
	s_mov_b64 s[2:3], 0
	s_cbranch_scc0 .LBB23_1146
; %bb.1137:
	global_load_dword v1, v[16:17], off
	s_mov_b64 s[0:1], 0
	s_mov_b64 s[10:11], -1
	s_waitcnt vmcnt(0)
	v_lshlrev_b32_e32 v1, 16, v1
	v_cvt_i32_f32_e32 v14, v1
	s_branch .LBB23_1147
.LBB23_1138:
	s_mov_b64 s[10:11], 0
                                        ; implicit-def: $vgpr14
	s_mov_b64 s[2:3], s[24:25]
	s_cbranch_execnz .LBB23_1205
.LBB23_1139:
	s_andn2_b64 vcc, exec, s[10:11]
	s_cbranch_vccz .LBB23_1250
	s_branch .LBB23_1512
.LBB23_1140:
	s_mov_b64 s[10:11], 0
	s_mov_b64 s[0:1], 0
                                        ; implicit-def: $vgpr14
	s_cbranch_execnz .LBB23_1172
	s_branch .LBB23_1201
.LBB23_1141:
	s_mov_b64 s[10:11], 0
	s_mov_b64 s[0:1], 0
                                        ; implicit-def: $vgpr14
	s_cbranch_execz .LBB23_1171
	s_branch .LBB23_1156
.LBB23_1142:
	s_mov_b64 s[10:11], 0
	s_mov_b64 s[0:1], 0
                                        ; implicit-def: $vgpr14
	s_cbranch_execnz .LBB23_1152
	s_branch .LBB23_1155
.LBB23_1143:
	s_mov_b64 s[2:3], -1
	s_mov_b64 s[10:11], 0
	s_mov_b64 s[0:1], 0
                                        ; implicit-def: $vgpr14
	s_branch .LBB23_1147
.LBB23_1144:
	s_andn2_saveexec_b64 s[12:13], s[12:13]
	s_cbranch_execz .LBB23_987
.LBB23_1145:
	s_mov_b32 s14, 0x46000000
	v_add_f32_e64 v3, |v2|, s14
	v_and_b32_e32 v3, 0xff, v3
	v_cmp_ne_u32_e32 vcc, 0, v3
	s_andn2_b64 s[10:11], s[10:11], exec
	s_and_b64 s[14:15], vcc, exec
	s_or_b64 s[10:11], s[10:11], s[14:15]
	s_or_b64 exec, exec, s[12:13]
	v_mov_b32_e32 v6, 0
	s_and_saveexec_b64 s[12:13], s[10:11]
	s_cbranch_execnz .LBB23_988
	s_branch .LBB23_989
.LBB23_1146:
	s_mov_b64 s[0:1], -1
                                        ; implicit-def: $vgpr14
	s_mov_b64 s[10:11], 0
.LBB23_1147:
	s_and_b64 vcc, exec, s[2:3]
	s_cbranch_vccz .LBB23_1150
; %bb.1148:
	s_cmp_eq_u32 s13, 44
	s_cbranch_scc0 .LBB23_1151
; %bb.1149:
	global_load_ubyte v1, v[16:17], off
	s_mov_b64 s[0:1], 0
	s_mov_b64 s[10:11], -1
	s_waitcnt vmcnt(0)
	v_lshlrev_b32_e32 v3, 23, v1
	v_cvt_i32_f32_e32 v3, v3
	v_cmp_ne_u32_e32 vcc, 0, v1
	s_nop 1
	v_cndmask_b32_e32 v14, 0, v3, vcc
.LBB23_1150:
	s_branch .LBB23_1155
.LBB23_1151:
	s_mov_b64 s[0:1], -1
                                        ; implicit-def: $vgpr14
	s_branch .LBB23_1155
.LBB23_1152:
	s_cmp_eq_u32 s13, 29
	s_cbranch_scc0 .LBB23_1154
; %bb.1153:
	global_load_dwordx2 v[14:15], v[16:17], off
	s_mov_b64 s[0:1], 0
	s_mov_b64 s[10:11], -1
	s_branch .LBB23_1155
.LBB23_1154:
	s_mov_b64 s[0:1], -1
                                        ; implicit-def: $vgpr14
.LBB23_1155:
	s_branch .LBB23_1171
.LBB23_1156:
	s_cmp_lt_i32 s13, 27
	s_cbranch_scc1 .LBB23_1159
; %bb.1157:
	s_cmp_gt_i32 s13, 27
	s_cbranch_scc0 .LBB23_1160
; %bb.1158:
	global_load_dword v14, v[16:17], off
	s_mov_b64 s[2:3], 0
	s_branch .LBB23_1161
.LBB23_1159:
	s_mov_b64 s[2:3], -1
                                        ; implicit-def: $vgpr14
	s_branch .LBB23_1164
.LBB23_1160:
	s_mov_b64 s[2:3], -1
                                        ; implicit-def: $vgpr14
.LBB23_1161:
	s_andn2_b64 vcc, exec, s[2:3]
	s_cbranch_vccnz .LBB23_1163
; %bb.1162:
	global_load_ushort v14, v[16:17], off
.LBB23_1163:
	s_mov_b64 s[2:3], 0
.LBB23_1164:
	s_andn2_b64 vcc, exec, s[2:3]
	s_cbranch_vccnz .LBB23_1170
; %bb.1165:
	global_load_ubyte v1, v[16:17], off
	s_movk_i32 s2, 0x7f
	s_mov_b64 s[10:11], 0
	s_waitcnt vmcnt(0)
	v_cmp_lt_i16_e32 vcc, s2, v1
	s_and_saveexec_b64 s[2:3], vcc
	s_xor_b64 s[2:3], exec, s[2:3]
	s_cbranch_execz .LBB23_1181
; %bb.1166:
	s_movk_i32 s10, 0x80
	v_cmp_ne_u16_e32 vcc, s10, v1
	s_and_b64 s[10:11], vcc, exec
	s_andn2_saveexec_b64 s[2:3], s[2:3]
	s_cbranch_execnz .LBB23_1182
.LBB23_1167:
	s_or_b64 exec, exec, s[2:3]
	v_mov_b32_e32 v14, 0
	s_and_saveexec_b64 s[2:3], s[10:11]
	s_cbranch_execz .LBB23_1169
.LBB23_1168:
	v_lshlrev_b32_e32 v3, 24, v1
	v_and_b32_e32 v1, 0xffff, v1
	v_and_b32_e32 v5, 7, v1
	v_ffbh_u32_e32 v9, v5
	v_min_u32_e32 v9, 32, v9
	v_subrev_u32_e32 v11, 28, v9
	v_bfe_u32 v7, v1, 3, 4
	v_lshlrev_b32_e32 v1, v11, v1
	v_sub_u32_e32 v9, 29, v9
	v_and_b32_e32 v1, 7, v1
	v_cmp_eq_u32_e32 vcc, 0, v7
	v_and_b32_e32 v3, 0x80000000, v3
	s_nop 0
	v_cndmask_b32_e32 v7, v7, v9, vcc
	v_cndmask_b32_e32 v1, v5, v1, vcc
	v_mov_b32_e32 v5, 0x3b800000
	v_lshlrev_b32_e32 v1, 20, v1
	v_lshl_add_u32 v5, v7, 23, v5
	v_or3_b32 v1, v3, v5, v1
	v_cvt_i32_f32_e32 v14, v1
.LBB23_1169:
	s_or_b64 exec, exec, s[2:3]
.LBB23_1170:
	s_mov_b64 s[10:11], -1
.LBB23_1171:
	s_branch .LBB23_1201
.LBB23_1172:
	s_cmp_gt_i32 s13, 22
	s_cbranch_scc0 .LBB23_1180
; %bb.1173:
	s_cmp_lt_i32 s13, 24
	s_cbranch_scc1 .LBB23_1183
; %bb.1174:
	s_cmp_gt_i32 s13, 24
	s_cbranch_scc0 .LBB23_1184
; %bb.1175:
	global_load_ubyte v1, v[16:17], off
	s_movk_i32 s2, 0x7f
	s_waitcnt vmcnt(0)
	v_cmp_lt_i16_e32 vcc, s2, v1
	s_and_saveexec_b64 s[2:3], vcc
	s_xor_b64 s[2:3], exec, s[2:3]
	s_cbranch_execz .LBB23_1195
; %bb.1176:
	s_movk_i32 s8, 0x80
	v_cmp_ne_u16_e32 vcc, s8, v1
	s_and_b64 s[8:9], vcc, exec
	s_andn2_saveexec_b64 s[2:3], s[2:3]
	s_cbranch_execnz .LBB23_1196
.LBB23_1177:
	s_or_b64 exec, exec, s[2:3]
	v_mov_b32_e32 v14, 0
	s_and_saveexec_b64 s[2:3], s[8:9]
	s_cbranch_execz .LBB23_1179
.LBB23_1178:
	v_lshlrev_b32_e32 v3, 24, v1
	v_and_b32_e32 v1, 0xffff, v1
	v_and_b32_e32 v5, 3, v1
	v_ffbh_u32_e32 v9, v5
	v_min_u32_e32 v9, 32, v9
	v_subrev_u32_e32 v11, 29, v9
	v_bfe_u32 v7, v1, 2, 5
	v_lshlrev_b32_e32 v1, v11, v1
	v_sub_u32_e32 v9, 30, v9
	v_and_b32_e32 v1, 3, v1
	v_cmp_eq_u32_e32 vcc, 0, v7
	v_and_b32_e32 v3, 0x80000000, v3
	s_nop 0
	v_cndmask_b32_e32 v7, v7, v9, vcc
	v_cndmask_b32_e32 v1, v5, v1, vcc
	v_mov_b32_e32 v5, 0x37800000
	v_lshlrev_b32_e32 v1, 21, v1
	v_lshl_add_u32 v5, v7, 23, v5
	v_or3_b32 v1, v3, v5, v1
	v_cvt_i32_f32_e32 v14, v1
.LBB23_1179:
	s_or_b64 exec, exec, s[2:3]
	s_mov_b64 s[2:3], 0
	s_branch .LBB23_1185
.LBB23_1180:
                                        ; implicit-def: $vgpr14
	s_mov_b64 s[8:9], 0
	s_branch .LBB23_1191
.LBB23_1181:
	s_andn2_saveexec_b64 s[2:3], s[2:3]
	s_cbranch_execz .LBB23_1167
.LBB23_1182:
	v_cmp_ne_u16_e32 vcc, 0, v1
	s_andn2_b64 s[10:11], s[10:11], exec
	s_and_b64 s[16:17], vcc, exec
	s_or_b64 s[10:11], s[10:11], s[16:17]
	s_or_b64 exec, exec, s[2:3]
	v_mov_b32_e32 v14, 0
	s_and_saveexec_b64 s[2:3], s[10:11]
	s_cbranch_execnz .LBB23_1168
	s_branch .LBB23_1169
.LBB23_1183:
	s_mov_b64 s[2:3], -1
                                        ; implicit-def: $vgpr14
	s_branch .LBB23_1188
.LBB23_1184:
	s_mov_b64 s[2:3], -1
                                        ; implicit-def: $vgpr14
.LBB23_1185:
	s_and_b64 vcc, exec, s[2:3]
	s_cbranch_vccz .LBB23_1187
; %bb.1186:
	global_load_ubyte v1, v[16:17], off
	s_mov_b32 s2, 0x7f800000
	s_waitcnt vmcnt(0)
	v_lshlrev_b32_e32 v1, 24, v1
	v_and_b32_e32 v3, 0x7f000000, v1
	v_ffbh_u32_e32 v5, v3
	v_min_u32_e32 v5, 32, v5
	v_sub_u32_e64 v5, v5, 4 clamp
	v_lshlrev_b32_e32 v9, v5, v3
	v_lshlrev_b32_e32 v5, 23, v5
	v_lshrrev_b32_e32 v9, 4, v9
	v_add_u32_e32 v7, 0x1000000, v3
	v_sub_u32_e32 v5, v9, v5
	v_ashrrev_i32_e32 v7, 8, v7
	v_add_u32_e32 v5, 0x3c000000, v5
	v_and_or_b32 v5, v7, s2, v5
	v_cmp_ne_u32_e32 vcc, 0, v3
	s_brev_b32 s2, 1
	s_nop 0
	v_cndmask_b32_e32 v3, 0, v5, vcc
	v_and_or_b32 v1, v1, s2, v3
	v_cvt_i32_f32_e32 v14, v1
.LBB23_1187:
	s_mov_b64 s[2:3], 0
.LBB23_1188:
	s_andn2_b64 vcc, exec, s[2:3]
	s_cbranch_vccnz .LBB23_1190
; %bb.1189:
	global_load_ubyte v1, v[16:17], off
	s_movk_i32 s2, 0x7f00
	s_brev_b32 s3, 16
	s_waitcnt vmcnt(0)
	v_lshlrev_b16_e32 v3, 8, v1
	v_lshlrev_b32_e32 v1, 25, v1
	v_lshrrev_b32_e32 v5, 4, v1
	v_and_or_b32 v7, v3, s2, 0.5
	v_or_b32_e32 v5, 0x70000000, v5
	v_add_f32_e32 v7, -0.5, v7
	v_mul_f32_e32 v5, 0x7800000, v5
	v_cmp_gt_u32_e32 vcc, s3, v1
	v_bfe_i32 v3, v3, 0, 16
	s_brev_b32 s2, 1
	v_cndmask_b32_e32 v1, v5, v7, vcc
	v_and_or_b32 v1, v3, s2, v1
	v_cvt_i32_f32_e32 v14, v1
.LBB23_1190:
	s_mov_b64 s[10:11], -1
	s_mov_b64 s[8:9], 0
	s_cbranch_execnz .LBB23_1201
.LBB23_1191:
	s_cmp_gt_i32 s13, 14
	s_cbranch_scc0 .LBB23_1194
; %bb.1192:
	s_cmp_eq_u32 s13, 15
	s_cbranch_scc0 .LBB23_1197
; %bb.1193:
	global_load_ushort v1, v[16:17], off
	s_mov_b64 s[0:1], 0
	s_mov_b64 s[10:11], -1
	s_waitcnt vmcnt(0)
	v_lshlrev_b32_e32 v1, 16, v1
	v_cvt_i32_f32_e32 v14, v1
	s_branch .LBB23_1198
.LBB23_1194:
	s_mov_b64 s[2:3], -1
                                        ; implicit-def: $vgpr14
	s_branch .LBB23_1199
.LBB23_1195:
	s_andn2_saveexec_b64 s[2:3], s[2:3]
	s_cbranch_execz .LBB23_1177
.LBB23_1196:
	v_cmp_ne_u16_e32 vcc, 0, v1
	s_andn2_b64 s[8:9], s[8:9], exec
	s_and_b64 s[10:11], vcc, exec
	s_or_b64 s[8:9], s[8:9], s[10:11]
	s_or_b64 exec, exec, s[2:3]
	v_mov_b32_e32 v14, 0
	s_and_saveexec_b64 s[2:3], s[8:9]
	s_cbranch_execnz .LBB23_1178
	s_branch .LBB23_1179
.LBB23_1197:
	s_mov_b64 s[0:1], -1
                                        ; implicit-def: $vgpr14
.LBB23_1198:
	s_mov_b64 s[2:3], 0
.LBB23_1199:
	s_and_b64 vcc, exec, s[2:3]
	s_cbranch_vccz .LBB23_1201
; %bb.1200:
	s_cmp_lg_u32 s13, 11
	s_mov_b64 s[8:9], -1
	s_cselect_b64 s[0:1], -1, 0
.LBB23_1201:
	s_and_b64 vcc, exec, s[0:1]
	s_mov_b64 s[2:3], s[24:25]
	s_cbranch_vccnz .LBB23_1262
; %bb.1202:
	s_andn2_b64 vcc, exec, s[8:9]
	s_cbranch_vccnz .LBB23_1204
.LBB23_1203:
	global_load_ubyte v1, v[16:17], off
	s_mov_b64 s[10:11], -1
	s_waitcnt vmcnt(0)
	v_cmp_ne_u16_e32 vcc, 0, v1
	s_nop 1
	v_cndmask_b32_e64 v14, 0, 1, vcc
.LBB23_1204:
	s_branch .LBB23_1139
.LBB23_1205:
	s_and_b32 s8, 0xffff, s12
	s_cmp_lt_i32 s8, 5
	s_cbranch_scc1 .LBB23_1210
; %bb.1206:
	s_cmp_lt_i32 s8, 8
	s_cbranch_scc1 .LBB23_1211
; %bb.1207:
	;; [unrolled: 3-line block ×3, first 2 shown]
	s_cmp_gt_i32 s8, 9
	s_cbranch_scc0 .LBB23_1213
; %bb.1209:
	global_load_dwordx2 v[14:15], v[16:17], off
	s_mov_b64 s[0:1], 0
	s_waitcnt vmcnt(0)
	v_cvt_i32_f64_e32 v14, v[14:15]
	s_branch .LBB23_1214
.LBB23_1210:
                                        ; implicit-def: $vgpr14
	s_branch .LBB23_1231
.LBB23_1211:
                                        ; implicit-def: $vgpr14
	s_branch .LBB23_1220
.LBB23_1212:
	s_mov_b64 s[0:1], -1
                                        ; implicit-def: $vgpr14
	s_branch .LBB23_1217
.LBB23_1213:
	s_mov_b64 s[0:1], -1
                                        ; implicit-def: $vgpr14
.LBB23_1214:
	s_andn2_b64 vcc, exec, s[0:1]
	s_cbranch_vccnz .LBB23_1216
; %bb.1215:
	global_load_dword v1, v[16:17], off
	s_waitcnt vmcnt(0)
	v_cvt_i32_f32_e32 v14, v1
.LBB23_1216:
	s_mov_b64 s[0:1], 0
.LBB23_1217:
	s_andn2_b64 vcc, exec, s[0:1]
	s_cbranch_vccnz .LBB23_1219
; %bb.1218:
	global_load_dword v1, v[16:17], off
	s_waitcnt vmcnt(0)
	v_cvt_i16_f16_e32 v14, v1
.LBB23_1219:
	s_cbranch_execnz .LBB23_1230
.LBB23_1220:
	s_cmp_lt_i32 s8, 6
	s_cbranch_scc1 .LBB23_1223
; %bb.1221:
	s_cmp_gt_i32 s8, 6
	s_cbranch_scc0 .LBB23_1224
; %bb.1222:
	global_load_dwordx2 v[14:15], v[16:17], off
	s_mov_b64 s[0:1], 0
	s_waitcnt vmcnt(0)
	v_cvt_i32_f64_e32 v14, v[14:15]
	s_branch .LBB23_1225
.LBB23_1223:
	s_mov_b64 s[0:1], -1
                                        ; implicit-def: $vgpr14
	s_branch .LBB23_1228
.LBB23_1224:
	s_mov_b64 s[0:1], -1
                                        ; implicit-def: $vgpr14
.LBB23_1225:
	s_andn2_b64 vcc, exec, s[0:1]
	s_cbranch_vccnz .LBB23_1227
; %bb.1226:
	global_load_dword v1, v[16:17], off
	s_waitcnt vmcnt(0)
	v_cvt_i32_f32_e32 v14, v1
.LBB23_1227:
	s_mov_b64 s[0:1], 0
.LBB23_1228:
	s_andn2_b64 vcc, exec, s[0:1]
	s_cbranch_vccnz .LBB23_1230
; %bb.1229:
	global_load_ushort v1, v[16:17], off
	s_waitcnt vmcnt(0)
	v_cvt_i16_f16_e32 v14, v1
.LBB23_1230:
	s_cbranch_execnz .LBB23_1249
.LBB23_1231:
	s_cmp_lt_i32 s8, 2
	s_cbranch_scc1 .LBB23_1235
; %bb.1232:
	s_cmp_lt_i32 s8, 3
	s_cbranch_scc1 .LBB23_1236
; %bb.1233:
	s_cmp_gt_i32 s8, 3
	s_cbranch_scc0 .LBB23_1237
; %bb.1234:
	global_load_dwordx2 v[14:15], v[16:17], off
	s_mov_b64 s[0:1], 0
	s_branch .LBB23_1238
.LBB23_1235:
                                        ; implicit-def: $vgpr14
	s_branch .LBB23_1244
.LBB23_1236:
	s_mov_b64 s[0:1], -1
                                        ; implicit-def: $vgpr14
	s_branch .LBB23_1241
.LBB23_1237:
	s_mov_b64 s[0:1], -1
                                        ; implicit-def: $vgpr14
.LBB23_1238:
	s_andn2_b64 vcc, exec, s[0:1]
	s_cbranch_vccnz .LBB23_1240
; %bb.1239:
	global_load_dword v14, v[16:17], off
.LBB23_1240:
	s_mov_b64 s[0:1], 0
.LBB23_1241:
	s_andn2_b64 vcc, exec, s[0:1]
	s_cbranch_vccnz .LBB23_1243
; %bb.1242:
	global_load_ushort v14, v[16:17], off
.LBB23_1243:
	s_cbranch_execnz .LBB23_1249
.LBB23_1244:
	s_cmp_gt_i32 s8, 0
	s_cbranch_scc0 .LBB23_1246
; %bb.1245:
	global_load_ubyte v14, v[16:17], off
	s_mov_b64 s[0:1], 0
	s_branch .LBB23_1247
.LBB23_1246:
	s_mov_b64 s[0:1], -1
                                        ; implicit-def: $vgpr14
.LBB23_1247:
	s_andn2_b64 vcc, exec, s[0:1]
	s_cbranch_vccnz .LBB23_1249
; %bb.1248:
	global_load_ubyte v14, v[16:17], off
.LBB23_1249:
.LBB23_1250:
	s_lshr_b32 s0, s14, 16
	v_mov_b32_e32 v13, 0
	s_and_b32 s15, s0, 0xff
	s_cmp_lt_i32 s15, 11
	v_lshl_add_u64 v[16:17], s[6:7], 0, v[12:13]
	s_cbranch_scc1 .LBB23_1257
; %bb.1251:
	s_and_b32 s16, 0xffff, s15
	s_cmp_gt_i32 s16, 25
	s_mov_b64 s[8:9], 0
	s_cbranch_scc0 .LBB23_1259
; %bb.1252:
	s_cmp_gt_i32 s16, 28
	s_cbranch_scc0 .LBB23_1260
; %bb.1253:
	s_cmp_gt_i32 s16, 43
	;; [unrolled: 3-line block ×3, first 2 shown]
	s_cbranch_scc0 .LBB23_1263
; %bb.1255:
	s_cmp_eq_u32 s16, 46
	s_mov_b64 s[12:13], 0
	s_cbranch_scc0 .LBB23_1266
; %bb.1256:
	global_load_dword v1, v[16:17], off
	s_mov_b64 s[0:1], 0
	s_mov_b64 s[10:11], -1
	s_waitcnt vmcnt(0)
	v_lshlrev_b32_e32 v1, 16, v1
	v_cvt_i32_f32_e32 v12, v1
	s_branch .LBB23_1267
.LBB23_1257:
	s_mov_b64 s[10:11], 0
                                        ; implicit-def: $vgpr12
	s_cbranch_execnz .LBB23_1328
.LBB23_1258:
	s_andn2_b64 vcc, exec, s[10:11]
	s_cbranch_vccz .LBB23_1375
	s_branch .LBB23_1512
.LBB23_1259:
	s_mov_b64 s[10:11], 0
	s_mov_b64 s[0:1], 0
                                        ; implicit-def: $vgpr12
	s_cbranch_execnz .LBB23_1294
	s_branch .LBB23_1324
.LBB23_1260:
	s_mov_b64 s[12:13], -1
	s_mov_b64 s[10:11], 0
	s_mov_b64 s[0:1], 0
                                        ; implicit-def: $vgpr12
	s_branch .LBB23_1277
.LBB23_1261:
	s_mov_b64 s[12:13], -1
	s_mov_b64 s[10:11], 0
	s_mov_b64 s[0:1], 0
                                        ; implicit-def: $vgpr12
	s_branch .LBB23_1272
.LBB23_1262:
	s_or_b64 s[2:3], s[24:25], exec
	s_trap 2
	s_cbranch_execz .LBB23_1203
	s_branch .LBB23_1204
.LBB23_1263:
	s_mov_b64 s[12:13], -1
	s_mov_b64 s[10:11], 0
	s_mov_b64 s[0:1], 0
                                        ; implicit-def: $vgpr12
	s_branch .LBB23_1267
.LBB23_1264:
	s_andn2_saveexec_b64 s[14:15], s[14:15]
	s_cbranch_execz .LBB23_999
.LBB23_1265:
	s_mov_b32 s18, 0x42800000
	v_add_f32_e64 v3, |v2|, s18
	v_and_b32_e32 v3, 0xff, v3
	v_cmp_ne_u32_e32 vcc, 0, v3
	s_andn2_b64 s[12:13], s[12:13], exec
	s_and_b64 s[18:19], vcc, exec
	s_or_b64 s[12:13], s[12:13], s[18:19]
	s_or_b64 exec, exec, s[14:15]
	v_mov_b32_e32 v6, 0
	s_and_saveexec_b64 s[14:15], s[12:13]
	s_cbranch_execnz .LBB23_1000
	s_branch .LBB23_1001
.LBB23_1266:
	s_mov_b64 s[0:1], -1
                                        ; implicit-def: $vgpr12
	s_mov_b64 s[10:11], 0
.LBB23_1267:
	s_and_b64 vcc, exec, s[12:13]
	s_cbranch_vccz .LBB23_1271
; %bb.1268:
	s_cmp_eq_u32 s16, 44
	s_cbranch_scc0 .LBB23_1270
; %bb.1269:
	global_load_ubyte v1, v[16:17], off
	s_mov_b64 s[0:1], 0
	s_mov_b64 s[10:11], -1
	s_waitcnt vmcnt(0)
	v_lshlrev_b32_e32 v3, 23, v1
	v_cvt_i32_f32_e32 v3, v3
	v_cmp_ne_u32_e32 vcc, 0, v1
	s_nop 1
	v_cndmask_b32_e32 v12, 0, v3, vcc
	s_branch .LBB23_1271
.LBB23_1270:
	s_mov_b64 s[0:1], -1
                                        ; implicit-def: $vgpr12
.LBB23_1271:
	s_mov_b64 s[12:13], 0
.LBB23_1272:
	s_and_b64 vcc, exec, s[12:13]
	s_cbranch_vccz .LBB23_1276
; %bb.1273:
	s_cmp_eq_u32 s16, 29
	s_cbranch_scc0 .LBB23_1275
; %bb.1274:
	global_load_dwordx2 v[12:13], v[16:17], off
	s_mov_b64 s[0:1], 0
	s_mov_b64 s[10:11], -1
	s_branch .LBB23_1276
.LBB23_1275:
	s_mov_b64 s[0:1], -1
                                        ; implicit-def: $vgpr12
.LBB23_1276:
	s_mov_b64 s[12:13], 0
.LBB23_1277:
	s_and_b64 vcc, exec, s[12:13]
	s_cbranch_vccz .LBB23_1293
; %bb.1278:
	s_cmp_lt_i32 s16, 27
	s_cbranch_scc1 .LBB23_1281
; %bb.1279:
	s_cmp_gt_i32 s16, 27
	s_cbranch_scc0 .LBB23_1282
; %bb.1280:
	global_load_dword v12, v[16:17], off
	s_mov_b64 s[10:11], 0
	s_branch .LBB23_1283
.LBB23_1281:
	s_mov_b64 s[10:11], -1
                                        ; implicit-def: $vgpr12
	s_branch .LBB23_1286
.LBB23_1282:
	s_mov_b64 s[10:11], -1
                                        ; implicit-def: $vgpr12
.LBB23_1283:
	s_andn2_b64 vcc, exec, s[10:11]
	s_cbranch_vccnz .LBB23_1285
; %bb.1284:
	global_load_ushort v12, v[16:17], off
.LBB23_1285:
	s_mov_b64 s[10:11], 0
.LBB23_1286:
	s_andn2_b64 vcc, exec, s[10:11]
	s_cbranch_vccnz .LBB23_1292
; %bb.1287:
	global_load_ubyte v1, v[16:17], off
	s_movk_i32 s10, 0x7f
	s_mov_b64 s[12:13], 0
	s_waitcnt vmcnt(0)
	v_cmp_lt_i16_e32 vcc, s10, v1
	s_and_saveexec_b64 s[10:11], vcc
	s_xor_b64 s[10:11], exec, s[10:11]
	s_cbranch_execz .LBB23_1303
; %bb.1288:
	s_movk_i32 s12, 0x80
	v_cmp_ne_u16_e32 vcc, s12, v1
	s_and_b64 s[12:13], vcc, exec
	s_andn2_saveexec_b64 s[10:11], s[10:11]
	s_cbranch_execnz .LBB23_1304
.LBB23_1289:
	s_or_b64 exec, exec, s[10:11]
	v_mov_b32_e32 v12, 0
	s_and_saveexec_b64 s[10:11], s[12:13]
	s_cbranch_execz .LBB23_1291
.LBB23_1290:
	v_lshlrev_b32_e32 v3, 24, v1
	v_and_b32_e32 v1, 0xffff, v1
	v_and_b32_e32 v5, 7, v1
	v_ffbh_u32_e32 v9, v5
	v_min_u32_e32 v9, 32, v9
	v_subrev_u32_e32 v11, 28, v9
	v_bfe_u32 v7, v1, 3, 4
	v_lshlrev_b32_e32 v1, v11, v1
	v_sub_u32_e32 v9, 29, v9
	v_and_b32_e32 v1, 7, v1
	v_cmp_eq_u32_e32 vcc, 0, v7
	v_and_b32_e32 v3, 0x80000000, v3
	s_nop 0
	v_cndmask_b32_e32 v7, v7, v9, vcc
	v_cndmask_b32_e32 v1, v5, v1, vcc
	v_mov_b32_e32 v5, 0x3b800000
	v_lshlrev_b32_e32 v1, 20, v1
	v_lshl_add_u32 v5, v7, 23, v5
	v_or3_b32 v1, v3, v5, v1
	v_cvt_i32_f32_e32 v12, v1
.LBB23_1291:
	s_or_b64 exec, exec, s[10:11]
.LBB23_1292:
	s_mov_b64 s[10:11], -1
.LBB23_1293:
	s_branch .LBB23_1324
.LBB23_1294:
	s_cmp_gt_i32 s16, 22
	s_cbranch_scc0 .LBB23_1302
; %bb.1295:
	s_cmp_lt_i32 s16, 24
	s_cbranch_scc1 .LBB23_1305
; %bb.1296:
	s_cmp_gt_i32 s16, 24
	s_cbranch_scc0 .LBB23_1306
; %bb.1297:
	global_load_ubyte v1, v[16:17], off
	s_movk_i32 s8, 0x7f
	s_mov_b64 s[10:11], 0
	s_waitcnt vmcnt(0)
	v_cmp_lt_i16_e32 vcc, s8, v1
	s_and_saveexec_b64 s[8:9], vcc
	s_xor_b64 s[8:9], exec, s[8:9]
	s_cbranch_execz .LBB23_1318
; %bb.1298:
	s_movk_i32 s10, 0x80
	v_cmp_ne_u16_e32 vcc, s10, v1
	s_and_b64 s[10:11], vcc, exec
	s_andn2_saveexec_b64 s[8:9], s[8:9]
	s_cbranch_execnz .LBB23_1319
.LBB23_1299:
	s_or_b64 exec, exec, s[8:9]
	v_mov_b32_e32 v12, 0
	s_and_saveexec_b64 s[8:9], s[10:11]
	s_cbranch_execz .LBB23_1301
.LBB23_1300:
	v_lshlrev_b32_e32 v3, 24, v1
	v_and_b32_e32 v1, 0xffff, v1
	v_and_b32_e32 v5, 3, v1
	v_ffbh_u32_e32 v9, v5
	v_min_u32_e32 v9, 32, v9
	v_subrev_u32_e32 v11, 29, v9
	v_bfe_u32 v7, v1, 2, 5
	v_lshlrev_b32_e32 v1, v11, v1
	v_sub_u32_e32 v9, 30, v9
	v_and_b32_e32 v1, 3, v1
	v_cmp_eq_u32_e32 vcc, 0, v7
	v_and_b32_e32 v3, 0x80000000, v3
	s_nop 0
	v_cndmask_b32_e32 v7, v7, v9, vcc
	v_cndmask_b32_e32 v1, v5, v1, vcc
	v_mov_b32_e32 v5, 0x37800000
	v_lshlrev_b32_e32 v1, 21, v1
	v_lshl_add_u32 v5, v7, 23, v5
	v_or3_b32 v1, v3, v5, v1
	v_cvt_i32_f32_e32 v12, v1
.LBB23_1301:
	s_or_b64 exec, exec, s[8:9]
	s_mov_b64 s[8:9], 0
	s_branch .LBB23_1307
.LBB23_1302:
	s_mov_b64 s[8:9], -1
                                        ; implicit-def: $vgpr12
	s_branch .LBB23_1313
.LBB23_1303:
	s_andn2_saveexec_b64 s[10:11], s[10:11]
	s_cbranch_execz .LBB23_1289
.LBB23_1304:
	v_cmp_ne_u16_e32 vcc, 0, v1
	s_andn2_b64 s[12:13], s[12:13], exec
	s_and_b64 s[18:19], vcc, exec
	s_or_b64 s[12:13], s[12:13], s[18:19]
	s_or_b64 exec, exec, s[10:11]
	v_mov_b32_e32 v12, 0
	s_and_saveexec_b64 s[10:11], s[12:13]
	s_cbranch_execnz .LBB23_1290
	s_branch .LBB23_1291
.LBB23_1305:
	s_mov_b64 s[8:9], -1
                                        ; implicit-def: $vgpr12
	s_branch .LBB23_1310
.LBB23_1306:
	s_mov_b64 s[8:9], -1
                                        ; implicit-def: $vgpr12
.LBB23_1307:
	s_and_b64 vcc, exec, s[8:9]
	s_cbranch_vccz .LBB23_1309
; %bb.1308:
	global_load_ubyte v1, v[16:17], off
	s_mov_b32 s8, 0x7f800000
	s_waitcnt vmcnt(0)
	v_lshlrev_b32_e32 v1, 24, v1
	v_and_b32_e32 v3, 0x7f000000, v1
	v_ffbh_u32_e32 v5, v3
	v_min_u32_e32 v5, 32, v5
	v_sub_u32_e64 v5, v5, 4 clamp
	v_lshlrev_b32_e32 v9, v5, v3
	v_lshlrev_b32_e32 v5, 23, v5
	v_lshrrev_b32_e32 v9, 4, v9
	v_add_u32_e32 v7, 0x1000000, v3
	v_sub_u32_e32 v5, v9, v5
	v_ashrrev_i32_e32 v7, 8, v7
	v_add_u32_e32 v5, 0x3c000000, v5
	v_and_or_b32 v5, v7, s8, v5
	v_cmp_ne_u32_e32 vcc, 0, v3
	s_brev_b32 s8, 1
	s_nop 0
	v_cndmask_b32_e32 v3, 0, v5, vcc
	v_and_or_b32 v1, v1, s8, v3
	v_cvt_i32_f32_e32 v12, v1
.LBB23_1309:
	s_mov_b64 s[8:9], 0
.LBB23_1310:
	s_andn2_b64 vcc, exec, s[8:9]
	s_cbranch_vccnz .LBB23_1312
; %bb.1311:
	global_load_ubyte v1, v[16:17], off
	s_movk_i32 s8, 0x7f00
	s_brev_b32 s9, 16
	s_waitcnt vmcnt(0)
	v_lshlrev_b16_e32 v3, 8, v1
	v_lshlrev_b32_e32 v1, 25, v1
	v_lshrrev_b32_e32 v5, 4, v1
	v_and_or_b32 v7, v3, s8, 0.5
	v_or_b32_e32 v5, 0x70000000, v5
	v_add_f32_e32 v7, -0.5, v7
	v_mul_f32_e32 v5, 0x7800000, v5
	v_cmp_gt_u32_e32 vcc, s9, v1
	v_bfe_i32 v3, v3, 0, 16
	s_brev_b32 s8, 1
	v_cndmask_b32_e32 v1, v5, v7, vcc
	v_and_or_b32 v1, v3, s8, v1
	v_cvt_i32_f32_e32 v12, v1
.LBB23_1312:
	s_mov_b64 s[8:9], 0
	s_mov_b64 s[10:11], -1
.LBB23_1313:
	s_andn2_b64 vcc, exec, s[8:9]
	s_mov_b64 s[8:9], 0
	s_cbranch_vccnz .LBB23_1324
; %bb.1314:
	s_cmp_gt_i32 s16, 14
	s_cbranch_scc0 .LBB23_1317
; %bb.1315:
	s_cmp_eq_u32 s16, 15
	s_cbranch_scc0 .LBB23_1320
; %bb.1316:
	global_load_ushort v1, v[16:17], off
	s_mov_b64 s[0:1], 0
	s_mov_b64 s[10:11], -1
	s_waitcnt vmcnt(0)
	v_lshlrev_b32_e32 v1, 16, v1
	v_cvt_i32_f32_e32 v12, v1
	s_branch .LBB23_1321
.LBB23_1317:
	s_mov_b64 s[12:13], -1
                                        ; implicit-def: $vgpr12
	s_branch .LBB23_1322
.LBB23_1318:
	s_andn2_saveexec_b64 s[8:9], s[8:9]
	s_cbranch_execz .LBB23_1299
.LBB23_1319:
	v_cmp_ne_u16_e32 vcc, 0, v1
	s_andn2_b64 s[10:11], s[10:11], exec
	s_and_b64 s[12:13], vcc, exec
	s_or_b64 s[10:11], s[10:11], s[12:13]
	s_or_b64 exec, exec, s[8:9]
	v_mov_b32_e32 v12, 0
	s_and_saveexec_b64 s[8:9], s[10:11]
	s_cbranch_execnz .LBB23_1300
	s_branch .LBB23_1301
.LBB23_1320:
	s_mov_b64 s[0:1], -1
                                        ; implicit-def: $vgpr12
.LBB23_1321:
	s_mov_b64 s[12:13], 0
.LBB23_1322:
	s_and_b64 vcc, exec, s[12:13]
	s_cbranch_vccz .LBB23_1324
; %bb.1323:
	s_cmp_lg_u32 s16, 11
	s_mov_b64 s[8:9], -1
	s_cselect_b64 s[0:1], -1, 0
.LBB23_1324:
	s_and_b64 vcc, exec, s[0:1]
	s_cbranch_vccnz .LBB23_1397
; %bb.1325:
	s_andn2_b64 vcc, exec, s[8:9]
	s_cbranch_vccnz .LBB23_1327
.LBB23_1326:
	global_load_ubyte v1, v[16:17], off
	s_mov_b64 s[10:11], -1
	s_waitcnt vmcnt(0)
	v_cmp_ne_u16_e32 vcc, 0, v1
	s_nop 1
	v_cndmask_b32_e64 v12, 0, 1, vcc
.LBB23_1327:
	s_branch .LBB23_1258
.LBB23_1328:
	s_and_b32 s8, 0xffff, s15
	s_cmp_lt_i32 s8, 5
	s_cbranch_scc1 .LBB23_1333
; %bb.1329:
	s_cmp_lt_i32 s8, 8
	s_cbranch_scc1 .LBB23_1334
; %bb.1330:
	;; [unrolled: 3-line block ×3, first 2 shown]
	s_cmp_gt_i32 s8, 9
	s_cbranch_scc0 .LBB23_1336
; %bb.1332:
	global_load_dwordx2 v[12:13], v[16:17], off
	s_mov_b64 s[0:1], 0
	s_waitcnt vmcnt(0)
	v_cvt_i32_f64_e32 v12, v[12:13]
	s_branch .LBB23_1337
.LBB23_1333:
                                        ; implicit-def: $vgpr12
	s_branch .LBB23_1355
.LBB23_1334:
	s_mov_b64 s[0:1], -1
                                        ; implicit-def: $vgpr12
	s_branch .LBB23_1343
.LBB23_1335:
	s_mov_b64 s[0:1], -1
                                        ; implicit-def: $vgpr12
	s_branch .LBB23_1340
.LBB23_1336:
	s_mov_b64 s[0:1], -1
                                        ; implicit-def: $vgpr12
.LBB23_1337:
	s_andn2_b64 vcc, exec, s[0:1]
	s_cbranch_vccnz .LBB23_1339
; %bb.1338:
	global_load_dword v1, v[16:17], off
	s_waitcnt vmcnt(0)
	v_cvt_i32_f32_e32 v12, v1
.LBB23_1339:
	s_mov_b64 s[0:1], 0
.LBB23_1340:
	s_andn2_b64 vcc, exec, s[0:1]
	s_cbranch_vccnz .LBB23_1342
; %bb.1341:
	global_load_dword v1, v[16:17], off
	s_waitcnt vmcnt(0)
	v_cvt_i16_f16_e32 v12, v1
.LBB23_1342:
	s_mov_b64 s[0:1], 0
.LBB23_1343:
	s_andn2_b64 vcc, exec, s[0:1]
	s_cbranch_vccnz .LBB23_1354
; %bb.1344:
	s_cmp_lt_i32 s8, 6
	s_cbranch_scc1 .LBB23_1347
; %bb.1345:
	s_cmp_gt_i32 s8, 6
	s_cbranch_scc0 .LBB23_1348
; %bb.1346:
	global_load_dwordx2 v[12:13], v[16:17], off
	s_mov_b64 s[0:1], 0
	s_waitcnt vmcnt(0)
	v_cvt_i32_f64_e32 v12, v[12:13]
	s_branch .LBB23_1349
.LBB23_1347:
	s_mov_b64 s[0:1], -1
                                        ; implicit-def: $vgpr12
	s_branch .LBB23_1352
.LBB23_1348:
	s_mov_b64 s[0:1], -1
                                        ; implicit-def: $vgpr12
.LBB23_1349:
	s_andn2_b64 vcc, exec, s[0:1]
	s_cbranch_vccnz .LBB23_1351
; %bb.1350:
	global_load_dword v1, v[16:17], off
	s_waitcnt vmcnt(0)
	v_cvt_i32_f32_e32 v12, v1
.LBB23_1351:
	s_mov_b64 s[0:1], 0
.LBB23_1352:
	s_andn2_b64 vcc, exec, s[0:1]
	s_cbranch_vccnz .LBB23_1354
; %bb.1353:
	global_load_ushort v1, v[16:17], off
	s_waitcnt vmcnt(0)
	v_cvt_i16_f16_e32 v12, v1
.LBB23_1354:
	s_cbranch_execnz .LBB23_1374
.LBB23_1355:
	s_cmp_lt_i32 s8, 2
	s_cbranch_scc1 .LBB23_1359
; %bb.1356:
	s_cmp_lt_i32 s8, 3
	s_cbranch_scc1 .LBB23_1360
; %bb.1357:
	s_cmp_gt_i32 s8, 3
	s_cbranch_scc0 .LBB23_1361
; %bb.1358:
	global_load_dwordx2 v[12:13], v[16:17], off
	s_mov_b64 s[0:1], 0
	s_branch .LBB23_1362
.LBB23_1359:
	s_mov_b64 s[0:1], -1
                                        ; implicit-def: $vgpr12
	s_branch .LBB23_1368
.LBB23_1360:
	s_mov_b64 s[0:1], -1
                                        ; implicit-def: $vgpr12
	s_branch .LBB23_1365
.LBB23_1361:
	s_mov_b64 s[0:1], -1
                                        ; implicit-def: $vgpr12
.LBB23_1362:
	s_andn2_b64 vcc, exec, s[0:1]
	s_cbranch_vccnz .LBB23_1364
; %bb.1363:
	global_load_dword v12, v[16:17], off
.LBB23_1364:
	s_mov_b64 s[0:1], 0
.LBB23_1365:
	s_andn2_b64 vcc, exec, s[0:1]
	s_cbranch_vccnz .LBB23_1367
; %bb.1366:
	global_load_ushort v12, v[16:17], off
.LBB23_1367:
	s_mov_b64 s[0:1], 0
.LBB23_1368:
	s_andn2_b64 vcc, exec, s[0:1]
	s_cbranch_vccnz .LBB23_1374
; %bb.1369:
	s_cmp_gt_i32 s8, 0
	s_cbranch_scc0 .LBB23_1371
; %bb.1370:
	global_load_ubyte v12, v[16:17], off
	s_mov_b64 s[0:1], 0
	s_branch .LBB23_1372
.LBB23_1371:
	s_mov_b64 s[0:1], -1
                                        ; implicit-def: $vgpr12
.LBB23_1372:
	s_andn2_b64 vcc, exec, s[0:1]
	s_cbranch_vccnz .LBB23_1374
; %bb.1373:
	global_load_ubyte v12, v[16:17], off
.LBB23_1374:
.LBB23_1375:
	v_mov_b32_e32 v11, 0
	s_cmp_lt_i32 s15, 11
	v_lshl_add_u64 v[16:17], s[6:7], 0, v[10:11]
	s_cbranch_scc1 .LBB23_1382
; %bb.1376:
	s_and_b32 s16, 0xffff, s15
	s_cmp_gt_i32 s16, 25
	s_mov_b64 s[8:9], 0
	s_cbranch_scc0 .LBB23_1391
; %bb.1377:
	s_cmp_gt_i32 s16, 28
	s_cbranch_scc0 .LBB23_1393
; %bb.1378:
	s_cmp_gt_i32 s16, 43
	s_cbranch_scc0 .LBB23_1395
; %bb.1379:
	s_cmp_gt_i32 s16, 45
	s_cbranch_scc0 .LBB23_1398
; %bb.1380:
	s_cmp_eq_u32 s16, 46
	s_mov_b64 s[12:13], 0
	s_cbranch_scc0 .LBB23_1400
; %bb.1381:
	global_load_dword v1, v[16:17], off
	s_mov_b64 s[0:1], 0
	s_mov_b64 s[10:11], -1
	s_waitcnt vmcnt(0)
	v_lshlrev_b32_e32 v1, 16, v1
	v_cvt_i32_f32_e32 v10, v1
	s_branch .LBB23_1401
.LBB23_1382:
	s_mov_b64 s[10:11], 0
                                        ; implicit-def: $vgpr10
	s_cbranch_execnz .LBB23_1464
.LBB23_1383:
	s_andn2_b64 vcc, exec, s[10:11]
	s_cbranch_vccnz .LBB23_1512
.LBB23_1384:
	v_mov_b32_e32 v9, 0
	s_cmp_lt_i32 s15, 11
	v_lshl_add_u64 v[16:17], s[6:7], 0, v[8:9]
	s_cbranch_scc1 .LBB23_1392
; %bb.1385:
	s_and_b32 s12, 0xffff, s15
	s_cmp_gt_i32 s12, 25
	s_mov_b64 s[6:7], 0
	s_cbranch_scc0 .LBB23_1394
; %bb.1386:
	s_cmp_gt_i32 s12, 28
	s_cbranch_scc0 .LBB23_1396
; %bb.1387:
	s_cmp_gt_i32 s12, 43
	s_cbranch_scc0 .LBB23_1399
; %bb.1388:
	s_cmp_gt_i32 s12, 45
	s_cbranch_scc0 .LBB23_1404
; %bb.1389:
	s_cmp_eq_u32 s12, 46
	s_mov_b64 s[10:11], 0
	s_cbranch_scc0 .LBB23_1559
; %bb.1390:
	global_load_dword v1, v[16:17], off
	s_mov_b64 s[0:1], 0
	s_mov_b64 s[8:9], -1
	s_waitcnt vmcnt(0)
	v_lshlrev_b32_e32 v1, 16, v1
	v_cvt_i32_f32_e32 v8, v1
	s_branch .LBB23_1560
.LBB23_1391:
	s_mov_b64 s[12:13], -1
	s_mov_b64 s[10:11], 0
	s_mov_b64 s[0:1], 0
                                        ; implicit-def: $vgpr10
	s_branch .LBB23_1429
.LBB23_1392:
	s_mov_b64 s[0:1], -1
	s_mov_b64 s[8:9], 0
                                        ; implicit-def: $vgpr8
	s_branch .LBB23_1622
.LBB23_1393:
	s_mov_b64 s[12:13], -1
	s_mov_b64 s[10:11], 0
	s_mov_b64 s[0:1], 0
                                        ; implicit-def: $vgpr10
	s_branch .LBB23_1412
.LBB23_1394:
	s_mov_b64 s[10:11], -1
	s_mov_b64 s[8:9], 0
	s_mov_b64 s[0:1], 0
                                        ; implicit-def: $vgpr8
	s_branch .LBB23_1587
.LBB23_1395:
	s_mov_b64 s[12:13], -1
	s_mov_b64 s[10:11], 0
	s_mov_b64 s[0:1], 0
                                        ; implicit-def: $vgpr10
	s_branch .LBB23_1407
.LBB23_1396:
	s_mov_b64 s[10:11], -1
	s_mov_b64 s[8:9], 0
	s_mov_b64 s[0:1], 0
                                        ; implicit-def: $vgpr8
	s_branch .LBB23_1570
.LBB23_1397:
	s_trap 2
	s_or_b64 s[2:3], s[2:3], exec
	s_cbranch_execz .LBB23_1326
	s_branch .LBB23_1327
.LBB23_1398:
	s_mov_b64 s[12:13], -1
	s_mov_b64 s[10:11], 0
	s_mov_b64 s[0:1], 0
                                        ; implicit-def: $vgpr10
	s_branch .LBB23_1401
.LBB23_1399:
	s_mov_b64 s[10:11], -1
	s_mov_b64 s[8:9], 0
	s_mov_b64 s[0:1], 0
                                        ; implicit-def: $vgpr8
	s_branch .LBB23_1565
.LBB23_1400:
	s_mov_b64 s[0:1], -1
                                        ; implicit-def: $vgpr10
	s_mov_b64 s[10:11], 0
.LBB23_1401:
	s_and_b64 vcc, exec, s[12:13]
	s_cbranch_vccz .LBB23_1406
; %bb.1402:
	s_cmp_eq_u32 s16, 44
	s_cbranch_scc0 .LBB23_1405
; %bb.1403:
	global_load_ubyte v1, v[16:17], off
	s_mov_b64 s[0:1], 0
	s_mov_b64 s[10:11], -1
	s_waitcnt vmcnt(0)
	v_lshlrev_b32_e32 v3, 23, v1
	v_cvt_i32_f32_e32 v3, v3
	v_cmp_ne_u32_e32 vcc, 0, v1
	s_nop 1
	v_cndmask_b32_e32 v10, 0, v3, vcc
	s_branch .LBB23_1406
.LBB23_1404:
	s_mov_b64 s[10:11], -1
	s_mov_b64 s[8:9], 0
	s_mov_b64 s[0:1], 0
                                        ; implicit-def: $vgpr8
	s_branch .LBB23_1560
.LBB23_1405:
	s_mov_b64 s[0:1], -1
                                        ; implicit-def: $vgpr10
.LBB23_1406:
	s_mov_b64 s[12:13], 0
.LBB23_1407:
	s_and_b64 vcc, exec, s[12:13]
	s_cbranch_vccz .LBB23_1411
; %bb.1408:
	s_cmp_eq_u32 s16, 29
	s_cbranch_scc0 .LBB23_1410
; %bb.1409:
	global_load_dwordx2 v[10:11], v[16:17], off
	s_mov_b64 s[0:1], 0
	s_mov_b64 s[10:11], -1
	s_branch .LBB23_1411
.LBB23_1410:
	s_mov_b64 s[0:1], -1
                                        ; implicit-def: $vgpr10
.LBB23_1411:
	s_mov_b64 s[12:13], 0
.LBB23_1412:
	s_and_b64 vcc, exec, s[12:13]
	s_cbranch_vccz .LBB23_1428
; %bb.1413:
	s_cmp_lt_i32 s16, 27
	s_cbranch_scc1 .LBB23_1416
; %bb.1414:
	s_cmp_gt_i32 s16, 27
	s_cbranch_scc0 .LBB23_1417
; %bb.1415:
	global_load_dword v10, v[16:17], off
	s_mov_b64 s[10:11], 0
	s_branch .LBB23_1418
.LBB23_1416:
	s_mov_b64 s[10:11], -1
                                        ; implicit-def: $vgpr10
	s_branch .LBB23_1421
.LBB23_1417:
	s_mov_b64 s[10:11], -1
                                        ; implicit-def: $vgpr10
.LBB23_1418:
	s_andn2_b64 vcc, exec, s[10:11]
	s_cbranch_vccnz .LBB23_1420
; %bb.1419:
	global_load_ushort v10, v[16:17], off
.LBB23_1420:
	s_mov_b64 s[10:11], 0
.LBB23_1421:
	s_andn2_b64 vcc, exec, s[10:11]
	s_cbranch_vccnz .LBB23_1427
; %bb.1422:
	global_load_ubyte v1, v[16:17], off
	s_movk_i32 s10, 0x7f
	s_mov_b64 s[12:13], 0
	s_waitcnt vmcnt(0)
	v_cmp_lt_i16_e32 vcc, s10, v1
	s_and_saveexec_b64 s[10:11], vcc
	s_xor_b64 s[10:11], exec, s[10:11]
	s_cbranch_execz .LBB23_1439
; %bb.1423:
	s_movk_i32 s12, 0x80
	v_cmp_ne_u16_e32 vcc, s12, v1
	s_and_b64 s[12:13], vcc, exec
	s_andn2_saveexec_b64 s[10:11], s[10:11]
	s_cbranch_execnz .LBB23_1440
.LBB23_1424:
	s_or_b64 exec, exec, s[10:11]
	v_mov_b32_e32 v10, 0
	s_and_saveexec_b64 s[10:11], s[12:13]
	s_cbranch_execz .LBB23_1426
.LBB23_1425:
	v_lshlrev_b32_e32 v3, 24, v1
	v_and_b32_e32 v1, 0xffff, v1
	v_and_b32_e32 v5, 7, v1
	v_ffbh_u32_e32 v9, v5
	v_min_u32_e32 v9, 32, v9
	v_subrev_u32_e32 v10, 28, v9
	v_bfe_u32 v7, v1, 3, 4
	v_lshlrev_b32_e32 v1, v10, v1
	v_sub_u32_e32 v9, 29, v9
	v_and_b32_e32 v1, 7, v1
	v_cmp_eq_u32_e32 vcc, 0, v7
	v_and_b32_e32 v3, 0x80000000, v3
	s_nop 0
	v_cndmask_b32_e32 v7, v7, v9, vcc
	v_cndmask_b32_e32 v1, v5, v1, vcc
	v_mov_b32_e32 v5, 0x3b800000
	v_lshlrev_b32_e32 v1, 20, v1
	v_lshl_add_u32 v5, v7, 23, v5
	v_or3_b32 v1, v3, v5, v1
	v_cvt_i32_f32_e32 v10, v1
.LBB23_1426:
	s_or_b64 exec, exec, s[10:11]
.LBB23_1427:
	s_mov_b64 s[10:11], -1
.LBB23_1428:
	s_mov_b64 s[12:13], 0
.LBB23_1429:
	s_and_b64 vcc, exec, s[12:13]
	s_cbranch_vccz .LBB23_1460
; %bb.1430:
	s_cmp_gt_i32 s16, 22
	s_cbranch_scc0 .LBB23_1438
; %bb.1431:
	s_cmp_lt_i32 s16, 24
	s_cbranch_scc1 .LBB23_1441
; %bb.1432:
	s_cmp_gt_i32 s16, 24
	s_cbranch_scc0 .LBB23_1442
; %bb.1433:
	global_load_ubyte v1, v[16:17], off
	s_movk_i32 s8, 0x7f
	s_mov_b64 s[10:11], 0
	s_waitcnt vmcnt(0)
	v_cmp_lt_i16_e32 vcc, s8, v1
	s_and_saveexec_b64 s[8:9], vcc
	s_xor_b64 s[8:9], exec, s[8:9]
	s_cbranch_execz .LBB23_1454
; %bb.1434:
	s_movk_i32 s10, 0x80
	v_cmp_ne_u16_e32 vcc, s10, v1
	s_and_b64 s[10:11], vcc, exec
	s_andn2_saveexec_b64 s[8:9], s[8:9]
	s_cbranch_execnz .LBB23_1455
.LBB23_1435:
	s_or_b64 exec, exec, s[8:9]
	v_mov_b32_e32 v10, 0
	s_and_saveexec_b64 s[8:9], s[10:11]
	s_cbranch_execz .LBB23_1437
.LBB23_1436:
	v_lshlrev_b32_e32 v3, 24, v1
	v_and_b32_e32 v1, 0xffff, v1
	v_and_b32_e32 v5, 3, v1
	v_ffbh_u32_e32 v9, v5
	v_min_u32_e32 v9, 32, v9
	v_subrev_u32_e32 v10, 29, v9
	v_bfe_u32 v7, v1, 2, 5
	v_lshlrev_b32_e32 v1, v10, v1
	v_sub_u32_e32 v9, 30, v9
	v_and_b32_e32 v1, 3, v1
	v_cmp_eq_u32_e32 vcc, 0, v7
	v_and_b32_e32 v3, 0x80000000, v3
	s_nop 0
	v_cndmask_b32_e32 v7, v7, v9, vcc
	v_cndmask_b32_e32 v1, v5, v1, vcc
	v_mov_b32_e32 v5, 0x37800000
	v_lshlrev_b32_e32 v1, 21, v1
	v_lshl_add_u32 v5, v7, 23, v5
	v_or3_b32 v1, v3, v5, v1
	v_cvt_i32_f32_e32 v10, v1
.LBB23_1437:
	s_or_b64 exec, exec, s[8:9]
	s_mov_b64 s[8:9], 0
	s_branch .LBB23_1443
.LBB23_1438:
	s_mov_b64 s[8:9], -1
                                        ; implicit-def: $vgpr10
	s_branch .LBB23_1449
.LBB23_1439:
	s_andn2_saveexec_b64 s[10:11], s[10:11]
	s_cbranch_execz .LBB23_1424
.LBB23_1440:
	v_cmp_ne_u16_e32 vcc, 0, v1
	s_andn2_b64 s[12:13], s[12:13], exec
	s_and_b64 s[18:19], vcc, exec
	s_or_b64 s[12:13], s[12:13], s[18:19]
	s_or_b64 exec, exec, s[10:11]
	v_mov_b32_e32 v10, 0
	s_and_saveexec_b64 s[10:11], s[12:13]
	s_cbranch_execnz .LBB23_1425
	s_branch .LBB23_1426
.LBB23_1441:
	s_mov_b64 s[8:9], -1
                                        ; implicit-def: $vgpr10
	s_branch .LBB23_1446
.LBB23_1442:
	s_mov_b64 s[8:9], -1
                                        ; implicit-def: $vgpr10
.LBB23_1443:
	s_and_b64 vcc, exec, s[8:9]
	s_cbranch_vccz .LBB23_1445
; %bb.1444:
	global_load_ubyte v1, v[16:17], off
	s_mov_b32 s8, 0x7f800000
	s_waitcnt vmcnt(0)
	v_lshlrev_b32_e32 v1, 24, v1
	v_and_b32_e32 v3, 0x7f000000, v1
	v_ffbh_u32_e32 v5, v3
	v_min_u32_e32 v5, 32, v5
	v_sub_u32_e64 v5, v5, 4 clamp
	v_lshlrev_b32_e32 v9, v5, v3
	v_lshlrev_b32_e32 v5, 23, v5
	v_lshrrev_b32_e32 v9, 4, v9
	v_add_u32_e32 v7, 0x1000000, v3
	v_sub_u32_e32 v5, v9, v5
	v_ashrrev_i32_e32 v7, 8, v7
	v_add_u32_e32 v5, 0x3c000000, v5
	v_and_or_b32 v5, v7, s8, v5
	v_cmp_ne_u32_e32 vcc, 0, v3
	s_brev_b32 s8, 1
	s_nop 0
	v_cndmask_b32_e32 v3, 0, v5, vcc
	v_and_or_b32 v1, v1, s8, v3
	v_cvt_i32_f32_e32 v10, v1
.LBB23_1445:
	s_mov_b64 s[8:9], 0
.LBB23_1446:
	s_andn2_b64 vcc, exec, s[8:9]
	s_cbranch_vccnz .LBB23_1448
; %bb.1447:
	global_load_ubyte v1, v[16:17], off
	s_movk_i32 s8, 0x7f00
	s_brev_b32 s9, 16
	s_waitcnt vmcnt(0)
	v_lshlrev_b16_e32 v3, 8, v1
	v_lshlrev_b32_e32 v1, 25, v1
	v_lshrrev_b32_e32 v5, 4, v1
	v_and_or_b32 v7, v3, s8, 0.5
	v_or_b32_e32 v5, 0x70000000, v5
	v_add_f32_e32 v7, -0.5, v7
	v_mul_f32_e32 v5, 0x7800000, v5
	v_cmp_gt_u32_e32 vcc, s9, v1
	v_bfe_i32 v3, v3, 0, 16
	s_brev_b32 s8, 1
	v_cndmask_b32_e32 v1, v5, v7, vcc
	v_and_or_b32 v1, v3, s8, v1
	v_cvt_i32_f32_e32 v10, v1
.LBB23_1448:
	s_mov_b64 s[8:9], 0
	s_mov_b64 s[10:11], -1
.LBB23_1449:
	s_andn2_b64 vcc, exec, s[8:9]
	s_mov_b64 s[8:9], 0
	s_cbranch_vccnz .LBB23_1460
; %bb.1450:
	s_cmp_gt_i32 s16, 14
	s_cbranch_scc0 .LBB23_1453
; %bb.1451:
	s_cmp_eq_u32 s16, 15
	s_cbranch_scc0 .LBB23_1456
; %bb.1452:
	global_load_ushort v1, v[16:17], off
	s_mov_b64 s[0:1], 0
	s_mov_b64 s[10:11], -1
	s_waitcnt vmcnt(0)
	v_lshlrev_b32_e32 v1, 16, v1
	v_cvt_i32_f32_e32 v10, v1
	s_branch .LBB23_1457
.LBB23_1453:
	s_mov_b64 s[12:13], -1
                                        ; implicit-def: $vgpr10
	s_branch .LBB23_1458
.LBB23_1454:
	s_andn2_saveexec_b64 s[8:9], s[8:9]
	s_cbranch_execz .LBB23_1435
.LBB23_1455:
	v_cmp_ne_u16_e32 vcc, 0, v1
	s_andn2_b64 s[10:11], s[10:11], exec
	s_and_b64 s[12:13], vcc, exec
	s_or_b64 s[10:11], s[10:11], s[12:13]
	s_or_b64 exec, exec, s[8:9]
	v_mov_b32_e32 v10, 0
	s_and_saveexec_b64 s[8:9], s[10:11]
	s_cbranch_execnz .LBB23_1436
	s_branch .LBB23_1437
.LBB23_1456:
	s_mov_b64 s[0:1], -1
                                        ; implicit-def: $vgpr10
.LBB23_1457:
	s_mov_b64 s[12:13], 0
.LBB23_1458:
	s_and_b64 vcc, exec, s[12:13]
	s_cbranch_vccz .LBB23_1460
; %bb.1459:
	s_cmp_lg_u32 s16, 11
	s_mov_b64 s[8:9], -1
	s_cselect_b64 s[0:1], -1, 0
.LBB23_1460:
	s_and_b64 vcc, exec, s[0:1]
	s_cbranch_vccnz .LBB23_1558
; %bb.1461:
	s_andn2_b64 vcc, exec, s[8:9]
	s_cbranch_vccnz .LBB23_1463
.LBB23_1462:
	global_load_ubyte v1, v[16:17], off
	s_mov_b64 s[10:11], -1
	s_waitcnt vmcnt(0)
	v_cmp_ne_u16_e32 vcc, 0, v1
	s_nop 1
	v_cndmask_b32_e64 v10, 0, 1, vcc
.LBB23_1463:
	s_branch .LBB23_1383
.LBB23_1464:
	s_and_b32 s8, 0xffff, s15
	s_cmp_lt_i32 s8, 5
	s_cbranch_scc1 .LBB23_1469
; %bb.1465:
	s_cmp_lt_i32 s8, 8
	s_cbranch_scc1 .LBB23_1470
; %bb.1466:
	;; [unrolled: 3-line block ×3, first 2 shown]
	s_cmp_gt_i32 s8, 9
	s_cbranch_scc0 .LBB23_1472
; %bb.1468:
	global_load_dwordx2 v[10:11], v[16:17], off
	s_mov_b64 s[0:1], 0
	s_waitcnt vmcnt(0)
	v_cvt_i32_f64_e32 v10, v[10:11]
	s_branch .LBB23_1473
.LBB23_1469:
	s_mov_b64 s[0:1], -1
                                        ; implicit-def: $vgpr10
	s_branch .LBB23_1491
.LBB23_1470:
	s_mov_b64 s[0:1], -1
                                        ; implicit-def: $vgpr10
	s_branch .LBB23_1479
.LBB23_1471:
	s_mov_b64 s[0:1], -1
                                        ; implicit-def: $vgpr10
	s_branch .LBB23_1476
.LBB23_1472:
	s_mov_b64 s[0:1], -1
                                        ; implicit-def: $vgpr10
.LBB23_1473:
	s_andn2_b64 vcc, exec, s[0:1]
	s_cbranch_vccnz .LBB23_1475
; %bb.1474:
	global_load_dword v1, v[16:17], off
	s_waitcnt vmcnt(0)
	v_cvt_i32_f32_e32 v10, v1
.LBB23_1475:
	s_mov_b64 s[0:1], 0
.LBB23_1476:
	s_andn2_b64 vcc, exec, s[0:1]
	s_cbranch_vccnz .LBB23_1478
; %bb.1477:
	global_load_dword v1, v[16:17], off
	s_waitcnt vmcnt(0)
	v_cvt_i16_f16_e32 v10, v1
.LBB23_1478:
	s_mov_b64 s[0:1], 0
.LBB23_1479:
	s_andn2_b64 vcc, exec, s[0:1]
	s_cbranch_vccnz .LBB23_1490
; %bb.1480:
	s_cmp_lt_i32 s8, 6
	s_cbranch_scc1 .LBB23_1483
; %bb.1481:
	s_cmp_gt_i32 s8, 6
	s_cbranch_scc0 .LBB23_1484
; %bb.1482:
	global_load_dwordx2 v[10:11], v[16:17], off
	s_mov_b64 s[0:1], 0
	s_waitcnt vmcnt(0)
	v_cvt_i32_f64_e32 v10, v[10:11]
	s_branch .LBB23_1485
.LBB23_1483:
	s_mov_b64 s[0:1], -1
                                        ; implicit-def: $vgpr10
	s_branch .LBB23_1488
.LBB23_1484:
	s_mov_b64 s[0:1], -1
                                        ; implicit-def: $vgpr10
.LBB23_1485:
	s_andn2_b64 vcc, exec, s[0:1]
	s_cbranch_vccnz .LBB23_1487
; %bb.1486:
	global_load_dword v1, v[16:17], off
	s_waitcnt vmcnt(0)
	v_cvt_i32_f32_e32 v10, v1
.LBB23_1487:
	s_mov_b64 s[0:1], 0
.LBB23_1488:
	s_andn2_b64 vcc, exec, s[0:1]
	s_cbranch_vccnz .LBB23_1490
; %bb.1489:
	global_load_ushort v1, v[16:17], off
	s_waitcnt vmcnt(0)
	v_cvt_i16_f16_e32 v10, v1
.LBB23_1490:
	s_mov_b64 s[0:1], 0
.LBB23_1491:
	s_andn2_b64 vcc, exec, s[0:1]
	s_cbranch_vccnz .LBB23_1511
; %bb.1492:
	s_cmp_lt_i32 s8, 2
	s_cbranch_scc1 .LBB23_1496
; %bb.1493:
	s_cmp_lt_i32 s8, 3
	s_cbranch_scc1 .LBB23_1497
; %bb.1494:
	s_cmp_gt_i32 s8, 3
	s_cbranch_scc0 .LBB23_1498
; %bb.1495:
	global_load_dwordx2 v[10:11], v[16:17], off
	s_mov_b64 s[0:1], 0
	s_branch .LBB23_1499
.LBB23_1496:
	s_mov_b64 s[0:1], -1
                                        ; implicit-def: $vgpr10
	s_branch .LBB23_1505
.LBB23_1497:
	s_mov_b64 s[0:1], -1
                                        ; implicit-def: $vgpr10
	s_branch .LBB23_1502
.LBB23_1498:
	s_mov_b64 s[0:1], -1
                                        ; implicit-def: $vgpr10
.LBB23_1499:
	s_andn2_b64 vcc, exec, s[0:1]
	s_cbranch_vccnz .LBB23_1501
; %bb.1500:
	global_load_dword v10, v[16:17], off
.LBB23_1501:
	s_mov_b64 s[0:1], 0
.LBB23_1502:
	s_andn2_b64 vcc, exec, s[0:1]
	s_cbranch_vccnz .LBB23_1504
; %bb.1503:
	global_load_ushort v10, v[16:17], off
.LBB23_1504:
	s_mov_b64 s[0:1], 0
.LBB23_1505:
	s_andn2_b64 vcc, exec, s[0:1]
	s_cbranch_vccnz .LBB23_1511
; %bb.1506:
	s_cmp_gt_i32 s8, 0
	s_cbranch_scc0 .LBB23_1508
; %bb.1507:
	global_load_ubyte v10, v[16:17], off
	s_mov_b64 s[0:1], 0
	s_branch .LBB23_1509
.LBB23_1508:
	s_mov_b64 s[0:1], -1
                                        ; implicit-def: $vgpr10
.LBB23_1509:
	s_andn2_b64 vcc, exec, s[0:1]
	s_cbranch_vccnz .LBB23_1511
; %bb.1510:
	global_load_ubyte v10, v[16:17], off
.LBB23_1511:
	s_branch .LBB23_1384
.LBB23_1512:
	s_mov_b64 s[0:1], 0
                                        ; implicit-def: $vgpr0_vgpr1
                                        ; implicit-def: $sgpr14
                                        ; implicit-def: $vgpr2
                                        ; implicit-def: $vgpr8
.LBB23_1513:
	s_mov_b64 s[4:5], 0
.LBB23_1514:
	s_and_b64 s[6:7], s[0:1], exec
	s_andn2_b64 s[0:1], s[24:25], exec
	s_and_b64 s[2:3], s[2:3], exec
	s_and_b64 s[40:41], s[4:5], exec
	s_or_b64 s[24:25], s[0:1], s[2:3]
.LBB23_1515:
	s_or_b64 exec, exec, s[26:27]
	s_and_saveexec_b64 s[0:1], s[24:25]
	s_cbranch_execz .LBB23_1518
; %bb.1516:
	; divergent unreachable
	s_or_b64 exec, exec, s[0:1]
	s_and_saveexec_b64 s[0:1], s[40:41]
	s_xor_b64 s[0:1], exec, s[0:1]
	s_cbranch_execnz .LBB23_1519
.LBB23_1517:
	s_or_b64 exec, exec, s[0:1]
	s_and_saveexec_b64 s[0:1], s[6:7]
	s_cbranch_execnz .LBB23_1520
	s_branch .LBB23_1557
.LBB23_1518:
	s_or_b64 exec, exec, s[0:1]
	s_and_saveexec_b64 s[0:1], s[40:41]
	s_xor_b64 s[0:1], exec, s[0:1]
	s_cbranch_execz .LBB23_1517
.LBB23_1519:
	s_movk_i32 s2, 0xff
	s_waitcnt vmcnt(0)
	v_cmp_ne_u16_sdwa s[2:3], v8, s2 src0_sel:BYTE_0 src1_sel:DWORD
	s_nop 1
	v_cndmask_b32_e64 v3, 0, 1, s[2:3]
	global_store_byte v[0:1], v3, off
	s_or_b64 exec, exec, s[0:1]
	s_and_saveexec_b64 s[0:1], s[6:7]
	s_cbranch_execz .LBB23_1557
.LBB23_1520:
	s_sext_i32_i16 s2, s14
	s_cmp_lt_i32 s2, 5
	s_mov_b64 s[0:1], -1
	s_cbranch_scc1 .LBB23_1541
; %bb.1521:
	s_cmp_lt_i32 s2, 8
	s_cbranch_scc1 .LBB23_1531
; %bb.1522:
	s_cmp_lt_i32 s2, 9
	s_cbranch_scc1 .LBB23_1528
; %bb.1523:
	s_cmp_gt_i32 s2, 9
	s_cbranch_scc0 .LBB23_1525
; %bb.1524:
	v_bfe_i32 v3, v2, 0, 8
	v_bfe_i32 v3, v3, 0, 16
	v_mov_b32_e32 v6, 0
	v_cvt_f64_i32_e32 v[4:5], v3
	v_mov_b32_e32 v7, v6
	s_waitcnt vmcnt(0)
	global_store_dwordx4 v[0:1], v[4:7], off
	s_mov_b64 s[0:1], 0
.LBB23_1525:
	s_andn2_b64 vcc, exec, s[0:1]
	s_cbranch_vccnz .LBB23_1527
; %bb.1526:
	v_bfe_i32 v3, v2, 0, 8
	v_cvt_f32_i32_sdwa v4, sext(v3) dst_sel:DWORD dst_unused:UNUSED_PAD src0_sel:WORD_0
	v_mov_b32_e32 v5, 0
	s_waitcnt vmcnt(0)
	global_store_dwordx2 v[0:1], v[4:5], off
.LBB23_1527:
	s_mov_b64 s[0:1], 0
.LBB23_1528:
	s_andn2_b64 vcc, exec, s[0:1]
	s_cbranch_vccnz .LBB23_1530
; %bb.1529:
	v_cvt_f16_i16_sdwa v3, sext(v2) dst_sel:DWORD dst_unused:UNUSED_PAD src0_sel:BYTE_0
	s_waitcnt vmcnt(0)
	global_store_dword v[0:1], v3, off
.LBB23_1530:
	s_mov_b64 s[0:1], 0
.LBB23_1531:
	s_andn2_b64 vcc, exec, s[0:1]
	s_cbranch_vccnz .LBB23_1540
; %bb.1532:
	s_sext_i32_i16 s2, s14
	s_cmp_lt_i32 s2, 6
	s_mov_b64 s[0:1], -1
	s_cbranch_scc1 .LBB23_1538
; %bb.1533:
	s_cmp_gt_i32 s2, 6
	s_cbranch_scc0 .LBB23_1535
; %bb.1534:
	v_bfe_i32 v3, v2, 0, 8
	v_bfe_i32 v3, v3, 0, 16
	v_cvt_f64_i32_e32 v[4:5], v3
	s_waitcnt vmcnt(0)
	global_store_dwordx2 v[0:1], v[4:5], off
	s_mov_b64 s[0:1], 0
.LBB23_1535:
	s_andn2_b64 vcc, exec, s[0:1]
	s_cbranch_vccnz .LBB23_1537
; %bb.1536:
	v_bfe_i32 v3, v2, 0, 8
	v_cvt_f32_i32_sdwa v3, sext(v3) dst_sel:DWORD dst_unused:UNUSED_PAD src0_sel:WORD_0
	s_waitcnt vmcnt(0)
	global_store_dword v[0:1], v3, off
.LBB23_1537:
	s_mov_b64 s[0:1], 0
.LBB23_1538:
	s_andn2_b64 vcc, exec, s[0:1]
	s_cbranch_vccnz .LBB23_1540
; %bb.1539:
	v_cvt_f16_i16_sdwa v3, sext(v2) dst_sel:DWORD dst_unused:UNUSED_PAD src0_sel:BYTE_0
	s_waitcnt vmcnt(0)
	global_store_short v[0:1], v3, off
.LBB23_1540:
	s_mov_b64 s[0:1], 0
.LBB23_1541:
	s_andn2_b64 vcc, exec, s[0:1]
	s_cbranch_vccnz .LBB23_1557
; %bb.1542:
	s_sext_i32_i16 s2, s14
	s_cmp_lt_i32 s2, 2
	s_mov_b64 s[0:1], -1
	s_cbranch_scc1 .LBB23_1552
; %bb.1543:
	s_cmp_lt_i32 s2, 3
	s_cbranch_scc1 .LBB23_1549
; %bb.1544:
	s_cmp_gt_i32 s2, 3
	s_cbranch_scc0 .LBB23_1546
; %bb.1545:
	v_bfe_i32 v4, v2, 0, 8
	v_ashrrev_i32_e32 v5, 31, v4
	s_waitcnt vmcnt(0)
	global_store_dwordx2 v[0:1], v[4:5], off
	s_mov_b64 s[0:1], 0
.LBB23_1546:
	s_andn2_b64 vcc, exec, s[0:1]
	s_cbranch_vccnz .LBB23_1548
; %bb.1547:
	v_bfe_i32 v3, v2, 0, 8
	s_waitcnt vmcnt(0)
	global_store_dword v[0:1], v3, off
.LBB23_1548:
	s_mov_b64 s[0:1], 0
.LBB23_1549:
	s_andn2_b64 vcc, exec, s[0:1]
	s_cbranch_vccnz .LBB23_1551
; %bb.1550:
	v_bfe_i32 v3, v2, 0, 8
	s_waitcnt vmcnt(0)
	global_store_short v[0:1], v3, off
.LBB23_1551:
	s_mov_b64 s[0:1], 0
.LBB23_1552:
	s_andn2_b64 vcc, exec, s[0:1]
	s_cbranch_vccnz .LBB23_1557
; %bb.1553:
	s_sext_i32_i16 s0, s14
	s_cmp_gt_i32 s0, 0
	s_mov_b64 s[0:1], -1
	s_cbranch_scc0 .LBB23_1555
; %bb.1554:
	s_waitcnt vmcnt(0)
	global_store_byte v[0:1], v2, off
	s_mov_b64 s[0:1], 0
.LBB23_1555:
	s_andn2_b64 vcc, exec, s[0:1]
	s_cbranch_vccnz .LBB23_1557
; %bb.1556:
	s_waitcnt vmcnt(0)
	global_store_byte v[0:1], v2, off
	s_endpgm
.LBB23_1557:
	s_endpgm
.LBB23_1558:
	s_trap 2
	s_or_b64 s[2:3], s[2:3], exec
	s_cbranch_execz .LBB23_1462
	s_branch .LBB23_1463
.LBB23_1559:
	s_mov_b64 s[0:1], -1
                                        ; implicit-def: $vgpr8
	s_mov_b64 s[8:9], 0
.LBB23_1560:
	s_and_b64 vcc, exec, s[10:11]
	s_cbranch_vccz .LBB23_1564
; %bb.1561:
	s_cmp_eq_u32 s12, 44
	s_cbranch_scc0 .LBB23_1563
; %bb.1562:
	global_load_ubyte v1, v[16:17], off
	s_mov_b64 s[0:1], 0
	s_mov_b64 s[8:9], -1
	s_waitcnt vmcnt(0)
	v_lshlrev_b32_e32 v3, 23, v1
	v_cvt_i32_f32_e32 v3, v3
	v_cmp_ne_u32_e32 vcc, 0, v1
	s_nop 1
	v_cndmask_b32_e32 v8, 0, v3, vcc
	s_branch .LBB23_1564
.LBB23_1563:
	s_mov_b64 s[0:1], -1
                                        ; implicit-def: $vgpr8
.LBB23_1564:
	s_mov_b64 s[10:11], 0
.LBB23_1565:
	s_and_b64 vcc, exec, s[10:11]
	s_cbranch_vccz .LBB23_1569
; %bb.1566:
	s_cmp_eq_u32 s12, 29
	s_cbranch_scc0 .LBB23_1568
; %bb.1567:
	global_load_dwordx2 v[8:9], v[16:17], off
	s_mov_b64 s[0:1], 0
	s_mov_b64 s[8:9], -1
	s_branch .LBB23_1569
.LBB23_1568:
	s_mov_b64 s[0:1], -1
                                        ; implicit-def: $vgpr8
.LBB23_1569:
	s_mov_b64 s[10:11], 0
.LBB23_1570:
	s_and_b64 vcc, exec, s[10:11]
	s_cbranch_vccz .LBB23_1586
; %bb.1571:
	s_cmp_lt_i32 s12, 27
	s_cbranch_scc1 .LBB23_1574
; %bb.1572:
	s_cmp_gt_i32 s12, 27
	s_cbranch_scc0 .LBB23_1575
; %bb.1573:
	global_load_dword v8, v[16:17], off
	s_mov_b64 s[8:9], 0
	s_branch .LBB23_1576
.LBB23_1574:
	s_mov_b64 s[8:9], -1
                                        ; implicit-def: $vgpr8
	s_branch .LBB23_1579
.LBB23_1575:
	s_mov_b64 s[8:9], -1
                                        ; implicit-def: $vgpr8
.LBB23_1576:
	s_andn2_b64 vcc, exec, s[8:9]
	s_cbranch_vccnz .LBB23_1578
; %bb.1577:
	global_load_ushort v8, v[16:17], off
.LBB23_1578:
	s_mov_b64 s[8:9], 0
.LBB23_1579:
	s_andn2_b64 vcc, exec, s[8:9]
	s_cbranch_vccnz .LBB23_1585
; %bb.1580:
	global_load_ubyte v1, v[16:17], off
	s_movk_i32 s8, 0x7f
	s_mov_b64 s[10:11], 0
	s_waitcnt vmcnt(0)
	v_cmp_lt_i16_e32 vcc, s8, v1
	s_and_saveexec_b64 s[8:9], vcc
	s_xor_b64 s[8:9], exec, s[8:9]
	s_cbranch_execz .LBB23_1597
; %bb.1581:
	s_movk_i32 s10, 0x80
	v_cmp_ne_u16_e32 vcc, s10, v1
	s_and_b64 s[10:11], vcc, exec
	s_andn2_saveexec_b64 s[8:9], s[8:9]
	s_cbranch_execnz .LBB23_1598
.LBB23_1582:
	s_or_b64 exec, exec, s[8:9]
	v_mov_b32_e32 v8, 0
	s_and_saveexec_b64 s[8:9], s[10:11]
	s_cbranch_execz .LBB23_1584
.LBB23_1583:
	v_lshlrev_b32_e32 v3, 24, v1
	v_and_b32_e32 v1, 0xffff, v1
	v_and_b32_e32 v5, 7, v1
	v_ffbh_u32_e32 v8, v5
	v_min_u32_e32 v8, 32, v8
	v_subrev_u32_e32 v9, 28, v8
	v_bfe_u32 v7, v1, 3, 4
	v_lshlrev_b32_e32 v1, v9, v1
	v_sub_u32_e32 v8, 29, v8
	v_and_b32_e32 v1, 7, v1
	v_cmp_eq_u32_e32 vcc, 0, v7
	v_and_b32_e32 v3, 0x80000000, v3
	s_nop 0
	v_cndmask_b32_e32 v7, v7, v8, vcc
	v_cndmask_b32_e32 v1, v5, v1, vcc
	v_mov_b32_e32 v5, 0x3b800000
	v_lshlrev_b32_e32 v1, 20, v1
	v_lshl_add_u32 v5, v7, 23, v5
	v_or3_b32 v1, v3, v5, v1
	v_cvt_i32_f32_e32 v8, v1
.LBB23_1584:
	s_or_b64 exec, exec, s[8:9]
.LBB23_1585:
	s_mov_b64 s[8:9], -1
.LBB23_1586:
	s_mov_b64 s[10:11], 0
.LBB23_1587:
	s_and_b64 vcc, exec, s[10:11]
	s_cbranch_vccz .LBB23_1618
; %bb.1588:
	s_cmp_gt_i32 s12, 22
	s_cbranch_scc0 .LBB23_1596
; %bb.1589:
	s_cmp_lt_i32 s12, 24
	s_cbranch_scc1 .LBB23_1599
; %bb.1590:
	s_cmp_gt_i32 s12, 24
	s_cbranch_scc0 .LBB23_1600
; %bb.1591:
	global_load_ubyte v1, v[16:17], off
	s_movk_i32 s6, 0x7f
	s_mov_b64 s[8:9], 0
	s_waitcnt vmcnt(0)
	v_cmp_lt_i16_e32 vcc, s6, v1
	s_and_saveexec_b64 s[6:7], vcc
	s_xor_b64 s[6:7], exec, s[6:7]
	s_cbranch_execz .LBB23_1612
; %bb.1592:
	s_movk_i32 s8, 0x80
	v_cmp_ne_u16_e32 vcc, s8, v1
	s_and_b64 s[8:9], vcc, exec
	s_andn2_saveexec_b64 s[6:7], s[6:7]
	s_cbranch_execnz .LBB23_1613
.LBB23_1593:
	s_or_b64 exec, exec, s[6:7]
	v_mov_b32_e32 v8, 0
	s_and_saveexec_b64 s[6:7], s[8:9]
	s_cbranch_execz .LBB23_1595
.LBB23_1594:
	v_lshlrev_b32_e32 v3, 24, v1
	v_and_b32_e32 v1, 0xffff, v1
	v_and_b32_e32 v5, 3, v1
	v_ffbh_u32_e32 v8, v5
	v_min_u32_e32 v8, 32, v8
	v_subrev_u32_e32 v9, 29, v8
	v_bfe_u32 v7, v1, 2, 5
	v_lshlrev_b32_e32 v1, v9, v1
	v_sub_u32_e32 v8, 30, v8
	v_and_b32_e32 v1, 3, v1
	v_cmp_eq_u32_e32 vcc, 0, v7
	v_and_b32_e32 v3, 0x80000000, v3
	s_nop 0
	v_cndmask_b32_e32 v7, v7, v8, vcc
	v_cndmask_b32_e32 v1, v5, v1, vcc
	v_mov_b32_e32 v5, 0x37800000
	v_lshlrev_b32_e32 v1, 21, v1
	v_lshl_add_u32 v5, v7, 23, v5
	v_or3_b32 v1, v3, v5, v1
	v_cvt_i32_f32_e32 v8, v1
.LBB23_1595:
	s_or_b64 exec, exec, s[6:7]
	s_mov_b64 s[6:7], 0
	s_branch .LBB23_1601
.LBB23_1596:
	s_mov_b64 s[6:7], -1
                                        ; implicit-def: $vgpr8
	s_branch .LBB23_1607
.LBB23_1597:
	s_andn2_saveexec_b64 s[8:9], s[8:9]
	s_cbranch_execz .LBB23_1582
.LBB23_1598:
	v_cmp_ne_u16_e32 vcc, 0, v1
	s_andn2_b64 s[10:11], s[10:11], exec
	s_and_b64 s[16:17], vcc, exec
	s_or_b64 s[10:11], s[10:11], s[16:17]
	s_or_b64 exec, exec, s[8:9]
	v_mov_b32_e32 v8, 0
	s_and_saveexec_b64 s[8:9], s[10:11]
	s_cbranch_execnz .LBB23_1583
	s_branch .LBB23_1584
.LBB23_1599:
	s_mov_b64 s[6:7], -1
                                        ; implicit-def: $vgpr8
	s_branch .LBB23_1604
.LBB23_1600:
	s_mov_b64 s[6:7], -1
                                        ; implicit-def: $vgpr8
.LBB23_1601:
	s_and_b64 vcc, exec, s[6:7]
	s_cbranch_vccz .LBB23_1603
; %bb.1602:
	global_load_ubyte v1, v[16:17], off
	s_mov_b32 s6, 0x7f800000
	s_waitcnt vmcnt(0)
	v_lshlrev_b32_e32 v1, 24, v1
	v_and_b32_e32 v3, 0x7f000000, v1
	v_ffbh_u32_e32 v5, v3
	v_min_u32_e32 v5, 32, v5
	v_sub_u32_e64 v5, v5, 4 clamp
	v_lshlrev_b32_e32 v8, v5, v3
	v_lshlrev_b32_e32 v5, 23, v5
	v_lshrrev_b32_e32 v8, 4, v8
	v_add_u32_e32 v7, 0x1000000, v3
	v_sub_u32_e32 v5, v8, v5
	v_ashrrev_i32_e32 v7, 8, v7
	v_add_u32_e32 v5, 0x3c000000, v5
	v_and_or_b32 v5, v7, s6, v5
	v_cmp_ne_u32_e32 vcc, 0, v3
	s_brev_b32 s6, 1
	s_nop 0
	v_cndmask_b32_e32 v3, 0, v5, vcc
	v_and_or_b32 v1, v1, s6, v3
	v_cvt_i32_f32_e32 v8, v1
.LBB23_1603:
	s_mov_b64 s[6:7], 0
.LBB23_1604:
	s_andn2_b64 vcc, exec, s[6:7]
	s_cbranch_vccnz .LBB23_1606
; %bb.1605:
	global_load_ubyte v1, v[16:17], off
	s_movk_i32 s6, 0x7f00
	s_brev_b32 s7, 16
	s_waitcnt vmcnt(0)
	v_lshlrev_b16_e32 v3, 8, v1
	v_lshlrev_b32_e32 v1, 25, v1
	v_lshrrev_b32_e32 v5, 4, v1
	v_and_or_b32 v7, v3, s6, 0.5
	v_or_b32_e32 v5, 0x70000000, v5
	v_add_f32_e32 v7, -0.5, v7
	v_mul_f32_e32 v5, 0x7800000, v5
	v_cmp_gt_u32_e32 vcc, s7, v1
	v_bfe_i32 v3, v3, 0, 16
	s_brev_b32 s6, 1
	v_cndmask_b32_e32 v1, v5, v7, vcc
	v_and_or_b32 v1, v3, s6, v1
	v_cvt_i32_f32_e32 v8, v1
.LBB23_1606:
	s_mov_b64 s[6:7], 0
	s_mov_b64 s[8:9], -1
.LBB23_1607:
	s_andn2_b64 vcc, exec, s[6:7]
	s_mov_b64 s[6:7], 0
	s_cbranch_vccnz .LBB23_1618
; %bb.1608:
	s_cmp_gt_i32 s12, 14
	s_cbranch_scc0 .LBB23_1611
; %bb.1609:
	s_cmp_eq_u32 s12, 15
	s_cbranch_scc0 .LBB23_1614
; %bb.1610:
	global_load_ushort v1, v[16:17], off
	s_mov_b64 s[0:1], 0
	s_mov_b64 s[8:9], -1
	s_waitcnt vmcnt(0)
	v_lshlrev_b32_e32 v1, 16, v1
	v_cvt_i32_f32_e32 v8, v1
	s_branch .LBB23_1615
.LBB23_1611:
	s_mov_b64 s[10:11], -1
                                        ; implicit-def: $vgpr8
	s_branch .LBB23_1616
.LBB23_1612:
	s_andn2_saveexec_b64 s[6:7], s[6:7]
	s_cbranch_execz .LBB23_1593
.LBB23_1613:
	v_cmp_ne_u16_e32 vcc, 0, v1
	s_andn2_b64 s[8:9], s[8:9], exec
	s_and_b64 s[10:11], vcc, exec
	s_or_b64 s[8:9], s[8:9], s[10:11]
	s_or_b64 exec, exec, s[6:7]
	v_mov_b32_e32 v8, 0
	s_and_saveexec_b64 s[6:7], s[8:9]
	s_cbranch_execnz .LBB23_1594
	s_branch .LBB23_1595
.LBB23_1614:
	s_mov_b64 s[0:1], -1
                                        ; implicit-def: $vgpr8
.LBB23_1615:
	s_mov_b64 s[10:11], 0
.LBB23_1616:
	s_and_b64 vcc, exec, s[10:11]
	s_cbranch_vccz .LBB23_1618
; %bb.1617:
	s_cmp_lg_u32 s12, 11
	s_mov_b64 s[6:7], -1
	s_cselect_b64 s[0:1], -1, 0
.LBB23_1618:
	s_and_b64 vcc, exec, s[0:1]
	s_cbranch_vccnz .LBB23_2107
; %bb.1619:
	s_andn2_b64 vcc, exec, s[6:7]
	s_cbranch_vccnz .LBB23_1621
.LBB23_1620:
	global_load_ubyte v1, v[16:17], off
	s_mov_b64 s[8:9], -1
	s_waitcnt vmcnt(0)
	v_cmp_ne_u16_e32 vcc, 0, v1
	s_nop 1
	v_cndmask_b32_e64 v8, 0, 1, vcc
.LBB23_1621:
	s_mov_b64 s[0:1], 0
.LBB23_1622:
	s_and_b64 vcc, exec, s[0:1]
	s_cbranch_vccz .LBB23_1671
; %bb.1623:
	s_and_b32 s6, 0xffff, s15
	s_cmp_lt_i32 s6, 5
	s_cbranch_scc1 .LBB23_1628
; %bb.1624:
	s_cmp_lt_i32 s6, 8
	s_cbranch_scc1 .LBB23_1629
; %bb.1625:
	;; [unrolled: 3-line block ×3, first 2 shown]
	s_cmp_gt_i32 s6, 9
	s_cbranch_scc0 .LBB23_1631
; %bb.1627:
	global_load_dwordx2 v[8:9], v[16:17], off
	s_mov_b64 s[0:1], 0
	s_waitcnt vmcnt(0)
	v_cvt_i32_f64_e32 v8, v[8:9]
	s_branch .LBB23_1632
.LBB23_1628:
	s_mov_b64 s[0:1], -1
                                        ; implicit-def: $vgpr8
	s_branch .LBB23_1650
.LBB23_1629:
	s_mov_b64 s[0:1], -1
                                        ; implicit-def: $vgpr8
	s_branch .LBB23_1638
.LBB23_1630:
	s_mov_b64 s[0:1], -1
                                        ; implicit-def: $vgpr8
	s_branch .LBB23_1635
.LBB23_1631:
	s_mov_b64 s[0:1], -1
                                        ; implicit-def: $vgpr8
.LBB23_1632:
	s_andn2_b64 vcc, exec, s[0:1]
	s_cbranch_vccnz .LBB23_1634
; %bb.1633:
	global_load_dword v1, v[16:17], off
	s_waitcnt vmcnt(0)
	v_cvt_i32_f32_e32 v8, v1
.LBB23_1634:
	s_mov_b64 s[0:1], 0
.LBB23_1635:
	s_andn2_b64 vcc, exec, s[0:1]
	s_cbranch_vccnz .LBB23_1637
; %bb.1636:
	global_load_dword v1, v[16:17], off
	s_waitcnt vmcnt(0)
	v_cvt_i16_f16_e32 v8, v1
.LBB23_1637:
	s_mov_b64 s[0:1], 0
.LBB23_1638:
	s_andn2_b64 vcc, exec, s[0:1]
	s_cbranch_vccnz .LBB23_1649
; %bb.1639:
	s_cmp_lt_i32 s6, 6
	s_cbranch_scc1 .LBB23_1642
; %bb.1640:
	s_cmp_gt_i32 s6, 6
	s_cbranch_scc0 .LBB23_1643
; %bb.1641:
	global_load_dwordx2 v[8:9], v[16:17], off
	s_mov_b64 s[0:1], 0
	s_waitcnt vmcnt(0)
	v_cvt_i32_f64_e32 v8, v[8:9]
	s_branch .LBB23_1644
.LBB23_1642:
	s_mov_b64 s[0:1], -1
                                        ; implicit-def: $vgpr8
	s_branch .LBB23_1647
.LBB23_1643:
	s_mov_b64 s[0:1], -1
                                        ; implicit-def: $vgpr8
.LBB23_1644:
	s_andn2_b64 vcc, exec, s[0:1]
	s_cbranch_vccnz .LBB23_1646
; %bb.1645:
	global_load_dword v1, v[16:17], off
	s_waitcnt vmcnt(0)
	v_cvt_i32_f32_e32 v8, v1
.LBB23_1646:
	s_mov_b64 s[0:1], 0
.LBB23_1647:
	s_andn2_b64 vcc, exec, s[0:1]
	s_cbranch_vccnz .LBB23_1649
; %bb.1648:
	global_load_ushort v1, v[16:17], off
	s_waitcnt vmcnt(0)
	v_cvt_i16_f16_e32 v8, v1
.LBB23_1649:
	s_mov_b64 s[0:1], 0
.LBB23_1650:
	s_andn2_b64 vcc, exec, s[0:1]
	s_cbranch_vccnz .LBB23_1670
; %bb.1651:
	s_cmp_lt_i32 s6, 2
	s_cbranch_scc1 .LBB23_1655
; %bb.1652:
	s_cmp_lt_i32 s6, 3
	s_cbranch_scc1 .LBB23_1656
; %bb.1653:
	s_cmp_gt_i32 s6, 3
	s_cbranch_scc0 .LBB23_1657
; %bb.1654:
	global_load_dwordx2 v[8:9], v[16:17], off
	s_mov_b64 s[0:1], 0
	s_branch .LBB23_1658
.LBB23_1655:
	s_mov_b64 s[0:1], -1
                                        ; implicit-def: $vgpr8
	s_branch .LBB23_1664
.LBB23_1656:
	s_mov_b64 s[0:1], -1
                                        ; implicit-def: $vgpr8
	s_branch .LBB23_1661
.LBB23_1657:
	s_mov_b64 s[0:1], -1
                                        ; implicit-def: $vgpr8
.LBB23_1658:
	s_andn2_b64 vcc, exec, s[0:1]
	s_cbranch_vccnz .LBB23_1660
; %bb.1659:
	global_load_dword v8, v[16:17], off
.LBB23_1660:
	s_mov_b64 s[0:1], 0
.LBB23_1661:
	s_andn2_b64 vcc, exec, s[0:1]
	s_cbranch_vccnz .LBB23_1663
; %bb.1662:
	global_load_ushort v8, v[16:17], off
.LBB23_1663:
	s_mov_b64 s[0:1], 0
.LBB23_1664:
	s_andn2_b64 vcc, exec, s[0:1]
	s_cbranch_vccnz .LBB23_1670
; %bb.1665:
	s_cmp_gt_i32 s6, 0
	s_cbranch_scc0 .LBB23_1667
; %bb.1666:
	global_load_ubyte v8, v[16:17], off
	s_mov_b64 s[0:1], 0
	s_branch .LBB23_1668
.LBB23_1667:
	s_mov_b64 s[0:1], -1
                                        ; implicit-def: $vgpr8
.LBB23_1668:
	s_andn2_b64 vcc, exec, s[0:1]
	s_cbranch_vccnz .LBB23_1670
; %bb.1669:
	global_load_ubyte v8, v[16:17], off
.LBB23_1670:
	s_mov_b64 s[8:9], -1
.LBB23_1671:
	s_andn2_b64 vcc, exec, s[8:9]
	s_cbranch_vccnz .LBB23_2105
; %bb.1672:
	s_bfe_u32 s15, s14, 0x80008
	v_mov_b32_e32 v7, 0
	s_waitcnt vmcnt(0)
	v_xor_b32_e32 v1, -1, v14
	s_cmp_lt_i32 s15, 11
	v_lshl_add_u64 v[6:7], s[4:5], 0, v[6:7]
	s_cbranch_scc1 .LBB23_1750
; %bb.1673:
	s_and_b32 s16, 0xffff, s15
	s_mov_b64 s[10:11], -1
	s_mov_b64 s[6:7], 0
	s_cmp_gt_i32 s16, 25
	s_mov_b64 s[8:9], 0
	s_mov_b64 s[0:1], 0
	s_cbranch_scc0 .LBB23_1706
; %bb.1674:
	s_cmp_gt_i32 s16, 28
	s_cbranch_scc0 .LBB23_1689
; %bb.1675:
	s_cmp_gt_i32 s16, 43
	;; [unrolled: 3-line block ×3, first 2 shown]
	s_cbranch_scc0 .LBB23_1679
; %bb.1677:
	s_mov_b64 s[0:1], -1
	s_mov_b64 s[10:11], 0
	s_cmp_eq_u32 s16, 46
	s_cbranch_scc0 .LBB23_1679
; %bb.1678:
	v_bfe_i32 v3, v1, 0, 8
	v_cvt_f32_i32_sdwa v3, sext(v3) dst_sel:DWORD dst_unused:UNUSED_PAD src0_sel:WORD_0
	s_movk_i32 s8, 0x7fff
	s_mov_b64 s[0:1], 0
	v_bfe_u32 v5, v3, 16, 1
	v_add3_u32 v3, v3, v5, s8
	v_lshrrev_b32_e32 v3, 16, v3
	global_store_dword v[6:7], v3, off
	s_mov_b64 s[8:9], -1
.LBB23_1679:
	s_and_b64 vcc, exec, s[10:11]
	s_cbranch_vccz .LBB23_1684
; %bb.1680:
	s_cmp_eq_u32 s16, 44
	s_mov_b64 s[0:1], -1
	s_cbranch_scc0 .LBB23_1684
; %bb.1681:
	v_bfe_i32 v3, v1, 0, 8
	v_cvt_f32_i32_sdwa v3, sext(v3) dst_sel:DWORD dst_unused:UNUSED_PAD src0_sel:WORD_0
	s_movk_i32 s0, 0xff
	v_mov_b32_e32 v9, 0xff
	v_bfe_u32 v5, v3, 23, 8
	v_cmp_ne_u32_e32 vcc, s0, v5
	s_and_saveexec_b64 s[8:9], vcc
; %bb.1682:
	s_mov_b32 s0, 0x3fffff
	v_lshrrev_b32_e32 v9, 23, v3
	v_and_b32_e32 v11, 0x400000, v3
	v_and_or_b32 v3, v3, s0, v5
	v_cmp_ne_u32_e32 vcc, 0, v11
	v_cmp_ne_u32_e64 s[0:1], 0, v3
	s_and_b64 s[0:1], vcc, s[0:1]
	s_nop 0
	v_cndmask_b32_e64 v3, 0, 1, s[0:1]
	v_add_u32_e32 v9, v9, v3
; %bb.1683:
	s_or_b64 exec, exec, s[8:9]
	s_mov_b64 s[0:1], 0
	s_mov_b64 s[8:9], -1
	global_store_byte v[6:7], v9, off
.LBB23_1684:
	s_mov_b64 s[10:11], 0
.LBB23_1685:
	s_and_b64 vcc, exec, s[10:11]
	s_cbranch_vccz .LBB23_1688
; %bb.1686:
	s_cmp_eq_u32 s16, 29
	s_mov_b64 s[0:1], -1
	s_cbranch_scc0 .LBB23_1688
; %bb.1687:
	v_bfe_i32 v16, v1, 0, 8
	v_ashrrev_i32_e32 v17, 31, v16
	global_store_dwordx2 v[6:7], v[16:17], off
	s_mov_b64 s[0:1], 0
	s_mov_b64 s[8:9], -1
.LBB23_1688:
	s_mov_b64 s[10:11], 0
.LBB23_1689:
	s_and_b64 vcc, exec, s[10:11]
	s_cbranch_vccz .LBB23_1705
; %bb.1690:
	s_cmp_lt_i32 s16, 27
	s_mov_b64 s[8:9], -1
	s_cbranch_scc1 .LBB23_1696
; %bb.1691:
	s_cmp_gt_i32 s16, 27
	s_cbranch_scc0 .LBB23_1693
; %bb.1692:
	v_bfe_i32 v3, v1, 0, 8
	s_mov_b64 s[8:9], 0
	global_store_dword v[6:7], v3, off
.LBB23_1693:
	s_andn2_b64 vcc, exec, s[8:9]
	s_cbranch_vccnz .LBB23_1695
; %bb.1694:
	v_bfe_i32 v3, v1, 0, 8
	global_store_short v[6:7], v3, off
.LBB23_1695:
	s_mov_b64 s[8:9], 0
.LBB23_1696:
	s_andn2_b64 vcc, exec, s[8:9]
	s_cbranch_vccnz .LBB23_1704
; %bb.1697:
	v_bfe_i32 v3, v1, 0, 8
	v_cvt_f32_i32_sdwa v3, sext(v3) dst_sel:DWORD dst_unused:UNUSED_PAD src0_sel:WORD_0
	s_mov_b32 s8, 0x43800000
	v_mov_b32_e32 v9, 0x80
	v_and_b32_e32 v5, 0x7fffffff, v3
	v_cmp_gt_u32_e32 vcc, s8, v5
	s_and_saveexec_b64 s[8:9], vcc
	s_cbranch_execz .LBB23_1703
; %bb.1698:
	s_mov_b32 s10, 0x3bffffff
	v_cmp_lt_u32_e32 vcc, s10, v5
	s_mov_b64 s[10:11], 0
                                        ; implicit-def: $vgpr5
	s_and_saveexec_b64 s[12:13], vcc
	s_xor_b64 s[12:13], exec, s[12:13]
	s_cbranch_execz .LBB23_2108
; %bb.1699:
	v_bfe_u32 v5, v3, 20, 1
	s_mov_b32 s17, 0x487ffff
	v_add3_u32 v5, v3, v5, s17
	s_mov_b64 s[10:11], exec
	v_lshrrev_b32_e32 v5, 20, v5
	s_andn2_saveexec_b64 s[12:13], s[12:13]
	s_cbranch_execnz .LBB23_2109
.LBB23_1700:
	s_or_b64 exec, exec, s[12:13]
	v_mov_b32_e32 v9, 0
	s_and_saveexec_b64 s[12:13], s[10:11]
.LBB23_1701:
	v_lshrrev_b32_e32 v3, 24, v3
	s_movk_i32 s10, 0x80
	v_and_or_b32 v9, v3, s10, v5
.LBB23_1702:
	s_or_b64 exec, exec, s[12:13]
.LBB23_1703:
	s_or_b64 exec, exec, s[8:9]
	global_store_byte v[6:7], v9, off
.LBB23_1704:
	s_mov_b64 s[8:9], -1
.LBB23_1705:
	s_mov_b64 s[10:11], 0
.LBB23_1706:
	s_and_b64 vcc, exec, s[10:11]
	s_cbranch_vccz .LBB23_1746
; %bb.1707:
	s_cmp_gt_i32 s16, 22
	s_mov_b64 s[6:7], -1
	s_cbranch_scc0 .LBB23_1739
; %bb.1708:
	s_cmp_lt_i32 s16, 24
	s_cbranch_scc1 .LBB23_1728
; %bb.1709:
	s_cmp_gt_i32 s16, 24
	s_cbranch_scc0 .LBB23_1717
; %bb.1710:
	v_bfe_i32 v3, v1, 0, 8
	v_cvt_f32_i32_sdwa v3, sext(v3) dst_sel:DWORD dst_unused:UNUSED_PAD src0_sel:WORD_0
	s_mov_b32 s6, 0x47800000
	v_mov_b32_e32 v9, 0x80
	v_and_b32_e32 v5, 0x7fffffff, v3
	v_cmp_gt_u32_e32 vcc, s6, v5
	s_and_saveexec_b64 s[6:7], vcc
	s_cbranch_execz .LBB23_1716
; %bb.1711:
	s_mov_b32 s8, 0x37ffffff
	v_cmp_lt_u32_e32 vcc, s8, v5
	s_mov_b64 s[8:9], 0
                                        ; implicit-def: $vgpr5
	s_and_saveexec_b64 s[10:11], vcc
	s_xor_b64 s[10:11], exec, s[10:11]
	s_cbranch_execz .LBB23_2111
; %bb.1712:
	v_bfe_u32 v5, v3, 21, 1
	s_mov_b32 s12, 0x88fffff
	v_add3_u32 v5, v3, v5, s12
	s_mov_b64 s[8:9], exec
	v_lshrrev_b32_e32 v5, 21, v5
	s_andn2_saveexec_b64 s[10:11], s[10:11]
	s_cbranch_execnz .LBB23_2112
.LBB23_1713:
	s_or_b64 exec, exec, s[10:11]
	v_mov_b32_e32 v9, 0
	s_and_saveexec_b64 s[10:11], s[8:9]
.LBB23_1714:
	v_lshrrev_b32_e32 v3, 24, v3
	s_movk_i32 s8, 0x80
	v_and_or_b32 v9, v3, s8, v5
.LBB23_1715:
	s_or_b64 exec, exec, s[10:11]
.LBB23_1716:
	s_or_b64 exec, exec, s[6:7]
	s_mov_b64 s[6:7], 0
	global_store_byte v[6:7], v9, off
.LBB23_1717:
	s_and_b64 vcc, exec, s[6:7]
	s_cbranch_vccz .LBB23_1727
; %bb.1718:
	v_bfe_i32 v3, v1, 0, 8
	v_cvt_f32_i32_sdwa v3, sext(v3) dst_sel:DWORD dst_unused:UNUSED_PAD src0_sel:WORD_0
	s_mov_b32 s6, 0x43f00000
                                        ; implicit-def: $vgpr5
	v_and_b32_e32 v9, 0x7fffffff, v3
	v_cmp_gt_u32_e32 vcc, s6, v9
	s_and_saveexec_b64 s[6:7], vcc
	s_xor_b64 s[6:7], exec, s[6:7]
	s_cbranch_execz .LBB23_1724
; %bb.1719:
	s_mov_b32 s8, 0x3c7fffff
	v_cmp_lt_u32_e32 vcc, s8, v9
                                        ; implicit-def: $vgpr5
	s_and_saveexec_b64 s[8:9], vcc
	s_xor_b64 s[8:9], exec, s[8:9]
; %bb.1720:
	v_bfe_u32 v5, v3, 20, 1
	s_mov_b32 s10, 0x407ffff
	v_add3_u32 v5, v3, v5, s10
	v_lshrrev_b32_e32 v9, 20, v5
	v_and_b32_e32 v5, 0xff00000, v5
	s_mov_b32 s10, 0x7f00000
	v_mov_b32_e32 v11, 0x7e
	v_cmp_ne_u32_e32 vcc, s10, v5
	s_nop 1
	v_cndmask_b32_e32 v5, v11, v9, vcc
; %bb.1721:
	s_andn2_saveexec_b64 s[8:9], s[8:9]
; %bb.1722:
	s_mov_b32 s10, 0x46800000
	v_add_f32_e64 v5, |v3|, s10
; %bb.1723:
	s_or_b64 exec, exec, s[8:9]
                                        ; implicit-def: $vgpr9
.LBB23_1724:
	s_andn2_saveexec_b64 s[6:7], s[6:7]
; %bb.1725:
	s_mov_b32 s8, 0x7f800000
	v_mov_b32_e32 v5, 0x7e
	v_mov_b32_e32 v11, 0x7f
	v_cmp_lt_u32_e32 vcc, s8, v9
	s_nop 1
	v_cndmask_b32_e32 v5, v5, v11, vcc
; %bb.1726:
	s_or_b64 exec, exec, s[6:7]
	v_lshrrev_b32_e32 v3, 24, v3
	s_movk_i32 s6, 0x80
	v_and_or_b32 v3, v3, s6, v5
	global_store_byte v[6:7], v3, off
.LBB23_1727:
	s_mov_b64 s[6:7], 0
.LBB23_1728:
	s_andn2_b64 vcc, exec, s[6:7]
	s_cbranch_vccnz .LBB23_1738
; %bb.1729:
	v_bfe_i32 v3, v1, 0, 8
	v_cvt_f32_i32_sdwa v3, sext(v3) dst_sel:DWORD dst_unused:UNUSED_PAD src0_sel:WORD_0
	s_mov_b32 s6, 0x47800000
                                        ; implicit-def: $vgpr5
	v_and_b32_e32 v9, 0x7fffffff, v3
	v_cmp_gt_u32_e32 vcc, s6, v9
	s_and_saveexec_b64 s[6:7], vcc
	s_xor_b64 s[6:7], exec, s[6:7]
	s_cbranch_execz .LBB23_1735
; %bb.1730:
	s_mov_b32 s8, 0x387fffff
	v_cmp_lt_u32_e32 vcc, s8, v9
                                        ; implicit-def: $vgpr5
	s_and_saveexec_b64 s[8:9], vcc
	s_xor_b64 s[8:9], exec, s[8:9]
; %bb.1731:
	v_bfe_u32 v5, v3, 21, 1
	s_mov_b32 s10, 0x80fffff
	v_add3_u32 v5, v3, v5, s10
	v_lshrrev_b32_e32 v5, 21, v5
; %bb.1732:
	s_andn2_saveexec_b64 s[8:9], s[8:9]
; %bb.1733:
	s_mov_b32 s10, 0x43000000
	v_add_f32_e64 v5, |v3|, s10
; %bb.1734:
	s_or_b64 exec, exec, s[8:9]
                                        ; implicit-def: $vgpr9
.LBB23_1735:
	s_andn2_saveexec_b64 s[6:7], s[6:7]
; %bb.1736:
	s_mov_b32 s8, 0x7f800000
	v_mov_b32_e32 v5, 0x7c
	v_mov_b32_e32 v11, 0x7f
	v_cmp_lt_u32_e32 vcc, s8, v9
	s_nop 1
	v_cndmask_b32_e32 v5, v5, v11, vcc
; %bb.1737:
	s_or_b64 exec, exec, s[6:7]
	v_lshrrev_b32_e32 v3, 24, v3
	s_movk_i32 s6, 0x80
	v_and_or_b32 v3, v3, s6, v5
	global_store_byte v[6:7], v3, off
.LBB23_1738:
	s_mov_b64 s[6:7], 0
	s_mov_b64 s[8:9], -1
.LBB23_1739:
	s_andn2_b64 vcc, exec, s[6:7]
	s_mov_b64 s[6:7], 0
	s_cbranch_vccnz .LBB23_1746
; %bb.1740:
	s_cmp_gt_i32 s16, 14
	s_mov_b64 s[10:11], -1
	s_cbranch_scc0 .LBB23_1744
; %bb.1741:
	s_cmp_eq_u32 s16, 15
	s_mov_b64 s[0:1], -1
	s_cbranch_scc0 .LBB23_1743
; %bb.1742:
	v_bfe_i32 v3, v1, 0, 8
	v_cvt_f32_i32_sdwa v3, sext(v3) dst_sel:DWORD dst_unused:UNUSED_PAD src0_sel:WORD_0
	s_movk_i32 s6, 0x7fff
	s_mov_b64 s[0:1], 0
	s_mov_b64 s[8:9], -1
	v_bfe_u32 v5, v3, 16, 1
	v_add3_u32 v3, v3, v5, s6
	global_store_short_d16_hi v[6:7], v3, off
.LBB23_1743:
	s_mov_b64 s[10:11], 0
.LBB23_1744:
	s_mov_b64 s[6:7], 0
	s_and_b64 vcc, exec, s[10:11]
	s_cbranch_vccz .LBB23_1746
; %bb.1745:
	s_cmp_lg_u32 s16, 11
	s_mov_b64 s[6:7], -1
	s_cselect_b64 s[0:1], -1, 0
.LBB23_1746:
	s_and_b64 vcc, exec, s[0:1]
	s_cbranch_vccnz .LBB23_2110
; %bb.1747:
	s_andn2_b64 vcc, exec, s[6:7]
	s_cbranch_vccnz .LBB23_1749
.LBB23_1748:
	s_movk_i32 s0, 0xff
	v_cmp_ne_u16_sdwa s[0:1], v14, s0 src0_sel:BYTE_0 src1_sel:DWORD
	s_mov_b64 s[8:9], -1
	s_nop 0
	v_cndmask_b32_e64 v3, 0, 1, s[0:1]
	global_store_byte v[6:7], v3, off
.LBB23_1749:
	s_mov_b64 s[0:1], 0
	s_branch .LBB23_1751
.LBB23_1750:
	s_mov_b64 s[0:1], -1
	s_mov_b64 s[8:9], 0
.LBB23_1751:
	s_and_b64 vcc, exec, s[0:1]
	s_cbranch_vccz .LBB23_1790
; %bb.1752:
	s_and_b32 s6, 0xffff, s15
	s_cmp_lt_i32 s6, 5
	s_mov_b64 s[0:1], -1
	s_cbranch_scc1 .LBB23_1773
; %bb.1753:
	s_cmp_lt_i32 s6, 8
	s_cbranch_scc1 .LBB23_1763
; %bb.1754:
	s_cmp_lt_i32 s6, 9
	s_cbranch_scc1 .LBB23_1760
; %bb.1755:
	s_cmp_gt_i32 s6, 9
	s_cbranch_scc0 .LBB23_1757
; %bb.1756:
	v_bfe_i32 v3, v1, 0, 8
	v_bfe_i32 v3, v3, 0, 16
	v_mov_b32_e32 v16, 0
	v_cvt_f64_i32_e32 v[14:15], v3
	v_mov_b32_e32 v17, v16
	global_store_dwordx4 v[6:7], v[14:17], off
	s_mov_b64 s[0:1], 0
.LBB23_1757:
	s_andn2_b64 vcc, exec, s[0:1]
	s_cbranch_vccnz .LBB23_1759
; %bb.1758:
	v_bfe_i32 v3, v1, 0, 8
	v_cvt_f32_i32_sdwa v14, sext(v3) dst_sel:DWORD dst_unused:UNUSED_PAD src0_sel:WORD_0
	v_mov_b32_e32 v15, 0
	global_store_dwordx2 v[6:7], v[14:15], off
.LBB23_1759:
	s_mov_b64 s[0:1], 0
.LBB23_1760:
	s_andn2_b64 vcc, exec, s[0:1]
	s_cbranch_vccnz .LBB23_1762
; %bb.1761:
	v_cvt_f16_i16_sdwa v3, sext(v1) dst_sel:DWORD dst_unused:UNUSED_PAD src0_sel:BYTE_0
	global_store_dword v[6:7], v3, off
.LBB23_1762:
	s_mov_b64 s[0:1], 0
.LBB23_1763:
	s_andn2_b64 vcc, exec, s[0:1]
	s_cbranch_vccnz .LBB23_1772
; %bb.1764:
	s_cmp_lt_i32 s6, 6
	s_mov_b64 s[0:1], -1
	s_cbranch_scc1 .LBB23_1770
; %bb.1765:
	s_cmp_gt_i32 s6, 6
	s_cbranch_scc0 .LBB23_1767
; %bb.1766:
	v_bfe_i32 v3, v1, 0, 8
	v_bfe_i32 v3, v3, 0, 16
	v_cvt_f64_i32_e32 v[14:15], v3
	global_store_dwordx2 v[6:7], v[14:15], off
	s_mov_b64 s[0:1], 0
.LBB23_1767:
	s_andn2_b64 vcc, exec, s[0:1]
	s_cbranch_vccnz .LBB23_1769
; %bb.1768:
	v_bfe_i32 v3, v1, 0, 8
	v_cvt_f32_i32_sdwa v3, sext(v3) dst_sel:DWORD dst_unused:UNUSED_PAD src0_sel:WORD_0
	global_store_dword v[6:7], v3, off
.LBB23_1769:
	s_mov_b64 s[0:1], 0
.LBB23_1770:
	s_andn2_b64 vcc, exec, s[0:1]
	s_cbranch_vccnz .LBB23_1772
; %bb.1771:
	v_cvt_f16_i16_sdwa v3, sext(v1) dst_sel:DWORD dst_unused:UNUSED_PAD src0_sel:BYTE_0
	global_store_short v[6:7], v3, off
.LBB23_1772:
	s_mov_b64 s[0:1], 0
.LBB23_1773:
	s_andn2_b64 vcc, exec, s[0:1]
	s_cbranch_vccnz .LBB23_1789
; %bb.1774:
	s_cmp_lt_i32 s6, 2
	s_mov_b64 s[0:1], -1
	s_cbranch_scc1 .LBB23_1784
; %bb.1775:
	s_cmp_lt_i32 s6, 3
	s_cbranch_scc1 .LBB23_1781
; %bb.1776:
	s_cmp_gt_i32 s6, 3
	s_cbranch_scc0 .LBB23_1778
; %bb.1777:
	v_bfe_i32 v14, v1, 0, 8
	v_ashrrev_i32_e32 v15, 31, v14
	global_store_dwordx2 v[6:7], v[14:15], off
	s_mov_b64 s[0:1], 0
.LBB23_1778:
	s_andn2_b64 vcc, exec, s[0:1]
	s_cbranch_vccnz .LBB23_1780
; %bb.1779:
	v_bfe_i32 v3, v1, 0, 8
	global_store_dword v[6:7], v3, off
.LBB23_1780:
	s_mov_b64 s[0:1], 0
.LBB23_1781:
	s_andn2_b64 vcc, exec, s[0:1]
	s_cbranch_vccnz .LBB23_1783
; %bb.1782:
	v_bfe_i32 v3, v1, 0, 8
	global_store_short v[6:7], v3, off
.LBB23_1783:
	s_mov_b64 s[0:1], 0
.LBB23_1784:
	s_andn2_b64 vcc, exec, s[0:1]
	s_cbranch_vccnz .LBB23_1789
; %bb.1785:
	s_cmp_gt_i32 s6, 0
	s_mov_b64 s[0:1], -1
	s_cbranch_scc0 .LBB23_1787
; %bb.1786:
	global_store_byte v[6:7], v1, off
	s_mov_b64 s[0:1], 0
.LBB23_1787:
	s_andn2_b64 vcc, exec, s[0:1]
	s_cbranch_vccnz .LBB23_1789
; %bb.1788:
	global_store_byte v[6:7], v1, off
.LBB23_1789:
	s_mov_b64 s[8:9], -1
.LBB23_1790:
	s_andn2_b64 vcc, exec, s[8:9]
	s_cbranch_vccnz .LBB23_2105
; %bb.1791:
	s_lshr_b32 s0, s14, 8
	s_and_b32 s14, s0, 0xff
	v_mov_b32_e32 v5, 0
	v_xor_b32_e32 v1, -1, v12
	s_cmp_lt_i32 s14, 11
	v_lshl_add_u64 v[4:5], s[4:5], 0, v[4:5]
	s_cbranch_scc1 .LBB23_1869
; %bb.1792:
	s_and_b32 s15, 0xffff, s14
	s_mov_b64 s[10:11], -1
	s_mov_b64 s[6:7], 0
	s_cmp_gt_i32 s15, 25
	s_mov_b64 s[8:9], 0
	s_mov_b64 s[0:1], 0
	s_cbranch_scc0 .LBB23_1825
; %bb.1793:
	s_cmp_gt_i32 s15, 28
	s_cbranch_scc0 .LBB23_1808
; %bb.1794:
	s_cmp_gt_i32 s15, 43
	;; [unrolled: 3-line block ×3, first 2 shown]
	s_cbranch_scc0 .LBB23_1798
; %bb.1796:
	s_mov_b64 s[0:1], -1
	s_mov_b64 s[10:11], 0
	s_cmp_eq_u32 s15, 46
	s_cbranch_scc0 .LBB23_1798
; %bb.1797:
	v_bfe_i32 v3, v1, 0, 8
	v_cvt_f32_i32_sdwa v3, sext(v3) dst_sel:DWORD dst_unused:UNUSED_PAD src0_sel:WORD_0
	s_movk_i32 s8, 0x7fff
	s_mov_b64 s[0:1], 0
	v_bfe_u32 v6, v3, 16, 1
	v_add3_u32 v3, v3, v6, s8
	v_lshrrev_b32_e32 v3, 16, v3
	global_store_dword v[4:5], v3, off
	s_mov_b64 s[8:9], -1
.LBB23_1798:
	s_and_b64 vcc, exec, s[10:11]
	s_cbranch_vccz .LBB23_1803
; %bb.1799:
	s_cmp_eq_u32 s15, 44
	s_mov_b64 s[0:1], -1
	s_cbranch_scc0 .LBB23_1803
; %bb.1800:
	v_bfe_i32 v3, v1, 0, 8
	v_cvt_f32_i32_sdwa v3, sext(v3) dst_sel:DWORD dst_unused:UNUSED_PAD src0_sel:WORD_0
	s_movk_i32 s0, 0xff
	v_mov_b32_e32 v7, 0xff
	v_bfe_u32 v6, v3, 23, 8
	v_cmp_ne_u32_e32 vcc, s0, v6
	s_and_saveexec_b64 s[8:9], vcc
; %bb.1801:
	s_mov_b32 s0, 0x3fffff
	v_lshrrev_b32_e32 v7, 23, v3
	v_and_b32_e32 v9, 0x400000, v3
	v_and_or_b32 v3, v3, s0, v6
	v_cmp_ne_u32_e32 vcc, 0, v9
	v_cmp_ne_u32_e64 s[0:1], 0, v3
	s_and_b64 s[0:1], vcc, s[0:1]
	s_nop 0
	v_cndmask_b32_e64 v3, 0, 1, s[0:1]
	v_add_u32_e32 v7, v7, v3
; %bb.1802:
	s_or_b64 exec, exec, s[8:9]
	s_mov_b64 s[0:1], 0
	s_mov_b64 s[8:9], -1
	global_store_byte v[4:5], v7, off
.LBB23_1803:
	s_mov_b64 s[10:11], 0
.LBB23_1804:
	s_and_b64 vcc, exec, s[10:11]
	s_cbranch_vccz .LBB23_1807
; %bb.1805:
	s_cmp_eq_u32 s15, 29
	s_mov_b64 s[0:1], -1
	s_cbranch_scc0 .LBB23_1807
; %bb.1806:
	v_bfe_i32 v6, v1, 0, 8
	v_ashrrev_i32_e32 v7, 31, v6
	global_store_dwordx2 v[4:5], v[6:7], off
	s_mov_b64 s[0:1], 0
	s_mov_b64 s[8:9], -1
.LBB23_1807:
	s_mov_b64 s[10:11], 0
.LBB23_1808:
	s_and_b64 vcc, exec, s[10:11]
	s_cbranch_vccz .LBB23_1824
; %bb.1809:
	s_cmp_lt_i32 s15, 27
	s_mov_b64 s[8:9], -1
	s_cbranch_scc1 .LBB23_1815
; %bb.1810:
	s_cmp_gt_i32 s15, 27
	s_cbranch_scc0 .LBB23_1812
; %bb.1811:
	v_bfe_i32 v3, v1, 0, 8
	s_mov_b64 s[8:9], 0
	global_store_dword v[4:5], v3, off
.LBB23_1812:
	s_andn2_b64 vcc, exec, s[8:9]
	s_cbranch_vccnz .LBB23_1814
; %bb.1813:
	v_bfe_i32 v3, v1, 0, 8
	global_store_short v[4:5], v3, off
.LBB23_1814:
	s_mov_b64 s[8:9], 0
.LBB23_1815:
	s_andn2_b64 vcc, exec, s[8:9]
	s_cbranch_vccnz .LBB23_1823
; %bb.1816:
	v_bfe_i32 v3, v1, 0, 8
	v_cvt_f32_i32_sdwa v3, sext(v3) dst_sel:DWORD dst_unused:UNUSED_PAD src0_sel:WORD_0
	s_mov_b32 s8, 0x43800000
	v_mov_b32_e32 v7, 0x80
	v_and_b32_e32 v6, 0x7fffffff, v3
	v_cmp_gt_u32_e32 vcc, s8, v6
	s_and_saveexec_b64 s[8:9], vcc
	s_cbranch_execz .LBB23_1822
; %bb.1817:
	s_mov_b32 s10, 0x3bffffff
	v_cmp_lt_u32_e32 vcc, s10, v6
	s_mov_b64 s[10:11], 0
                                        ; implicit-def: $vgpr6
	s_and_saveexec_b64 s[12:13], vcc
	s_xor_b64 s[12:13], exec, s[12:13]
	s_cbranch_execz .LBB23_2113
; %bb.1818:
	v_bfe_u32 v6, v3, 20, 1
	s_mov_b32 s16, 0x487ffff
	v_add3_u32 v6, v3, v6, s16
	s_mov_b64 s[10:11], exec
	v_lshrrev_b32_e32 v6, 20, v6
	s_andn2_saveexec_b64 s[12:13], s[12:13]
	s_cbranch_execnz .LBB23_2114
.LBB23_1819:
	s_or_b64 exec, exec, s[12:13]
	v_mov_b32_e32 v7, 0
	s_and_saveexec_b64 s[12:13], s[10:11]
.LBB23_1820:
	v_lshrrev_b32_e32 v3, 24, v3
	s_movk_i32 s10, 0x80
	v_and_or_b32 v7, v3, s10, v6
.LBB23_1821:
	s_or_b64 exec, exec, s[12:13]
.LBB23_1822:
	s_or_b64 exec, exec, s[8:9]
	global_store_byte v[4:5], v7, off
.LBB23_1823:
	s_mov_b64 s[8:9], -1
.LBB23_1824:
	s_mov_b64 s[10:11], 0
.LBB23_1825:
	s_and_b64 vcc, exec, s[10:11]
	s_cbranch_vccz .LBB23_1865
; %bb.1826:
	s_cmp_gt_i32 s15, 22
	s_mov_b64 s[6:7], -1
	s_cbranch_scc0 .LBB23_1858
; %bb.1827:
	s_cmp_lt_i32 s15, 24
	s_cbranch_scc1 .LBB23_1847
; %bb.1828:
	s_cmp_gt_i32 s15, 24
	s_cbranch_scc0 .LBB23_1836
; %bb.1829:
	v_bfe_i32 v3, v1, 0, 8
	v_cvt_f32_i32_sdwa v3, sext(v3) dst_sel:DWORD dst_unused:UNUSED_PAD src0_sel:WORD_0
	s_mov_b32 s6, 0x47800000
	v_mov_b32_e32 v7, 0x80
	v_and_b32_e32 v6, 0x7fffffff, v3
	v_cmp_gt_u32_e32 vcc, s6, v6
	s_and_saveexec_b64 s[6:7], vcc
	s_cbranch_execz .LBB23_1835
; %bb.1830:
	s_mov_b32 s8, 0x37ffffff
	v_cmp_lt_u32_e32 vcc, s8, v6
	s_mov_b64 s[8:9], 0
                                        ; implicit-def: $vgpr6
	s_and_saveexec_b64 s[10:11], vcc
	s_xor_b64 s[10:11], exec, s[10:11]
	s_cbranch_execz .LBB23_2116
; %bb.1831:
	v_bfe_u32 v6, v3, 21, 1
	s_mov_b32 s12, 0x88fffff
	v_add3_u32 v6, v3, v6, s12
	s_mov_b64 s[8:9], exec
	v_lshrrev_b32_e32 v6, 21, v6
	s_andn2_saveexec_b64 s[10:11], s[10:11]
	s_cbranch_execnz .LBB23_2117
.LBB23_1832:
	s_or_b64 exec, exec, s[10:11]
	v_mov_b32_e32 v7, 0
	s_and_saveexec_b64 s[10:11], s[8:9]
.LBB23_1833:
	v_lshrrev_b32_e32 v3, 24, v3
	s_movk_i32 s8, 0x80
	v_and_or_b32 v7, v3, s8, v6
.LBB23_1834:
	s_or_b64 exec, exec, s[10:11]
.LBB23_1835:
	s_or_b64 exec, exec, s[6:7]
	s_mov_b64 s[6:7], 0
	global_store_byte v[4:5], v7, off
.LBB23_1836:
	s_and_b64 vcc, exec, s[6:7]
	s_cbranch_vccz .LBB23_1846
; %bb.1837:
	v_bfe_i32 v3, v1, 0, 8
	v_cvt_f32_i32_sdwa v3, sext(v3) dst_sel:DWORD dst_unused:UNUSED_PAD src0_sel:WORD_0
	s_mov_b32 s6, 0x43f00000
                                        ; implicit-def: $vgpr6
	v_and_b32_e32 v7, 0x7fffffff, v3
	v_cmp_gt_u32_e32 vcc, s6, v7
	s_and_saveexec_b64 s[6:7], vcc
	s_xor_b64 s[6:7], exec, s[6:7]
	s_cbranch_execz .LBB23_1843
; %bb.1838:
	s_mov_b32 s8, 0x3c7fffff
	v_cmp_lt_u32_e32 vcc, s8, v7
                                        ; implicit-def: $vgpr6
	s_and_saveexec_b64 s[8:9], vcc
	s_xor_b64 s[8:9], exec, s[8:9]
; %bb.1839:
	v_bfe_u32 v6, v3, 20, 1
	s_mov_b32 s10, 0x407ffff
	v_add3_u32 v6, v3, v6, s10
	v_lshrrev_b32_e32 v7, 20, v6
	v_and_b32_e32 v6, 0xff00000, v6
	s_mov_b32 s10, 0x7f00000
	v_mov_b32_e32 v9, 0x7e
	v_cmp_ne_u32_e32 vcc, s10, v6
	s_nop 1
	v_cndmask_b32_e32 v6, v9, v7, vcc
; %bb.1840:
	s_andn2_saveexec_b64 s[8:9], s[8:9]
; %bb.1841:
	s_mov_b32 s10, 0x46800000
	v_add_f32_e64 v6, |v3|, s10
; %bb.1842:
	s_or_b64 exec, exec, s[8:9]
                                        ; implicit-def: $vgpr7
.LBB23_1843:
	s_andn2_saveexec_b64 s[6:7], s[6:7]
; %bb.1844:
	s_mov_b32 s8, 0x7f800000
	v_mov_b32_e32 v6, 0x7e
	v_mov_b32_e32 v9, 0x7f
	v_cmp_lt_u32_e32 vcc, s8, v7
	s_nop 1
	v_cndmask_b32_e32 v6, v6, v9, vcc
; %bb.1845:
	s_or_b64 exec, exec, s[6:7]
	v_lshrrev_b32_e32 v3, 24, v3
	s_movk_i32 s6, 0x80
	v_and_or_b32 v3, v3, s6, v6
	global_store_byte v[4:5], v3, off
.LBB23_1846:
	s_mov_b64 s[6:7], 0
.LBB23_1847:
	s_andn2_b64 vcc, exec, s[6:7]
	s_cbranch_vccnz .LBB23_1857
; %bb.1848:
	v_bfe_i32 v3, v1, 0, 8
	v_cvt_f32_i32_sdwa v3, sext(v3) dst_sel:DWORD dst_unused:UNUSED_PAD src0_sel:WORD_0
	s_mov_b32 s6, 0x47800000
                                        ; implicit-def: $vgpr6
	v_and_b32_e32 v7, 0x7fffffff, v3
	v_cmp_gt_u32_e32 vcc, s6, v7
	s_and_saveexec_b64 s[6:7], vcc
	s_xor_b64 s[6:7], exec, s[6:7]
	s_cbranch_execz .LBB23_1854
; %bb.1849:
	s_mov_b32 s8, 0x387fffff
	v_cmp_lt_u32_e32 vcc, s8, v7
                                        ; implicit-def: $vgpr6
	s_and_saveexec_b64 s[8:9], vcc
	s_xor_b64 s[8:9], exec, s[8:9]
; %bb.1850:
	v_bfe_u32 v6, v3, 21, 1
	s_mov_b32 s10, 0x80fffff
	v_add3_u32 v6, v3, v6, s10
	v_lshrrev_b32_e32 v6, 21, v6
; %bb.1851:
	s_andn2_saveexec_b64 s[8:9], s[8:9]
; %bb.1852:
	s_mov_b32 s10, 0x43000000
	v_add_f32_e64 v6, |v3|, s10
; %bb.1853:
	s_or_b64 exec, exec, s[8:9]
                                        ; implicit-def: $vgpr7
.LBB23_1854:
	s_andn2_saveexec_b64 s[6:7], s[6:7]
; %bb.1855:
	s_mov_b32 s8, 0x7f800000
	v_mov_b32_e32 v6, 0x7c
	v_mov_b32_e32 v9, 0x7f
	v_cmp_lt_u32_e32 vcc, s8, v7
	s_nop 1
	v_cndmask_b32_e32 v6, v6, v9, vcc
; %bb.1856:
	s_or_b64 exec, exec, s[6:7]
	v_lshrrev_b32_e32 v3, 24, v3
	s_movk_i32 s6, 0x80
	v_and_or_b32 v3, v3, s6, v6
	global_store_byte v[4:5], v3, off
.LBB23_1857:
	s_mov_b64 s[6:7], 0
	s_mov_b64 s[8:9], -1
.LBB23_1858:
	s_andn2_b64 vcc, exec, s[6:7]
	s_mov_b64 s[6:7], 0
	s_cbranch_vccnz .LBB23_1865
; %bb.1859:
	s_cmp_gt_i32 s15, 14
	s_mov_b64 s[10:11], -1
	s_cbranch_scc0 .LBB23_1863
; %bb.1860:
	s_cmp_eq_u32 s15, 15
	s_mov_b64 s[0:1], -1
	s_cbranch_scc0 .LBB23_1862
; %bb.1861:
	v_bfe_i32 v3, v1, 0, 8
	v_cvt_f32_i32_sdwa v3, sext(v3) dst_sel:DWORD dst_unused:UNUSED_PAD src0_sel:WORD_0
	s_movk_i32 s6, 0x7fff
	s_mov_b64 s[0:1], 0
	s_mov_b64 s[8:9], -1
	v_bfe_u32 v6, v3, 16, 1
	v_add3_u32 v3, v3, v6, s6
	global_store_short_d16_hi v[4:5], v3, off
.LBB23_1862:
	s_mov_b64 s[10:11], 0
.LBB23_1863:
	s_mov_b64 s[6:7], 0
	s_and_b64 vcc, exec, s[10:11]
	s_cbranch_vccz .LBB23_1865
; %bb.1864:
	s_cmp_lg_u32 s15, 11
	s_mov_b64 s[6:7], -1
	s_cselect_b64 s[0:1], -1, 0
.LBB23_1865:
	s_and_b64 vcc, exec, s[0:1]
	s_cbranch_vccnz .LBB23_2115
; %bb.1866:
	s_andn2_b64 vcc, exec, s[6:7]
	s_cbranch_vccnz .LBB23_1868
.LBB23_1867:
	s_movk_i32 s0, 0xff
	v_cmp_ne_u16_sdwa s[0:1], v12, s0 src0_sel:BYTE_0 src1_sel:DWORD
	s_mov_b64 s[8:9], -1
	s_nop 0
	v_cndmask_b32_e64 v3, 0, 1, s[0:1]
	global_store_byte v[4:5], v3, off
.LBB23_1868:
	s_mov_b64 s[0:1], 0
	s_branch .LBB23_1870
.LBB23_1869:
	s_mov_b64 s[0:1], -1
	s_mov_b64 s[8:9], 0
.LBB23_1870:
	s_and_b64 vcc, exec, s[0:1]
	s_cbranch_vccz .LBB23_1909
; %bb.1871:
	s_and_b32 s6, 0xffff, s14
	s_cmp_lt_i32 s6, 5
	s_mov_b64 s[0:1], -1
	s_cbranch_scc1 .LBB23_1892
; %bb.1872:
	s_cmp_lt_i32 s6, 8
	s_cbranch_scc1 .LBB23_1882
; %bb.1873:
	s_cmp_lt_i32 s6, 9
	s_cbranch_scc1 .LBB23_1879
; %bb.1874:
	s_cmp_gt_i32 s6, 9
	s_cbranch_scc0 .LBB23_1876
; %bb.1875:
	v_bfe_i32 v3, v1, 0, 8
	v_bfe_i32 v3, v3, 0, 16
	v_mov_b32_e32 v14, 0
	v_cvt_f64_i32_e32 v[12:13], v3
	v_mov_b32_e32 v15, v14
	global_store_dwordx4 v[4:5], v[12:15], off
	s_mov_b64 s[0:1], 0
.LBB23_1876:
	s_andn2_b64 vcc, exec, s[0:1]
	s_cbranch_vccnz .LBB23_1878
; %bb.1877:
	v_bfe_i32 v3, v1, 0, 8
	v_cvt_f32_i32_sdwa v6, sext(v3) dst_sel:DWORD dst_unused:UNUSED_PAD src0_sel:WORD_0
	v_mov_b32_e32 v7, 0
	global_store_dwordx2 v[4:5], v[6:7], off
.LBB23_1878:
	s_mov_b64 s[0:1], 0
.LBB23_1879:
	s_andn2_b64 vcc, exec, s[0:1]
	s_cbranch_vccnz .LBB23_1881
; %bb.1880:
	v_cvt_f16_i16_sdwa v3, sext(v1) dst_sel:DWORD dst_unused:UNUSED_PAD src0_sel:BYTE_0
	global_store_dword v[4:5], v3, off
.LBB23_1881:
	s_mov_b64 s[0:1], 0
.LBB23_1882:
	s_andn2_b64 vcc, exec, s[0:1]
	s_cbranch_vccnz .LBB23_1891
; %bb.1883:
	s_cmp_lt_i32 s6, 6
	s_mov_b64 s[0:1], -1
	s_cbranch_scc1 .LBB23_1889
; %bb.1884:
	s_cmp_gt_i32 s6, 6
	s_cbranch_scc0 .LBB23_1886
; %bb.1885:
	v_bfe_i32 v3, v1, 0, 8
	v_bfe_i32 v3, v3, 0, 16
	v_cvt_f64_i32_e32 v[6:7], v3
	global_store_dwordx2 v[4:5], v[6:7], off
	s_mov_b64 s[0:1], 0
.LBB23_1886:
	s_andn2_b64 vcc, exec, s[0:1]
	s_cbranch_vccnz .LBB23_1888
; %bb.1887:
	v_bfe_i32 v3, v1, 0, 8
	v_cvt_f32_i32_sdwa v3, sext(v3) dst_sel:DWORD dst_unused:UNUSED_PAD src0_sel:WORD_0
	global_store_dword v[4:5], v3, off
.LBB23_1888:
	s_mov_b64 s[0:1], 0
.LBB23_1889:
	s_andn2_b64 vcc, exec, s[0:1]
	s_cbranch_vccnz .LBB23_1891
; %bb.1890:
	v_cvt_f16_i16_sdwa v3, sext(v1) dst_sel:DWORD dst_unused:UNUSED_PAD src0_sel:BYTE_0
	global_store_short v[4:5], v3, off
.LBB23_1891:
	s_mov_b64 s[0:1], 0
.LBB23_1892:
	s_andn2_b64 vcc, exec, s[0:1]
	s_cbranch_vccnz .LBB23_1908
; %bb.1893:
	s_cmp_lt_i32 s6, 2
	s_mov_b64 s[0:1], -1
	s_cbranch_scc1 .LBB23_1903
; %bb.1894:
	s_cmp_lt_i32 s6, 3
	s_cbranch_scc1 .LBB23_1900
; %bb.1895:
	s_cmp_gt_i32 s6, 3
	s_cbranch_scc0 .LBB23_1897
; %bb.1896:
	v_bfe_i32 v6, v1, 0, 8
	v_ashrrev_i32_e32 v7, 31, v6
	global_store_dwordx2 v[4:5], v[6:7], off
	s_mov_b64 s[0:1], 0
.LBB23_1897:
	s_andn2_b64 vcc, exec, s[0:1]
	s_cbranch_vccnz .LBB23_1899
; %bb.1898:
	v_bfe_i32 v3, v1, 0, 8
	global_store_dword v[4:5], v3, off
.LBB23_1899:
	s_mov_b64 s[0:1], 0
.LBB23_1900:
	s_andn2_b64 vcc, exec, s[0:1]
	s_cbranch_vccnz .LBB23_1902
; %bb.1901:
	v_bfe_i32 v3, v1, 0, 8
	global_store_short v[4:5], v3, off
.LBB23_1902:
	s_mov_b64 s[0:1], 0
.LBB23_1903:
	s_andn2_b64 vcc, exec, s[0:1]
	s_cbranch_vccnz .LBB23_1908
; %bb.1904:
	s_cmp_gt_i32 s6, 0
	s_mov_b64 s[0:1], -1
	s_cbranch_scc0 .LBB23_1906
; %bb.1905:
	global_store_byte v[4:5], v1, off
	s_mov_b64 s[0:1], 0
.LBB23_1906:
	s_andn2_b64 vcc, exec, s[0:1]
	s_cbranch_vccnz .LBB23_1908
; %bb.1907:
	global_store_byte v[4:5], v1, off
.LBB23_1908:
	s_mov_b64 s[8:9], -1
.LBB23_1909:
	s_andn2_b64 vcc, exec, s[8:9]
	s_cbranch_vccnz .LBB23_2105
; %bb.1910:
	v_mov_b32_e32 v3, 0
	v_xor_b32_e32 v1, -1, v10
	s_cmp_lt_i32 s14, 11
	v_lshl_add_u64 v[2:3], s[4:5], 0, v[2:3]
	s_cbranch_scc1 .LBB23_1988
; %bb.1911:
	s_and_b32 s15, 0xffff, s14
	s_mov_b64 s[10:11], -1
	s_mov_b64 s[6:7], 0
	s_cmp_gt_i32 s15, 25
	s_mov_b64 s[8:9], 0
	s_mov_b64 s[0:1], 0
	s_cbranch_scc0 .LBB23_1944
; %bb.1912:
	s_cmp_gt_i32 s15, 28
	s_cbranch_scc0 .LBB23_1927
; %bb.1913:
	s_cmp_gt_i32 s15, 43
	s_cbranch_scc0 .LBB23_1923
; %bb.1914:
	s_cmp_gt_i32 s15, 45
	s_cbranch_scc0 .LBB23_1917
; %bb.1915:
	s_mov_b64 s[0:1], -1
	s_mov_b64 s[10:11], 0
	s_cmp_eq_u32 s15, 46
	s_cbranch_scc0 .LBB23_1917
; %bb.1916:
	v_bfe_i32 v4, v1, 0, 8
	v_cvt_f32_i32_sdwa v4, sext(v4) dst_sel:DWORD dst_unused:UNUSED_PAD src0_sel:WORD_0
	s_movk_i32 s8, 0x7fff
	s_mov_b64 s[0:1], 0
	v_bfe_u32 v5, v4, 16, 1
	v_add3_u32 v4, v4, v5, s8
	v_lshrrev_b32_e32 v4, 16, v4
	global_store_dword v[2:3], v4, off
	s_mov_b64 s[8:9], -1
.LBB23_1917:
	s_and_b64 vcc, exec, s[10:11]
	s_cbranch_vccz .LBB23_1922
; %bb.1918:
	s_cmp_eq_u32 s15, 44
	s_mov_b64 s[0:1], -1
	s_cbranch_scc0 .LBB23_1922
; %bb.1919:
	v_bfe_i32 v4, v1, 0, 8
	v_cvt_f32_i32_sdwa v4, sext(v4) dst_sel:DWORD dst_unused:UNUSED_PAD src0_sel:WORD_0
	s_movk_i32 s0, 0xff
	v_mov_b32_e32 v6, 0xff
	v_bfe_u32 v5, v4, 23, 8
	v_cmp_ne_u32_e32 vcc, s0, v5
	s_and_saveexec_b64 s[8:9], vcc
; %bb.1920:
	s_mov_b32 s0, 0x3fffff
	v_lshrrev_b32_e32 v6, 23, v4
	v_and_b32_e32 v7, 0x400000, v4
	v_and_or_b32 v4, v4, s0, v5
	v_cmp_ne_u32_e32 vcc, 0, v7
	v_cmp_ne_u32_e64 s[0:1], 0, v4
	s_and_b64 s[0:1], vcc, s[0:1]
	s_nop 0
	v_cndmask_b32_e64 v4, 0, 1, s[0:1]
	v_add_u32_e32 v6, v6, v4
; %bb.1921:
	s_or_b64 exec, exec, s[8:9]
	s_mov_b64 s[0:1], 0
	s_mov_b64 s[8:9], -1
	global_store_byte v[2:3], v6, off
.LBB23_1922:
	s_mov_b64 s[10:11], 0
.LBB23_1923:
	s_and_b64 vcc, exec, s[10:11]
	s_cbranch_vccz .LBB23_1926
; %bb.1924:
	s_cmp_eq_u32 s15, 29
	s_mov_b64 s[0:1], -1
	s_cbranch_scc0 .LBB23_1926
; %bb.1925:
	v_bfe_i32 v4, v1, 0, 8
	v_ashrrev_i32_e32 v5, 31, v4
	global_store_dwordx2 v[2:3], v[4:5], off
	s_mov_b64 s[0:1], 0
	s_mov_b64 s[8:9], -1
.LBB23_1926:
	s_mov_b64 s[10:11], 0
.LBB23_1927:
	s_and_b64 vcc, exec, s[10:11]
	s_cbranch_vccz .LBB23_1943
; %bb.1928:
	s_cmp_lt_i32 s15, 27
	s_mov_b64 s[8:9], -1
	s_cbranch_scc1 .LBB23_1934
; %bb.1929:
	s_cmp_gt_i32 s15, 27
	s_cbranch_scc0 .LBB23_1931
; %bb.1930:
	v_bfe_i32 v4, v1, 0, 8
	s_mov_b64 s[8:9], 0
	global_store_dword v[2:3], v4, off
.LBB23_1931:
	s_andn2_b64 vcc, exec, s[8:9]
	s_cbranch_vccnz .LBB23_1933
; %bb.1932:
	v_bfe_i32 v4, v1, 0, 8
	global_store_short v[2:3], v4, off
.LBB23_1933:
	s_mov_b64 s[8:9], 0
.LBB23_1934:
	s_andn2_b64 vcc, exec, s[8:9]
	s_cbranch_vccnz .LBB23_1942
; %bb.1935:
	v_bfe_i32 v4, v1, 0, 8
	v_cvt_f32_i32_sdwa v4, sext(v4) dst_sel:DWORD dst_unused:UNUSED_PAD src0_sel:WORD_0
	s_mov_b32 s8, 0x43800000
	v_mov_b32_e32 v6, 0x80
	v_and_b32_e32 v5, 0x7fffffff, v4
	v_cmp_gt_u32_e32 vcc, s8, v5
	s_and_saveexec_b64 s[8:9], vcc
	s_cbranch_execz .LBB23_1941
; %bb.1936:
	s_mov_b32 s10, 0x3bffffff
	v_cmp_lt_u32_e32 vcc, s10, v5
	s_mov_b64 s[10:11], 0
                                        ; implicit-def: $vgpr5
	s_and_saveexec_b64 s[12:13], vcc
	s_xor_b64 s[12:13], exec, s[12:13]
	s_cbranch_execz .LBB23_2118
; %bb.1937:
	v_bfe_u32 v5, v4, 20, 1
	s_mov_b32 s16, 0x487ffff
	v_add3_u32 v5, v4, v5, s16
	s_mov_b64 s[10:11], exec
	v_lshrrev_b32_e32 v5, 20, v5
	s_andn2_saveexec_b64 s[12:13], s[12:13]
	s_cbranch_execnz .LBB23_2119
.LBB23_1938:
	s_or_b64 exec, exec, s[12:13]
	v_mov_b32_e32 v6, 0
	s_and_saveexec_b64 s[12:13], s[10:11]
.LBB23_1939:
	v_lshrrev_b32_e32 v4, 24, v4
	s_movk_i32 s10, 0x80
	v_and_or_b32 v6, v4, s10, v5
.LBB23_1940:
	s_or_b64 exec, exec, s[12:13]
.LBB23_1941:
	s_or_b64 exec, exec, s[8:9]
	global_store_byte v[2:3], v6, off
.LBB23_1942:
	s_mov_b64 s[8:9], -1
.LBB23_1943:
	s_mov_b64 s[10:11], 0
.LBB23_1944:
	s_and_b64 vcc, exec, s[10:11]
	s_cbranch_vccz .LBB23_1984
; %bb.1945:
	s_cmp_gt_i32 s15, 22
	s_mov_b64 s[6:7], -1
	s_cbranch_scc0 .LBB23_1977
; %bb.1946:
	s_cmp_lt_i32 s15, 24
	s_cbranch_scc1 .LBB23_1966
; %bb.1947:
	s_cmp_gt_i32 s15, 24
	s_cbranch_scc0 .LBB23_1955
; %bb.1948:
	v_bfe_i32 v4, v1, 0, 8
	v_cvt_f32_i32_sdwa v4, sext(v4) dst_sel:DWORD dst_unused:UNUSED_PAD src0_sel:WORD_0
	s_mov_b32 s6, 0x47800000
	v_mov_b32_e32 v6, 0x80
	v_and_b32_e32 v5, 0x7fffffff, v4
	v_cmp_gt_u32_e32 vcc, s6, v5
	s_and_saveexec_b64 s[6:7], vcc
	s_cbranch_execz .LBB23_1954
; %bb.1949:
	s_mov_b32 s8, 0x37ffffff
	v_cmp_lt_u32_e32 vcc, s8, v5
	s_mov_b64 s[8:9], 0
                                        ; implicit-def: $vgpr5
	s_and_saveexec_b64 s[10:11], vcc
	s_xor_b64 s[10:11], exec, s[10:11]
	s_cbranch_execz .LBB23_2121
; %bb.1950:
	v_bfe_u32 v5, v4, 21, 1
	s_mov_b32 s12, 0x88fffff
	v_add3_u32 v5, v4, v5, s12
	s_mov_b64 s[8:9], exec
	v_lshrrev_b32_e32 v5, 21, v5
	s_andn2_saveexec_b64 s[10:11], s[10:11]
	s_cbranch_execnz .LBB23_2122
.LBB23_1951:
	s_or_b64 exec, exec, s[10:11]
	v_mov_b32_e32 v6, 0
	s_and_saveexec_b64 s[10:11], s[8:9]
.LBB23_1952:
	v_lshrrev_b32_e32 v4, 24, v4
	s_movk_i32 s8, 0x80
	v_and_or_b32 v6, v4, s8, v5
.LBB23_1953:
	s_or_b64 exec, exec, s[10:11]
.LBB23_1954:
	s_or_b64 exec, exec, s[6:7]
	s_mov_b64 s[6:7], 0
	global_store_byte v[2:3], v6, off
.LBB23_1955:
	s_and_b64 vcc, exec, s[6:7]
	s_cbranch_vccz .LBB23_1965
; %bb.1956:
	v_bfe_i32 v4, v1, 0, 8
	v_cvt_f32_i32_sdwa v4, sext(v4) dst_sel:DWORD dst_unused:UNUSED_PAD src0_sel:WORD_0
	s_mov_b32 s6, 0x43f00000
                                        ; implicit-def: $vgpr5
	v_and_b32_e32 v6, 0x7fffffff, v4
	v_cmp_gt_u32_e32 vcc, s6, v6
	s_and_saveexec_b64 s[6:7], vcc
	s_xor_b64 s[6:7], exec, s[6:7]
	s_cbranch_execz .LBB23_1962
; %bb.1957:
	s_mov_b32 s8, 0x3c7fffff
	v_cmp_lt_u32_e32 vcc, s8, v6
                                        ; implicit-def: $vgpr5
	s_and_saveexec_b64 s[8:9], vcc
	s_xor_b64 s[8:9], exec, s[8:9]
; %bb.1958:
	v_bfe_u32 v5, v4, 20, 1
	s_mov_b32 s10, 0x407ffff
	v_add3_u32 v5, v4, v5, s10
	v_lshrrev_b32_e32 v6, 20, v5
	v_and_b32_e32 v5, 0xff00000, v5
	s_mov_b32 s10, 0x7f00000
	v_mov_b32_e32 v7, 0x7e
	v_cmp_ne_u32_e32 vcc, s10, v5
	s_nop 1
	v_cndmask_b32_e32 v5, v7, v6, vcc
; %bb.1959:
	s_andn2_saveexec_b64 s[8:9], s[8:9]
; %bb.1960:
	s_mov_b32 s10, 0x46800000
	v_add_f32_e64 v5, |v4|, s10
; %bb.1961:
	s_or_b64 exec, exec, s[8:9]
                                        ; implicit-def: $vgpr6
.LBB23_1962:
	s_andn2_saveexec_b64 s[6:7], s[6:7]
; %bb.1963:
	s_mov_b32 s8, 0x7f800000
	v_mov_b32_e32 v5, 0x7e
	v_mov_b32_e32 v7, 0x7f
	v_cmp_lt_u32_e32 vcc, s8, v6
	s_nop 1
	v_cndmask_b32_e32 v5, v5, v7, vcc
; %bb.1964:
	s_or_b64 exec, exec, s[6:7]
	v_lshrrev_b32_e32 v4, 24, v4
	s_movk_i32 s6, 0x80
	v_and_or_b32 v4, v4, s6, v5
	global_store_byte v[2:3], v4, off
.LBB23_1965:
	s_mov_b64 s[6:7], 0
.LBB23_1966:
	s_andn2_b64 vcc, exec, s[6:7]
	s_cbranch_vccnz .LBB23_1976
; %bb.1967:
	v_bfe_i32 v4, v1, 0, 8
	v_cvt_f32_i32_sdwa v4, sext(v4) dst_sel:DWORD dst_unused:UNUSED_PAD src0_sel:WORD_0
	s_mov_b32 s6, 0x47800000
                                        ; implicit-def: $vgpr5
	v_and_b32_e32 v6, 0x7fffffff, v4
	v_cmp_gt_u32_e32 vcc, s6, v6
	s_and_saveexec_b64 s[6:7], vcc
	s_xor_b64 s[6:7], exec, s[6:7]
	s_cbranch_execz .LBB23_1973
; %bb.1968:
	s_mov_b32 s8, 0x387fffff
	v_cmp_lt_u32_e32 vcc, s8, v6
                                        ; implicit-def: $vgpr5
	s_and_saveexec_b64 s[8:9], vcc
	s_xor_b64 s[8:9], exec, s[8:9]
; %bb.1969:
	v_bfe_u32 v5, v4, 21, 1
	s_mov_b32 s10, 0x80fffff
	v_add3_u32 v5, v4, v5, s10
	v_lshrrev_b32_e32 v5, 21, v5
; %bb.1970:
	s_andn2_saveexec_b64 s[8:9], s[8:9]
; %bb.1971:
	s_mov_b32 s10, 0x43000000
	v_add_f32_e64 v5, |v4|, s10
; %bb.1972:
	s_or_b64 exec, exec, s[8:9]
                                        ; implicit-def: $vgpr6
.LBB23_1973:
	s_andn2_saveexec_b64 s[6:7], s[6:7]
; %bb.1974:
	s_mov_b32 s8, 0x7f800000
	v_mov_b32_e32 v5, 0x7c
	v_mov_b32_e32 v7, 0x7f
	v_cmp_lt_u32_e32 vcc, s8, v6
	s_nop 1
	v_cndmask_b32_e32 v5, v5, v7, vcc
; %bb.1975:
	s_or_b64 exec, exec, s[6:7]
	v_lshrrev_b32_e32 v4, 24, v4
	s_movk_i32 s6, 0x80
	v_and_or_b32 v4, v4, s6, v5
	global_store_byte v[2:3], v4, off
.LBB23_1976:
	s_mov_b64 s[6:7], 0
	s_mov_b64 s[8:9], -1
.LBB23_1977:
	s_andn2_b64 vcc, exec, s[6:7]
	s_mov_b64 s[6:7], 0
	s_cbranch_vccnz .LBB23_1984
; %bb.1978:
	s_cmp_gt_i32 s15, 14
	s_mov_b64 s[10:11], -1
	s_cbranch_scc0 .LBB23_1982
; %bb.1979:
	s_cmp_eq_u32 s15, 15
	s_mov_b64 s[0:1], -1
	s_cbranch_scc0 .LBB23_1981
; %bb.1980:
	v_bfe_i32 v4, v1, 0, 8
	v_cvt_f32_i32_sdwa v4, sext(v4) dst_sel:DWORD dst_unused:UNUSED_PAD src0_sel:WORD_0
	s_movk_i32 s6, 0x7fff
	s_mov_b64 s[0:1], 0
	s_mov_b64 s[8:9], -1
	v_bfe_u32 v5, v4, 16, 1
	v_add3_u32 v4, v4, v5, s6
	global_store_short_d16_hi v[2:3], v4, off
.LBB23_1981:
	s_mov_b64 s[10:11], 0
.LBB23_1982:
	s_mov_b64 s[6:7], 0
	s_and_b64 vcc, exec, s[10:11]
	s_cbranch_vccz .LBB23_1984
; %bb.1983:
	s_cmp_lg_u32 s15, 11
	s_mov_b64 s[6:7], -1
	s_cselect_b64 s[0:1], -1, 0
.LBB23_1984:
	s_and_b64 vcc, exec, s[0:1]
	s_cbranch_vccnz .LBB23_2120
; %bb.1985:
	s_andn2_b64 vcc, exec, s[6:7]
	s_cbranch_vccnz .LBB23_1987
.LBB23_1986:
	s_movk_i32 s0, 0xff
	v_cmp_ne_u16_sdwa s[0:1], v10, s0 src0_sel:BYTE_0 src1_sel:DWORD
	s_mov_b64 s[8:9], -1
	s_nop 0
	v_cndmask_b32_e64 v4, 0, 1, s[0:1]
	global_store_byte v[2:3], v4, off
.LBB23_1987:
	s_mov_b64 s[0:1], 0
	s_branch .LBB23_1989
.LBB23_1988:
	s_mov_b64 s[0:1], -1
	s_mov_b64 s[8:9], 0
.LBB23_1989:
	s_and_b64 vcc, exec, s[0:1]
	s_cbranch_vccz .LBB23_2028
; %bb.1990:
	s_and_b32 s6, 0xffff, s14
	s_cmp_lt_i32 s6, 5
	s_mov_b64 s[0:1], -1
	s_cbranch_scc1 .LBB23_2011
; %bb.1991:
	s_cmp_lt_i32 s6, 8
	s_cbranch_scc1 .LBB23_2001
; %bb.1992:
	s_cmp_lt_i32 s6, 9
	s_cbranch_scc1 .LBB23_1998
; %bb.1993:
	s_cmp_gt_i32 s6, 9
	s_cbranch_scc0 .LBB23_1995
; %bb.1994:
	v_bfe_i32 v4, v1, 0, 8
	v_bfe_i32 v4, v4, 0, 16
	v_mov_b32_e32 v6, 0
	v_cvt_f64_i32_e32 v[4:5], v4
	v_mov_b32_e32 v7, v6
	global_store_dwordx4 v[2:3], v[4:7], off
	s_mov_b64 s[0:1], 0
.LBB23_1995:
	s_andn2_b64 vcc, exec, s[0:1]
	s_cbranch_vccnz .LBB23_1997
; %bb.1996:
	v_bfe_i32 v4, v1, 0, 8
	v_cvt_f32_i32_sdwa v4, sext(v4) dst_sel:DWORD dst_unused:UNUSED_PAD src0_sel:WORD_0
	v_mov_b32_e32 v5, 0
	global_store_dwordx2 v[2:3], v[4:5], off
.LBB23_1997:
	s_mov_b64 s[0:1], 0
.LBB23_1998:
	s_andn2_b64 vcc, exec, s[0:1]
	s_cbranch_vccnz .LBB23_2000
; %bb.1999:
	v_cvt_f16_i16_sdwa v4, sext(v1) dst_sel:DWORD dst_unused:UNUSED_PAD src0_sel:BYTE_0
	global_store_dword v[2:3], v4, off
.LBB23_2000:
	s_mov_b64 s[0:1], 0
.LBB23_2001:
	s_andn2_b64 vcc, exec, s[0:1]
	s_cbranch_vccnz .LBB23_2010
; %bb.2002:
	s_cmp_lt_i32 s6, 6
	s_mov_b64 s[0:1], -1
	s_cbranch_scc1 .LBB23_2008
; %bb.2003:
	s_cmp_gt_i32 s6, 6
	s_cbranch_scc0 .LBB23_2005
; %bb.2004:
	v_bfe_i32 v4, v1, 0, 8
	v_bfe_i32 v4, v4, 0, 16
	v_cvt_f64_i32_e32 v[4:5], v4
	global_store_dwordx2 v[2:3], v[4:5], off
	s_mov_b64 s[0:1], 0
.LBB23_2005:
	s_andn2_b64 vcc, exec, s[0:1]
	s_cbranch_vccnz .LBB23_2007
; %bb.2006:
	v_bfe_i32 v4, v1, 0, 8
	v_cvt_f32_i32_sdwa v4, sext(v4) dst_sel:DWORD dst_unused:UNUSED_PAD src0_sel:WORD_0
	global_store_dword v[2:3], v4, off
.LBB23_2007:
	s_mov_b64 s[0:1], 0
.LBB23_2008:
	s_andn2_b64 vcc, exec, s[0:1]
	s_cbranch_vccnz .LBB23_2010
; %bb.2009:
	v_cvt_f16_i16_sdwa v4, sext(v1) dst_sel:DWORD dst_unused:UNUSED_PAD src0_sel:BYTE_0
	global_store_short v[2:3], v4, off
.LBB23_2010:
	s_mov_b64 s[0:1], 0
.LBB23_2011:
	s_andn2_b64 vcc, exec, s[0:1]
	s_cbranch_vccnz .LBB23_2027
; %bb.2012:
	s_cmp_lt_i32 s6, 2
	s_mov_b64 s[0:1], -1
	s_cbranch_scc1 .LBB23_2022
; %bb.2013:
	s_cmp_lt_i32 s6, 3
	s_cbranch_scc1 .LBB23_2019
; %bb.2014:
	s_cmp_gt_i32 s6, 3
	s_cbranch_scc0 .LBB23_2016
; %bb.2015:
	v_bfe_i32 v4, v1, 0, 8
	v_ashrrev_i32_e32 v5, 31, v4
	global_store_dwordx2 v[2:3], v[4:5], off
	s_mov_b64 s[0:1], 0
.LBB23_2016:
	s_andn2_b64 vcc, exec, s[0:1]
	s_cbranch_vccnz .LBB23_2018
; %bb.2017:
	v_bfe_i32 v4, v1, 0, 8
	global_store_dword v[2:3], v4, off
.LBB23_2018:
	s_mov_b64 s[0:1], 0
.LBB23_2019:
	s_andn2_b64 vcc, exec, s[0:1]
	s_cbranch_vccnz .LBB23_2021
; %bb.2020:
	v_bfe_i32 v4, v1, 0, 8
	global_store_short v[2:3], v4, off
.LBB23_2021:
	s_mov_b64 s[0:1], 0
.LBB23_2022:
	s_andn2_b64 vcc, exec, s[0:1]
	s_cbranch_vccnz .LBB23_2027
; %bb.2023:
	s_cmp_gt_i32 s6, 0
	s_mov_b64 s[0:1], -1
	s_cbranch_scc0 .LBB23_2025
; %bb.2024:
	global_store_byte v[2:3], v1, off
	s_mov_b64 s[0:1], 0
.LBB23_2025:
	s_andn2_b64 vcc, exec, s[0:1]
	s_cbranch_vccnz .LBB23_2027
; %bb.2026:
	global_store_byte v[2:3], v1, off
.LBB23_2027:
	s_mov_b64 s[8:9], -1
.LBB23_2028:
	s_andn2_b64 vcc, exec, s[8:9]
	s_cbranch_vccnz .LBB23_2105
; %bb.2029:
	v_mov_b32_e32 v1, 0
	v_xor_b32_e32 v2, -1, v8
	s_cmp_lt_i32 s14, 11
	v_lshl_add_u64 v[0:1], s[4:5], 0, v[0:1]
	s_cbranch_scc1 .LBB23_2106
; %bb.2030:
	s_and_b32 s12, 0xffff, s14
	s_mov_b64 s[6:7], -1
	s_mov_b64 s[4:5], 0
	s_cmp_gt_i32 s12, 25
	s_mov_b64 s[0:1], 0
	s_cbranch_scc0 .LBB23_2063
; %bb.2031:
	s_cmp_gt_i32 s12, 28
	s_cbranch_scc0 .LBB23_2047
; %bb.2032:
	s_cmp_gt_i32 s12, 43
	;; [unrolled: 3-line block ×3, first 2 shown]
	s_cbranch_scc0 .LBB23_2037
; %bb.2034:
	s_cmp_eq_u32 s12, 46
	s_mov_b64 s[0:1], -1
	s_cbranch_scc0 .LBB23_2036
; %bb.2035:
	v_bfe_i32 v3, v2, 0, 8
	v_cvt_f32_i32_sdwa v3, sext(v3) dst_sel:DWORD dst_unused:UNUSED_PAD src0_sel:WORD_0
	s_movk_i32 s0, 0x7fff
	v_bfe_u32 v4, v3, 16, 1
	v_add3_u32 v3, v3, v4, s0
	v_lshrrev_b32_e32 v3, 16, v3
	global_store_dword v[0:1], v3, off
	s_mov_b64 s[0:1], 0
.LBB23_2036:
	s_mov_b64 s[6:7], 0
.LBB23_2037:
	s_and_b64 vcc, exec, s[6:7]
	s_cbranch_vccz .LBB23_2042
; %bb.2038:
	s_cmp_eq_u32 s12, 44
	s_mov_b64 s[0:1], -1
	s_cbranch_scc0 .LBB23_2042
; %bb.2039:
	v_bfe_i32 v3, v2, 0, 8
	v_cvt_f32_i32_sdwa v3, sext(v3) dst_sel:DWORD dst_unused:UNUSED_PAD src0_sel:WORD_0
	s_movk_i32 s0, 0xff
	v_mov_b32_e32 v5, 0xff
	v_bfe_u32 v4, v3, 23, 8
	v_cmp_ne_u32_e32 vcc, s0, v4
	s_and_saveexec_b64 s[6:7], vcc
; %bb.2040:
	s_mov_b32 s0, 0x3fffff
	v_lshrrev_b32_e32 v5, 23, v3
	v_and_b32_e32 v6, 0x400000, v3
	v_and_or_b32 v3, v3, s0, v4
	v_cmp_ne_u32_e32 vcc, 0, v6
	v_cmp_ne_u32_e64 s[0:1], 0, v3
	s_and_b64 s[0:1], vcc, s[0:1]
	s_nop 0
	v_cndmask_b32_e64 v3, 0, 1, s[0:1]
	v_add_u32_e32 v5, v5, v3
; %bb.2041:
	s_or_b64 exec, exec, s[6:7]
	s_mov_b64 s[0:1], 0
	global_store_byte v[0:1], v5, off
.LBB23_2042:
	s_mov_b64 s[6:7], 0
.LBB23_2043:
	s_and_b64 vcc, exec, s[6:7]
	s_cbranch_vccz .LBB23_2046
; %bb.2044:
	s_cmp_eq_u32 s12, 29
	s_mov_b64 s[0:1], -1
	s_cbranch_scc0 .LBB23_2046
; %bb.2045:
	v_bfe_i32 v4, v2, 0, 8
	v_ashrrev_i32_e32 v5, 31, v4
	global_store_dwordx2 v[0:1], v[4:5], off
	s_mov_b64 s[0:1], 0
.LBB23_2046:
	s_mov_b64 s[6:7], 0
.LBB23_2047:
	s_and_b64 vcc, exec, s[6:7]
	s_cbranch_vccz .LBB23_2062
; %bb.2048:
	s_cmp_lt_i32 s12, 27
	s_mov_b64 s[6:7], -1
	s_cbranch_scc1 .LBB23_2054
; %bb.2049:
	s_cmp_gt_i32 s12, 27
	s_cbranch_scc0 .LBB23_2051
; %bb.2050:
	v_bfe_i32 v3, v2, 0, 8
	global_store_dword v[0:1], v3, off
	s_mov_b64 s[6:7], 0
.LBB23_2051:
	s_andn2_b64 vcc, exec, s[6:7]
	s_cbranch_vccnz .LBB23_2053
; %bb.2052:
	v_bfe_i32 v3, v2, 0, 8
	global_store_short v[0:1], v3, off
.LBB23_2053:
	s_mov_b64 s[6:7], 0
.LBB23_2054:
	s_andn2_b64 vcc, exec, s[6:7]
	s_cbranch_vccnz .LBB23_2062
; %bb.2055:
	v_bfe_i32 v3, v2, 0, 8
	v_cvt_f32_i32_sdwa v3, sext(v3) dst_sel:DWORD dst_unused:UNUSED_PAD src0_sel:WORD_0
	s_mov_b32 s6, 0x43800000
	v_mov_b32_e32 v5, 0x80
	v_and_b32_e32 v4, 0x7fffffff, v3
	v_cmp_gt_u32_e32 vcc, s6, v4
	s_and_saveexec_b64 s[6:7], vcc
	s_cbranch_execz .LBB23_2061
; %bb.2056:
	s_mov_b32 s8, 0x3bffffff
	v_cmp_lt_u32_e32 vcc, s8, v4
	s_mov_b64 s[8:9], 0
                                        ; implicit-def: $vgpr4
	s_and_saveexec_b64 s[10:11], vcc
	s_xor_b64 s[10:11], exec, s[10:11]
	s_cbranch_execz .LBB23_2123
; %bb.2057:
	v_bfe_u32 v4, v3, 20, 1
	s_mov_b32 s13, 0x487ffff
	v_add3_u32 v4, v3, v4, s13
	s_mov_b64 s[8:9], exec
	v_lshrrev_b32_e32 v4, 20, v4
	s_andn2_saveexec_b64 s[10:11], s[10:11]
	s_cbranch_execnz .LBB23_2124
.LBB23_2058:
	s_or_b64 exec, exec, s[10:11]
	v_mov_b32_e32 v5, 0
	s_and_saveexec_b64 s[10:11], s[8:9]
.LBB23_2059:
	v_lshrrev_b32_e32 v3, 24, v3
	s_movk_i32 s8, 0x80
	v_and_or_b32 v5, v3, s8, v4
.LBB23_2060:
	s_or_b64 exec, exec, s[10:11]
.LBB23_2061:
	s_or_b64 exec, exec, s[6:7]
	global_store_byte v[0:1], v5, off
.LBB23_2062:
	s_mov_b64 s[6:7], 0
.LBB23_2063:
	s_and_b64 vcc, exec, s[6:7]
	s_cbranch_vccz .LBB23_2103
; %bb.2064:
	s_cmp_gt_i32 s12, 22
	s_mov_b64 s[4:5], -1
	s_cbranch_scc0 .LBB23_2096
; %bb.2065:
	s_cmp_lt_i32 s12, 24
	s_cbranch_scc1 .LBB23_2085
; %bb.2066:
	s_cmp_gt_i32 s12, 24
	s_cbranch_scc0 .LBB23_2074
; %bb.2067:
	v_bfe_i32 v3, v2, 0, 8
	v_cvt_f32_i32_sdwa v3, sext(v3) dst_sel:DWORD dst_unused:UNUSED_PAD src0_sel:WORD_0
	s_mov_b32 s4, 0x47800000
	v_mov_b32_e32 v5, 0x80
	v_and_b32_e32 v4, 0x7fffffff, v3
	v_cmp_gt_u32_e32 vcc, s4, v4
	s_and_saveexec_b64 s[4:5], vcc
	s_cbranch_execz .LBB23_2073
; %bb.2068:
	s_mov_b32 s6, 0x37ffffff
	v_cmp_lt_u32_e32 vcc, s6, v4
	s_mov_b64 s[6:7], 0
                                        ; implicit-def: $vgpr4
	s_and_saveexec_b64 s[8:9], vcc
	s_xor_b64 s[8:9], exec, s[8:9]
	s_cbranch_execz .LBB23_2126
; %bb.2069:
	v_bfe_u32 v4, v3, 21, 1
	s_mov_b32 s10, 0x88fffff
	v_add3_u32 v4, v3, v4, s10
	s_mov_b64 s[6:7], exec
	v_lshrrev_b32_e32 v4, 21, v4
	s_andn2_saveexec_b64 s[8:9], s[8:9]
	s_cbranch_execnz .LBB23_2127
.LBB23_2070:
	s_or_b64 exec, exec, s[8:9]
	v_mov_b32_e32 v5, 0
	s_and_saveexec_b64 s[8:9], s[6:7]
.LBB23_2071:
	v_lshrrev_b32_e32 v3, 24, v3
	s_movk_i32 s6, 0x80
	v_and_or_b32 v5, v3, s6, v4
.LBB23_2072:
	s_or_b64 exec, exec, s[8:9]
.LBB23_2073:
	s_or_b64 exec, exec, s[4:5]
	s_mov_b64 s[4:5], 0
	global_store_byte v[0:1], v5, off
.LBB23_2074:
	s_and_b64 vcc, exec, s[4:5]
	s_cbranch_vccz .LBB23_2084
; %bb.2075:
	v_bfe_i32 v3, v2, 0, 8
	v_cvt_f32_i32_sdwa v3, sext(v3) dst_sel:DWORD dst_unused:UNUSED_PAD src0_sel:WORD_0
	s_mov_b32 s4, 0x43f00000
                                        ; implicit-def: $vgpr4
	v_and_b32_e32 v5, 0x7fffffff, v3
	v_cmp_gt_u32_e32 vcc, s4, v5
	s_and_saveexec_b64 s[4:5], vcc
	s_xor_b64 s[4:5], exec, s[4:5]
	s_cbranch_execz .LBB23_2081
; %bb.2076:
	s_mov_b32 s6, 0x3c7fffff
	v_cmp_lt_u32_e32 vcc, s6, v5
                                        ; implicit-def: $vgpr4
	s_and_saveexec_b64 s[6:7], vcc
	s_xor_b64 s[6:7], exec, s[6:7]
; %bb.2077:
	v_bfe_u32 v4, v3, 20, 1
	s_mov_b32 s8, 0x407ffff
	v_add3_u32 v4, v3, v4, s8
	v_lshrrev_b32_e32 v5, 20, v4
	v_and_b32_e32 v4, 0xff00000, v4
	s_mov_b32 s8, 0x7f00000
	v_mov_b32_e32 v6, 0x7e
	v_cmp_ne_u32_e32 vcc, s8, v4
	s_nop 1
	v_cndmask_b32_e32 v4, v6, v5, vcc
; %bb.2078:
	s_andn2_saveexec_b64 s[6:7], s[6:7]
; %bb.2079:
	s_mov_b32 s8, 0x46800000
	v_add_f32_e64 v4, |v3|, s8
; %bb.2080:
	s_or_b64 exec, exec, s[6:7]
                                        ; implicit-def: $vgpr5
.LBB23_2081:
	s_andn2_saveexec_b64 s[4:5], s[4:5]
; %bb.2082:
	s_mov_b32 s6, 0x7f800000
	v_mov_b32_e32 v4, 0x7e
	v_mov_b32_e32 v6, 0x7f
	v_cmp_lt_u32_e32 vcc, s6, v5
	s_nop 1
	v_cndmask_b32_e32 v4, v4, v6, vcc
; %bb.2083:
	s_or_b64 exec, exec, s[4:5]
	v_lshrrev_b32_e32 v3, 24, v3
	s_movk_i32 s4, 0x80
	v_and_or_b32 v3, v3, s4, v4
	global_store_byte v[0:1], v3, off
.LBB23_2084:
	s_mov_b64 s[4:5], 0
.LBB23_2085:
	s_andn2_b64 vcc, exec, s[4:5]
	s_cbranch_vccnz .LBB23_2095
; %bb.2086:
	v_bfe_i32 v3, v2, 0, 8
	v_cvt_f32_i32_sdwa v3, sext(v3) dst_sel:DWORD dst_unused:UNUSED_PAD src0_sel:WORD_0
	s_mov_b32 s4, 0x47800000
                                        ; implicit-def: $vgpr4
	v_and_b32_e32 v5, 0x7fffffff, v3
	v_cmp_gt_u32_e32 vcc, s4, v5
	s_and_saveexec_b64 s[4:5], vcc
	s_xor_b64 s[4:5], exec, s[4:5]
	s_cbranch_execz .LBB23_2092
; %bb.2087:
	s_mov_b32 s6, 0x387fffff
	v_cmp_lt_u32_e32 vcc, s6, v5
                                        ; implicit-def: $vgpr4
	s_and_saveexec_b64 s[6:7], vcc
	s_xor_b64 s[6:7], exec, s[6:7]
; %bb.2088:
	v_bfe_u32 v4, v3, 21, 1
	s_mov_b32 s8, 0x80fffff
	v_add3_u32 v4, v3, v4, s8
	v_lshrrev_b32_e32 v4, 21, v4
; %bb.2089:
	s_andn2_saveexec_b64 s[6:7], s[6:7]
; %bb.2090:
	s_mov_b32 s8, 0x43000000
	v_add_f32_e64 v4, |v3|, s8
; %bb.2091:
	s_or_b64 exec, exec, s[6:7]
                                        ; implicit-def: $vgpr5
.LBB23_2092:
	s_andn2_saveexec_b64 s[4:5], s[4:5]
; %bb.2093:
	s_mov_b32 s6, 0x7f800000
	v_mov_b32_e32 v4, 0x7c
	v_mov_b32_e32 v6, 0x7f
	v_cmp_lt_u32_e32 vcc, s6, v5
	s_nop 1
	v_cndmask_b32_e32 v4, v4, v6, vcc
; %bb.2094:
	s_or_b64 exec, exec, s[4:5]
	v_lshrrev_b32_e32 v3, 24, v3
	s_movk_i32 s4, 0x80
	v_and_or_b32 v3, v3, s4, v4
	global_store_byte v[0:1], v3, off
.LBB23_2095:
	s_mov_b64 s[4:5], 0
.LBB23_2096:
	s_andn2_b64 vcc, exec, s[4:5]
	s_mov_b64 s[4:5], 0
	s_cbranch_vccnz .LBB23_2103
; %bb.2097:
	s_cmp_gt_i32 s12, 14
	s_mov_b64 s[6:7], -1
	s_cbranch_scc0 .LBB23_2101
; %bb.2098:
	s_cmp_eq_u32 s12, 15
	s_mov_b64 s[0:1], -1
	s_cbranch_scc0 .LBB23_2100
; %bb.2099:
	v_bfe_i32 v3, v2, 0, 8
	v_cvt_f32_i32_sdwa v3, sext(v3) dst_sel:DWORD dst_unused:UNUSED_PAD src0_sel:WORD_0
	s_movk_i32 s0, 0x7fff
	v_bfe_u32 v4, v3, 16, 1
	v_add3_u32 v3, v3, v4, s0
	global_store_short_d16_hi v[0:1], v3, off
	s_mov_b64 s[0:1], 0
.LBB23_2100:
	s_mov_b64 s[6:7], 0
.LBB23_2101:
	s_and_b64 vcc, exec, s[6:7]
	s_cbranch_vccz .LBB23_2103
; %bb.2102:
	s_cmp_lg_u32 s12, 11
	s_mov_b64 s[4:5], -1
	s_cselect_b64 s[0:1], -1, 0
.LBB23_2103:
	s_and_b64 vcc, exec, s[0:1]
	s_cbranch_vccnz .LBB23_2125
.LBB23_2104:
	s_mov_b64 s[0:1], 0
	s_branch .LBB23_1514
.LBB23_2105:
	s_mov_b64 s[0:1], 0
                                        ; implicit-def: $vgpr0_vgpr1
                                        ; implicit-def: $sgpr14
                                        ; implicit-def: $vgpr2
	s_branch .LBB23_1513
.LBB23_2106:
	s_mov_b64 s[4:5], 0
	s_mov_b64 s[0:1], -1
	s_branch .LBB23_1514
.LBB23_2107:
	s_trap 2
	s_or_b64 s[2:3], s[2:3], exec
	s_cbranch_execz .LBB23_1620
	s_branch .LBB23_1621
.LBB23_2108:
	s_andn2_saveexec_b64 s[12:13], s[12:13]
	s_cbranch_execz .LBB23_1700
.LBB23_2109:
	s_mov_b32 s17, 0x46000000
	v_add_f32_e64 v5, |v3|, s17
	v_and_b32_e32 v5, 0xff, v5
	v_cmp_ne_u32_e32 vcc, 0, v5
	s_andn2_b64 s[10:11], s[10:11], exec
	s_and_b64 s[18:19], vcc, exec
	s_or_b64 s[10:11], s[10:11], s[18:19]
	s_or_b64 exec, exec, s[12:13]
	v_mov_b32_e32 v9, 0
	s_and_saveexec_b64 s[12:13], s[10:11]
	s_cbranch_execnz .LBB23_1701
	s_branch .LBB23_1702
.LBB23_2110:
	s_trap 2
	s_or_b64 s[2:3], s[2:3], exec
	s_cbranch_execz .LBB23_1748
	s_branch .LBB23_1749
.LBB23_2111:
	s_andn2_saveexec_b64 s[10:11], s[10:11]
	s_cbranch_execz .LBB23_1713
.LBB23_2112:
	s_mov_b32 s12, 0x42800000
	v_add_f32_e64 v5, |v3|, s12
	v_and_b32_e32 v5, 0xff, v5
	v_cmp_ne_u32_e32 vcc, 0, v5
	s_andn2_b64 s[8:9], s[8:9], exec
	s_and_b64 s[12:13], vcc, exec
	s_or_b64 s[8:9], s[8:9], s[12:13]
	s_or_b64 exec, exec, s[10:11]
	v_mov_b32_e32 v9, 0
	s_and_saveexec_b64 s[10:11], s[8:9]
	s_cbranch_execnz .LBB23_1714
	s_branch .LBB23_1715
.LBB23_2113:
	s_andn2_saveexec_b64 s[12:13], s[12:13]
	s_cbranch_execz .LBB23_1819
.LBB23_2114:
	s_mov_b32 s16, 0x46000000
	v_add_f32_e64 v6, |v3|, s16
	v_and_b32_e32 v6, 0xff, v6
	v_cmp_ne_u32_e32 vcc, 0, v6
	s_andn2_b64 s[10:11], s[10:11], exec
	s_and_b64 s[16:17], vcc, exec
	s_or_b64 s[10:11], s[10:11], s[16:17]
	s_or_b64 exec, exec, s[12:13]
	v_mov_b32_e32 v7, 0
	s_and_saveexec_b64 s[12:13], s[10:11]
	s_cbranch_execnz .LBB23_1820
	s_branch .LBB23_1821
.LBB23_2115:
	s_trap 2
	s_or_b64 s[2:3], s[2:3], exec
	s_cbranch_execz .LBB23_1867
	s_branch .LBB23_1868
.LBB23_2116:
	s_andn2_saveexec_b64 s[10:11], s[10:11]
	s_cbranch_execz .LBB23_1832
.LBB23_2117:
	s_mov_b32 s12, 0x42800000
	v_add_f32_e64 v6, |v3|, s12
	v_and_b32_e32 v6, 0xff, v6
	v_cmp_ne_u32_e32 vcc, 0, v6
	s_andn2_b64 s[8:9], s[8:9], exec
	s_and_b64 s[12:13], vcc, exec
	s_or_b64 s[8:9], s[8:9], s[12:13]
	s_or_b64 exec, exec, s[10:11]
	v_mov_b32_e32 v7, 0
	s_and_saveexec_b64 s[10:11], s[8:9]
	s_cbranch_execnz .LBB23_1833
	s_branch .LBB23_1834
.LBB23_2118:
	s_andn2_saveexec_b64 s[12:13], s[12:13]
	s_cbranch_execz .LBB23_1938
.LBB23_2119:
	s_mov_b32 s16, 0x46000000
	v_add_f32_e64 v5, |v4|, s16
	v_and_b32_e32 v5, 0xff, v5
	v_cmp_ne_u32_e32 vcc, 0, v5
	s_andn2_b64 s[10:11], s[10:11], exec
	s_and_b64 s[16:17], vcc, exec
	s_or_b64 s[10:11], s[10:11], s[16:17]
	s_or_b64 exec, exec, s[12:13]
	v_mov_b32_e32 v6, 0
	s_and_saveexec_b64 s[12:13], s[10:11]
	s_cbranch_execnz .LBB23_1939
	s_branch .LBB23_1940
.LBB23_2120:
	s_trap 2
	s_or_b64 s[2:3], s[2:3], exec
	s_cbranch_execz .LBB23_1986
	s_branch .LBB23_1987
.LBB23_2121:
	s_andn2_saveexec_b64 s[10:11], s[10:11]
	s_cbranch_execz .LBB23_1951
.LBB23_2122:
	s_mov_b32 s12, 0x42800000
	v_add_f32_e64 v5, |v4|, s12
	v_and_b32_e32 v5, 0xff, v5
	v_cmp_ne_u32_e32 vcc, 0, v5
	s_andn2_b64 s[8:9], s[8:9], exec
	s_and_b64 s[12:13], vcc, exec
	s_or_b64 s[8:9], s[8:9], s[12:13]
	s_or_b64 exec, exec, s[10:11]
	v_mov_b32_e32 v6, 0
	s_and_saveexec_b64 s[10:11], s[8:9]
	s_cbranch_execnz .LBB23_1952
	s_branch .LBB23_1953
.LBB23_2123:
	s_andn2_saveexec_b64 s[10:11], s[10:11]
	s_cbranch_execz .LBB23_2058
.LBB23_2124:
	s_mov_b32 s13, 0x46000000
	v_add_f32_e64 v4, |v3|, s13
	v_and_b32_e32 v4, 0xff, v4
	v_cmp_ne_u32_e32 vcc, 0, v4
	s_andn2_b64 s[8:9], s[8:9], exec
	s_and_b64 s[16:17], vcc, exec
	s_or_b64 s[8:9], s[8:9], s[16:17]
	s_or_b64 exec, exec, s[10:11]
	v_mov_b32_e32 v5, 0
	s_and_saveexec_b64 s[10:11], s[8:9]
	s_cbranch_execnz .LBB23_2059
	s_branch .LBB23_2060
.LBB23_2125:
	s_mov_b64 s[4:5], 0
	s_or_b64 s[2:3], s[2:3], exec
	s_trap 2
	s_branch .LBB23_2104
.LBB23_2126:
	s_andn2_saveexec_b64 s[8:9], s[8:9]
	s_cbranch_execz .LBB23_2070
.LBB23_2127:
	s_mov_b32 s10, 0x42800000
	v_add_f32_e64 v4, |v3|, s10
	v_and_b32_e32 v4, 0xff, v4
	v_cmp_ne_u32_e32 vcc, 0, v4
	s_andn2_b64 s[6:7], s[6:7], exec
	s_and_b64 s[10:11], vcc, exec
	s_or_b64 s[6:7], s[6:7], s[10:11]
	s_or_b64 exec, exec, s[8:9]
	v_mov_b32_e32 v5, 0
	s_and_saveexec_b64 s[8:9], s[6:7]
	s_cbranch_execnz .LBB23_2071
	s_branch .LBB23_2072
	.section	.rodata,"a",@progbits
	.p2align	6, 0x0
	.amdhsa_kernel _ZN2at6native32elementwise_kernel_manual_unrollILi128ELi4EZNS0_15gpu_kernel_implIZZZNS0_23bitwise_not_kernel_cudaERNS_18TensorIteratorBaseEENKUlvE_clEvENKUlvE0_clEvEUlaE_EEvS4_RKT_EUlibE0_EEviT1_
		.amdhsa_group_segment_fixed_size 0
		.amdhsa_private_segment_fixed_size 0
		.amdhsa_kernarg_size 360
		.amdhsa_user_sgpr_count 2
		.amdhsa_user_sgpr_dispatch_ptr 0
		.amdhsa_user_sgpr_queue_ptr 0
		.amdhsa_user_sgpr_kernarg_segment_ptr 1
		.amdhsa_user_sgpr_dispatch_id 0
		.amdhsa_user_sgpr_kernarg_preload_length 0
		.amdhsa_user_sgpr_kernarg_preload_offset 0
		.amdhsa_user_sgpr_private_segment_size 0
		.amdhsa_uses_dynamic_stack 0
		.amdhsa_enable_private_segment 0
		.amdhsa_system_sgpr_workgroup_id_x 1
		.amdhsa_system_sgpr_workgroup_id_y 0
		.amdhsa_system_sgpr_workgroup_id_z 0
		.amdhsa_system_sgpr_workgroup_info 0
		.amdhsa_system_vgpr_workitem_id 0
		.amdhsa_next_free_vgpr 18
		.amdhsa_next_free_sgpr 78
		.amdhsa_accum_offset 20
		.amdhsa_reserve_vcc 1
		.amdhsa_float_round_mode_32 0
		.amdhsa_float_round_mode_16_64 0
		.amdhsa_float_denorm_mode_32 3
		.amdhsa_float_denorm_mode_16_64 3
		.amdhsa_dx10_clamp 1
		.amdhsa_ieee_mode 1
		.amdhsa_fp16_overflow 0
		.amdhsa_tg_split 0
		.amdhsa_exception_fp_ieee_invalid_op 0
		.amdhsa_exception_fp_denorm_src 0
		.amdhsa_exception_fp_ieee_div_zero 0
		.amdhsa_exception_fp_ieee_overflow 0
		.amdhsa_exception_fp_ieee_underflow 0
		.amdhsa_exception_fp_ieee_inexact 0
		.amdhsa_exception_int_div_zero 0
	.end_amdhsa_kernel
	.section	.text._ZN2at6native32elementwise_kernel_manual_unrollILi128ELi4EZNS0_15gpu_kernel_implIZZZNS0_23bitwise_not_kernel_cudaERNS_18TensorIteratorBaseEENKUlvE_clEvENKUlvE0_clEvEUlaE_EEvS4_RKT_EUlibE0_EEviT1_,"axG",@progbits,_ZN2at6native32elementwise_kernel_manual_unrollILi128ELi4EZNS0_15gpu_kernel_implIZZZNS0_23bitwise_not_kernel_cudaERNS_18TensorIteratorBaseEENKUlvE_clEvENKUlvE0_clEvEUlaE_EEvS4_RKT_EUlibE0_EEviT1_,comdat
.Lfunc_end23:
	.size	_ZN2at6native32elementwise_kernel_manual_unrollILi128ELi4EZNS0_15gpu_kernel_implIZZZNS0_23bitwise_not_kernel_cudaERNS_18TensorIteratorBaseEENKUlvE_clEvENKUlvE0_clEvEUlaE_EEvS4_RKT_EUlibE0_EEviT1_, .Lfunc_end23-_ZN2at6native32elementwise_kernel_manual_unrollILi128ELi4EZNS0_15gpu_kernel_implIZZZNS0_23bitwise_not_kernel_cudaERNS_18TensorIteratorBaseEENKUlvE_clEvENKUlvE0_clEvEUlaE_EEvS4_RKT_EUlibE0_EEviT1_
                                        ; -- End function
	.set _ZN2at6native32elementwise_kernel_manual_unrollILi128ELi4EZNS0_15gpu_kernel_implIZZZNS0_23bitwise_not_kernel_cudaERNS_18TensorIteratorBaseEENKUlvE_clEvENKUlvE0_clEvEUlaE_EEvS4_RKT_EUlibE0_EEviT1_.num_vgpr, 18
	.set _ZN2at6native32elementwise_kernel_manual_unrollILi128ELi4EZNS0_15gpu_kernel_implIZZZNS0_23bitwise_not_kernel_cudaERNS_18TensorIteratorBaseEENKUlvE_clEvENKUlvE0_clEvEUlaE_EEvS4_RKT_EUlibE0_EEviT1_.num_agpr, 0
	.set _ZN2at6native32elementwise_kernel_manual_unrollILi128ELi4EZNS0_15gpu_kernel_implIZZZNS0_23bitwise_not_kernel_cudaERNS_18TensorIteratorBaseEENKUlvE_clEvENKUlvE0_clEvEUlaE_EEvS4_RKT_EUlibE0_EEviT1_.numbered_sgpr, 78
	.set _ZN2at6native32elementwise_kernel_manual_unrollILi128ELi4EZNS0_15gpu_kernel_implIZZZNS0_23bitwise_not_kernel_cudaERNS_18TensorIteratorBaseEENKUlvE_clEvENKUlvE0_clEvEUlaE_EEvS4_RKT_EUlibE0_EEviT1_.num_named_barrier, 0
	.set _ZN2at6native32elementwise_kernel_manual_unrollILi128ELi4EZNS0_15gpu_kernel_implIZZZNS0_23bitwise_not_kernel_cudaERNS_18TensorIteratorBaseEENKUlvE_clEvENKUlvE0_clEvEUlaE_EEvS4_RKT_EUlibE0_EEviT1_.private_seg_size, 0
	.set _ZN2at6native32elementwise_kernel_manual_unrollILi128ELi4EZNS0_15gpu_kernel_implIZZZNS0_23bitwise_not_kernel_cudaERNS_18TensorIteratorBaseEENKUlvE_clEvENKUlvE0_clEvEUlaE_EEvS4_RKT_EUlibE0_EEviT1_.uses_vcc, 1
	.set _ZN2at6native32elementwise_kernel_manual_unrollILi128ELi4EZNS0_15gpu_kernel_implIZZZNS0_23bitwise_not_kernel_cudaERNS_18TensorIteratorBaseEENKUlvE_clEvENKUlvE0_clEvEUlaE_EEvS4_RKT_EUlibE0_EEviT1_.uses_flat_scratch, 0
	.set _ZN2at6native32elementwise_kernel_manual_unrollILi128ELi4EZNS0_15gpu_kernel_implIZZZNS0_23bitwise_not_kernel_cudaERNS_18TensorIteratorBaseEENKUlvE_clEvENKUlvE0_clEvEUlaE_EEvS4_RKT_EUlibE0_EEviT1_.has_dyn_sized_stack, 0
	.set _ZN2at6native32elementwise_kernel_manual_unrollILi128ELi4EZNS0_15gpu_kernel_implIZZZNS0_23bitwise_not_kernel_cudaERNS_18TensorIteratorBaseEENKUlvE_clEvENKUlvE0_clEvEUlaE_EEvS4_RKT_EUlibE0_EEviT1_.has_recursion, 0
	.set _ZN2at6native32elementwise_kernel_manual_unrollILi128ELi4EZNS0_15gpu_kernel_implIZZZNS0_23bitwise_not_kernel_cudaERNS_18TensorIteratorBaseEENKUlvE_clEvENKUlvE0_clEvEUlaE_EEvS4_RKT_EUlibE0_EEviT1_.has_indirect_call, 0
	.section	.AMDGPU.csdata,"",@progbits
; Kernel info:
; codeLenInByte = 36596
; TotalNumSgprs: 84
; NumVgprs: 18
; NumAgprs: 0
; TotalNumVgprs: 18
; ScratchSize: 0
; MemoryBound: 1
; FloatMode: 240
; IeeeMode: 1
; LDSByteSize: 0 bytes/workgroup (compile time only)
; SGPRBlocks: 10
; VGPRBlocks: 2
; NumSGPRsForWavesPerEU: 84
; NumVGPRsForWavesPerEU: 18
; AccumOffset: 20
; Occupancy: 8
; WaveLimiterHint : 1
; COMPUTE_PGM_RSRC2:SCRATCH_EN: 0
; COMPUTE_PGM_RSRC2:USER_SGPR: 2
; COMPUTE_PGM_RSRC2:TRAP_HANDLER: 0
; COMPUTE_PGM_RSRC2:TGID_X_EN: 1
; COMPUTE_PGM_RSRC2:TGID_Y_EN: 0
; COMPUTE_PGM_RSRC2:TGID_Z_EN: 0
; COMPUTE_PGM_RSRC2:TIDIG_COMP_CNT: 0
; COMPUTE_PGM_RSRC3_GFX90A:ACCUM_OFFSET: 4
; COMPUTE_PGM_RSRC3_GFX90A:TG_SPLIT: 0
	.section	.text._ZN2at6native29vectorized_elementwise_kernelILi16EZZZNS0_23bitwise_not_kernel_cudaERNS_18TensorIteratorBaseEENKUlvE_clEvENKUlvE1_clEvEUliE_St5arrayIPcLm2EEEEviT0_T1_,"axG",@progbits,_ZN2at6native29vectorized_elementwise_kernelILi16EZZZNS0_23bitwise_not_kernel_cudaERNS_18TensorIteratorBaseEENKUlvE_clEvENKUlvE1_clEvEUliE_St5arrayIPcLm2EEEEviT0_T1_,comdat
	.globl	_ZN2at6native29vectorized_elementwise_kernelILi16EZZZNS0_23bitwise_not_kernel_cudaERNS_18TensorIteratorBaseEENKUlvE_clEvENKUlvE1_clEvEUliE_St5arrayIPcLm2EEEEviT0_T1_ ; -- Begin function _ZN2at6native29vectorized_elementwise_kernelILi16EZZZNS0_23bitwise_not_kernel_cudaERNS_18TensorIteratorBaseEENKUlvE_clEvENKUlvE1_clEvEUliE_St5arrayIPcLm2EEEEviT0_T1_
	.p2align	8
	.type	_ZN2at6native29vectorized_elementwise_kernelILi16EZZZNS0_23bitwise_not_kernel_cudaERNS_18TensorIteratorBaseEENKUlvE_clEvENKUlvE1_clEvEUliE_St5arrayIPcLm2EEEEviT0_T1_,@function
_ZN2at6native29vectorized_elementwise_kernelILi16EZZZNS0_23bitwise_not_kernel_cudaERNS_18TensorIteratorBaseEENKUlvE_clEvENKUlvE1_clEvEUliE_St5arrayIPcLm2EEEEviT0_T1_: ; @_ZN2at6native29vectorized_elementwise_kernelILi16EZZZNS0_23bitwise_not_kernel_cudaERNS_18TensorIteratorBaseEENKUlvE_clEvENKUlvE1_clEvEUliE_St5arrayIPcLm2EEEEviT0_T1_
; %bb.0:
	s_load_dword s3, s[0:1], 0x0
	s_load_dwordx4 s[4:7], s[0:1], 0x8
	s_lshl_b32 s2, s2, 10
	s_mov_b64 s[0:1], -1
	s_waitcnt lgkmcnt(0)
	s_sub_i32 s14, s3, s2
	s_cmpk_gt_i32 s14, 0x3ff
	s_cbranch_scc0 .LBB24_2
; %bb.1:
	s_ashr_i32 s3, s2, 31
	s_lshl_b64 s[0:1], s[2:3], 2
	s_add_u32 s8, s6, s0
	s_addc_u32 s9, s7, s1
	v_lshlrev_b32_e32 v1, 4, v0
	global_load_dwordx4 v[2:5], v1, s[8:9]
	s_add_u32 s0, s4, s0
	s_addc_u32 s1, s5, s1
	s_waitcnt vmcnt(0)
	v_xor_b32_e32 v3, -1, v3
	v_xor_b32_e32 v2, -1, v2
	v_xor_b32_e32 v5, -1, v5
	v_xor_b32_e32 v4, -1, v4
	global_store_dwordx4 v1, v[2:5], s[0:1]
	s_mov_b64 s[0:1], 0
.LBB24_2:
	s_andn2_b64 vcc, exec, s[0:1]
	s_cbranch_vccnz .LBB24_16
; %bb.3:
	v_cmp_gt_i32_e32 vcc, s14, v0
	v_or_b32_e32 v1, 0x100, v0
	v_mov_b32_e32 v5, 0
	v_mov_b32_e32 v4, -1
	v_or_b32_e32 v2, s2, v0
	v_mov_b32_e32 v3, 0
	v_mov_b32_e32 v8, 0
	s_and_saveexec_b64 s[8:9], vcc
	s_cbranch_execz .LBB24_11
; %bb.4:
	v_mov_b32_e32 v3, 0
	v_lshl_add_u64 v[4:5], v[2:3], 2, s[6:7]
	global_load_dword v8, v[4:5], off
	v_cmp_gt_u32_e64 s[0:1], s14, v1
	v_mov_b32_e32 v4, -1
	v_mov_b32_e32 v5, v3
	s_and_saveexec_b64 s[10:11], s[0:1]
	s_cbranch_execz .LBB24_10
; %bb.5:
	v_add_u32_e32 v4, s2, v0
	v_mov_b32_e32 v5, 0
	v_lshl_add_u64 v[6:7], v[4:5], 2, s[6:7]
	global_load_dword v3, v[6:7], off offset:1024
	v_or_b32_e32 v4, 0x200, v0
	v_cmp_gt_u32_e64 s[0:1], s14, v4
	v_mov_b32_e32 v4, -1
	s_and_saveexec_b64 s[6:7], s[0:1]
	s_cbranch_execz .LBB24_9
; %bb.6:
	global_load_dword v5, v[6:7], off offset:2048
	v_or_b32_e32 v4, 0x300, v0
	v_cmp_gt_u32_e64 s[0:1], s14, v4
	v_mov_b32_e32 v4, -1
	s_and_saveexec_b64 s[12:13], s[0:1]
	s_cbranch_execz .LBB24_8
; %bb.7:
	global_load_dword v4, v[6:7], off offset:3072
	s_waitcnt vmcnt(0)
	v_not_b32_e32 v4, v4
.LBB24_8:
	s_or_b64 exec, exec, s[12:13]
.LBB24_9:
	s_or_b64 exec, exec, s[6:7]
.LBB24_10:
	s_or_b64 exec, exec, s[10:11]
.LBB24_11:
	s_or_b64 exec, exec, s[8:9]
	s_waitcnt vmcnt(0)
	v_not_b32_e32 v6, v8
	v_not_b32_e32 v3, v3
	v_cmp_gt_i32_e64 s[0:1], s14, v1
	v_cndmask_b32_e32 v7, 0, v6, vcc
	v_not_b32_e32 v5, v5
	v_cndmask_b32_e64 v6, 0, v3, s[0:1]
	v_or_b32_e32 v3, 0x200, v0
	v_cmp_gt_i32_e64 s[0:1], s14, v3
	v_or_b32_e32 v3, 0x300, v0
	s_nop 0
	v_cndmask_b32_e64 v5, 0, v5, s[0:1]
	v_cmp_gt_i32_e64 s[0:1], s14, v3
	s_nop 1
	v_cndmask_b32_e64 v4, 0, v4, s[0:1]
	s_and_saveexec_b64 s[0:1], vcc
	s_cbranch_execnz .LBB24_17
; %bb.12:
	s_or_b64 exec, exec, s[0:1]
	v_cmp_gt_i32_e32 vcc, s14, v0
	s_and_saveexec_b64 s[0:1], vcc
	s_cbranch_execnz .LBB24_18
.LBB24_13:
	s_or_b64 exec, exec, s[0:1]
	v_cmp_gt_i32_e32 vcc, s14, v0
	s_and_saveexec_b64 s[0:1], vcc
	s_cbranch_execnz .LBB24_19
.LBB24_14:
	s_or_b64 exec, exec, s[0:1]
	v_cmp_gt_i32_e32 vcc, s14, v0
	s_and_saveexec_b64 s[0:1], vcc
	s_cbranch_execz .LBB24_16
.LBB24_15:
	v_add_u32_e32 v0, s2, v0
	v_mov_b32_e32 v1, 0
	v_lshl_add_u64 v[0:1], v[0:1], 2, s[4:5]
	global_store_dword v[0:1], v4, off
.LBB24_16:
	s_endpgm
.LBB24_17:
	v_mov_b32_e32 v3, 0
	v_lshl_add_u64 v[2:3], v[2:3], 2, s[4:5]
	v_mov_b32_e32 v0, v1
	global_store_dword v[2:3], v7, off
	s_or_b64 exec, exec, s[0:1]
	v_cmp_gt_i32_e32 vcc, s14, v0
	s_and_saveexec_b64 s[0:1], vcc
	s_cbranch_execz .LBB24_13
.LBB24_18:
	v_add_u32_e32 v2, s2, v0
	v_mov_b32_e32 v3, 0
	v_lshl_add_u64 v[2:3], v[2:3], 2, s[4:5]
	v_add_u32_e32 v0, 0x100, v0
	global_store_dword v[2:3], v6, off
	s_or_b64 exec, exec, s[0:1]
	v_cmp_gt_i32_e32 vcc, s14, v0
	s_and_saveexec_b64 s[0:1], vcc
	s_cbranch_execz .LBB24_14
.LBB24_19:
	v_add_u32_e32 v2, s2, v0
	v_mov_b32_e32 v3, 0
	v_lshl_add_u64 v[2:3], v[2:3], 2, s[4:5]
	v_add_u32_e32 v0, 0x100, v0
	global_store_dword v[2:3], v5, off
	s_or_b64 exec, exec, s[0:1]
	v_cmp_gt_i32_e32 vcc, s14, v0
	s_and_saveexec_b64 s[0:1], vcc
	s_cbranch_execnz .LBB24_15
	s_branch .LBB24_16
	.section	.rodata,"a",@progbits
	.p2align	6, 0x0
	.amdhsa_kernel _ZN2at6native29vectorized_elementwise_kernelILi16EZZZNS0_23bitwise_not_kernel_cudaERNS_18TensorIteratorBaseEENKUlvE_clEvENKUlvE1_clEvEUliE_St5arrayIPcLm2EEEEviT0_T1_
		.amdhsa_group_segment_fixed_size 0
		.amdhsa_private_segment_fixed_size 0
		.amdhsa_kernarg_size 24
		.amdhsa_user_sgpr_count 2
		.amdhsa_user_sgpr_dispatch_ptr 0
		.amdhsa_user_sgpr_queue_ptr 0
		.amdhsa_user_sgpr_kernarg_segment_ptr 1
		.amdhsa_user_sgpr_dispatch_id 0
		.amdhsa_user_sgpr_kernarg_preload_length 0
		.amdhsa_user_sgpr_kernarg_preload_offset 0
		.amdhsa_user_sgpr_private_segment_size 0
		.amdhsa_uses_dynamic_stack 0
		.amdhsa_enable_private_segment 0
		.amdhsa_system_sgpr_workgroup_id_x 1
		.amdhsa_system_sgpr_workgroup_id_y 0
		.amdhsa_system_sgpr_workgroup_id_z 0
		.amdhsa_system_sgpr_workgroup_info 0
		.amdhsa_system_vgpr_workitem_id 0
		.amdhsa_next_free_vgpr 9
		.amdhsa_next_free_sgpr 15
		.amdhsa_accum_offset 12
		.amdhsa_reserve_vcc 1
		.amdhsa_float_round_mode_32 0
		.amdhsa_float_round_mode_16_64 0
		.amdhsa_float_denorm_mode_32 3
		.amdhsa_float_denorm_mode_16_64 3
		.amdhsa_dx10_clamp 1
		.amdhsa_ieee_mode 1
		.amdhsa_fp16_overflow 0
		.amdhsa_tg_split 0
		.amdhsa_exception_fp_ieee_invalid_op 0
		.amdhsa_exception_fp_denorm_src 0
		.amdhsa_exception_fp_ieee_div_zero 0
		.amdhsa_exception_fp_ieee_overflow 0
		.amdhsa_exception_fp_ieee_underflow 0
		.amdhsa_exception_fp_ieee_inexact 0
		.amdhsa_exception_int_div_zero 0
	.end_amdhsa_kernel
	.section	.text._ZN2at6native29vectorized_elementwise_kernelILi16EZZZNS0_23bitwise_not_kernel_cudaERNS_18TensorIteratorBaseEENKUlvE_clEvENKUlvE1_clEvEUliE_St5arrayIPcLm2EEEEviT0_T1_,"axG",@progbits,_ZN2at6native29vectorized_elementwise_kernelILi16EZZZNS0_23bitwise_not_kernel_cudaERNS_18TensorIteratorBaseEENKUlvE_clEvENKUlvE1_clEvEUliE_St5arrayIPcLm2EEEEviT0_T1_,comdat
.Lfunc_end24:
	.size	_ZN2at6native29vectorized_elementwise_kernelILi16EZZZNS0_23bitwise_not_kernel_cudaERNS_18TensorIteratorBaseEENKUlvE_clEvENKUlvE1_clEvEUliE_St5arrayIPcLm2EEEEviT0_T1_, .Lfunc_end24-_ZN2at6native29vectorized_elementwise_kernelILi16EZZZNS0_23bitwise_not_kernel_cudaERNS_18TensorIteratorBaseEENKUlvE_clEvENKUlvE1_clEvEUliE_St5arrayIPcLm2EEEEviT0_T1_
                                        ; -- End function
	.set _ZN2at6native29vectorized_elementwise_kernelILi16EZZZNS0_23bitwise_not_kernel_cudaERNS_18TensorIteratorBaseEENKUlvE_clEvENKUlvE1_clEvEUliE_St5arrayIPcLm2EEEEviT0_T1_.num_vgpr, 9
	.set _ZN2at6native29vectorized_elementwise_kernelILi16EZZZNS0_23bitwise_not_kernel_cudaERNS_18TensorIteratorBaseEENKUlvE_clEvENKUlvE1_clEvEUliE_St5arrayIPcLm2EEEEviT0_T1_.num_agpr, 0
	.set _ZN2at6native29vectorized_elementwise_kernelILi16EZZZNS0_23bitwise_not_kernel_cudaERNS_18TensorIteratorBaseEENKUlvE_clEvENKUlvE1_clEvEUliE_St5arrayIPcLm2EEEEviT0_T1_.numbered_sgpr, 15
	.set _ZN2at6native29vectorized_elementwise_kernelILi16EZZZNS0_23bitwise_not_kernel_cudaERNS_18TensorIteratorBaseEENKUlvE_clEvENKUlvE1_clEvEUliE_St5arrayIPcLm2EEEEviT0_T1_.num_named_barrier, 0
	.set _ZN2at6native29vectorized_elementwise_kernelILi16EZZZNS0_23bitwise_not_kernel_cudaERNS_18TensorIteratorBaseEENKUlvE_clEvENKUlvE1_clEvEUliE_St5arrayIPcLm2EEEEviT0_T1_.private_seg_size, 0
	.set _ZN2at6native29vectorized_elementwise_kernelILi16EZZZNS0_23bitwise_not_kernel_cudaERNS_18TensorIteratorBaseEENKUlvE_clEvENKUlvE1_clEvEUliE_St5arrayIPcLm2EEEEviT0_T1_.uses_vcc, 1
	.set _ZN2at6native29vectorized_elementwise_kernelILi16EZZZNS0_23bitwise_not_kernel_cudaERNS_18TensorIteratorBaseEENKUlvE_clEvENKUlvE1_clEvEUliE_St5arrayIPcLm2EEEEviT0_T1_.uses_flat_scratch, 0
	.set _ZN2at6native29vectorized_elementwise_kernelILi16EZZZNS0_23bitwise_not_kernel_cudaERNS_18TensorIteratorBaseEENKUlvE_clEvENKUlvE1_clEvEUliE_St5arrayIPcLm2EEEEviT0_T1_.has_dyn_sized_stack, 0
	.set _ZN2at6native29vectorized_elementwise_kernelILi16EZZZNS0_23bitwise_not_kernel_cudaERNS_18TensorIteratorBaseEENKUlvE_clEvENKUlvE1_clEvEUliE_St5arrayIPcLm2EEEEviT0_T1_.has_recursion, 0
	.set _ZN2at6native29vectorized_elementwise_kernelILi16EZZZNS0_23bitwise_not_kernel_cudaERNS_18TensorIteratorBaseEENKUlvE_clEvENKUlvE1_clEvEUliE_St5arrayIPcLm2EEEEviT0_T1_.has_indirect_call, 0
	.section	.AMDGPU.csdata,"",@progbits
; Kernel info:
; codeLenInByte = 636
; TotalNumSgprs: 21
; NumVgprs: 9
; NumAgprs: 0
; TotalNumVgprs: 9
; ScratchSize: 0
; MemoryBound: 0
; FloatMode: 240
; IeeeMode: 1
; LDSByteSize: 0 bytes/workgroup (compile time only)
; SGPRBlocks: 2
; VGPRBlocks: 1
; NumSGPRsForWavesPerEU: 21
; NumVGPRsForWavesPerEU: 9
; AccumOffset: 12
; Occupancy: 8
; WaveLimiterHint : 0
; COMPUTE_PGM_RSRC2:SCRATCH_EN: 0
; COMPUTE_PGM_RSRC2:USER_SGPR: 2
; COMPUTE_PGM_RSRC2:TRAP_HANDLER: 0
; COMPUTE_PGM_RSRC2:TGID_X_EN: 1
; COMPUTE_PGM_RSRC2:TGID_Y_EN: 0
; COMPUTE_PGM_RSRC2:TGID_Z_EN: 0
; COMPUTE_PGM_RSRC2:TIDIG_COMP_CNT: 0
; COMPUTE_PGM_RSRC3_GFX90A:ACCUM_OFFSET: 2
; COMPUTE_PGM_RSRC3_GFX90A:TG_SPLIT: 0
	.section	.text._ZN2at6native29vectorized_elementwise_kernelILi8EZZZNS0_23bitwise_not_kernel_cudaERNS_18TensorIteratorBaseEENKUlvE_clEvENKUlvE1_clEvEUliE_St5arrayIPcLm2EEEEviT0_T1_,"axG",@progbits,_ZN2at6native29vectorized_elementwise_kernelILi8EZZZNS0_23bitwise_not_kernel_cudaERNS_18TensorIteratorBaseEENKUlvE_clEvENKUlvE1_clEvEUliE_St5arrayIPcLm2EEEEviT0_T1_,comdat
	.globl	_ZN2at6native29vectorized_elementwise_kernelILi8EZZZNS0_23bitwise_not_kernel_cudaERNS_18TensorIteratorBaseEENKUlvE_clEvENKUlvE1_clEvEUliE_St5arrayIPcLm2EEEEviT0_T1_ ; -- Begin function _ZN2at6native29vectorized_elementwise_kernelILi8EZZZNS0_23bitwise_not_kernel_cudaERNS_18TensorIteratorBaseEENKUlvE_clEvENKUlvE1_clEvEUliE_St5arrayIPcLm2EEEEviT0_T1_
	.p2align	8
	.type	_ZN2at6native29vectorized_elementwise_kernelILi8EZZZNS0_23bitwise_not_kernel_cudaERNS_18TensorIteratorBaseEENKUlvE_clEvENKUlvE1_clEvEUliE_St5arrayIPcLm2EEEEviT0_T1_,@function
_ZN2at6native29vectorized_elementwise_kernelILi8EZZZNS0_23bitwise_not_kernel_cudaERNS_18TensorIteratorBaseEENKUlvE_clEvENKUlvE1_clEvEUliE_St5arrayIPcLm2EEEEviT0_T1_: ; @_ZN2at6native29vectorized_elementwise_kernelILi8EZZZNS0_23bitwise_not_kernel_cudaERNS_18TensorIteratorBaseEENKUlvE_clEvENKUlvE1_clEvEUliE_St5arrayIPcLm2EEEEviT0_T1_
; %bb.0:
	s_load_dword s3, s[0:1], 0x0
	s_load_dwordx4 s[4:7], s[0:1], 0x8
	s_lshl_b32 s2, s2, 10
	s_mov_b64 s[0:1], -1
	s_waitcnt lgkmcnt(0)
	s_sub_i32 s14, s3, s2
	s_cmpk_gt_i32 s14, 0x3ff
	s_cbranch_scc0 .LBB25_2
; %bb.1:
	s_ashr_i32 s3, s2, 31
	s_lshl_b64 s[0:1], s[2:3], 2
	s_add_u32 s8, s6, s0
	s_addc_u32 s9, s7, s1
	v_lshlrev_b32_e32 v1, 4, v0
	global_load_dwordx4 v[2:5], v1, s[8:9]
	s_add_u32 s0, s4, s0
	s_addc_u32 s1, s5, s1
	s_waitcnt vmcnt(0)
	v_xor_b32_e32 v3, -1, v3
	v_xor_b32_e32 v2, -1, v2
	v_xor_b32_e32 v5, -1, v5
	v_xor_b32_e32 v4, -1, v4
	global_store_dwordx4 v1, v[2:5], s[0:1]
	s_mov_b64 s[0:1], 0
.LBB25_2:
	s_andn2_b64 vcc, exec, s[0:1]
	s_cbranch_vccnz .LBB25_16
; %bb.3:
	v_cmp_gt_i32_e32 vcc, s14, v0
	v_or_b32_e32 v1, 0x100, v0
	v_mov_b32_e32 v5, 0
	v_mov_b32_e32 v4, -1
	v_or_b32_e32 v2, s2, v0
	v_mov_b32_e32 v3, 0
	v_mov_b32_e32 v8, 0
	s_and_saveexec_b64 s[8:9], vcc
	s_cbranch_execz .LBB25_11
; %bb.4:
	v_mov_b32_e32 v3, 0
	v_lshl_add_u64 v[4:5], v[2:3], 2, s[6:7]
	global_load_dword v8, v[4:5], off
	v_cmp_gt_u32_e64 s[0:1], s14, v1
	v_mov_b32_e32 v4, -1
	v_mov_b32_e32 v5, v3
	s_and_saveexec_b64 s[10:11], s[0:1]
	s_cbranch_execz .LBB25_10
; %bb.5:
	v_add_u32_e32 v4, s2, v0
	v_mov_b32_e32 v5, 0
	v_lshl_add_u64 v[6:7], v[4:5], 2, s[6:7]
	global_load_dword v3, v[6:7], off offset:1024
	v_or_b32_e32 v4, 0x200, v0
	v_cmp_gt_u32_e64 s[0:1], s14, v4
	v_mov_b32_e32 v4, -1
	s_and_saveexec_b64 s[6:7], s[0:1]
	s_cbranch_execz .LBB25_9
; %bb.6:
	global_load_dword v5, v[6:7], off offset:2048
	v_or_b32_e32 v4, 0x300, v0
	v_cmp_gt_u32_e64 s[0:1], s14, v4
	v_mov_b32_e32 v4, -1
	s_and_saveexec_b64 s[12:13], s[0:1]
	s_cbranch_execz .LBB25_8
; %bb.7:
	global_load_dword v4, v[6:7], off offset:3072
	s_waitcnt vmcnt(0)
	v_not_b32_e32 v4, v4
.LBB25_8:
	s_or_b64 exec, exec, s[12:13]
.LBB25_9:
	s_or_b64 exec, exec, s[6:7]
.LBB25_10:
	s_or_b64 exec, exec, s[10:11]
.LBB25_11:
	s_or_b64 exec, exec, s[8:9]
	s_waitcnt vmcnt(0)
	v_not_b32_e32 v6, v8
	v_not_b32_e32 v3, v3
	v_cmp_gt_i32_e64 s[0:1], s14, v1
	v_cndmask_b32_e32 v7, 0, v6, vcc
	v_not_b32_e32 v5, v5
	v_cndmask_b32_e64 v6, 0, v3, s[0:1]
	v_or_b32_e32 v3, 0x200, v0
	v_cmp_gt_i32_e64 s[0:1], s14, v3
	v_or_b32_e32 v3, 0x300, v0
	s_nop 0
	v_cndmask_b32_e64 v5, 0, v5, s[0:1]
	v_cmp_gt_i32_e64 s[0:1], s14, v3
	s_nop 1
	v_cndmask_b32_e64 v4, 0, v4, s[0:1]
	s_and_saveexec_b64 s[0:1], vcc
	s_cbranch_execnz .LBB25_17
; %bb.12:
	s_or_b64 exec, exec, s[0:1]
	v_cmp_gt_i32_e32 vcc, s14, v0
	s_and_saveexec_b64 s[0:1], vcc
	s_cbranch_execnz .LBB25_18
.LBB25_13:
	s_or_b64 exec, exec, s[0:1]
	v_cmp_gt_i32_e32 vcc, s14, v0
	s_and_saveexec_b64 s[0:1], vcc
	s_cbranch_execnz .LBB25_19
.LBB25_14:
	s_or_b64 exec, exec, s[0:1]
	v_cmp_gt_i32_e32 vcc, s14, v0
	s_and_saveexec_b64 s[0:1], vcc
	s_cbranch_execz .LBB25_16
.LBB25_15:
	v_add_u32_e32 v0, s2, v0
	v_mov_b32_e32 v1, 0
	v_lshl_add_u64 v[0:1], v[0:1], 2, s[4:5]
	global_store_dword v[0:1], v4, off
.LBB25_16:
	s_endpgm
.LBB25_17:
	v_mov_b32_e32 v3, 0
	v_lshl_add_u64 v[2:3], v[2:3], 2, s[4:5]
	v_mov_b32_e32 v0, v1
	global_store_dword v[2:3], v7, off
	s_or_b64 exec, exec, s[0:1]
	v_cmp_gt_i32_e32 vcc, s14, v0
	s_and_saveexec_b64 s[0:1], vcc
	s_cbranch_execz .LBB25_13
.LBB25_18:
	v_add_u32_e32 v2, s2, v0
	v_mov_b32_e32 v3, 0
	v_lshl_add_u64 v[2:3], v[2:3], 2, s[4:5]
	v_add_u32_e32 v0, 0x100, v0
	global_store_dword v[2:3], v6, off
	s_or_b64 exec, exec, s[0:1]
	v_cmp_gt_i32_e32 vcc, s14, v0
	s_and_saveexec_b64 s[0:1], vcc
	s_cbranch_execz .LBB25_14
.LBB25_19:
	v_add_u32_e32 v2, s2, v0
	v_mov_b32_e32 v3, 0
	v_lshl_add_u64 v[2:3], v[2:3], 2, s[4:5]
	v_add_u32_e32 v0, 0x100, v0
	global_store_dword v[2:3], v5, off
	s_or_b64 exec, exec, s[0:1]
	v_cmp_gt_i32_e32 vcc, s14, v0
	s_and_saveexec_b64 s[0:1], vcc
	s_cbranch_execnz .LBB25_15
	s_branch .LBB25_16
	.section	.rodata,"a",@progbits
	.p2align	6, 0x0
	.amdhsa_kernel _ZN2at6native29vectorized_elementwise_kernelILi8EZZZNS0_23bitwise_not_kernel_cudaERNS_18TensorIteratorBaseEENKUlvE_clEvENKUlvE1_clEvEUliE_St5arrayIPcLm2EEEEviT0_T1_
		.amdhsa_group_segment_fixed_size 0
		.amdhsa_private_segment_fixed_size 0
		.amdhsa_kernarg_size 24
		.amdhsa_user_sgpr_count 2
		.amdhsa_user_sgpr_dispatch_ptr 0
		.amdhsa_user_sgpr_queue_ptr 0
		.amdhsa_user_sgpr_kernarg_segment_ptr 1
		.amdhsa_user_sgpr_dispatch_id 0
		.amdhsa_user_sgpr_kernarg_preload_length 0
		.amdhsa_user_sgpr_kernarg_preload_offset 0
		.amdhsa_user_sgpr_private_segment_size 0
		.amdhsa_uses_dynamic_stack 0
		.amdhsa_enable_private_segment 0
		.amdhsa_system_sgpr_workgroup_id_x 1
		.amdhsa_system_sgpr_workgroup_id_y 0
		.amdhsa_system_sgpr_workgroup_id_z 0
		.amdhsa_system_sgpr_workgroup_info 0
		.amdhsa_system_vgpr_workitem_id 0
		.amdhsa_next_free_vgpr 9
		.amdhsa_next_free_sgpr 15
		.amdhsa_accum_offset 12
		.amdhsa_reserve_vcc 1
		.amdhsa_float_round_mode_32 0
		.amdhsa_float_round_mode_16_64 0
		.amdhsa_float_denorm_mode_32 3
		.amdhsa_float_denorm_mode_16_64 3
		.amdhsa_dx10_clamp 1
		.amdhsa_ieee_mode 1
		.amdhsa_fp16_overflow 0
		.amdhsa_tg_split 0
		.amdhsa_exception_fp_ieee_invalid_op 0
		.amdhsa_exception_fp_denorm_src 0
		.amdhsa_exception_fp_ieee_div_zero 0
		.amdhsa_exception_fp_ieee_overflow 0
		.amdhsa_exception_fp_ieee_underflow 0
		.amdhsa_exception_fp_ieee_inexact 0
		.amdhsa_exception_int_div_zero 0
	.end_amdhsa_kernel
	.section	.text._ZN2at6native29vectorized_elementwise_kernelILi8EZZZNS0_23bitwise_not_kernel_cudaERNS_18TensorIteratorBaseEENKUlvE_clEvENKUlvE1_clEvEUliE_St5arrayIPcLm2EEEEviT0_T1_,"axG",@progbits,_ZN2at6native29vectorized_elementwise_kernelILi8EZZZNS0_23bitwise_not_kernel_cudaERNS_18TensorIteratorBaseEENKUlvE_clEvENKUlvE1_clEvEUliE_St5arrayIPcLm2EEEEviT0_T1_,comdat
.Lfunc_end25:
	.size	_ZN2at6native29vectorized_elementwise_kernelILi8EZZZNS0_23bitwise_not_kernel_cudaERNS_18TensorIteratorBaseEENKUlvE_clEvENKUlvE1_clEvEUliE_St5arrayIPcLm2EEEEviT0_T1_, .Lfunc_end25-_ZN2at6native29vectorized_elementwise_kernelILi8EZZZNS0_23bitwise_not_kernel_cudaERNS_18TensorIteratorBaseEENKUlvE_clEvENKUlvE1_clEvEUliE_St5arrayIPcLm2EEEEviT0_T1_
                                        ; -- End function
	.set _ZN2at6native29vectorized_elementwise_kernelILi8EZZZNS0_23bitwise_not_kernel_cudaERNS_18TensorIteratorBaseEENKUlvE_clEvENKUlvE1_clEvEUliE_St5arrayIPcLm2EEEEviT0_T1_.num_vgpr, 9
	.set _ZN2at6native29vectorized_elementwise_kernelILi8EZZZNS0_23bitwise_not_kernel_cudaERNS_18TensorIteratorBaseEENKUlvE_clEvENKUlvE1_clEvEUliE_St5arrayIPcLm2EEEEviT0_T1_.num_agpr, 0
	.set _ZN2at6native29vectorized_elementwise_kernelILi8EZZZNS0_23bitwise_not_kernel_cudaERNS_18TensorIteratorBaseEENKUlvE_clEvENKUlvE1_clEvEUliE_St5arrayIPcLm2EEEEviT0_T1_.numbered_sgpr, 15
	.set _ZN2at6native29vectorized_elementwise_kernelILi8EZZZNS0_23bitwise_not_kernel_cudaERNS_18TensorIteratorBaseEENKUlvE_clEvENKUlvE1_clEvEUliE_St5arrayIPcLm2EEEEviT0_T1_.num_named_barrier, 0
	.set _ZN2at6native29vectorized_elementwise_kernelILi8EZZZNS0_23bitwise_not_kernel_cudaERNS_18TensorIteratorBaseEENKUlvE_clEvENKUlvE1_clEvEUliE_St5arrayIPcLm2EEEEviT0_T1_.private_seg_size, 0
	.set _ZN2at6native29vectorized_elementwise_kernelILi8EZZZNS0_23bitwise_not_kernel_cudaERNS_18TensorIteratorBaseEENKUlvE_clEvENKUlvE1_clEvEUliE_St5arrayIPcLm2EEEEviT0_T1_.uses_vcc, 1
	.set _ZN2at6native29vectorized_elementwise_kernelILi8EZZZNS0_23bitwise_not_kernel_cudaERNS_18TensorIteratorBaseEENKUlvE_clEvENKUlvE1_clEvEUliE_St5arrayIPcLm2EEEEviT0_T1_.uses_flat_scratch, 0
	.set _ZN2at6native29vectorized_elementwise_kernelILi8EZZZNS0_23bitwise_not_kernel_cudaERNS_18TensorIteratorBaseEENKUlvE_clEvENKUlvE1_clEvEUliE_St5arrayIPcLm2EEEEviT0_T1_.has_dyn_sized_stack, 0
	.set _ZN2at6native29vectorized_elementwise_kernelILi8EZZZNS0_23bitwise_not_kernel_cudaERNS_18TensorIteratorBaseEENKUlvE_clEvENKUlvE1_clEvEUliE_St5arrayIPcLm2EEEEviT0_T1_.has_recursion, 0
	.set _ZN2at6native29vectorized_elementwise_kernelILi8EZZZNS0_23bitwise_not_kernel_cudaERNS_18TensorIteratorBaseEENKUlvE_clEvENKUlvE1_clEvEUliE_St5arrayIPcLm2EEEEviT0_T1_.has_indirect_call, 0
	.section	.AMDGPU.csdata,"",@progbits
; Kernel info:
; codeLenInByte = 636
; TotalNumSgprs: 21
; NumVgprs: 9
; NumAgprs: 0
; TotalNumVgprs: 9
; ScratchSize: 0
; MemoryBound: 0
; FloatMode: 240
; IeeeMode: 1
; LDSByteSize: 0 bytes/workgroup (compile time only)
; SGPRBlocks: 2
; VGPRBlocks: 1
; NumSGPRsForWavesPerEU: 21
; NumVGPRsForWavesPerEU: 9
; AccumOffset: 12
; Occupancy: 8
; WaveLimiterHint : 0
; COMPUTE_PGM_RSRC2:SCRATCH_EN: 0
; COMPUTE_PGM_RSRC2:USER_SGPR: 2
; COMPUTE_PGM_RSRC2:TRAP_HANDLER: 0
; COMPUTE_PGM_RSRC2:TGID_X_EN: 1
; COMPUTE_PGM_RSRC2:TGID_Y_EN: 0
; COMPUTE_PGM_RSRC2:TGID_Z_EN: 0
; COMPUTE_PGM_RSRC2:TIDIG_COMP_CNT: 0
; COMPUTE_PGM_RSRC3_GFX90A:ACCUM_OFFSET: 2
; COMPUTE_PGM_RSRC3_GFX90A:TG_SPLIT: 0
	.section	.text._ZN2at6native29vectorized_elementwise_kernelILi4EZZZNS0_23bitwise_not_kernel_cudaERNS_18TensorIteratorBaseEENKUlvE_clEvENKUlvE1_clEvEUliE_St5arrayIPcLm2EEEEviT0_T1_,"axG",@progbits,_ZN2at6native29vectorized_elementwise_kernelILi4EZZZNS0_23bitwise_not_kernel_cudaERNS_18TensorIteratorBaseEENKUlvE_clEvENKUlvE1_clEvEUliE_St5arrayIPcLm2EEEEviT0_T1_,comdat
	.globl	_ZN2at6native29vectorized_elementwise_kernelILi4EZZZNS0_23bitwise_not_kernel_cudaERNS_18TensorIteratorBaseEENKUlvE_clEvENKUlvE1_clEvEUliE_St5arrayIPcLm2EEEEviT0_T1_ ; -- Begin function _ZN2at6native29vectorized_elementwise_kernelILi4EZZZNS0_23bitwise_not_kernel_cudaERNS_18TensorIteratorBaseEENKUlvE_clEvENKUlvE1_clEvEUliE_St5arrayIPcLm2EEEEviT0_T1_
	.p2align	8
	.type	_ZN2at6native29vectorized_elementwise_kernelILi4EZZZNS0_23bitwise_not_kernel_cudaERNS_18TensorIteratorBaseEENKUlvE_clEvENKUlvE1_clEvEUliE_St5arrayIPcLm2EEEEviT0_T1_,@function
_ZN2at6native29vectorized_elementwise_kernelILi4EZZZNS0_23bitwise_not_kernel_cudaERNS_18TensorIteratorBaseEENKUlvE_clEvENKUlvE1_clEvEUliE_St5arrayIPcLm2EEEEviT0_T1_: ; @_ZN2at6native29vectorized_elementwise_kernelILi4EZZZNS0_23bitwise_not_kernel_cudaERNS_18TensorIteratorBaseEENKUlvE_clEvENKUlvE1_clEvEUliE_St5arrayIPcLm2EEEEviT0_T1_
; %bb.0:
	s_load_dword s3, s[0:1], 0x0
	s_load_dwordx4 s[4:7], s[0:1], 0x8
	s_lshl_b32 s2, s2, 10
	s_mov_b64 s[0:1], -1
	s_waitcnt lgkmcnt(0)
	s_sub_i32 s14, s3, s2
	s_cmpk_gt_i32 s14, 0x3ff
	s_cbranch_scc0 .LBB26_2
; %bb.1:
	s_ashr_i32 s3, s2, 31
	s_lshl_b64 s[0:1], s[2:3], 2
	s_add_u32 s8, s6, s0
	s_addc_u32 s9, s7, s1
	v_lshlrev_b32_e32 v1, 4, v0
	global_load_dwordx4 v[2:5], v1, s[8:9]
	s_add_u32 s0, s4, s0
	s_addc_u32 s1, s5, s1
	s_waitcnt vmcnt(0)
	v_xor_b32_e32 v3, -1, v3
	v_xor_b32_e32 v2, -1, v2
	;; [unrolled: 1-line block ×4, first 2 shown]
	global_store_dwordx4 v1, v[2:5], s[0:1]
	s_mov_b64 s[0:1], 0
.LBB26_2:
	s_andn2_b64 vcc, exec, s[0:1]
	s_cbranch_vccnz .LBB26_16
; %bb.3:
	v_cmp_gt_i32_e32 vcc, s14, v0
	v_or_b32_e32 v1, 0x100, v0
	v_mov_b32_e32 v5, 0
	v_mov_b32_e32 v4, -1
	v_or_b32_e32 v2, s2, v0
	v_mov_b32_e32 v3, 0
	v_mov_b32_e32 v8, 0
	s_and_saveexec_b64 s[8:9], vcc
	s_cbranch_execz .LBB26_11
; %bb.4:
	v_mov_b32_e32 v3, 0
	v_lshl_add_u64 v[4:5], v[2:3], 2, s[6:7]
	global_load_dword v8, v[4:5], off
	v_cmp_gt_u32_e64 s[0:1], s14, v1
	v_mov_b32_e32 v4, -1
	v_mov_b32_e32 v5, v3
	s_and_saveexec_b64 s[10:11], s[0:1]
	s_cbranch_execz .LBB26_10
; %bb.5:
	v_add_u32_e32 v4, s2, v0
	v_mov_b32_e32 v5, 0
	v_lshl_add_u64 v[6:7], v[4:5], 2, s[6:7]
	global_load_dword v3, v[6:7], off offset:1024
	v_or_b32_e32 v4, 0x200, v0
	v_cmp_gt_u32_e64 s[0:1], s14, v4
	v_mov_b32_e32 v4, -1
	s_and_saveexec_b64 s[6:7], s[0:1]
	s_cbranch_execz .LBB26_9
; %bb.6:
	global_load_dword v5, v[6:7], off offset:2048
	v_or_b32_e32 v4, 0x300, v0
	v_cmp_gt_u32_e64 s[0:1], s14, v4
	v_mov_b32_e32 v4, -1
	s_and_saveexec_b64 s[12:13], s[0:1]
	s_cbranch_execz .LBB26_8
; %bb.7:
	global_load_dword v4, v[6:7], off offset:3072
	s_waitcnt vmcnt(0)
	v_not_b32_e32 v4, v4
.LBB26_8:
	s_or_b64 exec, exec, s[12:13]
.LBB26_9:
	s_or_b64 exec, exec, s[6:7]
.LBB26_10:
	s_or_b64 exec, exec, s[10:11]
.LBB26_11:
	s_or_b64 exec, exec, s[8:9]
	s_waitcnt vmcnt(0)
	v_not_b32_e32 v6, v8
	v_not_b32_e32 v3, v3
	v_cmp_gt_i32_e64 s[0:1], s14, v1
	v_cndmask_b32_e32 v7, 0, v6, vcc
	v_not_b32_e32 v5, v5
	v_cndmask_b32_e64 v6, 0, v3, s[0:1]
	v_or_b32_e32 v3, 0x200, v0
	v_cmp_gt_i32_e64 s[0:1], s14, v3
	v_or_b32_e32 v3, 0x300, v0
	s_nop 0
	v_cndmask_b32_e64 v5, 0, v5, s[0:1]
	v_cmp_gt_i32_e64 s[0:1], s14, v3
	s_nop 1
	v_cndmask_b32_e64 v4, 0, v4, s[0:1]
	s_and_saveexec_b64 s[0:1], vcc
	s_cbranch_execnz .LBB26_17
; %bb.12:
	s_or_b64 exec, exec, s[0:1]
	v_cmp_gt_i32_e32 vcc, s14, v0
	s_and_saveexec_b64 s[0:1], vcc
	s_cbranch_execnz .LBB26_18
.LBB26_13:
	s_or_b64 exec, exec, s[0:1]
	v_cmp_gt_i32_e32 vcc, s14, v0
	s_and_saveexec_b64 s[0:1], vcc
	s_cbranch_execnz .LBB26_19
.LBB26_14:
	s_or_b64 exec, exec, s[0:1]
	v_cmp_gt_i32_e32 vcc, s14, v0
	s_and_saveexec_b64 s[0:1], vcc
	s_cbranch_execz .LBB26_16
.LBB26_15:
	v_add_u32_e32 v0, s2, v0
	v_mov_b32_e32 v1, 0
	v_lshl_add_u64 v[0:1], v[0:1], 2, s[4:5]
	global_store_dword v[0:1], v4, off
.LBB26_16:
	s_endpgm
.LBB26_17:
	v_mov_b32_e32 v3, 0
	v_lshl_add_u64 v[2:3], v[2:3], 2, s[4:5]
	v_mov_b32_e32 v0, v1
	global_store_dword v[2:3], v7, off
	s_or_b64 exec, exec, s[0:1]
	v_cmp_gt_i32_e32 vcc, s14, v0
	s_and_saveexec_b64 s[0:1], vcc
	s_cbranch_execz .LBB26_13
.LBB26_18:
	v_add_u32_e32 v2, s2, v0
	v_mov_b32_e32 v3, 0
	v_lshl_add_u64 v[2:3], v[2:3], 2, s[4:5]
	v_add_u32_e32 v0, 0x100, v0
	global_store_dword v[2:3], v6, off
	s_or_b64 exec, exec, s[0:1]
	v_cmp_gt_i32_e32 vcc, s14, v0
	s_and_saveexec_b64 s[0:1], vcc
	s_cbranch_execz .LBB26_14
.LBB26_19:
	v_add_u32_e32 v2, s2, v0
	v_mov_b32_e32 v3, 0
	v_lshl_add_u64 v[2:3], v[2:3], 2, s[4:5]
	v_add_u32_e32 v0, 0x100, v0
	global_store_dword v[2:3], v5, off
	s_or_b64 exec, exec, s[0:1]
	v_cmp_gt_i32_e32 vcc, s14, v0
	s_and_saveexec_b64 s[0:1], vcc
	s_cbranch_execnz .LBB26_15
	s_branch .LBB26_16
	.section	.rodata,"a",@progbits
	.p2align	6, 0x0
	.amdhsa_kernel _ZN2at6native29vectorized_elementwise_kernelILi4EZZZNS0_23bitwise_not_kernel_cudaERNS_18TensorIteratorBaseEENKUlvE_clEvENKUlvE1_clEvEUliE_St5arrayIPcLm2EEEEviT0_T1_
		.amdhsa_group_segment_fixed_size 0
		.amdhsa_private_segment_fixed_size 0
		.amdhsa_kernarg_size 24
		.amdhsa_user_sgpr_count 2
		.amdhsa_user_sgpr_dispatch_ptr 0
		.amdhsa_user_sgpr_queue_ptr 0
		.amdhsa_user_sgpr_kernarg_segment_ptr 1
		.amdhsa_user_sgpr_dispatch_id 0
		.amdhsa_user_sgpr_kernarg_preload_length 0
		.amdhsa_user_sgpr_kernarg_preload_offset 0
		.amdhsa_user_sgpr_private_segment_size 0
		.amdhsa_uses_dynamic_stack 0
		.amdhsa_enable_private_segment 0
		.amdhsa_system_sgpr_workgroup_id_x 1
		.amdhsa_system_sgpr_workgroup_id_y 0
		.amdhsa_system_sgpr_workgroup_id_z 0
		.amdhsa_system_sgpr_workgroup_info 0
		.amdhsa_system_vgpr_workitem_id 0
		.amdhsa_next_free_vgpr 9
		.amdhsa_next_free_sgpr 15
		.amdhsa_accum_offset 12
		.amdhsa_reserve_vcc 1
		.amdhsa_float_round_mode_32 0
		.amdhsa_float_round_mode_16_64 0
		.amdhsa_float_denorm_mode_32 3
		.amdhsa_float_denorm_mode_16_64 3
		.amdhsa_dx10_clamp 1
		.amdhsa_ieee_mode 1
		.amdhsa_fp16_overflow 0
		.amdhsa_tg_split 0
		.amdhsa_exception_fp_ieee_invalid_op 0
		.amdhsa_exception_fp_denorm_src 0
		.amdhsa_exception_fp_ieee_div_zero 0
		.amdhsa_exception_fp_ieee_overflow 0
		.amdhsa_exception_fp_ieee_underflow 0
		.amdhsa_exception_fp_ieee_inexact 0
		.amdhsa_exception_int_div_zero 0
	.end_amdhsa_kernel
	.section	.text._ZN2at6native29vectorized_elementwise_kernelILi4EZZZNS0_23bitwise_not_kernel_cudaERNS_18TensorIteratorBaseEENKUlvE_clEvENKUlvE1_clEvEUliE_St5arrayIPcLm2EEEEviT0_T1_,"axG",@progbits,_ZN2at6native29vectorized_elementwise_kernelILi4EZZZNS0_23bitwise_not_kernel_cudaERNS_18TensorIteratorBaseEENKUlvE_clEvENKUlvE1_clEvEUliE_St5arrayIPcLm2EEEEviT0_T1_,comdat
.Lfunc_end26:
	.size	_ZN2at6native29vectorized_elementwise_kernelILi4EZZZNS0_23bitwise_not_kernel_cudaERNS_18TensorIteratorBaseEENKUlvE_clEvENKUlvE1_clEvEUliE_St5arrayIPcLm2EEEEviT0_T1_, .Lfunc_end26-_ZN2at6native29vectorized_elementwise_kernelILi4EZZZNS0_23bitwise_not_kernel_cudaERNS_18TensorIteratorBaseEENKUlvE_clEvENKUlvE1_clEvEUliE_St5arrayIPcLm2EEEEviT0_T1_
                                        ; -- End function
	.set _ZN2at6native29vectorized_elementwise_kernelILi4EZZZNS0_23bitwise_not_kernel_cudaERNS_18TensorIteratorBaseEENKUlvE_clEvENKUlvE1_clEvEUliE_St5arrayIPcLm2EEEEviT0_T1_.num_vgpr, 9
	.set _ZN2at6native29vectorized_elementwise_kernelILi4EZZZNS0_23bitwise_not_kernel_cudaERNS_18TensorIteratorBaseEENKUlvE_clEvENKUlvE1_clEvEUliE_St5arrayIPcLm2EEEEviT0_T1_.num_agpr, 0
	.set _ZN2at6native29vectorized_elementwise_kernelILi4EZZZNS0_23bitwise_not_kernel_cudaERNS_18TensorIteratorBaseEENKUlvE_clEvENKUlvE1_clEvEUliE_St5arrayIPcLm2EEEEviT0_T1_.numbered_sgpr, 15
	.set _ZN2at6native29vectorized_elementwise_kernelILi4EZZZNS0_23bitwise_not_kernel_cudaERNS_18TensorIteratorBaseEENKUlvE_clEvENKUlvE1_clEvEUliE_St5arrayIPcLm2EEEEviT0_T1_.num_named_barrier, 0
	.set _ZN2at6native29vectorized_elementwise_kernelILi4EZZZNS0_23bitwise_not_kernel_cudaERNS_18TensorIteratorBaseEENKUlvE_clEvENKUlvE1_clEvEUliE_St5arrayIPcLm2EEEEviT0_T1_.private_seg_size, 0
	.set _ZN2at6native29vectorized_elementwise_kernelILi4EZZZNS0_23bitwise_not_kernel_cudaERNS_18TensorIteratorBaseEENKUlvE_clEvENKUlvE1_clEvEUliE_St5arrayIPcLm2EEEEviT0_T1_.uses_vcc, 1
	.set _ZN2at6native29vectorized_elementwise_kernelILi4EZZZNS0_23bitwise_not_kernel_cudaERNS_18TensorIteratorBaseEENKUlvE_clEvENKUlvE1_clEvEUliE_St5arrayIPcLm2EEEEviT0_T1_.uses_flat_scratch, 0
	.set _ZN2at6native29vectorized_elementwise_kernelILi4EZZZNS0_23bitwise_not_kernel_cudaERNS_18TensorIteratorBaseEENKUlvE_clEvENKUlvE1_clEvEUliE_St5arrayIPcLm2EEEEviT0_T1_.has_dyn_sized_stack, 0
	.set _ZN2at6native29vectorized_elementwise_kernelILi4EZZZNS0_23bitwise_not_kernel_cudaERNS_18TensorIteratorBaseEENKUlvE_clEvENKUlvE1_clEvEUliE_St5arrayIPcLm2EEEEviT0_T1_.has_recursion, 0
	.set _ZN2at6native29vectorized_elementwise_kernelILi4EZZZNS0_23bitwise_not_kernel_cudaERNS_18TensorIteratorBaseEENKUlvE_clEvENKUlvE1_clEvEUliE_St5arrayIPcLm2EEEEviT0_T1_.has_indirect_call, 0
	.section	.AMDGPU.csdata,"",@progbits
; Kernel info:
; codeLenInByte = 636
; TotalNumSgprs: 21
; NumVgprs: 9
; NumAgprs: 0
; TotalNumVgprs: 9
; ScratchSize: 0
; MemoryBound: 0
; FloatMode: 240
; IeeeMode: 1
; LDSByteSize: 0 bytes/workgroup (compile time only)
; SGPRBlocks: 2
; VGPRBlocks: 1
; NumSGPRsForWavesPerEU: 21
; NumVGPRsForWavesPerEU: 9
; AccumOffset: 12
; Occupancy: 8
; WaveLimiterHint : 0
; COMPUTE_PGM_RSRC2:SCRATCH_EN: 0
; COMPUTE_PGM_RSRC2:USER_SGPR: 2
; COMPUTE_PGM_RSRC2:TRAP_HANDLER: 0
; COMPUTE_PGM_RSRC2:TGID_X_EN: 1
; COMPUTE_PGM_RSRC2:TGID_Y_EN: 0
; COMPUTE_PGM_RSRC2:TGID_Z_EN: 0
; COMPUTE_PGM_RSRC2:TIDIG_COMP_CNT: 0
; COMPUTE_PGM_RSRC3_GFX90A:ACCUM_OFFSET: 2
; COMPUTE_PGM_RSRC3_GFX90A:TG_SPLIT: 0
	.section	.text._ZN2at6native29vectorized_elementwise_kernelILi2EZZZNS0_23bitwise_not_kernel_cudaERNS_18TensorIteratorBaseEENKUlvE_clEvENKUlvE1_clEvEUliE_St5arrayIPcLm2EEEEviT0_T1_,"axG",@progbits,_ZN2at6native29vectorized_elementwise_kernelILi2EZZZNS0_23bitwise_not_kernel_cudaERNS_18TensorIteratorBaseEENKUlvE_clEvENKUlvE1_clEvEUliE_St5arrayIPcLm2EEEEviT0_T1_,comdat
	.globl	_ZN2at6native29vectorized_elementwise_kernelILi2EZZZNS0_23bitwise_not_kernel_cudaERNS_18TensorIteratorBaseEENKUlvE_clEvENKUlvE1_clEvEUliE_St5arrayIPcLm2EEEEviT0_T1_ ; -- Begin function _ZN2at6native29vectorized_elementwise_kernelILi2EZZZNS0_23bitwise_not_kernel_cudaERNS_18TensorIteratorBaseEENKUlvE_clEvENKUlvE1_clEvEUliE_St5arrayIPcLm2EEEEviT0_T1_
	.p2align	8
	.type	_ZN2at6native29vectorized_elementwise_kernelILi2EZZZNS0_23bitwise_not_kernel_cudaERNS_18TensorIteratorBaseEENKUlvE_clEvENKUlvE1_clEvEUliE_St5arrayIPcLm2EEEEviT0_T1_,@function
_ZN2at6native29vectorized_elementwise_kernelILi2EZZZNS0_23bitwise_not_kernel_cudaERNS_18TensorIteratorBaseEENKUlvE_clEvENKUlvE1_clEvEUliE_St5arrayIPcLm2EEEEviT0_T1_: ; @_ZN2at6native29vectorized_elementwise_kernelILi2EZZZNS0_23bitwise_not_kernel_cudaERNS_18TensorIteratorBaseEENKUlvE_clEvENKUlvE1_clEvEUliE_St5arrayIPcLm2EEEEviT0_T1_
; %bb.0:
	s_load_dword s3, s[0:1], 0x0
	s_load_dwordx4 s[4:7], s[0:1], 0x8
	s_lshl_b32 s2, s2, 10
	s_mov_b64 s[0:1], -1
	s_waitcnt lgkmcnt(0)
	s_sub_i32 s14, s3, s2
	s_cmpk_gt_i32 s14, 0x3ff
	s_cbranch_scc0 .LBB27_2
; %bb.1:
	s_ashr_i32 s3, s2, 31
	s_lshl_b64 s[0:1], s[2:3], 2
	s_add_u32 s8, s6, s0
	s_addc_u32 s9, s7, s1
	v_lshlrev_b32_e32 v1, 3, v0
	global_load_dwordx2 v[2:3], v1, s[8:9] offset:2048
	global_load_dwordx2 v[4:5], v1, s[8:9]
	s_add_u32 s0, s4, s0
	s_addc_u32 s1, s5, s1
	s_waitcnt vmcnt(1)
	v_not_b32_e32 v3, v3
	s_waitcnt vmcnt(0)
	v_not_b32_e32 v5, v5
	v_not_b32_e32 v4, v4
	v_not_b32_e32 v2, v2
	global_store_dwordx2 v1, v[4:5], s[0:1]
	global_store_dwordx2 v1, v[2:3], s[0:1] offset:2048
	s_mov_b64 s[0:1], 0
.LBB27_2:
	s_andn2_b64 vcc, exec, s[0:1]
	s_cbranch_vccnz .LBB27_16
; %bb.3:
	v_cmp_gt_i32_e32 vcc, s14, v0
	v_or_b32_e32 v1, 0x100, v0
	v_mov_b32_e32 v5, 0
	v_mov_b32_e32 v4, -1
	v_or_b32_e32 v2, s2, v0
	v_mov_b32_e32 v3, 0
	v_mov_b32_e32 v8, 0
	s_and_saveexec_b64 s[8:9], vcc
	s_cbranch_execz .LBB27_11
; %bb.4:
	v_mov_b32_e32 v3, 0
	v_lshl_add_u64 v[4:5], v[2:3], 2, s[6:7]
	global_load_dword v8, v[4:5], off
	v_cmp_gt_u32_e64 s[0:1], s14, v1
	v_mov_b32_e32 v4, -1
	v_mov_b32_e32 v5, v3
	s_and_saveexec_b64 s[10:11], s[0:1]
	s_cbranch_execz .LBB27_10
; %bb.5:
	v_add_u32_e32 v4, s2, v0
	v_mov_b32_e32 v5, 0
	v_lshl_add_u64 v[6:7], v[4:5], 2, s[6:7]
	global_load_dword v3, v[6:7], off offset:1024
	v_or_b32_e32 v4, 0x200, v0
	v_cmp_gt_u32_e64 s[0:1], s14, v4
	v_mov_b32_e32 v4, -1
	s_and_saveexec_b64 s[6:7], s[0:1]
	s_cbranch_execz .LBB27_9
; %bb.6:
	global_load_dword v5, v[6:7], off offset:2048
	v_or_b32_e32 v4, 0x300, v0
	v_cmp_gt_u32_e64 s[0:1], s14, v4
	v_mov_b32_e32 v4, -1
	s_and_saveexec_b64 s[12:13], s[0:1]
	s_cbranch_execz .LBB27_8
; %bb.7:
	global_load_dword v4, v[6:7], off offset:3072
	s_waitcnt vmcnt(0)
	v_not_b32_e32 v4, v4
.LBB27_8:
	s_or_b64 exec, exec, s[12:13]
.LBB27_9:
	s_or_b64 exec, exec, s[6:7]
.LBB27_10:
	s_or_b64 exec, exec, s[10:11]
.LBB27_11:
	s_or_b64 exec, exec, s[8:9]
	s_waitcnt vmcnt(0)
	v_not_b32_e32 v6, v8
	v_not_b32_e32 v3, v3
	v_cmp_gt_i32_e64 s[0:1], s14, v1
	v_cndmask_b32_e32 v7, 0, v6, vcc
	v_not_b32_e32 v5, v5
	v_cndmask_b32_e64 v6, 0, v3, s[0:1]
	v_or_b32_e32 v3, 0x200, v0
	v_cmp_gt_i32_e64 s[0:1], s14, v3
	v_or_b32_e32 v3, 0x300, v0
	s_nop 0
	v_cndmask_b32_e64 v5, 0, v5, s[0:1]
	v_cmp_gt_i32_e64 s[0:1], s14, v3
	s_nop 1
	v_cndmask_b32_e64 v4, 0, v4, s[0:1]
	s_and_saveexec_b64 s[0:1], vcc
	s_cbranch_execnz .LBB27_17
; %bb.12:
	s_or_b64 exec, exec, s[0:1]
	v_cmp_gt_i32_e32 vcc, s14, v0
	s_and_saveexec_b64 s[0:1], vcc
	s_cbranch_execnz .LBB27_18
.LBB27_13:
	s_or_b64 exec, exec, s[0:1]
	v_cmp_gt_i32_e32 vcc, s14, v0
	s_and_saveexec_b64 s[0:1], vcc
	s_cbranch_execnz .LBB27_19
.LBB27_14:
	s_or_b64 exec, exec, s[0:1]
	v_cmp_gt_i32_e32 vcc, s14, v0
	s_and_saveexec_b64 s[0:1], vcc
	s_cbranch_execz .LBB27_16
.LBB27_15:
	v_add_u32_e32 v0, s2, v0
	v_mov_b32_e32 v1, 0
	v_lshl_add_u64 v[0:1], v[0:1], 2, s[4:5]
	global_store_dword v[0:1], v4, off
.LBB27_16:
	s_endpgm
.LBB27_17:
	v_mov_b32_e32 v3, 0
	v_lshl_add_u64 v[2:3], v[2:3], 2, s[4:5]
	v_mov_b32_e32 v0, v1
	global_store_dword v[2:3], v7, off
	s_or_b64 exec, exec, s[0:1]
	v_cmp_gt_i32_e32 vcc, s14, v0
	s_and_saveexec_b64 s[0:1], vcc
	s_cbranch_execz .LBB27_13
.LBB27_18:
	v_add_u32_e32 v2, s2, v0
	v_mov_b32_e32 v3, 0
	v_lshl_add_u64 v[2:3], v[2:3], 2, s[4:5]
	v_add_u32_e32 v0, 0x100, v0
	global_store_dword v[2:3], v6, off
	s_or_b64 exec, exec, s[0:1]
	v_cmp_gt_i32_e32 vcc, s14, v0
	s_and_saveexec_b64 s[0:1], vcc
	s_cbranch_execz .LBB27_14
.LBB27_19:
	v_add_u32_e32 v2, s2, v0
	v_mov_b32_e32 v3, 0
	v_lshl_add_u64 v[2:3], v[2:3], 2, s[4:5]
	v_add_u32_e32 v0, 0x100, v0
	global_store_dword v[2:3], v5, off
	s_or_b64 exec, exec, s[0:1]
	v_cmp_gt_i32_e32 vcc, s14, v0
	s_and_saveexec_b64 s[0:1], vcc
	s_cbranch_execnz .LBB27_15
	s_branch .LBB27_16
	.section	.rodata,"a",@progbits
	.p2align	6, 0x0
	.amdhsa_kernel _ZN2at6native29vectorized_elementwise_kernelILi2EZZZNS0_23bitwise_not_kernel_cudaERNS_18TensorIteratorBaseEENKUlvE_clEvENKUlvE1_clEvEUliE_St5arrayIPcLm2EEEEviT0_T1_
		.amdhsa_group_segment_fixed_size 0
		.amdhsa_private_segment_fixed_size 0
		.amdhsa_kernarg_size 24
		.amdhsa_user_sgpr_count 2
		.amdhsa_user_sgpr_dispatch_ptr 0
		.amdhsa_user_sgpr_queue_ptr 0
		.amdhsa_user_sgpr_kernarg_segment_ptr 1
		.amdhsa_user_sgpr_dispatch_id 0
		.amdhsa_user_sgpr_kernarg_preload_length 0
		.amdhsa_user_sgpr_kernarg_preload_offset 0
		.amdhsa_user_sgpr_private_segment_size 0
		.amdhsa_uses_dynamic_stack 0
		.amdhsa_enable_private_segment 0
		.amdhsa_system_sgpr_workgroup_id_x 1
		.amdhsa_system_sgpr_workgroup_id_y 0
		.amdhsa_system_sgpr_workgroup_id_z 0
		.amdhsa_system_sgpr_workgroup_info 0
		.amdhsa_system_vgpr_workitem_id 0
		.amdhsa_next_free_vgpr 9
		.amdhsa_next_free_sgpr 15
		.amdhsa_accum_offset 12
		.amdhsa_reserve_vcc 1
		.amdhsa_float_round_mode_32 0
		.amdhsa_float_round_mode_16_64 0
		.amdhsa_float_denorm_mode_32 3
		.amdhsa_float_denorm_mode_16_64 3
		.amdhsa_dx10_clamp 1
		.amdhsa_ieee_mode 1
		.amdhsa_fp16_overflow 0
		.amdhsa_tg_split 0
		.amdhsa_exception_fp_ieee_invalid_op 0
		.amdhsa_exception_fp_denorm_src 0
		.amdhsa_exception_fp_ieee_div_zero 0
		.amdhsa_exception_fp_ieee_overflow 0
		.amdhsa_exception_fp_ieee_underflow 0
		.amdhsa_exception_fp_ieee_inexact 0
		.amdhsa_exception_int_div_zero 0
	.end_amdhsa_kernel
	.section	.text._ZN2at6native29vectorized_elementwise_kernelILi2EZZZNS0_23bitwise_not_kernel_cudaERNS_18TensorIteratorBaseEENKUlvE_clEvENKUlvE1_clEvEUliE_St5arrayIPcLm2EEEEviT0_T1_,"axG",@progbits,_ZN2at6native29vectorized_elementwise_kernelILi2EZZZNS0_23bitwise_not_kernel_cudaERNS_18TensorIteratorBaseEENKUlvE_clEvENKUlvE1_clEvEUliE_St5arrayIPcLm2EEEEviT0_T1_,comdat
.Lfunc_end27:
	.size	_ZN2at6native29vectorized_elementwise_kernelILi2EZZZNS0_23bitwise_not_kernel_cudaERNS_18TensorIteratorBaseEENKUlvE_clEvENKUlvE1_clEvEUliE_St5arrayIPcLm2EEEEviT0_T1_, .Lfunc_end27-_ZN2at6native29vectorized_elementwise_kernelILi2EZZZNS0_23bitwise_not_kernel_cudaERNS_18TensorIteratorBaseEENKUlvE_clEvENKUlvE1_clEvEUliE_St5arrayIPcLm2EEEEviT0_T1_
                                        ; -- End function
	.set _ZN2at6native29vectorized_elementwise_kernelILi2EZZZNS0_23bitwise_not_kernel_cudaERNS_18TensorIteratorBaseEENKUlvE_clEvENKUlvE1_clEvEUliE_St5arrayIPcLm2EEEEviT0_T1_.num_vgpr, 9
	.set _ZN2at6native29vectorized_elementwise_kernelILi2EZZZNS0_23bitwise_not_kernel_cudaERNS_18TensorIteratorBaseEENKUlvE_clEvENKUlvE1_clEvEUliE_St5arrayIPcLm2EEEEviT0_T1_.num_agpr, 0
	.set _ZN2at6native29vectorized_elementwise_kernelILi2EZZZNS0_23bitwise_not_kernel_cudaERNS_18TensorIteratorBaseEENKUlvE_clEvENKUlvE1_clEvEUliE_St5arrayIPcLm2EEEEviT0_T1_.numbered_sgpr, 15
	.set _ZN2at6native29vectorized_elementwise_kernelILi2EZZZNS0_23bitwise_not_kernel_cudaERNS_18TensorIteratorBaseEENKUlvE_clEvENKUlvE1_clEvEUliE_St5arrayIPcLm2EEEEviT0_T1_.num_named_barrier, 0
	.set _ZN2at6native29vectorized_elementwise_kernelILi2EZZZNS0_23bitwise_not_kernel_cudaERNS_18TensorIteratorBaseEENKUlvE_clEvENKUlvE1_clEvEUliE_St5arrayIPcLm2EEEEviT0_T1_.private_seg_size, 0
	.set _ZN2at6native29vectorized_elementwise_kernelILi2EZZZNS0_23bitwise_not_kernel_cudaERNS_18TensorIteratorBaseEENKUlvE_clEvENKUlvE1_clEvEUliE_St5arrayIPcLm2EEEEviT0_T1_.uses_vcc, 1
	.set _ZN2at6native29vectorized_elementwise_kernelILi2EZZZNS0_23bitwise_not_kernel_cudaERNS_18TensorIteratorBaseEENKUlvE_clEvENKUlvE1_clEvEUliE_St5arrayIPcLm2EEEEviT0_T1_.uses_flat_scratch, 0
	.set _ZN2at6native29vectorized_elementwise_kernelILi2EZZZNS0_23bitwise_not_kernel_cudaERNS_18TensorIteratorBaseEENKUlvE_clEvENKUlvE1_clEvEUliE_St5arrayIPcLm2EEEEviT0_T1_.has_dyn_sized_stack, 0
	.set _ZN2at6native29vectorized_elementwise_kernelILi2EZZZNS0_23bitwise_not_kernel_cudaERNS_18TensorIteratorBaseEENKUlvE_clEvENKUlvE1_clEvEUliE_St5arrayIPcLm2EEEEviT0_T1_.has_recursion, 0
	.set _ZN2at6native29vectorized_elementwise_kernelILi2EZZZNS0_23bitwise_not_kernel_cudaERNS_18TensorIteratorBaseEENKUlvE_clEvENKUlvE1_clEvEUliE_St5arrayIPcLm2EEEEviT0_T1_.has_indirect_call, 0
	.section	.AMDGPU.csdata,"",@progbits
; Kernel info:
; codeLenInByte = 656
; TotalNumSgprs: 21
; NumVgprs: 9
; NumAgprs: 0
; TotalNumVgprs: 9
; ScratchSize: 0
; MemoryBound: 0
; FloatMode: 240
; IeeeMode: 1
; LDSByteSize: 0 bytes/workgroup (compile time only)
; SGPRBlocks: 2
; VGPRBlocks: 1
; NumSGPRsForWavesPerEU: 21
; NumVGPRsForWavesPerEU: 9
; AccumOffset: 12
; Occupancy: 8
; WaveLimiterHint : 1
; COMPUTE_PGM_RSRC2:SCRATCH_EN: 0
; COMPUTE_PGM_RSRC2:USER_SGPR: 2
; COMPUTE_PGM_RSRC2:TRAP_HANDLER: 0
; COMPUTE_PGM_RSRC2:TGID_X_EN: 1
; COMPUTE_PGM_RSRC2:TGID_Y_EN: 0
; COMPUTE_PGM_RSRC2:TGID_Z_EN: 0
; COMPUTE_PGM_RSRC2:TIDIG_COMP_CNT: 0
; COMPUTE_PGM_RSRC3_GFX90A:ACCUM_OFFSET: 2
; COMPUTE_PGM_RSRC3_GFX90A:TG_SPLIT: 0
	.section	.text._ZN2at6native27unrolled_elementwise_kernelIZZZNS0_23bitwise_not_kernel_cudaERNS_18TensorIteratorBaseEENKUlvE_clEvENKUlvE1_clEvEUliE_St5arrayIPcLm2EELi4E23TrivialOffsetCalculatorILi1EjESB_NS0_6memory15LoadWithoutCastENSC_16StoreWithoutCastEEEviT_T0_T2_T3_T4_T5_,"axG",@progbits,_ZN2at6native27unrolled_elementwise_kernelIZZZNS0_23bitwise_not_kernel_cudaERNS_18TensorIteratorBaseEENKUlvE_clEvENKUlvE1_clEvEUliE_St5arrayIPcLm2EELi4E23TrivialOffsetCalculatorILi1EjESB_NS0_6memory15LoadWithoutCastENSC_16StoreWithoutCastEEEviT_T0_T2_T3_T4_T5_,comdat
	.globl	_ZN2at6native27unrolled_elementwise_kernelIZZZNS0_23bitwise_not_kernel_cudaERNS_18TensorIteratorBaseEENKUlvE_clEvENKUlvE1_clEvEUliE_St5arrayIPcLm2EELi4E23TrivialOffsetCalculatorILi1EjESB_NS0_6memory15LoadWithoutCastENSC_16StoreWithoutCastEEEviT_T0_T2_T3_T4_T5_ ; -- Begin function _ZN2at6native27unrolled_elementwise_kernelIZZZNS0_23bitwise_not_kernel_cudaERNS_18TensorIteratorBaseEENKUlvE_clEvENKUlvE1_clEvEUliE_St5arrayIPcLm2EELi4E23TrivialOffsetCalculatorILi1EjESB_NS0_6memory15LoadWithoutCastENSC_16StoreWithoutCastEEEviT_T0_T2_T3_T4_T5_
	.p2align	8
	.type	_ZN2at6native27unrolled_elementwise_kernelIZZZNS0_23bitwise_not_kernel_cudaERNS_18TensorIteratorBaseEENKUlvE_clEvENKUlvE1_clEvEUliE_St5arrayIPcLm2EELi4E23TrivialOffsetCalculatorILi1EjESB_NS0_6memory15LoadWithoutCastENSC_16StoreWithoutCastEEEviT_T0_T2_T3_T4_T5_,@function
_ZN2at6native27unrolled_elementwise_kernelIZZZNS0_23bitwise_not_kernel_cudaERNS_18TensorIteratorBaseEENKUlvE_clEvENKUlvE1_clEvEUliE_St5arrayIPcLm2EELi4E23TrivialOffsetCalculatorILi1EjESB_NS0_6memory15LoadWithoutCastENSC_16StoreWithoutCastEEEviT_T0_T2_T3_T4_T5_: ; @_ZN2at6native27unrolled_elementwise_kernelIZZZNS0_23bitwise_not_kernel_cudaERNS_18TensorIteratorBaseEENKUlvE_clEvENKUlvE1_clEvEUliE_St5arrayIPcLm2EELi4E23TrivialOffsetCalculatorILi1EjESB_NS0_6memory15LoadWithoutCastENSC_16StoreWithoutCastEEEviT_T0_T2_T3_T4_T5_
; %bb.0:
	s_load_dword s3, s[0:1], 0x0
	s_load_dwordx4 s[4:7], s[0:1], 0x8
	s_lshl_b32 s14, s2, 10
	v_mov_b32_e32 v5, 0
	v_or_b32_e32 v1, 0x100, v0
	s_waitcnt lgkmcnt(0)
	s_sub_i32 s15, s3, s14
	v_cmp_gt_i32_e32 vcc, s15, v0
	v_mov_b32_e32 v4, -1
	v_or_b32_e32 v2, s14, v0
	v_mov_b32_e32 v3, v5
	v_mov_b32_e32 v8, 0
	s_and_saveexec_b64 s[2:3], vcc
	s_cbranch_execz .LBB28_8
; %bb.1:
	v_mov_b32_e32 v3, 0
	v_lshl_add_u64 v[4:5], v[2:3], 2, s[6:7]
	global_load_dword v8, v[4:5], off
	v_cmp_gt_u32_e64 s[0:1], s15, v1
	v_mov_b32_e32 v4, -1
	v_mov_b32_e32 v5, v3
	s_and_saveexec_b64 s[8:9], s[0:1]
	s_cbranch_execz .LBB28_7
; %bb.2:
	v_add_u32_e32 v4, s14, v1
	v_mov_b32_e32 v5, 0
	v_lshl_add_u64 v[6:7], v[4:5], 2, s[6:7]
	global_load_dword v3, v[6:7], off
	v_or_b32_e32 v6, 0x200, v0
	v_cmp_gt_u32_e64 s[0:1], s15, v6
	v_mov_b32_e32 v4, -1
	s_and_saveexec_b64 s[10:11], s[0:1]
	s_cbranch_execz .LBB28_6
; %bb.3:
	v_add_u32_e32 v6, s14, v6
	v_mov_b32_e32 v7, 0
	v_lshl_add_u64 v[4:5], v[6:7], 2, s[6:7]
	global_load_dword v5, v[4:5], off
	v_or_b32_e32 v6, 0x300, v0
	v_cmp_gt_u32_e64 s[0:1], s15, v6
	v_mov_b32_e32 v4, -1
	s_and_saveexec_b64 s[12:13], s[0:1]
	s_cbranch_execz .LBB28_5
; %bb.4:
	v_add_u32_e32 v6, s14, v6
	v_lshl_add_u64 v[6:7], v[6:7], 2, s[6:7]
	global_load_dword v4, v[6:7], off
	s_waitcnt vmcnt(0)
	v_not_b32_e32 v4, v4
.LBB28_5:
	s_or_b64 exec, exec, s[12:13]
.LBB28_6:
	s_or_b64 exec, exec, s[10:11]
.LBB28_7:
	s_or_b64 exec, exec, s[8:9]
.LBB28_8:
	s_or_b64 exec, exec, s[2:3]
	s_waitcnt vmcnt(0)
	v_not_b32_e32 v6, v8
	v_not_b32_e32 v3, v3
	v_cmp_gt_i32_e64 s[0:1], s15, v1
	v_cndmask_b32_e32 v7, 0, v6, vcc
	v_not_b32_e32 v5, v5
	v_cndmask_b32_e64 v6, 0, v3, s[0:1]
	v_or_b32_e32 v3, 0x200, v0
	v_cmp_gt_i32_e64 s[0:1], s15, v3
	v_or_b32_e32 v3, 0x300, v0
	s_nop 0
	v_cndmask_b32_e64 v5, 0, v5, s[0:1]
	v_cmp_gt_i32_e64 s[0:1], s15, v3
	s_nop 1
	v_cndmask_b32_e64 v4, 0, v4, s[0:1]
	s_and_saveexec_b64 s[0:1], vcc
	s_cbranch_execnz .LBB28_13
; %bb.9:
	s_or_b64 exec, exec, s[0:1]
	v_cmp_gt_i32_e32 vcc, s15, v0
	s_and_saveexec_b64 s[0:1], vcc
	s_cbranch_execnz .LBB28_14
.LBB28_10:
	s_or_b64 exec, exec, s[0:1]
	v_cmp_gt_i32_e32 vcc, s15, v0
	s_and_saveexec_b64 s[0:1], vcc
	s_cbranch_execnz .LBB28_15
.LBB28_11:
	s_or_b64 exec, exec, s[0:1]
	v_cmp_gt_i32_e32 vcc, s15, v0
	s_and_saveexec_b64 s[0:1], vcc
	s_cbranch_execnz .LBB28_16
.LBB28_12:
	s_endpgm
.LBB28_13:
	v_mov_b32_e32 v3, 0
	v_lshl_add_u64 v[2:3], v[2:3], 2, s[4:5]
	v_mov_b32_e32 v0, v1
	global_store_dword v[2:3], v7, off
	s_or_b64 exec, exec, s[0:1]
	v_cmp_gt_i32_e32 vcc, s15, v0
	s_and_saveexec_b64 s[0:1], vcc
	s_cbranch_execz .LBB28_10
.LBB28_14:
	v_add_u32_e32 v2, 0x100, v0
	v_add_u32_e32 v0, s14, v0
	v_mov_b32_e32 v1, 0
	v_lshl_add_u64 v[0:1], v[0:1], 2, s[4:5]
	global_store_dword v[0:1], v6, off
	v_mov_b32_e32 v0, v2
	s_or_b64 exec, exec, s[0:1]
	v_cmp_gt_i32_e32 vcc, s15, v0
	s_and_saveexec_b64 s[0:1], vcc
	s_cbranch_execz .LBB28_11
.LBB28_15:
	v_add_u32_e32 v2, 0x100, v0
	v_add_u32_e32 v0, s14, v0
	v_mov_b32_e32 v1, 0
	v_lshl_add_u64 v[0:1], v[0:1], 2, s[4:5]
	global_store_dword v[0:1], v5, off
	v_mov_b32_e32 v0, v2
	s_or_b64 exec, exec, s[0:1]
	v_cmp_gt_i32_e32 vcc, s15, v0
	s_and_saveexec_b64 s[0:1], vcc
	s_cbranch_execz .LBB28_12
.LBB28_16:
	v_add_u32_e32 v0, s14, v0
	v_mov_b32_e32 v1, 0
	v_lshl_add_u64 v[0:1], v[0:1], 2, s[4:5]
	global_store_dword v[0:1], v4, off
	s_endpgm
	.section	.rodata,"a",@progbits
	.p2align	6, 0x0
	.amdhsa_kernel _ZN2at6native27unrolled_elementwise_kernelIZZZNS0_23bitwise_not_kernel_cudaERNS_18TensorIteratorBaseEENKUlvE_clEvENKUlvE1_clEvEUliE_St5arrayIPcLm2EELi4E23TrivialOffsetCalculatorILi1EjESB_NS0_6memory15LoadWithoutCastENSC_16StoreWithoutCastEEEviT_T0_T2_T3_T4_T5_
		.amdhsa_group_segment_fixed_size 0
		.amdhsa_private_segment_fixed_size 0
		.amdhsa_kernarg_size 28
		.amdhsa_user_sgpr_count 2
		.amdhsa_user_sgpr_dispatch_ptr 0
		.amdhsa_user_sgpr_queue_ptr 0
		.amdhsa_user_sgpr_kernarg_segment_ptr 1
		.amdhsa_user_sgpr_dispatch_id 0
		.amdhsa_user_sgpr_kernarg_preload_length 0
		.amdhsa_user_sgpr_kernarg_preload_offset 0
		.amdhsa_user_sgpr_private_segment_size 0
		.amdhsa_uses_dynamic_stack 0
		.amdhsa_enable_private_segment 0
		.amdhsa_system_sgpr_workgroup_id_x 1
		.amdhsa_system_sgpr_workgroup_id_y 0
		.amdhsa_system_sgpr_workgroup_id_z 0
		.amdhsa_system_sgpr_workgroup_info 0
		.amdhsa_system_vgpr_workitem_id 0
		.amdhsa_next_free_vgpr 9
		.amdhsa_next_free_sgpr 16
		.amdhsa_accum_offset 12
		.amdhsa_reserve_vcc 1
		.amdhsa_float_round_mode_32 0
		.amdhsa_float_round_mode_16_64 0
		.amdhsa_float_denorm_mode_32 3
		.amdhsa_float_denorm_mode_16_64 3
		.amdhsa_dx10_clamp 1
		.amdhsa_ieee_mode 1
		.amdhsa_fp16_overflow 0
		.amdhsa_tg_split 0
		.amdhsa_exception_fp_ieee_invalid_op 0
		.amdhsa_exception_fp_denorm_src 0
		.amdhsa_exception_fp_ieee_div_zero 0
		.amdhsa_exception_fp_ieee_overflow 0
		.amdhsa_exception_fp_ieee_underflow 0
		.amdhsa_exception_fp_ieee_inexact 0
		.amdhsa_exception_int_div_zero 0
	.end_amdhsa_kernel
	.section	.text._ZN2at6native27unrolled_elementwise_kernelIZZZNS0_23bitwise_not_kernel_cudaERNS_18TensorIteratorBaseEENKUlvE_clEvENKUlvE1_clEvEUliE_St5arrayIPcLm2EELi4E23TrivialOffsetCalculatorILi1EjESB_NS0_6memory15LoadWithoutCastENSC_16StoreWithoutCastEEEviT_T0_T2_T3_T4_T5_,"axG",@progbits,_ZN2at6native27unrolled_elementwise_kernelIZZZNS0_23bitwise_not_kernel_cudaERNS_18TensorIteratorBaseEENKUlvE_clEvENKUlvE1_clEvEUliE_St5arrayIPcLm2EELi4E23TrivialOffsetCalculatorILi1EjESB_NS0_6memory15LoadWithoutCastENSC_16StoreWithoutCastEEEviT_T0_T2_T3_T4_T5_,comdat
.Lfunc_end28:
	.size	_ZN2at6native27unrolled_elementwise_kernelIZZZNS0_23bitwise_not_kernel_cudaERNS_18TensorIteratorBaseEENKUlvE_clEvENKUlvE1_clEvEUliE_St5arrayIPcLm2EELi4E23TrivialOffsetCalculatorILi1EjESB_NS0_6memory15LoadWithoutCastENSC_16StoreWithoutCastEEEviT_T0_T2_T3_T4_T5_, .Lfunc_end28-_ZN2at6native27unrolled_elementwise_kernelIZZZNS0_23bitwise_not_kernel_cudaERNS_18TensorIteratorBaseEENKUlvE_clEvENKUlvE1_clEvEUliE_St5arrayIPcLm2EELi4E23TrivialOffsetCalculatorILi1EjESB_NS0_6memory15LoadWithoutCastENSC_16StoreWithoutCastEEEviT_T0_T2_T3_T4_T5_
                                        ; -- End function
	.set _ZN2at6native27unrolled_elementwise_kernelIZZZNS0_23bitwise_not_kernel_cudaERNS_18TensorIteratorBaseEENKUlvE_clEvENKUlvE1_clEvEUliE_St5arrayIPcLm2EELi4E23TrivialOffsetCalculatorILi1EjESB_NS0_6memory15LoadWithoutCastENSC_16StoreWithoutCastEEEviT_T0_T2_T3_T4_T5_.num_vgpr, 9
	.set _ZN2at6native27unrolled_elementwise_kernelIZZZNS0_23bitwise_not_kernel_cudaERNS_18TensorIteratorBaseEENKUlvE_clEvENKUlvE1_clEvEUliE_St5arrayIPcLm2EELi4E23TrivialOffsetCalculatorILi1EjESB_NS0_6memory15LoadWithoutCastENSC_16StoreWithoutCastEEEviT_T0_T2_T3_T4_T5_.num_agpr, 0
	.set _ZN2at6native27unrolled_elementwise_kernelIZZZNS0_23bitwise_not_kernel_cudaERNS_18TensorIteratorBaseEENKUlvE_clEvENKUlvE1_clEvEUliE_St5arrayIPcLm2EELi4E23TrivialOffsetCalculatorILi1EjESB_NS0_6memory15LoadWithoutCastENSC_16StoreWithoutCastEEEviT_T0_T2_T3_T4_T5_.numbered_sgpr, 16
	.set _ZN2at6native27unrolled_elementwise_kernelIZZZNS0_23bitwise_not_kernel_cudaERNS_18TensorIteratorBaseEENKUlvE_clEvENKUlvE1_clEvEUliE_St5arrayIPcLm2EELi4E23TrivialOffsetCalculatorILi1EjESB_NS0_6memory15LoadWithoutCastENSC_16StoreWithoutCastEEEviT_T0_T2_T3_T4_T5_.num_named_barrier, 0
	.set _ZN2at6native27unrolled_elementwise_kernelIZZZNS0_23bitwise_not_kernel_cudaERNS_18TensorIteratorBaseEENKUlvE_clEvENKUlvE1_clEvEUliE_St5arrayIPcLm2EELi4E23TrivialOffsetCalculatorILi1EjESB_NS0_6memory15LoadWithoutCastENSC_16StoreWithoutCastEEEviT_T0_T2_T3_T4_T5_.private_seg_size, 0
	.set _ZN2at6native27unrolled_elementwise_kernelIZZZNS0_23bitwise_not_kernel_cudaERNS_18TensorIteratorBaseEENKUlvE_clEvENKUlvE1_clEvEUliE_St5arrayIPcLm2EELi4E23TrivialOffsetCalculatorILi1EjESB_NS0_6memory15LoadWithoutCastENSC_16StoreWithoutCastEEEviT_T0_T2_T3_T4_T5_.uses_vcc, 1
	.set _ZN2at6native27unrolled_elementwise_kernelIZZZNS0_23bitwise_not_kernel_cudaERNS_18TensorIteratorBaseEENKUlvE_clEvENKUlvE1_clEvEUliE_St5arrayIPcLm2EELi4E23TrivialOffsetCalculatorILi1EjESB_NS0_6memory15LoadWithoutCastENSC_16StoreWithoutCastEEEviT_T0_T2_T3_T4_T5_.uses_flat_scratch, 0
	.set _ZN2at6native27unrolled_elementwise_kernelIZZZNS0_23bitwise_not_kernel_cudaERNS_18TensorIteratorBaseEENKUlvE_clEvENKUlvE1_clEvEUliE_St5arrayIPcLm2EELi4E23TrivialOffsetCalculatorILi1EjESB_NS0_6memory15LoadWithoutCastENSC_16StoreWithoutCastEEEviT_T0_T2_T3_T4_T5_.has_dyn_sized_stack, 0
	.set _ZN2at6native27unrolled_elementwise_kernelIZZZNS0_23bitwise_not_kernel_cudaERNS_18TensorIteratorBaseEENKUlvE_clEvENKUlvE1_clEvEUliE_St5arrayIPcLm2EELi4E23TrivialOffsetCalculatorILi1EjESB_NS0_6memory15LoadWithoutCastENSC_16StoreWithoutCastEEEviT_T0_T2_T3_T4_T5_.has_recursion, 0
	.set _ZN2at6native27unrolled_elementwise_kernelIZZZNS0_23bitwise_not_kernel_cudaERNS_18TensorIteratorBaseEENKUlvE_clEvENKUlvE1_clEvEUliE_St5arrayIPcLm2EELi4E23TrivialOffsetCalculatorILi1EjESB_NS0_6memory15LoadWithoutCastENSC_16StoreWithoutCastEEEviT_T0_T2_T3_T4_T5_.has_indirect_call, 0
	.section	.AMDGPU.csdata,"",@progbits
; Kernel info:
; codeLenInByte = 584
; TotalNumSgprs: 22
; NumVgprs: 9
; NumAgprs: 0
; TotalNumVgprs: 9
; ScratchSize: 0
; MemoryBound: 0
; FloatMode: 240
; IeeeMode: 1
; LDSByteSize: 0 bytes/workgroup (compile time only)
; SGPRBlocks: 2
; VGPRBlocks: 1
; NumSGPRsForWavesPerEU: 22
; NumVGPRsForWavesPerEU: 9
; AccumOffset: 12
; Occupancy: 8
; WaveLimiterHint : 0
; COMPUTE_PGM_RSRC2:SCRATCH_EN: 0
; COMPUTE_PGM_RSRC2:USER_SGPR: 2
; COMPUTE_PGM_RSRC2:TRAP_HANDLER: 0
; COMPUTE_PGM_RSRC2:TGID_X_EN: 1
; COMPUTE_PGM_RSRC2:TGID_Y_EN: 0
; COMPUTE_PGM_RSRC2:TGID_Z_EN: 0
; COMPUTE_PGM_RSRC2:TIDIG_COMP_CNT: 0
; COMPUTE_PGM_RSRC3_GFX90A:ACCUM_OFFSET: 2
; COMPUTE_PGM_RSRC3_GFX90A:TG_SPLIT: 0
	.section	.text._ZN2at6native32elementwise_kernel_manual_unrollILi128ELi4EZNS0_22gpu_kernel_impl_nocastIZZZNS0_23bitwise_not_kernel_cudaERNS_18TensorIteratorBaseEENKUlvE_clEvENKUlvE1_clEvEUliE_EEvS4_RKT_EUlibE_EEviT1_,"axG",@progbits,_ZN2at6native32elementwise_kernel_manual_unrollILi128ELi4EZNS0_22gpu_kernel_impl_nocastIZZZNS0_23bitwise_not_kernel_cudaERNS_18TensorIteratorBaseEENKUlvE_clEvENKUlvE1_clEvEUliE_EEvS4_RKT_EUlibE_EEviT1_,comdat
	.globl	_ZN2at6native32elementwise_kernel_manual_unrollILi128ELi4EZNS0_22gpu_kernel_impl_nocastIZZZNS0_23bitwise_not_kernel_cudaERNS_18TensorIteratorBaseEENKUlvE_clEvENKUlvE1_clEvEUliE_EEvS4_RKT_EUlibE_EEviT1_ ; -- Begin function _ZN2at6native32elementwise_kernel_manual_unrollILi128ELi4EZNS0_22gpu_kernel_impl_nocastIZZZNS0_23bitwise_not_kernel_cudaERNS_18TensorIteratorBaseEENKUlvE_clEvENKUlvE1_clEvEUliE_EEvS4_RKT_EUlibE_EEviT1_
	.p2align	8
	.type	_ZN2at6native32elementwise_kernel_manual_unrollILi128ELi4EZNS0_22gpu_kernel_impl_nocastIZZZNS0_23bitwise_not_kernel_cudaERNS_18TensorIteratorBaseEENKUlvE_clEvENKUlvE1_clEvEUliE_EEvS4_RKT_EUlibE_EEviT1_,@function
_ZN2at6native32elementwise_kernel_manual_unrollILi128ELi4EZNS0_22gpu_kernel_impl_nocastIZZZNS0_23bitwise_not_kernel_cudaERNS_18TensorIteratorBaseEENKUlvE_clEvENKUlvE1_clEvEUliE_EEvS4_RKT_EUlibE_EEviT1_: ; @_ZN2at6native32elementwise_kernel_manual_unrollILi128ELi4EZNS0_22gpu_kernel_impl_nocastIZZZNS0_23bitwise_not_kernel_cudaERNS_18TensorIteratorBaseEENKUlvE_clEvENKUlvE1_clEvEUliE_EEvS4_RKT_EUlibE_EEviT1_
; %bb.0:
	s_load_dword s55, s[0:1], 0x0
	s_load_dword s33, s[0:1], 0x8
	s_add_u32 s34, s0, 8
	s_addc_u32 s35, s1, 0
	v_lshl_or_b32 v8, s2, 9, v0
	v_or_b32_e32 v16, 0x180, v8
	s_waitcnt lgkmcnt(0)
	s_add_i32 s54, s33, -1
	s_cmp_gt_u32 s54, 1
	v_cmp_le_i32_e32 vcc, s55, v16
	s_cselect_b64 s[36:37], -1, 0
	s_and_saveexec_b64 s[0:1], vcc
	s_xor_b64 s[38:39], exec, s[0:1]
	s_cbranch_execz .LBB29_8
; %bb.1:
	s_load_dwordx4 s[24:27], s[34:35], 0x4
	s_load_dwordx2 s[40:41], s[34:35], 0x14
	s_load_dwordx4 s[20:23], s[34:35], 0xc4
	s_load_dwordx4 s[16:19], s[34:35], 0x148
	s_cmp_lg_u32 s33, 0
	s_cselect_b64 s[46:47], -1, 0
	s_add_u32 s44, s34, 0xc4
	s_addc_u32 s45, s35, 0
	s_min_u32 s56, s54, 15
	s_cmp_gt_u32 s33, 1
	s_cselect_b64 s[42:43], -1, 0
	v_cmp_gt_i32_e32 vcc, s55, v8
	s_and_saveexec_b64 s[48:49], vcc
	s_cbranch_execz .LBB29_15
; %bb.2:
	s_andn2_b64 vcc, exec, s[36:37]
	s_cbranch_vccnz .LBB29_23
; %bb.3:
	s_andn2_b64 vcc, exec, s[46:47]
	s_cbranch_vccnz .LBB29_75
; %bb.4:
	s_add_i32 s58, s56, 1
	s_cmp_eq_u32 s54, 2
	s_cbranch_scc1 .LBB29_77
; %bb.5:
	s_and_b32 s57, s58, 28
	s_mov_b32 s59, 0
	v_mov_b32_e32 v0, 0
	v_mov_b32_e32 v2, 0
	s_mov_b64 s[50:51], s[34:35]
	s_mov_b64 s[52:53], s[44:45]
	v_mov_b32_e32 v4, v8
.LBB29_6:                               ; =>This Inner Loop Header: Depth=1
	s_load_dwordx8 s[8:15], s[50:51], 0x4
	s_load_dwordx4 s[28:31], s[50:51], 0x24
	s_load_dwordx8 s[0:7], s[52:53], 0x0
	s_add_u32 s50, s50, 48
	s_addc_u32 s51, s51, 0
	s_waitcnt lgkmcnt(0)
	v_mul_hi_u32 v1, s9, v4
	v_add_u32_e32 v1, v4, v1
	v_lshrrev_b32_e32 v1, s10, v1
	v_mul_lo_u32 v3, v1, s8
	v_mul_hi_u32 v5, s12, v1
	v_sub_u32_e32 v3, v4, v3
	v_add_u32_e32 v4, v1, v5
	v_lshrrev_b32_e32 v4, s13, v4
	v_mul_lo_u32 v6, v4, s11
	v_mul_hi_u32 v7, s15, v4
	v_sub_u32_e32 v1, v1, v6
	v_add_u32_e32 v6, v4, v7
	v_mul_lo_u32 v5, v3, s1
	v_mul_lo_u32 v3, v3, s0
	;; [unrolled: 1-line block ×4, first 2 shown]
	v_lshrrev_b32_e32 v6, s28, v6
	v_add3_u32 v0, v3, v0, v1
	v_mul_hi_u32 v3, s30, v6
	v_add3_u32 v1, v5, v2, v7
	v_mul_lo_u32 v2, v6, s14
	v_add_u32_e32 v3, v6, v3
	v_sub_u32_e32 v2, v4, v2
	v_lshrrev_b32_e32 v4, s31, v3
	s_add_i32 s59, s59, 4
	v_mul_lo_u32 v3, v4, s29
	s_add_u32 s52, s52, 32
	v_sub_u32_e32 v3, v6, v3
	s_addc_u32 s53, s53, 0
	v_mul_lo_u32 v5, v2, s4
	v_mul_lo_u32 v2, v2, s5
	;; [unrolled: 1-line block ×4, first 2 shown]
	s_cmp_lg_u32 s57, s59
	v_add3_u32 v2, v2, v1, v3
	v_add3_u32 v0, v5, v0, v6
	s_cbranch_scc1 .LBB29_6
; %bb.7:
	v_mov_b32_e32 v1, v2
	s_branch .LBB29_78
.LBB29_8:
	s_andn2_saveexec_b64 s[0:1], s[38:39]
	s_cbranch_execz .LBB29_104
.LBB29_9:
	v_cndmask_b32_e64 v0, 0, 1, s[36:37]
	v_cmp_ne_u32_e64 s[0:1], 1, v0
	s_andn2_b64 vcc, exec, s[36:37]
	s_cbranch_vccnz .LBB29_22
; %bb.10:
	s_cmp_lg_u32 s33, 0
	s_waitcnt lgkmcnt(0)
	s_mov_b32 s26, 0
	s_cbranch_scc0 .LBB29_25
; %bb.11:
	s_min_u32 s27, s54, 15
	s_add_i32 s27, s27, 1
	s_cmp_eq_u32 s54, 2
	s_cbranch_scc1 .LBB29_26
; %bb.12:
	s_and_b32 s26, s27, 28
	s_add_u32 s2, s34, 0xc4
	s_addc_u32 s3, s35, 0
	s_mov_b32 s28, 0
	v_mov_b32_e32 v0, 0
	v_mov_b32_e32 v2, 0
	s_mov_b64 s[24:25], s[34:35]
	v_mov_b32_e32 v4, v8
.LBB29_13:                              ; =>This Inner Loop Header: Depth=1
	s_load_dwordx8 s[12:19], s[24:25], 0x4
	s_load_dwordx4 s[20:23], s[24:25], 0x24
	s_load_dwordx8 s[4:11], s[2:3], 0x0
	s_add_u32 s24, s24, 48
	s_addc_u32 s25, s25, 0
	s_waitcnt lgkmcnt(0)
	v_mul_hi_u32 v1, s13, v4
	v_add_u32_e32 v1, v4, v1
	v_lshrrev_b32_e32 v1, s14, v1
	v_mul_lo_u32 v3, v1, s12
	v_mul_hi_u32 v5, s16, v1
	v_sub_u32_e32 v3, v4, v3
	v_add_u32_e32 v4, v1, v5
	v_lshrrev_b32_e32 v4, s17, v4
	v_mul_lo_u32 v6, v4, s15
	v_mul_hi_u32 v7, s19, v4
	v_sub_u32_e32 v1, v1, v6
	v_add_u32_e32 v6, v4, v7
	v_mul_lo_u32 v5, v3, s5
	v_mul_lo_u32 v3, v3, s4
	;; [unrolled: 1-line block ×4, first 2 shown]
	v_lshrrev_b32_e32 v6, s20, v6
	v_add3_u32 v0, v3, v0, v1
	v_mul_hi_u32 v3, s22, v6
	v_add3_u32 v1, v5, v2, v7
	v_mul_lo_u32 v2, v6, s18
	v_add_u32_e32 v3, v6, v3
	v_sub_u32_e32 v2, v4, v2
	v_lshrrev_b32_e32 v4, s23, v3
	s_add_i32 s28, s28, 4
	v_mul_lo_u32 v3, v4, s21
	s_add_u32 s2, s2, 32
	v_sub_u32_e32 v3, v6, v3
	s_addc_u32 s3, s3, 0
	v_mul_lo_u32 v5, v2, s8
	v_mul_lo_u32 v2, v2, s9
	;; [unrolled: 1-line block ×4, first 2 shown]
	s_cmp_lg_u32 s26, s28
	v_add3_u32 v2, v2, v1, v3
	v_add3_u32 v0, v5, v0, v6
	s_cbranch_scc1 .LBB29_13
; %bb.14:
	v_mov_b32_e32 v1, v2
	s_and_b32 s6, s27, 3
	s_cmp_eq_u32 s6, 0
	s_cbranch_scc0 .LBB29_27
	s_branch .LBB29_29
.LBB29_15:
	s_or_b64 exec, exec, s[48:49]
	v_cmp_gt_i32_e32 vcc, s55, v8
	s_and_saveexec_b64 s[48:49], vcc
	s_cbranch_execz .LBB29_85
.LBB29_16:
	s_andn2_b64 vcc, exec, s[36:37]
	s_cbranch_vccnz .LBB29_24
; %bb.17:
	s_andn2_b64 vcc, exec, s[46:47]
	s_cbranch_vccnz .LBB29_76
; %bb.18:
	s_add_i32 s58, s56, 1
	s_cmp_eq_u32 s54, 2
	s_cbranch_scc1 .LBB29_94
; %bb.19:
	s_and_b32 s57, s58, 28
	s_mov_b32 s59, 0
	v_mov_b32_e32 v0, 0
	v_mov_b32_e32 v2, 0
	s_mov_b64 s[50:51], s[34:35]
	s_mov_b64 s[52:53], s[44:45]
	v_mov_b32_e32 v4, v8
.LBB29_20:                              ; =>This Inner Loop Header: Depth=1
	s_load_dwordx8 s[8:15], s[50:51], 0x4
	s_load_dwordx4 s[28:31], s[50:51], 0x24
	s_load_dwordx8 s[0:7], s[52:53], 0x0
	s_add_u32 s50, s50, 48
	s_addc_u32 s51, s51, 0
	s_waitcnt lgkmcnt(0)
	v_mul_hi_u32 v1, s9, v4
	v_add_u32_e32 v1, v4, v1
	v_lshrrev_b32_e32 v1, s10, v1
	v_mul_lo_u32 v3, v1, s8
	v_mul_hi_u32 v5, s12, v1
	v_sub_u32_e32 v3, v4, v3
	v_add_u32_e32 v4, v1, v5
	v_lshrrev_b32_e32 v4, s13, v4
	v_mul_lo_u32 v6, v4, s11
	v_mul_hi_u32 v7, s15, v4
	v_sub_u32_e32 v1, v1, v6
	v_add_u32_e32 v6, v4, v7
	v_mul_lo_u32 v5, v3, s1
	v_mul_lo_u32 v3, v3, s0
	;; [unrolled: 1-line block ×4, first 2 shown]
	v_lshrrev_b32_e32 v6, s28, v6
	v_add3_u32 v0, v3, v0, v1
	v_mul_hi_u32 v3, s30, v6
	v_add3_u32 v1, v5, v2, v7
	v_mul_lo_u32 v2, v6, s14
	v_add_u32_e32 v3, v6, v3
	v_sub_u32_e32 v2, v4, v2
	v_lshrrev_b32_e32 v4, s31, v3
	s_add_i32 s59, s59, 4
	v_mul_lo_u32 v3, v4, s29
	s_add_u32 s52, s52, 32
	v_sub_u32_e32 v3, v6, v3
	s_addc_u32 s53, s53, 0
	v_mul_lo_u32 v5, v2, s4
	v_mul_lo_u32 v2, v2, s5
	;; [unrolled: 1-line block ×4, first 2 shown]
	s_cmp_eq_u32 s57, s59
	v_add3_u32 v2, v2, v1, v3
	v_add3_u32 v0, v5, v0, v6
	s_cbranch_scc0 .LBB29_20
; %bb.21:
	v_mov_b32_e32 v1, v2
	s_branch .LBB29_95
.LBB29_22:
                                        ; implicit-def: $vgpr2
                                        ; implicit-def: $vgpr0
	s_branch .LBB29_30
.LBB29_23:
                                        ; implicit-def: $vgpr2
                                        ; implicit-def: $vgpr0
	s_branch .LBB29_82
.LBB29_24:
                                        ; implicit-def: $vgpr2
                                        ; implicit-def: $vgpr0
	s_branch .LBB29_99
.LBB29_25:
	v_mov_b32_e32 v2, 0
	v_mov_b32_e32 v0, 0
	s_branch .LBB29_29
.LBB29_26:
	v_mov_b32_e32 v0, 0
                                        ; implicit-def: $vgpr2
	v_mov_b32_e32 v1, v0
	v_mov_b32_e32 v4, v8
	s_and_b32 s6, s27, 3
	s_cmp_eq_u32 s6, 0
	s_cbranch_scc1 .LBB29_29
.LBB29_27:
	s_lshl_b32 s2, s26, 3
	s_add_u32 s2, s34, s2
	s_addc_u32 s3, s35, 0
	s_add_u32 s2, s2, 0xc4
	s_addc_u32 s3, s3, 0
	s_mul_i32 s4, s26, 12
	s_add_u32 s4, s34, s4
	s_addc_u32 s5, s35, 0
.LBB29_28:                              ; =>This Inner Loop Header: Depth=1
	s_load_dwordx2 s[8:9], s[4:5], 0x4
	s_load_dword s7, s[4:5], 0xc
	s_load_dwordx2 s[10:11], s[2:3], 0x0
	v_mov_b32_e32 v2, v1
	s_add_u32 s4, s4, 12
	s_waitcnt lgkmcnt(0)
	v_mul_hi_u32 v1, s9, v4
	v_add_u32_e32 v1, v4, v1
	v_lshrrev_b32_e32 v1, s7, v1
	s_addc_u32 s5, s5, 0
	v_mul_lo_u32 v3, v1, s8
	s_add_u32 s2, s2, 8
	v_sub_u32_e32 v5, v4, v3
	s_addc_u32 s3, s3, 0
	s_add_i32 s6, s6, -1
	v_mov_b32_e32 v4, v1
	v_mad_u64_u32 v[2:3], s[8:9], v5, s11, v[2:3]
	v_mad_u64_u32 v[0:1], s[8:9], v5, s10, v[0:1]
	s_cmp_lg_u32 s6, 0
	v_mov_b32_e32 v1, v2
	s_cbranch_scc1 .LBB29_28
.LBB29_29:
	s_cbranch_execnz .LBB29_32
.LBB29_30:
	s_load_dwordx4 s[4:7], s[34:35], 0x4
	s_load_dwordx2 s[2:3], s[34:35], 0xc4
	s_cmp_lt_u32 s33, 2
	s_waitcnt lgkmcnt(0)
	v_mul_hi_u32 v0, s5, v8
	v_add_u32_e32 v0, v8, v0
	v_lshrrev_b32_e32 v1, s6, v0
	v_mul_lo_u32 v0, v1, s4
	v_sub_u32_e32 v0, v8, v0
	v_mul_lo_u32 v2, v0, s3
	v_mul_lo_u32 v0, v0, s2
	s_cbranch_scc1 .LBB29_32
; %bb.31:
	s_load_dwordx4 s[4:7], s[34:35], 0x10
	s_load_dwordx2 s[2:3], s[34:35], 0xcc
	s_waitcnt lgkmcnt(0)
	v_mul_hi_u32 v3, s5, v1
	v_add_u32_e32 v3, v1, v3
	v_lshrrev_b32_e32 v3, s6, v3
	v_mul_lo_u32 v3, v3, s4
	v_sub_u32_e32 v3, v1, v3
	v_mad_u64_u32 v[0:1], s[4:5], v3, s2, v[0:1]
	v_mad_u64_u32 v[2:3], s[2:3], v3, s3, v[2:3]
.LBB29_32:
	s_and_b64 vcc, exec, s[0:1]
	v_add_u32_e32 v3, 0x80, v8
	s_cbranch_vccnz .LBB29_38
; %bb.33:
	s_cmp_lg_u32 s33, 0
	s_waitcnt lgkmcnt(0)
	s_mov_b32 s26, 0
	s_cbranch_scc0 .LBB29_39
; %bb.34:
	s_min_u32 s27, s54, 15
	s_add_i32 s27, s27, 1
	s_cmp_eq_u32 s54, 2
	s_cbranch_scc1 .LBB29_40
; %bb.35:
	s_and_b32 s26, s27, 28
	s_add_u32 s2, s34, 0xc4
	s_addc_u32 s3, s35, 0
	s_mov_b32 s28, 0
	v_mov_b32_e32 v4, 0
	v_mov_b32_e32 v6, 0
	s_mov_b64 s[24:25], s[34:35]
	v_mov_b32_e32 v9, v3
.LBB29_36:                              ; =>This Inner Loop Header: Depth=1
	s_load_dwordx8 s[12:19], s[24:25], 0x4
	s_load_dwordx4 s[20:23], s[24:25], 0x24
	s_load_dwordx8 s[4:11], s[2:3], 0x0
	s_add_u32 s24, s24, 48
	s_addc_u32 s25, s25, 0
	s_waitcnt lgkmcnt(0)
	v_mul_hi_u32 v1, s13, v9
	v_add_u32_e32 v1, v9, v1
	v_lshrrev_b32_e32 v1, s14, v1
	v_mul_hi_u32 v7, s16, v1
	v_add_u32_e32 v7, v1, v7
	v_lshrrev_b32_e32 v7, s17, v7
	v_mul_lo_u32 v5, v1, s12
	v_mul_lo_u32 v10, v7, s15
	v_mul_hi_u32 v11, s19, v7
	v_sub_u32_e32 v5, v9, v5
	v_sub_u32_e32 v1, v1, v10
	v_add_u32_e32 v10, v7, v11
	v_mul_lo_u32 v9, v5, s5
	v_mul_lo_u32 v5, v5, s4
	;; [unrolled: 1-line block ×4, first 2 shown]
	v_lshrrev_b32_e32 v10, s20, v10
	v_add3_u32 v1, v5, v4, v1
	v_add3_u32 v4, v9, v6, v11
	v_mul_hi_u32 v6, s22, v10
	v_add_u32_e32 v6, v10, v6
	v_lshrrev_b32_e32 v9, s23, v6
	s_add_i32 s28, s28, 4
	v_mul_lo_u32 v5, v10, s18
	v_mul_lo_u32 v6, v9, s21
	s_add_u32 s2, s2, 32
	v_sub_u32_e32 v5, v7, v5
	v_sub_u32_e32 v6, v10, v6
	s_addc_u32 s3, s3, 0
	v_mul_lo_u32 v7, v5, s8
	v_mul_lo_u32 v5, v5, s9
	;; [unrolled: 1-line block ×4, first 2 shown]
	s_cmp_lg_u32 s26, s28
	v_add3_u32 v6, v5, v4, v6
	v_add3_u32 v4, v7, v1, v10
	s_cbranch_scc1 .LBB29_36
; %bb.37:
	v_mov_b32_e32 v1, v6
	s_and_b32 s6, s27, 3
	s_cmp_eq_u32 s6, 0
	s_cbranch_scc0 .LBB29_41
	s_branch .LBB29_43
.LBB29_38:
                                        ; implicit-def: $vgpr6
                                        ; implicit-def: $vgpr4
	s_branch .LBB29_44
.LBB29_39:
	v_mov_b32_e32 v6, 0
	v_mov_b32_e32 v4, 0
	s_branch .LBB29_43
.LBB29_40:
	v_mov_b32_e32 v4, 0
                                        ; implicit-def: $vgpr6
	v_mov_b32_e32 v1, v4
	v_mov_b32_e32 v9, v3
	s_and_b32 s6, s27, 3
	s_cmp_eq_u32 s6, 0
	s_cbranch_scc1 .LBB29_43
.LBB29_41:
	s_lshl_b32 s2, s26, 3
	s_add_u32 s2, s34, s2
	s_addc_u32 s3, s35, 0
	s_add_u32 s2, s2, 0xc4
	s_addc_u32 s3, s3, 0
	s_mul_i32 s4, s26, 12
	s_add_u32 s4, s34, s4
	s_addc_u32 s5, s35, 0
.LBB29_42:                              ; =>This Inner Loop Header: Depth=1
	s_load_dwordx2 s[8:9], s[4:5], 0x4
	s_load_dword s7, s[4:5], 0xc
	s_load_dwordx2 s[10:11], s[2:3], 0x0
	v_mov_b32_e32 v6, v1
	s_add_u32 s4, s4, 12
	s_waitcnt lgkmcnt(0)
	v_mul_hi_u32 v1, s9, v9
	v_add_u32_e32 v1, v9, v1
	v_lshrrev_b32_e32 v1, s7, v1
	s_addc_u32 s5, s5, 0
	v_mul_lo_u32 v5, v1, s8
	s_add_u32 s2, s2, 8
	v_sub_u32_e32 v5, v9, v5
	s_addc_u32 s3, s3, 0
	s_add_i32 s6, s6, -1
	v_mad_u64_u32 v[6:7], s[8:9], v5, s11, v[6:7]
	s_cmp_lg_u32 s6, 0
	v_mov_b32_e32 v9, v1
	v_mad_u64_u32 v[4:5], s[8:9], v5, s10, v[4:5]
	v_mov_b32_e32 v1, v6
	s_cbranch_scc1 .LBB29_42
.LBB29_43:
	s_cbranch_execnz .LBB29_46
.LBB29_44:
	s_load_dwordx4 s[4:7], s[34:35], 0x4
	s_load_dwordx2 s[2:3], s[34:35], 0xc4
	s_cmp_lt_u32 s33, 2
	s_waitcnt lgkmcnt(0)
	v_mul_hi_u32 v1, s5, v3
	v_add_u32_e32 v1, v3, v1
	v_lshrrev_b32_e32 v1, s6, v1
	v_mul_lo_u32 v4, v1, s4
	v_sub_u32_e32 v3, v3, v4
	v_mul_lo_u32 v6, v3, s3
	v_mul_lo_u32 v4, v3, s2
	s_cbranch_scc1 .LBB29_46
; %bb.45:
	s_load_dwordx4 s[4:7], s[34:35], 0x10
	s_load_dwordx2 s[2:3], s[34:35], 0xcc
	s_waitcnt lgkmcnt(0)
	v_mul_hi_u32 v3, s5, v1
	v_add_u32_e32 v3, v1, v3
	v_lshrrev_b32_e32 v3, s6, v3
	v_mul_lo_u32 v3, v3, s4
	v_sub_u32_e32 v1, v1, v3
	v_mad_u64_u32 v[4:5], s[4:5], v1, s2, v[4:5]
	v_mad_u64_u32 v[6:7], s[2:3], v1, s3, v[6:7]
.LBB29_46:
	s_and_b64 vcc, exec, s[0:1]
	v_add_u32_e32 v3, 0x100, v8
	s_cbranch_vccnz .LBB29_52
; %bb.47:
	s_cmp_lg_u32 s33, 0
	s_waitcnt lgkmcnt(0)
	s_mov_b32 s26, 0
	s_cbranch_scc0 .LBB29_53
; %bb.48:
	s_min_u32 s27, s54, 15
	s_add_i32 s27, s27, 1
	s_cmp_eq_u32 s54, 2
	s_cbranch_scc1 .LBB29_54
; %bb.49:
	s_and_b32 s26, s27, 28
	s_add_u32 s2, s34, 0xc4
	s_addc_u32 s3, s35, 0
	s_mov_b32 s28, 0
	v_mov_b32_e32 v8, 0
	v_mov_b32_e32 v10, 0
	s_mov_b64 s[24:25], s[34:35]
	v_mov_b32_e32 v5, v3
.LBB29_50:                              ; =>This Inner Loop Header: Depth=1
	s_load_dwordx8 s[12:19], s[24:25], 0x4
	s_load_dwordx4 s[20:23], s[24:25], 0x24
	s_load_dwordx8 s[4:11], s[2:3], 0x0
	s_add_u32 s24, s24, 48
	s_addc_u32 s25, s25, 0
	s_waitcnt lgkmcnt(0)
	v_mul_hi_u32 v1, s13, v5
	v_add_u32_e32 v1, v5, v1
	v_lshrrev_b32_e32 v1, s14, v1
	v_mul_lo_u32 v7, v1, s12
	v_mul_hi_u32 v9, s16, v1
	v_sub_u32_e32 v5, v5, v7
	v_add_u32_e32 v7, v1, v9
	v_lshrrev_b32_e32 v7, s17, v7
	v_mul_lo_u32 v11, v7, s15
	v_mul_hi_u32 v12, s19, v7
	v_sub_u32_e32 v1, v1, v11
	v_add_u32_e32 v11, v7, v12
	v_mul_lo_u32 v9, v5, s5
	v_mul_lo_u32 v5, v5, s4
	;; [unrolled: 1-line block ×4, first 2 shown]
	v_lshrrev_b32_e32 v11, s20, v11
	v_add3_u32 v1, v5, v8, v1
	v_add3_u32 v8, v9, v10, v12
	v_mul_lo_u32 v5, v11, s18
	v_mul_hi_u32 v9, s22, v11
	v_sub_u32_e32 v5, v7, v5
	v_add_u32_e32 v7, v11, v9
	v_mul_lo_u32 v9, v5, s8
	v_mul_lo_u32 v10, v5, s9
	v_lshrrev_b32_e32 v5, s23, v7
	s_add_i32 s28, s28, 4
	v_mul_lo_u32 v7, v5, s21
	s_add_u32 s2, s2, 32
	v_sub_u32_e32 v7, v11, v7
	s_addc_u32 s3, s3, 0
	v_mul_lo_u32 v11, v7, s10
	v_mul_lo_u32 v7, v7, s11
	s_cmp_lg_u32 s26, s28
	v_add3_u32 v10, v10, v8, v7
	v_add3_u32 v8, v9, v1, v11
	s_cbranch_scc1 .LBB29_50
; %bb.51:
	v_mov_b32_e32 v1, v10
	s_and_b32 s6, s27, 3
	s_cmp_eq_u32 s6, 0
	s_cbranch_scc0 .LBB29_55
	s_branch .LBB29_57
.LBB29_52:
                                        ; implicit-def: $vgpr10
                                        ; implicit-def: $vgpr8
	s_branch .LBB29_58
.LBB29_53:
	v_mov_b32_e32 v10, 0
	v_mov_b32_e32 v8, 0
	s_branch .LBB29_57
.LBB29_54:
	v_mov_b32_e32 v8, 0
                                        ; implicit-def: $vgpr10
	v_mov_b32_e32 v1, v8
	v_mov_b32_e32 v5, v3
	s_and_b32 s6, s27, 3
	s_cmp_eq_u32 s6, 0
	s_cbranch_scc1 .LBB29_57
.LBB29_55:
	s_lshl_b32 s2, s26, 3
	s_add_u32 s2, s34, s2
	s_addc_u32 s3, s35, 0
	s_add_u32 s2, s2, 0xc4
	s_addc_u32 s3, s3, 0
	s_mul_i32 s4, s26, 12
	s_add_u32 s4, s34, s4
	s_addc_u32 s5, s35, 0
.LBB29_56:                              ; =>This Inner Loop Header: Depth=1
	s_load_dwordx2 s[8:9], s[4:5], 0x4
	s_load_dword s7, s[4:5], 0xc
	s_load_dwordx2 s[10:11], s[2:3], 0x0
	v_mov_b32_e32 v10, v1
	s_add_u32 s4, s4, 12
	s_waitcnt lgkmcnt(0)
	v_mul_hi_u32 v1, s9, v5
	v_add_u32_e32 v1, v5, v1
	v_lshrrev_b32_e32 v1, s7, v1
	s_addc_u32 s5, s5, 0
	v_mul_lo_u32 v7, v1, s8
	s_add_u32 s2, s2, 8
	v_sub_u32_e32 v7, v5, v7
	s_addc_u32 s3, s3, 0
	s_add_i32 s6, s6, -1
	v_mad_u64_u32 v[10:11], s[8:9], v7, s11, v[10:11]
	s_cmp_lg_u32 s6, 0
	v_mov_b32_e32 v5, v1
	v_mad_u64_u32 v[8:9], s[8:9], v7, s10, v[8:9]
	v_mov_b32_e32 v1, v10
	s_cbranch_scc1 .LBB29_56
.LBB29_57:
	s_cbranch_execnz .LBB29_60
.LBB29_58:
	s_load_dwordx4 s[4:7], s[34:35], 0x4
	s_load_dwordx2 s[2:3], s[34:35], 0xc4
	s_cmp_lt_u32 s33, 2
	s_waitcnt lgkmcnt(0)
	v_mul_hi_u32 v1, s5, v3
	v_add_u32_e32 v1, v3, v1
	v_lshrrev_b32_e32 v1, s6, v1
	v_mul_lo_u32 v5, v1, s4
	v_sub_u32_e32 v3, v3, v5
	v_mul_lo_u32 v10, v3, s3
	v_mul_lo_u32 v8, v3, s2
	s_cbranch_scc1 .LBB29_60
; %bb.59:
	s_load_dwordx4 s[4:7], s[34:35], 0x10
	s_load_dwordx2 s[2:3], s[34:35], 0xcc
	s_waitcnt lgkmcnt(0)
	v_mul_hi_u32 v3, s5, v1
	v_add_u32_e32 v3, v1, v3
	v_lshrrev_b32_e32 v3, s6, v3
	v_mul_lo_u32 v3, v3, s4
	v_sub_u32_e32 v1, v1, v3
	v_mad_u64_u32 v[8:9], s[4:5], v1, s2, v[8:9]
	v_mad_u64_u32 v[10:11], s[2:3], v1, s3, v[10:11]
.LBB29_60:
	s_and_b64 vcc, exec, s[0:1]
	s_cbranch_vccnz .LBB29_66
; %bb.61:
	s_cmp_lg_u32 s33, 0
	s_waitcnt lgkmcnt(0)
	s_mov_b32 s24, 0
	s_cbranch_scc0 .LBB29_67
; %bb.62:
	s_min_u32 s25, s54, 15
	s_add_i32 s25, s25, 1
	s_cmp_eq_u32 s54, 2
	s_cbranch_scc1 .LBB29_68
; %bb.63:
	s_and_b32 s24, s25, 28
	s_add_u32 s20, s34, 0xc4
	s_addc_u32 s21, s35, 0
	s_mov_b32 s26, 0
	v_mov_b32_e32 v12, 0
	v_mov_b32_e32 v14, 0
	s_mov_b64 s[22:23], s[34:35]
	v_mov_b32_e32 v3, v16
.LBB29_64:                              ; =>This Inner Loop Header: Depth=1
	s_load_dwordx8 s[8:15], s[22:23], 0x4
	s_load_dwordx4 s[16:19], s[22:23], 0x24
	s_load_dwordx8 s[0:7], s[20:21], 0x0
	s_add_u32 s22, s22, 48
	s_addc_u32 s23, s23, 0
	s_waitcnt lgkmcnt(0)
	v_mul_hi_u32 v1, s9, v3
	v_add_u32_e32 v1, v3, v1
	v_lshrrev_b32_e32 v1, s10, v1
	v_mul_lo_u32 v5, v1, s8
	v_mul_hi_u32 v7, s12, v1
	v_sub_u32_e32 v3, v3, v5
	v_add_u32_e32 v5, v1, v7
	v_lshrrev_b32_e32 v5, s13, v5
	v_mul_lo_u32 v9, v5, s11
	v_mul_hi_u32 v11, s15, v5
	v_sub_u32_e32 v1, v1, v9
	v_add_u32_e32 v9, v5, v11
	v_mul_lo_u32 v7, v3, s1
	v_mul_lo_u32 v3, v3, s0
	;; [unrolled: 1-line block ×4, first 2 shown]
	v_lshrrev_b32_e32 v9, s16, v9
	v_add3_u32 v1, v3, v12, v1
	v_add3_u32 v7, v7, v14, v11
	v_mul_lo_u32 v3, v9, s14
	v_mul_hi_u32 v11, s18, v9
	v_sub_u32_e32 v3, v5, v3
	v_add_u32_e32 v5, v9, v11
	v_mul_lo_u32 v11, v3, s4
	v_mul_lo_u32 v12, v3, s5
	v_lshrrev_b32_e32 v3, s19, v5
	s_add_i32 s26, s26, 4
	v_mul_lo_u32 v5, v3, s17
	s_add_u32 s20, s20, 32
	v_sub_u32_e32 v5, v9, v5
	s_addc_u32 s21, s21, 0
	v_mul_lo_u32 v9, v5, s6
	v_mul_lo_u32 v5, v5, s7
	s_cmp_lg_u32 s24, s26
	v_add3_u32 v14, v12, v7, v5
	v_add3_u32 v12, v11, v1, v9
	s_cbranch_scc1 .LBB29_64
; %bb.65:
	v_mov_b32_e32 v1, v14
	s_and_b32 s4, s25, 3
	s_cmp_eq_u32 s4, 0
	s_cbranch_scc0 .LBB29_69
	s_branch .LBB29_71
.LBB29_66:
                                        ; implicit-def: $vgpr14
                                        ; implicit-def: $vgpr12
	s_branch .LBB29_72
.LBB29_67:
	v_mov_b32_e32 v14, 0
	v_mov_b32_e32 v12, 0
	s_branch .LBB29_71
.LBB29_68:
	v_mov_b32_e32 v12, 0
                                        ; implicit-def: $vgpr14
	v_mov_b32_e32 v1, v12
	v_mov_b32_e32 v3, v16
	s_and_b32 s4, s25, 3
	s_cmp_eq_u32 s4, 0
	s_cbranch_scc1 .LBB29_71
.LBB29_69:
	s_lshl_b32 s0, s24, 3
	s_add_u32 s0, s34, s0
	s_addc_u32 s1, s35, 0
	s_add_u32 s0, s0, 0xc4
	s_addc_u32 s1, s1, 0
	s_mul_i32 s2, s24, 12
	s_add_u32 s2, s34, s2
	s_addc_u32 s3, s35, 0
.LBB29_70:                              ; =>This Inner Loop Header: Depth=1
	s_load_dwordx2 s[6:7], s[2:3], 0x4
	s_load_dword s5, s[2:3], 0xc
	s_load_dwordx2 s[8:9], s[0:1], 0x0
	v_mov_b32_e32 v14, v1
	s_add_u32 s2, s2, 12
	s_waitcnt lgkmcnt(0)
	v_mul_hi_u32 v1, s7, v3
	v_add_u32_e32 v1, v3, v1
	v_lshrrev_b32_e32 v1, s5, v1
	s_addc_u32 s3, s3, 0
	v_mul_lo_u32 v5, v1, s6
	s_add_u32 s0, s0, 8
	v_sub_u32_e32 v5, v3, v5
	s_addc_u32 s1, s1, 0
	s_add_i32 s4, s4, -1
	v_mad_u64_u32 v[14:15], s[6:7], v5, s9, v[14:15]
	s_cmp_lg_u32 s4, 0
	v_mov_b32_e32 v3, v1
	v_mad_u64_u32 v[12:13], s[6:7], v5, s8, v[12:13]
	v_mov_b32_e32 v1, v14
	s_cbranch_scc1 .LBB29_70
.LBB29_71:
	s_cbranch_execnz .LBB29_74
.LBB29_72:
	s_load_dwordx4 s[0:3], s[34:35], 0x4
	s_load_dwordx2 s[4:5], s[34:35], 0xc4
	s_cmp_lt_u32 s33, 2
	s_waitcnt lgkmcnt(0)
	v_mul_hi_u32 v1, s1, v16
	v_add_u32_e32 v1, v16, v1
	v_lshrrev_b32_e32 v1, s2, v1
	v_mul_lo_u32 v3, v1, s0
	v_sub_u32_e32 v3, v16, v3
	v_mul_lo_u32 v14, v3, s5
	v_mul_lo_u32 v12, v3, s4
	s_cbranch_scc1 .LBB29_74
; %bb.73:
	s_load_dwordx4 s[0:3], s[34:35], 0x10
	s_load_dwordx2 s[4:5], s[34:35], 0xcc
	s_waitcnt lgkmcnt(0)
	v_mul_hi_u32 v3, s1, v1
	v_add_u32_e32 v3, v1, v3
	v_lshrrev_b32_e32 v3, s2, v3
	v_mul_lo_u32 v3, v3, s0
	v_sub_u32_e32 v1, v1, v3
	v_mad_u64_u32 v[12:13], s[0:1], v1, s4, v[12:13]
	v_mad_u64_u32 v[14:15], s[0:1], v1, s5, v[14:15]
.LBB29_74:
	s_load_dwordx4 s[0:3], s[34:35], 0x148
	s_waitcnt lgkmcnt(0)
	global_load_dword v1, v2, s[2:3]
	global_load_dword v3, v6, s[2:3]
	;; [unrolled: 1-line block ×4, first 2 shown]
	s_waitcnt vmcnt(3)
	v_not_b32_e32 v1, v1
	s_waitcnt vmcnt(2)
	v_not_b32_e32 v2, v3
	s_waitcnt vmcnt(1)
	v_not_b32_e32 v3, v5
	s_waitcnt vmcnt(0)
	v_not_b32_e32 v5, v7
	global_store_dword v0, v1, s[0:1]
	global_store_dword v4, v2, s[0:1]
	;; [unrolled: 1-line block ×4, first 2 shown]
	s_endpgm
.LBB29_75:
	v_mov_b32_e32 v2, 0
	v_mov_b32_e32 v0, 0
	s_branch .LBB29_81
.LBB29_76:
	v_mov_b32_e32 v2, 0
	v_mov_b32_e32 v0, 0
	s_branch .LBB29_98
.LBB29_77:
	v_mov_b32_e32 v0, 0
	s_mov_b32 s57, 0
	v_mov_b32_e32 v1, v0
                                        ; implicit-def: $vgpr2
	v_mov_b32_e32 v4, v8
.LBB29_78:
	s_and_b32 s4, s58, 3
	s_cmp_eq_u32 s4, 0
	s_cbranch_scc1 .LBB29_81
; %bb.79:
	s_lshl_b32 s0, s57, 3
	s_add_u32 s0, s34, s0
	s_addc_u32 s1, s35, 0
	s_add_u32 s0, s0, 0xc4
	s_addc_u32 s1, s1, 0
	s_mul_i32 s2, s57, 12
	s_add_u32 s2, s34, s2
	s_addc_u32 s3, s35, 0
.LBB29_80:                              ; =>This Inner Loop Header: Depth=1
	s_load_dwordx2 s[6:7], s[2:3], 0x4
	s_load_dword s5, s[2:3], 0xc
	s_load_dwordx2 s[8:9], s[0:1], 0x0
	v_mov_b32_e32 v2, v1
	s_add_u32 s2, s2, 12
	s_waitcnt lgkmcnt(0)
	v_mul_hi_u32 v1, s7, v4
	v_add_u32_e32 v1, v4, v1
	v_lshrrev_b32_e32 v1, s5, v1
	s_addc_u32 s3, s3, 0
	v_mul_lo_u32 v3, v1, s6
	s_add_u32 s0, s0, 8
	v_sub_u32_e32 v5, v4, v3
	s_addc_u32 s1, s1, 0
	s_add_i32 s4, s4, -1
	v_mov_b32_e32 v4, v1
	v_mad_u64_u32 v[2:3], s[6:7], v5, s9, v[2:3]
	v_mad_u64_u32 v[0:1], s[6:7], v5, s8, v[0:1]
	s_cmp_lg_u32 s4, 0
	v_mov_b32_e32 v1, v2
	s_cbranch_scc1 .LBB29_80
.LBB29_81:
	s_cbranch_execnz .LBB29_84
.LBB29_82:
	s_waitcnt lgkmcnt(0)
	v_mul_hi_u32 v0, s25, v8
	v_add_u32_e32 v0, v8, v0
	v_lshrrev_b32_e32 v1, s26, v0
	v_mul_lo_u32 v0, v1, s24
	v_sub_u32_e32 v0, v8, v0
	v_mul_lo_u32 v2, v0, s21
	s_andn2_b64 vcc, exec, s[42:43]
	v_mul_lo_u32 v0, v0, s20
	s_cbranch_vccnz .LBB29_84
; %bb.83:
	v_mul_hi_u32 v3, s40, v1
	v_add_u32_e32 v3, v1, v3
	v_lshrrev_b32_e32 v3, s41, v3
	v_mul_lo_u32 v3, v3, s27
	v_sub_u32_e32 v3, v1, v3
	v_mad_u64_u32 v[0:1], s[0:1], v3, s22, v[0:1]
	v_mad_u64_u32 v[2:3], s[0:1], v3, s23, v[2:3]
.LBB29_84:
	s_waitcnt lgkmcnt(0)
	global_load_dword v1, v2, s[18:19]
	v_add_u32_e32 v8, 0x80, v8
	s_waitcnt vmcnt(0)
	v_not_b32_e32 v1, v1
	global_store_dword v0, v1, s[16:17]
	s_or_b64 exec, exec, s[48:49]
	v_cmp_gt_i32_e32 vcc, s55, v8
	s_and_saveexec_b64 s[48:49], vcc
	s_cbranch_execnz .LBB29_16
.LBB29_85:
	s_or_b64 exec, exec, s[48:49]
	v_cmp_gt_i32_e32 vcc, s55, v8
	s_and_saveexec_b64 s[48:49], vcc
	s_cbranch_execz .LBB29_102
.LBB29_86:
	s_andn2_b64 vcc, exec, s[36:37]
	s_cbranch_vccnz .LBB29_92
; %bb.87:
	s_andn2_b64 vcc, exec, s[46:47]
	s_cbranch_vccnz .LBB29_93
; %bb.88:
	s_add_i32 s58, s56, 1
	s_cmp_eq_u32 s54, 2
	s_cbranch_scc1 .LBB29_105
; %bb.89:
	s_and_b32 s57, s58, 28
	s_mov_b32 s59, 0
	v_mov_b32_e32 v0, 0
	v_mov_b32_e32 v2, 0
	s_mov_b64 s[50:51], s[34:35]
	s_mov_b64 s[52:53], s[44:45]
	v_mov_b32_e32 v4, v8
.LBB29_90:                              ; =>This Inner Loop Header: Depth=1
	s_load_dwordx8 s[8:15], s[50:51], 0x4
	s_load_dwordx4 s[28:31], s[50:51], 0x24
	s_load_dwordx8 s[0:7], s[52:53], 0x0
	s_add_u32 s50, s50, 48
	s_addc_u32 s51, s51, 0
	s_waitcnt lgkmcnt(0)
	v_mul_hi_u32 v1, s9, v4
	v_add_u32_e32 v1, v4, v1
	v_lshrrev_b32_e32 v1, s10, v1
	v_mul_lo_u32 v3, v1, s8
	v_mul_hi_u32 v5, s12, v1
	v_sub_u32_e32 v3, v4, v3
	v_add_u32_e32 v4, v1, v5
	v_lshrrev_b32_e32 v4, s13, v4
	v_mul_lo_u32 v6, v4, s11
	v_mul_hi_u32 v7, s15, v4
	v_sub_u32_e32 v1, v1, v6
	v_add_u32_e32 v6, v4, v7
	v_mul_lo_u32 v5, v3, s1
	v_mul_lo_u32 v3, v3, s0
	;; [unrolled: 1-line block ×4, first 2 shown]
	v_lshrrev_b32_e32 v6, s28, v6
	v_add3_u32 v0, v3, v0, v1
	v_mul_hi_u32 v3, s30, v6
	v_add3_u32 v1, v5, v2, v7
	v_mul_lo_u32 v2, v6, s14
	v_add_u32_e32 v3, v6, v3
	v_sub_u32_e32 v2, v4, v2
	v_lshrrev_b32_e32 v4, s31, v3
	s_add_i32 s59, s59, 4
	v_mul_lo_u32 v3, v4, s29
	s_add_u32 s52, s52, 32
	v_sub_u32_e32 v3, v6, v3
	s_addc_u32 s53, s53, 0
	v_mul_lo_u32 v5, v2, s4
	v_mul_lo_u32 v2, v2, s5
	;; [unrolled: 1-line block ×4, first 2 shown]
	s_cmp_eq_u32 s57, s59
	v_add3_u32 v2, v2, v1, v3
	v_add3_u32 v0, v5, v0, v6
	s_cbranch_scc0 .LBB29_90
; %bb.91:
	v_mov_b32_e32 v1, v2
	s_branch .LBB29_106
.LBB29_92:
                                        ; implicit-def: $vgpr2
                                        ; implicit-def: $vgpr0
	s_branch .LBB29_110
.LBB29_93:
	v_mov_b32_e32 v2, 0
	v_mov_b32_e32 v0, 0
	s_branch .LBB29_109
.LBB29_94:
	v_mov_b32_e32 v0, 0
	s_mov_b32 s57, 0
	v_mov_b32_e32 v1, v0
                                        ; implicit-def: $vgpr2
	v_mov_b32_e32 v4, v8
.LBB29_95:
	s_and_b32 s4, s58, 3
	s_cmp_eq_u32 s4, 0
	s_cbranch_scc1 .LBB29_98
; %bb.96:
	s_lshl_b32 s0, s57, 3
	s_add_u32 s0, s34, s0
	s_addc_u32 s1, s35, 0
	s_add_u32 s0, s0, 0xc4
	s_addc_u32 s1, s1, 0
	s_mul_i32 s2, s57, 12
	s_add_u32 s2, s34, s2
	s_addc_u32 s3, s35, 0
.LBB29_97:                              ; =>This Inner Loop Header: Depth=1
	s_load_dwordx2 s[6:7], s[2:3], 0x4
	s_load_dword s5, s[2:3], 0xc
	s_load_dwordx2 s[8:9], s[0:1], 0x0
	v_mov_b32_e32 v2, v1
	s_add_u32 s2, s2, 12
	s_waitcnt lgkmcnt(0)
	v_mul_hi_u32 v1, s7, v4
	v_add_u32_e32 v1, v4, v1
	v_lshrrev_b32_e32 v1, s5, v1
	s_addc_u32 s3, s3, 0
	v_mul_lo_u32 v3, v1, s6
	s_add_u32 s0, s0, 8
	v_sub_u32_e32 v5, v4, v3
	s_addc_u32 s1, s1, 0
	s_add_i32 s4, s4, -1
	v_mov_b32_e32 v4, v1
	v_mad_u64_u32 v[2:3], s[6:7], v5, s9, v[2:3]
	v_mad_u64_u32 v[0:1], s[6:7], v5, s8, v[0:1]
	s_cmp_lg_u32 s4, 0
	v_mov_b32_e32 v1, v2
	s_cbranch_scc1 .LBB29_97
.LBB29_98:
	s_cbranch_execnz .LBB29_101
.LBB29_99:
	s_waitcnt lgkmcnt(0)
	v_mul_hi_u32 v0, s25, v8
	v_add_u32_e32 v0, v8, v0
	v_lshrrev_b32_e32 v1, s26, v0
	v_mul_lo_u32 v0, v1, s24
	v_sub_u32_e32 v0, v8, v0
	v_mul_lo_u32 v2, v0, s21
	s_andn2_b64 vcc, exec, s[42:43]
	v_mul_lo_u32 v0, v0, s20
	s_cbranch_vccnz .LBB29_101
; %bb.100:
	v_mul_hi_u32 v3, s40, v1
	v_add_u32_e32 v3, v1, v3
	v_lshrrev_b32_e32 v3, s41, v3
	v_mul_lo_u32 v3, v3, s27
	v_sub_u32_e32 v3, v1, v3
	v_mad_u64_u32 v[0:1], s[0:1], v3, s22, v[0:1]
	v_mad_u64_u32 v[2:3], s[0:1], v3, s23, v[2:3]
.LBB29_101:
	s_waitcnt lgkmcnt(0)
	global_load_dword v1, v2, s[18:19]
	v_add_u32_e32 v8, 0x80, v8
	s_waitcnt vmcnt(0)
	v_not_b32_e32 v1, v1
	global_store_dword v0, v1, s[16:17]
	s_or_b64 exec, exec, s[48:49]
	v_cmp_gt_i32_e32 vcc, s55, v8
	s_and_saveexec_b64 s[48:49], vcc
	s_cbranch_execnz .LBB29_86
.LBB29_102:
	s_or_b64 exec, exec, s[48:49]
	v_cmp_gt_i32_e32 vcc, s55, v8
	s_and_saveexec_b64 s[48:49], vcc
	s_cbranch_execnz .LBB29_113
.LBB29_103:
	s_or_b64 exec, exec, s[48:49]
                                        ; implicit-def: $vgpr16
                                        ; implicit-def: $vgpr8
	s_andn2_saveexec_b64 s[0:1], s[38:39]
	s_cbranch_execnz .LBB29_9
.LBB29_104:
	s_endpgm
.LBB29_105:
	v_mov_b32_e32 v0, 0
	s_mov_b32 s57, 0
	v_mov_b32_e32 v1, v0
                                        ; implicit-def: $vgpr2
	v_mov_b32_e32 v4, v8
.LBB29_106:
	s_and_b32 s4, s58, 3
	s_cmp_eq_u32 s4, 0
	s_cbranch_scc1 .LBB29_109
; %bb.107:
	s_lshl_b32 s0, s57, 3
	s_add_u32 s0, s34, s0
	s_addc_u32 s1, s35, 0
	s_add_u32 s0, s0, 0xc4
	s_addc_u32 s1, s1, 0
	s_mul_i32 s2, s57, 12
	s_add_u32 s2, s34, s2
	s_addc_u32 s3, s35, 0
.LBB29_108:                             ; =>This Inner Loop Header: Depth=1
	s_load_dwordx2 s[6:7], s[2:3], 0x4
	s_load_dword s5, s[2:3], 0xc
	s_load_dwordx2 s[8:9], s[0:1], 0x0
	v_mov_b32_e32 v2, v1
	s_add_u32 s2, s2, 12
	s_waitcnt lgkmcnt(0)
	v_mul_hi_u32 v1, s7, v4
	v_add_u32_e32 v1, v4, v1
	v_lshrrev_b32_e32 v1, s5, v1
	s_addc_u32 s3, s3, 0
	v_mul_lo_u32 v3, v1, s6
	s_add_u32 s0, s0, 8
	v_sub_u32_e32 v5, v4, v3
	s_addc_u32 s1, s1, 0
	s_add_i32 s4, s4, -1
	v_mov_b32_e32 v4, v1
	v_mad_u64_u32 v[2:3], s[6:7], v5, s9, v[2:3]
	v_mad_u64_u32 v[0:1], s[6:7], v5, s8, v[0:1]
	s_cmp_lg_u32 s4, 0
	v_mov_b32_e32 v1, v2
	s_cbranch_scc1 .LBB29_108
.LBB29_109:
	s_cbranch_execnz .LBB29_112
.LBB29_110:
	s_waitcnt lgkmcnt(0)
	v_mul_hi_u32 v0, s25, v8
	v_add_u32_e32 v0, v8, v0
	v_lshrrev_b32_e32 v1, s26, v0
	v_mul_lo_u32 v0, v1, s24
	v_sub_u32_e32 v0, v8, v0
	v_mul_lo_u32 v2, v0, s21
	s_andn2_b64 vcc, exec, s[42:43]
	v_mul_lo_u32 v0, v0, s20
	s_cbranch_vccnz .LBB29_112
; %bb.111:
	v_mul_hi_u32 v3, s40, v1
	v_add_u32_e32 v3, v1, v3
	v_lshrrev_b32_e32 v3, s41, v3
	v_mul_lo_u32 v3, v3, s27
	v_sub_u32_e32 v3, v1, v3
	v_mad_u64_u32 v[0:1], s[0:1], v3, s22, v[0:1]
	v_mad_u64_u32 v[2:3], s[0:1], v3, s23, v[2:3]
.LBB29_112:
	s_waitcnt lgkmcnt(0)
	global_load_dword v1, v2, s[18:19]
	v_add_u32_e32 v8, 0x80, v8
	s_waitcnt vmcnt(0)
	v_not_b32_e32 v1, v1
	global_store_dword v0, v1, s[16:17]
	s_or_b64 exec, exec, s[48:49]
	v_cmp_gt_i32_e32 vcc, s55, v8
	s_and_saveexec_b64 s[48:49], vcc
	s_cbranch_execz .LBB29_103
.LBB29_113:
	s_andn2_b64 vcc, exec, s[36:37]
	s_cbranch_vccnz .LBB29_119
; %bb.114:
	s_andn2_b64 vcc, exec, s[46:47]
	s_cbranch_vccnz .LBB29_120
; %bb.115:
	s_add_i32 s56, s56, 1
	s_cmp_eq_u32 s54, 2
	s_cbranch_scc1 .LBB29_121
; %bb.116:
	s_and_b32 s50, s56, 28
	s_mov_b32 s51, 0
	v_mov_b32_e32 v0, 0
	v_mov_b32_e32 v2, 0
	s_mov_b64 s[46:47], s[34:35]
	v_mov_b32_e32 v4, v8
.LBB29_117:                             ; =>This Inner Loop Header: Depth=1
	s_load_dwordx8 s[8:15], s[46:47], 0x4
	s_load_dwordx4 s[28:31], s[46:47], 0x24
	s_load_dwordx8 s[0:7], s[44:45], 0x0
	s_add_u32 s46, s46, 48
	s_addc_u32 s47, s47, 0
	s_waitcnt lgkmcnt(0)
	v_mul_hi_u32 v1, s9, v4
	v_add_u32_e32 v1, v4, v1
	v_lshrrev_b32_e32 v1, s10, v1
	v_mul_lo_u32 v3, v1, s8
	v_mul_hi_u32 v5, s12, v1
	v_sub_u32_e32 v3, v4, v3
	v_add_u32_e32 v4, v1, v5
	v_lshrrev_b32_e32 v4, s13, v4
	v_mul_lo_u32 v6, v4, s11
	v_mul_hi_u32 v7, s15, v4
	v_sub_u32_e32 v1, v1, v6
	v_add_u32_e32 v6, v4, v7
	v_mul_lo_u32 v5, v3, s1
	v_mul_lo_u32 v3, v3, s0
	v_mul_lo_u32 v7, v1, s3
	v_mul_lo_u32 v1, v1, s2
	v_lshrrev_b32_e32 v6, s28, v6
	v_add3_u32 v0, v3, v0, v1
	v_mul_hi_u32 v3, s30, v6
	v_add3_u32 v1, v5, v2, v7
	v_mul_lo_u32 v2, v6, s14
	v_add_u32_e32 v3, v6, v3
	v_sub_u32_e32 v2, v4, v2
	v_lshrrev_b32_e32 v4, s31, v3
	s_add_i32 s51, s51, 4
	v_mul_lo_u32 v3, v4, s29
	s_add_u32 s44, s44, 32
	v_sub_u32_e32 v3, v6, v3
	s_addc_u32 s45, s45, 0
	v_mul_lo_u32 v5, v2, s4
	v_mul_lo_u32 v2, v2, s5
	;; [unrolled: 1-line block ×4, first 2 shown]
	s_cmp_eq_u32 s50, s51
	v_add3_u32 v2, v2, v1, v3
	v_add3_u32 v0, v5, v0, v6
	s_cbranch_scc0 .LBB29_117
; %bb.118:
	v_mov_b32_e32 v1, v2
	s_branch .LBB29_122
.LBB29_119:
                                        ; implicit-def: $vgpr2
                                        ; implicit-def: $vgpr0
	s_branch .LBB29_126
.LBB29_120:
	v_mov_b32_e32 v2, 0
	v_mov_b32_e32 v0, 0
	s_branch .LBB29_125
.LBB29_121:
	v_mov_b32_e32 v0, 0
	s_mov_b32 s50, 0
	v_mov_b32_e32 v1, v0
                                        ; implicit-def: $vgpr2
	v_mov_b32_e32 v4, v8
.LBB29_122:
	s_and_b32 s4, s56, 3
	s_cmp_eq_u32 s4, 0
	s_cbranch_scc1 .LBB29_125
; %bb.123:
	s_lshl_b32 s0, s50, 3
	s_add_u32 s0, s34, s0
	s_addc_u32 s1, s35, 0
	s_add_u32 s0, s0, 0xc4
	s_addc_u32 s1, s1, 0
	s_mul_i32 s2, s50, 12
	s_add_u32 s2, s34, s2
	s_addc_u32 s3, s35, 0
.LBB29_124:                             ; =>This Inner Loop Header: Depth=1
	s_load_dwordx2 s[6:7], s[2:3], 0x4
	s_load_dword s5, s[2:3], 0xc
	s_load_dwordx2 s[8:9], s[0:1], 0x0
	v_mov_b32_e32 v2, v1
	s_add_u32 s2, s2, 12
	s_waitcnt lgkmcnt(0)
	v_mul_hi_u32 v1, s7, v4
	v_add_u32_e32 v1, v4, v1
	v_lshrrev_b32_e32 v1, s5, v1
	s_addc_u32 s3, s3, 0
	v_mul_lo_u32 v3, v1, s6
	s_add_u32 s0, s0, 8
	v_sub_u32_e32 v5, v4, v3
	s_addc_u32 s1, s1, 0
	s_add_i32 s4, s4, -1
	v_mov_b32_e32 v4, v1
	v_mad_u64_u32 v[2:3], s[6:7], v5, s9, v[2:3]
	v_mad_u64_u32 v[0:1], s[6:7], v5, s8, v[0:1]
	s_cmp_lg_u32 s4, 0
	v_mov_b32_e32 v1, v2
	s_cbranch_scc1 .LBB29_124
.LBB29_125:
	s_cbranch_execnz .LBB29_128
.LBB29_126:
	s_waitcnt lgkmcnt(0)
	v_mul_hi_u32 v0, s25, v8
	v_add_u32_e32 v0, v8, v0
	v_lshrrev_b32_e32 v1, s26, v0
	v_mul_lo_u32 v0, v1, s24
	v_sub_u32_e32 v0, v8, v0
	v_mul_lo_u32 v2, v0, s21
	s_andn2_b64 vcc, exec, s[42:43]
	v_mul_lo_u32 v0, v0, s20
	s_cbranch_vccnz .LBB29_128
; %bb.127:
	v_mul_hi_u32 v3, s40, v1
	v_add_u32_e32 v3, v1, v3
	v_lshrrev_b32_e32 v3, s41, v3
	v_mul_lo_u32 v3, v3, s27
	v_sub_u32_e32 v3, v1, v3
	v_mad_u64_u32 v[0:1], s[0:1], v3, s22, v[0:1]
	v_mad_u64_u32 v[2:3], s[0:1], v3, s23, v[2:3]
.LBB29_128:
	s_waitcnt lgkmcnt(0)
	global_load_dword v1, v2, s[18:19]
	s_waitcnt vmcnt(0)
	v_not_b32_e32 v1, v1
	global_store_dword v0, v1, s[16:17]
	s_or_b64 exec, exec, s[48:49]
                                        ; implicit-def: $vgpr16
                                        ; implicit-def: $vgpr8
	s_andn2_saveexec_b64 s[0:1], s[38:39]
	s_cbranch_execz .LBB29_104
	s_branch .LBB29_9
	.section	.rodata,"a",@progbits
	.p2align	6, 0x0
	.amdhsa_kernel _ZN2at6native32elementwise_kernel_manual_unrollILi128ELi4EZNS0_22gpu_kernel_impl_nocastIZZZNS0_23bitwise_not_kernel_cudaERNS_18TensorIteratorBaseEENKUlvE_clEvENKUlvE1_clEvEUliE_EEvS4_RKT_EUlibE_EEviT1_
		.amdhsa_group_segment_fixed_size 0
		.amdhsa_private_segment_fixed_size 0
		.amdhsa_kernarg_size 360
		.amdhsa_user_sgpr_count 2
		.amdhsa_user_sgpr_dispatch_ptr 0
		.amdhsa_user_sgpr_queue_ptr 0
		.amdhsa_user_sgpr_kernarg_segment_ptr 1
		.amdhsa_user_sgpr_dispatch_id 0
		.amdhsa_user_sgpr_kernarg_preload_length 0
		.amdhsa_user_sgpr_kernarg_preload_offset 0
		.amdhsa_user_sgpr_private_segment_size 0
		.amdhsa_uses_dynamic_stack 0
		.amdhsa_enable_private_segment 0
		.amdhsa_system_sgpr_workgroup_id_x 1
		.amdhsa_system_sgpr_workgroup_id_y 0
		.amdhsa_system_sgpr_workgroup_id_z 0
		.amdhsa_system_sgpr_workgroup_info 0
		.amdhsa_system_vgpr_workitem_id 0
		.amdhsa_next_free_vgpr 17
		.amdhsa_next_free_sgpr 60
		.amdhsa_accum_offset 20
		.amdhsa_reserve_vcc 1
		.amdhsa_float_round_mode_32 0
		.amdhsa_float_round_mode_16_64 0
		.amdhsa_float_denorm_mode_32 3
		.amdhsa_float_denorm_mode_16_64 3
		.amdhsa_dx10_clamp 1
		.amdhsa_ieee_mode 1
		.amdhsa_fp16_overflow 0
		.amdhsa_tg_split 0
		.amdhsa_exception_fp_ieee_invalid_op 0
		.amdhsa_exception_fp_denorm_src 0
		.amdhsa_exception_fp_ieee_div_zero 0
		.amdhsa_exception_fp_ieee_overflow 0
		.amdhsa_exception_fp_ieee_underflow 0
		.amdhsa_exception_fp_ieee_inexact 0
		.amdhsa_exception_int_div_zero 0
	.end_amdhsa_kernel
	.section	.text._ZN2at6native32elementwise_kernel_manual_unrollILi128ELi4EZNS0_22gpu_kernel_impl_nocastIZZZNS0_23bitwise_not_kernel_cudaERNS_18TensorIteratorBaseEENKUlvE_clEvENKUlvE1_clEvEUliE_EEvS4_RKT_EUlibE_EEviT1_,"axG",@progbits,_ZN2at6native32elementwise_kernel_manual_unrollILi128ELi4EZNS0_22gpu_kernel_impl_nocastIZZZNS0_23bitwise_not_kernel_cudaERNS_18TensorIteratorBaseEENKUlvE_clEvENKUlvE1_clEvEUliE_EEvS4_RKT_EUlibE_EEviT1_,comdat
.Lfunc_end29:
	.size	_ZN2at6native32elementwise_kernel_manual_unrollILi128ELi4EZNS0_22gpu_kernel_impl_nocastIZZZNS0_23bitwise_not_kernel_cudaERNS_18TensorIteratorBaseEENKUlvE_clEvENKUlvE1_clEvEUliE_EEvS4_RKT_EUlibE_EEviT1_, .Lfunc_end29-_ZN2at6native32elementwise_kernel_manual_unrollILi128ELi4EZNS0_22gpu_kernel_impl_nocastIZZZNS0_23bitwise_not_kernel_cudaERNS_18TensorIteratorBaseEENKUlvE_clEvENKUlvE1_clEvEUliE_EEvS4_RKT_EUlibE_EEviT1_
                                        ; -- End function
	.set _ZN2at6native32elementwise_kernel_manual_unrollILi128ELi4EZNS0_22gpu_kernel_impl_nocastIZZZNS0_23bitwise_not_kernel_cudaERNS_18TensorIteratorBaseEENKUlvE_clEvENKUlvE1_clEvEUliE_EEvS4_RKT_EUlibE_EEviT1_.num_vgpr, 17
	.set _ZN2at6native32elementwise_kernel_manual_unrollILi128ELi4EZNS0_22gpu_kernel_impl_nocastIZZZNS0_23bitwise_not_kernel_cudaERNS_18TensorIteratorBaseEENKUlvE_clEvENKUlvE1_clEvEUliE_EEvS4_RKT_EUlibE_EEviT1_.num_agpr, 0
	.set _ZN2at6native32elementwise_kernel_manual_unrollILi128ELi4EZNS0_22gpu_kernel_impl_nocastIZZZNS0_23bitwise_not_kernel_cudaERNS_18TensorIteratorBaseEENKUlvE_clEvENKUlvE1_clEvEUliE_EEvS4_RKT_EUlibE_EEviT1_.numbered_sgpr, 60
	.set _ZN2at6native32elementwise_kernel_manual_unrollILi128ELi4EZNS0_22gpu_kernel_impl_nocastIZZZNS0_23bitwise_not_kernel_cudaERNS_18TensorIteratorBaseEENKUlvE_clEvENKUlvE1_clEvEUliE_EEvS4_RKT_EUlibE_EEviT1_.num_named_barrier, 0
	.set _ZN2at6native32elementwise_kernel_manual_unrollILi128ELi4EZNS0_22gpu_kernel_impl_nocastIZZZNS0_23bitwise_not_kernel_cudaERNS_18TensorIteratorBaseEENKUlvE_clEvENKUlvE1_clEvEUliE_EEvS4_RKT_EUlibE_EEviT1_.private_seg_size, 0
	.set _ZN2at6native32elementwise_kernel_manual_unrollILi128ELi4EZNS0_22gpu_kernel_impl_nocastIZZZNS0_23bitwise_not_kernel_cudaERNS_18TensorIteratorBaseEENKUlvE_clEvENKUlvE1_clEvEUliE_EEvS4_RKT_EUlibE_EEviT1_.uses_vcc, 1
	.set _ZN2at6native32elementwise_kernel_manual_unrollILi128ELi4EZNS0_22gpu_kernel_impl_nocastIZZZNS0_23bitwise_not_kernel_cudaERNS_18TensorIteratorBaseEENKUlvE_clEvENKUlvE1_clEvEUliE_EEvS4_RKT_EUlibE_EEviT1_.uses_flat_scratch, 0
	.set _ZN2at6native32elementwise_kernel_manual_unrollILi128ELi4EZNS0_22gpu_kernel_impl_nocastIZZZNS0_23bitwise_not_kernel_cudaERNS_18TensorIteratorBaseEENKUlvE_clEvENKUlvE1_clEvEUliE_EEvS4_RKT_EUlibE_EEviT1_.has_dyn_sized_stack, 0
	.set _ZN2at6native32elementwise_kernel_manual_unrollILi128ELi4EZNS0_22gpu_kernel_impl_nocastIZZZNS0_23bitwise_not_kernel_cudaERNS_18TensorIteratorBaseEENKUlvE_clEvENKUlvE1_clEvEUliE_EEvS4_RKT_EUlibE_EEviT1_.has_recursion, 0
	.set _ZN2at6native32elementwise_kernel_manual_unrollILi128ELi4EZNS0_22gpu_kernel_impl_nocastIZZZNS0_23bitwise_not_kernel_cudaERNS_18TensorIteratorBaseEENKUlvE_clEvENKUlvE1_clEvEUliE_EEvS4_RKT_EUlibE_EEviT1_.has_indirect_call, 0
	.section	.AMDGPU.csdata,"",@progbits
; Kernel info:
; codeLenInByte = 5808
; TotalNumSgprs: 66
; NumVgprs: 17
; NumAgprs: 0
; TotalNumVgprs: 17
; ScratchSize: 0
; MemoryBound: 0
; FloatMode: 240
; IeeeMode: 1
; LDSByteSize: 0 bytes/workgroup (compile time only)
; SGPRBlocks: 8
; VGPRBlocks: 2
; NumSGPRsForWavesPerEU: 66
; NumVGPRsForWavesPerEU: 17
; AccumOffset: 20
; Occupancy: 8
; WaveLimiterHint : 1
; COMPUTE_PGM_RSRC2:SCRATCH_EN: 0
; COMPUTE_PGM_RSRC2:USER_SGPR: 2
; COMPUTE_PGM_RSRC2:TRAP_HANDLER: 0
; COMPUTE_PGM_RSRC2:TGID_X_EN: 1
; COMPUTE_PGM_RSRC2:TGID_Y_EN: 0
; COMPUTE_PGM_RSRC2:TGID_Z_EN: 0
; COMPUTE_PGM_RSRC2:TIDIG_COMP_CNT: 0
; COMPUTE_PGM_RSRC3_GFX90A:ACCUM_OFFSET: 4
; COMPUTE_PGM_RSRC3_GFX90A:TG_SPLIT: 0
	.section	.text._ZN2at6native32elementwise_kernel_manual_unrollILi128ELi4EZNS0_15gpu_kernel_implIZZZNS0_23bitwise_not_kernel_cudaERNS_18TensorIteratorBaseEENKUlvE_clEvENKUlvE1_clEvEUliE_EEvS4_RKT_EUlibE_EEviT1_,"axG",@progbits,_ZN2at6native32elementwise_kernel_manual_unrollILi128ELi4EZNS0_15gpu_kernel_implIZZZNS0_23bitwise_not_kernel_cudaERNS_18TensorIteratorBaseEENKUlvE_clEvENKUlvE1_clEvEUliE_EEvS4_RKT_EUlibE_EEviT1_,comdat
	.globl	_ZN2at6native32elementwise_kernel_manual_unrollILi128ELi4EZNS0_15gpu_kernel_implIZZZNS0_23bitwise_not_kernel_cudaERNS_18TensorIteratorBaseEENKUlvE_clEvENKUlvE1_clEvEUliE_EEvS4_RKT_EUlibE_EEviT1_ ; -- Begin function _ZN2at6native32elementwise_kernel_manual_unrollILi128ELi4EZNS0_15gpu_kernel_implIZZZNS0_23bitwise_not_kernel_cudaERNS_18TensorIteratorBaseEENKUlvE_clEvENKUlvE1_clEvEUliE_EEvS4_RKT_EUlibE_EEviT1_
	.p2align	8
	.type	_ZN2at6native32elementwise_kernel_manual_unrollILi128ELi4EZNS0_15gpu_kernel_implIZZZNS0_23bitwise_not_kernel_cudaERNS_18TensorIteratorBaseEENKUlvE_clEvENKUlvE1_clEvEUliE_EEvS4_RKT_EUlibE_EEviT1_,@function
_ZN2at6native32elementwise_kernel_manual_unrollILi128ELi4EZNS0_15gpu_kernel_implIZZZNS0_23bitwise_not_kernel_cudaERNS_18TensorIteratorBaseEENKUlvE_clEvENKUlvE1_clEvEUliE_EEvS4_RKT_EUlibE_EEviT1_: ; @_ZN2at6native32elementwise_kernel_manual_unrollILi128ELi4EZNS0_15gpu_kernel_implIZZZNS0_23bitwise_not_kernel_cudaERNS_18TensorIteratorBaseEENKUlvE_clEvENKUlvE1_clEvEUliE_EEvS4_RKT_EUlibE_EEviT1_
; %bb.0:
	v_mov_b32_e32 v1, 0
	global_load_ushort v1, v1, s[0:1] offset:33
	s_load_dwordx4 s[4:7], s[0:1], 0x8
	s_load_dwordx2 s[8:9], s[0:1], 0x18
	s_load_dword s38, s[0:1], 0x0
	v_lshl_or_b32 v4, s2, 9, v0
	v_or_b32_e32 v0, 0x180, v4
	s_mov_b64 s[10:11], 0
	s_mov_b64 s[12:13], 0
	s_waitcnt lgkmcnt(0)
	v_cmp_le_i32_e32 vcc, s38, v0
	s_waitcnt vmcnt(0)
	v_readfirstlane_b32 s33, v1
	s_and_b32 s0, 0xffff, s33
	s_lshr_b32 s42, s0, 8
	s_and_saveexec_b64 s[0:1], vcc
	s_xor_b64 s[2:3], exec, s[0:1]
	s_cbranch_execz .LBB30_1011
; %bb.1:
	v_cmp_gt_i32_e32 vcc, s38, v4
	s_mov_b64 s[18:19], -1
	s_mov_b64 s[20:21], 0
	s_mov_b64 s[14:15], 0
	s_and_saveexec_b64 s[16:17], vcc
	s_cbranch_execz .LBB30_248
; %bb.2:
	v_mul_lo_u32 v0, v4, s9
	v_ashrrev_i32_e32 v1, 31, v0
	s_and_b32 s18, 0xffff, s42
	s_cmp_lt_i32 s18, 11
	v_lshl_add_u64 v[0:1], s[6:7], 0, v[0:1]
	s_cbranch_scc1 .LBB30_9
; %bb.3:
	s_cmp_gt_i32 s18, 25
	s_cbranch_scc0 .LBB30_18
; %bb.4:
	s_cmp_gt_i32 s18, 28
	s_cbranch_scc0 .LBB30_22
	;; [unrolled: 3-line block ×4, first 2 shown]
; %bb.7:
	s_cmp_eq_u32 s18, 46
	s_cbranch_scc0 .LBB30_28
; %bb.8:
	global_load_dword v2, v[0:1], off
	s_mov_b64 s[0:1], -1
	s_waitcnt vmcnt(0)
	v_lshlrev_b32_e32 v2, 16, v2
	v_cvt_i32_f32_e32 v5, v2
	s_branch .LBB30_30
.LBB30_9:
                                        ; implicit-def: $vgpr5
	s_mov_b64 s[0:1], 0
	s_cbranch_execnz .LBB30_199
.LBB30_10:
	s_andn2_b64 vcc, exec, s[0:1]
	s_cbranch_vccnz .LBB30_246
.LBB30_11:
	v_mul_lo_u32 v2, v4, s8
	v_ashrrev_i32_e32 v3, 31, v2
	s_and_b32 s24, s33, 0xff
	s_waitcnt vmcnt(0)
	v_not_b32_e32 v0, v5
	s_cmp_lt_i32 s24, 11
	v_lshl_add_u64 v[2:3], s[4:5], 0, v[2:3]
	s_cbranch_scc1 .LBB30_19
; %bb.12:
	s_and_b32 s25, 0xffff, s24
	s_cmp_gt_i32 s25, 25
	s_cbranch_scc0 .LBB30_23
; %bb.13:
	s_cmp_gt_i32 s25, 28
	s_cbranch_scc0 .LBB30_25
; %bb.14:
	;; [unrolled: 3-line block ×4, first 2 shown]
	s_mov_b64 s[18:19], 0
	s_mov_b64 s[0:1], -1
	s_cmp_eq_u32 s25, 46
	s_mov_b64 s[12:13], 0
	s_cbranch_scc0 .LBB30_34
; %bb.17:
	v_cvt_f32_i32_e32 v1, v0
	s_movk_i32 s0, 0x7fff
	s_mov_b64 s[12:13], -1
	v_bfe_u32 v6, v1, 16, 1
	v_add3_u32 v1, v1, v6, s0
	v_lshrrev_b32_e32 v1, 16, v1
	global_store_dword v[2:3], v1, off
	s_mov_b64 s[0:1], 0
	s_branch .LBB30_34
.LBB30_18:
	s_mov_b64 s[0:1], 0
                                        ; implicit-def: $vgpr5
	s_cbranch_execnz .LBB30_166
	s_branch .LBB30_198
.LBB30_19:
	s_mov_b64 s[0:1], 0
	s_mov_b64 s[12:13], 0
	s_cbranch_execnz .LBB30_103
.LBB30_20:
	s_andn2_b64 vcc, exec, s[12:13]
	s_cbranch_vccnz .LBB30_141
.LBB30_21:
	v_add_u32_e32 v4, 0x80, v4
	s_mov_b64 s[18:19], -1
	s_branch .LBB30_247
.LBB30_22:
	s_mov_b64 s[12:13], -1
	s_mov_b64 s[0:1], 0
                                        ; implicit-def: $vgpr5
	s_branch .LBB30_149
.LBB30_23:
	s_mov_b64 s[18:19], -1
	s_mov_b64 s[0:1], 0
	s_mov_b64 s[12:13], 0
	s_branch .LBB30_61
.LBB30_24:
	s_mov_b64 s[12:13], -1
	s_mov_b64 s[0:1], 0
                                        ; implicit-def: $vgpr5
	s_branch .LBB30_144
.LBB30_25:
	s_mov_b64 s[18:19], -1
	s_mov_b64 s[0:1], 0
	s_mov_b64 s[12:13], 0
	s_branch .LBB30_44
.LBB30_26:
	s_mov_b64 s[12:13], -1
	s_branch .LBB30_29
.LBB30_27:
	s_mov_b64 s[18:19], -1
	s_mov_b64 s[0:1], 0
	s_mov_b64 s[12:13], 0
	s_branch .LBB30_40
.LBB30_28:
	s_mov_b64 s[14:15], -1
.LBB30_29:
	s_mov_b64 s[0:1], 0
                                        ; implicit-def: $vgpr5
.LBB30_30:
	s_and_b64 vcc, exec, s[12:13]
	s_cbranch_vccz .LBB30_143
; %bb.31:
	s_cmp_eq_u32 s18, 44
	s_cbranch_scc0 .LBB30_142
; %bb.32:
	global_load_ubyte v2, v[0:1], off
	s_mov_b64 s[0:1], -1
	s_mov_b64 s[14:15], 0
	s_waitcnt vmcnt(0)
	v_lshlrev_b32_e32 v3, 23, v2
	v_cvt_i32_f32_e32 v3, v3
	v_cmp_ne_u32_e32 vcc, 0, v2
	s_nop 1
	v_cndmask_b32_e32 v5, 0, v3, vcc
	s_branch .LBB30_143
.LBB30_33:
	s_mov_b64 s[18:19], -1
	s_mov_b64 s[0:1], 0
	s_mov_b64 s[12:13], 0
.LBB30_34:
	s_and_b64 vcc, exec, s[18:19]
	s_cbranch_vccz .LBB30_39
; %bb.35:
	s_cmp_eq_u32 s25, 44
	s_mov_b64 s[0:1], -1
	s_cbranch_scc0 .LBB30_39
; %bb.36:
	v_cvt_f32_i32_e32 v1, v0
	s_movk_i32 s0, 0xff
	v_mov_b32_e32 v7, 0xff
	v_bfe_u32 v6, v1, 23, 8
	v_cmp_ne_u32_e32 vcc, s0, v6
	s_and_saveexec_b64 s[12:13], vcc
; %bb.37:
	s_mov_b32 s0, 0x3fffff
	v_lshrrev_b32_e32 v7, 23, v1
	v_and_b32_e32 v8, 0x400000, v1
	v_and_or_b32 v1, v1, s0, v6
	v_cmp_ne_u32_e32 vcc, 0, v8
	v_cmp_ne_u32_e64 s[0:1], 0, v1
	s_and_b64 s[0:1], vcc, s[0:1]
	s_nop 0
	v_cndmask_b32_e64 v1, 0, 1, s[0:1]
	v_add_u32_e32 v7, v7, v1
; %bb.38:
	s_or_b64 exec, exec, s[12:13]
	s_mov_b64 s[12:13], -1
	s_mov_b64 s[0:1], 0
	global_store_byte v[2:3], v7, off
.LBB30_39:
	s_mov_b64 s[18:19], 0
.LBB30_40:
	s_and_b64 vcc, exec, s[18:19]
	s_cbranch_vccz .LBB30_43
; %bb.41:
	s_cmp_eq_u32 s25, 29
	s_mov_b64 s[0:1], -1
	s_cbranch_scc0 .LBB30_43
; %bb.42:
	v_ashrrev_i32_e32 v1, 31, v0
	global_store_dwordx2 v[2:3], v[0:1], off
	s_mov_b64 s[12:13], -1
	s_mov_b64 s[0:1], 0
.LBB30_43:
	s_mov_b64 s[18:19], 0
.LBB30_44:
	s_and_b64 vcc, exec, s[18:19]
	s_cbranch_vccz .LBB30_60
; %bb.45:
	s_cmp_lt_i32 s25, 27
	s_mov_b64 s[12:13], -1
	s_cbranch_scc1 .LBB30_51
; %bb.46:
	s_cmp_gt_i32 s25, 27
	s_cbranch_scc0 .LBB30_48
; %bb.47:
	s_mov_b64 s[12:13], 0
	global_store_dword v[2:3], v0, off
.LBB30_48:
	s_andn2_b64 vcc, exec, s[12:13]
	s_cbranch_vccnz .LBB30_50
; %bb.49:
	global_store_short v[2:3], v0, off
.LBB30_50:
	s_mov_b64 s[12:13], 0
.LBB30_51:
	s_andn2_b64 vcc, exec, s[12:13]
	s_cbranch_vccnz .LBB30_59
; %bb.52:
	v_cvt_f32_i32_e32 v1, v0
	s_mov_b32 s12, 0x43800000
	v_mov_b32_e32 v7, 0x80
	v_and_b32_e32 v6, 0x7fffffff, v1
	v_cmp_gt_u32_e32 vcc, s12, v6
	s_and_saveexec_b64 s[12:13], vcc
	s_cbranch_execz .LBB30_58
; %bb.53:
	s_mov_b32 s18, 0x3bffffff
	v_cmp_lt_u32_e32 vcc, s18, v6
	s_mov_b64 s[18:19], 0
                                        ; implicit-def: $vgpr6
	s_and_saveexec_b64 s[22:23], vcc
	s_xor_b64 s[22:23], exec, s[22:23]
	s_cbranch_execz .LBB30_275
; %bb.54:
	v_bfe_u32 v6, v1, 20, 1
	s_mov_b32 s26, 0x487ffff
	v_add3_u32 v6, v1, v6, s26
	s_mov_b64 s[18:19], exec
	v_lshrrev_b32_e32 v6, 20, v6
	s_andn2_saveexec_b64 s[22:23], s[22:23]
	s_cbranch_execnz .LBB30_276
.LBB30_55:
	s_or_b64 exec, exec, s[22:23]
	v_mov_b32_e32 v7, 0
	s_and_saveexec_b64 s[22:23], s[18:19]
.LBB30_56:
	v_lshrrev_b32_e32 v1, 24, v1
	s_movk_i32 s18, 0x80
	v_and_or_b32 v7, v1, s18, v6
.LBB30_57:
	s_or_b64 exec, exec, s[22:23]
.LBB30_58:
	s_or_b64 exec, exec, s[12:13]
	global_store_byte v[2:3], v7, off
.LBB30_59:
	s_mov_b64 s[12:13], -1
.LBB30_60:
	s_mov_b64 s[18:19], 0
.LBB30_61:
	s_and_b64 vcc, exec, s[18:19]
	s_cbranch_vccz .LBB30_102
; %bb.62:
	s_cmp_gt_i32 s25, 22
	s_mov_b64 s[18:19], -1
	s_cbranch_scc0 .LBB30_94
; %bb.63:
	s_cmp_lt_i32 s25, 24
	s_mov_b64 s[12:13], -1
	s_cbranch_scc1 .LBB30_83
; %bb.64:
	s_cmp_gt_i32 s25, 24
	s_cbranch_scc0 .LBB30_72
; %bb.65:
	v_cvt_f32_i32_e32 v1, v0
	s_mov_b32 s12, 0x47800000
	v_mov_b32_e32 v7, 0x80
	v_and_b32_e32 v6, 0x7fffffff, v1
	v_cmp_gt_u32_e32 vcc, s12, v6
	s_and_saveexec_b64 s[12:13], vcc
	s_cbranch_execz .LBB30_71
; %bb.66:
	s_mov_b32 s18, 0x37ffffff
	v_cmp_lt_u32_e32 vcc, s18, v6
	s_mov_b64 s[18:19], 0
                                        ; implicit-def: $vgpr6
	s_and_saveexec_b64 s[22:23], vcc
	s_xor_b64 s[22:23], exec, s[22:23]
	s_cbranch_execz .LBB30_279
; %bb.67:
	v_bfe_u32 v6, v1, 21, 1
	s_mov_b32 s26, 0x88fffff
	v_add3_u32 v6, v1, v6, s26
	s_mov_b64 s[18:19], exec
	v_lshrrev_b32_e32 v6, 21, v6
	s_andn2_saveexec_b64 s[22:23], s[22:23]
	s_cbranch_execnz .LBB30_280
.LBB30_68:
	s_or_b64 exec, exec, s[22:23]
	v_mov_b32_e32 v7, 0
	s_and_saveexec_b64 s[22:23], s[18:19]
.LBB30_69:
	v_lshrrev_b32_e32 v1, 24, v1
	s_movk_i32 s18, 0x80
	v_and_or_b32 v7, v1, s18, v6
.LBB30_70:
	s_or_b64 exec, exec, s[22:23]
.LBB30_71:
	s_or_b64 exec, exec, s[12:13]
	s_mov_b64 s[12:13], 0
	global_store_byte v[2:3], v7, off
.LBB30_72:
	s_and_b64 vcc, exec, s[12:13]
	s_cbranch_vccz .LBB30_82
; %bb.73:
	v_cvt_f32_i32_e32 v1, v0
	s_mov_b32 s12, 0x43f00000
                                        ; implicit-def: $vgpr6
	v_and_b32_e32 v7, 0x7fffffff, v1
	v_cmp_gt_u32_e32 vcc, s12, v7
	s_and_saveexec_b64 s[12:13], vcc
	s_xor_b64 s[12:13], exec, s[12:13]
	s_cbranch_execz .LBB30_79
; %bb.74:
	s_mov_b32 s18, 0x3c7fffff
	v_cmp_lt_u32_e32 vcc, s18, v7
                                        ; implicit-def: $vgpr6
	s_and_saveexec_b64 s[18:19], vcc
	s_xor_b64 s[18:19], exec, s[18:19]
; %bb.75:
	v_bfe_u32 v6, v1, 20, 1
	s_mov_b32 s22, 0x407ffff
	v_add3_u32 v6, v1, v6, s22
	v_lshrrev_b32_e32 v7, 20, v6
	v_and_b32_e32 v6, 0xff00000, v6
	s_mov_b32 s22, 0x7f00000
	v_mov_b32_e32 v8, 0x7e
	v_cmp_ne_u32_e32 vcc, s22, v6
	s_nop 1
	v_cndmask_b32_e32 v6, v8, v7, vcc
; %bb.76:
	s_andn2_saveexec_b64 s[18:19], s[18:19]
; %bb.77:
	s_mov_b32 s22, 0x46800000
	v_add_f32_e64 v6, |v1|, s22
; %bb.78:
	s_or_b64 exec, exec, s[18:19]
                                        ; implicit-def: $vgpr7
.LBB30_79:
	s_andn2_saveexec_b64 s[12:13], s[12:13]
; %bb.80:
	s_mov_b32 s18, 0x7f800000
	v_mov_b32_e32 v6, 0x7e
	v_mov_b32_e32 v8, 0x7f
	v_cmp_lt_u32_e32 vcc, s18, v7
	s_nop 1
	v_cndmask_b32_e32 v6, v6, v8, vcc
; %bb.81:
	s_or_b64 exec, exec, s[12:13]
	v_lshrrev_b32_e32 v1, 24, v1
	s_movk_i32 s12, 0x80
	v_and_or_b32 v1, v1, s12, v6
	global_store_byte v[2:3], v1, off
.LBB30_82:
	s_mov_b64 s[12:13], 0
.LBB30_83:
	s_andn2_b64 vcc, exec, s[12:13]
	s_cbranch_vccnz .LBB30_93
; %bb.84:
	v_cvt_f32_i32_e32 v1, v0
	s_mov_b32 s12, 0x47800000
                                        ; implicit-def: $vgpr6
	v_and_b32_e32 v7, 0x7fffffff, v1
	v_cmp_gt_u32_e32 vcc, s12, v7
	s_and_saveexec_b64 s[12:13], vcc
	s_xor_b64 s[12:13], exec, s[12:13]
	s_cbranch_execz .LBB30_90
; %bb.85:
	s_mov_b32 s18, 0x387fffff
	v_cmp_lt_u32_e32 vcc, s18, v7
                                        ; implicit-def: $vgpr6
	s_and_saveexec_b64 s[18:19], vcc
	s_xor_b64 s[18:19], exec, s[18:19]
; %bb.86:
	v_bfe_u32 v6, v1, 21, 1
	s_mov_b32 s22, 0x80fffff
	v_add3_u32 v6, v1, v6, s22
	v_lshrrev_b32_e32 v6, 21, v6
; %bb.87:
	s_andn2_saveexec_b64 s[18:19], s[18:19]
; %bb.88:
	s_mov_b32 s22, 0x43000000
	v_add_f32_e64 v6, |v1|, s22
; %bb.89:
	s_or_b64 exec, exec, s[18:19]
                                        ; implicit-def: $vgpr7
.LBB30_90:
	s_andn2_saveexec_b64 s[12:13], s[12:13]
; %bb.91:
	s_mov_b32 s18, 0x7f800000
	v_mov_b32_e32 v6, 0x7c
	v_mov_b32_e32 v8, 0x7f
	v_cmp_lt_u32_e32 vcc, s18, v7
	s_nop 1
	v_cndmask_b32_e32 v6, v6, v8, vcc
; %bb.92:
	s_or_b64 exec, exec, s[12:13]
	v_lshrrev_b32_e32 v1, 24, v1
	s_movk_i32 s12, 0x80
	v_and_or_b32 v1, v1, s12, v6
	global_store_byte v[2:3], v1, off
.LBB30_93:
	s_mov_b64 s[18:19], 0
	s_mov_b64 s[12:13], -1
.LBB30_94:
	s_andn2_b64 vcc, exec, s[18:19]
	s_cbranch_vccnz .LBB30_102
; %bb.95:
	s_cmp_gt_i32 s25, 14
	s_mov_b64 s[18:19], -1
	s_cbranch_scc0 .LBB30_99
; %bb.96:
	s_cmp_eq_u32 s25, 15
	s_mov_b64 s[0:1], -1
	s_cbranch_scc0 .LBB30_98
; %bb.97:
	v_cvt_f32_i32_e32 v1, v0
	s_movk_i32 s0, 0x7fff
	s_mov_b64 s[12:13], -1
	v_bfe_u32 v6, v1, 16, 1
	v_add3_u32 v1, v1, v6, s0
	global_store_short_d16_hi v[2:3], v1, off
	s_mov_b64 s[0:1], 0
.LBB30_98:
	s_mov_b64 s[18:19], 0
.LBB30_99:
	s_and_b64 vcc, exec, s[18:19]
	s_cbranch_vccz .LBB30_102
; %bb.100:
	s_cmp_eq_u32 s25, 11
	s_mov_b64 s[0:1], -1
	s_cbranch_scc0 .LBB30_102
; %bb.101:
	v_cmp_ne_u32_e32 vcc, -1, v5
	s_mov_b64 s[12:13], -1
	s_mov_b64 s[0:1], 0
	v_cndmask_b32_e64 v1, 0, 1, vcc
	global_store_byte v[2:3], v1, off
.LBB30_102:
	s_branch .LBB30_20
.LBB30_103:
	s_and_b32 s18, 0xffff, s24
	s_cmp_lt_i32 s18, 5
	s_mov_b64 s[12:13], -1
	s_cbranch_scc1 .LBB30_124
; %bb.104:
	s_cmp_lt_i32 s18, 8
	s_cbranch_scc1 .LBB30_114
; %bb.105:
	s_cmp_lt_i32 s18, 9
	s_cbranch_scc1 .LBB30_111
; %bb.106:
	s_cmp_gt_i32 s18, 9
	s_cbranch_scc0 .LBB30_108
; %bb.107:
	v_mov_b32_e32 v8, 0
	v_cvt_f64_i32_e32 v[6:7], v0
	v_mov_b32_e32 v9, v8
	global_store_dwordx4 v[2:3], v[6:9], off
	s_mov_b64 s[12:13], 0
.LBB30_108:
	s_andn2_b64 vcc, exec, s[12:13]
	s_cbranch_vccnz .LBB30_110
; %bb.109:
	v_cvt_f32_i32_e32 v6, v0
	v_mov_b32_e32 v7, 0
	global_store_dwordx2 v[2:3], v[6:7], off
.LBB30_110:
	s_mov_b64 s[12:13], 0
.LBB30_111:
	s_andn2_b64 vcc, exec, s[12:13]
	s_cbranch_vccnz .LBB30_113
; %bb.112:
	v_cvt_f32_i32_e32 v1, v0
	v_cvt_f16_f32_e32 v1, v1
	global_store_dword v[2:3], v1, off
.LBB30_113:
	s_mov_b64 s[12:13], 0
.LBB30_114:
	s_andn2_b64 vcc, exec, s[12:13]
	s_cbranch_vccnz .LBB30_123
; %bb.115:
	s_cmp_lt_i32 s18, 6
	s_mov_b64 s[12:13], -1
	s_cbranch_scc1 .LBB30_121
; %bb.116:
	s_cmp_gt_i32 s18, 6
	s_cbranch_scc0 .LBB30_118
; %bb.117:
	v_cvt_f64_i32_e32 v[6:7], v0
	global_store_dwordx2 v[2:3], v[6:7], off
	s_mov_b64 s[12:13], 0
.LBB30_118:
	s_andn2_b64 vcc, exec, s[12:13]
	s_cbranch_vccnz .LBB30_120
; %bb.119:
	v_cvt_f32_i32_e32 v1, v0
	global_store_dword v[2:3], v1, off
.LBB30_120:
	s_mov_b64 s[12:13], 0
.LBB30_121:
	s_andn2_b64 vcc, exec, s[12:13]
	s_cbranch_vccnz .LBB30_123
; %bb.122:
	v_cvt_f32_i32_e32 v1, v0
	v_cvt_f16_f32_e32 v1, v1
	global_store_short v[2:3], v1, off
.LBB30_123:
	s_mov_b64 s[12:13], 0
.LBB30_124:
	s_andn2_b64 vcc, exec, s[12:13]
	s_cbranch_vccnz .LBB30_140
; %bb.125:
	s_cmp_lt_i32 s18, 2
	s_mov_b64 s[12:13], -1
	s_cbranch_scc1 .LBB30_135
; %bb.126:
	s_cmp_lt_i32 s18, 3
	s_cbranch_scc1 .LBB30_132
; %bb.127:
	s_cmp_gt_i32 s18, 3
	s_cbranch_scc0 .LBB30_129
; %bb.128:
	v_ashrrev_i32_e32 v1, 31, v0
	global_store_dwordx2 v[2:3], v[0:1], off
	s_mov_b64 s[12:13], 0
.LBB30_129:
	s_andn2_b64 vcc, exec, s[12:13]
	s_cbranch_vccnz .LBB30_131
; %bb.130:
	global_store_dword v[2:3], v0, off
.LBB30_131:
	s_mov_b64 s[12:13], 0
.LBB30_132:
	s_andn2_b64 vcc, exec, s[12:13]
	s_cbranch_vccnz .LBB30_134
; %bb.133:
	global_store_short v[2:3], v0, off
.LBB30_134:
	s_mov_b64 s[12:13], 0
.LBB30_135:
	s_andn2_b64 vcc, exec, s[12:13]
	s_cbranch_vccnz .LBB30_140
; %bb.136:
	s_cmp_gt_i32 s18, 0
	s_mov_b64 s[12:13], -1
	s_cbranch_scc0 .LBB30_138
; %bb.137:
	global_store_byte v[2:3], v0, off
	s_mov_b64 s[12:13], 0
.LBB30_138:
	s_andn2_b64 vcc, exec, s[12:13]
	s_cbranch_vccnz .LBB30_140
; %bb.139:
	global_store_byte v[2:3], v0, off
.LBB30_140:
	s_branch .LBB30_21
.LBB30_141:
	s_mov_b64 s[18:19], 0
                                        ; implicit-def: $vgpr4
	s_branch .LBB30_247
.LBB30_142:
	s_mov_b64 s[14:15], -1
                                        ; implicit-def: $vgpr5
.LBB30_143:
	s_mov_b64 s[12:13], 0
.LBB30_144:
	s_and_b64 vcc, exec, s[12:13]
	s_cbranch_vccz .LBB30_148
; %bb.145:
	s_cmp_eq_u32 s18, 29
	s_cbranch_scc0 .LBB30_147
; %bb.146:
	global_load_dword v5, v[0:1], off
	s_mov_b64 s[0:1], -1
	s_mov_b64 s[14:15], 0
	s_branch .LBB30_148
.LBB30_147:
	s_mov_b64 s[14:15], -1
                                        ; implicit-def: $vgpr5
.LBB30_148:
	s_mov_b64 s[12:13], 0
.LBB30_149:
	s_and_b64 vcc, exec, s[12:13]
	s_cbranch_vccz .LBB30_165
; %bb.150:
	s_cmp_lt_i32 s18, 27
	s_cbranch_scc1 .LBB30_153
; %bb.151:
	s_cmp_gt_i32 s18, 27
	s_cbranch_scc0 .LBB30_154
; %bb.152:
	global_load_dword v5, v[0:1], off
	s_mov_b64 s[0:1], 0
	s_branch .LBB30_155
.LBB30_153:
	s_mov_b64 s[0:1], -1
                                        ; implicit-def: $vgpr5
	s_branch .LBB30_158
.LBB30_154:
	s_mov_b64 s[0:1], -1
                                        ; implicit-def: $vgpr5
.LBB30_155:
	s_andn2_b64 vcc, exec, s[0:1]
	s_cbranch_vccnz .LBB30_157
; %bb.156:
	global_load_ushort v5, v[0:1], off
.LBB30_157:
	s_mov_b64 s[0:1], 0
.LBB30_158:
	s_andn2_b64 vcc, exec, s[0:1]
	s_cbranch_vccnz .LBB30_164
; %bb.159:
	global_load_ubyte v2, v[0:1], off
	s_movk_i32 s0, 0x7f
	s_mov_b64 s[12:13], 0
	s_waitcnt vmcnt(0)
	v_cmp_lt_i16_e32 vcc, s0, v2
	s_and_saveexec_b64 s[0:1], vcc
	s_xor_b64 s[0:1], exec, s[0:1]
	s_cbranch_execz .LBB30_175
; %bb.160:
	s_movk_i32 s12, 0x80
	v_cmp_ne_u16_e32 vcc, s12, v2
	s_and_b64 s[12:13], vcc, exec
	s_andn2_saveexec_b64 s[0:1], s[0:1]
	s_cbranch_execnz .LBB30_176
.LBB30_161:
	s_or_b64 exec, exec, s[0:1]
	v_mov_b32_e32 v5, 0
	s_and_saveexec_b64 s[0:1], s[12:13]
	s_cbranch_execz .LBB30_163
.LBB30_162:
	v_lshlrev_b32_e32 v3, 24, v2
	v_and_b32_e32 v2, 0xffff, v2
	v_and_b32_e32 v5, 7, v2
	v_ffbh_u32_e32 v7, v5
	v_min_u32_e32 v7, 32, v7
	v_subrev_u32_e32 v8, 28, v7
	v_bfe_u32 v6, v2, 3, 4
	v_lshlrev_b32_e32 v2, v8, v2
	v_sub_u32_e32 v7, 29, v7
	v_and_b32_e32 v2, 7, v2
	v_cmp_eq_u32_e32 vcc, 0, v6
	v_and_b32_e32 v3, 0x80000000, v3
	s_nop 0
	v_cndmask_b32_e32 v6, v6, v7, vcc
	v_cndmask_b32_e32 v2, v5, v2, vcc
	v_mov_b32_e32 v5, 0x3b800000
	v_lshlrev_b32_e32 v2, 20, v2
	v_lshl_add_u32 v5, v6, 23, v5
	v_or3_b32 v2, v3, v5, v2
	v_cvt_i32_f32_e32 v5, v2
.LBB30_163:
	s_or_b64 exec, exec, s[0:1]
.LBB30_164:
	s_mov_b64 s[0:1], -1
.LBB30_165:
	s_branch .LBB30_198
.LBB30_166:
	s_cmp_gt_i32 s18, 22
	s_cbranch_scc0 .LBB30_174
; %bb.167:
	s_cmp_lt_i32 s18, 24
	s_cbranch_scc1 .LBB30_177
; %bb.168:
	s_cmp_gt_i32 s18, 24
	s_cbranch_scc0 .LBB30_178
; %bb.169:
	global_load_ubyte v2, v[0:1], off
	s_movk_i32 s0, 0x7f
	s_mov_b64 s[12:13], 0
	s_waitcnt vmcnt(0)
	v_cmp_lt_i16_e32 vcc, s0, v2
	s_and_saveexec_b64 s[0:1], vcc
	s_xor_b64 s[0:1], exec, s[0:1]
	s_cbranch_execz .LBB30_190
; %bb.170:
	s_movk_i32 s12, 0x80
	v_cmp_ne_u16_e32 vcc, s12, v2
	s_and_b64 s[12:13], vcc, exec
	s_andn2_saveexec_b64 s[0:1], s[0:1]
	s_cbranch_execnz .LBB30_191
.LBB30_171:
	s_or_b64 exec, exec, s[0:1]
	v_mov_b32_e32 v5, 0
	s_and_saveexec_b64 s[0:1], s[12:13]
	s_cbranch_execz .LBB30_173
.LBB30_172:
	v_lshlrev_b32_e32 v3, 24, v2
	v_and_b32_e32 v2, 0xffff, v2
	v_and_b32_e32 v5, 3, v2
	v_ffbh_u32_e32 v7, v5
	v_min_u32_e32 v7, 32, v7
	v_subrev_u32_e32 v8, 29, v7
	v_bfe_u32 v6, v2, 2, 5
	v_lshlrev_b32_e32 v2, v8, v2
	v_sub_u32_e32 v7, 30, v7
	v_and_b32_e32 v2, 3, v2
	v_cmp_eq_u32_e32 vcc, 0, v6
	v_and_b32_e32 v3, 0x80000000, v3
	s_nop 0
	v_cndmask_b32_e32 v6, v6, v7, vcc
	v_cndmask_b32_e32 v2, v5, v2, vcc
	v_mov_b32_e32 v5, 0x37800000
	v_lshlrev_b32_e32 v2, 21, v2
	v_lshl_add_u32 v5, v6, 23, v5
	v_or3_b32 v2, v3, v5, v2
	v_cvt_i32_f32_e32 v5, v2
.LBB30_173:
	s_or_b64 exec, exec, s[0:1]
	s_mov_b64 s[0:1], 0
	s_branch .LBB30_179
.LBB30_174:
	s_mov_b64 s[12:13], -1
                                        ; implicit-def: $vgpr5
	s_branch .LBB30_185
.LBB30_175:
	s_andn2_saveexec_b64 s[0:1], s[0:1]
	s_cbranch_execz .LBB30_161
.LBB30_176:
	v_cmp_ne_u16_e32 vcc, 0, v2
	s_andn2_b64 s[12:13], s[12:13], exec
	s_and_b64 s[22:23], vcc, exec
	s_or_b64 s[12:13], s[12:13], s[22:23]
	s_or_b64 exec, exec, s[0:1]
	v_mov_b32_e32 v5, 0
	s_and_saveexec_b64 s[0:1], s[12:13]
	s_cbranch_execnz .LBB30_162
	s_branch .LBB30_163
.LBB30_177:
	s_mov_b64 s[0:1], -1
                                        ; implicit-def: $vgpr5
	s_branch .LBB30_182
.LBB30_178:
	s_mov_b64 s[0:1], -1
                                        ; implicit-def: $vgpr5
.LBB30_179:
	s_and_b64 vcc, exec, s[0:1]
	s_cbranch_vccz .LBB30_181
; %bb.180:
	global_load_ubyte v2, v[0:1], off
	s_mov_b32 s0, 0x7f800000
	s_waitcnt vmcnt(0)
	v_lshlrev_b32_e32 v2, 24, v2
	v_and_b32_e32 v3, 0x7f000000, v2
	v_ffbh_u32_e32 v5, v3
	v_min_u32_e32 v5, 32, v5
	v_sub_u32_e64 v5, v5, 4 clamp
	v_lshlrev_b32_e32 v7, v5, v3
	v_lshlrev_b32_e32 v5, 23, v5
	v_lshrrev_b32_e32 v7, 4, v7
	v_add_u32_e32 v6, 0x1000000, v3
	v_sub_u32_e32 v5, v7, v5
	v_ashrrev_i32_e32 v6, 8, v6
	v_add_u32_e32 v5, 0x3c000000, v5
	v_and_or_b32 v5, v6, s0, v5
	v_cmp_ne_u32_e32 vcc, 0, v3
	s_brev_b32 s0, 1
	s_nop 0
	v_cndmask_b32_e32 v3, 0, v5, vcc
	v_and_or_b32 v2, v2, s0, v3
	v_cvt_i32_f32_e32 v5, v2
.LBB30_181:
	s_mov_b64 s[0:1], 0
.LBB30_182:
	s_andn2_b64 vcc, exec, s[0:1]
	s_cbranch_vccnz .LBB30_184
; %bb.183:
	global_load_ubyte v2, v[0:1], off
	s_movk_i32 s0, 0x7f00
	s_brev_b32 s1, 16
	s_waitcnt vmcnt(0)
	v_lshlrev_b16_e32 v3, 8, v2
	v_lshlrev_b32_e32 v2, 25, v2
	v_lshrrev_b32_e32 v5, 4, v2
	v_and_or_b32 v6, v3, s0, 0.5
	v_or_b32_e32 v5, 0x70000000, v5
	v_add_f32_e32 v6, -0.5, v6
	v_mul_f32_e32 v5, 0x7800000, v5
	v_cmp_gt_u32_e32 vcc, s1, v2
	v_bfe_i32 v3, v3, 0, 16
	s_brev_b32 s0, 1
	v_cndmask_b32_e32 v2, v5, v6, vcc
	v_and_or_b32 v2, v3, s0, v2
	v_cvt_i32_f32_e32 v5, v2
.LBB30_184:
	s_mov_b64 s[12:13], 0
	s_mov_b64 s[0:1], -1
.LBB30_185:
	s_andn2_b64 vcc, exec, s[12:13]
	s_cbranch_vccnz .LBB30_198
; %bb.186:
	s_cmp_gt_i32 s18, 14
	s_cbranch_scc0 .LBB30_189
; %bb.187:
	s_cmp_eq_u32 s18, 15
	s_cbranch_scc0 .LBB30_192
; %bb.188:
	global_load_ushort v2, v[0:1], off
	s_mov_b64 s[0:1], -1
	s_mov_b64 s[14:15], 0
	s_waitcnt vmcnt(0)
	v_lshlrev_b32_e32 v2, 16, v2
	v_cvt_i32_f32_e32 v5, v2
	s_branch .LBB30_193
.LBB30_189:
	s_mov_b64 s[12:13], -1
                                        ; implicit-def: $vgpr5
	s_branch .LBB30_194
.LBB30_190:
	s_andn2_saveexec_b64 s[0:1], s[0:1]
	s_cbranch_execz .LBB30_171
.LBB30_191:
	v_cmp_ne_u16_e32 vcc, 0, v2
	s_andn2_b64 s[12:13], s[12:13], exec
	s_and_b64 s[22:23], vcc, exec
	s_or_b64 s[12:13], s[12:13], s[22:23]
	s_or_b64 exec, exec, s[0:1]
	v_mov_b32_e32 v5, 0
	s_and_saveexec_b64 s[0:1], s[12:13]
	s_cbranch_execnz .LBB30_172
	s_branch .LBB30_173
.LBB30_192:
	s_mov_b64 s[14:15], -1
                                        ; implicit-def: $vgpr5
.LBB30_193:
	s_mov_b64 s[12:13], 0
.LBB30_194:
	s_and_b64 vcc, exec, s[12:13]
	s_cbranch_vccz .LBB30_198
; %bb.195:
	s_cmp_eq_u32 s18, 11
	s_cbranch_scc0 .LBB30_197
; %bb.196:
	global_load_ubyte v2, v[0:1], off
	s_mov_b64 s[0:1], -1
	s_mov_b64 s[14:15], 0
	s_waitcnt vmcnt(0)
	v_cmp_ne_u16_e32 vcc, 0, v2
	s_nop 1
	v_cndmask_b32_e64 v5, 0, 1, vcc
	s_branch .LBB30_198
.LBB30_197:
	s_mov_b64 s[14:15], -1
                                        ; implicit-def: $vgpr5
.LBB30_198:
	s_branch .LBB30_10
.LBB30_199:
	s_cmp_lt_i32 s18, 5
	s_cbranch_scc1 .LBB30_204
; %bb.200:
	s_cmp_lt_i32 s18, 8
	s_cbranch_scc1 .LBB30_205
; %bb.201:
	;; [unrolled: 3-line block ×3, first 2 shown]
	s_cmp_gt_i32 s18, 9
	s_cbranch_scc0 .LBB30_207
; %bb.203:
	global_load_dwordx2 v[2:3], v[0:1], off
	s_mov_b64 s[0:1], 0
	s_waitcnt vmcnt(0)
	v_cvt_i32_f64_e32 v5, v[2:3]
	s_branch .LBB30_208
.LBB30_204:
                                        ; implicit-def: $vgpr5
	s_branch .LBB30_226
.LBB30_205:
	s_mov_b64 s[0:1], -1
                                        ; implicit-def: $vgpr5
	s_branch .LBB30_214
.LBB30_206:
	s_mov_b64 s[0:1], -1
                                        ; implicit-def: $vgpr5
	s_branch .LBB30_211
.LBB30_207:
	s_mov_b64 s[0:1], -1
                                        ; implicit-def: $vgpr5
.LBB30_208:
	s_andn2_b64 vcc, exec, s[0:1]
	s_cbranch_vccnz .LBB30_210
; %bb.209:
	global_load_dword v2, v[0:1], off
	s_waitcnt vmcnt(0)
	v_cvt_i32_f32_e32 v5, v2
.LBB30_210:
	s_mov_b64 s[0:1], 0
.LBB30_211:
	s_andn2_b64 vcc, exec, s[0:1]
	s_cbranch_vccnz .LBB30_213
; %bb.212:
	global_load_dword v2, v[0:1], off
	s_waitcnt vmcnt(0)
	v_cvt_f32_f16_e32 v2, v2
	v_cvt_i32_f32_e32 v5, v2
.LBB30_213:
	s_mov_b64 s[0:1], 0
.LBB30_214:
	s_andn2_b64 vcc, exec, s[0:1]
	s_cbranch_vccnz .LBB30_225
; %bb.215:
	s_cmp_lt_i32 s18, 6
	s_cbranch_scc1 .LBB30_218
; %bb.216:
	s_cmp_gt_i32 s18, 6
	s_cbranch_scc0 .LBB30_219
; %bb.217:
	global_load_dwordx2 v[2:3], v[0:1], off
	s_mov_b64 s[0:1], 0
	s_waitcnt vmcnt(0)
	v_cvt_i32_f64_e32 v5, v[2:3]
	s_branch .LBB30_220
.LBB30_218:
	s_mov_b64 s[0:1], -1
                                        ; implicit-def: $vgpr5
	s_branch .LBB30_223
.LBB30_219:
	s_mov_b64 s[0:1], -1
                                        ; implicit-def: $vgpr5
.LBB30_220:
	s_andn2_b64 vcc, exec, s[0:1]
	s_cbranch_vccnz .LBB30_222
; %bb.221:
	global_load_dword v2, v[0:1], off
	s_waitcnt vmcnt(0)
	v_cvt_i32_f32_e32 v5, v2
.LBB30_222:
	s_mov_b64 s[0:1], 0
.LBB30_223:
	s_andn2_b64 vcc, exec, s[0:1]
	s_cbranch_vccnz .LBB30_225
; %bb.224:
	global_load_ushort v2, v[0:1], off
	s_waitcnt vmcnt(0)
	v_cvt_f32_f16_e32 v2, v2
	v_cvt_i32_f32_e32 v5, v2
.LBB30_225:
	s_cbranch_execnz .LBB30_245
.LBB30_226:
	s_cmp_lt_i32 s18, 2
	s_cbranch_scc1 .LBB30_230
; %bb.227:
	s_cmp_lt_i32 s18, 3
	s_cbranch_scc1 .LBB30_231
; %bb.228:
	s_cmp_gt_i32 s18, 3
	s_cbranch_scc0 .LBB30_232
; %bb.229:
	global_load_dword v5, v[0:1], off
	s_mov_b64 s[0:1], 0
	s_branch .LBB30_233
.LBB30_230:
	s_mov_b64 s[0:1], -1
                                        ; implicit-def: $vgpr5
	s_branch .LBB30_239
.LBB30_231:
	s_mov_b64 s[0:1], -1
                                        ; implicit-def: $vgpr5
	s_branch .LBB30_236
.LBB30_232:
	s_mov_b64 s[0:1], -1
                                        ; implicit-def: $vgpr5
.LBB30_233:
	s_andn2_b64 vcc, exec, s[0:1]
	s_cbranch_vccnz .LBB30_235
; %bb.234:
	global_load_dword v5, v[0:1], off
.LBB30_235:
	s_mov_b64 s[0:1], 0
.LBB30_236:
	s_andn2_b64 vcc, exec, s[0:1]
	s_cbranch_vccnz .LBB30_238
; %bb.237:
	global_load_sshort v5, v[0:1], off
.LBB30_238:
	s_mov_b64 s[0:1], 0
.LBB30_239:
	s_andn2_b64 vcc, exec, s[0:1]
	s_cbranch_vccnz .LBB30_245
; %bb.240:
	s_cmp_gt_i32 s18, 0
	s_cbranch_scc0 .LBB30_242
; %bb.241:
	global_load_sbyte v5, v[0:1], off
	s_mov_b64 s[0:1], 0
	s_branch .LBB30_243
.LBB30_242:
	s_mov_b64 s[0:1], -1
                                        ; implicit-def: $vgpr5
.LBB30_243:
	s_andn2_b64 vcc, exec, s[0:1]
	s_cbranch_vccnz .LBB30_245
; %bb.244:
	global_load_ubyte v5, v[0:1], off
.LBB30_245:
	s_branch .LBB30_11
.LBB30_246:
	s_mov_b64 s[0:1], 0
                                        ; implicit-def: $vgpr4
	s_mov_b64 s[18:19], 0
.LBB30_247:
	s_and_b64 s[12:13], s[0:1], exec
	s_and_b64 s[14:15], s[14:15], exec
	s_orn2_b64 s[18:19], s[18:19], exec
.LBB30_248:
	s_or_b64 exec, exec, s[16:17]
	s_mov_b64 s[22:23], 0
	s_mov_b64 s[0:1], 0
                                        ; implicit-def: $vgpr0_vgpr1
                                        ; implicit-def: $vgpr5
	s_and_saveexec_b64 s[16:17], s[18:19]
	s_cbranch_execz .LBB30_257
; %bb.249:
	v_cmp_gt_i32_e32 vcc, s38, v4
	s_mov_b64 s[0:1], -1
	s_mov_b64 s[18:19], s[14:15]
	s_mov_b64 s[20:21], s[12:13]
	s_and_saveexec_b64 s[22:23], vcc
	s_cbranch_execz .LBB30_505
; %bb.250:
	v_mul_lo_u32 v0, v4, s9
	v_ashrrev_i32_e32 v1, 31, v0
	s_and_b32 s24, 0xffff, s42
	s_cmp_lt_i32 s24, 11
	v_lshl_add_u64 v[0:1], s[6:7], 0, v[0:1]
	s_cbranch_scc1 .LBB30_260
; %bb.251:
	s_cmp_gt_i32 s24, 25
	s_cbranch_scc0 .LBB30_269
; %bb.252:
	s_cmp_gt_i32 s24, 28
	s_cbranch_scc0 .LBB30_271
	;; [unrolled: 3-line block ×4, first 2 shown]
; %bb.255:
	s_cmp_eq_u32 s24, 46
	s_mov_b64 s[20:21], 0
	s_cbranch_scc0 .LBB30_281
; %bb.256:
	global_load_dword v2, v[0:1], off
	s_mov_b64 s[18:19], 0
	s_waitcnt vmcnt(0)
	v_lshlrev_b32_e32 v2, 16, v2
	v_cvt_i32_f32_e32 v5, v2
	s_branch .LBB30_282
.LBB30_257:
	s_or_b64 exec, exec, s[16:17]
	s_mov_b64 s[16:17], 0
	s_and_saveexec_b64 s[18:19], s[14:15]
	s_cbranch_execnz .LBB30_843
.LBB30_258:
	s_or_b64 exec, exec, s[18:19]
	s_and_saveexec_b64 s[14:15], s[20:21]
	s_xor_b64 s[14:15], exec, s[14:15]
	s_cbranch_execz .LBB30_844
.LBB30_259:
	global_load_ubyte v2, v[0:1], off
	s_or_b64 s[0:1], s[0:1], exec
	s_waitcnt vmcnt(0)
	v_cmp_ne_u16_e32 vcc, 0, v2
	s_nop 1
	v_cndmask_b32_e64 v5, 0, 1, vcc
	s_or_b64 exec, exec, s[14:15]
	s_and_saveexec_b64 s[14:15], s[22:23]
	s_cbranch_execz .LBB30_890
	s_branch .LBB30_845
.LBB30_260:
	s_mov_b64 s[0:1], 0
                                        ; implicit-def: $vgpr5
	s_mov_b64 s[18:19], s[14:15]
	s_cbranch_execnz .LBB30_455
.LBB30_261:
	s_andn2_b64 vcc, exec, s[0:1]
	s_cbranch_vccnz .LBB30_503
.LBB30_262:
	v_mul_lo_u32 v2, v4, s8
	v_ashrrev_i32_e32 v3, 31, v2
	s_and_b32 s28, s33, 0xff
	s_waitcnt vmcnt(0)
	v_not_b32_e32 v0, v5
	s_cmp_lt_i32 s28, 11
	v_lshl_add_u64 v[2:3], s[4:5], 0, v[2:3]
	s_cbranch_scc1 .LBB30_270
; %bb.263:
	s_and_b32 s29, 0xffff, s28
	s_cmp_gt_i32 s29, 25
	s_cbranch_scc0 .LBB30_272
; %bb.264:
	s_cmp_gt_i32 s29, 28
	s_cbranch_scc0 .LBB30_274
; %bb.265:
	;; [unrolled: 3-line block ×4, first 2 shown]
	s_mov_b64 s[24:25], 0
	s_mov_b64 s[0:1], -1
	s_cmp_eq_u32 s29, 46
	s_mov_b64 s[20:21], 0
	s_cbranch_scc0 .LBB30_286
; %bb.268:
	v_cvt_f32_i32_e32 v1, v0
	s_movk_i32 s0, 0x7fff
	s_mov_b64 s[20:21], -1
	v_bfe_u32 v6, v1, 16, 1
	v_add3_u32 v1, v1, v6, s0
	v_lshrrev_b32_e32 v1, 16, v1
	global_store_dword v[2:3], v1, off
	s_mov_b64 s[0:1], 0
	s_branch .LBB30_286
.LBB30_269:
	s_mov_b64 s[20:21], -1
	s_mov_b64 s[0:1], 0
	s_mov_b64 s[18:19], s[14:15]
                                        ; implicit-def: $vgpr5
	s_branch .LBB30_421
.LBB30_270:
	s_mov_b64 s[24:25], -1
	s_mov_b64 s[20:21], 0
	s_mov_b64 s[0:1], s[12:13]
	s_branch .LBB30_355
.LBB30_271:
	s_mov_b64 s[20:21], -1
	s_mov_b64 s[0:1], 0
	s_mov_b64 s[18:19], s[14:15]
                                        ; implicit-def: $vgpr5
	s_branch .LBB30_404
.LBB30_272:
	s_mov_b64 s[24:25], -1
	s_mov_b64 s[20:21], 0
	s_mov_b64 s[0:1], s[12:13]
	s_branch .LBB30_313
.LBB30_273:
	s_mov_b64 s[20:21], -1
	s_mov_b64 s[0:1], 0
	s_mov_b64 s[18:19], s[14:15]
                                        ; implicit-def: $vgpr5
	s_branch .LBB30_399
.LBB30_274:
	s_mov_b64 s[24:25], -1
	s_mov_b64 s[20:21], 0
	s_mov_b64 s[0:1], s[12:13]
	s_branch .LBB30_296
.LBB30_275:
	s_andn2_saveexec_b64 s[22:23], s[22:23]
	s_cbranch_execz .LBB30_55
.LBB30_276:
	s_mov_b32 s26, 0x46000000
	v_add_f32_e64 v6, |v1|, s26
	v_and_b32_e32 v6, 0xff, v6
	v_cmp_ne_u32_e32 vcc, 0, v6
	s_andn2_b64 s[18:19], s[18:19], exec
	s_and_b64 s[26:27], vcc, exec
	s_or_b64 s[18:19], s[18:19], s[26:27]
	s_or_b64 exec, exec, s[22:23]
	v_mov_b32_e32 v7, 0
	s_and_saveexec_b64 s[22:23], s[18:19]
	s_cbranch_execnz .LBB30_56
	s_branch .LBB30_57
.LBB30_277:
	s_mov_b64 s[20:21], -1
	s_mov_b64 s[0:1], 0
	s_mov_b64 s[18:19], s[14:15]
                                        ; implicit-def: $vgpr5
	s_branch .LBB30_282
.LBB30_278:
	s_mov_b64 s[24:25], -1
	s_mov_b64 s[20:21], 0
	s_mov_b64 s[0:1], s[12:13]
	s_branch .LBB30_292
.LBB30_279:
	s_andn2_saveexec_b64 s[22:23], s[22:23]
	s_cbranch_execz .LBB30_68
.LBB30_280:
	s_mov_b32 s26, 0x42800000
	v_add_f32_e64 v6, |v1|, s26
	v_and_b32_e32 v6, 0xff, v6
	v_cmp_ne_u32_e32 vcc, 0, v6
	s_andn2_b64 s[18:19], s[18:19], exec
	s_and_b64 s[26:27], vcc, exec
	s_or_b64 s[18:19], s[18:19], s[26:27]
	s_or_b64 exec, exec, s[22:23]
	v_mov_b32_e32 v7, 0
	s_and_saveexec_b64 s[22:23], s[18:19]
	s_cbranch_execnz .LBB30_69
	s_branch .LBB30_70
.LBB30_281:
	s_mov_b64 s[18:19], -1
                                        ; implicit-def: $vgpr5
	s_mov_b64 s[0:1], 0
.LBB30_282:
	s_and_b64 vcc, exec, s[20:21]
	s_cbranch_vccz .LBB30_398
; %bb.283:
	s_cmp_eq_u32 s24, 44
	s_cbranch_scc0 .LBB30_397
; %bb.284:
	global_load_ubyte v2, v[0:1], off
	s_mov_b64 s[0:1], -1
	s_mov_b64 s[18:19], 0
	s_waitcnt vmcnt(0)
	v_lshlrev_b32_e32 v3, 23, v2
	v_cvt_i32_f32_e32 v3, v3
	v_cmp_ne_u32_e32 vcc, 0, v2
	s_nop 1
	v_cndmask_b32_e32 v5, 0, v3, vcc
	s_branch .LBB30_398
.LBB30_285:
	s_mov_b64 s[24:25], -1
	s_mov_b64 s[20:21], 0
	s_mov_b64 s[0:1], s[12:13]
.LBB30_286:
	s_and_b64 vcc, exec, s[24:25]
	s_cbranch_vccz .LBB30_291
; %bb.287:
	s_cmp_eq_u32 s29, 44
	s_mov_b64 s[0:1], -1
	s_cbranch_scc0 .LBB30_291
; %bb.288:
	v_cvt_f32_i32_e32 v1, v0
	s_movk_i32 s0, 0xff
	v_mov_b32_e32 v7, 0xff
	v_bfe_u32 v6, v1, 23, 8
	v_cmp_ne_u32_e32 vcc, s0, v6
	s_and_saveexec_b64 s[20:21], vcc
; %bb.289:
	s_mov_b32 s0, 0x3fffff
	v_lshrrev_b32_e32 v7, 23, v1
	v_and_b32_e32 v8, 0x400000, v1
	v_and_or_b32 v1, v1, s0, v6
	v_cmp_ne_u32_e32 vcc, 0, v8
	v_cmp_ne_u32_e64 s[0:1], 0, v1
	s_and_b64 s[0:1], vcc, s[0:1]
	s_nop 0
	v_cndmask_b32_e64 v1, 0, 1, s[0:1]
	v_add_u32_e32 v7, v7, v1
; %bb.290:
	s_or_b64 exec, exec, s[20:21]
	s_mov_b64 s[20:21], -1
	s_mov_b64 s[0:1], 0
	global_store_byte v[2:3], v7, off
.LBB30_291:
	s_mov_b64 s[24:25], 0
.LBB30_292:
	s_and_b64 vcc, exec, s[24:25]
	s_cbranch_vccz .LBB30_295
; %bb.293:
	s_cmp_eq_u32 s29, 29
	s_mov_b64 s[0:1], -1
	s_cbranch_scc0 .LBB30_295
; %bb.294:
	v_ashrrev_i32_e32 v1, 31, v0
	global_store_dwordx2 v[2:3], v[0:1], off
	s_mov_b64 s[20:21], -1
	s_mov_b64 s[0:1], 0
.LBB30_295:
	s_mov_b64 s[24:25], 0
.LBB30_296:
	s_and_b64 vcc, exec, s[24:25]
	s_cbranch_vccz .LBB30_312
; %bb.297:
	s_cmp_lt_i32 s29, 27
	s_mov_b64 s[20:21], -1
	s_cbranch_scc1 .LBB30_303
; %bb.298:
	s_cmp_gt_i32 s29, 27
	s_cbranch_scc0 .LBB30_300
; %bb.299:
	s_mov_b64 s[20:21], 0
	global_store_dword v[2:3], v0, off
.LBB30_300:
	s_andn2_b64 vcc, exec, s[20:21]
	s_cbranch_vccnz .LBB30_302
; %bb.301:
	global_store_short v[2:3], v0, off
.LBB30_302:
	s_mov_b64 s[20:21], 0
.LBB30_303:
	s_andn2_b64 vcc, exec, s[20:21]
	s_cbranch_vccnz .LBB30_311
; %bb.304:
	v_cvt_f32_i32_e32 v1, v0
	s_mov_b32 s20, 0x43800000
	v_mov_b32_e32 v7, 0x80
	v_and_b32_e32 v6, 0x7fffffff, v1
	v_cmp_gt_u32_e32 vcc, s20, v6
	s_and_saveexec_b64 s[20:21], vcc
	s_cbranch_execz .LBB30_310
; %bb.305:
	s_mov_b32 s24, 0x3bffffff
	v_cmp_lt_u32_e32 vcc, s24, v6
	s_mov_b64 s[24:25], 0
                                        ; implicit-def: $vgpr6
	s_and_saveexec_b64 s[26:27], vcc
	s_xor_b64 s[26:27], exec, s[26:27]
	s_cbranch_execz .LBB30_518
; %bb.306:
	v_bfe_u32 v6, v1, 20, 1
	s_mov_b32 s30, 0x487ffff
	v_add3_u32 v6, v1, v6, s30
	s_mov_b64 s[24:25], exec
	v_lshrrev_b32_e32 v6, 20, v6
	s_andn2_saveexec_b64 s[26:27], s[26:27]
	s_cbranch_execnz .LBB30_519
.LBB30_307:
	s_or_b64 exec, exec, s[26:27]
	v_mov_b32_e32 v7, 0
	s_and_saveexec_b64 s[26:27], s[24:25]
.LBB30_308:
	v_lshrrev_b32_e32 v1, 24, v1
	s_movk_i32 s24, 0x80
	v_and_or_b32 v7, v1, s24, v6
.LBB30_309:
	s_or_b64 exec, exec, s[26:27]
.LBB30_310:
	s_or_b64 exec, exec, s[20:21]
	global_store_byte v[2:3], v7, off
.LBB30_311:
	s_mov_b64 s[20:21], -1
.LBB30_312:
	s_mov_b64 s[24:25], 0
.LBB30_313:
	s_and_b64 vcc, exec, s[24:25]
	s_cbranch_vccz .LBB30_354
; %bb.314:
	s_cmp_gt_i32 s29, 22
	s_mov_b64 s[24:25], -1
	s_cbranch_scc0 .LBB30_346
; %bb.315:
	s_cmp_lt_i32 s29, 24
	s_mov_b64 s[20:21], -1
	s_cbranch_scc1 .LBB30_335
; %bb.316:
	s_cmp_gt_i32 s29, 24
	s_cbranch_scc0 .LBB30_324
; %bb.317:
	v_cvt_f32_i32_e32 v1, v0
	s_mov_b32 s20, 0x47800000
	v_mov_b32_e32 v7, 0x80
	v_and_b32_e32 v6, 0x7fffffff, v1
	v_cmp_gt_u32_e32 vcc, s20, v6
	s_and_saveexec_b64 s[20:21], vcc
	s_cbranch_execz .LBB30_323
; %bb.318:
	s_mov_b32 s24, 0x37ffffff
	v_cmp_lt_u32_e32 vcc, s24, v6
	s_mov_b64 s[24:25], 0
                                        ; implicit-def: $vgpr6
	s_and_saveexec_b64 s[26:27], vcc
	s_xor_b64 s[26:27], exec, s[26:27]
	s_cbranch_execz .LBB30_521
; %bb.319:
	v_bfe_u32 v6, v1, 21, 1
	s_mov_b32 s30, 0x88fffff
	v_add3_u32 v6, v1, v6, s30
	s_mov_b64 s[24:25], exec
	v_lshrrev_b32_e32 v6, 21, v6
	s_andn2_saveexec_b64 s[26:27], s[26:27]
	s_cbranch_execnz .LBB30_522
.LBB30_320:
	s_or_b64 exec, exec, s[26:27]
	v_mov_b32_e32 v7, 0
	s_and_saveexec_b64 s[26:27], s[24:25]
.LBB30_321:
	v_lshrrev_b32_e32 v1, 24, v1
	s_movk_i32 s24, 0x80
	v_and_or_b32 v7, v1, s24, v6
.LBB30_322:
	s_or_b64 exec, exec, s[26:27]
.LBB30_323:
	s_or_b64 exec, exec, s[20:21]
	s_mov_b64 s[20:21], 0
	global_store_byte v[2:3], v7, off
.LBB30_324:
	s_and_b64 vcc, exec, s[20:21]
	s_cbranch_vccz .LBB30_334
; %bb.325:
	v_cvt_f32_i32_e32 v1, v0
	s_mov_b32 s20, 0x43f00000
                                        ; implicit-def: $vgpr6
	v_and_b32_e32 v7, 0x7fffffff, v1
	v_cmp_gt_u32_e32 vcc, s20, v7
	s_and_saveexec_b64 s[20:21], vcc
	s_xor_b64 s[20:21], exec, s[20:21]
	s_cbranch_execz .LBB30_331
; %bb.326:
	s_mov_b32 s24, 0x3c7fffff
	v_cmp_lt_u32_e32 vcc, s24, v7
                                        ; implicit-def: $vgpr6
	s_and_saveexec_b64 s[24:25], vcc
	s_xor_b64 s[24:25], exec, s[24:25]
; %bb.327:
	v_bfe_u32 v6, v1, 20, 1
	s_mov_b32 s26, 0x407ffff
	v_add3_u32 v6, v1, v6, s26
	v_lshrrev_b32_e32 v7, 20, v6
	v_and_b32_e32 v6, 0xff00000, v6
	s_mov_b32 s26, 0x7f00000
	v_mov_b32_e32 v8, 0x7e
	v_cmp_ne_u32_e32 vcc, s26, v6
	s_nop 1
	v_cndmask_b32_e32 v6, v8, v7, vcc
; %bb.328:
	s_andn2_saveexec_b64 s[24:25], s[24:25]
; %bb.329:
	s_mov_b32 s26, 0x46800000
	v_add_f32_e64 v6, |v1|, s26
; %bb.330:
	s_or_b64 exec, exec, s[24:25]
                                        ; implicit-def: $vgpr7
.LBB30_331:
	s_andn2_saveexec_b64 s[20:21], s[20:21]
; %bb.332:
	s_mov_b32 s24, 0x7f800000
	v_mov_b32_e32 v6, 0x7e
	v_mov_b32_e32 v8, 0x7f
	v_cmp_lt_u32_e32 vcc, s24, v7
	s_nop 1
	v_cndmask_b32_e32 v6, v6, v8, vcc
; %bb.333:
	s_or_b64 exec, exec, s[20:21]
	v_lshrrev_b32_e32 v1, 24, v1
	s_movk_i32 s20, 0x80
	v_and_or_b32 v1, v1, s20, v6
	global_store_byte v[2:3], v1, off
.LBB30_334:
	s_mov_b64 s[20:21], 0
.LBB30_335:
	s_andn2_b64 vcc, exec, s[20:21]
	s_cbranch_vccnz .LBB30_345
; %bb.336:
	v_cvt_f32_i32_e32 v1, v0
	s_mov_b32 s20, 0x47800000
                                        ; implicit-def: $vgpr6
	v_and_b32_e32 v7, 0x7fffffff, v1
	v_cmp_gt_u32_e32 vcc, s20, v7
	s_and_saveexec_b64 s[20:21], vcc
	s_xor_b64 s[20:21], exec, s[20:21]
	s_cbranch_execz .LBB30_342
; %bb.337:
	s_mov_b32 s24, 0x387fffff
	v_cmp_lt_u32_e32 vcc, s24, v7
                                        ; implicit-def: $vgpr6
	s_and_saveexec_b64 s[24:25], vcc
	s_xor_b64 s[24:25], exec, s[24:25]
; %bb.338:
	v_bfe_u32 v6, v1, 21, 1
	s_mov_b32 s26, 0x80fffff
	v_add3_u32 v6, v1, v6, s26
	v_lshrrev_b32_e32 v6, 21, v6
; %bb.339:
	s_andn2_saveexec_b64 s[24:25], s[24:25]
; %bb.340:
	s_mov_b32 s26, 0x43000000
	v_add_f32_e64 v6, |v1|, s26
; %bb.341:
	s_or_b64 exec, exec, s[24:25]
                                        ; implicit-def: $vgpr7
.LBB30_342:
	s_andn2_saveexec_b64 s[20:21], s[20:21]
; %bb.343:
	s_mov_b32 s24, 0x7f800000
	v_mov_b32_e32 v6, 0x7c
	v_mov_b32_e32 v8, 0x7f
	v_cmp_lt_u32_e32 vcc, s24, v7
	s_nop 1
	v_cndmask_b32_e32 v6, v6, v8, vcc
; %bb.344:
	s_or_b64 exec, exec, s[20:21]
	v_lshrrev_b32_e32 v1, 24, v1
	s_movk_i32 s20, 0x80
	v_and_or_b32 v1, v1, s20, v6
	global_store_byte v[2:3], v1, off
.LBB30_345:
	s_mov_b64 s[24:25], 0
	s_mov_b64 s[20:21], -1
.LBB30_346:
	s_andn2_b64 vcc, exec, s[24:25]
	s_cbranch_vccnz .LBB30_354
; %bb.347:
	s_cmp_gt_i32 s29, 14
	s_mov_b64 s[24:25], -1
	s_cbranch_scc0 .LBB30_351
; %bb.348:
	s_cmp_eq_u32 s29, 15
	s_mov_b64 s[0:1], -1
	s_cbranch_scc0 .LBB30_350
; %bb.349:
	v_cvt_f32_i32_e32 v1, v0
	s_movk_i32 s0, 0x7fff
	s_mov_b64 s[20:21], -1
	v_bfe_u32 v6, v1, 16, 1
	v_add3_u32 v1, v1, v6, s0
	global_store_short_d16_hi v[2:3], v1, off
	s_mov_b64 s[0:1], 0
.LBB30_350:
	s_mov_b64 s[24:25], 0
.LBB30_351:
	s_and_b64 vcc, exec, s[24:25]
	s_cbranch_vccz .LBB30_354
; %bb.352:
	s_cmp_eq_u32 s29, 11
	s_mov_b64 s[0:1], -1
	s_cbranch_scc0 .LBB30_354
; %bb.353:
	v_cmp_ne_u32_e32 vcc, -1, v5
	s_mov_b64 s[20:21], -1
	s_mov_b64 s[0:1], 0
	v_cndmask_b32_e64 v1, 0, 1, vcc
	global_store_byte v[2:3], v1, off
.LBB30_354:
	s_mov_b64 s[24:25], 0
.LBB30_355:
	s_and_b64 vcc, exec, s[24:25]
	s_cbranch_vccz .LBB30_394
; %bb.356:
	s_and_b32 s24, 0xffff, s28
	s_cmp_lt_i32 s24, 5
	s_mov_b64 s[20:21], -1
	s_cbranch_scc1 .LBB30_377
; %bb.357:
	s_cmp_lt_i32 s24, 8
	s_cbranch_scc1 .LBB30_367
; %bb.358:
	s_cmp_lt_i32 s24, 9
	s_cbranch_scc1 .LBB30_364
; %bb.359:
	s_cmp_gt_i32 s24, 9
	s_cbranch_scc0 .LBB30_361
; %bb.360:
	v_mov_b32_e32 v8, 0
	v_cvt_f64_i32_e32 v[6:7], v0
	v_mov_b32_e32 v9, v8
	s_mov_b64 s[20:21], 0
	global_store_dwordx4 v[2:3], v[6:9], off
.LBB30_361:
	s_andn2_b64 vcc, exec, s[20:21]
	s_cbranch_vccnz .LBB30_363
; %bb.362:
	v_cvt_f32_i32_e32 v6, v0
	v_mov_b32_e32 v7, 0
	global_store_dwordx2 v[2:3], v[6:7], off
.LBB30_363:
	s_mov_b64 s[20:21], 0
.LBB30_364:
	s_andn2_b64 vcc, exec, s[20:21]
	s_cbranch_vccnz .LBB30_366
; %bb.365:
	v_cvt_f32_i32_e32 v1, v0
	v_cvt_f16_f32_e32 v1, v1
	global_store_dword v[2:3], v1, off
.LBB30_366:
	s_mov_b64 s[20:21], 0
.LBB30_367:
	s_andn2_b64 vcc, exec, s[20:21]
	s_cbranch_vccnz .LBB30_376
; %bb.368:
	s_cmp_lt_i32 s24, 6
	s_mov_b64 s[20:21], -1
	s_cbranch_scc1 .LBB30_374
; %bb.369:
	s_cmp_gt_i32 s24, 6
	s_cbranch_scc0 .LBB30_371
; %bb.370:
	v_cvt_f64_i32_e32 v[6:7], v0
	s_mov_b64 s[20:21], 0
	global_store_dwordx2 v[2:3], v[6:7], off
.LBB30_371:
	s_andn2_b64 vcc, exec, s[20:21]
	s_cbranch_vccnz .LBB30_373
; %bb.372:
	v_cvt_f32_i32_e32 v1, v0
	global_store_dword v[2:3], v1, off
.LBB30_373:
	s_mov_b64 s[20:21], 0
.LBB30_374:
	s_andn2_b64 vcc, exec, s[20:21]
	s_cbranch_vccnz .LBB30_376
; %bb.375:
	v_cvt_f32_i32_e32 v1, v0
	v_cvt_f16_f32_e32 v1, v1
	global_store_short v[2:3], v1, off
.LBB30_376:
	s_mov_b64 s[20:21], 0
.LBB30_377:
	s_andn2_b64 vcc, exec, s[20:21]
	s_cbranch_vccnz .LBB30_393
; %bb.378:
	s_cmp_lt_i32 s24, 2
	s_mov_b64 s[20:21], -1
	s_cbranch_scc1 .LBB30_388
; %bb.379:
	s_cmp_lt_i32 s24, 3
	s_cbranch_scc1 .LBB30_385
; %bb.380:
	s_cmp_gt_i32 s24, 3
	s_cbranch_scc0 .LBB30_382
; %bb.381:
	v_ashrrev_i32_e32 v1, 31, v0
	s_mov_b64 s[20:21], 0
	global_store_dwordx2 v[2:3], v[0:1], off
.LBB30_382:
	s_andn2_b64 vcc, exec, s[20:21]
	s_cbranch_vccnz .LBB30_384
; %bb.383:
	global_store_dword v[2:3], v0, off
.LBB30_384:
	s_mov_b64 s[20:21], 0
.LBB30_385:
	s_andn2_b64 vcc, exec, s[20:21]
	s_cbranch_vccnz .LBB30_387
; %bb.386:
	global_store_short v[2:3], v0, off
.LBB30_387:
	s_mov_b64 s[20:21], 0
.LBB30_388:
	s_andn2_b64 vcc, exec, s[20:21]
	s_cbranch_vccnz .LBB30_393
; %bb.389:
	s_cmp_gt_i32 s24, 0
	s_mov_b64 s[20:21], -1
	s_cbranch_scc0 .LBB30_391
; %bb.390:
	s_mov_b64 s[20:21], 0
	global_store_byte v[2:3], v0, off
.LBB30_391:
	s_andn2_b64 vcc, exec, s[20:21]
	s_cbranch_vccnz .LBB30_393
; %bb.392:
	global_store_byte v[2:3], v0, off
.LBB30_393:
	s_mov_b64 s[20:21], -1
.LBB30_394:
	s_andn2_b64 vcc, exec, s[20:21]
	s_cbranch_vccnz .LBB30_396
; %bb.395:
	v_add_u32_e32 v4, 0x80, v4
	s_mov_b64 s[24:25], -1
	s_branch .LBB30_504
.LBB30_396:
	s_mov_b64 s[24:25], 0
                                        ; implicit-def: $vgpr4
	s_branch .LBB30_504
.LBB30_397:
	s_mov_b64 s[18:19], -1
                                        ; implicit-def: $vgpr5
.LBB30_398:
	s_mov_b64 s[20:21], 0
.LBB30_399:
	s_and_b64 vcc, exec, s[20:21]
	s_cbranch_vccz .LBB30_403
; %bb.400:
	s_cmp_eq_u32 s24, 29
	s_cbranch_scc0 .LBB30_402
; %bb.401:
	global_load_dword v5, v[0:1], off
	s_mov_b64 s[0:1], -1
	s_mov_b64 s[18:19], 0
	s_branch .LBB30_403
.LBB30_402:
	s_mov_b64 s[18:19], -1
                                        ; implicit-def: $vgpr5
.LBB30_403:
	s_mov_b64 s[20:21], 0
.LBB30_404:
	s_and_b64 vcc, exec, s[20:21]
	s_cbranch_vccz .LBB30_420
; %bb.405:
	s_cmp_lt_i32 s24, 27
	s_cbranch_scc1 .LBB30_408
; %bb.406:
	s_cmp_gt_i32 s24, 27
	s_cbranch_scc0 .LBB30_409
; %bb.407:
	global_load_dword v5, v[0:1], off
	s_mov_b64 s[0:1], 0
	s_branch .LBB30_410
.LBB30_408:
	s_mov_b64 s[0:1], -1
                                        ; implicit-def: $vgpr5
	s_branch .LBB30_413
.LBB30_409:
	s_mov_b64 s[0:1], -1
                                        ; implicit-def: $vgpr5
.LBB30_410:
	s_andn2_b64 vcc, exec, s[0:1]
	s_cbranch_vccnz .LBB30_412
; %bb.411:
	global_load_ushort v5, v[0:1], off
.LBB30_412:
	s_mov_b64 s[0:1], 0
.LBB30_413:
	s_andn2_b64 vcc, exec, s[0:1]
	s_cbranch_vccnz .LBB30_419
; %bb.414:
	global_load_ubyte v2, v[0:1], off
	s_movk_i32 s0, 0x7f
	s_mov_b64 s[20:21], 0
	s_waitcnt vmcnt(0)
	v_cmp_lt_i16_e32 vcc, s0, v2
	s_and_saveexec_b64 s[0:1], vcc
	s_xor_b64 s[0:1], exec, s[0:1]
	s_cbranch_execz .LBB30_431
; %bb.415:
	s_movk_i32 s20, 0x80
	v_cmp_ne_u16_e32 vcc, s20, v2
	s_and_b64 s[20:21], vcc, exec
	s_andn2_saveexec_b64 s[0:1], s[0:1]
	s_cbranch_execnz .LBB30_432
.LBB30_416:
	s_or_b64 exec, exec, s[0:1]
	v_mov_b32_e32 v5, 0
	s_and_saveexec_b64 s[0:1], s[20:21]
	s_cbranch_execz .LBB30_418
.LBB30_417:
	v_lshlrev_b32_e32 v3, 24, v2
	v_and_b32_e32 v2, 0xffff, v2
	v_and_b32_e32 v5, 7, v2
	v_ffbh_u32_e32 v7, v5
	v_min_u32_e32 v7, 32, v7
	v_subrev_u32_e32 v8, 28, v7
	v_bfe_u32 v6, v2, 3, 4
	v_lshlrev_b32_e32 v2, v8, v2
	v_sub_u32_e32 v7, 29, v7
	v_and_b32_e32 v2, 7, v2
	v_cmp_eq_u32_e32 vcc, 0, v6
	v_and_b32_e32 v3, 0x80000000, v3
	s_nop 0
	v_cndmask_b32_e32 v6, v6, v7, vcc
	v_cndmask_b32_e32 v2, v5, v2, vcc
	v_mov_b32_e32 v5, 0x3b800000
	v_lshlrev_b32_e32 v2, 20, v2
	v_lshl_add_u32 v5, v6, 23, v5
	v_or3_b32 v2, v3, v5, v2
	v_cvt_i32_f32_e32 v5, v2
.LBB30_418:
	s_or_b64 exec, exec, s[0:1]
.LBB30_419:
	s_mov_b64 s[0:1], -1
.LBB30_420:
	s_mov_b64 s[20:21], 0
.LBB30_421:
	s_and_b64 vcc, exec, s[20:21]
	s_cbranch_vccz .LBB30_454
; %bb.422:
	s_cmp_gt_i32 s24, 22
	s_cbranch_scc0 .LBB30_430
; %bb.423:
	s_cmp_lt_i32 s24, 24
	s_cbranch_scc1 .LBB30_433
; %bb.424:
	s_cmp_gt_i32 s24, 24
	s_cbranch_scc0 .LBB30_434
; %bb.425:
	global_load_ubyte v2, v[0:1], off
	s_movk_i32 s0, 0x7f
	s_mov_b64 s[20:21], 0
	s_waitcnt vmcnt(0)
	v_cmp_lt_i16_e32 vcc, s0, v2
	s_and_saveexec_b64 s[0:1], vcc
	s_xor_b64 s[0:1], exec, s[0:1]
	s_cbranch_execz .LBB30_446
; %bb.426:
	s_movk_i32 s20, 0x80
	v_cmp_ne_u16_e32 vcc, s20, v2
	s_and_b64 s[20:21], vcc, exec
	s_andn2_saveexec_b64 s[0:1], s[0:1]
	s_cbranch_execnz .LBB30_447
.LBB30_427:
	s_or_b64 exec, exec, s[0:1]
	v_mov_b32_e32 v5, 0
	s_and_saveexec_b64 s[0:1], s[20:21]
	s_cbranch_execz .LBB30_429
.LBB30_428:
	v_lshlrev_b32_e32 v3, 24, v2
	v_and_b32_e32 v2, 0xffff, v2
	v_and_b32_e32 v5, 3, v2
	v_ffbh_u32_e32 v7, v5
	v_min_u32_e32 v7, 32, v7
	v_subrev_u32_e32 v8, 29, v7
	v_bfe_u32 v6, v2, 2, 5
	v_lshlrev_b32_e32 v2, v8, v2
	v_sub_u32_e32 v7, 30, v7
	v_and_b32_e32 v2, 3, v2
	v_cmp_eq_u32_e32 vcc, 0, v6
	v_and_b32_e32 v3, 0x80000000, v3
	s_nop 0
	v_cndmask_b32_e32 v6, v6, v7, vcc
	v_cndmask_b32_e32 v2, v5, v2, vcc
	v_mov_b32_e32 v5, 0x37800000
	v_lshlrev_b32_e32 v2, 21, v2
	v_lshl_add_u32 v5, v6, 23, v5
	v_or3_b32 v2, v3, v5, v2
	v_cvt_i32_f32_e32 v5, v2
.LBB30_429:
	s_or_b64 exec, exec, s[0:1]
	s_mov_b64 s[0:1], 0
	s_branch .LBB30_435
.LBB30_430:
	s_mov_b64 s[20:21], -1
                                        ; implicit-def: $vgpr5
	s_branch .LBB30_441
.LBB30_431:
	s_andn2_saveexec_b64 s[0:1], s[0:1]
	s_cbranch_execz .LBB30_416
.LBB30_432:
	v_cmp_ne_u16_e32 vcc, 0, v2
	s_andn2_b64 s[20:21], s[20:21], exec
	s_and_b64 s[26:27], vcc, exec
	s_or_b64 s[20:21], s[20:21], s[26:27]
	s_or_b64 exec, exec, s[0:1]
	v_mov_b32_e32 v5, 0
	s_and_saveexec_b64 s[0:1], s[20:21]
	s_cbranch_execnz .LBB30_417
	s_branch .LBB30_418
.LBB30_433:
	s_mov_b64 s[0:1], -1
                                        ; implicit-def: $vgpr5
	s_branch .LBB30_438
.LBB30_434:
	s_mov_b64 s[0:1], -1
                                        ; implicit-def: $vgpr5
.LBB30_435:
	s_and_b64 vcc, exec, s[0:1]
	s_cbranch_vccz .LBB30_437
; %bb.436:
	global_load_ubyte v2, v[0:1], off
	s_mov_b32 s0, 0x7f800000
	s_waitcnt vmcnt(0)
	v_lshlrev_b32_e32 v2, 24, v2
	v_and_b32_e32 v3, 0x7f000000, v2
	v_ffbh_u32_e32 v5, v3
	v_min_u32_e32 v5, 32, v5
	v_sub_u32_e64 v5, v5, 4 clamp
	v_lshlrev_b32_e32 v7, v5, v3
	v_lshlrev_b32_e32 v5, 23, v5
	v_lshrrev_b32_e32 v7, 4, v7
	v_add_u32_e32 v6, 0x1000000, v3
	v_sub_u32_e32 v5, v7, v5
	v_ashrrev_i32_e32 v6, 8, v6
	v_add_u32_e32 v5, 0x3c000000, v5
	v_and_or_b32 v5, v6, s0, v5
	v_cmp_ne_u32_e32 vcc, 0, v3
	s_brev_b32 s0, 1
	s_nop 0
	v_cndmask_b32_e32 v3, 0, v5, vcc
	v_and_or_b32 v2, v2, s0, v3
	v_cvt_i32_f32_e32 v5, v2
.LBB30_437:
	s_mov_b64 s[0:1], 0
.LBB30_438:
	s_andn2_b64 vcc, exec, s[0:1]
	s_cbranch_vccnz .LBB30_440
; %bb.439:
	global_load_ubyte v2, v[0:1], off
	s_movk_i32 s0, 0x7f00
	s_brev_b32 s1, 16
	s_waitcnt vmcnt(0)
	v_lshlrev_b16_e32 v3, 8, v2
	v_lshlrev_b32_e32 v2, 25, v2
	v_lshrrev_b32_e32 v5, 4, v2
	v_and_or_b32 v6, v3, s0, 0.5
	v_or_b32_e32 v5, 0x70000000, v5
	v_add_f32_e32 v6, -0.5, v6
	v_mul_f32_e32 v5, 0x7800000, v5
	v_cmp_gt_u32_e32 vcc, s1, v2
	v_bfe_i32 v3, v3, 0, 16
	s_brev_b32 s0, 1
	v_cndmask_b32_e32 v2, v5, v6, vcc
	v_and_or_b32 v2, v3, s0, v2
	v_cvt_i32_f32_e32 v5, v2
.LBB30_440:
	s_mov_b64 s[20:21], 0
	s_mov_b64 s[0:1], -1
.LBB30_441:
	s_andn2_b64 vcc, exec, s[20:21]
	s_cbranch_vccnz .LBB30_454
; %bb.442:
	s_cmp_gt_i32 s24, 14
	s_cbranch_scc0 .LBB30_445
; %bb.443:
	s_cmp_eq_u32 s24, 15
	s_cbranch_scc0 .LBB30_448
; %bb.444:
	global_load_ushort v2, v[0:1], off
	s_mov_b64 s[0:1], -1
	s_mov_b64 s[18:19], 0
	s_waitcnt vmcnt(0)
	v_lshlrev_b32_e32 v2, 16, v2
	v_cvt_i32_f32_e32 v5, v2
	s_branch .LBB30_449
.LBB30_445:
	s_mov_b64 s[20:21], -1
                                        ; implicit-def: $vgpr5
	s_branch .LBB30_450
.LBB30_446:
	s_andn2_saveexec_b64 s[0:1], s[0:1]
	s_cbranch_execz .LBB30_427
.LBB30_447:
	v_cmp_ne_u16_e32 vcc, 0, v2
	s_andn2_b64 s[20:21], s[20:21], exec
	s_and_b64 s[26:27], vcc, exec
	s_or_b64 s[20:21], s[20:21], s[26:27]
	s_or_b64 exec, exec, s[0:1]
	v_mov_b32_e32 v5, 0
	s_and_saveexec_b64 s[0:1], s[20:21]
	s_cbranch_execnz .LBB30_428
	s_branch .LBB30_429
.LBB30_448:
	s_mov_b64 s[18:19], -1
                                        ; implicit-def: $vgpr5
.LBB30_449:
	s_mov_b64 s[20:21], 0
.LBB30_450:
	s_and_b64 vcc, exec, s[20:21]
	s_cbranch_vccz .LBB30_454
; %bb.451:
	s_cmp_eq_u32 s24, 11
	s_cbranch_scc0 .LBB30_453
; %bb.452:
	global_load_ubyte v2, v[0:1], off
	s_mov_b64 s[0:1], -1
	s_mov_b64 s[18:19], 0
	s_waitcnt vmcnt(0)
	v_cmp_ne_u16_e32 vcc, 0, v2
	s_nop 1
	v_cndmask_b32_e64 v5, 0, 1, vcc
	s_branch .LBB30_454
.LBB30_453:
	s_mov_b64 s[18:19], -1
                                        ; implicit-def: $vgpr5
.LBB30_454:
	s_branch .LBB30_261
.LBB30_455:
	s_cmp_lt_i32 s24, 5
	s_cbranch_scc1 .LBB30_460
; %bb.456:
	s_cmp_lt_i32 s24, 8
	s_cbranch_scc1 .LBB30_461
; %bb.457:
	;; [unrolled: 3-line block ×3, first 2 shown]
	s_cmp_gt_i32 s24, 9
	s_cbranch_scc0 .LBB30_463
; %bb.459:
	global_load_dwordx2 v[2:3], v[0:1], off
	s_mov_b64 s[0:1], 0
	s_waitcnt vmcnt(0)
	v_cvt_i32_f64_e32 v5, v[2:3]
	s_branch .LBB30_464
.LBB30_460:
	s_mov_b64 s[0:1], -1
                                        ; implicit-def: $vgpr5
	s_branch .LBB30_482
.LBB30_461:
	s_mov_b64 s[0:1], -1
                                        ; implicit-def: $vgpr5
	s_branch .LBB30_470
.LBB30_462:
	s_mov_b64 s[0:1], -1
                                        ; implicit-def: $vgpr5
	s_branch .LBB30_467
.LBB30_463:
	s_mov_b64 s[0:1], -1
                                        ; implicit-def: $vgpr5
.LBB30_464:
	s_andn2_b64 vcc, exec, s[0:1]
	s_cbranch_vccnz .LBB30_466
; %bb.465:
	global_load_dword v2, v[0:1], off
	s_waitcnt vmcnt(0)
	v_cvt_i32_f32_e32 v5, v2
.LBB30_466:
	s_mov_b64 s[0:1], 0
.LBB30_467:
	s_andn2_b64 vcc, exec, s[0:1]
	s_cbranch_vccnz .LBB30_469
; %bb.468:
	global_load_dword v2, v[0:1], off
	s_waitcnt vmcnt(0)
	v_cvt_f32_f16_e32 v2, v2
	v_cvt_i32_f32_e32 v5, v2
.LBB30_469:
	s_mov_b64 s[0:1], 0
.LBB30_470:
	s_andn2_b64 vcc, exec, s[0:1]
	s_cbranch_vccnz .LBB30_481
; %bb.471:
	s_cmp_lt_i32 s24, 6
	s_cbranch_scc1 .LBB30_474
; %bb.472:
	s_cmp_gt_i32 s24, 6
	s_cbranch_scc0 .LBB30_475
; %bb.473:
	global_load_dwordx2 v[2:3], v[0:1], off
	s_mov_b64 s[0:1], 0
	s_waitcnt vmcnt(0)
	v_cvt_i32_f64_e32 v5, v[2:3]
	s_branch .LBB30_476
.LBB30_474:
	s_mov_b64 s[0:1], -1
                                        ; implicit-def: $vgpr5
	s_branch .LBB30_479
.LBB30_475:
	s_mov_b64 s[0:1], -1
                                        ; implicit-def: $vgpr5
.LBB30_476:
	s_andn2_b64 vcc, exec, s[0:1]
	s_cbranch_vccnz .LBB30_478
; %bb.477:
	global_load_dword v2, v[0:1], off
	s_waitcnt vmcnt(0)
	v_cvt_i32_f32_e32 v5, v2
.LBB30_478:
	s_mov_b64 s[0:1], 0
.LBB30_479:
	s_andn2_b64 vcc, exec, s[0:1]
	s_cbranch_vccnz .LBB30_481
; %bb.480:
	global_load_ushort v2, v[0:1], off
	s_waitcnt vmcnt(0)
	v_cvt_f32_f16_e32 v2, v2
	v_cvt_i32_f32_e32 v5, v2
.LBB30_481:
	s_mov_b64 s[0:1], 0
.LBB30_482:
	s_andn2_b64 vcc, exec, s[0:1]
	s_cbranch_vccnz .LBB30_502
; %bb.483:
	s_cmp_lt_i32 s24, 2
	s_cbranch_scc1 .LBB30_487
; %bb.484:
	s_cmp_lt_i32 s24, 3
	s_cbranch_scc1 .LBB30_488
; %bb.485:
	s_cmp_gt_i32 s24, 3
	s_cbranch_scc0 .LBB30_489
; %bb.486:
	global_load_dword v5, v[0:1], off
	s_mov_b64 s[0:1], 0
	s_branch .LBB30_490
.LBB30_487:
	s_mov_b64 s[0:1], -1
                                        ; implicit-def: $vgpr5
	s_branch .LBB30_496
.LBB30_488:
	s_mov_b64 s[0:1], -1
                                        ; implicit-def: $vgpr5
	s_branch .LBB30_493
.LBB30_489:
	s_mov_b64 s[0:1], -1
                                        ; implicit-def: $vgpr5
.LBB30_490:
	s_andn2_b64 vcc, exec, s[0:1]
	s_cbranch_vccnz .LBB30_492
; %bb.491:
	global_load_dword v5, v[0:1], off
.LBB30_492:
	s_mov_b64 s[0:1], 0
.LBB30_493:
	s_andn2_b64 vcc, exec, s[0:1]
	s_cbranch_vccnz .LBB30_495
; %bb.494:
	global_load_sshort v5, v[0:1], off
.LBB30_495:
	s_mov_b64 s[0:1], 0
.LBB30_496:
	s_andn2_b64 vcc, exec, s[0:1]
	s_cbranch_vccnz .LBB30_502
; %bb.497:
	s_cmp_gt_i32 s24, 0
	s_cbranch_scc0 .LBB30_499
; %bb.498:
	global_load_sbyte v5, v[0:1], off
	s_mov_b64 s[0:1], 0
	s_branch .LBB30_500
.LBB30_499:
	s_mov_b64 s[0:1], -1
                                        ; implicit-def: $vgpr5
.LBB30_500:
	s_andn2_b64 vcc, exec, s[0:1]
	s_cbranch_vccnz .LBB30_502
; %bb.501:
	global_load_ubyte v5, v[0:1], off
.LBB30_502:
	s_branch .LBB30_262
.LBB30_503:
	s_mov_b64 s[24:25], 0
                                        ; implicit-def: $vgpr4
	s_mov_b64 s[0:1], s[12:13]
.LBB30_504:
	s_andn2_b64 s[20:21], s[12:13], exec
	s_and_b64 s[0:1], s[0:1], exec
	s_or_b64 s[20:21], s[20:21], s[0:1]
	s_andn2_b64 s[0:1], s[14:15], exec
	s_and_b64 s[18:19], s[18:19], exec
	s_or_b64 s[18:19], s[0:1], s[18:19]
	s_orn2_b64 s[0:1], s[24:25], exec
.LBB30_505:
	s_or_b64 exec, exec, s[22:23]
	s_mov_b64 s[24:25], 0
	s_mov_b64 s[26:27], 0
	;; [unrolled: 1-line block ×3, first 2 shown]
                                        ; implicit-def: $vgpr0_vgpr1
                                        ; implicit-def: $vgpr5
	s_and_saveexec_b64 s[22:23], s[0:1]
	s_cbranch_execz .LBB30_842
; %bb.506:
	v_cmp_gt_i32_e32 vcc, s38, v4
	s_mov_b64 s[34:35], -1
	s_mov_b64 s[0:1], s[18:19]
	s_mov_b64 s[28:29], s[20:21]
	s_and_saveexec_b64 s[24:25], vcc
	s_cbranch_execz .LBB30_760
; %bb.507:
	v_mul_lo_u32 v0, v4, s9
	v_ashrrev_i32_e32 v1, 31, v0
	s_and_b32 s30, 0xffff, s42
	s_cmp_lt_i32 s30, 11
	v_lshl_add_u64 v[0:1], s[6:7], 0, v[0:1]
	s_cbranch_scc1 .LBB30_514
; %bb.508:
	s_cmp_gt_i32 s30, 25
	s_cbranch_scc0 .LBB30_515
; %bb.509:
	s_cmp_gt_i32 s30, 28
	s_cbranch_scc0 .LBB30_516
; %bb.510:
	s_cmp_gt_i32 s30, 43
	s_cbranch_scc0 .LBB30_517
; %bb.511:
	s_cmp_gt_i32 s30, 45
	s_cbranch_scc0 .LBB30_520
; %bb.512:
	s_cmp_eq_u32 s30, 46
	s_mov_b64 s[28:29], 0
	s_cbranch_scc0 .LBB30_523
; %bb.513:
	global_load_dword v2, v[0:1], off
	s_mov_b64 s[0:1], -1
	s_waitcnt vmcnt(0)
	v_lshlrev_b32_e32 v2, 16, v2
	v_cvt_i32_f32_e32 v5, v2
	s_branch .LBB30_524
.LBB30_514:
	s_mov_b64 s[28:29], -1
	s_mov_b64 s[0:1], 0
                                        ; implicit-def: $vgpr5
	s_mov_b64 s[26:27], s[18:19]
	s_branch .LBB30_585
.LBB30_515:
	s_mov_b64 s[28:29], -1
	s_mov_b64 s[0:1], 0
	s_mov_b64 s[26:27], s[18:19]
                                        ; implicit-def: $vgpr5
	s_branch .LBB30_551
.LBB30_516:
	s_mov_b64 s[28:29], -1
	s_mov_b64 s[0:1], 0
	s_mov_b64 s[26:27], s[18:19]
                                        ; implicit-def: $vgpr5
	s_branch .LBB30_534
.LBB30_517:
	s_mov_b64 s[28:29], -1
	s_mov_b64 s[0:1], 0
	s_mov_b64 s[26:27], s[18:19]
                                        ; implicit-def: $vgpr5
	s_branch .LBB30_529
.LBB30_518:
	s_andn2_saveexec_b64 s[26:27], s[26:27]
	s_cbranch_execz .LBB30_307
.LBB30_519:
	s_mov_b32 s30, 0x46000000
	v_add_f32_e64 v6, |v1|, s30
	v_and_b32_e32 v6, 0xff, v6
	v_cmp_ne_u32_e32 vcc, 0, v6
	s_andn2_b64 s[24:25], s[24:25], exec
	s_and_b64 s[30:31], vcc, exec
	s_or_b64 s[24:25], s[24:25], s[30:31]
	s_or_b64 exec, exec, s[26:27]
	v_mov_b32_e32 v7, 0
	s_and_saveexec_b64 s[26:27], s[24:25]
	s_cbranch_execnz .LBB30_308
	s_branch .LBB30_309
.LBB30_520:
	s_mov_b64 s[28:29], -1
	s_mov_b64 s[0:1], 0
	s_mov_b64 s[26:27], s[18:19]
                                        ; implicit-def: $vgpr5
	s_branch .LBB30_524
.LBB30_521:
	s_andn2_saveexec_b64 s[26:27], s[26:27]
	s_cbranch_execz .LBB30_320
.LBB30_522:
	s_mov_b32 s30, 0x42800000
	v_add_f32_e64 v6, |v1|, s30
	v_and_b32_e32 v6, 0xff, v6
	v_cmp_ne_u32_e32 vcc, 0, v6
	s_andn2_b64 s[24:25], s[24:25], exec
	s_and_b64 s[30:31], vcc, exec
	s_or_b64 s[24:25], s[24:25], s[30:31]
	s_or_b64 exec, exec, s[26:27]
	v_mov_b32_e32 v7, 0
	s_and_saveexec_b64 s[26:27], s[24:25]
	s_cbranch_execnz .LBB30_321
	s_branch .LBB30_322
.LBB30_523:
	s_mov_b64 s[26:27], -1
                                        ; implicit-def: $vgpr5
	s_mov_b64 s[0:1], 0
.LBB30_524:
	s_and_b64 vcc, exec, s[28:29]
	s_cbranch_vccz .LBB30_528
; %bb.525:
	s_cmp_eq_u32 s30, 44
	s_cbranch_scc0 .LBB30_527
; %bb.526:
	global_load_ubyte v2, v[0:1], off
	s_mov_b64 s[0:1], -1
	s_mov_b64 s[26:27], 0
	s_waitcnt vmcnt(0)
	v_lshlrev_b32_e32 v3, 23, v2
	v_cvt_i32_f32_e32 v3, v3
	v_cmp_ne_u32_e32 vcc, 0, v2
	s_nop 1
	v_cndmask_b32_e32 v5, 0, v3, vcc
	s_branch .LBB30_528
.LBB30_527:
	s_mov_b64 s[26:27], -1
                                        ; implicit-def: $vgpr5
.LBB30_528:
	s_mov_b64 s[28:29], 0
.LBB30_529:
	s_and_b64 vcc, exec, s[28:29]
	s_cbranch_vccz .LBB30_533
; %bb.530:
	s_cmp_eq_u32 s30, 29
	s_cbranch_scc0 .LBB30_532
; %bb.531:
	global_load_dword v5, v[0:1], off
	s_mov_b64 s[0:1], -1
	s_mov_b64 s[26:27], 0
	s_branch .LBB30_533
.LBB30_532:
	s_mov_b64 s[26:27], -1
                                        ; implicit-def: $vgpr5
.LBB30_533:
	s_mov_b64 s[28:29], 0
.LBB30_534:
	s_and_b64 vcc, exec, s[28:29]
	s_cbranch_vccz .LBB30_550
; %bb.535:
	s_cmp_lt_i32 s30, 27
	s_cbranch_scc1 .LBB30_538
; %bb.536:
	s_cmp_gt_i32 s30, 27
	s_cbranch_scc0 .LBB30_539
; %bb.537:
	global_load_dword v5, v[0:1], off
	s_mov_b64 s[0:1], 0
	s_branch .LBB30_540
.LBB30_538:
	s_mov_b64 s[0:1], -1
                                        ; implicit-def: $vgpr5
	s_branch .LBB30_543
.LBB30_539:
	s_mov_b64 s[0:1], -1
                                        ; implicit-def: $vgpr5
.LBB30_540:
	s_andn2_b64 vcc, exec, s[0:1]
	s_cbranch_vccnz .LBB30_542
; %bb.541:
	global_load_ushort v5, v[0:1], off
.LBB30_542:
	s_mov_b64 s[0:1], 0
.LBB30_543:
	s_andn2_b64 vcc, exec, s[0:1]
	s_cbranch_vccnz .LBB30_549
; %bb.544:
	global_load_ubyte v2, v[0:1], off
	s_movk_i32 s0, 0x7f
	s_mov_b64 s[28:29], 0
	s_waitcnt vmcnt(0)
	v_cmp_lt_i16_e32 vcc, s0, v2
	s_and_saveexec_b64 s[0:1], vcc
	s_xor_b64 s[0:1], exec, s[0:1]
	s_cbranch_execz .LBB30_561
; %bb.545:
	s_movk_i32 s28, 0x80
	v_cmp_ne_u16_e32 vcc, s28, v2
	s_and_b64 s[28:29], vcc, exec
	s_andn2_saveexec_b64 s[0:1], s[0:1]
	s_cbranch_execnz .LBB30_562
.LBB30_546:
	s_or_b64 exec, exec, s[0:1]
	v_mov_b32_e32 v5, 0
	s_and_saveexec_b64 s[0:1], s[28:29]
	s_cbranch_execz .LBB30_548
.LBB30_547:
	v_lshlrev_b32_e32 v3, 24, v2
	v_and_b32_e32 v2, 0xffff, v2
	v_and_b32_e32 v5, 7, v2
	v_ffbh_u32_e32 v7, v5
	v_min_u32_e32 v7, 32, v7
	v_subrev_u32_e32 v8, 28, v7
	v_bfe_u32 v6, v2, 3, 4
	v_lshlrev_b32_e32 v2, v8, v2
	v_sub_u32_e32 v7, 29, v7
	v_and_b32_e32 v2, 7, v2
	v_cmp_eq_u32_e32 vcc, 0, v6
	v_and_b32_e32 v3, 0x80000000, v3
	s_nop 0
	v_cndmask_b32_e32 v6, v6, v7, vcc
	v_cndmask_b32_e32 v2, v5, v2, vcc
	v_mov_b32_e32 v5, 0x3b800000
	v_lshlrev_b32_e32 v2, 20, v2
	v_lshl_add_u32 v5, v6, 23, v5
	v_or3_b32 v2, v3, v5, v2
	v_cvt_i32_f32_e32 v5, v2
.LBB30_548:
	s_or_b64 exec, exec, s[0:1]
.LBB30_549:
	s_mov_b64 s[0:1], -1
.LBB30_550:
	s_mov_b64 s[28:29], 0
.LBB30_551:
	s_and_b64 vcc, exec, s[28:29]
	s_cbranch_vccz .LBB30_584
; %bb.552:
	s_cmp_gt_i32 s30, 22
	s_cbranch_scc0 .LBB30_560
; %bb.553:
	s_cmp_lt_i32 s30, 24
	s_cbranch_scc1 .LBB30_563
; %bb.554:
	s_cmp_gt_i32 s30, 24
	s_cbranch_scc0 .LBB30_564
; %bb.555:
	global_load_ubyte v2, v[0:1], off
	s_movk_i32 s0, 0x7f
	s_mov_b64 s[28:29], 0
	s_waitcnt vmcnt(0)
	v_cmp_lt_i16_e32 vcc, s0, v2
	s_and_saveexec_b64 s[0:1], vcc
	s_xor_b64 s[0:1], exec, s[0:1]
	s_cbranch_execz .LBB30_576
; %bb.556:
	s_movk_i32 s28, 0x80
	v_cmp_ne_u16_e32 vcc, s28, v2
	s_and_b64 s[28:29], vcc, exec
	s_andn2_saveexec_b64 s[0:1], s[0:1]
	s_cbranch_execnz .LBB30_577
.LBB30_557:
	s_or_b64 exec, exec, s[0:1]
	v_mov_b32_e32 v5, 0
	s_and_saveexec_b64 s[0:1], s[28:29]
	s_cbranch_execz .LBB30_559
.LBB30_558:
	v_lshlrev_b32_e32 v3, 24, v2
	v_and_b32_e32 v2, 0xffff, v2
	v_and_b32_e32 v5, 3, v2
	v_ffbh_u32_e32 v7, v5
	v_min_u32_e32 v7, 32, v7
	v_subrev_u32_e32 v8, 29, v7
	v_bfe_u32 v6, v2, 2, 5
	v_lshlrev_b32_e32 v2, v8, v2
	v_sub_u32_e32 v7, 30, v7
	v_and_b32_e32 v2, 3, v2
	v_cmp_eq_u32_e32 vcc, 0, v6
	v_and_b32_e32 v3, 0x80000000, v3
	s_nop 0
	v_cndmask_b32_e32 v6, v6, v7, vcc
	v_cndmask_b32_e32 v2, v5, v2, vcc
	v_mov_b32_e32 v5, 0x37800000
	v_lshlrev_b32_e32 v2, 21, v2
	v_lshl_add_u32 v5, v6, 23, v5
	v_or3_b32 v2, v3, v5, v2
	v_cvt_i32_f32_e32 v5, v2
.LBB30_559:
	s_or_b64 exec, exec, s[0:1]
	s_mov_b64 s[0:1], 0
	s_branch .LBB30_565
.LBB30_560:
	s_mov_b64 s[28:29], -1
                                        ; implicit-def: $vgpr5
	s_branch .LBB30_571
.LBB30_561:
	s_andn2_saveexec_b64 s[0:1], s[0:1]
	s_cbranch_execz .LBB30_546
.LBB30_562:
	v_cmp_ne_u16_e32 vcc, 0, v2
	s_andn2_b64 s[28:29], s[28:29], exec
	s_and_b64 s[34:35], vcc, exec
	s_or_b64 s[28:29], s[28:29], s[34:35]
	s_or_b64 exec, exec, s[0:1]
	v_mov_b32_e32 v5, 0
	s_and_saveexec_b64 s[0:1], s[28:29]
	s_cbranch_execnz .LBB30_547
	s_branch .LBB30_548
.LBB30_563:
	s_mov_b64 s[0:1], -1
                                        ; implicit-def: $vgpr5
	s_branch .LBB30_568
.LBB30_564:
	s_mov_b64 s[0:1], -1
                                        ; implicit-def: $vgpr5
.LBB30_565:
	s_and_b64 vcc, exec, s[0:1]
	s_cbranch_vccz .LBB30_567
; %bb.566:
	global_load_ubyte v2, v[0:1], off
	s_mov_b32 s0, 0x7f800000
	s_waitcnt vmcnt(0)
	v_lshlrev_b32_e32 v2, 24, v2
	v_and_b32_e32 v3, 0x7f000000, v2
	v_ffbh_u32_e32 v5, v3
	v_min_u32_e32 v5, 32, v5
	v_sub_u32_e64 v5, v5, 4 clamp
	v_lshlrev_b32_e32 v7, v5, v3
	v_lshlrev_b32_e32 v5, 23, v5
	v_lshrrev_b32_e32 v7, 4, v7
	v_add_u32_e32 v6, 0x1000000, v3
	v_sub_u32_e32 v5, v7, v5
	v_ashrrev_i32_e32 v6, 8, v6
	v_add_u32_e32 v5, 0x3c000000, v5
	v_and_or_b32 v5, v6, s0, v5
	v_cmp_ne_u32_e32 vcc, 0, v3
	s_brev_b32 s0, 1
	s_nop 0
	v_cndmask_b32_e32 v3, 0, v5, vcc
	v_and_or_b32 v2, v2, s0, v3
	v_cvt_i32_f32_e32 v5, v2
.LBB30_567:
	s_mov_b64 s[0:1], 0
.LBB30_568:
	s_andn2_b64 vcc, exec, s[0:1]
	s_cbranch_vccnz .LBB30_570
; %bb.569:
	global_load_ubyte v2, v[0:1], off
	s_movk_i32 s0, 0x7f00
	s_brev_b32 s1, 16
	s_waitcnt vmcnt(0)
	v_lshlrev_b16_e32 v3, 8, v2
	v_lshlrev_b32_e32 v2, 25, v2
	v_lshrrev_b32_e32 v5, 4, v2
	v_and_or_b32 v6, v3, s0, 0.5
	v_or_b32_e32 v5, 0x70000000, v5
	v_add_f32_e32 v6, -0.5, v6
	v_mul_f32_e32 v5, 0x7800000, v5
	v_cmp_gt_u32_e32 vcc, s1, v2
	v_bfe_i32 v3, v3, 0, 16
	s_brev_b32 s0, 1
	v_cndmask_b32_e32 v2, v5, v6, vcc
	v_and_or_b32 v2, v3, s0, v2
	v_cvt_i32_f32_e32 v5, v2
.LBB30_570:
	s_mov_b64 s[28:29], 0
	s_mov_b64 s[0:1], -1
.LBB30_571:
	s_andn2_b64 vcc, exec, s[28:29]
	s_cbranch_vccnz .LBB30_584
; %bb.572:
	s_cmp_gt_i32 s30, 14
	s_cbranch_scc0 .LBB30_575
; %bb.573:
	s_cmp_eq_u32 s30, 15
	s_cbranch_scc0 .LBB30_578
; %bb.574:
	global_load_ushort v2, v[0:1], off
	s_mov_b64 s[0:1], -1
	s_mov_b64 s[26:27], 0
	s_waitcnt vmcnt(0)
	v_lshlrev_b32_e32 v2, 16, v2
	v_cvt_i32_f32_e32 v5, v2
	s_branch .LBB30_579
.LBB30_575:
	s_mov_b64 s[28:29], -1
                                        ; implicit-def: $vgpr5
	s_branch .LBB30_580
.LBB30_576:
	s_andn2_saveexec_b64 s[0:1], s[0:1]
	s_cbranch_execz .LBB30_557
.LBB30_577:
	v_cmp_ne_u16_e32 vcc, 0, v2
	s_andn2_b64 s[28:29], s[28:29], exec
	s_and_b64 s[34:35], vcc, exec
	s_or_b64 s[28:29], s[28:29], s[34:35]
	s_or_b64 exec, exec, s[0:1]
	v_mov_b32_e32 v5, 0
	s_and_saveexec_b64 s[0:1], s[28:29]
	s_cbranch_execnz .LBB30_558
	s_branch .LBB30_559
.LBB30_578:
	s_mov_b64 s[26:27], -1
                                        ; implicit-def: $vgpr5
.LBB30_579:
	s_mov_b64 s[28:29], 0
.LBB30_580:
	s_and_b64 vcc, exec, s[28:29]
	s_cbranch_vccz .LBB30_584
; %bb.581:
	s_cmp_eq_u32 s30, 11
	s_cbranch_scc0 .LBB30_583
; %bb.582:
	global_load_ubyte v2, v[0:1], off
	s_mov_b64 s[0:1], -1
	s_mov_b64 s[26:27], 0
	s_waitcnt vmcnt(0)
	v_cmp_ne_u16_e32 vcc, 0, v2
	s_nop 1
	v_cndmask_b32_e64 v5, 0, 1, vcc
	s_branch .LBB30_584
.LBB30_583:
	s_mov_b64 s[26:27], -1
                                        ; implicit-def: $vgpr5
.LBB30_584:
	s_mov_b64 s[28:29], 0
.LBB30_585:
	s_and_b64 vcc, exec, s[28:29]
	s_cbranch_vccz .LBB30_634
; %bb.586:
	s_cmp_lt_i32 s30, 5
	s_cbranch_scc1 .LBB30_591
; %bb.587:
	s_cmp_lt_i32 s30, 8
	s_cbranch_scc1 .LBB30_592
	;; [unrolled: 3-line block ×3, first 2 shown]
; %bb.589:
	s_cmp_gt_i32 s30, 9
	s_cbranch_scc0 .LBB30_594
; %bb.590:
	global_load_dwordx2 v[2:3], v[0:1], off
	s_mov_b64 s[0:1], 0
	s_waitcnt vmcnt(0)
	v_cvt_i32_f64_e32 v5, v[2:3]
	s_branch .LBB30_595
.LBB30_591:
	s_mov_b64 s[0:1], -1
                                        ; implicit-def: $vgpr5
	s_branch .LBB30_613
.LBB30_592:
	s_mov_b64 s[0:1], -1
                                        ; implicit-def: $vgpr5
	s_branch .LBB30_601
.LBB30_593:
	s_mov_b64 s[0:1], -1
                                        ; implicit-def: $vgpr5
	s_branch .LBB30_598
.LBB30_594:
	s_mov_b64 s[0:1], -1
                                        ; implicit-def: $vgpr5
.LBB30_595:
	s_andn2_b64 vcc, exec, s[0:1]
	s_cbranch_vccnz .LBB30_597
; %bb.596:
	global_load_dword v2, v[0:1], off
	s_waitcnt vmcnt(0)
	v_cvt_i32_f32_e32 v5, v2
.LBB30_597:
	s_mov_b64 s[0:1], 0
.LBB30_598:
	s_andn2_b64 vcc, exec, s[0:1]
	s_cbranch_vccnz .LBB30_600
; %bb.599:
	global_load_dword v2, v[0:1], off
	s_waitcnt vmcnt(0)
	v_cvt_f32_f16_e32 v2, v2
	v_cvt_i32_f32_e32 v5, v2
.LBB30_600:
	s_mov_b64 s[0:1], 0
.LBB30_601:
	s_andn2_b64 vcc, exec, s[0:1]
	s_cbranch_vccnz .LBB30_612
; %bb.602:
	s_cmp_lt_i32 s30, 6
	s_cbranch_scc1 .LBB30_605
; %bb.603:
	s_cmp_gt_i32 s30, 6
	s_cbranch_scc0 .LBB30_606
; %bb.604:
	global_load_dwordx2 v[2:3], v[0:1], off
	s_mov_b64 s[0:1], 0
	s_waitcnt vmcnt(0)
	v_cvt_i32_f64_e32 v5, v[2:3]
	s_branch .LBB30_607
.LBB30_605:
	s_mov_b64 s[0:1], -1
                                        ; implicit-def: $vgpr5
	s_branch .LBB30_610
.LBB30_606:
	s_mov_b64 s[0:1], -1
                                        ; implicit-def: $vgpr5
.LBB30_607:
	s_andn2_b64 vcc, exec, s[0:1]
	s_cbranch_vccnz .LBB30_609
; %bb.608:
	global_load_dword v2, v[0:1], off
	s_waitcnt vmcnt(0)
	v_cvt_i32_f32_e32 v5, v2
.LBB30_609:
	s_mov_b64 s[0:1], 0
.LBB30_610:
	s_andn2_b64 vcc, exec, s[0:1]
	s_cbranch_vccnz .LBB30_612
; %bb.611:
	global_load_ushort v2, v[0:1], off
	s_waitcnt vmcnt(0)
	v_cvt_f32_f16_e32 v2, v2
	v_cvt_i32_f32_e32 v5, v2
.LBB30_612:
	s_mov_b64 s[0:1], 0
.LBB30_613:
	s_andn2_b64 vcc, exec, s[0:1]
	s_cbranch_vccnz .LBB30_633
; %bb.614:
	s_cmp_lt_i32 s30, 2
	s_cbranch_scc1 .LBB30_618
; %bb.615:
	s_cmp_lt_i32 s30, 3
	s_cbranch_scc1 .LBB30_619
; %bb.616:
	s_cmp_gt_i32 s30, 3
	s_cbranch_scc0 .LBB30_620
; %bb.617:
	global_load_dword v5, v[0:1], off
	s_mov_b64 s[0:1], 0
	s_branch .LBB30_621
.LBB30_618:
	s_mov_b64 s[0:1], -1
                                        ; implicit-def: $vgpr5
	s_branch .LBB30_627
.LBB30_619:
	s_mov_b64 s[0:1], -1
                                        ; implicit-def: $vgpr5
	s_branch .LBB30_624
.LBB30_620:
	s_mov_b64 s[0:1], -1
                                        ; implicit-def: $vgpr5
.LBB30_621:
	s_andn2_b64 vcc, exec, s[0:1]
	s_cbranch_vccnz .LBB30_623
; %bb.622:
	global_load_dword v5, v[0:1], off
.LBB30_623:
	s_mov_b64 s[0:1], 0
.LBB30_624:
	s_andn2_b64 vcc, exec, s[0:1]
	s_cbranch_vccnz .LBB30_626
; %bb.625:
	global_load_sshort v5, v[0:1], off
.LBB30_626:
	s_mov_b64 s[0:1], 0
.LBB30_627:
	s_andn2_b64 vcc, exec, s[0:1]
	s_cbranch_vccnz .LBB30_633
; %bb.628:
	s_cmp_gt_i32 s30, 0
	s_cbranch_scc0 .LBB30_630
; %bb.629:
	global_load_sbyte v5, v[0:1], off
	s_mov_b64 s[0:1], 0
	s_branch .LBB30_631
.LBB30_630:
	s_mov_b64 s[0:1], -1
                                        ; implicit-def: $vgpr5
.LBB30_631:
	s_andn2_b64 vcc, exec, s[0:1]
	s_cbranch_vccnz .LBB30_633
; %bb.632:
	global_load_ubyte v5, v[0:1], off
.LBB30_633:
	s_mov_b64 s[0:1], -1
.LBB30_634:
	s_andn2_b64 vcc, exec, s[0:1]
	s_cbranch_vccnz .LBB30_642
; %bb.635:
	v_mul_lo_u32 v2, v4, s8
	v_ashrrev_i32_e32 v3, 31, v2
	s_and_b32 s36, s33, 0xff
	s_waitcnt vmcnt(0)
	v_not_b32_e32 v0, v5
	s_cmp_lt_i32 s36, 11
	v_lshl_add_u64 v[2:3], s[4:5], 0, v[2:3]
	s_cbranch_scc1 .LBB30_643
; %bb.636:
	s_and_b32 s37, 0xffff, s36
	s_cmp_gt_i32 s37, 25
	s_cbranch_scc0 .LBB30_644
; %bb.637:
	s_cmp_gt_i32 s37, 28
	s_cbranch_scc0 .LBB30_645
; %bb.638:
	;; [unrolled: 3-line block ×4, first 2 shown]
	s_mov_b64 s[30:31], 0
	s_mov_b64 s[0:1], -1
	s_cmp_eq_u32 s37, 46
	s_mov_b64 s[28:29], 0
	s_cbranch_scc0 .LBB30_648
; %bb.641:
	v_cvt_f32_i32_e32 v1, v0
	s_movk_i32 s0, 0x7fff
	s_mov_b64 s[28:29], -1
	v_bfe_u32 v6, v1, 16, 1
	v_add3_u32 v1, v1, v6, s0
	v_lshrrev_b32_e32 v1, 16, v1
	global_store_dword v[2:3], v1, off
	s_mov_b64 s[0:1], 0
	s_branch .LBB30_648
.LBB30_642:
	s_mov_b64 s[30:31], 0
                                        ; implicit-def: $vgpr4
	s_mov_b64 s[0:1], s[20:21]
	s_branch .LBB30_759
.LBB30_643:
	s_mov_b64 s[30:31], -1
	s_mov_b64 s[28:29], 0
	s_mov_b64 s[0:1], s[20:21]
	s_branch .LBB30_717
.LBB30_644:
	s_mov_b64 s[30:31], -1
	s_mov_b64 s[28:29], 0
	s_mov_b64 s[0:1], s[20:21]
	s_branch .LBB30_675
.LBB30_645:
	s_mov_b64 s[30:31], -1
	s_mov_b64 s[28:29], 0
	s_mov_b64 s[0:1], s[20:21]
	s_branch .LBB30_658
.LBB30_646:
	s_mov_b64 s[30:31], -1
	s_mov_b64 s[28:29], 0
	s_mov_b64 s[0:1], s[20:21]
	s_branch .LBB30_654
.LBB30_647:
	s_mov_b64 s[30:31], -1
	s_mov_b64 s[28:29], 0
	s_mov_b64 s[0:1], s[20:21]
.LBB30_648:
	s_and_b64 vcc, exec, s[30:31]
	s_cbranch_vccz .LBB30_653
; %bb.649:
	s_cmp_eq_u32 s37, 44
	s_mov_b64 s[0:1], -1
	s_cbranch_scc0 .LBB30_653
; %bb.650:
	v_cvt_f32_i32_e32 v1, v0
	s_movk_i32 s0, 0xff
	v_mov_b32_e32 v7, 0xff
	v_bfe_u32 v6, v1, 23, 8
	v_cmp_ne_u32_e32 vcc, s0, v6
	s_and_saveexec_b64 s[28:29], vcc
; %bb.651:
	s_mov_b32 s0, 0x3fffff
	v_lshrrev_b32_e32 v7, 23, v1
	v_and_b32_e32 v8, 0x400000, v1
	v_and_or_b32 v1, v1, s0, v6
	v_cmp_ne_u32_e32 vcc, 0, v8
	v_cmp_ne_u32_e64 s[0:1], 0, v1
	s_and_b64 s[0:1], vcc, s[0:1]
	s_nop 0
	v_cndmask_b32_e64 v1, 0, 1, s[0:1]
	v_add_u32_e32 v7, v7, v1
; %bb.652:
	s_or_b64 exec, exec, s[28:29]
	s_mov_b64 s[28:29], -1
	s_mov_b64 s[0:1], 0
	global_store_byte v[2:3], v7, off
.LBB30_653:
	s_mov_b64 s[30:31], 0
.LBB30_654:
	s_and_b64 vcc, exec, s[30:31]
	s_cbranch_vccz .LBB30_657
; %bb.655:
	s_cmp_eq_u32 s37, 29
	s_mov_b64 s[0:1], -1
	s_cbranch_scc0 .LBB30_657
; %bb.656:
	v_ashrrev_i32_e32 v1, 31, v0
	global_store_dwordx2 v[2:3], v[0:1], off
	s_mov_b64 s[28:29], -1
	s_mov_b64 s[0:1], 0
.LBB30_657:
	s_mov_b64 s[30:31], 0
.LBB30_658:
	s_and_b64 vcc, exec, s[30:31]
	s_cbranch_vccz .LBB30_674
; %bb.659:
	s_cmp_lt_i32 s37, 27
	s_mov_b64 s[28:29], -1
	s_cbranch_scc1 .LBB30_665
; %bb.660:
	s_cmp_gt_i32 s37, 27
	s_cbranch_scc0 .LBB30_662
; %bb.661:
	s_mov_b64 s[28:29], 0
	global_store_dword v[2:3], v0, off
.LBB30_662:
	s_andn2_b64 vcc, exec, s[28:29]
	s_cbranch_vccnz .LBB30_664
; %bb.663:
	global_store_short v[2:3], v0, off
.LBB30_664:
	s_mov_b64 s[28:29], 0
.LBB30_665:
	s_andn2_b64 vcc, exec, s[28:29]
	s_cbranch_vccnz .LBB30_673
; %bb.666:
	v_cvt_f32_i32_e32 v1, v0
	s_mov_b32 s28, 0x43800000
	v_mov_b32_e32 v7, 0x80
	v_and_b32_e32 v6, 0x7fffffff, v1
	v_cmp_gt_u32_e32 vcc, s28, v6
	s_and_saveexec_b64 s[28:29], vcc
	s_cbranch_execz .LBB30_672
; %bb.667:
	s_mov_b32 s30, 0x3bffffff
	v_cmp_lt_u32_e32 vcc, s30, v6
	s_mov_b64 s[30:31], 0
                                        ; implicit-def: $vgpr6
	s_and_saveexec_b64 s[34:35], vcc
	s_xor_b64 s[34:35], exec, s[34:35]
	s_cbranch_execz .LBB30_773
; %bb.668:
	v_bfe_u32 v6, v1, 20, 1
	s_mov_b32 s39, 0x487ffff
	v_add3_u32 v6, v1, v6, s39
	s_mov_b64 s[30:31], exec
	v_lshrrev_b32_e32 v6, 20, v6
	s_andn2_saveexec_b64 s[34:35], s[34:35]
	s_cbranch_execnz .LBB30_774
.LBB30_669:
	s_or_b64 exec, exec, s[34:35]
	v_mov_b32_e32 v7, 0
	s_and_saveexec_b64 s[34:35], s[30:31]
.LBB30_670:
	v_lshrrev_b32_e32 v1, 24, v1
	s_movk_i32 s30, 0x80
	v_and_or_b32 v7, v1, s30, v6
.LBB30_671:
	s_or_b64 exec, exec, s[34:35]
.LBB30_672:
	s_or_b64 exec, exec, s[28:29]
	global_store_byte v[2:3], v7, off
.LBB30_673:
	s_mov_b64 s[28:29], -1
.LBB30_674:
	s_mov_b64 s[30:31], 0
.LBB30_675:
	s_and_b64 vcc, exec, s[30:31]
	s_cbranch_vccz .LBB30_716
; %bb.676:
	s_cmp_gt_i32 s37, 22
	s_mov_b64 s[30:31], -1
	s_cbranch_scc0 .LBB30_708
; %bb.677:
	s_cmp_lt_i32 s37, 24
	s_mov_b64 s[28:29], -1
	s_cbranch_scc1 .LBB30_697
; %bb.678:
	s_cmp_gt_i32 s37, 24
	s_cbranch_scc0 .LBB30_686
; %bb.679:
	v_cvt_f32_i32_e32 v1, v0
	s_mov_b32 s28, 0x47800000
	v_mov_b32_e32 v7, 0x80
	v_and_b32_e32 v6, 0x7fffffff, v1
	v_cmp_gt_u32_e32 vcc, s28, v6
	s_and_saveexec_b64 s[28:29], vcc
	s_cbranch_execz .LBB30_685
; %bb.680:
	s_mov_b32 s30, 0x37ffffff
	v_cmp_lt_u32_e32 vcc, s30, v6
	s_mov_b64 s[30:31], 0
                                        ; implicit-def: $vgpr6
	s_and_saveexec_b64 s[34:35], vcc
	s_xor_b64 s[34:35], exec, s[34:35]
	s_cbranch_execz .LBB30_776
; %bb.681:
	v_bfe_u32 v6, v1, 21, 1
	s_mov_b32 s39, 0x88fffff
	v_add3_u32 v6, v1, v6, s39
	s_mov_b64 s[30:31], exec
	v_lshrrev_b32_e32 v6, 21, v6
	s_andn2_saveexec_b64 s[34:35], s[34:35]
	s_cbranch_execnz .LBB30_777
.LBB30_682:
	s_or_b64 exec, exec, s[34:35]
	v_mov_b32_e32 v7, 0
	s_and_saveexec_b64 s[34:35], s[30:31]
.LBB30_683:
	v_lshrrev_b32_e32 v1, 24, v1
	s_movk_i32 s30, 0x80
	v_and_or_b32 v7, v1, s30, v6
.LBB30_684:
	s_or_b64 exec, exec, s[34:35]
.LBB30_685:
	s_or_b64 exec, exec, s[28:29]
	s_mov_b64 s[28:29], 0
	global_store_byte v[2:3], v7, off
.LBB30_686:
	s_and_b64 vcc, exec, s[28:29]
	s_cbranch_vccz .LBB30_696
; %bb.687:
	v_cvt_f32_i32_e32 v1, v0
	s_mov_b32 s28, 0x43f00000
                                        ; implicit-def: $vgpr6
	v_and_b32_e32 v7, 0x7fffffff, v1
	v_cmp_gt_u32_e32 vcc, s28, v7
	s_and_saveexec_b64 s[28:29], vcc
	s_xor_b64 s[28:29], exec, s[28:29]
	s_cbranch_execz .LBB30_693
; %bb.688:
	s_mov_b32 s30, 0x3c7fffff
	v_cmp_lt_u32_e32 vcc, s30, v7
                                        ; implicit-def: $vgpr6
	s_and_saveexec_b64 s[30:31], vcc
	s_xor_b64 s[30:31], exec, s[30:31]
; %bb.689:
	v_bfe_u32 v6, v1, 20, 1
	s_mov_b32 s34, 0x407ffff
	v_add3_u32 v6, v1, v6, s34
	v_lshrrev_b32_e32 v7, 20, v6
	v_and_b32_e32 v6, 0xff00000, v6
	s_mov_b32 s34, 0x7f00000
	v_mov_b32_e32 v8, 0x7e
	v_cmp_ne_u32_e32 vcc, s34, v6
	s_nop 1
	v_cndmask_b32_e32 v6, v8, v7, vcc
; %bb.690:
	s_andn2_saveexec_b64 s[30:31], s[30:31]
; %bb.691:
	s_mov_b32 s34, 0x46800000
	v_add_f32_e64 v6, |v1|, s34
; %bb.692:
	s_or_b64 exec, exec, s[30:31]
                                        ; implicit-def: $vgpr7
.LBB30_693:
	s_andn2_saveexec_b64 s[28:29], s[28:29]
; %bb.694:
	s_mov_b32 s30, 0x7f800000
	v_mov_b32_e32 v6, 0x7e
	v_mov_b32_e32 v8, 0x7f
	v_cmp_lt_u32_e32 vcc, s30, v7
	s_nop 1
	v_cndmask_b32_e32 v6, v6, v8, vcc
; %bb.695:
	s_or_b64 exec, exec, s[28:29]
	v_lshrrev_b32_e32 v1, 24, v1
	s_movk_i32 s28, 0x80
	v_and_or_b32 v1, v1, s28, v6
	global_store_byte v[2:3], v1, off
.LBB30_696:
	s_mov_b64 s[28:29], 0
.LBB30_697:
	s_andn2_b64 vcc, exec, s[28:29]
	s_cbranch_vccnz .LBB30_707
; %bb.698:
	v_cvt_f32_i32_e32 v1, v0
	s_mov_b32 s28, 0x47800000
                                        ; implicit-def: $vgpr6
	v_and_b32_e32 v7, 0x7fffffff, v1
	v_cmp_gt_u32_e32 vcc, s28, v7
	s_and_saveexec_b64 s[28:29], vcc
	s_xor_b64 s[28:29], exec, s[28:29]
	s_cbranch_execz .LBB30_704
; %bb.699:
	s_mov_b32 s30, 0x387fffff
	v_cmp_lt_u32_e32 vcc, s30, v7
                                        ; implicit-def: $vgpr6
	s_and_saveexec_b64 s[30:31], vcc
	s_xor_b64 s[30:31], exec, s[30:31]
; %bb.700:
	v_bfe_u32 v6, v1, 21, 1
	s_mov_b32 s34, 0x80fffff
	v_add3_u32 v6, v1, v6, s34
	v_lshrrev_b32_e32 v6, 21, v6
; %bb.701:
	s_andn2_saveexec_b64 s[30:31], s[30:31]
; %bb.702:
	s_mov_b32 s34, 0x43000000
	v_add_f32_e64 v6, |v1|, s34
; %bb.703:
	s_or_b64 exec, exec, s[30:31]
                                        ; implicit-def: $vgpr7
.LBB30_704:
	s_andn2_saveexec_b64 s[28:29], s[28:29]
; %bb.705:
	s_mov_b32 s30, 0x7f800000
	v_mov_b32_e32 v6, 0x7c
	v_mov_b32_e32 v8, 0x7f
	v_cmp_lt_u32_e32 vcc, s30, v7
	s_nop 1
	v_cndmask_b32_e32 v6, v6, v8, vcc
; %bb.706:
	s_or_b64 exec, exec, s[28:29]
	v_lshrrev_b32_e32 v1, 24, v1
	s_movk_i32 s28, 0x80
	v_and_or_b32 v1, v1, s28, v6
	global_store_byte v[2:3], v1, off
.LBB30_707:
	s_mov_b64 s[30:31], 0
	s_mov_b64 s[28:29], -1
.LBB30_708:
	s_andn2_b64 vcc, exec, s[30:31]
	s_cbranch_vccnz .LBB30_716
; %bb.709:
	s_cmp_gt_i32 s37, 14
	s_mov_b64 s[30:31], -1
	s_cbranch_scc0 .LBB30_713
; %bb.710:
	s_cmp_eq_u32 s37, 15
	s_mov_b64 s[0:1], -1
	s_cbranch_scc0 .LBB30_712
; %bb.711:
	v_cvt_f32_i32_e32 v1, v0
	s_movk_i32 s0, 0x7fff
	s_mov_b64 s[28:29], -1
	v_bfe_u32 v6, v1, 16, 1
	v_add3_u32 v1, v1, v6, s0
	global_store_short_d16_hi v[2:3], v1, off
	s_mov_b64 s[0:1], 0
.LBB30_712:
	s_mov_b64 s[30:31], 0
.LBB30_713:
	s_and_b64 vcc, exec, s[30:31]
	s_cbranch_vccz .LBB30_716
; %bb.714:
	s_cmp_eq_u32 s37, 11
	s_mov_b64 s[0:1], -1
	s_cbranch_scc0 .LBB30_716
; %bb.715:
	v_cmp_ne_u32_e32 vcc, -1, v5
	s_mov_b64 s[28:29], -1
	s_mov_b64 s[0:1], 0
	v_cndmask_b32_e64 v1, 0, 1, vcc
	global_store_byte v[2:3], v1, off
.LBB30_716:
	s_mov_b64 s[30:31], 0
.LBB30_717:
	s_and_b64 vcc, exec, s[30:31]
	s_cbranch_vccz .LBB30_756
; %bb.718:
	s_and_b32 s30, 0xffff, s36
	s_cmp_lt_i32 s30, 5
	s_mov_b64 s[28:29], -1
	s_cbranch_scc1 .LBB30_739
; %bb.719:
	s_cmp_lt_i32 s30, 8
	s_cbranch_scc1 .LBB30_729
; %bb.720:
	s_cmp_lt_i32 s30, 9
	s_cbranch_scc1 .LBB30_726
; %bb.721:
	s_cmp_gt_i32 s30, 9
	s_cbranch_scc0 .LBB30_723
; %bb.722:
	v_mov_b32_e32 v8, 0
	v_cvt_f64_i32_e32 v[6:7], v0
	v_mov_b32_e32 v9, v8
	s_mov_b64 s[28:29], 0
	global_store_dwordx4 v[2:3], v[6:9], off
.LBB30_723:
	s_andn2_b64 vcc, exec, s[28:29]
	s_cbranch_vccnz .LBB30_725
; %bb.724:
	v_cvt_f32_i32_e32 v6, v0
	v_mov_b32_e32 v7, 0
	global_store_dwordx2 v[2:3], v[6:7], off
.LBB30_725:
	s_mov_b64 s[28:29], 0
.LBB30_726:
	s_andn2_b64 vcc, exec, s[28:29]
	s_cbranch_vccnz .LBB30_728
; %bb.727:
	v_cvt_f32_i32_e32 v1, v0
	v_cvt_f16_f32_e32 v1, v1
	global_store_dword v[2:3], v1, off
.LBB30_728:
	s_mov_b64 s[28:29], 0
.LBB30_729:
	s_andn2_b64 vcc, exec, s[28:29]
	s_cbranch_vccnz .LBB30_738
; %bb.730:
	s_cmp_lt_i32 s30, 6
	s_mov_b64 s[28:29], -1
	s_cbranch_scc1 .LBB30_736
; %bb.731:
	s_cmp_gt_i32 s30, 6
	s_cbranch_scc0 .LBB30_733
; %bb.732:
	v_cvt_f64_i32_e32 v[6:7], v0
	s_mov_b64 s[28:29], 0
	global_store_dwordx2 v[2:3], v[6:7], off
.LBB30_733:
	s_andn2_b64 vcc, exec, s[28:29]
	s_cbranch_vccnz .LBB30_735
; %bb.734:
	v_cvt_f32_i32_e32 v1, v0
	global_store_dword v[2:3], v1, off
.LBB30_735:
	s_mov_b64 s[28:29], 0
.LBB30_736:
	s_andn2_b64 vcc, exec, s[28:29]
	s_cbranch_vccnz .LBB30_738
; %bb.737:
	v_cvt_f32_i32_e32 v1, v0
	v_cvt_f16_f32_e32 v1, v1
	global_store_short v[2:3], v1, off
.LBB30_738:
	s_mov_b64 s[28:29], 0
.LBB30_739:
	s_andn2_b64 vcc, exec, s[28:29]
	s_cbranch_vccnz .LBB30_755
; %bb.740:
	s_cmp_lt_i32 s30, 2
	s_mov_b64 s[28:29], -1
	s_cbranch_scc1 .LBB30_750
; %bb.741:
	s_cmp_lt_i32 s30, 3
	s_cbranch_scc1 .LBB30_747
; %bb.742:
	s_cmp_gt_i32 s30, 3
	s_cbranch_scc0 .LBB30_744
; %bb.743:
	v_ashrrev_i32_e32 v1, 31, v0
	s_mov_b64 s[28:29], 0
	global_store_dwordx2 v[2:3], v[0:1], off
.LBB30_744:
	s_andn2_b64 vcc, exec, s[28:29]
	s_cbranch_vccnz .LBB30_746
; %bb.745:
	global_store_dword v[2:3], v0, off
.LBB30_746:
	s_mov_b64 s[28:29], 0
.LBB30_747:
	s_andn2_b64 vcc, exec, s[28:29]
	s_cbranch_vccnz .LBB30_749
; %bb.748:
	global_store_short v[2:3], v0, off
.LBB30_749:
	s_mov_b64 s[28:29], 0
.LBB30_750:
	s_andn2_b64 vcc, exec, s[28:29]
	s_cbranch_vccnz .LBB30_755
; %bb.751:
	s_cmp_gt_i32 s30, 0
	s_mov_b64 s[28:29], -1
	s_cbranch_scc0 .LBB30_753
; %bb.752:
	s_mov_b64 s[28:29], 0
	global_store_byte v[2:3], v0, off
.LBB30_753:
	s_andn2_b64 vcc, exec, s[28:29]
	s_cbranch_vccnz .LBB30_755
; %bb.754:
	global_store_byte v[2:3], v0, off
.LBB30_755:
	s_mov_b64 s[28:29], -1
.LBB30_756:
	s_andn2_b64 vcc, exec, s[28:29]
	s_cbranch_vccnz .LBB30_758
; %bb.757:
	v_add_u32_e32 v4, 0x80, v4
	s_mov_b64 s[30:31], -1
	s_branch .LBB30_759
.LBB30_758:
	s_mov_b64 s[30:31], 0
                                        ; implicit-def: $vgpr4
.LBB30_759:
	s_andn2_b64 s[28:29], s[20:21], exec
	s_and_b64 s[0:1], s[0:1], exec
	s_or_b64 s[28:29], s[28:29], s[0:1]
	s_andn2_b64 s[0:1], s[18:19], exec
	s_and_b64 s[26:27], s[26:27], exec
	s_or_b64 s[0:1], s[0:1], s[26:27]
	s_orn2_b64 s[34:35], s[30:31], exec
.LBB30_760:
	s_or_b64 exec, exec, s[24:25]
	s_mov_b64 s[30:31], 0
	s_mov_b64 s[26:27], 0
	;; [unrolled: 1-line block ×3, first 2 shown]
                                        ; implicit-def: $vgpr0_vgpr1
                                        ; implicit-def: $vgpr5
	s_and_saveexec_b64 s[24:25], s[34:35]
	s_cbranch_execz .LBB30_841
; %bb.761:
	v_cmp_gt_i32_e32 vcc, s38, v4
	s_mov_b64 s[34:35], 0
	s_mov_b64 s[38:39], s[0:1]
	;; [unrolled: 1-line block ×3, first 2 shown]
                                        ; implicit-def: $vgpr0_vgpr1
                                        ; implicit-def: $vgpr5
	s_and_saveexec_b64 s[26:27], vcc
	s_cbranch_execz .LBB30_840
; %bb.762:
	v_mul_lo_u32 v0, v4, s9
	v_ashrrev_i32_e32 v1, 31, v0
	s_and_b32 s40, 0xffff, s42
	s_cmp_lt_i32 s40, 11
	v_lshl_add_u64 v[0:1], s[6:7], 0, v[0:1]
	s_cbranch_scc1 .LBB30_769
; %bb.763:
	s_cmp_gt_i32 s40, 25
	s_cbranch_scc0 .LBB30_770
; %bb.764:
	s_cmp_gt_i32 s40, 28
	s_cbranch_scc0 .LBB30_771
	;; [unrolled: 3-line block ×4, first 2 shown]
; %bb.767:
	s_cmp_eq_u32 s40, 46
	s_mov_b64 s[38:39], 0
	s_cbranch_scc0 .LBB30_778
; %bb.768:
	global_load_dword v2, v[0:1], off
	s_mov_b64 s[36:37], -1
	s_waitcnt vmcnt(0)
	v_lshlrev_b32_e32 v2, 16, v2
	v_cvt_i32_f32_e32 v5, v2
	s_branch .LBB30_780
.LBB30_769:
	s_mov_b64 s[38:39], -1
                                        ; implicit-def: $vgpr5
	s_mov_b64 s[30:31], s[0:1]
	s_branch .LBB30_839
.LBB30_770:
	s_mov_b64 s[38:39], -1
	s_mov_b64 s[30:31], s[0:1]
                                        ; implicit-def: $vgpr5
	s_branch .LBB30_807
.LBB30_771:
	s_mov_b64 s[38:39], -1
	s_mov_b64 s[30:31], s[0:1]
                                        ; implicit-def: $vgpr5
	s_branch .LBB30_790
.LBB30_772:
	s_mov_b64 s[38:39], -1
	s_mov_b64 s[30:31], s[0:1]
                                        ; implicit-def: $vgpr5
	s_branch .LBB30_785
.LBB30_773:
	s_andn2_saveexec_b64 s[34:35], s[34:35]
	s_cbranch_execz .LBB30_669
.LBB30_774:
	s_mov_b32 s39, 0x46000000
	v_add_f32_e64 v6, |v1|, s39
	v_and_b32_e32 v6, 0xff, v6
	v_cmp_ne_u32_e32 vcc, 0, v6
	s_andn2_b64 s[30:31], s[30:31], exec
	s_and_b64 s[40:41], vcc, exec
	s_or_b64 s[30:31], s[30:31], s[40:41]
	s_or_b64 exec, exec, s[34:35]
	v_mov_b32_e32 v7, 0
	s_and_saveexec_b64 s[34:35], s[30:31]
	s_cbranch_execnz .LBB30_670
	s_branch .LBB30_671
.LBB30_775:
	s_mov_b64 s[38:39], -1
	s_mov_b64 s[30:31], s[0:1]
	s_branch .LBB30_779
.LBB30_776:
	s_andn2_saveexec_b64 s[34:35], s[34:35]
	s_cbranch_execz .LBB30_682
.LBB30_777:
	s_mov_b32 s39, 0x42800000
	v_add_f32_e64 v6, |v1|, s39
	v_and_b32_e32 v6, 0xff, v6
	v_cmp_ne_u32_e32 vcc, 0, v6
	s_andn2_b64 s[30:31], s[30:31], exec
	s_and_b64 s[40:41], vcc, exec
	s_or_b64 s[30:31], s[30:31], s[40:41]
	s_or_b64 exec, exec, s[34:35]
	v_mov_b32_e32 v7, 0
	s_and_saveexec_b64 s[34:35], s[30:31]
	s_cbranch_execnz .LBB30_683
	s_branch .LBB30_684
.LBB30_778:
	s_mov_b64 s[30:31], -1
.LBB30_779:
                                        ; implicit-def: $vgpr5
.LBB30_780:
	s_and_b64 vcc, exec, s[38:39]
	s_cbranch_vccz .LBB30_784
; %bb.781:
	s_cmp_eq_u32 s40, 44
	s_cbranch_scc0 .LBB30_783
; %bb.782:
	global_load_ubyte v2, v[0:1], off
	s_mov_b64 s[30:31], 0
	s_mov_b64 s[36:37], -1
	s_waitcnt vmcnt(0)
	v_lshlrev_b32_e32 v3, 23, v2
	v_cvt_i32_f32_e32 v3, v3
	v_cmp_ne_u32_e32 vcc, 0, v2
	s_nop 1
	v_cndmask_b32_e32 v5, 0, v3, vcc
	s_branch .LBB30_784
.LBB30_783:
	s_mov_b64 s[30:31], -1
                                        ; implicit-def: $vgpr5
.LBB30_784:
	s_mov_b64 s[38:39], 0
.LBB30_785:
	s_and_b64 vcc, exec, s[38:39]
	s_cbranch_vccz .LBB30_789
; %bb.786:
	s_cmp_eq_u32 s40, 29
	s_cbranch_scc0 .LBB30_788
; %bb.787:
	global_load_dword v5, v[0:1], off
	s_mov_b64 s[30:31], 0
	s_mov_b64 s[36:37], -1
	s_branch .LBB30_789
.LBB30_788:
	s_mov_b64 s[30:31], -1
                                        ; implicit-def: $vgpr5
.LBB30_789:
	s_mov_b64 s[38:39], 0
.LBB30_790:
	s_and_b64 vcc, exec, s[38:39]
	s_cbranch_vccz .LBB30_806
; %bb.791:
	s_cmp_lt_i32 s40, 27
	s_cbranch_scc1 .LBB30_794
; %bb.792:
	s_cmp_gt_i32 s40, 27
	s_cbranch_scc0 .LBB30_795
; %bb.793:
	global_load_dword v5, v[0:1], off
	s_mov_b64 s[36:37], 0
	s_branch .LBB30_796
.LBB30_794:
	s_mov_b64 s[36:37], -1
                                        ; implicit-def: $vgpr5
	s_branch .LBB30_799
.LBB30_795:
	s_mov_b64 s[36:37], -1
                                        ; implicit-def: $vgpr5
.LBB30_796:
	s_andn2_b64 vcc, exec, s[36:37]
	s_cbranch_vccnz .LBB30_798
; %bb.797:
	global_load_ushort v5, v[0:1], off
.LBB30_798:
	s_mov_b64 s[36:37], 0
.LBB30_799:
	s_andn2_b64 vcc, exec, s[36:37]
	s_cbranch_vccnz .LBB30_805
; %bb.800:
	global_load_ubyte v2, v[0:1], off
	s_movk_i32 s36, 0x7f
	s_mov_b64 s[38:39], 0
	s_waitcnt vmcnt(0)
	v_cmp_lt_i16_e32 vcc, s36, v2
	s_and_saveexec_b64 s[36:37], vcc
	s_xor_b64 s[36:37], exec, s[36:37]
	s_cbranch_execz .LBB30_817
; %bb.801:
	s_movk_i32 s38, 0x80
	v_cmp_ne_u16_e32 vcc, s38, v2
	s_and_b64 s[38:39], vcc, exec
	s_andn2_saveexec_b64 s[36:37], s[36:37]
	s_cbranch_execnz .LBB30_818
.LBB30_802:
	s_or_b64 exec, exec, s[36:37]
	v_mov_b32_e32 v5, 0
	s_and_saveexec_b64 s[36:37], s[38:39]
	s_cbranch_execz .LBB30_804
.LBB30_803:
	v_lshlrev_b32_e32 v3, 24, v2
	v_and_b32_e32 v2, 0xffff, v2
	v_and_b32_e32 v5, 7, v2
	v_ffbh_u32_e32 v7, v5
	v_min_u32_e32 v7, 32, v7
	v_subrev_u32_e32 v8, 28, v7
	v_bfe_u32 v6, v2, 3, 4
	v_lshlrev_b32_e32 v2, v8, v2
	v_sub_u32_e32 v7, 29, v7
	v_and_b32_e32 v2, 7, v2
	v_cmp_eq_u32_e32 vcc, 0, v6
	v_and_b32_e32 v3, 0x80000000, v3
	s_nop 0
	v_cndmask_b32_e32 v6, v6, v7, vcc
	v_cndmask_b32_e32 v2, v5, v2, vcc
	v_mov_b32_e32 v5, 0x3b800000
	v_lshlrev_b32_e32 v2, 20, v2
	v_lshl_add_u32 v5, v6, 23, v5
	v_or3_b32 v2, v3, v5, v2
	v_cvt_i32_f32_e32 v5, v2
.LBB30_804:
	s_or_b64 exec, exec, s[36:37]
.LBB30_805:
	s_mov_b64 s[36:37], -1
.LBB30_806:
	s_mov_b64 s[38:39], 0
.LBB30_807:
	s_and_b64 vcc, exec, s[38:39]
	s_cbranch_vccz .LBB30_838
; %bb.808:
	s_cmp_gt_i32 s40, 22
	s_cbranch_scc0 .LBB30_816
; %bb.809:
	s_cmp_lt_i32 s40, 24
	s_cbranch_scc1 .LBB30_819
; %bb.810:
	s_cmp_gt_i32 s40, 24
	s_cbranch_scc0 .LBB30_820
; %bb.811:
	global_load_ubyte v2, v[0:1], off
	s_movk_i32 s34, 0x7f
	s_mov_b64 s[36:37], 0
	s_waitcnt vmcnt(0)
	v_cmp_lt_i16_e32 vcc, s34, v2
	s_and_saveexec_b64 s[34:35], vcc
	s_xor_b64 s[34:35], exec, s[34:35]
	s_cbranch_execz .LBB30_832
; %bb.812:
	s_movk_i32 s36, 0x80
	v_cmp_ne_u16_e32 vcc, s36, v2
	s_and_b64 s[36:37], vcc, exec
	s_andn2_saveexec_b64 s[34:35], s[34:35]
	s_cbranch_execnz .LBB30_833
.LBB30_813:
	s_or_b64 exec, exec, s[34:35]
	v_mov_b32_e32 v5, 0
	s_and_saveexec_b64 s[34:35], s[36:37]
	s_cbranch_execz .LBB30_815
.LBB30_814:
	v_lshlrev_b32_e32 v3, 24, v2
	v_and_b32_e32 v2, 0xffff, v2
	v_and_b32_e32 v5, 3, v2
	v_ffbh_u32_e32 v7, v5
	v_min_u32_e32 v7, 32, v7
	v_subrev_u32_e32 v8, 29, v7
	v_bfe_u32 v6, v2, 2, 5
	v_lshlrev_b32_e32 v2, v8, v2
	v_sub_u32_e32 v7, 30, v7
	v_and_b32_e32 v2, 3, v2
	v_cmp_eq_u32_e32 vcc, 0, v6
	v_and_b32_e32 v3, 0x80000000, v3
	s_nop 0
	v_cndmask_b32_e32 v6, v6, v7, vcc
	v_cndmask_b32_e32 v2, v5, v2, vcc
	v_mov_b32_e32 v5, 0x37800000
	v_lshlrev_b32_e32 v2, 21, v2
	v_lshl_add_u32 v5, v6, 23, v5
	v_or3_b32 v2, v3, v5, v2
	v_cvt_i32_f32_e32 v5, v2
.LBB30_815:
	s_or_b64 exec, exec, s[34:35]
	s_mov_b64 s[34:35], 0
	s_branch .LBB30_821
.LBB30_816:
	s_mov_b64 s[34:35], -1
                                        ; implicit-def: $vgpr5
	s_branch .LBB30_827
.LBB30_817:
	s_andn2_saveexec_b64 s[36:37], s[36:37]
	s_cbranch_execz .LBB30_802
.LBB30_818:
	v_cmp_ne_u16_e32 vcc, 0, v2
	s_andn2_b64 s[38:39], s[38:39], exec
	s_and_b64 s[44:45], vcc, exec
	s_or_b64 s[38:39], s[38:39], s[44:45]
	s_or_b64 exec, exec, s[36:37]
	v_mov_b32_e32 v5, 0
	s_and_saveexec_b64 s[36:37], s[38:39]
	s_cbranch_execnz .LBB30_803
	s_branch .LBB30_804
.LBB30_819:
	s_mov_b64 s[34:35], -1
                                        ; implicit-def: $vgpr5
	s_branch .LBB30_824
.LBB30_820:
	s_mov_b64 s[34:35], -1
                                        ; implicit-def: $vgpr5
.LBB30_821:
	s_and_b64 vcc, exec, s[34:35]
	s_cbranch_vccz .LBB30_823
; %bb.822:
	global_load_ubyte v2, v[0:1], off
	s_mov_b32 s34, 0x7f800000
	s_waitcnt vmcnt(0)
	v_lshlrev_b32_e32 v2, 24, v2
	v_and_b32_e32 v3, 0x7f000000, v2
	v_ffbh_u32_e32 v5, v3
	v_min_u32_e32 v5, 32, v5
	v_sub_u32_e64 v5, v5, 4 clamp
	v_lshlrev_b32_e32 v7, v5, v3
	v_lshlrev_b32_e32 v5, 23, v5
	v_lshrrev_b32_e32 v7, 4, v7
	v_add_u32_e32 v6, 0x1000000, v3
	v_sub_u32_e32 v5, v7, v5
	v_ashrrev_i32_e32 v6, 8, v6
	v_add_u32_e32 v5, 0x3c000000, v5
	v_and_or_b32 v5, v6, s34, v5
	v_cmp_ne_u32_e32 vcc, 0, v3
	s_brev_b32 s34, 1
	s_nop 0
	v_cndmask_b32_e32 v3, 0, v5, vcc
	v_and_or_b32 v2, v2, s34, v3
	v_cvt_i32_f32_e32 v5, v2
.LBB30_823:
	s_mov_b64 s[34:35], 0
.LBB30_824:
	s_andn2_b64 vcc, exec, s[34:35]
	s_cbranch_vccnz .LBB30_826
; %bb.825:
	global_load_ubyte v2, v[0:1], off
	s_movk_i32 s34, 0x7f00
	s_brev_b32 s35, 16
	s_waitcnt vmcnt(0)
	v_lshlrev_b16_e32 v3, 8, v2
	v_lshlrev_b32_e32 v2, 25, v2
	v_lshrrev_b32_e32 v5, 4, v2
	v_and_or_b32 v6, v3, s34, 0.5
	v_or_b32_e32 v5, 0x70000000, v5
	v_add_f32_e32 v6, -0.5, v6
	v_mul_f32_e32 v5, 0x7800000, v5
	v_cmp_gt_u32_e32 vcc, s35, v2
	v_bfe_i32 v3, v3, 0, 16
	s_brev_b32 s34, 1
	v_cndmask_b32_e32 v2, v5, v6, vcc
	v_and_or_b32 v2, v3, s34, v2
	v_cvt_i32_f32_e32 v5, v2
.LBB30_826:
	s_mov_b64 s[34:35], 0
	s_mov_b64 s[36:37], -1
.LBB30_827:
	s_andn2_b64 vcc, exec, s[34:35]
	s_mov_b64 s[34:35], 0
	s_cbranch_vccnz .LBB30_838
; %bb.828:
	s_cmp_gt_i32 s40, 14
	s_cbranch_scc0 .LBB30_831
; %bb.829:
	s_cmp_eq_u32 s40, 15
	s_cbranch_scc0 .LBB30_834
; %bb.830:
	global_load_ushort v2, v[0:1], off
	s_mov_b64 s[30:31], 0
	s_mov_b64 s[36:37], -1
	s_waitcnt vmcnt(0)
	v_lshlrev_b32_e32 v2, 16, v2
	v_cvt_i32_f32_e32 v5, v2
	s_branch .LBB30_835
.LBB30_831:
	s_mov_b64 s[38:39], -1
                                        ; implicit-def: $vgpr5
	s_branch .LBB30_836
.LBB30_832:
	s_andn2_saveexec_b64 s[34:35], s[34:35]
	s_cbranch_execz .LBB30_813
.LBB30_833:
	v_cmp_ne_u16_e32 vcc, 0, v2
	s_andn2_b64 s[36:37], s[36:37], exec
	s_and_b64 s[38:39], vcc, exec
	s_or_b64 s[36:37], s[36:37], s[38:39]
	s_or_b64 exec, exec, s[34:35]
	v_mov_b32_e32 v5, 0
	s_and_saveexec_b64 s[34:35], s[36:37]
	s_cbranch_execnz .LBB30_814
	s_branch .LBB30_815
.LBB30_834:
	s_mov_b64 s[30:31], -1
                                        ; implicit-def: $vgpr5
.LBB30_835:
	s_mov_b64 s[38:39], 0
.LBB30_836:
	s_and_b64 vcc, exec, s[38:39]
	s_cbranch_vccz .LBB30_838
; %bb.837:
	s_cmp_lg_u32 s40, 11
	s_cselect_b64 s[38:39], -1, 0
	s_andn2_b64 s[30:31], s[30:31], exec
	s_and_b64 s[38:39], s[38:39], exec
	s_mov_b64 s[34:35], -1
	s_or_b64 s[30:31], s[30:31], s[38:39]
.LBB30_838:
	s_mov_b64 s[38:39], 0
.LBB30_839:
	s_and_b64 s[40:41], s[38:39], exec
	s_andn2_b64 s[38:39], s[0:1], exec
	s_and_b64 s[30:31], s[30:31], exec
	s_and_b64 s[36:37], s[36:37], exec
	;; [unrolled: 1-line block ×3, first 2 shown]
	s_or_b64 s[38:39], s[38:39], s[30:31]
.LBB30_840:
	s_or_b64 exec, exec, s[26:27]
	s_and_b64 s[30:31], s[34:35], exec
	s_andn2_b64 s[0:1], s[0:1], exec
	s_and_b64 s[34:35], s[38:39], exec
	s_and_b64 s[36:37], s[36:37], exec
	;; [unrolled: 1-line block ×3, first 2 shown]
	s_or_b64 s[0:1], s[0:1], s[34:35]
.LBB30_841:
	s_or_b64 exec, exec, s[24:25]
	s_andn2_b64 s[20:21], s[20:21], exec
	s_and_b64 s[24:25], s[28:29], exec
	s_andn2_b64 s[18:19], s[18:19], exec
	s_and_b64 s[0:1], s[0:1], exec
	s_or_b64 s[20:21], s[20:21], s[24:25]
	s_and_b64 s[28:29], s[36:37], exec
	s_and_b64 s[26:27], s[26:27], exec
	;; [unrolled: 1-line block ×3, first 2 shown]
	s_or_b64 s[18:19], s[18:19], s[0:1]
.LBB30_842:
	s_or_b64 exec, exec, s[22:23]
	s_andn2_b64 s[0:1], s[12:13], exec
	s_and_b64 s[12:13], s[20:21], exec
	s_andn2_b64 s[14:15], s[14:15], exec
	s_and_b64 s[18:19], s[18:19], exec
	s_or_b64 s[12:13], s[0:1], s[12:13]
	s_and_b64 s[0:1], s[28:29], exec
	s_and_b64 s[22:23], s[26:27], exec
	;; [unrolled: 1-line block ×3, first 2 shown]
	s_or_b64 s[14:15], s[14:15], s[18:19]
	s_or_b64 exec, exec, s[16:17]
	s_mov_b64 s[16:17], 0
	s_and_saveexec_b64 s[18:19], s[14:15]
	s_cbranch_execz .LBB30_258
.LBB30_843:
	s_mov_b64 s[16:17], exec
	s_andn2_b64 s[20:21], s[20:21], exec
	s_trap 2
	s_or_b64 exec, exec, s[18:19]
	s_and_saveexec_b64 s[14:15], s[20:21]
	s_xor_b64 s[14:15], exec, s[14:15]
	s_cbranch_execnz .LBB30_259
.LBB30_844:
	s_or_b64 exec, exec, s[14:15]
	s_and_saveexec_b64 s[14:15], s[22:23]
	s_cbranch_execz .LBB30_890
.LBB30_845:
	s_sext_i32_i16 s18, s42
	s_cmp_lt_i32 s18, 5
	s_cbranch_scc1 .LBB30_850
; %bb.846:
	s_cmp_lt_i32 s18, 8
	s_cbranch_scc1 .LBB30_851
; %bb.847:
	s_cmp_lt_i32 s18, 9
	s_cbranch_scc1 .LBB30_852
; %bb.848:
	s_cmp_gt_i32 s18, 9
	s_cbranch_scc0 .LBB30_853
; %bb.849:
	global_load_dwordx2 v[2:3], v[0:1], off
	s_mov_b64 s[18:19], 0
	s_waitcnt vmcnt(0)
	v_cvt_i32_f64_e32 v5, v[2:3]
	s_branch .LBB30_854
.LBB30_850:
                                        ; implicit-def: $vgpr5
	s_branch .LBB30_871
.LBB30_851:
                                        ; implicit-def: $vgpr5
	s_branch .LBB30_860
.LBB30_852:
	s_mov_b64 s[18:19], -1
                                        ; implicit-def: $vgpr5
	s_branch .LBB30_857
.LBB30_853:
	s_mov_b64 s[18:19], -1
                                        ; implicit-def: $vgpr5
.LBB30_854:
	s_andn2_b64 vcc, exec, s[18:19]
	s_cbranch_vccnz .LBB30_856
; %bb.855:
	global_load_dword v2, v[0:1], off
	s_waitcnt vmcnt(0)
	v_cvt_i32_f32_e32 v5, v2
.LBB30_856:
	s_mov_b64 s[18:19], 0
.LBB30_857:
	s_andn2_b64 vcc, exec, s[18:19]
	s_cbranch_vccnz .LBB30_859
; %bb.858:
	global_load_dword v2, v[0:1], off
	s_waitcnt vmcnt(0)
	v_cvt_f32_f16_e32 v2, v2
	v_cvt_i32_f32_e32 v5, v2
.LBB30_859:
	s_cbranch_execnz .LBB30_870
.LBB30_860:
	s_sext_i32_i16 s18, s42
	s_cmp_lt_i32 s18, 6
	s_cbranch_scc1 .LBB30_863
; %bb.861:
	s_cmp_gt_i32 s18, 6
	s_cbranch_scc0 .LBB30_864
; %bb.862:
	global_load_dwordx2 v[2:3], v[0:1], off
	s_mov_b64 s[18:19], 0
	s_waitcnt vmcnt(0)
	v_cvt_i32_f64_e32 v5, v[2:3]
	s_branch .LBB30_865
.LBB30_863:
	s_mov_b64 s[18:19], -1
                                        ; implicit-def: $vgpr5
	s_branch .LBB30_868
.LBB30_864:
	s_mov_b64 s[18:19], -1
                                        ; implicit-def: $vgpr5
.LBB30_865:
	s_andn2_b64 vcc, exec, s[18:19]
	s_cbranch_vccnz .LBB30_867
; %bb.866:
	global_load_dword v2, v[0:1], off
	s_waitcnt vmcnt(0)
	v_cvt_i32_f32_e32 v5, v2
.LBB30_867:
	s_mov_b64 s[18:19], 0
.LBB30_868:
	s_andn2_b64 vcc, exec, s[18:19]
	s_cbranch_vccnz .LBB30_870
; %bb.869:
	global_load_ushort v2, v[0:1], off
	s_waitcnt vmcnt(0)
	v_cvt_f32_f16_e32 v2, v2
	v_cvt_i32_f32_e32 v5, v2
.LBB30_870:
	s_cbranch_execnz .LBB30_889
.LBB30_871:
	s_sext_i32_i16 s18, s42
	s_cmp_lt_i32 s18, 2
	s_cbranch_scc1 .LBB30_875
; %bb.872:
	s_cmp_lt_i32 s18, 3
	s_cbranch_scc1 .LBB30_876
; %bb.873:
	s_cmp_gt_i32 s18, 3
	s_cbranch_scc0 .LBB30_877
; %bb.874:
	global_load_dword v5, v[0:1], off
	s_mov_b64 s[18:19], 0
	s_branch .LBB30_878
.LBB30_875:
                                        ; implicit-def: $vgpr5
	s_branch .LBB30_884
.LBB30_876:
	s_mov_b64 s[18:19], -1
                                        ; implicit-def: $vgpr5
	s_branch .LBB30_881
.LBB30_877:
	s_mov_b64 s[18:19], -1
                                        ; implicit-def: $vgpr5
.LBB30_878:
	s_andn2_b64 vcc, exec, s[18:19]
	s_cbranch_vccnz .LBB30_880
; %bb.879:
	global_load_dword v5, v[0:1], off
.LBB30_880:
	s_mov_b64 s[18:19], 0
.LBB30_881:
	s_andn2_b64 vcc, exec, s[18:19]
	s_cbranch_vccnz .LBB30_883
; %bb.882:
	global_load_sshort v5, v[0:1], off
.LBB30_883:
	s_cbranch_execnz .LBB30_889
.LBB30_884:
	s_sext_i32_i16 s18, s42
	s_cmp_gt_i32 s18, 0
	s_cbranch_scc0 .LBB30_886
; %bb.885:
	global_load_sbyte v5, v[0:1], off
	s_mov_b64 s[18:19], 0
	s_branch .LBB30_887
.LBB30_886:
	s_mov_b64 s[18:19], -1
                                        ; implicit-def: $vgpr5
.LBB30_887:
	s_andn2_b64 vcc, exec, s[18:19]
	s_cbranch_vccnz .LBB30_889
; %bb.888:
	global_load_ubyte v5, v[0:1], off
.LBB30_889:
	s_or_b64 s[0:1], s[0:1], exec
.LBB30_890:
	s_or_b64 exec, exec, s[14:15]
	s_mov_b64 s[20:21], 0
	s_mov_b64 s[18:19], 0
                                        ; implicit-def: $sgpr26
                                        ; implicit-def: $vgpr2_vgpr3
                                        ; implicit-def: $vgpr0
	s_and_saveexec_b64 s[14:15], s[0:1]
	s_cbranch_execz .LBB30_898
; %bb.891:
	v_mul_lo_u32 v2, v4, s8
	v_ashrrev_i32_e32 v3, 31, v2
	s_and_b32 s26, s33, 0xff
	s_waitcnt vmcnt(0)
	v_not_b32_e32 v0, v5
	s_cmp_lt_i32 s26, 11
	v_lshl_add_u64 v[2:3], s[4:5], 0, v[2:3]
	s_cbranch_scc1 .LBB30_901
; %bb.892:
	s_and_b32 s27, 0xffff, s26
	s_mov_b64 s[20:21], -1
	s_cmp_gt_i32 s27, 25
	s_mov_b64 s[0:1], s[12:13]
	s_cbranch_scc0 .LBB30_929
; %bb.893:
	s_mov_b64 s[18:19], -1
	s_cmp_gt_i32 s27, 28
	s_mov_b64 s[0:1], s[12:13]
	s_cbranch_scc0 .LBB30_913
; %bb.894:
	s_cmp_gt_i32 s27, 43
	s_mov_b64 s[0:1], s[12:13]
	s_cbranch_scc0 .LBB30_909
; %bb.895:
	;; [unrolled: 4-line block ×3, first 2 shown]
	s_cmp_eq_u32 s27, 46
	s_mov_b64 s[0:1], -1
	s_cbranch_scc0 .LBB30_902
; %bb.897:
	v_cvt_f32_i32_e32 v1, v0
	s_movk_i32 s0, 0x7fff
	s_mov_b64 s[18:19], 0
	v_bfe_u32 v4, v1, 16, 1
	v_add3_u32 v1, v1, v4, s0
	v_lshrrev_b32_e32 v1, 16, v1
	global_store_dword v[2:3], v1, off
	s_mov_b64 s[0:1], 0
	s_branch .LBB30_903
.LBB30_898:
	s_or_b64 exec, exec, s[14:15]
	s_and_saveexec_b64 s[0:1], s[12:13]
	s_cbranch_execnz .LBB30_971
.LBB30_899:
	s_or_b64 exec, exec, s[0:1]
	s_and_saveexec_b64 s[0:1], s[20:21]
	s_xor_b64 s[0:1], exec, s[0:1]
	s_cbranch_execz .LBB30_972
.LBB30_900:
	s_waitcnt vmcnt(0)
	v_cmp_ne_u32_e32 vcc, -1, v5
	s_nop 1
	v_cndmask_b32_e64 v1, 0, 1, vcc
	global_store_byte v[2:3], v1, off
	s_or_b64 exec, exec, s[0:1]
	s_and_saveexec_b64 s[0:1], s[18:19]
	s_xor_b64 s[0:1], exec, s[0:1]
	s_cbranch_execz .LBB30_1010
	s_branch .LBB30_973
.LBB30_901:
	s_mov_b64 s[18:19], -1
	s_mov_b64 s[0:1], s[12:13]
	s_branch .LBB30_970
.LBB30_902:
	s_mov_b64 s[18:19], 0
.LBB30_903:
	s_and_b64 vcc, exec, s[18:19]
	s_cbranch_vccz .LBB30_908
; %bb.904:
	s_cmp_eq_u32 s27, 44
	s_mov_b64 s[0:1], -1
	s_cbranch_scc0 .LBB30_908
; %bb.905:
	v_cvt_f32_i32_e32 v1, v0
	s_movk_i32 s0, 0xff
	v_mov_b32_e32 v6, 0xff
	v_bfe_u32 v4, v1, 23, 8
	v_cmp_ne_u32_e32 vcc, s0, v4
	s_and_saveexec_b64 s[18:19], vcc
; %bb.906:
	s_mov_b32 s0, 0x3fffff
	v_lshrrev_b32_e32 v6, 23, v1
	v_and_b32_e32 v7, 0x400000, v1
	v_and_or_b32 v1, v1, s0, v4
	v_cmp_ne_u32_e32 vcc, 0, v7
	v_cmp_ne_u32_e64 s[0:1], 0, v1
	s_and_b64 s[0:1], vcc, s[0:1]
	s_nop 0
	v_cndmask_b32_e64 v1, 0, 1, s[0:1]
	v_add_u32_e32 v6, v6, v1
; %bb.907:
	s_or_b64 exec, exec, s[18:19]
	s_mov_b64 s[0:1], 0
	global_store_byte v[2:3], v6, off
.LBB30_908:
	s_mov_b64 s[18:19], 0
.LBB30_909:
	s_and_b64 vcc, exec, s[18:19]
	s_cbranch_vccz .LBB30_912
; %bb.910:
	s_cmp_eq_u32 s27, 29
	s_mov_b64 s[0:1], -1
	s_cbranch_scc0 .LBB30_912
; %bb.911:
	v_ashrrev_i32_e32 v1, 31, v0
	global_store_dwordx2 v[2:3], v[0:1], off
	s_mov_b64 s[0:1], 0
.LBB30_912:
	s_mov_b64 s[18:19], 0
.LBB30_913:
	s_and_b64 vcc, exec, s[18:19]
	s_cbranch_vccz .LBB30_928
; %bb.914:
	s_cmp_lt_i32 s27, 27
	s_mov_b64 s[18:19], -1
	s_cbranch_scc1 .LBB30_920
; %bb.915:
	s_cmp_gt_i32 s27, 27
	s_cbranch_scc0 .LBB30_917
; %bb.916:
	s_mov_b64 s[18:19], 0
	global_store_dword v[2:3], v0, off
.LBB30_917:
	s_andn2_b64 vcc, exec, s[18:19]
	s_cbranch_vccnz .LBB30_919
; %bb.918:
	global_store_short v[2:3], v0, off
.LBB30_919:
	s_mov_b64 s[18:19], 0
.LBB30_920:
	s_andn2_b64 vcc, exec, s[18:19]
	s_cbranch_vccnz .LBB30_928
; %bb.921:
	v_cvt_f32_i32_e32 v1, v0
	s_mov_b32 s18, 0x43800000
	v_mov_b32_e32 v6, 0x80
	v_and_b32_e32 v4, 0x7fffffff, v1
	v_cmp_gt_u32_e32 vcc, s18, v4
	s_and_saveexec_b64 s[18:19], vcc
	s_cbranch_execz .LBB30_927
; %bb.922:
	s_mov_b32 s20, 0x3bffffff
	v_cmp_lt_u32_e32 vcc, s20, v4
	s_mov_b64 s[20:21], 0
                                        ; implicit-def: $vgpr4
	s_and_saveexec_b64 s[22:23], vcc
	s_xor_b64 s[22:23], exec, s[22:23]
	s_cbranch_execz .LBB30_1025
; %bb.923:
	v_bfe_u32 v4, v1, 20, 1
	s_mov_b32 s24, 0x487ffff
	v_add3_u32 v4, v1, v4, s24
	s_mov_b64 s[20:21], exec
	v_lshrrev_b32_e32 v4, 20, v4
	s_andn2_saveexec_b64 s[22:23], s[22:23]
	s_cbranch_execnz .LBB30_1026
.LBB30_924:
	s_or_b64 exec, exec, s[22:23]
	v_mov_b32_e32 v6, 0
	s_and_saveexec_b64 s[22:23], s[20:21]
.LBB30_925:
	v_lshrrev_b32_e32 v1, 24, v1
	s_movk_i32 s20, 0x80
	v_and_or_b32 v6, v1, s20, v4
.LBB30_926:
	s_or_b64 exec, exec, s[22:23]
.LBB30_927:
	s_or_b64 exec, exec, s[18:19]
	global_store_byte v[2:3], v6, off
.LBB30_928:
	s_mov_b64 s[20:21], 0
.LBB30_929:
	s_mov_b64 s[18:19], 0
	s_and_b64 vcc, exec, s[20:21]
	s_cbranch_vccz .LBB30_969
; %bb.930:
	s_cmp_gt_i32 s27, 22
	s_mov_b64 s[20:21], -1
	s_cbranch_scc0 .LBB30_962
; %bb.931:
	s_cmp_lt_i32 s27, 24
	s_cbranch_scc1 .LBB30_951
; %bb.932:
	s_cmp_gt_i32 s27, 24
	s_cbranch_scc0 .LBB30_940
; %bb.933:
	v_cvt_f32_i32_e32 v1, v0
	s_mov_b32 s20, 0x47800000
	v_mov_b32_e32 v6, 0x80
	v_and_b32_e32 v4, 0x7fffffff, v1
	v_cmp_gt_u32_e32 vcc, s20, v4
	s_and_saveexec_b64 s[20:21], vcc
	s_cbranch_execz .LBB30_939
; %bb.934:
	s_mov_b32 s22, 0x37ffffff
	v_cmp_lt_u32_e32 vcc, s22, v4
	s_mov_b64 s[22:23], 0
                                        ; implicit-def: $vgpr4
	s_and_saveexec_b64 s[24:25], vcc
	s_xor_b64 s[24:25], exec, s[24:25]
	s_cbranch_execz .LBB30_1145
; %bb.935:
	v_bfe_u32 v4, v1, 21, 1
	s_mov_b32 s28, 0x88fffff
	v_add3_u32 v4, v1, v4, s28
	s_mov_b64 s[22:23], exec
	v_lshrrev_b32_e32 v4, 21, v4
	s_andn2_saveexec_b64 s[24:25], s[24:25]
	s_cbranch_execnz .LBB30_1146
.LBB30_936:
	s_or_b64 exec, exec, s[24:25]
	v_mov_b32_e32 v6, 0
	s_and_saveexec_b64 s[24:25], s[22:23]
.LBB30_937:
	v_lshrrev_b32_e32 v1, 24, v1
	s_movk_i32 s22, 0x80
	v_and_or_b32 v6, v1, s22, v4
.LBB30_938:
	s_or_b64 exec, exec, s[24:25]
.LBB30_939:
	s_or_b64 exec, exec, s[20:21]
	s_mov_b64 s[20:21], 0
	global_store_byte v[2:3], v6, off
.LBB30_940:
	s_and_b64 vcc, exec, s[20:21]
	s_cbranch_vccz .LBB30_950
; %bb.941:
	v_cvt_f32_i32_e32 v1, v0
	s_mov_b32 s20, 0x43f00000
                                        ; implicit-def: $vgpr4
	v_and_b32_e32 v6, 0x7fffffff, v1
	v_cmp_gt_u32_e32 vcc, s20, v6
	s_and_saveexec_b64 s[20:21], vcc
	s_xor_b64 s[20:21], exec, s[20:21]
	s_cbranch_execz .LBB30_947
; %bb.942:
	s_mov_b32 s22, 0x3c7fffff
	v_cmp_lt_u32_e32 vcc, s22, v6
                                        ; implicit-def: $vgpr4
	s_and_saveexec_b64 s[22:23], vcc
	s_xor_b64 s[22:23], exec, s[22:23]
; %bb.943:
	v_bfe_u32 v4, v1, 20, 1
	s_mov_b32 s24, 0x407ffff
	v_add3_u32 v4, v1, v4, s24
	v_lshrrev_b32_e32 v6, 20, v4
	v_and_b32_e32 v4, 0xff00000, v4
	s_mov_b32 s24, 0x7f00000
	v_mov_b32_e32 v7, 0x7e
	v_cmp_ne_u32_e32 vcc, s24, v4
	s_nop 1
	v_cndmask_b32_e32 v4, v7, v6, vcc
; %bb.944:
	s_andn2_saveexec_b64 s[22:23], s[22:23]
; %bb.945:
	s_mov_b32 s24, 0x46800000
	v_add_f32_e64 v4, |v1|, s24
; %bb.946:
	s_or_b64 exec, exec, s[22:23]
                                        ; implicit-def: $vgpr6
.LBB30_947:
	s_andn2_saveexec_b64 s[20:21], s[20:21]
; %bb.948:
	s_mov_b32 s22, 0x7f800000
	v_mov_b32_e32 v4, 0x7e
	v_mov_b32_e32 v7, 0x7f
	v_cmp_lt_u32_e32 vcc, s22, v6
	s_nop 1
	v_cndmask_b32_e32 v4, v4, v7, vcc
; %bb.949:
	s_or_b64 exec, exec, s[20:21]
	v_lshrrev_b32_e32 v1, 24, v1
	s_movk_i32 s20, 0x80
	v_and_or_b32 v1, v1, s20, v4
	global_store_byte v[2:3], v1, off
.LBB30_950:
	s_mov_b64 s[20:21], 0
.LBB30_951:
	s_andn2_b64 vcc, exec, s[20:21]
	s_cbranch_vccnz .LBB30_961
; %bb.952:
	v_cvt_f32_i32_e32 v1, v0
	s_mov_b32 s20, 0x47800000
                                        ; implicit-def: $vgpr4
	v_and_b32_e32 v6, 0x7fffffff, v1
	v_cmp_gt_u32_e32 vcc, s20, v6
	s_and_saveexec_b64 s[20:21], vcc
	s_xor_b64 s[20:21], exec, s[20:21]
	s_cbranch_execz .LBB30_958
; %bb.953:
	s_mov_b32 s22, 0x387fffff
	v_cmp_lt_u32_e32 vcc, s22, v6
                                        ; implicit-def: $vgpr4
	s_and_saveexec_b64 s[22:23], vcc
	s_xor_b64 s[22:23], exec, s[22:23]
; %bb.954:
	v_bfe_u32 v4, v1, 21, 1
	s_mov_b32 s24, 0x80fffff
	v_add3_u32 v4, v1, v4, s24
	v_lshrrev_b32_e32 v4, 21, v4
; %bb.955:
	s_andn2_saveexec_b64 s[22:23], s[22:23]
; %bb.956:
	s_mov_b32 s24, 0x43000000
	v_add_f32_e64 v4, |v1|, s24
; %bb.957:
	s_or_b64 exec, exec, s[22:23]
                                        ; implicit-def: $vgpr6
.LBB30_958:
	s_andn2_saveexec_b64 s[20:21], s[20:21]
; %bb.959:
	s_mov_b32 s22, 0x7f800000
	v_mov_b32_e32 v4, 0x7c
	v_mov_b32_e32 v7, 0x7f
	v_cmp_lt_u32_e32 vcc, s22, v6
	s_nop 1
	v_cndmask_b32_e32 v4, v4, v7, vcc
; %bb.960:
	s_or_b64 exec, exec, s[20:21]
	v_lshrrev_b32_e32 v1, 24, v1
	s_movk_i32 s20, 0x80
	v_and_or_b32 v1, v1, s20, v4
	global_store_byte v[2:3], v1, off
.LBB30_961:
	s_mov_b64 s[20:21], 0
.LBB30_962:
	s_andn2_b64 vcc, exec, s[20:21]
	s_mov_b64 s[20:21], 0
	s_cbranch_vccnz .LBB30_970
; %bb.963:
	s_cmp_gt_i32 s27, 14
	s_mov_b64 s[22:23], -1
	s_cbranch_scc0 .LBB30_967
; %bb.964:
	s_cmp_eq_u32 s27, 15
	s_mov_b64 s[0:1], -1
	s_cbranch_scc0 .LBB30_966
; %bb.965:
	v_cvt_f32_i32_e32 v1, v0
	s_movk_i32 s0, 0x7fff
	v_bfe_u32 v4, v1, 16, 1
	v_add3_u32 v1, v1, v4, s0
	global_store_short_d16_hi v[2:3], v1, off
	s_mov_b64 s[0:1], 0
.LBB30_966:
	s_mov_b64 s[22:23], 0
.LBB30_967:
	s_and_b64 vcc, exec, s[22:23]
	s_cbranch_vccz .LBB30_970
; %bb.968:
	s_cmp_lg_u32 s27, 11
	s_cselect_b64 s[22:23], -1, 0
	s_andn2_b64 s[0:1], s[0:1], exec
	s_and_b64 s[22:23], s[22:23], exec
	s_mov_b64 s[20:21], -1
	s_or_b64 s[0:1], s[0:1], s[22:23]
	s_branch .LBB30_970
.LBB30_969:
	s_mov_b64 s[20:21], 0
.LBB30_970:
	s_andn2_b64 s[12:13], s[12:13], exec
	s_and_b64 s[0:1], s[0:1], exec
	s_and_b64 s[18:19], s[18:19], exec
	;; [unrolled: 1-line block ×3, first 2 shown]
	s_or_b64 s[12:13], s[12:13], s[0:1]
	s_or_b64 exec, exec, s[14:15]
	s_and_saveexec_b64 s[0:1], s[12:13]
	s_cbranch_execz .LBB30_899
.LBB30_971:
	s_or_b64 s[16:17], s[16:17], exec
	s_andn2_b64 s[20:21], s[20:21], exec
	s_trap 2
	s_or_b64 exec, exec, s[0:1]
	s_and_saveexec_b64 s[0:1], s[20:21]
	s_xor_b64 s[0:1], exec, s[0:1]
	s_cbranch_execnz .LBB30_900
.LBB30_972:
	s_or_b64 exec, exec, s[0:1]
	s_and_saveexec_b64 s[0:1], s[18:19]
	s_xor_b64 s[0:1], exec, s[0:1]
	s_cbranch_execz .LBB30_1010
.LBB30_973:
	s_sext_i32_i16 s14, s26
	s_cmp_lt_i32 s14, 5
	s_mov_b64 s[12:13], -1
	s_cbranch_scc1 .LBB30_994
; %bb.974:
	s_cmp_lt_i32 s14, 8
	s_cbranch_scc1 .LBB30_984
; %bb.975:
	s_cmp_lt_i32 s14, 9
	s_cbranch_scc1 .LBB30_981
; %bb.976:
	s_cmp_gt_i32 s14, 9
	s_cbranch_scc0 .LBB30_978
; %bb.977:
	v_mov_b32_e32 v6, 0
	s_waitcnt vmcnt(0)
	v_cvt_f64_i32_e32 v[4:5], v0
	v_mov_b32_e32 v7, v6
	s_mov_b64 s[12:13], 0
	global_store_dwordx4 v[2:3], v[4:7], off
.LBB30_978:
	s_andn2_b64 vcc, exec, s[12:13]
	s_cbranch_vccnz .LBB30_980
; %bb.979:
	v_cvt_f32_i32_e32 v4, v0
	s_waitcnt vmcnt(0)
	v_mov_b32_e32 v5, 0
	global_store_dwordx2 v[2:3], v[4:5], off
.LBB30_980:
	s_mov_b64 s[12:13], 0
.LBB30_981:
	s_andn2_b64 vcc, exec, s[12:13]
	s_cbranch_vccnz .LBB30_983
; %bb.982:
	v_cvt_f32_i32_e32 v1, v0
	v_cvt_f16_f32_e32 v1, v1
	global_store_dword v[2:3], v1, off
.LBB30_983:
	s_mov_b64 s[12:13], 0
.LBB30_984:
	s_andn2_b64 vcc, exec, s[12:13]
	s_cbranch_vccnz .LBB30_993
; %bb.985:
	s_sext_i32_i16 s14, s26
	s_cmp_lt_i32 s14, 6
	s_mov_b64 s[12:13], -1
	s_cbranch_scc1 .LBB30_991
; %bb.986:
	s_cmp_gt_i32 s14, 6
	s_cbranch_scc0 .LBB30_988
; %bb.987:
	s_waitcnt vmcnt(0)
	v_cvt_f64_i32_e32 v[4:5], v0
	s_mov_b64 s[12:13], 0
	global_store_dwordx2 v[2:3], v[4:5], off
.LBB30_988:
	s_andn2_b64 vcc, exec, s[12:13]
	s_cbranch_vccnz .LBB30_990
; %bb.989:
	v_cvt_f32_i32_e32 v1, v0
	global_store_dword v[2:3], v1, off
.LBB30_990:
	s_mov_b64 s[12:13], 0
.LBB30_991:
	s_andn2_b64 vcc, exec, s[12:13]
	s_cbranch_vccnz .LBB30_993
; %bb.992:
	v_cvt_f32_i32_e32 v1, v0
	v_cvt_f16_f32_e32 v1, v1
	global_store_short v[2:3], v1, off
.LBB30_993:
	s_mov_b64 s[12:13], 0
.LBB30_994:
	s_andn2_b64 vcc, exec, s[12:13]
	s_cbranch_vccnz .LBB30_1010
; %bb.995:
	s_sext_i32_i16 s14, s26
	s_cmp_lt_i32 s14, 2
	s_mov_b64 s[12:13], -1
	s_cbranch_scc1 .LBB30_1005
; %bb.996:
	s_cmp_lt_i32 s14, 3
	s_cbranch_scc1 .LBB30_1002
; %bb.997:
	s_cmp_gt_i32 s14, 3
	s_cbranch_scc0 .LBB30_999
; %bb.998:
	v_ashrrev_i32_e32 v1, 31, v0
	s_mov_b64 s[12:13], 0
	global_store_dwordx2 v[2:3], v[0:1], off
.LBB30_999:
	s_andn2_b64 vcc, exec, s[12:13]
	s_cbranch_vccnz .LBB30_1001
; %bb.1000:
	global_store_dword v[2:3], v0, off
.LBB30_1001:
	s_mov_b64 s[12:13], 0
.LBB30_1002:
	s_andn2_b64 vcc, exec, s[12:13]
	s_cbranch_vccnz .LBB30_1004
; %bb.1003:
	global_store_short v[2:3], v0, off
.LBB30_1004:
	s_mov_b64 s[12:13], 0
.LBB30_1005:
	s_andn2_b64 vcc, exec, s[12:13]
	s_cbranch_vccnz .LBB30_1010
; %bb.1006:
	s_sext_i32_i16 s12, s26
	s_cmp_gt_i32 s12, 0
	s_mov_b64 s[12:13], -1
	s_cbranch_scc0 .LBB30_1008
; %bb.1007:
	s_mov_b64 s[12:13], 0
	global_store_byte v[2:3], v0, off
.LBB30_1008:
	s_andn2_b64 vcc, exec, s[12:13]
	s_cbranch_vccnz .LBB30_1010
; %bb.1009:
	global_store_byte v[2:3], v0, off
.LBB30_1010:
	s_or_b64 exec, exec, s[0:1]
	s_and_b64 s[12:13], s[16:17], exec
                                        ; implicit-def: $vgpr4
.LBB30_1011:
	s_or_saveexec_b64 s[2:3], s[2:3]
	s_mov_b64 s[0:1], 0
                                        ; implicit-def: $sgpr20
                                        ; implicit-def: $vgpr0_vgpr1
                                        ; implicit-def: $vgpr2
                                        ; implicit-def: $vgpr6
	s_xor_b64 exec, exec, s[2:3]
	s_cbranch_execz .LBB30_1396
; %bb.1012:
	v_mul_lo_u32 v0, s9, v4
	v_ashrrev_i32_e32 v1, 31, v0
	s_and_b32 s20, 0xffff, s42
	s_cmp_lt_i32 s20, 11
	v_lshl_add_u64 v[2:3], s[6:7], 0, v[0:1]
	s_cbranch_scc1 .LBB30_1019
; %bb.1013:
	s_cmp_gt_i32 s20, 25
	s_cbranch_scc0 .LBB30_1021
; %bb.1014:
	s_cmp_gt_i32 s20, 28
	s_cbranch_scc0 .LBB30_1022
	;; [unrolled: 3-line block ×4, first 2 shown]
; %bb.1017:
	s_cmp_eq_u32 s20, 46
	s_mov_b64 s[14:15], 0
	s_cbranch_scc0 .LBB30_1027
; %bb.1018:
	global_load_dword v1, v[2:3], off
	s_mov_b64 s[16:17], -1
	s_waitcnt vmcnt(0)
	v_lshlrev_b32_e32 v1, 16, v1
	v_cvt_i32_f32_e32 v9, v1
	s_branch .LBB30_1028
.LBB30_1019:
	s_mov_b64 s[16:17], 0
                                        ; implicit-def: $vgpr9
	s_mov_b64 s[14:15], s[12:13]
	s_cbranch_execnz .LBB30_1086
.LBB30_1020:
	s_andn2_b64 vcc, exec, s[16:17]
	s_cbranch_vccz .LBB30_1131
	s_branch .LBB30_1393
.LBB30_1021:
	s_mov_b64 s[16:17], 0
                                        ; implicit-def: $vgpr9
	s_cbranch_execnz .LBB30_1053
	s_branch .LBB30_1082
.LBB30_1022:
	s_mov_b64 s[16:17], 0
                                        ; implicit-def: $vgpr9
	s_cbranch_execz .LBB30_1052
	s_branch .LBB30_1037
.LBB30_1023:
	s_mov_b64 s[16:17], 0
                                        ; implicit-def: $vgpr9
	s_cbranch_execnz .LBB30_1033
	s_branch .LBB30_1036
.LBB30_1024:
	s_mov_b64 s[14:15], -1
	s_mov_b64 s[16:17], 0
                                        ; implicit-def: $vgpr9
	s_branch .LBB30_1028
.LBB30_1025:
	s_andn2_saveexec_b64 s[22:23], s[22:23]
	s_cbranch_execz .LBB30_924
.LBB30_1026:
	s_mov_b32 s24, 0x46000000
	v_add_f32_e64 v4, |v1|, s24
	v_and_b32_e32 v4, 0xff, v4
	v_cmp_ne_u32_e32 vcc, 0, v4
	s_andn2_b64 s[20:21], s[20:21], exec
	s_and_b64 s[24:25], vcc, exec
	s_or_b64 s[20:21], s[20:21], s[24:25]
	s_or_b64 exec, exec, s[22:23]
	v_mov_b32_e32 v6, 0
	s_and_saveexec_b64 s[22:23], s[20:21]
	s_cbranch_execnz .LBB30_925
	s_branch .LBB30_926
.LBB30_1027:
	s_mov_b64 s[0:1], -1
                                        ; implicit-def: $vgpr9
	s_mov_b64 s[16:17], 0
.LBB30_1028:
	s_and_b64 vcc, exec, s[14:15]
	s_cbranch_vccz .LBB30_1031
; %bb.1029:
	s_cmp_eq_u32 s20, 44
	s_cbranch_scc0 .LBB30_1032
; %bb.1030:
	global_load_ubyte v1, v[2:3], off
	s_mov_b64 s[0:1], 0
	s_mov_b64 s[16:17], -1
	s_waitcnt vmcnt(0)
	v_lshlrev_b32_e32 v5, 23, v1
	v_cvt_i32_f32_e32 v5, v5
	v_cmp_ne_u32_e32 vcc, 0, v1
	s_nop 1
	v_cndmask_b32_e32 v9, 0, v5, vcc
.LBB30_1031:
	s_branch .LBB30_1036
.LBB30_1032:
	s_mov_b64 s[0:1], -1
                                        ; implicit-def: $vgpr9
	s_branch .LBB30_1036
.LBB30_1033:
	s_cmp_eq_u32 s20, 29
	s_cbranch_scc0 .LBB30_1035
; %bb.1034:
	global_load_dword v9, v[2:3], off
	s_mov_b64 s[0:1], 0
	s_mov_b64 s[16:17], -1
	s_branch .LBB30_1036
.LBB30_1035:
	s_mov_b64 s[0:1], -1
                                        ; implicit-def: $vgpr9
.LBB30_1036:
	s_branch .LBB30_1052
.LBB30_1037:
	s_cmp_lt_i32 s20, 27
	s_cbranch_scc1 .LBB30_1040
; %bb.1038:
	s_cmp_gt_i32 s20, 27
	s_cbranch_scc0 .LBB30_1041
; %bb.1039:
	global_load_dword v9, v[2:3], off
	s_mov_b64 s[14:15], 0
	s_branch .LBB30_1042
.LBB30_1040:
	s_mov_b64 s[14:15], -1
                                        ; implicit-def: $vgpr9
	s_branch .LBB30_1045
.LBB30_1041:
	s_mov_b64 s[14:15], -1
                                        ; implicit-def: $vgpr9
.LBB30_1042:
	s_andn2_b64 vcc, exec, s[14:15]
	s_cbranch_vccnz .LBB30_1044
; %bb.1043:
	global_load_ushort v9, v[2:3], off
.LBB30_1044:
	s_mov_b64 s[14:15], 0
.LBB30_1045:
	s_andn2_b64 vcc, exec, s[14:15]
	s_cbranch_vccnz .LBB30_1051
; %bb.1046:
	global_load_ubyte v1, v[2:3], off
	s_movk_i32 s14, 0x7f
	s_mov_b64 s[16:17], 0
	s_waitcnt vmcnt(0)
	v_cmp_lt_i16_e32 vcc, s14, v1
	s_and_saveexec_b64 s[14:15], vcc
	s_xor_b64 s[14:15], exec, s[14:15]
	s_cbranch_execz .LBB30_1062
; %bb.1047:
	s_movk_i32 s16, 0x80
	v_cmp_ne_u16_e32 vcc, s16, v1
	s_and_b64 s[16:17], vcc, exec
	s_andn2_saveexec_b64 s[14:15], s[14:15]
	s_cbranch_execnz .LBB30_1063
.LBB30_1048:
	s_or_b64 exec, exec, s[14:15]
	v_mov_b32_e32 v9, 0
	s_and_saveexec_b64 s[14:15], s[16:17]
	s_cbranch_execz .LBB30_1050
.LBB30_1049:
	v_lshlrev_b32_e32 v5, 24, v1
	v_and_b32_e32 v1, 0xffff, v1
	v_and_b32_e32 v6, 7, v1
	v_ffbh_u32_e32 v8, v6
	v_min_u32_e32 v8, 32, v8
	v_subrev_u32_e32 v9, 28, v8
	v_bfe_u32 v7, v1, 3, 4
	v_lshlrev_b32_e32 v1, v9, v1
	v_sub_u32_e32 v8, 29, v8
	v_and_b32_e32 v1, 7, v1
	v_cmp_eq_u32_e32 vcc, 0, v7
	v_and_b32_e32 v5, 0x80000000, v5
	s_nop 0
	v_cndmask_b32_e32 v7, v7, v8, vcc
	v_cndmask_b32_e32 v1, v6, v1, vcc
	v_mov_b32_e32 v6, 0x3b800000
	v_lshlrev_b32_e32 v1, 20, v1
	v_lshl_add_u32 v6, v7, 23, v6
	v_or3_b32 v1, v5, v6, v1
	v_cvt_i32_f32_e32 v9, v1
.LBB30_1050:
	s_or_b64 exec, exec, s[14:15]
.LBB30_1051:
	s_mov_b64 s[16:17], -1
.LBB30_1052:
	s_branch .LBB30_1082
.LBB30_1053:
	s_cmp_gt_i32 s20, 22
	s_cbranch_scc0 .LBB30_1061
; %bb.1054:
	s_cmp_lt_i32 s20, 24
	s_cbranch_scc1 .LBB30_1064
; %bb.1055:
	s_cmp_gt_i32 s20, 24
	s_cbranch_scc0 .LBB30_1065
; %bb.1056:
	global_load_ubyte v1, v[2:3], off
	s_movk_i32 s10, 0x7f
	s_mov_b64 s[14:15], 0
	s_waitcnt vmcnt(0)
	v_cmp_lt_i16_e32 vcc, s10, v1
	s_and_saveexec_b64 s[10:11], vcc
	s_xor_b64 s[10:11], exec, s[10:11]
	s_cbranch_execz .LBB30_1076
; %bb.1057:
	s_movk_i32 s14, 0x80
	v_cmp_ne_u16_e32 vcc, s14, v1
	s_and_b64 s[14:15], vcc, exec
	s_andn2_saveexec_b64 s[10:11], s[10:11]
	s_cbranch_execnz .LBB30_1077
.LBB30_1058:
	s_or_b64 exec, exec, s[10:11]
	v_mov_b32_e32 v9, 0
	s_and_saveexec_b64 s[10:11], s[14:15]
	s_cbranch_execz .LBB30_1060
.LBB30_1059:
	v_lshlrev_b32_e32 v5, 24, v1
	v_and_b32_e32 v1, 0xffff, v1
	v_and_b32_e32 v6, 3, v1
	v_ffbh_u32_e32 v8, v6
	v_min_u32_e32 v8, 32, v8
	v_subrev_u32_e32 v9, 29, v8
	v_bfe_u32 v7, v1, 2, 5
	v_lshlrev_b32_e32 v1, v9, v1
	v_sub_u32_e32 v8, 30, v8
	v_and_b32_e32 v1, 3, v1
	v_cmp_eq_u32_e32 vcc, 0, v7
	v_and_b32_e32 v5, 0x80000000, v5
	s_nop 0
	v_cndmask_b32_e32 v7, v7, v8, vcc
	v_cndmask_b32_e32 v1, v6, v1, vcc
	v_mov_b32_e32 v6, 0x37800000
	v_lshlrev_b32_e32 v1, 21, v1
	v_lshl_add_u32 v6, v7, 23, v6
	v_or3_b32 v1, v5, v6, v1
	v_cvt_i32_f32_e32 v9, v1
.LBB30_1060:
	s_or_b64 exec, exec, s[10:11]
	s_mov_b64 s[10:11], 0
	s_branch .LBB30_1066
.LBB30_1061:
                                        ; implicit-def: $vgpr9
	s_mov_b64 s[10:11], 0
	s_branch .LBB30_1072
.LBB30_1062:
	s_andn2_saveexec_b64 s[14:15], s[14:15]
	s_cbranch_execz .LBB30_1048
.LBB30_1063:
	v_cmp_ne_u16_e32 vcc, 0, v1
	s_andn2_b64 s[16:17], s[16:17], exec
	s_and_b64 s[18:19], vcc, exec
	s_or_b64 s[16:17], s[16:17], s[18:19]
	s_or_b64 exec, exec, s[14:15]
	v_mov_b32_e32 v9, 0
	s_and_saveexec_b64 s[14:15], s[16:17]
	s_cbranch_execnz .LBB30_1049
	s_branch .LBB30_1050
.LBB30_1064:
	s_mov_b64 s[10:11], -1
                                        ; implicit-def: $vgpr9
	s_branch .LBB30_1069
.LBB30_1065:
	s_mov_b64 s[10:11], -1
                                        ; implicit-def: $vgpr9
.LBB30_1066:
	s_and_b64 vcc, exec, s[10:11]
	s_cbranch_vccz .LBB30_1068
; %bb.1067:
	global_load_ubyte v1, v[2:3], off
	s_mov_b32 s10, 0x7f800000
	s_waitcnt vmcnt(0)
	v_lshlrev_b32_e32 v1, 24, v1
	v_and_b32_e32 v5, 0x7f000000, v1
	v_ffbh_u32_e32 v6, v5
	v_min_u32_e32 v6, 32, v6
	v_sub_u32_e64 v6, v6, 4 clamp
	v_lshlrev_b32_e32 v8, v6, v5
	v_lshlrev_b32_e32 v6, 23, v6
	v_lshrrev_b32_e32 v8, 4, v8
	v_add_u32_e32 v7, 0x1000000, v5
	v_sub_u32_e32 v6, v8, v6
	v_ashrrev_i32_e32 v7, 8, v7
	v_add_u32_e32 v6, 0x3c000000, v6
	v_and_or_b32 v6, v7, s10, v6
	v_cmp_ne_u32_e32 vcc, 0, v5
	s_brev_b32 s10, 1
	s_nop 0
	v_cndmask_b32_e32 v5, 0, v6, vcc
	v_and_or_b32 v1, v1, s10, v5
	v_cvt_i32_f32_e32 v9, v1
.LBB30_1068:
	s_mov_b64 s[10:11], 0
.LBB30_1069:
	s_andn2_b64 vcc, exec, s[10:11]
	s_cbranch_vccnz .LBB30_1071
; %bb.1070:
	global_load_ubyte v1, v[2:3], off
	s_movk_i32 s10, 0x7f00
	s_brev_b32 s11, 16
	s_waitcnt vmcnt(0)
	v_lshlrev_b16_e32 v5, 8, v1
	v_lshlrev_b32_e32 v1, 25, v1
	v_lshrrev_b32_e32 v6, 4, v1
	v_and_or_b32 v7, v5, s10, 0.5
	v_or_b32_e32 v6, 0x70000000, v6
	v_add_f32_e32 v7, -0.5, v7
	v_mul_f32_e32 v6, 0x7800000, v6
	v_cmp_gt_u32_e32 vcc, s11, v1
	v_bfe_i32 v5, v5, 0, 16
	s_brev_b32 s10, 1
	v_cndmask_b32_e32 v1, v6, v7, vcc
	v_and_or_b32 v1, v5, s10, v1
	v_cvt_i32_f32_e32 v9, v1
.LBB30_1071:
	s_mov_b64 s[16:17], -1
	s_mov_b64 s[10:11], 0
	s_cbranch_execnz .LBB30_1082
.LBB30_1072:
	s_cmp_gt_i32 s20, 14
	s_cbranch_scc0 .LBB30_1075
; %bb.1073:
	s_cmp_eq_u32 s20, 15
	s_cbranch_scc0 .LBB30_1078
; %bb.1074:
	global_load_ushort v1, v[2:3], off
	s_mov_b64 s[0:1], 0
	s_mov_b64 s[16:17], -1
	s_waitcnt vmcnt(0)
	v_lshlrev_b32_e32 v1, 16, v1
	v_cvt_i32_f32_e32 v9, v1
	s_branch .LBB30_1079
.LBB30_1075:
	s_mov_b64 s[14:15], -1
                                        ; implicit-def: $vgpr9
	s_branch .LBB30_1080
.LBB30_1076:
	s_andn2_saveexec_b64 s[10:11], s[10:11]
	s_cbranch_execz .LBB30_1058
.LBB30_1077:
	v_cmp_ne_u16_e32 vcc, 0, v1
	s_andn2_b64 s[14:15], s[14:15], exec
	s_and_b64 s[16:17], vcc, exec
	s_or_b64 s[14:15], s[14:15], s[16:17]
	s_or_b64 exec, exec, s[10:11]
	v_mov_b32_e32 v9, 0
	s_and_saveexec_b64 s[10:11], s[14:15]
	s_cbranch_execnz .LBB30_1059
	s_branch .LBB30_1060
.LBB30_1078:
	s_mov_b64 s[0:1], -1
                                        ; implicit-def: $vgpr9
.LBB30_1079:
	s_mov_b64 s[14:15], 0
.LBB30_1080:
	s_and_b64 vcc, exec, s[14:15]
	s_cbranch_vccz .LBB30_1082
; %bb.1081:
	s_cmp_lg_u32 s20, 11
	s_mov_b64 s[10:11], -1
	s_cselect_b64 s[0:1], -1, 0
.LBB30_1082:
	s_and_b64 vcc, exec, s[0:1]
	s_mov_b64 s[14:15], s[12:13]
	s_cbranch_vccnz .LBB30_1143
; %bb.1083:
	s_andn2_b64 vcc, exec, s[10:11]
	s_cbranch_vccnz .LBB30_1085
.LBB30_1084:
	global_load_ubyte v1, v[2:3], off
	s_mov_b64 s[16:17], -1
	s_waitcnt vmcnt(0)
	v_cmp_ne_u16_e32 vcc, 0, v1
	s_nop 1
	v_cndmask_b32_e64 v9, 0, 1, vcc
.LBB30_1085:
	s_branch .LBB30_1020
.LBB30_1086:
	s_cmp_lt_i32 s20, 5
	s_cbranch_scc1 .LBB30_1091
; %bb.1087:
	s_cmp_lt_i32 s20, 8
	s_cbranch_scc1 .LBB30_1092
; %bb.1088:
	;; [unrolled: 3-line block ×3, first 2 shown]
	s_cmp_gt_i32 s20, 9
	s_cbranch_scc0 .LBB30_1094
; %bb.1090:
	global_load_dwordx2 v[6:7], v[2:3], off
	s_mov_b64 s[0:1], 0
	s_waitcnt vmcnt(0)
	v_cvt_i32_f64_e32 v9, v[6:7]
	s_branch .LBB30_1095
.LBB30_1091:
                                        ; implicit-def: $vgpr9
	s_branch .LBB30_1112
.LBB30_1092:
                                        ; implicit-def: $vgpr9
	s_branch .LBB30_1101
.LBB30_1093:
	s_mov_b64 s[0:1], -1
                                        ; implicit-def: $vgpr9
	s_branch .LBB30_1098
.LBB30_1094:
	s_mov_b64 s[0:1], -1
                                        ; implicit-def: $vgpr9
.LBB30_1095:
	s_andn2_b64 vcc, exec, s[0:1]
	s_cbranch_vccnz .LBB30_1097
; %bb.1096:
	global_load_dword v1, v[2:3], off
	s_waitcnt vmcnt(0)
	v_cvt_i32_f32_e32 v9, v1
.LBB30_1097:
	s_mov_b64 s[0:1], 0
.LBB30_1098:
	s_andn2_b64 vcc, exec, s[0:1]
	s_cbranch_vccnz .LBB30_1100
; %bb.1099:
	global_load_dword v1, v[2:3], off
	s_waitcnt vmcnt(0)
	v_cvt_f32_f16_e32 v1, v1
	v_cvt_i32_f32_e32 v9, v1
.LBB30_1100:
	s_cbranch_execnz .LBB30_1111
.LBB30_1101:
	s_cmp_lt_i32 s20, 6
	s_cbranch_scc1 .LBB30_1104
; %bb.1102:
	s_cmp_gt_i32 s20, 6
	s_cbranch_scc0 .LBB30_1105
; %bb.1103:
	global_load_dwordx2 v[6:7], v[2:3], off
	s_mov_b64 s[0:1], 0
	s_waitcnt vmcnt(0)
	v_cvt_i32_f64_e32 v9, v[6:7]
	s_branch .LBB30_1106
.LBB30_1104:
	s_mov_b64 s[0:1], -1
                                        ; implicit-def: $vgpr9
	s_branch .LBB30_1109
.LBB30_1105:
	s_mov_b64 s[0:1], -1
                                        ; implicit-def: $vgpr9
.LBB30_1106:
	s_andn2_b64 vcc, exec, s[0:1]
	s_cbranch_vccnz .LBB30_1108
; %bb.1107:
	global_load_dword v1, v[2:3], off
	s_waitcnt vmcnt(0)
	v_cvt_i32_f32_e32 v9, v1
.LBB30_1108:
	s_mov_b64 s[0:1], 0
.LBB30_1109:
	s_andn2_b64 vcc, exec, s[0:1]
	s_cbranch_vccnz .LBB30_1111
; %bb.1110:
	global_load_ushort v1, v[2:3], off
	s_waitcnt vmcnt(0)
	v_cvt_f32_f16_e32 v1, v1
	v_cvt_i32_f32_e32 v9, v1
.LBB30_1111:
	s_cbranch_execnz .LBB30_1130
.LBB30_1112:
	s_cmp_lt_i32 s20, 2
	s_cbranch_scc1 .LBB30_1116
; %bb.1113:
	s_cmp_lt_i32 s20, 3
	s_cbranch_scc1 .LBB30_1117
; %bb.1114:
	s_cmp_gt_i32 s20, 3
	s_cbranch_scc0 .LBB30_1118
; %bb.1115:
	global_load_dword v9, v[2:3], off
	s_mov_b64 s[0:1], 0
	s_branch .LBB30_1119
.LBB30_1116:
                                        ; implicit-def: $vgpr9
	s_branch .LBB30_1125
.LBB30_1117:
	s_mov_b64 s[0:1], -1
                                        ; implicit-def: $vgpr9
	s_branch .LBB30_1122
.LBB30_1118:
	s_mov_b64 s[0:1], -1
                                        ; implicit-def: $vgpr9
.LBB30_1119:
	s_andn2_b64 vcc, exec, s[0:1]
	s_cbranch_vccnz .LBB30_1121
; %bb.1120:
	global_load_dword v9, v[2:3], off
.LBB30_1121:
	s_mov_b64 s[0:1], 0
.LBB30_1122:
	s_andn2_b64 vcc, exec, s[0:1]
	s_cbranch_vccnz .LBB30_1124
; %bb.1123:
	global_load_sshort v9, v[2:3], off
.LBB30_1124:
	s_cbranch_execnz .LBB30_1130
.LBB30_1125:
	s_cmp_gt_i32 s20, 0
	s_cbranch_scc0 .LBB30_1127
; %bb.1126:
	global_load_sbyte v9, v[2:3], off
	s_mov_b64 s[0:1], 0
	s_branch .LBB30_1128
.LBB30_1127:
	s_mov_b64 s[0:1], -1
                                        ; implicit-def: $vgpr9
.LBB30_1128:
	s_andn2_b64 vcc, exec, s[0:1]
	s_cbranch_vccnz .LBB30_1130
; %bb.1129:
	global_load_ubyte v9, v[2:3], off
.LBB30_1130:
.LBB30_1131:
	s_lshl_b32 s9, s9, 7
	v_add_u32_e32 v0, s9, v0
	v_ashrrev_i32_e32 v1, 31, v0
	s_cmp_lt_i32 s20, 11
	v_lshl_add_u64 v[2:3], s[6:7], 0, v[0:1]
	s_cbranch_scc1 .LBB30_1138
; %bb.1132:
	s_cmp_gt_i32 s20, 25
	s_mov_b64 s[10:11], 0
	s_cbranch_scc0 .LBB30_1140
; %bb.1133:
	s_cmp_gt_i32 s20, 28
	s_cbranch_scc0 .LBB30_1141
; %bb.1134:
	s_cmp_gt_i32 s20, 43
	;; [unrolled: 3-line block ×3, first 2 shown]
	s_cbranch_scc0 .LBB30_1144
; %bb.1136:
	s_cmp_eq_u32 s20, 46
	s_mov_b64 s[18:19], 0
	s_cbranch_scc0 .LBB30_1147
; %bb.1137:
	global_load_dword v1, v[2:3], off
	s_mov_b64 s[0:1], 0
	s_mov_b64 s[16:17], -1
	s_waitcnt vmcnt(0)
	v_lshlrev_b32_e32 v1, 16, v1
	v_cvt_i32_f32_e32 v8, v1
	s_branch .LBB30_1148
.LBB30_1138:
	s_mov_b64 s[16:17], 0
                                        ; implicit-def: $vgpr8
	s_cbranch_execnz .LBB30_1209
.LBB30_1139:
	s_andn2_b64 vcc, exec, s[16:17]
	s_cbranch_vccz .LBB30_1256
	s_branch .LBB30_1393
.LBB30_1140:
	s_mov_b64 s[16:17], 0
	s_mov_b64 s[0:1], 0
                                        ; implicit-def: $vgpr8
	s_cbranch_execnz .LBB30_1175
	s_branch .LBB30_1205
.LBB30_1141:
	s_mov_b64 s[18:19], -1
	s_mov_b64 s[16:17], 0
	s_mov_b64 s[0:1], 0
                                        ; implicit-def: $vgpr8
	s_branch .LBB30_1158
.LBB30_1142:
	s_mov_b64 s[18:19], -1
	s_mov_b64 s[16:17], 0
	s_mov_b64 s[0:1], 0
                                        ; implicit-def: $vgpr8
	s_branch .LBB30_1153
.LBB30_1143:
	s_or_b64 s[14:15], s[12:13], exec
	s_trap 2
	s_cbranch_execz .LBB30_1084
	s_branch .LBB30_1085
.LBB30_1144:
	s_mov_b64 s[18:19], -1
	s_mov_b64 s[16:17], 0
	s_mov_b64 s[0:1], 0
                                        ; implicit-def: $vgpr8
	s_branch .LBB30_1148
.LBB30_1145:
	s_andn2_saveexec_b64 s[24:25], s[24:25]
	s_cbranch_execz .LBB30_936
.LBB30_1146:
	s_mov_b32 s28, 0x42800000
	v_add_f32_e64 v4, |v1|, s28
	v_and_b32_e32 v4, 0xff, v4
	v_cmp_ne_u32_e32 vcc, 0, v4
	s_andn2_b64 s[22:23], s[22:23], exec
	s_and_b64 s[28:29], vcc, exec
	s_or_b64 s[22:23], s[22:23], s[28:29]
	s_or_b64 exec, exec, s[24:25]
	v_mov_b32_e32 v6, 0
	s_and_saveexec_b64 s[24:25], s[22:23]
	s_cbranch_execnz .LBB30_937
	s_branch .LBB30_938
.LBB30_1147:
	s_mov_b64 s[0:1], -1
                                        ; implicit-def: $vgpr8
	s_mov_b64 s[16:17], 0
.LBB30_1148:
	s_and_b64 vcc, exec, s[18:19]
	s_cbranch_vccz .LBB30_1152
; %bb.1149:
	s_cmp_eq_u32 s20, 44
	s_cbranch_scc0 .LBB30_1151
; %bb.1150:
	global_load_ubyte v1, v[2:3], off
	s_mov_b64 s[0:1], 0
	s_mov_b64 s[16:17], -1
	s_waitcnt vmcnt(0)
	v_lshlrev_b32_e32 v5, 23, v1
	v_cvt_i32_f32_e32 v5, v5
	v_cmp_ne_u32_e32 vcc, 0, v1
	s_nop 1
	v_cndmask_b32_e32 v8, 0, v5, vcc
	s_branch .LBB30_1152
.LBB30_1151:
	s_mov_b64 s[0:1], -1
                                        ; implicit-def: $vgpr8
.LBB30_1152:
	s_mov_b64 s[18:19], 0
.LBB30_1153:
	s_and_b64 vcc, exec, s[18:19]
	s_cbranch_vccz .LBB30_1157
; %bb.1154:
	s_cmp_eq_u32 s20, 29
	s_cbranch_scc0 .LBB30_1156
; %bb.1155:
	global_load_dword v8, v[2:3], off
	s_mov_b64 s[0:1], 0
	s_mov_b64 s[16:17], -1
	s_branch .LBB30_1157
.LBB30_1156:
	s_mov_b64 s[0:1], -1
                                        ; implicit-def: $vgpr8
.LBB30_1157:
	s_mov_b64 s[18:19], 0
.LBB30_1158:
	s_and_b64 vcc, exec, s[18:19]
	s_cbranch_vccz .LBB30_1174
; %bb.1159:
	s_cmp_lt_i32 s20, 27
	s_cbranch_scc1 .LBB30_1162
; %bb.1160:
	s_cmp_gt_i32 s20, 27
	s_cbranch_scc0 .LBB30_1163
; %bb.1161:
	global_load_dword v8, v[2:3], off
	s_mov_b64 s[16:17], 0
	s_branch .LBB30_1164
.LBB30_1162:
	s_mov_b64 s[16:17], -1
                                        ; implicit-def: $vgpr8
	s_branch .LBB30_1167
.LBB30_1163:
	s_mov_b64 s[16:17], -1
                                        ; implicit-def: $vgpr8
.LBB30_1164:
	s_andn2_b64 vcc, exec, s[16:17]
	s_cbranch_vccnz .LBB30_1166
; %bb.1165:
	global_load_ushort v8, v[2:3], off
.LBB30_1166:
	s_mov_b64 s[16:17], 0
.LBB30_1167:
	s_andn2_b64 vcc, exec, s[16:17]
	s_cbranch_vccnz .LBB30_1173
; %bb.1168:
	global_load_ubyte v1, v[2:3], off
	s_movk_i32 s16, 0x7f
	s_mov_b64 s[18:19], 0
	s_waitcnt vmcnt(0)
	v_cmp_lt_i16_e32 vcc, s16, v1
	s_and_saveexec_b64 s[16:17], vcc
	s_xor_b64 s[16:17], exec, s[16:17]
	s_cbranch_execz .LBB30_1184
; %bb.1169:
	s_movk_i32 s18, 0x80
	v_cmp_ne_u16_e32 vcc, s18, v1
	s_and_b64 s[18:19], vcc, exec
	s_andn2_saveexec_b64 s[16:17], s[16:17]
	s_cbranch_execnz .LBB30_1185
.LBB30_1170:
	s_or_b64 exec, exec, s[16:17]
	v_mov_b32_e32 v8, 0
	s_and_saveexec_b64 s[16:17], s[18:19]
	s_cbranch_execz .LBB30_1172
.LBB30_1171:
	v_lshlrev_b32_e32 v5, 24, v1
	v_and_b32_e32 v1, 0xffff, v1
	v_and_b32_e32 v6, 7, v1
	v_ffbh_u32_e32 v8, v6
	v_min_u32_e32 v8, 32, v8
	v_subrev_u32_e32 v10, 28, v8
	v_bfe_u32 v7, v1, 3, 4
	v_lshlrev_b32_e32 v1, v10, v1
	v_sub_u32_e32 v8, 29, v8
	v_and_b32_e32 v1, 7, v1
	v_cmp_eq_u32_e32 vcc, 0, v7
	v_and_b32_e32 v5, 0x80000000, v5
	s_nop 0
	v_cndmask_b32_e32 v7, v7, v8, vcc
	v_cndmask_b32_e32 v1, v6, v1, vcc
	v_mov_b32_e32 v6, 0x3b800000
	v_lshlrev_b32_e32 v1, 20, v1
	v_lshl_add_u32 v6, v7, 23, v6
	v_or3_b32 v1, v5, v6, v1
	v_cvt_i32_f32_e32 v8, v1
.LBB30_1172:
	s_or_b64 exec, exec, s[16:17]
.LBB30_1173:
	s_mov_b64 s[16:17], -1
.LBB30_1174:
	s_branch .LBB30_1205
.LBB30_1175:
	s_cmp_gt_i32 s20, 22
	s_cbranch_scc0 .LBB30_1183
; %bb.1176:
	s_cmp_lt_i32 s20, 24
	s_cbranch_scc1 .LBB30_1186
; %bb.1177:
	s_cmp_gt_i32 s20, 24
	s_cbranch_scc0 .LBB30_1187
; %bb.1178:
	global_load_ubyte v1, v[2:3], off
	s_movk_i32 s10, 0x7f
	s_mov_b64 s[16:17], 0
	s_waitcnt vmcnt(0)
	v_cmp_lt_i16_e32 vcc, s10, v1
	s_and_saveexec_b64 s[10:11], vcc
	s_xor_b64 s[10:11], exec, s[10:11]
	s_cbranch_execz .LBB30_1199
; %bb.1179:
	s_movk_i32 s16, 0x80
	v_cmp_ne_u16_e32 vcc, s16, v1
	s_and_b64 s[16:17], vcc, exec
	s_andn2_saveexec_b64 s[10:11], s[10:11]
	s_cbranch_execnz .LBB30_1200
.LBB30_1180:
	s_or_b64 exec, exec, s[10:11]
	v_mov_b32_e32 v8, 0
	s_and_saveexec_b64 s[10:11], s[16:17]
	s_cbranch_execz .LBB30_1182
.LBB30_1181:
	v_lshlrev_b32_e32 v5, 24, v1
	v_and_b32_e32 v1, 0xffff, v1
	v_and_b32_e32 v6, 3, v1
	v_ffbh_u32_e32 v8, v6
	v_min_u32_e32 v8, 32, v8
	v_subrev_u32_e32 v10, 29, v8
	v_bfe_u32 v7, v1, 2, 5
	v_lshlrev_b32_e32 v1, v10, v1
	v_sub_u32_e32 v8, 30, v8
	v_and_b32_e32 v1, 3, v1
	v_cmp_eq_u32_e32 vcc, 0, v7
	v_and_b32_e32 v5, 0x80000000, v5
	s_nop 0
	v_cndmask_b32_e32 v7, v7, v8, vcc
	v_cndmask_b32_e32 v1, v6, v1, vcc
	v_mov_b32_e32 v6, 0x37800000
	v_lshlrev_b32_e32 v1, 21, v1
	v_lshl_add_u32 v6, v7, 23, v6
	v_or3_b32 v1, v5, v6, v1
	v_cvt_i32_f32_e32 v8, v1
.LBB30_1182:
	s_or_b64 exec, exec, s[10:11]
	s_mov_b64 s[10:11], 0
	s_branch .LBB30_1188
.LBB30_1183:
	s_mov_b64 s[10:11], -1
                                        ; implicit-def: $vgpr8
	s_branch .LBB30_1194
.LBB30_1184:
	s_andn2_saveexec_b64 s[16:17], s[16:17]
	s_cbranch_execz .LBB30_1170
.LBB30_1185:
	v_cmp_ne_u16_e32 vcc, 0, v1
	s_andn2_b64 s[18:19], s[18:19], exec
	s_and_b64 s[22:23], vcc, exec
	s_or_b64 s[18:19], s[18:19], s[22:23]
	s_or_b64 exec, exec, s[16:17]
	v_mov_b32_e32 v8, 0
	s_and_saveexec_b64 s[16:17], s[18:19]
	s_cbranch_execnz .LBB30_1171
	s_branch .LBB30_1172
.LBB30_1186:
	s_mov_b64 s[10:11], -1
                                        ; implicit-def: $vgpr8
	s_branch .LBB30_1191
.LBB30_1187:
	s_mov_b64 s[10:11], -1
                                        ; implicit-def: $vgpr8
.LBB30_1188:
	s_and_b64 vcc, exec, s[10:11]
	s_cbranch_vccz .LBB30_1190
; %bb.1189:
	global_load_ubyte v1, v[2:3], off
	s_mov_b32 s10, 0x7f800000
	s_waitcnt vmcnt(0)
	v_lshlrev_b32_e32 v1, 24, v1
	v_and_b32_e32 v5, 0x7f000000, v1
	v_ffbh_u32_e32 v6, v5
	v_min_u32_e32 v6, 32, v6
	v_sub_u32_e64 v6, v6, 4 clamp
	v_lshlrev_b32_e32 v8, v6, v5
	v_lshlrev_b32_e32 v6, 23, v6
	v_lshrrev_b32_e32 v8, 4, v8
	v_add_u32_e32 v7, 0x1000000, v5
	v_sub_u32_e32 v6, v8, v6
	v_ashrrev_i32_e32 v7, 8, v7
	v_add_u32_e32 v6, 0x3c000000, v6
	v_and_or_b32 v6, v7, s10, v6
	v_cmp_ne_u32_e32 vcc, 0, v5
	s_brev_b32 s10, 1
	s_nop 0
	v_cndmask_b32_e32 v5, 0, v6, vcc
	v_and_or_b32 v1, v1, s10, v5
	v_cvt_i32_f32_e32 v8, v1
.LBB30_1190:
	s_mov_b64 s[10:11], 0
.LBB30_1191:
	s_andn2_b64 vcc, exec, s[10:11]
	s_cbranch_vccnz .LBB30_1193
; %bb.1192:
	global_load_ubyte v1, v[2:3], off
	s_movk_i32 s10, 0x7f00
	s_brev_b32 s11, 16
	s_waitcnt vmcnt(0)
	v_lshlrev_b16_e32 v5, 8, v1
	v_lshlrev_b32_e32 v1, 25, v1
	v_lshrrev_b32_e32 v6, 4, v1
	v_and_or_b32 v7, v5, s10, 0.5
	v_or_b32_e32 v6, 0x70000000, v6
	v_add_f32_e32 v7, -0.5, v7
	v_mul_f32_e32 v6, 0x7800000, v6
	v_cmp_gt_u32_e32 vcc, s11, v1
	v_bfe_i32 v5, v5, 0, 16
	s_brev_b32 s10, 1
	v_cndmask_b32_e32 v1, v6, v7, vcc
	v_and_or_b32 v1, v5, s10, v1
	v_cvt_i32_f32_e32 v8, v1
.LBB30_1193:
	s_mov_b64 s[10:11], 0
	s_mov_b64 s[16:17], -1
.LBB30_1194:
	s_andn2_b64 vcc, exec, s[10:11]
	s_mov_b64 s[10:11], 0
	s_cbranch_vccnz .LBB30_1205
; %bb.1195:
	s_cmp_gt_i32 s20, 14
	s_cbranch_scc0 .LBB30_1198
; %bb.1196:
	s_cmp_eq_u32 s20, 15
	s_cbranch_scc0 .LBB30_1201
; %bb.1197:
	global_load_ushort v1, v[2:3], off
	s_mov_b64 s[0:1], 0
	s_mov_b64 s[16:17], -1
	s_waitcnt vmcnt(0)
	v_lshlrev_b32_e32 v1, 16, v1
	v_cvt_i32_f32_e32 v8, v1
	s_branch .LBB30_1202
.LBB30_1198:
	s_mov_b64 s[18:19], -1
                                        ; implicit-def: $vgpr8
	s_branch .LBB30_1203
.LBB30_1199:
	s_andn2_saveexec_b64 s[10:11], s[10:11]
	s_cbranch_execz .LBB30_1180
.LBB30_1200:
	v_cmp_ne_u16_e32 vcc, 0, v1
	s_andn2_b64 s[16:17], s[16:17], exec
	s_and_b64 s[18:19], vcc, exec
	s_or_b64 s[16:17], s[16:17], s[18:19]
	s_or_b64 exec, exec, s[10:11]
	v_mov_b32_e32 v8, 0
	s_and_saveexec_b64 s[10:11], s[16:17]
	s_cbranch_execnz .LBB30_1181
	s_branch .LBB30_1182
.LBB30_1201:
	s_mov_b64 s[0:1], -1
                                        ; implicit-def: $vgpr8
.LBB30_1202:
	s_mov_b64 s[18:19], 0
.LBB30_1203:
	s_and_b64 vcc, exec, s[18:19]
	s_cbranch_vccz .LBB30_1205
; %bb.1204:
	s_cmp_lg_u32 s20, 11
	s_mov_b64 s[10:11], -1
	s_cselect_b64 s[0:1], -1, 0
.LBB30_1205:
	s_and_b64 vcc, exec, s[0:1]
	s_cbranch_vccnz .LBB30_1278
; %bb.1206:
	s_andn2_b64 vcc, exec, s[10:11]
	s_cbranch_vccnz .LBB30_1208
.LBB30_1207:
	global_load_ubyte v1, v[2:3], off
	s_mov_b64 s[16:17], -1
	s_waitcnt vmcnt(0)
	v_cmp_ne_u16_e32 vcc, 0, v1
	s_nop 1
	v_cndmask_b32_e64 v8, 0, 1, vcc
.LBB30_1208:
	s_branch .LBB30_1139
.LBB30_1209:
	s_cmp_lt_i32 s20, 5
	s_cbranch_scc1 .LBB30_1214
; %bb.1210:
	s_cmp_lt_i32 s20, 8
	s_cbranch_scc1 .LBB30_1215
; %bb.1211:
	;; [unrolled: 3-line block ×3, first 2 shown]
	s_cmp_gt_i32 s20, 9
	s_cbranch_scc0 .LBB30_1217
; %bb.1213:
	global_load_dwordx2 v[6:7], v[2:3], off
	s_mov_b64 s[0:1], 0
	s_waitcnt vmcnt(0)
	v_cvt_i32_f64_e32 v8, v[6:7]
	s_branch .LBB30_1218
.LBB30_1214:
                                        ; implicit-def: $vgpr8
	s_branch .LBB30_1236
.LBB30_1215:
	s_mov_b64 s[0:1], -1
                                        ; implicit-def: $vgpr8
	s_branch .LBB30_1224
.LBB30_1216:
	s_mov_b64 s[0:1], -1
                                        ; implicit-def: $vgpr8
	s_branch .LBB30_1221
.LBB30_1217:
	s_mov_b64 s[0:1], -1
                                        ; implicit-def: $vgpr8
.LBB30_1218:
	s_andn2_b64 vcc, exec, s[0:1]
	s_cbranch_vccnz .LBB30_1220
; %bb.1219:
	global_load_dword v1, v[2:3], off
	s_waitcnt vmcnt(0)
	v_cvt_i32_f32_e32 v8, v1
.LBB30_1220:
	s_mov_b64 s[0:1], 0
.LBB30_1221:
	s_andn2_b64 vcc, exec, s[0:1]
	s_cbranch_vccnz .LBB30_1223
; %bb.1222:
	global_load_dword v1, v[2:3], off
	s_waitcnt vmcnt(0)
	v_cvt_f32_f16_e32 v1, v1
	v_cvt_i32_f32_e32 v8, v1
.LBB30_1223:
	s_mov_b64 s[0:1], 0
.LBB30_1224:
	s_andn2_b64 vcc, exec, s[0:1]
	s_cbranch_vccnz .LBB30_1235
; %bb.1225:
	s_cmp_lt_i32 s20, 6
	s_cbranch_scc1 .LBB30_1228
; %bb.1226:
	s_cmp_gt_i32 s20, 6
	s_cbranch_scc0 .LBB30_1229
; %bb.1227:
	global_load_dwordx2 v[6:7], v[2:3], off
	s_mov_b64 s[0:1], 0
	s_waitcnt vmcnt(0)
	v_cvt_i32_f64_e32 v8, v[6:7]
	s_branch .LBB30_1230
.LBB30_1228:
	s_mov_b64 s[0:1], -1
                                        ; implicit-def: $vgpr8
	s_branch .LBB30_1233
.LBB30_1229:
	s_mov_b64 s[0:1], -1
                                        ; implicit-def: $vgpr8
.LBB30_1230:
	s_andn2_b64 vcc, exec, s[0:1]
	s_cbranch_vccnz .LBB30_1232
; %bb.1231:
	global_load_dword v1, v[2:3], off
	s_waitcnt vmcnt(0)
	v_cvt_i32_f32_e32 v8, v1
.LBB30_1232:
	s_mov_b64 s[0:1], 0
.LBB30_1233:
	s_andn2_b64 vcc, exec, s[0:1]
	s_cbranch_vccnz .LBB30_1235
; %bb.1234:
	global_load_ushort v1, v[2:3], off
	s_waitcnt vmcnt(0)
	v_cvt_f32_f16_e32 v1, v1
	v_cvt_i32_f32_e32 v8, v1
.LBB30_1235:
	s_cbranch_execnz .LBB30_1255
.LBB30_1236:
	s_cmp_lt_i32 s20, 2
	s_cbranch_scc1 .LBB30_1240
; %bb.1237:
	s_cmp_lt_i32 s20, 3
	s_cbranch_scc1 .LBB30_1241
; %bb.1238:
	s_cmp_gt_i32 s20, 3
	s_cbranch_scc0 .LBB30_1242
; %bb.1239:
	global_load_dword v8, v[2:3], off
	s_mov_b64 s[0:1], 0
	s_branch .LBB30_1243
.LBB30_1240:
	s_mov_b64 s[0:1], -1
                                        ; implicit-def: $vgpr8
	s_branch .LBB30_1249
.LBB30_1241:
	s_mov_b64 s[0:1], -1
                                        ; implicit-def: $vgpr8
	s_branch .LBB30_1246
.LBB30_1242:
	s_mov_b64 s[0:1], -1
                                        ; implicit-def: $vgpr8
.LBB30_1243:
	s_andn2_b64 vcc, exec, s[0:1]
	s_cbranch_vccnz .LBB30_1245
; %bb.1244:
	global_load_dword v8, v[2:3], off
.LBB30_1245:
	s_mov_b64 s[0:1], 0
.LBB30_1246:
	s_andn2_b64 vcc, exec, s[0:1]
	s_cbranch_vccnz .LBB30_1248
; %bb.1247:
	global_load_sshort v8, v[2:3], off
.LBB30_1248:
	s_mov_b64 s[0:1], 0
.LBB30_1249:
	s_andn2_b64 vcc, exec, s[0:1]
	s_cbranch_vccnz .LBB30_1255
; %bb.1250:
	s_cmp_gt_i32 s20, 0
	s_cbranch_scc0 .LBB30_1252
; %bb.1251:
	global_load_sbyte v8, v[2:3], off
	s_mov_b64 s[0:1], 0
	s_branch .LBB30_1253
.LBB30_1252:
	s_mov_b64 s[0:1], -1
                                        ; implicit-def: $vgpr8
.LBB30_1253:
	s_andn2_b64 vcc, exec, s[0:1]
	s_cbranch_vccnz .LBB30_1255
; %bb.1254:
	global_load_ubyte v8, v[2:3], off
.LBB30_1255:
.LBB30_1256:
	v_add_u32_e32 v0, s9, v0
	v_ashrrev_i32_e32 v1, 31, v0
	s_cmp_lt_i32 s20, 11
	v_lshl_add_u64 v[2:3], s[6:7], 0, v[0:1]
	s_cbranch_scc1 .LBB30_1263
; %bb.1257:
	s_cmp_gt_i32 s20, 25
	s_mov_b64 s[10:11], 0
	s_cbranch_scc0 .LBB30_1272
; %bb.1258:
	s_cmp_gt_i32 s20, 28
	s_cbranch_scc0 .LBB30_1274
; %bb.1259:
	s_cmp_gt_i32 s20, 43
	s_cbranch_scc0 .LBB30_1276
; %bb.1260:
	s_cmp_gt_i32 s20, 45
	s_cbranch_scc0 .LBB30_1279
; %bb.1261:
	s_cmp_eq_u32 s20, 46
	s_mov_b64 s[18:19], 0
	s_cbranch_scc0 .LBB30_1281
; %bb.1262:
	global_load_dword v1, v[2:3], off
	s_mov_b64 s[0:1], 0
	s_mov_b64 s[16:17], -1
	s_waitcnt vmcnt(0)
	v_lshlrev_b32_e32 v1, 16, v1
	v_cvt_i32_f32_e32 v7, v1
	s_branch .LBB30_1282
.LBB30_1263:
	s_mov_b64 s[16:17], 0
                                        ; implicit-def: $vgpr7
	s_cbranch_execnz .LBB30_1345
.LBB30_1264:
	s_andn2_b64 vcc, exec, s[16:17]
	s_cbranch_vccnz .LBB30_1393
.LBB30_1265:
	v_add_u32_e32 v0, s9, v0
	v_ashrrev_i32_e32 v1, 31, v0
	s_cmp_lt_i32 s20, 11
	v_lshl_add_u64 v[0:1], s[6:7], 0, v[0:1]
	s_cbranch_scc1 .LBB30_1273
; %bb.1266:
	s_cmp_gt_i32 s20, 25
	s_mov_b64 s[6:7], 0
	s_cbranch_scc0 .LBB30_1275
; %bb.1267:
	s_cmp_gt_i32 s20, 28
	s_cbranch_scc0 .LBB30_1277
; %bb.1268:
	s_cmp_gt_i32 s20, 43
	;; [unrolled: 3-line block ×3, first 2 shown]
	s_cbranch_scc0 .LBB30_1285
; %bb.1270:
	s_cmp_eq_u32 s20, 46
	s_mov_b64 s[16:17], 0
	s_cbranch_scc0 .LBB30_1440
; %bb.1271:
	global_load_dword v2, v[0:1], off
	s_mov_b64 s[0:1], 0
	s_mov_b64 s[10:11], -1
	s_waitcnt vmcnt(0)
	v_lshlrev_b32_e32 v2, 16, v2
	v_cvt_i32_f32_e32 v6, v2
	s_branch .LBB30_1441
.LBB30_1272:
	s_mov_b64 s[18:19], -1
	s_mov_b64 s[16:17], 0
	s_mov_b64 s[0:1], 0
                                        ; implicit-def: $vgpr7
	s_branch .LBB30_1310
.LBB30_1273:
	s_mov_b64 s[0:1], -1
	s_mov_b64 s[10:11], 0
                                        ; implicit-def: $vgpr6
	s_branch .LBB30_1503
.LBB30_1274:
	s_mov_b64 s[18:19], -1
	s_mov_b64 s[16:17], 0
	s_mov_b64 s[0:1], 0
                                        ; implicit-def: $vgpr7
	s_branch .LBB30_1293
.LBB30_1275:
	s_mov_b64 s[16:17], -1
	s_mov_b64 s[10:11], 0
	s_mov_b64 s[0:1], 0
                                        ; implicit-def: $vgpr6
	s_branch .LBB30_1468
.LBB30_1276:
	s_mov_b64 s[18:19], -1
	s_mov_b64 s[16:17], 0
	s_mov_b64 s[0:1], 0
                                        ; implicit-def: $vgpr7
	s_branch .LBB30_1288
.LBB30_1277:
	s_mov_b64 s[16:17], -1
	s_mov_b64 s[10:11], 0
	s_mov_b64 s[0:1], 0
                                        ; implicit-def: $vgpr6
	s_branch .LBB30_1451
.LBB30_1278:
	s_trap 2
	s_or_b64 s[14:15], s[14:15], exec
	s_cbranch_execz .LBB30_1207
	s_branch .LBB30_1208
.LBB30_1279:
	s_mov_b64 s[18:19], -1
	s_mov_b64 s[16:17], 0
	s_mov_b64 s[0:1], 0
                                        ; implicit-def: $vgpr7
	s_branch .LBB30_1282
.LBB30_1280:
	s_mov_b64 s[16:17], -1
	s_mov_b64 s[10:11], 0
	s_mov_b64 s[0:1], 0
                                        ; implicit-def: $vgpr6
	s_branch .LBB30_1446
.LBB30_1281:
	s_mov_b64 s[0:1], -1
                                        ; implicit-def: $vgpr7
	s_mov_b64 s[16:17], 0
.LBB30_1282:
	s_and_b64 vcc, exec, s[18:19]
	s_cbranch_vccz .LBB30_1287
; %bb.1283:
	s_cmp_eq_u32 s20, 44
	s_cbranch_scc0 .LBB30_1286
; %bb.1284:
	global_load_ubyte v1, v[2:3], off
	s_mov_b64 s[0:1], 0
	s_mov_b64 s[16:17], -1
	s_waitcnt vmcnt(0)
	v_lshlrev_b32_e32 v5, 23, v1
	v_cvt_i32_f32_e32 v5, v5
	v_cmp_ne_u32_e32 vcc, 0, v1
	s_nop 1
	v_cndmask_b32_e32 v7, 0, v5, vcc
	s_branch .LBB30_1287
.LBB30_1285:
	s_mov_b64 s[16:17], -1
	s_mov_b64 s[10:11], 0
	s_mov_b64 s[0:1], 0
                                        ; implicit-def: $vgpr6
	s_branch .LBB30_1441
.LBB30_1286:
	s_mov_b64 s[0:1], -1
                                        ; implicit-def: $vgpr7
.LBB30_1287:
	s_mov_b64 s[18:19], 0
.LBB30_1288:
	s_and_b64 vcc, exec, s[18:19]
	s_cbranch_vccz .LBB30_1292
; %bb.1289:
	s_cmp_eq_u32 s20, 29
	s_cbranch_scc0 .LBB30_1291
; %bb.1290:
	global_load_dword v7, v[2:3], off
	s_mov_b64 s[0:1], 0
	s_mov_b64 s[16:17], -1
	s_branch .LBB30_1292
.LBB30_1291:
	s_mov_b64 s[0:1], -1
                                        ; implicit-def: $vgpr7
.LBB30_1292:
	s_mov_b64 s[18:19], 0
.LBB30_1293:
	s_and_b64 vcc, exec, s[18:19]
	s_cbranch_vccz .LBB30_1309
; %bb.1294:
	s_cmp_lt_i32 s20, 27
	s_cbranch_scc1 .LBB30_1297
; %bb.1295:
	s_cmp_gt_i32 s20, 27
	s_cbranch_scc0 .LBB30_1298
; %bb.1296:
	global_load_dword v7, v[2:3], off
	s_mov_b64 s[16:17], 0
	s_branch .LBB30_1299
.LBB30_1297:
	s_mov_b64 s[16:17], -1
                                        ; implicit-def: $vgpr7
	s_branch .LBB30_1302
.LBB30_1298:
	s_mov_b64 s[16:17], -1
                                        ; implicit-def: $vgpr7
.LBB30_1299:
	s_andn2_b64 vcc, exec, s[16:17]
	s_cbranch_vccnz .LBB30_1301
; %bb.1300:
	global_load_ushort v7, v[2:3], off
.LBB30_1301:
	s_mov_b64 s[16:17], 0
.LBB30_1302:
	s_andn2_b64 vcc, exec, s[16:17]
	s_cbranch_vccnz .LBB30_1308
; %bb.1303:
	global_load_ubyte v1, v[2:3], off
	s_movk_i32 s16, 0x7f
	s_mov_b64 s[18:19], 0
	s_waitcnt vmcnt(0)
	v_cmp_lt_i16_e32 vcc, s16, v1
	s_and_saveexec_b64 s[16:17], vcc
	s_xor_b64 s[16:17], exec, s[16:17]
	s_cbranch_execz .LBB30_1320
; %bb.1304:
	s_movk_i32 s18, 0x80
	v_cmp_ne_u16_e32 vcc, s18, v1
	s_and_b64 s[18:19], vcc, exec
	s_andn2_saveexec_b64 s[16:17], s[16:17]
	s_cbranch_execnz .LBB30_1321
.LBB30_1305:
	s_or_b64 exec, exec, s[16:17]
	v_mov_b32_e32 v7, 0
	s_and_saveexec_b64 s[16:17], s[18:19]
	s_cbranch_execz .LBB30_1307
.LBB30_1306:
	v_lshlrev_b32_e32 v5, 24, v1
	v_and_b32_e32 v1, 0xffff, v1
	v_and_b32_e32 v6, 7, v1
	v_ffbh_u32_e32 v10, v6
	v_min_u32_e32 v10, 32, v10
	v_subrev_u32_e32 v11, 28, v10
	v_bfe_u32 v7, v1, 3, 4
	v_lshlrev_b32_e32 v1, v11, v1
	v_sub_u32_e32 v10, 29, v10
	v_and_b32_e32 v1, 7, v1
	v_cmp_eq_u32_e32 vcc, 0, v7
	v_and_b32_e32 v5, 0x80000000, v5
	s_nop 0
	v_cndmask_b32_e32 v7, v7, v10, vcc
	v_cndmask_b32_e32 v1, v6, v1, vcc
	v_mov_b32_e32 v6, 0x3b800000
	v_lshlrev_b32_e32 v1, 20, v1
	v_lshl_add_u32 v6, v7, 23, v6
	v_or3_b32 v1, v5, v6, v1
	v_cvt_i32_f32_e32 v7, v1
.LBB30_1307:
	s_or_b64 exec, exec, s[16:17]
.LBB30_1308:
	s_mov_b64 s[16:17], -1
.LBB30_1309:
	s_mov_b64 s[18:19], 0
.LBB30_1310:
	s_and_b64 vcc, exec, s[18:19]
	s_cbranch_vccz .LBB30_1341
; %bb.1311:
	s_cmp_gt_i32 s20, 22
	s_cbranch_scc0 .LBB30_1319
; %bb.1312:
	s_cmp_lt_i32 s20, 24
	s_cbranch_scc1 .LBB30_1322
; %bb.1313:
	s_cmp_gt_i32 s20, 24
	s_cbranch_scc0 .LBB30_1323
; %bb.1314:
	global_load_ubyte v1, v[2:3], off
	s_movk_i32 s10, 0x7f
	s_mov_b64 s[16:17], 0
	s_waitcnt vmcnt(0)
	v_cmp_lt_i16_e32 vcc, s10, v1
	s_and_saveexec_b64 s[10:11], vcc
	s_xor_b64 s[10:11], exec, s[10:11]
	s_cbranch_execz .LBB30_1335
; %bb.1315:
	s_movk_i32 s16, 0x80
	v_cmp_ne_u16_e32 vcc, s16, v1
	s_and_b64 s[16:17], vcc, exec
	s_andn2_saveexec_b64 s[10:11], s[10:11]
	s_cbranch_execnz .LBB30_1336
.LBB30_1316:
	s_or_b64 exec, exec, s[10:11]
	v_mov_b32_e32 v7, 0
	s_and_saveexec_b64 s[10:11], s[16:17]
	s_cbranch_execz .LBB30_1318
.LBB30_1317:
	v_lshlrev_b32_e32 v5, 24, v1
	v_and_b32_e32 v1, 0xffff, v1
	v_and_b32_e32 v6, 3, v1
	v_ffbh_u32_e32 v10, v6
	v_min_u32_e32 v10, 32, v10
	v_subrev_u32_e32 v11, 29, v10
	v_bfe_u32 v7, v1, 2, 5
	v_lshlrev_b32_e32 v1, v11, v1
	v_sub_u32_e32 v10, 30, v10
	v_and_b32_e32 v1, 3, v1
	v_cmp_eq_u32_e32 vcc, 0, v7
	v_and_b32_e32 v5, 0x80000000, v5
	s_nop 0
	v_cndmask_b32_e32 v7, v7, v10, vcc
	v_cndmask_b32_e32 v1, v6, v1, vcc
	v_mov_b32_e32 v6, 0x37800000
	v_lshlrev_b32_e32 v1, 21, v1
	v_lshl_add_u32 v6, v7, 23, v6
	v_or3_b32 v1, v5, v6, v1
	v_cvt_i32_f32_e32 v7, v1
.LBB30_1318:
	s_or_b64 exec, exec, s[10:11]
	s_mov_b64 s[10:11], 0
	s_branch .LBB30_1324
.LBB30_1319:
	s_mov_b64 s[10:11], -1
                                        ; implicit-def: $vgpr7
	s_branch .LBB30_1330
.LBB30_1320:
	s_andn2_saveexec_b64 s[16:17], s[16:17]
	s_cbranch_execz .LBB30_1305
.LBB30_1321:
	v_cmp_ne_u16_e32 vcc, 0, v1
	s_andn2_b64 s[18:19], s[18:19], exec
	s_and_b64 s[22:23], vcc, exec
	s_or_b64 s[18:19], s[18:19], s[22:23]
	s_or_b64 exec, exec, s[16:17]
	v_mov_b32_e32 v7, 0
	s_and_saveexec_b64 s[16:17], s[18:19]
	s_cbranch_execnz .LBB30_1306
	s_branch .LBB30_1307
.LBB30_1322:
	s_mov_b64 s[10:11], -1
                                        ; implicit-def: $vgpr7
	s_branch .LBB30_1327
.LBB30_1323:
	s_mov_b64 s[10:11], -1
                                        ; implicit-def: $vgpr7
.LBB30_1324:
	s_and_b64 vcc, exec, s[10:11]
	s_cbranch_vccz .LBB30_1326
; %bb.1325:
	global_load_ubyte v1, v[2:3], off
	s_mov_b32 s10, 0x7f800000
	s_waitcnt vmcnt(0)
	v_lshlrev_b32_e32 v1, 24, v1
	v_and_b32_e32 v5, 0x7f000000, v1
	v_ffbh_u32_e32 v6, v5
	v_min_u32_e32 v6, 32, v6
	v_sub_u32_e64 v6, v6, 4 clamp
	v_lshlrev_b32_e32 v10, v6, v5
	v_lshlrev_b32_e32 v6, 23, v6
	v_lshrrev_b32_e32 v10, 4, v10
	v_add_u32_e32 v7, 0x1000000, v5
	v_sub_u32_e32 v6, v10, v6
	v_ashrrev_i32_e32 v7, 8, v7
	v_add_u32_e32 v6, 0x3c000000, v6
	v_and_or_b32 v6, v7, s10, v6
	v_cmp_ne_u32_e32 vcc, 0, v5
	s_brev_b32 s10, 1
	s_nop 0
	v_cndmask_b32_e32 v5, 0, v6, vcc
	v_and_or_b32 v1, v1, s10, v5
	v_cvt_i32_f32_e32 v7, v1
.LBB30_1326:
	s_mov_b64 s[10:11], 0
.LBB30_1327:
	s_andn2_b64 vcc, exec, s[10:11]
	s_cbranch_vccnz .LBB30_1329
; %bb.1328:
	global_load_ubyte v1, v[2:3], off
	s_movk_i32 s10, 0x7f00
	s_brev_b32 s11, 16
	s_waitcnt vmcnt(0)
	v_lshlrev_b16_e32 v5, 8, v1
	v_lshlrev_b32_e32 v1, 25, v1
	v_lshrrev_b32_e32 v6, 4, v1
	v_and_or_b32 v7, v5, s10, 0.5
	v_or_b32_e32 v6, 0x70000000, v6
	v_add_f32_e32 v7, -0.5, v7
	v_mul_f32_e32 v6, 0x7800000, v6
	v_cmp_gt_u32_e32 vcc, s11, v1
	v_bfe_i32 v5, v5, 0, 16
	s_brev_b32 s10, 1
	v_cndmask_b32_e32 v1, v6, v7, vcc
	v_and_or_b32 v1, v5, s10, v1
	v_cvt_i32_f32_e32 v7, v1
.LBB30_1329:
	s_mov_b64 s[10:11], 0
	s_mov_b64 s[16:17], -1
.LBB30_1330:
	s_andn2_b64 vcc, exec, s[10:11]
	s_mov_b64 s[10:11], 0
	s_cbranch_vccnz .LBB30_1341
; %bb.1331:
	s_cmp_gt_i32 s20, 14
	s_cbranch_scc0 .LBB30_1334
; %bb.1332:
	s_cmp_eq_u32 s20, 15
	s_cbranch_scc0 .LBB30_1337
; %bb.1333:
	global_load_ushort v1, v[2:3], off
	s_mov_b64 s[0:1], 0
	s_mov_b64 s[16:17], -1
	s_waitcnt vmcnt(0)
	v_lshlrev_b32_e32 v1, 16, v1
	v_cvt_i32_f32_e32 v7, v1
	s_branch .LBB30_1338
.LBB30_1334:
	s_mov_b64 s[18:19], -1
                                        ; implicit-def: $vgpr7
	s_branch .LBB30_1339
.LBB30_1335:
	s_andn2_saveexec_b64 s[10:11], s[10:11]
	s_cbranch_execz .LBB30_1316
.LBB30_1336:
	v_cmp_ne_u16_e32 vcc, 0, v1
	s_andn2_b64 s[16:17], s[16:17], exec
	s_and_b64 s[18:19], vcc, exec
	s_or_b64 s[16:17], s[16:17], s[18:19]
	s_or_b64 exec, exec, s[10:11]
	v_mov_b32_e32 v7, 0
	s_and_saveexec_b64 s[10:11], s[16:17]
	s_cbranch_execnz .LBB30_1317
	s_branch .LBB30_1318
.LBB30_1337:
	s_mov_b64 s[0:1], -1
                                        ; implicit-def: $vgpr7
.LBB30_1338:
	s_mov_b64 s[18:19], 0
.LBB30_1339:
	s_and_b64 vcc, exec, s[18:19]
	s_cbranch_vccz .LBB30_1341
; %bb.1340:
	s_cmp_lg_u32 s20, 11
	s_mov_b64 s[10:11], -1
	s_cselect_b64 s[0:1], -1, 0
.LBB30_1341:
	s_and_b64 vcc, exec, s[0:1]
	s_cbranch_vccnz .LBB30_1439
; %bb.1342:
	s_andn2_b64 vcc, exec, s[10:11]
	s_cbranch_vccnz .LBB30_1344
.LBB30_1343:
	global_load_ubyte v1, v[2:3], off
	s_mov_b64 s[16:17], -1
	s_waitcnt vmcnt(0)
	v_cmp_ne_u16_e32 vcc, 0, v1
	s_nop 1
	v_cndmask_b32_e64 v7, 0, 1, vcc
.LBB30_1344:
	s_branch .LBB30_1264
.LBB30_1345:
	s_cmp_lt_i32 s20, 5
	s_cbranch_scc1 .LBB30_1350
; %bb.1346:
	s_cmp_lt_i32 s20, 8
	s_cbranch_scc1 .LBB30_1351
; %bb.1347:
	;; [unrolled: 3-line block ×3, first 2 shown]
	s_cmp_gt_i32 s20, 9
	s_cbranch_scc0 .LBB30_1353
; %bb.1349:
	global_load_dwordx2 v[6:7], v[2:3], off
	s_mov_b64 s[0:1], 0
	s_waitcnt vmcnt(0)
	v_cvt_i32_f64_e32 v7, v[6:7]
	s_branch .LBB30_1354
.LBB30_1350:
	s_mov_b64 s[0:1], -1
                                        ; implicit-def: $vgpr7
	s_branch .LBB30_1372
.LBB30_1351:
	s_mov_b64 s[0:1], -1
                                        ; implicit-def: $vgpr7
	s_branch .LBB30_1360
.LBB30_1352:
	s_mov_b64 s[0:1], -1
                                        ; implicit-def: $vgpr7
	s_branch .LBB30_1357
.LBB30_1353:
	s_mov_b64 s[0:1], -1
                                        ; implicit-def: $vgpr7
.LBB30_1354:
	s_andn2_b64 vcc, exec, s[0:1]
	s_cbranch_vccnz .LBB30_1356
; %bb.1355:
	global_load_dword v1, v[2:3], off
	s_waitcnt vmcnt(0)
	v_cvt_i32_f32_e32 v7, v1
.LBB30_1356:
	s_mov_b64 s[0:1], 0
.LBB30_1357:
	s_andn2_b64 vcc, exec, s[0:1]
	s_cbranch_vccnz .LBB30_1359
; %bb.1358:
	global_load_dword v1, v[2:3], off
	s_waitcnt vmcnt(0)
	v_cvt_f32_f16_e32 v1, v1
	v_cvt_i32_f32_e32 v7, v1
.LBB30_1359:
	s_mov_b64 s[0:1], 0
.LBB30_1360:
	s_andn2_b64 vcc, exec, s[0:1]
	s_cbranch_vccnz .LBB30_1371
; %bb.1361:
	s_cmp_lt_i32 s20, 6
	s_cbranch_scc1 .LBB30_1364
; %bb.1362:
	s_cmp_gt_i32 s20, 6
	s_cbranch_scc0 .LBB30_1365
; %bb.1363:
	global_load_dwordx2 v[6:7], v[2:3], off
	s_mov_b64 s[0:1], 0
	s_waitcnt vmcnt(0)
	v_cvt_i32_f64_e32 v7, v[6:7]
	s_branch .LBB30_1366
.LBB30_1364:
	s_mov_b64 s[0:1], -1
                                        ; implicit-def: $vgpr7
	s_branch .LBB30_1369
.LBB30_1365:
	s_mov_b64 s[0:1], -1
                                        ; implicit-def: $vgpr7
.LBB30_1366:
	s_andn2_b64 vcc, exec, s[0:1]
	s_cbranch_vccnz .LBB30_1368
; %bb.1367:
	global_load_dword v1, v[2:3], off
	s_waitcnt vmcnt(0)
	v_cvt_i32_f32_e32 v7, v1
.LBB30_1368:
	s_mov_b64 s[0:1], 0
.LBB30_1369:
	s_andn2_b64 vcc, exec, s[0:1]
	s_cbranch_vccnz .LBB30_1371
; %bb.1370:
	global_load_ushort v1, v[2:3], off
	s_waitcnt vmcnt(0)
	v_cvt_f32_f16_e32 v1, v1
	v_cvt_i32_f32_e32 v7, v1
.LBB30_1371:
	s_mov_b64 s[0:1], 0
.LBB30_1372:
	s_andn2_b64 vcc, exec, s[0:1]
	s_cbranch_vccnz .LBB30_1392
; %bb.1373:
	s_cmp_lt_i32 s20, 2
	s_cbranch_scc1 .LBB30_1377
; %bb.1374:
	s_cmp_lt_i32 s20, 3
	s_cbranch_scc1 .LBB30_1378
; %bb.1375:
	s_cmp_gt_i32 s20, 3
	s_cbranch_scc0 .LBB30_1379
; %bb.1376:
	global_load_dword v7, v[2:3], off
	s_mov_b64 s[0:1], 0
	s_branch .LBB30_1380
.LBB30_1377:
	s_mov_b64 s[0:1], -1
                                        ; implicit-def: $vgpr7
	s_branch .LBB30_1386
.LBB30_1378:
	s_mov_b64 s[0:1], -1
                                        ; implicit-def: $vgpr7
	s_branch .LBB30_1383
.LBB30_1379:
	s_mov_b64 s[0:1], -1
                                        ; implicit-def: $vgpr7
.LBB30_1380:
	s_andn2_b64 vcc, exec, s[0:1]
	s_cbranch_vccnz .LBB30_1382
; %bb.1381:
	global_load_dword v7, v[2:3], off
.LBB30_1382:
	s_mov_b64 s[0:1], 0
.LBB30_1383:
	s_andn2_b64 vcc, exec, s[0:1]
	s_cbranch_vccnz .LBB30_1385
; %bb.1384:
	global_load_sshort v7, v[2:3], off
.LBB30_1385:
	s_mov_b64 s[0:1], 0
.LBB30_1386:
	s_andn2_b64 vcc, exec, s[0:1]
	s_cbranch_vccnz .LBB30_1392
; %bb.1387:
	s_cmp_gt_i32 s20, 0
	s_cbranch_scc0 .LBB30_1389
; %bb.1388:
	global_load_sbyte v7, v[2:3], off
	s_mov_b64 s[0:1], 0
	s_branch .LBB30_1390
.LBB30_1389:
	s_mov_b64 s[0:1], -1
                                        ; implicit-def: $vgpr7
.LBB30_1390:
	s_andn2_b64 vcc, exec, s[0:1]
	s_cbranch_vccnz .LBB30_1392
; %bb.1391:
	global_load_ubyte v7, v[2:3], off
.LBB30_1392:
	s_branch .LBB30_1265
.LBB30_1393:
	s_mov_b64 s[0:1], 0
                                        ; implicit-def: $sgpr20
                                        ; implicit-def: $vgpr0_vgpr1
                                        ; implicit-def: $vgpr2
                                        ; implicit-def: $vgpr6
.LBB30_1394:
	s_mov_b64 s[4:5], 0
.LBB30_1395:
	s_and_b64 s[10:11], s[4:5], exec
	s_andn2_b64 s[4:5], s[12:13], exec
	s_and_b64 s[6:7], s[14:15], exec
	s_and_b64 s[0:1], s[0:1], exec
	s_or_b64 s[12:13], s[4:5], s[6:7]
.LBB30_1396:
	s_or_b64 exec, exec, s[2:3]
	s_and_saveexec_b64 s[2:3], s[12:13]
	s_cbranch_execz .LBB30_1399
; %bb.1397:
	; divergent unreachable
	s_or_b64 exec, exec, s[2:3]
	s_and_saveexec_b64 s[2:3], s[10:11]
	s_xor_b64 s[2:3], exec, s[2:3]
	s_cbranch_execnz .LBB30_1400
.LBB30_1398:
	s_or_b64 exec, exec, s[2:3]
	s_and_saveexec_b64 s[2:3], s[0:1]
	s_cbranch_execnz .LBB30_1401
	s_branch .LBB30_1438
.LBB30_1399:
	s_or_b64 exec, exec, s[2:3]
	s_and_saveexec_b64 s[2:3], s[10:11]
	s_xor_b64 s[2:3], exec, s[2:3]
	s_cbranch_execz .LBB30_1398
.LBB30_1400:
	s_waitcnt vmcnt(0)
	v_cmp_ne_u32_e32 vcc, -1, v6
	s_nop 1
	v_cndmask_b32_e64 v3, 0, 1, vcc
	global_store_byte v[0:1], v3, off
	s_or_b64 exec, exec, s[2:3]
	s_and_saveexec_b64 s[2:3], s[0:1]
	s_cbranch_execz .LBB30_1438
.LBB30_1401:
	s_sext_i32_i16 s2, s20
	s_cmp_lt_i32 s2, 5
	s_mov_b64 s[0:1], -1
	s_cbranch_scc1 .LBB30_1422
; %bb.1402:
	s_cmp_lt_i32 s2, 8
	s_cbranch_scc1 .LBB30_1412
; %bb.1403:
	s_cmp_lt_i32 s2, 9
	s_cbranch_scc1 .LBB30_1409
; %bb.1404:
	s_cmp_gt_i32 s2, 9
	s_cbranch_scc0 .LBB30_1406
; %bb.1405:
	s_waitcnt vmcnt(0)
	v_mov_b32_e32 v6, 0
	v_cvt_f64_i32_e32 v[4:5], v2
	v_mov_b32_e32 v7, v6
	global_store_dwordx4 v[0:1], v[4:7], off
	s_mov_b64 s[0:1], 0
.LBB30_1406:
	s_andn2_b64 vcc, exec, s[0:1]
	s_cbranch_vccnz .LBB30_1408
; %bb.1407:
	v_cvt_f32_i32_e32 v4, v2
	s_waitcnt vmcnt(0)
	v_mov_b32_e32 v5, 0
	global_store_dwordx2 v[0:1], v[4:5], off
.LBB30_1408:
	s_mov_b64 s[0:1], 0
.LBB30_1409:
	s_andn2_b64 vcc, exec, s[0:1]
	s_cbranch_vccnz .LBB30_1411
; %bb.1410:
	v_cvt_f32_i32_e32 v3, v2
	v_cvt_f16_f32_e32 v3, v3
	global_store_dword v[0:1], v3, off
.LBB30_1411:
	s_mov_b64 s[0:1], 0
.LBB30_1412:
	s_andn2_b64 vcc, exec, s[0:1]
	s_cbranch_vccnz .LBB30_1421
; %bb.1413:
	s_sext_i32_i16 s2, s20
	s_cmp_lt_i32 s2, 6
	s_mov_b64 s[0:1], -1
	s_cbranch_scc1 .LBB30_1419
; %bb.1414:
	s_cmp_gt_i32 s2, 6
	s_cbranch_scc0 .LBB30_1416
; %bb.1415:
	s_waitcnt vmcnt(0)
	v_cvt_f64_i32_e32 v[4:5], v2
	global_store_dwordx2 v[0:1], v[4:5], off
	s_mov_b64 s[0:1], 0
.LBB30_1416:
	s_andn2_b64 vcc, exec, s[0:1]
	s_cbranch_vccnz .LBB30_1418
; %bb.1417:
	v_cvt_f32_i32_e32 v3, v2
	global_store_dword v[0:1], v3, off
.LBB30_1418:
	s_mov_b64 s[0:1], 0
.LBB30_1419:
	s_andn2_b64 vcc, exec, s[0:1]
	s_cbranch_vccnz .LBB30_1421
; %bb.1420:
	v_cvt_f32_i32_e32 v3, v2
	v_cvt_f16_f32_e32 v3, v3
	global_store_short v[0:1], v3, off
.LBB30_1421:
	s_mov_b64 s[0:1], 0
.LBB30_1422:
	s_andn2_b64 vcc, exec, s[0:1]
	s_cbranch_vccnz .LBB30_1438
; %bb.1423:
	s_sext_i32_i16 s2, s20
	s_cmp_lt_i32 s2, 2
	s_mov_b64 s[0:1], -1
	s_cbranch_scc1 .LBB30_1433
; %bb.1424:
	s_cmp_lt_i32 s2, 3
	s_cbranch_scc1 .LBB30_1430
; %bb.1425:
	s_cmp_gt_i32 s2, 3
	s_cbranch_scc0 .LBB30_1427
; %bb.1426:
	v_ashrrev_i32_e32 v3, 31, v2
	global_store_dwordx2 v[0:1], v[2:3], off
	s_mov_b64 s[0:1], 0
.LBB30_1427:
	s_andn2_b64 vcc, exec, s[0:1]
	s_cbranch_vccnz .LBB30_1429
; %bb.1428:
	global_store_dword v[0:1], v2, off
.LBB30_1429:
	s_mov_b64 s[0:1], 0
.LBB30_1430:
	s_andn2_b64 vcc, exec, s[0:1]
	s_cbranch_vccnz .LBB30_1432
; %bb.1431:
	global_store_short v[0:1], v2, off
.LBB30_1432:
	s_mov_b64 s[0:1], 0
.LBB30_1433:
	s_andn2_b64 vcc, exec, s[0:1]
	s_cbranch_vccnz .LBB30_1438
; %bb.1434:
	s_sext_i32_i16 s0, s20
	s_cmp_gt_i32 s0, 0
	s_mov_b64 s[0:1], -1
	s_cbranch_scc0 .LBB30_1436
; %bb.1435:
	global_store_byte v[0:1], v2, off
	s_mov_b64 s[0:1], 0
.LBB30_1436:
	s_andn2_b64 vcc, exec, s[0:1]
	s_cbranch_vccnz .LBB30_1438
; %bb.1437:
	global_store_byte v[0:1], v2, off
	s_endpgm
.LBB30_1438:
	s_endpgm
.LBB30_1439:
	s_trap 2
	s_or_b64 s[14:15], s[14:15], exec
	s_cbranch_execz .LBB30_1343
	s_branch .LBB30_1344
.LBB30_1440:
	s_mov_b64 s[0:1], -1
                                        ; implicit-def: $vgpr6
	s_mov_b64 s[10:11], 0
.LBB30_1441:
	s_and_b64 vcc, exec, s[16:17]
	s_cbranch_vccz .LBB30_1445
; %bb.1442:
	s_cmp_eq_u32 s20, 44
	s_cbranch_scc0 .LBB30_1444
; %bb.1443:
	global_load_ubyte v2, v[0:1], off
	s_mov_b64 s[0:1], 0
	s_mov_b64 s[10:11], -1
	s_waitcnt vmcnt(0)
	v_lshlrev_b32_e32 v3, 23, v2
	v_cvt_i32_f32_e32 v3, v3
	v_cmp_ne_u32_e32 vcc, 0, v2
	s_nop 1
	v_cndmask_b32_e32 v6, 0, v3, vcc
	s_branch .LBB30_1445
.LBB30_1444:
	s_mov_b64 s[0:1], -1
                                        ; implicit-def: $vgpr6
.LBB30_1445:
	s_mov_b64 s[16:17], 0
.LBB30_1446:
	s_and_b64 vcc, exec, s[16:17]
	s_cbranch_vccz .LBB30_1450
; %bb.1447:
	s_cmp_eq_u32 s20, 29
	s_cbranch_scc0 .LBB30_1449
; %bb.1448:
	global_load_dword v6, v[0:1], off
	s_mov_b64 s[0:1], 0
	s_mov_b64 s[10:11], -1
	s_branch .LBB30_1450
.LBB30_1449:
	s_mov_b64 s[0:1], -1
                                        ; implicit-def: $vgpr6
.LBB30_1450:
	s_mov_b64 s[16:17], 0
.LBB30_1451:
	s_and_b64 vcc, exec, s[16:17]
	s_cbranch_vccz .LBB30_1467
; %bb.1452:
	s_cmp_lt_i32 s20, 27
	s_cbranch_scc1 .LBB30_1455
; %bb.1453:
	s_cmp_gt_i32 s20, 27
	s_cbranch_scc0 .LBB30_1456
; %bb.1454:
	global_load_dword v6, v[0:1], off
	s_mov_b64 s[10:11], 0
	s_branch .LBB30_1457
.LBB30_1455:
	s_mov_b64 s[10:11], -1
                                        ; implicit-def: $vgpr6
	s_branch .LBB30_1460
.LBB30_1456:
	s_mov_b64 s[10:11], -1
                                        ; implicit-def: $vgpr6
.LBB30_1457:
	s_andn2_b64 vcc, exec, s[10:11]
	s_cbranch_vccnz .LBB30_1459
; %bb.1458:
	global_load_ushort v6, v[0:1], off
.LBB30_1459:
	s_mov_b64 s[10:11], 0
.LBB30_1460:
	s_andn2_b64 vcc, exec, s[10:11]
	s_cbranch_vccnz .LBB30_1466
; %bb.1461:
	global_load_ubyte v2, v[0:1], off
	s_movk_i32 s9, 0x7f
	s_mov_b64 s[16:17], 0
	s_waitcnt vmcnt(0)
	v_cmp_lt_i16_e32 vcc, s9, v2
	s_and_saveexec_b64 s[10:11], vcc
	s_xor_b64 s[10:11], exec, s[10:11]
	s_cbranch_execz .LBB30_1478
; %bb.1462:
	s_movk_i32 s9, 0x80
	v_cmp_ne_u16_e32 vcc, s9, v2
	s_and_b64 s[16:17], vcc, exec
	s_andn2_saveexec_b64 s[10:11], s[10:11]
	s_cbranch_execnz .LBB30_1479
.LBB30_1463:
	s_or_b64 exec, exec, s[10:11]
	v_mov_b32_e32 v6, 0
	s_and_saveexec_b64 s[10:11], s[16:17]
	s_cbranch_execz .LBB30_1465
.LBB30_1464:
	v_lshlrev_b32_e32 v3, 24, v2
	v_and_b32_e32 v2, 0xffff, v2
	v_and_b32_e32 v5, 7, v2
	v_ffbh_u32_e32 v10, v5
	v_min_u32_e32 v10, 32, v10
	v_subrev_u32_e32 v11, 28, v10
	v_bfe_u32 v6, v2, 3, 4
	v_lshlrev_b32_e32 v2, v11, v2
	v_sub_u32_e32 v10, 29, v10
	v_and_b32_e32 v2, 7, v2
	v_cmp_eq_u32_e32 vcc, 0, v6
	v_and_b32_e32 v3, 0x80000000, v3
	s_nop 0
	v_cndmask_b32_e32 v6, v6, v10, vcc
	v_cndmask_b32_e32 v2, v5, v2, vcc
	v_mov_b32_e32 v5, 0x3b800000
	v_lshlrev_b32_e32 v2, 20, v2
	v_lshl_add_u32 v5, v6, 23, v5
	v_or3_b32 v2, v3, v5, v2
	v_cvt_i32_f32_e32 v6, v2
.LBB30_1465:
	s_or_b64 exec, exec, s[10:11]
.LBB30_1466:
	s_mov_b64 s[10:11], -1
.LBB30_1467:
	s_mov_b64 s[16:17], 0
.LBB30_1468:
	s_and_b64 vcc, exec, s[16:17]
	s_cbranch_vccz .LBB30_1499
; %bb.1469:
	s_cmp_gt_i32 s20, 22
	s_cbranch_scc0 .LBB30_1477
; %bb.1470:
	s_cmp_lt_i32 s20, 24
	s_cbranch_scc1 .LBB30_1480
; %bb.1471:
	s_cmp_gt_i32 s20, 24
	s_cbranch_scc0 .LBB30_1481
; %bb.1472:
	global_load_ubyte v2, v[0:1], off
	s_movk_i32 s6, 0x7f
	s_mov_b64 s[10:11], 0
	s_waitcnt vmcnt(0)
	v_cmp_lt_i16_e32 vcc, s6, v2
	s_and_saveexec_b64 s[6:7], vcc
	s_xor_b64 s[6:7], exec, s[6:7]
	s_cbranch_execz .LBB30_1493
; %bb.1473:
	s_movk_i32 s9, 0x80
	v_cmp_ne_u16_e32 vcc, s9, v2
	s_and_b64 s[10:11], vcc, exec
	s_andn2_saveexec_b64 s[6:7], s[6:7]
	s_cbranch_execnz .LBB30_1494
.LBB30_1474:
	s_or_b64 exec, exec, s[6:7]
	v_mov_b32_e32 v6, 0
	s_and_saveexec_b64 s[6:7], s[10:11]
	s_cbranch_execz .LBB30_1476
.LBB30_1475:
	v_lshlrev_b32_e32 v3, 24, v2
	v_and_b32_e32 v2, 0xffff, v2
	v_and_b32_e32 v5, 3, v2
	v_ffbh_u32_e32 v10, v5
	v_min_u32_e32 v10, 32, v10
	v_subrev_u32_e32 v11, 29, v10
	v_bfe_u32 v6, v2, 2, 5
	v_lshlrev_b32_e32 v2, v11, v2
	v_sub_u32_e32 v10, 30, v10
	v_and_b32_e32 v2, 3, v2
	v_cmp_eq_u32_e32 vcc, 0, v6
	v_and_b32_e32 v3, 0x80000000, v3
	s_nop 0
	v_cndmask_b32_e32 v6, v6, v10, vcc
	v_cndmask_b32_e32 v2, v5, v2, vcc
	v_mov_b32_e32 v5, 0x37800000
	v_lshlrev_b32_e32 v2, 21, v2
	v_lshl_add_u32 v5, v6, 23, v5
	v_or3_b32 v2, v3, v5, v2
	v_cvt_i32_f32_e32 v6, v2
.LBB30_1476:
	s_or_b64 exec, exec, s[6:7]
	s_mov_b64 s[6:7], 0
	s_branch .LBB30_1482
.LBB30_1477:
	s_mov_b64 s[6:7], -1
                                        ; implicit-def: $vgpr6
	s_branch .LBB30_1488
.LBB30_1478:
	s_andn2_saveexec_b64 s[10:11], s[10:11]
	s_cbranch_execz .LBB30_1463
.LBB30_1479:
	v_cmp_ne_u16_e32 vcc, 0, v2
	s_andn2_b64 s[16:17], s[16:17], exec
	s_and_b64 s[18:19], vcc, exec
	s_or_b64 s[16:17], s[16:17], s[18:19]
	s_or_b64 exec, exec, s[10:11]
	v_mov_b32_e32 v6, 0
	s_and_saveexec_b64 s[10:11], s[16:17]
	s_cbranch_execnz .LBB30_1464
	s_branch .LBB30_1465
.LBB30_1480:
	s_mov_b64 s[6:7], -1
                                        ; implicit-def: $vgpr6
	s_branch .LBB30_1485
.LBB30_1481:
	s_mov_b64 s[6:7], -1
                                        ; implicit-def: $vgpr6
.LBB30_1482:
	s_and_b64 vcc, exec, s[6:7]
	s_cbranch_vccz .LBB30_1484
; %bb.1483:
	global_load_ubyte v2, v[0:1], off
	s_mov_b32 s6, 0x7f800000
	s_waitcnt vmcnt(0)
	v_lshlrev_b32_e32 v2, 24, v2
	v_and_b32_e32 v3, 0x7f000000, v2
	v_ffbh_u32_e32 v5, v3
	v_min_u32_e32 v5, 32, v5
	v_sub_u32_e64 v5, v5, 4 clamp
	v_lshlrev_b32_e32 v10, v5, v3
	v_lshlrev_b32_e32 v5, 23, v5
	v_lshrrev_b32_e32 v10, 4, v10
	v_add_u32_e32 v6, 0x1000000, v3
	v_sub_u32_e32 v5, v10, v5
	v_ashrrev_i32_e32 v6, 8, v6
	v_add_u32_e32 v5, 0x3c000000, v5
	v_and_or_b32 v5, v6, s6, v5
	v_cmp_ne_u32_e32 vcc, 0, v3
	s_brev_b32 s6, 1
	s_nop 0
	v_cndmask_b32_e32 v3, 0, v5, vcc
	v_and_or_b32 v2, v2, s6, v3
	v_cvt_i32_f32_e32 v6, v2
.LBB30_1484:
	s_mov_b64 s[6:7], 0
.LBB30_1485:
	s_andn2_b64 vcc, exec, s[6:7]
	s_cbranch_vccnz .LBB30_1487
; %bb.1486:
	global_load_ubyte v2, v[0:1], off
	s_movk_i32 s6, 0x7f00
	s_brev_b32 s7, 16
	s_waitcnt vmcnt(0)
	v_lshlrev_b16_e32 v3, 8, v2
	v_lshlrev_b32_e32 v2, 25, v2
	v_lshrrev_b32_e32 v5, 4, v2
	v_and_or_b32 v6, v3, s6, 0.5
	v_or_b32_e32 v5, 0x70000000, v5
	v_add_f32_e32 v6, -0.5, v6
	v_mul_f32_e32 v5, 0x7800000, v5
	v_cmp_gt_u32_e32 vcc, s7, v2
	v_bfe_i32 v3, v3, 0, 16
	s_brev_b32 s6, 1
	v_cndmask_b32_e32 v2, v5, v6, vcc
	v_and_or_b32 v2, v3, s6, v2
	v_cvt_i32_f32_e32 v6, v2
.LBB30_1487:
	s_mov_b64 s[6:7], 0
	s_mov_b64 s[10:11], -1
.LBB30_1488:
	s_andn2_b64 vcc, exec, s[6:7]
	s_mov_b64 s[6:7], 0
	s_cbranch_vccnz .LBB30_1499
; %bb.1489:
	s_cmp_gt_i32 s20, 14
	s_cbranch_scc0 .LBB30_1492
; %bb.1490:
	s_cmp_eq_u32 s20, 15
	s_cbranch_scc0 .LBB30_1495
; %bb.1491:
	global_load_ushort v2, v[0:1], off
	s_mov_b64 s[0:1], 0
	s_mov_b64 s[10:11], -1
	s_waitcnt vmcnt(0)
	v_lshlrev_b32_e32 v2, 16, v2
	v_cvt_i32_f32_e32 v6, v2
	s_branch .LBB30_1496
.LBB30_1492:
	s_mov_b64 s[16:17], -1
                                        ; implicit-def: $vgpr6
	s_branch .LBB30_1497
.LBB30_1493:
	s_andn2_saveexec_b64 s[6:7], s[6:7]
	s_cbranch_execz .LBB30_1474
.LBB30_1494:
	v_cmp_ne_u16_e32 vcc, 0, v2
	s_andn2_b64 s[10:11], s[10:11], exec
	s_and_b64 s[16:17], vcc, exec
	s_or_b64 s[10:11], s[10:11], s[16:17]
	s_or_b64 exec, exec, s[6:7]
	v_mov_b32_e32 v6, 0
	s_and_saveexec_b64 s[6:7], s[10:11]
	s_cbranch_execnz .LBB30_1475
	s_branch .LBB30_1476
.LBB30_1495:
	s_mov_b64 s[0:1], -1
                                        ; implicit-def: $vgpr6
.LBB30_1496:
	s_mov_b64 s[16:17], 0
.LBB30_1497:
	s_and_b64 vcc, exec, s[16:17]
	s_cbranch_vccz .LBB30_1499
; %bb.1498:
	s_cmp_lg_u32 s20, 11
	s_mov_b64 s[6:7], -1
	s_cselect_b64 s[0:1], -1, 0
.LBB30_1499:
	s_and_b64 vcc, exec, s[0:1]
	s_cbranch_vccnz .LBB30_1988
; %bb.1500:
	s_andn2_b64 vcc, exec, s[6:7]
	s_cbranch_vccnz .LBB30_1502
.LBB30_1501:
	global_load_ubyte v2, v[0:1], off
	s_mov_b64 s[10:11], -1
	s_waitcnt vmcnt(0)
	v_cmp_ne_u16_e32 vcc, 0, v2
	s_nop 1
	v_cndmask_b32_e64 v6, 0, 1, vcc
.LBB30_1502:
	s_mov_b64 s[0:1], 0
.LBB30_1503:
	s_and_b64 vcc, exec, s[0:1]
	s_cbranch_vccz .LBB30_1552
; %bb.1504:
	s_cmp_lt_i32 s20, 5
	s_cbranch_scc1 .LBB30_1509
; %bb.1505:
	s_cmp_lt_i32 s20, 8
	s_cbranch_scc1 .LBB30_1510
	;; [unrolled: 3-line block ×3, first 2 shown]
; %bb.1507:
	s_cmp_gt_i32 s20, 9
	s_cbranch_scc0 .LBB30_1512
; %bb.1508:
	global_load_dwordx2 v[2:3], v[0:1], off
	s_mov_b64 s[0:1], 0
	s_waitcnt vmcnt(0)
	v_cvt_i32_f64_e32 v6, v[2:3]
	s_branch .LBB30_1513
.LBB30_1509:
	s_mov_b64 s[0:1], -1
                                        ; implicit-def: $vgpr6
	s_branch .LBB30_1531
.LBB30_1510:
	s_mov_b64 s[0:1], -1
                                        ; implicit-def: $vgpr6
	s_branch .LBB30_1519
.LBB30_1511:
	s_mov_b64 s[0:1], -1
                                        ; implicit-def: $vgpr6
	s_branch .LBB30_1516
.LBB30_1512:
	s_mov_b64 s[0:1], -1
                                        ; implicit-def: $vgpr6
.LBB30_1513:
	s_andn2_b64 vcc, exec, s[0:1]
	s_cbranch_vccnz .LBB30_1515
; %bb.1514:
	global_load_dword v2, v[0:1], off
	s_waitcnt vmcnt(0)
	v_cvt_i32_f32_e32 v6, v2
.LBB30_1515:
	s_mov_b64 s[0:1], 0
.LBB30_1516:
	s_andn2_b64 vcc, exec, s[0:1]
	s_cbranch_vccnz .LBB30_1518
; %bb.1517:
	global_load_dword v2, v[0:1], off
	s_waitcnt vmcnt(0)
	v_cvt_f32_f16_e32 v2, v2
	v_cvt_i32_f32_e32 v6, v2
.LBB30_1518:
	s_mov_b64 s[0:1], 0
.LBB30_1519:
	s_andn2_b64 vcc, exec, s[0:1]
	s_cbranch_vccnz .LBB30_1530
; %bb.1520:
	s_cmp_lt_i32 s20, 6
	s_cbranch_scc1 .LBB30_1523
; %bb.1521:
	s_cmp_gt_i32 s20, 6
	s_cbranch_scc0 .LBB30_1524
; %bb.1522:
	global_load_dwordx2 v[2:3], v[0:1], off
	s_mov_b64 s[0:1], 0
	s_waitcnt vmcnt(0)
	v_cvt_i32_f64_e32 v6, v[2:3]
	s_branch .LBB30_1525
.LBB30_1523:
	s_mov_b64 s[0:1], -1
                                        ; implicit-def: $vgpr6
	s_branch .LBB30_1528
.LBB30_1524:
	s_mov_b64 s[0:1], -1
                                        ; implicit-def: $vgpr6
.LBB30_1525:
	s_andn2_b64 vcc, exec, s[0:1]
	s_cbranch_vccnz .LBB30_1527
; %bb.1526:
	global_load_dword v2, v[0:1], off
	s_waitcnt vmcnt(0)
	v_cvt_i32_f32_e32 v6, v2
.LBB30_1527:
	s_mov_b64 s[0:1], 0
.LBB30_1528:
	s_andn2_b64 vcc, exec, s[0:1]
	s_cbranch_vccnz .LBB30_1530
; %bb.1529:
	global_load_ushort v2, v[0:1], off
	s_waitcnt vmcnt(0)
	v_cvt_f32_f16_e32 v2, v2
	v_cvt_i32_f32_e32 v6, v2
.LBB30_1530:
	s_mov_b64 s[0:1], 0
.LBB30_1531:
	s_andn2_b64 vcc, exec, s[0:1]
	s_cbranch_vccnz .LBB30_1551
; %bb.1532:
	s_cmp_lt_i32 s20, 2
	s_cbranch_scc1 .LBB30_1536
; %bb.1533:
	s_cmp_lt_i32 s20, 3
	s_cbranch_scc1 .LBB30_1537
; %bb.1534:
	s_cmp_gt_i32 s20, 3
	s_cbranch_scc0 .LBB30_1538
; %bb.1535:
	global_load_dword v6, v[0:1], off
	s_mov_b64 s[0:1], 0
	s_branch .LBB30_1539
.LBB30_1536:
	s_mov_b64 s[0:1], -1
                                        ; implicit-def: $vgpr6
	s_branch .LBB30_1545
.LBB30_1537:
	s_mov_b64 s[0:1], -1
                                        ; implicit-def: $vgpr6
	s_branch .LBB30_1542
.LBB30_1538:
	s_mov_b64 s[0:1], -1
                                        ; implicit-def: $vgpr6
.LBB30_1539:
	s_andn2_b64 vcc, exec, s[0:1]
	s_cbranch_vccnz .LBB30_1541
; %bb.1540:
	global_load_dword v6, v[0:1], off
.LBB30_1541:
	s_mov_b64 s[0:1], 0
.LBB30_1542:
	s_andn2_b64 vcc, exec, s[0:1]
	s_cbranch_vccnz .LBB30_1544
; %bb.1543:
	global_load_sshort v6, v[0:1], off
.LBB30_1544:
	s_mov_b64 s[0:1], 0
.LBB30_1545:
	s_andn2_b64 vcc, exec, s[0:1]
	s_cbranch_vccnz .LBB30_1551
; %bb.1546:
	s_cmp_gt_i32 s20, 0
	s_cbranch_scc0 .LBB30_1548
; %bb.1547:
	global_load_sbyte v6, v[0:1], off
	s_mov_b64 s[0:1], 0
	s_branch .LBB30_1549
.LBB30_1548:
	s_mov_b64 s[0:1], -1
                                        ; implicit-def: $vgpr6
.LBB30_1549:
	s_andn2_b64 vcc, exec, s[0:1]
	s_cbranch_vccnz .LBB30_1551
; %bb.1550:
	global_load_ubyte v6, v[0:1], off
.LBB30_1551:
	s_mov_b64 s[10:11], -1
.LBB30_1552:
	s_andn2_b64 vcc, exec, s[10:11]
	s_cbranch_vccnz .LBB30_1986
; %bb.1553:
	v_mul_lo_u32 v0, s8, v4
	v_ashrrev_i32_e32 v1, 31, v0
	s_and_b32 s20, s33, 0xff
	s_waitcnt vmcnt(0)
	v_not_b32_e32 v2, v9
	s_cmp_lt_i32 s20, 11
	v_lshl_add_u64 v[4:5], s[4:5], 0, v[0:1]
	s_cbranch_scc1 .LBB30_1631
; %bb.1554:
	s_and_b32 s9, 0xffff, s20
	s_mov_b64 s[16:17], -1
	s_mov_b64 s[6:7], 0
	s_cmp_gt_i32 s9, 25
	s_mov_b64 s[10:11], 0
	s_mov_b64 s[0:1], 0
	s_cbranch_scc0 .LBB30_1587
; %bb.1555:
	s_cmp_gt_i32 s9, 28
	s_cbranch_scc0 .LBB30_1570
; %bb.1556:
	s_cmp_gt_i32 s9, 43
	;; [unrolled: 3-line block ×3, first 2 shown]
	s_cbranch_scc0 .LBB30_1560
; %bb.1558:
	s_mov_b64 s[0:1], -1
	s_mov_b64 s[16:17], 0
	s_cmp_eq_u32 s9, 46
	s_cbranch_scc0 .LBB30_1560
; %bb.1559:
	v_cvt_f32_i32_e32 v1, v2
	s_movk_i32 s10, 0x7fff
	s_mov_b64 s[0:1], 0
	v_bfe_u32 v3, v1, 16, 1
	v_add3_u32 v1, v1, v3, s10
	v_lshrrev_b32_e32 v1, 16, v1
	global_store_dword v[4:5], v1, off
	s_mov_b64 s[10:11], -1
.LBB30_1560:
	s_and_b64 vcc, exec, s[16:17]
	s_cbranch_vccz .LBB30_1565
; %bb.1561:
	s_cmp_eq_u32 s9, 44
	s_mov_b64 s[0:1], -1
	s_cbranch_scc0 .LBB30_1565
; %bb.1562:
	v_cvt_f32_i32_e32 v1, v2
	s_movk_i32 s0, 0xff
	v_mov_b32_e32 v10, 0xff
	v_bfe_u32 v3, v1, 23, 8
	v_cmp_ne_u32_e32 vcc, s0, v3
	s_and_saveexec_b64 s[10:11], vcc
; %bb.1563:
	s_mov_b32 s0, 0x3fffff
	v_lshrrev_b32_e32 v10, 23, v1
	v_and_b32_e32 v11, 0x400000, v1
	v_and_or_b32 v1, v1, s0, v3
	v_cmp_ne_u32_e32 vcc, 0, v11
	v_cmp_ne_u32_e64 s[0:1], 0, v1
	s_and_b64 s[0:1], vcc, s[0:1]
	s_nop 0
	v_cndmask_b32_e64 v1, 0, 1, s[0:1]
	v_add_u32_e32 v10, v10, v1
; %bb.1564:
	s_or_b64 exec, exec, s[10:11]
	s_mov_b64 s[0:1], 0
	s_mov_b64 s[10:11], -1
	global_store_byte v[4:5], v10, off
.LBB30_1565:
	s_mov_b64 s[16:17], 0
.LBB30_1566:
	s_and_b64 vcc, exec, s[16:17]
	s_cbranch_vccz .LBB30_1569
; %bb.1567:
	s_cmp_eq_u32 s9, 29
	s_mov_b64 s[0:1], -1
	s_cbranch_scc0 .LBB30_1569
; %bb.1568:
	v_ashrrev_i32_e32 v3, 31, v2
	global_store_dwordx2 v[4:5], v[2:3], off
	s_mov_b64 s[0:1], 0
	s_mov_b64 s[10:11], -1
.LBB30_1569:
	s_mov_b64 s[16:17], 0
.LBB30_1570:
	s_and_b64 vcc, exec, s[16:17]
	s_cbranch_vccz .LBB30_1586
; %bb.1571:
	s_cmp_lt_i32 s9, 27
	s_mov_b64 s[10:11], -1
	s_cbranch_scc1 .LBB30_1577
; %bb.1572:
	s_cmp_gt_i32 s9, 27
	s_cbranch_scc0 .LBB30_1574
; %bb.1573:
	s_mov_b64 s[10:11], 0
	global_store_dword v[4:5], v2, off
.LBB30_1574:
	s_andn2_b64 vcc, exec, s[10:11]
	s_cbranch_vccnz .LBB30_1576
; %bb.1575:
	global_store_short v[4:5], v2, off
.LBB30_1576:
	s_mov_b64 s[10:11], 0
.LBB30_1577:
	s_andn2_b64 vcc, exec, s[10:11]
	s_cbranch_vccnz .LBB30_1585
; %bb.1578:
	v_cvt_f32_i32_e32 v1, v2
	s_mov_b32 s10, 0x43800000
	v_mov_b32_e32 v10, 0x80
	v_and_b32_e32 v3, 0x7fffffff, v1
	v_cmp_gt_u32_e32 vcc, s10, v3
	s_and_saveexec_b64 s[10:11], vcc
	s_cbranch_execz .LBB30_1584
; %bb.1579:
	s_mov_b32 s16, 0x3bffffff
	v_cmp_lt_u32_e32 vcc, s16, v3
	s_mov_b64 s[16:17], 0
                                        ; implicit-def: $vgpr3
	s_and_saveexec_b64 s[18:19], vcc
	s_xor_b64 s[18:19], exec, s[18:19]
	s_cbranch_execz .LBB30_1989
; %bb.1580:
	v_bfe_u32 v3, v1, 20, 1
	s_mov_b32 s21, 0x487ffff
	v_add3_u32 v3, v1, v3, s21
	s_mov_b64 s[16:17], exec
	v_lshrrev_b32_e32 v3, 20, v3
	s_andn2_saveexec_b64 s[18:19], s[18:19]
	s_cbranch_execnz .LBB30_1990
.LBB30_1581:
	s_or_b64 exec, exec, s[18:19]
	v_mov_b32_e32 v10, 0
	s_and_saveexec_b64 s[18:19], s[16:17]
.LBB30_1582:
	v_lshrrev_b32_e32 v1, 24, v1
	s_movk_i32 s16, 0x80
	v_and_or_b32 v10, v1, s16, v3
.LBB30_1583:
	s_or_b64 exec, exec, s[18:19]
.LBB30_1584:
	s_or_b64 exec, exec, s[10:11]
	global_store_byte v[4:5], v10, off
.LBB30_1585:
	s_mov_b64 s[10:11], -1
.LBB30_1586:
	s_mov_b64 s[16:17], 0
.LBB30_1587:
	s_and_b64 vcc, exec, s[16:17]
	s_cbranch_vccz .LBB30_1627
; %bb.1588:
	s_cmp_gt_i32 s9, 22
	s_mov_b64 s[6:7], -1
	s_cbranch_scc0 .LBB30_1620
; %bb.1589:
	s_cmp_lt_i32 s9, 24
	s_cbranch_scc1 .LBB30_1609
; %bb.1590:
	s_cmp_gt_i32 s9, 24
	s_cbranch_scc0 .LBB30_1598
; %bb.1591:
	v_cvt_f32_i32_e32 v1, v2
	s_mov_b32 s6, 0x47800000
	v_mov_b32_e32 v10, 0x80
	v_and_b32_e32 v3, 0x7fffffff, v1
	v_cmp_gt_u32_e32 vcc, s6, v3
	s_and_saveexec_b64 s[6:7], vcc
	s_cbranch_execz .LBB30_1597
; %bb.1592:
	s_mov_b32 s10, 0x37ffffff
	v_cmp_lt_u32_e32 vcc, s10, v3
	s_mov_b64 s[10:11], 0
                                        ; implicit-def: $vgpr3
	s_and_saveexec_b64 s[16:17], vcc
	s_xor_b64 s[16:17], exec, s[16:17]
	s_cbranch_execz .LBB30_1992
; %bb.1593:
	v_bfe_u32 v3, v1, 21, 1
	s_mov_b32 s18, 0x88fffff
	v_add3_u32 v3, v1, v3, s18
	s_mov_b64 s[10:11], exec
	v_lshrrev_b32_e32 v3, 21, v3
	s_andn2_saveexec_b64 s[16:17], s[16:17]
	s_cbranch_execnz .LBB30_1993
.LBB30_1594:
	s_or_b64 exec, exec, s[16:17]
	v_mov_b32_e32 v10, 0
	s_and_saveexec_b64 s[16:17], s[10:11]
.LBB30_1595:
	v_lshrrev_b32_e32 v1, 24, v1
	s_movk_i32 s10, 0x80
	v_and_or_b32 v10, v1, s10, v3
.LBB30_1596:
	s_or_b64 exec, exec, s[16:17]
.LBB30_1597:
	s_or_b64 exec, exec, s[6:7]
	s_mov_b64 s[6:7], 0
	global_store_byte v[4:5], v10, off
.LBB30_1598:
	s_and_b64 vcc, exec, s[6:7]
	s_cbranch_vccz .LBB30_1608
; %bb.1599:
	v_cvt_f32_i32_e32 v1, v2
	s_mov_b32 s6, 0x43f00000
                                        ; implicit-def: $vgpr3
	v_and_b32_e32 v10, 0x7fffffff, v1
	v_cmp_gt_u32_e32 vcc, s6, v10
	s_and_saveexec_b64 s[6:7], vcc
	s_xor_b64 s[6:7], exec, s[6:7]
	s_cbranch_execz .LBB30_1605
; %bb.1600:
	s_mov_b32 s10, 0x3c7fffff
	v_cmp_lt_u32_e32 vcc, s10, v10
                                        ; implicit-def: $vgpr3
	s_and_saveexec_b64 s[10:11], vcc
	s_xor_b64 s[10:11], exec, s[10:11]
; %bb.1601:
	v_bfe_u32 v3, v1, 20, 1
	s_mov_b32 s16, 0x407ffff
	v_add3_u32 v3, v1, v3, s16
	v_lshrrev_b32_e32 v10, 20, v3
	v_and_b32_e32 v3, 0xff00000, v3
	s_mov_b32 s16, 0x7f00000
	v_mov_b32_e32 v11, 0x7e
	v_cmp_ne_u32_e32 vcc, s16, v3
	s_nop 1
	v_cndmask_b32_e32 v3, v11, v10, vcc
; %bb.1602:
	s_andn2_saveexec_b64 s[10:11], s[10:11]
; %bb.1603:
	s_mov_b32 s16, 0x46800000
	v_add_f32_e64 v3, |v1|, s16
; %bb.1604:
	s_or_b64 exec, exec, s[10:11]
                                        ; implicit-def: $vgpr10
.LBB30_1605:
	s_andn2_saveexec_b64 s[6:7], s[6:7]
; %bb.1606:
	s_mov_b32 s10, 0x7f800000
	v_mov_b32_e32 v3, 0x7e
	v_mov_b32_e32 v11, 0x7f
	v_cmp_lt_u32_e32 vcc, s10, v10
	s_nop 1
	v_cndmask_b32_e32 v3, v3, v11, vcc
; %bb.1607:
	s_or_b64 exec, exec, s[6:7]
	v_lshrrev_b32_e32 v1, 24, v1
	s_movk_i32 s6, 0x80
	v_and_or_b32 v1, v1, s6, v3
	global_store_byte v[4:5], v1, off
.LBB30_1608:
	s_mov_b64 s[6:7], 0
.LBB30_1609:
	s_andn2_b64 vcc, exec, s[6:7]
	s_cbranch_vccnz .LBB30_1619
; %bb.1610:
	v_cvt_f32_i32_e32 v1, v2
	s_mov_b32 s6, 0x47800000
                                        ; implicit-def: $vgpr3
	v_and_b32_e32 v10, 0x7fffffff, v1
	v_cmp_gt_u32_e32 vcc, s6, v10
	s_and_saveexec_b64 s[6:7], vcc
	s_xor_b64 s[6:7], exec, s[6:7]
	s_cbranch_execz .LBB30_1616
; %bb.1611:
	s_mov_b32 s10, 0x387fffff
	v_cmp_lt_u32_e32 vcc, s10, v10
                                        ; implicit-def: $vgpr3
	s_and_saveexec_b64 s[10:11], vcc
	s_xor_b64 s[10:11], exec, s[10:11]
; %bb.1612:
	v_bfe_u32 v3, v1, 21, 1
	s_mov_b32 s16, 0x80fffff
	v_add3_u32 v3, v1, v3, s16
	v_lshrrev_b32_e32 v3, 21, v3
; %bb.1613:
	s_andn2_saveexec_b64 s[10:11], s[10:11]
; %bb.1614:
	s_mov_b32 s16, 0x43000000
	v_add_f32_e64 v3, |v1|, s16
; %bb.1615:
	s_or_b64 exec, exec, s[10:11]
                                        ; implicit-def: $vgpr10
.LBB30_1616:
	s_andn2_saveexec_b64 s[6:7], s[6:7]
; %bb.1617:
	s_mov_b32 s10, 0x7f800000
	v_mov_b32_e32 v3, 0x7c
	v_mov_b32_e32 v11, 0x7f
	v_cmp_lt_u32_e32 vcc, s10, v10
	s_nop 1
	v_cndmask_b32_e32 v3, v3, v11, vcc
; %bb.1618:
	s_or_b64 exec, exec, s[6:7]
	v_lshrrev_b32_e32 v1, 24, v1
	s_movk_i32 s6, 0x80
	v_and_or_b32 v1, v1, s6, v3
	global_store_byte v[4:5], v1, off
.LBB30_1619:
	s_mov_b64 s[6:7], 0
	s_mov_b64 s[10:11], -1
.LBB30_1620:
	s_andn2_b64 vcc, exec, s[6:7]
	s_mov_b64 s[6:7], 0
	s_cbranch_vccnz .LBB30_1627
; %bb.1621:
	s_cmp_gt_i32 s9, 14
	s_mov_b64 s[16:17], -1
	s_cbranch_scc0 .LBB30_1625
; %bb.1622:
	s_cmp_eq_u32 s9, 15
	s_mov_b64 s[0:1], -1
	s_cbranch_scc0 .LBB30_1624
; %bb.1623:
	v_cvt_f32_i32_e32 v1, v2
	s_movk_i32 s6, 0x7fff
	s_mov_b64 s[0:1], 0
	s_mov_b64 s[10:11], -1
	v_bfe_u32 v3, v1, 16, 1
	v_add3_u32 v1, v1, v3, s6
	global_store_short_d16_hi v[4:5], v1, off
.LBB30_1624:
	s_mov_b64 s[16:17], 0
.LBB30_1625:
	s_mov_b64 s[6:7], 0
	s_and_b64 vcc, exec, s[16:17]
	s_cbranch_vccz .LBB30_1627
; %bb.1626:
	s_cmp_lg_u32 s9, 11
	s_mov_b64 s[6:7], -1
	s_cselect_b64 s[0:1], -1, 0
.LBB30_1627:
	s_and_b64 vcc, exec, s[0:1]
	s_cbranch_vccnz .LBB30_1991
; %bb.1628:
	s_andn2_b64 vcc, exec, s[6:7]
	s_cbranch_vccnz .LBB30_1630
.LBB30_1629:
	v_cmp_ne_u32_e32 vcc, -1, v9
	s_mov_b64 s[10:11], -1
	s_nop 0
	v_cndmask_b32_e64 v1, 0, 1, vcc
	global_store_byte v[4:5], v1, off
.LBB30_1630:
	s_mov_b64 s[0:1], 0
	s_branch .LBB30_1632
.LBB30_1631:
	s_mov_b64 s[0:1], -1
	s_mov_b64 s[10:11], 0
.LBB30_1632:
	s_and_b64 vcc, exec, s[0:1]
	s_cbranch_vccz .LBB30_1671
; %bb.1633:
	s_and_b32 s6, 0xffff, s20
	s_cmp_lt_i32 s6, 5
	s_mov_b64 s[0:1], -1
	s_cbranch_scc1 .LBB30_1654
; %bb.1634:
	s_cmp_lt_i32 s6, 8
	s_cbranch_scc1 .LBB30_1644
; %bb.1635:
	s_cmp_lt_i32 s6, 9
	s_cbranch_scc1 .LBB30_1641
; %bb.1636:
	s_cmp_gt_i32 s6, 9
	s_cbranch_scc0 .LBB30_1638
; %bb.1637:
	v_mov_b32_e32 v12, 0
	v_cvt_f64_i32_e32 v[10:11], v2
	v_mov_b32_e32 v13, v12
	global_store_dwordx4 v[4:5], v[10:13], off
	s_mov_b64 s[0:1], 0
.LBB30_1638:
	s_andn2_b64 vcc, exec, s[0:1]
	s_cbranch_vccnz .LBB30_1640
; %bb.1639:
	v_cvt_f32_i32_e32 v10, v2
	v_mov_b32_e32 v11, 0
	global_store_dwordx2 v[4:5], v[10:11], off
.LBB30_1640:
	s_mov_b64 s[0:1], 0
.LBB30_1641:
	s_andn2_b64 vcc, exec, s[0:1]
	s_cbranch_vccnz .LBB30_1643
; %bb.1642:
	v_cvt_f32_i32_e32 v1, v2
	v_cvt_f16_f32_e32 v1, v1
	global_store_dword v[4:5], v1, off
.LBB30_1643:
	s_mov_b64 s[0:1], 0
.LBB30_1644:
	s_andn2_b64 vcc, exec, s[0:1]
	s_cbranch_vccnz .LBB30_1653
; %bb.1645:
	s_cmp_lt_i32 s6, 6
	s_mov_b64 s[0:1], -1
	s_cbranch_scc1 .LBB30_1651
; %bb.1646:
	s_cmp_gt_i32 s6, 6
	s_cbranch_scc0 .LBB30_1648
; %bb.1647:
	v_cvt_f64_i32_e32 v[10:11], v2
	global_store_dwordx2 v[4:5], v[10:11], off
	s_mov_b64 s[0:1], 0
.LBB30_1648:
	s_andn2_b64 vcc, exec, s[0:1]
	s_cbranch_vccnz .LBB30_1650
; %bb.1649:
	v_cvt_f32_i32_e32 v1, v2
	global_store_dword v[4:5], v1, off
.LBB30_1650:
	s_mov_b64 s[0:1], 0
.LBB30_1651:
	s_andn2_b64 vcc, exec, s[0:1]
	s_cbranch_vccnz .LBB30_1653
; %bb.1652:
	v_cvt_f32_i32_e32 v1, v2
	v_cvt_f16_f32_e32 v1, v1
	global_store_short v[4:5], v1, off
.LBB30_1653:
	s_mov_b64 s[0:1], 0
.LBB30_1654:
	s_andn2_b64 vcc, exec, s[0:1]
	s_cbranch_vccnz .LBB30_1670
; %bb.1655:
	s_cmp_lt_i32 s6, 2
	s_mov_b64 s[0:1], -1
	s_cbranch_scc1 .LBB30_1665
; %bb.1656:
	s_cmp_lt_i32 s6, 3
	s_cbranch_scc1 .LBB30_1662
; %bb.1657:
	s_cmp_gt_i32 s6, 3
	s_cbranch_scc0 .LBB30_1659
; %bb.1658:
	v_ashrrev_i32_e32 v3, 31, v2
	global_store_dwordx2 v[4:5], v[2:3], off
	s_mov_b64 s[0:1], 0
.LBB30_1659:
	s_andn2_b64 vcc, exec, s[0:1]
	s_cbranch_vccnz .LBB30_1661
; %bb.1660:
	global_store_dword v[4:5], v2, off
.LBB30_1661:
	s_mov_b64 s[0:1], 0
.LBB30_1662:
	s_andn2_b64 vcc, exec, s[0:1]
	s_cbranch_vccnz .LBB30_1664
; %bb.1663:
	global_store_short v[4:5], v2, off
.LBB30_1664:
	s_mov_b64 s[0:1], 0
.LBB30_1665:
	s_andn2_b64 vcc, exec, s[0:1]
	s_cbranch_vccnz .LBB30_1670
; %bb.1666:
	s_cmp_gt_i32 s6, 0
	s_mov_b64 s[0:1], -1
	s_cbranch_scc0 .LBB30_1668
; %bb.1667:
	global_store_byte v[4:5], v2, off
	s_mov_b64 s[0:1], 0
.LBB30_1668:
	s_andn2_b64 vcc, exec, s[0:1]
	s_cbranch_vccnz .LBB30_1670
; %bb.1669:
	global_store_byte v[4:5], v2, off
.LBB30_1670:
	s_mov_b64 s[10:11], -1
.LBB30_1671:
	s_andn2_b64 vcc, exec, s[10:11]
	s_cbranch_vccnz .LBB30_1986
; %bb.1672:
	s_lshl_b32 s18, s8, 7
	v_add_u32_e32 v0, s18, v0
	v_ashrrev_i32_e32 v1, 31, v0
	v_not_b32_e32 v2, v8
	s_cmp_lt_i32 s20, 11
	v_lshl_add_u64 v[4:5], s[4:5], 0, v[0:1]
	s_cbranch_scc1 .LBB30_1750
; %bb.1673:
	s_and_b32 s19, 0xffff, s20
	s_mov_b64 s[10:11], -1
	s_mov_b64 s[6:7], 0
	s_cmp_gt_i32 s19, 25
	s_mov_b64 s[8:9], 0
	s_mov_b64 s[0:1], 0
	s_cbranch_scc0 .LBB30_1706
; %bb.1674:
	s_cmp_gt_i32 s19, 28
	s_cbranch_scc0 .LBB30_1689
; %bb.1675:
	s_cmp_gt_i32 s19, 43
	;; [unrolled: 3-line block ×3, first 2 shown]
	s_cbranch_scc0 .LBB30_1679
; %bb.1677:
	s_mov_b64 s[0:1], -1
	s_mov_b64 s[10:11], 0
	s_cmp_eq_u32 s19, 46
	s_cbranch_scc0 .LBB30_1679
; %bb.1678:
	v_cvt_f32_i32_e32 v1, v2
	s_movk_i32 s8, 0x7fff
	s_mov_b64 s[0:1], 0
	v_bfe_u32 v3, v1, 16, 1
	v_add3_u32 v1, v1, v3, s8
	v_lshrrev_b32_e32 v1, 16, v1
	global_store_dword v[4:5], v1, off
	s_mov_b64 s[8:9], -1
.LBB30_1679:
	s_and_b64 vcc, exec, s[10:11]
	s_cbranch_vccz .LBB30_1684
; %bb.1680:
	s_cmp_eq_u32 s19, 44
	s_mov_b64 s[0:1], -1
	s_cbranch_scc0 .LBB30_1684
; %bb.1681:
	v_cvt_f32_i32_e32 v1, v2
	s_movk_i32 s0, 0xff
	v_mov_b32_e32 v9, 0xff
	v_bfe_u32 v3, v1, 23, 8
	v_cmp_ne_u32_e32 vcc, s0, v3
	s_and_saveexec_b64 s[8:9], vcc
; %bb.1682:
	s_mov_b32 s0, 0x3fffff
	v_lshrrev_b32_e32 v9, 23, v1
	v_and_b32_e32 v10, 0x400000, v1
	v_and_or_b32 v1, v1, s0, v3
	v_cmp_ne_u32_e32 vcc, 0, v10
	v_cmp_ne_u32_e64 s[0:1], 0, v1
	s_and_b64 s[0:1], vcc, s[0:1]
	s_nop 0
	v_cndmask_b32_e64 v1, 0, 1, s[0:1]
	v_add_u32_e32 v9, v9, v1
; %bb.1683:
	s_or_b64 exec, exec, s[8:9]
	s_mov_b64 s[0:1], 0
	s_mov_b64 s[8:9], -1
	global_store_byte v[4:5], v9, off
.LBB30_1684:
	s_mov_b64 s[10:11], 0
.LBB30_1685:
	s_and_b64 vcc, exec, s[10:11]
	s_cbranch_vccz .LBB30_1688
; %bb.1686:
	s_cmp_eq_u32 s19, 29
	s_mov_b64 s[0:1], -1
	s_cbranch_scc0 .LBB30_1688
; %bb.1687:
	v_ashrrev_i32_e32 v3, 31, v2
	global_store_dwordx2 v[4:5], v[2:3], off
	s_mov_b64 s[0:1], 0
	s_mov_b64 s[8:9], -1
.LBB30_1688:
	s_mov_b64 s[10:11], 0
.LBB30_1689:
	s_and_b64 vcc, exec, s[10:11]
	s_cbranch_vccz .LBB30_1705
; %bb.1690:
	s_cmp_lt_i32 s19, 27
	s_mov_b64 s[8:9], -1
	s_cbranch_scc1 .LBB30_1696
; %bb.1691:
	s_cmp_gt_i32 s19, 27
	s_cbranch_scc0 .LBB30_1693
; %bb.1692:
	s_mov_b64 s[8:9], 0
	global_store_dword v[4:5], v2, off
.LBB30_1693:
	s_andn2_b64 vcc, exec, s[8:9]
	s_cbranch_vccnz .LBB30_1695
; %bb.1694:
	global_store_short v[4:5], v2, off
.LBB30_1695:
	s_mov_b64 s[8:9], 0
.LBB30_1696:
	s_andn2_b64 vcc, exec, s[8:9]
	s_cbranch_vccnz .LBB30_1704
; %bb.1697:
	v_cvt_f32_i32_e32 v1, v2
	s_mov_b32 s8, 0x43800000
	v_mov_b32_e32 v9, 0x80
	v_and_b32_e32 v3, 0x7fffffff, v1
	v_cmp_gt_u32_e32 vcc, s8, v3
	s_and_saveexec_b64 s[8:9], vcc
	s_cbranch_execz .LBB30_1703
; %bb.1698:
	s_mov_b32 s10, 0x3bffffff
	v_cmp_lt_u32_e32 vcc, s10, v3
	s_mov_b64 s[10:11], 0
                                        ; implicit-def: $vgpr3
	s_and_saveexec_b64 s[16:17], vcc
	s_xor_b64 s[16:17], exec, s[16:17]
	s_cbranch_execz .LBB30_1994
; %bb.1699:
	v_bfe_u32 v3, v1, 20, 1
	s_mov_b32 s21, 0x487ffff
	v_add3_u32 v3, v1, v3, s21
	s_mov_b64 s[10:11], exec
	v_lshrrev_b32_e32 v3, 20, v3
	s_andn2_saveexec_b64 s[16:17], s[16:17]
	s_cbranch_execnz .LBB30_1995
.LBB30_1700:
	s_or_b64 exec, exec, s[16:17]
	v_mov_b32_e32 v9, 0
	s_and_saveexec_b64 s[16:17], s[10:11]
.LBB30_1701:
	v_lshrrev_b32_e32 v1, 24, v1
	s_movk_i32 s10, 0x80
	v_and_or_b32 v9, v1, s10, v3
.LBB30_1702:
	s_or_b64 exec, exec, s[16:17]
.LBB30_1703:
	s_or_b64 exec, exec, s[8:9]
	global_store_byte v[4:5], v9, off
.LBB30_1704:
	s_mov_b64 s[8:9], -1
.LBB30_1705:
	s_mov_b64 s[10:11], 0
.LBB30_1706:
	s_and_b64 vcc, exec, s[10:11]
	s_cbranch_vccz .LBB30_1746
; %bb.1707:
	s_cmp_gt_i32 s19, 22
	s_mov_b64 s[6:7], -1
	s_cbranch_scc0 .LBB30_1739
; %bb.1708:
	s_cmp_lt_i32 s19, 24
	s_cbranch_scc1 .LBB30_1728
; %bb.1709:
	s_cmp_gt_i32 s19, 24
	s_cbranch_scc0 .LBB30_1717
; %bb.1710:
	v_cvt_f32_i32_e32 v1, v2
	s_mov_b32 s6, 0x47800000
	v_mov_b32_e32 v9, 0x80
	v_and_b32_e32 v3, 0x7fffffff, v1
	v_cmp_gt_u32_e32 vcc, s6, v3
	s_and_saveexec_b64 s[6:7], vcc
	s_cbranch_execz .LBB30_1716
; %bb.1711:
	s_mov_b32 s8, 0x37ffffff
	v_cmp_lt_u32_e32 vcc, s8, v3
	s_mov_b64 s[8:9], 0
                                        ; implicit-def: $vgpr3
	s_and_saveexec_b64 s[10:11], vcc
	s_xor_b64 s[10:11], exec, s[10:11]
	s_cbranch_execz .LBB30_1997
; %bb.1712:
	v_bfe_u32 v3, v1, 21, 1
	s_mov_b32 s16, 0x88fffff
	v_add3_u32 v3, v1, v3, s16
	s_mov_b64 s[8:9], exec
	v_lshrrev_b32_e32 v3, 21, v3
	s_andn2_saveexec_b64 s[10:11], s[10:11]
	s_cbranch_execnz .LBB30_1998
.LBB30_1713:
	s_or_b64 exec, exec, s[10:11]
	v_mov_b32_e32 v9, 0
	s_and_saveexec_b64 s[10:11], s[8:9]
.LBB30_1714:
	v_lshrrev_b32_e32 v1, 24, v1
	s_movk_i32 s8, 0x80
	v_and_or_b32 v9, v1, s8, v3
.LBB30_1715:
	s_or_b64 exec, exec, s[10:11]
.LBB30_1716:
	s_or_b64 exec, exec, s[6:7]
	s_mov_b64 s[6:7], 0
	global_store_byte v[4:5], v9, off
.LBB30_1717:
	s_and_b64 vcc, exec, s[6:7]
	s_cbranch_vccz .LBB30_1727
; %bb.1718:
	v_cvt_f32_i32_e32 v1, v2
	s_mov_b32 s6, 0x43f00000
                                        ; implicit-def: $vgpr3
	v_and_b32_e32 v9, 0x7fffffff, v1
	v_cmp_gt_u32_e32 vcc, s6, v9
	s_and_saveexec_b64 s[6:7], vcc
	s_xor_b64 s[6:7], exec, s[6:7]
	s_cbranch_execz .LBB30_1724
; %bb.1719:
	s_mov_b32 s8, 0x3c7fffff
	v_cmp_lt_u32_e32 vcc, s8, v9
                                        ; implicit-def: $vgpr3
	s_and_saveexec_b64 s[8:9], vcc
	s_xor_b64 s[8:9], exec, s[8:9]
; %bb.1720:
	v_bfe_u32 v3, v1, 20, 1
	s_mov_b32 s10, 0x407ffff
	v_add3_u32 v3, v1, v3, s10
	v_lshrrev_b32_e32 v9, 20, v3
	v_and_b32_e32 v3, 0xff00000, v3
	s_mov_b32 s10, 0x7f00000
	v_mov_b32_e32 v10, 0x7e
	v_cmp_ne_u32_e32 vcc, s10, v3
	s_nop 1
	v_cndmask_b32_e32 v3, v10, v9, vcc
; %bb.1721:
	s_andn2_saveexec_b64 s[8:9], s[8:9]
; %bb.1722:
	s_mov_b32 s10, 0x46800000
	v_add_f32_e64 v3, |v1|, s10
; %bb.1723:
	s_or_b64 exec, exec, s[8:9]
                                        ; implicit-def: $vgpr9
.LBB30_1724:
	s_andn2_saveexec_b64 s[6:7], s[6:7]
; %bb.1725:
	s_mov_b32 s8, 0x7f800000
	v_mov_b32_e32 v3, 0x7e
	v_mov_b32_e32 v10, 0x7f
	v_cmp_lt_u32_e32 vcc, s8, v9
	s_nop 1
	v_cndmask_b32_e32 v3, v3, v10, vcc
; %bb.1726:
	s_or_b64 exec, exec, s[6:7]
	v_lshrrev_b32_e32 v1, 24, v1
	s_movk_i32 s6, 0x80
	v_and_or_b32 v1, v1, s6, v3
	global_store_byte v[4:5], v1, off
.LBB30_1727:
	s_mov_b64 s[6:7], 0
.LBB30_1728:
	s_andn2_b64 vcc, exec, s[6:7]
	s_cbranch_vccnz .LBB30_1738
; %bb.1729:
	v_cvt_f32_i32_e32 v1, v2
	s_mov_b32 s6, 0x47800000
                                        ; implicit-def: $vgpr3
	v_and_b32_e32 v9, 0x7fffffff, v1
	v_cmp_gt_u32_e32 vcc, s6, v9
	s_and_saveexec_b64 s[6:7], vcc
	s_xor_b64 s[6:7], exec, s[6:7]
	s_cbranch_execz .LBB30_1735
; %bb.1730:
	s_mov_b32 s8, 0x387fffff
	v_cmp_lt_u32_e32 vcc, s8, v9
                                        ; implicit-def: $vgpr3
	s_and_saveexec_b64 s[8:9], vcc
	s_xor_b64 s[8:9], exec, s[8:9]
; %bb.1731:
	v_bfe_u32 v3, v1, 21, 1
	s_mov_b32 s10, 0x80fffff
	v_add3_u32 v3, v1, v3, s10
	v_lshrrev_b32_e32 v3, 21, v3
; %bb.1732:
	s_andn2_saveexec_b64 s[8:9], s[8:9]
; %bb.1733:
	s_mov_b32 s10, 0x43000000
	v_add_f32_e64 v3, |v1|, s10
; %bb.1734:
	s_or_b64 exec, exec, s[8:9]
                                        ; implicit-def: $vgpr9
.LBB30_1735:
	s_andn2_saveexec_b64 s[6:7], s[6:7]
; %bb.1736:
	s_mov_b32 s8, 0x7f800000
	v_mov_b32_e32 v3, 0x7c
	v_mov_b32_e32 v10, 0x7f
	v_cmp_lt_u32_e32 vcc, s8, v9
	s_nop 1
	v_cndmask_b32_e32 v3, v3, v10, vcc
; %bb.1737:
	s_or_b64 exec, exec, s[6:7]
	v_lshrrev_b32_e32 v1, 24, v1
	s_movk_i32 s6, 0x80
	v_and_or_b32 v1, v1, s6, v3
	global_store_byte v[4:5], v1, off
.LBB30_1738:
	s_mov_b64 s[6:7], 0
	s_mov_b64 s[8:9], -1
.LBB30_1739:
	s_andn2_b64 vcc, exec, s[6:7]
	s_mov_b64 s[6:7], 0
	s_cbranch_vccnz .LBB30_1746
; %bb.1740:
	s_cmp_gt_i32 s19, 14
	s_mov_b64 s[10:11], -1
	s_cbranch_scc0 .LBB30_1744
; %bb.1741:
	s_cmp_eq_u32 s19, 15
	s_mov_b64 s[0:1], -1
	s_cbranch_scc0 .LBB30_1743
; %bb.1742:
	v_cvt_f32_i32_e32 v1, v2
	s_movk_i32 s6, 0x7fff
	s_mov_b64 s[0:1], 0
	s_mov_b64 s[8:9], -1
	v_bfe_u32 v3, v1, 16, 1
	v_add3_u32 v1, v1, v3, s6
	global_store_short_d16_hi v[4:5], v1, off
.LBB30_1743:
	s_mov_b64 s[10:11], 0
.LBB30_1744:
	s_mov_b64 s[6:7], 0
	s_and_b64 vcc, exec, s[10:11]
	s_cbranch_vccz .LBB30_1746
; %bb.1745:
	s_cmp_lg_u32 s19, 11
	s_mov_b64 s[6:7], -1
	s_cselect_b64 s[0:1], -1, 0
.LBB30_1746:
	s_and_b64 vcc, exec, s[0:1]
	s_cbranch_vccnz .LBB30_1996
; %bb.1747:
	s_andn2_b64 vcc, exec, s[6:7]
	s_cbranch_vccnz .LBB30_1749
.LBB30_1748:
	v_cmp_ne_u32_e32 vcc, -1, v8
	s_mov_b64 s[8:9], -1
	s_nop 0
	v_cndmask_b32_e64 v1, 0, 1, vcc
	global_store_byte v[4:5], v1, off
.LBB30_1749:
	s_mov_b64 s[0:1], 0
	s_branch .LBB30_1751
.LBB30_1750:
	s_mov_b64 s[0:1], -1
	s_mov_b64 s[8:9], 0
.LBB30_1751:
	s_and_b64 vcc, exec, s[0:1]
	s_cbranch_vccz .LBB30_1790
; %bb.1752:
	s_and_b32 s6, 0xffff, s20
	s_cmp_lt_i32 s6, 5
	s_mov_b64 s[0:1], -1
	s_cbranch_scc1 .LBB30_1773
; %bb.1753:
	s_cmp_lt_i32 s6, 8
	s_cbranch_scc1 .LBB30_1763
; %bb.1754:
	s_cmp_lt_i32 s6, 9
	s_cbranch_scc1 .LBB30_1760
; %bb.1755:
	s_cmp_gt_i32 s6, 9
	s_cbranch_scc0 .LBB30_1757
; %bb.1756:
	v_mov_b32_e32 v10, 0
	v_cvt_f64_i32_e32 v[8:9], v2
	v_mov_b32_e32 v11, v10
	global_store_dwordx4 v[4:5], v[8:11], off
	s_mov_b64 s[0:1], 0
.LBB30_1757:
	s_andn2_b64 vcc, exec, s[0:1]
	s_cbranch_vccnz .LBB30_1759
; %bb.1758:
	v_cvt_f32_i32_e32 v8, v2
	v_mov_b32_e32 v9, 0
	global_store_dwordx2 v[4:5], v[8:9], off
.LBB30_1759:
	s_mov_b64 s[0:1], 0
.LBB30_1760:
	s_andn2_b64 vcc, exec, s[0:1]
	s_cbranch_vccnz .LBB30_1762
; %bb.1761:
	v_cvt_f32_i32_e32 v1, v2
	v_cvt_f16_f32_e32 v1, v1
	global_store_dword v[4:5], v1, off
.LBB30_1762:
	s_mov_b64 s[0:1], 0
.LBB30_1763:
	s_andn2_b64 vcc, exec, s[0:1]
	s_cbranch_vccnz .LBB30_1772
; %bb.1764:
	s_cmp_lt_i32 s6, 6
	s_mov_b64 s[0:1], -1
	s_cbranch_scc1 .LBB30_1770
; %bb.1765:
	s_cmp_gt_i32 s6, 6
	s_cbranch_scc0 .LBB30_1767
; %bb.1766:
	v_cvt_f64_i32_e32 v[8:9], v2
	global_store_dwordx2 v[4:5], v[8:9], off
	s_mov_b64 s[0:1], 0
.LBB30_1767:
	s_andn2_b64 vcc, exec, s[0:1]
	s_cbranch_vccnz .LBB30_1769
; %bb.1768:
	v_cvt_f32_i32_e32 v1, v2
	global_store_dword v[4:5], v1, off
.LBB30_1769:
	s_mov_b64 s[0:1], 0
.LBB30_1770:
	s_andn2_b64 vcc, exec, s[0:1]
	s_cbranch_vccnz .LBB30_1772
; %bb.1771:
	v_cvt_f32_i32_e32 v1, v2
	v_cvt_f16_f32_e32 v1, v1
	global_store_short v[4:5], v1, off
.LBB30_1772:
	s_mov_b64 s[0:1], 0
.LBB30_1773:
	s_andn2_b64 vcc, exec, s[0:1]
	s_cbranch_vccnz .LBB30_1789
; %bb.1774:
	s_cmp_lt_i32 s6, 2
	s_mov_b64 s[0:1], -1
	s_cbranch_scc1 .LBB30_1784
; %bb.1775:
	s_cmp_lt_i32 s6, 3
	s_cbranch_scc1 .LBB30_1781
; %bb.1776:
	s_cmp_gt_i32 s6, 3
	s_cbranch_scc0 .LBB30_1778
; %bb.1777:
	v_ashrrev_i32_e32 v3, 31, v2
	global_store_dwordx2 v[4:5], v[2:3], off
	s_mov_b64 s[0:1], 0
.LBB30_1778:
	s_andn2_b64 vcc, exec, s[0:1]
	s_cbranch_vccnz .LBB30_1780
; %bb.1779:
	global_store_dword v[4:5], v2, off
.LBB30_1780:
	s_mov_b64 s[0:1], 0
.LBB30_1781:
	s_andn2_b64 vcc, exec, s[0:1]
	s_cbranch_vccnz .LBB30_1783
; %bb.1782:
	global_store_short v[4:5], v2, off
.LBB30_1783:
	s_mov_b64 s[0:1], 0
.LBB30_1784:
	s_andn2_b64 vcc, exec, s[0:1]
	s_cbranch_vccnz .LBB30_1789
; %bb.1785:
	s_cmp_gt_i32 s6, 0
	s_mov_b64 s[0:1], -1
	s_cbranch_scc0 .LBB30_1787
; %bb.1786:
	global_store_byte v[4:5], v2, off
	s_mov_b64 s[0:1], 0
.LBB30_1787:
	s_andn2_b64 vcc, exec, s[0:1]
	s_cbranch_vccnz .LBB30_1789
; %bb.1788:
	global_store_byte v[4:5], v2, off
.LBB30_1789:
	s_mov_b64 s[8:9], -1
.LBB30_1790:
	s_andn2_b64 vcc, exec, s[8:9]
	s_cbranch_vccnz .LBB30_1986
; %bb.1791:
	v_add_u32_e32 v0, s18, v0
	v_ashrrev_i32_e32 v1, 31, v0
	v_not_b32_e32 v2, v7
	s_cmp_lt_i32 s20, 11
	v_lshl_add_u64 v[4:5], s[4:5], 0, v[0:1]
	s_cbranch_scc1 .LBB30_1869
; %bb.1792:
	s_and_b32 s19, 0xffff, s20
	s_mov_b64 s[10:11], -1
	s_mov_b64 s[6:7], 0
	s_cmp_gt_i32 s19, 25
	s_mov_b64 s[8:9], 0
	s_mov_b64 s[0:1], 0
	s_cbranch_scc0 .LBB30_1825
; %bb.1793:
	s_cmp_gt_i32 s19, 28
	s_cbranch_scc0 .LBB30_1808
; %bb.1794:
	s_cmp_gt_i32 s19, 43
	;; [unrolled: 3-line block ×3, first 2 shown]
	s_cbranch_scc0 .LBB30_1798
; %bb.1796:
	s_mov_b64 s[0:1], -1
	s_mov_b64 s[10:11], 0
	s_cmp_eq_u32 s19, 46
	s_cbranch_scc0 .LBB30_1798
; %bb.1797:
	v_cvt_f32_i32_e32 v1, v2
	s_movk_i32 s8, 0x7fff
	s_mov_b64 s[0:1], 0
	v_bfe_u32 v3, v1, 16, 1
	v_add3_u32 v1, v1, v3, s8
	v_lshrrev_b32_e32 v1, 16, v1
	global_store_dword v[4:5], v1, off
	s_mov_b64 s[8:9], -1
.LBB30_1798:
	s_and_b64 vcc, exec, s[10:11]
	s_cbranch_vccz .LBB30_1803
; %bb.1799:
	s_cmp_eq_u32 s19, 44
	s_mov_b64 s[0:1], -1
	s_cbranch_scc0 .LBB30_1803
; %bb.1800:
	v_cvt_f32_i32_e32 v1, v2
	s_movk_i32 s0, 0xff
	v_mov_b32_e32 v8, 0xff
	v_bfe_u32 v3, v1, 23, 8
	v_cmp_ne_u32_e32 vcc, s0, v3
	s_and_saveexec_b64 s[8:9], vcc
; %bb.1801:
	s_mov_b32 s0, 0x3fffff
	v_lshrrev_b32_e32 v8, 23, v1
	v_and_b32_e32 v9, 0x400000, v1
	v_and_or_b32 v1, v1, s0, v3
	v_cmp_ne_u32_e32 vcc, 0, v9
	v_cmp_ne_u32_e64 s[0:1], 0, v1
	s_and_b64 s[0:1], vcc, s[0:1]
	s_nop 0
	v_cndmask_b32_e64 v1, 0, 1, s[0:1]
	v_add_u32_e32 v8, v8, v1
; %bb.1802:
	s_or_b64 exec, exec, s[8:9]
	s_mov_b64 s[0:1], 0
	s_mov_b64 s[8:9], -1
	global_store_byte v[4:5], v8, off
.LBB30_1803:
	s_mov_b64 s[10:11], 0
.LBB30_1804:
	s_and_b64 vcc, exec, s[10:11]
	s_cbranch_vccz .LBB30_1807
; %bb.1805:
	s_cmp_eq_u32 s19, 29
	s_mov_b64 s[0:1], -1
	s_cbranch_scc0 .LBB30_1807
; %bb.1806:
	v_ashrrev_i32_e32 v3, 31, v2
	global_store_dwordx2 v[4:5], v[2:3], off
	s_mov_b64 s[0:1], 0
	s_mov_b64 s[8:9], -1
.LBB30_1807:
	s_mov_b64 s[10:11], 0
.LBB30_1808:
	s_and_b64 vcc, exec, s[10:11]
	s_cbranch_vccz .LBB30_1824
; %bb.1809:
	s_cmp_lt_i32 s19, 27
	s_mov_b64 s[8:9], -1
	s_cbranch_scc1 .LBB30_1815
; %bb.1810:
	s_cmp_gt_i32 s19, 27
	s_cbranch_scc0 .LBB30_1812
; %bb.1811:
	s_mov_b64 s[8:9], 0
	global_store_dword v[4:5], v2, off
.LBB30_1812:
	s_andn2_b64 vcc, exec, s[8:9]
	s_cbranch_vccnz .LBB30_1814
; %bb.1813:
	global_store_short v[4:5], v2, off
.LBB30_1814:
	s_mov_b64 s[8:9], 0
.LBB30_1815:
	s_andn2_b64 vcc, exec, s[8:9]
	s_cbranch_vccnz .LBB30_1823
; %bb.1816:
	v_cvt_f32_i32_e32 v1, v2
	s_mov_b32 s8, 0x43800000
	v_mov_b32_e32 v8, 0x80
	v_and_b32_e32 v3, 0x7fffffff, v1
	v_cmp_gt_u32_e32 vcc, s8, v3
	s_and_saveexec_b64 s[8:9], vcc
	s_cbranch_execz .LBB30_1822
; %bb.1817:
	s_mov_b32 s10, 0x3bffffff
	v_cmp_lt_u32_e32 vcc, s10, v3
	s_mov_b64 s[10:11], 0
                                        ; implicit-def: $vgpr3
	s_and_saveexec_b64 s[16:17], vcc
	s_xor_b64 s[16:17], exec, s[16:17]
	s_cbranch_execz .LBB30_1999
; %bb.1818:
	v_bfe_u32 v3, v1, 20, 1
	s_mov_b32 s21, 0x487ffff
	v_add3_u32 v3, v1, v3, s21
	s_mov_b64 s[10:11], exec
	v_lshrrev_b32_e32 v3, 20, v3
	s_andn2_saveexec_b64 s[16:17], s[16:17]
	s_cbranch_execnz .LBB30_2000
.LBB30_1819:
	s_or_b64 exec, exec, s[16:17]
	v_mov_b32_e32 v8, 0
	s_and_saveexec_b64 s[16:17], s[10:11]
.LBB30_1820:
	v_lshrrev_b32_e32 v1, 24, v1
	s_movk_i32 s10, 0x80
	v_and_or_b32 v8, v1, s10, v3
.LBB30_1821:
	s_or_b64 exec, exec, s[16:17]
.LBB30_1822:
	s_or_b64 exec, exec, s[8:9]
	global_store_byte v[4:5], v8, off
.LBB30_1823:
	s_mov_b64 s[8:9], -1
.LBB30_1824:
	s_mov_b64 s[10:11], 0
.LBB30_1825:
	s_and_b64 vcc, exec, s[10:11]
	s_cbranch_vccz .LBB30_1865
; %bb.1826:
	s_cmp_gt_i32 s19, 22
	s_mov_b64 s[6:7], -1
	s_cbranch_scc0 .LBB30_1858
; %bb.1827:
	s_cmp_lt_i32 s19, 24
	s_cbranch_scc1 .LBB30_1847
; %bb.1828:
	s_cmp_gt_i32 s19, 24
	s_cbranch_scc0 .LBB30_1836
; %bb.1829:
	v_cvt_f32_i32_e32 v1, v2
	s_mov_b32 s6, 0x47800000
	v_mov_b32_e32 v8, 0x80
	v_and_b32_e32 v3, 0x7fffffff, v1
	v_cmp_gt_u32_e32 vcc, s6, v3
	s_and_saveexec_b64 s[6:7], vcc
	s_cbranch_execz .LBB30_1835
; %bb.1830:
	s_mov_b32 s8, 0x37ffffff
	v_cmp_lt_u32_e32 vcc, s8, v3
	s_mov_b64 s[8:9], 0
                                        ; implicit-def: $vgpr3
	s_and_saveexec_b64 s[10:11], vcc
	s_xor_b64 s[10:11], exec, s[10:11]
	s_cbranch_execz .LBB30_2002
; %bb.1831:
	v_bfe_u32 v3, v1, 21, 1
	s_mov_b32 s16, 0x88fffff
	v_add3_u32 v3, v1, v3, s16
	s_mov_b64 s[8:9], exec
	v_lshrrev_b32_e32 v3, 21, v3
	s_andn2_saveexec_b64 s[10:11], s[10:11]
	s_cbranch_execnz .LBB30_2003
.LBB30_1832:
	s_or_b64 exec, exec, s[10:11]
	v_mov_b32_e32 v8, 0
	s_and_saveexec_b64 s[10:11], s[8:9]
.LBB30_1833:
	v_lshrrev_b32_e32 v1, 24, v1
	s_movk_i32 s8, 0x80
	v_and_or_b32 v8, v1, s8, v3
.LBB30_1834:
	s_or_b64 exec, exec, s[10:11]
.LBB30_1835:
	s_or_b64 exec, exec, s[6:7]
	s_mov_b64 s[6:7], 0
	global_store_byte v[4:5], v8, off
.LBB30_1836:
	s_and_b64 vcc, exec, s[6:7]
	s_cbranch_vccz .LBB30_1846
; %bb.1837:
	v_cvt_f32_i32_e32 v1, v2
	s_mov_b32 s6, 0x43f00000
                                        ; implicit-def: $vgpr3
	v_and_b32_e32 v8, 0x7fffffff, v1
	v_cmp_gt_u32_e32 vcc, s6, v8
	s_and_saveexec_b64 s[6:7], vcc
	s_xor_b64 s[6:7], exec, s[6:7]
	s_cbranch_execz .LBB30_1843
; %bb.1838:
	s_mov_b32 s8, 0x3c7fffff
	v_cmp_lt_u32_e32 vcc, s8, v8
                                        ; implicit-def: $vgpr3
	s_and_saveexec_b64 s[8:9], vcc
	s_xor_b64 s[8:9], exec, s[8:9]
; %bb.1839:
	v_bfe_u32 v3, v1, 20, 1
	s_mov_b32 s10, 0x407ffff
	v_add3_u32 v3, v1, v3, s10
	v_lshrrev_b32_e32 v8, 20, v3
	v_and_b32_e32 v3, 0xff00000, v3
	s_mov_b32 s10, 0x7f00000
	v_mov_b32_e32 v9, 0x7e
	v_cmp_ne_u32_e32 vcc, s10, v3
	s_nop 1
	v_cndmask_b32_e32 v3, v9, v8, vcc
; %bb.1840:
	s_andn2_saveexec_b64 s[8:9], s[8:9]
; %bb.1841:
	s_mov_b32 s10, 0x46800000
	v_add_f32_e64 v3, |v1|, s10
; %bb.1842:
	s_or_b64 exec, exec, s[8:9]
                                        ; implicit-def: $vgpr8
.LBB30_1843:
	s_andn2_saveexec_b64 s[6:7], s[6:7]
; %bb.1844:
	s_mov_b32 s8, 0x7f800000
	v_mov_b32_e32 v3, 0x7e
	v_mov_b32_e32 v9, 0x7f
	v_cmp_lt_u32_e32 vcc, s8, v8
	s_nop 1
	v_cndmask_b32_e32 v3, v3, v9, vcc
; %bb.1845:
	s_or_b64 exec, exec, s[6:7]
	v_lshrrev_b32_e32 v1, 24, v1
	s_movk_i32 s6, 0x80
	v_and_or_b32 v1, v1, s6, v3
	global_store_byte v[4:5], v1, off
.LBB30_1846:
	s_mov_b64 s[6:7], 0
.LBB30_1847:
	s_andn2_b64 vcc, exec, s[6:7]
	s_cbranch_vccnz .LBB30_1857
; %bb.1848:
	v_cvt_f32_i32_e32 v1, v2
	s_mov_b32 s6, 0x47800000
                                        ; implicit-def: $vgpr3
	v_and_b32_e32 v8, 0x7fffffff, v1
	v_cmp_gt_u32_e32 vcc, s6, v8
	s_and_saveexec_b64 s[6:7], vcc
	s_xor_b64 s[6:7], exec, s[6:7]
	s_cbranch_execz .LBB30_1854
; %bb.1849:
	s_mov_b32 s8, 0x387fffff
	v_cmp_lt_u32_e32 vcc, s8, v8
                                        ; implicit-def: $vgpr3
	s_and_saveexec_b64 s[8:9], vcc
	s_xor_b64 s[8:9], exec, s[8:9]
; %bb.1850:
	v_bfe_u32 v3, v1, 21, 1
	s_mov_b32 s10, 0x80fffff
	v_add3_u32 v3, v1, v3, s10
	v_lshrrev_b32_e32 v3, 21, v3
; %bb.1851:
	s_andn2_saveexec_b64 s[8:9], s[8:9]
; %bb.1852:
	s_mov_b32 s10, 0x43000000
	v_add_f32_e64 v3, |v1|, s10
; %bb.1853:
	s_or_b64 exec, exec, s[8:9]
                                        ; implicit-def: $vgpr8
.LBB30_1854:
	s_andn2_saveexec_b64 s[6:7], s[6:7]
; %bb.1855:
	s_mov_b32 s8, 0x7f800000
	v_mov_b32_e32 v3, 0x7c
	v_mov_b32_e32 v9, 0x7f
	v_cmp_lt_u32_e32 vcc, s8, v8
	s_nop 1
	v_cndmask_b32_e32 v3, v3, v9, vcc
; %bb.1856:
	s_or_b64 exec, exec, s[6:7]
	v_lshrrev_b32_e32 v1, 24, v1
	s_movk_i32 s6, 0x80
	v_and_or_b32 v1, v1, s6, v3
	global_store_byte v[4:5], v1, off
.LBB30_1857:
	s_mov_b64 s[6:7], 0
	s_mov_b64 s[8:9], -1
.LBB30_1858:
	s_andn2_b64 vcc, exec, s[6:7]
	s_mov_b64 s[6:7], 0
	s_cbranch_vccnz .LBB30_1865
; %bb.1859:
	s_cmp_gt_i32 s19, 14
	s_mov_b64 s[10:11], -1
	s_cbranch_scc0 .LBB30_1863
; %bb.1860:
	s_cmp_eq_u32 s19, 15
	s_mov_b64 s[0:1], -1
	s_cbranch_scc0 .LBB30_1862
; %bb.1861:
	v_cvt_f32_i32_e32 v1, v2
	s_movk_i32 s6, 0x7fff
	s_mov_b64 s[0:1], 0
	s_mov_b64 s[8:9], -1
	v_bfe_u32 v3, v1, 16, 1
	v_add3_u32 v1, v1, v3, s6
	global_store_short_d16_hi v[4:5], v1, off
.LBB30_1862:
	s_mov_b64 s[10:11], 0
.LBB30_1863:
	s_mov_b64 s[6:7], 0
	s_and_b64 vcc, exec, s[10:11]
	s_cbranch_vccz .LBB30_1865
; %bb.1864:
	s_cmp_lg_u32 s19, 11
	s_mov_b64 s[6:7], -1
	s_cselect_b64 s[0:1], -1, 0
.LBB30_1865:
	s_and_b64 vcc, exec, s[0:1]
	s_cbranch_vccnz .LBB30_2001
; %bb.1866:
	s_andn2_b64 vcc, exec, s[6:7]
	s_cbranch_vccnz .LBB30_1868
.LBB30_1867:
	v_cmp_ne_u32_e32 vcc, -1, v7
	s_mov_b64 s[8:9], -1
	s_nop 0
	v_cndmask_b32_e64 v1, 0, 1, vcc
	global_store_byte v[4:5], v1, off
.LBB30_1868:
	s_mov_b64 s[0:1], 0
	s_branch .LBB30_1870
.LBB30_1869:
	s_mov_b64 s[0:1], -1
	s_mov_b64 s[8:9], 0
.LBB30_1870:
	s_and_b64 vcc, exec, s[0:1]
	s_cbranch_vccz .LBB30_1909
; %bb.1871:
	s_and_b32 s6, 0xffff, s20
	s_cmp_lt_i32 s6, 5
	s_mov_b64 s[0:1], -1
	s_cbranch_scc1 .LBB30_1892
; %bb.1872:
	s_cmp_lt_i32 s6, 8
	s_cbranch_scc1 .LBB30_1882
; %bb.1873:
	s_cmp_lt_i32 s6, 9
	s_cbranch_scc1 .LBB30_1879
; %bb.1874:
	s_cmp_gt_i32 s6, 9
	s_cbranch_scc0 .LBB30_1876
; %bb.1875:
	v_mov_b32_e32 v10, 0
	v_cvt_f64_i32_e32 v[8:9], v2
	v_mov_b32_e32 v11, v10
	global_store_dwordx4 v[4:5], v[8:11], off
	s_mov_b64 s[0:1], 0
.LBB30_1876:
	s_andn2_b64 vcc, exec, s[0:1]
	s_cbranch_vccnz .LBB30_1878
; %bb.1877:
	v_cvt_f32_i32_e32 v8, v2
	v_mov_b32_e32 v9, 0
	global_store_dwordx2 v[4:5], v[8:9], off
.LBB30_1878:
	s_mov_b64 s[0:1], 0
.LBB30_1879:
	s_andn2_b64 vcc, exec, s[0:1]
	s_cbranch_vccnz .LBB30_1881
; %bb.1880:
	v_cvt_f32_i32_e32 v1, v2
	v_cvt_f16_f32_e32 v1, v1
	global_store_dword v[4:5], v1, off
.LBB30_1881:
	s_mov_b64 s[0:1], 0
.LBB30_1882:
	s_andn2_b64 vcc, exec, s[0:1]
	s_cbranch_vccnz .LBB30_1891
; %bb.1883:
	s_cmp_lt_i32 s6, 6
	s_mov_b64 s[0:1], -1
	s_cbranch_scc1 .LBB30_1889
; %bb.1884:
	s_cmp_gt_i32 s6, 6
	s_cbranch_scc0 .LBB30_1886
; %bb.1885:
	v_cvt_f64_i32_e32 v[8:9], v2
	global_store_dwordx2 v[4:5], v[8:9], off
	s_mov_b64 s[0:1], 0
.LBB30_1886:
	s_andn2_b64 vcc, exec, s[0:1]
	s_cbranch_vccnz .LBB30_1888
; %bb.1887:
	v_cvt_f32_i32_e32 v1, v2
	global_store_dword v[4:5], v1, off
.LBB30_1888:
	s_mov_b64 s[0:1], 0
.LBB30_1889:
	s_andn2_b64 vcc, exec, s[0:1]
	s_cbranch_vccnz .LBB30_1891
; %bb.1890:
	v_cvt_f32_i32_e32 v1, v2
	v_cvt_f16_f32_e32 v1, v1
	global_store_short v[4:5], v1, off
.LBB30_1891:
	s_mov_b64 s[0:1], 0
.LBB30_1892:
	s_andn2_b64 vcc, exec, s[0:1]
	s_cbranch_vccnz .LBB30_1908
; %bb.1893:
	s_cmp_lt_i32 s6, 2
	s_mov_b64 s[0:1], -1
	s_cbranch_scc1 .LBB30_1903
; %bb.1894:
	s_cmp_lt_i32 s6, 3
	s_cbranch_scc1 .LBB30_1900
; %bb.1895:
	s_cmp_gt_i32 s6, 3
	s_cbranch_scc0 .LBB30_1897
; %bb.1896:
	v_ashrrev_i32_e32 v3, 31, v2
	global_store_dwordx2 v[4:5], v[2:3], off
	s_mov_b64 s[0:1], 0
.LBB30_1897:
	s_andn2_b64 vcc, exec, s[0:1]
	s_cbranch_vccnz .LBB30_1899
; %bb.1898:
	global_store_dword v[4:5], v2, off
.LBB30_1899:
	s_mov_b64 s[0:1], 0
.LBB30_1900:
	s_andn2_b64 vcc, exec, s[0:1]
	s_cbranch_vccnz .LBB30_1902
; %bb.1901:
	global_store_short v[4:5], v2, off
.LBB30_1902:
	s_mov_b64 s[0:1], 0
.LBB30_1903:
	s_andn2_b64 vcc, exec, s[0:1]
	s_cbranch_vccnz .LBB30_1908
; %bb.1904:
	s_cmp_gt_i32 s6, 0
	s_mov_b64 s[0:1], -1
	s_cbranch_scc0 .LBB30_1906
; %bb.1905:
	global_store_byte v[4:5], v2, off
	s_mov_b64 s[0:1], 0
.LBB30_1906:
	s_andn2_b64 vcc, exec, s[0:1]
	s_cbranch_vccnz .LBB30_1908
; %bb.1907:
	global_store_byte v[4:5], v2, off
.LBB30_1908:
	s_mov_b64 s[8:9], -1
.LBB30_1909:
	s_andn2_b64 vcc, exec, s[8:9]
	s_cbranch_vccnz .LBB30_1986
; %bb.1910:
	v_add_u32_e32 v0, s18, v0
	v_ashrrev_i32_e32 v1, 31, v0
	v_not_b32_e32 v2, v6
	s_cmp_lt_i32 s20, 11
	v_lshl_add_u64 v[0:1], s[4:5], 0, v[0:1]
	s_cbranch_scc1 .LBB30_1987
; %bb.1911:
	s_and_b32 s16, 0xffff, s20
	s_mov_b64 s[6:7], -1
	s_mov_b64 s[4:5], 0
	s_cmp_gt_i32 s16, 25
	s_mov_b64 s[0:1], 0
	s_cbranch_scc0 .LBB30_1944
; %bb.1912:
	s_cmp_gt_i32 s16, 28
	s_cbranch_scc0 .LBB30_1928
; %bb.1913:
	s_cmp_gt_i32 s16, 43
	;; [unrolled: 3-line block ×3, first 2 shown]
	s_cbranch_scc0 .LBB30_1918
; %bb.1915:
	s_cmp_eq_u32 s16, 46
	s_mov_b64 s[0:1], -1
	s_cbranch_scc0 .LBB30_1917
; %bb.1916:
	v_cvt_f32_i32_e32 v3, v2
	s_movk_i32 s0, 0x7fff
	v_bfe_u32 v4, v3, 16, 1
	v_add3_u32 v3, v3, v4, s0
	v_lshrrev_b32_e32 v3, 16, v3
	global_store_dword v[0:1], v3, off
	s_mov_b64 s[0:1], 0
.LBB30_1917:
	s_mov_b64 s[6:7], 0
.LBB30_1918:
	s_and_b64 vcc, exec, s[6:7]
	s_cbranch_vccz .LBB30_1923
; %bb.1919:
	s_cmp_eq_u32 s16, 44
	s_mov_b64 s[0:1], -1
	s_cbranch_scc0 .LBB30_1923
; %bb.1920:
	v_cvt_f32_i32_e32 v3, v2
	s_movk_i32 s0, 0xff
	v_mov_b32_e32 v5, 0xff
	v_bfe_u32 v4, v3, 23, 8
	v_cmp_ne_u32_e32 vcc, s0, v4
	s_and_saveexec_b64 s[6:7], vcc
; %bb.1921:
	s_mov_b32 s0, 0x3fffff
	v_lshrrev_b32_e32 v5, 23, v3
	v_and_b32_e32 v7, 0x400000, v3
	v_and_or_b32 v3, v3, s0, v4
	v_cmp_ne_u32_e32 vcc, 0, v7
	v_cmp_ne_u32_e64 s[0:1], 0, v3
	s_and_b64 s[0:1], vcc, s[0:1]
	s_nop 0
	v_cndmask_b32_e64 v3, 0, 1, s[0:1]
	v_add_u32_e32 v5, v5, v3
; %bb.1922:
	s_or_b64 exec, exec, s[6:7]
	s_mov_b64 s[0:1], 0
	global_store_byte v[0:1], v5, off
.LBB30_1923:
	s_mov_b64 s[6:7], 0
.LBB30_1924:
	s_and_b64 vcc, exec, s[6:7]
	s_cbranch_vccz .LBB30_1927
; %bb.1925:
	s_cmp_eq_u32 s16, 29
	s_mov_b64 s[0:1], -1
	s_cbranch_scc0 .LBB30_1927
; %bb.1926:
	v_ashrrev_i32_e32 v3, 31, v2
	global_store_dwordx2 v[0:1], v[2:3], off
	s_mov_b64 s[0:1], 0
.LBB30_1927:
	s_mov_b64 s[6:7], 0
.LBB30_1928:
	s_and_b64 vcc, exec, s[6:7]
	s_cbranch_vccz .LBB30_1943
; %bb.1929:
	s_cmp_lt_i32 s16, 27
	s_mov_b64 s[6:7], -1
	s_cbranch_scc1 .LBB30_1935
; %bb.1930:
	s_cmp_gt_i32 s16, 27
	s_cbranch_scc0 .LBB30_1932
; %bb.1931:
	global_store_dword v[0:1], v2, off
	s_mov_b64 s[6:7], 0
.LBB30_1932:
	s_andn2_b64 vcc, exec, s[6:7]
	s_cbranch_vccnz .LBB30_1934
; %bb.1933:
	global_store_short v[0:1], v2, off
.LBB30_1934:
	s_mov_b64 s[6:7], 0
.LBB30_1935:
	s_andn2_b64 vcc, exec, s[6:7]
	s_cbranch_vccnz .LBB30_1943
; %bb.1936:
	v_cvt_f32_i32_e32 v3, v2
	s_mov_b32 s6, 0x43800000
	v_mov_b32_e32 v5, 0x80
	v_and_b32_e32 v4, 0x7fffffff, v3
	v_cmp_gt_u32_e32 vcc, s6, v4
	s_and_saveexec_b64 s[6:7], vcc
	s_cbranch_execz .LBB30_1942
; %bb.1937:
	s_mov_b32 s8, 0x3bffffff
	v_cmp_lt_u32_e32 vcc, s8, v4
	s_mov_b64 s[8:9], 0
                                        ; implicit-def: $vgpr4
	s_and_saveexec_b64 s[10:11], vcc
	s_xor_b64 s[10:11], exec, s[10:11]
	s_cbranch_execz .LBB30_2004
; %bb.1938:
	v_bfe_u32 v4, v3, 20, 1
	s_mov_b32 s17, 0x487ffff
	v_add3_u32 v4, v3, v4, s17
	s_mov_b64 s[8:9], exec
	v_lshrrev_b32_e32 v4, 20, v4
	s_andn2_saveexec_b64 s[10:11], s[10:11]
	s_cbranch_execnz .LBB30_2005
.LBB30_1939:
	s_or_b64 exec, exec, s[10:11]
	v_mov_b32_e32 v5, 0
	s_and_saveexec_b64 s[10:11], s[8:9]
.LBB30_1940:
	v_lshrrev_b32_e32 v3, 24, v3
	s_movk_i32 s8, 0x80
	v_and_or_b32 v5, v3, s8, v4
.LBB30_1941:
	s_or_b64 exec, exec, s[10:11]
.LBB30_1942:
	s_or_b64 exec, exec, s[6:7]
	global_store_byte v[0:1], v5, off
.LBB30_1943:
	s_mov_b64 s[6:7], 0
.LBB30_1944:
	s_and_b64 vcc, exec, s[6:7]
	s_cbranch_vccz .LBB30_1984
; %bb.1945:
	s_cmp_gt_i32 s16, 22
	s_mov_b64 s[4:5], -1
	s_cbranch_scc0 .LBB30_1977
; %bb.1946:
	s_cmp_lt_i32 s16, 24
	s_cbranch_scc1 .LBB30_1966
; %bb.1947:
	s_cmp_gt_i32 s16, 24
	s_cbranch_scc0 .LBB30_1955
; %bb.1948:
	v_cvt_f32_i32_e32 v3, v2
	s_mov_b32 s4, 0x47800000
	v_mov_b32_e32 v5, 0x80
	v_and_b32_e32 v4, 0x7fffffff, v3
	v_cmp_gt_u32_e32 vcc, s4, v4
	s_and_saveexec_b64 s[4:5], vcc
	s_cbranch_execz .LBB30_1954
; %bb.1949:
	s_mov_b32 s6, 0x37ffffff
	v_cmp_lt_u32_e32 vcc, s6, v4
	s_mov_b64 s[6:7], 0
                                        ; implicit-def: $vgpr4
	s_and_saveexec_b64 s[8:9], vcc
	s_xor_b64 s[8:9], exec, s[8:9]
	s_cbranch_execz .LBB30_2007
; %bb.1950:
	v_bfe_u32 v4, v3, 21, 1
	s_mov_b32 s10, 0x88fffff
	v_add3_u32 v4, v3, v4, s10
	s_mov_b64 s[6:7], exec
	v_lshrrev_b32_e32 v4, 21, v4
	s_andn2_saveexec_b64 s[8:9], s[8:9]
	s_cbranch_execnz .LBB30_2008
.LBB30_1951:
	s_or_b64 exec, exec, s[8:9]
	v_mov_b32_e32 v5, 0
	s_and_saveexec_b64 s[8:9], s[6:7]
.LBB30_1952:
	v_lshrrev_b32_e32 v3, 24, v3
	s_movk_i32 s6, 0x80
	v_and_or_b32 v5, v3, s6, v4
.LBB30_1953:
	s_or_b64 exec, exec, s[8:9]
.LBB30_1954:
	s_or_b64 exec, exec, s[4:5]
	s_mov_b64 s[4:5], 0
	global_store_byte v[0:1], v5, off
.LBB30_1955:
	s_and_b64 vcc, exec, s[4:5]
	s_cbranch_vccz .LBB30_1965
; %bb.1956:
	v_cvt_f32_i32_e32 v3, v2
	s_mov_b32 s4, 0x43f00000
                                        ; implicit-def: $vgpr4
	v_and_b32_e32 v5, 0x7fffffff, v3
	v_cmp_gt_u32_e32 vcc, s4, v5
	s_and_saveexec_b64 s[4:5], vcc
	s_xor_b64 s[4:5], exec, s[4:5]
	s_cbranch_execz .LBB30_1962
; %bb.1957:
	s_mov_b32 s6, 0x3c7fffff
	v_cmp_lt_u32_e32 vcc, s6, v5
                                        ; implicit-def: $vgpr4
	s_and_saveexec_b64 s[6:7], vcc
	s_xor_b64 s[6:7], exec, s[6:7]
; %bb.1958:
	v_bfe_u32 v4, v3, 20, 1
	s_mov_b32 s8, 0x407ffff
	v_add3_u32 v4, v3, v4, s8
	v_lshrrev_b32_e32 v5, 20, v4
	v_and_b32_e32 v4, 0xff00000, v4
	s_mov_b32 s8, 0x7f00000
	v_mov_b32_e32 v7, 0x7e
	v_cmp_ne_u32_e32 vcc, s8, v4
	s_nop 1
	v_cndmask_b32_e32 v4, v7, v5, vcc
; %bb.1959:
	s_andn2_saveexec_b64 s[6:7], s[6:7]
; %bb.1960:
	s_mov_b32 s8, 0x46800000
	v_add_f32_e64 v4, |v3|, s8
; %bb.1961:
	s_or_b64 exec, exec, s[6:7]
                                        ; implicit-def: $vgpr5
.LBB30_1962:
	s_andn2_saveexec_b64 s[4:5], s[4:5]
; %bb.1963:
	s_mov_b32 s6, 0x7f800000
	v_mov_b32_e32 v4, 0x7e
	v_mov_b32_e32 v7, 0x7f
	v_cmp_lt_u32_e32 vcc, s6, v5
	s_nop 1
	v_cndmask_b32_e32 v4, v4, v7, vcc
; %bb.1964:
	s_or_b64 exec, exec, s[4:5]
	v_lshrrev_b32_e32 v3, 24, v3
	s_movk_i32 s4, 0x80
	v_and_or_b32 v3, v3, s4, v4
	global_store_byte v[0:1], v3, off
.LBB30_1965:
	s_mov_b64 s[4:5], 0
.LBB30_1966:
	s_andn2_b64 vcc, exec, s[4:5]
	s_cbranch_vccnz .LBB30_1976
; %bb.1967:
	v_cvt_f32_i32_e32 v3, v2
	s_mov_b32 s4, 0x47800000
                                        ; implicit-def: $vgpr4
	v_and_b32_e32 v5, 0x7fffffff, v3
	v_cmp_gt_u32_e32 vcc, s4, v5
	s_and_saveexec_b64 s[4:5], vcc
	s_xor_b64 s[4:5], exec, s[4:5]
	s_cbranch_execz .LBB30_1973
; %bb.1968:
	s_mov_b32 s6, 0x387fffff
	v_cmp_lt_u32_e32 vcc, s6, v5
                                        ; implicit-def: $vgpr4
	s_and_saveexec_b64 s[6:7], vcc
	s_xor_b64 s[6:7], exec, s[6:7]
; %bb.1969:
	v_bfe_u32 v4, v3, 21, 1
	s_mov_b32 s8, 0x80fffff
	v_add3_u32 v4, v3, v4, s8
	v_lshrrev_b32_e32 v4, 21, v4
; %bb.1970:
	s_andn2_saveexec_b64 s[6:7], s[6:7]
; %bb.1971:
	s_mov_b32 s8, 0x43000000
	v_add_f32_e64 v4, |v3|, s8
; %bb.1972:
	s_or_b64 exec, exec, s[6:7]
                                        ; implicit-def: $vgpr5
.LBB30_1973:
	s_andn2_saveexec_b64 s[4:5], s[4:5]
; %bb.1974:
	s_mov_b32 s6, 0x7f800000
	v_mov_b32_e32 v4, 0x7c
	v_mov_b32_e32 v7, 0x7f
	v_cmp_lt_u32_e32 vcc, s6, v5
	s_nop 1
	v_cndmask_b32_e32 v4, v4, v7, vcc
; %bb.1975:
	s_or_b64 exec, exec, s[4:5]
	v_lshrrev_b32_e32 v3, 24, v3
	s_movk_i32 s4, 0x80
	v_and_or_b32 v3, v3, s4, v4
	global_store_byte v[0:1], v3, off
.LBB30_1976:
	s_mov_b64 s[4:5], 0
.LBB30_1977:
	s_andn2_b64 vcc, exec, s[4:5]
	s_mov_b64 s[4:5], 0
	s_cbranch_vccnz .LBB30_1984
; %bb.1978:
	s_cmp_gt_i32 s16, 14
	s_mov_b64 s[6:7], -1
	s_cbranch_scc0 .LBB30_1982
; %bb.1979:
	s_cmp_eq_u32 s16, 15
	s_mov_b64 s[0:1], -1
	s_cbranch_scc0 .LBB30_1981
; %bb.1980:
	v_cvt_f32_i32_e32 v3, v2
	s_movk_i32 s0, 0x7fff
	v_bfe_u32 v4, v3, 16, 1
	v_add3_u32 v3, v3, v4, s0
	global_store_short_d16_hi v[0:1], v3, off
	s_mov_b64 s[0:1], 0
.LBB30_1981:
	s_mov_b64 s[6:7], 0
.LBB30_1982:
	s_and_b64 vcc, exec, s[6:7]
	s_cbranch_vccz .LBB30_1984
; %bb.1983:
	s_cmp_lg_u32 s16, 11
	s_mov_b64 s[4:5], -1
	s_cselect_b64 s[0:1], -1, 0
.LBB30_1984:
	s_and_b64 vcc, exec, s[0:1]
	s_cbranch_vccnz .LBB30_2006
.LBB30_1985:
	s_mov_b64 s[0:1], 0
	s_branch .LBB30_1395
.LBB30_1986:
	s_mov_b64 s[0:1], 0
                                        ; implicit-def: $sgpr20
                                        ; implicit-def: $vgpr0_vgpr1
                                        ; implicit-def: $vgpr2
	s_branch .LBB30_1394
.LBB30_1987:
	s_mov_b64 s[4:5], 0
	s_mov_b64 s[0:1], -1
	s_branch .LBB30_1395
.LBB30_1988:
	s_trap 2
	s_or_b64 s[14:15], s[14:15], exec
	s_cbranch_execz .LBB30_1501
	s_branch .LBB30_1502
.LBB30_1989:
	s_andn2_saveexec_b64 s[18:19], s[18:19]
	s_cbranch_execz .LBB30_1581
.LBB30_1990:
	s_mov_b32 s21, 0x46000000
	v_add_f32_e64 v3, |v1|, s21
	v_and_b32_e32 v3, 0xff, v3
	v_cmp_ne_u32_e32 vcc, 0, v3
	s_andn2_b64 s[16:17], s[16:17], exec
	s_and_b64 s[22:23], vcc, exec
	s_or_b64 s[16:17], s[16:17], s[22:23]
	s_or_b64 exec, exec, s[18:19]
	v_mov_b32_e32 v10, 0
	s_and_saveexec_b64 s[18:19], s[16:17]
	s_cbranch_execnz .LBB30_1582
	s_branch .LBB30_1583
.LBB30_1991:
	s_trap 2
	s_or_b64 s[14:15], s[14:15], exec
	s_cbranch_execz .LBB30_1629
	s_branch .LBB30_1630
.LBB30_1992:
	s_andn2_saveexec_b64 s[16:17], s[16:17]
	s_cbranch_execz .LBB30_1594
.LBB30_1993:
	s_mov_b32 s18, 0x42800000
	v_add_f32_e64 v3, |v1|, s18
	v_and_b32_e32 v3, 0xff, v3
	v_cmp_ne_u32_e32 vcc, 0, v3
	s_andn2_b64 s[10:11], s[10:11], exec
	s_and_b64 s[18:19], vcc, exec
	s_or_b64 s[10:11], s[10:11], s[18:19]
	s_or_b64 exec, exec, s[16:17]
	v_mov_b32_e32 v10, 0
	s_and_saveexec_b64 s[16:17], s[10:11]
	s_cbranch_execnz .LBB30_1595
	s_branch .LBB30_1596
.LBB30_1994:
	s_andn2_saveexec_b64 s[16:17], s[16:17]
	s_cbranch_execz .LBB30_1700
.LBB30_1995:
	s_mov_b32 s21, 0x46000000
	v_add_f32_e64 v3, |v1|, s21
	v_and_b32_e32 v3, 0xff, v3
	v_cmp_ne_u32_e32 vcc, 0, v3
	s_andn2_b64 s[10:11], s[10:11], exec
	s_and_b64 s[22:23], vcc, exec
	s_or_b64 s[10:11], s[10:11], s[22:23]
	s_or_b64 exec, exec, s[16:17]
	v_mov_b32_e32 v9, 0
	s_and_saveexec_b64 s[16:17], s[10:11]
	s_cbranch_execnz .LBB30_1701
	s_branch .LBB30_1702
.LBB30_1996:
	s_trap 2
	s_or_b64 s[14:15], s[14:15], exec
	s_cbranch_execz .LBB30_1748
	s_branch .LBB30_1749
.LBB30_1997:
	s_andn2_saveexec_b64 s[10:11], s[10:11]
	s_cbranch_execz .LBB30_1713
.LBB30_1998:
	s_mov_b32 s16, 0x42800000
	v_add_f32_e64 v3, |v1|, s16
	v_and_b32_e32 v3, 0xff, v3
	v_cmp_ne_u32_e32 vcc, 0, v3
	s_andn2_b64 s[8:9], s[8:9], exec
	s_and_b64 s[16:17], vcc, exec
	s_or_b64 s[8:9], s[8:9], s[16:17]
	s_or_b64 exec, exec, s[10:11]
	v_mov_b32_e32 v9, 0
	s_and_saveexec_b64 s[10:11], s[8:9]
	s_cbranch_execnz .LBB30_1714
	s_branch .LBB30_1715
.LBB30_1999:
	s_andn2_saveexec_b64 s[16:17], s[16:17]
	s_cbranch_execz .LBB30_1819
.LBB30_2000:
	s_mov_b32 s21, 0x46000000
	v_add_f32_e64 v3, |v1|, s21
	v_and_b32_e32 v3, 0xff, v3
	v_cmp_ne_u32_e32 vcc, 0, v3
	s_andn2_b64 s[10:11], s[10:11], exec
	s_and_b64 s[22:23], vcc, exec
	s_or_b64 s[10:11], s[10:11], s[22:23]
	s_or_b64 exec, exec, s[16:17]
	v_mov_b32_e32 v8, 0
	s_and_saveexec_b64 s[16:17], s[10:11]
	s_cbranch_execnz .LBB30_1820
	s_branch .LBB30_1821
.LBB30_2001:
	s_trap 2
	s_or_b64 s[14:15], s[14:15], exec
	s_cbranch_execz .LBB30_1867
	s_branch .LBB30_1868
.LBB30_2002:
	s_andn2_saveexec_b64 s[10:11], s[10:11]
	s_cbranch_execz .LBB30_1832
.LBB30_2003:
	s_mov_b32 s16, 0x42800000
	v_add_f32_e64 v3, |v1|, s16
	v_and_b32_e32 v3, 0xff, v3
	v_cmp_ne_u32_e32 vcc, 0, v3
	s_andn2_b64 s[8:9], s[8:9], exec
	s_and_b64 s[16:17], vcc, exec
	s_or_b64 s[8:9], s[8:9], s[16:17]
	s_or_b64 exec, exec, s[10:11]
	v_mov_b32_e32 v8, 0
	s_and_saveexec_b64 s[10:11], s[8:9]
	s_cbranch_execnz .LBB30_1833
	s_branch .LBB30_1834
.LBB30_2004:
	s_andn2_saveexec_b64 s[10:11], s[10:11]
	s_cbranch_execz .LBB30_1939
.LBB30_2005:
	s_mov_b32 s17, 0x46000000
	v_add_f32_e64 v4, |v3|, s17
	v_and_b32_e32 v4, 0xff, v4
	v_cmp_ne_u32_e32 vcc, 0, v4
	s_andn2_b64 s[8:9], s[8:9], exec
	s_and_b64 s[18:19], vcc, exec
	s_or_b64 s[8:9], s[8:9], s[18:19]
	s_or_b64 exec, exec, s[10:11]
	v_mov_b32_e32 v5, 0
	s_and_saveexec_b64 s[10:11], s[8:9]
	s_cbranch_execnz .LBB30_1940
	s_branch .LBB30_1941
.LBB30_2006:
	s_mov_b64 s[4:5], 0
	s_or_b64 s[14:15], s[14:15], exec
	s_trap 2
	s_branch .LBB30_1985
.LBB30_2007:
	s_andn2_saveexec_b64 s[8:9], s[8:9]
	s_cbranch_execz .LBB30_1951
.LBB30_2008:
	s_mov_b32 s10, 0x42800000
	v_add_f32_e64 v4, |v3|, s10
	v_and_b32_e32 v4, 0xff, v4
	v_cmp_ne_u32_e32 vcc, 0, v4
	s_andn2_b64 s[6:7], s[6:7], exec
	s_and_b64 s[10:11], vcc, exec
	s_or_b64 s[6:7], s[6:7], s[10:11]
	s_or_b64 exec, exec, s[8:9]
	v_mov_b32_e32 v5, 0
	s_and_saveexec_b64 s[8:9], s[6:7]
	s_cbranch_execnz .LBB30_1952
	s_branch .LBB30_1953
	.section	.rodata,"a",@progbits
	.p2align	6, 0x0
	.amdhsa_kernel _ZN2at6native32elementwise_kernel_manual_unrollILi128ELi4EZNS0_15gpu_kernel_implIZZZNS0_23bitwise_not_kernel_cudaERNS_18TensorIteratorBaseEENKUlvE_clEvENKUlvE1_clEvEUliE_EEvS4_RKT_EUlibE_EEviT1_
		.amdhsa_group_segment_fixed_size 0
		.amdhsa_private_segment_fixed_size 0
		.amdhsa_kernarg_size 40
		.amdhsa_user_sgpr_count 2
		.amdhsa_user_sgpr_dispatch_ptr 0
		.amdhsa_user_sgpr_queue_ptr 0
		.amdhsa_user_sgpr_kernarg_segment_ptr 1
		.amdhsa_user_sgpr_dispatch_id 0
		.amdhsa_user_sgpr_kernarg_preload_length 0
		.amdhsa_user_sgpr_kernarg_preload_offset 0
		.amdhsa_user_sgpr_private_segment_size 0
		.amdhsa_uses_dynamic_stack 0
		.amdhsa_enable_private_segment 0
		.amdhsa_system_sgpr_workgroup_id_x 1
		.amdhsa_system_sgpr_workgroup_id_y 0
		.amdhsa_system_sgpr_workgroup_id_z 0
		.amdhsa_system_sgpr_workgroup_info 0
		.amdhsa_system_vgpr_workitem_id 0
		.amdhsa_next_free_vgpr 14
		.amdhsa_next_free_sgpr 46
		.amdhsa_accum_offset 16
		.amdhsa_reserve_vcc 1
		.amdhsa_float_round_mode_32 0
		.amdhsa_float_round_mode_16_64 0
		.amdhsa_float_denorm_mode_32 3
		.amdhsa_float_denorm_mode_16_64 3
		.amdhsa_dx10_clamp 1
		.amdhsa_ieee_mode 1
		.amdhsa_fp16_overflow 0
		.amdhsa_tg_split 0
		.amdhsa_exception_fp_ieee_invalid_op 0
		.amdhsa_exception_fp_denorm_src 0
		.amdhsa_exception_fp_ieee_div_zero 0
		.amdhsa_exception_fp_ieee_overflow 0
		.amdhsa_exception_fp_ieee_underflow 0
		.amdhsa_exception_fp_ieee_inexact 0
		.amdhsa_exception_int_div_zero 0
	.end_amdhsa_kernel
	.section	.text._ZN2at6native32elementwise_kernel_manual_unrollILi128ELi4EZNS0_15gpu_kernel_implIZZZNS0_23bitwise_not_kernel_cudaERNS_18TensorIteratorBaseEENKUlvE_clEvENKUlvE1_clEvEUliE_EEvS4_RKT_EUlibE_EEviT1_,"axG",@progbits,_ZN2at6native32elementwise_kernel_manual_unrollILi128ELi4EZNS0_15gpu_kernel_implIZZZNS0_23bitwise_not_kernel_cudaERNS_18TensorIteratorBaseEENKUlvE_clEvENKUlvE1_clEvEUliE_EEvS4_RKT_EUlibE_EEviT1_,comdat
.Lfunc_end30:
	.size	_ZN2at6native32elementwise_kernel_manual_unrollILi128ELi4EZNS0_15gpu_kernel_implIZZZNS0_23bitwise_not_kernel_cudaERNS_18TensorIteratorBaseEENKUlvE_clEvENKUlvE1_clEvEUliE_EEvS4_RKT_EUlibE_EEviT1_, .Lfunc_end30-_ZN2at6native32elementwise_kernel_manual_unrollILi128ELi4EZNS0_15gpu_kernel_implIZZZNS0_23bitwise_not_kernel_cudaERNS_18TensorIteratorBaseEENKUlvE_clEvENKUlvE1_clEvEUliE_EEvS4_RKT_EUlibE_EEviT1_
                                        ; -- End function
	.set _ZN2at6native32elementwise_kernel_manual_unrollILi128ELi4EZNS0_15gpu_kernel_implIZZZNS0_23bitwise_not_kernel_cudaERNS_18TensorIteratorBaseEENKUlvE_clEvENKUlvE1_clEvEUliE_EEvS4_RKT_EUlibE_EEviT1_.num_vgpr, 14
	.set _ZN2at6native32elementwise_kernel_manual_unrollILi128ELi4EZNS0_15gpu_kernel_implIZZZNS0_23bitwise_not_kernel_cudaERNS_18TensorIteratorBaseEENKUlvE_clEvENKUlvE1_clEvEUliE_EEvS4_RKT_EUlibE_EEviT1_.num_agpr, 0
	.set _ZN2at6native32elementwise_kernel_manual_unrollILi128ELi4EZNS0_15gpu_kernel_implIZZZNS0_23bitwise_not_kernel_cudaERNS_18TensorIteratorBaseEENKUlvE_clEvENKUlvE1_clEvEUliE_EEvS4_RKT_EUlibE_EEviT1_.numbered_sgpr, 46
	.set _ZN2at6native32elementwise_kernel_manual_unrollILi128ELi4EZNS0_15gpu_kernel_implIZZZNS0_23bitwise_not_kernel_cudaERNS_18TensorIteratorBaseEENKUlvE_clEvENKUlvE1_clEvEUliE_EEvS4_RKT_EUlibE_EEviT1_.num_named_barrier, 0
	.set _ZN2at6native32elementwise_kernel_manual_unrollILi128ELi4EZNS0_15gpu_kernel_implIZZZNS0_23bitwise_not_kernel_cudaERNS_18TensorIteratorBaseEENKUlvE_clEvENKUlvE1_clEvEUliE_EEvS4_RKT_EUlibE_EEviT1_.private_seg_size, 0
	.set _ZN2at6native32elementwise_kernel_manual_unrollILi128ELi4EZNS0_15gpu_kernel_implIZZZNS0_23bitwise_not_kernel_cudaERNS_18TensorIteratorBaseEENKUlvE_clEvENKUlvE1_clEvEUliE_EEvS4_RKT_EUlibE_EEviT1_.uses_vcc, 1
	.set _ZN2at6native32elementwise_kernel_manual_unrollILi128ELi4EZNS0_15gpu_kernel_implIZZZNS0_23bitwise_not_kernel_cudaERNS_18TensorIteratorBaseEENKUlvE_clEvENKUlvE1_clEvEUliE_EEvS4_RKT_EUlibE_EEviT1_.uses_flat_scratch, 0
	.set _ZN2at6native32elementwise_kernel_manual_unrollILi128ELi4EZNS0_15gpu_kernel_implIZZZNS0_23bitwise_not_kernel_cudaERNS_18TensorIteratorBaseEENKUlvE_clEvENKUlvE1_clEvEUliE_EEvS4_RKT_EUlibE_EEviT1_.has_dyn_sized_stack, 0
	.set _ZN2at6native32elementwise_kernel_manual_unrollILi128ELi4EZNS0_15gpu_kernel_implIZZZNS0_23bitwise_not_kernel_cudaERNS_18TensorIteratorBaseEENKUlvE_clEvENKUlvE1_clEvEUliE_EEvS4_RKT_EUlibE_EEviT1_.has_recursion, 0
	.set _ZN2at6native32elementwise_kernel_manual_unrollILi128ELi4EZNS0_15gpu_kernel_implIZZZNS0_23bitwise_not_kernel_cudaERNS_18TensorIteratorBaseEENKUlvE_clEvENKUlvE1_clEvEUliE_EEvS4_RKT_EUlibE_EEviT1_.has_indirect_call, 0
	.section	.AMDGPU.csdata,"",@progbits
; Kernel info:
; codeLenInByte = 29492
; TotalNumSgprs: 52
; NumVgprs: 14
; NumAgprs: 0
; TotalNumVgprs: 14
; ScratchSize: 0
; MemoryBound: 1
; FloatMode: 240
; IeeeMode: 1
; LDSByteSize: 0 bytes/workgroup (compile time only)
; SGPRBlocks: 6
; VGPRBlocks: 1
; NumSGPRsForWavesPerEU: 52
; NumVGPRsForWavesPerEU: 14
; AccumOffset: 16
; Occupancy: 8
; WaveLimiterHint : 0
; COMPUTE_PGM_RSRC2:SCRATCH_EN: 0
; COMPUTE_PGM_RSRC2:USER_SGPR: 2
; COMPUTE_PGM_RSRC2:TRAP_HANDLER: 0
; COMPUTE_PGM_RSRC2:TGID_X_EN: 1
; COMPUTE_PGM_RSRC2:TGID_Y_EN: 0
; COMPUTE_PGM_RSRC2:TGID_Z_EN: 0
; COMPUTE_PGM_RSRC2:TIDIG_COMP_CNT: 0
; COMPUTE_PGM_RSRC3_GFX90A:ACCUM_OFFSET: 3
; COMPUTE_PGM_RSRC3_GFX90A:TG_SPLIT: 0
	.section	.text._ZN2at6native32elementwise_kernel_manual_unrollILi128ELi4EZNS0_15gpu_kernel_implIZZZNS0_23bitwise_not_kernel_cudaERNS_18TensorIteratorBaseEENKUlvE_clEvENKUlvE1_clEvEUliE_EEvS4_RKT_EUlibE0_EEviT1_,"axG",@progbits,_ZN2at6native32elementwise_kernel_manual_unrollILi128ELi4EZNS0_15gpu_kernel_implIZZZNS0_23bitwise_not_kernel_cudaERNS_18TensorIteratorBaseEENKUlvE_clEvENKUlvE1_clEvEUliE_EEvS4_RKT_EUlibE0_EEviT1_,comdat
	.globl	_ZN2at6native32elementwise_kernel_manual_unrollILi128ELi4EZNS0_15gpu_kernel_implIZZZNS0_23bitwise_not_kernel_cudaERNS_18TensorIteratorBaseEENKUlvE_clEvENKUlvE1_clEvEUliE_EEvS4_RKT_EUlibE0_EEviT1_ ; -- Begin function _ZN2at6native32elementwise_kernel_manual_unrollILi128ELi4EZNS0_15gpu_kernel_implIZZZNS0_23bitwise_not_kernel_cudaERNS_18TensorIteratorBaseEENKUlvE_clEvENKUlvE1_clEvEUliE_EEvS4_RKT_EUlibE0_EEviT1_
	.p2align	8
	.type	_ZN2at6native32elementwise_kernel_manual_unrollILi128ELi4EZNS0_15gpu_kernel_implIZZZNS0_23bitwise_not_kernel_cudaERNS_18TensorIteratorBaseEENKUlvE_clEvENKUlvE1_clEvEUliE_EEvS4_RKT_EUlibE0_EEviT1_,@function
_ZN2at6native32elementwise_kernel_manual_unrollILi128ELi4EZNS0_15gpu_kernel_implIZZZNS0_23bitwise_not_kernel_cudaERNS_18TensorIteratorBaseEENKUlvE_clEvENKUlvE1_clEvEUliE_EEvS4_RKT_EUlibE0_EEviT1_: ; @_ZN2at6native32elementwise_kernel_manual_unrollILi128ELi4EZNS0_15gpu_kernel_implIZZZNS0_23bitwise_not_kernel_cudaERNS_18TensorIteratorBaseEENKUlvE_clEvENKUlvE1_clEvEUliE_EEvS4_RKT_EUlibE0_EEviT1_
; %bb.0:
	s_load_dword s70, s[0:1], 0x0
	s_load_dword s33, s[0:1], 0x8
	s_add_u32 s34, s0, 8
	s_addc_u32 s35, s1, 0
	v_lshl_or_b32 v8, s2, 9, v0
	v_or_b32_e32 v16, 0x180, v8
	s_waitcnt lgkmcnt(0)
	s_add_i32 s72, s33, -1
	s_cmp_gt_u32 s72, 1
	v_cmp_le_i32_e32 vcc, s70, v16
	s_cselect_b64 s[42:43], -1, 0
	s_mov_b64 s[40:41], 0
	s_mov_b64 s[24:25], 0
	s_and_saveexec_b64 s[2:3], vcc
	s_xor_b64 s[44:45], exec, s[2:3]
	s_cbranch_execz .LBB31_1074
; %bb.1:
	v_mov_b32_e32 v0, 0
	global_load_ushort v0, v0, s[34:35] offset:345
	s_load_dwordx4 s[28:31], s[34:35], 0x4
	s_load_dwordx2 s[46:47], s[34:35], 0x14
	s_load_dwordx4 s[24:27], s[34:35], 0xc4
	s_load_dwordx4 s[20:23], s[34:35], 0x148
	s_cmp_lg_u32 s33, 0
	s_cselect_b64 s[52:53], -1, 0
	s_add_u32 s50, s34, 0xc4
	s_addc_u32 s51, s35, 0
	s_min_u32 s75, s72, 15
	s_cmp_gt_u32 s33, 1
	s_cselect_b64 s[48:49], -1, 0
	v_cmp_gt_i32_e32 vcc, s70, v8
	s_mov_b64 s[4:5], -1
	s_mov_b64 s[62:63], 0
	s_mov_b64 s[56:57], 0
	;; [unrolled: 1-line block ×3, first 2 shown]
	s_waitcnt vmcnt(0)
	v_readfirstlane_b32 s73, v0
	s_and_b32 s2, 0xffff, s73
	s_lshr_b32 s74, s2, 8
	s_and_saveexec_b64 s[58:59], vcc
	s_cbranch_execz .LBB31_263
; %bb.2:
	s_andn2_b64 vcc, exec, s[42:43]
	s_cbranch_vccnz .LBB31_8
; %bb.3:
	s_andn2_b64 vcc, exec, s[52:53]
	s_cbranch_vccnz .LBB31_9
; %bb.4:
	s_add_i32 s57, s75, 1
	s_cmp_eq_u32 s72, 2
	s_cbranch_scc1 .LBB31_10
; %bb.5:
	s_and_b32 s56, s57, 28
	s_mov_b32 s60, 0
	v_mov_b32_e32 v0, 0
	v_mov_b32_e32 v2, 0
	s_mov_b64 s[2:3], s[34:35]
	s_mov_b64 s[54:55], s[50:51]
	v_mov_b32_e32 v4, v8
.LBB31_6:                               ; =>This Inner Loop Header: Depth=1
	s_load_dwordx8 s[12:19], s[2:3], 0x4
	s_load_dwordx4 s[36:39], s[2:3], 0x24
	s_load_dwordx8 s[4:11], s[54:55], 0x0
	s_add_u32 s2, s2, 48
	s_addc_u32 s3, s3, 0
	s_waitcnt lgkmcnt(0)
	v_mul_hi_u32 v1, s13, v4
	v_add_u32_e32 v1, v4, v1
	v_lshrrev_b32_e32 v1, s14, v1
	v_mul_lo_u32 v3, v1, s12
	v_mul_hi_u32 v5, s16, v1
	v_sub_u32_e32 v3, v4, v3
	v_add_u32_e32 v4, v1, v5
	v_lshrrev_b32_e32 v4, s17, v4
	v_mul_lo_u32 v6, v4, s15
	v_mul_hi_u32 v7, s19, v4
	v_sub_u32_e32 v1, v1, v6
	v_add_u32_e32 v6, v4, v7
	v_mul_lo_u32 v5, v3, s5
	v_mul_lo_u32 v3, v3, s4
	;; [unrolled: 1-line block ×4, first 2 shown]
	v_lshrrev_b32_e32 v6, s36, v6
	v_add3_u32 v0, v3, v0, v1
	v_mul_hi_u32 v3, s38, v6
	v_add3_u32 v1, v5, v2, v7
	v_mul_lo_u32 v2, v6, s18
	v_add_u32_e32 v3, v6, v3
	v_sub_u32_e32 v2, v4, v2
	v_lshrrev_b32_e32 v4, s39, v3
	s_add_i32 s60, s60, 4
	v_mul_lo_u32 v3, v4, s37
	s_add_u32 s54, s54, 32
	v_sub_u32_e32 v3, v6, v3
	s_addc_u32 s55, s55, 0
	v_mul_lo_u32 v5, v2, s8
	v_mul_lo_u32 v2, v2, s9
	;; [unrolled: 1-line block ×4, first 2 shown]
	s_cmp_lg_u32 s56, s60
	v_add3_u32 v2, v2, v1, v3
	v_add3_u32 v0, v5, v0, v6
	s_cbranch_scc1 .LBB31_6
; %bb.7:
	v_mov_b32_e32 v1, v2
	s_branch .LBB31_11
.LBB31_8:
                                        ; implicit-def: $vgpr2
                                        ; implicit-def: $vgpr0
	s_branch .LBB31_15
.LBB31_9:
	v_mov_b32_e32 v2, 0
	v_mov_b32_e32 v0, 0
	s_branch .LBB31_14
.LBB31_10:
	v_mov_b32_e32 v0, 0
	s_mov_b32 s56, 0
	v_mov_b32_e32 v1, v0
                                        ; implicit-def: $vgpr2
	v_mov_b32_e32 v4, v8
.LBB31_11:
	s_and_b32 s6, s57, 3
	s_cmp_eq_u32 s6, 0
	s_cbranch_scc1 .LBB31_14
; %bb.12:
	s_lshl_b32 s2, s56, 3
	s_add_u32 s2, s34, s2
	s_addc_u32 s3, s35, 0
	s_add_u32 s2, s2, 0xc4
	s_addc_u32 s3, s3, 0
	s_mul_i32 s4, s56, 12
	s_add_u32 s4, s34, s4
	s_addc_u32 s5, s35, 0
.LBB31_13:                              ; =>This Inner Loop Header: Depth=1
	s_load_dwordx2 s[8:9], s[4:5], 0x4
	s_load_dword s7, s[4:5], 0xc
	s_load_dwordx2 s[10:11], s[2:3], 0x0
	v_mov_b32_e32 v2, v1
	s_add_u32 s4, s4, 12
	s_waitcnt lgkmcnt(0)
	v_mul_hi_u32 v1, s9, v4
	v_add_u32_e32 v1, v4, v1
	v_lshrrev_b32_e32 v1, s7, v1
	s_addc_u32 s5, s5, 0
	v_mul_lo_u32 v3, v1, s8
	s_add_u32 s2, s2, 8
	v_sub_u32_e32 v5, v4, v3
	s_addc_u32 s3, s3, 0
	s_add_i32 s6, s6, -1
	v_mov_b32_e32 v4, v1
	v_mad_u64_u32 v[2:3], s[8:9], v5, s11, v[2:3]
	v_mad_u64_u32 v[0:1], s[8:9], v5, s10, v[0:1]
	s_cmp_lg_u32 s6, 0
	v_mov_b32_e32 v1, v2
	s_cbranch_scc1 .LBB31_13
.LBB31_14:
	s_cbranch_execnz .LBB31_17
.LBB31_15:
	s_waitcnt lgkmcnt(0)
	v_mul_hi_u32 v0, s29, v8
	v_add_u32_e32 v0, v8, v0
	v_lshrrev_b32_e32 v1, s30, v0
	v_mul_lo_u32 v0, v1, s28
	v_sub_u32_e32 v0, v8, v0
	v_mul_lo_u32 v2, v0, s25
	s_andn2_b64 vcc, exec, s[48:49]
	v_mul_lo_u32 v0, v0, s24
	s_cbranch_vccnz .LBB31_17
; %bb.16:
	v_mul_hi_u32 v3, s46, v1
	v_add_u32_e32 v3, v1, v3
	v_lshrrev_b32_e32 v3, s47, v3
	v_mul_lo_u32 v3, v3, s31
	v_sub_u32_e32 v3, v1, v3
	v_mad_u64_u32 v[0:1], s[2:3], v3, s26, v[0:1]
	v_mad_u64_u32 v[2:3], s[2:3], v3, s27, v[2:3]
.LBB31_17:
	v_mov_b32_e32 v3, 0
	s_and_b32 s8, 0xffff, s74
	s_cmp_lt_i32 s8, 11
	s_waitcnt lgkmcnt(0)
	v_lshl_add_u64 v[2:3], s[22:23], 0, v[2:3]
	s_cbranch_scc1 .LBB31_24
; %bb.18:
	s_cmp_gt_i32 s8, 25
	s_cbranch_scc0 .LBB31_33
; %bb.19:
	s_cmp_gt_i32 s8, 28
	s_cbranch_scc0 .LBB31_36
	;; [unrolled: 3-line block ×4, first 2 shown]
; %bb.22:
	s_cmp_eq_u32 s8, 46
	s_mov_b64 s[6:7], 0
	s_cbranch_scc0 .LBB31_42
; %bb.23:
	global_load_dword v1, v[2:3], off
	s_mov_b64 s[2:3], -1
	s_mov_b64 s[4:5], 0
	s_waitcnt vmcnt(0)
	v_lshlrev_b32_e32 v1, 16, v1
	v_cvt_i32_f32_e32 v4, v1
	s_branch .LBB31_44
.LBB31_24:
	s_mov_b64 s[4:5], 0
                                        ; implicit-def: $vgpr4
	s_mov_b64 s[2:3], 0
	s_cbranch_execnz .LBB31_213
.LBB31_25:
	s_andn2_b64 vcc, exec, s[2:3]
	s_cbranch_vccnz .LBB31_260
.LBB31_26:
	v_mov_b32_e32 v1, 0
	s_and_b32 s12, s73, 0xff
	s_waitcnt vmcnt(0)
	v_not_b32_e32 v2, v4
	s_cmp_lt_i32 s12, 11
	v_lshl_add_u64 v[0:1], s[20:21], 0, v[0:1]
	s_cbranch_scc1 .LBB31_34
; %bb.27:
	s_and_b32 s13, 0xffff, s12
	s_cmp_gt_i32 s13, 25
	s_cbranch_scc0 .LBB31_37
; %bb.28:
	s_cmp_gt_i32 s13, 28
	s_cbranch_scc0 .LBB31_39
; %bb.29:
	s_cmp_gt_i32 s13, 43
	s_cbranch_scc0 .LBB31_41
; %bb.30:
	s_cmp_gt_i32 s13, 45
	s_cbranch_scc0 .LBB31_47
; %bb.31:
	s_mov_b64 s[8:9], 0
	s_mov_b64 s[2:3], -1
	s_cmp_eq_u32 s13, 46
	s_mov_b64 s[6:7], 0
	s_cbranch_scc0 .LBB31_48
; %bb.32:
	v_cvt_f32_i32_e32 v3, v2
	s_movk_i32 s2, 0x7fff
	s_mov_b64 s[6:7], -1
	v_bfe_u32 v5, v3, 16, 1
	v_add3_u32 v3, v3, v5, s2
	v_lshrrev_b32_e32 v3, 16, v3
	global_store_dword v[0:1], v3, off
	s_mov_b64 s[2:3], 0
	s_branch .LBB31_48
.LBB31_33:
	s_mov_b64 s[4:5], 0
	s_mov_b64 s[2:3], 0
                                        ; implicit-def: $vgpr4
	s_cbranch_execnz .LBB31_180
	s_branch .LBB31_212
.LBB31_34:
	s_mov_b64 s[2:3], 0
	s_mov_b64 s[6:7], 0
	s_cbranch_execnz .LBB31_117
.LBB31_35:
	s_andn2_b64 vcc, exec, s[6:7]
	s_cbranch_vccnz .LBB31_261
	s_branch .LBB31_155
.LBB31_36:
	s_mov_b64 s[6:7], -1
	s_mov_b64 s[4:5], 0
	s_mov_b64 s[2:3], 0
                                        ; implicit-def: $vgpr4
	s_branch .LBB31_163
.LBB31_37:
	s_mov_b64 s[8:9], -1
	s_mov_b64 s[2:3], 0
	s_mov_b64 s[6:7], 0
	s_branch .LBB31_75
.LBB31_38:
	s_mov_b64 s[6:7], -1
	s_mov_b64 s[4:5], 0
	s_mov_b64 s[2:3], 0
                                        ; implicit-def: $vgpr4
	s_branch .LBB31_158
.LBB31_39:
	s_mov_b64 s[8:9], -1
	s_mov_b64 s[2:3], 0
	s_mov_b64 s[6:7], 0
	s_branch .LBB31_58
.LBB31_40:
	s_mov_b64 s[6:7], -1
	s_mov_b64 s[4:5], 0
	s_branch .LBB31_43
.LBB31_41:
	s_mov_b64 s[8:9], -1
	s_mov_b64 s[2:3], 0
	s_mov_b64 s[6:7], 0
	s_branch .LBB31_54
.LBB31_42:
	s_mov_b64 s[4:5], -1
.LBB31_43:
	s_mov_b64 s[2:3], 0
                                        ; implicit-def: $vgpr4
.LBB31_44:
	s_and_b64 vcc, exec, s[6:7]
	s_cbranch_vccz .LBB31_157
; %bb.45:
	s_cmp_eq_u32 s8, 44
	s_cbranch_scc0 .LBB31_156
; %bb.46:
	global_load_ubyte v1, v[2:3], off
	s_mov_b64 s[2:3], -1
	s_mov_b64 s[4:5], 0
	s_waitcnt vmcnt(0)
	v_lshlrev_b32_e32 v4, 23, v1
	v_cvt_i32_f32_e32 v4, v4
	v_cmp_ne_u32_e32 vcc, 0, v1
	s_nop 1
	v_cndmask_b32_e32 v4, 0, v4, vcc
	s_branch .LBB31_157
.LBB31_47:
	s_mov_b64 s[8:9], -1
	s_mov_b64 s[2:3], 0
	s_mov_b64 s[6:7], 0
.LBB31_48:
	s_and_b64 vcc, exec, s[8:9]
	s_cbranch_vccz .LBB31_53
; %bb.49:
	s_cmp_eq_u32 s13, 44
	s_mov_b64 s[2:3], -1
	s_cbranch_scc0 .LBB31_53
; %bb.50:
	v_cvt_f32_i32_e32 v3, v2
	s_movk_i32 s2, 0xff
	v_mov_b32_e32 v6, 0xff
	v_bfe_u32 v5, v3, 23, 8
	v_cmp_ne_u32_e32 vcc, s2, v5
	s_and_saveexec_b64 s[6:7], vcc
; %bb.51:
	s_mov_b32 s2, 0x3fffff
	v_lshrrev_b32_e32 v6, 23, v3
	v_and_b32_e32 v7, 0x400000, v3
	v_and_or_b32 v3, v3, s2, v5
	v_cmp_ne_u32_e32 vcc, 0, v7
	v_cmp_ne_u32_e64 s[2:3], 0, v3
	s_and_b64 s[2:3], vcc, s[2:3]
	s_nop 0
	v_cndmask_b32_e64 v3, 0, 1, s[2:3]
	v_add_u32_e32 v6, v6, v3
; %bb.52:
	s_or_b64 exec, exec, s[6:7]
	s_mov_b64 s[6:7], -1
	s_mov_b64 s[2:3], 0
	global_store_byte v[0:1], v6, off
.LBB31_53:
	s_mov_b64 s[8:9], 0
.LBB31_54:
	s_and_b64 vcc, exec, s[8:9]
	s_cbranch_vccz .LBB31_57
; %bb.55:
	s_cmp_eq_u32 s13, 29
	s_mov_b64 s[2:3], -1
	s_cbranch_scc0 .LBB31_57
; %bb.56:
	v_ashrrev_i32_e32 v3, 31, v2
	global_store_dwordx2 v[0:1], v[2:3], off
	s_mov_b64 s[6:7], -1
	s_mov_b64 s[2:3], 0
.LBB31_57:
	s_mov_b64 s[8:9], 0
.LBB31_58:
	s_and_b64 vcc, exec, s[8:9]
	s_cbranch_vccz .LBB31_74
; %bb.59:
	s_cmp_lt_i32 s13, 27
	s_mov_b64 s[6:7], -1
	s_cbranch_scc1 .LBB31_65
; %bb.60:
	s_cmp_gt_i32 s13, 27
	s_cbranch_scc0 .LBB31_62
; %bb.61:
	s_mov_b64 s[6:7], 0
	global_store_dword v[0:1], v2, off
.LBB31_62:
	s_andn2_b64 vcc, exec, s[6:7]
	s_cbranch_vccnz .LBB31_64
; %bb.63:
	global_store_short v[0:1], v2, off
.LBB31_64:
	s_mov_b64 s[6:7], 0
.LBB31_65:
	s_andn2_b64 vcc, exec, s[6:7]
	s_cbranch_vccnz .LBB31_73
; %bb.66:
	v_cvt_f32_i32_e32 v3, v2
	s_mov_b32 s6, 0x43800000
	v_mov_b32_e32 v6, 0x80
	v_and_b32_e32 v5, 0x7fffffff, v3
	v_cmp_gt_u32_e32 vcc, s6, v5
	s_and_saveexec_b64 s[6:7], vcc
	s_cbranch_execz .LBB31_72
; %bb.67:
	s_mov_b32 s8, 0x3bffffff
	v_cmp_lt_u32_e32 vcc, s8, v5
	s_mov_b64 s[8:9], 0
                                        ; implicit-def: $vgpr5
	s_and_saveexec_b64 s[10:11], vcc
	s_xor_b64 s[10:11], exec, s[10:11]
	s_cbranch_execz .LBB31_305
; %bb.68:
	v_bfe_u32 v5, v3, 20, 1
	s_mov_b32 s14, 0x487ffff
	v_add3_u32 v5, v3, v5, s14
	s_mov_b64 s[8:9], exec
	v_lshrrev_b32_e32 v5, 20, v5
	s_andn2_saveexec_b64 s[10:11], s[10:11]
	s_cbranch_execnz .LBB31_306
.LBB31_69:
	s_or_b64 exec, exec, s[10:11]
	v_mov_b32_e32 v6, 0
	s_and_saveexec_b64 s[10:11], s[8:9]
.LBB31_70:
	v_lshrrev_b32_e32 v3, 24, v3
	s_movk_i32 s8, 0x80
	v_and_or_b32 v6, v3, s8, v5
.LBB31_71:
	s_or_b64 exec, exec, s[10:11]
.LBB31_72:
	s_or_b64 exec, exec, s[6:7]
	global_store_byte v[0:1], v6, off
.LBB31_73:
	s_mov_b64 s[6:7], -1
.LBB31_74:
	s_mov_b64 s[8:9], 0
.LBB31_75:
	s_and_b64 vcc, exec, s[8:9]
	s_cbranch_vccz .LBB31_116
; %bb.76:
	s_cmp_gt_i32 s13, 22
	s_mov_b64 s[8:9], -1
	s_cbranch_scc0 .LBB31_108
; %bb.77:
	s_cmp_lt_i32 s13, 24
	s_mov_b64 s[6:7], -1
	s_cbranch_scc1 .LBB31_97
; %bb.78:
	s_cmp_gt_i32 s13, 24
	s_cbranch_scc0 .LBB31_86
; %bb.79:
	v_cvt_f32_i32_e32 v3, v2
	s_mov_b32 s6, 0x47800000
	v_mov_b32_e32 v6, 0x80
	v_and_b32_e32 v5, 0x7fffffff, v3
	v_cmp_gt_u32_e32 vcc, s6, v5
	s_and_saveexec_b64 s[6:7], vcc
	s_cbranch_execz .LBB31_85
; %bb.80:
	s_mov_b32 s8, 0x37ffffff
	v_cmp_lt_u32_e32 vcc, s8, v5
	s_mov_b64 s[8:9], 0
                                        ; implicit-def: $vgpr5
	s_and_saveexec_b64 s[10:11], vcc
	s_xor_b64 s[10:11], exec, s[10:11]
	s_cbranch_execz .LBB31_309
; %bb.81:
	v_bfe_u32 v5, v3, 21, 1
	s_mov_b32 s14, 0x88fffff
	v_add3_u32 v5, v3, v5, s14
	s_mov_b64 s[8:9], exec
	v_lshrrev_b32_e32 v5, 21, v5
	s_andn2_saveexec_b64 s[10:11], s[10:11]
	s_cbranch_execnz .LBB31_310
.LBB31_82:
	s_or_b64 exec, exec, s[10:11]
	v_mov_b32_e32 v6, 0
	s_and_saveexec_b64 s[10:11], s[8:9]
.LBB31_83:
	v_lshrrev_b32_e32 v3, 24, v3
	s_movk_i32 s8, 0x80
	v_and_or_b32 v6, v3, s8, v5
.LBB31_84:
	s_or_b64 exec, exec, s[10:11]
.LBB31_85:
	s_or_b64 exec, exec, s[6:7]
	s_mov_b64 s[6:7], 0
	global_store_byte v[0:1], v6, off
.LBB31_86:
	s_and_b64 vcc, exec, s[6:7]
	s_cbranch_vccz .LBB31_96
; %bb.87:
	v_cvt_f32_i32_e32 v3, v2
	s_mov_b32 s6, 0x43f00000
                                        ; implicit-def: $vgpr5
	v_and_b32_e32 v6, 0x7fffffff, v3
	v_cmp_gt_u32_e32 vcc, s6, v6
	s_and_saveexec_b64 s[6:7], vcc
	s_xor_b64 s[6:7], exec, s[6:7]
	s_cbranch_execz .LBB31_93
; %bb.88:
	s_mov_b32 s8, 0x3c7fffff
	v_cmp_lt_u32_e32 vcc, s8, v6
                                        ; implicit-def: $vgpr5
	s_and_saveexec_b64 s[8:9], vcc
	s_xor_b64 s[8:9], exec, s[8:9]
; %bb.89:
	v_bfe_u32 v5, v3, 20, 1
	s_mov_b32 s10, 0x407ffff
	v_add3_u32 v5, v3, v5, s10
	v_lshrrev_b32_e32 v6, 20, v5
	v_and_b32_e32 v5, 0xff00000, v5
	s_mov_b32 s10, 0x7f00000
	v_mov_b32_e32 v7, 0x7e
	v_cmp_ne_u32_e32 vcc, s10, v5
	s_nop 1
	v_cndmask_b32_e32 v5, v7, v6, vcc
; %bb.90:
	s_andn2_saveexec_b64 s[8:9], s[8:9]
; %bb.91:
	s_mov_b32 s10, 0x46800000
	v_add_f32_e64 v5, |v3|, s10
; %bb.92:
	s_or_b64 exec, exec, s[8:9]
                                        ; implicit-def: $vgpr6
.LBB31_93:
	s_andn2_saveexec_b64 s[6:7], s[6:7]
; %bb.94:
	s_mov_b32 s8, 0x7f800000
	v_mov_b32_e32 v5, 0x7e
	v_mov_b32_e32 v7, 0x7f
	v_cmp_lt_u32_e32 vcc, s8, v6
	s_nop 1
	v_cndmask_b32_e32 v5, v5, v7, vcc
; %bb.95:
	s_or_b64 exec, exec, s[6:7]
	v_lshrrev_b32_e32 v3, 24, v3
	s_movk_i32 s6, 0x80
	v_and_or_b32 v3, v3, s6, v5
	global_store_byte v[0:1], v3, off
.LBB31_96:
	s_mov_b64 s[6:7], 0
.LBB31_97:
	s_andn2_b64 vcc, exec, s[6:7]
	s_cbranch_vccnz .LBB31_107
; %bb.98:
	v_cvt_f32_i32_e32 v3, v2
	s_mov_b32 s6, 0x47800000
                                        ; implicit-def: $vgpr5
	v_and_b32_e32 v6, 0x7fffffff, v3
	v_cmp_gt_u32_e32 vcc, s6, v6
	s_and_saveexec_b64 s[6:7], vcc
	s_xor_b64 s[6:7], exec, s[6:7]
	s_cbranch_execz .LBB31_104
; %bb.99:
	s_mov_b32 s8, 0x387fffff
	v_cmp_lt_u32_e32 vcc, s8, v6
                                        ; implicit-def: $vgpr5
	s_and_saveexec_b64 s[8:9], vcc
	s_xor_b64 s[8:9], exec, s[8:9]
; %bb.100:
	v_bfe_u32 v5, v3, 21, 1
	s_mov_b32 s10, 0x80fffff
	v_add3_u32 v5, v3, v5, s10
	v_lshrrev_b32_e32 v5, 21, v5
; %bb.101:
	s_andn2_saveexec_b64 s[8:9], s[8:9]
; %bb.102:
	s_mov_b32 s10, 0x43000000
	v_add_f32_e64 v5, |v3|, s10
; %bb.103:
	s_or_b64 exec, exec, s[8:9]
                                        ; implicit-def: $vgpr6
.LBB31_104:
	s_andn2_saveexec_b64 s[6:7], s[6:7]
; %bb.105:
	s_mov_b32 s8, 0x7f800000
	v_mov_b32_e32 v5, 0x7c
	v_mov_b32_e32 v7, 0x7f
	v_cmp_lt_u32_e32 vcc, s8, v6
	s_nop 1
	v_cndmask_b32_e32 v5, v5, v7, vcc
; %bb.106:
	s_or_b64 exec, exec, s[6:7]
	v_lshrrev_b32_e32 v3, 24, v3
	s_movk_i32 s6, 0x80
	v_and_or_b32 v3, v3, s6, v5
	global_store_byte v[0:1], v3, off
.LBB31_107:
	s_mov_b64 s[8:9], 0
	s_mov_b64 s[6:7], -1
.LBB31_108:
	s_andn2_b64 vcc, exec, s[8:9]
	s_cbranch_vccnz .LBB31_116
; %bb.109:
	s_cmp_gt_i32 s13, 14
	s_mov_b64 s[8:9], -1
	s_cbranch_scc0 .LBB31_113
; %bb.110:
	s_cmp_eq_u32 s13, 15
	s_mov_b64 s[2:3], -1
	s_cbranch_scc0 .LBB31_112
; %bb.111:
	v_cvt_f32_i32_e32 v3, v2
	s_movk_i32 s2, 0x7fff
	s_mov_b64 s[6:7], -1
	v_bfe_u32 v5, v3, 16, 1
	v_add3_u32 v3, v3, v5, s2
	global_store_short_d16_hi v[0:1], v3, off
	s_mov_b64 s[2:3], 0
.LBB31_112:
	s_mov_b64 s[8:9], 0
.LBB31_113:
	s_and_b64 vcc, exec, s[8:9]
	s_cbranch_vccz .LBB31_116
; %bb.114:
	s_cmp_eq_u32 s13, 11
	s_mov_b64 s[2:3], -1
	s_cbranch_scc0 .LBB31_116
; %bb.115:
	v_cmp_ne_u32_e32 vcc, -1, v4
	s_mov_b64 s[6:7], -1
	s_mov_b64 s[2:3], 0
	v_cndmask_b32_e64 v3, 0, 1, vcc
	global_store_byte v[0:1], v3, off
.LBB31_116:
	s_branch .LBB31_35
.LBB31_117:
	s_and_b32 s8, 0xffff, s12
	s_cmp_lt_i32 s8, 5
	s_mov_b64 s[6:7], -1
	s_cbranch_scc1 .LBB31_138
; %bb.118:
	s_cmp_lt_i32 s8, 8
	s_cbranch_scc1 .LBB31_128
; %bb.119:
	s_cmp_lt_i32 s8, 9
	s_cbranch_scc1 .LBB31_125
; %bb.120:
	s_cmp_gt_i32 s8, 9
	s_cbranch_scc0 .LBB31_122
; %bb.121:
	v_mov_b32_e32 v6, 0
	v_cvt_f64_i32_e32 v[4:5], v2
	v_mov_b32_e32 v7, v6
	global_store_dwordx4 v[0:1], v[4:7], off
	s_mov_b64 s[6:7], 0
.LBB31_122:
	s_andn2_b64 vcc, exec, s[6:7]
	s_cbranch_vccnz .LBB31_124
; %bb.123:
	v_cvt_f32_i32_e32 v4, v2
	v_mov_b32_e32 v5, 0
	global_store_dwordx2 v[0:1], v[4:5], off
.LBB31_124:
	s_mov_b64 s[6:7], 0
.LBB31_125:
	s_andn2_b64 vcc, exec, s[6:7]
	s_cbranch_vccnz .LBB31_127
; %bb.126:
	v_cvt_f32_i32_e32 v3, v2
	v_cvt_f16_f32_e32 v3, v3
	global_store_dword v[0:1], v3, off
.LBB31_127:
	s_mov_b64 s[6:7], 0
.LBB31_128:
	s_andn2_b64 vcc, exec, s[6:7]
	s_cbranch_vccnz .LBB31_137
; %bb.129:
	s_cmp_lt_i32 s8, 6
	s_mov_b64 s[6:7], -1
	s_cbranch_scc1 .LBB31_135
; %bb.130:
	s_cmp_gt_i32 s8, 6
	s_cbranch_scc0 .LBB31_132
; %bb.131:
	v_cvt_f64_i32_e32 v[4:5], v2
	global_store_dwordx2 v[0:1], v[4:5], off
	s_mov_b64 s[6:7], 0
.LBB31_132:
	s_andn2_b64 vcc, exec, s[6:7]
	s_cbranch_vccnz .LBB31_134
; %bb.133:
	v_cvt_f32_i32_e32 v3, v2
	global_store_dword v[0:1], v3, off
.LBB31_134:
	s_mov_b64 s[6:7], 0
.LBB31_135:
	s_andn2_b64 vcc, exec, s[6:7]
	s_cbranch_vccnz .LBB31_137
; %bb.136:
	v_cvt_f32_i32_e32 v3, v2
	v_cvt_f16_f32_e32 v3, v3
	global_store_short v[0:1], v3, off
.LBB31_137:
	s_mov_b64 s[6:7], 0
.LBB31_138:
	s_andn2_b64 vcc, exec, s[6:7]
	s_cbranch_vccnz .LBB31_154
; %bb.139:
	s_cmp_lt_i32 s8, 2
	s_mov_b64 s[6:7], -1
	s_cbranch_scc1 .LBB31_149
; %bb.140:
	s_cmp_lt_i32 s8, 3
	s_cbranch_scc1 .LBB31_146
; %bb.141:
	s_cmp_gt_i32 s8, 3
	s_cbranch_scc0 .LBB31_143
; %bb.142:
	v_ashrrev_i32_e32 v3, 31, v2
	global_store_dwordx2 v[0:1], v[2:3], off
	s_mov_b64 s[6:7], 0
.LBB31_143:
	s_andn2_b64 vcc, exec, s[6:7]
	s_cbranch_vccnz .LBB31_145
; %bb.144:
	global_store_dword v[0:1], v2, off
.LBB31_145:
	s_mov_b64 s[6:7], 0
.LBB31_146:
	s_andn2_b64 vcc, exec, s[6:7]
	s_cbranch_vccnz .LBB31_148
; %bb.147:
	global_store_short v[0:1], v2, off
.LBB31_148:
	s_mov_b64 s[6:7], 0
.LBB31_149:
	s_andn2_b64 vcc, exec, s[6:7]
	s_cbranch_vccnz .LBB31_154
; %bb.150:
	s_cmp_gt_i32 s8, 0
	s_mov_b64 s[6:7], -1
	s_cbranch_scc0 .LBB31_152
; %bb.151:
	global_store_byte v[0:1], v2, off
	s_mov_b64 s[6:7], 0
.LBB31_152:
	s_andn2_b64 vcc, exec, s[6:7]
	s_cbranch_vccnz .LBB31_154
; %bb.153:
	global_store_byte v[0:1], v2, off
.LBB31_154:
.LBB31_155:
	v_add_u32_e32 v8, 0x80, v8
	s_mov_b64 s[6:7], -1
	s_branch .LBB31_262
.LBB31_156:
	s_mov_b64 s[4:5], -1
                                        ; implicit-def: $vgpr4
.LBB31_157:
	s_mov_b64 s[6:7], 0
.LBB31_158:
	s_and_b64 vcc, exec, s[6:7]
	s_cbranch_vccz .LBB31_162
; %bb.159:
	s_cmp_eq_u32 s8, 29
	s_cbranch_scc0 .LBB31_161
; %bb.160:
	global_load_dword v4, v[2:3], off
	s_mov_b64 s[2:3], -1
	s_mov_b64 s[4:5], 0
	s_branch .LBB31_162
.LBB31_161:
	s_mov_b64 s[4:5], -1
                                        ; implicit-def: $vgpr4
.LBB31_162:
	s_mov_b64 s[6:7], 0
.LBB31_163:
	s_and_b64 vcc, exec, s[6:7]
	s_cbranch_vccz .LBB31_179
; %bb.164:
	s_cmp_lt_i32 s8, 27
	s_cbranch_scc1 .LBB31_167
; %bb.165:
	s_cmp_gt_i32 s8, 27
	s_cbranch_scc0 .LBB31_168
; %bb.166:
	global_load_dword v4, v[2:3], off
	s_mov_b64 s[2:3], 0
	s_branch .LBB31_169
.LBB31_167:
	s_mov_b64 s[2:3], -1
                                        ; implicit-def: $vgpr4
	s_branch .LBB31_172
.LBB31_168:
	s_mov_b64 s[2:3], -1
                                        ; implicit-def: $vgpr4
.LBB31_169:
	s_andn2_b64 vcc, exec, s[2:3]
	s_cbranch_vccnz .LBB31_171
; %bb.170:
	global_load_ushort v4, v[2:3], off
.LBB31_171:
	s_mov_b64 s[2:3], 0
.LBB31_172:
	s_andn2_b64 vcc, exec, s[2:3]
	s_cbranch_vccnz .LBB31_178
; %bb.173:
	global_load_ubyte v1, v[2:3], off
	s_movk_i32 s2, 0x7f
	s_mov_b64 s[6:7], 0
	s_waitcnt vmcnt(0)
	v_cmp_lt_i16_e32 vcc, s2, v1
	s_and_saveexec_b64 s[2:3], vcc
	s_xor_b64 s[2:3], exec, s[2:3]
	s_cbranch_execz .LBB31_189
; %bb.174:
	s_movk_i32 s6, 0x80
	v_cmp_ne_u16_e32 vcc, s6, v1
	s_and_b64 s[6:7], vcc, exec
	s_andn2_saveexec_b64 s[2:3], s[2:3]
	s_cbranch_execnz .LBB31_190
.LBB31_175:
	s_or_b64 exec, exec, s[2:3]
	v_mov_b32_e32 v4, 0
	s_and_saveexec_b64 s[2:3], s[6:7]
	s_cbranch_execz .LBB31_177
.LBB31_176:
	v_lshlrev_b32_e32 v4, 24, v1
	v_and_b32_e32 v1, 0xffff, v1
	v_and_b32_e32 v5, 7, v1
	v_ffbh_u32_e32 v7, v5
	v_min_u32_e32 v7, 32, v7
	v_subrev_u32_e32 v9, 28, v7
	v_bfe_u32 v6, v1, 3, 4
	v_lshlrev_b32_e32 v1, v9, v1
	v_sub_u32_e32 v7, 29, v7
	v_and_b32_e32 v1, 7, v1
	v_cmp_eq_u32_e32 vcc, 0, v6
	v_and_b32_e32 v4, 0x80000000, v4
	s_nop 0
	v_cndmask_b32_e32 v6, v6, v7, vcc
	v_cndmask_b32_e32 v1, v5, v1, vcc
	v_mov_b32_e32 v5, 0x3b800000
	v_lshlrev_b32_e32 v1, 20, v1
	v_lshl_add_u32 v5, v6, 23, v5
	v_or3_b32 v1, v4, v5, v1
	v_cvt_i32_f32_e32 v4, v1
.LBB31_177:
	s_or_b64 exec, exec, s[2:3]
.LBB31_178:
	s_mov_b64 s[2:3], -1
.LBB31_179:
	s_branch .LBB31_212
.LBB31_180:
	s_cmp_gt_i32 s8, 22
	s_cbranch_scc0 .LBB31_188
; %bb.181:
	s_cmp_lt_i32 s8, 24
	s_cbranch_scc1 .LBB31_191
; %bb.182:
	s_cmp_gt_i32 s8, 24
	s_cbranch_scc0 .LBB31_192
; %bb.183:
	global_load_ubyte v1, v[2:3], off
	s_movk_i32 s2, 0x7f
	s_mov_b64 s[6:7], 0
	s_waitcnt vmcnt(0)
	v_cmp_lt_i16_e32 vcc, s2, v1
	s_and_saveexec_b64 s[2:3], vcc
	s_xor_b64 s[2:3], exec, s[2:3]
	s_cbranch_execz .LBB31_204
; %bb.184:
	s_movk_i32 s6, 0x80
	v_cmp_ne_u16_e32 vcc, s6, v1
	s_and_b64 s[6:7], vcc, exec
	s_andn2_saveexec_b64 s[2:3], s[2:3]
	s_cbranch_execnz .LBB31_205
.LBB31_185:
	s_or_b64 exec, exec, s[2:3]
	v_mov_b32_e32 v4, 0
	s_and_saveexec_b64 s[2:3], s[6:7]
	s_cbranch_execz .LBB31_187
.LBB31_186:
	v_lshlrev_b32_e32 v4, 24, v1
	v_and_b32_e32 v1, 0xffff, v1
	v_and_b32_e32 v5, 3, v1
	v_ffbh_u32_e32 v7, v5
	v_min_u32_e32 v7, 32, v7
	v_subrev_u32_e32 v9, 29, v7
	v_bfe_u32 v6, v1, 2, 5
	v_lshlrev_b32_e32 v1, v9, v1
	v_sub_u32_e32 v7, 30, v7
	v_and_b32_e32 v1, 3, v1
	v_cmp_eq_u32_e32 vcc, 0, v6
	v_and_b32_e32 v4, 0x80000000, v4
	s_nop 0
	v_cndmask_b32_e32 v6, v6, v7, vcc
	v_cndmask_b32_e32 v1, v5, v1, vcc
	v_mov_b32_e32 v5, 0x37800000
	v_lshlrev_b32_e32 v1, 21, v1
	v_lshl_add_u32 v5, v6, 23, v5
	v_or3_b32 v1, v4, v5, v1
	v_cvt_i32_f32_e32 v4, v1
.LBB31_187:
	s_or_b64 exec, exec, s[2:3]
	s_mov_b64 s[2:3], 0
	s_branch .LBB31_193
.LBB31_188:
	s_mov_b64 s[6:7], -1
                                        ; implicit-def: $vgpr4
	s_branch .LBB31_199
.LBB31_189:
	s_andn2_saveexec_b64 s[2:3], s[2:3]
	s_cbranch_execz .LBB31_175
.LBB31_190:
	v_cmp_ne_u16_e32 vcc, 0, v1
	s_andn2_b64 s[6:7], s[6:7], exec
	s_and_b64 s[10:11], vcc, exec
	s_or_b64 s[6:7], s[6:7], s[10:11]
	s_or_b64 exec, exec, s[2:3]
	v_mov_b32_e32 v4, 0
	s_and_saveexec_b64 s[2:3], s[6:7]
	s_cbranch_execnz .LBB31_176
	s_branch .LBB31_177
.LBB31_191:
	s_mov_b64 s[2:3], -1
                                        ; implicit-def: $vgpr4
	s_branch .LBB31_196
.LBB31_192:
	s_mov_b64 s[2:3], -1
                                        ; implicit-def: $vgpr4
.LBB31_193:
	s_and_b64 vcc, exec, s[2:3]
	s_cbranch_vccz .LBB31_195
; %bb.194:
	global_load_ubyte v1, v[2:3], off
	s_mov_b32 s2, 0x7f800000
	s_waitcnt vmcnt(0)
	v_lshlrev_b32_e32 v1, 24, v1
	v_and_b32_e32 v4, 0x7f000000, v1
	v_ffbh_u32_e32 v5, v4
	v_min_u32_e32 v5, 32, v5
	v_sub_u32_e64 v5, v5, 4 clamp
	v_lshlrev_b32_e32 v7, v5, v4
	v_lshlrev_b32_e32 v5, 23, v5
	v_lshrrev_b32_e32 v7, 4, v7
	v_add_u32_e32 v6, 0x1000000, v4
	v_sub_u32_e32 v5, v7, v5
	v_ashrrev_i32_e32 v6, 8, v6
	v_add_u32_e32 v5, 0x3c000000, v5
	v_and_or_b32 v5, v6, s2, v5
	v_cmp_ne_u32_e32 vcc, 0, v4
	s_brev_b32 s2, 1
	s_nop 0
	v_cndmask_b32_e32 v4, 0, v5, vcc
	v_and_or_b32 v1, v1, s2, v4
	v_cvt_i32_f32_e32 v4, v1
.LBB31_195:
	s_mov_b64 s[2:3], 0
.LBB31_196:
	s_andn2_b64 vcc, exec, s[2:3]
	s_cbranch_vccnz .LBB31_198
; %bb.197:
	global_load_ubyte v1, v[2:3], off
	s_movk_i32 s2, 0x7f00
	s_brev_b32 s3, 16
	s_waitcnt vmcnt(0)
	v_lshlrev_b16_e32 v4, 8, v1
	v_lshlrev_b32_e32 v1, 25, v1
	v_lshrrev_b32_e32 v5, 4, v1
	v_and_or_b32 v6, v4, s2, 0.5
	v_or_b32_e32 v5, 0x70000000, v5
	v_add_f32_e32 v6, -0.5, v6
	v_mul_f32_e32 v5, 0x7800000, v5
	v_cmp_gt_u32_e32 vcc, s3, v1
	v_bfe_i32 v4, v4, 0, 16
	s_brev_b32 s2, 1
	v_cndmask_b32_e32 v1, v5, v6, vcc
	v_and_or_b32 v1, v4, s2, v1
	v_cvt_i32_f32_e32 v4, v1
.LBB31_198:
	s_mov_b64 s[6:7], 0
	s_mov_b64 s[2:3], -1
.LBB31_199:
	s_andn2_b64 vcc, exec, s[6:7]
	s_cbranch_vccnz .LBB31_212
; %bb.200:
	s_cmp_gt_i32 s8, 14
	s_cbranch_scc0 .LBB31_203
; %bb.201:
	s_cmp_eq_u32 s8, 15
	s_cbranch_scc0 .LBB31_206
; %bb.202:
	global_load_ushort v1, v[2:3], off
	s_mov_b64 s[2:3], -1
	s_mov_b64 s[4:5], 0
	s_waitcnt vmcnt(0)
	v_lshlrev_b32_e32 v1, 16, v1
	v_cvt_i32_f32_e32 v4, v1
	s_branch .LBB31_207
.LBB31_203:
	s_mov_b64 s[6:7], -1
                                        ; implicit-def: $vgpr4
	s_branch .LBB31_208
.LBB31_204:
	s_andn2_saveexec_b64 s[2:3], s[2:3]
	s_cbranch_execz .LBB31_185
.LBB31_205:
	v_cmp_ne_u16_e32 vcc, 0, v1
	s_andn2_b64 s[6:7], s[6:7], exec
	s_and_b64 s[10:11], vcc, exec
	s_or_b64 s[6:7], s[6:7], s[10:11]
	s_or_b64 exec, exec, s[2:3]
	v_mov_b32_e32 v4, 0
	s_and_saveexec_b64 s[2:3], s[6:7]
	s_cbranch_execnz .LBB31_186
	s_branch .LBB31_187
.LBB31_206:
	s_mov_b64 s[4:5], -1
                                        ; implicit-def: $vgpr4
.LBB31_207:
	s_mov_b64 s[6:7], 0
.LBB31_208:
	s_and_b64 vcc, exec, s[6:7]
	s_cbranch_vccz .LBB31_212
; %bb.209:
	s_cmp_eq_u32 s8, 11
	s_cbranch_scc0 .LBB31_211
; %bb.210:
	global_load_ubyte v1, v[2:3], off
	s_mov_b64 s[2:3], -1
	s_mov_b64 s[4:5], 0
	s_waitcnt vmcnt(0)
	v_cmp_ne_u16_e32 vcc, 0, v1
	s_nop 1
	v_cndmask_b32_e64 v4, 0, 1, vcc
	s_branch .LBB31_212
.LBB31_211:
	s_mov_b64 s[4:5], -1
                                        ; implicit-def: $vgpr4
.LBB31_212:
	s_branch .LBB31_25
.LBB31_213:
	s_cmp_lt_i32 s8, 5
	s_cbranch_scc1 .LBB31_218
; %bb.214:
	s_cmp_lt_i32 s8, 8
	s_cbranch_scc1 .LBB31_219
; %bb.215:
	;; [unrolled: 3-line block ×3, first 2 shown]
	s_cmp_gt_i32 s8, 9
	s_cbranch_scc0 .LBB31_221
; %bb.217:
	global_load_dwordx2 v[4:5], v[2:3], off
	s_mov_b64 s[2:3], 0
	s_waitcnt vmcnt(0)
	v_cvt_i32_f64_e32 v4, v[4:5]
	s_branch .LBB31_222
.LBB31_218:
                                        ; implicit-def: $vgpr4
	s_branch .LBB31_240
.LBB31_219:
	s_mov_b64 s[2:3], -1
                                        ; implicit-def: $vgpr4
	s_branch .LBB31_228
.LBB31_220:
	s_mov_b64 s[2:3], -1
                                        ; implicit-def: $vgpr4
	s_branch .LBB31_225
.LBB31_221:
	s_mov_b64 s[2:3], -1
                                        ; implicit-def: $vgpr4
.LBB31_222:
	s_andn2_b64 vcc, exec, s[2:3]
	s_cbranch_vccnz .LBB31_224
; %bb.223:
	global_load_dword v1, v[2:3], off
	s_waitcnt vmcnt(0)
	v_cvt_i32_f32_e32 v4, v1
.LBB31_224:
	s_mov_b64 s[2:3], 0
.LBB31_225:
	s_andn2_b64 vcc, exec, s[2:3]
	s_cbranch_vccnz .LBB31_227
; %bb.226:
	global_load_dword v1, v[2:3], off
	s_waitcnt vmcnt(0)
	v_cvt_f32_f16_e32 v1, v1
	v_cvt_i32_f32_e32 v4, v1
.LBB31_227:
	s_mov_b64 s[2:3], 0
.LBB31_228:
	s_andn2_b64 vcc, exec, s[2:3]
	s_cbranch_vccnz .LBB31_239
; %bb.229:
	s_cmp_lt_i32 s8, 6
	s_cbranch_scc1 .LBB31_232
; %bb.230:
	s_cmp_gt_i32 s8, 6
	s_cbranch_scc0 .LBB31_233
; %bb.231:
	global_load_dwordx2 v[4:5], v[2:3], off
	s_mov_b64 s[2:3], 0
	s_waitcnt vmcnt(0)
	v_cvt_i32_f64_e32 v4, v[4:5]
	s_branch .LBB31_234
.LBB31_232:
	s_mov_b64 s[2:3], -1
                                        ; implicit-def: $vgpr4
	s_branch .LBB31_237
.LBB31_233:
	s_mov_b64 s[2:3], -1
                                        ; implicit-def: $vgpr4
.LBB31_234:
	s_andn2_b64 vcc, exec, s[2:3]
	s_cbranch_vccnz .LBB31_236
; %bb.235:
	global_load_dword v1, v[2:3], off
	s_waitcnt vmcnt(0)
	v_cvt_i32_f32_e32 v4, v1
.LBB31_236:
	s_mov_b64 s[2:3], 0
.LBB31_237:
	s_andn2_b64 vcc, exec, s[2:3]
	s_cbranch_vccnz .LBB31_239
; %bb.238:
	global_load_ushort v1, v[2:3], off
	s_waitcnt vmcnt(0)
	v_cvt_f32_f16_e32 v1, v1
	v_cvt_i32_f32_e32 v4, v1
.LBB31_239:
	s_cbranch_execnz .LBB31_259
.LBB31_240:
	s_cmp_lt_i32 s8, 2
	s_cbranch_scc1 .LBB31_244
; %bb.241:
	s_cmp_lt_i32 s8, 3
	s_cbranch_scc1 .LBB31_245
; %bb.242:
	s_cmp_gt_i32 s8, 3
	s_cbranch_scc0 .LBB31_246
; %bb.243:
	global_load_dword v4, v[2:3], off
	s_mov_b64 s[2:3], 0
	s_branch .LBB31_247
.LBB31_244:
	s_mov_b64 s[2:3], -1
                                        ; implicit-def: $vgpr4
	s_branch .LBB31_253
.LBB31_245:
	s_mov_b64 s[2:3], -1
                                        ; implicit-def: $vgpr4
	s_branch .LBB31_250
.LBB31_246:
	s_mov_b64 s[2:3], -1
                                        ; implicit-def: $vgpr4
.LBB31_247:
	s_andn2_b64 vcc, exec, s[2:3]
	s_cbranch_vccnz .LBB31_249
; %bb.248:
	global_load_dword v4, v[2:3], off
.LBB31_249:
	s_mov_b64 s[2:3], 0
.LBB31_250:
	s_andn2_b64 vcc, exec, s[2:3]
	s_cbranch_vccnz .LBB31_252
; %bb.251:
	global_load_sshort v4, v[2:3], off
.LBB31_252:
	s_mov_b64 s[2:3], 0
.LBB31_253:
	s_andn2_b64 vcc, exec, s[2:3]
	s_cbranch_vccnz .LBB31_259
; %bb.254:
	s_cmp_gt_i32 s8, 0
	s_cbranch_scc0 .LBB31_256
; %bb.255:
	global_load_sbyte v4, v[2:3], off
	s_mov_b64 s[2:3], 0
	s_branch .LBB31_257
.LBB31_256:
	s_mov_b64 s[2:3], -1
                                        ; implicit-def: $vgpr4
.LBB31_257:
	s_andn2_b64 vcc, exec, s[2:3]
	s_cbranch_vccnz .LBB31_259
; %bb.258:
	global_load_ubyte v4, v[2:3], off
.LBB31_259:
	s_branch .LBB31_26
.LBB31_260:
	s_mov_b64 s[2:3], 0
.LBB31_261:
	s_mov_b64 s[6:7], 0
                                        ; implicit-def: $vgpr8
.LBB31_262:
	s_and_b64 s[54:55], s[2:3], exec
	s_and_b64 s[56:57], s[4:5], exec
	s_orn2_b64 s[4:5], s[6:7], exec
.LBB31_263:
	s_or_b64 exec, exec, s[58:59]
	s_mov_b64 s[8:9], 0
	s_mov_b64 s[2:3], 0
                                        ; implicit-def: $vgpr2_vgpr3
                                        ; implicit-def: $vgpr0
                                        ; implicit-def: $vgpr6
	s_and_saveexec_b64 s[58:59], s[4:5]
	s_cbranch_execz .LBB31_271
; %bb.264:
	v_cmp_gt_i32_e32 vcc, s70, v8
	s_mov_b64 s[2:3], -1
	s_mov_b64 s[60:61], s[56:57]
	s_mov_b64 s[62:63], s[54:55]
	s_and_saveexec_b64 s[64:65], vcc
	s_cbranch_execz .LBB31_536
; %bb.265:
	s_andn2_b64 vcc, exec, s[42:43]
	s_cbranch_vccnz .LBB31_274
; %bb.266:
	s_andn2_b64 vcc, exec, s[52:53]
	s_cbranch_vccnz .LBB31_275
; %bb.267:
	s_add_i32 s63, s75, 1
	s_cmp_eq_u32 s72, 2
	s_cbranch_scc1 .LBB31_276
; %bb.268:
	s_and_b32 s62, s63, 28
	s_mov_b32 s66, 0
	v_mov_b32_e32 v0, 0
	v_mov_b32_e32 v2, 0
	s_mov_b64 s[2:3], s[34:35]
	s_mov_b64 s[60:61], s[50:51]
	s_waitcnt vmcnt(0)
	v_mov_b32_e32 v4, v8
.LBB31_269:                             ; =>This Inner Loop Header: Depth=1
	s_load_dwordx8 s[12:19], s[2:3], 0x4
	s_load_dwordx4 s[36:39], s[2:3], 0x24
	s_load_dwordx8 s[4:11], s[60:61], 0x0
	s_add_u32 s2, s2, 48
	s_addc_u32 s3, s3, 0
	s_waitcnt lgkmcnt(0)
	v_mul_hi_u32 v1, s13, v4
	v_add_u32_e32 v1, v4, v1
	v_lshrrev_b32_e32 v1, s14, v1
	v_mul_lo_u32 v3, v1, s12
	v_mul_hi_u32 v5, s16, v1
	v_sub_u32_e32 v3, v4, v3
	v_add_u32_e32 v4, v1, v5
	v_lshrrev_b32_e32 v4, s17, v4
	v_mul_lo_u32 v6, v4, s15
	v_mul_hi_u32 v7, s19, v4
	v_sub_u32_e32 v1, v1, v6
	v_add_u32_e32 v6, v4, v7
	v_mul_lo_u32 v5, v3, s5
	v_mul_lo_u32 v3, v3, s4
	;; [unrolled: 1-line block ×4, first 2 shown]
	v_lshrrev_b32_e32 v6, s36, v6
	v_add3_u32 v0, v3, v0, v1
	v_mul_hi_u32 v3, s38, v6
	v_add3_u32 v1, v5, v2, v7
	v_mul_lo_u32 v2, v6, s18
	v_add_u32_e32 v3, v6, v3
	v_sub_u32_e32 v2, v4, v2
	v_lshrrev_b32_e32 v4, s39, v3
	s_add_i32 s66, s66, 4
	v_mul_lo_u32 v3, v4, s37
	s_add_u32 s60, s60, 32
	v_sub_u32_e32 v3, v6, v3
	s_addc_u32 s61, s61, 0
	v_mul_lo_u32 v5, v2, s8
	v_mul_lo_u32 v2, v2, s9
	;; [unrolled: 1-line block ×4, first 2 shown]
	s_cmp_eq_u32 s62, s66
	v_add3_u32 v2, v2, v1, v3
	v_add3_u32 v0, v5, v0, v6
	s_cbranch_scc0 .LBB31_269
; %bb.270:
	v_mov_b32_e32 v1, v2
	s_branch .LBB31_277
.LBB31_271:
	s_or_b64 exec, exec, s[58:59]
	s_mov_b64 s[4:5], 0
	s_and_saveexec_b64 s[6:7], s[56:57]
	s_cbranch_execnz .LBB31_906
.LBB31_272:
	s_or_b64 exec, exec, s[6:7]
	s_and_saveexec_b64 s[6:7], s[62:63]
	s_xor_b64 s[6:7], exec, s[6:7]
	s_cbranch_execz .LBB31_907
.LBB31_273:
	global_load_ubyte v1, v[2:3], off
	s_or_b64 s[2:3], s[2:3], exec
	s_waitcnt vmcnt(0)
	v_cmp_ne_u16_e32 vcc, 0, v1
	s_nop 1
	v_cndmask_b32_e64 v6, 0, 1, vcc
	s_or_b64 exec, exec, s[6:7]
	s_and_saveexec_b64 s[6:7], s[8:9]
	s_cbranch_execz .LBB31_953
	s_branch .LBB31_908
.LBB31_274:
                                        ; implicit-def: $vgpr2
                                        ; implicit-def: $vgpr0
	s_andn2_b64 vcc, exec, s[2:3]
	s_cbranch_vccz .LBB31_281
	s_branch .LBB31_283
.LBB31_275:
	v_mov_b32_e32 v2, 0
	v_mov_b32_e32 v0, 0
	s_branch .LBB31_280
.LBB31_276:
	v_mov_b32_e32 v0, 0
	s_mov_b32 s62, 0
	v_mov_b32_e32 v1, v0
                                        ; implicit-def: $vgpr2
	s_waitcnt vmcnt(0)
	v_mov_b32_e32 v4, v8
.LBB31_277:
	s_and_b32 s6, s63, 3
	s_cmp_eq_u32 s6, 0
	s_cbranch_scc1 .LBB31_280
; %bb.278:
	s_lshl_b32 s2, s62, 3
	s_add_u32 s2, s34, s2
	s_addc_u32 s3, s35, 0
	s_add_u32 s2, s2, 0xc4
	s_addc_u32 s3, s3, 0
	s_mul_i32 s4, s62, 12
	s_add_u32 s4, s34, s4
	s_addc_u32 s5, s35, 0
.LBB31_279:                             ; =>This Inner Loop Header: Depth=1
	s_load_dwordx2 s[8:9], s[4:5], 0x4
	s_load_dword s7, s[4:5], 0xc
	s_load_dwordx2 s[10:11], s[2:3], 0x0
	v_mov_b32_e32 v2, v1
	s_add_u32 s4, s4, 12
	s_waitcnt lgkmcnt(0)
	v_mul_hi_u32 v1, s9, v4
	v_add_u32_e32 v1, v4, v1
	v_lshrrev_b32_e32 v1, s7, v1
	s_addc_u32 s5, s5, 0
	v_mul_lo_u32 v3, v1, s8
	s_add_u32 s2, s2, 8
	v_sub_u32_e32 v5, v4, v3
	s_addc_u32 s3, s3, 0
	s_add_i32 s6, s6, -1
	v_mov_b32_e32 v4, v1
	v_mad_u64_u32 v[2:3], s[8:9], v5, s11, v[2:3]
	v_mad_u64_u32 v[0:1], s[8:9], v5, s10, v[0:1]
	s_cmp_lg_u32 s6, 0
	v_mov_b32_e32 v1, v2
	s_cbranch_scc1 .LBB31_279
.LBB31_280:
	s_cbranch_execnz .LBB31_283
.LBB31_281:
	s_waitcnt lgkmcnt(0)
	v_mul_hi_u32 v0, s29, v8
	v_add_u32_e32 v0, v8, v0
	v_lshrrev_b32_e32 v1, s30, v0
	v_mul_lo_u32 v0, v1, s28
	v_sub_u32_e32 v0, v8, v0
	v_mul_lo_u32 v2, v0, s25
	s_andn2_b64 vcc, exec, s[48:49]
	v_mul_lo_u32 v0, v0, s24
	s_cbranch_vccnz .LBB31_283
; %bb.282:
	v_mul_hi_u32 v3, s46, v1
	v_add_u32_e32 v3, v1, v3
	v_lshrrev_b32_e32 v3, s47, v3
	v_mul_lo_u32 v3, v3, s31
	v_sub_u32_e32 v3, v1, v3
	v_mad_u64_u32 v[0:1], s[2:3], v3, s26, v[0:1]
	v_mad_u64_u32 v[2:3], s[2:3], v3, s27, v[2:3]
.LBB31_283:
	v_mov_b32_e32 v3, 0
	s_and_b32 s8, 0xffff, s74
	s_cmp_lt_i32 s8, 11
	s_waitcnt lgkmcnt(0)
	v_lshl_add_u64 v[2:3], s[22:23], 0, v[2:3]
	s_cbranch_scc1 .LBB31_290
; %bb.284:
	s_cmp_gt_i32 s8, 25
	s_cbranch_scc0 .LBB31_299
; %bb.285:
	s_cmp_gt_i32 s8, 28
	s_cbranch_scc0 .LBB31_301
	;; [unrolled: 3-line block ×4, first 2 shown]
; %bb.288:
	s_cmp_eq_u32 s8, 46
	s_mov_b64 s[6:7], 0
	s_cbranch_scc0 .LBB31_311
; %bb.289:
	global_load_dword v1, v[2:3], off
	s_mov_b64 s[2:3], -1
	s_mov_b64 s[4:5], 0
	s_waitcnt vmcnt(0)
	v_lshlrev_b32_e32 v1, 16, v1
	v_cvt_i32_f32_e32 v4, v1
	s_branch .LBB31_312
.LBB31_290:
	s_mov_b64 s[2:3], 0
                                        ; implicit-def: $vgpr4
	s_mov_b64 s[4:5], s[56:57]
	s_cbranch_execnz .LBB31_485
.LBB31_291:
	s_andn2_b64 vcc, exec, s[2:3]
	s_cbranch_vccnz .LBB31_533
.LBB31_292:
	v_mov_b32_e32 v1, 0
	s_and_b32 s12, s73, 0xff
	s_waitcnt vmcnt(0)
	v_not_b32_e32 v2, v4
	s_cmp_lt_i32 s12, 11
	v_lshl_add_u64 v[0:1], s[20:21], 0, v[0:1]
	s_cbranch_scc1 .LBB31_300
; %bb.293:
	s_and_b32 s13, 0xffff, s12
	s_cmp_gt_i32 s13, 25
	s_cbranch_scc0 .LBB31_302
; %bb.294:
	s_cmp_gt_i32 s13, 28
	s_cbranch_scc0 .LBB31_304
; %bb.295:
	s_cmp_gt_i32 s13, 43
	s_cbranch_scc0 .LBB31_308
; %bb.296:
	s_cmp_gt_i32 s13, 45
	s_cbranch_scc0 .LBB31_315
; %bb.297:
	s_mov_b64 s[8:9], 0
	s_mov_b64 s[2:3], -1
	s_cmp_eq_u32 s13, 46
	s_mov_b64 s[6:7], 0
	s_cbranch_scc0 .LBB31_316
; %bb.298:
	v_cvt_f32_i32_e32 v3, v2
	s_movk_i32 s2, 0x7fff
	s_mov_b64 s[6:7], -1
	v_bfe_u32 v5, v3, 16, 1
	v_add3_u32 v3, v3, v5, s2
	v_lshrrev_b32_e32 v3, 16, v3
	global_store_dword v[0:1], v3, off
	s_mov_b64 s[2:3], 0
	s_branch .LBB31_316
.LBB31_299:
	s_mov_b64 s[6:7], -1
	s_mov_b64 s[2:3], 0
	s_mov_b64 s[4:5], s[56:57]
                                        ; implicit-def: $vgpr4
	s_branch .LBB31_451
.LBB31_300:
	s_mov_b64 s[8:9], -1
	s_mov_b64 s[6:7], 0
	s_mov_b64 s[2:3], s[54:55]
	s_branch .LBB31_385
.LBB31_301:
	s_mov_b64 s[6:7], -1
	s_mov_b64 s[2:3], 0
	s_mov_b64 s[4:5], s[56:57]
                                        ; implicit-def: $vgpr4
	s_branch .LBB31_434
.LBB31_302:
	s_mov_b64 s[8:9], -1
	s_mov_b64 s[6:7], 0
	s_mov_b64 s[2:3], s[54:55]
	s_branch .LBB31_343
.LBB31_303:
	s_mov_b64 s[6:7], -1
	s_mov_b64 s[2:3], 0
	s_mov_b64 s[4:5], s[56:57]
                                        ; implicit-def: $vgpr4
	s_branch .LBB31_429
.LBB31_304:
	s_mov_b64 s[8:9], -1
	s_mov_b64 s[6:7], 0
	s_mov_b64 s[2:3], s[54:55]
	s_branch .LBB31_326
.LBB31_305:
	s_andn2_saveexec_b64 s[10:11], s[10:11]
	s_cbranch_execz .LBB31_69
.LBB31_306:
	s_mov_b32 s14, 0x46000000
	v_add_f32_e64 v5, |v3|, s14
	v_and_b32_e32 v5, 0xff, v5
	v_cmp_ne_u32_e32 vcc, 0, v5
	s_andn2_b64 s[8:9], s[8:9], exec
	s_and_b64 s[14:15], vcc, exec
	s_or_b64 s[8:9], s[8:9], s[14:15]
	s_or_b64 exec, exec, s[10:11]
	v_mov_b32_e32 v6, 0
	s_and_saveexec_b64 s[10:11], s[8:9]
	s_cbranch_execnz .LBB31_70
	s_branch .LBB31_71
.LBB31_307:
	s_mov_b64 s[6:7], -1
	s_mov_b64 s[2:3], 0
	s_mov_b64 s[4:5], s[56:57]
                                        ; implicit-def: $vgpr4
	s_branch .LBB31_312
.LBB31_308:
	s_mov_b64 s[8:9], -1
	s_mov_b64 s[6:7], 0
	s_mov_b64 s[2:3], s[54:55]
	s_branch .LBB31_322
.LBB31_309:
	s_andn2_saveexec_b64 s[10:11], s[10:11]
	s_cbranch_execz .LBB31_82
.LBB31_310:
	s_mov_b32 s14, 0x42800000
	v_add_f32_e64 v5, |v3|, s14
	v_and_b32_e32 v5, 0xff, v5
	v_cmp_ne_u32_e32 vcc, 0, v5
	s_andn2_b64 s[8:9], s[8:9], exec
	s_and_b64 s[14:15], vcc, exec
	s_or_b64 s[8:9], s[8:9], s[14:15]
	s_or_b64 exec, exec, s[10:11]
	v_mov_b32_e32 v6, 0
	s_and_saveexec_b64 s[10:11], s[8:9]
	s_cbranch_execnz .LBB31_83
	s_branch .LBB31_84
.LBB31_311:
	s_mov_b64 s[4:5], -1
                                        ; implicit-def: $vgpr4
	s_mov_b64 s[2:3], 0
.LBB31_312:
	s_and_b64 vcc, exec, s[6:7]
	s_cbranch_vccz .LBB31_428
; %bb.313:
	s_cmp_eq_u32 s8, 44
	s_cbranch_scc0 .LBB31_427
; %bb.314:
	global_load_ubyte v1, v[2:3], off
	s_mov_b64 s[2:3], -1
	s_mov_b64 s[4:5], 0
	s_waitcnt vmcnt(0)
	v_lshlrev_b32_e32 v4, 23, v1
	v_cvt_i32_f32_e32 v4, v4
	v_cmp_ne_u32_e32 vcc, 0, v1
	s_nop 1
	v_cndmask_b32_e32 v4, 0, v4, vcc
	s_branch .LBB31_428
.LBB31_315:
	s_mov_b64 s[8:9], -1
	s_mov_b64 s[6:7], 0
	s_mov_b64 s[2:3], s[54:55]
.LBB31_316:
	s_and_b64 vcc, exec, s[8:9]
	s_cbranch_vccz .LBB31_321
; %bb.317:
	s_cmp_eq_u32 s13, 44
	s_mov_b64 s[2:3], -1
	s_cbranch_scc0 .LBB31_321
; %bb.318:
	v_cvt_f32_i32_e32 v3, v2
	s_movk_i32 s2, 0xff
	v_mov_b32_e32 v6, 0xff
	v_bfe_u32 v5, v3, 23, 8
	v_cmp_ne_u32_e32 vcc, s2, v5
	s_and_saveexec_b64 s[6:7], vcc
; %bb.319:
	s_mov_b32 s2, 0x3fffff
	v_lshrrev_b32_e32 v6, 23, v3
	v_and_b32_e32 v7, 0x400000, v3
	v_and_or_b32 v3, v3, s2, v5
	v_cmp_ne_u32_e32 vcc, 0, v7
	v_cmp_ne_u32_e64 s[2:3], 0, v3
	s_and_b64 s[2:3], vcc, s[2:3]
	s_nop 0
	v_cndmask_b32_e64 v3, 0, 1, s[2:3]
	v_add_u32_e32 v6, v6, v3
; %bb.320:
	s_or_b64 exec, exec, s[6:7]
	s_mov_b64 s[6:7], -1
	s_mov_b64 s[2:3], 0
	global_store_byte v[0:1], v6, off
.LBB31_321:
	s_mov_b64 s[8:9], 0
.LBB31_322:
	s_and_b64 vcc, exec, s[8:9]
	s_cbranch_vccz .LBB31_325
; %bb.323:
	s_cmp_eq_u32 s13, 29
	s_mov_b64 s[2:3], -1
	s_cbranch_scc0 .LBB31_325
; %bb.324:
	v_ashrrev_i32_e32 v3, 31, v2
	global_store_dwordx2 v[0:1], v[2:3], off
	s_mov_b64 s[6:7], -1
	s_mov_b64 s[2:3], 0
.LBB31_325:
	s_mov_b64 s[8:9], 0
.LBB31_326:
	s_and_b64 vcc, exec, s[8:9]
	s_cbranch_vccz .LBB31_342
; %bb.327:
	s_cmp_lt_i32 s13, 27
	s_mov_b64 s[6:7], -1
	s_cbranch_scc1 .LBB31_333
; %bb.328:
	s_cmp_gt_i32 s13, 27
	s_cbranch_scc0 .LBB31_330
; %bb.329:
	s_mov_b64 s[6:7], 0
	global_store_dword v[0:1], v2, off
.LBB31_330:
	s_andn2_b64 vcc, exec, s[6:7]
	s_cbranch_vccnz .LBB31_332
; %bb.331:
	global_store_short v[0:1], v2, off
.LBB31_332:
	s_mov_b64 s[6:7], 0
.LBB31_333:
	s_andn2_b64 vcc, exec, s[6:7]
	s_cbranch_vccnz .LBB31_341
; %bb.334:
	v_cvt_f32_i32_e32 v3, v2
	s_mov_b32 s6, 0x43800000
	v_mov_b32_e32 v6, 0x80
	v_and_b32_e32 v5, 0x7fffffff, v3
	v_cmp_gt_u32_e32 vcc, s6, v5
	s_and_saveexec_b64 s[6:7], vcc
	s_cbranch_execz .LBB31_340
; %bb.335:
	s_mov_b32 s8, 0x3bffffff
	v_cmp_lt_u32_e32 vcc, s8, v5
	s_mov_b64 s[8:9], 0
                                        ; implicit-def: $vgpr5
	s_and_saveexec_b64 s[10:11], vcc
	s_xor_b64 s[10:11], exec, s[10:11]
	s_cbranch_execz .LBB31_565
; %bb.336:
	v_bfe_u32 v5, v3, 20, 1
	s_mov_b32 s14, 0x487ffff
	v_add3_u32 v5, v3, v5, s14
	s_mov_b64 s[8:9], exec
	v_lshrrev_b32_e32 v5, 20, v5
	s_andn2_saveexec_b64 s[10:11], s[10:11]
	s_cbranch_execnz .LBB31_566
.LBB31_337:
	s_or_b64 exec, exec, s[10:11]
	v_mov_b32_e32 v6, 0
	s_and_saveexec_b64 s[10:11], s[8:9]
.LBB31_338:
	v_lshrrev_b32_e32 v3, 24, v3
	s_movk_i32 s8, 0x80
	v_and_or_b32 v6, v3, s8, v5
.LBB31_339:
	s_or_b64 exec, exec, s[10:11]
.LBB31_340:
	s_or_b64 exec, exec, s[6:7]
	global_store_byte v[0:1], v6, off
.LBB31_341:
	s_mov_b64 s[6:7], -1
.LBB31_342:
	s_mov_b64 s[8:9], 0
.LBB31_343:
	s_and_b64 vcc, exec, s[8:9]
	s_cbranch_vccz .LBB31_384
; %bb.344:
	s_cmp_gt_i32 s13, 22
	s_mov_b64 s[8:9], -1
	s_cbranch_scc0 .LBB31_376
; %bb.345:
	s_cmp_lt_i32 s13, 24
	s_mov_b64 s[6:7], -1
	s_cbranch_scc1 .LBB31_365
; %bb.346:
	s_cmp_gt_i32 s13, 24
	s_cbranch_scc0 .LBB31_354
; %bb.347:
	v_cvt_f32_i32_e32 v3, v2
	s_mov_b32 s6, 0x47800000
	v_mov_b32_e32 v6, 0x80
	v_and_b32_e32 v5, 0x7fffffff, v3
	v_cmp_gt_u32_e32 vcc, s6, v5
	s_and_saveexec_b64 s[6:7], vcc
	s_cbranch_execz .LBB31_353
; %bb.348:
	s_mov_b32 s8, 0x37ffffff
	v_cmp_lt_u32_e32 vcc, s8, v5
	s_mov_b64 s[8:9], 0
                                        ; implicit-def: $vgpr5
	s_and_saveexec_b64 s[10:11], vcc
	s_xor_b64 s[10:11], exec, s[10:11]
	s_cbranch_execz .LBB31_568
; %bb.349:
	v_bfe_u32 v5, v3, 21, 1
	s_mov_b32 s14, 0x88fffff
	v_add3_u32 v5, v3, v5, s14
	s_mov_b64 s[8:9], exec
	v_lshrrev_b32_e32 v5, 21, v5
	s_andn2_saveexec_b64 s[10:11], s[10:11]
	s_cbranch_execnz .LBB31_569
.LBB31_350:
	s_or_b64 exec, exec, s[10:11]
	v_mov_b32_e32 v6, 0
	s_and_saveexec_b64 s[10:11], s[8:9]
.LBB31_351:
	v_lshrrev_b32_e32 v3, 24, v3
	s_movk_i32 s8, 0x80
	v_and_or_b32 v6, v3, s8, v5
.LBB31_352:
	s_or_b64 exec, exec, s[10:11]
.LBB31_353:
	s_or_b64 exec, exec, s[6:7]
	s_mov_b64 s[6:7], 0
	global_store_byte v[0:1], v6, off
.LBB31_354:
	s_and_b64 vcc, exec, s[6:7]
	s_cbranch_vccz .LBB31_364
; %bb.355:
	v_cvt_f32_i32_e32 v3, v2
	s_mov_b32 s6, 0x43f00000
                                        ; implicit-def: $vgpr5
	v_and_b32_e32 v6, 0x7fffffff, v3
	v_cmp_gt_u32_e32 vcc, s6, v6
	s_and_saveexec_b64 s[6:7], vcc
	s_xor_b64 s[6:7], exec, s[6:7]
	s_cbranch_execz .LBB31_361
; %bb.356:
	s_mov_b32 s8, 0x3c7fffff
	v_cmp_lt_u32_e32 vcc, s8, v6
                                        ; implicit-def: $vgpr5
	s_and_saveexec_b64 s[8:9], vcc
	s_xor_b64 s[8:9], exec, s[8:9]
; %bb.357:
	v_bfe_u32 v5, v3, 20, 1
	s_mov_b32 s10, 0x407ffff
	v_add3_u32 v5, v3, v5, s10
	v_lshrrev_b32_e32 v6, 20, v5
	v_and_b32_e32 v5, 0xff00000, v5
	s_mov_b32 s10, 0x7f00000
	v_mov_b32_e32 v7, 0x7e
	v_cmp_ne_u32_e32 vcc, s10, v5
	s_nop 1
	v_cndmask_b32_e32 v5, v7, v6, vcc
; %bb.358:
	s_andn2_saveexec_b64 s[8:9], s[8:9]
; %bb.359:
	s_mov_b32 s10, 0x46800000
	v_add_f32_e64 v5, |v3|, s10
; %bb.360:
	s_or_b64 exec, exec, s[8:9]
                                        ; implicit-def: $vgpr6
.LBB31_361:
	s_andn2_saveexec_b64 s[6:7], s[6:7]
; %bb.362:
	s_mov_b32 s8, 0x7f800000
	v_mov_b32_e32 v5, 0x7e
	v_mov_b32_e32 v7, 0x7f
	v_cmp_lt_u32_e32 vcc, s8, v6
	s_nop 1
	v_cndmask_b32_e32 v5, v5, v7, vcc
; %bb.363:
	s_or_b64 exec, exec, s[6:7]
	v_lshrrev_b32_e32 v3, 24, v3
	s_movk_i32 s6, 0x80
	v_and_or_b32 v3, v3, s6, v5
	global_store_byte v[0:1], v3, off
.LBB31_364:
	s_mov_b64 s[6:7], 0
.LBB31_365:
	s_andn2_b64 vcc, exec, s[6:7]
	s_cbranch_vccnz .LBB31_375
; %bb.366:
	v_cvt_f32_i32_e32 v3, v2
	s_mov_b32 s6, 0x47800000
                                        ; implicit-def: $vgpr5
	v_and_b32_e32 v6, 0x7fffffff, v3
	v_cmp_gt_u32_e32 vcc, s6, v6
	s_and_saveexec_b64 s[6:7], vcc
	s_xor_b64 s[6:7], exec, s[6:7]
	s_cbranch_execz .LBB31_372
; %bb.367:
	s_mov_b32 s8, 0x387fffff
	v_cmp_lt_u32_e32 vcc, s8, v6
                                        ; implicit-def: $vgpr5
	s_and_saveexec_b64 s[8:9], vcc
	s_xor_b64 s[8:9], exec, s[8:9]
; %bb.368:
	v_bfe_u32 v5, v3, 21, 1
	s_mov_b32 s10, 0x80fffff
	v_add3_u32 v5, v3, v5, s10
	v_lshrrev_b32_e32 v5, 21, v5
; %bb.369:
	s_andn2_saveexec_b64 s[8:9], s[8:9]
; %bb.370:
	s_mov_b32 s10, 0x43000000
	v_add_f32_e64 v5, |v3|, s10
; %bb.371:
	s_or_b64 exec, exec, s[8:9]
                                        ; implicit-def: $vgpr6
.LBB31_372:
	s_andn2_saveexec_b64 s[6:7], s[6:7]
; %bb.373:
	s_mov_b32 s8, 0x7f800000
	v_mov_b32_e32 v5, 0x7c
	v_mov_b32_e32 v7, 0x7f
	v_cmp_lt_u32_e32 vcc, s8, v6
	s_nop 1
	v_cndmask_b32_e32 v5, v5, v7, vcc
; %bb.374:
	s_or_b64 exec, exec, s[6:7]
	v_lshrrev_b32_e32 v3, 24, v3
	s_movk_i32 s6, 0x80
	v_and_or_b32 v3, v3, s6, v5
	global_store_byte v[0:1], v3, off
.LBB31_375:
	s_mov_b64 s[8:9], 0
	s_mov_b64 s[6:7], -1
.LBB31_376:
	s_andn2_b64 vcc, exec, s[8:9]
	s_cbranch_vccnz .LBB31_384
; %bb.377:
	s_cmp_gt_i32 s13, 14
	s_mov_b64 s[8:9], -1
	s_cbranch_scc0 .LBB31_381
; %bb.378:
	s_cmp_eq_u32 s13, 15
	s_mov_b64 s[2:3], -1
	s_cbranch_scc0 .LBB31_380
; %bb.379:
	v_cvt_f32_i32_e32 v3, v2
	s_movk_i32 s2, 0x7fff
	s_mov_b64 s[6:7], -1
	v_bfe_u32 v5, v3, 16, 1
	v_add3_u32 v3, v3, v5, s2
	global_store_short_d16_hi v[0:1], v3, off
	s_mov_b64 s[2:3], 0
.LBB31_380:
	s_mov_b64 s[8:9], 0
.LBB31_381:
	s_and_b64 vcc, exec, s[8:9]
	s_cbranch_vccz .LBB31_384
; %bb.382:
	s_cmp_eq_u32 s13, 11
	s_mov_b64 s[2:3], -1
	s_cbranch_scc0 .LBB31_384
; %bb.383:
	v_cmp_ne_u32_e32 vcc, -1, v4
	s_mov_b64 s[6:7], -1
	s_mov_b64 s[2:3], 0
	v_cndmask_b32_e64 v3, 0, 1, vcc
	global_store_byte v[0:1], v3, off
.LBB31_384:
	s_mov_b64 s[8:9], 0
.LBB31_385:
	s_and_b64 vcc, exec, s[8:9]
	s_cbranch_vccz .LBB31_424
; %bb.386:
	s_and_b32 s8, 0xffff, s12
	s_cmp_lt_i32 s8, 5
	s_mov_b64 s[6:7], -1
	s_cbranch_scc1 .LBB31_407
; %bb.387:
	s_cmp_lt_i32 s8, 8
	s_cbranch_scc1 .LBB31_397
; %bb.388:
	s_cmp_lt_i32 s8, 9
	s_cbranch_scc1 .LBB31_394
; %bb.389:
	s_cmp_gt_i32 s8, 9
	s_cbranch_scc0 .LBB31_391
; %bb.390:
	v_mov_b32_e32 v6, 0
	v_cvt_f64_i32_e32 v[4:5], v2
	v_mov_b32_e32 v7, v6
	s_mov_b64 s[6:7], 0
	global_store_dwordx4 v[0:1], v[4:7], off
.LBB31_391:
	s_andn2_b64 vcc, exec, s[6:7]
	s_cbranch_vccnz .LBB31_393
; %bb.392:
	v_cvt_f32_i32_e32 v4, v2
	v_mov_b32_e32 v5, 0
	global_store_dwordx2 v[0:1], v[4:5], off
.LBB31_393:
	s_mov_b64 s[6:7], 0
.LBB31_394:
	s_andn2_b64 vcc, exec, s[6:7]
	s_cbranch_vccnz .LBB31_396
; %bb.395:
	v_cvt_f32_i32_e32 v3, v2
	v_cvt_f16_f32_e32 v3, v3
	global_store_dword v[0:1], v3, off
.LBB31_396:
	s_mov_b64 s[6:7], 0
.LBB31_397:
	s_andn2_b64 vcc, exec, s[6:7]
	s_cbranch_vccnz .LBB31_406
; %bb.398:
	s_cmp_lt_i32 s8, 6
	s_mov_b64 s[6:7], -1
	s_cbranch_scc1 .LBB31_404
; %bb.399:
	s_cmp_gt_i32 s8, 6
	s_cbranch_scc0 .LBB31_401
; %bb.400:
	v_cvt_f64_i32_e32 v[4:5], v2
	s_mov_b64 s[6:7], 0
	global_store_dwordx2 v[0:1], v[4:5], off
.LBB31_401:
	s_andn2_b64 vcc, exec, s[6:7]
	s_cbranch_vccnz .LBB31_403
; %bb.402:
	v_cvt_f32_i32_e32 v3, v2
	global_store_dword v[0:1], v3, off
.LBB31_403:
	s_mov_b64 s[6:7], 0
.LBB31_404:
	s_andn2_b64 vcc, exec, s[6:7]
	s_cbranch_vccnz .LBB31_406
; %bb.405:
	v_cvt_f32_i32_e32 v3, v2
	v_cvt_f16_f32_e32 v3, v3
	global_store_short v[0:1], v3, off
.LBB31_406:
	s_mov_b64 s[6:7], 0
.LBB31_407:
	s_andn2_b64 vcc, exec, s[6:7]
	s_cbranch_vccnz .LBB31_423
; %bb.408:
	s_cmp_lt_i32 s8, 2
	s_mov_b64 s[6:7], -1
	s_cbranch_scc1 .LBB31_418
; %bb.409:
	s_cmp_lt_i32 s8, 3
	s_cbranch_scc1 .LBB31_415
; %bb.410:
	s_cmp_gt_i32 s8, 3
	s_cbranch_scc0 .LBB31_412
; %bb.411:
	v_ashrrev_i32_e32 v3, 31, v2
	s_mov_b64 s[6:7], 0
	global_store_dwordx2 v[0:1], v[2:3], off
.LBB31_412:
	s_andn2_b64 vcc, exec, s[6:7]
	s_cbranch_vccnz .LBB31_414
; %bb.413:
	global_store_dword v[0:1], v2, off
.LBB31_414:
	s_mov_b64 s[6:7], 0
.LBB31_415:
	s_andn2_b64 vcc, exec, s[6:7]
	s_cbranch_vccnz .LBB31_417
; %bb.416:
	global_store_short v[0:1], v2, off
.LBB31_417:
	s_mov_b64 s[6:7], 0
.LBB31_418:
	s_andn2_b64 vcc, exec, s[6:7]
	s_cbranch_vccnz .LBB31_423
; %bb.419:
	s_cmp_gt_i32 s8, 0
	s_mov_b64 s[6:7], -1
	s_cbranch_scc0 .LBB31_421
; %bb.420:
	s_mov_b64 s[6:7], 0
	global_store_byte v[0:1], v2, off
.LBB31_421:
	s_andn2_b64 vcc, exec, s[6:7]
	s_cbranch_vccnz .LBB31_423
; %bb.422:
	global_store_byte v[0:1], v2, off
.LBB31_423:
	s_mov_b64 s[6:7], -1
.LBB31_424:
	s_andn2_b64 vcc, exec, s[6:7]
	s_cbranch_vccnz .LBB31_426
; %bb.425:
	v_add_u32_e32 v8, 0x80, v8
	s_mov_b64 s[6:7], -1
	s_branch .LBB31_535
.LBB31_426:
	s_mov_b64 s[6:7], 0
	s_branch .LBB31_534
.LBB31_427:
	s_mov_b64 s[4:5], -1
                                        ; implicit-def: $vgpr4
.LBB31_428:
	s_mov_b64 s[6:7], 0
.LBB31_429:
	s_and_b64 vcc, exec, s[6:7]
	s_cbranch_vccz .LBB31_433
; %bb.430:
	s_cmp_eq_u32 s8, 29
	s_cbranch_scc0 .LBB31_432
; %bb.431:
	global_load_dword v4, v[2:3], off
	s_mov_b64 s[2:3], -1
	s_mov_b64 s[4:5], 0
	s_branch .LBB31_433
.LBB31_432:
	s_mov_b64 s[4:5], -1
                                        ; implicit-def: $vgpr4
.LBB31_433:
	s_mov_b64 s[6:7], 0
.LBB31_434:
	s_and_b64 vcc, exec, s[6:7]
	s_cbranch_vccz .LBB31_450
; %bb.435:
	s_cmp_lt_i32 s8, 27
	s_cbranch_scc1 .LBB31_438
; %bb.436:
	s_cmp_gt_i32 s8, 27
	s_cbranch_scc0 .LBB31_439
; %bb.437:
	global_load_dword v4, v[2:3], off
	s_mov_b64 s[2:3], 0
	s_branch .LBB31_440
.LBB31_438:
	s_mov_b64 s[2:3], -1
                                        ; implicit-def: $vgpr4
	s_branch .LBB31_443
.LBB31_439:
	s_mov_b64 s[2:3], -1
                                        ; implicit-def: $vgpr4
.LBB31_440:
	s_andn2_b64 vcc, exec, s[2:3]
	s_cbranch_vccnz .LBB31_442
; %bb.441:
	global_load_ushort v4, v[2:3], off
.LBB31_442:
	s_mov_b64 s[2:3], 0
.LBB31_443:
	s_andn2_b64 vcc, exec, s[2:3]
	s_cbranch_vccnz .LBB31_449
; %bb.444:
	global_load_ubyte v1, v[2:3], off
	s_movk_i32 s2, 0x7f
	s_mov_b64 s[6:7], 0
	s_waitcnt vmcnt(0)
	v_cmp_lt_i16_e32 vcc, s2, v1
	s_and_saveexec_b64 s[2:3], vcc
	s_xor_b64 s[2:3], exec, s[2:3]
	s_cbranch_execz .LBB31_461
; %bb.445:
	s_movk_i32 s6, 0x80
	v_cmp_ne_u16_e32 vcc, s6, v1
	s_and_b64 s[6:7], vcc, exec
	s_andn2_saveexec_b64 s[2:3], s[2:3]
	s_cbranch_execnz .LBB31_462
.LBB31_446:
	s_or_b64 exec, exec, s[2:3]
	v_mov_b32_e32 v4, 0
	s_and_saveexec_b64 s[2:3], s[6:7]
	s_cbranch_execz .LBB31_448
.LBB31_447:
	v_lshlrev_b32_e32 v4, 24, v1
	v_and_b32_e32 v1, 0xffff, v1
	v_and_b32_e32 v5, 7, v1
	v_ffbh_u32_e32 v7, v5
	v_min_u32_e32 v7, 32, v7
	v_subrev_u32_e32 v9, 28, v7
	v_bfe_u32 v6, v1, 3, 4
	v_lshlrev_b32_e32 v1, v9, v1
	v_sub_u32_e32 v7, 29, v7
	v_and_b32_e32 v1, 7, v1
	v_cmp_eq_u32_e32 vcc, 0, v6
	v_and_b32_e32 v4, 0x80000000, v4
	s_nop 0
	v_cndmask_b32_e32 v6, v6, v7, vcc
	v_cndmask_b32_e32 v1, v5, v1, vcc
	v_mov_b32_e32 v5, 0x3b800000
	v_lshlrev_b32_e32 v1, 20, v1
	v_lshl_add_u32 v5, v6, 23, v5
	v_or3_b32 v1, v4, v5, v1
	v_cvt_i32_f32_e32 v4, v1
.LBB31_448:
	s_or_b64 exec, exec, s[2:3]
.LBB31_449:
	s_mov_b64 s[2:3], -1
.LBB31_450:
	s_mov_b64 s[6:7], 0
.LBB31_451:
	s_and_b64 vcc, exec, s[6:7]
	s_cbranch_vccz .LBB31_484
; %bb.452:
	s_cmp_gt_i32 s8, 22
	s_cbranch_scc0 .LBB31_460
; %bb.453:
	s_cmp_lt_i32 s8, 24
	s_cbranch_scc1 .LBB31_463
; %bb.454:
	s_cmp_gt_i32 s8, 24
	s_cbranch_scc0 .LBB31_464
; %bb.455:
	global_load_ubyte v1, v[2:3], off
	s_movk_i32 s2, 0x7f
	s_mov_b64 s[6:7], 0
	s_waitcnt vmcnt(0)
	v_cmp_lt_i16_e32 vcc, s2, v1
	s_and_saveexec_b64 s[2:3], vcc
	s_xor_b64 s[2:3], exec, s[2:3]
	s_cbranch_execz .LBB31_476
; %bb.456:
	s_movk_i32 s6, 0x80
	v_cmp_ne_u16_e32 vcc, s6, v1
	s_and_b64 s[6:7], vcc, exec
	s_andn2_saveexec_b64 s[2:3], s[2:3]
	s_cbranch_execnz .LBB31_477
.LBB31_457:
	s_or_b64 exec, exec, s[2:3]
	v_mov_b32_e32 v4, 0
	s_and_saveexec_b64 s[2:3], s[6:7]
	s_cbranch_execz .LBB31_459
.LBB31_458:
	v_lshlrev_b32_e32 v4, 24, v1
	v_and_b32_e32 v1, 0xffff, v1
	v_and_b32_e32 v5, 3, v1
	v_ffbh_u32_e32 v7, v5
	v_min_u32_e32 v7, 32, v7
	v_subrev_u32_e32 v9, 29, v7
	v_bfe_u32 v6, v1, 2, 5
	v_lshlrev_b32_e32 v1, v9, v1
	v_sub_u32_e32 v7, 30, v7
	v_and_b32_e32 v1, 3, v1
	v_cmp_eq_u32_e32 vcc, 0, v6
	v_and_b32_e32 v4, 0x80000000, v4
	s_nop 0
	v_cndmask_b32_e32 v6, v6, v7, vcc
	v_cndmask_b32_e32 v1, v5, v1, vcc
	v_mov_b32_e32 v5, 0x37800000
	v_lshlrev_b32_e32 v1, 21, v1
	v_lshl_add_u32 v5, v6, 23, v5
	v_or3_b32 v1, v4, v5, v1
	v_cvt_i32_f32_e32 v4, v1
.LBB31_459:
	s_or_b64 exec, exec, s[2:3]
	s_mov_b64 s[2:3], 0
	s_branch .LBB31_465
.LBB31_460:
	s_mov_b64 s[6:7], -1
                                        ; implicit-def: $vgpr4
	s_branch .LBB31_471
.LBB31_461:
	s_andn2_saveexec_b64 s[2:3], s[2:3]
	s_cbranch_execz .LBB31_446
.LBB31_462:
	v_cmp_ne_u16_e32 vcc, 0, v1
	s_andn2_b64 s[6:7], s[6:7], exec
	s_and_b64 s[10:11], vcc, exec
	s_or_b64 s[6:7], s[6:7], s[10:11]
	s_or_b64 exec, exec, s[2:3]
	v_mov_b32_e32 v4, 0
	s_and_saveexec_b64 s[2:3], s[6:7]
	s_cbranch_execnz .LBB31_447
	s_branch .LBB31_448
.LBB31_463:
	s_mov_b64 s[2:3], -1
                                        ; implicit-def: $vgpr4
	s_branch .LBB31_468
.LBB31_464:
	s_mov_b64 s[2:3], -1
                                        ; implicit-def: $vgpr4
.LBB31_465:
	s_and_b64 vcc, exec, s[2:3]
	s_cbranch_vccz .LBB31_467
; %bb.466:
	global_load_ubyte v1, v[2:3], off
	s_mov_b32 s2, 0x7f800000
	s_waitcnt vmcnt(0)
	v_lshlrev_b32_e32 v1, 24, v1
	v_and_b32_e32 v4, 0x7f000000, v1
	v_ffbh_u32_e32 v5, v4
	v_min_u32_e32 v5, 32, v5
	v_sub_u32_e64 v5, v5, 4 clamp
	v_lshlrev_b32_e32 v7, v5, v4
	v_lshlrev_b32_e32 v5, 23, v5
	v_lshrrev_b32_e32 v7, 4, v7
	v_add_u32_e32 v6, 0x1000000, v4
	v_sub_u32_e32 v5, v7, v5
	v_ashrrev_i32_e32 v6, 8, v6
	v_add_u32_e32 v5, 0x3c000000, v5
	v_and_or_b32 v5, v6, s2, v5
	v_cmp_ne_u32_e32 vcc, 0, v4
	s_brev_b32 s2, 1
	s_nop 0
	v_cndmask_b32_e32 v4, 0, v5, vcc
	v_and_or_b32 v1, v1, s2, v4
	v_cvt_i32_f32_e32 v4, v1
.LBB31_467:
	s_mov_b64 s[2:3], 0
.LBB31_468:
	s_andn2_b64 vcc, exec, s[2:3]
	s_cbranch_vccnz .LBB31_470
; %bb.469:
	global_load_ubyte v1, v[2:3], off
	s_movk_i32 s2, 0x7f00
	s_brev_b32 s3, 16
	s_waitcnt vmcnt(0)
	v_lshlrev_b16_e32 v4, 8, v1
	v_lshlrev_b32_e32 v1, 25, v1
	v_lshrrev_b32_e32 v5, 4, v1
	v_and_or_b32 v6, v4, s2, 0.5
	v_or_b32_e32 v5, 0x70000000, v5
	v_add_f32_e32 v6, -0.5, v6
	v_mul_f32_e32 v5, 0x7800000, v5
	v_cmp_gt_u32_e32 vcc, s3, v1
	v_bfe_i32 v4, v4, 0, 16
	s_brev_b32 s2, 1
	v_cndmask_b32_e32 v1, v5, v6, vcc
	v_and_or_b32 v1, v4, s2, v1
	v_cvt_i32_f32_e32 v4, v1
.LBB31_470:
	s_mov_b64 s[6:7], 0
	s_mov_b64 s[2:3], -1
.LBB31_471:
	s_andn2_b64 vcc, exec, s[6:7]
	s_cbranch_vccnz .LBB31_484
; %bb.472:
	s_cmp_gt_i32 s8, 14
	s_cbranch_scc0 .LBB31_475
; %bb.473:
	s_cmp_eq_u32 s8, 15
	s_cbranch_scc0 .LBB31_478
; %bb.474:
	global_load_ushort v1, v[2:3], off
	s_mov_b64 s[2:3], -1
	s_mov_b64 s[4:5], 0
	s_waitcnt vmcnt(0)
	v_lshlrev_b32_e32 v1, 16, v1
	v_cvt_i32_f32_e32 v4, v1
	s_branch .LBB31_479
.LBB31_475:
	s_mov_b64 s[6:7], -1
                                        ; implicit-def: $vgpr4
	s_branch .LBB31_480
.LBB31_476:
	s_andn2_saveexec_b64 s[2:3], s[2:3]
	s_cbranch_execz .LBB31_457
.LBB31_477:
	v_cmp_ne_u16_e32 vcc, 0, v1
	s_andn2_b64 s[6:7], s[6:7], exec
	s_and_b64 s[10:11], vcc, exec
	s_or_b64 s[6:7], s[6:7], s[10:11]
	s_or_b64 exec, exec, s[2:3]
	v_mov_b32_e32 v4, 0
	s_and_saveexec_b64 s[2:3], s[6:7]
	s_cbranch_execnz .LBB31_458
	s_branch .LBB31_459
.LBB31_478:
	s_mov_b64 s[4:5], -1
                                        ; implicit-def: $vgpr4
.LBB31_479:
	s_mov_b64 s[6:7], 0
.LBB31_480:
	s_and_b64 vcc, exec, s[6:7]
	s_cbranch_vccz .LBB31_484
; %bb.481:
	s_cmp_eq_u32 s8, 11
	s_cbranch_scc0 .LBB31_483
; %bb.482:
	global_load_ubyte v1, v[2:3], off
	s_mov_b64 s[2:3], -1
	s_mov_b64 s[4:5], 0
	s_waitcnt vmcnt(0)
	v_cmp_ne_u16_e32 vcc, 0, v1
	s_nop 1
	v_cndmask_b32_e64 v4, 0, 1, vcc
	s_branch .LBB31_484
.LBB31_483:
	s_mov_b64 s[4:5], -1
                                        ; implicit-def: $vgpr4
.LBB31_484:
	s_branch .LBB31_291
.LBB31_485:
	s_cmp_lt_i32 s8, 5
	s_cbranch_scc1 .LBB31_490
; %bb.486:
	s_cmp_lt_i32 s8, 8
	s_cbranch_scc1 .LBB31_491
; %bb.487:
	;; [unrolled: 3-line block ×3, first 2 shown]
	s_cmp_gt_i32 s8, 9
	s_cbranch_scc0 .LBB31_493
; %bb.489:
	global_load_dwordx2 v[4:5], v[2:3], off
	s_mov_b64 s[2:3], 0
	s_waitcnt vmcnt(0)
	v_cvt_i32_f64_e32 v4, v[4:5]
	s_branch .LBB31_494
.LBB31_490:
	s_mov_b64 s[2:3], -1
                                        ; implicit-def: $vgpr4
	s_branch .LBB31_512
.LBB31_491:
	s_mov_b64 s[2:3], -1
                                        ; implicit-def: $vgpr4
	s_branch .LBB31_500
.LBB31_492:
	s_mov_b64 s[2:3], -1
                                        ; implicit-def: $vgpr4
	s_branch .LBB31_497
.LBB31_493:
	s_mov_b64 s[2:3], -1
                                        ; implicit-def: $vgpr4
.LBB31_494:
	s_andn2_b64 vcc, exec, s[2:3]
	s_cbranch_vccnz .LBB31_496
; %bb.495:
	global_load_dword v1, v[2:3], off
	s_waitcnt vmcnt(0)
	v_cvt_i32_f32_e32 v4, v1
.LBB31_496:
	s_mov_b64 s[2:3], 0
.LBB31_497:
	s_andn2_b64 vcc, exec, s[2:3]
	s_cbranch_vccnz .LBB31_499
; %bb.498:
	global_load_dword v1, v[2:3], off
	s_waitcnt vmcnt(0)
	v_cvt_f32_f16_e32 v1, v1
	v_cvt_i32_f32_e32 v4, v1
.LBB31_499:
	s_mov_b64 s[2:3], 0
.LBB31_500:
	s_andn2_b64 vcc, exec, s[2:3]
	s_cbranch_vccnz .LBB31_511
; %bb.501:
	s_cmp_lt_i32 s8, 6
	s_cbranch_scc1 .LBB31_504
; %bb.502:
	s_cmp_gt_i32 s8, 6
	s_cbranch_scc0 .LBB31_505
; %bb.503:
	global_load_dwordx2 v[4:5], v[2:3], off
	s_mov_b64 s[2:3], 0
	s_waitcnt vmcnt(0)
	v_cvt_i32_f64_e32 v4, v[4:5]
	s_branch .LBB31_506
.LBB31_504:
	s_mov_b64 s[2:3], -1
                                        ; implicit-def: $vgpr4
	s_branch .LBB31_509
.LBB31_505:
	s_mov_b64 s[2:3], -1
                                        ; implicit-def: $vgpr4
.LBB31_506:
	s_andn2_b64 vcc, exec, s[2:3]
	s_cbranch_vccnz .LBB31_508
; %bb.507:
	global_load_dword v1, v[2:3], off
	s_waitcnt vmcnt(0)
	v_cvt_i32_f32_e32 v4, v1
.LBB31_508:
	s_mov_b64 s[2:3], 0
.LBB31_509:
	s_andn2_b64 vcc, exec, s[2:3]
	s_cbranch_vccnz .LBB31_511
; %bb.510:
	global_load_ushort v1, v[2:3], off
	s_waitcnt vmcnt(0)
	v_cvt_f32_f16_e32 v1, v1
	v_cvt_i32_f32_e32 v4, v1
.LBB31_511:
	s_mov_b64 s[2:3], 0
.LBB31_512:
	s_andn2_b64 vcc, exec, s[2:3]
	s_cbranch_vccnz .LBB31_532
; %bb.513:
	s_cmp_lt_i32 s8, 2
	s_cbranch_scc1 .LBB31_517
; %bb.514:
	s_cmp_lt_i32 s8, 3
	s_cbranch_scc1 .LBB31_518
; %bb.515:
	s_cmp_gt_i32 s8, 3
	s_cbranch_scc0 .LBB31_519
; %bb.516:
	global_load_dword v4, v[2:3], off
	s_mov_b64 s[2:3], 0
	s_branch .LBB31_520
.LBB31_517:
	s_mov_b64 s[2:3], -1
                                        ; implicit-def: $vgpr4
	s_branch .LBB31_526
.LBB31_518:
	s_mov_b64 s[2:3], -1
                                        ; implicit-def: $vgpr4
	s_branch .LBB31_523
.LBB31_519:
	s_mov_b64 s[2:3], -1
                                        ; implicit-def: $vgpr4
.LBB31_520:
	s_andn2_b64 vcc, exec, s[2:3]
	s_cbranch_vccnz .LBB31_522
; %bb.521:
	global_load_dword v4, v[2:3], off
.LBB31_522:
	s_mov_b64 s[2:3], 0
.LBB31_523:
	s_andn2_b64 vcc, exec, s[2:3]
	s_cbranch_vccnz .LBB31_525
; %bb.524:
	global_load_sshort v4, v[2:3], off
.LBB31_525:
	s_mov_b64 s[2:3], 0
.LBB31_526:
	s_andn2_b64 vcc, exec, s[2:3]
	s_cbranch_vccnz .LBB31_532
; %bb.527:
	s_cmp_gt_i32 s8, 0
	s_cbranch_scc0 .LBB31_529
; %bb.528:
	global_load_sbyte v4, v[2:3], off
	s_mov_b64 s[2:3], 0
	s_branch .LBB31_530
.LBB31_529:
	s_mov_b64 s[2:3], -1
                                        ; implicit-def: $vgpr4
.LBB31_530:
	s_andn2_b64 vcc, exec, s[2:3]
	s_cbranch_vccnz .LBB31_532
; %bb.531:
	global_load_ubyte v4, v[2:3], off
.LBB31_532:
	s_branch .LBB31_292
.LBB31_533:
	s_mov_b64 s[6:7], 0
	s_mov_b64 s[2:3], s[54:55]
.LBB31_534:
                                        ; implicit-def: $vgpr8
.LBB31_535:
	s_andn2_b64 s[8:9], s[54:55], exec
	s_and_b64 s[2:3], s[2:3], exec
	s_or_b64 s[62:63], s[8:9], s[2:3]
	s_andn2_b64 s[2:3], s[56:57], exec
	s_and_b64 s[4:5], s[4:5], exec
	s_or_b64 s[60:61], s[2:3], s[4:5]
	s_orn2_b64 s[2:3], s[6:7], exec
.LBB31_536:
	s_or_b64 exec, exec, s[64:65]
	s_mov_b64 s[4:5], 0
	s_mov_b64 s[6:7], 0
	;; [unrolled: 1-line block ×3, first 2 shown]
                                        ; implicit-def: $vgpr2_vgpr3
                                        ; implicit-def: $vgpr0
                                        ; implicit-def: $vgpr6
	s_and_saveexec_b64 s[64:65], s[2:3]
	s_cbranch_execz .LBB31_905
; %bb.537:
	v_cmp_gt_i32_e32 vcc, s70, v8
	s_mov_b64 s[6:7], -1
	s_mov_b64 s[2:3], s[60:61]
	s_mov_b64 s[68:69], s[62:63]
	s_and_saveexec_b64 s[66:67], vcc
	s_cbranch_execz .LBB31_808
; %bb.538:
	s_andn2_b64 vcc, exec, s[42:43]
	s_cbranch_vccnz .LBB31_544
; %bb.539:
	s_andn2_b64 vcc, exec, s[52:53]
	s_cbranch_vccnz .LBB31_545
; %bb.540:
	s_add_i32 s76, s75, 1
	s_cmp_eq_u32 s72, 2
	s_cbranch_scc1 .LBB31_546
; %bb.541:
	s_and_b32 s71, s76, 28
	s_mov_b32 s77, 0
	v_mov_b32_e32 v0, 0
	v_mov_b32_e32 v2, 0
	s_mov_b64 s[2:3], s[34:35]
	s_mov_b64 s[68:69], s[50:51]
	s_waitcnt vmcnt(0)
	v_mov_b32_e32 v4, v8
.LBB31_542:                             ; =>This Inner Loop Header: Depth=1
	s_load_dwordx8 s[12:19], s[2:3], 0x4
	s_load_dwordx4 s[36:39], s[2:3], 0x24
	s_load_dwordx8 s[4:11], s[68:69], 0x0
	s_add_u32 s2, s2, 48
	s_addc_u32 s3, s3, 0
	s_waitcnt lgkmcnt(0)
	v_mul_hi_u32 v1, s13, v4
	v_add_u32_e32 v1, v4, v1
	v_lshrrev_b32_e32 v1, s14, v1
	v_mul_lo_u32 v3, v1, s12
	v_mul_hi_u32 v5, s16, v1
	v_sub_u32_e32 v3, v4, v3
	v_add_u32_e32 v4, v1, v5
	v_lshrrev_b32_e32 v4, s17, v4
	v_mul_lo_u32 v6, v4, s15
	v_mul_hi_u32 v7, s19, v4
	v_sub_u32_e32 v1, v1, v6
	v_add_u32_e32 v6, v4, v7
	v_mul_lo_u32 v5, v3, s5
	v_mul_lo_u32 v3, v3, s4
	;; [unrolled: 1-line block ×4, first 2 shown]
	v_lshrrev_b32_e32 v6, s36, v6
	v_add3_u32 v0, v3, v0, v1
	v_mul_hi_u32 v3, s38, v6
	v_add3_u32 v1, v5, v2, v7
	v_mul_lo_u32 v2, v6, s18
	v_add_u32_e32 v3, v6, v3
	v_sub_u32_e32 v2, v4, v2
	v_lshrrev_b32_e32 v4, s39, v3
	s_add_i32 s77, s77, 4
	v_mul_lo_u32 v3, v4, s37
	s_add_u32 s68, s68, 32
	v_sub_u32_e32 v3, v6, v3
	s_addc_u32 s69, s69, 0
	v_mul_lo_u32 v5, v2, s8
	v_mul_lo_u32 v2, v2, s9
	v_mul_lo_u32 v6, v3, s10
	v_mul_lo_u32 v3, v3, s11
	s_cmp_eq_u32 s71, s77
	v_add3_u32 v2, v2, v1, v3
	v_add3_u32 v0, v5, v0, v6
	s_cbranch_scc0 .LBB31_542
; %bb.543:
	v_mov_b32_e32 v1, v2
	s_branch .LBB31_547
.LBB31_544:
	s_mov_b64 s[2:3], -1
                                        ; implicit-def: $vgpr2
                                        ; implicit-def: $vgpr0
	s_branch .LBB31_551
.LBB31_545:
	v_mov_b32_e32 v2, 0
	v_mov_b32_e32 v0, 0
	s_branch .LBB31_550
.LBB31_546:
	v_mov_b32_e32 v0, 0
	s_mov_b32 s71, 0
	v_mov_b32_e32 v1, v0
                                        ; implicit-def: $vgpr2
	s_waitcnt vmcnt(0)
	v_mov_b32_e32 v4, v8
.LBB31_547:
	s_and_b32 s6, s76, 3
	s_cmp_eq_u32 s6, 0
	s_cbranch_scc1 .LBB31_550
; %bb.548:
	s_lshl_b32 s2, s71, 3
	s_add_u32 s2, s34, s2
	s_addc_u32 s3, s35, 0
	s_add_u32 s2, s2, 0xc4
	s_addc_u32 s3, s3, 0
	s_mul_i32 s4, s71, 12
	s_add_u32 s4, s34, s4
	s_addc_u32 s5, s35, 0
.LBB31_549:                             ; =>This Inner Loop Header: Depth=1
	s_load_dwordx2 s[8:9], s[4:5], 0x4
	s_load_dword s7, s[4:5], 0xc
	s_load_dwordx2 s[10:11], s[2:3], 0x0
	v_mov_b32_e32 v2, v1
	s_add_u32 s4, s4, 12
	s_waitcnt lgkmcnt(0)
	v_mul_hi_u32 v1, s9, v4
	v_add_u32_e32 v1, v4, v1
	v_lshrrev_b32_e32 v1, s7, v1
	s_addc_u32 s5, s5, 0
	v_mul_lo_u32 v3, v1, s8
	s_add_u32 s2, s2, 8
	v_sub_u32_e32 v5, v4, v3
	s_addc_u32 s3, s3, 0
	s_add_i32 s6, s6, -1
	v_mov_b32_e32 v4, v1
	v_mad_u64_u32 v[2:3], s[8:9], v5, s11, v[2:3]
	v_mad_u64_u32 v[0:1], s[8:9], v5, s10, v[0:1]
	s_cmp_lg_u32 s6, 0
	v_mov_b32_e32 v1, v2
	s_cbranch_scc1 .LBB31_549
.LBB31_550:
	s_mov_b64 s[2:3], 0
.LBB31_551:
	s_andn2_b64 vcc, exec, s[2:3]
	s_cbranch_vccnz .LBB31_554
; %bb.552:
	s_waitcnt lgkmcnt(0)
	v_mul_hi_u32 v0, s29, v8
	v_add_u32_e32 v0, v8, v0
	v_lshrrev_b32_e32 v1, s30, v0
	v_mul_lo_u32 v0, v1, s28
	v_sub_u32_e32 v0, v8, v0
	v_mul_lo_u32 v2, v0, s25
	s_andn2_b64 vcc, exec, s[48:49]
	v_mul_lo_u32 v0, v0, s24
	s_cbranch_vccnz .LBB31_554
; %bb.553:
	v_mul_hi_u32 v3, s46, v1
	v_add_u32_e32 v3, v1, v3
	v_lshrrev_b32_e32 v3, s47, v3
	v_mul_lo_u32 v3, v3, s31
	v_sub_u32_e32 v3, v1, v3
	v_mad_u64_u32 v[0:1], s[2:3], v3, s26, v[0:1]
	v_mad_u64_u32 v[2:3], s[2:3], v3, s27, v[2:3]
.LBB31_554:
	v_mov_b32_e32 v3, 0
	s_and_b32 s8, 0xffff, s74
	s_cmp_lt_i32 s8, 11
	s_waitcnt lgkmcnt(0)
	v_lshl_add_u64 v[2:3], s[22:23], 0, v[2:3]
	s_cbranch_scc1 .LBB31_561
; %bb.555:
	s_cmp_gt_i32 s8, 25
	s_cbranch_scc0 .LBB31_562
; %bb.556:
	s_cmp_gt_i32 s8, 28
	s_cbranch_scc0 .LBB31_563
	;; [unrolled: 3-line block ×4, first 2 shown]
; %bb.559:
	s_cmp_eq_u32 s8, 46
	s_mov_b64 s[6:7], 0
	s_cbranch_scc0 .LBB31_570
; %bb.560:
	global_load_dword v1, v[2:3], off
	s_mov_b64 s[2:3], -1
	s_mov_b64 s[4:5], 0
	s_waitcnt vmcnt(0)
	v_lshlrev_b32_e32 v1, 16, v1
	v_cvt_i32_f32_e32 v4, v1
	s_branch .LBB31_571
.LBB31_561:
	s_mov_b64 s[6:7], -1
	s_mov_b64 s[2:3], 0
                                        ; implicit-def: $vgpr4
	s_mov_b64 s[4:5], s[60:61]
	s_branch .LBB31_632
.LBB31_562:
	s_mov_b64 s[6:7], -1
	s_mov_b64 s[2:3], 0
	s_mov_b64 s[4:5], s[60:61]
                                        ; implicit-def: $vgpr4
	s_branch .LBB31_598
.LBB31_563:
	s_mov_b64 s[6:7], -1
	s_mov_b64 s[2:3], 0
	s_mov_b64 s[4:5], s[60:61]
                                        ; implicit-def: $vgpr4
	s_branch .LBB31_581
.LBB31_564:
	s_mov_b64 s[6:7], -1
	s_mov_b64 s[2:3], 0
	s_mov_b64 s[4:5], s[60:61]
                                        ; implicit-def: $vgpr4
	s_branch .LBB31_576
.LBB31_565:
	s_andn2_saveexec_b64 s[10:11], s[10:11]
	s_cbranch_execz .LBB31_337
.LBB31_566:
	s_mov_b32 s14, 0x46000000
	v_add_f32_e64 v5, |v3|, s14
	v_and_b32_e32 v5, 0xff, v5
	v_cmp_ne_u32_e32 vcc, 0, v5
	s_andn2_b64 s[8:9], s[8:9], exec
	s_and_b64 s[14:15], vcc, exec
	s_or_b64 s[8:9], s[8:9], s[14:15]
	s_or_b64 exec, exec, s[10:11]
	v_mov_b32_e32 v6, 0
	s_and_saveexec_b64 s[10:11], s[8:9]
	s_cbranch_execnz .LBB31_338
	s_branch .LBB31_339
.LBB31_567:
	s_mov_b64 s[6:7], -1
	s_mov_b64 s[2:3], 0
	s_mov_b64 s[4:5], s[60:61]
                                        ; implicit-def: $vgpr4
	s_branch .LBB31_571
.LBB31_568:
	s_andn2_saveexec_b64 s[10:11], s[10:11]
	s_cbranch_execz .LBB31_350
.LBB31_569:
	s_mov_b32 s14, 0x42800000
	v_add_f32_e64 v5, |v3|, s14
	v_and_b32_e32 v5, 0xff, v5
	v_cmp_ne_u32_e32 vcc, 0, v5
	s_andn2_b64 s[8:9], s[8:9], exec
	s_and_b64 s[14:15], vcc, exec
	s_or_b64 s[8:9], s[8:9], s[14:15]
	s_or_b64 exec, exec, s[10:11]
	v_mov_b32_e32 v6, 0
	s_and_saveexec_b64 s[10:11], s[8:9]
	s_cbranch_execnz .LBB31_351
	s_branch .LBB31_352
.LBB31_570:
	s_mov_b64 s[4:5], -1
                                        ; implicit-def: $vgpr4
	s_mov_b64 s[2:3], 0
.LBB31_571:
	s_and_b64 vcc, exec, s[6:7]
	s_cbranch_vccz .LBB31_575
; %bb.572:
	s_cmp_eq_u32 s8, 44
	s_cbranch_scc0 .LBB31_574
; %bb.573:
	global_load_ubyte v1, v[2:3], off
	s_mov_b64 s[2:3], -1
	s_mov_b64 s[4:5], 0
	s_waitcnt vmcnt(0)
	v_lshlrev_b32_e32 v4, 23, v1
	v_cvt_i32_f32_e32 v4, v4
	v_cmp_ne_u32_e32 vcc, 0, v1
	s_nop 1
	v_cndmask_b32_e32 v4, 0, v4, vcc
	s_branch .LBB31_575
.LBB31_574:
	s_mov_b64 s[4:5], -1
                                        ; implicit-def: $vgpr4
.LBB31_575:
	s_mov_b64 s[6:7], 0
.LBB31_576:
	s_and_b64 vcc, exec, s[6:7]
	s_cbranch_vccz .LBB31_580
; %bb.577:
	s_cmp_eq_u32 s8, 29
	s_cbranch_scc0 .LBB31_579
; %bb.578:
	global_load_dword v4, v[2:3], off
	s_mov_b64 s[2:3], -1
	s_mov_b64 s[4:5], 0
	s_branch .LBB31_580
.LBB31_579:
	s_mov_b64 s[4:5], -1
                                        ; implicit-def: $vgpr4
.LBB31_580:
	s_mov_b64 s[6:7], 0
.LBB31_581:
	s_and_b64 vcc, exec, s[6:7]
	s_cbranch_vccz .LBB31_597
; %bb.582:
	s_cmp_lt_i32 s8, 27
	s_cbranch_scc1 .LBB31_585
; %bb.583:
	s_cmp_gt_i32 s8, 27
	s_cbranch_scc0 .LBB31_586
; %bb.584:
	global_load_dword v4, v[2:3], off
	s_mov_b64 s[2:3], 0
	s_branch .LBB31_587
.LBB31_585:
	s_mov_b64 s[2:3], -1
                                        ; implicit-def: $vgpr4
	s_branch .LBB31_590
.LBB31_586:
	s_mov_b64 s[2:3], -1
                                        ; implicit-def: $vgpr4
.LBB31_587:
	s_andn2_b64 vcc, exec, s[2:3]
	s_cbranch_vccnz .LBB31_589
; %bb.588:
	global_load_ushort v4, v[2:3], off
.LBB31_589:
	s_mov_b64 s[2:3], 0
.LBB31_590:
	s_andn2_b64 vcc, exec, s[2:3]
	s_cbranch_vccnz .LBB31_596
; %bb.591:
	global_load_ubyte v1, v[2:3], off
	s_movk_i32 s2, 0x7f
	s_mov_b64 s[6:7], 0
	s_waitcnt vmcnt(0)
	v_cmp_lt_i16_e32 vcc, s2, v1
	s_and_saveexec_b64 s[2:3], vcc
	s_xor_b64 s[2:3], exec, s[2:3]
	s_cbranch_execz .LBB31_608
; %bb.592:
	s_movk_i32 s6, 0x80
	v_cmp_ne_u16_e32 vcc, s6, v1
	s_and_b64 s[6:7], vcc, exec
	s_andn2_saveexec_b64 s[2:3], s[2:3]
	s_cbranch_execnz .LBB31_609
.LBB31_593:
	s_or_b64 exec, exec, s[2:3]
	v_mov_b32_e32 v4, 0
	s_and_saveexec_b64 s[2:3], s[6:7]
	s_cbranch_execz .LBB31_595
.LBB31_594:
	v_lshlrev_b32_e32 v4, 24, v1
	v_and_b32_e32 v1, 0xffff, v1
	v_and_b32_e32 v5, 7, v1
	v_ffbh_u32_e32 v7, v5
	v_min_u32_e32 v7, 32, v7
	v_subrev_u32_e32 v9, 28, v7
	v_bfe_u32 v6, v1, 3, 4
	v_lshlrev_b32_e32 v1, v9, v1
	v_sub_u32_e32 v7, 29, v7
	v_and_b32_e32 v1, 7, v1
	v_cmp_eq_u32_e32 vcc, 0, v6
	v_and_b32_e32 v4, 0x80000000, v4
	s_nop 0
	v_cndmask_b32_e32 v6, v6, v7, vcc
	v_cndmask_b32_e32 v1, v5, v1, vcc
	v_mov_b32_e32 v5, 0x3b800000
	v_lshlrev_b32_e32 v1, 20, v1
	v_lshl_add_u32 v5, v6, 23, v5
	v_or3_b32 v1, v4, v5, v1
	v_cvt_i32_f32_e32 v4, v1
.LBB31_595:
	s_or_b64 exec, exec, s[2:3]
.LBB31_596:
	s_mov_b64 s[2:3], -1
.LBB31_597:
	s_mov_b64 s[6:7], 0
.LBB31_598:
	s_and_b64 vcc, exec, s[6:7]
	s_cbranch_vccz .LBB31_631
; %bb.599:
	s_cmp_gt_i32 s8, 22
	s_cbranch_scc0 .LBB31_607
; %bb.600:
	s_cmp_lt_i32 s8, 24
	s_cbranch_scc1 .LBB31_610
; %bb.601:
	s_cmp_gt_i32 s8, 24
	s_cbranch_scc0 .LBB31_611
; %bb.602:
	global_load_ubyte v1, v[2:3], off
	s_movk_i32 s2, 0x7f
	s_mov_b64 s[6:7], 0
	s_waitcnt vmcnt(0)
	v_cmp_lt_i16_e32 vcc, s2, v1
	s_and_saveexec_b64 s[2:3], vcc
	s_xor_b64 s[2:3], exec, s[2:3]
	s_cbranch_execz .LBB31_623
; %bb.603:
	s_movk_i32 s6, 0x80
	v_cmp_ne_u16_e32 vcc, s6, v1
	s_and_b64 s[6:7], vcc, exec
	s_andn2_saveexec_b64 s[2:3], s[2:3]
	s_cbranch_execnz .LBB31_624
.LBB31_604:
	s_or_b64 exec, exec, s[2:3]
	v_mov_b32_e32 v4, 0
	s_and_saveexec_b64 s[2:3], s[6:7]
	s_cbranch_execz .LBB31_606
.LBB31_605:
	v_lshlrev_b32_e32 v4, 24, v1
	v_and_b32_e32 v1, 0xffff, v1
	v_and_b32_e32 v5, 3, v1
	v_ffbh_u32_e32 v7, v5
	v_min_u32_e32 v7, 32, v7
	v_subrev_u32_e32 v9, 29, v7
	v_bfe_u32 v6, v1, 2, 5
	v_lshlrev_b32_e32 v1, v9, v1
	v_sub_u32_e32 v7, 30, v7
	v_and_b32_e32 v1, 3, v1
	v_cmp_eq_u32_e32 vcc, 0, v6
	v_and_b32_e32 v4, 0x80000000, v4
	s_nop 0
	v_cndmask_b32_e32 v6, v6, v7, vcc
	v_cndmask_b32_e32 v1, v5, v1, vcc
	v_mov_b32_e32 v5, 0x37800000
	v_lshlrev_b32_e32 v1, 21, v1
	v_lshl_add_u32 v5, v6, 23, v5
	v_or3_b32 v1, v4, v5, v1
	v_cvt_i32_f32_e32 v4, v1
.LBB31_606:
	s_or_b64 exec, exec, s[2:3]
	s_mov_b64 s[2:3], 0
	s_branch .LBB31_612
.LBB31_607:
	s_mov_b64 s[6:7], -1
                                        ; implicit-def: $vgpr4
	s_branch .LBB31_618
.LBB31_608:
	s_andn2_saveexec_b64 s[2:3], s[2:3]
	s_cbranch_execz .LBB31_593
.LBB31_609:
	v_cmp_ne_u16_e32 vcc, 0, v1
	s_andn2_b64 s[6:7], s[6:7], exec
	s_and_b64 s[10:11], vcc, exec
	s_or_b64 s[6:7], s[6:7], s[10:11]
	s_or_b64 exec, exec, s[2:3]
	v_mov_b32_e32 v4, 0
	s_and_saveexec_b64 s[2:3], s[6:7]
	s_cbranch_execnz .LBB31_594
	s_branch .LBB31_595
.LBB31_610:
	s_mov_b64 s[2:3], -1
                                        ; implicit-def: $vgpr4
	s_branch .LBB31_615
.LBB31_611:
	s_mov_b64 s[2:3], -1
                                        ; implicit-def: $vgpr4
.LBB31_612:
	s_and_b64 vcc, exec, s[2:3]
	s_cbranch_vccz .LBB31_614
; %bb.613:
	global_load_ubyte v1, v[2:3], off
	s_mov_b32 s2, 0x7f800000
	s_waitcnt vmcnt(0)
	v_lshlrev_b32_e32 v1, 24, v1
	v_and_b32_e32 v4, 0x7f000000, v1
	v_ffbh_u32_e32 v5, v4
	v_min_u32_e32 v5, 32, v5
	v_sub_u32_e64 v5, v5, 4 clamp
	v_lshlrev_b32_e32 v7, v5, v4
	v_lshlrev_b32_e32 v5, 23, v5
	v_lshrrev_b32_e32 v7, 4, v7
	v_add_u32_e32 v6, 0x1000000, v4
	v_sub_u32_e32 v5, v7, v5
	v_ashrrev_i32_e32 v6, 8, v6
	v_add_u32_e32 v5, 0x3c000000, v5
	v_and_or_b32 v5, v6, s2, v5
	v_cmp_ne_u32_e32 vcc, 0, v4
	s_brev_b32 s2, 1
	s_nop 0
	v_cndmask_b32_e32 v4, 0, v5, vcc
	v_and_or_b32 v1, v1, s2, v4
	v_cvt_i32_f32_e32 v4, v1
.LBB31_614:
	s_mov_b64 s[2:3], 0
.LBB31_615:
	s_andn2_b64 vcc, exec, s[2:3]
	s_cbranch_vccnz .LBB31_617
; %bb.616:
	global_load_ubyte v1, v[2:3], off
	s_movk_i32 s2, 0x7f00
	s_brev_b32 s3, 16
	s_waitcnt vmcnt(0)
	v_lshlrev_b16_e32 v4, 8, v1
	v_lshlrev_b32_e32 v1, 25, v1
	v_lshrrev_b32_e32 v5, 4, v1
	v_and_or_b32 v6, v4, s2, 0.5
	v_or_b32_e32 v5, 0x70000000, v5
	v_add_f32_e32 v6, -0.5, v6
	v_mul_f32_e32 v5, 0x7800000, v5
	v_cmp_gt_u32_e32 vcc, s3, v1
	v_bfe_i32 v4, v4, 0, 16
	s_brev_b32 s2, 1
	v_cndmask_b32_e32 v1, v5, v6, vcc
	v_and_or_b32 v1, v4, s2, v1
	v_cvt_i32_f32_e32 v4, v1
.LBB31_617:
	s_mov_b64 s[6:7], 0
	s_mov_b64 s[2:3], -1
.LBB31_618:
	s_andn2_b64 vcc, exec, s[6:7]
	s_cbranch_vccnz .LBB31_631
; %bb.619:
	s_cmp_gt_i32 s8, 14
	s_cbranch_scc0 .LBB31_622
; %bb.620:
	s_cmp_eq_u32 s8, 15
	s_cbranch_scc0 .LBB31_625
; %bb.621:
	global_load_ushort v1, v[2:3], off
	s_mov_b64 s[2:3], -1
	s_mov_b64 s[4:5], 0
	s_waitcnt vmcnt(0)
	v_lshlrev_b32_e32 v1, 16, v1
	v_cvt_i32_f32_e32 v4, v1
	s_branch .LBB31_626
.LBB31_622:
	s_mov_b64 s[6:7], -1
                                        ; implicit-def: $vgpr4
	s_branch .LBB31_627
.LBB31_623:
	s_andn2_saveexec_b64 s[2:3], s[2:3]
	s_cbranch_execz .LBB31_604
.LBB31_624:
	v_cmp_ne_u16_e32 vcc, 0, v1
	s_andn2_b64 s[6:7], s[6:7], exec
	s_and_b64 s[10:11], vcc, exec
	s_or_b64 s[6:7], s[6:7], s[10:11]
	s_or_b64 exec, exec, s[2:3]
	v_mov_b32_e32 v4, 0
	s_and_saveexec_b64 s[2:3], s[6:7]
	s_cbranch_execnz .LBB31_605
	s_branch .LBB31_606
.LBB31_625:
	s_mov_b64 s[4:5], -1
                                        ; implicit-def: $vgpr4
.LBB31_626:
	s_mov_b64 s[6:7], 0
.LBB31_627:
	s_and_b64 vcc, exec, s[6:7]
	s_cbranch_vccz .LBB31_631
; %bb.628:
	s_cmp_eq_u32 s8, 11
	s_cbranch_scc0 .LBB31_630
; %bb.629:
	global_load_ubyte v1, v[2:3], off
	s_mov_b64 s[2:3], -1
	s_mov_b64 s[4:5], 0
	s_waitcnt vmcnt(0)
	v_cmp_ne_u16_e32 vcc, 0, v1
	s_nop 1
	v_cndmask_b32_e64 v4, 0, 1, vcc
	s_branch .LBB31_631
.LBB31_630:
	s_mov_b64 s[4:5], -1
                                        ; implicit-def: $vgpr4
.LBB31_631:
	s_mov_b64 s[6:7], 0
.LBB31_632:
	s_and_b64 vcc, exec, s[6:7]
	s_cbranch_vccz .LBB31_681
; %bb.633:
	s_cmp_lt_i32 s8, 5
	s_cbranch_scc1 .LBB31_638
; %bb.634:
	s_cmp_lt_i32 s8, 8
	s_cbranch_scc1 .LBB31_639
	;; [unrolled: 3-line block ×3, first 2 shown]
; %bb.636:
	s_cmp_gt_i32 s8, 9
	s_cbranch_scc0 .LBB31_641
; %bb.637:
	global_load_dwordx2 v[4:5], v[2:3], off
	s_mov_b64 s[2:3], 0
	s_waitcnt vmcnt(0)
	v_cvt_i32_f64_e32 v4, v[4:5]
	s_branch .LBB31_642
.LBB31_638:
	s_mov_b64 s[2:3], -1
                                        ; implicit-def: $vgpr4
	s_branch .LBB31_660
.LBB31_639:
	s_mov_b64 s[2:3], -1
                                        ; implicit-def: $vgpr4
	s_branch .LBB31_648
.LBB31_640:
	s_mov_b64 s[2:3], -1
                                        ; implicit-def: $vgpr4
	s_branch .LBB31_645
.LBB31_641:
	s_mov_b64 s[2:3], -1
                                        ; implicit-def: $vgpr4
.LBB31_642:
	s_andn2_b64 vcc, exec, s[2:3]
	s_cbranch_vccnz .LBB31_644
; %bb.643:
	global_load_dword v1, v[2:3], off
	s_waitcnt vmcnt(0)
	v_cvt_i32_f32_e32 v4, v1
.LBB31_644:
	s_mov_b64 s[2:3], 0
.LBB31_645:
	s_andn2_b64 vcc, exec, s[2:3]
	s_cbranch_vccnz .LBB31_647
; %bb.646:
	global_load_dword v1, v[2:3], off
	s_waitcnt vmcnt(0)
	v_cvt_f32_f16_e32 v1, v1
	v_cvt_i32_f32_e32 v4, v1
.LBB31_647:
	s_mov_b64 s[2:3], 0
.LBB31_648:
	s_andn2_b64 vcc, exec, s[2:3]
	s_cbranch_vccnz .LBB31_659
; %bb.649:
	s_cmp_lt_i32 s8, 6
	s_cbranch_scc1 .LBB31_652
; %bb.650:
	s_cmp_gt_i32 s8, 6
	s_cbranch_scc0 .LBB31_653
; %bb.651:
	global_load_dwordx2 v[4:5], v[2:3], off
	s_mov_b64 s[2:3], 0
	s_waitcnt vmcnt(0)
	v_cvt_i32_f64_e32 v4, v[4:5]
	s_branch .LBB31_654
.LBB31_652:
	s_mov_b64 s[2:3], -1
                                        ; implicit-def: $vgpr4
	s_branch .LBB31_657
.LBB31_653:
	s_mov_b64 s[2:3], -1
                                        ; implicit-def: $vgpr4
.LBB31_654:
	s_andn2_b64 vcc, exec, s[2:3]
	s_cbranch_vccnz .LBB31_656
; %bb.655:
	global_load_dword v1, v[2:3], off
	s_waitcnt vmcnt(0)
	v_cvt_i32_f32_e32 v4, v1
.LBB31_656:
	s_mov_b64 s[2:3], 0
.LBB31_657:
	s_andn2_b64 vcc, exec, s[2:3]
	s_cbranch_vccnz .LBB31_659
; %bb.658:
	global_load_ushort v1, v[2:3], off
	s_waitcnt vmcnt(0)
	v_cvt_f32_f16_e32 v1, v1
	v_cvt_i32_f32_e32 v4, v1
.LBB31_659:
	s_mov_b64 s[2:3], 0
.LBB31_660:
	s_andn2_b64 vcc, exec, s[2:3]
	s_cbranch_vccnz .LBB31_680
; %bb.661:
	s_cmp_lt_i32 s8, 2
	s_cbranch_scc1 .LBB31_665
; %bb.662:
	s_cmp_lt_i32 s8, 3
	s_cbranch_scc1 .LBB31_666
; %bb.663:
	s_cmp_gt_i32 s8, 3
	s_cbranch_scc0 .LBB31_667
; %bb.664:
	global_load_dword v4, v[2:3], off
	s_mov_b64 s[2:3], 0
	s_branch .LBB31_668
.LBB31_665:
	s_mov_b64 s[2:3], -1
                                        ; implicit-def: $vgpr4
	s_branch .LBB31_674
.LBB31_666:
	s_mov_b64 s[2:3], -1
                                        ; implicit-def: $vgpr4
	s_branch .LBB31_671
.LBB31_667:
	s_mov_b64 s[2:3], -1
                                        ; implicit-def: $vgpr4
.LBB31_668:
	s_andn2_b64 vcc, exec, s[2:3]
	s_cbranch_vccnz .LBB31_670
; %bb.669:
	global_load_dword v4, v[2:3], off
.LBB31_670:
	s_mov_b64 s[2:3], 0
.LBB31_671:
	s_andn2_b64 vcc, exec, s[2:3]
	s_cbranch_vccnz .LBB31_673
; %bb.672:
	global_load_sshort v4, v[2:3], off
.LBB31_673:
	s_mov_b64 s[2:3], 0
.LBB31_674:
	s_andn2_b64 vcc, exec, s[2:3]
	s_cbranch_vccnz .LBB31_680
; %bb.675:
	s_cmp_gt_i32 s8, 0
	s_cbranch_scc0 .LBB31_677
; %bb.676:
	global_load_sbyte v4, v[2:3], off
	s_mov_b64 s[2:3], 0
	s_branch .LBB31_678
.LBB31_677:
	s_mov_b64 s[2:3], -1
                                        ; implicit-def: $vgpr4
.LBB31_678:
	s_andn2_b64 vcc, exec, s[2:3]
	s_cbranch_vccnz .LBB31_680
; %bb.679:
	global_load_ubyte v4, v[2:3], off
.LBB31_680:
	s_mov_b64 s[2:3], -1
.LBB31_681:
	s_andn2_b64 vcc, exec, s[2:3]
	s_cbranch_vccnz .LBB31_689
; %bb.682:
	v_mov_b32_e32 v1, 0
	s_and_b32 s12, s73, 0xff
	s_waitcnt vmcnt(0)
	v_not_b32_e32 v2, v4
	s_cmp_lt_i32 s12, 11
	v_lshl_add_u64 v[0:1], s[20:21], 0, v[0:1]
	s_cbranch_scc1 .LBB31_690
; %bb.683:
	s_and_b32 s13, 0xffff, s12
	s_cmp_gt_i32 s13, 25
	s_cbranch_scc0 .LBB31_691
; %bb.684:
	s_cmp_gt_i32 s13, 28
	s_cbranch_scc0 .LBB31_692
; %bb.685:
	;; [unrolled: 3-line block ×4, first 2 shown]
	s_mov_b64 s[8:9], 0
	s_mov_b64 s[2:3], -1
	s_cmp_eq_u32 s13, 46
	s_mov_b64 s[6:7], 0
	s_cbranch_scc0 .LBB31_695
; %bb.688:
	v_cvt_f32_i32_e32 v3, v2
	s_movk_i32 s2, 0x7fff
	s_mov_b64 s[6:7], -1
	v_bfe_u32 v5, v3, 16, 1
	v_add3_u32 v3, v3, v5, s2
	v_lshrrev_b32_e32 v3, 16, v3
	global_store_dword v[0:1], v3, off
	s_mov_b64 s[2:3], 0
	s_branch .LBB31_695
.LBB31_689:
	s_mov_b64 s[6:7], 0
	s_mov_b64 s[2:3], s[62:63]
	s_branch .LBB31_806
.LBB31_690:
	s_mov_b64 s[8:9], -1
	s_mov_b64 s[6:7], 0
	s_mov_b64 s[2:3], s[62:63]
	s_branch .LBB31_764
.LBB31_691:
	s_mov_b64 s[8:9], -1
	s_mov_b64 s[6:7], 0
	s_mov_b64 s[2:3], s[62:63]
	s_branch .LBB31_722
.LBB31_692:
	s_mov_b64 s[8:9], -1
	s_mov_b64 s[6:7], 0
	s_mov_b64 s[2:3], s[62:63]
	s_branch .LBB31_705
.LBB31_693:
	s_mov_b64 s[8:9], -1
	s_mov_b64 s[6:7], 0
	s_mov_b64 s[2:3], s[62:63]
	s_branch .LBB31_701
.LBB31_694:
	s_mov_b64 s[8:9], -1
	s_mov_b64 s[6:7], 0
	s_mov_b64 s[2:3], s[62:63]
.LBB31_695:
	s_and_b64 vcc, exec, s[8:9]
	s_cbranch_vccz .LBB31_700
; %bb.696:
	s_cmp_eq_u32 s13, 44
	s_mov_b64 s[2:3], -1
	s_cbranch_scc0 .LBB31_700
; %bb.697:
	v_cvt_f32_i32_e32 v3, v2
	s_movk_i32 s2, 0xff
	v_mov_b32_e32 v6, 0xff
	v_bfe_u32 v5, v3, 23, 8
	v_cmp_ne_u32_e32 vcc, s2, v5
	s_and_saveexec_b64 s[6:7], vcc
; %bb.698:
	s_mov_b32 s2, 0x3fffff
	v_lshrrev_b32_e32 v6, 23, v3
	v_and_b32_e32 v7, 0x400000, v3
	v_and_or_b32 v3, v3, s2, v5
	v_cmp_ne_u32_e32 vcc, 0, v7
	v_cmp_ne_u32_e64 s[2:3], 0, v3
	s_and_b64 s[2:3], vcc, s[2:3]
	s_nop 0
	v_cndmask_b32_e64 v3, 0, 1, s[2:3]
	v_add_u32_e32 v6, v6, v3
; %bb.699:
	s_or_b64 exec, exec, s[6:7]
	s_mov_b64 s[6:7], -1
	s_mov_b64 s[2:3], 0
	global_store_byte v[0:1], v6, off
.LBB31_700:
	s_mov_b64 s[8:9], 0
.LBB31_701:
	s_and_b64 vcc, exec, s[8:9]
	s_cbranch_vccz .LBB31_704
; %bb.702:
	s_cmp_eq_u32 s13, 29
	s_mov_b64 s[2:3], -1
	s_cbranch_scc0 .LBB31_704
; %bb.703:
	v_ashrrev_i32_e32 v3, 31, v2
	global_store_dwordx2 v[0:1], v[2:3], off
	s_mov_b64 s[6:7], -1
	s_mov_b64 s[2:3], 0
.LBB31_704:
	s_mov_b64 s[8:9], 0
.LBB31_705:
	s_and_b64 vcc, exec, s[8:9]
	s_cbranch_vccz .LBB31_721
; %bb.706:
	s_cmp_lt_i32 s13, 27
	s_mov_b64 s[6:7], -1
	s_cbranch_scc1 .LBB31_712
; %bb.707:
	s_cmp_gt_i32 s13, 27
	s_cbranch_scc0 .LBB31_709
; %bb.708:
	s_mov_b64 s[6:7], 0
	global_store_dword v[0:1], v2, off
.LBB31_709:
	s_andn2_b64 vcc, exec, s[6:7]
	s_cbranch_vccnz .LBB31_711
; %bb.710:
	global_store_short v[0:1], v2, off
.LBB31_711:
	s_mov_b64 s[6:7], 0
.LBB31_712:
	s_andn2_b64 vcc, exec, s[6:7]
	s_cbranch_vccnz .LBB31_720
; %bb.713:
	v_cvt_f32_i32_e32 v3, v2
	s_mov_b32 s6, 0x43800000
	v_mov_b32_e32 v6, 0x80
	v_and_b32_e32 v5, 0x7fffffff, v3
	v_cmp_gt_u32_e32 vcc, s6, v5
	s_and_saveexec_b64 s[6:7], vcc
	s_cbranch_execz .LBB31_719
; %bb.714:
	s_mov_b32 s8, 0x3bffffff
	v_cmp_lt_u32_e32 vcc, s8, v5
	s_mov_b64 s[8:9], 0
                                        ; implicit-def: $vgpr5
	s_and_saveexec_b64 s[10:11], vcc
	s_xor_b64 s[10:11], exec, s[10:11]
	s_cbranch_execz .LBB31_837
; %bb.715:
	v_bfe_u32 v5, v3, 20, 1
	s_mov_b32 s14, 0x487ffff
	v_add3_u32 v5, v3, v5, s14
	s_mov_b64 s[8:9], exec
	v_lshrrev_b32_e32 v5, 20, v5
	s_andn2_saveexec_b64 s[10:11], s[10:11]
	s_cbranch_execnz .LBB31_838
.LBB31_716:
	s_or_b64 exec, exec, s[10:11]
	v_mov_b32_e32 v6, 0
	s_and_saveexec_b64 s[10:11], s[8:9]
.LBB31_717:
	v_lshrrev_b32_e32 v3, 24, v3
	s_movk_i32 s8, 0x80
	v_and_or_b32 v6, v3, s8, v5
.LBB31_718:
	s_or_b64 exec, exec, s[10:11]
.LBB31_719:
	s_or_b64 exec, exec, s[6:7]
	global_store_byte v[0:1], v6, off
.LBB31_720:
	s_mov_b64 s[6:7], -1
.LBB31_721:
	s_mov_b64 s[8:9], 0
.LBB31_722:
	s_and_b64 vcc, exec, s[8:9]
	s_cbranch_vccz .LBB31_763
; %bb.723:
	s_cmp_gt_i32 s13, 22
	s_mov_b64 s[8:9], -1
	s_cbranch_scc0 .LBB31_755
; %bb.724:
	s_cmp_lt_i32 s13, 24
	s_mov_b64 s[6:7], -1
	s_cbranch_scc1 .LBB31_744
; %bb.725:
	s_cmp_gt_i32 s13, 24
	s_cbranch_scc0 .LBB31_733
; %bb.726:
	v_cvt_f32_i32_e32 v3, v2
	s_mov_b32 s6, 0x47800000
	v_mov_b32_e32 v6, 0x80
	v_and_b32_e32 v5, 0x7fffffff, v3
	v_cmp_gt_u32_e32 vcc, s6, v5
	s_and_saveexec_b64 s[6:7], vcc
	s_cbranch_execz .LBB31_732
; %bb.727:
	s_mov_b32 s8, 0x37ffffff
	v_cmp_lt_u32_e32 vcc, s8, v5
	s_mov_b64 s[8:9], 0
                                        ; implicit-def: $vgpr5
	s_and_saveexec_b64 s[10:11], vcc
	s_xor_b64 s[10:11], exec, s[10:11]
	s_cbranch_execz .LBB31_840
; %bb.728:
	v_bfe_u32 v5, v3, 21, 1
	s_mov_b32 s14, 0x88fffff
	v_add3_u32 v5, v3, v5, s14
	s_mov_b64 s[8:9], exec
	v_lshrrev_b32_e32 v5, 21, v5
	s_andn2_saveexec_b64 s[10:11], s[10:11]
	s_cbranch_execnz .LBB31_841
.LBB31_729:
	s_or_b64 exec, exec, s[10:11]
	v_mov_b32_e32 v6, 0
	s_and_saveexec_b64 s[10:11], s[8:9]
.LBB31_730:
	v_lshrrev_b32_e32 v3, 24, v3
	s_movk_i32 s8, 0x80
	v_and_or_b32 v6, v3, s8, v5
.LBB31_731:
	s_or_b64 exec, exec, s[10:11]
.LBB31_732:
	s_or_b64 exec, exec, s[6:7]
	s_mov_b64 s[6:7], 0
	global_store_byte v[0:1], v6, off
.LBB31_733:
	s_and_b64 vcc, exec, s[6:7]
	s_cbranch_vccz .LBB31_743
; %bb.734:
	v_cvt_f32_i32_e32 v3, v2
	s_mov_b32 s6, 0x43f00000
                                        ; implicit-def: $vgpr5
	v_and_b32_e32 v6, 0x7fffffff, v3
	v_cmp_gt_u32_e32 vcc, s6, v6
	s_and_saveexec_b64 s[6:7], vcc
	s_xor_b64 s[6:7], exec, s[6:7]
	s_cbranch_execz .LBB31_740
; %bb.735:
	s_mov_b32 s8, 0x3c7fffff
	v_cmp_lt_u32_e32 vcc, s8, v6
                                        ; implicit-def: $vgpr5
	s_and_saveexec_b64 s[8:9], vcc
	s_xor_b64 s[8:9], exec, s[8:9]
; %bb.736:
	v_bfe_u32 v5, v3, 20, 1
	s_mov_b32 s10, 0x407ffff
	v_add3_u32 v5, v3, v5, s10
	v_lshrrev_b32_e32 v6, 20, v5
	v_and_b32_e32 v5, 0xff00000, v5
	s_mov_b32 s10, 0x7f00000
	v_mov_b32_e32 v7, 0x7e
	v_cmp_ne_u32_e32 vcc, s10, v5
	s_nop 1
	v_cndmask_b32_e32 v5, v7, v6, vcc
; %bb.737:
	s_andn2_saveexec_b64 s[8:9], s[8:9]
; %bb.738:
	s_mov_b32 s10, 0x46800000
	v_add_f32_e64 v5, |v3|, s10
; %bb.739:
	s_or_b64 exec, exec, s[8:9]
                                        ; implicit-def: $vgpr6
.LBB31_740:
	s_andn2_saveexec_b64 s[6:7], s[6:7]
; %bb.741:
	s_mov_b32 s8, 0x7f800000
	v_mov_b32_e32 v5, 0x7e
	v_mov_b32_e32 v7, 0x7f
	v_cmp_lt_u32_e32 vcc, s8, v6
	s_nop 1
	v_cndmask_b32_e32 v5, v5, v7, vcc
; %bb.742:
	s_or_b64 exec, exec, s[6:7]
	v_lshrrev_b32_e32 v3, 24, v3
	s_movk_i32 s6, 0x80
	v_and_or_b32 v3, v3, s6, v5
	global_store_byte v[0:1], v3, off
.LBB31_743:
	s_mov_b64 s[6:7], 0
.LBB31_744:
	s_andn2_b64 vcc, exec, s[6:7]
	s_cbranch_vccnz .LBB31_754
; %bb.745:
	v_cvt_f32_i32_e32 v3, v2
	s_mov_b32 s6, 0x47800000
                                        ; implicit-def: $vgpr5
	v_and_b32_e32 v6, 0x7fffffff, v3
	v_cmp_gt_u32_e32 vcc, s6, v6
	s_and_saveexec_b64 s[6:7], vcc
	s_xor_b64 s[6:7], exec, s[6:7]
	s_cbranch_execz .LBB31_751
; %bb.746:
	s_mov_b32 s8, 0x387fffff
	v_cmp_lt_u32_e32 vcc, s8, v6
                                        ; implicit-def: $vgpr5
	s_and_saveexec_b64 s[8:9], vcc
	s_xor_b64 s[8:9], exec, s[8:9]
; %bb.747:
	v_bfe_u32 v5, v3, 21, 1
	s_mov_b32 s10, 0x80fffff
	v_add3_u32 v5, v3, v5, s10
	v_lshrrev_b32_e32 v5, 21, v5
; %bb.748:
	s_andn2_saveexec_b64 s[8:9], s[8:9]
; %bb.749:
	s_mov_b32 s10, 0x43000000
	v_add_f32_e64 v5, |v3|, s10
; %bb.750:
	s_or_b64 exec, exec, s[8:9]
                                        ; implicit-def: $vgpr6
.LBB31_751:
	s_andn2_saveexec_b64 s[6:7], s[6:7]
; %bb.752:
	s_mov_b32 s8, 0x7f800000
	v_mov_b32_e32 v5, 0x7c
	v_mov_b32_e32 v7, 0x7f
	v_cmp_lt_u32_e32 vcc, s8, v6
	s_nop 1
	v_cndmask_b32_e32 v5, v5, v7, vcc
; %bb.753:
	s_or_b64 exec, exec, s[6:7]
	v_lshrrev_b32_e32 v3, 24, v3
	s_movk_i32 s6, 0x80
	v_and_or_b32 v3, v3, s6, v5
	global_store_byte v[0:1], v3, off
.LBB31_754:
	s_mov_b64 s[8:9], 0
	s_mov_b64 s[6:7], -1
.LBB31_755:
	s_andn2_b64 vcc, exec, s[8:9]
	s_cbranch_vccnz .LBB31_763
; %bb.756:
	s_cmp_gt_i32 s13, 14
	s_mov_b64 s[8:9], -1
	s_cbranch_scc0 .LBB31_760
; %bb.757:
	s_cmp_eq_u32 s13, 15
	s_mov_b64 s[2:3], -1
	s_cbranch_scc0 .LBB31_759
; %bb.758:
	v_cvt_f32_i32_e32 v3, v2
	s_movk_i32 s2, 0x7fff
	s_mov_b64 s[6:7], -1
	v_bfe_u32 v5, v3, 16, 1
	v_add3_u32 v3, v3, v5, s2
	global_store_short_d16_hi v[0:1], v3, off
	s_mov_b64 s[2:3], 0
.LBB31_759:
	s_mov_b64 s[8:9], 0
.LBB31_760:
	s_and_b64 vcc, exec, s[8:9]
	s_cbranch_vccz .LBB31_763
; %bb.761:
	s_cmp_eq_u32 s13, 11
	s_mov_b64 s[2:3], -1
	s_cbranch_scc0 .LBB31_763
; %bb.762:
	v_cmp_ne_u32_e32 vcc, -1, v4
	s_mov_b64 s[6:7], -1
	s_mov_b64 s[2:3], 0
	v_cndmask_b32_e64 v3, 0, 1, vcc
	global_store_byte v[0:1], v3, off
.LBB31_763:
	s_mov_b64 s[8:9], 0
.LBB31_764:
	s_and_b64 vcc, exec, s[8:9]
	s_cbranch_vccz .LBB31_803
; %bb.765:
	s_and_b32 s8, 0xffff, s12
	s_cmp_lt_i32 s8, 5
	s_mov_b64 s[6:7], -1
	s_cbranch_scc1 .LBB31_786
; %bb.766:
	s_cmp_lt_i32 s8, 8
	s_cbranch_scc1 .LBB31_776
; %bb.767:
	s_cmp_lt_i32 s8, 9
	s_cbranch_scc1 .LBB31_773
; %bb.768:
	s_cmp_gt_i32 s8, 9
	s_cbranch_scc0 .LBB31_770
; %bb.769:
	v_mov_b32_e32 v6, 0
	v_cvt_f64_i32_e32 v[4:5], v2
	v_mov_b32_e32 v7, v6
	s_mov_b64 s[6:7], 0
	global_store_dwordx4 v[0:1], v[4:7], off
.LBB31_770:
	s_andn2_b64 vcc, exec, s[6:7]
	s_cbranch_vccnz .LBB31_772
; %bb.771:
	v_cvt_f32_i32_e32 v4, v2
	v_mov_b32_e32 v5, 0
	global_store_dwordx2 v[0:1], v[4:5], off
.LBB31_772:
	s_mov_b64 s[6:7], 0
.LBB31_773:
	s_andn2_b64 vcc, exec, s[6:7]
	s_cbranch_vccnz .LBB31_775
; %bb.774:
	v_cvt_f32_i32_e32 v3, v2
	v_cvt_f16_f32_e32 v3, v3
	global_store_dword v[0:1], v3, off
.LBB31_775:
	s_mov_b64 s[6:7], 0
.LBB31_776:
	s_andn2_b64 vcc, exec, s[6:7]
	s_cbranch_vccnz .LBB31_785
; %bb.777:
	s_cmp_lt_i32 s8, 6
	s_mov_b64 s[6:7], -1
	s_cbranch_scc1 .LBB31_783
; %bb.778:
	s_cmp_gt_i32 s8, 6
	s_cbranch_scc0 .LBB31_780
; %bb.779:
	v_cvt_f64_i32_e32 v[4:5], v2
	s_mov_b64 s[6:7], 0
	global_store_dwordx2 v[0:1], v[4:5], off
.LBB31_780:
	s_andn2_b64 vcc, exec, s[6:7]
	s_cbranch_vccnz .LBB31_782
; %bb.781:
	v_cvt_f32_i32_e32 v3, v2
	global_store_dword v[0:1], v3, off
.LBB31_782:
	s_mov_b64 s[6:7], 0
.LBB31_783:
	s_andn2_b64 vcc, exec, s[6:7]
	s_cbranch_vccnz .LBB31_785
; %bb.784:
	v_cvt_f32_i32_e32 v3, v2
	v_cvt_f16_f32_e32 v3, v3
	global_store_short v[0:1], v3, off
.LBB31_785:
	s_mov_b64 s[6:7], 0
.LBB31_786:
	s_andn2_b64 vcc, exec, s[6:7]
	s_cbranch_vccnz .LBB31_802
; %bb.787:
	s_cmp_lt_i32 s8, 2
	s_mov_b64 s[6:7], -1
	s_cbranch_scc1 .LBB31_797
; %bb.788:
	s_cmp_lt_i32 s8, 3
	s_cbranch_scc1 .LBB31_794
; %bb.789:
	s_cmp_gt_i32 s8, 3
	s_cbranch_scc0 .LBB31_791
; %bb.790:
	v_ashrrev_i32_e32 v3, 31, v2
	s_mov_b64 s[6:7], 0
	global_store_dwordx2 v[0:1], v[2:3], off
.LBB31_791:
	s_andn2_b64 vcc, exec, s[6:7]
	s_cbranch_vccnz .LBB31_793
; %bb.792:
	global_store_dword v[0:1], v2, off
.LBB31_793:
	s_mov_b64 s[6:7], 0
.LBB31_794:
	s_andn2_b64 vcc, exec, s[6:7]
	s_cbranch_vccnz .LBB31_796
; %bb.795:
	global_store_short v[0:1], v2, off
.LBB31_796:
	s_mov_b64 s[6:7], 0
.LBB31_797:
	s_andn2_b64 vcc, exec, s[6:7]
	s_cbranch_vccnz .LBB31_802
; %bb.798:
	s_cmp_gt_i32 s8, 0
	s_mov_b64 s[6:7], -1
	s_cbranch_scc0 .LBB31_800
; %bb.799:
	s_mov_b64 s[6:7], 0
	global_store_byte v[0:1], v2, off
.LBB31_800:
	s_andn2_b64 vcc, exec, s[6:7]
	s_cbranch_vccnz .LBB31_802
; %bb.801:
	global_store_byte v[0:1], v2, off
.LBB31_802:
	s_mov_b64 s[6:7], -1
.LBB31_803:
	s_andn2_b64 vcc, exec, s[6:7]
	s_cbranch_vccnz .LBB31_805
; %bb.804:
	v_add_u32_e32 v8, 0x80, v8
	s_mov_b64 s[6:7], -1
	s_branch .LBB31_807
.LBB31_805:
	s_mov_b64 s[6:7], 0
.LBB31_806:
                                        ; implicit-def: $vgpr8
.LBB31_807:
	s_andn2_b64 s[8:9], s[62:63], exec
	s_and_b64 s[2:3], s[2:3], exec
	s_or_b64 s[68:69], s[8:9], s[2:3]
	s_andn2_b64 s[2:3], s[60:61], exec
	s_and_b64 s[4:5], s[4:5], exec
	s_or_b64 s[2:3], s[2:3], s[4:5]
	s_orn2_b64 s[6:7], s[6:7], exec
.LBB31_808:
	s_or_b64 exec, exec, s[66:67]
	s_mov_b64 s[4:5], 0
	s_mov_b64 s[10:11], 0
	;; [unrolled: 1-line block ×3, first 2 shown]
                                        ; implicit-def: $vgpr2_vgpr3
                                        ; implicit-def: $vgpr0
                                        ; implicit-def: $vgpr6
	s_and_saveexec_b64 s[66:67], s[6:7]
	s_cbranch_execz .LBB31_904
; %bb.809:
	v_cmp_gt_i32_e32 vcc, s70, v8
	s_mov_b64 s[6:7], 0
	s_mov_b64 s[12:13], s[2:3]
                                        ; implicit-def: $vgpr2_vgpr3
                                        ; implicit-def: $vgpr0
                                        ; implicit-def: $vgpr6
	s_and_saveexec_b64 s[70:71], vcc
	s_cbranch_execz .LBB31_903
; %bb.810:
	s_andn2_b64 vcc, exec, s[42:43]
	s_cbranch_vccnz .LBB31_816
; %bb.811:
	s_andn2_b64 vcc, exec, s[52:53]
	s_cbranch_vccnz .LBB31_817
; %bb.812:
	s_add_i32 s76, s75, 1
	s_cmp_eq_u32 s72, 2
	s_cbranch_scc1 .LBB31_818
; %bb.813:
	s_and_b32 s75, s76, 28
	s_mov_b32 s77, 0
	v_mov_b32_e32 v0, 0
	v_mov_b32_e32 v2, 0
	s_mov_b64 s[52:53], s[34:35]
	s_waitcnt vmcnt(0)
	v_mov_b32_e32 v4, v8
.LBB31_814:                             ; =>This Inner Loop Header: Depth=1
	s_load_dwordx8 s[12:19], s[52:53], 0x4
	s_load_dwordx4 s[36:39], s[52:53], 0x24
	s_load_dwordx8 s[4:11], s[50:51], 0x0
	s_add_u32 s52, s52, 48
	s_addc_u32 s53, s53, 0
	s_waitcnt lgkmcnt(0)
	v_mul_hi_u32 v1, s13, v4
	v_add_u32_e32 v1, v4, v1
	v_lshrrev_b32_e32 v1, s14, v1
	v_mul_lo_u32 v3, v1, s12
	v_mul_hi_u32 v5, s16, v1
	v_sub_u32_e32 v3, v4, v3
	v_add_u32_e32 v4, v1, v5
	v_lshrrev_b32_e32 v4, s17, v4
	v_mul_lo_u32 v6, v4, s15
	v_mul_hi_u32 v7, s19, v4
	v_sub_u32_e32 v1, v1, v6
	v_add_u32_e32 v6, v4, v7
	v_mul_lo_u32 v5, v3, s5
	v_mul_lo_u32 v3, v3, s4
	;; [unrolled: 1-line block ×4, first 2 shown]
	v_lshrrev_b32_e32 v6, s36, v6
	v_add3_u32 v0, v3, v0, v1
	v_mul_hi_u32 v3, s38, v6
	v_add3_u32 v1, v5, v2, v7
	v_mul_lo_u32 v2, v6, s18
	v_add_u32_e32 v3, v6, v3
	v_sub_u32_e32 v2, v4, v2
	v_lshrrev_b32_e32 v4, s39, v3
	s_add_i32 s77, s77, 4
	v_mul_lo_u32 v3, v4, s37
	s_add_u32 s50, s50, 32
	v_sub_u32_e32 v3, v6, v3
	s_addc_u32 s51, s51, 0
	v_mul_lo_u32 v5, v2, s8
	v_mul_lo_u32 v2, v2, s9
	;; [unrolled: 1-line block ×4, first 2 shown]
	s_cmp_eq_u32 s75, s77
	v_add3_u32 v2, v2, v1, v3
	v_add3_u32 v0, v5, v0, v6
	s_cbranch_scc0 .LBB31_814
; %bb.815:
	v_mov_b32_e32 v1, v2
	s_branch .LBB31_819
.LBB31_816:
	s_mov_b64 s[4:5], -1
                                        ; implicit-def: $vgpr2
                                        ; implicit-def: $vgpr0
	s_branch .LBB31_823
.LBB31_817:
	v_mov_b32_e32 v2, 0
	v_mov_b32_e32 v0, 0
	s_branch .LBB31_822
.LBB31_818:
	v_mov_b32_e32 v0, 0
	s_mov_b32 s75, 0
	v_mov_b32_e32 v1, v0
                                        ; implicit-def: $vgpr2
	s_waitcnt vmcnt(0)
	v_mov_b32_e32 v4, v8
.LBB31_819:
	s_and_b32 s8, s76, 3
	s_cmp_eq_u32 s8, 0
	s_cbranch_scc1 .LBB31_822
; %bb.820:
	s_lshl_b32 s4, s75, 3
	s_add_u32 s4, s34, s4
	s_addc_u32 s5, s35, 0
	s_add_u32 s4, s4, 0xc4
	s_addc_u32 s5, s5, 0
	s_mul_i32 s6, s75, 12
	s_add_u32 s6, s34, s6
	s_addc_u32 s7, s35, 0
.LBB31_821:                             ; =>This Inner Loop Header: Depth=1
	s_load_dwordx2 s[10:11], s[6:7], 0x4
	s_load_dword s9, s[6:7], 0xc
	s_load_dwordx2 s[12:13], s[4:5], 0x0
	v_mov_b32_e32 v2, v1
	s_add_u32 s6, s6, 12
	s_waitcnt lgkmcnt(0)
	v_mul_hi_u32 v1, s11, v4
	v_add_u32_e32 v1, v4, v1
	v_lshrrev_b32_e32 v1, s9, v1
	s_addc_u32 s7, s7, 0
	v_mul_lo_u32 v3, v1, s10
	s_add_u32 s4, s4, 8
	v_sub_u32_e32 v5, v4, v3
	s_addc_u32 s5, s5, 0
	s_add_i32 s8, s8, -1
	v_mov_b32_e32 v4, v1
	v_mad_u64_u32 v[2:3], s[10:11], v5, s13, v[2:3]
	v_mad_u64_u32 v[0:1], s[10:11], v5, s12, v[0:1]
	s_cmp_lg_u32 s8, 0
	v_mov_b32_e32 v1, v2
	s_cbranch_scc1 .LBB31_821
.LBB31_822:
	s_mov_b64 s[4:5], 0
.LBB31_823:
	s_andn2_b64 vcc, exec, s[4:5]
	s_cbranch_vccnz .LBB31_826
; %bb.824:
	s_waitcnt lgkmcnt(0)
	v_mul_hi_u32 v0, s29, v8
	v_add_u32_e32 v0, v8, v0
	v_lshrrev_b32_e32 v1, s30, v0
	v_mul_lo_u32 v0, v1, s28
	v_sub_u32_e32 v0, v8, v0
	v_mul_lo_u32 v2, v0, s25
	s_andn2_b64 vcc, exec, s[48:49]
	v_mul_lo_u32 v0, v0, s24
	s_cbranch_vccnz .LBB31_826
; %bb.825:
	v_mul_hi_u32 v3, s46, v1
	v_add_u32_e32 v3, v1, v3
	v_lshrrev_b32_e32 v3, s47, v3
	v_mul_lo_u32 v3, v3, s31
	v_sub_u32_e32 v3, v1, v3
	v_mad_u64_u32 v[0:1], s[4:5], v3, s26, v[0:1]
	v_mad_u64_u32 v[2:3], s[4:5], v3, s27, v[2:3]
.LBB31_826:
	v_mov_b32_e32 v3, 0
	s_and_b32 s12, 0xffff, s74
	s_cmp_lt_i32 s12, 11
	s_waitcnt lgkmcnt(0)
	v_lshl_add_u64 v[2:3], s[22:23], 0, v[2:3]
	s_cbranch_scc1 .LBB31_833
; %bb.827:
	s_cmp_gt_i32 s12, 25
	s_mov_b64 s[6:7], 0
	s_cbranch_scc0 .LBB31_834
; %bb.828:
	s_cmp_gt_i32 s12, 28
	s_cbranch_scc0 .LBB31_835
; %bb.829:
	s_cmp_gt_i32 s12, 43
	s_cbranch_scc0 .LBB31_836
; %bb.830:
	s_cmp_gt_i32 s12, 45
	s_cbranch_scc0 .LBB31_839
; %bb.831:
	s_cmp_eq_u32 s12, 46
	s_mov_b64 s[10:11], 0
	s_cbranch_scc0 .LBB31_842
; %bb.832:
	global_load_dword v1, v[2:3], off
	s_mov_b64 s[4:5], 0
	s_mov_b64 s[8:9], -1
	s_waitcnt vmcnt(0)
	v_lshlrev_b32_e32 v1, 16, v1
	v_cvt_i32_f32_e32 v6, v1
	s_branch .LBB31_843
.LBB31_833:
	s_mov_b64 s[10:11], -1
	s_mov_b64 s[8:9], 0
	s_mov_b64 s[6:7], 0
	;; [unrolled: 1-line block ×3, first 2 shown]
                                        ; implicit-def: $vgpr6
	s_branch .LBB31_902
.LBB31_834:
	s_mov_b64 s[10:11], -1
	s_mov_b64 s[8:9], 0
	s_mov_b64 s[4:5], s[2:3]
                                        ; implicit-def: $vgpr6
	s_branch .LBB31_870
.LBB31_835:
	s_mov_b64 s[10:11], -1
	s_mov_b64 s[8:9], 0
	s_mov_b64 s[4:5], s[2:3]
                                        ; implicit-def: $vgpr6
	s_branch .LBB31_853
.LBB31_836:
	s_mov_b64 s[10:11], -1
	s_mov_b64 s[8:9], 0
	s_mov_b64 s[4:5], s[2:3]
                                        ; implicit-def: $vgpr6
	s_branch .LBB31_848
.LBB31_837:
	s_andn2_saveexec_b64 s[10:11], s[10:11]
	s_cbranch_execz .LBB31_716
.LBB31_838:
	s_mov_b32 s14, 0x46000000
	v_add_f32_e64 v5, |v3|, s14
	v_and_b32_e32 v5, 0xff, v5
	v_cmp_ne_u32_e32 vcc, 0, v5
	s_andn2_b64 s[8:9], s[8:9], exec
	s_and_b64 s[14:15], vcc, exec
	s_or_b64 s[8:9], s[8:9], s[14:15]
	s_or_b64 exec, exec, s[10:11]
	v_mov_b32_e32 v6, 0
	s_and_saveexec_b64 s[10:11], s[8:9]
	s_cbranch_execnz .LBB31_717
	s_branch .LBB31_718
.LBB31_839:
	s_mov_b64 s[10:11], -1
	s_mov_b64 s[8:9], 0
	s_mov_b64 s[4:5], s[2:3]
                                        ; implicit-def: $vgpr6
	s_branch .LBB31_843
.LBB31_840:
	s_andn2_saveexec_b64 s[10:11], s[10:11]
	s_cbranch_execz .LBB31_729
.LBB31_841:
	s_mov_b32 s14, 0x42800000
	v_add_f32_e64 v5, |v3|, s14
	v_and_b32_e32 v5, 0xff, v5
	v_cmp_ne_u32_e32 vcc, 0, v5
	s_andn2_b64 s[8:9], s[8:9], exec
	s_and_b64 s[14:15], vcc, exec
	s_or_b64 s[8:9], s[8:9], s[14:15]
	s_or_b64 exec, exec, s[10:11]
	v_mov_b32_e32 v6, 0
	s_and_saveexec_b64 s[10:11], s[8:9]
	s_cbranch_execnz .LBB31_730
	s_branch .LBB31_731
.LBB31_842:
	s_mov_b64 s[4:5], -1
                                        ; implicit-def: $vgpr6
	s_mov_b64 s[8:9], 0
.LBB31_843:
	s_and_b64 vcc, exec, s[10:11]
	s_cbranch_vccz .LBB31_847
; %bb.844:
	s_cmp_eq_u32 s12, 44
	s_cbranch_scc0 .LBB31_846
; %bb.845:
	global_load_ubyte v1, v[2:3], off
	s_mov_b64 s[4:5], 0
	s_mov_b64 s[8:9], -1
	s_waitcnt vmcnt(0)
	v_lshlrev_b32_e32 v4, 23, v1
	v_cvt_i32_f32_e32 v4, v4
	v_cmp_ne_u32_e32 vcc, 0, v1
	s_nop 1
	v_cndmask_b32_e32 v6, 0, v4, vcc
	s_branch .LBB31_847
.LBB31_846:
	s_mov_b64 s[4:5], -1
                                        ; implicit-def: $vgpr6
.LBB31_847:
	s_mov_b64 s[10:11], 0
.LBB31_848:
	s_and_b64 vcc, exec, s[10:11]
	s_cbranch_vccz .LBB31_852
; %bb.849:
	s_cmp_eq_u32 s12, 29
	s_cbranch_scc0 .LBB31_851
; %bb.850:
	global_load_dword v6, v[2:3], off
	s_mov_b64 s[4:5], 0
	s_mov_b64 s[8:9], -1
	s_branch .LBB31_852
.LBB31_851:
	s_mov_b64 s[4:5], -1
                                        ; implicit-def: $vgpr6
.LBB31_852:
	s_mov_b64 s[10:11], 0
.LBB31_853:
	s_and_b64 vcc, exec, s[10:11]
	s_cbranch_vccz .LBB31_869
; %bb.854:
	s_cmp_lt_i32 s12, 27
	s_cbranch_scc1 .LBB31_857
; %bb.855:
	s_cmp_gt_i32 s12, 27
	s_cbranch_scc0 .LBB31_858
; %bb.856:
	global_load_dword v6, v[2:3], off
	s_mov_b64 s[8:9], 0
	s_branch .LBB31_859
.LBB31_857:
	s_mov_b64 s[8:9], -1
                                        ; implicit-def: $vgpr6
	s_branch .LBB31_862
.LBB31_858:
	s_mov_b64 s[8:9], -1
                                        ; implicit-def: $vgpr6
.LBB31_859:
	s_andn2_b64 vcc, exec, s[8:9]
	s_cbranch_vccnz .LBB31_861
; %bb.860:
	global_load_ushort v6, v[2:3], off
.LBB31_861:
	s_mov_b64 s[8:9], 0
.LBB31_862:
	s_andn2_b64 vcc, exec, s[8:9]
	s_cbranch_vccnz .LBB31_868
; %bb.863:
	global_load_ubyte v1, v[2:3], off
	s_movk_i32 s8, 0x7f
	s_mov_b64 s[10:11], 0
	s_waitcnt vmcnt(0)
	v_cmp_lt_i16_e32 vcc, s8, v1
	s_and_saveexec_b64 s[8:9], vcc
	s_xor_b64 s[8:9], exec, s[8:9]
	s_cbranch_execz .LBB31_880
; %bb.864:
	s_movk_i32 s10, 0x80
	v_cmp_ne_u16_e32 vcc, s10, v1
	s_and_b64 s[10:11], vcc, exec
	s_andn2_saveexec_b64 s[8:9], s[8:9]
	s_cbranch_execnz .LBB31_881
.LBB31_865:
	s_or_b64 exec, exec, s[8:9]
	v_mov_b32_e32 v6, 0
	s_and_saveexec_b64 s[8:9], s[10:11]
	s_cbranch_execz .LBB31_867
.LBB31_866:
	v_lshlrev_b32_e32 v4, 24, v1
	v_and_b32_e32 v1, 0xffff, v1
	v_and_b32_e32 v5, 7, v1
	v_ffbh_u32_e32 v7, v5
	v_min_u32_e32 v7, 32, v7
	v_subrev_u32_e32 v8, 28, v7
	v_bfe_u32 v6, v1, 3, 4
	v_lshlrev_b32_e32 v1, v8, v1
	v_sub_u32_e32 v7, 29, v7
	v_and_b32_e32 v1, 7, v1
	v_cmp_eq_u32_e32 vcc, 0, v6
	v_and_b32_e32 v4, 0x80000000, v4
	s_nop 0
	v_cndmask_b32_e32 v6, v6, v7, vcc
	v_cndmask_b32_e32 v1, v5, v1, vcc
	v_mov_b32_e32 v5, 0x3b800000
	v_lshlrev_b32_e32 v1, 20, v1
	v_lshl_add_u32 v5, v6, 23, v5
	v_or3_b32 v1, v4, v5, v1
	v_cvt_i32_f32_e32 v6, v1
.LBB31_867:
	s_or_b64 exec, exec, s[8:9]
.LBB31_868:
	s_mov_b64 s[8:9], -1
.LBB31_869:
	s_mov_b64 s[10:11], 0
.LBB31_870:
	s_and_b64 vcc, exec, s[10:11]
	s_cbranch_vccz .LBB31_901
; %bb.871:
	s_cmp_gt_i32 s12, 22
	s_cbranch_scc0 .LBB31_879
; %bb.872:
	s_cmp_lt_i32 s12, 24
	s_cbranch_scc1 .LBB31_882
; %bb.873:
	s_cmp_gt_i32 s12, 24
	s_cbranch_scc0 .LBB31_883
; %bb.874:
	global_load_ubyte v1, v[2:3], off
	s_movk_i32 s6, 0x7f
	s_mov_b64 s[8:9], 0
	s_waitcnt vmcnt(0)
	v_cmp_lt_i16_e32 vcc, s6, v1
	s_and_saveexec_b64 s[6:7], vcc
	s_xor_b64 s[6:7], exec, s[6:7]
	s_cbranch_execz .LBB31_895
; %bb.875:
	s_movk_i32 s8, 0x80
	v_cmp_ne_u16_e32 vcc, s8, v1
	s_and_b64 s[8:9], vcc, exec
	s_andn2_saveexec_b64 s[6:7], s[6:7]
	s_cbranch_execnz .LBB31_896
.LBB31_876:
	s_or_b64 exec, exec, s[6:7]
	v_mov_b32_e32 v6, 0
	s_and_saveexec_b64 s[6:7], s[8:9]
	s_cbranch_execz .LBB31_878
.LBB31_877:
	v_lshlrev_b32_e32 v4, 24, v1
	v_and_b32_e32 v1, 0xffff, v1
	v_and_b32_e32 v5, 3, v1
	v_ffbh_u32_e32 v7, v5
	v_min_u32_e32 v7, 32, v7
	v_subrev_u32_e32 v8, 29, v7
	v_bfe_u32 v6, v1, 2, 5
	v_lshlrev_b32_e32 v1, v8, v1
	v_sub_u32_e32 v7, 30, v7
	v_and_b32_e32 v1, 3, v1
	v_cmp_eq_u32_e32 vcc, 0, v6
	v_and_b32_e32 v4, 0x80000000, v4
	s_nop 0
	v_cndmask_b32_e32 v6, v6, v7, vcc
	v_cndmask_b32_e32 v1, v5, v1, vcc
	v_mov_b32_e32 v5, 0x37800000
	v_lshlrev_b32_e32 v1, 21, v1
	v_lshl_add_u32 v5, v6, 23, v5
	v_or3_b32 v1, v4, v5, v1
	v_cvt_i32_f32_e32 v6, v1
.LBB31_878:
	s_or_b64 exec, exec, s[6:7]
	s_mov_b64 s[6:7], 0
	s_branch .LBB31_884
.LBB31_879:
	s_mov_b64 s[6:7], -1
                                        ; implicit-def: $vgpr6
	s_branch .LBB31_890
.LBB31_880:
	s_andn2_saveexec_b64 s[8:9], s[8:9]
	s_cbranch_execz .LBB31_865
.LBB31_881:
	v_cmp_ne_u16_e32 vcc, 0, v1
	s_andn2_b64 s[10:11], s[10:11], exec
	s_and_b64 s[14:15], vcc, exec
	s_or_b64 s[10:11], s[10:11], s[14:15]
	s_or_b64 exec, exec, s[8:9]
	v_mov_b32_e32 v6, 0
	s_and_saveexec_b64 s[8:9], s[10:11]
	s_cbranch_execnz .LBB31_866
	s_branch .LBB31_867
.LBB31_882:
	s_mov_b64 s[6:7], -1
                                        ; implicit-def: $vgpr6
	s_branch .LBB31_887
.LBB31_883:
	s_mov_b64 s[6:7], -1
                                        ; implicit-def: $vgpr6
.LBB31_884:
	s_and_b64 vcc, exec, s[6:7]
	s_cbranch_vccz .LBB31_886
; %bb.885:
	global_load_ubyte v1, v[2:3], off
	s_mov_b32 s6, 0x7f800000
	s_waitcnt vmcnt(0)
	v_lshlrev_b32_e32 v1, 24, v1
	v_and_b32_e32 v4, 0x7f000000, v1
	v_ffbh_u32_e32 v5, v4
	v_min_u32_e32 v5, 32, v5
	v_sub_u32_e64 v5, v5, 4 clamp
	v_lshlrev_b32_e32 v7, v5, v4
	v_lshlrev_b32_e32 v5, 23, v5
	v_lshrrev_b32_e32 v7, 4, v7
	v_add_u32_e32 v6, 0x1000000, v4
	v_sub_u32_e32 v5, v7, v5
	v_ashrrev_i32_e32 v6, 8, v6
	v_add_u32_e32 v5, 0x3c000000, v5
	v_and_or_b32 v5, v6, s6, v5
	v_cmp_ne_u32_e32 vcc, 0, v4
	s_brev_b32 s6, 1
	s_nop 0
	v_cndmask_b32_e32 v4, 0, v5, vcc
	v_and_or_b32 v1, v1, s6, v4
	v_cvt_i32_f32_e32 v6, v1
.LBB31_886:
	s_mov_b64 s[6:7], 0
.LBB31_887:
	s_andn2_b64 vcc, exec, s[6:7]
	s_cbranch_vccnz .LBB31_889
; %bb.888:
	global_load_ubyte v1, v[2:3], off
	s_movk_i32 s6, 0x7f00
	s_brev_b32 s7, 16
	s_waitcnt vmcnt(0)
	v_lshlrev_b16_e32 v4, 8, v1
	v_lshlrev_b32_e32 v1, 25, v1
	v_lshrrev_b32_e32 v5, 4, v1
	v_and_or_b32 v6, v4, s6, 0.5
	v_or_b32_e32 v5, 0x70000000, v5
	v_add_f32_e32 v6, -0.5, v6
	v_mul_f32_e32 v5, 0x7800000, v5
	v_cmp_gt_u32_e32 vcc, s7, v1
	v_bfe_i32 v4, v4, 0, 16
	s_brev_b32 s6, 1
	v_cndmask_b32_e32 v1, v5, v6, vcc
	v_and_or_b32 v1, v4, s6, v1
	v_cvt_i32_f32_e32 v6, v1
.LBB31_889:
	s_mov_b64 s[6:7], 0
	s_mov_b64 s[8:9], -1
.LBB31_890:
	s_andn2_b64 vcc, exec, s[6:7]
	s_mov_b64 s[6:7], 0
	s_cbranch_vccnz .LBB31_901
; %bb.891:
	s_cmp_gt_i32 s12, 14
	s_cbranch_scc0 .LBB31_894
; %bb.892:
	s_cmp_eq_u32 s12, 15
	s_cbranch_scc0 .LBB31_897
; %bb.893:
	global_load_ushort v1, v[2:3], off
	s_mov_b64 s[4:5], 0
	s_mov_b64 s[8:9], -1
	s_waitcnt vmcnt(0)
	v_lshlrev_b32_e32 v1, 16, v1
	v_cvt_i32_f32_e32 v6, v1
	s_branch .LBB31_898
.LBB31_894:
	s_mov_b64 s[10:11], -1
                                        ; implicit-def: $vgpr6
	s_branch .LBB31_899
.LBB31_895:
	s_andn2_saveexec_b64 s[6:7], s[6:7]
	s_cbranch_execz .LBB31_876
.LBB31_896:
	v_cmp_ne_u16_e32 vcc, 0, v1
	s_andn2_b64 s[8:9], s[8:9], exec
	s_and_b64 s[10:11], vcc, exec
	s_or_b64 s[8:9], s[8:9], s[10:11]
	s_or_b64 exec, exec, s[6:7]
	v_mov_b32_e32 v6, 0
	s_and_saveexec_b64 s[6:7], s[8:9]
	s_cbranch_execnz .LBB31_877
	s_branch .LBB31_878
.LBB31_897:
	s_mov_b64 s[4:5], -1
                                        ; implicit-def: $vgpr6
.LBB31_898:
	s_mov_b64 s[10:11], 0
.LBB31_899:
	s_and_b64 vcc, exec, s[10:11]
	s_cbranch_vccz .LBB31_901
; %bb.900:
	s_cmp_lg_u32 s12, 11
	s_cselect_b64 s[10:11], -1, 0
	s_andn2_b64 s[4:5], s[4:5], exec
	s_and_b64 s[10:11], s[10:11], exec
	s_mov_b64 s[6:7], -1
	s_or_b64 s[4:5], s[4:5], s[10:11]
.LBB31_901:
	s_mov_b64 s[10:11], 0
.LBB31_902:
	s_andn2_b64 s[12:13], s[2:3], exec
	s_and_b64 s[4:5], s[4:5], exec
	s_and_b64 s[8:9], s[8:9], exec
	;; [unrolled: 1-line block ×4, first 2 shown]
	s_or_b64 s[12:13], s[12:13], s[4:5]
.LBB31_903:
	s_or_b64 exec, exec, s[70:71]
	s_and_b64 s[4:5], s[6:7], exec
	s_andn2_b64 s[2:3], s[2:3], exec
	s_and_b64 s[6:7], s[12:13], exec
	s_and_b64 s[8:9], s[8:9], exec
	;; [unrolled: 1-line block ×3, first 2 shown]
	s_or_b64 s[2:3], s[2:3], s[6:7]
.LBB31_904:
	s_or_b64 exec, exec, s[66:67]
	s_andn2_b64 s[6:7], s[62:63], exec
	s_and_b64 s[12:13], s[68:69], exec
	s_or_b64 s[62:63], s[6:7], s[12:13]
	s_and_b64 s[6:7], s[10:11], exec
	s_andn2_b64 s[10:11], s[60:61], exec
	s_and_b64 s[2:3], s[2:3], exec
	s_and_b64 s[8:9], s[8:9], exec
	;; [unrolled: 1-line block ×3, first 2 shown]
	s_or_b64 s[60:61], s[10:11], s[2:3]
.LBB31_905:
	s_or_b64 exec, exec, s[64:65]
	s_andn2_b64 s[2:3], s[54:55], exec
	s_and_b64 s[10:11], s[62:63], exec
	s_or_b64 s[54:55], s[2:3], s[10:11]
	s_and_b64 s[2:3], s[8:9], exec
	s_and_b64 s[8:9], s[6:7], exec
	;; [unrolled: 1-line block ×3, first 2 shown]
	s_andn2_b64 s[4:5], s[56:57], exec
	s_and_b64 s[6:7], s[60:61], exec
	s_or_b64 s[56:57], s[4:5], s[6:7]
	s_or_b64 exec, exec, s[58:59]
	s_mov_b64 s[4:5], 0
	s_and_saveexec_b64 s[6:7], s[56:57]
	s_cbranch_execz .LBB31_272
.LBB31_906:
	s_mov_b64 s[4:5], exec
	s_andn2_b64 s[62:63], s[62:63], exec
	s_trap 2
	s_or_b64 exec, exec, s[6:7]
	s_and_saveexec_b64 s[6:7], s[62:63]
	s_xor_b64 s[6:7], exec, s[6:7]
	s_cbranch_execnz .LBB31_273
.LBB31_907:
	s_or_b64 exec, exec, s[6:7]
	s_and_saveexec_b64 s[6:7], s[8:9]
	s_cbranch_execz .LBB31_953
.LBB31_908:
	s_sext_i32_i16 s8, s74
	s_cmp_lt_i32 s8, 5
	s_cbranch_scc1 .LBB31_913
; %bb.909:
	s_cmp_lt_i32 s8, 8
	s_cbranch_scc1 .LBB31_914
; %bb.910:
	;; [unrolled: 3-line block ×3, first 2 shown]
	s_cmp_gt_i32 s8, 9
	s_cbranch_scc0 .LBB31_916
; %bb.912:
	global_load_dwordx2 v[4:5], v[2:3], off
	s_mov_b64 s[8:9], 0
	s_waitcnt vmcnt(0)
	v_cvt_i32_f64_e32 v6, v[4:5]
	s_branch .LBB31_917
.LBB31_913:
                                        ; implicit-def: $vgpr6
	s_branch .LBB31_934
.LBB31_914:
                                        ; implicit-def: $vgpr6
	s_branch .LBB31_923
.LBB31_915:
	s_mov_b64 s[8:9], -1
                                        ; implicit-def: $vgpr6
	s_branch .LBB31_920
.LBB31_916:
	s_mov_b64 s[8:9], -1
                                        ; implicit-def: $vgpr6
.LBB31_917:
	s_andn2_b64 vcc, exec, s[8:9]
	s_cbranch_vccnz .LBB31_919
; %bb.918:
	global_load_dword v1, v[2:3], off
	s_waitcnt vmcnt(0)
	v_cvt_i32_f32_e32 v6, v1
.LBB31_919:
	s_mov_b64 s[8:9], 0
.LBB31_920:
	s_andn2_b64 vcc, exec, s[8:9]
	s_cbranch_vccnz .LBB31_922
; %bb.921:
	global_load_dword v1, v[2:3], off
	s_waitcnt vmcnt(0)
	v_cvt_f32_f16_e32 v1, v1
	v_cvt_i32_f32_e32 v6, v1
.LBB31_922:
	s_cbranch_execnz .LBB31_933
.LBB31_923:
	s_sext_i32_i16 s8, s74
	s_cmp_lt_i32 s8, 6
	s_cbranch_scc1 .LBB31_926
; %bb.924:
	s_cmp_gt_i32 s8, 6
	s_cbranch_scc0 .LBB31_927
; %bb.925:
	global_load_dwordx2 v[4:5], v[2:3], off
	s_mov_b64 s[8:9], 0
	s_waitcnt vmcnt(0)
	v_cvt_i32_f64_e32 v6, v[4:5]
	s_branch .LBB31_928
.LBB31_926:
	s_mov_b64 s[8:9], -1
                                        ; implicit-def: $vgpr6
	s_branch .LBB31_931
.LBB31_927:
	s_mov_b64 s[8:9], -1
                                        ; implicit-def: $vgpr6
.LBB31_928:
	s_andn2_b64 vcc, exec, s[8:9]
	s_cbranch_vccnz .LBB31_930
; %bb.929:
	global_load_dword v1, v[2:3], off
	s_waitcnt vmcnt(0)
	v_cvt_i32_f32_e32 v6, v1
.LBB31_930:
	s_mov_b64 s[8:9], 0
.LBB31_931:
	s_andn2_b64 vcc, exec, s[8:9]
	s_cbranch_vccnz .LBB31_933
; %bb.932:
	global_load_ushort v1, v[2:3], off
	s_waitcnt vmcnt(0)
	v_cvt_f32_f16_e32 v1, v1
	v_cvt_i32_f32_e32 v6, v1
.LBB31_933:
	s_cbranch_execnz .LBB31_952
.LBB31_934:
	s_sext_i32_i16 s8, s74
	s_cmp_lt_i32 s8, 2
	s_cbranch_scc1 .LBB31_938
; %bb.935:
	s_cmp_lt_i32 s8, 3
	s_cbranch_scc1 .LBB31_939
; %bb.936:
	s_cmp_gt_i32 s8, 3
	s_cbranch_scc0 .LBB31_940
; %bb.937:
	global_load_dword v6, v[2:3], off
	s_mov_b64 s[8:9], 0
	s_branch .LBB31_941
.LBB31_938:
                                        ; implicit-def: $vgpr6
	s_branch .LBB31_947
.LBB31_939:
	s_mov_b64 s[8:9], -1
                                        ; implicit-def: $vgpr6
	s_branch .LBB31_944
.LBB31_940:
	s_mov_b64 s[8:9], -1
                                        ; implicit-def: $vgpr6
.LBB31_941:
	s_andn2_b64 vcc, exec, s[8:9]
	s_cbranch_vccnz .LBB31_943
; %bb.942:
	global_load_dword v6, v[2:3], off
.LBB31_943:
	s_mov_b64 s[8:9], 0
.LBB31_944:
	s_andn2_b64 vcc, exec, s[8:9]
	s_cbranch_vccnz .LBB31_946
; %bb.945:
	global_load_sshort v6, v[2:3], off
.LBB31_946:
	s_cbranch_execnz .LBB31_952
.LBB31_947:
	s_sext_i32_i16 s8, s74
	s_cmp_gt_i32 s8, 0
	s_cbranch_scc0 .LBB31_949
; %bb.948:
	global_load_sbyte v6, v[2:3], off
	s_mov_b64 s[8:9], 0
	s_branch .LBB31_950
.LBB31_949:
	s_mov_b64 s[8:9], -1
                                        ; implicit-def: $vgpr6
.LBB31_950:
	s_andn2_b64 vcc, exec, s[8:9]
	s_cbranch_vccnz .LBB31_952
; %bb.951:
	global_load_ubyte v6, v[2:3], off
.LBB31_952:
	s_or_b64 s[2:3], s[2:3], exec
.LBB31_953:
	s_or_b64 exec, exec, s[6:7]
	s_mov_b64 s[10:11], 0
	s_mov_b64 s[8:9], 0
                                        ; implicit-def: $sgpr16
                                        ; implicit-def: $vgpr4_vgpr5
                                        ; implicit-def: $vgpr2
	s_and_saveexec_b64 s[6:7], s[2:3]
	s_cbranch_execz .LBB31_961
; %bb.954:
	v_mov_b32_e32 v1, 0
	s_and_b32 s16, s73, 0xff
	s_waitcnt vmcnt(0)
	v_not_b32_e32 v2, v6
	s_cmp_lt_i32 s16, 11
	s_waitcnt lgkmcnt(0)
	v_lshl_add_u64 v[4:5], s[20:21], 0, v[0:1]
	s_cbranch_scc1 .LBB31_964
; %bb.955:
	s_and_b32 s17, 0xffff, s16
	s_mov_b64 s[10:11], -1
	s_cmp_gt_i32 s17, 25
	s_mov_b64 s[2:3], s[54:55]
	s_cbranch_scc0 .LBB31_992
; %bb.956:
	s_mov_b64 s[8:9], -1
	s_cmp_gt_i32 s17, 28
	s_mov_b64 s[2:3], s[54:55]
	s_cbranch_scc0 .LBB31_976
; %bb.957:
	s_cmp_gt_i32 s17, 43
	s_mov_b64 s[2:3], s[54:55]
	s_cbranch_scc0 .LBB31_972
; %bb.958:
	;; [unrolled: 4-line block ×3, first 2 shown]
	s_cmp_eq_u32 s17, 46
	s_mov_b64 s[2:3], -1
	s_cbranch_scc0 .LBB31_965
; %bb.960:
	v_cvt_f32_i32_e32 v0, v2
	s_movk_i32 s2, 0x7fff
	s_mov_b64 s[8:9], 0
	v_bfe_u32 v1, v0, 16, 1
	v_add3_u32 v0, v0, v1, s2
	v_lshrrev_b32_e32 v0, 16, v0
	global_store_dword v[4:5], v0, off
	s_mov_b64 s[2:3], 0
	s_branch .LBB31_966
.LBB31_961:
	s_or_b64 exec, exec, s[6:7]
	s_and_saveexec_b64 s[2:3], s[54:55]
	s_cbranch_execnz .LBB31_1034
.LBB31_962:
	s_or_b64 exec, exec, s[2:3]
	s_and_saveexec_b64 s[2:3], s[10:11]
	s_xor_b64 s[2:3], exec, s[2:3]
	s_cbranch_execz .LBB31_1035
.LBB31_963:
	s_waitcnt vmcnt(0)
	v_cmp_ne_u32_e32 vcc, -1, v6
	s_nop 1
	v_cndmask_b32_e64 v0, 0, 1, vcc
	global_store_byte v[4:5], v0, off
	s_or_b64 exec, exec, s[2:3]
	s_and_saveexec_b64 s[2:3], s[8:9]
	s_xor_b64 s[2:3], exec, s[2:3]
	s_cbranch_execz .LBB31_1073
	s_branch .LBB31_1036
.LBB31_964:
	s_mov_b64 s[8:9], -1
	s_mov_b64 s[2:3], s[54:55]
	s_branch .LBB31_1033
.LBB31_965:
	s_mov_b64 s[8:9], 0
.LBB31_966:
	s_and_b64 vcc, exec, s[8:9]
	s_cbranch_vccz .LBB31_971
; %bb.967:
	s_cmp_eq_u32 s17, 44
	s_mov_b64 s[2:3], -1
	s_cbranch_scc0 .LBB31_971
; %bb.968:
	v_cvt_f32_i32_e32 v0, v2
	s_movk_i32 s2, 0xff
	v_mov_b32_e32 v3, 0xff
	v_bfe_u32 v1, v0, 23, 8
	v_cmp_ne_u32_e32 vcc, s2, v1
	s_and_saveexec_b64 s[8:9], vcc
; %bb.969:
	s_mov_b32 s2, 0x3fffff
	v_lshrrev_b32_e32 v3, 23, v0
	v_and_b32_e32 v7, 0x400000, v0
	v_and_or_b32 v0, v0, s2, v1
	v_cmp_ne_u32_e32 vcc, 0, v7
	v_cmp_ne_u32_e64 s[2:3], 0, v0
	s_and_b64 s[2:3], vcc, s[2:3]
	s_nop 0
	v_cndmask_b32_e64 v0, 0, 1, s[2:3]
	v_add_u32_e32 v3, v3, v0
; %bb.970:
	s_or_b64 exec, exec, s[8:9]
	s_mov_b64 s[2:3], 0
	global_store_byte v[4:5], v3, off
.LBB31_971:
	s_mov_b64 s[8:9], 0
.LBB31_972:
	s_and_b64 vcc, exec, s[8:9]
	s_cbranch_vccz .LBB31_975
; %bb.973:
	s_cmp_eq_u32 s17, 29
	s_mov_b64 s[2:3], -1
	s_cbranch_scc0 .LBB31_975
; %bb.974:
	v_ashrrev_i32_e32 v3, 31, v2
	global_store_dwordx2 v[4:5], v[2:3], off
	s_mov_b64 s[2:3], 0
.LBB31_975:
	s_mov_b64 s[8:9], 0
.LBB31_976:
	s_and_b64 vcc, exec, s[8:9]
	s_cbranch_vccz .LBB31_991
; %bb.977:
	s_cmp_lt_i32 s17, 27
	s_mov_b64 s[8:9], -1
	s_cbranch_scc1 .LBB31_983
; %bb.978:
	s_cmp_gt_i32 s17, 27
	s_cbranch_scc0 .LBB31_980
; %bb.979:
	s_mov_b64 s[8:9], 0
	global_store_dword v[4:5], v2, off
.LBB31_980:
	s_andn2_b64 vcc, exec, s[8:9]
	s_cbranch_vccnz .LBB31_982
; %bb.981:
	global_store_short v[4:5], v2, off
.LBB31_982:
	s_mov_b64 s[8:9], 0
.LBB31_983:
	s_andn2_b64 vcc, exec, s[8:9]
	s_cbranch_vccnz .LBB31_991
; %bb.984:
	v_cvt_f32_i32_e32 v0, v2
	s_mov_b32 s8, 0x43800000
	v_mov_b32_e32 v3, 0x80
	v_and_b32_e32 v1, 0x7fffffff, v0
	v_cmp_gt_u32_e32 vcc, s8, v1
	s_and_saveexec_b64 s[8:9], vcc
	s_cbranch_execz .LBB31_990
; %bb.985:
	s_mov_b32 s10, 0x3bffffff
	v_cmp_lt_u32_e32 vcc, s10, v1
	s_mov_b64 s[10:11], 0
                                        ; implicit-def: $vgpr1
	s_and_saveexec_b64 s[12:13], vcc
	s_xor_b64 s[12:13], exec, s[12:13]
	s_cbranch_execz .LBB31_1144
; %bb.986:
	v_bfe_u32 v1, v0, 20, 1
	s_mov_b32 s14, 0x487ffff
	v_add3_u32 v1, v0, v1, s14
	s_mov_b64 s[10:11], exec
	v_lshrrev_b32_e32 v1, 20, v1
	s_andn2_saveexec_b64 s[12:13], s[12:13]
	s_cbranch_execnz .LBB31_1145
.LBB31_987:
	s_or_b64 exec, exec, s[12:13]
	v_mov_b32_e32 v3, 0
	s_and_saveexec_b64 s[12:13], s[10:11]
.LBB31_988:
	v_lshrrev_b32_e32 v0, 24, v0
	s_movk_i32 s10, 0x80
	v_and_or_b32 v3, v0, s10, v1
.LBB31_989:
	s_or_b64 exec, exec, s[12:13]
.LBB31_990:
	s_or_b64 exec, exec, s[8:9]
	global_store_byte v[4:5], v3, off
.LBB31_991:
	s_mov_b64 s[10:11], 0
.LBB31_992:
	s_mov_b64 s[8:9], 0
	s_and_b64 vcc, exec, s[10:11]
	s_cbranch_vccz .LBB31_1032
; %bb.993:
	s_cmp_gt_i32 s17, 22
	s_mov_b64 s[10:11], -1
	s_cbranch_scc0 .LBB31_1025
; %bb.994:
	s_cmp_lt_i32 s17, 24
	s_cbranch_scc1 .LBB31_1014
; %bb.995:
	s_cmp_gt_i32 s17, 24
	s_cbranch_scc0 .LBB31_1003
; %bb.996:
	v_cvt_f32_i32_e32 v0, v2
	s_mov_b32 s10, 0x47800000
	v_mov_b32_e32 v3, 0x80
	v_and_b32_e32 v1, 0x7fffffff, v0
	v_cmp_gt_u32_e32 vcc, s10, v1
	s_and_saveexec_b64 s[10:11], vcc
	s_cbranch_execz .LBB31_1002
; %bb.997:
	s_mov_b32 s12, 0x37ffffff
	v_cmp_lt_u32_e32 vcc, s12, v1
	s_mov_b64 s[12:13], 0
                                        ; implicit-def: $vgpr1
	s_and_saveexec_b64 s[14:15], vcc
	s_xor_b64 s[14:15], exec, s[14:15]
	s_cbranch_execz .LBB31_1264
; %bb.998:
	v_bfe_u32 v1, v0, 21, 1
	s_mov_b32 s18, 0x88fffff
	v_add3_u32 v1, v0, v1, s18
	s_mov_b64 s[12:13], exec
	v_lshrrev_b32_e32 v1, 21, v1
	s_andn2_saveexec_b64 s[14:15], s[14:15]
	s_cbranch_execnz .LBB31_1265
.LBB31_999:
	s_or_b64 exec, exec, s[14:15]
	v_mov_b32_e32 v3, 0
	s_and_saveexec_b64 s[14:15], s[12:13]
.LBB31_1000:
	v_lshrrev_b32_e32 v0, 24, v0
	s_movk_i32 s12, 0x80
	v_and_or_b32 v3, v0, s12, v1
.LBB31_1001:
	s_or_b64 exec, exec, s[14:15]
.LBB31_1002:
	s_or_b64 exec, exec, s[10:11]
	s_mov_b64 s[10:11], 0
	global_store_byte v[4:5], v3, off
.LBB31_1003:
	s_and_b64 vcc, exec, s[10:11]
	s_cbranch_vccz .LBB31_1013
; %bb.1004:
	v_cvt_f32_i32_e32 v0, v2
	s_mov_b32 s10, 0x43f00000
                                        ; implicit-def: $vgpr1
	v_and_b32_e32 v3, 0x7fffffff, v0
	v_cmp_gt_u32_e32 vcc, s10, v3
	s_and_saveexec_b64 s[10:11], vcc
	s_xor_b64 s[10:11], exec, s[10:11]
	s_cbranch_execz .LBB31_1010
; %bb.1005:
	s_mov_b32 s12, 0x3c7fffff
	v_cmp_lt_u32_e32 vcc, s12, v3
                                        ; implicit-def: $vgpr1
	s_and_saveexec_b64 s[12:13], vcc
	s_xor_b64 s[12:13], exec, s[12:13]
; %bb.1006:
	v_bfe_u32 v1, v0, 20, 1
	s_mov_b32 s14, 0x407ffff
	v_add3_u32 v1, v0, v1, s14
	v_lshrrev_b32_e32 v3, 20, v1
	v_and_b32_e32 v1, 0xff00000, v1
	s_mov_b32 s14, 0x7f00000
	v_mov_b32_e32 v7, 0x7e
	v_cmp_ne_u32_e32 vcc, s14, v1
	s_nop 1
	v_cndmask_b32_e32 v1, v7, v3, vcc
; %bb.1007:
	s_andn2_saveexec_b64 s[12:13], s[12:13]
; %bb.1008:
	s_mov_b32 s14, 0x46800000
	v_add_f32_e64 v1, |v0|, s14
; %bb.1009:
	s_or_b64 exec, exec, s[12:13]
                                        ; implicit-def: $vgpr3
.LBB31_1010:
	s_andn2_saveexec_b64 s[10:11], s[10:11]
; %bb.1011:
	s_mov_b32 s12, 0x7f800000
	v_mov_b32_e32 v1, 0x7e
	v_mov_b32_e32 v7, 0x7f
	v_cmp_lt_u32_e32 vcc, s12, v3
	s_nop 1
	v_cndmask_b32_e32 v1, v1, v7, vcc
; %bb.1012:
	s_or_b64 exec, exec, s[10:11]
	v_lshrrev_b32_e32 v0, 24, v0
	s_movk_i32 s10, 0x80
	v_and_or_b32 v0, v0, s10, v1
	global_store_byte v[4:5], v0, off
.LBB31_1013:
	s_mov_b64 s[10:11], 0
.LBB31_1014:
	s_andn2_b64 vcc, exec, s[10:11]
	s_cbranch_vccnz .LBB31_1024
; %bb.1015:
	v_cvt_f32_i32_e32 v0, v2
	s_mov_b32 s10, 0x47800000
                                        ; implicit-def: $vgpr1
	v_and_b32_e32 v3, 0x7fffffff, v0
	v_cmp_gt_u32_e32 vcc, s10, v3
	s_and_saveexec_b64 s[10:11], vcc
	s_xor_b64 s[10:11], exec, s[10:11]
	s_cbranch_execz .LBB31_1021
; %bb.1016:
	s_mov_b32 s12, 0x387fffff
	v_cmp_lt_u32_e32 vcc, s12, v3
                                        ; implicit-def: $vgpr1
	s_and_saveexec_b64 s[12:13], vcc
	s_xor_b64 s[12:13], exec, s[12:13]
; %bb.1017:
	v_bfe_u32 v1, v0, 21, 1
	s_mov_b32 s14, 0x80fffff
	v_add3_u32 v1, v0, v1, s14
	v_lshrrev_b32_e32 v1, 21, v1
; %bb.1018:
	s_andn2_saveexec_b64 s[12:13], s[12:13]
; %bb.1019:
	s_mov_b32 s14, 0x43000000
	v_add_f32_e64 v1, |v0|, s14
; %bb.1020:
	s_or_b64 exec, exec, s[12:13]
                                        ; implicit-def: $vgpr3
.LBB31_1021:
	s_andn2_saveexec_b64 s[10:11], s[10:11]
; %bb.1022:
	s_mov_b32 s12, 0x7f800000
	v_mov_b32_e32 v1, 0x7c
	v_mov_b32_e32 v7, 0x7f
	v_cmp_lt_u32_e32 vcc, s12, v3
	s_nop 1
	v_cndmask_b32_e32 v1, v1, v7, vcc
; %bb.1023:
	s_or_b64 exec, exec, s[10:11]
	v_lshrrev_b32_e32 v0, 24, v0
	s_movk_i32 s10, 0x80
	v_and_or_b32 v0, v0, s10, v1
	global_store_byte v[4:5], v0, off
.LBB31_1024:
	s_mov_b64 s[10:11], 0
.LBB31_1025:
	s_andn2_b64 vcc, exec, s[10:11]
	s_mov_b64 s[10:11], 0
	s_cbranch_vccnz .LBB31_1033
; %bb.1026:
	s_cmp_gt_i32 s17, 14
	s_mov_b64 s[12:13], -1
	s_cbranch_scc0 .LBB31_1030
; %bb.1027:
	s_cmp_eq_u32 s17, 15
	s_mov_b64 s[2:3], -1
	s_cbranch_scc0 .LBB31_1029
; %bb.1028:
	v_cvt_f32_i32_e32 v0, v2
	s_movk_i32 s2, 0x7fff
	v_bfe_u32 v1, v0, 16, 1
	v_add3_u32 v0, v0, v1, s2
	global_store_short_d16_hi v[4:5], v0, off
	s_mov_b64 s[2:3], 0
.LBB31_1029:
	s_mov_b64 s[12:13], 0
.LBB31_1030:
	s_and_b64 vcc, exec, s[12:13]
	s_cbranch_vccz .LBB31_1033
; %bb.1031:
	s_cmp_lg_u32 s17, 11
	s_cselect_b64 s[12:13], -1, 0
	s_andn2_b64 s[2:3], s[2:3], exec
	s_and_b64 s[12:13], s[12:13], exec
	s_mov_b64 s[10:11], -1
	s_or_b64 s[2:3], s[2:3], s[12:13]
	s_branch .LBB31_1033
.LBB31_1032:
	s_mov_b64 s[10:11], 0
.LBB31_1033:
	s_andn2_b64 s[12:13], s[54:55], exec
	s_and_b64 s[2:3], s[2:3], exec
	s_and_b64 s[8:9], s[8:9], exec
	;; [unrolled: 1-line block ×3, first 2 shown]
	s_or_b64 s[54:55], s[12:13], s[2:3]
	s_or_b64 exec, exec, s[6:7]
	s_and_saveexec_b64 s[2:3], s[54:55]
	s_cbranch_execz .LBB31_962
.LBB31_1034:
	s_or_b64 s[4:5], s[4:5], exec
	s_andn2_b64 s[10:11], s[10:11], exec
	s_trap 2
	s_or_b64 exec, exec, s[2:3]
	s_and_saveexec_b64 s[2:3], s[10:11]
	s_xor_b64 s[2:3], exec, s[2:3]
	s_cbranch_execnz .LBB31_963
.LBB31_1035:
	s_or_b64 exec, exec, s[2:3]
	s_and_saveexec_b64 s[2:3], s[8:9]
	s_xor_b64 s[2:3], exec, s[2:3]
	s_cbranch_execz .LBB31_1073
.LBB31_1036:
	s_sext_i32_i16 s8, s16
	s_cmp_lt_i32 s8, 5
	s_mov_b64 s[6:7], -1
	s_cbranch_scc1 .LBB31_1057
; %bb.1037:
	s_cmp_lt_i32 s8, 8
	s_cbranch_scc1 .LBB31_1047
; %bb.1038:
	s_cmp_lt_i32 s8, 9
	s_cbranch_scc1 .LBB31_1044
; %bb.1039:
	s_cmp_gt_i32 s8, 9
	s_cbranch_scc0 .LBB31_1041
; %bb.1040:
	v_mov_b32_e32 v8, 0
	s_waitcnt vmcnt(0)
	v_cvt_f64_i32_e32 v[6:7], v2
	v_mov_b32_e32 v9, v8
	s_mov_b64 s[6:7], 0
	global_store_dwordx4 v[4:5], v[6:9], off
.LBB31_1041:
	s_andn2_b64 vcc, exec, s[6:7]
	s_cbranch_vccnz .LBB31_1043
; %bb.1042:
	v_cvt_f32_i32_e32 v0, v2
	v_mov_b32_e32 v1, 0
	s_waitcnt vmcnt(0)
	global_store_dwordx2 v[4:5], v[0:1], off
.LBB31_1043:
	s_mov_b64 s[6:7], 0
.LBB31_1044:
	s_andn2_b64 vcc, exec, s[6:7]
	s_cbranch_vccnz .LBB31_1046
; %bb.1045:
	v_cvt_f32_i32_e32 v0, v2
	v_cvt_f16_f32_e32 v0, v0
	s_waitcnt vmcnt(0)
	global_store_dword v[4:5], v0, off
.LBB31_1046:
	s_mov_b64 s[6:7], 0
.LBB31_1047:
	s_andn2_b64 vcc, exec, s[6:7]
	s_cbranch_vccnz .LBB31_1056
; %bb.1048:
	s_sext_i32_i16 s8, s16
	s_cmp_lt_i32 s8, 6
	s_mov_b64 s[6:7], -1
	s_cbranch_scc1 .LBB31_1054
; %bb.1049:
	s_cmp_gt_i32 s8, 6
	s_cbranch_scc0 .LBB31_1051
; %bb.1050:
	v_cvt_f64_i32_e32 v[0:1], v2
	s_mov_b64 s[6:7], 0
	s_waitcnt vmcnt(0)
	global_store_dwordx2 v[4:5], v[0:1], off
.LBB31_1051:
	s_andn2_b64 vcc, exec, s[6:7]
	s_cbranch_vccnz .LBB31_1053
; %bb.1052:
	v_cvt_f32_i32_e32 v0, v2
	s_waitcnt vmcnt(0)
	global_store_dword v[4:5], v0, off
.LBB31_1053:
	s_mov_b64 s[6:7], 0
.LBB31_1054:
	s_andn2_b64 vcc, exec, s[6:7]
	s_cbranch_vccnz .LBB31_1056
; %bb.1055:
	v_cvt_f32_i32_e32 v0, v2
	v_cvt_f16_f32_e32 v0, v0
	s_waitcnt vmcnt(0)
	global_store_short v[4:5], v0, off
.LBB31_1056:
	s_mov_b64 s[6:7], 0
.LBB31_1057:
	s_andn2_b64 vcc, exec, s[6:7]
	s_cbranch_vccnz .LBB31_1073
; %bb.1058:
	s_sext_i32_i16 s8, s16
	s_cmp_lt_i32 s8, 2
	s_mov_b64 s[6:7], -1
	s_cbranch_scc1 .LBB31_1068
; %bb.1059:
	s_cmp_lt_i32 s8, 3
	s_cbranch_scc1 .LBB31_1065
; %bb.1060:
	s_cmp_gt_i32 s8, 3
	s_cbranch_scc0 .LBB31_1062
; %bb.1061:
	v_ashrrev_i32_e32 v3, 31, v2
	s_mov_b64 s[6:7], 0
	s_waitcnt vmcnt(0)
	global_store_dwordx2 v[4:5], v[2:3], off
.LBB31_1062:
	s_andn2_b64 vcc, exec, s[6:7]
	s_cbranch_vccnz .LBB31_1064
; %bb.1063:
	s_waitcnt vmcnt(0)
	global_store_dword v[4:5], v2, off
.LBB31_1064:
	s_mov_b64 s[6:7], 0
.LBB31_1065:
	s_andn2_b64 vcc, exec, s[6:7]
	s_cbranch_vccnz .LBB31_1067
; %bb.1066:
	s_waitcnt vmcnt(0)
	global_store_short v[4:5], v2, off
.LBB31_1067:
	s_mov_b64 s[6:7], 0
.LBB31_1068:
	s_andn2_b64 vcc, exec, s[6:7]
	s_cbranch_vccnz .LBB31_1073
; %bb.1069:
	s_sext_i32_i16 s6, s16
	s_cmp_gt_i32 s6, 0
	s_mov_b64 s[6:7], -1
	s_cbranch_scc0 .LBB31_1071
; %bb.1070:
	s_mov_b64 s[6:7], 0
	s_waitcnt vmcnt(0)
	global_store_byte v[4:5], v2, off
.LBB31_1071:
	s_andn2_b64 vcc, exec, s[6:7]
	s_cbranch_vccnz .LBB31_1073
; %bb.1072:
	s_waitcnt vmcnt(0)
	global_store_byte v[4:5], v2, off
.LBB31_1073:
	s_or_b64 exec, exec, s[2:3]
	s_waitcnt lgkmcnt(0)
	s_and_b64 s[24:25], s[4:5], exec
                                        ; implicit-def: $vgpr16
                                        ; implicit-def: $vgpr8
.LBB31_1074:
	s_or_saveexec_b64 s[26:27], s[44:45]
	s_mov_b64 s[6:7], 0
                                        ; implicit-def: $vgpr0_vgpr1
                                        ; implicit-def: $sgpr14
                                        ; implicit-def: $vgpr2
                                        ; implicit-def: $vgpr10
	s_xor_b64 exec, exec, s[26:27]
	s_cbranch_execz .LBB31_1515
; %bb.1075:
	v_cndmask_b32_e64 v0, 0, 1, s[42:43]
	v_cmp_ne_u32_e64 s[2:3], 1, v0
	s_andn2_b64 vcc, exec, s[42:43]
	s_cbranch_vccnz .LBB31_1081
; %bb.1076:
	s_cmp_lg_u32 s33, 0
	s_mov_b32 s36, 0
	s_cbranch_scc0 .LBB31_1082
; %bb.1077:
	s_min_u32 s37, s72, 15
	s_add_i32 s37, s37, 1
	s_cmp_eq_u32 s72, 2
	s_cbranch_scc1 .LBB31_1083
; %bb.1078:
	s_and_b32 s36, s37, 28
	s_add_u32 s28, s34, 0xc4
	s_addc_u32 s29, s35, 0
	s_mov_b32 s38, 0
	s_waitcnt vmcnt(0)
	v_mov_b32_e32 v6, 0
	v_mov_b32_e32 v14, 0
	s_mov_b64 s[30:31], s[34:35]
	v_mov_b32_e32 v0, v8
.LBB31_1079:                            ; =>This Inner Loop Header: Depth=1
	s_load_dwordx8 s[12:19], s[30:31], 0x4
	s_load_dwordx4 s[20:23], s[30:31], 0x24
	s_load_dwordx8 s[4:11], s[28:29], 0x0
	s_add_u32 s30, s30, 48
	s_addc_u32 s31, s31, 0
	s_waitcnt lgkmcnt(0)
	v_mul_hi_u32 v1, s13, v0
	v_add_u32_e32 v1, v0, v1
	v_lshrrev_b32_e32 v1, s14, v1
	v_mul_lo_u32 v2, v1, s12
	v_mul_hi_u32 v3, s16, v1
	v_sub_u32_e32 v0, v0, v2
	v_add_u32_e32 v2, v1, v3
	v_lshrrev_b32_e32 v2, s17, v2
	v_mul_lo_u32 v4, v2, s15
	v_mul_hi_u32 v5, s19, v2
	v_sub_u32_e32 v1, v1, v4
	v_add_u32_e32 v4, v2, v5
	v_mul_lo_u32 v3, v0, s5
	v_mul_lo_u32 v0, v0, s4
	;; [unrolled: 1-line block ×4, first 2 shown]
	v_lshrrev_b32_e32 v4, s20, v4
	v_add3_u32 v1, v0, v6, v1
	v_add3_u32 v3, v3, v14, v5
	v_mul_lo_u32 v0, v4, s18
	v_mul_hi_u32 v5, s22, v4
	v_sub_u32_e32 v0, v2, v0
	v_add_u32_e32 v2, v4, v5
	v_mul_lo_u32 v5, v0, s8
	v_mul_lo_u32 v6, v0, s9
	v_lshrrev_b32_e32 v0, s23, v2
	s_add_i32 s38, s38, 4
	v_mul_lo_u32 v2, v0, s21
	s_add_u32 s28, s28, 32
	v_sub_u32_e32 v2, v4, v2
	s_addc_u32 s29, s29, 0
	v_mul_lo_u32 v4, v2, s10
	v_mul_lo_u32 v2, v2, s11
	s_cmp_lg_u32 s36, s38
	v_add3_u32 v14, v6, v3, v2
	v_add3_u32 v6, v5, v1, v4
	s_cbranch_scc1 .LBB31_1079
; %bb.1080:
	v_mov_b32_e32 v1, v14
	s_and_b32 s8, s37, 3
	s_cmp_eq_u32 s8, 0
	s_cbranch_scc0 .LBB31_1084
	s_branch .LBB31_1086
.LBB31_1081:
                                        ; implicit-def: $vgpr14
                                        ; implicit-def: $vgpr6
	s_branch .LBB31_1087
.LBB31_1082:
	v_mov_b32_e32 v14, 0
	s_waitcnt vmcnt(0)
	v_mov_b32_e32 v6, 0
	s_branch .LBB31_1086
.LBB31_1083:
	s_waitcnt vmcnt(0)
	v_mov_b32_e32 v6, 0
                                        ; implicit-def: $vgpr14
	v_mov_b32_e32 v1, v6
	v_mov_b32_e32 v0, v8
	s_and_b32 s8, s37, 3
	s_cmp_eq_u32 s8, 0
	s_cbranch_scc1 .LBB31_1086
.LBB31_1084:
	s_lshl_b32 s4, s36, 3
	s_add_u32 s4, s34, s4
	s_addc_u32 s5, s35, 0
	s_add_u32 s4, s4, 0xc4
	s_addc_u32 s5, s5, 0
	s_mul_i32 s6, s36, 12
	s_add_u32 s6, s34, s6
	s_addc_u32 s7, s35, 0
.LBB31_1085:                            ; =>This Inner Loop Header: Depth=1
	s_load_dwordx2 s[10:11], s[6:7], 0x4
	s_load_dword s9, s[6:7], 0xc
	s_load_dwordx2 s[12:13], s[4:5], 0x0
	v_mov_b32_e32 v2, v1
	s_add_u32 s6, s6, 12
	s_waitcnt lgkmcnt(0)
	v_mul_hi_u32 v1, s11, v0
	v_add_u32_e32 v1, v0, v1
	v_lshrrev_b32_e32 v1, s9, v1
	s_addc_u32 s7, s7, 0
	v_mul_lo_u32 v3, v1, s10
	s_add_u32 s4, s4, 8
	v_sub_u32_e32 v3, v0, v3
	s_addc_u32 s5, s5, 0
	s_add_i32 s8, s8, -1
	v_mad_u64_u32 v[14:15], s[10:11], v3, s13, v[2:3]
	s_cmp_lg_u32 s8, 0
	v_mov_b32_e32 v0, v1
	v_mad_u64_u32 v[6:7], s[10:11], v3, s12, v[6:7]
	v_mov_b32_e32 v1, v14
	s_cbranch_scc1 .LBB31_1085
.LBB31_1086:
	s_cbranch_execnz .LBB31_1089
.LBB31_1087:
	s_load_dwordx4 s[4:7], s[34:35], 0x4
	s_load_dwordx2 s[8:9], s[34:35], 0xc4
	s_cmp_lt_u32 s33, 2
	s_waitcnt lgkmcnt(0)
	v_mul_hi_u32 v0, s5, v8
	v_add_u32_e32 v0, v8, v0
	v_lshrrev_b32_e32 v0, s6, v0
	v_mul_lo_u32 v1, v0, s4
	v_sub_u32_e32 v1, v8, v1
	v_mul_lo_u32 v14, v1, s9
	s_waitcnt vmcnt(0)
	v_mul_lo_u32 v6, v1, s8
	s_cbranch_scc1 .LBB31_1089
; %bb.1088:
	s_load_dwordx4 s[4:7], s[34:35], 0x10
	s_load_dwordx2 s[8:9], s[34:35], 0xcc
	s_waitcnt lgkmcnt(0)
	v_mul_hi_u32 v1, s5, v0
	v_add_u32_e32 v1, v0, v1
	v_lshrrev_b32_e32 v1, s6, v1
	v_mul_lo_u32 v1, v1, s4
	v_sub_u32_e32 v0, v0, v1
	v_mad_u64_u32 v[6:7], s[4:5], v0, s8, v[6:7]
	v_mad_u64_u32 v[14:15], s[4:5], v0, s9, v[14:15]
.LBB31_1089:
	s_and_b64 vcc, exec, s[2:3]
	v_add_u32_e32 v0, 0x80, v8
	s_cbranch_vccnz .LBB31_1095
; %bb.1090:
	s_cmp_lg_u32 s33, 0
	s_mov_b32 s36, 0
	s_cbranch_scc0 .LBB31_1096
; %bb.1091:
	s_min_u32 s37, s72, 15
	s_add_i32 s37, s37, 1
	s_cmp_eq_u32 s72, 2
	s_cbranch_scc1 .LBB31_1097
; %bb.1092:
	s_and_b32 s36, s37, 28
	s_add_u32 s28, s34, 0xc4
	s_addc_u32 s29, s35, 0
	s_mov_b32 s38, 0
	s_waitcnt vmcnt(0)
	v_mov_b32_e32 v4, 0
	v_mov_b32_e32 v12, 0
	s_mov_b64 s[30:31], s[34:35]
	v_mov_b32_e32 v2, v0
.LBB31_1093:                            ; =>This Inner Loop Header: Depth=1
	s_load_dwordx8 s[12:19], s[30:31], 0x4
	s_load_dwordx4 s[20:23], s[30:31], 0x24
	s_load_dwordx8 s[4:11], s[28:29], 0x0
	s_add_u32 s30, s30, 48
	s_addc_u32 s31, s31, 0
	s_waitcnt lgkmcnt(0)
	v_mul_hi_u32 v1, s13, v2
	v_add_u32_e32 v1, v2, v1
	v_lshrrev_b32_e32 v1, s14, v1
	v_mul_lo_u32 v3, v1, s12
	v_mul_hi_u32 v5, s16, v1
	v_sub_u32_e32 v2, v2, v3
	v_add_u32_e32 v3, v1, v5
	v_lshrrev_b32_e32 v3, s17, v3
	v_mul_lo_u32 v7, v3, s15
	v_mul_hi_u32 v9, s19, v3
	v_sub_u32_e32 v1, v1, v7
	v_add_u32_e32 v7, v3, v9
	v_mul_lo_u32 v5, v2, s5
	v_mul_lo_u32 v2, v2, s4
	v_mul_lo_u32 v9, v1, s7
	v_mul_lo_u32 v1, v1, s6
	v_lshrrev_b32_e32 v7, s20, v7
	v_add3_u32 v1, v2, v4, v1
	v_add3_u32 v4, v5, v12, v9
	v_mul_lo_u32 v2, v7, s18
	v_mul_hi_u32 v5, s22, v7
	v_sub_u32_e32 v2, v3, v2
	v_add_u32_e32 v3, v7, v5
	v_mul_lo_u32 v5, v2, s8
	v_mul_lo_u32 v9, v2, s9
	v_lshrrev_b32_e32 v2, s23, v3
	s_add_i32 s38, s38, 4
	v_mul_lo_u32 v3, v2, s21
	s_add_u32 s28, s28, 32
	v_sub_u32_e32 v3, v7, v3
	s_addc_u32 s29, s29, 0
	v_mul_lo_u32 v7, v3, s10
	v_mul_lo_u32 v3, v3, s11
	s_cmp_lg_u32 s36, s38
	v_add3_u32 v12, v9, v4, v3
	v_add3_u32 v4, v5, v1, v7
	s_cbranch_scc1 .LBB31_1093
; %bb.1094:
	v_mov_b32_e32 v1, v12
	s_and_b32 s8, s37, 3
	s_cmp_eq_u32 s8, 0
	s_cbranch_scc0 .LBB31_1098
	s_branch .LBB31_1100
.LBB31_1095:
                                        ; implicit-def: $vgpr12
                                        ; implicit-def: $vgpr4
	s_branch .LBB31_1101
.LBB31_1096:
	v_mov_b32_e32 v12, 0
	s_waitcnt vmcnt(0)
	v_mov_b32_e32 v4, 0
	s_branch .LBB31_1100
.LBB31_1097:
	s_waitcnt vmcnt(0)
	v_mov_b32_e32 v4, 0
                                        ; implicit-def: $vgpr12
	v_mov_b32_e32 v1, v4
	v_mov_b32_e32 v2, v0
	s_and_b32 s8, s37, 3
	s_cmp_eq_u32 s8, 0
	s_cbranch_scc1 .LBB31_1100
.LBB31_1098:
	s_lshl_b32 s4, s36, 3
	s_add_u32 s4, s34, s4
	s_addc_u32 s5, s35, 0
	s_add_u32 s4, s4, 0xc4
	s_addc_u32 s5, s5, 0
	s_mul_i32 s6, s36, 12
	s_add_u32 s6, s34, s6
	s_addc_u32 s7, s35, 0
.LBB31_1099:                            ; =>This Inner Loop Header: Depth=1
	s_load_dwordx2 s[10:11], s[6:7], 0x4
	s_load_dword s9, s[6:7], 0xc
	s_load_dwordx2 s[12:13], s[4:5], 0x0
	v_mov_b32_e32 v10, v1
	s_add_u32 s6, s6, 12
	s_waitcnt lgkmcnt(0)
	v_mul_hi_u32 v1, s11, v2
	v_add_u32_e32 v1, v2, v1
	v_lshrrev_b32_e32 v1, s9, v1
	s_addc_u32 s7, s7, 0
	v_mul_lo_u32 v3, v1, s10
	s_add_u32 s4, s4, 8
	v_sub_u32_e32 v3, v2, v3
	s_addc_u32 s5, s5, 0
	s_add_i32 s8, s8, -1
	v_mad_u64_u32 v[12:13], s[10:11], v3, s13, v[10:11]
	s_cmp_lg_u32 s8, 0
	v_mov_b32_e32 v2, v1
	v_mad_u64_u32 v[4:5], s[10:11], v3, s12, v[4:5]
	v_mov_b32_e32 v1, v12
	s_cbranch_scc1 .LBB31_1099
.LBB31_1100:
	s_cbranch_execnz .LBB31_1103
.LBB31_1101:
	s_load_dwordx4 s[4:7], s[34:35], 0x4
	s_load_dwordx2 s[8:9], s[34:35], 0xc4
	s_cmp_lt_u32 s33, 2
	s_waitcnt lgkmcnt(0)
	v_mul_hi_u32 v1, s5, v0
	v_add_u32_e32 v1, v0, v1
	v_lshrrev_b32_e32 v1, s6, v1
	v_mul_lo_u32 v2, v1, s4
	v_sub_u32_e32 v0, v0, v2
	v_mul_lo_u32 v12, v0, s9
	s_waitcnt vmcnt(0)
	v_mul_lo_u32 v4, v0, s8
	s_cbranch_scc1 .LBB31_1103
; %bb.1102:
	s_load_dwordx4 s[4:7], s[34:35], 0x10
	s_load_dwordx2 s[8:9], s[34:35], 0xcc
	s_waitcnt lgkmcnt(0)
	v_mul_hi_u32 v0, s5, v1
	v_add_u32_e32 v0, v1, v0
	v_lshrrev_b32_e32 v0, s6, v0
	v_mul_lo_u32 v0, v0, s4
	v_sub_u32_e32 v0, v1, v0
	v_mad_u64_u32 v[4:5], s[4:5], v0, s8, v[4:5]
	v_mad_u64_u32 v[12:13], s[4:5], v0, s9, v[12:13]
.LBB31_1103:
	s_and_b64 vcc, exec, s[2:3]
	v_add_u32_e32 v0, 0x100, v8
	s_cbranch_vccnz .LBB31_1109
; %bb.1104:
	s_cmp_lg_u32 s33, 0
	s_mov_b32 s36, 0
	s_cbranch_scc0 .LBB31_1110
; %bb.1105:
	s_min_u32 s37, s72, 15
	s_add_i32 s37, s37, 1
	s_cmp_eq_u32 s72, 2
	s_cbranch_scc1 .LBB31_1111
; %bb.1106:
	s_and_b32 s36, s37, 28
	s_add_u32 s28, s34, 0xc4
	s_addc_u32 s29, s35, 0
	s_mov_b32 s38, 0
	v_mov_b32_e32 v2, 0
	v_mov_b32_e32 v10, 0
	s_mov_b64 s[30:31], s[34:35]
	v_mov_b32_e32 v5, v0
.LBB31_1107:                            ; =>This Inner Loop Header: Depth=1
	s_load_dwordx8 s[12:19], s[30:31], 0x4
	s_load_dwordx4 s[20:23], s[30:31], 0x24
	s_load_dwordx8 s[4:11], s[28:29], 0x0
	s_add_u32 s30, s30, 48
	s_addc_u32 s31, s31, 0
	s_waitcnt lgkmcnt(0)
	v_mul_hi_u32 v1, s13, v5
	v_add_u32_e32 v1, v5, v1
	v_lshrrev_b32_e32 v1, s14, v1
	v_mul_lo_u32 v3, v1, s12
	v_mul_hi_u32 v7, s16, v1
	v_sub_u32_e32 v3, v5, v3
	v_add_u32_e32 v5, v1, v7
	v_lshrrev_b32_e32 v5, s17, v5
	v_mul_lo_u32 v8, v5, s15
	v_mul_hi_u32 v9, s19, v5
	v_sub_u32_e32 v1, v1, v8
	v_add_u32_e32 v8, v5, v9
	v_mul_lo_u32 v7, v3, s5
	v_mul_lo_u32 v3, v3, s4
	;; [unrolled: 1-line block ×4, first 2 shown]
	v_lshrrev_b32_e32 v8, s20, v8
	v_add3_u32 v1, v3, v2, v1
	v_add3_u32 v2, v7, v10, v9
	v_mul_lo_u32 v3, v8, s18
	v_mul_hi_u32 v7, s22, v8
	v_sub_u32_e32 v3, v5, v3
	v_add_u32_e32 v5, v8, v7
	v_lshrrev_b32_e32 v5, s23, v5
	s_add_i32 s38, s38, 4
	v_mul_lo_u32 v9, v5, s21
	s_add_u32 s28, s28, 32
	v_sub_u32_e32 v8, v8, v9
	s_addc_u32 s29, s29, 0
	v_mul_lo_u32 v7, v3, s8
	v_mul_lo_u32 v3, v3, s9
	;; [unrolled: 1-line block ×4, first 2 shown]
	s_cmp_lg_u32 s36, s38
	v_add3_u32 v10, v3, v2, v8
	v_add3_u32 v2, v7, v1, v9
	s_cbranch_scc1 .LBB31_1107
; %bb.1108:
	v_mov_b32_e32 v1, v10
	s_and_b32 s8, s37, 3
	s_cmp_eq_u32 s8, 0
	s_cbranch_scc0 .LBB31_1112
	s_branch .LBB31_1114
.LBB31_1109:
                                        ; implicit-def: $vgpr10
                                        ; implicit-def: $vgpr2
	s_branch .LBB31_1115
.LBB31_1110:
	v_mov_b32_e32 v10, 0
	v_mov_b32_e32 v2, 0
	s_branch .LBB31_1114
.LBB31_1111:
	v_mov_b32_e32 v2, 0
                                        ; implicit-def: $vgpr10
	v_mov_b32_e32 v1, v2
	v_mov_b32_e32 v5, v0
	s_and_b32 s8, s37, 3
	s_cmp_eq_u32 s8, 0
	s_cbranch_scc1 .LBB31_1114
.LBB31_1112:
	s_lshl_b32 s4, s36, 3
	s_add_u32 s4, s34, s4
	s_addc_u32 s5, s35, 0
	s_add_u32 s4, s4, 0xc4
	s_addc_u32 s5, s5, 0
	s_mul_i32 s6, s36, 12
	s_add_u32 s6, s34, s6
	s_addc_u32 s7, s35, 0
.LBB31_1113:                            ; =>This Inner Loop Header: Depth=1
	s_load_dwordx2 s[10:11], s[6:7], 0x4
	s_load_dword s9, s[6:7], 0xc
	s_load_dwordx2 s[12:13], s[4:5], 0x0
	v_mov_b32_e32 v8, v1
	s_add_u32 s6, s6, 12
	s_waitcnt lgkmcnt(0)
	v_mul_hi_u32 v1, s11, v5
	v_add_u32_e32 v1, v5, v1
	v_lshrrev_b32_e32 v1, s9, v1
	s_addc_u32 s7, s7, 0
	v_mul_lo_u32 v3, v1, s10
	s_add_u32 s4, s4, 8
	v_sub_u32_e32 v3, v5, v3
	s_addc_u32 s5, s5, 0
	s_add_i32 s8, s8, -1
	v_mad_u64_u32 v[10:11], s[10:11], v3, s13, v[8:9]
	s_cmp_lg_u32 s8, 0
	v_mov_b32_e32 v5, v1
	v_mad_u64_u32 v[2:3], s[10:11], v3, s12, v[2:3]
	v_mov_b32_e32 v1, v10
	s_cbranch_scc1 .LBB31_1113
.LBB31_1114:
	s_cbranch_execnz .LBB31_1117
.LBB31_1115:
	s_load_dwordx4 s[4:7], s[34:35], 0x4
	s_load_dwordx2 s[8:9], s[34:35], 0xc4
	s_cmp_lt_u32 s33, 2
	s_waitcnt lgkmcnt(0)
	v_mul_hi_u32 v1, s5, v0
	v_add_u32_e32 v1, v0, v1
	v_lshrrev_b32_e32 v1, s6, v1
	v_mul_lo_u32 v2, v1, s4
	v_sub_u32_e32 v0, v0, v2
	v_mul_lo_u32 v10, v0, s9
	v_mul_lo_u32 v2, v0, s8
	s_cbranch_scc1 .LBB31_1117
; %bb.1116:
	s_load_dwordx4 s[4:7], s[34:35], 0x10
	s_load_dwordx2 s[8:9], s[34:35], 0xcc
	s_waitcnt lgkmcnt(0)
	v_mul_hi_u32 v0, s5, v1
	v_add_u32_e32 v0, v1, v0
	v_lshrrev_b32_e32 v0, s6, v0
	v_mul_lo_u32 v0, v0, s4
	v_sub_u32_e32 v0, v1, v0
	v_mad_u64_u32 v[2:3], s[4:5], v0, s8, v[2:3]
	v_mad_u64_u32 v[10:11], s[4:5], v0, s9, v[10:11]
.LBB31_1117:
	s_and_b64 vcc, exec, s[2:3]
	s_cbranch_vccnz .LBB31_1123
; %bb.1118:
	s_cmp_lg_u32 s33, 0
	s_mov_b32 s30, 0
	s_cbranch_scc0 .LBB31_1124
; %bb.1119:
	s_min_u32 s31, s72, 15
	s_add_i32 s31, s31, 1
	s_cmp_eq_u32 s72, 2
	s_cbranch_scc1 .LBB31_1125
; %bb.1120:
	s_and_b32 s30, s31, 28
	s_add_u32 s2, s34, 0xc4
	s_addc_u32 s3, s35, 0
	s_mov_b32 s36, 0
	v_mov_b32_e32 v0, 0
	v_mov_b32_e32 v8, 0
	s_mov_b64 s[28:29], s[34:35]
	v_mov_b32_e32 v3, v16
.LBB31_1121:                            ; =>This Inner Loop Header: Depth=1
	s_load_dwordx8 s[12:19], s[28:29], 0x4
	s_load_dwordx4 s[20:23], s[28:29], 0x24
	s_load_dwordx8 s[4:11], s[2:3], 0x0
	s_add_u32 s28, s28, 48
	s_addc_u32 s29, s29, 0
	s_waitcnt lgkmcnt(0)
	v_mul_hi_u32 v1, s13, v3
	v_add_u32_e32 v1, v3, v1
	v_lshrrev_b32_e32 v1, s14, v1
	v_mul_lo_u32 v5, v1, s12
	v_mul_hi_u32 v7, s16, v1
	v_sub_u32_e32 v3, v3, v5
	v_add_u32_e32 v5, v1, v7
	v_lshrrev_b32_e32 v5, s17, v5
	v_mul_lo_u32 v9, v5, s15
	v_mul_hi_u32 v11, s19, v5
	v_sub_u32_e32 v1, v1, v9
	v_add_u32_e32 v9, v5, v11
	v_mul_lo_u32 v7, v3, s5
	v_mul_lo_u32 v3, v3, s4
	v_mul_lo_u32 v11, v1, s7
	v_mul_lo_u32 v1, v1, s6
	v_lshrrev_b32_e32 v9, s20, v9
	v_add3_u32 v0, v3, v0, v1
	v_add3_u32 v1, v7, v8, v11
	v_mul_lo_u32 v3, v9, s18
	v_mul_hi_u32 v7, s22, v9
	v_sub_u32_e32 v3, v5, v3
	v_add_u32_e32 v5, v9, v7
	v_mul_lo_u32 v7, v3, s8
	v_mul_lo_u32 v8, v3, s9
	v_lshrrev_b32_e32 v3, s23, v5
	s_add_i32 s36, s36, 4
	v_mul_lo_u32 v5, v3, s21
	s_add_u32 s2, s2, 32
	v_sub_u32_e32 v5, v9, v5
	s_addc_u32 s3, s3, 0
	v_mul_lo_u32 v9, v5, s10
	v_mul_lo_u32 v5, v5, s11
	s_cmp_lg_u32 s30, s36
	v_add3_u32 v8, v8, v1, v5
	v_add3_u32 v0, v7, v0, v9
	s_cbranch_scc1 .LBB31_1121
; %bb.1122:
	v_mov_b32_e32 v1, v8
	s_and_b32 s6, s31, 3
	s_cmp_eq_u32 s6, 0
	s_cbranch_scc0 .LBB31_1126
	s_branch .LBB31_1128
.LBB31_1123:
                                        ; implicit-def: $vgpr8
                                        ; implicit-def: $vgpr0
	s_branch .LBB31_1129
.LBB31_1124:
	v_mov_b32_e32 v8, 0
	v_mov_b32_e32 v0, 0
	s_branch .LBB31_1128
.LBB31_1125:
	v_mov_b32_e32 v0, 0
                                        ; implicit-def: $vgpr8
	v_mov_b32_e32 v1, v0
	v_mov_b32_e32 v3, v16
	s_and_b32 s6, s31, 3
	s_cmp_eq_u32 s6, 0
	s_cbranch_scc1 .LBB31_1128
.LBB31_1126:
	s_lshl_b32 s2, s30, 3
	s_add_u32 s2, s34, s2
	s_addc_u32 s3, s35, 0
	s_add_u32 s2, s2, 0xc4
	s_addc_u32 s3, s3, 0
	s_mul_i32 s4, s30, 12
	s_add_u32 s4, s34, s4
	s_addc_u32 s5, s35, 0
.LBB31_1127:                            ; =>This Inner Loop Header: Depth=1
	s_load_dwordx2 s[8:9], s[4:5], 0x4
	s_load_dword s7, s[4:5], 0xc
	s_load_dwordx2 s[10:11], s[2:3], 0x0
	v_mov_b32_e32 v8, v1
	s_add_u32 s4, s4, 12
	s_waitcnt lgkmcnt(0)
	v_mul_hi_u32 v1, s9, v3
	v_add_u32_e32 v1, v3, v1
	v_lshrrev_b32_e32 v1, s7, v1
	s_addc_u32 s5, s5, 0
	v_mul_lo_u32 v5, v1, s8
	s_add_u32 s2, s2, 8
	v_sub_u32_e32 v5, v3, v5
	s_addc_u32 s3, s3, 0
	s_add_i32 s6, s6, -1
	v_mov_b32_e32 v3, v1
	v_mad_u64_u32 v[8:9], s[8:9], v5, s11, v[8:9]
	v_mad_u64_u32 v[0:1], s[8:9], v5, s10, v[0:1]
	s_cmp_lg_u32 s6, 0
	v_mov_b32_e32 v1, v8
	s_cbranch_scc1 .LBB31_1127
.LBB31_1128:
	s_cbranch_execnz .LBB31_1131
.LBB31_1129:
	s_load_dwordx4 s[4:7], s[34:35], 0x4
	s_load_dwordx2 s[2:3], s[34:35], 0xc4
	s_cmp_lt_u32 s33, 2
	s_waitcnt lgkmcnt(0)
	v_mul_hi_u32 v0, s5, v16
	v_add_u32_e32 v0, v16, v0
	v_lshrrev_b32_e32 v1, s6, v0
	v_mul_lo_u32 v0, v1, s4
	v_sub_u32_e32 v0, v16, v0
	v_mul_lo_u32 v8, v0, s3
	v_mul_lo_u32 v0, v0, s2
	s_cbranch_scc1 .LBB31_1131
; %bb.1130:
	s_load_dwordx4 s[4:7], s[34:35], 0x10
	s_load_dwordx2 s[2:3], s[34:35], 0xcc
	s_waitcnt lgkmcnt(0)
	v_mul_hi_u32 v3, s5, v1
	v_add_u32_e32 v3, v1, v3
	v_lshrrev_b32_e32 v3, s6, v3
	v_mul_lo_u32 v3, v3, s4
	v_sub_u32_e32 v3, v1, v3
	v_mad_u64_u32 v[0:1], s[4:5], v3, s2, v[0:1]
	v_mad_u64_u32 v[8:9], s[2:3], v3, s3, v[8:9]
.LBB31_1131:
	s_load_dword s14, s[0:1], 0x160
	s_load_dwordx4 s[4:7], s[34:35], 0x148
	v_mov_b32_e32 v15, 0
	s_waitcnt lgkmcnt(0)
	s_bfe_u32 s12, s14, 0x80010
	s_cmp_lt_i32 s12, 11
	v_lshl_add_u64 v[14:15], s[6:7], 0, v[14:15]
	s_cbranch_scc1 .LBB31_1138
; %bb.1132:
	s_and_b32 s13, 0xffff, s12
	s_cmp_gt_i32 s13, 25
	s_mov_b64 s[8:9], 0
	s_cbranch_scc0 .LBB31_1140
; %bb.1133:
	s_cmp_gt_i32 s13, 28
	s_cbranch_scc0 .LBB31_1141
; %bb.1134:
	s_cmp_gt_i32 s13, 43
	;; [unrolled: 3-line block ×3, first 2 shown]
	s_cbranch_scc0 .LBB31_1143
; %bb.1136:
	s_cmp_eq_u32 s13, 46
	s_mov_b64 s[2:3], 0
	s_cbranch_scc0 .LBB31_1146
; %bb.1137:
	global_load_dword v1, v[14:15], off
	s_mov_b64 s[0:1], 0
	s_mov_b64 s[10:11], -1
	s_waitcnt vmcnt(0)
	v_lshlrev_b32_e32 v1, 16, v1
	v_cvt_i32_f32_e32 v5, v1
	s_branch .LBB31_1147
.LBB31_1138:
	s_mov_b64 s[10:11], 0
                                        ; implicit-def: $vgpr5
	s_mov_b64 s[2:3], s[24:25]
	s_cbranch_execnz .LBB31_1205
.LBB31_1139:
	s_andn2_b64 vcc, exec, s[10:11]
	s_cbranch_vccz .LBB31_1250
	s_branch .LBB31_1512
.LBB31_1140:
	s_mov_b64 s[10:11], 0
	s_mov_b64 s[0:1], 0
                                        ; implicit-def: $vgpr5
	s_cbranch_execnz .LBB31_1172
	s_branch .LBB31_1201
.LBB31_1141:
	s_mov_b64 s[10:11], 0
	s_mov_b64 s[0:1], 0
                                        ; implicit-def: $vgpr5
	s_cbranch_execz .LBB31_1171
	s_branch .LBB31_1156
.LBB31_1142:
	s_mov_b64 s[10:11], 0
	s_mov_b64 s[0:1], 0
                                        ; implicit-def: $vgpr5
	s_cbranch_execnz .LBB31_1152
	s_branch .LBB31_1155
.LBB31_1143:
	s_mov_b64 s[2:3], -1
	s_mov_b64 s[10:11], 0
	s_mov_b64 s[0:1], 0
                                        ; implicit-def: $vgpr5
	s_branch .LBB31_1147
.LBB31_1144:
	s_andn2_saveexec_b64 s[12:13], s[12:13]
	s_cbranch_execz .LBB31_987
.LBB31_1145:
	s_mov_b32 s14, 0x46000000
	v_add_f32_e64 v1, |v0|, s14
	v_and_b32_e32 v1, 0xff, v1
	v_cmp_ne_u32_e32 vcc, 0, v1
	s_andn2_b64 s[10:11], s[10:11], exec
	s_and_b64 s[14:15], vcc, exec
	s_or_b64 s[10:11], s[10:11], s[14:15]
	s_or_b64 exec, exec, s[12:13]
	v_mov_b32_e32 v3, 0
	s_and_saveexec_b64 s[12:13], s[10:11]
	s_cbranch_execnz .LBB31_988
	s_branch .LBB31_989
.LBB31_1146:
	s_mov_b64 s[0:1], -1
                                        ; implicit-def: $vgpr5
	s_mov_b64 s[10:11], 0
.LBB31_1147:
	s_and_b64 vcc, exec, s[2:3]
	s_cbranch_vccz .LBB31_1150
; %bb.1148:
	s_cmp_eq_u32 s13, 44
	s_cbranch_scc0 .LBB31_1151
; %bb.1149:
	global_load_ubyte v1, v[14:15], off
	s_mov_b64 s[0:1], 0
	s_mov_b64 s[10:11], -1
	s_waitcnt vmcnt(0)
	v_lshlrev_b32_e32 v3, 23, v1
	v_cvt_i32_f32_e32 v3, v3
	v_cmp_ne_u32_e32 vcc, 0, v1
	s_nop 1
	v_cndmask_b32_e32 v5, 0, v3, vcc
.LBB31_1150:
	s_branch .LBB31_1155
.LBB31_1151:
	s_mov_b64 s[0:1], -1
                                        ; implicit-def: $vgpr5
	s_branch .LBB31_1155
.LBB31_1152:
	s_cmp_eq_u32 s13, 29
	s_cbranch_scc0 .LBB31_1154
; %bb.1153:
	global_load_dword v5, v[14:15], off
	s_mov_b64 s[0:1], 0
	s_mov_b64 s[10:11], -1
	s_branch .LBB31_1155
.LBB31_1154:
	s_mov_b64 s[0:1], -1
                                        ; implicit-def: $vgpr5
.LBB31_1155:
	s_branch .LBB31_1171
.LBB31_1156:
	s_cmp_lt_i32 s13, 27
	s_cbranch_scc1 .LBB31_1159
; %bb.1157:
	s_cmp_gt_i32 s13, 27
	s_cbranch_scc0 .LBB31_1160
; %bb.1158:
	global_load_dword v5, v[14:15], off
	s_mov_b64 s[2:3], 0
	s_branch .LBB31_1161
.LBB31_1159:
	s_mov_b64 s[2:3], -1
                                        ; implicit-def: $vgpr5
	s_branch .LBB31_1164
.LBB31_1160:
	s_mov_b64 s[2:3], -1
                                        ; implicit-def: $vgpr5
.LBB31_1161:
	s_andn2_b64 vcc, exec, s[2:3]
	s_cbranch_vccnz .LBB31_1163
; %bb.1162:
	global_load_ushort v5, v[14:15], off
.LBB31_1163:
	s_mov_b64 s[2:3], 0
.LBB31_1164:
	s_andn2_b64 vcc, exec, s[2:3]
	s_cbranch_vccnz .LBB31_1170
; %bb.1165:
	global_load_ubyte v1, v[14:15], off
	s_movk_i32 s2, 0x7f
	s_mov_b64 s[10:11], 0
	s_waitcnt vmcnt(0)
	v_cmp_lt_i16_e32 vcc, s2, v1
	s_and_saveexec_b64 s[2:3], vcc
	s_xor_b64 s[2:3], exec, s[2:3]
	s_cbranch_execz .LBB31_1181
; %bb.1166:
	s_movk_i32 s10, 0x80
	v_cmp_ne_u16_e32 vcc, s10, v1
	s_and_b64 s[10:11], vcc, exec
	s_andn2_saveexec_b64 s[2:3], s[2:3]
	s_cbranch_execnz .LBB31_1182
.LBB31_1167:
	s_or_b64 exec, exec, s[2:3]
	v_mov_b32_e32 v5, 0
	s_and_saveexec_b64 s[2:3], s[10:11]
	s_cbranch_execz .LBB31_1169
.LBB31_1168:
	v_lshlrev_b32_e32 v3, 24, v1
	v_and_b32_e32 v1, 0xffff, v1
	v_and_b32_e32 v5, 7, v1
	v_ffbh_u32_e32 v9, v5
	v_min_u32_e32 v9, 32, v9
	v_subrev_u32_e32 v11, 28, v9
	v_bfe_u32 v7, v1, 3, 4
	v_lshlrev_b32_e32 v1, v11, v1
	v_sub_u32_e32 v9, 29, v9
	v_and_b32_e32 v1, 7, v1
	v_cmp_eq_u32_e32 vcc, 0, v7
	v_and_b32_e32 v3, 0x80000000, v3
	s_nop 0
	v_cndmask_b32_e32 v7, v7, v9, vcc
	v_cndmask_b32_e32 v1, v5, v1, vcc
	v_mov_b32_e32 v5, 0x3b800000
	v_lshlrev_b32_e32 v1, 20, v1
	v_lshl_add_u32 v5, v7, 23, v5
	v_or3_b32 v1, v3, v5, v1
	v_cvt_i32_f32_e32 v5, v1
.LBB31_1169:
	s_or_b64 exec, exec, s[2:3]
.LBB31_1170:
	s_mov_b64 s[10:11], -1
.LBB31_1171:
	s_branch .LBB31_1201
.LBB31_1172:
	s_cmp_gt_i32 s13, 22
	s_cbranch_scc0 .LBB31_1180
; %bb.1173:
	s_cmp_lt_i32 s13, 24
	s_cbranch_scc1 .LBB31_1183
; %bb.1174:
	s_cmp_gt_i32 s13, 24
	s_cbranch_scc0 .LBB31_1184
; %bb.1175:
	global_load_ubyte v1, v[14:15], off
	s_movk_i32 s2, 0x7f
	s_waitcnt vmcnt(0)
	v_cmp_lt_i16_e32 vcc, s2, v1
	s_and_saveexec_b64 s[2:3], vcc
	s_xor_b64 s[2:3], exec, s[2:3]
	s_cbranch_execz .LBB31_1195
; %bb.1176:
	s_movk_i32 s8, 0x80
	v_cmp_ne_u16_e32 vcc, s8, v1
	s_and_b64 s[8:9], vcc, exec
	s_andn2_saveexec_b64 s[2:3], s[2:3]
	s_cbranch_execnz .LBB31_1196
.LBB31_1177:
	s_or_b64 exec, exec, s[2:3]
	v_mov_b32_e32 v5, 0
	s_and_saveexec_b64 s[2:3], s[8:9]
	s_cbranch_execz .LBB31_1179
.LBB31_1178:
	v_lshlrev_b32_e32 v3, 24, v1
	v_and_b32_e32 v1, 0xffff, v1
	v_and_b32_e32 v5, 3, v1
	v_ffbh_u32_e32 v9, v5
	v_min_u32_e32 v9, 32, v9
	v_subrev_u32_e32 v11, 29, v9
	v_bfe_u32 v7, v1, 2, 5
	v_lshlrev_b32_e32 v1, v11, v1
	v_sub_u32_e32 v9, 30, v9
	v_and_b32_e32 v1, 3, v1
	v_cmp_eq_u32_e32 vcc, 0, v7
	v_and_b32_e32 v3, 0x80000000, v3
	s_nop 0
	v_cndmask_b32_e32 v7, v7, v9, vcc
	v_cndmask_b32_e32 v1, v5, v1, vcc
	v_mov_b32_e32 v5, 0x37800000
	v_lshlrev_b32_e32 v1, 21, v1
	v_lshl_add_u32 v5, v7, 23, v5
	v_or3_b32 v1, v3, v5, v1
	v_cvt_i32_f32_e32 v5, v1
.LBB31_1179:
	s_or_b64 exec, exec, s[2:3]
	s_mov_b64 s[2:3], 0
	s_branch .LBB31_1185
.LBB31_1180:
                                        ; implicit-def: $vgpr5
	s_mov_b64 s[8:9], 0
	s_branch .LBB31_1191
.LBB31_1181:
	s_andn2_saveexec_b64 s[2:3], s[2:3]
	s_cbranch_execz .LBB31_1167
.LBB31_1182:
	v_cmp_ne_u16_e32 vcc, 0, v1
	s_andn2_b64 s[10:11], s[10:11], exec
	s_and_b64 s[16:17], vcc, exec
	s_or_b64 s[10:11], s[10:11], s[16:17]
	s_or_b64 exec, exec, s[2:3]
	v_mov_b32_e32 v5, 0
	s_and_saveexec_b64 s[2:3], s[10:11]
	s_cbranch_execnz .LBB31_1168
	s_branch .LBB31_1169
.LBB31_1183:
	s_mov_b64 s[2:3], -1
                                        ; implicit-def: $vgpr5
	s_branch .LBB31_1188
.LBB31_1184:
	s_mov_b64 s[2:3], -1
                                        ; implicit-def: $vgpr5
.LBB31_1185:
	s_and_b64 vcc, exec, s[2:3]
	s_cbranch_vccz .LBB31_1187
; %bb.1186:
	global_load_ubyte v1, v[14:15], off
	s_mov_b32 s2, 0x7f800000
	s_waitcnt vmcnt(0)
	v_lshlrev_b32_e32 v1, 24, v1
	v_and_b32_e32 v3, 0x7f000000, v1
	v_ffbh_u32_e32 v5, v3
	v_min_u32_e32 v5, 32, v5
	v_sub_u32_e64 v5, v5, 4 clamp
	v_lshlrev_b32_e32 v9, v5, v3
	v_lshlrev_b32_e32 v5, 23, v5
	v_lshrrev_b32_e32 v9, 4, v9
	v_add_u32_e32 v7, 0x1000000, v3
	v_sub_u32_e32 v5, v9, v5
	v_ashrrev_i32_e32 v7, 8, v7
	v_add_u32_e32 v5, 0x3c000000, v5
	v_and_or_b32 v5, v7, s2, v5
	v_cmp_ne_u32_e32 vcc, 0, v3
	s_brev_b32 s2, 1
	s_nop 0
	v_cndmask_b32_e32 v3, 0, v5, vcc
	v_and_or_b32 v1, v1, s2, v3
	v_cvt_i32_f32_e32 v5, v1
.LBB31_1187:
	s_mov_b64 s[2:3], 0
.LBB31_1188:
	s_andn2_b64 vcc, exec, s[2:3]
	s_cbranch_vccnz .LBB31_1190
; %bb.1189:
	global_load_ubyte v1, v[14:15], off
	s_movk_i32 s2, 0x7f00
	s_brev_b32 s3, 16
	s_waitcnt vmcnt(0)
	v_lshlrev_b16_e32 v3, 8, v1
	v_lshlrev_b32_e32 v1, 25, v1
	v_lshrrev_b32_e32 v5, 4, v1
	v_and_or_b32 v7, v3, s2, 0.5
	v_or_b32_e32 v5, 0x70000000, v5
	v_add_f32_e32 v7, -0.5, v7
	v_mul_f32_e32 v5, 0x7800000, v5
	v_cmp_gt_u32_e32 vcc, s3, v1
	v_bfe_i32 v3, v3, 0, 16
	s_brev_b32 s2, 1
	v_cndmask_b32_e32 v1, v5, v7, vcc
	v_and_or_b32 v1, v3, s2, v1
	v_cvt_i32_f32_e32 v5, v1
.LBB31_1190:
	s_mov_b64 s[10:11], -1
	s_mov_b64 s[8:9], 0
	s_cbranch_execnz .LBB31_1201
.LBB31_1191:
	s_cmp_gt_i32 s13, 14
	s_cbranch_scc0 .LBB31_1194
; %bb.1192:
	s_cmp_eq_u32 s13, 15
	s_cbranch_scc0 .LBB31_1197
; %bb.1193:
	global_load_ushort v1, v[14:15], off
	s_mov_b64 s[0:1], 0
	s_mov_b64 s[10:11], -1
	s_waitcnt vmcnt(0)
	v_lshlrev_b32_e32 v1, 16, v1
	v_cvt_i32_f32_e32 v5, v1
	s_branch .LBB31_1198
.LBB31_1194:
	s_mov_b64 s[2:3], -1
                                        ; implicit-def: $vgpr5
	s_branch .LBB31_1199
.LBB31_1195:
	s_andn2_saveexec_b64 s[2:3], s[2:3]
	s_cbranch_execz .LBB31_1177
.LBB31_1196:
	v_cmp_ne_u16_e32 vcc, 0, v1
	s_andn2_b64 s[8:9], s[8:9], exec
	s_and_b64 s[10:11], vcc, exec
	s_or_b64 s[8:9], s[8:9], s[10:11]
	s_or_b64 exec, exec, s[2:3]
	v_mov_b32_e32 v5, 0
	s_and_saveexec_b64 s[2:3], s[8:9]
	s_cbranch_execnz .LBB31_1178
	s_branch .LBB31_1179
.LBB31_1197:
	s_mov_b64 s[0:1], -1
                                        ; implicit-def: $vgpr5
.LBB31_1198:
	s_mov_b64 s[2:3], 0
.LBB31_1199:
	s_and_b64 vcc, exec, s[2:3]
	s_cbranch_vccz .LBB31_1201
; %bb.1200:
	s_cmp_lg_u32 s13, 11
	s_mov_b64 s[8:9], -1
	s_cselect_b64 s[0:1], -1, 0
.LBB31_1201:
	s_and_b64 vcc, exec, s[0:1]
	s_mov_b64 s[2:3], s[24:25]
	s_cbranch_vccnz .LBB31_1262
; %bb.1202:
	s_andn2_b64 vcc, exec, s[8:9]
	s_cbranch_vccnz .LBB31_1204
.LBB31_1203:
	global_load_ubyte v1, v[14:15], off
	s_mov_b64 s[10:11], -1
	s_waitcnt vmcnt(0)
	v_cmp_ne_u16_e32 vcc, 0, v1
	s_nop 1
	v_cndmask_b32_e64 v5, 0, 1, vcc
.LBB31_1204:
	s_branch .LBB31_1139
.LBB31_1205:
	s_and_b32 s8, 0xffff, s12
	s_cmp_lt_i32 s8, 5
	s_cbranch_scc1 .LBB31_1210
; %bb.1206:
	s_cmp_lt_i32 s8, 8
	s_cbranch_scc1 .LBB31_1211
; %bb.1207:
	;; [unrolled: 3-line block ×3, first 2 shown]
	s_cmp_gt_i32 s8, 9
	s_cbranch_scc0 .LBB31_1213
; %bb.1209:
	global_load_dwordx2 v[16:17], v[14:15], off
	s_mov_b64 s[0:1], 0
	s_waitcnt vmcnt(0)
	v_cvt_i32_f64_e32 v5, v[16:17]
	s_branch .LBB31_1214
.LBB31_1210:
                                        ; implicit-def: $vgpr5
	s_branch .LBB31_1231
.LBB31_1211:
                                        ; implicit-def: $vgpr5
	s_branch .LBB31_1220
.LBB31_1212:
	s_mov_b64 s[0:1], -1
                                        ; implicit-def: $vgpr5
	s_branch .LBB31_1217
.LBB31_1213:
	s_mov_b64 s[0:1], -1
                                        ; implicit-def: $vgpr5
.LBB31_1214:
	s_andn2_b64 vcc, exec, s[0:1]
	s_cbranch_vccnz .LBB31_1216
; %bb.1215:
	global_load_dword v1, v[14:15], off
	s_waitcnt vmcnt(0)
	v_cvt_i32_f32_e32 v5, v1
.LBB31_1216:
	s_mov_b64 s[0:1], 0
.LBB31_1217:
	s_andn2_b64 vcc, exec, s[0:1]
	s_cbranch_vccnz .LBB31_1219
; %bb.1218:
	global_load_dword v1, v[14:15], off
	s_waitcnt vmcnt(0)
	v_cvt_f32_f16_e32 v1, v1
	v_cvt_i32_f32_e32 v5, v1
.LBB31_1219:
	s_cbranch_execnz .LBB31_1230
.LBB31_1220:
	s_cmp_lt_i32 s8, 6
	s_cbranch_scc1 .LBB31_1223
; %bb.1221:
	s_cmp_gt_i32 s8, 6
	s_cbranch_scc0 .LBB31_1224
; %bb.1222:
	global_load_dwordx2 v[16:17], v[14:15], off
	s_mov_b64 s[0:1], 0
	s_waitcnt vmcnt(0)
	v_cvt_i32_f64_e32 v5, v[16:17]
	s_branch .LBB31_1225
.LBB31_1223:
	s_mov_b64 s[0:1], -1
                                        ; implicit-def: $vgpr5
	s_branch .LBB31_1228
.LBB31_1224:
	s_mov_b64 s[0:1], -1
                                        ; implicit-def: $vgpr5
.LBB31_1225:
	s_andn2_b64 vcc, exec, s[0:1]
	s_cbranch_vccnz .LBB31_1227
; %bb.1226:
	global_load_dword v1, v[14:15], off
	s_waitcnt vmcnt(0)
	v_cvt_i32_f32_e32 v5, v1
.LBB31_1227:
	s_mov_b64 s[0:1], 0
.LBB31_1228:
	s_andn2_b64 vcc, exec, s[0:1]
	s_cbranch_vccnz .LBB31_1230
; %bb.1229:
	global_load_ushort v1, v[14:15], off
	s_waitcnt vmcnt(0)
	v_cvt_f32_f16_e32 v1, v1
	v_cvt_i32_f32_e32 v5, v1
.LBB31_1230:
	s_cbranch_execnz .LBB31_1249
.LBB31_1231:
	s_cmp_lt_i32 s8, 2
	s_cbranch_scc1 .LBB31_1235
; %bb.1232:
	s_cmp_lt_i32 s8, 3
	s_cbranch_scc1 .LBB31_1236
; %bb.1233:
	s_cmp_gt_i32 s8, 3
	s_cbranch_scc0 .LBB31_1237
; %bb.1234:
	global_load_dword v5, v[14:15], off
	s_mov_b64 s[0:1], 0
	s_branch .LBB31_1238
.LBB31_1235:
                                        ; implicit-def: $vgpr5
	s_branch .LBB31_1244
.LBB31_1236:
	s_mov_b64 s[0:1], -1
                                        ; implicit-def: $vgpr5
	s_branch .LBB31_1241
.LBB31_1237:
	s_mov_b64 s[0:1], -1
                                        ; implicit-def: $vgpr5
.LBB31_1238:
	s_andn2_b64 vcc, exec, s[0:1]
	s_cbranch_vccnz .LBB31_1240
; %bb.1239:
	global_load_dword v5, v[14:15], off
.LBB31_1240:
	s_mov_b64 s[0:1], 0
.LBB31_1241:
	s_andn2_b64 vcc, exec, s[0:1]
	s_cbranch_vccnz .LBB31_1243
; %bb.1242:
	global_load_sshort v5, v[14:15], off
.LBB31_1243:
	s_cbranch_execnz .LBB31_1249
.LBB31_1244:
	s_cmp_gt_i32 s8, 0
	s_cbranch_scc0 .LBB31_1246
; %bb.1245:
	global_load_sbyte v5, v[14:15], off
	s_mov_b64 s[0:1], 0
	s_branch .LBB31_1247
.LBB31_1246:
	s_mov_b64 s[0:1], -1
                                        ; implicit-def: $vgpr5
.LBB31_1247:
	s_andn2_b64 vcc, exec, s[0:1]
	s_cbranch_vccnz .LBB31_1249
; %bb.1248:
	global_load_ubyte v5, v[14:15], off
.LBB31_1249:
.LBB31_1250:
	s_lshr_b32 s0, s14, 16
	v_mov_b32_e32 v13, 0
	s_and_b32 s15, s0, 0xff
	s_cmp_lt_i32 s15, 11
	v_lshl_add_u64 v[12:13], s[6:7], 0, v[12:13]
	s_cbranch_scc1 .LBB31_1257
; %bb.1251:
	s_and_b32 s16, 0xffff, s15
	s_cmp_gt_i32 s16, 25
	s_mov_b64 s[8:9], 0
	s_cbranch_scc0 .LBB31_1259
; %bb.1252:
	s_cmp_gt_i32 s16, 28
	s_cbranch_scc0 .LBB31_1260
; %bb.1253:
	s_cmp_gt_i32 s16, 43
	;; [unrolled: 3-line block ×3, first 2 shown]
	s_cbranch_scc0 .LBB31_1263
; %bb.1255:
	s_cmp_eq_u32 s16, 46
	s_mov_b64 s[12:13], 0
	s_cbranch_scc0 .LBB31_1266
; %bb.1256:
	global_load_dword v1, v[12:13], off
	s_mov_b64 s[0:1], 0
	s_mov_b64 s[10:11], -1
	s_waitcnt vmcnt(0)
	v_lshlrev_b32_e32 v1, 16, v1
	v_cvt_i32_f32_e32 v3, v1
	s_branch .LBB31_1267
.LBB31_1257:
	s_mov_b64 s[10:11], 0
                                        ; implicit-def: $vgpr3
	s_cbranch_execnz .LBB31_1328
.LBB31_1258:
	s_andn2_b64 vcc, exec, s[10:11]
	s_cbranch_vccz .LBB31_1375
	s_branch .LBB31_1512
.LBB31_1259:
	s_mov_b64 s[10:11], 0
	s_mov_b64 s[0:1], 0
                                        ; implicit-def: $vgpr3
	s_cbranch_execnz .LBB31_1294
	s_branch .LBB31_1324
.LBB31_1260:
	s_mov_b64 s[12:13], -1
	s_mov_b64 s[10:11], 0
	s_mov_b64 s[0:1], 0
                                        ; implicit-def: $vgpr3
	s_branch .LBB31_1277
.LBB31_1261:
	s_mov_b64 s[12:13], -1
	s_mov_b64 s[10:11], 0
	s_mov_b64 s[0:1], 0
                                        ; implicit-def: $vgpr3
	s_branch .LBB31_1272
.LBB31_1262:
	s_or_b64 s[2:3], s[24:25], exec
	s_trap 2
	s_cbranch_execz .LBB31_1203
	s_branch .LBB31_1204
.LBB31_1263:
	s_mov_b64 s[12:13], -1
	s_mov_b64 s[10:11], 0
	s_mov_b64 s[0:1], 0
                                        ; implicit-def: $vgpr3
	s_branch .LBB31_1267
.LBB31_1264:
	s_andn2_saveexec_b64 s[14:15], s[14:15]
	s_cbranch_execz .LBB31_999
.LBB31_1265:
	s_mov_b32 s18, 0x42800000
	v_add_f32_e64 v1, |v0|, s18
	v_and_b32_e32 v1, 0xff, v1
	v_cmp_ne_u32_e32 vcc, 0, v1
	s_andn2_b64 s[12:13], s[12:13], exec
	s_and_b64 s[18:19], vcc, exec
	s_or_b64 s[12:13], s[12:13], s[18:19]
	s_or_b64 exec, exec, s[14:15]
	v_mov_b32_e32 v3, 0
	s_and_saveexec_b64 s[14:15], s[12:13]
	s_cbranch_execnz .LBB31_1000
	s_branch .LBB31_1001
.LBB31_1266:
	s_mov_b64 s[0:1], -1
                                        ; implicit-def: $vgpr3
	s_mov_b64 s[10:11], 0
.LBB31_1267:
	s_and_b64 vcc, exec, s[12:13]
	s_cbranch_vccz .LBB31_1271
; %bb.1268:
	s_cmp_eq_u32 s16, 44
	s_cbranch_scc0 .LBB31_1270
; %bb.1269:
	global_load_ubyte v1, v[12:13], off
	s_mov_b64 s[0:1], 0
	s_mov_b64 s[10:11], -1
	s_waitcnt vmcnt(0)
	v_lshlrev_b32_e32 v3, 23, v1
	v_cvt_i32_f32_e32 v3, v3
	v_cmp_ne_u32_e32 vcc, 0, v1
	s_nop 1
	v_cndmask_b32_e32 v3, 0, v3, vcc
	s_branch .LBB31_1271
.LBB31_1270:
	s_mov_b64 s[0:1], -1
                                        ; implicit-def: $vgpr3
.LBB31_1271:
	s_mov_b64 s[12:13], 0
.LBB31_1272:
	s_and_b64 vcc, exec, s[12:13]
	s_cbranch_vccz .LBB31_1276
; %bb.1273:
	s_cmp_eq_u32 s16, 29
	s_cbranch_scc0 .LBB31_1275
; %bb.1274:
	global_load_dword v3, v[12:13], off
	s_mov_b64 s[0:1], 0
	s_mov_b64 s[10:11], -1
	s_branch .LBB31_1276
.LBB31_1275:
	s_mov_b64 s[0:1], -1
                                        ; implicit-def: $vgpr3
.LBB31_1276:
	s_mov_b64 s[12:13], 0
.LBB31_1277:
	s_and_b64 vcc, exec, s[12:13]
	s_cbranch_vccz .LBB31_1293
; %bb.1278:
	s_cmp_lt_i32 s16, 27
	s_cbranch_scc1 .LBB31_1281
; %bb.1279:
	s_cmp_gt_i32 s16, 27
	s_cbranch_scc0 .LBB31_1282
; %bb.1280:
	global_load_dword v3, v[12:13], off
	s_mov_b64 s[10:11], 0
	s_branch .LBB31_1283
.LBB31_1281:
	s_mov_b64 s[10:11], -1
                                        ; implicit-def: $vgpr3
	s_branch .LBB31_1286
.LBB31_1282:
	s_mov_b64 s[10:11], -1
                                        ; implicit-def: $vgpr3
.LBB31_1283:
	s_andn2_b64 vcc, exec, s[10:11]
	s_cbranch_vccnz .LBB31_1285
; %bb.1284:
	global_load_ushort v3, v[12:13], off
.LBB31_1285:
	s_mov_b64 s[10:11], 0
.LBB31_1286:
	s_andn2_b64 vcc, exec, s[10:11]
	s_cbranch_vccnz .LBB31_1292
; %bb.1287:
	global_load_ubyte v1, v[12:13], off
	s_movk_i32 s10, 0x7f
	s_mov_b64 s[12:13], 0
	s_waitcnt vmcnt(0)
	v_cmp_lt_i16_e32 vcc, s10, v1
	s_and_saveexec_b64 s[10:11], vcc
	s_xor_b64 s[10:11], exec, s[10:11]
	s_cbranch_execz .LBB31_1303
; %bb.1288:
	s_movk_i32 s12, 0x80
	v_cmp_ne_u16_e32 vcc, s12, v1
	s_and_b64 s[12:13], vcc, exec
	s_andn2_saveexec_b64 s[10:11], s[10:11]
	s_cbranch_execnz .LBB31_1304
.LBB31_1289:
	s_or_b64 exec, exec, s[10:11]
	v_mov_b32_e32 v3, 0
	s_and_saveexec_b64 s[10:11], s[12:13]
	s_cbranch_execz .LBB31_1291
.LBB31_1290:
	v_lshlrev_b32_e32 v3, 24, v1
	v_and_b32_e32 v1, 0xffff, v1
	v_and_b32_e32 v7, 7, v1
	v_ffbh_u32_e32 v11, v7
	v_min_u32_e32 v11, 32, v11
	v_subrev_u32_e32 v14, 28, v11
	v_bfe_u32 v9, v1, 3, 4
	v_lshlrev_b32_e32 v1, v14, v1
	v_sub_u32_e32 v11, 29, v11
	v_and_b32_e32 v1, 7, v1
	v_cmp_eq_u32_e32 vcc, 0, v9
	v_and_b32_e32 v3, 0x80000000, v3
	s_nop 0
	v_cndmask_b32_e32 v9, v9, v11, vcc
	v_cndmask_b32_e32 v1, v7, v1, vcc
	v_mov_b32_e32 v7, 0x3b800000
	v_lshlrev_b32_e32 v1, 20, v1
	v_lshl_add_u32 v7, v9, 23, v7
	v_or3_b32 v1, v3, v7, v1
	v_cvt_i32_f32_e32 v3, v1
.LBB31_1291:
	s_or_b64 exec, exec, s[10:11]
.LBB31_1292:
	s_mov_b64 s[10:11], -1
.LBB31_1293:
	s_branch .LBB31_1324
.LBB31_1294:
	s_cmp_gt_i32 s16, 22
	s_cbranch_scc0 .LBB31_1302
; %bb.1295:
	s_cmp_lt_i32 s16, 24
	s_cbranch_scc1 .LBB31_1305
; %bb.1296:
	s_cmp_gt_i32 s16, 24
	s_cbranch_scc0 .LBB31_1306
; %bb.1297:
	global_load_ubyte v1, v[12:13], off
	s_movk_i32 s8, 0x7f
	s_mov_b64 s[10:11], 0
	s_waitcnt vmcnt(0)
	v_cmp_lt_i16_e32 vcc, s8, v1
	s_and_saveexec_b64 s[8:9], vcc
	s_xor_b64 s[8:9], exec, s[8:9]
	s_cbranch_execz .LBB31_1318
; %bb.1298:
	s_movk_i32 s10, 0x80
	v_cmp_ne_u16_e32 vcc, s10, v1
	s_and_b64 s[10:11], vcc, exec
	s_andn2_saveexec_b64 s[8:9], s[8:9]
	s_cbranch_execnz .LBB31_1319
.LBB31_1299:
	s_or_b64 exec, exec, s[8:9]
	v_mov_b32_e32 v3, 0
	s_and_saveexec_b64 s[8:9], s[10:11]
	s_cbranch_execz .LBB31_1301
.LBB31_1300:
	v_lshlrev_b32_e32 v3, 24, v1
	v_and_b32_e32 v1, 0xffff, v1
	v_and_b32_e32 v7, 3, v1
	v_ffbh_u32_e32 v11, v7
	v_min_u32_e32 v11, 32, v11
	v_subrev_u32_e32 v14, 29, v11
	v_bfe_u32 v9, v1, 2, 5
	v_lshlrev_b32_e32 v1, v14, v1
	v_sub_u32_e32 v11, 30, v11
	v_and_b32_e32 v1, 3, v1
	v_cmp_eq_u32_e32 vcc, 0, v9
	v_and_b32_e32 v3, 0x80000000, v3
	s_nop 0
	v_cndmask_b32_e32 v9, v9, v11, vcc
	v_cndmask_b32_e32 v1, v7, v1, vcc
	v_mov_b32_e32 v7, 0x37800000
	v_lshlrev_b32_e32 v1, 21, v1
	v_lshl_add_u32 v7, v9, 23, v7
	v_or3_b32 v1, v3, v7, v1
	v_cvt_i32_f32_e32 v3, v1
.LBB31_1301:
	s_or_b64 exec, exec, s[8:9]
	s_mov_b64 s[8:9], 0
	s_branch .LBB31_1307
.LBB31_1302:
	s_mov_b64 s[8:9], -1
                                        ; implicit-def: $vgpr3
	s_branch .LBB31_1313
.LBB31_1303:
	s_andn2_saveexec_b64 s[10:11], s[10:11]
	s_cbranch_execz .LBB31_1289
.LBB31_1304:
	v_cmp_ne_u16_e32 vcc, 0, v1
	s_andn2_b64 s[12:13], s[12:13], exec
	s_and_b64 s[18:19], vcc, exec
	s_or_b64 s[12:13], s[12:13], s[18:19]
	s_or_b64 exec, exec, s[10:11]
	v_mov_b32_e32 v3, 0
	s_and_saveexec_b64 s[10:11], s[12:13]
	s_cbranch_execnz .LBB31_1290
	s_branch .LBB31_1291
.LBB31_1305:
	s_mov_b64 s[8:9], -1
                                        ; implicit-def: $vgpr3
	s_branch .LBB31_1310
.LBB31_1306:
	s_mov_b64 s[8:9], -1
                                        ; implicit-def: $vgpr3
.LBB31_1307:
	s_and_b64 vcc, exec, s[8:9]
	s_cbranch_vccz .LBB31_1309
; %bb.1308:
	global_load_ubyte v1, v[12:13], off
	s_mov_b32 s8, 0x7f800000
	s_waitcnt vmcnt(0)
	v_lshlrev_b32_e32 v1, 24, v1
	v_and_b32_e32 v3, 0x7f000000, v1
	v_ffbh_u32_e32 v7, v3
	v_min_u32_e32 v7, 32, v7
	v_sub_u32_e64 v7, v7, 4 clamp
	v_lshlrev_b32_e32 v11, v7, v3
	v_lshlrev_b32_e32 v7, 23, v7
	v_lshrrev_b32_e32 v11, 4, v11
	v_add_u32_e32 v9, 0x1000000, v3
	v_sub_u32_e32 v7, v11, v7
	v_ashrrev_i32_e32 v9, 8, v9
	v_add_u32_e32 v7, 0x3c000000, v7
	v_and_or_b32 v7, v9, s8, v7
	v_cmp_ne_u32_e32 vcc, 0, v3
	s_brev_b32 s8, 1
	s_nop 0
	v_cndmask_b32_e32 v3, 0, v7, vcc
	v_and_or_b32 v1, v1, s8, v3
	v_cvt_i32_f32_e32 v3, v1
.LBB31_1309:
	s_mov_b64 s[8:9], 0
.LBB31_1310:
	s_andn2_b64 vcc, exec, s[8:9]
	s_cbranch_vccnz .LBB31_1312
; %bb.1311:
	global_load_ubyte v1, v[12:13], off
	s_movk_i32 s8, 0x7f00
	s_brev_b32 s9, 16
	s_waitcnt vmcnt(0)
	v_lshlrev_b16_e32 v3, 8, v1
	v_lshlrev_b32_e32 v1, 25, v1
	v_lshrrev_b32_e32 v7, 4, v1
	v_and_or_b32 v9, v3, s8, 0.5
	v_or_b32_e32 v7, 0x70000000, v7
	v_add_f32_e32 v9, -0.5, v9
	v_mul_f32_e32 v7, 0x7800000, v7
	v_cmp_gt_u32_e32 vcc, s9, v1
	v_bfe_i32 v3, v3, 0, 16
	s_brev_b32 s8, 1
	v_cndmask_b32_e32 v1, v7, v9, vcc
	v_and_or_b32 v1, v3, s8, v1
	v_cvt_i32_f32_e32 v3, v1
.LBB31_1312:
	s_mov_b64 s[8:9], 0
	s_mov_b64 s[10:11], -1
.LBB31_1313:
	s_andn2_b64 vcc, exec, s[8:9]
	s_mov_b64 s[8:9], 0
	s_cbranch_vccnz .LBB31_1324
; %bb.1314:
	s_cmp_gt_i32 s16, 14
	s_cbranch_scc0 .LBB31_1317
; %bb.1315:
	s_cmp_eq_u32 s16, 15
	s_cbranch_scc0 .LBB31_1320
; %bb.1316:
	global_load_ushort v1, v[12:13], off
	s_mov_b64 s[0:1], 0
	s_mov_b64 s[10:11], -1
	s_waitcnt vmcnt(0)
	v_lshlrev_b32_e32 v1, 16, v1
	v_cvt_i32_f32_e32 v3, v1
	s_branch .LBB31_1321
.LBB31_1317:
	s_mov_b64 s[12:13], -1
                                        ; implicit-def: $vgpr3
	s_branch .LBB31_1322
.LBB31_1318:
	s_andn2_saveexec_b64 s[8:9], s[8:9]
	s_cbranch_execz .LBB31_1299
.LBB31_1319:
	v_cmp_ne_u16_e32 vcc, 0, v1
	s_andn2_b64 s[10:11], s[10:11], exec
	s_and_b64 s[12:13], vcc, exec
	s_or_b64 s[10:11], s[10:11], s[12:13]
	s_or_b64 exec, exec, s[8:9]
	v_mov_b32_e32 v3, 0
	s_and_saveexec_b64 s[8:9], s[10:11]
	s_cbranch_execnz .LBB31_1300
	s_branch .LBB31_1301
.LBB31_1320:
	s_mov_b64 s[0:1], -1
                                        ; implicit-def: $vgpr3
.LBB31_1321:
	s_mov_b64 s[12:13], 0
.LBB31_1322:
	s_and_b64 vcc, exec, s[12:13]
	s_cbranch_vccz .LBB31_1324
; %bb.1323:
	s_cmp_lg_u32 s16, 11
	s_mov_b64 s[8:9], -1
	s_cselect_b64 s[0:1], -1, 0
.LBB31_1324:
	s_and_b64 vcc, exec, s[0:1]
	s_cbranch_vccnz .LBB31_1397
; %bb.1325:
	s_andn2_b64 vcc, exec, s[8:9]
	s_cbranch_vccnz .LBB31_1327
.LBB31_1326:
	global_load_ubyte v1, v[12:13], off
	s_mov_b64 s[10:11], -1
	s_waitcnt vmcnt(0)
	v_cmp_ne_u16_e32 vcc, 0, v1
	s_nop 1
	v_cndmask_b32_e64 v3, 0, 1, vcc
.LBB31_1327:
	s_branch .LBB31_1258
.LBB31_1328:
	s_and_b32 s8, 0xffff, s15
	s_cmp_lt_i32 s8, 5
	s_cbranch_scc1 .LBB31_1333
; %bb.1329:
	s_cmp_lt_i32 s8, 8
	s_cbranch_scc1 .LBB31_1334
; %bb.1330:
	;; [unrolled: 3-line block ×3, first 2 shown]
	s_cmp_gt_i32 s8, 9
	s_cbranch_scc0 .LBB31_1336
; %bb.1332:
	global_load_dwordx2 v[14:15], v[12:13], off
	s_mov_b64 s[0:1], 0
	s_waitcnt vmcnt(0)
	v_cvt_i32_f64_e32 v3, v[14:15]
	s_branch .LBB31_1337
.LBB31_1333:
                                        ; implicit-def: $vgpr3
	s_branch .LBB31_1355
.LBB31_1334:
	s_mov_b64 s[0:1], -1
                                        ; implicit-def: $vgpr3
	s_branch .LBB31_1343
.LBB31_1335:
	s_mov_b64 s[0:1], -1
                                        ; implicit-def: $vgpr3
	s_branch .LBB31_1340
.LBB31_1336:
	s_mov_b64 s[0:1], -1
                                        ; implicit-def: $vgpr3
.LBB31_1337:
	s_andn2_b64 vcc, exec, s[0:1]
	s_cbranch_vccnz .LBB31_1339
; %bb.1338:
	global_load_dword v1, v[12:13], off
	s_waitcnt vmcnt(0)
	v_cvt_i32_f32_e32 v3, v1
.LBB31_1339:
	s_mov_b64 s[0:1], 0
.LBB31_1340:
	s_andn2_b64 vcc, exec, s[0:1]
	s_cbranch_vccnz .LBB31_1342
; %bb.1341:
	global_load_dword v1, v[12:13], off
	s_waitcnt vmcnt(0)
	v_cvt_f32_f16_e32 v1, v1
	v_cvt_i32_f32_e32 v3, v1
.LBB31_1342:
	s_mov_b64 s[0:1], 0
.LBB31_1343:
	s_andn2_b64 vcc, exec, s[0:1]
	s_cbranch_vccnz .LBB31_1354
; %bb.1344:
	s_cmp_lt_i32 s8, 6
	s_cbranch_scc1 .LBB31_1347
; %bb.1345:
	s_cmp_gt_i32 s8, 6
	s_cbranch_scc0 .LBB31_1348
; %bb.1346:
	global_load_dwordx2 v[14:15], v[12:13], off
	s_mov_b64 s[0:1], 0
	s_waitcnt vmcnt(0)
	v_cvt_i32_f64_e32 v3, v[14:15]
	s_branch .LBB31_1349
.LBB31_1347:
	s_mov_b64 s[0:1], -1
                                        ; implicit-def: $vgpr3
	s_branch .LBB31_1352
.LBB31_1348:
	s_mov_b64 s[0:1], -1
                                        ; implicit-def: $vgpr3
.LBB31_1349:
	s_andn2_b64 vcc, exec, s[0:1]
	s_cbranch_vccnz .LBB31_1351
; %bb.1350:
	global_load_dword v1, v[12:13], off
	s_waitcnt vmcnt(0)
	v_cvt_i32_f32_e32 v3, v1
.LBB31_1351:
	s_mov_b64 s[0:1], 0
.LBB31_1352:
	s_andn2_b64 vcc, exec, s[0:1]
	s_cbranch_vccnz .LBB31_1354
; %bb.1353:
	global_load_ushort v1, v[12:13], off
	s_waitcnt vmcnt(0)
	v_cvt_f32_f16_e32 v1, v1
	v_cvt_i32_f32_e32 v3, v1
.LBB31_1354:
	s_cbranch_execnz .LBB31_1374
.LBB31_1355:
	s_cmp_lt_i32 s8, 2
	s_cbranch_scc1 .LBB31_1359
; %bb.1356:
	s_cmp_lt_i32 s8, 3
	s_cbranch_scc1 .LBB31_1360
; %bb.1357:
	s_cmp_gt_i32 s8, 3
	s_cbranch_scc0 .LBB31_1361
; %bb.1358:
	global_load_dword v3, v[12:13], off
	s_mov_b64 s[0:1], 0
	s_branch .LBB31_1362
.LBB31_1359:
	s_mov_b64 s[0:1], -1
                                        ; implicit-def: $vgpr3
	s_branch .LBB31_1368
.LBB31_1360:
	s_mov_b64 s[0:1], -1
                                        ; implicit-def: $vgpr3
	s_branch .LBB31_1365
.LBB31_1361:
	s_mov_b64 s[0:1], -1
                                        ; implicit-def: $vgpr3
.LBB31_1362:
	s_andn2_b64 vcc, exec, s[0:1]
	s_cbranch_vccnz .LBB31_1364
; %bb.1363:
	global_load_dword v3, v[12:13], off
.LBB31_1364:
	s_mov_b64 s[0:1], 0
.LBB31_1365:
	s_andn2_b64 vcc, exec, s[0:1]
	s_cbranch_vccnz .LBB31_1367
; %bb.1366:
	global_load_sshort v3, v[12:13], off
.LBB31_1367:
	s_mov_b64 s[0:1], 0
.LBB31_1368:
	s_andn2_b64 vcc, exec, s[0:1]
	s_cbranch_vccnz .LBB31_1374
; %bb.1369:
	s_cmp_gt_i32 s8, 0
	s_cbranch_scc0 .LBB31_1371
; %bb.1370:
	global_load_sbyte v3, v[12:13], off
	s_mov_b64 s[0:1], 0
	s_branch .LBB31_1372
.LBB31_1371:
	s_mov_b64 s[0:1], -1
                                        ; implicit-def: $vgpr3
.LBB31_1372:
	s_andn2_b64 vcc, exec, s[0:1]
	s_cbranch_vccnz .LBB31_1374
; %bb.1373:
	global_load_ubyte v3, v[12:13], off
.LBB31_1374:
.LBB31_1375:
	v_mov_b32_e32 v11, 0
	s_cmp_lt_i32 s15, 11
	v_lshl_add_u64 v[10:11], s[6:7], 0, v[10:11]
	s_cbranch_scc1 .LBB31_1382
; %bb.1376:
	s_and_b32 s16, 0xffff, s15
	s_cmp_gt_i32 s16, 25
	s_mov_b64 s[8:9], 0
	s_cbranch_scc0 .LBB31_1391
; %bb.1377:
	s_cmp_gt_i32 s16, 28
	s_cbranch_scc0 .LBB31_1393
; %bb.1378:
	s_cmp_gt_i32 s16, 43
	;; [unrolled: 3-line block ×3, first 2 shown]
	s_cbranch_scc0 .LBB31_1398
; %bb.1380:
	s_cmp_eq_u32 s16, 46
	s_mov_b64 s[12:13], 0
	s_cbranch_scc0 .LBB31_1400
; %bb.1381:
	global_load_dword v1, v[10:11], off
	s_mov_b64 s[0:1], 0
	s_mov_b64 s[10:11], -1
	s_waitcnt vmcnt(0)
	v_lshlrev_b32_e32 v1, 16, v1
	v_cvt_i32_f32_e32 v1, v1
	s_branch .LBB31_1401
.LBB31_1382:
	s_mov_b64 s[10:11], 0
                                        ; implicit-def: $vgpr1
	s_cbranch_execnz .LBB31_1464
.LBB31_1383:
	s_andn2_b64 vcc, exec, s[10:11]
	s_cbranch_vccnz .LBB31_1512
.LBB31_1384:
	v_mov_b32_e32 v9, 0
	s_cmp_lt_i32 s15, 11
	v_lshl_add_u64 v[8:9], s[6:7], 0, v[8:9]
	s_cbranch_scc1 .LBB31_1392
; %bb.1385:
	s_and_b32 s12, 0xffff, s15
	s_cmp_gt_i32 s12, 25
	s_mov_b64 s[6:7], 0
	s_cbranch_scc0 .LBB31_1394
; %bb.1386:
	s_cmp_gt_i32 s12, 28
	s_cbranch_scc0 .LBB31_1396
; %bb.1387:
	s_cmp_gt_i32 s12, 43
	;; [unrolled: 3-line block ×3, first 2 shown]
	s_cbranch_scc0 .LBB31_1404
; %bb.1389:
	s_cmp_eq_u32 s12, 46
	s_mov_b64 s[10:11], 0
	s_cbranch_scc0 .LBB31_1559
; %bb.1390:
	global_load_dword v7, v[8:9], off
	s_mov_b64 s[0:1], 0
	s_mov_b64 s[8:9], -1
	s_waitcnt vmcnt(0)
	v_lshlrev_b32_e32 v7, 16, v7
	v_cvt_i32_f32_e32 v10, v7
	s_branch .LBB31_1560
.LBB31_1391:
	s_mov_b64 s[12:13], -1
	s_mov_b64 s[10:11], 0
	s_mov_b64 s[0:1], 0
                                        ; implicit-def: $vgpr1
	s_branch .LBB31_1429
.LBB31_1392:
	s_mov_b64 s[0:1], -1
	s_mov_b64 s[8:9], 0
                                        ; implicit-def: $vgpr10
	s_branch .LBB31_1622
.LBB31_1393:
	s_mov_b64 s[12:13], -1
	s_mov_b64 s[10:11], 0
	s_mov_b64 s[0:1], 0
                                        ; implicit-def: $vgpr1
	s_branch .LBB31_1412
.LBB31_1394:
	s_mov_b64 s[10:11], -1
	s_mov_b64 s[8:9], 0
	s_mov_b64 s[0:1], 0
                                        ; implicit-def: $vgpr10
	s_branch .LBB31_1587
.LBB31_1395:
	s_mov_b64 s[12:13], -1
	s_mov_b64 s[10:11], 0
	s_mov_b64 s[0:1], 0
                                        ; implicit-def: $vgpr1
	s_branch .LBB31_1407
.LBB31_1396:
	s_mov_b64 s[10:11], -1
	s_mov_b64 s[8:9], 0
	s_mov_b64 s[0:1], 0
                                        ; implicit-def: $vgpr10
	s_branch .LBB31_1570
.LBB31_1397:
	s_trap 2
	s_or_b64 s[2:3], s[2:3], exec
	s_cbranch_execz .LBB31_1326
	s_branch .LBB31_1327
.LBB31_1398:
	s_mov_b64 s[12:13], -1
	s_mov_b64 s[10:11], 0
	s_mov_b64 s[0:1], 0
                                        ; implicit-def: $vgpr1
	s_branch .LBB31_1401
.LBB31_1399:
	s_mov_b64 s[10:11], -1
	s_mov_b64 s[8:9], 0
	s_mov_b64 s[0:1], 0
                                        ; implicit-def: $vgpr10
	s_branch .LBB31_1565
.LBB31_1400:
	s_mov_b64 s[0:1], -1
                                        ; implicit-def: $vgpr1
	s_mov_b64 s[10:11], 0
.LBB31_1401:
	s_and_b64 vcc, exec, s[12:13]
	s_cbranch_vccz .LBB31_1406
; %bb.1402:
	s_cmp_eq_u32 s16, 44
	s_cbranch_scc0 .LBB31_1405
; %bb.1403:
	global_load_ubyte v1, v[10:11], off
	s_mov_b64 s[0:1], 0
	s_mov_b64 s[10:11], -1
	s_waitcnt vmcnt(0)
	v_lshlrev_b32_e32 v7, 23, v1
	v_cvt_i32_f32_e32 v7, v7
	v_cmp_ne_u32_e32 vcc, 0, v1
	s_nop 1
	v_cndmask_b32_e32 v1, 0, v7, vcc
	s_branch .LBB31_1406
.LBB31_1404:
	s_mov_b64 s[10:11], -1
	s_mov_b64 s[8:9], 0
	s_mov_b64 s[0:1], 0
                                        ; implicit-def: $vgpr10
	s_branch .LBB31_1560
.LBB31_1405:
	s_mov_b64 s[0:1], -1
                                        ; implicit-def: $vgpr1
.LBB31_1406:
	s_mov_b64 s[12:13], 0
.LBB31_1407:
	s_and_b64 vcc, exec, s[12:13]
	s_cbranch_vccz .LBB31_1411
; %bb.1408:
	s_cmp_eq_u32 s16, 29
	s_cbranch_scc0 .LBB31_1410
; %bb.1409:
	global_load_dword v1, v[10:11], off
	s_mov_b64 s[0:1], 0
	s_mov_b64 s[10:11], -1
	s_branch .LBB31_1411
.LBB31_1410:
	s_mov_b64 s[0:1], -1
                                        ; implicit-def: $vgpr1
.LBB31_1411:
	s_mov_b64 s[12:13], 0
.LBB31_1412:
	s_and_b64 vcc, exec, s[12:13]
	s_cbranch_vccz .LBB31_1428
; %bb.1413:
	s_cmp_lt_i32 s16, 27
	s_cbranch_scc1 .LBB31_1416
; %bb.1414:
	s_cmp_gt_i32 s16, 27
	s_cbranch_scc0 .LBB31_1417
; %bb.1415:
	global_load_dword v1, v[10:11], off
	s_mov_b64 s[10:11], 0
	s_branch .LBB31_1418
.LBB31_1416:
	s_mov_b64 s[10:11], -1
                                        ; implicit-def: $vgpr1
	s_branch .LBB31_1421
.LBB31_1417:
	s_mov_b64 s[10:11], -1
                                        ; implicit-def: $vgpr1
.LBB31_1418:
	s_andn2_b64 vcc, exec, s[10:11]
	s_cbranch_vccnz .LBB31_1420
; %bb.1419:
	global_load_ushort v1, v[10:11], off
.LBB31_1420:
	s_mov_b64 s[10:11], 0
.LBB31_1421:
	s_andn2_b64 vcc, exec, s[10:11]
	s_cbranch_vccnz .LBB31_1427
; %bb.1422:
	global_load_ubyte v7, v[10:11], off
	s_movk_i32 s10, 0x7f
	s_mov_b64 s[12:13], 0
	s_waitcnt vmcnt(0)
	v_cmp_lt_i16_e32 vcc, s10, v7
	s_and_saveexec_b64 s[10:11], vcc
	s_xor_b64 s[10:11], exec, s[10:11]
	s_cbranch_execz .LBB31_1439
; %bb.1423:
	s_movk_i32 s12, 0x80
	v_cmp_ne_u16_e32 vcc, s12, v7
	s_and_b64 s[12:13], vcc, exec
	s_andn2_saveexec_b64 s[10:11], s[10:11]
	s_cbranch_execnz .LBB31_1440
.LBB31_1424:
	s_or_b64 exec, exec, s[10:11]
	v_mov_b32_e32 v1, 0
	s_and_saveexec_b64 s[10:11], s[12:13]
	s_cbranch_execz .LBB31_1426
.LBB31_1425:
	v_lshlrev_b32_e32 v1, 24, v7
	v_and_b32_e32 v7, 0xffff, v7
	v_and_b32_e32 v9, 7, v7
	v_ffbh_u32_e32 v13, v9
	v_min_u32_e32 v13, 32, v13
	v_subrev_u32_e32 v14, 28, v13
	v_bfe_u32 v12, v7, 3, 4
	v_lshlrev_b32_e32 v7, v14, v7
	v_sub_u32_e32 v13, 29, v13
	v_and_b32_e32 v7, 7, v7
	v_cmp_eq_u32_e32 vcc, 0, v12
	v_and_b32_e32 v1, 0x80000000, v1
	s_nop 0
	v_cndmask_b32_e32 v12, v12, v13, vcc
	v_cndmask_b32_e32 v7, v9, v7, vcc
	v_mov_b32_e32 v9, 0x3b800000
	v_lshlrev_b32_e32 v7, 20, v7
	v_lshl_add_u32 v9, v12, 23, v9
	v_or3_b32 v1, v1, v9, v7
	v_cvt_i32_f32_e32 v1, v1
.LBB31_1426:
	s_or_b64 exec, exec, s[10:11]
.LBB31_1427:
	s_mov_b64 s[10:11], -1
.LBB31_1428:
	s_mov_b64 s[12:13], 0
.LBB31_1429:
	s_and_b64 vcc, exec, s[12:13]
	s_cbranch_vccz .LBB31_1460
; %bb.1430:
	s_cmp_gt_i32 s16, 22
	s_cbranch_scc0 .LBB31_1438
; %bb.1431:
	s_cmp_lt_i32 s16, 24
	s_cbranch_scc1 .LBB31_1441
; %bb.1432:
	s_cmp_gt_i32 s16, 24
	s_cbranch_scc0 .LBB31_1442
; %bb.1433:
	global_load_ubyte v7, v[10:11], off
	s_movk_i32 s8, 0x7f
	s_mov_b64 s[10:11], 0
	s_waitcnt vmcnt(0)
	v_cmp_lt_i16_e32 vcc, s8, v7
	s_and_saveexec_b64 s[8:9], vcc
	s_xor_b64 s[8:9], exec, s[8:9]
	s_cbranch_execz .LBB31_1454
; %bb.1434:
	s_movk_i32 s10, 0x80
	v_cmp_ne_u16_e32 vcc, s10, v7
	s_and_b64 s[10:11], vcc, exec
	s_andn2_saveexec_b64 s[8:9], s[8:9]
	s_cbranch_execnz .LBB31_1455
.LBB31_1435:
	s_or_b64 exec, exec, s[8:9]
	v_mov_b32_e32 v1, 0
	s_and_saveexec_b64 s[8:9], s[10:11]
	s_cbranch_execz .LBB31_1437
.LBB31_1436:
	v_lshlrev_b32_e32 v1, 24, v7
	v_and_b32_e32 v7, 0xffff, v7
	v_and_b32_e32 v9, 3, v7
	v_ffbh_u32_e32 v13, v9
	v_min_u32_e32 v13, 32, v13
	v_subrev_u32_e32 v14, 29, v13
	v_bfe_u32 v12, v7, 2, 5
	v_lshlrev_b32_e32 v7, v14, v7
	v_sub_u32_e32 v13, 30, v13
	v_and_b32_e32 v7, 3, v7
	v_cmp_eq_u32_e32 vcc, 0, v12
	v_and_b32_e32 v1, 0x80000000, v1
	s_nop 0
	v_cndmask_b32_e32 v12, v12, v13, vcc
	v_cndmask_b32_e32 v7, v9, v7, vcc
	v_mov_b32_e32 v9, 0x37800000
	v_lshlrev_b32_e32 v7, 21, v7
	v_lshl_add_u32 v9, v12, 23, v9
	v_or3_b32 v1, v1, v9, v7
	v_cvt_i32_f32_e32 v1, v1
.LBB31_1437:
	s_or_b64 exec, exec, s[8:9]
	s_mov_b64 s[8:9], 0
	s_branch .LBB31_1443
.LBB31_1438:
	s_mov_b64 s[8:9], -1
                                        ; implicit-def: $vgpr1
	s_branch .LBB31_1449
.LBB31_1439:
	s_andn2_saveexec_b64 s[10:11], s[10:11]
	s_cbranch_execz .LBB31_1424
.LBB31_1440:
	v_cmp_ne_u16_e32 vcc, 0, v7
	s_andn2_b64 s[12:13], s[12:13], exec
	s_and_b64 s[18:19], vcc, exec
	s_or_b64 s[12:13], s[12:13], s[18:19]
	s_or_b64 exec, exec, s[10:11]
	v_mov_b32_e32 v1, 0
	s_and_saveexec_b64 s[10:11], s[12:13]
	s_cbranch_execnz .LBB31_1425
	s_branch .LBB31_1426
.LBB31_1441:
	s_mov_b64 s[8:9], -1
                                        ; implicit-def: $vgpr1
	s_branch .LBB31_1446
.LBB31_1442:
	s_mov_b64 s[8:9], -1
                                        ; implicit-def: $vgpr1
.LBB31_1443:
	s_and_b64 vcc, exec, s[8:9]
	s_cbranch_vccz .LBB31_1445
; %bb.1444:
	global_load_ubyte v1, v[10:11], off
	s_mov_b32 s8, 0x7f800000
	s_waitcnt vmcnt(0)
	v_lshlrev_b32_e32 v1, 24, v1
	v_and_b32_e32 v7, 0x7f000000, v1
	v_ffbh_u32_e32 v9, v7
	v_min_u32_e32 v9, 32, v9
	v_sub_u32_e64 v9, v9, 4 clamp
	v_lshlrev_b32_e32 v13, v9, v7
	v_lshlrev_b32_e32 v9, 23, v9
	v_lshrrev_b32_e32 v13, 4, v13
	v_add_u32_e32 v12, 0x1000000, v7
	v_sub_u32_e32 v9, v13, v9
	v_ashrrev_i32_e32 v12, 8, v12
	v_add_u32_e32 v9, 0x3c000000, v9
	v_and_or_b32 v9, v12, s8, v9
	v_cmp_ne_u32_e32 vcc, 0, v7
	s_brev_b32 s8, 1
	s_nop 0
	v_cndmask_b32_e32 v7, 0, v9, vcc
	v_and_or_b32 v1, v1, s8, v7
	v_cvt_i32_f32_e32 v1, v1
.LBB31_1445:
	s_mov_b64 s[8:9], 0
.LBB31_1446:
	s_andn2_b64 vcc, exec, s[8:9]
	s_cbranch_vccnz .LBB31_1448
; %bb.1447:
	global_load_ubyte v1, v[10:11], off
	s_movk_i32 s8, 0x7f00
	s_brev_b32 s9, 16
	s_waitcnt vmcnt(0)
	v_lshlrev_b16_e32 v7, 8, v1
	v_lshlrev_b32_e32 v1, 25, v1
	v_lshrrev_b32_e32 v9, 4, v1
	v_and_or_b32 v12, v7, s8, 0.5
	v_or_b32_e32 v9, 0x70000000, v9
	v_add_f32_e32 v12, -0.5, v12
	v_mul_f32_e32 v9, 0x7800000, v9
	v_cmp_gt_u32_e32 vcc, s9, v1
	v_bfe_i32 v7, v7, 0, 16
	s_brev_b32 s8, 1
	v_cndmask_b32_e32 v1, v9, v12, vcc
	v_and_or_b32 v1, v7, s8, v1
	v_cvt_i32_f32_e32 v1, v1
.LBB31_1448:
	s_mov_b64 s[8:9], 0
	s_mov_b64 s[10:11], -1
.LBB31_1449:
	s_andn2_b64 vcc, exec, s[8:9]
	s_mov_b64 s[8:9], 0
	s_cbranch_vccnz .LBB31_1460
; %bb.1450:
	s_cmp_gt_i32 s16, 14
	s_cbranch_scc0 .LBB31_1453
; %bb.1451:
	s_cmp_eq_u32 s16, 15
	s_cbranch_scc0 .LBB31_1456
; %bb.1452:
	global_load_ushort v1, v[10:11], off
	s_mov_b64 s[0:1], 0
	s_mov_b64 s[10:11], -1
	s_waitcnt vmcnt(0)
	v_lshlrev_b32_e32 v1, 16, v1
	v_cvt_i32_f32_e32 v1, v1
	s_branch .LBB31_1457
.LBB31_1453:
	s_mov_b64 s[12:13], -1
                                        ; implicit-def: $vgpr1
	s_branch .LBB31_1458
.LBB31_1454:
	s_andn2_saveexec_b64 s[8:9], s[8:9]
	s_cbranch_execz .LBB31_1435
.LBB31_1455:
	v_cmp_ne_u16_e32 vcc, 0, v7
	s_andn2_b64 s[10:11], s[10:11], exec
	s_and_b64 s[12:13], vcc, exec
	s_or_b64 s[10:11], s[10:11], s[12:13]
	s_or_b64 exec, exec, s[8:9]
	v_mov_b32_e32 v1, 0
	s_and_saveexec_b64 s[8:9], s[10:11]
	s_cbranch_execnz .LBB31_1436
	s_branch .LBB31_1437
.LBB31_1456:
	s_mov_b64 s[0:1], -1
                                        ; implicit-def: $vgpr1
.LBB31_1457:
	s_mov_b64 s[12:13], 0
.LBB31_1458:
	s_and_b64 vcc, exec, s[12:13]
	s_cbranch_vccz .LBB31_1460
; %bb.1459:
	s_cmp_lg_u32 s16, 11
	s_mov_b64 s[8:9], -1
	s_cselect_b64 s[0:1], -1, 0
.LBB31_1460:
	s_and_b64 vcc, exec, s[0:1]
	s_cbranch_vccnz .LBB31_1558
; %bb.1461:
	s_andn2_b64 vcc, exec, s[8:9]
	s_cbranch_vccnz .LBB31_1463
.LBB31_1462:
	global_load_ubyte v1, v[10:11], off
	s_mov_b64 s[10:11], -1
	s_waitcnt vmcnt(0)
	v_cmp_ne_u16_e32 vcc, 0, v1
	s_nop 1
	v_cndmask_b32_e64 v1, 0, 1, vcc
.LBB31_1463:
	s_branch .LBB31_1383
.LBB31_1464:
	s_and_b32 s8, 0xffff, s15
	s_cmp_lt_i32 s8, 5
	s_cbranch_scc1 .LBB31_1469
; %bb.1465:
	s_cmp_lt_i32 s8, 8
	s_cbranch_scc1 .LBB31_1470
; %bb.1466:
	;; [unrolled: 3-line block ×3, first 2 shown]
	s_cmp_gt_i32 s8, 9
	s_cbranch_scc0 .LBB31_1472
; %bb.1468:
	global_load_dwordx2 v[12:13], v[10:11], off
	s_mov_b64 s[0:1], 0
	s_waitcnt vmcnt(0)
	v_cvt_i32_f64_e32 v1, v[12:13]
	s_branch .LBB31_1473
.LBB31_1469:
	s_mov_b64 s[0:1], -1
                                        ; implicit-def: $vgpr1
	s_branch .LBB31_1491
.LBB31_1470:
	s_mov_b64 s[0:1], -1
                                        ; implicit-def: $vgpr1
	s_branch .LBB31_1479
.LBB31_1471:
	s_mov_b64 s[0:1], -1
                                        ; implicit-def: $vgpr1
	s_branch .LBB31_1476
.LBB31_1472:
	s_mov_b64 s[0:1], -1
                                        ; implicit-def: $vgpr1
.LBB31_1473:
	s_andn2_b64 vcc, exec, s[0:1]
	s_cbranch_vccnz .LBB31_1475
; %bb.1474:
	global_load_dword v1, v[10:11], off
	s_waitcnt vmcnt(0)
	v_cvt_i32_f32_e32 v1, v1
.LBB31_1475:
	s_mov_b64 s[0:1], 0
.LBB31_1476:
	s_andn2_b64 vcc, exec, s[0:1]
	s_cbranch_vccnz .LBB31_1478
; %bb.1477:
	global_load_dword v1, v[10:11], off
	s_waitcnt vmcnt(0)
	v_cvt_f32_f16_e32 v1, v1
	v_cvt_i32_f32_e32 v1, v1
.LBB31_1478:
	s_mov_b64 s[0:1], 0
.LBB31_1479:
	s_andn2_b64 vcc, exec, s[0:1]
	s_cbranch_vccnz .LBB31_1490
; %bb.1480:
	s_cmp_lt_i32 s8, 6
	s_cbranch_scc1 .LBB31_1483
; %bb.1481:
	s_cmp_gt_i32 s8, 6
	s_cbranch_scc0 .LBB31_1484
; %bb.1482:
	global_load_dwordx2 v[12:13], v[10:11], off
	s_mov_b64 s[0:1], 0
	s_waitcnt vmcnt(0)
	v_cvt_i32_f64_e32 v1, v[12:13]
	s_branch .LBB31_1485
.LBB31_1483:
	s_mov_b64 s[0:1], -1
                                        ; implicit-def: $vgpr1
	s_branch .LBB31_1488
.LBB31_1484:
	s_mov_b64 s[0:1], -1
                                        ; implicit-def: $vgpr1
.LBB31_1485:
	s_andn2_b64 vcc, exec, s[0:1]
	s_cbranch_vccnz .LBB31_1487
; %bb.1486:
	global_load_dword v1, v[10:11], off
	s_waitcnt vmcnt(0)
	v_cvt_i32_f32_e32 v1, v1
.LBB31_1487:
	s_mov_b64 s[0:1], 0
.LBB31_1488:
	s_andn2_b64 vcc, exec, s[0:1]
	s_cbranch_vccnz .LBB31_1490
; %bb.1489:
	global_load_ushort v1, v[10:11], off
	s_waitcnt vmcnt(0)
	v_cvt_f32_f16_e32 v1, v1
	v_cvt_i32_f32_e32 v1, v1
.LBB31_1490:
	s_mov_b64 s[0:1], 0
.LBB31_1491:
	s_andn2_b64 vcc, exec, s[0:1]
	s_cbranch_vccnz .LBB31_1511
; %bb.1492:
	s_cmp_lt_i32 s8, 2
	s_cbranch_scc1 .LBB31_1496
; %bb.1493:
	s_cmp_lt_i32 s8, 3
	s_cbranch_scc1 .LBB31_1497
; %bb.1494:
	s_cmp_gt_i32 s8, 3
	s_cbranch_scc0 .LBB31_1498
; %bb.1495:
	global_load_dword v1, v[10:11], off
	s_mov_b64 s[0:1], 0
	s_branch .LBB31_1499
.LBB31_1496:
	s_mov_b64 s[0:1], -1
                                        ; implicit-def: $vgpr1
	s_branch .LBB31_1505
.LBB31_1497:
	s_mov_b64 s[0:1], -1
                                        ; implicit-def: $vgpr1
	s_branch .LBB31_1502
.LBB31_1498:
	s_mov_b64 s[0:1], -1
                                        ; implicit-def: $vgpr1
.LBB31_1499:
	s_andn2_b64 vcc, exec, s[0:1]
	s_cbranch_vccnz .LBB31_1501
; %bb.1500:
	global_load_dword v1, v[10:11], off
.LBB31_1501:
	s_mov_b64 s[0:1], 0
.LBB31_1502:
	s_andn2_b64 vcc, exec, s[0:1]
	s_cbranch_vccnz .LBB31_1504
; %bb.1503:
	global_load_sshort v1, v[10:11], off
.LBB31_1504:
	s_mov_b64 s[0:1], 0
.LBB31_1505:
	s_andn2_b64 vcc, exec, s[0:1]
	s_cbranch_vccnz .LBB31_1511
; %bb.1506:
	s_cmp_gt_i32 s8, 0
	s_cbranch_scc0 .LBB31_1508
; %bb.1507:
	global_load_sbyte v1, v[10:11], off
	s_mov_b64 s[0:1], 0
	s_branch .LBB31_1509
.LBB31_1508:
	s_mov_b64 s[0:1], -1
                                        ; implicit-def: $vgpr1
.LBB31_1509:
	s_andn2_b64 vcc, exec, s[0:1]
	s_cbranch_vccnz .LBB31_1511
; %bb.1510:
	global_load_ubyte v1, v[10:11], off
.LBB31_1511:
	s_branch .LBB31_1384
.LBB31_1512:
	s_mov_b64 s[0:1], 0
                                        ; implicit-def: $vgpr0_vgpr1
                                        ; implicit-def: $sgpr14
                                        ; implicit-def: $vgpr2
                                        ; implicit-def: $vgpr10
.LBB31_1513:
	s_mov_b64 s[4:5], 0
.LBB31_1514:
	s_and_b64 s[6:7], s[0:1], exec
	s_andn2_b64 s[0:1], s[24:25], exec
	s_and_b64 s[2:3], s[2:3], exec
	s_and_b64 s[40:41], s[4:5], exec
	s_or_b64 s[24:25], s[0:1], s[2:3]
.LBB31_1515:
	s_or_b64 exec, exec, s[26:27]
	s_and_saveexec_b64 s[0:1], s[24:25]
	s_cbranch_execz .LBB31_1518
; %bb.1516:
	; divergent unreachable
	s_or_b64 exec, exec, s[0:1]
	s_and_saveexec_b64 s[0:1], s[40:41]
	s_xor_b64 s[0:1], exec, s[0:1]
	s_cbranch_execnz .LBB31_1519
.LBB31_1517:
	s_or_b64 exec, exec, s[0:1]
	s_and_saveexec_b64 s[0:1], s[6:7]
	s_cbranch_execnz .LBB31_1520
	s_branch .LBB31_1557
.LBB31_1518:
	s_or_b64 exec, exec, s[0:1]
	s_and_saveexec_b64 s[0:1], s[40:41]
	s_xor_b64 s[0:1], exec, s[0:1]
	s_cbranch_execz .LBB31_1517
.LBB31_1519:
	s_waitcnt vmcnt(0)
	v_cmp_ne_u32_e32 vcc, -1, v10
	s_nop 1
	v_cndmask_b32_e64 v3, 0, 1, vcc
	global_store_byte v[0:1], v3, off
	s_or_b64 exec, exec, s[0:1]
	s_and_saveexec_b64 s[0:1], s[6:7]
	s_cbranch_execz .LBB31_1557
.LBB31_1520:
	s_sext_i32_i16 s2, s14
	s_cmp_lt_i32 s2, 5
	s_mov_b64 s[0:1], -1
	s_cbranch_scc1 .LBB31_1541
; %bb.1521:
	s_cmp_lt_i32 s2, 8
	s_cbranch_scc1 .LBB31_1531
; %bb.1522:
	s_cmp_lt_i32 s2, 9
	s_cbranch_scc1 .LBB31_1528
; %bb.1523:
	s_cmp_gt_i32 s2, 9
	s_cbranch_scc0 .LBB31_1525
; %bb.1524:
	s_waitcnt vmcnt(0)
	v_mov_b32_e32 v6, 0
	v_cvt_f64_i32_e32 v[4:5], v2
	v_mov_b32_e32 v7, v6
	global_store_dwordx4 v[0:1], v[4:7], off
	s_mov_b64 s[0:1], 0
.LBB31_1525:
	s_andn2_b64 vcc, exec, s[0:1]
	s_cbranch_vccnz .LBB31_1527
; %bb.1526:
	s_waitcnt vmcnt(0)
	v_cvt_f32_i32_e32 v4, v2
	v_mov_b32_e32 v5, 0
	global_store_dwordx2 v[0:1], v[4:5], off
.LBB31_1527:
	s_mov_b64 s[0:1], 0
.LBB31_1528:
	s_andn2_b64 vcc, exec, s[0:1]
	s_cbranch_vccnz .LBB31_1530
; %bb.1529:
	s_waitcnt vmcnt(0)
	v_cvt_f32_i32_e32 v3, v2
	v_cvt_f16_f32_e32 v3, v3
	global_store_dword v[0:1], v3, off
.LBB31_1530:
	s_mov_b64 s[0:1], 0
.LBB31_1531:
	s_andn2_b64 vcc, exec, s[0:1]
	s_cbranch_vccnz .LBB31_1540
; %bb.1532:
	s_sext_i32_i16 s2, s14
	s_cmp_lt_i32 s2, 6
	s_mov_b64 s[0:1], -1
	s_cbranch_scc1 .LBB31_1538
; %bb.1533:
	s_cmp_gt_i32 s2, 6
	s_cbranch_scc0 .LBB31_1535
; %bb.1534:
	s_waitcnt vmcnt(0)
	v_cvt_f64_i32_e32 v[4:5], v2
	global_store_dwordx2 v[0:1], v[4:5], off
	s_mov_b64 s[0:1], 0
.LBB31_1535:
	s_andn2_b64 vcc, exec, s[0:1]
	s_cbranch_vccnz .LBB31_1537
; %bb.1536:
	s_waitcnt vmcnt(0)
	v_cvt_f32_i32_e32 v3, v2
	global_store_dword v[0:1], v3, off
.LBB31_1537:
	s_mov_b64 s[0:1], 0
.LBB31_1538:
	s_andn2_b64 vcc, exec, s[0:1]
	s_cbranch_vccnz .LBB31_1540
; %bb.1539:
	s_waitcnt vmcnt(0)
	v_cvt_f32_i32_e32 v3, v2
	v_cvt_f16_f32_e32 v3, v3
	global_store_short v[0:1], v3, off
.LBB31_1540:
	s_mov_b64 s[0:1], 0
.LBB31_1541:
	s_andn2_b64 vcc, exec, s[0:1]
	s_cbranch_vccnz .LBB31_1557
; %bb.1542:
	s_sext_i32_i16 s2, s14
	s_cmp_lt_i32 s2, 2
	s_mov_b64 s[0:1], -1
	s_cbranch_scc1 .LBB31_1552
; %bb.1543:
	s_cmp_lt_i32 s2, 3
	s_cbranch_scc1 .LBB31_1549
; %bb.1544:
	s_cmp_gt_i32 s2, 3
	s_cbranch_scc0 .LBB31_1546
; %bb.1545:
	s_waitcnt vmcnt(0)
	v_ashrrev_i32_e32 v3, 31, v2
	global_store_dwordx2 v[0:1], v[2:3], off
	s_mov_b64 s[0:1], 0
.LBB31_1546:
	s_andn2_b64 vcc, exec, s[0:1]
	s_cbranch_vccnz .LBB31_1548
; %bb.1547:
	s_waitcnt vmcnt(0)
	global_store_dword v[0:1], v2, off
.LBB31_1548:
	s_mov_b64 s[0:1], 0
.LBB31_1549:
	s_andn2_b64 vcc, exec, s[0:1]
	s_cbranch_vccnz .LBB31_1551
; %bb.1550:
	s_waitcnt vmcnt(0)
	global_store_short v[0:1], v2, off
.LBB31_1551:
	s_mov_b64 s[0:1], 0
.LBB31_1552:
	s_andn2_b64 vcc, exec, s[0:1]
	s_cbranch_vccnz .LBB31_1557
; %bb.1553:
	s_sext_i32_i16 s0, s14
	s_cmp_gt_i32 s0, 0
	s_mov_b64 s[0:1], -1
	s_cbranch_scc0 .LBB31_1555
; %bb.1554:
	s_waitcnt vmcnt(0)
	global_store_byte v[0:1], v2, off
	s_mov_b64 s[0:1], 0
.LBB31_1555:
	s_andn2_b64 vcc, exec, s[0:1]
	s_cbranch_vccnz .LBB31_1557
; %bb.1556:
	s_waitcnt vmcnt(0)
	global_store_byte v[0:1], v2, off
	s_endpgm
.LBB31_1557:
	s_endpgm
.LBB31_1558:
	s_trap 2
	s_or_b64 s[2:3], s[2:3], exec
	s_cbranch_execz .LBB31_1462
	s_branch .LBB31_1463
.LBB31_1559:
	s_mov_b64 s[0:1], -1
                                        ; implicit-def: $vgpr10
	s_mov_b64 s[8:9], 0
.LBB31_1560:
	s_and_b64 vcc, exec, s[10:11]
	s_cbranch_vccz .LBB31_1564
; %bb.1561:
	s_cmp_eq_u32 s12, 44
	s_cbranch_scc0 .LBB31_1563
; %bb.1562:
	global_load_ubyte v7, v[8:9], off
	s_mov_b64 s[0:1], 0
	s_mov_b64 s[8:9], -1
	s_waitcnt vmcnt(0)
	v_lshlrev_b32_e32 v10, 23, v7
	v_cvt_i32_f32_e32 v10, v10
	v_cmp_ne_u32_e32 vcc, 0, v7
	s_nop 1
	v_cndmask_b32_e32 v10, 0, v10, vcc
	s_branch .LBB31_1564
.LBB31_1563:
	s_mov_b64 s[0:1], -1
                                        ; implicit-def: $vgpr10
.LBB31_1564:
	s_mov_b64 s[10:11], 0
.LBB31_1565:
	s_and_b64 vcc, exec, s[10:11]
	s_cbranch_vccz .LBB31_1569
; %bb.1566:
	s_cmp_eq_u32 s12, 29
	s_cbranch_scc0 .LBB31_1568
; %bb.1567:
	global_load_dword v10, v[8:9], off
	s_mov_b64 s[0:1], 0
	s_mov_b64 s[8:9], -1
	s_branch .LBB31_1569
.LBB31_1568:
	s_mov_b64 s[0:1], -1
                                        ; implicit-def: $vgpr10
.LBB31_1569:
	s_mov_b64 s[10:11], 0
.LBB31_1570:
	s_and_b64 vcc, exec, s[10:11]
	s_cbranch_vccz .LBB31_1586
; %bb.1571:
	s_cmp_lt_i32 s12, 27
	s_cbranch_scc1 .LBB31_1574
; %bb.1572:
	s_cmp_gt_i32 s12, 27
	s_cbranch_scc0 .LBB31_1575
; %bb.1573:
	global_load_dword v10, v[8:9], off
	s_mov_b64 s[8:9], 0
	s_branch .LBB31_1576
.LBB31_1574:
	s_mov_b64 s[8:9], -1
                                        ; implicit-def: $vgpr10
	s_branch .LBB31_1579
.LBB31_1575:
	s_mov_b64 s[8:9], -1
                                        ; implicit-def: $vgpr10
.LBB31_1576:
	s_andn2_b64 vcc, exec, s[8:9]
	s_cbranch_vccnz .LBB31_1578
; %bb.1577:
	global_load_ushort v10, v[8:9], off
.LBB31_1578:
	s_mov_b64 s[8:9], 0
.LBB31_1579:
	s_andn2_b64 vcc, exec, s[8:9]
	s_cbranch_vccnz .LBB31_1585
; %bb.1580:
	global_load_ubyte v7, v[8:9], off
	s_movk_i32 s8, 0x7f
	s_mov_b64 s[10:11], 0
	s_waitcnt vmcnt(0)
	v_cmp_lt_i16_e32 vcc, s8, v7
	s_and_saveexec_b64 s[8:9], vcc
	s_xor_b64 s[8:9], exec, s[8:9]
	s_cbranch_execz .LBB31_1597
; %bb.1581:
	s_movk_i32 s10, 0x80
	v_cmp_ne_u16_e32 vcc, s10, v7
	s_and_b64 s[10:11], vcc, exec
	s_andn2_saveexec_b64 s[8:9], s[8:9]
	s_cbranch_execnz .LBB31_1598
.LBB31_1582:
	s_or_b64 exec, exec, s[8:9]
	v_mov_b32_e32 v10, 0
	s_and_saveexec_b64 s[8:9], s[10:11]
	s_cbranch_execz .LBB31_1584
.LBB31_1583:
	v_lshlrev_b32_e32 v10, 24, v7
	v_and_b32_e32 v7, 0xffff, v7
	v_and_b32_e32 v11, 7, v7
	v_ffbh_u32_e32 v13, v11
	v_min_u32_e32 v13, 32, v13
	v_subrev_u32_e32 v14, 28, v13
	v_bfe_u32 v12, v7, 3, 4
	v_lshlrev_b32_e32 v7, v14, v7
	v_sub_u32_e32 v13, 29, v13
	v_and_b32_e32 v7, 7, v7
	v_cmp_eq_u32_e32 vcc, 0, v12
	v_and_b32_e32 v10, 0x80000000, v10
	s_nop 0
	v_cndmask_b32_e32 v12, v12, v13, vcc
	v_cndmask_b32_e32 v7, v11, v7, vcc
	v_mov_b32_e32 v11, 0x3b800000
	v_lshlrev_b32_e32 v7, 20, v7
	v_lshl_add_u32 v11, v12, 23, v11
	v_or3_b32 v7, v10, v11, v7
	v_cvt_i32_f32_e32 v10, v7
.LBB31_1584:
	s_or_b64 exec, exec, s[8:9]
.LBB31_1585:
	s_mov_b64 s[8:9], -1
.LBB31_1586:
	s_mov_b64 s[10:11], 0
.LBB31_1587:
	s_and_b64 vcc, exec, s[10:11]
	s_cbranch_vccz .LBB31_1618
; %bb.1588:
	s_cmp_gt_i32 s12, 22
	s_cbranch_scc0 .LBB31_1596
; %bb.1589:
	s_cmp_lt_i32 s12, 24
	s_cbranch_scc1 .LBB31_1599
; %bb.1590:
	s_cmp_gt_i32 s12, 24
	s_cbranch_scc0 .LBB31_1600
; %bb.1591:
	global_load_ubyte v7, v[8:9], off
	s_movk_i32 s6, 0x7f
	s_mov_b64 s[8:9], 0
	s_waitcnt vmcnt(0)
	v_cmp_lt_i16_e32 vcc, s6, v7
	s_and_saveexec_b64 s[6:7], vcc
	s_xor_b64 s[6:7], exec, s[6:7]
	s_cbranch_execz .LBB31_1612
; %bb.1592:
	s_movk_i32 s8, 0x80
	v_cmp_ne_u16_e32 vcc, s8, v7
	s_and_b64 s[8:9], vcc, exec
	s_andn2_saveexec_b64 s[6:7], s[6:7]
	s_cbranch_execnz .LBB31_1613
.LBB31_1593:
	s_or_b64 exec, exec, s[6:7]
	v_mov_b32_e32 v10, 0
	s_and_saveexec_b64 s[6:7], s[8:9]
	s_cbranch_execz .LBB31_1595
.LBB31_1594:
	v_lshlrev_b32_e32 v10, 24, v7
	v_and_b32_e32 v7, 0xffff, v7
	v_and_b32_e32 v11, 3, v7
	v_ffbh_u32_e32 v13, v11
	v_min_u32_e32 v13, 32, v13
	v_subrev_u32_e32 v14, 29, v13
	v_bfe_u32 v12, v7, 2, 5
	v_lshlrev_b32_e32 v7, v14, v7
	v_sub_u32_e32 v13, 30, v13
	v_and_b32_e32 v7, 3, v7
	v_cmp_eq_u32_e32 vcc, 0, v12
	v_and_b32_e32 v10, 0x80000000, v10
	s_nop 0
	v_cndmask_b32_e32 v12, v12, v13, vcc
	v_cndmask_b32_e32 v7, v11, v7, vcc
	v_mov_b32_e32 v11, 0x37800000
	v_lshlrev_b32_e32 v7, 21, v7
	v_lshl_add_u32 v11, v12, 23, v11
	v_or3_b32 v7, v10, v11, v7
	v_cvt_i32_f32_e32 v10, v7
.LBB31_1595:
	s_or_b64 exec, exec, s[6:7]
	s_mov_b64 s[6:7], 0
	s_branch .LBB31_1601
.LBB31_1596:
	s_mov_b64 s[6:7], -1
                                        ; implicit-def: $vgpr10
	s_branch .LBB31_1607
.LBB31_1597:
	s_andn2_saveexec_b64 s[8:9], s[8:9]
	s_cbranch_execz .LBB31_1582
.LBB31_1598:
	v_cmp_ne_u16_e32 vcc, 0, v7
	s_andn2_b64 s[10:11], s[10:11], exec
	s_and_b64 s[16:17], vcc, exec
	s_or_b64 s[10:11], s[10:11], s[16:17]
	s_or_b64 exec, exec, s[8:9]
	v_mov_b32_e32 v10, 0
	s_and_saveexec_b64 s[8:9], s[10:11]
	s_cbranch_execnz .LBB31_1583
	s_branch .LBB31_1584
.LBB31_1599:
	s_mov_b64 s[6:7], -1
                                        ; implicit-def: $vgpr10
	s_branch .LBB31_1604
.LBB31_1600:
	s_mov_b64 s[6:7], -1
                                        ; implicit-def: $vgpr10
.LBB31_1601:
	s_and_b64 vcc, exec, s[6:7]
	s_cbranch_vccz .LBB31_1603
; %bb.1602:
	global_load_ubyte v7, v[8:9], off
	s_mov_b32 s6, 0x7f800000
	s_waitcnt vmcnt(0)
	v_lshlrev_b32_e32 v7, 24, v7
	v_and_b32_e32 v10, 0x7f000000, v7
	v_ffbh_u32_e32 v11, v10
	v_min_u32_e32 v11, 32, v11
	v_sub_u32_e64 v11, v11, 4 clamp
	v_lshlrev_b32_e32 v13, v11, v10
	v_lshlrev_b32_e32 v11, 23, v11
	v_lshrrev_b32_e32 v13, 4, v13
	v_add_u32_e32 v12, 0x1000000, v10
	v_sub_u32_e32 v11, v13, v11
	v_ashrrev_i32_e32 v12, 8, v12
	v_add_u32_e32 v11, 0x3c000000, v11
	v_and_or_b32 v11, v12, s6, v11
	v_cmp_ne_u32_e32 vcc, 0, v10
	s_brev_b32 s6, 1
	s_nop 0
	v_cndmask_b32_e32 v10, 0, v11, vcc
	v_and_or_b32 v7, v7, s6, v10
	v_cvt_i32_f32_e32 v10, v7
.LBB31_1603:
	s_mov_b64 s[6:7], 0
.LBB31_1604:
	s_andn2_b64 vcc, exec, s[6:7]
	s_cbranch_vccnz .LBB31_1606
; %bb.1605:
	global_load_ubyte v7, v[8:9], off
	s_movk_i32 s6, 0x7f00
	s_brev_b32 s7, 16
	s_waitcnt vmcnt(0)
	v_lshlrev_b16_e32 v10, 8, v7
	v_lshlrev_b32_e32 v7, 25, v7
	v_lshrrev_b32_e32 v11, 4, v7
	v_and_or_b32 v12, v10, s6, 0.5
	v_or_b32_e32 v11, 0x70000000, v11
	v_add_f32_e32 v12, -0.5, v12
	v_mul_f32_e32 v11, 0x7800000, v11
	v_cmp_gt_u32_e32 vcc, s7, v7
	v_bfe_i32 v10, v10, 0, 16
	s_brev_b32 s6, 1
	v_cndmask_b32_e32 v7, v11, v12, vcc
	v_and_or_b32 v7, v10, s6, v7
	v_cvt_i32_f32_e32 v10, v7
.LBB31_1606:
	s_mov_b64 s[6:7], 0
	s_mov_b64 s[8:9], -1
.LBB31_1607:
	s_andn2_b64 vcc, exec, s[6:7]
	s_mov_b64 s[6:7], 0
	s_cbranch_vccnz .LBB31_1618
; %bb.1608:
	s_cmp_gt_i32 s12, 14
	s_cbranch_scc0 .LBB31_1611
; %bb.1609:
	s_cmp_eq_u32 s12, 15
	s_cbranch_scc0 .LBB31_1614
; %bb.1610:
	global_load_ushort v7, v[8:9], off
	s_mov_b64 s[0:1], 0
	s_mov_b64 s[8:9], -1
	s_waitcnt vmcnt(0)
	v_lshlrev_b32_e32 v7, 16, v7
	v_cvt_i32_f32_e32 v10, v7
	s_branch .LBB31_1615
.LBB31_1611:
	s_mov_b64 s[10:11], -1
                                        ; implicit-def: $vgpr10
	s_branch .LBB31_1616
.LBB31_1612:
	s_andn2_saveexec_b64 s[6:7], s[6:7]
	s_cbranch_execz .LBB31_1593
.LBB31_1613:
	v_cmp_ne_u16_e32 vcc, 0, v7
	s_andn2_b64 s[8:9], s[8:9], exec
	s_and_b64 s[10:11], vcc, exec
	s_or_b64 s[8:9], s[8:9], s[10:11]
	s_or_b64 exec, exec, s[6:7]
	v_mov_b32_e32 v10, 0
	s_and_saveexec_b64 s[6:7], s[8:9]
	s_cbranch_execnz .LBB31_1594
	s_branch .LBB31_1595
.LBB31_1614:
	s_mov_b64 s[0:1], -1
                                        ; implicit-def: $vgpr10
.LBB31_1615:
	s_mov_b64 s[10:11], 0
.LBB31_1616:
	s_and_b64 vcc, exec, s[10:11]
	s_cbranch_vccz .LBB31_1618
; %bb.1617:
	s_cmp_lg_u32 s12, 11
	s_mov_b64 s[6:7], -1
	s_cselect_b64 s[0:1], -1, 0
.LBB31_1618:
	s_and_b64 vcc, exec, s[0:1]
	s_cbranch_vccnz .LBB31_2107
; %bb.1619:
	s_andn2_b64 vcc, exec, s[6:7]
	s_cbranch_vccnz .LBB31_1621
.LBB31_1620:
	global_load_ubyte v7, v[8:9], off
	s_mov_b64 s[8:9], -1
	s_waitcnt vmcnt(0)
	v_cmp_ne_u16_e32 vcc, 0, v7
	s_nop 1
	v_cndmask_b32_e64 v10, 0, 1, vcc
.LBB31_1621:
	s_mov_b64 s[0:1], 0
.LBB31_1622:
	s_and_b64 vcc, exec, s[0:1]
	s_cbranch_vccz .LBB31_1671
; %bb.1623:
	s_and_b32 s6, 0xffff, s15
	s_cmp_lt_i32 s6, 5
	s_cbranch_scc1 .LBB31_1628
; %bb.1624:
	s_cmp_lt_i32 s6, 8
	s_cbranch_scc1 .LBB31_1629
; %bb.1625:
	;; [unrolled: 3-line block ×3, first 2 shown]
	s_cmp_gt_i32 s6, 9
	s_cbranch_scc0 .LBB31_1631
; %bb.1627:
	global_load_dwordx2 v[10:11], v[8:9], off
	s_mov_b64 s[0:1], 0
	s_waitcnt vmcnt(0)
	v_cvt_i32_f64_e32 v10, v[10:11]
	s_branch .LBB31_1632
.LBB31_1628:
	s_mov_b64 s[0:1], -1
                                        ; implicit-def: $vgpr10
	s_branch .LBB31_1650
.LBB31_1629:
	s_mov_b64 s[0:1], -1
                                        ; implicit-def: $vgpr10
	s_branch .LBB31_1638
.LBB31_1630:
	s_mov_b64 s[0:1], -1
                                        ; implicit-def: $vgpr10
	s_branch .LBB31_1635
.LBB31_1631:
	s_mov_b64 s[0:1], -1
                                        ; implicit-def: $vgpr10
.LBB31_1632:
	s_andn2_b64 vcc, exec, s[0:1]
	s_cbranch_vccnz .LBB31_1634
; %bb.1633:
	global_load_dword v7, v[8:9], off
	s_waitcnt vmcnt(0)
	v_cvt_i32_f32_e32 v10, v7
.LBB31_1634:
	s_mov_b64 s[0:1], 0
.LBB31_1635:
	s_andn2_b64 vcc, exec, s[0:1]
	s_cbranch_vccnz .LBB31_1637
; %bb.1636:
	global_load_dword v7, v[8:9], off
	s_waitcnt vmcnt(0)
	v_cvt_f32_f16_e32 v7, v7
	v_cvt_i32_f32_e32 v10, v7
.LBB31_1637:
	s_mov_b64 s[0:1], 0
.LBB31_1638:
	s_andn2_b64 vcc, exec, s[0:1]
	s_cbranch_vccnz .LBB31_1649
; %bb.1639:
	s_cmp_lt_i32 s6, 6
	s_cbranch_scc1 .LBB31_1642
; %bb.1640:
	s_cmp_gt_i32 s6, 6
	s_cbranch_scc0 .LBB31_1643
; %bb.1641:
	global_load_dwordx2 v[10:11], v[8:9], off
	s_mov_b64 s[0:1], 0
	s_waitcnt vmcnt(0)
	v_cvt_i32_f64_e32 v10, v[10:11]
	s_branch .LBB31_1644
.LBB31_1642:
	s_mov_b64 s[0:1], -1
                                        ; implicit-def: $vgpr10
	s_branch .LBB31_1647
.LBB31_1643:
	s_mov_b64 s[0:1], -1
                                        ; implicit-def: $vgpr10
.LBB31_1644:
	s_andn2_b64 vcc, exec, s[0:1]
	s_cbranch_vccnz .LBB31_1646
; %bb.1645:
	global_load_dword v7, v[8:9], off
	s_waitcnt vmcnt(0)
	v_cvt_i32_f32_e32 v10, v7
.LBB31_1646:
	s_mov_b64 s[0:1], 0
.LBB31_1647:
	s_andn2_b64 vcc, exec, s[0:1]
	s_cbranch_vccnz .LBB31_1649
; %bb.1648:
	global_load_ushort v7, v[8:9], off
	s_waitcnt vmcnt(0)
	v_cvt_f32_f16_e32 v7, v7
	v_cvt_i32_f32_e32 v10, v7
.LBB31_1649:
	s_mov_b64 s[0:1], 0
.LBB31_1650:
	s_andn2_b64 vcc, exec, s[0:1]
	s_cbranch_vccnz .LBB31_1670
; %bb.1651:
	s_cmp_lt_i32 s6, 2
	s_cbranch_scc1 .LBB31_1655
; %bb.1652:
	s_cmp_lt_i32 s6, 3
	s_cbranch_scc1 .LBB31_1656
; %bb.1653:
	s_cmp_gt_i32 s6, 3
	s_cbranch_scc0 .LBB31_1657
; %bb.1654:
	global_load_dword v10, v[8:9], off
	s_mov_b64 s[0:1], 0
	s_branch .LBB31_1658
.LBB31_1655:
	s_mov_b64 s[0:1], -1
                                        ; implicit-def: $vgpr10
	s_branch .LBB31_1664
.LBB31_1656:
	s_mov_b64 s[0:1], -1
                                        ; implicit-def: $vgpr10
	s_branch .LBB31_1661
.LBB31_1657:
	s_mov_b64 s[0:1], -1
                                        ; implicit-def: $vgpr10
.LBB31_1658:
	s_andn2_b64 vcc, exec, s[0:1]
	s_cbranch_vccnz .LBB31_1660
; %bb.1659:
	global_load_dword v10, v[8:9], off
.LBB31_1660:
	s_mov_b64 s[0:1], 0
.LBB31_1661:
	s_andn2_b64 vcc, exec, s[0:1]
	s_cbranch_vccnz .LBB31_1663
; %bb.1662:
	global_load_sshort v10, v[8:9], off
.LBB31_1663:
	s_mov_b64 s[0:1], 0
.LBB31_1664:
	s_andn2_b64 vcc, exec, s[0:1]
	s_cbranch_vccnz .LBB31_1670
; %bb.1665:
	s_cmp_gt_i32 s6, 0
	s_cbranch_scc0 .LBB31_1667
; %bb.1666:
	global_load_sbyte v10, v[8:9], off
	s_mov_b64 s[0:1], 0
	s_branch .LBB31_1668
.LBB31_1667:
	s_mov_b64 s[0:1], -1
                                        ; implicit-def: $vgpr10
.LBB31_1668:
	s_andn2_b64 vcc, exec, s[0:1]
	s_cbranch_vccnz .LBB31_1670
; %bb.1669:
	global_load_ubyte v10, v[8:9], off
.LBB31_1670:
	s_mov_b64 s[8:9], -1
.LBB31_1671:
	s_andn2_b64 vcc, exec, s[8:9]
	s_cbranch_vccnz .LBB31_2105
; %bb.1672:
	s_bfe_u32 s15, s14, 0x80008
	v_mov_b32_e32 v7, 0
	s_waitcnt vmcnt(0)
	v_not_b32_e32 v8, v5
	s_cmp_lt_i32 s15, 11
	v_lshl_add_u64 v[6:7], s[4:5], 0, v[6:7]
	s_cbranch_scc1 .LBB31_1750
; %bb.1673:
	s_and_b32 s16, 0xffff, s15
	s_mov_b64 s[10:11], -1
	s_mov_b64 s[6:7], 0
	s_cmp_gt_i32 s16, 25
	s_mov_b64 s[8:9], 0
	s_mov_b64 s[0:1], 0
	s_cbranch_scc0 .LBB31_1706
; %bb.1674:
	s_cmp_gt_i32 s16, 28
	s_cbranch_scc0 .LBB31_1689
; %bb.1675:
	s_cmp_gt_i32 s16, 43
	;; [unrolled: 3-line block ×3, first 2 shown]
	s_cbranch_scc0 .LBB31_1679
; %bb.1677:
	s_mov_b64 s[0:1], -1
	s_mov_b64 s[10:11], 0
	s_cmp_eq_u32 s16, 46
	s_cbranch_scc0 .LBB31_1679
; %bb.1678:
	v_cvt_f32_i32_e32 v9, v8
	s_movk_i32 s8, 0x7fff
	s_mov_b64 s[0:1], 0
	v_bfe_u32 v11, v9, 16, 1
	v_add3_u32 v9, v9, v11, s8
	v_lshrrev_b32_e32 v9, 16, v9
	global_store_dword v[6:7], v9, off
	s_mov_b64 s[8:9], -1
.LBB31_1679:
	s_and_b64 vcc, exec, s[10:11]
	s_cbranch_vccz .LBB31_1684
; %bb.1680:
	s_cmp_eq_u32 s16, 44
	s_mov_b64 s[0:1], -1
	s_cbranch_scc0 .LBB31_1684
; %bb.1681:
	v_cvt_f32_i32_e32 v9, v8
	s_movk_i32 s0, 0xff
	v_mov_b32_e32 v12, 0xff
	v_bfe_u32 v11, v9, 23, 8
	v_cmp_ne_u32_e32 vcc, s0, v11
	s_and_saveexec_b64 s[8:9], vcc
; %bb.1682:
	s_mov_b32 s0, 0x3fffff
	v_lshrrev_b32_e32 v12, 23, v9
	v_and_b32_e32 v13, 0x400000, v9
	v_and_or_b32 v9, v9, s0, v11
	v_cmp_ne_u32_e32 vcc, 0, v13
	v_cmp_ne_u32_e64 s[0:1], 0, v9
	s_and_b64 s[0:1], vcc, s[0:1]
	s_nop 0
	v_cndmask_b32_e64 v9, 0, 1, s[0:1]
	v_add_u32_e32 v12, v12, v9
; %bb.1683:
	s_or_b64 exec, exec, s[8:9]
	s_mov_b64 s[0:1], 0
	s_mov_b64 s[8:9], -1
	global_store_byte v[6:7], v12, off
.LBB31_1684:
	s_mov_b64 s[10:11], 0
.LBB31_1685:
	s_and_b64 vcc, exec, s[10:11]
	s_cbranch_vccz .LBB31_1688
; %bb.1686:
	s_cmp_eq_u32 s16, 29
	s_mov_b64 s[0:1], -1
	s_cbranch_scc0 .LBB31_1688
; %bb.1687:
	v_ashrrev_i32_e32 v9, 31, v8
	global_store_dwordx2 v[6:7], v[8:9], off
	s_mov_b64 s[0:1], 0
	s_mov_b64 s[8:9], -1
.LBB31_1688:
	s_mov_b64 s[10:11], 0
.LBB31_1689:
	s_and_b64 vcc, exec, s[10:11]
	s_cbranch_vccz .LBB31_1705
; %bb.1690:
	s_cmp_lt_i32 s16, 27
	s_mov_b64 s[8:9], -1
	s_cbranch_scc1 .LBB31_1696
; %bb.1691:
	s_cmp_gt_i32 s16, 27
	s_cbranch_scc0 .LBB31_1693
; %bb.1692:
	s_mov_b64 s[8:9], 0
	global_store_dword v[6:7], v8, off
.LBB31_1693:
	s_andn2_b64 vcc, exec, s[8:9]
	s_cbranch_vccnz .LBB31_1695
; %bb.1694:
	global_store_short v[6:7], v8, off
.LBB31_1695:
	s_mov_b64 s[8:9], 0
.LBB31_1696:
	s_andn2_b64 vcc, exec, s[8:9]
	s_cbranch_vccnz .LBB31_1704
; %bb.1697:
	v_cvt_f32_i32_e32 v9, v8
	s_mov_b32 s8, 0x43800000
	v_mov_b32_e32 v12, 0x80
	v_and_b32_e32 v11, 0x7fffffff, v9
	v_cmp_gt_u32_e32 vcc, s8, v11
	s_and_saveexec_b64 s[8:9], vcc
	s_cbranch_execz .LBB31_1703
; %bb.1698:
	s_mov_b32 s10, 0x3bffffff
	v_cmp_lt_u32_e32 vcc, s10, v11
	s_mov_b64 s[10:11], 0
                                        ; implicit-def: $vgpr11
	s_and_saveexec_b64 s[12:13], vcc
	s_xor_b64 s[12:13], exec, s[12:13]
	s_cbranch_execz .LBB31_2108
; %bb.1699:
	v_bfe_u32 v11, v9, 20, 1
	s_mov_b32 s17, 0x487ffff
	v_add3_u32 v11, v9, v11, s17
	s_mov_b64 s[10:11], exec
	v_lshrrev_b32_e32 v11, 20, v11
	s_andn2_saveexec_b64 s[12:13], s[12:13]
	s_cbranch_execnz .LBB31_2109
.LBB31_1700:
	s_or_b64 exec, exec, s[12:13]
	v_mov_b32_e32 v12, 0
	s_and_saveexec_b64 s[12:13], s[10:11]
.LBB31_1701:
	v_lshrrev_b32_e32 v9, 24, v9
	s_movk_i32 s10, 0x80
	v_and_or_b32 v12, v9, s10, v11
.LBB31_1702:
	s_or_b64 exec, exec, s[12:13]
.LBB31_1703:
	s_or_b64 exec, exec, s[8:9]
	global_store_byte v[6:7], v12, off
.LBB31_1704:
	s_mov_b64 s[8:9], -1
.LBB31_1705:
	s_mov_b64 s[10:11], 0
.LBB31_1706:
	s_and_b64 vcc, exec, s[10:11]
	s_cbranch_vccz .LBB31_1746
; %bb.1707:
	s_cmp_gt_i32 s16, 22
	s_mov_b64 s[6:7], -1
	s_cbranch_scc0 .LBB31_1739
; %bb.1708:
	s_cmp_lt_i32 s16, 24
	s_cbranch_scc1 .LBB31_1728
; %bb.1709:
	s_cmp_gt_i32 s16, 24
	s_cbranch_scc0 .LBB31_1717
; %bb.1710:
	v_cvt_f32_i32_e32 v9, v8
	s_mov_b32 s6, 0x47800000
	v_mov_b32_e32 v12, 0x80
	v_and_b32_e32 v11, 0x7fffffff, v9
	v_cmp_gt_u32_e32 vcc, s6, v11
	s_and_saveexec_b64 s[6:7], vcc
	s_cbranch_execz .LBB31_1716
; %bb.1711:
	s_mov_b32 s8, 0x37ffffff
	v_cmp_lt_u32_e32 vcc, s8, v11
	s_mov_b64 s[8:9], 0
                                        ; implicit-def: $vgpr11
	s_and_saveexec_b64 s[10:11], vcc
	s_xor_b64 s[10:11], exec, s[10:11]
	s_cbranch_execz .LBB31_2111
; %bb.1712:
	v_bfe_u32 v11, v9, 21, 1
	s_mov_b32 s12, 0x88fffff
	v_add3_u32 v11, v9, v11, s12
	s_mov_b64 s[8:9], exec
	v_lshrrev_b32_e32 v11, 21, v11
	s_andn2_saveexec_b64 s[10:11], s[10:11]
	s_cbranch_execnz .LBB31_2112
.LBB31_1713:
	s_or_b64 exec, exec, s[10:11]
	v_mov_b32_e32 v12, 0
	s_and_saveexec_b64 s[10:11], s[8:9]
.LBB31_1714:
	v_lshrrev_b32_e32 v9, 24, v9
	s_movk_i32 s8, 0x80
	v_and_or_b32 v12, v9, s8, v11
.LBB31_1715:
	s_or_b64 exec, exec, s[10:11]
.LBB31_1716:
	s_or_b64 exec, exec, s[6:7]
	s_mov_b64 s[6:7], 0
	global_store_byte v[6:7], v12, off
.LBB31_1717:
	s_and_b64 vcc, exec, s[6:7]
	s_cbranch_vccz .LBB31_1727
; %bb.1718:
	v_cvt_f32_i32_e32 v9, v8
	s_mov_b32 s6, 0x43f00000
                                        ; implicit-def: $vgpr11
	v_and_b32_e32 v12, 0x7fffffff, v9
	v_cmp_gt_u32_e32 vcc, s6, v12
	s_and_saveexec_b64 s[6:7], vcc
	s_xor_b64 s[6:7], exec, s[6:7]
	s_cbranch_execz .LBB31_1724
; %bb.1719:
	s_mov_b32 s8, 0x3c7fffff
	v_cmp_lt_u32_e32 vcc, s8, v12
                                        ; implicit-def: $vgpr11
	s_and_saveexec_b64 s[8:9], vcc
	s_xor_b64 s[8:9], exec, s[8:9]
; %bb.1720:
	v_bfe_u32 v11, v9, 20, 1
	s_mov_b32 s10, 0x407ffff
	v_add3_u32 v11, v9, v11, s10
	v_lshrrev_b32_e32 v12, 20, v11
	v_and_b32_e32 v11, 0xff00000, v11
	s_mov_b32 s10, 0x7f00000
	v_mov_b32_e32 v13, 0x7e
	v_cmp_ne_u32_e32 vcc, s10, v11
	s_nop 1
	v_cndmask_b32_e32 v11, v13, v12, vcc
; %bb.1721:
	s_andn2_saveexec_b64 s[8:9], s[8:9]
; %bb.1722:
	s_mov_b32 s10, 0x46800000
	v_add_f32_e64 v11, |v9|, s10
; %bb.1723:
	s_or_b64 exec, exec, s[8:9]
                                        ; implicit-def: $vgpr12
.LBB31_1724:
	s_andn2_saveexec_b64 s[6:7], s[6:7]
; %bb.1725:
	s_mov_b32 s8, 0x7f800000
	v_mov_b32_e32 v11, 0x7e
	v_mov_b32_e32 v13, 0x7f
	v_cmp_lt_u32_e32 vcc, s8, v12
	s_nop 1
	v_cndmask_b32_e32 v11, v11, v13, vcc
; %bb.1726:
	s_or_b64 exec, exec, s[6:7]
	v_lshrrev_b32_e32 v9, 24, v9
	s_movk_i32 s6, 0x80
	v_and_or_b32 v9, v9, s6, v11
	global_store_byte v[6:7], v9, off
.LBB31_1727:
	s_mov_b64 s[6:7], 0
.LBB31_1728:
	s_andn2_b64 vcc, exec, s[6:7]
	s_cbranch_vccnz .LBB31_1738
; %bb.1729:
	v_cvt_f32_i32_e32 v9, v8
	s_mov_b32 s6, 0x47800000
                                        ; implicit-def: $vgpr11
	v_and_b32_e32 v12, 0x7fffffff, v9
	v_cmp_gt_u32_e32 vcc, s6, v12
	s_and_saveexec_b64 s[6:7], vcc
	s_xor_b64 s[6:7], exec, s[6:7]
	s_cbranch_execz .LBB31_1735
; %bb.1730:
	s_mov_b32 s8, 0x387fffff
	v_cmp_lt_u32_e32 vcc, s8, v12
                                        ; implicit-def: $vgpr11
	s_and_saveexec_b64 s[8:9], vcc
	s_xor_b64 s[8:9], exec, s[8:9]
; %bb.1731:
	v_bfe_u32 v11, v9, 21, 1
	s_mov_b32 s10, 0x80fffff
	v_add3_u32 v11, v9, v11, s10
	v_lshrrev_b32_e32 v11, 21, v11
; %bb.1732:
	s_andn2_saveexec_b64 s[8:9], s[8:9]
; %bb.1733:
	s_mov_b32 s10, 0x43000000
	v_add_f32_e64 v11, |v9|, s10
; %bb.1734:
	s_or_b64 exec, exec, s[8:9]
                                        ; implicit-def: $vgpr12
.LBB31_1735:
	s_andn2_saveexec_b64 s[6:7], s[6:7]
; %bb.1736:
	s_mov_b32 s8, 0x7f800000
	v_mov_b32_e32 v11, 0x7c
	v_mov_b32_e32 v13, 0x7f
	v_cmp_lt_u32_e32 vcc, s8, v12
	s_nop 1
	v_cndmask_b32_e32 v11, v11, v13, vcc
; %bb.1737:
	s_or_b64 exec, exec, s[6:7]
	v_lshrrev_b32_e32 v9, 24, v9
	s_movk_i32 s6, 0x80
	v_and_or_b32 v9, v9, s6, v11
	global_store_byte v[6:7], v9, off
.LBB31_1738:
	s_mov_b64 s[6:7], 0
	s_mov_b64 s[8:9], -1
.LBB31_1739:
	s_andn2_b64 vcc, exec, s[6:7]
	s_mov_b64 s[6:7], 0
	s_cbranch_vccnz .LBB31_1746
; %bb.1740:
	s_cmp_gt_i32 s16, 14
	s_mov_b64 s[10:11], -1
	s_cbranch_scc0 .LBB31_1744
; %bb.1741:
	s_cmp_eq_u32 s16, 15
	s_mov_b64 s[0:1], -1
	s_cbranch_scc0 .LBB31_1743
; %bb.1742:
	v_cvt_f32_i32_e32 v9, v8
	s_movk_i32 s6, 0x7fff
	s_mov_b64 s[0:1], 0
	s_mov_b64 s[8:9], -1
	v_bfe_u32 v11, v9, 16, 1
	v_add3_u32 v9, v9, v11, s6
	global_store_short_d16_hi v[6:7], v9, off
.LBB31_1743:
	s_mov_b64 s[10:11], 0
.LBB31_1744:
	s_mov_b64 s[6:7], 0
	s_and_b64 vcc, exec, s[10:11]
	s_cbranch_vccz .LBB31_1746
; %bb.1745:
	s_cmp_lg_u32 s16, 11
	s_mov_b64 s[6:7], -1
	s_cselect_b64 s[0:1], -1, 0
.LBB31_1746:
	s_and_b64 vcc, exec, s[0:1]
	s_cbranch_vccnz .LBB31_2110
; %bb.1747:
	s_andn2_b64 vcc, exec, s[6:7]
	s_cbranch_vccnz .LBB31_1749
.LBB31_1748:
	v_cmp_ne_u32_e32 vcc, -1, v5
	s_mov_b64 s[8:9], -1
	s_nop 0
	v_cndmask_b32_e64 v5, 0, 1, vcc
	global_store_byte v[6:7], v5, off
.LBB31_1749:
	s_mov_b64 s[0:1], 0
	s_branch .LBB31_1751
.LBB31_1750:
	s_mov_b64 s[0:1], -1
	s_mov_b64 s[8:9], 0
.LBB31_1751:
	s_and_b64 vcc, exec, s[0:1]
	s_cbranch_vccz .LBB31_1790
; %bb.1752:
	s_and_b32 s6, 0xffff, s15
	s_cmp_lt_i32 s6, 5
	s_mov_b64 s[0:1], -1
	s_cbranch_scc1 .LBB31_1773
; %bb.1753:
	s_cmp_lt_i32 s6, 8
	s_cbranch_scc1 .LBB31_1763
; %bb.1754:
	s_cmp_lt_i32 s6, 9
	s_cbranch_scc1 .LBB31_1760
; %bb.1755:
	s_cmp_gt_i32 s6, 9
	s_cbranch_scc0 .LBB31_1757
; %bb.1756:
	v_mov_b32_e32 v14, 0
	v_cvt_f64_i32_e32 v[12:13], v8
	v_mov_b32_e32 v15, v14
	global_store_dwordx4 v[6:7], v[12:15], off
	s_mov_b64 s[0:1], 0
.LBB31_1757:
	s_andn2_b64 vcc, exec, s[0:1]
	s_cbranch_vccnz .LBB31_1759
; %bb.1758:
	v_cvt_f32_i32_e32 v12, v8
	v_mov_b32_e32 v13, 0
	global_store_dwordx2 v[6:7], v[12:13], off
.LBB31_1759:
	s_mov_b64 s[0:1], 0
.LBB31_1760:
	s_andn2_b64 vcc, exec, s[0:1]
	s_cbranch_vccnz .LBB31_1762
; %bb.1761:
	v_cvt_f32_i32_e32 v5, v8
	v_cvt_f16_f32_e32 v5, v5
	global_store_dword v[6:7], v5, off
.LBB31_1762:
	s_mov_b64 s[0:1], 0
.LBB31_1763:
	s_andn2_b64 vcc, exec, s[0:1]
	s_cbranch_vccnz .LBB31_1772
; %bb.1764:
	s_cmp_lt_i32 s6, 6
	s_mov_b64 s[0:1], -1
	s_cbranch_scc1 .LBB31_1770
; %bb.1765:
	s_cmp_gt_i32 s6, 6
	s_cbranch_scc0 .LBB31_1767
; %bb.1766:
	v_cvt_f64_i32_e32 v[12:13], v8
	global_store_dwordx2 v[6:7], v[12:13], off
	s_mov_b64 s[0:1], 0
.LBB31_1767:
	s_andn2_b64 vcc, exec, s[0:1]
	s_cbranch_vccnz .LBB31_1769
; %bb.1768:
	v_cvt_f32_i32_e32 v5, v8
	global_store_dword v[6:7], v5, off
.LBB31_1769:
	s_mov_b64 s[0:1], 0
.LBB31_1770:
	s_andn2_b64 vcc, exec, s[0:1]
	s_cbranch_vccnz .LBB31_1772
; %bb.1771:
	v_cvt_f32_i32_e32 v5, v8
	v_cvt_f16_f32_e32 v5, v5
	global_store_short v[6:7], v5, off
.LBB31_1772:
	s_mov_b64 s[0:1], 0
.LBB31_1773:
	s_andn2_b64 vcc, exec, s[0:1]
	s_cbranch_vccnz .LBB31_1789
; %bb.1774:
	s_cmp_lt_i32 s6, 2
	s_mov_b64 s[0:1], -1
	s_cbranch_scc1 .LBB31_1784
; %bb.1775:
	s_cmp_lt_i32 s6, 3
	s_cbranch_scc1 .LBB31_1781
; %bb.1776:
	s_cmp_gt_i32 s6, 3
	s_cbranch_scc0 .LBB31_1778
; %bb.1777:
	v_ashrrev_i32_e32 v9, 31, v8
	global_store_dwordx2 v[6:7], v[8:9], off
	s_mov_b64 s[0:1], 0
.LBB31_1778:
	s_andn2_b64 vcc, exec, s[0:1]
	s_cbranch_vccnz .LBB31_1780
; %bb.1779:
	global_store_dword v[6:7], v8, off
.LBB31_1780:
	s_mov_b64 s[0:1], 0
.LBB31_1781:
	s_andn2_b64 vcc, exec, s[0:1]
	s_cbranch_vccnz .LBB31_1783
; %bb.1782:
	global_store_short v[6:7], v8, off
.LBB31_1783:
	s_mov_b64 s[0:1], 0
.LBB31_1784:
	s_andn2_b64 vcc, exec, s[0:1]
	s_cbranch_vccnz .LBB31_1789
; %bb.1785:
	s_cmp_gt_i32 s6, 0
	s_mov_b64 s[0:1], -1
	s_cbranch_scc0 .LBB31_1787
; %bb.1786:
	global_store_byte v[6:7], v8, off
	s_mov_b64 s[0:1], 0
.LBB31_1787:
	s_andn2_b64 vcc, exec, s[0:1]
	s_cbranch_vccnz .LBB31_1789
; %bb.1788:
	global_store_byte v[6:7], v8, off
.LBB31_1789:
	s_mov_b64 s[8:9], -1
.LBB31_1790:
	s_andn2_b64 vcc, exec, s[8:9]
	s_cbranch_vccnz .LBB31_2105
; %bb.1791:
	s_lshr_b32 s0, s14, 8
	s_and_b32 s14, s0, 0xff
	v_mov_b32_e32 v5, 0
	v_not_b32_e32 v6, v3
	s_cmp_lt_i32 s14, 11
	v_lshl_add_u64 v[4:5], s[4:5], 0, v[4:5]
	s_cbranch_scc1 .LBB31_1869
; %bb.1792:
	s_and_b32 s15, 0xffff, s14
	s_mov_b64 s[10:11], -1
	s_mov_b64 s[6:7], 0
	s_cmp_gt_i32 s15, 25
	s_mov_b64 s[8:9], 0
	s_mov_b64 s[0:1], 0
	s_cbranch_scc0 .LBB31_1825
; %bb.1793:
	s_cmp_gt_i32 s15, 28
	s_cbranch_scc0 .LBB31_1808
; %bb.1794:
	s_cmp_gt_i32 s15, 43
	;; [unrolled: 3-line block ×3, first 2 shown]
	s_cbranch_scc0 .LBB31_1798
; %bb.1796:
	s_mov_b64 s[0:1], -1
	s_mov_b64 s[10:11], 0
	s_cmp_eq_u32 s15, 46
	s_cbranch_scc0 .LBB31_1798
; %bb.1797:
	v_cvt_f32_i32_e32 v7, v6
	s_movk_i32 s8, 0x7fff
	s_mov_b64 s[0:1], 0
	v_bfe_u32 v8, v7, 16, 1
	v_add3_u32 v7, v7, v8, s8
	v_lshrrev_b32_e32 v7, 16, v7
	global_store_dword v[4:5], v7, off
	s_mov_b64 s[8:9], -1
.LBB31_1798:
	s_and_b64 vcc, exec, s[10:11]
	s_cbranch_vccz .LBB31_1803
; %bb.1799:
	s_cmp_eq_u32 s15, 44
	s_mov_b64 s[0:1], -1
	s_cbranch_scc0 .LBB31_1803
; %bb.1800:
	v_cvt_f32_i32_e32 v7, v6
	s_movk_i32 s0, 0xff
	v_mov_b32_e32 v9, 0xff
	v_bfe_u32 v8, v7, 23, 8
	v_cmp_ne_u32_e32 vcc, s0, v8
	s_and_saveexec_b64 s[8:9], vcc
; %bb.1801:
	s_mov_b32 s0, 0x3fffff
	v_lshrrev_b32_e32 v9, 23, v7
	v_and_b32_e32 v11, 0x400000, v7
	v_and_or_b32 v7, v7, s0, v8
	v_cmp_ne_u32_e32 vcc, 0, v11
	v_cmp_ne_u32_e64 s[0:1], 0, v7
	s_and_b64 s[0:1], vcc, s[0:1]
	s_nop 0
	v_cndmask_b32_e64 v7, 0, 1, s[0:1]
	v_add_u32_e32 v9, v9, v7
; %bb.1802:
	s_or_b64 exec, exec, s[8:9]
	s_mov_b64 s[0:1], 0
	s_mov_b64 s[8:9], -1
	global_store_byte v[4:5], v9, off
.LBB31_1803:
	s_mov_b64 s[10:11], 0
.LBB31_1804:
	s_and_b64 vcc, exec, s[10:11]
	s_cbranch_vccz .LBB31_1807
; %bb.1805:
	s_cmp_eq_u32 s15, 29
	s_mov_b64 s[0:1], -1
	s_cbranch_scc0 .LBB31_1807
; %bb.1806:
	v_ashrrev_i32_e32 v7, 31, v6
	global_store_dwordx2 v[4:5], v[6:7], off
	s_mov_b64 s[0:1], 0
	s_mov_b64 s[8:9], -1
.LBB31_1807:
	s_mov_b64 s[10:11], 0
.LBB31_1808:
	s_and_b64 vcc, exec, s[10:11]
	s_cbranch_vccz .LBB31_1824
; %bb.1809:
	s_cmp_lt_i32 s15, 27
	s_mov_b64 s[8:9], -1
	s_cbranch_scc1 .LBB31_1815
; %bb.1810:
	s_cmp_gt_i32 s15, 27
	s_cbranch_scc0 .LBB31_1812
; %bb.1811:
	s_mov_b64 s[8:9], 0
	global_store_dword v[4:5], v6, off
.LBB31_1812:
	s_andn2_b64 vcc, exec, s[8:9]
	s_cbranch_vccnz .LBB31_1814
; %bb.1813:
	global_store_short v[4:5], v6, off
.LBB31_1814:
	s_mov_b64 s[8:9], 0
.LBB31_1815:
	s_andn2_b64 vcc, exec, s[8:9]
	s_cbranch_vccnz .LBB31_1823
; %bb.1816:
	v_cvt_f32_i32_e32 v7, v6
	s_mov_b32 s8, 0x43800000
	v_mov_b32_e32 v9, 0x80
	v_and_b32_e32 v8, 0x7fffffff, v7
	v_cmp_gt_u32_e32 vcc, s8, v8
	s_and_saveexec_b64 s[8:9], vcc
	s_cbranch_execz .LBB31_1822
; %bb.1817:
	s_mov_b32 s10, 0x3bffffff
	v_cmp_lt_u32_e32 vcc, s10, v8
	s_mov_b64 s[10:11], 0
                                        ; implicit-def: $vgpr8
	s_and_saveexec_b64 s[12:13], vcc
	s_xor_b64 s[12:13], exec, s[12:13]
	s_cbranch_execz .LBB31_2113
; %bb.1818:
	v_bfe_u32 v8, v7, 20, 1
	s_mov_b32 s16, 0x487ffff
	v_add3_u32 v8, v7, v8, s16
	s_mov_b64 s[10:11], exec
	v_lshrrev_b32_e32 v8, 20, v8
	s_andn2_saveexec_b64 s[12:13], s[12:13]
	s_cbranch_execnz .LBB31_2114
.LBB31_1819:
	s_or_b64 exec, exec, s[12:13]
	v_mov_b32_e32 v9, 0
	s_and_saveexec_b64 s[12:13], s[10:11]
.LBB31_1820:
	v_lshrrev_b32_e32 v7, 24, v7
	s_movk_i32 s10, 0x80
	v_and_or_b32 v9, v7, s10, v8
.LBB31_1821:
	s_or_b64 exec, exec, s[12:13]
.LBB31_1822:
	s_or_b64 exec, exec, s[8:9]
	global_store_byte v[4:5], v9, off
.LBB31_1823:
	s_mov_b64 s[8:9], -1
.LBB31_1824:
	s_mov_b64 s[10:11], 0
.LBB31_1825:
	s_and_b64 vcc, exec, s[10:11]
	s_cbranch_vccz .LBB31_1865
; %bb.1826:
	s_cmp_gt_i32 s15, 22
	s_mov_b64 s[6:7], -1
	s_cbranch_scc0 .LBB31_1858
; %bb.1827:
	s_cmp_lt_i32 s15, 24
	s_cbranch_scc1 .LBB31_1847
; %bb.1828:
	s_cmp_gt_i32 s15, 24
	s_cbranch_scc0 .LBB31_1836
; %bb.1829:
	v_cvt_f32_i32_e32 v7, v6
	s_mov_b32 s6, 0x47800000
	v_mov_b32_e32 v9, 0x80
	v_and_b32_e32 v8, 0x7fffffff, v7
	v_cmp_gt_u32_e32 vcc, s6, v8
	s_and_saveexec_b64 s[6:7], vcc
	s_cbranch_execz .LBB31_1835
; %bb.1830:
	s_mov_b32 s8, 0x37ffffff
	v_cmp_lt_u32_e32 vcc, s8, v8
	s_mov_b64 s[8:9], 0
                                        ; implicit-def: $vgpr8
	s_and_saveexec_b64 s[10:11], vcc
	s_xor_b64 s[10:11], exec, s[10:11]
	s_cbranch_execz .LBB31_2116
; %bb.1831:
	v_bfe_u32 v8, v7, 21, 1
	s_mov_b32 s12, 0x88fffff
	v_add3_u32 v8, v7, v8, s12
	s_mov_b64 s[8:9], exec
	v_lshrrev_b32_e32 v8, 21, v8
	s_andn2_saveexec_b64 s[10:11], s[10:11]
	s_cbranch_execnz .LBB31_2117
.LBB31_1832:
	s_or_b64 exec, exec, s[10:11]
	v_mov_b32_e32 v9, 0
	s_and_saveexec_b64 s[10:11], s[8:9]
.LBB31_1833:
	v_lshrrev_b32_e32 v7, 24, v7
	s_movk_i32 s8, 0x80
	v_and_or_b32 v9, v7, s8, v8
.LBB31_1834:
	s_or_b64 exec, exec, s[10:11]
.LBB31_1835:
	s_or_b64 exec, exec, s[6:7]
	s_mov_b64 s[6:7], 0
	global_store_byte v[4:5], v9, off
.LBB31_1836:
	s_and_b64 vcc, exec, s[6:7]
	s_cbranch_vccz .LBB31_1846
; %bb.1837:
	v_cvt_f32_i32_e32 v7, v6
	s_mov_b32 s6, 0x43f00000
                                        ; implicit-def: $vgpr8
	v_and_b32_e32 v9, 0x7fffffff, v7
	v_cmp_gt_u32_e32 vcc, s6, v9
	s_and_saveexec_b64 s[6:7], vcc
	s_xor_b64 s[6:7], exec, s[6:7]
	s_cbranch_execz .LBB31_1843
; %bb.1838:
	s_mov_b32 s8, 0x3c7fffff
	v_cmp_lt_u32_e32 vcc, s8, v9
                                        ; implicit-def: $vgpr8
	s_and_saveexec_b64 s[8:9], vcc
	s_xor_b64 s[8:9], exec, s[8:9]
; %bb.1839:
	v_bfe_u32 v8, v7, 20, 1
	s_mov_b32 s10, 0x407ffff
	v_add3_u32 v8, v7, v8, s10
	v_lshrrev_b32_e32 v9, 20, v8
	v_and_b32_e32 v8, 0xff00000, v8
	s_mov_b32 s10, 0x7f00000
	v_mov_b32_e32 v11, 0x7e
	v_cmp_ne_u32_e32 vcc, s10, v8
	s_nop 1
	v_cndmask_b32_e32 v8, v11, v9, vcc
; %bb.1840:
	s_andn2_saveexec_b64 s[8:9], s[8:9]
; %bb.1841:
	s_mov_b32 s10, 0x46800000
	v_add_f32_e64 v8, |v7|, s10
; %bb.1842:
	s_or_b64 exec, exec, s[8:9]
                                        ; implicit-def: $vgpr9
.LBB31_1843:
	s_andn2_saveexec_b64 s[6:7], s[6:7]
; %bb.1844:
	s_mov_b32 s8, 0x7f800000
	v_mov_b32_e32 v8, 0x7e
	v_mov_b32_e32 v11, 0x7f
	v_cmp_lt_u32_e32 vcc, s8, v9
	s_nop 1
	v_cndmask_b32_e32 v8, v8, v11, vcc
; %bb.1845:
	s_or_b64 exec, exec, s[6:7]
	v_lshrrev_b32_e32 v7, 24, v7
	s_movk_i32 s6, 0x80
	v_and_or_b32 v7, v7, s6, v8
	global_store_byte v[4:5], v7, off
.LBB31_1846:
	s_mov_b64 s[6:7], 0
.LBB31_1847:
	s_andn2_b64 vcc, exec, s[6:7]
	s_cbranch_vccnz .LBB31_1857
; %bb.1848:
	v_cvt_f32_i32_e32 v7, v6
	s_mov_b32 s6, 0x47800000
                                        ; implicit-def: $vgpr8
	v_and_b32_e32 v9, 0x7fffffff, v7
	v_cmp_gt_u32_e32 vcc, s6, v9
	s_and_saveexec_b64 s[6:7], vcc
	s_xor_b64 s[6:7], exec, s[6:7]
	s_cbranch_execz .LBB31_1854
; %bb.1849:
	s_mov_b32 s8, 0x387fffff
	v_cmp_lt_u32_e32 vcc, s8, v9
                                        ; implicit-def: $vgpr8
	s_and_saveexec_b64 s[8:9], vcc
	s_xor_b64 s[8:9], exec, s[8:9]
; %bb.1850:
	v_bfe_u32 v8, v7, 21, 1
	s_mov_b32 s10, 0x80fffff
	v_add3_u32 v8, v7, v8, s10
	v_lshrrev_b32_e32 v8, 21, v8
; %bb.1851:
	s_andn2_saveexec_b64 s[8:9], s[8:9]
; %bb.1852:
	s_mov_b32 s10, 0x43000000
	v_add_f32_e64 v8, |v7|, s10
; %bb.1853:
	s_or_b64 exec, exec, s[8:9]
                                        ; implicit-def: $vgpr9
.LBB31_1854:
	s_andn2_saveexec_b64 s[6:7], s[6:7]
; %bb.1855:
	s_mov_b32 s8, 0x7f800000
	v_mov_b32_e32 v8, 0x7c
	v_mov_b32_e32 v11, 0x7f
	v_cmp_lt_u32_e32 vcc, s8, v9
	s_nop 1
	v_cndmask_b32_e32 v8, v8, v11, vcc
; %bb.1856:
	s_or_b64 exec, exec, s[6:7]
	v_lshrrev_b32_e32 v7, 24, v7
	s_movk_i32 s6, 0x80
	v_and_or_b32 v7, v7, s6, v8
	global_store_byte v[4:5], v7, off
.LBB31_1857:
	s_mov_b64 s[6:7], 0
	s_mov_b64 s[8:9], -1
.LBB31_1858:
	s_andn2_b64 vcc, exec, s[6:7]
	s_mov_b64 s[6:7], 0
	s_cbranch_vccnz .LBB31_1865
; %bb.1859:
	s_cmp_gt_i32 s15, 14
	s_mov_b64 s[10:11], -1
	s_cbranch_scc0 .LBB31_1863
; %bb.1860:
	s_cmp_eq_u32 s15, 15
	s_mov_b64 s[0:1], -1
	s_cbranch_scc0 .LBB31_1862
; %bb.1861:
	v_cvt_f32_i32_e32 v7, v6
	s_movk_i32 s6, 0x7fff
	s_mov_b64 s[0:1], 0
	s_mov_b64 s[8:9], -1
	v_bfe_u32 v8, v7, 16, 1
	v_add3_u32 v7, v7, v8, s6
	global_store_short_d16_hi v[4:5], v7, off
.LBB31_1862:
	s_mov_b64 s[10:11], 0
.LBB31_1863:
	s_mov_b64 s[6:7], 0
	s_and_b64 vcc, exec, s[10:11]
	s_cbranch_vccz .LBB31_1865
; %bb.1864:
	s_cmp_lg_u32 s15, 11
	s_mov_b64 s[6:7], -1
	s_cselect_b64 s[0:1], -1, 0
.LBB31_1865:
	s_and_b64 vcc, exec, s[0:1]
	s_cbranch_vccnz .LBB31_2115
; %bb.1866:
	s_andn2_b64 vcc, exec, s[6:7]
	s_cbranch_vccnz .LBB31_1868
.LBB31_1867:
	v_cmp_ne_u32_e32 vcc, -1, v3
	s_mov_b64 s[8:9], -1
	s_nop 0
	v_cndmask_b32_e64 v3, 0, 1, vcc
	global_store_byte v[4:5], v3, off
.LBB31_1868:
	s_mov_b64 s[0:1], 0
	s_branch .LBB31_1870
.LBB31_1869:
	s_mov_b64 s[0:1], -1
	s_mov_b64 s[8:9], 0
.LBB31_1870:
	s_and_b64 vcc, exec, s[0:1]
	s_cbranch_vccz .LBB31_1909
; %bb.1871:
	s_and_b32 s6, 0xffff, s14
	s_cmp_lt_i32 s6, 5
	s_mov_b64 s[0:1], -1
	s_cbranch_scc1 .LBB31_1892
; %bb.1872:
	s_cmp_lt_i32 s6, 8
	s_cbranch_scc1 .LBB31_1882
; %bb.1873:
	s_cmp_lt_i32 s6, 9
	s_cbranch_scc1 .LBB31_1879
; %bb.1874:
	s_cmp_gt_i32 s6, 9
	s_cbranch_scc0 .LBB31_1876
; %bb.1875:
	v_mov_b32_e32 v14, 0
	v_cvt_f64_i32_e32 v[12:13], v6
	v_mov_b32_e32 v15, v14
	global_store_dwordx4 v[4:5], v[12:15], off
	s_mov_b64 s[0:1], 0
.LBB31_1876:
	s_andn2_b64 vcc, exec, s[0:1]
	s_cbranch_vccnz .LBB31_1878
; %bb.1877:
	v_cvt_f32_i32_e32 v8, v6
	v_mov_b32_e32 v9, 0
	global_store_dwordx2 v[4:5], v[8:9], off
.LBB31_1878:
	s_mov_b64 s[0:1], 0
.LBB31_1879:
	s_andn2_b64 vcc, exec, s[0:1]
	s_cbranch_vccnz .LBB31_1881
; %bb.1880:
	v_cvt_f32_i32_e32 v3, v6
	v_cvt_f16_f32_e32 v3, v3
	global_store_dword v[4:5], v3, off
.LBB31_1881:
	s_mov_b64 s[0:1], 0
.LBB31_1882:
	s_andn2_b64 vcc, exec, s[0:1]
	s_cbranch_vccnz .LBB31_1891
; %bb.1883:
	s_cmp_lt_i32 s6, 6
	s_mov_b64 s[0:1], -1
	s_cbranch_scc1 .LBB31_1889
; %bb.1884:
	s_cmp_gt_i32 s6, 6
	s_cbranch_scc0 .LBB31_1886
; %bb.1885:
	v_cvt_f64_i32_e32 v[8:9], v6
	global_store_dwordx2 v[4:5], v[8:9], off
	s_mov_b64 s[0:1], 0
.LBB31_1886:
	s_andn2_b64 vcc, exec, s[0:1]
	s_cbranch_vccnz .LBB31_1888
; %bb.1887:
	v_cvt_f32_i32_e32 v3, v6
	global_store_dword v[4:5], v3, off
.LBB31_1888:
	s_mov_b64 s[0:1], 0
.LBB31_1889:
	s_andn2_b64 vcc, exec, s[0:1]
	s_cbranch_vccnz .LBB31_1891
; %bb.1890:
	v_cvt_f32_i32_e32 v3, v6
	v_cvt_f16_f32_e32 v3, v3
	global_store_short v[4:5], v3, off
.LBB31_1891:
	s_mov_b64 s[0:1], 0
.LBB31_1892:
	s_andn2_b64 vcc, exec, s[0:1]
	s_cbranch_vccnz .LBB31_1908
; %bb.1893:
	s_cmp_lt_i32 s6, 2
	s_mov_b64 s[0:1], -1
	s_cbranch_scc1 .LBB31_1903
; %bb.1894:
	s_cmp_lt_i32 s6, 3
	s_cbranch_scc1 .LBB31_1900
; %bb.1895:
	s_cmp_gt_i32 s6, 3
	s_cbranch_scc0 .LBB31_1897
; %bb.1896:
	v_ashrrev_i32_e32 v7, 31, v6
	global_store_dwordx2 v[4:5], v[6:7], off
	s_mov_b64 s[0:1], 0
.LBB31_1897:
	s_andn2_b64 vcc, exec, s[0:1]
	s_cbranch_vccnz .LBB31_1899
; %bb.1898:
	global_store_dword v[4:5], v6, off
.LBB31_1899:
	s_mov_b64 s[0:1], 0
.LBB31_1900:
	s_andn2_b64 vcc, exec, s[0:1]
	s_cbranch_vccnz .LBB31_1902
; %bb.1901:
	global_store_short v[4:5], v6, off
.LBB31_1902:
	s_mov_b64 s[0:1], 0
.LBB31_1903:
	s_andn2_b64 vcc, exec, s[0:1]
	s_cbranch_vccnz .LBB31_1908
; %bb.1904:
	s_cmp_gt_i32 s6, 0
	s_mov_b64 s[0:1], -1
	s_cbranch_scc0 .LBB31_1906
; %bb.1905:
	global_store_byte v[4:5], v6, off
	s_mov_b64 s[0:1], 0
.LBB31_1906:
	s_andn2_b64 vcc, exec, s[0:1]
	s_cbranch_vccnz .LBB31_1908
; %bb.1907:
	global_store_byte v[4:5], v6, off
.LBB31_1908:
	s_mov_b64 s[8:9], -1
.LBB31_1909:
	s_andn2_b64 vcc, exec, s[8:9]
	s_cbranch_vccnz .LBB31_2105
; %bb.1910:
	v_mov_b32_e32 v3, 0
	v_not_b32_e32 v4, v1
	s_cmp_lt_i32 s14, 11
	v_lshl_add_u64 v[2:3], s[4:5], 0, v[2:3]
	s_cbranch_scc1 .LBB31_1988
; %bb.1911:
	s_and_b32 s15, 0xffff, s14
	s_mov_b64 s[10:11], -1
	s_mov_b64 s[6:7], 0
	s_cmp_gt_i32 s15, 25
	s_mov_b64 s[8:9], 0
	s_mov_b64 s[0:1], 0
	s_cbranch_scc0 .LBB31_1944
; %bb.1912:
	s_cmp_gt_i32 s15, 28
	s_cbranch_scc0 .LBB31_1927
; %bb.1913:
	s_cmp_gt_i32 s15, 43
	;; [unrolled: 3-line block ×3, first 2 shown]
	s_cbranch_scc0 .LBB31_1917
; %bb.1915:
	s_mov_b64 s[0:1], -1
	s_mov_b64 s[10:11], 0
	s_cmp_eq_u32 s15, 46
	s_cbranch_scc0 .LBB31_1917
; %bb.1916:
	v_cvt_f32_i32_e32 v5, v4
	s_movk_i32 s8, 0x7fff
	s_mov_b64 s[0:1], 0
	v_bfe_u32 v6, v5, 16, 1
	v_add3_u32 v5, v5, v6, s8
	v_lshrrev_b32_e32 v5, 16, v5
	global_store_dword v[2:3], v5, off
	s_mov_b64 s[8:9], -1
.LBB31_1917:
	s_and_b64 vcc, exec, s[10:11]
	s_cbranch_vccz .LBB31_1922
; %bb.1918:
	s_cmp_eq_u32 s15, 44
	s_mov_b64 s[0:1], -1
	s_cbranch_scc0 .LBB31_1922
; %bb.1919:
	v_cvt_f32_i32_e32 v5, v4
	s_movk_i32 s0, 0xff
	v_mov_b32_e32 v7, 0xff
	v_bfe_u32 v6, v5, 23, 8
	v_cmp_ne_u32_e32 vcc, s0, v6
	s_and_saveexec_b64 s[8:9], vcc
; %bb.1920:
	s_mov_b32 s0, 0x3fffff
	v_lshrrev_b32_e32 v7, 23, v5
	v_and_b32_e32 v8, 0x400000, v5
	v_and_or_b32 v5, v5, s0, v6
	v_cmp_ne_u32_e32 vcc, 0, v8
	v_cmp_ne_u32_e64 s[0:1], 0, v5
	s_and_b64 s[0:1], vcc, s[0:1]
	s_nop 0
	v_cndmask_b32_e64 v5, 0, 1, s[0:1]
	v_add_u32_e32 v7, v7, v5
; %bb.1921:
	s_or_b64 exec, exec, s[8:9]
	s_mov_b64 s[0:1], 0
	s_mov_b64 s[8:9], -1
	global_store_byte v[2:3], v7, off
.LBB31_1922:
	s_mov_b64 s[10:11], 0
.LBB31_1923:
	s_and_b64 vcc, exec, s[10:11]
	s_cbranch_vccz .LBB31_1926
; %bb.1924:
	s_cmp_eq_u32 s15, 29
	s_mov_b64 s[0:1], -1
	s_cbranch_scc0 .LBB31_1926
; %bb.1925:
	v_ashrrev_i32_e32 v5, 31, v4
	global_store_dwordx2 v[2:3], v[4:5], off
	s_mov_b64 s[0:1], 0
	s_mov_b64 s[8:9], -1
.LBB31_1926:
	s_mov_b64 s[10:11], 0
.LBB31_1927:
	s_and_b64 vcc, exec, s[10:11]
	s_cbranch_vccz .LBB31_1943
; %bb.1928:
	s_cmp_lt_i32 s15, 27
	s_mov_b64 s[8:9], -1
	s_cbranch_scc1 .LBB31_1934
; %bb.1929:
	s_cmp_gt_i32 s15, 27
	s_cbranch_scc0 .LBB31_1931
; %bb.1930:
	s_mov_b64 s[8:9], 0
	global_store_dword v[2:3], v4, off
.LBB31_1931:
	s_andn2_b64 vcc, exec, s[8:9]
	s_cbranch_vccnz .LBB31_1933
; %bb.1932:
	global_store_short v[2:3], v4, off
.LBB31_1933:
	s_mov_b64 s[8:9], 0
.LBB31_1934:
	s_andn2_b64 vcc, exec, s[8:9]
	s_cbranch_vccnz .LBB31_1942
; %bb.1935:
	v_cvt_f32_i32_e32 v5, v4
	s_mov_b32 s8, 0x43800000
	v_mov_b32_e32 v7, 0x80
	v_and_b32_e32 v6, 0x7fffffff, v5
	v_cmp_gt_u32_e32 vcc, s8, v6
	s_and_saveexec_b64 s[8:9], vcc
	s_cbranch_execz .LBB31_1941
; %bb.1936:
	s_mov_b32 s10, 0x3bffffff
	v_cmp_lt_u32_e32 vcc, s10, v6
	s_mov_b64 s[10:11], 0
                                        ; implicit-def: $vgpr6
	s_and_saveexec_b64 s[12:13], vcc
	s_xor_b64 s[12:13], exec, s[12:13]
	s_cbranch_execz .LBB31_2118
; %bb.1937:
	v_bfe_u32 v6, v5, 20, 1
	s_mov_b32 s16, 0x487ffff
	v_add3_u32 v6, v5, v6, s16
	s_mov_b64 s[10:11], exec
	v_lshrrev_b32_e32 v6, 20, v6
	s_andn2_saveexec_b64 s[12:13], s[12:13]
	s_cbranch_execnz .LBB31_2119
.LBB31_1938:
	s_or_b64 exec, exec, s[12:13]
	v_mov_b32_e32 v7, 0
	s_and_saveexec_b64 s[12:13], s[10:11]
.LBB31_1939:
	v_lshrrev_b32_e32 v5, 24, v5
	s_movk_i32 s10, 0x80
	v_and_or_b32 v7, v5, s10, v6
.LBB31_1940:
	s_or_b64 exec, exec, s[12:13]
.LBB31_1941:
	s_or_b64 exec, exec, s[8:9]
	global_store_byte v[2:3], v7, off
.LBB31_1942:
	s_mov_b64 s[8:9], -1
.LBB31_1943:
	s_mov_b64 s[10:11], 0
.LBB31_1944:
	s_and_b64 vcc, exec, s[10:11]
	s_cbranch_vccz .LBB31_1984
; %bb.1945:
	s_cmp_gt_i32 s15, 22
	s_mov_b64 s[6:7], -1
	s_cbranch_scc0 .LBB31_1977
; %bb.1946:
	s_cmp_lt_i32 s15, 24
	s_cbranch_scc1 .LBB31_1966
; %bb.1947:
	s_cmp_gt_i32 s15, 24
	s_cbranch_scc0 .LBB31_1955
; %bb.1948:
	v_cvt_f32_i32_e32 v5, v4
	s_mov_b32 s6, 0x47800000
	v_mov_b32_e32 v7, 0x80
	v_and_b32_e32 v6, 0x7fffffff, v5
	v_cmp_gt_u32_e32 vcc, s6, v6
	s_and_saveexec_b64 s[6:7], vcc
	s_cbranch_execz .LBB31_1954
; %bb.1949:
	s_mov_b32 s8, 0x37ffffff
	v_cmp_lt_u32_e32 vcc, s8, v6
	s_mov_b64 s[8:9], 0
                                        ; implicit-def: $vgpr6
	s_and_saveexec_b64 s[10:11], vcc
	s_xor_b64 s[10:11], exec, s[10:11]
	s_cbranch_execz .LBB31_2121
; %bb.1950:
	v_bfe_u32 v6, v5, 21, 1
	s_mov_b32 s12, 0x88fffff
	v_add3_u32 v6, v5, v6, s12
	s_mov_b64 s[8:9], exec
	v_lshrrev_b32_e32 v6, 21, v6
	s_andn2_saveexec_b64 s[10:11], s[10:11]
	s_cbranch_execnz .LBB31_2122
.LBB31_1951:
	s_or_b64 exec, exec, s[10:11]
	v_mov_b32_e32 v7, 0
	s_and_saveexec_b64 s[10:11], s[8:9]
.LBB31_1952:
	v_lshrrev_b32_e32 v5, 24, v5
	s_movk_i32 s8, 0x80
	v_and_or_b32 v7, v5, s8, v6
.LBB31_1953:
	s_or_b64 exec, exec, s[10:11]
.LBB31_1954:
	s_or_b64 exec, exec, s[6:7]
	s_mov_b64 s[6:7], 0
	global_store_byte v[2:3], v7, off
.LBB31_1955:
	s_and_b64 vcc, exec, s[6:7]
	s_cbranch_vccz .LBB31_1965
; %bb.1956:
	v_cvt_f32_i32_e32 v5, v4
	s_mov_b32 s6, 0x43f00000
                                        ; implicit-def: $vgpr6
	v_and_b32_e32 v7, 0x7fffffff, v5
	v_cmp_gt_u32_e32 vcc, s6, v7
	s_and_saveexec_b64 s[6:7], vcc
	s_xor_b64 s[6:7], exec, s[6:7]
	s_cbranch_execz .LBB31_1962
; %bb.1957:
	s_mov_b32 s8, 0x3c7fffff
	v_cmp_lt_u32_e32 vcc, s8, v7
                                        ; implicit-def: $vgpr6
	s_and_saveexec_b64 s[8:9], vcc
	s_xor_b64 s[8:9], exec, s[8:9]
; %bb.1958:
	v_bfe_u32 v6, v5, 20, 1
	s_mov_b32 s10, 0x407ffff
	v_add3_u32 v6, v5, v6, s10
	v_lshrrev_b32_e32 v7, 20, v6
	v_and_b32_e32 v6, 0xff00000, v6
	s_mov_b32 s10, 0x7f00000
	v_mov_b32_e32 v8, 0x7e
	v_cmp_ne_u32_e32 vcc, s10, v6
	s_nop 1
	v_cndmask_b32_e32 v6, v8, v7, vcc
; %bb.1959:
	s_andn2_saveexec_b64 s[8:9], s[8:9]
; %bb.1960:
	s_mov_b32 s10, 0x46800000
	v_add_f32_e64 v6, |v5|, s10
; %bb.1961:
	s_or_b64 exec, exec, s[8:9]
                                        ; implicit-def: $vgpr7
.LBB31_1962:
	s_andn2_saveexec_b64 s[6:7], s[6:7]
; %bb.1963:
	s_mov_b32 s8, 0x7f800000
	v_mov_b32_e32 v6, 0x7e
	v_mov_b32_e32 v8, 0x7f
	v_cmp_lt_u32_e32 vcc, s8, v7
	s_nop 1
	v_cndmask_b32_e32 v6, v6, v8, vcc
; %bb.1964:
	s_or_b64 exec, exec, s[6:7]
	v_lshrrev_b32_e32 v5, 24, v5
	s_movk_i32 s6, 0x80
	v_and_or_b32 v5, v5, s6, v6
	global_store_byte v[2:3], v5, off
.LBB31_1965:
	s_mov_b64 s[6:7], 0
.LBB31_1966:
	s_andn2_b64 vcc, exec, s[6:7]
	s_cbranch_vccnz .LBB31_1976
; %bb.1967:
	v_cvt_f32_i32_e32 v5, v4
	s_mov_b32 s6, 0x47800000
                                        ; implicit-def: $vgpr6
	v_and_b32_e32 v7, 0x7fffffff, v5
	v_cmp_gt_u32_e32 vcc, s6, v7
	s_and_saveexec_b64 s[6:7], vcc
	s_xor_b64 s[6:7], exec, s[6:7]
	s_cbranch_execz .LBB31_1973
; %bb.1968:
	s_mov_b32 s8, 0x387fffff
	v_cmp_lt_u32_e32 vcc, s8, v7
                                        ; implicit-def: $vgpr6
	s_and_saveexec_b64 s[8:9], vcc
	s_xor_b64 s[8:9], exec, s[8:9]
; %bb.1969:
	v_bfe_u32 v6, v5, 21, 1
	s_mov_b32 s10, 0x80fffff
	v_add3_u32 v6, v5, v6, s10
	v_lshrrev_b32_e32 v6, 21, v6
; %bb.1970:
	s_andn2_saveexec_b64 s[8:9], s[8:9]
; %bb.1971:
	s_mov_b32 s10, 0x43000000
	v_add_f32_e64 v6, |v5|, s10
; %bb.1972:
	s_or_b64 exec, exec, s[8:9]
                                        ; implicit-def: $vgpr7
.LBB31_1973:
	s_andn2_saveexec_b64 s[6:7], s[6:7]
; %bb.1974:
	s_mov_b32 s8, 0x7f800000
	v_mov_b32_e32 v6, 0x7c
	v_mov_b32_e32 v8, 0x7f
	v_cmp_lt_u32_e32 vcc, s8, v7
	s_nop 1
	v_cndmask_b32_e32 v6, v6, v8, vcc
; %bb.1975:
	s_or_b64 exec, exec, s[6:7]
	v_lshrrev_b32_e32 v5, 24, v5
	s_movk_i32 s6, 0x80
	v_and_or_b32 v5, v5, s6, v6
	global_store_byte v[2:3], v5, off
.LBB31_1976:
	s_mov_b64 s[6:7], 0
	s_mov_b64 s[8:9], -1
.LBB31_1977:
	s_andn2_b64 vcc, exec, s[6:7]
	s_mov_b64 s[6:7], 0
	s_cbranch_vccnz .LBB31_1984
; %bb.1978:
	s_cmp_gt_i32 s15, 14
	s_mov_b64 s[10:11], -1
	s_cbranch_scc0 .LBB31_1982
; %bb.1979:
	s_cmp_eq_u32 s15, 15
	s_mov_b64 s[0:1], -1
	s_cbranch_scc0 .LBB31_1981
; %bb.1980:
	v_cvt_f32_i32_e32 v5, v4
	s_movk_i32 s6, 0x7fff
	s_mov_b64 s[0:1], 0
	s_mov_b64 s[8:9], -1
	v_bfe_u32 v6, v5, 16, 1
	v_add3_u32 v5, v5, v6, s6
	global_store_short_d16_hi v[2:3], v5, off
.LBB31_1981:
	s_mov_b64 s[10:11], 0
.LBB31_1982:
	s_mov_b64 s[6:7], 0
	s_and_b64 vcc, exec, s[10:11]
	s_cbranch_vccz .LBB31_1984
; %bb.1983:
	s_cmp_lg_u32 s15, 11
	s_mov_b64 s[6:7], -1
	s_cselect_b64 s[0:1], -1, 0
.LBB31_1984:
	s_and_b64 vcc, exec, s[0:1]
	s_cbranch_vccnz .LBB31_2120
; %bb.1985:
	s_andn2_b64 vcc, exec, s[6:7]
	s_cbranch_vccnz .LBB31_1987
.LBB31_1986:
	v_cmp_ne_u32_e32 vcc, -1, v1
	s_mov_b64 s[8:9], -1
	s_nop 0
	v_cndmask_b32_e64 v1, 0, 1, vcc
	global_store_byte v[2:3], v1, off
.LBB31_1987:
	s_mov_b64 s[0:1], 0
	s_branch .LBB31_1989
.LBB31_1988:
	s_mov_b64 s[0:1], -1
	s_mov_b64 s[8:9], 0
.LBB31_1989:
	s_and_b64 vcc, exec, s[0:1]
	s_cbranch_vccz .LBB31_2028
; %bb.1990:
	s_and_b32 s6, 0xffff, s14
	s_cmp_lt_i32 s6, 5
	s_mov_b64 s[0:1], -1
	s_cbranch_scc1 .LBB31_2011
; %bb.1991:
	s_cmp_lt_i32 s6, 8
	s_cbranch_scc1 .LBB31_2001
; %bb.1992:
	s_cmp_lt_i32 s6, 9
	s_cbranch_scc1 .LBB31_1998
; %bb.1993:
	s_cmp_gt_i32 s6, 9
	s_cbranch_scc0 .LBB31_1995
; %bb.1994:
	v_mov_b32_e32 v8, 0
	v_cvt_f64_i32_e32 v[6:7], v4
	v_mov_b32_e32 v9, v8
	global_store_dwordx4 v[2:3], v[6:9], off
	s_mov_b64 s[0:1], 0
.LBB31_1995:
	s_andn2_b64 vcc, exec, s[0:1]
	s_cbranch_vccnz .LBB31_1997
; %bb.1996:
	v_cvt_f32_i32_e32 v6, v4
	v_mov_b32_e32 v7, 0
	global_store_dwordx2 v[2:3], v[6:7], off
.LBB31_1997:
	s_mov_b64 s[0:1], 0
.LBB31_1998:
	s_andn2_b64 vcc, exec, s[0:1]
	s_cbranch_vccnz .LBB31_2000
; %bb.1999:
	v_cvt_f32_i32_e32 v1, v4
	v_cvt_f16_f32_e32 v1, v1
	global_store_dword v[2:3], v1, off
.LBB31_2000:
	s_mov_b64 s[0:1], 0
.LBB31_2001:
	s_andn2_b64 vcc, exec, s[0:1]
	s_cbranch_vccnz .LBB31_2010
; %bb.2002:
	s_cmp_lt_i32 s6, 6
	s_mov_b64 s[0:1], -1
	s_cbranch_scc1 .LBB31_2008
; %bb.2003:
	s_cmp_gt_i32 s6, 6
	s_cbranch_scc0 .LBB31_2005
; %bb.2004:
	v_cvt_f64_i32_e32 v[6:7], v4
	global_store_dwordx2 v[2:3], v[6:7], off
	s_mov_b64 s[0:1], 0
.LBB31_2005:
	s_andn2_b64 vcc, exec, s[0:1]
	s_cbranch_vccnz .LBB31_2007
; %bb.2006:
	v_cvt_f32_i32_e32 v1, v4
	global_store_dword v[2:3], v1, off
.LBB31_2007:
	s_mov_b64 s[0:1], 0
.LBB31_2008:
	s_andn2_b64 vcc, exec, s[0:1]
	s_cbranch_vccnz .LBB31_2010
; %bb.2009:
	v_cvt_f32_i32_e32 v1, v4
	v_cvt_f16_f32_e32 v1, v1
	global_store_short v[2:3], v1, off
.LBB31_2010:
	s_mov_b64 s[0:1], 0
.LBB31_2011:
	s_andn2_b64 vcc, exec, s[0:1]
	s_cbranch_vccnz .LBB31_2027
; %bb.2012:
	s_cmp_lt_i32 s6, 2
	s_mov_b64 s[0:1], -1
	s_cbranch_scc1 .LBB31_2022
; %bb.2013:
	s_cmp_lt_i32 s6, 3
	s_cbranch_scc1 .LBB31_2019
; %bb.2014:
	s_cmp_gt_i32 s6, 3
	s_cbranch_scc0 .LBB31_2016
; %bb.2015:
	v_ashrrev_i32_e32 v5, 31, v4
	global_store_dwordx2 v[2:3], v[4:5], off
	s_mov_b64 s[0:1], 0
.LBB31_2016:
	s_andn2_b64 vcc, exec, s[0:1]
	s_cbranch_vccnz .LBB31_2018
; %bb.2017:
	global_store_dword v[2:3], v4, off
.LBB31_2018:
	s_mov_b64 s[0:1], 0
.LBB31_2019:
	s_andn2_b64 vcc, exec, s[0:1]
	s_cbranch_vccnz .LBB31_2021
; %bb.2020:
	global_store_short v[2:3], v4, off
.LBB31_2021:
	s_mov_b64 s[0:1], 0
.LBB31_2022:
	s_andn2_b64 vcc, exec, s[0:1]
	s_cbranch_vccnz .LBB31_2027
; %bb.2023:
	s_cmp_gt_i32 s6, 0
	s_mov_b64 s[0:1], -1
	s_cbranch_scc0 .LBB31_2025
; %bb.2024:
	global_store_byte v[2:3], v4, off
	s_mov_b64 s[0:1], 0
.LBB31_2025:
	s_andn2_b64 vcc, exec, s[0:1]
	s_cbranch_vccnz .LBB31_2027
; %bb.2026:
	global_store_byte v[2:3], v4, off
.LBB31_2027:
	s_mov_b64 s[8:9], -1
.LBB31_2028:
	s_andn2_b64 vcc, exec, s[8:9]
	s_cbranch_vccnz .LBB31_2105
; %bb.2029:
	v_mov_b32_e32 v1, 0
	v_not_b32_e32 v2, v10
	s_cmp_lt_i32 s14, 11
	v_lshl_add_u64 v[0:1], s[4:5], 0, v[0:1]
	s_cbranch_scc1 .LBB31_2106
; %bb.2030:
	s_and_b32 s12, 0xffff, s14
	s_mov_b64 s[6:7], -1
	s_mov_b64 s[4:5], 0
	s_cmp_gt_i32 s12, 25
	s_mov_b64 s[0:1], 0
	s_cbranch_scc0 .LBB31_2063
; %bb.2031:
	s_cmp_gt_i32 s12, 28
	s_cbranch_scc0 .LBB31_2047
; %bb.2032:
	s_cmp_gt_i32 s12, 43
	;; [unrolled: 3-line block ×3, first 2 shown]
	s_cbranch_scc0 .LBB31_2037
; %bb.2034:
	s_cmp_eq_u32 s12, 46
	s_mov_b64 s[0:1], -1
	s_cbranch_scc0 .LBB31_2036
; %bb.2035:
	v_cvt_f32_i32_e32 v3, v2
	s_movk_i32 s0, 0x7fff
	v_bfe_u32 v4, v3, 16, 1
	v_add3_u32 v3, v3, v4, s0
	v_lshrrev_b32_e32 v3, 16, v3
	global_store_dword v[0:1], v3, off
	s_mov_b64 s[0:1], 0
.LBB31_2036:
	s_mov_b64 s[6:7], 0
.LBB31_2037:
	s_and_b64 vcc, exec, s[6:7]
	s_cbranch_vccz .LBB31_2042
; %bb.2038:
	s_cmp_eq_u32 s12, 44
	s_mov_b64 s[0:1], -1
	s_cbranch_scc0 .LBB31_2042
; %bb.2039:
	v_cvt_f32_i32_e32 v3, v2
	s_movk_i32 s0, 0xff
	v_mov_b32_e32 v5, 0xff
	v_bfe_u32 v4, v3, 23, 8
	v_cmp_ne_u32_e32 vcc, s0, v4
	s_and_saveexec_b64 s[6:7], vcc
; %bb.2040:
	s_mov_b32 s0, 0x3fffff
	v_lshrrev_b32_e32 v5, 23, v3
	v_and_b32_e32 v6, 0x400000, v3
	v_and_or_b32 v3, v3, s0, v4
	v_cmp_ne_u32_e32 vcc, 0, v6
	v_cmp_ne_u32_e64 s[0:1], 0, v3
	s_and_b64 s[0:1], vcc, s[0:1]
	s_nop 0
	v_cndmask_b32_e64 v3, 0, 1, s[0:1]
	v_add_u32_e32 v5, v5, v3
; %bb.2041:
	s_or_b64 exec, exec, s[6:7]
	s_mov_b64 s[0:1], 0
	global_store_byte v[0:1], v5, off
.LBB31_2042:
	s_mov_b64 s[6:7], 0
.LBB31_2043:
	s_and_b64 vcc, exec, s[6:7]
	s_cbranch_vccz .LBB31_2046
; %bb.2044:
	s_cmp_eq_u32 s12, 29
	s_mov_b64 s[0:1], -1
	s_cbranch_scc0 .LBB31_2046
; %bb.2045:
	v_ashrrev_i32_e32 v3, 31, v2
	global_store_dwordx2 v[0:1], v[2:3], off
	s_mov_b64 s[0:1], 0
.LBB31_2046:
	s_mov_b64 s[6:7], 0
.LBB31_2047:
	s_and_b64 vcc, exec, s[6:7]
	s_cbranch_vccz .LBB31_2062
; %bb.2048:
	s_cmp_lt_i32 s12, 27
	s_mov_b64 s[6:7], -1
	s_cbranch_scc1 .LBB31_2054
; %bb.2049:
	s_cmp_gt_i32 s12, 27
	s_cbranch_scc0 .LBB31_2051
; %bb.2050:
	global_store_dword v[0:1], v2, off
	s_mov_b64 s[6:7], 0
.LBB31_2051:
	s_andn2_b64 vcc, exec, s[6:7]
	s_cbranch_vccnz .LBB31_2053
; %bb.2052:
	global_store_short v[0:1], v2, off
.LBB31_2053:
	s_mov_b64 s[6:7], 0
.LBB31_2054:
	s_andn2_b64 vcc, exec, s[6:7]
	s_cbranch_vccnz .LBB31_2062
; %bb.2055:
	v_cvt_f32_i32_e32 v3, v2
	s_mov_b32 s6, 0x43800000
	v_mov_b32_e32 v5, 0x80
	v_and_b32_e32 v4, 0x7fffffff, v3
	v_cmp_gt_u32_e32 vcc, s6, v4
	s_and_saveexec_b64 s[6:7], vcc
	s_cbranch_execz .LBB31_2061
; %bb.2056:
	s_mov_b32 s8, 0x3bffffff
	v_cmp_lt_u32_e32 vcc, s8, v4
	s_mov_b64 s[8:9], 0
                                        ; implicit-def: $vgpr4
	s_and_saveexec_b64 s[10:11], vcc
	s_xor_b64 s[10:11], exec, s[10:11]
	s_cbranch_execz .LBB31_2123
; %bb.2057:
	v_bfe_u32 v4, v3, 20, 1
	s_mov_b32 s13, 0x487ffff
	v_add3_u32 v4, v3, v4, s13
	s_mov_b64 s[8:9], exec
	v_lshrrev_b32_e32 v4, 20, v4
	s_andn2_saveexec_b64 s[10:11], s[10:11]
	s_cbranch_execnz .LBB31_2124
.LBB31_2058:
	s_or_b64 exec, exec, s[10:11]
	v_mov_b32_e32 v5, 0
	s_and_saveexec_b64 s[10:11], s[8:9]
.LBB31_2059:
	v_lshrrev_b32_e32 v3, 24, v3
	s_movk_i32 s8, 0x80
	v_and_or_b32 v5, v3, s8, v4
.LBB31_2060:
	s_or_b64 exec, exec, s[10:11]
.LBB31_2061:
	s_or_b64 exec, exec, s[6:7]
	global_store_byte v[0:1], v5, off
.LBB31_2062:
	s_mov_b64 s[6:7], 0
.LBB31_2063:
	s_and_b64 vcc, exec, s[6:7]
	s_cbranch_vccz .LBB31_2103
; %bb.2064:
	s_cmp_gt_i32 s12, 22
	s_mov_b64 s[4:5], -1
	s_cbranch_scc0 .LBB31_2096
; %bb.2065:
	s_cmp_lt_i32 s12, 24
	s_cbranch_scc1 .LBB31_2085
; %bb.2066:
	s_cmp_gt_i32 s12, 24
	s_cbranch_scc0 .LBB31_2074
; %bb.2067:
	v_cvt_f32_i32_e32 v3, v2
	s_mov_b32 s4, 0x47800000
	v_mov_b32_e32 v5, 0x80
	v_and_b32_e32 v4, 0x7fffffff, v3
	v_cmp_gt_u32_e32 vcc, s4, v4
	s_and_saveexec_b64 s[4:5], vcc
	s_cbranch_execz .LBB31_2073
; %bb.2068:
	s_mov_b32 s6, 0x37ffffff
	v_cmp_lt_u32_e32 vcc, s6, v4
	s_mov_b64 s[6:7], 0
                                        ; implicit-def: $vgpr4
	s_and_saveexec_b64 s[8:9], vcc
	s_xor_b64 s[8:9], exec, s[8:9]
	s_cbranch_execz .LBB31_2126
; %bb.2069:
	v_bfe_u32 v4, v3, 21, 1
	s_mov_b32 s10, 0x88fffff
	v_add3_u32 v4, v3, v4, s10
	s_mov_b64 s[6:7], exec
	v_lshrrev_b32_e32 v4, 21, v4
	s_andn2_saveexec_b64 s[8:9], s[8:9]
	s_cbranch_execnz .LBB31_2127
.LBB31_2070:
	s_or_b64 exec, exec, s[8:9]
	v_mov_b32_e32 v5, 0
	s_and_saveexec_b64 s[8:9], s[6:7]
.LBB31_2071:
	v_lshrrev_b32_e32 v3, 24, v3
	s_movk_i32 s6, 0x80
	v_and_or_b32 v5, v3, s6, v4
.LBB31_2072:
	s_or_b64 exec, exec, s[8:9]
.LBB31_2073:
	s_or_b64 exec, exec, s[4:5]
	s_mov_b64 s[4:5], 0
	global_store_byte v[0:1], v5, off
.LBB31_2074:
	s_and_b64 vcc, exec, s[4:5]
	s_cbranch_vccz .LBB31_2084
; %bb.2075:
	v_cvt_f32_i32_e32 v3, v2
	s_mov_b32 s4, 0x43f00000
                                        ; implicit-def: $vgpr4
	v_and_b32_e32 v5, 0x7fffffff, v3
	v_cmp_gt_u32_e32 vcc, s4, v5
	s_and_saveexec_b64 s[4:5], vcc
	s_xor_b64 s[4:5], exec, s[4:5]
	s_cbranch_execz .LBB31_2081
; %bb.2076:
	s_mov_b32 s6, 0x3c7fffff
	v_cmp_lt_u32_e32 vcc, s6, v5
                                        ; implicit-def: $vgpr4
	s_and_saveexec_b64 s[6:7], vcc
	s_xor_b64 s[6:7], exec, s[6:7]
; %bb.2077:
	v_bfe_u32 v4, v3, 20, 1
	s_mov_b32 s8, 0x407ffff
	v_add3_u32 v4, v3, v4, s8
	v_lshrrev_b32_e32 v5, 20, v4
	v_and_b32_e32 v4, 0xff00000, v4
	s_mov_b32 s8, 0x7f00000
	v_mov_b32_e32 v6, 0x7e
	v_cmp_ne_u32_e32 vcc, s8, v4
	s_nop 1
	v_cndmask_b32_e32 v4, v6, v5, vcc
; %bb.2078:
	s_andn2_saveexec_b64 s[6:7], s[6:7]
; %bb.2079:
	s_mov_b32 s8, 0x46800000
	v_add_f32_e64 v4, |v3|, s8
; %bb.2080:
	s_or_b64 exec, exec, s[6:7]
                                        ; implicit-def: $vgpr5
.LBB31_2081:
	s_andn2_saveexec_b64 s[4:5], s[4:5]
; %bb.2082:
	s_mov_b32 s6, 0x7f800000
	v_mov_b32_e32 v4, 0x7e
	v_mov_b32_e32 v6, 0x7f
	v_cmp_lt_u32_e32 vcc, s6, v5
	s_nop 1
	v_cndmask_b32_e32 v4, v4, v6, vcc
; %bb.2083:
	s_or_b64 exec, exec, s[4:5]
	v_lshrrev_b32_e32 v3, 24, v3
	s_movk_i32 s4, 0x80
	v_and_or_b32 v3, v3, s4, v4
	global_store_byte v[0:1], v3, off
.LBB31_2084:
	s_mov_b64 s[4:5], 0
.LBB31_2085:
	s_andn2_b64 vcc, exec, s[4:5]
	s_cbranch_vccnz .LBB31_2095
; %bb.2086:
	v_cvt_f32_i32_e32 v3, v2
	s_mov_b32 s4, 0x47800000
                                        ; implicit-def: $vgpr4
	v_and_b32_e32 v5, 0x7fffffff, v3
	v_cmp_gt_u32_e32 vcc, s4, v5
	s_and_saveexec_b64 s[4:5], vcc
	s_xor_b64 s[4:5], exec, s[4:5]
	s_cbranch_execz .LBB31_2092
; %bb.2087:
	s_mov_b32 s6, 0x387fffff
	v_cmp_lt_u32_e32 vcc, s6, v5
                                        ; implicit-def: $vgpr4
	s_and_saveexec_b64 s[6:7], vcc
	s_xor_b64 s[6:7], exec, s[6:7]
; %bb.2088:
	v_bfe_u32 v4, v3, 21, 1
	s_mov_b32 s8, 0x80fffff
	v_add3_u32 v4, v3, v4, s8
	v_lshrrev_b32_e32 v4, 21, v4
; %bb.2089:
	s_andn2_saveexec_b64 s[6:7], s[6:7]
; %bb.2090:
	s_mov_b32 s8, 0x43000000
	v_add_f32_e64 v4, |v3|, s8
; %bb.2091:
	s_or_b64 exec, exec, s[6:7]
                                        ; implicit-def: $vgpr5
.LBB31_2092:
	s_andn2_saveexec_b64 s[4:5], s[4:5]
; %bb.2093:
	s_mov_b32 s6, 0x7f800000
	v_mov_b32_e32 v4, 0x7c
	v_mov_b32_e32 v6, 0x7f
	v_cmp_lt_u32_e32 vcc, s6, v5
	s_nop 1
	v_cndmask_b32_e32 v4, v4, v6, vcc
; %bb.2094:
	s_or_b64 exec, exec, s[4:5]
	v_lshrrev_b32_e32 v3, 24, v3
	s_movk_i32 s4, 0x80
	v_and_or_b32 v3, v3, s4, v4
	global_store_byte v[0:1], v3, off
.LBB31_2095:
	s_mov_b64 s[4:5], 0
.LBB31_2096:
	s_andn2_b64 vcc, exec, s[4:5]
	s_mov_b64 s[4:5], 0
	s_cbranch_vccnz .LBB31_2103
; %bb.2097:
	s_cmp_gt_i32 s12, 14
	s_mov_b64 s[6:7], -1
	s_cbranch_scc0 .LBB31_2101
; %bb.2098:
	s_cmp_eq_u32 s12, 15
	s_mov_b64 s[0:1], -1
	s_cbranch_scc0 .LBB31_2100
; %bb.2099:
	v_cvt_f32_i32_e32 v3, v2
	s_movk_i32 s0, 0x7fff
	v_bfe_u32 v4, v3, 16, 1
	v_add3_u32 v3, v3, v4, s0
	global_store_short_d16_hi v[0:1], v3, off
	s_mov_b64 s[0:1], 0
.LBB31_2100:
	s_mov_b64 s[6:7], 0
.LBB31_2101:
	s_and_b64 vcc, exec, s[6:7]
	s_cbranch_vccz .LBB31_2103
; %bb.2102:
	s_cmp_lg_u32 s12, 11
	s_mov_b64 s[4:5], -1
	s_cselect_b64 s[0:1], -1, 0
.LBB31_2103:
	s_and_b64 vcc, exec, s[0:1]
	s_cbranch_vccnz .LBB31_2125
.LBB31_2104:
	s_mov_b64 s[0:1], 0
	s_branch .LBB31_1514
.LBB31_2105:
	s_mov_b64 s[0:1], 0
                                        ; implicit-def: $vgpr0_vgpr1
                                        ; implicit-def: $sgpr14
                                        ; implicit-def: $vgpr2
	s_branch .LBB31_1513
.LBB31_2106:
	s_mov_b64 s[4:5], 0
	s_mov_b64 s[0:1], -1
	s_branch .LBB31_1514
.LBB31_2107:
	s_trap 2
	s_or_b64 s[2:3], s[2:3], exec
	s_cbranch_execz .LBB31_1620
	s_branch .LBB31_1621
.LBB31_2108:
	s_andn2_saveexec_b64 s[12:13], s[12:13]
	s_cbranch_execz .LBB31_1700
.LBB31_2109:
	s_mov_b32 s17, 0x46000000
	v_add_f32_e64 v11, |v9|, s17
	v_and_b32_e32 v11, 0xff, v11
	v_cmp_ne_u32_e32 vcc, 0, v11
	s_andn2_b64 s[10:11], s[10:11], exec
	s_and_b64 s[18:19], vcc, exec
	s_or_b64 s[10:11], s[10:11], s[18:19]
	s_or_b64 exec, exec, s[12:13]
	v_mov_b32_e32 v12, 0
	s_and_saveexec_b64 s[12:13], s[10:11]
	s_cbranch_execnz .LBB31_1701
	s_branch .LBB31_1702
.LBB31_2110:
	s_trap 2
	s_or_b64 s[2:3], s[2:3], exec
	s_cbranch_execz .LBB31_1748
	s_branch .LBB31_1749
.LBB31_2111:
	s_andn2_saveexec_b64 s[10:11], s[10:11]
	s_cbranch_execz .LBB31_1713
.LBB31_2112:
	s_mov_b32 s12, 0x42800000
	v_add_f32_e64 v11, |v9|, s12
	v_and_b32_e32 v11, 0xff, v11
	v_cmp_ne_u32_e32 vcc, 0, v11
	s_andn2_b64 s[8:9], s[8:9], exec
	s_and_b64 s[12:13], vcc, exec
	s_or_b64 s[8:9], s[8:9], s[12:13]
	s_or_b64 exec, exec, s[10:11]
	v_mov_b32_e32 v12, 0
	s_and_saveexec_b64 s[10:11], s[8:9]
	s_cbranch_execnz .LBB31_1714
	s_branch .LBB31_1715
.LBB31_2113:
	s_andn2_saveexec_b64 s[12:13], s[12:13]
	s_cbranch_execz .LBB31_1819
.LBB31_2114:
	s_mov_b32 s16, 0x46000000
	v_add_f32_e64 v8, |v7|, s16
	v_and_b32_e32 v8, 0xff, v8
	v_cmp_ne_u32_e32 vcc, 0, v8
	s_andn2_b64 s[10:11], s[10:11], exec
	s_and_b64 s[16:17], vcc, exec
	s_or_b64 s[10:11], s[10:11], s[16:17]
	s_or_b64 exec, exec, s[12:13]
	v_mov_b32_e32 v9, 0
	s_and_saveexec_b64 s[12:13], s[10:11]
	s_cbranch_execnz .LBB31_1820
	s_branch .LBB31_1821
.LBB31_2115:
	s_trap 2
	s_or_b64 s[2:3], s[2:3], exec
	s_cbranch_execz .LBB31_1867
	s_branch .LBB31_1868
.LBB31_2116:
	s_andn2_saveexec_b64 s[10:11], s[10:11]
	s_cbranch_execz .LBB31_1832
.LBB31_2117:
	s_mov_b32 s12, 0x42800000
	v_add_f32_e64 v8, |v7|, s12
	v_and_b32_e32 v8, 0xff, v8
	v_cmp_ne_u32_e32 vcc, 0, v8
	s_andn2_b64 s[8:9], s[8:9], exec
	s_and_b64 s[12:13], vcc, exec
	s_or_b64 s[8:9], s[8:9], s[12:13]
	s_or_b64 exec, exec, s[10:11]
	v_mov_b32_e32 v9, 0
	s_and_saveexec_b64 s[10:11], s[8:9]
	s_cbranch_execnz .LBB31_1833
	s_branch .LBB31_1834
.LBB31_2118:
	s_andn2_saveexec_b64 s[12:13], s[12:13]
	s_cbranch_execz .LBB31_1938
.LBB31_2119:
	s_mov_b32 s16, 0x46000000
	v_add_f32_e64 v6, |v5|, s16
	v_and_b32_e32 v6, 0xff, v6
	v_cmp_ne_u32_e32 vcc, 0, v6
	s_andn2_b64 s[10:11], s[10:11], exec
	s_and_b64 s[16:17], vcc, exec
	s_or_b64 s[10:11], s[10:11], s[16:17]
	s_or_b64 exec, exec, s[12:13]
	v_mov_b32_e32 v7, 0
	s_and_saveexec_b64 s[12:13], s[10:11]
	s_cbranch_execnz .LBB31_1939
	s_branch .LBB31_1940
.LBB31_2120:
	s_trap 2
	s_or_b64 s[2:3], s[2:3], exec
	s_cbranch_execz .LBB31_1986
	s_branch .LBB31_1987
.LBB31_2121:
	s_andn2_saveexec_b64 s[10:11], s[10:11]
	s_cbranch_execz .LBB31_1951
.LBB31_2122:
	s_mov_b32 s12, 0x42800000
	v_add_f32_e64 v6, |v5|, s12
	v_and_b32_e32 v6, 0xff, v6
	v_cmp_ne_u32_e32 vcc, 0, v6
	s_andn2_b64 s[8:9], s[8:9], exec
	s_and_b64 s[12:13], vcc, exec
	s_or_b64 s[8:9], s[8:9], s[12:13]
	s_or_b64 exec, exec, s[10:11]
	v_mov_b32_e32 v7, 0
	s_and_saveexec_b64 s[10:11], s[8:9]
	s_cbranch_execnz .LBB31_1952
	s_branch .LBB31_1953
.LBB31_2123:
	s_andn2_saveexec_b64 s[10:11], s[10:11]
	s_cbranch_execz .LBB31_2058
.LBB31_2124:
	s_mov_b32 s13, 0x46000000
	v_add_f32_e64 v4, |v3|, s13
	v_and_b32_e32 v4, 0xff, v4
	v_cmp_ne_u32_e32 vcc, 0, v4
	s_andn2_b64 s[8:9], s[8:9], exec
	s_and_b64 s[16:17], vcc, exec
	s_or_b64 s[8:9], s[8:9], s[16:17]
	s_or_b64 exec, exec, s[10:11]
	v_mov_b32_e32 v5, 0
	s_and_saveexec_b64 s[10:11], s[8:9]
	s_cbranch_execnz .LBB31_2059
	s_branch .LBB31_2060
.LBB31_2125:
	s_mov_b64 s[4:5], 0
	s_or_b64 s[2:3], s[2:3], exec
	s_trap 2
	s_branch .LBB31_2104
.LBB31_2126:
	s_andn2_saveexec_b64 s[8:9], s[8:9]
	s_cbranch_execz .LBB31_2070
.LBB31_2127:
	s_mov_b32 s10, 0x42800000
	v_add_f32_e64 v4, |v3|, s10
	v_and_b32_e32 v4, 0xff, v4
	v_cmp_ne_u32_e32 vcc, 0, v4
	s_andn2_b64 s[6:7], s[6:7], exec
	s_and_b64 s[10:11], vcc, exec
	s_or_b64 s[6:7], s[6:7], s[10:11]
	s_or_b64 exec, exec, s[8:9]
	v_mov_b32_e32 v5, 0
	s_and_saveexec_b64 s[8:9], s[6:7]
	s_cbranch_execnz .LBB31_2071
	s_branch .LBB31_2072
	.section	.rodata,"a",@progbits
	.p2align	6, 0x0
	.amdhsa_kernel _ZN2at6native32elementwise_kernel_manual_unrollILi128ELi4EZNS0_15gpu_kernel_implIZZZNS0_23bitwise_not_kernel_cudaERNS_18TensorIteratorBaseEENKUlvE_clEvENKUlvE1_clEvEUliE_EEvS4_RKT_EUlibE0_EEviT1_
		.amdhsa_group_segment_fixed_size 0
		.amdhsa_private_segment_fixed_size 0
		.amdhsa_kernarg_size 360
		.amdhsa_user_sgpr_count 2
		.amdhsa_user_sgpr_dispatch_ptr 0
		.amdhsa_user_sgpr_queue_ptr 0
		.amdhsa_user_sgpr_kernarg_segment_ptr 1
		.amdhsa_user_sgpr_dispatch_id 0
		.amdhsa_user_sgpr_kernarg_preload_length 0
		.amdhsa_user_sgpr_kernarg_preload_offset 0
		.amdhsa_user_sgpr_private_segment_size 0
		.amdhsa_uses_dynamic_stack 0
		.amdhsa_enable_private_segment 0
		.amdhsa_system_sgpr_workgroup_id_x 1
		.amdhsa_system_sgpr_workgroup_id_y 0
		.amdhsa_system_sgpr_workgroup_id_z 0
		.amdhsa_system_sgpr_workgroup_info 0
		.amdhsa_system_vgpr_workitem_id 0
		.amdhsa_next_free_vgpr 18
		.amdhsa_next_free_sgpr 78
		.amdhsa_accum_offset 20
		.amdhsa_reserve_vcc 1
		.amdhsa_float_round_mode_32 0
		.amdhsa_float_round_mode_16_64 0
		.amdhsa_float_denorm_mode_32 3
		.amdhsa_float_denorm_mode_16_64 3
		.amdhsa_dx10_clamp 1
		.amdhsa_ieee_mode 1
		.amdhsa_fp16_overflow 0
		.amdhsa_tg_split 0
		.amdhsa_exception_fp_ieee_invalid_op 0
		.amdhsa_exception_fp_denorm_src 0
		.amdhsa_exception_fp_ieee_div_zero 0
		.amdhsa_exception_fp_ieee_overflow 0
		.amdhsa_exception_fp_ieee_underflow 0
		.amdhsa_exception_fp_ieee_inexact 0
		.amdhsa_exception_int_div_zero 0
	.end_amdhsa_kernel
	.section	.text._ZN2at6native32elementwise_kernel_manual_unrollILi128ELi4EZNS0_15gpu_kernel_implIZZZNS0_23bitwise_not_kernel_cudaERNS_18TensorIteratorBaseEENKUlvE_clEvENKUlvE1_clEvEUliE_EEvS4_RKT_EUlibE0_EEviT1_,"axG",@progbits,_ZN2at6native32elementwise_kernel_manual_unrollILi128ELi4EZNS0_15gpu_kernel_implIZZZNS0_23bitwise_not_kernel_cudaERNS_18TensorIteratorBaseEENKUlvE_clEvENKUlvE1_clEvEUliE_EEvS4_RKT_EUlibE0_EEviT1_,comdat
.Lfunc_end31:
	.size	_ZN2at6native32elementwise_kernel_manual_unrollILi128ELi4EZNS0_15gpu_kernel_implIZZZNS0_23bitwise_not_kernel_cudaERNS_18TensorIteratorBaseEENKUlvE_clEvENKUlvE1_clEvEUliE_EEvS4_RKT_EUlibE0_EEviT1_, .Lfunc_end31-_ZN2at6native32elementwise_kernel_manual_unrollILi128ELi4EZNS0_15gpu_kernel_implIZZZNS0_23bitwise_not_kernel_cudaERNS_18TensorIteratorBaseEENKUlvE_clEvENKUlvE1_clEvEUliE_EEvS4_RKT_EUlibE0_EEviT1_
                                        ; -- End function
	.set _ZN2at6native32elementwise_kernel_manual_unrollILi128ELi4EZNS0_15gpu_kernel_implIZZZNS0_23bitwise_not_kernel_cudaERNS_18TensorIteratorBaseEENKUlvE_clEvENKUlvE1_clEvEUliE_EEvS4_RKT_EUlibE0_EEviT1_.num_vgpr, 18
	.set _ZN2at6native32elementwise_kernel_manual_unrollILi128ELi4EZNS0_15gpu_kernel_implIZZZNS0_23bitwise_not_kernel_cudaERNS_18TensorIteratorBaseEENKUlvE_clEvENKUlvE1_clEvEUliE_EEvS4_RKT_EUlibE0_EEviT1_.num_agpr, 0
	.set _ZN2at6native32elementwise_kernel_manual_unrollILi128ELi4EZNS0_15gpu_kernel_implIZZZNS0_23bitwise_not_kernel_cudaERNS_18TensorIteratorBaseEENKUlvE_clEvENKUlvE1_clEvEUliE_EEvS4_RKT_EUlibE0_EEviT1_.numbered_sgpr, 78
	.set _ZN2at6native32elementwise_kernel_manual_unrollILi128ELi4EZNS0_15gpu_kernel_implIZZZNS0_23bitwise_not_kernel_cudaERNS_18TensorIteratorBaseEENKUlvE_clEvENKUlvE1_clEvEUliE_EEvS4_RKT_EUlibE0_EEviT1_.num_named_barrier, 0
	.set _ZN2at6native32elementwise_kernel_manual_unrollILi128ELi4EZNS0_15gpu_kernel_implIZZZNS0_23bitwise_not_kernel_cudaERNS_18TensorIteratorBaseEENKUlvE_clEvENKUlvE1_clEvEUliE_EEvS4_RKT_EUlibE0_EEviT1_.private_seg_size, 0
	.set _ZN2at6native32elementwise_kernel_manual_unrollILi128ELi4EZNS0_15gpu_kernel_implIZZZNS0_23bitwise_not_kernel_cudaERNS_18TensorIteratorBaseEENKUlvE_clEvENKUlvE1_clEvEUliE_EEvS4_RKT_EUlibE0_EEviT1_.uses_vcc, 1
	.set _ZN2at6native32elementwise_kernel_manual_unrollILi128ELi4EZNS0_15gpu_kernel_implIZZZNS0_23bitwise_not_kernel_cudaERNS_18TensorIteratorBaseEENKUlvE_clEvENKUlvE1_clEvEUliE_EEvS4_RKT_EUlibE0_EEviT1_.uses_flat_scratch, 0
	.set _ZN2at6native32elementwise_kernel_manual_unrollILi128ELi4EZNS0_15gpu_kernel_implIZZZNS0_23bitwise_not_kernel_cudaERNS_18TensorIteratorBaseEENKUlvE_clEvENKUlvE1_clEvEUliE_EEvS4_RKT_EUlibE0_EEviT1_.has_dyn_sized_stack, 0
	.set _ZN2at6native32elementwise_kernel_manual_unrollILi128ELi4EZNS0_15gpu_kernel_implIZZZNS0_23bitwise_not_kernel_cudaERNS_18TensorIteratorBaseEENKUlvE_clEvENKUlvE1_clEvEUliE_EEvS4_RKT_EUlibE0_EEviT1_.has_recursion, 0
	.set _ZN2at6native32elementwise_kernel_manual_unrollILi128ELi4EZNS0_15gpu_kernel_implIZZZNS0_23bitwise_not_kernel_cudaERNS_18TensorIteratorBaseEENKUlvE_clEvENKUlvE1_clEvEUliE_EEvS4_RKT_EUlibE0_EEviT1_.has_indirect_call, 0
	.section	.AMDGPU.csdata,"",@progbits
; Kernel info:
; codeLenInByte = 35084
; TotalNumSgprs: 84
; NumVgprs: 18
; NumAgprs: 0
; TotalNumVgprs: 18
; ScratchSize: 0
; MemoryBound: 1
; FloatMode: 240
; IeeeMode: 1
; LDSByteSize: 0 bytes/workgroup (compile time only)
; SGPRBlocks: 10
; VGPRBlocks: 2
; NumSGPRsForWavesPerEU: 84
; NumVGPRsForWavesPerEU: 18
; AccumOffset: 20
; Occupancy: 8
; WaveLimiterHint : 1
; COMPUTE_PGM_RSRC2:SCRATCH_EN: 0
; COMPUTE_PGM_RSRC2:USER_SGPR: 2
; COMPUTE_PGM_RSRC2:TRAP_HANDLER: 0
; COMPUTE_PGM_RSRC2:TGID_X_EN: 1
; COMPUTE_PGM_RSRC2:TGID_Y_EN: 0
; COMPUTE_PGM_RSRC2:TGID_Z_EN: 0
; COMPUTE_PGM_RSRC2:TIDIG_COMP_CNT: 0
; COMPUTE_PGM_RSRC3_GFX90A:ACCUM_OFFSET: 4
; COMPUTE_PGM_RSRC3_GFX90A:TG_SPLIT: 0
	.section	.text._ZN2at6native29vectorized_elementwise_kernelILi16EZZZNS0_23bitwise_not_kernel_cudaERNS_18TensorIteratorBaseEENKUlvE_clEvENKUlvE2_clEvEUllE_St5arrayIPcLm2EEEEviT0_T1_,"axG",@progbits,_ZN2at6native29vectorized_elementwise_kernelILi16EZZZNS0_23bitwise_not_kernel_cudaERNS_18TensorIteratorBaseEENKUlvE_clEvENKUlvE2_clEvEUllE_St5arrayIPcLm2EEEEviT0_T1_,comdat
	.globl	_ZN2at6native29vectorized_elementwise_kernelILi16EZZZNS0_23bitwise_not_kernel_cudaERNS_18TensorIteratorBaseEENKUlvE_clEvENKUlvE2_clEvEUllE_St5arrayIPcLm2EEEEviT0_T1_ ; -- Begin function _ZN2at6native29vectorized_elementwise_kernelILi16EZZZNS0_23bitwise_not_kernel_cudaERNS_18TensorIteratorBaseEENKUlvE_clEvENKUlvE2_clEvEUllE_St5arrayIPcLm2EEEEviT0_T1_
	.p2align	8
	.type	_ZN2at6native29vectorized_elementwise_kernelILi16EZZZNS0_23bitwise_not_kernel_cudaERNS_18TensorIteratorBaseEENKUlvE_clEvENKUlvE2_clEvEUllE_St5arrayIPcLm2EEEEviT0_T1_,@function
_ZN2at6native29vectorized_elementwise_kernelILi16EZZZNS0_23bitwise_not_kernel_cudaERNS_18TensorIteratorBaseEENKUlvE_clEvENKUlvE2_clEvEUllE_St5arrayIPcLm2EEEEviT0_T1_: ; @_ZN2at6native29vectorized_elementwise_kernelILi16EZZZNS0_23bitwise_not_kernel_cudaERNS_18TensorIteratorBaseEENKUlvE_clEvENKUlvE2_clEvEUllE_St5arrayIPcLm2EEEEviT0_T1_
; %bb.0:
	s_load_dword s3, s[0:1], 0x0
	s_load_dwordx4 s[4:7], s[0:1], 0x8
	s_lshl_b32 s2, s2, 10
	s_mov_b64 s[0:1], -1
	s_waitcnt lgkmcnt(0)
	s_sub_i32 s10, s3, s2
	s_cmpk_gt_i32 s10, 0x3ff
	s_cbranch_scc0 .LBB32_2
; %bb.1:
	s_ashr_i32 s3, s2, 31
	s_lshl_b64 s[0:1], s[2:3], 3
	s_add_u32 s8, s6, s0
	s_addc_u32 s9, s7, s1
	v_lshlrev_b32_e32 v1, 5, v0
	global_load_dwordx4 v[2:5], v1, s[8:9]
	global_load_dwordx4 v[6:9], v1, s[8:9] offset:16
	s_add_u32 s0, s4, s0
	s_addc_u32 s1, s5, s1
	s_waitcnt vmcnt(1)
	v_not_b32_e32 v3, v3
	v_not_b32_e32 v2, v2
	;; [unrolled: 1-line block ×4, first 2 shown]
	s_waitcnt vmcnt(0)
	v_not_b32_e32 v7, v7
	v_not_b32_e32 v6, v6
	;; [unrolled: 1-line block ×4, first 2 shown]
	global_store_dwordx4 v1, v[2:5], s[0:1]
	global_store_dwordx4 v1, v[6:9], s[0:1] offset:16
	s_mov_b64 s[0:1], 0
.LBB32_2:
	s_andn2_b64 vcc, exec, s[0:1]
	s_cbranch_vccnz .LBB32_16
; %bb.3:
	v_cmp_gt_i32_e32 vcc, s10, v0
	v_mov_b64_e32 v[4:5], -1
	v_or_b32_e32 v2, s2, v0
	v_mov_b64_e32 v[6:7], -1
	v_mov_b32_e32 v1, v0
	s_and_saveexec_b64 s[0:1], vcc
	s_cbranch_execz .LBB32_5
; %bb.4:
	v_mov_b32_e32 v3, 0
	v_lshl_add_u64 v[6:7], v[2:3], 3, s[6:7]
	global_load_dwordx2 v[6:7], v[6:7], off
	v_or_b32_e32 v1, 0x100, v0
	s_waitcnt vmcnt(0)
	v_not_b32_e32 v7, v7
	v_not_b32_e32 v6, v6
.LBB32_5:
	s_or_b64 exec, exec, s[0:1]
	v_cmp_gt_i32_e64 s[0:1], s10, v1
	s_and_saveexec_b64 s[8:9], s[0:1]
	s_cbranch_execz .LBB32_7
; %bb.6:
	v_add_u32_e32 v4, s2, v1
	v_mov_b32_e32 v5, 0
	v_lshl_add_u64 v[4:5], v[4:5], 3, s[6:7]
	global_load_dwordx2 v[4:5], v[4:5], off
	v_add_u32_e32 v1, 0x100, v1
	s_waitcnt vmcnt(0)
	v_not_b32_e32 v5, v5
	v_not_b32_e32 v4, v4
.LBB32_7:
	s_or_b64 exec, exec, s[8:9]
	v_cmp_gt_i32_e64 s[0:1], s10, v1
	v_mov_b64_e32 v[8:9], -1
	v_mov_b64_e32 v[10:11], -1
	s_and_saveexec_b64 s[8:9], s[0:1]
	s_cbranch_execz .LBB32_9
; %bb.8:
	v_add_u32_e32 v10, s2, v1
	v_mov_b32_e32 v11, 0
	v_lshl_add_u64 v[10:11], v[10:11], 3, s[6:7]
	global_load_dwordx2 v[10:11], v[10:11], off
	v_add_u32_e32 v1, 0x100, v1
	s_waitcnt vmcnt(0)
	v_not_b32_e32 v11, v11
	v_not_b32_e32 v10, v10
.LBB32_9:
	s_or_b64 exec, exec, s[8:9]
	v_cmp_gt_i32_e64 s[0:1], s10, v1
	s_and_saveexec_b64 s[8:9], s[0:1]
	s_cbranch_execz .LBB32_11
; %bb.10:
	v_add_u32_e32 v8, s2, v1
	v_mov_b32_e32 v9, 0
	v_lshl_add_u64 v[8:9], v[8:9], 3, s[6:7]
	global_load_dwordx2 v[8:9], v[8:9], off
	s_waitcnt vmcnt(0)
	v_not_b32_e32 v9, v9
	v_not_b32_e32 v8, v8
.LBB32_11:
	s_or_b64 exec, exec, s[8:9]
	v_or_b32_e32 v1, 0x100, v0
	v_cmp_gt_i32_e64 s[0:1], s10, v1
	v_or_b32_e32 v3, 0x200, v0
	v_cndmask_b32_e32 v15, 0, v7, vcc
	v_cndmask_b32_e64 v13, 0, v5, s[0:1]
	v_cndmask_b32_e64 v12, 0, v4, s[0:1]
	v_cmp_gt_i32_e64 s[0:1], s10, v3
	v_or_b32_e32 v3, 0x300, v0
	v_cndmask_b32_e32 v14, 0, v6, vcc
	v_cndmask_b32_e64 v7, 0, v11, s[0:1]
	v_cndmask_b32_e64 v6, 0, v10, s[0:1]
	v_cmp_gt_i32_e64 s[0:1], s10, v3
	s_nop 1
	v_cndmask_b32_e64 v5, 0, v9, s[0:1]
	v_cndmask_b32_e64 v4, 0, v8, s[0:1]
	s_and_saveexec_b64 s[0:1], vcc
	s_cbranch_execnz .LBB32_17
; %bb.12:
	s_or_b64 exec, exec, s[0:1]
	v_cmp_gt_i32_e32 vcc, s10, v0
	s_and_saveexec_b64 s[0:1], vcc
	s_cbranch_execnz .LBB32_18
.LBB32_13:
	s_or_b64 exec, exec, s[0:1]
	v_cmp_gt_i32_e32 vcc, s10, v0
	s_and_saveexec_b64 s[0:1], vcc
	s_cbranch_execnz .LBB32_19
.LBB32_14:
	s_or_b64 exec, exec, s[0:1]
	v_cmp_gt_i32_e32 vcc, s10, v0
	s_and_saveexec_b64 s[0:1], vcc
	s_cbranch_execz .LBB32_16
.LBB32_15:
	v_add_u32_e32 v0, s2, v0
	v_mov_b32_e32 v1, 0
	v_lshl_add_u64 v[0:1], v[0:1], 3, s[4:5]
	global_store_dwordx2 v[0:1], v[4:5], off
.LBB32_16:
	s_endpgm
.LBB32_17:
	v_mov_b32_e32 v3, 0
	v_lshl_add_u64 v[2:3], v[2:3], 3, s[4:5]
	v_mov_b32_e32 v0, v1
	global_store_dwordx2 v[2:3], v[14:15], off
	s_or_b64 exec, exec, s[0:1]
	v_cmp_gt_i32_e32 vcc, s10, v0
	s_and_saveexec_b64 s[0:1], vcc
	s_cbranch_execz .LBB32_13
.LBB32_18:
	v_add_u32_e32 v2, s2, v0
	v_mov_b32_e32 v3, 0
	v_lshl_add_u64 v[2:3], v[2:3], 3, s[4:5]
	v_add_u32_e32 v0, 0x100, v0
	global_store_dwordx2 v[2:3], v[12:13], off
	s_or_b64 exec, exec, s[0:1]
	v_cmp_gt_i32_e32 vcc, s10, v0
	s_and_saveexec_b64 s[0:1], vcc
	s_cbranch_execz .LBB32_14
.LBB32_19:
	v_add_u32_e32 v2, s2, v0
	v_mov_b32_e32 v3, 0
	v_lshl_add_u64 v[2:3], v[2:3], 3, s[4:5]
	v_add_u32_e32 v0, 0x100, v0
	global_store_dwordx2 v[2:3], v[6:7], off
	s_or_b64 exec, exec, s[0:1]
	v_cmp_gt_i32_e32 vcc, s10, v0
	s_and_saveexec_b64 s[0:1], vcc
	s_cbranch_execnz .LBB32_15
	s_branch .LBB32_16
	.section	.rodata,"a",@progbits
	.p2align	6, 0x0
	.amdhsa_kernel _ZN2at6native29vectorized_elementwise_kernelILi16EZZZNS0_23bitwise_not_kernel_cudaERNS_18TensorIteratorBaseEENKUlvE_clEvENKUlvE2_clEvEUllE_St5arrayIPcLm2EEEEviT0_T1_
		.amdhsa_group_segment_fixed_size 0
		.amdhsa_private_segment_fixed_size 0
		.amdhsa_kernarg_size 24
		.amdhsa_user_sgpr_count 2
		.amdhsa_user_sgpr_dispatch_ptr 0
		.amdhsa_user_sgpr_queue_ptr 0
		.amdhsa_user_sgpr_kernarg_segment_ptr 1
		.amdhsa_user_sgpr_dispatch_id 0
		.amdhsa_user_sgpr_kernarg_preload_length 0
		.amdhsa_user_sgpr_kernarg_preload_offset 0
		.amdhsa_user_sgpr_private_segment_size 0
		.amdhsa_uses_dynamic_stack 0
		.amdhsa_enable_private_segment 0
		.amdhsa_system_sgpr_workgroup_id_x 1
		.amdhsa_system_sgpr_workgroup_id_y 0
		.amdhsa_system_sgpr_workgroup_id_z 0
		.amdhsa_system_sgpr_workgroup_info 0
		.amdhsa_system_vgpr_workitem_id 0
		.amdhsa_next_free_vgpr 16
		.amdhsa_next_free_sgpr 11
		.amdhsa_accum_offset 16
		.amdhsa_reserve_vcc 1
		.amdhsa_float_round_mode_32 0
		.amdhsa_float_round_mode_16_64 0
		.amdhsa_float_denorm_mode_32 3
		.amdhsa_float_denorm_mode_16_64 3
		.amdhsa_dx10_clamp 1
		.amdhsa_ieee_mode 1
		.amdhsa_fp16_overflow 0
		.amdhsa_tg_split 0
		.amdhsa_exception_fp_ieee_invalid_op 0
		.amdhsa_exception_fp_denorm_src 0
		.amdhsa_exception_fp_ieee_div_zero 0
		.amdhsa_exception_fp_ieee_overflow 0
		.amdhsa_exception_fp_ieee_underflow 0
		.amdhsa_exception_fp_ieee_inexact 0
		.amdhsa_exception_int_div_zero 0
	.end_amdhsa_kernel
	.section	.text._ZN2at6native29vectorized_elementwise_kernelILi16EZZZNS0_23bitwise_not_kernel_cudaERNS_18TensorIteratorBaseEENKUlvE_clEvENKUlvE2_clEvEUllE_St5arrayIPcLm2EEEEviT0_T1_,"axG",@progbits,_ZN2at6native29vectorized_elementwise_kernelILi16EZZZNS0_23bitwise_not_kernel_cudaERNS_18TensorIteratorBaseEENKUlvE_clEvENKUlvE2_clEvEUllE_St5arrayIPcLm2EEEEviT0_T1_,comdat
.Lfunc_end32:
	.size	_ZN2at6native29vectorized_elementwise_kernelILi16EZZZNS0_23bitwise_not_kernel_cudaERNS_18TensorIteratorBaseEENKUlvE_clEvENKUlvE2_clEvEUllE_St5arrayIPcLm2EEEEviT0_T1_, .Lfunc_end32-_ZN2at6native29vectorized_elementwise_kernelILi16EZZZNS0_23bitwise_not_kernel_cudaERNS_18TensorIteratorBaseEENKUlvE_clEvENKUlvE2_clEvEUllE_St5arrayIPcLm2EEEEviT0_T1_
                                        ; -- End function
	.set _ZN2at6native29vectorized_elementwise_kernelILi16EZZZNS0_23bitwise_not_kernel_cudaERNS_18TensorIteratorBaseEENKUlvE_clEvENKUlvE2_clEvEUllE_St5arrayIPcLm2EEEEviT0_T1_.num_vgpr, 16
	.set _ZN2at6native29vectorized_elementwise_kernelILi16EZZZNS0_23bitwise_not_kernel_cudaERNS_18TensorIteratorBaseEENKUlvE_clEvENKUlvE2_clEvEUllE_St5arrayIPcLm2EEEEviT0_T1_.num_agpr, 0
	.set _ZN2at6native29vectorized_elementwise_kernelILi16EZZZNS0_23bitwise_not_kernel_cudaERNS_18TensorIteratorBaseEENKUlvE_clEvENKUlvE2_clEvEUllE_St5arrayIPcLm2EEEEviT0_T1_.numbered_sgpr, 11
	.set _ZN2at6native29vectorized_elementwise_kernelILi16EZZZNS0_23bitwise_not_kernel_cudaERNS_18TensorIteratorBaseEENKUlvE_clEvENKUlvE2_clEvEUllE_St5arrayIPcLm2EEEEviT0_T1_.num_named_barrier, 0
	.set _ZN2at6native29vectorized_elementwise_kernelILi16EZZZNS0_23bitwise_not_kernel_cudaERNS_18TensorIteratorBaseEENKUlvE_clEvENKUlvE2_clEvEUllE_St5arrayIPcLm2EEEEviT0_T1_.private_seg_size, 0
	.set _ZN2at6native29vectorized_elementwise_kernelILi16EZZZNS0_23bitwise_not_kernel_cudaERNS_18TensorIteratorBaseEENKUlvE_clEvENKUlvE2_clEvEUllE_St5arrayIPcLm2EEEEviT0_T1_.uses_vcc, 1
	.set _ZN2at6native29vectorized_elementwise_kernelILi16EZZZNS0_23bitwise_not_kernel_cudaERNS_18TensorIteratorBaseEENKUlvE_clEvENKUlvE2_clEvEUllE_St5arrayIPcLm2EEEEviT0_T1_.uses_flat_scratch, 0
	.set _ZN2at6native29vectorized_elementwise_kernelILi16EZZZNS0_23bitwise_not_kernel_cudaERNS_18TensorIteratorBaseEENKUlvE_clEvENKUlvE2_clEvEUllE_St5arrayIPcLm2EEEEviT0_T1_.has_dyn_sized_stack, 0
	.set _ZN2at6native29vectorized_elementwise_kernelILi16EZZZNS0_23bitwise_not_kernel_cudaERNS_18TensorIteratorBaseEENKUlvE_clEvENKUlvE2_clEvEUllE_St5arrayIPcLm2EEEEviT0_T1_.has_recursion, 0
	.set _ZN2at6native29vectorized_elementwise_kernelILi16EZZZNS0_23bitwise_not_kernel_cudaERNS_18TensorIteratorBaseEENKUlvE_clEvENKUlvE2_clEvEUllE_St5arrayIPcLm2EEEEviT0_T1_.has_indirect_call, 0
	.section	.AMDGPU.csdata,"",@progbits
; Kernel info:
; codeLenInByte = 748
; TotalNumSgprs: 17
; NumVgprs: 16
; NumAgprs: 0
; TotalNumVgprs: 16
; ScratchSize: 0
; MemoryBound: 0
; FloatMode: 240
; IeeeMode: 1
; LDSByteSize: 0 bytes/workgroup (compile time only)
; SGPRBlocks: 2
; VGPRBlocks: 1
; NumSGPRsForWavesPerEU: 17
; NumVGPRsForWavesPerEU: 16
; AccumOffset: 16
; Occupancy: 8
; WaveLimiterHint : 0
; COMPUTE_PGM_RSRC2:SCRATCH_EN: 0
; COMPUTE_PGM_RSRC2:USER_SGPR: 2
; COMPUTE_PGM_RSRC2:TRAP_HANDLER: 0
; COMPUTE_PGM_RSRC2:TGID_X_EN: 1
; COMPUTE_PGM_RSRC2:TGID_Y_EN: 0
; COMPUTE_PGM_RSRC2:TGID_Z_EN: 0
; COMPUTE_PGM_RSRC2:TIDIG_COMP_CNT: 0
; COMPUTE_PGM_RSRC3_GFX90A:ACCUM_OFFSET: 3
; COMPUTE_PGM_RSRC3_GFX90A:TG_SPLIT: 0
	.section	.text._ZN2at6native29vectorized_elementwise_kernelILi8EZZZNS0_23bitwise_not_kernel_cudaERNS_18TensorIteratorBaseEENKUlvE_clEvENKUlvE2_clEvEUllE_St5arrayIPcLm2EEEEviT0_T1_,"axG",@progbits,_ZN2at6native29vectorized_elementwise_kernelILi8EZZZNS0_23bitwise_not_kernel_cudaERNS_18TensorIteratorBaseEENKUlvE_clEvENKUlvE2_clEvEUllE_St5arrayIPcLm2EEEEviT0_T1_,comdat
	.globl	_ZN2at6native29vectorized_elementwise_kernelILi8EZZZNS0_23bitwise_not_kernel_cudaERNS_18TensorIteratorBaseEENKUlvE_clEvENKUlvE2_clEvEUllE_St5arrayIPcLm2EEEEviT0_T1_ ; -- Begin function _ZN2at6native29vectorized_elementwise_kernelILi8EZZZNS0_23bitwise_not_kernel_cudaERNS_18TensorIteratorBaseEENKUlvE_clEvENKUlvE2_clEvEUllE_St5arrayIPcLm2EEEEviT0_T1_
	.p2align	8
	.type	_ZN2at6native29vectorized_elementwise_kernelILi8EZZZNS0_23bitwise_not_kernel_cudaERNS_18TensorIteratorBaseEENKUlvE_clEvENKUlvE2_clEvEUllE_St5arrayIPcLm2EEEEviT0_T1_,@function
_ZN2at6native29vectorized_elementwise_kernelILi8EZZZNS0_23bitwise_not_kernel_cudaERNS_18TensorIteratorBaseEENKUlvE_clEvENKUlvE2_clEvEUllE_St5arrayIPcLm2EEEEviT0_T1_: ; @_ZN2at6native29vectorized_elementwise_kernelILi8EZZZNS0_23bitwise_not_kernel_cudaERNS_18TensorIteratorBaseEENKUlvE_clEvENKUlvE2_clEvEUllE_St5arrayIPcLm2EEEEviT0_T1_
; %bb.0:
	s_load_dword s3, s[0:1], 0x0
	s_load_dwordx4 s[4:7], s[0:1], 0x8
	s_lshl_b32 s2, s2, 10
	s_mov_b64 s[0:1], -1
	s_waitcnt lgkmcnt(0)
	s_sub_i32 s10, s3, s2
	s_cmpk_gt_i32 s10, 0x3ff
	s_cbranch_scc0 .LBB33_2
; %bb.1:
	s_ashr_i32 s3, s2, 31
	s_lshl_b64 s[0:1], s[2:3], 3
	s_add_u32 s8, s6, s0
	s_addc_u32 s9, s7, s1
	v_lshlrev_b32_e32 v1, 5, v0
	global_load_dwordx4 v[2:5], v1, s[8:9]
	global_load_dwordx4 v[6:9], v1, s[8:9] offset:16
	s_add_u32 s0, s4, s0
	s_addc_u32 s1, s5, s1
	s_waitcnt vmcnt(1)
	v_not_b32_e32 v3, v3
	v_not_b32_e32 v2, v2
	;; [unrolled: 1-line block ×4, first 2 shown]
	s_waitcnt vmcnt(0)
	v_not_b32_e32 v7, v7
	v_not_b32_e32 v6, v6
	;; [unrolled: 1-line block ×4, first 2 shown]
	global_store_dwordx4 v1, v[2:5], s[0:1]
	global_store_dwordx4 v1, v[6:9], s[0:1] offset:16
	s_mov_b64 s[0:1], 0
.LBB33_2:
	s_andn2_b64 vcc, exec, s[0:1]
	s_cbranch_vccnz .LBB33_16
; %bb.3:
	v_cmp_gt_i32_e32 vcc, s10, v0
	v_mov_b64_e32 v[4:5], -1
	v_or_b32_e32 v2, s2, v0
	v_mov_b64_e32 v[6:7], -1
	v_mov_b32_e32 v1, v0
	s_and_saveexec_b64 s[0:1], vcc
	s_cbranch_execz .LBB33_5
; %bb.4:
	v_mov_b32_e32 v3, 0
	v_lshl_add_u64 v[6:7], v[2:3], 3, s[6:7]
	global_load_dwordx2 v[6:7], v[6:7], off
	v_or_b32_e32 v1, 0x100, v0
	s_waitcnt vmcnt(0)
	v_not_b32_e32 v7, v7
	v_not_b32_e32 v6, v6
.LBB33_5:
	s_or_b64 exec, exec, s[0:1]
	v_cmp_gt_i32_e64 s[0:1], s10, v1
	s_and_saveexec_b64 s[8:9], s[0:1]
	s_cbranch_execz .LBB33_7
; %bb.6:
	v_add_u32_e32 v4, s2, v1
	v_mov_b32_e32 v5, 0
	v_lshl_add_u64 v[4:5], v[4:5], 3, s[6:7]
	global_load_dwordx2 v[4:5], v[4:5], off
	v_add_u32_e32 v1, 0x100, v1
	s_waitcnt vmcnt(0)
	v_not_b32_e32 v5, v5
	v_not_b32_e32 v4, v4
.LBB33_7:
	s_or_b64 exec, exec, s[8:9]
	v_cmp_gt_i32_e64 s[0:1], s10, v1
	v_mov_b64_e32 v[8:9], -1
	v_mov_b64_e32 v[10:11], -1
	s_and_saveexec_b64 s[8:9], s[0:1]
	s_cbranch_execz .LBB33_9
; %bb.8:
	v_add_u32_e32 v10, s2, v1
	v_mov_b32_e32 v11, 0
	v_lshl_add_u64 v[10:11], v[10:11], 3, s[6:7]
	global_load_dwordx2 v[10:11], v[10:11], off
	v_add_u32_e32 v1, 0x100, v1
	s_waitcnt vmcnt(0)
	v_not_b32_e32 v11, v11
	v_not_b32_e32 v10, v10
.LBB33_9:
	s_or_b64 exec, exec, s[8:9]
	v_cmp_gt_i32_e64 s[0:1], s10, v1
	s_and_saveexec_b64 s[8:9], s[0:1]
	s_cbranch_execz .LBB33_11
; %bb.10:
	v_add_u32_e32 v8, s2, v1
	v_mov_b32_e32 v9, 0
	v_lshl_add_u64 v[8:9], v[8:9], 3, s[6:7]
	global_load_dwordx2 v[8:9], v[8:9], off
	s_waitcnt vmcnt(0)
	v_not_b32_e32 v9, v9
	v_not_b32_e32 v8, v8
.LBB33_11:
	s_or_b64 exec, exec, s[8:9]
	v_or_b32_e32 v1, 0x100, v0
	v_cmp_gt_i32_e64 s[0:1], s10, v1
	v_or_b32_e32 v3, 0x200, v0
	v_cndmask_b32_e32 v15, 0, v7, vcc
	v_cndmask_b32_e64 v13, 0, v5, s[0:1]
	v_cndmask_b32_e64 v12, 0, v4, s[0:1]
	v_cmp_gt_i32_e64 s[0:1], s10, v3
	v_or_b32_e32 v3, 0x300, v0
	v_cndmask_b32_e32 v14, 0, v6, vcc
	v_cndmask_b32_e64 v7, 0, v11, s[0:1]
	v_cndmask_b32_e64 v6, 0, v10, s[0:1]
	v_cmp_gt_i32_e64 s[0:1], s10, v3
	s_nop 1
	v_cndmask_b32_e64 v5, 0, v9, s[0:1]
	v_cndmask_b32_e64 v4, 0, v8, s[0:1]
	s_and_saveexec_b64 s[0:1], vcc
	s_cbranch_execnz .LBB33_17
; %bb.12:
	s_or_b64 exec, exec, s[0:1]
	v_cmp_gt_i32_e32 vcc, s10, v0
	s_and_saveexec_b64 s[0:1], vcc
	s_cbranch_execnz .LBB33_18
.LBB33_13:
	s_or_b64 exec, exec, s[0:1]
	v_cmp_gt_i32_e32 vcc, s10, v0
	s_and_saveexec_b64 s[0:1], vcc
	s_cbranch_execnz .LBB33_19
.LBB33_14:
	s_or_b64 exec, exec, s[0:1]
	v_cmp_gt_i32_e32 vcc, s10, v0
	s_and_saveexec_b64 s[0:1], vcc
	s_cbranch_execz .LBB33_16
.LBB33_15:
	v_add_u32_e32 v0, s2, v0
	v_mov_b32_e32 v1, 0
	v_lshl_add_u64 v[0:1], v[0:1], 3, s[4:5]
	global_store_dwordx2 v[0:1], v[4:5], off
.LBB33_16:
	s_endpgm
.LBB33_17:
	v_mov_b32_e32 v3, 0
	v_lshl_add_u64 v[2:3], v[2:3], 3, s[4:5]
	v_mov_b32_e32 v0, v1
	global_store_dwordx2 v[2:3], v[14:15], off
	s_or_b64 exec, exec, s[0:1]
	v_cmp_gt_i32_e32 vcc, s10, v0
	s_and_saveexec_b64 s[0:1], vcc
	s_cbranch_execz .LBB33_13
.LBB33_18:
	v_add_u32_e32 v2, s2, v0
	v_mov_b32_e32 v3, 0
	v_lshl_add_u64 v[2:3], v[2:3], 3, s[4:5]
	v_add_u32_e32 v0, 0x100, v0
	global_store_dwordx2 v[2:3], v[12:13], off
	s_or_b64 exec, exec, s[0:1]
	v_cmp_gt_i32_e32 vcc, s10, v0
	s_and_saveexec_b64 s[0:1], vcc
	s_cbranch_execz .LBB33_14
.LBB33_19:
	v_add_u32_e32 v2, s2, v0
	v_mov_b32_e32 v3, 0
	v_lshl_add_u64 v[2:3], v[2:3], 3, s[4:5]
	v_add_u32_e32 v0, 0x100, v0
	global_store_dwordx2 v[2:3], v[6:7], off
	s_or_b64 exec, exec, s[0:1]
	v_cmp_gt_i32_e32 vcc, s10, v0
	s_and_saveexec_b64 s[0:1], vcc
	s_cbranch_execnz .LBB33_15
	s_branch .LBB33_16
	.section	.rodata,"a",@progbits
	.p2align	6, 0x0
	.amdhsa_kernel _ZN2at6native29vectorized_elementwise_kernelILi8EZZZNS0_23bitwise_not_kernel_cudaERNS_18TensorIteratorBaseEENKUlvE_clEvENKUlvE2_clEvEUllE_St5arrayIPcLm2EEEEviT0_T1_
		.amdhsa_group_segment_fixed_size 0
		.amdhsa_private_segment_fixed_size 0
		.amdhsa_kernarg_size 24
		.amdhsa_user_sgpr_count 2
		.amdhsa_user_sgpr_dispatch_ptr 0
		.amdhsa_user_sgpr_queue_ptr 0
		.amdhsa_user_sgpr_kernarg_segment_ptr 1
		.amdhsa_user_sgpr_dispatch_id 0
		.amdhsa_user_sgpr_kernarg_preload_length 0
		.amdhsa_user_sgpr_kernarg_preload_offset 0
		.amdhsa_user_sgpr_private_segment_size 0
		.amdhsa_uses_dynamic_stack 0
		.amdhsa_enable_private_segment 0
		.amdhsa_system_sgpr_workgroup_id_x 1
		.amdhsa_system_sgpr_workgroup_id_y 0
		.amdhsa_system_sgpr_workgroup_id_z 0
		.amdhsa_system_sgpr_workgroup_info 0
		.amdhsa_system_vgpr_workitem_id 0
		.amdhsa_next_free_vgpr 16
		.amdhsa_next_free_sgpr 11
		.amdhsa_accum_offset 16
		.amdhsa_reserve_vcc 1
		.amdhsa_float_round_mode_32 0
		.amdhsa_float_round_mode_16_64 0
		.amdhsa_float_denorm_mode_32 3
		.amdhsa_float_denorm_mode_16_64 3
		.amdhsa_dx10_clamp 1
		.amdhsa_ieee_mode 1
		.amdhsa_fp16_overflow 0
		.amdhsa_tg_split 0
		.amdhsa_exception_fp_ieee_invalid_op 0
		.amdhsa_exception_fp_denorm_src 0
		.amdhsa_exception_fp_ieee_div_zero 0
		.amdhsa_exception_fp_ieee_overflow 0
		.amdhsa_exception_fp_ieee_underflow 0
		.amdhsa_exception_fp_ieee_inexact 0
		.amdhsa_exception_int_div_zero 0
	.end_amdhsa_kernel
	.section	.text._ZN2at6native29vectorized_elementwise_kernelILi8EZZZNS0_23bitwise_not_kernel_cudaERNS_18TensorIteratorBaseEENKUlvE_clEvENKUlvE2_clEvEUllE_St5arrayIPcLm2EEEEviT0_T1_,"axG",@progbits,_ZN2at6native29vectorized_elementwise_kernelILi8EZZZNS0_23bitwise_not_kernel_cudaERNS_18TensorIteratorBaseEENKUlvE_clEvENKUlvE2_clEvEUllE_St5arrayIPcLm2EEEEviT0_T1_,comdat
.Lfunc_end33:
	.size	_ZN2at6native29vectorized_elementwise_kernelILi8EZZZNS0_23bitwise_not_kernel_cudaERNS_18TensorIteratorBaseEENKUlvE_clEvENKUlvE2_clEvEUllE_St5arrayIPcLm2EEEEviT0_T1_, .Lfunc_end33-_ZN2at6native29vectorized_elementwise_kernelILi8EZZZNS0_23bitwise_not_kernel_cudaERNS_18TensorIteratorBaseEENKUlvE_clEvENKUlvE2_clEvEUllE_St5arrayIPcLm2EEEEviT0_T1_
                                        ; -- End function
	.set _ZN2at6native29vectorized_elementwise_kernelILi8EZZZNS0_23bitwise_not_kernel_cudaERNS_18TensorIteratorBaseEENKUlvE_clEvENKUlvE2_clEvEUllE_St5arrayIPcLm2EEEEviT0_T1_.num_vgpr, 16
	.set _ZN2at6native29vectorized_elementwise_kernelILi8EZZZNS0_23bitwise_not_kernel_cudaERNS_18TensorIteratorBaseEENKUlvE_clEvENKUlvE2_clEvEUllE_St5arrayIPcLm2EEEEviT0_T1_.num_agpr, 0
	.set _ZN2at6native29vectorized_elementwise_kernelILi8EZZZNS0_23bitwise_not_kernel_cudaERNS_18TensorIteratorBaseEENKUlvE_clEvENKUlvE2_clEvEUllE_St5arrayIPcLm2EEEEviT0_T1_.numbered_sgpr, 11
	.set _ZN2at6native29vectorized_elementwise_kernelILi8EZZZNS0_23bitwise_not_kernel_cudaERNS_18TensorIteratorBaseEENKUlvE_clEvENKUlvE2_clEvEUllE_St5arrayIPcLm2EEEEviT0_T1_.num_named_barrier, 0
	.set _ZN2at6native29vectorized_elementwise_kernelILi8EZZZNS0_23bitwise_not_kernel_cudaERNS_18TensorIteratorBaseEENKUlvE_clEvENKUlvE2_clEvEUllE_St5arrayIPcLm2EEEEviT0_T1_.private_seg_size, 0
	.set _ZN2at6native29vectorized_elementwise_kernelILi8EZZZNS0_23bitwise_not_kernel_cudaERNS_18TensorIteratorBaseEENKUlvE_clEvENKUlvE2_clEvEUllE_St5arrayIPcLm2EEEEviT0_T1_.uses_vcc, 1
	.set _ZN2at6native29vectorized_elementwise_kernelILi8EZZZNS0_23bitwise_not_kernel_cudaERNS_18TensorIteratorBaseEENKUlvE_clEvENKUlvE2_clEvEUllE_St5arrayIPcLm2EEEEviT0_T1_.uses_flat_scratch, 0
	.set _ZN2at6native29vectorized_elementwise_kernelILi8EZZZNS0_23bitwise_not_kernel_cudaERNS_18TensorIteratorBaseEENKUlvE_clEvENKUlvE2_clEvEUllE_St5arrayIPcLm2EEEEviT0_T1_.has_dyn_sized_stack, 0
	.set _ZN2at6native29vectorized_elementwise_kernelILi8EZZZNS0_23bitwise_not_kernel_cudaERNS_18TensorIteratorBaseEENKUlvE_clEvENKUlvE2_clEvEUllE_St5arrayIPcLm2EEEEviT0_T1_.has_recursion, 0
	.set _ZN2at6native29vectorized_elementwise_kernelILi8EZZZNS0_23bitwise_not_kernel_cudaERNS_18TensorIteratorBaseEENKUlvE_clEvENKUlvE2_clEvEUllE_St5arrayIPcLm2EEEEviT0_T1_.has_indirect_call, 0
	.section	.AMDGPU.csdata,"",@progbits
; Kernel info:
; codeLenInByte = 748
; TotalNumSgprs: 17
; NumVgprs: 16
; NumAgprs: 0
; TotalNumVgprs: 16
; ScratchSize: 0
; MemoryBound: 0
; FloatMode: 240
; IeeeMode: 1
; LDSByteSize: 0 bytes/workgroup (compile time only)
; SGPRBlocks: 2
; VGPRBlocks: 1
; NumSGPRsForWavesPerEU: 17
; NumVGPRsForWavesPerEU: 16
; AccumOffset: 16
; Occupancy: 8
; WaveLimiterHint : 0
; COMPUTE_PGM_RSRC2:SCRATCH_EN: 0
; COMPUTE_PGM_RSRC2:USER_SGPR: 2
; COMPUTE_PGM_RSRC2:TRAP_HANDLER: 0
; COMPUTE_PGM_RSRC2:TGID_X_EN: 1
; COMPUTE_PGM_RSRC2:TGID_Y_EN: 0
; COMPUTE_PGM_RSRC2:TGID_Z_EN: 0
; COMPUTE_PGM_RSRC2:TIDIG_COMP_CNT: 0
; COMPUTE_PGM_RSRC3_GFX90A:ACCUM_OFFSET: 3
; COMPUTE_PGM_RSRC3_GFX90A:TG_SPLIT: 0
	.section	.text._ZN2at6native29vectorized_elementwise_kernelILi4EZZZNS0_23bitwise_not_kernel_cudaERNS_18TensorIteratorBaseEENKUlvE_clEvENKUlvE2_clEvEUllE_St5arrayIPcLm2EEEEviT0_T1_,"axG",@progbits,_ZN2at6native29vectorized_elementwise_kernelILi4EZZZNS0_23bitwise_not_kernel_cudaERNS_18TensorIteratorBaseEENKUlvE_clEvENKUlvE2_clEvEUllE_St5arrayIPcLm2EEEEviT0_T1_,comdat
	.globl	_ZN2at6native29vectorized_elementwise_kernelILi4EZZZNS0_23bitwise_not_kernel_cudaERNS_18TensorIteratorBaseEENKUlvE_clEvENKUlvE2_clEvEUllE_St5arrayIPcLm2EEEEviT0_T1_ ; -- Begin function _ZN2at6native29vectorized_elementwise_kernelILi4EZZZNS0_23bitwise_not_kernel_cudaERNS_18TensorIteratorBaseEENKUlvE_clEvENKUlvE2_clEvEUllE_St5arrayIPcLm2EEEEviT0_T1_
	.p2align	8
	.type	_ZN2at6native29vectorized_elementwise_kernelILi4EZZZNS0_23bitwise_not_kernel_cudaERNS_18TensorIteratorBaseEENKUlvE_clEvENKUlvE2_clEvEUllE_St5arrayIPcLm2EEEEviT0_T1_,@function
_ZN2at6native29vectorized_elementwise_kernelILi4EZZZNS0_23bitwise_not_kernel_cudaERNS_18TensorIteratorBaseEENKUlvE_clEvENKUlvE2_clEvEUllE_St5arrayIPcLm2EEEEviT0_T1_: ; @_ZN2at6native29vectorized_elementwise_kernelILi4EZZZNS0_23bitwise_not_kernel_cudaERNS_18TensorIteratorBaseEENKUlvE_clEvENKUlvE2_clEvEUllE_St5arrayIPcLm2EEEEviT0_T1_
; %bb.0:
	s_load_dword s3, s[0:1], 0x0
	s_load_dwordx4 s[4:7], s[0:1], 0x8
	s_lshl_b32 s2, s2, 10
	s_mov_b64 s[0:1], -1
	s_waitcnt lgkmcnt(0)
	s_sub_i32 s10, s3, s2
	s_cmpk_gt_i32 s10, 0x3ff
	s_cbranch_scc0 .LBB34_2
; %bb.1:
	s_ashr_i32 s3, s2, 31
	s_lshl_b64 s[0:1], s[2:3], 3
	s_add_u32 s8, s6, s0
	s_addc_u32 s9, s7, s1
	v_lshlrev_b32_e32 v1, 5, v0
	global_load_dwordx4 v[2:5], v1, s[8:9]
	global_load_dwordx4 v[6:9], v1, s[8:9] offset:16
	s_add_u32 s0, s4, s0
	s_addc_u32 s1, s5, s1
	s_waitcnt vmcnt(1)
	v_not_b32_e32 v3, v3
	v_not_b32_e32 v2, v2
	v_not_b32_e32 v5, v5
	v_not_b32_e32 v4, v4
	s_waitcnt vmcnt(0)
	v_not_b32_e32 v7, v7
	v_not_b32_e32 v6, v6
	;; [unrolled: 1-line block ×4, first 2 shown]
	global_store_dwordx4 v1, v[2:5], s[0:1]
	global_store_dwordx4 v1, v[6:9], s[0:1] offset:16
	s_mov_b64 s[0:1], 0
.LBB34_2:
	s_andn2_b64 vcc, exec, s[0:1]
	s_cbranch_vccnz .LBB34_16
; %bb.3:
	v_cmp_gt_i32_e32 vcc, s10, v0
	v_mov_b64_e32 v[4:5], -1
	v_or_b32_e32 v2, s2, v0
	v_mov_b64_e32 v[6:7], -1
	v_mov_b32_e32 v1, v0
	s_and_saveexec_b64 s[0:1], vcc
	s_cbranch_execz .LBB34_5
; %bb.4:
	v_mov_b32_e32 v3, 0
	v_lshl_add_u64 v[6:7], v[2:3], 3, s[6:7]
	global_load_dwordx2 v[6:7], v[6:7], off
	v_or_b32_e32 v1, 0x100, v0
	s_waitcnt vmcnt(0)
	v_not_b32_e32 v7, v7
	v_not_b32_e32 v6, v6
.LBB34_5:
	s_or_b64 exec, exec, s[0:1]
	v_cmp_gt_i32_e64 s[0:1], s10, v1
	s_and_saveexec_b64 s[8:9], s[0:1]
	s_cbranch_execz .LBB34_7
; %bb.6:
	v_add_u32_e32 v4, s2, v1
	v_mov_b32_e32 v5, 0
	v_lshl_add_u64 v[4:5], v[4:5], 3, s[6:7]
	global_load_dwordx2 v[4:5], v[4:5], off
	v_add_u32_e32 v1, 0x100, v1
	s_waitcnt vmcnt(0)
	v_not_b32_e32 v5, v5
	v_not_b32_e32 v4, v4
.LBB34_7:
	s_or_b64 exec, exec, s[8:9]
	v_cmp_gt_i32_e64 s[0:1], s10, v1
	v_mov_b64_e32 v[8:9], -1
	v_mov_b64_e32 v[10:11], -1
	s_and_saveexec_b64 s[8:9], s[0:1]
	s_cbranch_execz .LBB34_9
; %bb.8:
	v_add_u32_e32 v10, s2, v1
	v_mov_b32_e32 v11, 0
	v_lshl_add_u64 v[10:11], v[10:11], 3, s[6:7]
	global_load_dwordx2 v[10:11], v[10:11], off
	v_add_u32_e32 v1, 0x100, v1
	s_waitcnt vmcnt(0)
	v_not_b32_e32 v11, v11
	v_not_b32_e32 v10, v10
.LBB34_9:
	s_or_b64 exec, exec, s[8:9]
	v_cmp_gt_i32_e64 s[0:1], s10, v1
	s_and_saveexec_b64 s[8:9], s[0:1]
	s_cbranch_execz .LBB34_11
; %bb.10:
	v_add_u32_e32 v8, s2, v1
	v_mov_b32_e32 v9, 0
	v_lshl_add_u64 v[8:9], v[8:9], 3, s[6:7]
	global_load_dwordx2 v[8:9], v[8:9], off
	s_waitcnt vmcnt(0)
	v_not_b32_e32 v9, v9
	v_not_b32_e32 v8, v8
.LBB34_11:
	s_or_b64 exec, exec, s[8:9]
	v_or_b32_e32 v1, 0x100, v0
	v_cmp_gt_i32_e64 s[0:1], s10, v1
	v_or_b32_e32 v3, 0x200, v0
	v_cndmask_b32_e32 v15, 0, v7, vcc
	v_cndmask_b32_e64 v13, 0, v5, s[0:1]
	v_cndmask_b32_e64 v12, 0, v4, s[0:1]
	v_cmp_gt_i32_e64 s[0:1], s10, v3
	v_or_b32_e32 v3, 0x300, v0
	v_cndmask_b32_e32 v14, 0, v6, vcc
	v_cndmask_b32_e64 v7, 0, v11, s[0:1]
	v_cndmask_b32_e64 v6, 0, v10, s[0:1]
	v_cmp_gt_i32_e64 s[0:1], s10, v3
	s_nop 1
	v_cndmask_b32_e64 v5, 0, v9, s[0:1]
	v_cndmask_b32_e64 v4, 0, v8, s[0:1]
	s_and_saveexec_b64 s[0:1], vcc
	s_cbranch_execnz .LBB34_17
; %bb.12:
	s_or_b64 exec, exec, s[0:1]
	v_cmp_gt_i32_e32 vcc, s10, v0
	s_and_saveexec_b64 s[0:1], vcc
	s_cbranch_execnz .LBB34_18
.LBB34_13:
	s_or_b64 exec, exec, s[0:1]
	v_cmp_gt_i32_e32 vcc, s10, v0
	s_and_saveexec_b64 s[0:1], vcc
	s_cbranch_execnz .LBB34_19
.LBB34_14:
	s_or_b64 exec, exec, s[0:1]
	v_cmp_gt_i32_e32 vcc, s10, v0
	s_and_saveexec_b64 s[0:1], vcc
	s_cbranch_execz .LBB34_16
.LBB34_15:
	v_add_u32_e32 v0, s2, v0
	v_mov_b32_e32 v1, 0
	v_lshl_add_u64 v[0:1], v[0:1], 3, s[4:5]
	global_store_dwordx2 v[0:1], v[4:5], off
.LBB34_16:
	s_endpgm
.LBB34_17:
	v_mov_b32_e32 v3, 0
	v_lshl_add_u64 v[2:3], v[2:3], 3, s[4:5]
	v_mov_b32_e32 v0, v1
	global_store_dwordx2 v[2:3], v[14:15], off
	s_or_b64 exec, exec, s[0:1]
	v_cmp_gt_i32_e32 vcc, s10, v0
	s_and_saveexec_b64 s[0:1], vcc
	s_cbranch_execz .LBB34_13
.LBB34_18:
	v_add_u32_e32 v2, s2, v0
	v_mov_b32_e32 v3, 0
	v_lshl_add_u64 v[2:3], v[2:3], 3, s[4:5]
	v_add_u32_e32 v0, 0x100, v0
	global_store_dwordx2 v[2:3], v[12:13], off
	s_or_b64 exec, exec, s[0:1]
	v_cmp_gt_i32_e32 vcc, s10, v0
	s_and_saveexec_b64 s[0:1], vcc
	s_cbranch_execz .LBB34_14
.LBB34_19:
	v_add_u32_e32 v2, s2, v0
	v_mov_b32_e32 v3, 0
	v_lshl_add_u64 v[2:3], v[2:3], 3, s[4:5]
	v_add_u32_e32 v0, 0x100, v0
	global_store_dwordx2 v[2:3], v[6:7], off
	s_or_b64 exec, exec, s[0:1]
	v_cmp_gt_i32_e32 vcc, s10, v0
	s_and_saveexec_b64 s[0:1], vcc
	s_cbranch_execnz .LBB34_15
	s_branch .LBB34_16
	.section	.rodata,"a",@progbits
	.p2align	6, 0x0
	.amdhsa_kernel _ZN2at6native29vectorized_elementwise_kernelILi4EZZZNS0_23bitwise_not_kernel_cudaERNS_18TensorIteratorBaseEENKUlvE_clEvENKUlvE2_clEvEUllE_St5arrayIPcLm2EEEEviT0_T1_
		.amdhsa_group_segment_fixed_size 0
		.amdhsa_private_segment_fixed_size 0
		.amdhsa_kernarg_size 24
		.amdhsa_user_sgpr_count 2
		.amdhsa_user_sgpr_dispatch_ptr 0
		.amdhsa_user_sgpr_queue_ptr 0
		.amdhsa_user_sgpr_kernarg_segment_ptr 1
		.amdhsa_user_sgpr_dispatch_id 0
		.amdhsa_user_sgpr_kernarg_preload_length 0
		.amdhsa_user_sgpr_kernarg_preload_offset 0
		.amdhsa_user_sgpr_private_segment_size 0
		.amdhsa_uses_dynamic_stack 0
		.amdhsa_enable_private_segment 0
		.amdhsa_system_sgpr_workgroup_id_x 1
		.amdhsa_system_sgpr_workgroup_id_y 0
		.amdhsa_system_sgpr_workgroup_id_z 0
		.amdhsa_system_sgpr_workgroup_info 0
		.amdhsa_system_vgpr_workitem_id 0
		.amdhsa_next_free_vgpr 16
		.amdhsa_next_free_sgpr 11
		.amdhsa_accum_offset 16
		.amdhsa_reserve_vcc 1
		.amdhsa_float_round_mode_32 0
		.amdhsa_float_round_mode_16_64 0
		.amdhsa_float_denorm_mode_32 3
		.amdhsa_float_denorm_mode_16_64 3
		.amdhsa_dx10_clamp 1
		.amdhsa_ieee_mode 1
		.amdhsa_fp16_overflow 0
		.amdhsa_tg_split 0
		.amdhsa_exception_fp_ieee_invalid_op 0
		.amdhsa_exception_fp_denorm_src 0
		.amdhsa_exception_fp_ieee_div_zero 0
		.amdhsa_exception_fp_ieee_overflow 0
		.amdhsa_exception_fp_ieee_underflow 0
		.amdhsa_exception_fp_ieee_inexact 0
		.amdhsa_exception_int_div_zero 0
	.end_amdhsa_kernel
	.section	.text._ZN2at6native29vectorized_elementwise_kernelILi4EZZZNS0_23bitwise_not_kernel_cudaERNS_18TensorIteratorBaseEENKUlvE_clEvENKUlvE2_clEvEUllE_St5arrayIPcLm2EEEEviT0_T1_,"axG",@progbits,_ZN2at6native29vectorized_elementwise_kernelILi4EZZZNS0_23bitwise_not_kernel_cudaERNS_18TensorIteratorBaseEENKUlvE_clEvENKUlvE2_clEvEUllE_St5arrayIPcLm2EEEEviT0_T1_,comdat
.Lfunc_end34:
	.size	_ZN2at6native29vectorized_elementwise_kernelILi4EZZZNS0_23bitwise_not_kernel_cudaERNS_18TensorIteratorBaseEENKUlvE_clEvENKUlvE2_clEvEUllE_St5arrayIPcLm2EEEEviT0_T1_, .Lfunc_end34-_ZN2at6native29vectorized_elementwise_kernelILi4EZZZNS0_23bitwise_not_kernel_cudaERNS_18TensorIteratorBaseEENKUlvE_clEvENKUlvE2_clEvEUllE_St5arrayIPcLm2EEEEviT0_T1_
                                        ; -- End function
	.set _ZN2at6native29vectorized_elementwise_kernelILi4EZZZNS0_23bitwise_not_kernel_cudaERNS_18TensorIteratorBaseEENKUlvE_clEvENKUlvE2_clEvEUllE_St5arrayIPcLm2EEEEviT0_T1_.num_vgpr, 16
	.set _ZN2at6native29vectorized_elementwise_kernelILi4EZZZNS0_23bitwise_not_kernel_cudaERNS_18TensorIteratorBaseEENKUlvE_clEvENKUlvE2_clEvEUllE_St5arrayIPcLm2EEEEviT0_T1_.num_agpr, 0
	.set _ZN2at6native29vectorized_elementwise_kernelILi4EZZZNS0_23bitwise_not_kernel_cudaERNS_18TensorIteratorBaseEENKUlvE_clEvENKUlvE2_clEvEUllE_St5arrayIPcLm2EEEEviT0_T1_.numbered_sgpr, 11
	.set _ZN2at6native29vectorized_elementwise_kernelILi4EZZZNS0_23bitwise_not_kernel_cudaERNS_18TensorIteratorBaseEENKUlvE_clEvENKUlvE2_clEvEUllE_St5arrayIPcLm2EEEEviT0_T1_.num_named_barrier, 0
	.set _ZN2at6native29vectorized_elementwise_kernelILi4EZZZNS0_23bitwise_not_kernel_cudaERNS_18TensorIteratorBaseEENKUlvE_clEvENKUlvE2_clEvEUllE_St5arrayIPcLm2EEEEviT0_T1_.private_seg_size, 0
	.set _ZN2at6native29vectorized_elementwise_kernelILi4EZZZNS0_23bitwise_not_kernel_cudaERNS_18TensorIteratorBaseEENKUlvE_clEvENKUlvE2_clEvEUllE_St5arrayIPcLm2EEEEviT0_T1_.uses_vcc, 1
	.set _ZN2at6native29vectorized_elementwise_kernelILi4EZZZNS0_23bitwise_not_kernel_cudaERNS_18TensorIteratorBaseEENKUlvE_clEvENKUlvE2_clEvEUllE_St5arrayIPcLm2EEEEviT0_T1_.uses_flat_scratch, 0
	.set _ZN2at6native29vectorized_elementwise_kernelILi4EZZZNS0_23bitwise_not_kernel_cudaERNS_18TensorIteratorBaseEENKUlvE_clEvENKUlvE2_clEvEUllE_St5arrayIPcLm2EEEEviT0_T1_.has_dyn_sized_stack, 0
	.set _ZN2at6native29vectorized_elementwise_kernelILi4EZZZNS0_23bitwise_not_kernel_cudaERNS_18TensorIteratorBaseEENKUlvE_clEvENKUlvE2_clEvEUllE_St5arrayIPcLm2EEEEviT0_T1_.has_recursion, 0
	.set _ZN2at6native29vectorized_elementwise_kernelILi4EZZZNS0_23bitwise_not_kernel_cudaERNS_18TensorIteratorBaseEENKUlvE_clEvENKUlvE2_clEvEUllE_St5arrayIPcLm2EEEEviT0_T1_.has_indirect_call, 0
	.section	.AMDGPU.csdata,"",@progbits
; Kernel info:
; codeLenInByte = 748
; TotalNumSgprs: 17
; NumVgprs: 16
; NumAgprs: 0
; TotalNumVgprs: 16
; ScratchSize: 0
; MemoryBound: 0
; FloatMode: 240
; IeeeMode: 1
; LDSByteSize: 0 bytes/workgroup (compile time only)
; SGPRBlocks: 2
; VGPRBlocks: 1
; NumSGPRsForWavesPerEU: 17
; NumVGPRsForWavesPerEU: 16
; AccumOffset: 16
; Occupancy: 8
; WaveLimiterHint : 0
; COMPUTE_PGM_RSRC2:SCRATCH_EN: 0
; COMPUTE_PGM_RSRC2:USER_SGPR: 2
; COMPUTE_PGM_RSRC2:TRAP_HANDLER: 0
; COMPUTE_PGM_RSRC2:TGID_X_EN: 1
; COMPUTE_PGM_RSRC2:TGID_Y_EN: 0
; COMPUTE_PGM_RSRC2:TGID_Z_EN: 0
; COMPUTE_PGM_RSRC2:TIDIG_COMP_CNT: 0
; COMPUTE_PGM_RSRC3_GFX90A:ACCUM_OFFSET: 3
; COMPUTE_PGM_RSRC3_GFX90A:TG_SPLIT: 0
	.section	.text._ZN2at6native29vectorized_elementwise_kernelILi2EZZZNS0_23bitwise_not_kernel_cudaERNS_18TensorIteratorBaseEENKUlvE_clEvENKUlvE2_clEvEUllE_St5arrayIPcLm2EEEEviT0_T1_,"axG",@progbits,_ZN2at6native29vectorized_elementwise_kernelILi2EZZZNS0_23bitwise_not_kernel_cudaERNS_18TensorIteratorBaseEENKUlvE_clEvENKUlvE2_clEvEUllE_St5arrayIPcLm2EEEEviT0_T1_,comdat
	.globl	_ZN2at6native29vectorized_elementwise_kernelILi2EZZZNS0_23bitwise_not_kernel_cudaERNS_18TensorIteratorBaseEENKUlvE_clEvENKUlvE2_clEvEUllE_St5arrayIPcLm2EEEEviT0_T1_ ; -- Begin function _ZN2at6native29vectorized_elementwise_kernelILi2EZZZNS0_23bitwise_not_kernel_cudaERNS_18TensorIteratorBaseEENKUlvE_clEvENKUlvE2_clEvEUllE_St5arrayIPcLm2EEEEviT0_T1_
	.p2align	8
	.type	_ZN2at6native29vectorized_elementwise_kernelILi2EZZZNS0_23bitwise_not_kernel_cudaERNS_18TensorIteratorBaseEENKUlvE_clEvENKUlvE2_clEvEUllE_St5arrayIPcLm2EEEEviT0_T1_,@function
_ZN2at6native29vectorized_elementwise_kernelILi2EZZZNS0_23bitwise_not_kernel_cudaERNS_18TensorIteratorBaseEENKUlvE_clEvENKUlvE2_clEvEUllE_St5arrayIPcLm2EEEEviT0_T1_: ; @_ZN2at6native29vectorized_elementwise_kernelILi2EZZZNS0_23bitwise_not_kernel_cudaERNS_18TensorIteratorBaseEENKUlvE_clEvENKUlvE2_clEvEUllE_St5arrayIPcLm2EEEEviT0_T1_
; %bb.0:
	s_load_dword s3, s[0:1], 0x0
	s_load_dwordx4 s[4:7], s[0:1], 0x8
	s_lshl_b32 s2, s2, 10
	s_mov_b64 s[0:1], -1
	s_waitcnt lgkmcnt(0)
	s_sub_i32 s10, s3, s2
	s_cmpk_gt_i32 s10, 0x3ff
	s_cbranch_scc0 .LBB35_2
; %bb.1:
	s_ashr_i32 s3, s2, 31
	s_lshl_b64 s[0:1], s[2:3], 3
	s_add_u32 s8, s6, s0
	s_addc_u32 s9, s7, s1
	v_lshlrev_b32_e32 v10, 4, v0
	v_mov_b32_e32 v11, 0
	v_lshl_add_u64 v[6:7], s[8:9], 0, v[10:11]
	v_add_co_u32_e32 v6, vcc, 0x1000, v6
	global_load_dwordx4 v[2:5], v10, s[8:9]
	s_nop 0
	v_addc_co_u32_e32 v7, vcc, 0, v7, vcc
	global_load_dwordx4 v[6:9], v[6:7], off
	s_add_u32 s0, s4, s0
	s_addc_u32 s1, s5, s1
	v_lshl_add_u64 v[12:13], s[0:1], 0, v[10:11]
	v_add_co_u32_e32 v12, vcc, 0x1000, v12
	s_waitcnt vmcnt(1)
	v_not_b32_e32 v3, v3
	v_not_b32_e32 v2, v2
	;; [unrolled: 1-line block ×4, first 2 shown]
	v_addc_co_u32_e32 v13, vcc, 0, v13, vcc
	global_store_dwordx4 v10, v[2:5], s[0:1]
	s_mov_b64 s[0:1], 0
	s_waitcnt vmcnt(1)
	v_not_b32_e32 v3, v7
	v_not_b32_e32 v2, v6
	;; [unrolled: 1-line block ×4, first 2 shown]
	global_store_dwordx4 v[12:13], v[2:5], off
.LBB35_2:
	s_andn2_b64 vcc, exec, s[0:1]
	s_cbranch_vccnz .LBB35_16
; %bb.3:
	v_cmp_gt_i32_e32 vcc, s10, v0
	v_mov_b64_e32 v[4:5], -1
	v_or_b32_e32 v2, s2, v0
	v_mov_b64_e32 v[6:7], -1
	v_mov_b32_e32 v1, v0
	s_and_saveexec_b64 s[0:1], vcc
	s_cbranch_execz .LBB35_5
; %bb.4:
	v_mov_b32_e32 v3, 0
	v_lshl_add_u64 v[6:7], v[2:3], 3, s[6:7]
	global_load_dwordx2 v[6:7], v[6:7], off
	v_or_b32_e32 v1, 0x100, v0
	s_waitcnt vmcnt(0)
	v_not_b32_e32 v7, v7
	v_not_b32_e32 v6, v6
.LBB35_5:
	s_or_b64 exec, exec, s[0:1]
	v_cmp_gt_i32_e64 s[0:1], s10, v1
	s_and_saveexec_b64 s[8:9], s[0:1]
	s_cbranch_execz .LBB35_7
; %bb.6:
	v_add_u32_e32 v4, s2, v1
	v_mov_b32_e32 v5, 0
	v_lshl_add_u64 v[4:5], v[4:5], 3, s[6:7]
	global_load_dwordx2 v[4:5], v[4:5], off
	v_add_u32_e32 v1, 0x100, v1
	s_waitcnt vmcnt(0)
	v_not_b32_e32 v5, v5
	v_not_b32_e32 v4, v4
.LBB35_7:
	s_or_b64 exec, exec, s[8:9]
	v_cmp_gt_i32_e64 s[0:1], s10, v1
	v_mov_b64_e32 v[8:9], -1
	v_mov_b64_e32 v[10:11], -1
	s_and_saveexec_b64 s[8:9], s[0:1]
	s_cbranch_execz .LBB35_9
; %bb.8:
	v_add_u32_e32 v10, s2, v1
	v_mov_b32_e32 v11, 0
	v_lshl_add_u64 v[10:11], v[10:11], 3, s[6:7]
	global_load_dwordx2 v[10:11], v[10:11], off
	v_add_u32_e32 v1, 0x100, v1
	s_waitcnt vmcnt(0)
	v_not_b32_e32 v11, v11
	v_not_b32_e32 v10, v10
.LBB35_9:
	s_or_b64 exec, exec, s[8:9]
	v_cmp_gt_i32_e64 s[0:1], s10, v1
	s_and_saveexec_b64 s[8:9], s[0:1]
	s_cbranch_execz .LBB35_11
; %bb.10:
	v_add_u32_e32 v8, s2, v1
	v_mov_b32_e32 v9, 0
	v_lshl_add_u64 v[8:9], v[8:9], 3, s[6:7]
	global_load_dwordx2 v[8:9], v[8:9], off
	s_waitcnt vmcnt(0)
	v_not_b32_e32 v9, v9
	v_not_b32_e32 v8, v8
.LBB35_11:
	s_or_b64 exec, exec, s[8:9]
	v_or_b32_e32 v1, 0x100, v0
	v_cmp_gt_i32_e64 s[0:1], s10, v1
	v_or_b32_e32 v3, 0x200, v0
	v_cndmask_b32_e32 v15, 0, v7, vcc
	v_cndmask_b32_e64 v13, 0, v5, s[0:1]
	v_cndmask_b32_e64 v12, 0, v4, s[0:1]
	v_cmp_gt_i32_e64 s[0:1], s10, v3
	v_or_b32_e32 v3, 0x300, v0
	v_cndmask_b32_e32 v14, 0, v6, vcc
	v_cndmask_b32_e64 v7, 0, v11, s[0:1]
	v_cndmask_b32_e64 v6, 0, v10, s[0:1]
	v_cmp_gt_i32_e64 s[0:1], s10, v3
	s_nop 1
	v_cndmask_b32_e64 v5, 0, v9, s[0:1]
	v_cndmask_b32_e64 v4, 0, v8, s[0:1]
	s_and_saveexec_b64 s[0:1], vcc
	s_cbranch_execnz .LBB35_17
; %bb.12:
	s_or_b64 exec, exec, s[0:1]
	v_cmp_gt_i32_e32 vcc, s10, v0
	s_and_saveexec_b64 s[0:1], vcc
	s_cbranch_execnz .LBB35_18
.LBB35_13:
	s_or_b64 exec, exec, s[0:1]
	v_cmp_gt_i32_e32 vcc, s10, v0
	s_and_saveexec_b64 s[0:1], vcc
	s_cbranch_execnz .LBB35_19
.LBB35_14:
	s_or_b64 exec, exec, s[0:1]
	v_cmp_gt_i32_e32 vcc, s10, v0
	s_and_saveexec_b64 s[0:1], vcc
	s_cbranch_execz .LBB35_16
.LBB35_15:
	v_add_u32_e32 v0, s2, v0
	v_mov_b32_e32 v1, 0
	v_lshl_add_u64 v[0:1], v[0:1], 3, s[4:5]
	global_store_dwordx2 v[0:1], v[4:5], off
.LBB35_16:
	s_endpgm
.LBB35_17:
	v_mov_b32_e32 v3, 0
	v_lshl_add_u64 v[2:3], v[2:3], 3, s[4:5]
	v_mov_b32_e32 v0, v1
	global_store_dwordx2 v[2:3], v[14:15], off
	s_or_b64 exec, exec, s[0:1]
	v_cmp_gt_i32_e32 vcc, s10, v0
	s_and_saveexec_b64 s[0:1], vcc
	s_cbranch_execz .LBB35_13
.LBB35_18:
	v_add_u32_e32 v2, s2, v0
	v_mov_b32_e32 v3, 0
	v_lshl_add_u64 v[2:3], v[2:3], 3, s[4:5]
	v_add_u32_e32 v0, 0x100, v0
	global_store_dwordx2 v[2:3], v[12:13], off
	s_or_b64 exec, exec, s[0:1]
	v_cmp_gt_i32_e32 vcc, s10, v0
	s_and_saveexec_b64 s[0:1], vcc
	s_cbranch_execz .LBB35_14
.LBB35_19:
	v_add_u32_e32 v2, s2, v0
	v_mov_b32_e32 v3, 0
	v_lshl_add_u64 v[2:3], v[2:3], 3, s[4:5]
	v_add_u32_e32 v0, 0x100, v0
	global_store_dwordx2 v[2:3], v[6:7], off
	s_or_b64 exec, exec, s[0:1]
	v_cmp_gt_i32_e32 vcc, s10, v0
	s_and_saveexec_b64 s[0:1], vcc
	s_cbranch_execnz .LBB35_15
	s_branch .LBB35_16
	.section	.rodata,"a",@progbits
	.p2align	6, 0x0
	.amdhsa_kernel _ZN2at6native29vectorized_elementwise_kernelILi2EZZZNS0_23bitwise_not_kernel_cudaERNS_18TensorIteratorBaseEENKUlvE_clEvENKUlvE2_clEvEUllE_St5arrayIPcLm2EEEEviT0_T1_
		.amdhsa_group_segment_fixed_size 0
		.amdhsa_private_segment_fixed_size 0
		.amdhsa_kernarg_size 24
		.amdhsa_user_sgpr_count 2
		.amdhsa_user_sgpr_dispatch_ptr 0
		.amdhsa_user_sgpr_queue_ptr 0
		.amdhsa_user_sgpr_kernarg_segment_ptr 1
		.amdhsa_user_sgpr_dispatch_id 0
		.amdhsa_user_sgpr_kernarg_preload_length 0
		.amdhsa_user_sgpr_kernarg_preload_offset 0
		.amdhsa_user_sgpr_private_segment_size 0
		.amdhsa_uses_dynamic_stack 0
		.amdhsa_enable_private_segment 0
		.amdhsa_system_sgpr_workgroup_id_x 1
		.amdhsa_system_sgpr_workgroup_id_y 0
		.amdhsa_system_sgpr_workgroup_id_z 0
		.amdhsa_system_sgpr_workgroup_info 0
		.amdhsa_system_vgpr_workitem_id 0
		.amdhsa_next_free_vgpr 16
		.amdhsa_next_free_sgpr 11
		.amdhsa_accum_offset 16
		.amdhsa_reserve_vcc 1
		.amdhsa_float_round_mode_32 0
		.amdhsa_float_round_mode_16_64 0
		.amdhsa_float_denorm_mode_32 3
		.amdhsa_float_denorm_mode_16_64 3
		.amdhsa_dx10_clamp 1
		.amdhsa_ieee_mode 1
		.amdhsa_fp16_overflow 0
		.amdhsa_tg_split 0
		.amdhsa_exception_fp_ieee_invalid_op 0
		.amdhsa_exception_fp_denorm_src 0
		.amdhsa_exception_fp_ieee_div_zero 0
		.amdhsa_exception_fp_ieee_overflow 0
		.amdhsa_exception_fp_ieee_underflow 0
		.amdhsa_exception_fp_ieee_inexact 0
		.amdhsa_exception_int_div_zero 0
	.end_amdhsa_kernel
	.section	.text._ZN2at6native29vectorized_elementwise_kernelILi2EZZZNS0_23bitwise_not_kernel_cudaERNS_18TensorIteratorBaseEENKUlvE_clEvENKUlvE2_clEvEUllE_St5arrayIPcLm2EEEEviT0_T1_,"axG",@progbits,_ZN2at6native29vectorized_elementwise_kernelILi2EZZZNS0_23bitwise_not_kernel_cudaERNS_18TensorIteratorBaseEENKUlvE_clEvENKUlvE2_clEvEUllE_St5arrayIPcLm2EEEEviT0_T1_,comdat
.Lfunc_end35:
	.size	_ZN2at6native29vectorized_elementwise_kernelILi2EZZZNS0_23bitwise_not_kernel_cudaERNS_18TensorIteratorBaseEENKUlvE_clEvENKUlvE2_clEvEUllE_St5arrayIPcLm2EEEEviT0_T1_, .Lfunc_end35-_ZN2at6native29vectorized_elementwise_kernelILi2EZZZNS0_23bitwise_not_kernel_cudaERNS_18TensorIteratorBaseEENKUlvE_clEvENKUlvE2_clEvEUllE_St5arrayIPcLm2EEEEviT0_T1_
                                        ; -- End function
	.set _ZN2at6native29vectorized_elementwise_kernelILi2EZZZNS0_23bitwise_not_kernel_cudaERNS_18TensorIteratorBaseEENKUlvE_clEvENKUlvE2_clEvEUllE_St5arrayIPcLm2EEEEviT0_T1_.num_vgpr, 16
	.set _ZN2at6native29vectorized_elementwise_kernelILi2EZZZNS0_23bitwise_not_kernel_cudaERNS_18TensorIteratorBaseEENKUlvE_clEvENKUlvE2_clEvEUllE_St5arrayIPcLm2EEEEviT0_T1_.num_agpr, 0
	.set _ZN2at6native29vectorized_elementwise_kernelILi2EZZZNS0_23bitwise_not_kernel_cudaERNS_18TensorIteratorBaseEENKUlvE_clEvENKUlvE2_clEvEUllE_St5arrayIPcLm2EEEEviT0_T1_.numbered_sgpr, 11
	.set _ZN2at6native29vectorized_elementwise_kernelILi2EZZZNS0_23bitwise_not_kernel_cudaERNS_18TensorIteratorBaseEENKUlvE_clEvENKUlvE2_clEvEUllE_St5arrayIPcLm2EEEEviT0_T1_.num_named_barrier, 0
	.set _ZN2at6native29vectorized_elementwise_kernelILi2EZZZNS0_23bitwise_not_kernel_cudaERNS_18TensorIteratorBaseEENKUlvE_clEvENKUlvE2_clEvEUllE_St5arrayIPcLm2EEEEviT0_T1_.private_seg_size, 0
	.set _ZN2at6native29vectorized_elementwise_kernelILi2EZZZNS0_23bitwise_not_kernel_cudaERNS_18TensorIteratorBaseEENKUlvE_clEvENKUlvE2_clEvEUllE_St5arrayIPcLm2EEEEviT0_T1_.uses_vcc, 1
	.set _ZN2at6native29vectorized_elementwise_kernelILi2EZZZNS0_23bitwise_not_kernel_cudaERNS_18TensorIteratorBaseEENKUlvE_clEvENKUlvE2_clEvEUllE_St5arrayIPcLm2EEEEviT0_T1_.uses_flat_scratch, 0
	.set _ZN2at6native29vectorized_elementwise_kernelILi2EZZZNS0_23bitwise_not_kernel_cudaERNS_18TensorIteratorBaseEENKUlvE_clEvENKUlvE2_clEvEUllE_St5arrayIPcLm2EEEEviT0_T1_.has_dyn_sized_stack, 0
	.set _ZN2at6native29vectorized_elementwise_kernelILi2EZZZNS0_23bitwise_not_kernel_cudaERNS_18TensorIteratorBaseEENKUlvE_clEvENKUlvE2_clEvEUllE_St5arrayIPcLm2EEEEviT0_T1_.has_recursion, 0
	.set _ZN2at6native29vectorized_elementwise_kernelILi2EZZZNS0_23bitwise_not_kernel_cudaERNS_18TensorIteratorBaseEENKUlvE_clEvENKUlvE2_clEvEUllE_St5arrayIPcLm2EEEEviT0_T1_.has_indirect_call, 0
	.section	.AMDGPU.csdata,"",@progbits
; Kernel info:
; codeLenInByte = 796
; TotalNumSgprs: 17
; NumVgprs: 16
; NumAgprs: 0
; TotalNumVgprs: 16
; ScratchSize: 0
; MemoryBound: 0
; FloatMode: 240
; IeeeMode: 1
; LDSByteSize: 0 bytes/workgroup (compile time only)
; SGPRBlocks: 2
; VGPRBlocks: 1
; NumSGPRsForWavesPerEU: 17
; NumVGPRsForWavesPerEU: 16
; AccumOffset: 16
; Occupancy: 8
; WaveLimiterHint : 1
; COMPUTE_PGM_RSRC2:SCRATCH_EN: 0
; COMPUTE_PGM_RSRC2:USER_SGPR: 2
; COMPUTE_PGM_RSRC2:TRAP_HANDLER: 0
; COMPUTE_PGM_RSRC2:TGID_X_EN: 1
; COMPUTE_PGM_RSRC2:TGID_Y_EN: 0
; COMPUTE_PGM_RSRC2:TGID_Z_EN: 0
; COMPUTE_PGM_RSRC2:TIDIG_COMP_CNT: 0
; COMPUTE_PGM_RSRC3_GFX90A:ACCUM_OFFSET: 3
; COMPUTE_PGM_RSRC3_GFX90A:TG_SPLIT: 0
	.section	.text._ZN2at6native27unrolled_elementwise_kernelIZZZNS0_23bitwise_not_kernel_cudaERNS_18TensorIteratorBaseEENKUlvE_clEvENKUlvE2_clEvEUllE_St5arrayIPcLm2EELi4E23TrivialOffsetCalculatorILi1EjESB_NS0_6memory15LoadWithoutCastENSC_16StoreWithoutCastEEEviT_T0_T2_T3_T4_T5_,"axG",@progbits,_ZN2at6native27unrolled_elementwise_kernelIZZZNS0_23bitwise_not_kernel_cudaERNS_18TensorIteratorBaseEENKUlvE_clEvENKUlvE2_clEvEUllE_St5arrayIPcLm2EELi4E23TrivialOffsetCalculatorILi1EjESB_NS0_6memory15LoadWithoutCastENSC_16StoreWithoutCastEEEviT_T0_T2_T3_T4_T5_,comdat
	.globl	_ZN2at6native27unrolled_elementwise_kernelIZZZNS0_23bitwise_not_kernel_cudaERNS_18TensorIteratorBaseEENKUlvE_clEvENKUlvE2_clEvEUllE_St5arrayIPcLm2EELi4E23TrivialOffsetCalculatorILi1EjESB_NS0_6memory15LoadWithoutCastENSC_16StoreWithoutCastEEEviT_T0_T2_T3_T4_T5_ ; -- Begin function _ZN2at6native27unrolled_elementwise_kernelIZZZNS0_23bitwise_not_kernel_cudaERNS_18TensorIteratorBaseEENKUlvE_clEvENKUlvE2_clEvEUllE_St5arrayIPcLm2EELi4E23TrivialOffsetCalculatorILi1EjESB_NS0_6memory15LoadWithoutCastENSC_16StoreWithoutCastEEEviT_T0_T2_T3_T4_T5_
	.p2align	8
	.type	_ZN2at6native27unrolled_elementwise_kernelIZZZNS0_23bitwise_not_kernel_cudaERNS_18TensorIteratorBaseEENKUlvE_clEvENKUlvE2_clEvEUllE_St5arrayIPcLm2EELi4E23TrivialOffsetCalculatorILi1EjESB_NS0_6memory15LoadWithoutCastENSC_16StoreWithoutCastEEEviT_T0_T2_T3_T4_T5_,@function
_ZN2at6native27unrolled_elementwise_kernelIZZZNS0_23bitwise_not_kernel_cudaERNS_18TensorIteratorBaseEENKUlvE_clEvENKUlvE2_clEvEUllE_St5arrayIPcLm2EELi4E23TrivialOffsetCalculatorILi1EjESB_NS0_6memory15LoadWithoutCastENSC_16StoreWithoutCastEEEviT_T0_T2_T3_T4_T5_: ; @_ZN2at6native27unrolled_elementwise_kernelIZZZNS0_23bitwise_not_kernel_cudaERNS_18TensorIteratorBaseEENKUlvE_clEvENKUlvE2_clEvEUllE_St5arrayIPcLm2EELi4E23TrivialOffsetCalculatorILi1EjESB_NS0_6memory15LoadWithoutCastENSC_16StoreWithoutCastEEEviT_T0_T2_T3_T4_T5_
; %bb.0:
	s_load_dword s3, s[0:1], 0x0
	s_load_dwordx4 s[4:7], s[0:1], 0x8
	s_lshl_b32 s8, s2, 10
	v_mov_b64_e32 v[4:5], -1
	v_or_b32_e32 v2, s8, v0
	s_waitcnt lgkmcnt(0)
	s_sub_i32 s9, s3, s8
	v_cmp_gt_i32_e32 vcc, s9, v0
	v_mov_b64_e32 v[6:7], -1
	v_mov_b32_e32 v1, v0
	s_and_saveexec_b64 s[0:1], vcc
	s_cbranch_execz .LBB36_2
; %bb.1:
	v_mov_b32_e32 v3, 0
	v_lshl_add_u64 v[6:7], v[2:3], 3, s[6:7]
	global_load_dwordx2 v[6:7], v[6:7], off
	v_or_b32_e32 v1, 0x100, v0
	s_waitcnt vmcnt(0)
	v_not_b32_e32 v7, v7
	v_not_b32_e32 v6, v6
.LBB36_2:
	s_or_b64 exec, exec, s[0:1]
	v_cmp_gt_i32_e64 s[0:1], s9, v1
	s_and_saveexec_b64 s[2:3], s[0:1]
	s_cbranch_execz .LBB36_4
; %bb.3:
	v_add_u32_e32 v4, s8, v1
	v_mov_b32_e32 v5, 0
	v_lshl_add_u64 v[4:5], v[4:5], 3, s[6:7]
	global_load_dwordx2 v[4:5], v[4:5], off
	v_add_u32_e32 v1, 0x100, v1
	s_waitcnt vmcnt(0)
	v_not_b32_e32 v5, v5
	v_not_b32_e32 v4, v4
.LBB36_4:
	s_or_b64 exec, exec, s[2:3]
	v_cmp_gt_i32_e64 s[0:1], s9, v1
	v_mov_b64_e32 v[8:9], -1
	v_mov_b64_e32 v[10:11], -1
	s_and_saveexec_b64 s[2:3], s[0:1]
	s_cbranch_execz .LBB36_6
; %bb.5:
	v_add_u32_e32 v10, s8, v1
	v_mov_b32_e32 v11, 0
	v_lshl_add_u64 v[10:11], v[10:11], 3, s[6:7]
	global_load_dwordx2 v[10:11], v[10:11], off
	v_add_u32_e32 v1, 0x100, v1
	s_waitcnt vmcnt(0)
	v_not_b32_e32 v11, v11
	v_not_b32_e32 v10, v10
.LBB36_6:
	s_or_b64 exec, exec, s[2:3]
	v_cmp_gt_i32_e64 s[0:1], s9, v1
	s_and_saveexec_b64 s[2:3], s[0:1]
	s_cbranch_execz .LBB36_8
; %bb.7:
	v_add_u32_e32 v8, s8, v1
	v_mov_b32_e32 v9, 0
	v_lshl_add_u64 v[8:9], v[8:9], 3, s[6:7]
	global_load_dwordx2 v[8:9], v[8:9], off
	s_waitcnt vmcnt(0)
	v_not_b32_e32 v9, v9
	v_not_b32_e32 v8, v8
.LBB36_8:
	s_or_b64 exec, exec, s[2:3]
	v_or_b32_e32 v1, 0x100, v0
	v_cmp_gt_i32_e64 s[0:1], s9, v1
	v_or_b32_e32 v3, 0x200, v0
	v_cndmask_b32_e32 v15, 0, v7, vcc
	v_cndmask_b32_e64 v13, 0, v5, s[0:1]
	v_cndmask_b32_e64 v12, 0, v4, s[0:1]
	v_cmp_gt_i32_e64 s[0:1], s9, v3
	v_or_b32_e32 v3, 0x300, v0
	v_cndmask_b32_e32 v14, 0, v6, vcc
	v_cndmask_b32_e64 v7, 0, v11, s[0:1]
	v_cndmask_b32_e64 v6, 0, v10, s[0:1]
	v_cmp_gt_i32_e64 s[0:1], s9, v3
	s_nop 1
	v_cndmask_b32_e64 v5, 0, v9, s[0:1]
	v_cndmask_b32_e64 v4, 0, v8, s[0:1]
	s_and_saveexec_b64 s[0:1], vcc
	s_cbranch_execnz .LBB36_13
; %bb.9:
	s_or_b64 exec, exec, s[0:1]
	v_cmp_gt_i32_e32 vcc, s9, v0
	s_and_saveexec_b64 s[0:1], vcc
	s_cbranch_execnz .LBB36_14
.LBB36_10:
	s_or_b64 exec, exec, s[0:1]
	v_cmp_gt_i32_e32 vcc, s9, v0
	s_and_saveexec_b64 s[0:1], vcc
	s_cbranch_execnz .LBB36_15
.LBB36_11:
	s_or_b64 exec, exec, s[0:1]
	v_cmp_gt_i32_e32 vcc, s9, v0
	s_and_saveexec_b64 s[0:1], vcc
	s_cbranch_execnz .LBB36_16
.LBB36_12:
	s_endpgm
.LBB36_13:
	v_mov_b32_e32 v3, 0
	v_lshl_add_u64 v[2:3], v[2:3], 3, s[4:5]
	v_mov_b32_e32 v0, v1
	global_store_dwordx2 v[2:3], v[14:15], off
	s_or_b64 exec, exec, s[0:1]
	v_cmp_gt_i32_e32 vcc, s9, v0
	s_and_saveexec_b64 s[0:1], vcc
	s_cbranch_execz .LBB36_10
.LBB36_14:
	v_add_u32_e32 v2, 0x100, v0
	v_add_u32_e32 v0, s8, v0
	v_mov_b32_e32 v1, 0
	v_lshl_add_u64 v[0:1], v[0:1], 3, s[4:5]
	global_store_dwordx2 v[0:1], v[12:13], off
	v_mov_b32_e32 v0, v2
	s_or_b64 exec, exec, s[0:1]
	v_cmp_gt_i32_e32 vcc, s9, v0
	s_and_saveexec_b64 s[0:1], vcc
	s_cbranch_execz .LBB36_11
.LBB36_15:
	v_add_u32_e32 v2, 0x100, v0
	v_add_u32_e32 v0, s8, v0
	v_mov_b32_e32 v1, 0
	v_lshl_add_u64 v[0:1], v[0:1], 3, s[4:5]
	global_store_dwordx2 v[0:1], v[6:7], off
	v_mov_b32_e32 v0, v2
	s_or_b64 exec, exec, s[0:1]
	v_cmp_gt_i32_e32 vcc, s9, v0
	s_and_saveexec_b64 s[0:1], vcc
	s_cbranch_execz .LBB36_12
.LBB36_16:
	v_add_u32_e32 v0, s8, v0
	v_mov_b32_e32 v1, 0
	v_lshl_add_u64 v[0:1], v[0:1], 3, s[4:5]
	global_store_dwordx2 v[0:1], v[4:5], off
	s_endpgm
	.section	.rodata,"a",@progbits
	.p2align	6, 0x0
	.amdhsa_kernel _ZN2at6native27unrolled_elementwise_kernelIZZZNS0_23bitwise_not_kernel_cudaERNS_18TensorIteratorBaseEENKUlvE_clEvENKUlvE2_clEvEUllE_St5arrayIPcLm2EELi4E23TrivialOffsetCalculatorILi1EjESB_NS0_6memory15LoadWithoutCastENSC_16StoreWithoutCastEEEviT_T0_T2_T3_T4_T5_
		.amdhsa_group_segment_fixed_size 0
		.amdhsa_private_segment_fixed_size 0
		.amdhsa_kernarg_size 28
		.amdhsa_user_sgpr_count 2
		.amdhsa_user_sgpr_dispatch_ptr 0
		.amdhsa_user_sgpr_queue_ptr 0
		.amdhsa_user_sgpr_kernarg_segment_ptr 1
		.amdhsa_user_sgpr_dispatch_id 0
		.amdhsa_user_sgpr_kernarg_preload_length 0
		.amdhsa_user_sgpr_kernarg_preload_offset 0
		.amdhsa_user_sgpr_private_segment_size 0
		.amdhsa_uses_dynamic_stack 0
		.amdhsa_enable_private_segment 0
		.amdhsa_system_sgpr_workgroup_id_x 1
		.amdhsa_system_sgpr_workgroup_id_y 0
		.amdhsa_system_sgpr_workgroup_id_z 0
		.amdhsa_system_sgpr_workgroup_info 0
		.amdhsa_system_vgpr_workitem_id 0
		.amdhsa_next_free_vgpr 16
		.amdhsa_next_free_sgpr 10
		.amdhsa_accum_offset 16
		.amdhsa_reserve_vcc 1
		.amdhsa_float_round_mode_32 0
		.amdhsa_float_round_mode_16_64 0
		.amdhsa_float_denorm_mode_32 3
		.amdhsa_float_denorm_mode_16_64 3
		.amdhsa_dx10_clamp 1
		.amdhsa_ieee_mode 1
		.amdhsa_fp16_overflow 0
		.amdhsa_tg_split 0
		.amdhsa_exception_fp_ieee_invalid_op 0
		.amdhsa_exception_fp_denorm_src 0
		.amdhsa_exception_fp_ieee_div_zero 0
		.amdhsa_exception_fp_ieee_overflow 0
		.amdhsa_exception_fp_ieee_underflow 0
		.amdhsa_exception_fp_ieee_inexact 0
		.amdhsa_exception_int_div_zero 0
	.end_amdhsa_kernel
	.section	.text._ZN2at6native27unrolled_elementwise_kernelIZZZNS0_23bitwise_not_kernel_cudaERNS_18TensorIteratorBaseEENKUlvE_clEvENKUlvE2_clEvEUllE_St5arrayIPcLm2EELi4E23TrivialOffsetCalculatorILi1EjESB_NS0_6memory15LoadWithoutCastENSC_16StoreWithoutCastEEEviT_T0_T2_T3_T4_T5_,"axG",@progbits,_ZN2at6native27unrolled_elementwise_kernelIZZZNS0_23bitwise_not_kernel_cudaERNS_18TensorIteratorBaseEENKUlvE_clEvENKUlvE2_clEvEUllE_St5arrayIPcLm2EELi4E23TrivialOffsetCalculatorILi1EjESB_NS0_6memory15LoadWithoutCastENSC_16StoreWithoutCastEEEviT_T0_T2_T3_T4_T5_,comdat
.Lfunc_end36:
	.size	_ZN2at6native27unrolled_elementwise_kernelIZZZNS0_23bitwise_not_kernel_cudaERNS_18TensorIteratorBaseEENKUlvE_clEvENKUlvE2_clEvEUllE_St5arrayIPcLm2EELi4E23TrivialOffsetCalculatorILi1EjESB_NS0_6memory15LoadWithoutCastENSC_16StoreWithoutCastEEEviT_T0_T2_T3_T4_T5_, .Lfunc_end36-_ZN2at6native27unrolled_elementwise_kernelIZZZNS0_23bitwise_not_kernel_cudaERNS_18TensorIteratorBaseEENKUlvE_clEvENKUlvE2_clEvEUllE_St5arrayIPcLm2EELi4E23TrivialOffsetCalculatorILi1EjESB_NS0_6memory15LoadWithoutCastENSC_16StoreWithoutCastEEEviT_T0_T2_T3_T4_T5_
                                        ; -- End function
	.set _ZN2at6native27unrolled_elementwise_kernelIZZZNS0_23bitwise_not_kernel_cudaERNS_18TensorIteratorBaseEENKUlvE_clEvENKUlvE2_clEvEUllE_St5arrayIPcLm2EELi4E23TrivialOffsetCalculatorILi1EjESB_NS0_6memory15LoadWithoutCastENSC_16StoreWithoutCastEEEviT_T0_T2_T3_T4_T5_.num_vgpr, 16
	.set _ZN2at6native27unrolled_elementwise_kernelIZZZNS0_23bitwise_not_kernel_cudaERNS_18TensorIteratorBaseEENKUlvE_clEvENKUlvE2_clEvEUllE_St5arrayIPcLm2EELi4E23TrivialOffsetCalculatorILi1EjESB_NS0_6memory15LoadWithoutCastENSC_16StoreWithoutCastEEEviT_T0_T2_T3_T4_T5_.num_agpr, 0
	.set _ZN2at6native27unrolled_elementwise_kernelIZZZNS0_23bitwise_not_kernel_cudaERNS_18TensorIteratorBaseEENKUlvE_clEvENKUlvE2_clEvEUllE_St5arrayIPcLm2EELi4E23TrivialOffsetCalculatorILi1EjESB_NS0_6memory15LoadWithoutCastENSC_16StoreWithoutCastEEEviT_T0_T2_T3_T4_T5_.numbered_sgpr, 10
	.set _ZN2at6native27unrolled_elementwise_kernelIZZZNS0_23bitwise_not_kernel_cudaERNS_18TensorIteratorBaseEENKUlvE_clEvENKUlvE2_clEvEUllE_St5arrayIPcLm2EELi4E23TrivialOffsetCalculatorILi1EjESB_NS0_6memory15LoadWithoutCastENSC_16StoreWithoutCastEEEviT_T0_T2_T3_T4_T5_.num_named_barrier, 0
	.set _ZN2at6native27unrolled_elementwise_kernelIZZZNS0_23bitwise_not_kernel_cudaERNS_18TensorIteratorBaseEENKUlvE_clEvENKUlvE2_clEvEUllE_St5arrayIPcLm2EELi4E23TrivialOffsetCalculatorILi1EjESB_NS0_6memory15LoadWithoutCastENSC_16StoreWithoutCastEEEviT_T0_T2_T3_T4_T5_.private_seg_size, 0
	.set _ZN2at6native27unrolled_elementwise_kernelIZZZNS0_23bitwise_not_kernel_cudaERNS_18TensorIteratorBaseEENKUlvE_clEvENKUlvE2_clEvEUllE_St5arrayIPcLm2EELi4E23TrivialOffsetCalculatorILi1EjESB_NS0_6memory15LoadWithoutCastENSC_16StoreWithoutCastEEEviT_T0_T2_T3_T4_T5_.uses_vcc, 1
	.set _ZN2at6native27unrolled_elementwise_kernelIZZZNS0_23bitwise_not_kernel_cudaERNS_18TensorIteratorBaseEENKUlvE_clEvENKUlvE2_clEvEUllE_St5arrayIPcLm2EELi4E23TrivialOffsetCalculatorILi1EjESB_NS0_6memory15LoadWithoutCastENSC_16StoreWithoutCastEEEviT_T0_T2_T3_T4_T5_.uses_flat_scratch, 0
	.set _ZN2at6native27unrolled_elementwise_kernelIZZZNS0_23bitwise_not_kernel_cudaERNS_18TensorIteratorBaseEENKUlvE_clEvENKUlvE2_clEvEUllE_St5arrayIPcLm2EELi4E23TrivialOffsetCalculatorILi1EjESB_NS0_6memory15LoadWithoutCastENSC_16StoreWithoutCastEEEviT_T0_T2_T3_T4_T5_.has_dyn_sized_stack, 0
	.set _ZN2at6native27unrolled_elementwise_kernelIZZZNS0_23bitwise_not_kernel_cudaERNS_18TensorIteratorBaseEENKUlvE_clEvENKUlvE2_clEvEUllE_St5arrayIPcLm2EELi4E23TrivialOffsetCalculatorILi1EjESB_NS0_6memory15LoadWithoutCastENSC_16StoreWithoutCastEEEviT_T0_T2_T3_T4_T5_.has_recursion, 0
	.set _ZN2at6native27unrolled_elementwise_kernelIZZZNS0_23bitwise_not_kernel_cudaERNS_18TensorIteratorBaseEENKUlvE_clEvENKUlvE2_clEvEUllE_St5arrayIPcLm2EELi4E23TrivialOffsetCalculatorILi1EjESB_NS0_6memory15LoadWithoutCastENSC_16StoreWithoutCastEEEviT_T0_T2_T3_T4_T5_.has_indirect_call, 0
	.section	.AMDGPU.csdata,"",@progbits
; Kernel info:
; codeLenInByte = 632
; TotalNumSgprs: 16
; NumVgprs: 16
; NumAgprs: 0
; TotalNumVgprs: 16
; ScratchSize: 0
; MemoryBound: 0
; FloatMode: 240
; IeeeMode: 1
; LDSByteSize: 0 bytes/workgroup (compile time only)
; SGPRBlocks: 1
; VGPRBlocks: 1
; NumSGPRsForWavesPerEU: 16
; NumVGPRsForWavesPerEU: 16
; AccumOffset: 16
; Occupancy: 8
; WaveLimiterHint : 0
; COMPUTE_PGM_RSRC2:SCRATCH_EN: 0
; COMPUTE_PGM_RSRC2:USER_SGPR: 2
; COMPUTE_PGM_RSRC2:TRAP_HANDLER: 0
; COMPUTE_PGM_RSRC2:TGID_X_EN: 1
; COMPUTE_PGM_RSRC2:TGID_Y_EN: 0
; COMPUTE_PGM_RSRC2:TGID_Z_EN: 0
; COMPUTE_PGM_RSRC2:TIDIG_COMP_CNT: 0
; COMPUTE_PGM_RSRC3_GFX90A:ACCUM_OFFSET: 3
; COMPUTE_PGM_RSRC3_GFX90A:TG_SPLIT: 0
	.section	.text._ZN2at6native32elementwise_kernel_manual_unrollILi128ELi4EZNS0_22gpu_kernel_impl_nocastIZZZNS0_23bitwise_not_kernel_cudaERNS_18TensorIteratorBaseEENKUlvE_clEvENKUlvE2_clEvEUllE_EEvS4_RKT_EUlibE_EEviT1_,"axG",@progbits,_ZN2at6native32elementwise_kernel_manual_unrollILi128ELi4EZNS0_22gpu_kernel_impl_nocastIZZZNS0_23bitwise_not_kernel_cudaERNS_18TensorIteratorBaseEENKUlvE_clEvENKUlvE2_clEvEUllE_EEvS4_RKT_EUlibE_EEviT1_,comdat
	.globl	_ZN2at6native32elementwise_kernel_manual_unrollILi128ELi4EZNS0_22gpu_kernel_impl_nocastIZZZNS0_23bitwise_not_kernel_cudaERNS_18TensorIteratorBaseEENKUlvE_clEvENKUlvE2_clEvEUllE_EEvS4_RKT_EUlibE_EEviT1_ ; -- Begin function _ZN2at6native32elementwise_kernel_manual_unrollILi128ELi4EZNS0_22gpu_kernel_impl_nocastIZZZNS0_23bitwise_not_kernel_cudaERNS_18TensorIteratorBaseEENKUlvE_clEvENKUlvE2_clEvEUllE_EEvS4_RKT_EUlibE_EEviT1_
	.p2align	8
	.type	_ZN2at6native32elementwise_kernel_manual_unrollILi128ELi4EZNS0_22gpu_kernel_impl_nocastIZZZNS0_23bitwise_not_kernel_cudaERNS_18TensorIteratorBaseEENKUlvE_clEvENKUlvE2_clEvEUllE_EEvS4_RKT_EUlibE_EEviT1_,@function
_ZN2at6native32elementwise_kernel_manual_unrollILi128ELi4EZNS0_22gpu_kernel_impl_nocastIZZZNS0_23bitwise_not_kernel_cudaERNS_18TensorIteratorBaseEENKUlvE_clEvENKUlvE2_clEvEUllE_EEvS4_RKT_EUlibE_EEviT1_: ; @_ZN2at6native32elementwise_kernel_manual_unrollILi128ELi4EZNS0_22gpu_kernel_impl_nocastIZZZNS0_23bitwise_not_kernel_cudaERNS_18TensorIteratorBaseEENKUlvE_clEvENKUlvE2_clEvEUllE_EEvS4_RKT_EUlibE_EEviT1_
; %bb.0:
	s_load_dword s55, s[0:1], 0x0
	s_load_dword s33, s[0:1], 0x8
	s_add_u32 s34, s0, 8
	s_addc_u32 s35, s1, 0
	v_lshl_or_b32 v8, s2, 9, v0
	v_or_b32_e32 v16, 0x180, v8
	s_waitcnt lgkmcnt(0)
	s_add_i32 s54, s33, -1
	s_cmp_gt_u32 s54, 1
	v_cmp_le_i32_e32 vcc, s55, v16
	s_cselect_b64 s[36:37], -1, 0
	s_and_saveexec_b64 s[0:1], vcc
	s_xor_b64 s[38:39], exec, s[0:1]
	s_cbranch_execz .LBB37_8
; %bb.1:
	s_load_dwordx4 s[24:27], s[34:35], 0x4
	s_load_dwordx2 s[40:41], s[34:35], 0x14
	s_load_dwordx4 s[20:23], s[34:35], 0xc4
	s_load_dwordx4 s[16:19], s[34:35], 0x148
	s_cmp_lg_u32 s33, 0
	s_cselect_b64 s[46:47], -1, 0
	s_add_u32 s44, s34, 0xc4
	s_addc_u32 s45, s35, 0
	s_min_u32 s56, s54, 15
	s_cmp_gt_u32 s33, 1
	s_cselect_b64 s[42:43], -1, 0
	v_cmp_gt_i32_e32 vcc, s55, v8
	s_and_saveexec_b64 s[48:49], vcc
	s_cbranch_execz .LBB37_15
; %bb.2:
	s_andn2_b64 vcc, exec, s[36:37]
	s_cbranch_vccnz .LBB37_23
; %bb.3:
	s_andn2_b64 vcc, exec, s[46:47]
	s_cbranch_vccnz .LBB37_75
; %bb.4:
	s_add_i32 s58, s56, 1
	s_cmp_eq_u32 s54, 2
	s_cbranch_scc1 .LBB37_77
; %bb.5:
	s_and_b32 s57, s58, 28
	s_mov_b32 s59, 0
	v_mov_b32_e32 v0, 0
	v_mov_b32_e32 v2, 0
	s_mov_b64 s[50:51], s[34:35]
	s_mov_b64 s[52:53], s[44:45]
	v_mov_b32_e32 v4, v8
.LBB37_6:                               ; =>This Inner Loop Header: Depth=1
	s_load_dwordx8 s[8:15], s[50:51], 0x4
	s_load_dwordx4 s[28:31], s[50:51], 0x24
	s_load_dwordx8 s[0:7], s[52:53], 0x0
	s_add_u32 s50, s50, 48
	s_addc_u32 s51, s51, 0
	s_waitcnt lgkmcnt(0)
	v_mul_hi_u32 v1, s9, v4
	v_add_u32_e32 v1, v4, v1
	v_lshrrev_b32_e32 v1, s10, v1
	v_mul_lo_u32 v3, v1, s8
	v_mul_hi_u32 v5, s12, v1
	v_sub_u32_e32 v3, v4, v3
	v_add_u32_e32 v4, v1, v5
	v_lshrrev_b32_e32 v4, s13, v4
	v_mul_lo_u32 v6, v4, s11
	v_mul_hi_u32 v7, s15, v4
	v_sub_u32_e32 v1, v1, v6
	v_add_u32_e32 v6, v4, v7
	v_mul_lo_u32 v5, v3, s1
	v_mul_lo_u32 v3, v3, s0
	v_mul_lo_u32 v7, v1, s3
	v_mul_lo_u32 v1, v1, s2
	v_lshrrev_b32_e32 v6, s28, v6
	v_add3_u32 v0, v3, v0, v1
	v_mul_hi_u32 v3, s30, v6
	v_add3_u32 v1, v5, v2, v7
	v_mul_lo_u32 v2, v6, s14
	v_add_u32_e32 v3, v6, v3
	v_sub_u32_e32 v2, v4, v2
	v_lshrrev_b32_e32 v4, s31, v3
	s_add_i32 s59, s59, 4
	v_mul_lo_u32 v3, v4, s29
	s_add_u32 s52, s52, 32
	v_sub_u32_e32 v3, v6, v3
	s_addc_u32 s53, s53, 0
	v_mul_lo_u32 v5, v2, s4
	v_mul_lo_u32 v2, v2, s5
	;; [unrolled: 1-line block ×4, first 2 shown]
	s_cmp_lg_u32 s57, s59
	v_add3_u32 v2, v2, v1, v3
	v_add3_u32 v0, v5, v0, v6
	s_cbranch_scc1 .LBB37_6
; %bb.7:
	v_mov_b32_e32 v1, v2
	s_branch .LBB37_78
.LBB37_8:
	s_andn2_saveexec_b64 s[0:1], s[38:39]
	s_cbranch_execz .LBB37_104
.LBB37_9:
	v_cndmask_b32_e64 v0, 0, 1, s[36:37]
	v_cmp_ne_u32_e64 s[0:1], 1, v0
	s_andn2_b64 vcc, exec, s[36:37]
	s_cbranch_vccnz .LBB37_22
; %bb.10:
	s_cmp_lg_u32 s33, 0
	s_waitcnt lgkmcnt(0)
	s_mov_b32 s26, 0
	s_cbranch_scc0 .LBB37_25
; %bb.11:
	s_min_u32 s27, s54, 15
	s_add_i32 s27, s27, 1
	s_cmp_eq_u32 s54, 2
	s_cbranch_scc1 .LBB37_26
; %bb.12:
	s_and_b32 s26, s27, 28
	s_add_u32 s2, s34, 0xc4
	s_addc_u32 s3, s35, 0
	s_mov_b32 s28, 0
	v_mov_b32_e32 v0, 0
	v_mov_b32_e32 v2, 0
	s_mov_b64 s[24:25], s[34:35]
	v_mov_b32_e32 v4, v8
.LBB37_13:                              ; =>This Inner Loop Header: Depth=1
	s_load_dwordx8 s[12:19], s[24:25], 0x4
	s_load_dwordx4 s[20:23], s[24:25], 0x24
	s_load_dwordx8 s[4:11], s[2:3], 0x0
	s_add_u32 s24, s24, 48
	s_addc_u32 s25, s25, 0
	s_waitcnt lgkmcnt(0)
	v_mul_hi_u32 v1, s13, v4
	v_add_u32_e32 v1, v4, v1
	v_lshrrev_b32_e32 v1, s14, v1
	v_mul_lo_u32 v3, v1, s12
	v_mul_hi_u32 v5, s16, v1
	v_sub_u32_e32 v3, v4, v3
	v_add_u32_e32 v4, v1, v5
	v_lshrrev_b32_e32 v4, s17, v4
	v_mul_lo_u32 v6, v4, s15
	v_mul_hi_u32 v7, s19, v4
	v_sub_u32_e32 v1, v1, v6
	v_add_u32_e32 v6, v4, v7
	v_mul_lo_u32 v5, v3, s5
	v_mul_lo_u32 v3, v3, s4
	;; [unrolled: 1-line block ×4, first 2 shown]
	v_lshrrev_b32_e32 v6, s20, v6
	v_add3_u32 v0, v3, v0, v1
	v_mul_hi_u32 v3, s22, v6
	v_add3_u32 v1, v5, v2, v7
	v_mul_lo_u32 v2, v6, s18
	v_add_u32_e32 v3, v6, v3
	v_sub_u32_e32 v2, v4, v2
	v_lshrrev_b32_e32 v4, s23, v3
	s_add_i32 s28, s28, 4
	v_mul_lo_u32 v3, v4, s21
	s_add_u32 s2, s2, 32
	v_sub_u32_e32 v3, v6, v3
	s_addc_u32 s3, s3, 0
	v_mul_lo_u32 v5, v2, s8
	v_mul_lo_u32 v2, v2, s9
	;; [unrolled: 1-line block ×4, first 2 shown]
	s_cmp_lg_u32 s26, s28
	v_add3_u32 v2, v2, v1, v3
	v_add3_u32 v0, v5, v0, v6
	s_cbranch_scc1 .LBB37_13
; %bb.14:
	v_mov_b32_e32 v1, v2
	s_and_b32 s6, s27, 3
	s_cmp_eq_u32 s6, 0
	s_cbranch_scc0 .LBB37_27
	s_branch .LBB37_29
.LBB37_15:
	s_or_b64 exec, exec, s[48:49]
	v_cmp_gt_i32_e32 vcc, s55, v8
	s_and_saveexec_b64 s[48:49], vcc
	s_cbranch_execz .LBB37_85
.LBB37_16:
	s_andn2_b64 vcc, exec, s[36:37]
	s_cbranch_vccnz .LBB37_24
; %bb.17:
	s_andn2_b64 vcc, exec, s[46:47]
	s_cbranch_vccnz .LBB37_76
; %bb.18:
	s_add_i32 s58, s56, 1
	s_cmp_eq_u32 s54, 2
	s_cbranch_scc1 .LBB37_94
; %bb.19:
	s_and_b32 s57, s58, 28
	s_mov_b32 s59, 0
	v_mov_b32_e32 v0, 0
	v_mov_b32_e32 v2, 0
	s_mov_b64 s[50:51], s[34:35]
	s_mov_b64 s[52:53], s[44:45]
	v_mov_b32_e32 v4, v8
.LBB37_20:                              ; =>This Inner Loop Header: Depth=1
	s_load_dwordx8 s[8:15], s[50:51], 0x4
	s_load_dwordx4 s[28:31], s[50:51], 0x24
	s_load_dwordx8 s[0:7], s[52:53], 0x0
	s_add_u32 s50, s50, 48
	s_addc_u32 s51, s51, 0
	s_waitcnt lgkmcnt(0)
	v_mul_hi_u32 v1, s9, v4
	v_add_u32_e32 v1, v4, v1
	v_lshrrev_b32_e32 v1, s10, v1
	v_mul_lo_u32 v3, v1, s8
	v_mul_hi_u32 v5, s12, v1
	v_sub_u32_e32 v3, v4, v3
	v_add_u32_e32 v4, v1, v5
	v_lshrrev_b32_e32 v4, s13, v4
	v_mul_lo_u32 v6, v4, s11
	v_mul_hi_u32 v7, s15, v4
	v_sub_u32_e32 v1, v1, v6
	v_add_u32_e32 v6, v4, v7
	v_mul_lo_u32 v5, v3, s1
	v_mul_lo_u32 v3, v3, s0
	;; [unrolled: 1-line block ×4, first 2 shown]
	v_lshrrev_b32_e32 v6, s28, v6
	v_add3_u32 v0, v3, v0, v1
	v_mul_hi_u32 v3, s30, v6
	v_add3_u32 v1, v5, v2, v7
	v_mul_lo_u32 v2, v6, s14
	v_add_u32_e32 v3, v6, v3
	v_sub_u32_e32 v2, v4, v2
	v_lshrrev_b32_e32 v4, s31, v3
	s_add_i32 s59, s59, 4
	v_mul_lo_u32 v3, v4, s29
	s_add_u32 s52, s52, 32
	v_sub_u32_e32 v3, v6, v3
	s_addc_u32 s53, s53, 0
	v_mul_lo_u32 v5, v2, s4
	v_mul_lo_u32 v2, v2, s5
	;; [unrolled: 1-line block ×4, first 2 shown]
	s_cmp_eq_u32 s57, s59
	v_add3_u32 v2, v2, v1, v3
	v_add3_u32 v0, v5, v0, v6
	s_cbranch_scc0 .LBB37_20
; %bb.21:
	v_mov_b32_e32 v1, v2
	s_branch .LBB37_95
.LBB37_22:
                                        ; implicit-def: $vgpr2
                                        ; implicit-def: $vgpr0
	s_branch .LBB37_30
.LBB37_23:
                                        ; implicit-def: $vgpr2
                                        ; implicit-def: $vgpr0
	s_branch .LBB37_82
.LBB37_24:
                                        ; implicit-def: $vgpr2
                                        ; implicit-def: $vgpr0
	s_branch .LBB37_99
.LBB37_25:
	v_mov_b32_e32 v2, 0
	v_mov_b32_e32 v0, 0
	s_branch .LBB37_29
.LBB37_26:
	v_mov_b32_e32 v0, 0
                                        ; implicit-def: $vgpr2
	v_mov_b32_e32 v1, v0
	v_mov_b32_e32 v4, v8
	s_and_b32 s6, s27, 3
	s_cmp_eq_u32 s6, 0
	s_cbranch_scc1 .LBB37_29
.LBB37_27:
	s_lshl_b32 s2, s26, 3
	s_add_u32 s2, s34, s2
	s_addc_u32 s3, s35, 0
	s_add_u32 s2, s2, 0xc4
	s_addc_u32 s3, s3, 0
	s_mul_i32 s4, s26, 12
	s_add_u32 s4, s34, s4
	s_addc_u32 s5, s35, 0
.LBB37_28:                              ; =>This Inner Loop Header: Depth=1
	s_load_dwordx2 s[8:9], s[4:5], 0x4
	s_load_dword s7, s[4:5], 0xc
	s_load_dwordx2 s[10:11], s[2:3], 0x0
	v_mov_b32_e32 v2, v1
	s_add_u32 s4, s4, 12
	s_waitcnt lgkmcnt(0)
	v_mul_hi_u32 v1, s9, v4
	v_add_u32_e32 v1, v4, v1
	v_lshrrev_b32_e32 v1, s7, v1
	s_addc_u32 s5, s5, 0
	v_mul_lo_u32 v3, v1, s8
	s_add_u32 s2, s2, 8
	v_sub_u32_e32 v5, v4, v3
	s_addc_u32 s3, s3, 0
	s_add_i32 s6, s6, -1
	v_mov_b32_e32 v4, v1
	v_mad_u64_u32 v[2:3], s[8:9], v5, s11, v[2:3]
	v_mad_u64_u32 v[0:1], s[8:9], v5, s10, v[0:1]
	s_cmp_lg_u32 s6, 0
	v_mov_b32_e32 v1, v2
	s_cbranch_scc1 .LBB37_28
.LBB37_29:
	s_cbranch_execnz .LBB37_32
.LBB37_30:
	s_load_dwordx4 s[4:7], s[34:35], 0x4
	s_load_dwordx2 s[2:3], s[34:35], 0xc4
	s_cmp_lt_u32 s33, 2
	s_waitcnt lgkmcnt(0)
	v_mul_hi_u32 v0, s5, v8
	v_add_u32_e32 v0, v8, v0
	v_lshrrev_b32_e32 v1, s6, v0
	v_mul_lo_u32 v0, v1, s4
	v_sub_u32_e32 v0, v8, v0
	v_mul_lo_u32 v2, v0, s3
	v_mul_lo_u32 v0, v0, s2
	s_cbranch_scc1 .LBB37_32
; %bb.31:
	s_load_dwordx4 s[4:7], s[34:35], 0x10
	s_load_dwordx2 s[2:3], s[34:35], 0xcc
	s_waitcnt lgkmcnt(0)
	v_mul_hi_u32 v3, s5, v1
	v_add_u32_e32 v3, v1, v3
	v_lshrrev_b32_e32 v3, s6, v3
	v_mul_lo_u32 v3, v3, s4
	v_sub_u32_e32 v3, v1, v3
	v_mad_u64_u32 v[0:1], s[4:5], v3, s2, v[0:1]
	v_mad_u64_u32 v[2:3], s[2:3], v3, s3, v[2:3]
.LBB37_32:
	s_and_b64 vcc, exec, s[0:1]
	v_add_u32_e32 v3, 0x80, v8
	s_cbranch_vccnz .LBB37_38
; %bb.33:
	s_cmp_lg_u32 s33, 0
	s_waitcnt lgkmcnt(0)
	s_mov_b32 s26, 0
	s_cbranch_scc0 .LBB37_39
; %bb.34:
	s_min_u32 s27, s54, 15
	s_add_i32 s27, s27, 1
	s_cmp_eq_u32 s54, 2
	s_cbranch_scc1 .LBB37_40
; %bb.35:
	s_and_b32 s26, s27, 28
	s_add_u32 s2, s34, 0xc4
	s_addc_u32 s3, s35, 0
	s_mov_b32 s28, 0
	v_mov_b32_e32 v4, 0
	v_mov_b32_e32 v6, 0
	s_mov_b64 s[24:25], s[34:35]
	v_mov_b32_e32 v9, v3
.LBB37_36:                              ; =>This Inner Loop Header: Depth=1
	s_load_dwordx8 s[12:19], s[24:25], 0x4
	s_load_dwordx4 s[20:23], s[24:25], 0x24
	s_load_dwordx8 s[4:11], s[2:3], 0x0
	s_add_u32 s24, s24, 48
	s_addc_u32 s25, s25, 0
	s_waitcnt lgkmcnt(0)
	v_mul_hi_u32 v1, s13, v9
	v_add_u32_e32 v1, v9, v1
	v_lshrrev_b32_e32 v1, s14, v1
	v_mul_hi_u32 v7, s16, v1
	v_add_u32_e32 v7, v1, v7
	v_lshrrev_b32_e32 v7, s17, v7
	v_mul_lo_u32 v5, v1, s12
	v_mul_lo_u32 v10, v7, s15
	v_mul_hi_u32 v11, s19, v7
	v_sub_u32_e32 v5, v9, v5
	v_sub_u32_e32 v1, v1, v10
	v_add_u32_e32 v10, v7, v11
	v_mul_lo_u32 v9, v5, s5
	v_mul_lo_u32 v5, v5, s4
	;; [unrolled: 1-line block ×4, first 2 shown]
	v_lshrrev_b32_e32 v10, s20, v10
	v_add3_u32 v1, v5, v4, v1
	v_add3_u32 v4, v9, v6, v11
	v_mul_hi_u32 v6, s22, v10
	v_add_u32_e32 v6, v10, v6
	v_lshrrev_b32_e32 v9, s23, v6
	s_add_i32 s28, s28, 4
	v_mul_lo_u32 v5, v10, s18
	v_mul_lo_u32 v6, v9, s21
	s_add_u32 s2, s2, 32
	v_sub_u32_e32 v5, v7, v5
	v_sub_u32_e32 v6, v10, v6
	s_addc_u32 s3, s3, 0
	v_mul_lo_u32 v7, v5, s8
	v_mul_lo_u32 v5, v5, s9
	;; [unrolled: 1-line block ×4, first 2 shown]
	s_cmp_lg_u32 s26, s28
	v_add3_u32 v6, v5, v4, v6
	v_add3_u32 v4, v7, v1, v10
	s_cbranch_scc1 .LBB37_36
; %bb.37:
	v_mov_b32_e32 v1, v6
	s_and_b32 s6, s27, 3
	s_cmp_eq_u32 s6, 0
	s_cbranch_scc0 .LBB37_41
	s_branch .LBB37_43
.LBB37_38:
                                        ; implicit-def: $vgpr6
                                        ; implicit-def: $vgpr4
	s_branch .LBB37_44
.LBB37_39:
	v_mov_b32_e32 v6, 0
	v_mov_b32_e32 v4, 0
	s_branch .LBB37_43
.LBB37_40:
	v_mov_b32_e32 v4, 0
                                        ; implicit-def: $vgpr6
	v_mov_b32_e32 v1, v4
	v_mov_b32_e32 v9, v3
	s_and_b32 s6, s27, 3
	s_cmp_eq_u32 s6, 0
	s_cbranch_scc1 .LBB37_43
.LBB37_41:
	s_lshl_b32 s2, s26, 3
	s_add_u32 s2, s34, s2
	s_addc_u32 s3, s35, 0
	s_add_u32 s2, s2, 0xc4
	s_addc_u32 s3, s3, 0
	s_mul_i32 s4, s26, 12
	s_add_u32 s4, s34, s4
	s_addc_u32 s5, s35, 0
.LBB37_42:                              ; =>This Inner Loop Header: Depth=1
	s_load_dwordx2 s[8:9], s[4:5], 0x4
	s_load_dword s7, s[4:5], 0xc
	s_load_dwordx2 s[10:11], s[2:3], 0x0
	v_mov_b32_e32 v6, v1
	s_add_u32 s4, s4, 12
	s_waitcnt lgkmcnt(0)
	v_mul_hi_u32 v1, s9, v9
	v_add_u32_e32 v1, v9, v1
	v_lshrrev_b32_e32 v1, s7, v1
	s_addc_u32 s5, s5, 0
	v_mul_lo_u32 v5, v1, s8
	s_add_u32 s2, s2, 8
	v_sub_u32_e32 v5, v9, v5
	s_addc_u32 s3, s3, 0
	s_add_i32 s6, s6, -1
	v_mad_u64_u32 v[6:7], s[8:9], v5, s11, v[6:7]
	s_cmp_lg_u32 s6, 0
	v_mov_b32_e32 v9, v1
	v_mad_u64_u32 v[4:5], s[8:9], v5, s10, v[4:5]
	v_mov_b32_e32 v1, v6
	s_cbranch_scc1 .LBB37_42
.LBB37_43:
	s_cbranch_execnz .LBB37_46
.LBB37_44:
	s_load_dwordx4 s[4:7], s[34:35], 0x4
	s_load_dwordx2 s[2:3], s[34:35], 0xc4
	s_cmp_lt_u32 s33, 2
	s_waitcnt lgkmcnt(0)
	v_mul_hi_u32 v1, s5, v3
	v_add_u32_e32 v1, v3, v1
	v_lshrrev_b32_e32 v1, s6, v1
	v_mul_lo_u32 v4, v1, s4
	v_sub_u32_e32 v3, v3, v4
	v_mul_lo_u32 v6, v3, s3
	v_mul_lo_u32 v4, v3, s2
	s_cbranch_scc1 .LBB37_46
; %bb.45:
	s_load_dwordx4 s[4:7], s[34:35], 0x10
	s_load_dwordx2 s[2:3], s[34:35], 0xcc
	s_waitcnt lgkmcnt(0)
	v_mul_hi_u32 v3, s5, v1
	v_add_u32_e32 v3, v1, v3
	v_lshrrev_b32_e32 v3, s6, v3
	v_mul_lo_u32 v3, v3, s4
	v_sub_u32_e32 v1, v1, v3
	v_mad_u64_u32 v[4:5], s[4:5], v1, s2, v[4:5]
	v_mad_u64_u32 v[6:7], s[2:3], v1, s3, v[6:7]
.LBB37_46:
	s_and_b64 vcc, exec, s[0:1]
	v_add_u32_e32 v3, 0x100, v8
	s_cbranch_vccnz .LBB37_52
; %bb.47:
	s_cmp_lg_u32 s33, 0
	s_waitcnt lgkmcnt(0)
	s_mov_b32 s26, 0
	s_cbranch_scc0 .LBB37_53
; %bb.48:
	s_min_u32 s27, s54, 15
	s_add_i32 s27, s27, 1
	s_cmp_eq_u32 s54, 2
	s_cbranch_scc1 .LBB37_54
; %bb.49:
	s_and_b32 s26, s27, 28
	s_add_u32 s2, s34, 0xc4
	s_addc_u32 s3, s35, 0
	s_mov_b32 s28, 0
	v_mov_b32_e32 v8, 0
	v_mov_b32_e32 v10, 0
	s_mov_b64 s[24:25], s[34:35]
	v_mov_b32_e32 v5, v3
.LBB37_50:                              ; =>This Inner Loop Header: Depth=1
	s_load_dwordx8 s[12:19], s[24:25], 0x4
	s_load_dwordx4 s[20:23], s[24:25], 0x24
	s_load_dwordx8 s[4:11], s[2:3], 0x0
	s_add_u32 s24, s24, 48
	s_addc_u32 s25, s25, 0
	s_waitcnt lgkmcnt(0)
	v_mul_hi_u32 v1, s13, v5
	v_add_u32_e32 v1, v5, v1
	v_lshrrev_b32_e32 v1, s14, v1
	v_mul_lo_u32 v7, v1, s12
	v_mul_hi_u32 v9, s16, v1
	v_sub_u32_e32 v5, v5, v7
	v_add_u32_e32 v7, v1, v9
	v_lshrrev_b32_e32 v7, s17, v7
	v_mul_lo_u32 v11, v7, s15
	v_mul_hi_u32 v12, s19, v7
	v_sub_u32_e32 v1, v1, v11
	v_add_u32_e32 v11, v7, v12
	v_mul_lo_u32 v9, v5, s5
	v_mul_lo_u32 v5, v5, s4
	;; [unrolled: 1-line block ×4, first 2 shown]
	v_lshrrev_b32_e32 v11, s20, v11
	v_add3_u32 v1, v5, v8, v1
	v_add3_u32 v8, v9, v10, v12
	v_mul_lo_u32 v5, v11, s18
	v_mul_hi_u32 v9, s22, v11
	v_sub_u32_e32 v5, v7, v5
	v_add_u32_e32 v7, v11, v9
	v_mul_lo_u32 v9, v5, s8
	v_mul_lo_u32 v10, v5, s9
	v_lshrrev_b32_e32 v5, s23, v7
	s_add_i32 s28, s28, 4
	v_mul_lo_u32 v7, v5, s21
	s_add_u32 s2, s2, 32
	v_sub_u32_e32 v7, v11, v7
	s_addc_u32 s3, s3, 0
	v_mul_lo_u32 v11, v7, s10
	v_mul_lo_u32 v7, v7, s11
	s_cmp_lg_u32 s26, s28
	v_add3_u32 v10, v10, v8, v7
	v_add3_u32 v8, v9, v1, v11
	s_cbranch_scc1 .LBB37_50
; %bb.51:
	v_mov_b32_e32 v1, v10
	s_and_b32 s6, s27, 3
	s_cmp_eq_u32 s6, 0
	s_cbranch_scc0 .LBB37_55
	s_branch .LBB37_57
.LBB37_52:
                                        ; implicit-def: $vgpr10
                                        ; implicit-def: $vgpr8
	s_branch .LBB37_58
.LBB37_53:
	v_mov_b32_e32 v10, 0
	v_mov_b32_e32 v8, 0
	s_branch .LBB37_57
.LBB37_54:
	v_mov_b32_e32 v8, 0
                                        ; implicit-def: $vgpr10
	v_mov_b32_e32 v1, v8
	v_mov_b32_e32 v5, v3
	s_and_b32 s6, s27, 3
	s_cmp_eq_u32 s6, 0
	s_cbranch_scc1 .LBB37_57
.LBB37_55:
	s_lshl_b32 s2, s26, 3
	s_add_u32 s2, s34, s2
	s_addc_u32 s3, s35, 0
	s_add_u32 s2, s2, 0xc4
	s_addc_u32 s3, s3, 0
	s_mul_i32 s4, s26, 12
	s_add_u32 s4, s34, s4
	s_addc_u32 s5, s35, 0
.LBB37_56:                              ; =>This Inner Loop Header: Depth=1
	s_load_dwordx2 s[8:9], s[4:5], 0x4
	s_load_dword s7, s[4:5], 0xc
	s_load_dwordx2 s[10:11], s[2:3], 0x0
	v_mov_b32_e32 v10, v1
	s_add_u32 s4, s4, 12
	s_waitcnt lgkmcnt(0)
	v_mul_hi_u32 v1, s9, v5
	v_add_u32_e32 v1, v5, v1
	v_lshrrev_b32_e32 v1, s7, v1
	s_addc_u32 s5, s5, 0
	v_mul_lo_u32 v7, v1, s8
	s_add_u32 s2, s2, 8
	v_sub_u32_e32 v7, v5, v7
	s_addc_u32 s3, s3, 0
	s_add_i32 s6, s6, -1
	v_mad_u64_u32 v[10:11], s[8:9], v7, s11, v[10:11]
	s_cmp_lg_u32 s6, 0
	v_mov_b32_e32 v5, v1
	v_mad_u64_u32 v[8:9], s[8:9], v7, s10, v[8:9]
	v_mov_b32_e32 v1, v10
	s_cbranch_scc1 .LBB37_56
.LBB37_57:
	s_cbranch_execnz .LBB37_60
.LBB37_58:
	s_load_dwordx4 s[4:7], s[34:35], 0x4
	s_load_dwordx2 s[2:3], s[34:35], 0xc4
	s_cmp_lt_u32 s33, 2
	s_waitcnt lgkmcnt(0)
	v_mul_hi_u32 v1, s5, v3
	v_add_u32_e32 v1, v3, v1
	v_lshrrev_b32_e32 v1, s6, v1
	v_mul_lo_u32 v5, v1, s4
	v_sub_u32_e32 v3, v3, v5
	v_mul_lo_u32 v10, v3, s3
	v_mul_lo_u32 v8, v3, s2
	s_cbranch_scc1 .LBB37_60
; %bb.59:
	s_load_dwordx4 s[4:7], s[34:35], 0x10
	s_load_dwordx2 s[2:3], s[34:35], 0xcc
	s_waitcnt lgkmcnt(0)
	v_mul_hi_u32 v3, s5, v1
	v_add_u32_e32 v3, v1, v3
	v_lshrrev_b32_e32 v3, s6, v3
	v_mul_lo_u32 v3, v3, s4
	v_sub_u32_e32 v1, v1, v3
	v_mad_u64_u32 v[8:9], s[4:5], v1, s2, v[8:9]
	v_mad_u64_u32 v[10:11], s[2:3], v1, s3, v[10:11]
.LBB37_60:
	s_and_b64 vcc, exec, s[0:1]
	s_cbranch_vccnz .LBB37_66
; %bb.61:
	s_cmp_lg_u32 s33, 0
	s_waitcnt lgkmcnt(0)
	s_mov_b32 s24, 0
	s_cbranch_scc0 .LBB37_67
; %bb.62:
	s_min_u32 s25, s54, 15
	s_add_i32 s25, s25, 1
	s_cmp_eq_u32 s54, 2
	s_cbranch_scc1 .LBB37_68
; %bb.63:
	s_and_b32 s24, s25, 28
	s_add_u32 s20, s34, 0xc4
	s_addc_u32 s21, s35, 0
	s_mov_b32 s26, 0
	v_mov_b32_e32 v12, 0
	v_mov_b32_e32 v14, 0
	s_mov_b64 s[22:23], s[34:35]
	v_mov_b32_e32 v3, v16
.LBB37_64:                              ; =>This Inner Loop Header: Depth=1
	s_load_dwordx8 s[8:15], s[22:23], 0x4
	s_load_dwordx4 s[16:19], s[22:23], 0x24
	s_load_dwordx8 s[0:7], s[20:21], 0x0
	s_add_u32 s22, s22, 48
	s_addc_u32 s23, s23, 0
	s_waitcnt lgkmcnt(0)
	v_mul_hi_u32 v1, s9, v3
	v_add_u32_e32 v1, v3, v1
	v_lshrrev_b32_e32 v1, s10, v1
	v_mul_lo_u32 v5, v1, s8
	v_mul_hi_u32 v7, s12, v1
	v_sub_u32_e32 v3, v3, v5
	v_add_u32_e32 v5, v1, v7
	v_lshrrev_b32_e32 v5, s13, v5
	v_mul_lo_u32 v9, v5, s11
	v_mul_hi_u32 v11, s15, v5
	v_sub_u32_e32 v1, v1, v9
	v_add_u32_e32 v9, v5, v11
	v_mul_lo_u32 v7, v3, s1
	v_mul_lo_u32 v3, v3, s0
	;; [unrolled: 1-line block ×4, first 2 shown]
	v_lshrrev_b32_e32 v9, s16, v9
	v_add3_u32 v1, v3, v12, v1
	v_add3_u32 v7, v7, v14, v11
	v_mul_lo_u32 v3, v9, s14
	v_mul_hi_u32 v11, s18, v9
	v_sub_u32_e32 v3, v5, v3
	v_add_u32_e32 v5, v9, v11
	v_mul_lo_u32 v11, v3, s4
	v_mul_lo_u32 v12, v3, s5
	v_lshrrev_b32_e32 v3, s19, v5
	s_add_i32 s26, s26, 4
	v_mul_lo_u32 v5, v3, s17
	s_add_u32 s20, s20, 32
	v_sub_u32_e32 v5, v9, v5
	s_addc_u32 s21, s21, 0
	v_mul_lo_u32 v9, v5, s6
	v_mul_lo_u32 v5, v5, s7
	s_cmp_lg_u32 s24, s26
	v_add3_u32 v14, v12, v7, v5
	v_add3_u32 v12, v11, v1, v9
	s_cbranch_scc1 .LBB37_64
; %bb.65:
	v_mov_b32_e32 v1, v14
	s_and_b32 s4, s25, 3
	s_cmp_eq_u32 s4, 0
	s_cbranch_scc0 .LBB37_69
	s_branch .LBB37_71
.LBB37_66:
                                        ; implicit-def: $vgpr14
                                        ; implicit-def: $vgpr12
	s_branch .LBB37_72
.LBB37_67:
	v_mov_b32_e32 v14, 0
	v_mov_b32_e32 v12, 0
	s_branch .LBB37_71
.LBB37_68:
	v_mov_b32_e32 v12, 0
                                        ; implicit-def: $vgpr14
	v_mov_b32_e32 v1, v12
	v_mov_b32_e32 v3, v16
	s_and_b32 s4, s25, 3
	s_cmp_eq_u32 s4, 0
	s_cbranch_scc1 .LBB37_71
.LBB37_69:
	s_lshl_b32 s0, s24, 3
	s_add_u32 s0, s34, s0
	s_addc_u32 s1, s35, 0
	s_add_u32 s0, s0, 0xc4
	s_addc_u32 s1, s1, 0
	s_mul_i32 s2, s24, 12
	s_add_u32 s2, s34, s2
	s_addc_u32 s3, s35, 0
.LBB37_70:                              ; =>This Inner Loop Header: Depth=1
	s_load_dwordx2 s[6:7], s[2:3], 0x4
	s_load_dword s5, s[2:3], 0xc
	s_load_dwordx2 s[8:9], s[0:1], 0x0
	v_mov_b32_e32 v14, v1
	s_add_u32 s2, s2, 12
	s_waitcnt lgkmcnt(0)
	v_mul_hi_u32 v1, s7, v3
	v_add_u32_e32 v1, v3, v1
	v_lshrrev_b32_e32 v1, s5, v1
	s_addc_u32 s3, s3, 0
	v_mul_lo_u32 v5, v1, s6
	s_add_u32 s0, s0, 8
	v_sub_u32_e32 v5, v3, v5
	s_addc_u32 s1, s1, 0
	s_add_i32 s4, s4, -1
	v_mad_u64_u32 v[14:15], s[6:7], v5, s9, v[14:15]
	s_cmp_lg_u32 s4, 0
	v_mov_b32_e32 v3, v1
	v_mad_u64_u32 v[12:13], s[6:7], v5, s8, v[12:13]
	v_mov_b32_e32 v1, v14
	s_cbranch_scc1 .LBB37_70
.LBB37_71:
	s_cbranch_execnz .LBB37_74
.LBB37_72:
	s_load_dwordx4 s[0:3], s[34:35], 0x4
	s_load_dwordx2 s[4:5], s[34:35], 0xc4
	s_cmp_lt_u32 s33, 2
	s_waitcnt lgkmcnt(0)
	v_mul_hi_u32 v1, s1, v16
	v_add_u32_e32 v1, v16, v1
	v_lshrrev_b32_e32 v1, s2, v1
	v_mul_lo_u32 v3, v1, s0
	v_sub_u32_e32 v3, v16, v3
	v_mul_lo_u32 v14, v3, s5
	v_mul_lo_u32 v12, v3, s4
	s_cbranch_scc1 .LBB37_74
; %bb.73:
	s_load_dwordx4 s[0:3], s[34:35], 0x10
	s_load_dwordx2 s[4:5], s[34:35], 0xcc
	s_waitcnt lgkmcnt(0)
	v_mul_hi_u32 v3, s1, v1
	v_add_u32_e32 v3, v1, v3
	v_lshrrev_b32_e32 v3, s2, v3
	v_mul_lo_u32 v3, v3, s0
	v_sub_u32_e32 v1, v1, v3
	v_mad_u64_u32 v[12:13], s[0:1], v1, s4, v[12:13]
	v_mad_u64_u32 v[14:15], s[0:1], v1, s5, v[14:15]
.LBB37_74:
	s_load_dwordx4 s[0:3], s[34:35], 0x148
	s_waitcnt lgkmcnt(0)
	global_load_dwordx2 v[16:17], v2, s[2:3]
	global_load_dwordx2 v[18:19], v6, s[2:3]
	;; [unrolled: 1-line block ×4, first 2 shown]
	s_waitcnt vmcnt(3)
	v_not_b32_e32 v3, v17
	v_not_b32_e32 v2, v16
	s_waitcnt vmcnt(2)
	v_not_b32_e32 v7, v19
	v_not_b32_e32 v6, v18
	;; [unrolled: 3-line block ×4, first 2 shown]
	global_store_dwordx2 v0, v[2:3], s[0:1]
	global_store_dwordx2 v4, v[6:7], s[0:1]
	;; [unrolled: 1-line block ×4, first 2 shown]
	s_endpgm
.LBB37_75:
	v_mov_b32_e32 v2, 0
	v_mov_b32_e32 v0, 0
	s_branch .LBB37_81
.LBB37_76:
	v_mov_b32_e32 v2, 0
	v_mov_b32_e32 v0, 0
	s_branch .LBB37_98
.LBB37_77:
	v_mov_b32_e32 v0, 0
	s_mov_b32 s57, 0
	v_mov_b32_e32 v1, v0
                                        ; implicit-def: $vgpr2
	v_mov_b32_e32 v4, v8
.LBB37_78:
	s_and_b32 s4, s58, 3
	s_cmp_eq_u32 s4, 0
	s_cbranch_scc1 .LBB37_81
; %bb.79:
	s_lshl_b32 s0, s57, 3
	s_add_u32 s0, s34, s0
	s_addc_u32 s1, s35, 0
	s_add_u32 s0, s0, 0xc4
	s_addc_u32 s1, s1, 0
	s_mul_i32 s2, s57, 12
	s_add_u32 s2, s34, s2
	s_addc_u32 s3, s35, 0
.LBB37_80:                              ; =>This Inner Loop Header: Depth=1
	s_load_dwordx2 s[6:7], s[2:3], 0x4
	s_load_dword s5, s[2:3], 0xc
	s_load_dwordx2 s[8:9], s[0:1], 0x0
	v_mov_b32_e32 v2, v1
	s_add_u32 s2, s2, 12
	s_waitcnt lgkmcnt(0)
	v_mul_hi_u32 v1, s7, v4
	v_add_u32_e32 v1, v4, v1
	v_lshrrev_b32_e32 v1, s5, v1
	s_addc_u32 s3, s3, 0
	v_mul_lo_u32 v3, v1, s6
	s_add_u32 s0, s0, 8
	v_sub_u32_e32 v5, v4, v3
	s_addc_u32 s1, s1, 0
	s_add_i32 s4, s4, -1
	v_mov_b32_e32 v4, v1
	v_mad_u64_u32 v[2:3], s[6:7], v5, s9, v[2:3]
	v_mad_u64_u32 v[0:1], s[6:7], v5, s8, v[0:1]
	s_cmp_lg_u32 s4, 0
	v_mov_b32_e32 v1, v2
	s_cbranch_scc1 .LBB37_80
.LBB37_81:
	s_cbranch_execnz .LBB37_84
.LBB37_82:
	s_waitcnt lgkmcnt(0)
	v_mul_hi_u32 v0, s25, v8
	v_add_u32_e32 v0, v8, v0
	v_lshrrev_b32_e32 v1, s26, v0
	v_mul_lo_u32 v0, v1, s24
	v_sub_u32_e32 v0, v8, v0
	v_mul_lo_u32 v2, v0, s21
	s_andn2_b64 vcc, exec, s[42:43]
	v_mul_lo_u32 v0, v0, s20
	s_cbranch_vccnz .LBB37_84
; %bb.83:
	v_mul_hi_u32 v3, s40, v1
	v_add_u32_e32 v3, v1, v3
	v_lshrrev_b32_e32 v3, s41, v3
	v_mul_lo_u32 v3, v3, s27
	v_sub_u32_e32 v3, v1, v3
	v_mad_u64_u32 v[0:1], s[0:1], v3, s22, v[0:1]
	v_mad_u64_u32 v[2:3], s[0:1], v3, s23, v[2:3]
.LBB37_84:
	s_waitcnt lgkmcnt(0)
	global_load_dwordx2 v[2:3], v2, s[18:19]
	v_add_u32_e32 v8, 0x80, v8
	s_waitcnt vmcnt(0)
	v_not_b32_e32 v3, v3
	v_not_b32_e32 v2, v2
	global_store_dwordx2 v0, v[2:3], s[16:17]
	s_or_b64 exec, exec, s[48:49]
	v_cmp_gt_i32_e32 vcc, s55, v8
	s_and_saveexec_b64 s[48:49], vcc
	s_cbranch_execnz .LBB37_16
.LBB37_85:
	s_or_b64 exec, exec, s[48:49]
	v_cmp_gt_i32_e32 vcc, s55, v8
	s_and_saveexec_b64 s[48:49], vcc
	s_cbranch_execz .LBB37_102
.LBB37_86:
	s_andn2_b64 vcc, exec, s[36:37]
	s_cbranch_vccnz .LBB37_92
; %bb.87:
	s_andn2_b64 vcc, exec, s[46:47]
	s_cbranch_vccnz .LBB37_93
; %bb.88:
	s_add_i32 s58, s56, 1
	s_cmp_eq_u32 s54, 2
	s_cbranch_scc1 .LBB37_105
; %bb.89:
	s_and_b32 s57, s58, 28
	s_mov_b32 s59, 0
	v_mov_b32_e32 v0, 0
	v_mov_b32_e32 v2, 0
	s_mov_b64 s[50:51], s[34:35]
	s_mov_b64 s[52:53], s[44:45]
	v_mov_b32_e32 v4, v8
.LBB37_90:                              ; =>This Inner Loop Header: Depth=1
	s_load_dwordx8 s[8:15], s[50:51], 0x4
	s_load_dwordx4 s[28:31], s[50:51], 0x24
	s_load_dwordx8 s[0:7], s[52:53], 0x0
	s_add_u32 s50, s50, 48
	s_addc_u32 s51, s51, 0
	s_waitcnt lgkmcnt(0)
	v_mul_hi_u32 v1, s9, v4
	v_add_u32_e32 v1, v4, v1
	v_lshrrev_b32_e32 v1, s10, v1
	v_mul_lo_u32 v3, v1, s8
	v_mul_hi_u32 v5, s12, v1
	v_sub_u32_e32 v3, v4, v3
	v_add_u32_e32 v4, v1, v5
	v_lshrrev_b32_e32 v4, s13, v4
	v_mul_lo_u32 v6, v4, s11
	v_mul_hi_u32 v7, s15, v4
	v_sub_u32_e32 v1, v1, v6
	v_add_u32_e32 v6, v4, v7
	v_mul_lo_u32 v5, v3, s1
	v_mul_lo_u32 v3, v3, s0
	;; [unrolled: 1-line block ×4, first 2 shown]
	v_lshrrev_b32_e32 v6, s28, v6
	v_add3_u32 v0, v3, v0, v1
	v_mul_hi_u32 v3, s30, v6
	v_add3_u32 v1, v5, v2, v7
	v_mul_lo_u32 v2, v6, s14
	v_add_u32_e32 v3, v6, v3
	v_sub_u32_e32 v2, v4, v2
	v_lshrrev_b32_e32 v4, s31, v3
	s_add_i32 s59, s59, 4
	v_mul_lo_u32 v3, v4, s29
	s_add_u32 s52, s52, 32
	v_sub_u32_e32 v3, v6, v3
	s_addc_u32 s53, s53, 0
	v_mul_lo_u32 v5, v2, s4
	v_mul_lo_u32 v2, v2, s5
	;; [unrolled: 1-line block ×4, first 2 shown]
	s_cmp_eq_u32 s57, s59
	v_add3_u32 v2, v2, v1, v3
	v_add3_u32 v0, v5, v0, v6
	s_cbranch_scc0 .LBB37_90
; %bb.91:
	v_mov_b32_e32 v1, v2
	s_branch .LBB37_106
.LBB37_92:
                                        ; implicit-def: $vgpr2
                                        ; implicit-def: $vgpr0
	s_branch .LBB37_110
.LBB37_93:
	v_mov_b32_e32 v2, 0
	v_mov_b32_e32 v0, 0
	s_branch .LBB37_109
.LBB37_94:
	v_mov_b32_e32 v0, 0
	s_mov_b32 s57, 0
	v_mov_b32_e32 v1, v0
                                        ; implicit-def: $vgpr2
	v_mov_b32_e32 v4, v8
.LBB37_95:
	s_and_b32 s4, s58, 3
	s_cmp_eq_u32 s4, 0
	s_cbranch_scc1 .LBB37_98
; %bb.96:
	s_lshl_b32 s0, s57, 3
	s_add_u32 s0, s34, s0
	s_addc_u32 s1, s35, 0
	s_add_u32 s0, s0, 0xc4
	s_addc_u32 s1, s1, 0
	s_mul_i32 s2, s57, 12
	s_add_u32 s2, s34, s2
	s_addc_u32 s3, s35, 0
.LBB37_97:                              ; =>This Inner Loop Header: Depth=1
	s_load_dwordx2 s[6:7], s[2:3], 0x4
	s_load_dword s5, s[2:3], 0xc
	s_load_dwordx2 s[8:9], s[0:1], 0x0
	v_mov_b32_e32 v2, v1
	s_add_u32 s2, s2, 12
	s_waitcnt lgkmcnt(0)
	v_mul_hi_u32 v1, s7, v4
	v_add_u32_e32 v1, v4, v1
	v_lshrrev_b32_e32 v1, s5, v1
	s_addc_u32 s3, s3, 0
	v_mul_lo_u32 v3, v1, s6
	s_add_u32 s0, s0, 8
	v_sub_u32_e32 v5, v4, v3
	s_addc_u32 s1, s1, 0
	s_add_i32 s4, s4, -1
	v_mov_b32_e32 v4, v1
	v_mad_u64_u32 v[2:3], s[6:7], v5, s9, v[2:3]
	v_mad_u64_u32 v[0:1], s[6:7], v5, s8, v[0:1]
	s_cmp_lg_u32 s4, 0
	v_mov_b32_e32 v1, v2
	s_cbranch_scc1 .LBB37_97
.LBB37_98:
	s_cbranch_execnz .LBB37_101
.LBB37_99:
	s_waitcnt lgkmcnt(0)
	v_mul_hi_u32 v0, s25, v8
	v_add_u32_e32 v0, v8, v0
	v_lshrrev_b32_e32 v1, s26, v0
	v_mul_lo_u32 v0, v1, s24
	v_sub_u32_e32 v0, v8, v0
	v_mul_lo_u32 v2, v0, s21
	s_andn2_b64 vcc, exec, s[42:43]
	v_mul_lo_u32 v0, v0, s20
	s_cbranch_vccnz .LBB37_101
; %bb.100:
	v_mul_hi_u32 v3, s40, v1
	v_add_u32_e32 v3, v1, v3
	v_lshrrev_b32_e32 v3, s41, v3
	v_mul_lo_u32 v3, v3, s27
	v_sub_u32_e32 v3, v1, v3
	v_mad_u64_u32 v[0:1], s[0:1], v3, s22, v[0:1]
	v_mad_u64_u32 v[2:3], s[0:1], v3, s23, v[2:3]
.LBB37_101:
	s_waitcnt lgkmcnt(0)
	global_load_dwordx2 v[2:3], v2, s[18:19]
	v_add_u32_e32 v8, 0x80, v8
	s_waitcnt vmcnt(0)
	v_not_b32_e32 v3, v3
	v_not_b32_e32 v2, v2
	global_store_dwordx2 v0, v[2:3], s[16:17]
	s_or_b64 exec, exec, s[48:49]
	v_cmp_gt_i32_e32 vcc, s55, v8
	s_and_saveexec_b64 s[48:49], vcc
	s_cbranch_execnz .LBB37_86
.LBB37_102:
	s_or_b64 exec, exec, s[48:49]
	v_cmp_gt_i32_e32 vcc, s55, v8
	s_and_saveexec_b64 s[48:49], vcc
	s_cbranch_execnz .LBB37_113
.LBB37_103:
	s_or_b64 exec, exec, s[48:49]
                                        ; implicit-def: $vgpr16
                                        ; implicit-def: $vgpr8
	s_andn2_saveexec_b64 s[0:1], s[38:39]
	s_cbranch_execnz .LBB37_9
.LBB37_104:
	s_endpgm
.LBB37_105:
	v_mov_b32_e32 v0, 0
	s_mov_b32 s57, 0
	v_mov_b32_e32 v1, v0
                                        ; implicit-def: $vgpr2
	v_mov_b32_e32 v4, v8
.LBB37_106:
	s_and_b32 s4, s58, 3
	s_cmp_eq_u32 s4, 0
	s_cbranch_scc1 .LBB37_109
; %bb.107:
	s_lshl_b32 s0, s57, 3
	s_add_u32 s0, s34, s0
	s_addc_u32 s1, s35, 0
	s_add_u32 s0, s0, 0xc4
	s_addc_u32 s1, s1, 0
	s_mul_i32 s2, s57, 12
	s_add_u32 s2, s34, s2
	s_addc_u32 s3, s35, 0
.LBB37_108:                             ; =>This Inner Loop Header: Depth=1
	s_load_dwordx2 s[6:7], s[2:3], 0x4
	s_load_dword s5, s[2:3], 0xc
	s_load_dwordx2 s[8:9], s[0:1], 0x0
	v_mov_b32_e32 v2, v1
	s_add_u32 s2, s2, 12
	s_waitcnt lgkmcnt(0)
	v_mul_hi_u32 v1, s7, v4
	v_add_u32_e32 v1, v4, v1
	v_lshrrev_b32_e32 v1, s5, v1
	s_addc_u32 s3, s3, 0
	v_mul_lo_u32 v3, v1, s6
	s_add_u32 s0, s0, 8
	v_sub_u32_e32 v5, v4, v3
	s_addc_u32 s1, s1, 0
	s_add_i32 s4, s4, -1
	v_mov_b32_e32 v4, v1
	v_mad_u64_u32 v[2:3], s[6:7], v5, s9, v[2:3]
	v_mad_u64_u32 v[0:1], s[6:7], v5, s8, v[0:1]
	s_cmp_lg_u32 s4, 0
	v_mov_b32_e32 v1, v2
	s_cbranch_scc1 .LBB37_108
.LBB37_109:
	s_cbranch_execnz .LBB37_112
.LBB37_110:
	s_waitcnt lgkmcnt(0)
	v_mul_hi_u32 v0, s25, v8
	v_add_u32_e32 v0, v8, v0
	v_lshrrev_b32_e32 v1, s26, v0
	v_mul_lo_u32 v0, v1, s24
	v_sub_u32_e32 v0, v8, v0
	v_mul_lo_u32 v2, v0, s21
	s_andn2_b64 vcc, exec, s[42:43]
	v_mul_lo_u32 v0, v0, s20
	s_cbranch_vccnz .LBB37_112
; %bb.111:
	v_mul_hi_u32 v3, s40, v1
	v_add_u32_e32 v3, v1, v3
	v_lshrrev_b32_e32 v3, s41, v3
	v_mul_lo_u32 v3, v3, s27
	v_sub_u32_e32 v3, v1, v3
	v_mad_u64_u32 v[0:1], s[0:1], v3, s22, v[0:1]
	v_mad_u64_u32 v[2:3], s[0:1], v3, s23, v[2:3]
.LBB37_112:
	s_waitcnt lgkmcnt(0)
	global_load_dwordx2 v[2:3], v2, s[18:19]
	v_add_u32_e32 v8, 0x80, v8
	s_waitcnt vmcnt(0)
	v_not_b32_e32 v3, v3
	v_not_b32_e32 v2, v2
	global_store_dwordx2 v0, v[2:3], s[16:17]
	s_or_b64 exec, exec, s[48:49]
	v_cmp_gt_i32_e32 vcc, s55, v8
	s_and_saveexec_b64 s[48:49], vcc
	s_cbranch_execz .LBB37_103
.LBB37_113:
	s_andn2_b64 vcc, exec, s[36:37]
	s_cbranch_vccnz .LBB37_119
; %bb.114:
	s_andn2_b64 vcc, exec, s[46:47]
	s_cbranch_vccnz .LBB37_120
; %bb.115:
	s_add_i32 s56, s56, 1
	s_cmp_eq_u32 s54, 2
	s_cbranch_scc1 .LBB37_121
; %bb.116:
	s_and_b32 s50, s56, 28
	s_mov_b32 s51, 0
	v_mov_b32_e32 v0, 0
	v_mov_b32_e32 v2, 0
	s_mov_b64 s[46:47], s[34:35]
	v_mov_b32_e32 v4, v8
.LBB37_117:                             ; =>This Inner Loop Header: Depth=1
	s_load_dwordx8 s[8:15], s[46:47], 0x4
	s_load_dwordx4 s[28:31], s[46:47], 0x24
	s_load_dwordx8 s[0:7], s[44:45], 0x0
	s_add_u32 s46, s46, 48
	s_addc_u32 s47, s47, 0
	s_waitcnt lgkmcnt(0)
	v_mul_hi_u32 v1, s9, v4
	v_add_u32_e32 v1, v4, v1
	v_lshrrev_b32_e32 v1, s10, v1
	v_mul_lo_u32 v3, v1, s8
	v_mul_hi_u32 v5, s12, v1
	v_sub_u32_e32 v3, v4, v3
	v_add_u32_e32 v4, v1, v5
	v_lshrrev_b32_e32 v4, s13, v4
	v_mul_lo_u32 v6, v4, s11
	v_mul_hi_u32 v7, s15, v4
	v_sub_u32_e32 v1, v1, v6
	v_add_u32_e32 v6, v4, v7
	v_mul_lo_u32 v5, v3, s1
	v_mul_lo_u32 v3, v3, s0
	v_mul_lo_u32 v7, v1, s3
	v_mul_lo_u32 v1, v1, s2
	v_lshrrev_b32_e32 v6, s28, v6
	v_add3_u32 v0, v3, v0, v1
	v_mul_hi_u32 v3, s30, v6
	v_add3_u32 v1, v5, v2, v7
	v_mul_lo_u32 v2, v6, s14
	v_add_u32_e32 v3, v6, v3
	v_sub_u32_e32 v2, v4, v2
	v_lshrrev_b32_e32 v4, s31, v3
	s_add_i32 s51, s51, 4
	v_mul_lo_u32 v3, v4, s29
	s_add_u32 s44, s44, 32
	v_sub_u32_e32 v3, v6, v3
	s_addc_u32 s45, s45, 0
	v_mul_lo_u32 v5, v2, s4
	v_mul_lo_u32 v2, v2, s5
	;; [unrolled: 1-line block ×4, first 2 shown]
	s_cmp_eq_u32 s50, s51
	v_add3_u32 v2, v2, v1, v3
	v_add3_u32 v0, v5, v0, v6
	s_cbranch_scc0 .LBB37_117
; %bb.118:
	v_mov_b32_e32 v1, v2
	s_branch .LBB37_122
.LBB37_119:
                                        ; implicit-def: $vgpr2
                                        ; implicit-def: $vgpr0
	s_branch .LBB37_126
.LBB37_120:
	v_mov_b32_e32 v2, 0
	v_mov_b32_e32 v0, 0
	s_branch .LBB37_125
.LBB37_121:
	v_mov_b32_e32 v0, 0
	s_mov_b32 s50, 0
	v_mov_b32_e32 v1, v0
                                        ; implicit-def: $vgpr2
	v_mov_b32_e32 v4, v8
.LBB37_122:
	s_and_b32 s4, s56, 3
	s_cmp_eq_u32 s4, 0
	s_cbranch_scc1 .LBB37_125
; %bb.123:
	s_lshl_b32 s0, s50, 3
	s_add_u32 s0, s34, s0
	s_addc_u32 s1, s35, 0
	s_add_u32 s0, s0, 0xc4
	s_addc_u32 s1, s1, 0
	s_mul_i32 s2, s50, 12
	s_add_u32 s2, s34, s2
	s_addc_u32 s3, s35, 0
.LBB37_124:                             ; =>This Inner Loop Header: Depth=1
	s_load_dwordx2 s[6:7], s[2:3], 0x4
	s_load_dword s5, s[2:3], 0xc
	s_load_dwordx2 s[8:9], s[0:1], 0x0
	v_mov_b32_e32 v2, v1
	s_add_u32 s2, s2, 12
	s_waitcnt lgkmcnt(0)
	v_mul_hi_u32 v1, s7, v4
	v_add_u32_e32 v1, v4, v1
	v_lshrrev_b32_e32 v1, s5, v1
	s_addc_u32 s3, s3, 0
	v_mul_lo_u32 v3, v1, s6
	s_add_u32 s0, s0, 8
	v_sub_u32_e32 v5, v4, v3
	s_addc_u32 s1, s1, 0
	s_add_i32 s4, s4, -1
	v_mov_b32_e32 v4, v1
	v_mad_u64_u32 v[2:3], s[6:7], v5, s9, v[2:3]
	v_mad_u64_u32 v[0:1], s[6:7], v5, s8, v[0:1]
	s_cmp_lg_u32 s4, 0
	v_mov_b32_e32 v1, v2
	s_cbranch_scc1 .LBB37_124
.LBB37_125:
	s_cbranch_execnz .LBB37_128
.LBB37_126:
	s_waitcnt lgkmcnt(0)
	v_mul_hi_u32 v0, s25, v8
	v_add_u32_e32 v0, v8, v0
	v_lshrrev_b32_e32 v1, s26, v0
	v_mul_lo_u32 v0, v1, s24
	v_sub_u32_e32 v0, v8, v0
	v_mul_lo_u32 v2, v0, s21
	s_andn2_b64 vcc, exec, s[42:43]
	v_mul_lo_u32 v0, v0, s20
	s_cbranch_vccnz .LBB37_128
; %bb.127:
	v_mul_hi_u32 v3, s40, v1
	v_add_u32_e32 v3, v1, v3
	v_lshrrev_b32_e32 v3, s41, v3
	v_mul_lo_u32 v3, v3, s27
	v_sub_u32_e32 v3, v1, v3
	v_mad_u64_u32 v[0:1], s[0:1], v3, s22, v[0:1]
	v_mad_u64_u32 v[2:3], s[0:1], v3, s23, v[2:3]
.LBB37_128:
	s_waitcnt lgkmcnt(0)
	global_load_dwordx2 v[2:3], v2, s[18:19]
	s_waitcnt vmcnt(0)
	v_not_b32_e32 v3, v3
	v_not_b32_e32 v2, v2
	global_store_dwordx2 v0, v[2:3], s[16:17]
	s_or_b64 exec, exec, s[48:49]
                                        ; implicit-def: $vgpr16
                                        ; implicit-def: $vgpr8
	s_andn2_saveexec_b64 s[0:1], s[38:39]
	s_cbranch_execz .LBB37_104
	s_branch .LBB37_9
	.section	.rodata,"a",@progbits
	.p2align	6, 0x0
	.amdhsa_kernel _ZN2at6native32elementwise_kernel_manual_unrollILi128ELi4EZNS0_22gpu_kernel_impl_nocastIZZZNS0_23bitwise_not_kernel_cudaERNS_18TensorIteratorBaseEENKUlvE_clEvENKUlvE2_clEvEUllE_EEvS4_RKT_EUlibE_EEviT1_
		.amdhsa_group_segment_fixed_size 0
		.amdhsa_private_segment_fixed_size 0
		.amdhsa_kernarg_size 360
		.amdhsa_user_sgpr_count 2
		.amdhsa_user_sgpr_dispatch_ptr 0
		.amdhsa_user_sgpr_queue_ptr 0
		.amdhsa_user_sgpr_kernarg_segment_ptr 1
		.amdhsa_user_sgpr_dispatch_id 0
		.amdhsa_user_sgpr_kernarg_preload_length 0
		.amdhsa_user_sgpr_kernarg_preload_offset 0
		.amdhsa_user_sgpr_private_segment_size 0
		.amdhsa_uses_dynamic_stack 0
		.amdhsa_enable_private_segment 0
		.amdhsa_system_sgpr_workgroup_id_x 1
		.amdhsa_system_sgpr_workgroup_id_y 0
		.amdhsa_system_sgpr_workgroup_id_z 0
		.amdhsa_system_sgpr_workgroup_info 0
		.amdhsa_system_vgpr_workitem_id 0
		.amdhsa_next_free_vgpr 24
		.amdhsa_next_free_sgpr 60
		.amdhsa_accum_offset 24
		.amdhsa_reserve_vcc 1
		.amdhsa_float_round_mode_32 0
		.amdhsa_float_round_mode_16_64 0
		.amdhsa_float_denorm_mode_32 3
		.amdhsa_float_denorm_mode_16_64 3
		.amdhsa_dx10_clamp 1
		.amdhsa_ieee_mode 1
		.amdhsa_fp16_overflow 0
		.amdhsa_tg_split 0
		.amdhsa_exception_fp_ieee_invalid_op 0
		.amdhsa_exception_fp_denorm_src 0
		.amdhsa_exception_fp_ieee_div_zero 0
		.amdhsa_exception_fp_ieee_overflow 0
		.amdhsa_exception_fp_ieee_underflow 0
		.amdhsa_exception_fp_ieee_inexact 0
		.amdhsa_exception_int_div_zero 0
	.end_amdhsa_kernel
	.section	.text._ZN2at6native32elementwise_kernel_manual_unrollILi128ELi4EZNS0_22gpu_kernel_impl_nocastIZZZNS0_23bitwise_not_kernel_cudaERNS_18TensorIteratorBaseEENKUlvE_clEvENKUlvE2_clEvEUllE_EEvS4_RKT_EUlibE_EEviT1_,"axG",@progbits,_ZN2at6native32elementwise_kernel_manual_unrollILi128ELi4EZNS0_22gpu_kernel_impl_nocastIZZZNS0_23bitwise_not_kernel_cudaERNS_18TensorIteratorBaseEENKUlvE_clEvENKUlvE2_clEvEUllE_EEvS4_RKT_EUlibE_EEviT1_,comdat
.Lfunc_end37:
	.size	_ZN2at6native32elementwise_kernel_manual_unrollILi128ELi4EZNS0_22gpu_kernel_impl_nocastIZZZNS0_23bitwise_not_kernel_cudaERNS_18TensorIteratorBaseEENKUlvE_clEvENKUlvE2_clEvEUllE_EEvS4_RKT_EUlibE_EEviT1_, .Lfunc_end37-_ZN2at6native32elementwise_kernel_manual_unrollILi128ELi4EZNS0_22gpu_kernel_impl_nocastIZZZNS0_23bitwise_not_kernel_cudaERNS_18TensorIteratorBaseEENKUlvE_clEvENKUlvE2_clEvEUllE_EEvS4_RKT_EUlibE_EEviT1_
                                        ; -- End function
	.set _ZN2at6native32elementwise_kernel_manual_unrollILi128ELi4EZNS0_22gpu_kernel_impl_nocastIZZZNS0_23bitwise_not_kernel_cudaERNS_18TensorIteratorBaseEENKUlvE_clEvENKUlvE2_clEvEUllE_EEvS4_RKT_EUlibE_EEviT1_.num_vgpr, 24
	.set _ZN2at6native32elementwise_kernel_manual_unrollILi128ELi4EZNS0_22gpu_kernel_impl_nocastIZZZNS0_23bitwise_not_kernel_cudaERNS_18TensorIteratorBaseEENKUlvE_clEvENKUlvE2_clEvEUllE_EEvS4_RKT_EUlibE_EEviT1_.num_agpr, 0
	.set _ZN2at6native32elementwise_kernel_manual_unrollILi128ELi4EZNS0_22gpu_kernel_impl_nocastIZZZNS0_23bitwise_not_kernel_cudaERNS_18TensorIteratorBaseEENKUlvE_clEvENKUlvE2_clEvEUllE_EEvS4_RKT_EUlibE_EEviT1_.numbered_sgpr, 60
	.set _ZN2at6native32elementwise_kernel_manual_unrollILi128ELi4EZNS0_22gpu_kernel_impl_nocastIZZZNS0_23bitwise_not_kernel_cudaERNS_18TensorIteratorBaseEENKUlvE_clEvENKUlvE2_clEvEUllE_EEvS4_RKT_EUlibE_EEviT1_.num_named_barrier, 0
	.set _ZN2at6native32elementwise_kernel_manual_unrollILi128ELi4EZNS0_22gpu_kernel_impl_nocastIZZZNS0_23bitwise_not_kernel_cudaERNS_18TensorIteratorBaseEENKUlvE_clEvENKUlvE2_clEvEUllE_EEvS4_RKT_EUlibE_EEviT1_.private_seg_size, 0
	.set _ZN2at6native32elementwise_kernel_manual_unrollILi128ELi4EZNS0_22gpu_kernel_impl_nocastIZZZNS0_23bitwise_not_kernel_cudaERNS_18TensorIteratorBaseEENKUlvE_clEvENKUlvE2_clEvEUllE_EEvS4_RKT_EUlibE_EEviT1_.uses_vcc, 1
	.set _ZN2at6native32elementwise_kernel_manual_unrollILi128ELi4EZNS0_22gpu_kernel_impl_nocastIZZZNS0_23bitwise_not_kernel_cudaERNS_18TensorIteratorBaseEENKUlvE_clEvENKUlvE2_clEvEUllE_EEvS4_RKT_EUlibE_EEviT1_.uses_flat_scratch, 0
	.set _ZN2at6native32elementwise_kernel_manual_unrollILi128ELi4EZNS0_22gpu_kernel_impl_nocastIZZZNS0_23bitwise_not_kernel_cudaERNS_18TensorIteratorBaseEENKUlvE_clEvENKUlvE2_clEvEUllE_EEvS4_RKT_EUlibE_EEviT1_.has_dyn_sized_stack, 0
	.set _ZN2at6native32elementwise_kernel_manual_unrollILi128ELi4EZNS0_22gpu_kernel_impl_nocastIZZZNS0_23bitwise_not_kernel_cudaERNS_18TensorIteratorBaseEENKUlvE_clEvENKUlvE2_clEvEUllE_EEvS4_RKT_EUlibE_EEviT1_.has_recursion, 0
	.set _ZN2at6native32elementwise_kernel_manual_unrollILi128ELi4EZNS0_22gpu_kernel_impl_nocastIZZZNS0_23bitwise_not_kernel_cudaERNS_18TensorIteratorBaseEENKUlvE_clEvENKUlvE2_clEvEUllE_EEvS4_RKT_EUlibE_EEviT1_.has_indirect_call, 0
	.section	.AMDGPU.csdata,"",@progbits
; Kernel info:
; codeLenInByte = 5840
; TotalNumSgprs: 66
; NumVgprs: 24
; NumAgprs: 0
; TotalNumVgprs: 24
; ScratchSize: 0
; MemoryBound: 0
; FloatMode: 240
; IeeeMode: 1
; LDSByteSize: 0 bytes/workgroup (compile time only)
; SGPRBlocks: 8
; VGPRBlocks: 2
; NumSGPRsForWavesPerEU: 66
; NumVGPRsForWavesPerEU: 24
; AccumOffset: 24
; Occupancy: 8
; WaveLimiterHint : 1
; COMPUTE_PGM_RSRC2:SCRATCH_EN: 0
; COMPUTE_PGM_RSRC2:USER_SGPR: 2
; COMPUTE_PGM_RSRC2:TRAP_HANDLER: 0
; COMPUTE_PGM_RSRC2:TGID_X_EN: 1
; COMPUTE_PGM_RSRC2:TGID_Y_EN: 0
; COMPUTE_PGM_RSRC2:TGID_Z_EN: 0
; COMPUTE_PGM_RSRC2:TIDIG_COMP_CNT: 0
; COMPUTE_PGM_RSRC3_GFX90A:ACCUM_OFFSET: 5
; COMPUTE_PGM_RSRC3_GFX90A:TG_SPLIT: 0
	.section	.text._ZN2at6native32elementwise_kernel_manual_unrollILi128ELi4EZNS0_15gpu_kernel_implIZZZNS0_23bitwise_not_kernel_cudaERNS_18TensorIteratorBaseEENKUlvE_clEvENKUlvE2_clEvEUllE_EEvS4_RKT_EUlibE_EEviT1_,"axG",@progbits,_ZN2at6native32elementwise_kernel_manual_unrollILi128ELi4EZNS0_15gpu_kernel_implIZZZNS0_23bitwise_not_kernel_cudaERNS_18TensorIteratorBaseEENKUlvE_clEvENKUlvE2_clEvEUllE_EEvS4_RKT_EUlibE_EEviT1_,comdat
	.globl	_ZN2at6native32elementwise_kernel_manual_unrollILi128ELi4EZNS0_15gpu_kernel_implIZZZNS0_23bitwise_not_kernel_cudaERNS_18TensorIteratorBaseEENKUlvE_clEvENKUlvE2_clEvEUllE_EEvS4_RKT_EUlibE_EEviT1_ ; -- Begin function _ZN2at6native32elementwise_kernel_manual_unrollILi128ELi4EZNS0_15gpu_kernel_implIZZZNS0_23bitwise_not_kernel_cudaERNS_18TensorIteratorBaseEENKUlvE_clEvENKUlvE2_clEvEUllE_EEvS4_RKT_EUlibE_EEviT1_
	.p2align	8
	.type	_ZN2at6native32elementwise_kernel_manual_unrollILi128ELi4EZNS0_15gpu_kernel_implIZZZNS0_23bitwise_not_kernel_cudaERNS_18TensorIteratorBaseEENKUlvE_clEvENKUlvE2_clEvEUllE_EEvS4_RKT_EUlibE_EEviT1_,@function
_ZN2at6native32elementwise_kernel_manual_unrollILi128ELi4EZNS0_15gpu_kernel_implIZZZNS0_23bitwise_not_kernel_cudaERNS_18TensorIteratorBaseEENKUlvE_clEvENKUlvE2_clEvEUllE_EEvS4_RKT_EUlibE_EEviT1_: ; @_ZN2at6native32elementwise_kernel_manual_unrollILi128ELi4EZNS0_15gpu_kernel_implIZZZNS0_23bitwise_not_kernel_cudaERNS_18TensorIteratorBaseEENKUlvE_clEvENKUlvE2_clEvEUllE_EEvS4_RKT_EUlibE_EEviT1_
; %bb.0:
	v_mov_b32_e32 v1, 0
	global_load_ushort v1, v1, s[0:1] offset:33
	s_load_dwordx4 s[4:7], s[0:1], 0x8
	s_load_dwordx2 s[8:9], s[0:1], 0x18
	s_load_dword s38, s[0:1], 0x0
	v_lshl_or_b32 v12, s2, 9, v0
	v_or_b32_e32 v0, 0x180, v12
	s_mov_b64 s[10:11], 0
	s_mov_b64 s[12:13], 0
	s_waitcnt lgkmcnt(0)
	v_cmp_le_i32_e32 vcc, s38, v0
	s_waitcnt vmcnt(0)
	v_readfirstlane_b32 s33, v1
	s_and_b32 s0, 0xffff, s33
	s_lshr_b32 s42, s0, 8
	s_and_saveexec_b64 s[0:1], vcc
	s_xor_b64 s[2:3], exec, s[0:1]
	s_cbranch_execz .LBB38_1011
; %bb.1:
	v_cmp_gt_i32_e32 vcc, s38, v12
	s_mov_b64 s[18:19], -1
	s_mov_b64 s[20:21], 0
	s_mov_b64 s[14:15], 0
	s_and_saveexec_b64 s[16:17], vcc
	s_cbranch_execz .LBB38_248
; %bb.2:
	v_mul_lo_u32 v0, v12, s9
	v_ashrrev_i32_e32 v1, 31, v0
	s_and_b32 s18, 0xffff, s42
	s_cmp_lt_i32 s18, 11
	v_lshl_add_u64 v[2:3], s[6:7], 0, v[0:1]
	s_cbranch_scc1 .LBB38_9
; %bb.3:
	s_cmp_gt_i32 s18, 25
	s_cbranch_scc0 .LBB38_18
; %bb.4:
	s_cmp_gt_i32 s18, 28
	s_cbranch_scc0 .LBB38_22
	;; [unrolled: 3-line block ×4, first 2 shown]
; %bb.7:
	s_cmp_eq_u32 s18, 46
	s_cbranch_scc0 .LBB38_28
; %bb.8:
	global_load_dword v0, v[2:3], off
	s_mov_b32 s0, 0x2f800000
	s_mov_b32 s1, 0xcf800000
	s_waitcnt vmcnt(0)
	v_lshlrev_b32_e32 v0, 16, v0
	v_trunc_f32_e32 v0, v0
	v_mul_f32_e64 v1, |v0|, s0
	v_floor_f32_e32 v1, v1
	v_fma_f32 v4, v1, s1, |v0|
	v_cvt_u32_f32_e32 v4, v4
	v_cvt_u32_f32_e32 v1, v1
	v_ashrrev_i32_e32 v5, 31, v0
	s_mov_b64 s[0:1], -1
	v_xor_b32_e32 v0, v4, v5
	v_xor_b32_e32 v1, v1, v5
	v_sub_co_u32_e32 v0, vcc, v0, v5
	s_nop 1
	v_subb_co_u32_e32 v1, vcc, v1, v5, vcc
	s_branch .LBB38_30
.LBB38_9:
                                        ; implicit-def: $vgpr0_vgpr1
	s_mov_b64 s[0:1], 0
	s_cbranch_execnz .LBB38_199
.LBB38_10:
	s_andn2_b64 vcc, exec, s[0:1]
	s_cbranch_vccnz .LBB38_246
.LBB38_11:
	v_mul_lo_u32 v4, v12, s8
	v_ashrrev_i32_e32 v5, 31, v4
	s_and_b32 s24, s33, 0xff
	s_waitcnt vmcnt(0)
	v_not_b32_e32 v3, v1
	v_not_b32_e32 v2, v0
	s_cmp_lt_i32 s24, 11
	v_lshl_add_u64 v[4:5], s[4:5], 0, v[4:5]
	s_cbranch_scc1 .LBB38_19
; %bb.12:
	s_and_b32 s25, 0xffff, s24
	s_cmp_gt_i32 s25, 25
	s_cbranch_scc0 .LBB38_23
; %bb.13:
	s_cmp_gt_i32 s25, 28
	s_cbranch_scc0 .LBB38_25
; %bb.14:
	s_cmp_gt_i32 s25, 43
	s_cbranch_scc0 .LBB38_27
; %bb.15:
	s_cmp_gt_i32 s25, 45
	s_cbranch_scc0 .LBB38_33
; %bb.16:
	s_mov_b64 s[18:19], 0
	s_mov_b64 s[0:1], -1
	s_cmp_eq_u32 s25, 46
	s_mov_b64 s[12:13], 0
	s_cbranch_scc0 .LBB38_34
; %bb.17:
	v_xor_b32_e32 v7, v2, v3
	v_ffbh_i32_e32 v6, v3
	v_ashrrev_i32_e32 v7, 31, v7
	v_add_u32_e32 v6, -1, v6
	v_add_u32_e32 v7, 32, v7
	v_min_u32_e32 v8, v6, v7
	v_lshlrev_b64 v[6:7], v8, v[2:3]
	v_min_u32_e32 v6, 1, v6
	v_or_b32_e32 v6, v7, v6
	v_cvt_f32_i32_e32 v6, v6
	v_sub_u32_e32 v7, 32, v8
	s_movk_i32 s0, 0x7fff
	s_mov_b64 s[12:13], -1
	v_ldexp_f32 v6, v6, v7
	v_bfe_u32 v7, v6, 16, 1
	v_add3_u32 v6, v6, v7, s0
	v_lshrrev_b32_e32 v6, 16, v6
	global_store_dword v[4:5], v6, off
	s_mov_b64 s[0:1], 0
	s_branch .LBB38_34
.LBB38_18:
	s_mov_b64 s[0:1], 0
                                        ; implicit-def: $vgpr0_vgpr1
	s_cbranch_execnz .LBB38_166
	s_branch .LBB38_198
.LBB38_19:
	s_mov_b64 s[0:1], 0
	s_mov_b64 s[12:13], 0
	s_cbranch_execnz .LBB38_103
.LBB38_20:
	s_andn2_b64 vcc, exec, s[12:13]
	s_cbranch_vccnz .LBB38_141
.LBB38_21:
	v_add_u32_e32 v12, 0x80, v12
	s_mov_b64 s[18:19], -1
	s_branch .LBB38_247
.LBB38_22:
	s_mov_b64 s[12:13], -1
	s_mov_b64 s[0:1], 0
                                        ; implicit-def: $vgpr0_vgpr1
	s_branch .LBB38_149
.LBB38_23:
	s_mov_b64 s[18:19], -1
	s_mov_b64 s[0:1], 0
	s_mov_b64 s[12:13], 0
	s_branch .LBB38_61
.LBB38_24:
	s_mov_b64 s[12:13], -1
	s_mov_b64 s[0:1], 0
                                        ; implicit-def: $vgpr0_vgpr1
	s_branch .LBB38_144
.LBB38_25:
	s_mov_b64 s[18:19], -1
	s_mov_b64 s[0:1], 0
	s_mov_b64 s[12:13], 0
	s_branch .LBB38_44
.LBB38_26:
	s_mov_b64 s[12:13], -1
	s_branch .LBB38_29
.LBB38_27:
	s_mov_b64 s[18:19], -1
	s_mov_b64 s[0:1], 0
	s_mov_b64 s[12:13], 0
	s_branch .LBB38_40
.LBB38_28:
	s_mov_b64 s[14:15], -1
.LBB38_29:
	s_mov_b64 s[0:1], 0
                                        ; implicit-def: $vgpr0_vgpr1
.LBB38_30:
	s_and_b64 vcc, exec, s[12:13]
	s_cbranch_vccz .LBB38_143
; %bb.31:
	s_cmp_eq_u32 s18, 44
	s_cbranch_scc0 .LBB38_142
; %bb.32:
	global_load_ubyte v0, v[2:3], off
	s_mov_b32 s0, 0x2f800000
	s_mov_b32 s1, 0xcf800000
	s_mov_b64 s[14:15], 0
	s_waitcnt vmcnt(0)
	v_lshlrev_b32_e32 v1, 23, v0
	v_trunc_f32_e32 v1, v1
	v_mul_f32_e64 v4, |v1|, s0
	v_floor_f32_e32 v4, v4
	v_fma_f32 v5, v4, s1, |v1|
	v_cvt_u32_f32_e32 v5, v5
	v_cvt_u32_f32_e32 v4, v4
	v_ashrrev_i32_e32 v1, 31, v1
	s_mov_b64 s[0:1], -1
	v_xor_b32_e32 v5, v5, v1
	v_xor_b32_e32 v4, v4, v1
	v_sub_co_u32_e32 v5, vcc, v5, v1
	s_nop 1
	v_subb_co_u32_e32 v1, vcc, v4, v1, vcc
	v_cmp_ne_u32_e32 vcc, 0, v0
	s_nop 1
	v_cndmask_b32_e32 v1, 0, v1, vcc
	v_cndmask_b32_e32 v0, 0, v5, vcc
	s_branch .LBB38_143
.LBB38_33:
	s_mov_b64 s[18:19], -1
	s_mov_b64 s[0:1], 0
	s_mov_b64 s[12:13], 0
.LBB38_34:
	s_and_b64 vcc, exec, s[18:19]
	s_cbranch_vccz .LBB38_39
; %bb.35:
	s_cmp_eq_u32 s25, 44
	s_mov_b64 s[0:1], -1
	s_cbranch_scc0 .LBB38_39
; %bb.36:
	v_xor_b32_e32 v7, v2, v3
	v_ffbh_i32_e32 v6, v3
	v_ashrrev_i32_e32 v7, 31, v7
	v_add_u32_e32 v6, -1, v6
	v_add_u32_e32 v7, 32, v7
	v_min_u32_e32 v8, v6, v7
	v_lshlrev_b64 v[6:7], v8, v[2:3]
	v_min_u32_e32 v6, 1, v6
	v_or_b32_e32 v6, v7, v6
	v_cvt_f32_i32_e32 v6, v6
	v_sub_u32_e32 v7, 32, v8
	s_movk_i32 s0, 0xff
	v_mov_b32_e32 v8, 0xff
	v_ldexp_f32 v6, v6, v7
	v_bfe_u32 v7, v6, 23, 8
	v_cmp_ne_u32_e32 vcc, s0, v7
	s_and_saveexec_b64 s[12:13], vcc
; %bb.37:
	s_mov_b32 s0, 0x3fffff
	v_lshrrev_b32_e32 v8, 23, v6
	v_and_b32_e32 v9, 0x400000, v6
	v_and_or_b32 v6, v6, s0, v7
	v_cmp_ne_u32_e32 vcc, 0, v9
	v_cmp_ne_u32_e64 s[0:1], 0, v6
	s_and_b64 s[0:1], vcc, s[0:1]
	s_nop 0
	v_cndmask_b32_e64 v6, 0, 1, s[0:1]
	v_add_u32_e32 v8, v8, v6
; %bb.38:
	s_or_b64 exec, exec, s[12:13]
	s_mov_b64 s[12:13], -1
	s_mov_b64 s[0:1], 0
	global_store_byte v[4:5], v8, off
.LBB38_39:
	s_mov_b64 s[18:19], 0
.LBB38_40:
	s_and_b64 vcc, exec, s[18:19]
	s_cbranch_vccz .LBB38_43
; %bb.41:
	s_cmp_eq_u32 s25, 29
	s_mov_b64 s[0:1], -1
	s_cbranch_scc0 .LBB38_43
; %bb.42:
	global_store_dwordx2 v[4:5], v[2:3], off
	s_mov_b64 s[12:13], -1
	s_mov_b64 s[0:1], 0
.LBB38_43:
	s_mov_b64 s[18:19], 0
.LBB38_44:
	s_and_b64 vcc, exec, s[18:19]
	s_cbranch_vccz .LBB38_60
; %bb.45:
	s_cmp_lt_i32 s25, 27
	s_mov_b64 s[12:13], -1
	s_cbranch_scc1 .LBB38_51
; %bb.46:
	s_cmp_gt_i32 s25, 27
	s_cbranch_scc0 .LBB38_48
; %bb.47:
	s_mov_b64 s[12:13], 0
	global_store_dword v[4:5], v2, off
.LBB38_48:
	s_andn2_b64 vcc, exec, s[12:13]
	s_cbranch_vccnz .LBB38_50
; %bb.49:
	global_store_short v[4:5], v2, off
.LBB38_50:
	s_mov_b64 s[12:13], 0
.LBB38_51:
	s_andn2_b64 vcc, exec, s[12:13]
	s_cbranch_vccnz .LBB38_59
; %bb.52:
	v_xor_b32_e32 v7, v2, v3
	v_ffbh_i32_e32 v6, v3
	v_ashrrev_i32_e32 v7, 31, v7
	v_add_u32_e32 v6, -1, v6
	v_add_u32_e32 v7, 32, v7
	v_min_u32_e32 v8, v6, v7
	v_lshlrev_b64 v[6:7], v8, v[2:3]
	v_min_u32_e32 v6, 1, v6
	v_or_b32_e32 v6, v7, v6
	v_cvt_f32_i32_e32 v6, v6
	v_sub_u32_e32 v7, 32, v8
	s_mov_b32 s12, 0x43800000
	v_mov_b32_e32 v8, 0x80
	v_ldexp_f32 v6, v6, v7
	v_and_b32_e32 v7, 0x7fffffff, v6
	v_cmp_gt_u32_e32 vcc, s12, v7
	s_and_saveexec_b64 s[12:13], vcc
	s_cbranch_execz .LBB38_58
; %bb.53:
	s_mov_b32 s18, 0x3bffffff
	v_cmp_lt_u32_e32 vcc, s18, v7
	s_mov_b64 s[18:19], 0
                                        ; implicit-def: $vgpr7
	s_and_saveexec_b64 s[22:23], vcc
	s_xor_b64 s[22:23], exec, s[22:23]
	s_cbranch_execz .LBB38_275
; %bb.54:
	v_bfe_u32 v7, v6, 20, 1
	s_mov_b32 s26, 0x487ffff
	v_add3_u32 v7, v6, v7, s26
	s_mov_b64 s[18:19], exec
	v_lshrrev_b32_e32 v7, 20, v7
	s_andn2_saveexec_b64 s[22:23], s[22:23]
	s_cbranch_execnz .LBB38_276
.LBB38_55:
	s_or_b64 exec, exec, s[22:23]
	v_mov_b32_e32 v8, 0
	s_and_saveexec_b64 s[22:23], s[18:19]
.LBB38_56:
	v_lshrrev_b32_e32 v6, 24, v6
	s_movk_i32 s18, 0x80
	v_and_or_b32 v8, v6, s18, v7
.LBB38_57:
	s_or_b64 exec, exec, s[22:23]
.LBB38_58:
	s_or_b64 exec, exec, s[12:13]
	global_store_byte v[4:5], v8, off
.LBB38_59:
	s_mov_b64 s[12:13], -1
.LBB38_60:
	s_mov_b64 s[18:19], 0
.LBB38_61:
	s_and_b64 vcc, exec, s[18:19]
	s_cbranch_vccz .LBB38_102
; %bb.62:
	s_cmp_gt_i32 s25, 22
	s_mov_b64 s[18:19], -1
	s_cbranch_scc0 .LBB38_94
; %bb.63:
	s_cmp_lt_i32 s25, 24
	s_mov_b64 s[12:13], -1
	s_cbranch_scc1 .LBB38_83
; %bb.64:
	s_cmp_gt_i32 s25, 24
	s_cbranch_scc0 .LBB38_72
; %bb.65:
	v_xor_b32_e32 v7, v2, v3
	v_ffbh_i32_e32 v6, v3
	v_ashrrev_i32_e32 v7, 31, v7
	v_add_u32_e32 v6, -1, v6
	v_add_u32_e32 v7, 32, v7
	v_min_u32_e32 v8, v6, v7
	v_lshlrev_b64 v[6:7], v8, v[2:3]
	v_min_u32_e32 v6, 1, v6
	v_or_b32_e32 v6, v7, v6
	v_cvt_f32_i32_e32 v6, v6
	v_sub_u32_e32 v7, 32, v8
	s_mov_b32 s12, 0x47800000
	v_mov_b32_e32 v8, 0x80
	v_ldexp_f32 v6, v6, v7
	v_and_b32_e32 v7, 0x7fffffff, v6
	v_cmp_gt_u32_e32 vcc, s12, v7
	s_and_saveexec_b64 s[12:13], vcc
	s_cbranch_execz .LBB38_71
; %bb.66:
	s_mov_b32 s18, 0x37ffffff
	v_cmp_lt_u32_e32 vcc, s18, v7
	s_mov_b64 s[18:19], 0
                                        ; implicit-def: $vgpr7
	s_and_saveexec_b64 s[22:23], vcc
	s_xor_b64 s[22:23], exec, s[22:23]
	s_cbranch_execz .LBB38_279
; %bb.67:
	v_bfe_u32 v7, v6, 21, 1
	s_mov_b32 s26, 0x88fffff
	v_add3_u32 v7, v6, v7, s26
	s_mov_b64 s[18:19], exec
	v_lshrrev_b32_e32 v7, 21, v7
	s_andn2_saveexec_b64 s[22:23], s[22:23]
	s_cbranch_execnz .LBB38_280
.LBB38_68:
	s_or_b64 exec, exec, s[22:23]
	v_mov_b32_e32 v8, 0
	s_and_saveexec_b64 s[22:23], s[18:19]
.LBB38_69:
	v_lshrrev_b32_e32 v6, 24, v6
	s_movk_i32 s18, 0x80
	v_and_or_b32 v8, v6, s18, v7
.LBB38_70:
	s_or_b64 exec, exec, s[22:23]
.LBB38_71:
	s_or_b64 exec, exec, s[12:13]
	s_mov_b64 s[12:13], 0
	global_store_byte v[4:5], v8, off
.LBB38_72:
	s_and_b64 vcc, exec, s[12:13]
	s_cbranch_vccz .LBB38_82
; %bb.73:
	v_xor_b32_e32 v7, v2, v3
	v_ffbh_i32_e32 v6, v3
	v_ashrrev_i32_e32 v7, 31, v7
	v_add_u32_e32 v6, -1, v6
	v_add_u32_e32 v7, 32, v7
	v_min_u32_e32 v8, v6, v7
	v_lshlrev_b64 v[6:7], v8, v[2:3]
	v_min_u32_e32 v6, 1, v6
	v_or_b32_e32 v6, v7, v6
	v_cvt_f32_i32_e32 v6, v6
	v_sub_u32_e32 v7, 32, v8
	s_mov_b32 s12, 0x43f00000
	v_ldexp_f32 v6, v6, v7
	v_and_b32_e32 v8, 0x7fffffff, v6
	v_cmp_gt_u32_e32 vcc, s12, v8
                                        ; implicit-def: $vgpr7
	s_and_saveexec_b64 s[12:13], vcc
	s_xor_b64 s[12:13], exec, s[12:13]
	s_cbranch_execz .LBB38_79
; %bb.74:
	s_mov_b32 s18, 0x3c7fffff
	v_cmp_lt_u32_e32 vcc, s18, v8
                                        ; implicit-def: $vgpr7
	s_and_saveexec_b64 s[18:19], vcc
	s_xor_b64 s[18:19], exec, s[18:19]
; %bb.75:
	v_bfe_u32 v7, v6, 20, 1
	s_mov_b32 s22, 0x407ffff
	v_add3_u32 v7, v6, v7, s22
	v_lshrrev_b32_e32 v8, 20, v7
	v_and_b32_e32 v7, 0xff00000, v7
	s_mov_b32 s22, 0x7f00000
	v_mov_b32_e32 v9, 0x7e
	v_cmp_ne_u32_e32 vcc, s22, v7
	s_nop 1
	v_cndmask_b32_e32 v7, v9, v8, vcc
; %bb.76:
	s_andn2_saveexec_b64 s[18:19], s[18:19]
; %bb.77:
	s_mov_b32 s22, 0x46800000
	v_add_f32_e64 v7, |v6|, s22
; %bb.78:
	s_or_b64 exec, exec, s[18:19]
                                        ; implicit-def: $vgpr8
.LBB38_79:
	s_andn2_saveexec_b64 s[12:13], s[12:13]
; %bb.80:
	s_mov_b32 s18, 0x7f800000
	v_mov_b32_e32 v7, 0x7e
	v_mov_b32_e32 v9, 0x7f
	v_cmp_lt_u32_e32 vcc, s18, v8
	s_nop 1
	v_cndmask_b32_e32 v7, v7, v9, vcc
; %bb.81:
	s_or_b64 exec, exec, s[12:13]
	v_lshrrev_b32_e32 v6, 24, v6
	s_movk_i32 s12, 0x80
	v_and_or_b32 v6, v6, s12, v7
	global_store_byte v[4:5], v6, off
.LBB38_82:
	s_mov_b64 s[12:13], 0
.LBB38_83:
	s_andn2_b64 vcc, exec, s[12:13]
	s_cbranch_vccnz .LBB38_93
; %bb.84:
	v_xor_b32_e32 v7, v2, v3
	v_ffbh_i32_e32 v6, v3
	v_ashrrev_i32_e32 v7, 31, v7
	v_add_u32_e32 v6, -1, v6
	v_add_u32_e32 v7, 32, v7
	v_min_u32_e32 v8, v6, v7
	v_lshlrev_b64 v[6:7], v8, v[2:3]
	v_min_u32_e32 v6, 1, v6
	v_or_b32_e32 v6, v7, v6
	v_cvt_f32_i32_e32 v6, v6
	v_sub_u32_e32 v7, 32, v8
	s_mov_b32 s12, 0x47800000
	v_ldexp_f32 v6, v6, v7
	v_and_b32_e32 v8, 0x7fffffff, v6
	v_cmp_gt_u32_e32 vcc, s12, v8
                                        ; implicit-def: $vgpr7
	s_and_saveexec_b64 s[12:13], vcc
	s_xor_b64 s[12:13], exec, s[12:13]
	s_cbranch_execz .LBB38_90
; %bb.85:
	s_mov_b32 s18, 0x387fffff
	v_cmp_lt_u32_e32 vcc, s18, v8
                                        ; implicit-def: $vgpr7
	s_and_saveexec_b64 s[18:19], vcc
	s_xor_b64 s[18:19], exec, s[18:19]
; %bb.86:
	v_bfe_u32 v7, v6, 21, 1
	s_mov_b32 s22, 0x80fffff
	v_add3_u32 v7, v6, v7, s22
	v_lshrrev_b32_e32 v7, 21, v7
; %bb.87:
	s_andn2_saveexec_b64 s[18:19], s[18:19]
; %bb.88:
	s_mov_b32 s22, 0x43000000
	v_add_f32_e64 v7, |v6|, s22
; %bb.89:
	s_or_b64 exec, exec, s[18:19]
                                        ; implicit-def: $vgpr8
.LBB38_90:
	s_andn2_saveexec_b64 s[12:13], s[12:13]
; %bb.91:
	s_mov_b32 s18, 0x7f800000
	v_mov_b32_e32 v7, 0x7c
	v_mov_b32_e32 v9, 0x7f
	v_cmp_lt_u32_e32 vcc, s18, v8
	s_nop 1
	v_cndmask_b32_e32 v7, v7, v9, vcc
; %bb.92:
	s_or_b64 exec, exec, s[12:13]
	v_lshrrev_b32_e32 v6, 24, v6
	s_movk_i32 s12, 0x80
	v_and_or_b32 v6, v6, s12, v7
	global_store_byte v[4:5], v6, off
.LBB38_93:
	s_mov_b64 s[18:19], 0
	s_mov_b64 s[12:13], -1
.LBB38_94:
	s_andn2_b64 vcc, exec, s[18:19]
	s_cbranch_vccnz .LBB38_102
; %bb.95:
	s_cmp_gt_i32 s25, 14
	s_mov_b64 s[18:19], -1
	s_cbranch_scc0 .LBB38_99
; %bb.96:
	s_cmp_eq_u32 s25, 15
	s_mov_b64 s[0:1], -1
	s_cbranch_scc0 .LBB38_98
; %bb.97:
	v_xor_b32_e32 v7, v2, v3
	v_ffbh_i32_e32 v6, v3
	v_ashrrev_i32_e32 v7, 31, v7
	v_add_u32_e32 v6, -1, v6
	v_add_u32_e32 v7, 32, v7
	v_min_u32_e32 v8, v6, v7
	v_lshlrev_b64 v[6:7], v8, v[2:3]
	v_min_u32_e32 v6, 1, v6
	v_or_b32_e32 v6, v7, v6
	v_cvt_f32_i32_e32 v6, v6
	v_sub_u32_e32 v7, 32, v8
	s_movk_i32 s0, 0x7fff
	s_mov_b64 s[12:13], -1
	v_ldexp_f32 v6, v6, v7
	v_bfe_u32 v7, v6, 16, 1
	v_add3_u32 v6, v6, v7, s0
	global_store_short_d16_hi v[4:5], v6, off
	s_mov_b64 s[0:1], 0
.LBB38_98:
	s_mov_b64 s[18:19], 0
.LBB38_99:
	s_and_b64 vcc, exec, s[18:19]
	s_cbranch_vccz .LBB38_102
; %bb.100:
	s_cmp_eq_u32 s25, 11
	s_mov_b64 s[0:1], -1
	s_cbranch_scc0 .LBB38_102
; %bb.101:
	v_cmp_ne_u64_e32 vcc, -1, v[0:1]
	s_mov_b64 s[12:13], -1
	s_mov_b64 s[0:1], 0
	v_cndmask_b32_e64 v0, 0, 1, vcc
	global_store_byte v[4:5], v0, off
.LBB38_102:
	s_branch .LBB38_20
.LBB38_103:
	s_and_b32 s18, 0xffff, s24
	s_cmp_lt_i32 s18, 5
	s_mov_b64 s[12:13], -1
	s_cbranch_scc1 .LBB38_124
; %bb.104:
	s_cmp_lt_i32 s18, 8
	s_cbranch_scc1 .LBB38_114
; %bb.105:
	s_cmp_lt_i32 s18, 9
	s_cbranch_scc1 .LBB38_111
; %bb.106:
	s_cmp_gt_i32 s18, 9
	s_cbranch_scc0 .LBB38_108
; %bb.107:
	v_cvt_f64_i32_e32 v[0:1], v3
	v_ldexp_f64 v[0:1], v[0:1], 32
	v_cvt_f64_u32_e32 v[6:7], v2
	v_mov_b32_e32 v8, 0
	v_add_f64 v[6:7], v[0:1], v[6:7]
	v_mov_b32_e32 v9, v8
	global_store_dwordx4 v[4:5], v[6:9], off
	s_mov_b64 s[12:13], 0
.LBB38_108:
	s_andn2_b64 vcc, exec, s[12:13]
	s_cbranch_vccnz .LBB38_110
; %bb.109:
	v_xor_b32_e32 v1, v2, v3
	v_ffbh_i32_e32 v0, v3
	v_ashrrev_i32_e32 v1, 31, v1
	v_add_u32_e32 v0, -1, v0
	v_add_u32_e32 v1, 32, v1
	v_min_u32_e32 v6, v0, v1
	v_lshlrev_b64 v[0:1], v6, v[2:3]
	v_min_u32_e32 v0, 1, v0
	v_or_b32_e32 v0, v1, v0
	v_cvt_f32_i32_e32 v0, v0
	v_sub_u32_e32 v1, 32, v6
	v_ldexp_f32 v0, v0, v1
	v_mov_b32_e32 v1, 0
	global_store_dwordx2 v[4:5], v[0:1], off
.LBB38_110:
	s_mov_b64 s[12:13], 0
.LBB38_111:
	s_andn2_b64 vcc, exec, s[12:13]
	s_cbranch_vccnz .LBB38_113
; %bb.112:
	v_xor_b32_e32 v1, v2, v3
	v_ffbh_i32_e32 v0, v3
	v_ashrrev_i32_e32 v1, 31, v1
	v_add_u32_e32 v0, -1, v0
	v_add_u32_e32 v1, 32, v1
	v_min_u32_e32 v6, v0, v1
	v_lshlrev_b64 v[0:1], v6, v[2:3]
	v_min_u32_e32 v0, 1, v0
	v_or_b32_e32 v0, v1, v0
	v_cvt_f32_i32_e32 v0, v0
	v_sub_u32_e32 v1, 32, v6
	v_ldexp_f32 v0, v0, v1
	v_cvt_f16_f32_e32 v0, v0
	global_store_dword v[4:5], v0, off
.LBB38_113:
	s_mov_b64 s[12:13], 0
.LBB38_114:
	s_andn2_b64 vcc, exec, s[12:13]
	s_cbranch_vccnz .LBB38_123
; %bb.115:
	s_cmp_lt_i32 s18, 6
	s_mov_b64 s[12:13], -1
	s_cbranch_scc1 .LBB38_121
; %bb.116:
	s_cmp_gt_i32 s18, 6
	s_cbranch_scc0 .LBB38_118
; %bb.117:
	v_cvt_f64_i32_e32 v[0:1], v3
	v_ldexp_f64 v[0:1], v[0:1], 32
	v_cvt_f64_u32_e32 v[6:7], v2
	v_add_f64 v[0:1], v[0:1], v[6:7]
	global_store_dwordx2 v[4:5], v[0:1], off
	s_mov_b64 s[12:13], 0
.LBB38_118:
	s_andn2_b64 vcc, exec, s[12:13]
	s_cbranch_vccnz .LBB38_120
; %bb.119:
	v_xor_b32_e32 v1, v2, v3
	v_ffbh_i32_e32 v0, v3
	v_ashrrev_i32_e32 v1, 31, v1
	v_add_u32_e32 v0, -1, v0
	v_add_u32_e32 v1, 32, v1
	v_min_u32_e32 v6, v0, v1
	v_lshlrev_b64 v[0:1], v6, v[2:3]
	v_min_u32_e32 v0, 1, v0
	v_or_b32_e32 v0, v1, v0
	v_cvt_f32_i32_e32 v0, v0
	v_sub_u32_e32 v1, 32, v6
	v_ldexp_f32 v0, v0, v1
	global_store_dword v[4:5], v0, off
.LBB38_120:
	s_mov_b64 s[12:13], 0
.LBB38_121:
	s_andn2_b64 vcc, exec, s[12:13]
	s_cbranch_vccnz .LBB38_123
; %bb.122:
	v_xor_b32_e32 v1, v2, v3
	v_ffbh_i32_e32 v0, v3
	v_ashrrev_i32_e32 v1, 31, v1
	v_add_u32_e32 v0, -1, v0
	v_add_u32_e32 v1, 32, v1
	v_min_u32_e32 v6, v0, v1
	v_lshlrev_b64 v[0:1], v6, v[2:3]
	v_min_u32_e32 v0, 1, v0
	v_or_b32_e32 v0, v1, v0
	v_cvt_f32_i32_e32 v0, v0
	v_sub_u32_e32 v1, 32, v6
	v_ldexp_f32 v0, v0, v1
	v_cvt_f16_f32_e32 v0, v0
	global_store_short v[4:5], v0, off
.LBB38_123:
	s_mov_b64 s[12:13], 0
.LBB38_124:
	s_andn2_b64 vcc, exec, s[12:13]
	s_cbranch_vccnz .LBB38_140
; %bb.125:
	s_cmp_lt_i32 s18, 2
	s_mov_b64 s[12:13], -1
	s_cbranch_scc1 .LBB38_135
; %bb.126:
	s_cmp_lt_i32 s18, 3
	s_cbranch_scc1 .LBB38_132
; %bb.127:
	s_cmp_gt_i32 s18, 3
	s_cbranch_scc0 .LBB38_129
; %bb.128:
	global_store_dwordx2 v[4:5], v[2:3], off
	s_mov_b64 s[12:13], 0
.LBB38_129:
	s_andn2_b64 vcc, exec, s[12:13]
	s_cbranch_vccnz .LBB38_131
; %bb.130:
	global_store_dword v[4:5], v2, off
.LBB38_131:
	s_mov_b64 s[12:13], 0
.LBB38_132:
	s_andn2_b64 vcc, exec, s[12:13]
	s_cbranch_vccnz .LBB38_134
; %bb.133:
	global_store_short v[4:5], v2, off
.LBB38_134:
	s_mov_b64 s[12:13], 0
.LBB38_135:
	s_andn2_b64 vcc, exec, s[12:13]
	s_cbranch_vccnz .LBB38_140
; %bb.136:
	s_cmp_gt_i32 s18, 0
	s_mov_b64 s[12:13], -1
	s_cbranch_scc0 .LBB38_138
; %bb.137:
	global_store_byte v[4:5], v2, off
	s_mov_b64 s[12:13], 0
.LBB38_138:
	s_andn2_b64 vcc, exec, s[12:13]
	s_cbranch_vccnz .LBB38_140
; %bb.139:
	global_store_byte v[4:5], v2, off
.LBB38_140:
	s_branch .LBB38_21
.LBB38_141:
	s_mov_b64 s[18:19], 0
                                        ; implicit-def: $vgpr12
	s_branch .LBB38_247
.LBB38_142:
	s_mov_b64 s[14:15], -1
                                        ; implicit-def: $vgpr0_vgpr1
.LBB38_143:
	s_mov_b64 s[12:13], 0
.LBB38_144:
	s_and_b64 vcc, exec, s[12:13]
	s_cbranch_vccz .LBB38_148
; %bb.145:
	s_cmp_eq_u32 s18, 29
	s_cbranch_scc0 .LBB38_147
; %bb.146:
	global_load_dwordx2 v[0:1], v[2:3], off
	s_mov_b64 s[0:1], -1
	s_mov_b64 s[14:15], 0
	s_branch .LBB38_148
.LBB38_147:
	s_mov_b64 s[14:15], -1
                                        ; implicit-def: $vgpr0_vgpr1
.LBB38_148:
	s_mov_b64 s[12:13], 0
.LBB38_149:
	s_and_b64 vcc, exec, s[12:13]
	s_cbranch_vccz .LBB38_165
; %bb.150:
	s_cmp_lt_i32 s18, 27
	s_cbranch_scc1 .LBB38_153
; %bb.151:
	s_cmp_gt_i32 s18, 27
	s_cbranch_scc0 .LBB38_154
; %bb.152:
	global_load_dword v0, v[2:3], off
	s_waitcnt vmcnt(1)
	v_mov_b32_e32 v1, 0
	s_mov_b64 s[0:1], 0
	s_branch .LBB38_155
.LBB38_153:
	s_mov_b64 s[0:1], -1
                                        ; implicit-def: $vgpr0_vgpr1
	s_branch .LBB38_158
.LBB38_154:
	s_mov_b64 s[0:1], -1
                                        ; implicit-def: $vgpr0_vgpr1
.LBB38_155:
	s_andn2_b64 vcc, exec, s[0:1]
	s_cbranch_vccnz .LBB38_157
; %bb.156:
	global_load_ushort v0, v[2:3], off
	s_mov_b32 s0, 0
	s_waitcnt vmcnt(1)
	v_mov_b32_e32 v1, s0
	s_waitcnt vmcnt(0)
	v_and_b32_e32 v0, 0xffff, v0
.LBB38_157:
	s_mov_b64 s[0:1], 0
.LBB38_158:
	s_andn2_b64 vcc, exec, s[0:1]
	s_cbranch_vccnz .LBB38_164
; %bb.159:
	global_load_ubyte v4, v[2:3], off
	s_movk_i32 s0, 0x7f
	s_mov_b64 s[12:13], 0
	s_waitcnt vmcnt(0)
	v_cmp_lt_i16_e32 vcc, s0, v4
	s_and_saveexec_b64 s[0:1], vcc
	s_xor_b64 s[0:1], exec, s[0:1]
	s_cbranch_execz .LBB38_175
; %bb.160:
	s_movk_i32 s12, 0x80
	v_cmp_ne_u16_e32 vcc, s12, v4
	s_and_b64 s[12:13], vcc, exec
	s_andn2_saveexec_b64 s[0:1], s[0:1]
	s_cbranch_execnz .LBB38_176
.LBB38_161:
	s_or_b64 exec, exec, s[0:1]
	v_mov_b64_e32 v[0:1], 0
	s_and_saveexec_b64 s[0:1], s[12:13]
	s_cbranch_execz .LBB38_163
.LBB38_162:
	v_and_b32_e32 v1, 0xffff, v4
	v_lshlrev_b32_e32 v0, 24, v4
	v_and_b32_e32 v4, 7, v1
	v_ffbh_u32_e32 v6, v4
	v_min_u32_e32 v6, 32, v6
	v_subrev_u32_e32 v7, 28, v6
	v_bfe_u32 v5, v1, 3, 4
	v_lshlrev_b32_e32 v1, v7, v1
	v_sub_u32_e32 v6, 29, v6
	v_and_b32_e32 v1, 7, v1
	v_cmp_eq_u32_e32 vcc, 0, v5
	v_and_b32_e32 v0, 0x80000000, v0
	s_mov_b32 s12, 0x2f800000
	v_cndmask_b32_e32 v5, v5, v6, vcc
	v_cndmask_b32_e32 v1, v4, v1, vcc
	v_mov_b32_e32 v4, 0x3b800000
	v_lshlrev_b32_e32 v1, 20, v1
	v_lshl_add_u32 v4, v5, 23, v4
	v_or3_b32 v0, v0, v4, v1
	v_trunc_f32_e32 v0, v0
	v_mul_f32_e64 v1, |v0|, s12
	v_floor_f32_e32 v1, v1
	s_mov_b32 s12, 0xcf800000
	v_fma_f32 v4, v1, s12, |v0|
	v_cvt_u32_f32_e32 v4, v4
	v_cvt_u32_f32_e32 v1, v1
	v_ashrrev_i32_e32 v5, 31, v0
	v_xor_b32_e32 v0, v4, v5
	v_xor_b32_e32 v1, v1, v5
	v_sub_co_u32_e32 v0, vcc, v0, v5
	s_nop 1
	v_subb_co_u32_e32 v1, vcc, v1, v5, vcc
.LBB38_163:
	s_or_b64 exec, exec, s[0:1]
.LBB38_164:
	s_mov_b64 s[0:1], -1
.LBB38_165:
	s_branch .LBB38_198
.LBB38_166:
	s_cmp_gt_i32 s18, 22
	s_cbranch_scc0 .LBB38_174
; %bb.167:
	s_cmp_lt_i32 s18, 24
	s_cbranch_scc1 .LBB38_177
; %bb.168:
	s_cmp_gt_i32 s18, 24
	s_cbranch_scc0 .LBB38_178
; %bb.169:
	global_load_ubyte v4, v[2:3], off
	s_movk_i32 s0, 0x7f
	s_mov_b64 s[12:13], 0
	s_waitcnt vmcnt(0)
	v_cmp_lt_i16_e32 vcc, s0, v4
	s_and_saveexec_b64 s[0:1], vcc
	s_xor_b64 s[0:1], exec, s[0:1]
	s_cbranch_execz .LBB38_190
; %bb.170:
	s_movk_i32 s12, 0x80
	v_cmp_ne_u16_e32 vcc, s12, v4
	s_and_b64 s[12:13], vcc, exec
	s_andn2_saveexec_b64 s[0:1], s[0:1]
	s_cbranch_execnz .LBB38_191
.LBB38_171:
	s_or_b64 exec, exec, s[0:1]
	v_mov_b64_e32 v[0:1], 0
	s_and_saveexec_b64 s[0:1], s[12:13]
	s_cbranch_execz .LBB38_173
.LBB38_172:
	v_and_b32_e32 v1, 0xffff, v4
	v_lshlrev_b32_e32 v0, 24, v4
	v_and_b32_e32 v4, 3, v1
	v_ffbh_u32_e32 v6, v4
	v_min_u32_e32 v6, 32, v6
	v_subrev_u32_e32 v7, 29, v6
	v_bfe_u32 v5, v1, 2, 5
	v_lshlrev_b32_e32 v1, v7, v1
	v_sub_u32_e32 v6, 30, v6
	v_and_b32_e32 v1, 3, v1
	v_cmp_eq_u32_e32 vcc, 0, v5
	v_and_b32_e32 v0, 0x80000000, v0
	s_mov_b32 s12, 0x2f800000
	v_cndmask_b32_e32 v5, v5, v6, vcc
	v_cndmask_b32_e32 v1, v4, v1, vcc
	v_mov_b32_e32 v4, 0x37800000
	v_lshlrev_b32_e32 v1, 21, v1
	v_lshl_add_u32 v4, v5, 23, v4
	v_or3_b32 v0, v0, v4, v1
	v_trunc_f32_e32 v0, v0
	v_mul_f32_e64 v1, |v0|, s12
	v_floor_f32_e32 v1, v1
	s_mov_b32 s12, 0xcf800000
	v_fma_f32 v4, v1, s12, |v0|
	v_cvt_u32_f32_e32 v4, v4
	v_cvt_u32_f32_e32 v1, v1
	v_ashrrev_i32_e32 v5, 31, v0
	v_xor_b32_e32 v0, v4, v5
	v_xor_b32_e32 v1, v1, v5
	v_sub_co_u32_e32 v0, vcc, v0, v5
	s_nop 1
	v_subb_co_u32_e32 v1, vcc, v1, v5, vcc
.LBB38_173:
	s_or_b64 exec, exec, s[0:1]
	s_mov_b64 s[0:1], 0
	s_branch .LBB38_179
.LBB38_174:
	s_mov_b64 s[12:13], -1
                                        ; implicit-def: $vgpr0_vgpr1
	s_branch .LBB38_185
.LBB38_175:
	s_andn2_saveexec_b64 s[0:1], s[0:1]
	s_cbranch_execz .LBB38_161
.LBB38_176:
	v_cmp_ne_u16_e32 vcc, 0, v4
	s_andn2_b64 s[12:13], s[12:13], exec
	s_and_b64 s[22:23], vcc, exec
	s_or_b64 s[12:13], s[12:13], s[22:23]
	s_or_b64 exec, exec, s[0:1]
	v_mov_b64_e32 v[0:1], 0
	s_and_saveexec_b64 s[0:1], s[12:13]
	s_cbranch_execnz .LBB38_162
	s_branch .LBB38_163
.LBB38_177:
	s_mov_b64 s[0:1], -1
                                        ; implicit-def: $vgpr0_vgpr1
	s_branch .LBB38_182
.LBB38_178:
	s_mov_b64 s[0:1], -1
                                        ; implicit-def: $vgpr0_vgpr1
.LBB38_179:
	s_and_b64 vcc, exec, s[0:1]
	s_cbranch_vccz .LBB38_181
; %bb.180:
	global_load_ubyte v0, v[2:3], off
	s_mov_b32 s0, 0x7f800000
	s_brev_b32 s1, 1
	s_mov_b32 s12, 0x2f800000
	s_mov_b32 s13, 0xcf800000
	s_waitcnt vmcnt(0)
	v_lshlrev_b32_e32 v0, 24, v0
	v_and_b32_e32 v1, 0x7f000000, v0
	v_ffbh_u32_e32 v4, v1
	v_min_u32_e32 v4, 32, v4
	v_sub_u32_e64 v4, v4, 4 clamp
	v_lshlrev_b32_e32 v6, v4, v1
	v_lshlrev_b32_e32 v4, 23, v4
	v_lshrrev_b32_e32 v6, 4, v6
	v_add_u32_e32 v5, 0x1000000, v1
	v_sub_u32_e32 v4, v6, v4
	v_ashrrev_i32_e32 v5, 8, v5
	v_add_u32_e32 v4, 0x3c000000, v4
	v_and_or_b32 v4, v5, s0, v4
	v_cmp_ne_u32_e32 vcc, 0, v1
	s_nop 1
	v_cndmask_b32_e32 v1, 0, v4, vcc
	v_and_or_b32 v0, v0, s1, v1
	v_trunc_f32_e32 v0, v0
	v_mul_f32_e64 v1, |v0|, s12
	v_floor_f32_e32 v1, v1
	v_fma_f32 v4, v1, s13, |v0|
	v_cvt_u32_f32_e32 v4, v4
	v_cvt_u32_f32_e32 v1, v1
	v_ashrrev_i32_e32 v5, 31, v0
	v_xor_b32_e32 v0, v4, v5
	v_xor_b32_e32 v1, v1, v5
	v_sub_co_u32_e32 v0, vcc, v0, v5
	s_nop 1
	v_subb_co_u32_e32 v1, vcc, v1, v5, vcc
.LBB38_181:
	s_mov_b64 s[0:1], 0
.LBB38_182:
	s_andn2_b64 vcc, exec, s[0:1]
	s_cbranch_vccnz .LBB38_184
; %bb.183:
	global_load_ubyte v0, v[2:3], off
	s_movk_i32 s0, 0x7f00
	s_brev_b32 s1, 16
	s_brev_b32 s12, 1
	s_mov_b32 s13, 0x2f800000
	s_mov_b32 s19, 0xcf800000
	s_waitcnt vmcnt(0)
	v_lshlrev_b16_e32 v1, 8, v0
	v_lshlrev_b32_e32 v0, 25, v0
	v_lshrrev_b32_e32 v4, 4, v0
	v_and_or_b32 v5, v1, s0, 0.5
	v_or_b32_e32 v4, 0x70000000, v4
	v_add_f32_e32 v5, -0.5, v5
	v_mul_f32_e32 v4, 0x7800000, v4
	v_cmp_gt_u32_e32 vcc, s1, v0
	v_bfe_i32 v1, v1, 0, 16
	s_nop 0
	v_cndmask_b32_e32 v0, v4, v5, vcc
	v_and_or_b32 v0, v1, s12, v0
	v_trunc_f32_e32 v0, v0
	v_mul_f32_e64 v1, |v0|, s13
	v_floor_f32_e32 v1, v1
	v_fma_f32 v4, v1, s19, |v0|
	v_cvt_u32_f32_e32 v4, v4
	v_cvt_u32_f32_e32 v1, v1
	v_ashrrev_i32_e32 v5, 31, v0
	v_xor_b32_e32 v0, v4, v5
	v_xor_b32_e32 v1, v1, v5
	v_sub_co_u32_e32 v0, vcc, v0, v5
	s_nop 1
	v_subb_co_u32_e32 v1, vcc, v1, v5, vcc
.LBB38_184:
	s_mov_b64 s[12:13], 0
	s_mov_b64 s[0:1], -1
.LBB38_185:
	s_andn2_b64 vcc, exec, s[12:13]
	s_cbranch_vccnz .LBB38_198
; %bb.186:
	s_cmp_gt_i32 s18, 14
	s_cbranch_scc0 .LBB38_189
; %bb.187:
	s_cmp_eq_u32 s18, 15
	s_cbranch_scc0 .LBB38_192
; %bb.188:
	global_load_ushort v0, v[2:3], off
	s_mov_b32 s0, 0x2f800000
	s_mov_b32 s1, 0xcf800000
	s_mov_b64 s[14:15], 0
	s_waitcnt vmcnt(0)
	v_lshlrev_b32_e32 v0, 16, v0
	v_trunc_f32_e32 v0, v0
	v_mul_f32_e64 v1, |v0|, s0
	v_floor_f32_e32 v1, v1
	v_fma_f32 v4, v1, s1, |v0|
	v_cvt_u32_f32_e32 v4, v4
	v_cvt_u32_f32_e32 v1, v1
	v_ashrrev_i32_e32 v5, 31, v0
	s_mov_b64 s[0:1], -1
	v_xor_b32_e32 v0, v4, v5
	v_xor_b32_e32 v1, v1, v5
	v_sub_co_u32_e32 v0, vcc, v0, v5
	s_nop 1
	v_subb_co_u32_e32 v1, vcc, v1, v5, vcc
	s_branch .LBB38_193
.LBB38_189:
	s_mov_b64 s[12:13], -1
                                        ; implicit-def: $vgpr0_vgpr1
	s_branch .LBB38_194
.LBB38_190:
	s_andn2_saveexec_b64 s[0:1], s[0:1]
	s_cbranch_execz .LBB38_171
.LBB38_191:
	v_cmp_ne_u16_e32 vcc, 0, v4
	s_andn2_b64 s[12:13], s[12:13], exec
	s_and_b64 s[22:23], vcc, exec
	s_or_b64 s[12:13], s[12:13], s[22:23]
	s_or_b64 exec, exec, s[0:1]
	v_mov_b64_e32 v[0:1], 0
	s_and_saveexec_b64 s[0:1], s[12:13]
	s_cbranch_execnz .LBB38_172
	s_branch .LBB38_173
.LBB38_192:
	s_mov_b64 s[14:15], -1
                                        ; implicit-def: $vgpr0_vgpr1
.LBB38_193:
	s_mov_b64 s[12:13], 0
.LBB38_194:
	s_and_b64 vcc, exec, s[12:13]
	s_cbranch_vccz .LBB38_198
; %bb.195:
	s_cmp_eq_u32 s18, 11
	s_cbranch_scc0 .LBB38_197
; %bb.196:
	global_load_ubyte v0, v[2:3], off
	s_mov_b32 s12, 0
	s_mov_b64 s[0:1], -1
	s_waitcnt vmcnt(1)
	v_mov_b32_e32 v1, s12
	s_mov_b64 s[14:15], 0
	s_waitcnt vmcnt(0)
	v_cmp_ne_u16_e32 vcc, 0, v0
	s_nop 1
	v_cndmask_b32_e64 v0, 0, 1, vcc
	s_branch .LBB38_198
.LBB38_197:
	s_mov_b64 s[14:15], -1
                                        ; implicit-def: $vgpr0_vgpr1
.LBB38_198:
	s_branch .LBB38_10
.LBB38_199:
	s_cmp_lt_i32 s18, 5
	s_cbranch_scc1 .LBB38_204
; %bb.200:
	s_cmp_lt_i32 s18, 8
	s_cbranch_scc1 .LBB38_205
; %bb.201:
	;; [unrolled: 3-line block ×3, first 2 shown]
	s_cmp_gt_i32 s18, 9
	s_cbranch_scc0 .LBB38_207
; %bb.203:
	global_load_dwordx2 v[0:1], v[2:3], off
	s_movk_i32 s0, 0xffe0
	s_waitcnt vmcnt(0)
	v_trunc_f64_e32 v[4:5], v[0:1]
	v_ldexp_f64 v[0:1], v[4:5], s0
	v_floor_f64_e32 v[6:7], v[0:1]
	v_fmac_f64_e32 v[4:5], 0xc1f00000, v[6:7]
	v_cvt_i32_f64_e32 v1, v[6:7]
	v_cvt_u32_f64_e32 v0, v[4:5]
	s_mov_b64 s[0:1], 0
	s_branch .LBB38_208
.LBB38_204:
                                        ; implicit-def: $vgpr0_vgpr1
	s_branch .LBB38_226
.LBB38_205:
	s_mov_b64 s[0:1], -1
                                        ; implicit-def: $vgpr0_vgpr1
	s_branch .LBB38_214
.LBB38_206:
	s_mov_b64 s[0:1], -1
                                        ; implicit-def: $vgpr0_vgpr1
	s_branch .LBB38_211
.LBB38_207:
	s_mov_b64 s[0:1], -1
                                        ; implicit-def: $vgpr0_vgpr1
.LBB38_208:
	s_andn2_b64 vcc, exec, s[0:1]
	s_cbranch_vccnz .LBB38_210
; %bb.209:
	global_load_dword v0, v[2:3], off
	s_mov_b32 s0, 0x2f800000
	s_mov_b32 s1, 0xcf800000
	s_waitcnt vmcnt(0)
	v_trunc_f32_e32 v0, v0
	v_mul_f32_e64 v1, |v0|, s0
	v_floor_f32_e32 v1, v1
	v_cvt_u32_f32_e32 v4, v1
	v_fma_f32 v1, v1, s1, |v0|
	v_cvt_u32_f32_e32 v1, v1
	v_ashrrev_i32_e32 v5, 31, v0
	v_xor_b32_e32 v4, v4, v5
	v_xor_b32_e32 v0, v1, v5
	v_sub_co_u32_e32 v0, vcc, v0, v5
	s_nop 1
	v_subb_co_u32_e32 v1, vcc, v4, v5, vcc
.LBB38_210:
	s_mov_b64 s[0:1], 0
.LBB38_211:
	s_andn2_b64 vcc, exec, s[0:1]
	s_cbranch_vccnz .LBB38_213
; %bb.212:
	global_load_dword v0, v[2:3], off
	s_waitcnt vmcnt(0)
	v_cvt_f32_f16_e32 v0, v0
	v_cvt_i32_f32_e32 v0, v0
	v_ashrrev_i32_e32 v1, 31, v0
.LBB38_213:
	s_mov_b64 s[0:1], 0
.LBB38_214:
	s_andn2_b64 vcc, exec, s[0:1]
	s_cbranch_vccnz .LBB38_225
; %bb.215:
	s_cmp_lt_i32 s18, 6
	s_cbranch_scc1 .LBB38_218
; %bb.216:
	s_cmp_gt_i32 s18, 6
	s_cbranch_scc0 .LBB38_219
; %bb.217:
	global_load_dwordx2 v[0:1], v[2:3], off
	s_movk_i32 s0, 0xffe0
	s_waitcnt vmcnt(0)
	v_trunc_f64_e32 v[4:5], v[0:1]
	v_ldexp_f64 v[0:1], v[4:5], s0
	v_floor_f64_e32 v[6:7], v[0:1]
	v_fmac_f64_e32 v[4:5], 0xc1f00000, v[6:7]
	v_cvt_i32_f64_e32 v1, v[6:7]
	v_cvt_u32_f64_e32 v0, v[4:5]
	s_mov_b64 s[0:1], 0
	s_branch .LBB38_220
.LBB38_218:
	s_mov_b64 s[0:1], -1
                                        ; implicit-def: $vgpr0_vgpr1
	s_branch .LBB38_223
.LBB38_219:
	s_mov_b64 s[0:1], -1
                                        ; implicit-def: $vgpr0_vgpr1
.LBB38_220:
	s_andn2_b64 vcc, exec, s[0:1]
	s_cbranch_vccnz .LBB38_222
; %bb.221:
	global_load_dword v0, v[2:3], off
	s_mov_b32 s0, 0x2f800000
	s_mov_b32 s1, 0xcf800000
	s_waitcnt vmcnt(0)
	v_trunc_f32_e32 v0, v0
	v_mul_f32_e64 v1, |v0|, s0
	v_floor_f32_e32 v1, v1
	v_cvt_u32_f32_e32 v4, v1
	v_fma_f32 v1, v1, s1, |v0|
	v_cvt_u32_f32_e32 v1, v1
	v_ashrrev_i32_e32 v5, 31, v0
	v_xor_b32_e32 v4, v4, v5
	v_xor_b32_e32 v0, v1, v5
	v_sub_co_u32_e32 v0, vcc, v0, v5
	s_nop 1
	v_subb_co_u32_e32 v1, vcc, v4, v5, vcc
.LBB38_222:
	s_mov_b64 s[0:1], 0
.LBB38_223:
	s_andn2_b64 vcc, exec, s[0:1]
	s_cbranch_vccnz .LBB38_225
; %bb.224:
	global_load_ushort v0, v[2:3], off
	s_waitcnt vmcnt(0)
	v_cvt_f32_f16_e32 v0, v0
	v_cvt_i32_f32_e32 v0, v0
	v_ashrrev_i32_e32 v1, 31, v0
.LBB38_225:
	s_cbranch_execnz .LBB38_245
.LBB38_226:
	s_cmp_lt_i32 s18, 2
	s_cbranch_scc1 .LBB38_230
; %bb.227:
	s_cmp_lt_i32 s18, 3
	s_cbranch_scc1 .LBB38_231
; %bb.228:
	s_cmp_gt_i32 s18, 3
	s_cbranch_scc0 .LBB38_232
; %bb.229:
	global_load_dwordx2 v[0:1], v[2:3], off
	s_mov_b64 s[0:1], 0
	s_branch .LBB38_233
.LBB38_230:
	s_mov_b64 s[0:1], -1
                                        ; implicit-def: $vgpr0_vgpr1
	s_branch .LBB38_239
.LBB38_231:
	s_mov_b64 s[0:1], -1
                                        ; implicit-def: $vgpr0_vgpr1
	s_branch .LBB38_236
.LBB38_232:
	s_mov_b64 s[0:1], -1
                                        ; implicit-def: $vgpr0_vgpr1
.LBB38_233:
	s_andn2_b64 vcc, exec, s[0:1]
	s_cbranch_vccnz .LBB38_235
; %bb.234:
	global_load_dword v0, v[2:3], off
	s_waitcnt vmcnt(0)
	v_ashrrev_i32_e32 v1, 31, v0
.LBB38_235:
	s_mov_b64 s[0:1], 0
.LBB38_236:
	s_andn2_b64 vcc, exec, s[0:1]
	s_cbranch_vccnz .LBB38_238
; %bb.237:
	global_load_ushort v0, v[2:3], off
	s_waitcnt vmcnt(0)
	v_bfe_i32 v0, v0, 0, 16
	v_ashrrev_i32_e32 v1, 31, v0
.LBB38_238:
	s_mov_b64 s[0:1], 0
.LBB38_239:
	s_andn2_b64 vcc, exec, s[0:1]
	s_cbranch_vccnz .LBB38_245
; %bb.240:
	s_cmp_gt_i32 s18, 0
	s_cbranch_scc0 .LBB38_242
; %bb.241:
	global_load_sbyte v0, v[2:3], off
	s_mov_b64 s[0:1], 0
	s_waitcnt vmcnt(0)
	v_bfe_i32 v0, v0, 0, 16
	v_ashrrev_i32_e32 v1, 31, v0
	s_branch .LBB38_243
.LBB38_242:
	s_mov_b64 s[0:1], -1
                                        ; implicit-def: $vgpr0_vgpr1
.LBB38_243:
	s_andn2_b64 vcc, exec, s[0:1]
	s_cbranch_vccnz .LBB38_245
; %bb.244:
	global_load_ubyte v0, v[2:3], off
	s_mov_b32 s0, 0
	s_waitcnt vmcnt(1)
	v_mov_b32_e32 v1, s0
	s_waitcnt vmcnt(0)
	v_and_b32_e32 v0, 0xffff, v0
.LBB38_245:
	s_branch .LBB38_11
.LBB38_246:
	s_mov_b64 s[0:1], 0
                                        ; implicit-def: $vgpr12
	s_mov_b64 s[18:19], 0
.LBB38_247:
	s_and_b64 s[12:13], s[0:1], exec
	s_and_b64 s[14:15], s[14:15], exec
	s_orn2_b64 s[18:19], s[18:19], exec
.LBB38_248:
	s_or_b64 exec, exec, s[16:17]
	s_mov_b64 s[22:23], 0
	s_mov_b64 s[0:1], 0
                                        ; implicit-def: $vgpr2_vgpr3
                                        ; implicit-def: $vgpr0_vgpr1
	s_and_saveexec_b64 s[16:17], s[18:19]
	s_cbranch_execz .LBB38_257
; %bb.249:
	v_cmp_gt_i32_e32 vcc, s38, v12
	s_mov_b64 s[0:1], -1
	s_mov_b64 s[18:19], s[14:15]
	s_mov_b64 s[20:21], s[12:13]
	s_and_saveexec_b64 s[22:23], vcc
	s_cbranch_execz .LBB38_505
; %bb.250:
	s_waitcnt vmcnt(0)
	v_mul_lo_u32 v0, v12, s9
	v_ashrrev_i32_e32 v1, 31, v0
	s_and_b32 s24, 0xffff, s42
	s_cmp_lt_i32 s24, 11
	v_lshl_add_u64 v[2:3], s[6:7], 0, v[0:1]
	s_cbranch_scc1 .LBB38_260
; %bb.251:
	s_cmp_gt_i32 s24, 25
	s_cbranch_scc0 .LBB38_269
; %bb.252:
	s_cmp_gt_i32 s24, 28
	s_cbranch_scc0 .LBB38_271
	;; [unrolled: 3-line block ×4, first 2 shown]
; %bb.255:
	s_cmp_eq_u32 s24, 46
	s_mov_b64 s[20:21], 0
	s_cbranch_scc0 .LBB38_281
; %bb.256:
	global_load_dword v0, v[2:3], off
	s_mov_b32 s0, 0x2f800000
	s_mov_b32 s1, 0xcf800000
	s_mov_b64 s[18:19], 0
	s_waitcnt vmcnt(0)
	v_lshlrev_b32_e32 v0, 16, v0
	v_trunc_f32_e32 v0, v0
	v_mul_f32_e64 v1, |v0|, s0
	v_floor_f32_e32 v1, v1
	v_fma_f32 v4, v1, s1, |v0|
	v_cvt_u32_f32_e32 v4, v4
	v_cvt_u32_f32_e32 v1, v1
	v_ashrrev_i32_e32 v5, 31, v0
	s_mov_b64 s[0:1], -1
	v_xor_b32_e32 v0, v4, v5
	v_xor_b32_e32 v1, v1, v5
	v_sub_co_u32_e32 v0, vcc, v0, v5
	s_nop 1
	v_subb_co_u32_e32 v1, vcc, v1, v5, vcc
	s_branch .LBB38_282
.LBB38_257:
	s_or_b64 exec, exec, s[16:17]
	s_mov_b64 s[16:17], 0
	s_and_saveexec_b64 s[18:19], s[14:15]
	s_cbranch_execnz .LBB38_843
.LBB38_258:
	s_or_b64 exec, exec, s[18:19]
	s_and_saveexec_b64 s[14:15], s[20:21]
	s_xor_b64 s[14:15], exec, s[14:15]
	s_cbranch_execz .LBB38_844
.LBB38_259:
	global_load_ubyte v0, v[2:3], off
	s_mov_b32 s18, 0
	s_waitcnt vmcnt(1)
	v_mov_b32_e32 v1, s18
	s_or_b64 s[0:1], s[0:1], exec
	s_waitcnt vmcnt(0)
	v_cmp_ne_u16_e32 vcc, 0, v0
	s_nop 1
	v_cndmask_b32_e64 v0, 0, 1, vcc
	s_or_b64 exec, exec, s[14:15]
	s_and_saveexec_b64 s[14:15], s[22:23]
	s_cbranch_execz .LBB38_890
	s_branch .LBB38_845
.LBB38_260:
	s_mov_b64 s[0:1], 0
                                        ; implicit-def: $vgpr0_vgpr1
	s_mov_b64 s[18:19], s[14:15]
	s_cbranch_execnz .LBB38_455
.LBB38_261:
	s_andn2_b64 vcc, exec, s[0:1]
	s_cbranch_vccnz .LBB38_503
.LBB38_262:
	v_mul_lo_u32 v4, v12, s8
	v_ashrrev_i32_e32 v5, 31, v4
	s_and_b32 s28, s33, 0xff
	s_waitcnt vmcnt(0)
	v_not_b32_e32 v3, v1
	v_not_b32_e32 v2, v0
	s_cmp_lt_i32 s28, 11
	v_lshl_add_u64 v[4:5], s[4:5], 0, v[4:5]
	s_cbranch_scc1 .LBB38_270
; %bb.263:
	s_and_b32 s29, 0xffff, s28
	s_cmp_gt_i32 s29, 25
	s_cbranch_scc0 .LBB38_272
; %bb.264:
	s_cmp_gt_i32 s29, 28
	s_cbranch_scc0 .LBB38_274
; %bb.265:
	;; [unrolled: 3-line block ×4, first 2 shown]
	s_mov_b64 s[24:25], 0
	s_mov_b64 s[0:1], -1
	s_cmp_eq_u32 s29, 46
	s_mov_b64 s[20:21], 0
	s_cbranch_scc0 .LBB38_286
; %bb.268:
	v_xor_b32_e32 v7, v2, v3
	v_ffbh_i32_e32 v6, v3
	v_ashrrev_i32_e32 v7, 31, v7
	v_add_u32_e32 v6, -1, v6
	v_add_u32_e32 v7, 32, v7
	v_min_u32_e32 v8, v6, v7
	v_lshlrev_b64 v[6:7], v8, v[2:3]
	v_min_u32_e32 v6, 1, v6
	v_or_b32_e32 v6, v7, v6
	v_cvt_f32_i32_e32 v6, v6
	v_sub_u32_e32 v7, 32, v8
	s_movk_i32 s0, 0x7fff
	s_mov_b64 s[20:21], -1
	v_ldexp_f32 v6, v6, v7
	v_bfe_u32 v7, v6, 16, 1
	v_add3_u32 v6, v6, v7, s0
	v_lshrrev_b32_e32 v6, 16, v6
	global_store_dword v[4:5], v6, off
	s_mov_b64 s[0:1], 0
	s_branch .LBB38_286
.LBB38_269:
	s_mov_b64 s[20:21], -1
	s_mov_b64 s[0:1], 0
	s_mov_b64 s[18:19], s[14:15]
                                        ; implicit-def: $vgpr0_vgpr1
	s_branch .LBB38_421
.LBB38_270:
	s_mov_b64 s[24:25], -1
	s_mov_b64 s[20:21], 0
	s_mov_b64 s[0:1], s[12:13]
	s_branch .LBB38_355
.LBB38_271:
	s_mov_b64 s[20:21], -1
	s_mov_b64 s[0:1], 0
	s_mov_b64 s[18:19], s[14:15]
                                        ; implicit-def: $vgpr0_vgpr1
	s_branch .LBB38_404
.LBB38_272:
	s_mov_b64 s[24:25], -1
	s_mov_b64 s[20:21], 0
	s_mov_b64 s[0:1], s[12:13]
	s_branch .LBB38_313
.LBB38_273:
	s_mov_b64 s[20:21], -1
	s_mov_b64 s[0:1], 0
	s_mov_b64 s[18:19], s[14:15]
                                        ; implicit-def: $vgpr0_vgpr1
	s_branch .LBB38_399
.LBB38_274:
	s_mov_b64 s[24:25], -1
	s_mov_b64 s[20:21], 0
	s_mov_b64 s[0:1], s[12:13]
	s_branch .LBB38_296
.LBB38_275:
	s_andn2_saveexec_b64 s[22:23], s[22:23]
	s_cbranch_execz .LBB38_55
.LBB38_276:
	s_mov_b32 s26, 0x46000000
	v_add_f32_e64 v7, |v6|, s26
	v_and_b32_e32 v7, 0xff, v7
	v_cmp_ne_u32_e32 vcc, 0, v7
	s_andn2_b64 s[18:19], s[18:19], exec
	s_and_b64 s[26:27], vcc, exec
	s_or_b64 s[18:19], s[18:19], s[26:27]
	s_or_b64 exec, exec, s[22:23]
	v_mov_b32_e32 v8, 0
	s_and_saveexec_b64 s[22:23], s[18:19]
	s_cbranch_execnz .LBB38_56
	s_branch .LBB38_57
.LBB38_277:
	s_mov_b64 s[20:21], -1
	s_mov_b64 s[0:1], 0
	s_mov_b64 s[18:19], s[14:15]
                                        ; implicit-def: $vgpr0_vgpr1
	s_branch .LBB38_282
.LBB38_278:
	s_mov_b64 s[24:25], -1
	s_mov_b64 s[20:21], 0
	s_mov_b64 s[0:1], s[12:13]
	s_branch .LBB38_292
.LBB38_279:
	s_andn2_saveexec_b64 s[22:23], s[22:23]
	s_cbranch_execz .LBB38_68
.LBB38_280:
	s_mov_b32 s26, 0x42800000
	v_add_f32_e64 v7, |v6|, s26
	v_and_b32_e32 v7, 0xff, v7
	v_cmp_ne_u32_e32 vcc, 0, v7
	s_andn2_b64 s[18:19], s[18:19], exec
	s_and_b64 s[26:27], vcc, exec
	s_or_b64 s[18:19], s[18:19], s[26:27]
	s_or_b64 exec, exec, s[22:23]
	v_mov_b32_e32 v8, 0
	s_and_saveexec_b64 s[22:23], s[18:19]
	s_cbranch_execnz .LBB38_69
	s_branch .LBB38_70
.LBB38_281:
	s_mov_b64 s[18:19], -1
                                        ; implicit-def: $vgpr0_vgpr1
	s_mov_b64 s[0:1], 0
.LBB38_282:
	s_and_b64 vcc, exec, s[20:21]
	s_cbranch_vccz .LBB38_398
; %bb.283:
	s_cmp_eq_u32 s24, 44
	s_cbranch_scc0 .LBB38_397
; %bb.284:
	global_load_ubyte v0, v[2:3], off
	s_mov_b32 s0, 0x2f800000
	s_mov_b32 s1, 0xcf800000
	s_mov_b64 s[18:19], 0
	s_waitcnt vmcnt(0)
	v_lshlrev_b32_e32 v1, 23, v0
	v_trunc_f32_e32 v1, v1
	v_mul_f32_e64 v4, |v1|, s0
	v_floor_f32_e32 v4, v4
	v_fma_f32 v5, v4, s1, |v1|
	v_cvt_u32_f32_e32 v5, v5
	v_cvt_u32_f32_e32 v4, v4
	v_ashrrev_i32_e32 v1, 31, v1
	s_mov_b64 s[0:1], -1
	v_xor_b32_e32 v5, v5, v1
	v_xor_b32_e32 v4, v4, v1
	v_sub_co_u32_e32 v5, vcc, v5, v1
	s_nop 1
	v_subb_co_u32_e32 v1, vcc, v4, v1, vcc
	v_cmp_ne_u32_e32 vcc, 0, v0
	s_nop 1
	v_cndmask_b32_e32 v1, 0, v1, vcc
	v_cndmask_b32_e32 v0, 0, v5, vcc
	s_branch .LBB38_398
.LBB38_285:
	s_mov_b64 s[24:25], -1
	s_mov_b64 s[20:21], 0
	s_mov_b64 s[0:1], s[12:13]
.LBB38_286:
	s_and_b64 vcc, exec, s[24:25]
	s_cbranch_vccz .LBB38_291
; %bb.287:
	s_cmp_eq_u32 s29, 44
	s_mov_b64 s[0:1], -1
	s_cbranch_scc0 .LBB38_291
; %bb.288:
	v_xor_b32_e32 v7, v2, v3
	v_ffbh_i32_e32 v6, v3
	v_ashrrev_i32_e32 v7, 31, v7
	v_add_u32_e32 v6, -1, v6
	v_add_u32_e32 v7, 32, v7
	v_min_u32_e32 v8, v6, v7
	v_lshlrev_b64 v[6:7], v8, v[2:3]
	v_min_u32_e32 v6, 1, v6
	v_or_b32_e32 v6, v7, v6
	v_cvt_f32_i32_e32 v6, v6
	v_sub_u32_e32 v7, 32, v8
	s_movk_i32 s0, 0xff
	v_mov_b32_e32 v8, 0xff
	v_ldexp_f32 v6, v6, v7
	v_bfe_u32 v7, v6, 23, 8
	v_cmp_ne_u32_e32 vcc, s0, v7
	s_and_saveexec_b64 s[20:21], vcc
; %bb.289:
	s_mov_b32 s0, 0x3fffff
	v_lshrrev_b32_e32 v8, 23, v6
	v_and_b32_e32 v9, 0x400000, v6
	v_and_or_b32 v6, v6, s0, v7
	v_cmp_ne_u32_e32 vcc, 0, v9
	v_cmp_ne_u32_e64 s[0:1], 0, v6
	s_and_b64 s[0:1], vcc, s[0:1]
	s_nop 0
	v_cndmask_b32_e64 v6, 0, 1, s[0:1]
	v_add_u32_e32 v8, v8, v6
; %bb.290:
	s_or_b64 exec, exec, s[20:21]
	s_mov_b64 s[20:21], -1
	s_mov_b64 s[0:1], 0
	global_store_byte v[4:5], v8, off
.LBB38_291:
	s_mov_b64 s[24:25], 0
.LBB38_292:
	s_and_b64 vcc, exec, s[24:25]
	s_cbranch_vccz .LBB38_295
; %bb.293:
	s_cmp_eq_u32 s29, 29
	s_mov_b64 s[0:1], -1
	s_cbranch_scc0 .LBB38_295
; %bb.294:
	global_store_dwordx2 v[4:5], v[2:3], off
	s_mov_b64 s[20:21], -1
	s_mov_b64 s[0:1], 0
.LBB38_295:
	s_mov_b64 s[24:25], 0
.LBB38_296:
	s_and_b64 vcc, exec, s[24:25]
	s_cbranch_vccz .LBB38_312
; %bb.297:
	s_cmp_lt_i32 s29, 27
	s_mov_b64 s[20:21], -1
	s_cbranch_scc1 .LBB38_303
; %bb.298:
	s_cmp_gt_i32 s29, 27
	s_cbranch_scc0 .LBB38_300
; %bb.299:
	s_mov_b64 s[20:21], 0
	global_store_dword v[4:5], v2, off
.LBB38_300:
	s_andn2_b64 vcc, exec, s[20:21]
	s_cbranch_vccnz .LBB38_302
; %bb.301:
	global_store_short v[4:5], v2, off
.LBB38_302:
	s_mov_b64 s[20:21], 0
.LBB38_303:
	s_andn2_b64 vcc, exec, s[20:21]
	s_cbranch_vccnz .LBB38_311
; %bb.304:
	v_xor_b32_e32 v7, v2, v3
	v_ffbh_i32_e32 v6, v3
	v_ashrrev_i32_e32 v7, 31, v7
	v_add_u32_e32 v6, -1, v6
	v_add_u32_e32 v7, 32, v7
	v_min_u32_e32 v8, v6, v7
	v_lshlrev_b64 v[6:7], v8, v[2:3]
	v_min_u32_e32 v6, 1, v6
	v_or_b32_e32 v6, v7, v6
	v_cvt_f32_i32_e32 v6, v6
	v_sub_u32_e32 v7, 32, v8
	s_mov_b32 s20, 0x43800000
	v_mov_b32_e32 v8, 0x80
	v_ldexp_f32 v6, v6, v7
	v_and_b32_e32 v7, 0x7fffffff, v6
	v_cmp_gt_u32_e32 vcc, s20, v7
	s_and_saveexec_b64 s[20:21], vcc
	s_cbranch_execz .LBB38_310
; %bb.305:
	s_mov_b32 s24, 0x3bffffff
	v_cmp_lt_u32_e32 vcc, s24, v7
	s_mov_b64 s[24:25], 0
                                        ; implicit-def: $vgpr7
	s_and_saveexec_b64 s[26:27], vcc
	s_xor_b64 s[26:27], exec, s[26:27]
	s_cbranch_execz .LBB38_518
; %bb.306:
	v_bfe_u32 v7, v6, 20, 1
	s_mov_b32 s30, 0x487ffff
	v_add3_u32 v7, v6, v7, s30
	s_mov_b64 s[24:25], exec
	v_lshrrev_b32_e32 v7, 20, v7
	s_andn2_saveexec_b64 s[26:27], s[26:27]
	s_cbranch_execnz .LBB38_519
.LBB38_307:
	s_or_b64 exec, exec, s[26:27]
	v_mov_b32_e32 v8, 0
	s_and_saveexec_b64 s[26:27], s[24:25]
.LBB38_308:
	v_lshrrev_b32_e32 v6, 24, v6
	s_movk_i32 s24, 0x80
	v_and_or_b32 v8, v6, s24, v7
.LBB38_309:
	s_or_b64 exec, exec, s[26:27]
.LBB38_310:
	s_or_b64 exec, exec, s[20:21]
	global_store_byte v[4:5], v8, off
.LBB38_311:
	s_mov_b64 s[20:21], -1
.LBB38_312:
	s_mov_b64 s[24:25], 0
.LBB38_313:
	s_and_b64 vcc, exec, s[24:25]
	s_cbranch_vccz .LBB38_354
; %bb.314:
	s_cmp_gt_i32 s29, 22
	s_mov_b64 s[24:25], -1
	s_cbranch_scc0 .LBB38_346
; %bb.315:
	s_cmp_lt_i32 s29, 24
	s_mov_b64 s[20:21], -1
	s_cbranch_scc1 .LBB38_335
; %bb.316:
	s_cmp_gt_i32 s29, 24
	s_cbranch_scc0 .LBB38_324
; %bb.317:
	v_xor_b32_e32 v7, v2, v3
	v_ffbh_i32_e32 v6, v3
	v_ashrrev_i32_e32 v7, 31, v7
	v_add_u32_e32 v6, -1, v6
	v_add_u32_e32 v7, 32, v7
	v_min_u32_e32 v8, v6, v7
	v_lshlrev_b64 v[6:7], v8, v[2:3]
	v_min_u32_e32 v6, 1, v6
	v_or_b32_e32 v6, v7, v6
	v_cvt_f32_i32_e32 v6, v6
	v_sub_u32_e32 v7, 32, v8
	s_mov_b32 s20, 0x47800000
	v_mov_b32_e32 v8, 0x80
	v_ldexp_f32 v6, v6, v7
	v_and_b32_e32 v7, 0x7fffffff, v6
	v_cmp_gt_u32_e32 vcc, s20, v7
	s_and_saveexec_b64 s[20:21], vcc
	s_cbranch_execz .LBB38_323
; %bb.318:
	s_mov_b32 s24, 0x37ffffff
	v_cmp_lt_u32_e32 vcc, s24, v7
	s_mov_b64 s[24:25], 0
                                        ; implicit-def: $vgpr7
	s_and_saveexec_b64 s[26:27], vcc
	s_xor_b64 s[26:27], exec, s[26:27]
	s_cbranch_execz .LBB38_521
; %bb.319:
	v_bfe_u32 v7, v6, 21, 1
	s_mov_b32 s30, 0x88fffff
	v_add3_u32 v7, v6, v7, s30
	s_mov_b64 s[24:25], exec
	v_lshrrev_b32_e32 v7, 21, v7
	s_andn2_saveexec_b64 s[26:27], s[26:27]
	s_cbranch_execnz .LBB38_522
.LBB38_320:
	s_or_b64 exec, exec, s[26:27]
	v_mov_b32_e32 v8, 0
	s_and_saveexec_b64 s[26:27], s[24:25]
.LBB38_321:
	v_lshrrev_b32_e32 v6, 24, v6
	s_movk_i32 s24, 0x80
	v_and_or_b32 v8, v6, s24, v7
.LBB38_322:
	s_or_b64 exec, exec, s[26:27]
.LBB38_323:
	s_or_b64 exec, exec, s[20:21]
	s_mov_b64 s[20:21], 0
	global_store_byte v[4:5], v8, off
.LBB38_324:
	s_and_b64 vcc, exec, s[20:21]
	s_cbranch_vccz .LBB38_334
; %bb.325:
	v_xor_b32_e32 v7, v2, v3
	v_ffbh_i32_e32 v6, v3
	v_ashrrev_i32_e32 v7, 31, v7
	v_add_u32_e32 v6, -1, v6
	v_add_u32_e32 v7, 32, v7
	v_min_u32_e32 v8, v6, v7
	v_lshlrev_b64 v[6:7], v8, v[2:3]
	v_min_u32_e32 v6, 1, v6
	v_or_b32_e32 v6, v7, v6
	v_cvt_f32_i32_e32 v6, v6
	v_sub_u32_e32 v7, 32, v8
	s_mov_b32 s20, 0x43f00000
	v_ldexp_f32 v6, v6, v7
	v_and_b32_e32 v8, 0x7fffffff, v6
	v_cmp_gt_u32_e32 vcc, s20, v8
                                        ; implicit-def: $vgpr7
	s_and_saveexec_b64 s[20:21], vcc
	s_xor_b64 s[20:21], exec, s[20:21]
	s_cbranch_execz .LBB38_331
; %bb.326:
	s_mov_b32 s24, 0x3c7fffff
	v_cmp_lt_u32_e32 vcc, s24, v8
                                        ; implicit-def: $vgpr7
	s_and_saveexec_b64 s[24:25], vcc
	s_xor_b64 s[24:25], exec, s[24:25]
; %bb.327:
	v_bfe_u32 v7, v6, 20, 1
	s_mov_b32 s26, 0x407ffff
	v_add3_u32 v7, v6, v7, s26
	v_lshrrev_b32_e32 v8, 20, v7
	v_and_b32_e32 v7, 0xff00000, v7
	s_mov_b32 s26, 0x7f00000
	v_mov_b32_e32 v9, 0x7e
	v_cmp_ne_u32_e32 vcc, s26, v7
	s_nop 1
	v_cndmask_b32_e32 v7, v9, v8, vcc
; %bb.328:
	s_andn2_saveexec_b64 s[24:25], s[24:25]
; %bb.329:
	s_mov_b32 s26, 0x46800000
	v_add_f32_e64 v7, |v6|, s26
; %bb.330:
	s_or_b64 exec, exec, s[24:25]
                                        ; implicit-def: $vgpr8
.LBB38_331:
	s_andn2_saveexec_b64 s[20:21], s[20:21]
; %bb.332:
	s_mov_b32 s24, 0x7f800000
	v_mov_b32_e32 v7, 0x7e
	v_mov_b32_e32 v9, 0x7f
	v_cmp_lt_u32_e32 vcc, s24, v8
	s_nop 1
	v_cndmask_b32_e32 v7, v7, v9, vcc
; %bb.333:
	s_or_b64 exec, exec, s[20:21]
	v_lshrrev_b32_e32 v6, 24, v6
	s_movk_i32 s20, 0x80
	v_and_or_b32 v6, v6, s20, v7
	global_store_byte v[4:5], v6, off
.LBB38_334:
	s_mov_b64 s[20:21], 0
.LBB38_335:
	s_andn2_b64 vcc, exec, s[20:21]
	s_cbranch_vccnz .LBB38_345
; %bb.336:
	v_xor_b32_e32 v7, v2, v3
	v_ffbh_i32_e32 v6, v3
	v_ashrrev_i32_e32 v7, 31, v7
	v_add_u32_e32 v6, -1, v6
	v_add_u32_e32 v7, 32, v7
	v_min_u32_e32 v8, v6, v7
	v_lshlrev_b64 v[6:7], v8, v[2:3]
	v_min_u32_e32 v6, 1, v6
	v_or_b32_e32 v6, v7, v6
	v_cvt_f32_i32_e32 v6, v6
	v_sub_u32_e32 v7, 32, v8
	s_mov_b32 s20, 0x47800000
	v_ldexp_f32 v6, v6, v7
	v_and_b32_e32 v8, 0x7fffffff, v6
	v_cmp_gt_u32_e32 vcc, s20, v8
                                        ; implicit-def: $vgpr7
	s_and_saveexec_b64 s[20:21], vcc
	s_xor_b64 s[20:21], exec, s[20:21]
	s_cbranch_execz .LBB38_342
; %bb.337:
	s_mov_b32 s24, 0x387fffff
	v_cmp_lt_u32_e32 vcc, s24, v8
                                        ; implicit-def: $vgpr7
	s_and_saveexec_b64 s[24:25], vcc
	s_xor_b64 s[24:25], exec, s[24:25]
; %bb.338:
	v_bfe_u32 v7, v6, 21, 1
	s_mov_b32 s26, 0x80fffff
	v_add3_u32 v7, v6, v7, s26
	v_lshrrev_b32_e32 v7, 21, v7
; %bb.339:
	s_andn2_saveexec_b64 s[24:25], s[24:25]
; %bb.340:
	s_mov_b32 s26, 0x43000000
	v_add_f32_e64 v7, |v6|, s26
; %bb.341:
	s_or_b64 exec, exec, s[24:25]
                                        ; implicit-def: $vgpr8
.LBB38_342:
	s_andn2_saveexec_b64 s[20:21], s[20:21]
; %bb.343:
	s_mov_b32 s24, 0x7f800000
	v_mov_b32_e32 v7, 0x7c
	v_mov_b32_e32 v9, 0x7f
	v_cmp_lt_u32_e32 vcc, s24, v8
	s_nop 1
	v_cndmask_b32_e32 v7, v7, v9, vcc
; %bb.344:
	s_or_b64 exec, exec, s[20:21]
	v_lshrrev_b32_e32 v6, 24, v6
	s_movk_i32 s20, 0x80
	v_and_or_b32 v6, v6, s20, v7
	global_store_byte v[4:5], v6, off
.LBB38_345:
	s_mov_b64 s[24:25], 0
	s_mov_b64 s[20:21], -1
.LBB38_346:
	s_andn2_b64 vcc, exec, s[24:25]
	s_cbranch_vccnz .LBB38_354
; %bb.347:
	s_cmp_gt_i32 s29, 14
	s_mov_b64 s[24:25], -1
	s_cbranch_scc0 .LBB38_351
; %bb.348:
	s_cmp_eq_u32 s29, 15
	s_mov_b64 s[0:1], -1
	s_cbranch_scc0 .LBB38_350
; %bb.349:
	v_xor_b32_e32 v7, v2, v3
	v_ffbh_i32_e32 v6, v3
	v_ashrrev_i32_e32 v7, 31, v7
	v_add_u32_e32 v6, -1, v6
	v_add_u32_e32 v7, 32, v7
	v_min_u32_e32 v8, v6, v7
	v_lshlrev_b64 v[6:7], v8, v[2:3]
	v_min_u32_e32 v6, 1, v6
	v_or_b32_e32 v6, v7, v6
	v_cvt_f32_i32_e32 v6, v6
	v_sub_u32_e32 v7, 32, v8
	s_movk_i32 s0, 0x7fff
	s_mov_b64 s[20:21], -1
	v_ldexp_f32 v6, v6, v7
	v_bfe_u32 v7, v6, 16, 1
	v_add3_u32 v6, v6, v7, s0
	global_store_short_d16_hi v[4:5], v6, off
	s_mov_b64 s[0:1], 0
.LBB38_350:
	s_mov_b64 s[24:25], 0
.LBB38_351:
	s_and_b64 vcc, exec, s[24:25]
	s_cbranch_vccz .LBB38_354
; %bb.352:
	s_cmp_eq_u32 s29, 11
	s_mov_b64 s[0:1], -1
	s_cbranch_scc0 .LBB38_354
; %bb.353:
	v_cmp_ne_u64_e32 vcc, -1, v[0:1]
	s_mov_b64 s[20:21], -1
	s_mov_b64 s[0:1], 0
	v_cndmask_b32_e64 v0, 0, 1, vcc
	global_store_byte v[4:5], v0, off
.LBB38_354:
	s_mov_b64 s[24:25], 0
.LBB38_355:
	s_and_b64 vcc, exec, s[24:25]
	s_cbranch_vccz .LBB38_394
; %bb.356:
	s_and_b32 s24, 0xffff, s28
	s_cmp_lt_i32 s24, 5
	s_mov_b64 s[20:21], -1
	s_cbranch_scc1 .LBB38_377
; %bb.357:
	s_cmp_lt_i32 s24, 8
	s_cbranch_scc1 .LBB38_367
; %bb.358:
	s_cmp_lt_i32 s24, 9
	s_cbranch_scc1 .LBB38_364
; %bb.359:
	s_cmp_gt_i32 s24, 9
	s_cbranch_scc0 .LBB38_361
; %bb.360:
	v_cvt_f64_i32_e32 v[0:1], v3
	v_ldexp_f64 v[0:1], v[0:1], 32
	v_cvt_f64_u32_e32 v[6:7], v2
	v_mov_b32_e32 v8, 0
	v_add_f64 v[6:7], v[0:1], v[6:7]
	v_mov_b32_e32 v9, v8
	s_mov_b64 s[20:21], 0
	global_store_dwordx4 v[4:5], v[6:9], off
.LBB38_361:
	s_andn2_b64 vcc, exec, s[20:21]
	s_cbranch_vccnz .LBB38_363
; %bb.362:
	v_xor_b32_e32 v1, v2, v3
	v_ffbh_i32_e32 v0, v3
	v_ashrrev_i32_e32 v1, 31, v1
	v_add_u32_e32 v0, -1, v0
	v_add_u32_e32 v1, 32, v1
	v_min_u32_e32 v6, v0, v1
	v_lshlrev_b64 v[0:1], v6, v[2:3]
	v_min_u32_e32 v0, 1, v0
	v_or_b32_e32 v0, v1, v0
	v_cvt_f32_i32_e32 v0, v0
	v_sub_u32_e32 v1, 32, v6
	v_ldexp_f32 v0, v0, v1
	v_mov_b32_e32 v1, 0
	global_store_dwordx2 v[4:5], v[0:1], off
.LBB38_363:
	s_mov_b64 s[20:21], 0
.LBB38_364:
	s_andn2_b64 vcc, exec, s[20:21]
	s_cbranch_vccnz .LBB38_366
; %bb.365:
	v_xor_b32_e32 v1, v2, v3
	v_ffbh_i32_e32 v0, v3
	v_ashrrev_i32_e32 v1, 31, v1
	v_add_u32_e32 v0, -1, v0
	v_add_u32_e32 v1, 32, v1
	v_min_u32_e32 v6, v0, v1
	v_lshlrev_b64 v[0:1], v6, v[2:3]
	v_min_u32_e32 v0, 1, v0
	v_or_b32_e32 v0, v1, v0
	v_cvt_f32_i32_e32 v0, v0
	v_sub_u32_e32 v1, 32, v6
	v_ldexp_f32 v0, v0, v1
	v_cvt_f16_f32_e32 v0, v0
	global_store_dword v[4:5], v0, off
.LBB38_366:
	s_mov_b64 s[20:21], 0
.LBB38_367:
	s_andn2_b64 vcc, exec, s[20:21]
	s_cbranch_vccnz .LBB38_376
; %bb.368:
	s_cmp_lt_i32 s24, 6
	s_mov_b64 s[20:21], -1
	s_cbranch_scc1 .LBB38_374
; %bb.369:
	s_cmp_gt_i32 s24, 6
	s_cbranch_scc0 .LBB38_371
; %bb.370:
	v_cvt_f64_i32_e32 v[0:1], v3
	v_ldexp_f64 v[0:1], v[0:1], 32
	v_cvt_f64_u32_e32 v[6:7], v2
	v_add_f64 v[0:1], v[0:1], v[6:7]
	s_mov_b64 s[20:21], 0
	global_store_dwordx2 v[4:5], v[0:1], off
.LBB38_371:
	s_andn2_b64 vcc, exec, s[20:21]
	s_cbranch_vccnz .LBB38_373
; %bb.372:
	v_xor_b32_e32 v1, v2, v3
	v_ffbh_i32_e32 v0, v3
	v_ashrrev_i32_e32 v1, 31, v1
	v_add_u32_e32 v0, -1, v0
	v_add_u32_e32 v1, 32, v1
	v_min_u32_e32 v6, v0, v1
	v_lshlrev_b64 v[0:1], v6, v[2:3]
	v_min_u32_e32 v0, 1, v0
	v_or_b32_e32 v0, v1, v0
	v_cvt_f32_i32_e32 v0, v0
	v_sub_u32_e32 v1, 32, v6
	v_ldexp_f32 v0, v0, v1
	global_store_dword v[4:5], v0, off
.LBB38_373:
	s_mov_b64 s[20:21], 0
.LBB38_374:
	s_andn2_b64 vcc, exec, s[20:21]
	s_cbranch_vccnz .LBB38_376
; %bb.375:
	v_xor_b32_e32 v1, v2, v3
	v_ffbh_i32_e32 v0, v3
	v_ashrrev_i32_e32 v1, 31, v1
	v_add_u32_e32 v0, -1, v0
	v_add_u32_e32 v1, 32, v1
	v_min_u32_e32 v6, v0, v1
	v_lshlrev_b64 v[0:1], v6, v[2:3]
	v_min_u32_e32 v0, 1, v0
	v_or_b32_e32 v0, v1, v0
	v_cvt_f32_i32_e32 v0, v0
	v_sub_u32_e32 v1, 32, v6
	v_ldexp_f32 v0, v0, v1
	v_cvt_f16_f32_e32 v0, v0
	global_store_short v[4:5], v0, off
.LBB38_376:
	s_mov_b64 s[20:21], 0
.LBB38_377:
	s_andn2_b64 vcc, exec, s[20:21]
	s_cbranch_vccnz .LBB38_393
; %bb.378:
	s_cmp_lt_i32 s24, 2
	s_mov_b64 s[20:21], -1
	s_cbranch_scc1 .LBB38_388
; %bb.379:
	s_cmp_lt_i32 s24, 3
	s_cbranch_scc1 .LBB38_385
; %bb.380:
	s_cmp_gt_i32 s24, 3
	s_cbranch_scc0 .LBB38_382
; %bb.381:
	s_mov_b64 s[20:21], 0
	global_store_dwordx2 v[4:5], v[2:3], off
.LBB38_382:
	s_andn2_b64 vcc, exec, s[20:21]
	s_cbranch_vccnz .LBB38_384
; %bb.383:
	global_store_dword v[4:5], v2, off
.LBB38_384:
	s_mov_b64 s[20:21], 0
.LBB38_385:
	s_andn2_b64 vcc, exec, s[20:21]
	s_cbranch_vccnz .LBB38_387
; %bb.386:
	global_store_short v[4:5], v2, off
.LBB38_387:
	s_mov_b64 s[20:21], 0
.LBB38_388:
	s_andn2_b64 vcc, exec, s[20:21]
	s_cbranch_vccnz .LBB38_393
; %bb.389:
	s_cmp_gt_i32 s24, 0
	s_mov_b64 s[20:21], -1
	s_cbranch_scc0 .LBB38_391
; %bb.390:
	s_mov_b64 s[20:21], 0
	global_store_byte v[4:5], v2, off
.LBB38_391:
	s_andn2_b64 vcc, exec, s[20:21]
	s_cbranch_vccnz .LBB38_393
; %bb.392:
	global_store_byte v[4:5], v2, off
.LBB38_393:
	s_mov_b64 s[20:21], -1
.LBB38_394:
	s_andn2_b64 vcc, exec, s[20:21]
	s_cbranch_vccnz .LBB38_396
; %bb.395:
	v_add_u32_e32 v12, 0x80, v12
	s_mov_b64 s[24:25], -1
	s_branch .LBB38_504
.LBB38_396:
	s_mov_b64 s[24:25], 0
                                        ; implicit-def: $vgpr12
	s_branch .LBB38_504
.LBB38_397:
	s_mov_b64 s[18:19], -1
                                        ; implicit-def: $vgpr0_vgpr1
.LBB38_398:
	s_mov_b64 s[20:21], 0
.LBB38_399:
	s_and_b64 vcc, exec, s[20:21]
	s_cbranch_vccz .LBB38_403
; %bb.400:
	s_cmp_eq_u32 s24, 29
	s_cbranch_scc0 .LBB38_402
; %bb.401:
	global_load_dwordx2 v[0:1], v[2:3], off
	s_mov_b64 s[0:1], -1
	s_mov_b64 s[18:19], 0
	s_branch .LBB38_403
.LBB38_402:
	s_mov_b64 s[18:19], -1
                                        ; implicit-def: $vgpr0_vgpr1
.LBB38_403:
	s_mov_b64 s[20:21], 0
.LBB38_404:
	s_and_b64 vcc, exec, s[20:21]
	s_cbranch_vccz .LBB38_420
; %bb.405:
	s_cmp_lt_i32 s24, 27
	s_cbranch_scc1 .LBB38_408
; %bb.406:
	s_cmp_gt_i32 s24, 27
	s_cbranch_scc0 .LBB38_409
; %bb.407:
	global_load_dword v0, v[2:3], off
	s_waitcnt vmcnt(1)
	v_mov_b32_e32 v1, 0
	s_mov_b64 s[0:1], 0
	s_branch .LBB38_410
.LBB38_408:
	s_mov_b64 s[0:1], -1
                                        ; implicit-def: $vgpr0_vgpr1
	s_branch .LBB38_413
.LBB38_409:
	s_mov_b64 s[0:1], -1
                                        ; implicit-def: $vgpr0_vgpr1
.LBB38_410:
	s_andn2_b64 vcc, exec, s[0:1]
	s_cbranch_vccnz .LBB38_412
; %bb.411:
	global_load_ushort v0, v[2:3], off
	s_mov_b32 s0, 0
	s_waitcnt vmcnt(1)
	v_mov_b32_e32 v1, s0
	s_waitcnt vmcnt(0)
	v_and_b32_e32 v0, 0xffff, v0
.LBB38_412:
	s_mov_b64 s[0:1], 0
.LBB38_413:
	s_andn2_b64 vcc, exec, s[0:1]
	s_cbranch_vccnz .LBB38_419
; %bb.414:
	global_load_ubyte v4, v[2:3], off
	s_movk_i32 s0, 0x7f
	s_mov_b64 s[20:21], 0
	s_waitcnt vmcnt(0)
	v_cmp_lt_i16_e32 vcc, s0, v4
	s_and_saveexec_b64 s[0:1], vcc
	s_xor_b64 s[0:1], exec, s[0:1]
	s_cbranch_execz .LBB38_431
; %bb.415:
	s_movk_i32 s20, 0x80
	v_cmp_ne_u16_e32 vcc, s20, v4
	s_and_b64 s[20:21], vcc, exec
	s_andn2_saveexec_b64 s[0:1], s[0:1]
	s_cbranch_execnz .LBB38_432
.LBB38_416:
	s_or_b64 exec, exec, s[0:1]
	v_mov_b64_e32 v[0:1], 0
	s_and_saveexec_b64 s[0:1], s[20:21]
	s_cbranch_execz .LBB38_418
.LBB38_417:
	v_and_b32_e32 v1, 0xffff, v4
	v_lshlrev_b32_e32 v0, 24, v4
	v_and_b32_e32 v4, 7, v1
	v_ffbh_u32_e32 v6, v4
	v_min_u32_e32 v6, 32, v6
	v_subrev_u32_e32 v7, 28, v6
	v_bfe_u32 v5, v1, 3, 4
	v_lshlrev_b32_e32 v1, v7, v1
	v_sub_u32_e32 v6, 29, v6
	v_and_b32_e32 v1, 7, v1
	v_cmp_eq_u32_e32 vcc, 0, v5
	v_and_b32_e32 v0, 0x80000000, v0
	s_mov_b32 s20, 0x2f800000
	v_cndmask_b32_e32 v5, v5, v6, vcc
	v_cndmask_b32_e32 v1, v4, v1, vcc
	v_mov_b32_e32 v4, 0x3b800000
	v_lshlrev_b32_e32 v1, 20, v1
	v_lshl_add_u32 v4, v5, 23, v4
	v_or3_b32 v0, v0, v4, v1
	v_trunc_f32_e32 v0, v0
	v_mul_f32_e64 v1, |v0|, s20
	v_floor_f32_e32 v1, v1
	s_mov_b32 s20, 0xcf800000
	v_fma_f32 v4, v1, s20, |v0|
	v_cvt_u32_f32_e32 v4, v4
	v_cvt_u32_f32_e32 v1, v1
	v_ashrrev_i32_e32 v5, 31, v0
	v_xor_b32_e32 v0, v4, v5
	v_xor_b32_e32 v1, v1, v5
	v_sub_co_u32_e32 v0, vcc, v0, v5
	s_nop 1
	v_subb_co_u32_e32 v1, vcc, v1, v5, vcc
.LBB38_418:
	s_or_b64 exec, exec, s[0:1]
.LBB38_419:
	s_mov_b64 s[0:1], -1
.LBB38_420:
	s_mov_b64 s[20:21], 0
.LBB38_421:
	s_and_b64 vcc, exec, s[20:21]
	s_cbranch_vccz .LBB38_454
; %bb.422:
	s_cmp_gt_i32 s24, 22
	s_cbranch_scc0 .LBB38_430
; %bb.423:
	s_cmp_lt_i32 s24, 24
	s_cbranch_scc1 .LBB38_433
; %bb.424:
	s_cmp_gt_i32 s24, 24
	s_cbranch_scc0 .LBB38_434
; %bb.425:
	global_load_ubyte v4, v[2:3], off
	s_movk_i32 s0, 0x7f
	s_mov_b64 s[20:21], 0
	s_waitcnt vmcnt(0)
	v_cmp_lt_i16_e32 vcc, s0, v4
	s_and_saveexec_b64 s[0:1], vcc
	s_xor_b64 s[0:1], exec, s[0:1]
	s_cbranch_execz .LBB38_446
; %bb.426:
	s_movk_i32 s20, 0x80
	v_cmp_ne_u16_e32 vcc, s20, v4
	s_and_b64 s[20:21], vcc, exec
	s_andn2_saveexec_b64 s[0:1], s[0:1]
	s_cbranch_execnz .LBB38_447
.LBB38_427:
	s_or_b64 exec, exec, s[0:1]
	v_mov_b64_e32 v[0:1], 0
	s_and_saveexec_b64 s[0:1], s[20:21]
	s_cbranch_execz .LBB38_429
.LBB38_428:
	v_and_b32_e32 v1, 0xffff, v4
	v_lshlrev_b32_e32 v0, 24, v4
	v_and_b32_e32 v4, 3, v1
	v_ffbh_u32_e32 v6, v4
	v_min_u32_e32 v6, 32, v6
	v_subrev_u32_e32 v7, 29, v6
	v_bfe_u32 v5, v1, 2, 5
	v_lshlrev_b32_e32 v1, v7, v1
	v_sub_u32_e32 v6, 30, v6
	v_and_b32_e32 v1, 3, v1
	v_cmp_eq_u32_e32 vcc, 0, v5
	v_and_b32_e32 v0, 0x80000000, v0
	s_mov_b32 s20, 0x2f800000
	v_cndmask_b32_e32 v5, v5, v6, vcc
	v_cndmask_b32_e32 v1, v4, v1, vcc
	v_mov_b32_e32 v4, 0x37800000
	v_lshlrev_b32_e32 v1, 21, v1
	v_lshl_add_u32 v4, v5, 23, v4
	v_or3_b32 v0, v0, v4, v1
	v_trunc_f32_e32 v0, v0
	v_mul_f32_e64 v1, |v0|, s20
	v_floor_f32_e32 v1, v1
	s_mov_b32 s20, 0xcf800000
	v_fma_f32 v4, v1, s20, |v0|
	v_cvt_u32_f32_e32 v4, v4
	v_cvt_u32_f32_e32 v1, v1
	v_ashrrev_i32_e32 v5, 31, v0
	v_xor_b32_e32 v0, v4, v5
	v_xor_b32_e32 v1, v1, v5
	v_sub_co_u32_e32 v0, vcc, v0, v5
	s_nop 1
	v_subb_co_u32_e32 v1, vcc, v1, v5, vcc
.LBB38_429:
	s_or_b64 exec, exec, s[0:1]
	s_mov_b64 s[0:1], 0
	s_branch .LBB38_435
.LBB38_430:
	s_mov_b64 s[20:21], -1
                                        ; implicit-def: $vgpr0_vgpr1
	s_branch .LBB38_441
.LBB38_431:
	s_andn2_saveexec_b64 s[0:1], s[0:1]
	s_cbranch_execz .LBB38_416
.LBB38_432:
	v_cmp_ne_u16_e32 vcc, 0, v4
	s_andn2_b64 s[20:21], s[20:21], exec
	s_and_b64 s[26:27], vcc, exec
	s_or_b64 s[20:21], s[20:21], s[26:27]
	s_or_b64 exec, exec, s[0:1]
	v_mov_b64_e32 v[0:1], 0
	s_and_saveexec_b64 s[0:1], s[20:21]
	s_cbranch_execnz .LBB38_417
	s_branch .LBB38_418
.LBB38_433:
	s_mov_b64 s[0:1], -1
                                        ; implicit-def: $vgpr0_vgpr1
	s_branch .LBB38_438
.LBB38_434:
	s_mov_b64 s[0:1], -1
                                        ; implicit-def: $vgpr0_vgpr1
.LBB38_435:
	s_and_b64 vcc, exec, s[0:1]
	s_cbranch_vccz .LBB38_437
; %bb.436:
	global_load_ubyte v0, v[2:3], off
	s_mov_b32 s0, 0x7f800000
	s_brev_b32 s1, 1
	s_mov_b32 s20, 0x2f800000
	s_mov_b32 s21, 0xcf800000
	s_waitcnt vmcnt(0)
	v_lshlrev_b32_e32 v0, 24, v0
	v_and_b32_e32 v1, 0x7f000000, v0
	v_ffbh_u32_e32 v4, v1
	v_min_u32_e32 v4, 32, v4
	v_sub_u32_e64 v4, v4, 4 clamp
	v_lshlrev_b32_e32 v6, v4, v1
	v_lshlrev_b32_e32 v4, 23, v4
	v_lshrrev_b32_e32 v6, 4, v6
	v_add_u32_e32 v5, 0x1000000, v1
	v_sub_u32_e32 v4, v6, v4
	v_ashrrev_i32_e32 v5, 8, v5
	v_add_u32_e32 v4, 0x3c000000, v4
	v_and_or_b32 v4, v5, s0, v4
	v_cmp_ne_u32_e32 vcc, 0, v1
	s_nop 1
	v_cndmask_b32_e32 v1, 0, v4, vcc
	v_and_or_b32 v0, v0, s1, v1
	v_trunc_f32_e32 v0, v0
	v_mul_f32_e64 v1, |v0|, s20
	v_floor_f32_e32 v1, v1
	v_fma_f32 v4, v1, s21, |v0|
	v_cvt_u32_f32_e32 v4, v4
	v_cvt_u32_f32_e32 v1, v1
	v_ashrrev_i32_e32 v5, 31, v0
	v_xor_b32_e32 v0, v4, v5
	v_xor_b32_e32 v1, v1, v5
	v_sub_co_u32_e32 v0, vcc, v0, v5
	s_nop 1
	v_subb_co_u32_e32 v1, vcc, v1, v5, vcc
.LBB38_437:
	s_mov_b64 s[0:1], 0
.LBB38_438:
	s_andn2_b64 vcc, exec, s[0:1]
	s_cbranch_vccnz .LBB38_440
; %bb.439:
	global_load_ubyte v0, v[2:3], off
	s_movk_i32 s0, 0x7f00
	s_brev_b32 s1, 16
	s_brev_b32 s20, 1
	s_mov_b32 s21, 0x2f800000
	s_mov_b32 s25, 0xcf800000
	s_waitcnt vmcnt(0)
	v_lshlrev_b16_e32 v1, 8, v0
	v_lshlrev_b32_e32 v0, 25, v0
	v_lshrrev_b32_e32 v4, 4, v0
	v_and_or_b32 v5, v1, s0, 0.5
	v_or_b32_e32 v4, 0x70000000, v4
	v_add_f32_e32 v5, -0.5, v5
	v_mul_f32_e32 v4, 0x7800000, v4
	v_cmp_gt_u32_e32 vcc, s1, v0
	v_bfe_i32 v1, v1, 0, 16
	s_nop 0
	v_cndmask_b32_e32 v0, v4, v5, vcc
	v_and_or_b32 v0, v1, s20, v0
	v_trunc_f32_e32 v0, v0
	v_mul_f32_e64 v1, |v0|, s21
	v_floor_f32_e32 v1, v1
	v_fma_f32 v4, v1, s25, |v0|
	v_cvt_u32_f32_e32 v4, v4
	v_cvt_u32_f32_e32 v1, v1
	v_ashrrev_i32_e32 v5, 31, v0
	v_xor_b32_e32 v0, v4, v5
	v_xor_b32_e32 v1, v1, v5
	v_sub_co_u32_e32 v0, vcc, v0, v5
	s_nop 1
	v_subb_co_u32_e32 v1, vcc, v1, v5, vcc
.LBB38_440:
	s_mov_b64 s[20:21], 0
	s_mov_b64 s[0:1], -1
.LBB38_441:
	s_andn2_b64 vcc, exec, s[20:21]
	s_cbranch_vccnz .LBB38_454
; %bb.442:
	s_cmp_gt_i32 s24, 14
	s_cbranch_scc0 .LBB38_445
; %bb.443:
	s_cmp_eq_u32 s24, 15
	s_cbranch_scc0 .LBB38_448
; %bb.444:
	global_load_ushort v0, v[2:3], off
	s_mov_b32 s0, 0x2f800000
	s_mov_b32 s1, 0xcf800000
	s_mov_b64 s[18:19], 0
	s_waitcnt vmcnt(0)
	v_lshlrev_b32_e32 v0, 16, v0
	v_trunc_f32_e32 v0, v0
	v_mul_f32_e64 v1, |v0|, s0
	v_floor_f32_e32 v1, v1
	v_fma_f32 v4, v1, s1, |v0|
	v_cvt_u32_f32_e32 v4, v4
	v_cvt_u32_f32_e32 v1, v1
	v_ashrrev_i32_e32 v5, 31, v0
	s_mov_b64 s[0:1], -1
	v_xor_b32_e32 v0, v4, v5
	v_xor_b32_e32 v1, v1, v5
	v_sub_co_u32_e32 v0, vcc, v0, v5
	s_nop 1
	v_subb_co_u32_e32 v1, vcc, v1, v5, vcc
	s_branch .LBB38_449
.LBB38_445:
	s_mov_b64 s[20:21], -1
                                        ; implicit-def: $vgpr0_vgpr1
	s_branch .LBB38_450
.LBB38_446:
	s_andn2_saveexec_b64 s[0:1], s[0:1]
	s_cbranch_execz .LBB38_427
.LBB38_447:
	v_cmp_ne_u16_e32 vcc, 0, v4
	s_andn2_b64 s[20:21], s[20:21], exec
	s_and_b64 s[26:27], vcc, exec
	s_or_b64 s[20:21], s[20:21], s[26:27]
	s_or_b64 exec, exec, s[0:1]
	v_mov_b64_e32 v[0:1], 0
	s_and_saveexec_b64 s[0:1], s[20:21]
	s_cbranch_execnz .LBB38_428
	s_branch .LBB38_429
.LBB38_448:
	s_mov_b64 s[18:19], -1
                                        ; implicit-def: $vgpr0_vgpr1
.LBB38_449:
	s_mov_b64 s[20:21], 0
.LBB38_450:
	s_and_b64 vcc, exec, s[20:21]
	s_cbranch_vccz .LBB38_454
; %bb.451:
	s_cmp_eq_u32 s24, 11
	s_cbranch_scc0 .LBB38_453
; %bb.452:
	global_load_ubyte v0, v[2:3], off
	s_mov_b32 s18, 0
	s_mov_b64 s[0:1], -1
	s_waitcnt vmcnt(1)
	v_mov_b32_e32 v1, s18
	s_mov_b64 s[18:19], 0
	s_waitcnt vmcnt(0)
	v_cmp_ne_u16_e32 vcc, 0, v0
	s_nop 1
	v_cndmask_b32_e64 v0, 0, 1, vcc
	s_branch .LBB38_454
.LBB38_453:
	s_mov_b64 s[18:19], -1
                                        ; implicit-def: $vgpr0_vgpr1
.LBB38_454:
	s_branch .LBB38_261
.LBB38_455:
	s_cmp_lt_i32 s24, 5
	s_cbranch_scc1 .LBB38_460
; %bb.456:
	s_cmp_lt_i32 s24, 8
	s_cbranch_scc1 .LBB38_461
; %bb.457:
	;; [unrolled: 3-line block ×3, first 2 shown]
	s_cmp_gt_i32 s24, 9
	s_cbranch_scc0 .LBB38_463
; %bb.459:
	global_load_dwordx2 v[0:1], v[2:3], off
	s_movk_i32 s0, 0xffe0
	s_waitcnt vmcnt(0)
	v_trunc_f64_e32 v[4:5], v[0:1]
	v_ldexp_f64 v[0:1], v[4:5], s0
	v_floor_f64_e32 v[6:7], v[0:1]
	v_fmac_f64_e32 v[4:5], 0xc1f00000, v[6:7]
	v_cvt_i32_f64_e32 v1, v[6:7]
	v_cvt_u32_f64_e32 v0, v[4:5]
	s_mov_b64 s[0:1], 0
	s_branch .LBB38_464
.LBB38_460:
	s_mov_b64 s[0:1], -1
                                        ; implicit-def: $vgpr0_vgpr1
	s_branch .LBB38_482
.LBB38_461:
	s_mov_b64 s[0:1], -1
                                        ; implicit-def: $vgpr0_vgpr1
	s_branch .LBB38_470
.LBB38_462:
	s_mov_b64 s[0:1], -1
                                        ; implicit-def: $vgpr0_vgpr1
	s_branch .LBB38_467
.LBB38_463:
	s_mov_b64 s[0:1], -1
                                        ; implicit-def: $vgpr0_vgpr1
.LBB38_464:
	s_andn2_b64 vcc, exec, s[0:1]
	s_cbranch_vccnz .LBB38_466
; %bb.465:
	global_load_dword v0, v[2:3], off
	s_mov_b32 s0, 0x2f800000
	s_mov_b32 s1, 0xcf800000
	s_waitcnt vmcnt(0)
	v_trunc_f32_e32 v0, v0
	v_mul_f32_e64 v1, |v0|, s0
	v_floor_f32_e32 v1, v1
	v_cvt_u32_f32_e32 v4, v1
	v_fma_f32 v1, v1, s1, |v0|
	v_cvt_u32_f32_e32 v1, v1
	v_ashrrev_i32_e32 v5, 31, v0
	v_xor_b32_e32 v4, v4, v5
	v_xor_b32_e32 v0, v1, v5
	v_sub_co_u32_e32 v0, vcc, v0, v5
	s_nop 1
	v_subb_co_u32_e32 v1, vcc, v4, v5, vcc
.LBB38_466:
	s_mov_b64 s[0:1], 0
.LBB38_467:
	s_andn2_b64 vcc, exec, s[0:1]
	s_cbranch_vccnz .LBB38_469
; %bb.468:
	global_load_dword v0, v[2:3], off
	s_waitcnt vmcnt(0)
	v_cvt_f32_f16_e32 v0, v0
	v_cvt_i32_f32_e32 v0, v0
	v_ashrrev_i32_e32 v1, 31, v0
.LBB38_469:
	s_mov_b64 s[0:1], 0
.LBB38_470:
	s_andn2_b64 vcc, exec, s[0:1]
	s_cbranch_vccnz .LBB38_481
; %bb.471:
	s_cmp_lt_i32 s24, 6
	s_cbranch_scc1 .LBB38_474
; %bb.472:
	s_cmp_gt_i32 s24, 6
	s_cbranch_scc0 .LBB38_475
; %bb.473:
	global_load_dwordx2 v[0:1], v[2:3], off
	s_movk_i32 s0, 0xffe0
	s_waitcnt vmcnt(0)
	v_trunc_f64_e32 v[4:5], v[0:1]
	v_ldexp_f64 v[0:1], v[4:5], s0
	v_floor_f64_e32 v[6:7], v[0:1]
	v_fmac_f64_e32 v[4:5], 0xc1f00000, v[6:7]
	v_cvt_i32_f64_e32 v1, v[6:7]
	v_cvt_u32_f64_e32 v0, v[4:5]
	s_mov_b64 s[0:1], 0
	s_branch .LBB38_476
.LBB38_474:
	s_mov_b64 s[0:1], -1
                                        ; implicit-def: $vgpr0_vgpr1
	s_branch .LBB38_479
.LBB38_475:
	s_mov_b64 s[0:1], -1
                                        ; implicit-def: $vgpr0_vgpr1
.LBB38_476:
	s_andn2_b64 vcc, exec, s[0:1]
	s_cbranch_vccnz .LBB38_478
; %bb.477:
	global_load_dword v0, v[2:3], off
	s_mov_b32 s0, 0x2f800000
	s_mov_b32 s1, 0xcf800000
	s_waitcnt vmcnt(0)
	v_trunc_f32_e32 v0, v0
	v_mul_f32_e64 v1, |v0|, s0
	v_floor_f32_e32 v1, v1
	v_cvt_u32_f32_e32 v4, v1
	v_fma_f32 v1, v1, s1, |v0|
	v_cvt_u32_f32_e32 v1, v1
	v_ashrrev_i32_e32 v5, 31, v0
	v_xor_b32_e32 v4, v4, v5
	v_xor_b32_e32 v0, v1, v5
	v_sub_co_u32_e32 v0, vcc, v0, v5
	s_nop 1
	v_subb_co_u32_e32 v1, vcc, v4, v5, vcc
.LBB38_478:
	s_mov_b64 s[0:1], 0
.LBB38_479:
	s_andn2_b64 vcc, exec, s[0:1]
	s_cbranch_vccnz .LBB38_481
; %bb.480:
	global_load_ushort v0, v[2:3], off
	s_waitcnt vmcnt(0)
	v_cvt_f32_f16_e32 v0, v0
	v_cvt_i32_f32_e32 v0, v0
	v_ashrrev_i32_e32 v1, 31, v0
.LBB38_481:
	s_mov_b64 s[0:1], 0
.LBB38_482:
	s_andn2_b64 vcc, exec, s[0:1]
	s_cbranch_vccnz .LBB38_502
; %bb.483:
	s_cmp_lt_i32 s24, 2
	s_cbranch_scc1 .LBB38_487
; %bb.484:
	s_cmp_lt_i32 s24, 3
	s_cbranch_scc1 .LBB38_488
; %bb.485:
	s_cmp_gt_i32 s24, 3
	s_cbranch_scc0 .LBB38_489
; %bb.486:
	global_load_dwordx2 v[0:1], v[2:3], off
	s_mov_b64 s[0:1], 0
	s_branch .LBB38_490
.LBB38_487:
	s_mov_b64 s[0:1], -1
                                        ; implicit-def: $vgpr0_vgpr1
	s_branch .LBB38_496
.LBB38_488:
	s_mov_b64 s[0:1], -1
                                        ; implicit-def: $vgpr0_vgpr1
	s_branch .LBB38_493
.LBB38_489:
	s_mov_b64 s[0:1], -1
                                        ; implicit-def: $vgpr0_vgpr1
.LBB38_490:
	s_andn2_b64 vcc, exec, s[0:1]
	s_cbranch_vccnz .LBB38_492
; %bb.491:
	global_load_dword v0, v[2:3], off
	s_waitcnt vmcnt(0)
	v_ashrrev_i32_e32 v1, 31, v0
.LBB38_492:
	s_mov_b64 s[0:1], 0
.LBB38_493:
	s_andn2_b64 vcc, exec, s[0:1]
	s_cbranch_vccnz .LBB38_495
; %bb.494:
	global_load_ushort v0, v[2:3], off
	s_waitcnt vmcnt(0)
	v_bfe_i32 v0, v0, 0, 16
	v_ashrrev_i32_e32 v1, 31, v0
.LBB38_495:
	s_mov_b64 s[0:1], 0
.LBB38_496:
	s_andn2_b64 vcc, exec, s[0:1]
	s_cbranch_vccnz .LBB38_502
; %bb.497:
	s_cmp_gt_i32 s24, 0
	s_cbranch_scc0 .LBB38_499
; %bb.498:
	global_load_sbyte v0, v[2:3], off
	s_mov_b64 s[0:1], 0
	s_waitcnt vmcnt(0)
	v_bfe_i32 v0, v0, 0, 16
	v_ashrrev_i32_e32 v1, 31, v0
	s_branch .LBB38_500
.LBB38_499:
	s_mov_b64 s[0:1], -1
                                        ; implicit-def: $vgpr0_vgpr1
.LBB38_500:
	s_andn2_b64 vcc, exec, s[0:1]
	s_cbranch_vccnz .LBB38_502
; %bb.501:
	global_load_ubyte v0, v[2:3], off
	s_mov_b32 s0, 0
	s_waitcnt vmcnt(1)
	v_mov_b32_e32 v1, s0
	s_waitcnt vmcnt(0)
	v_and_b32_e32 v0, 0xffff, v0
.LBB38_502:
	s_branch .LBB38_262
.LBB38_503:
	s_mov_b64 s[24:25], 0
                                        ; implicit-def: $vgpr12
	s_mov_b64 s[0:1], s[12:13]
.LBB38_504:
	s_andn2_b64 s[20:21], s[12:13], exec
	s_and_b64 s[0:1], s[0:1], exec
	s_or_b64 s[20:21], s[20:21], s[0:1]
	s_andn2_b64 s[0:1], s[14:15], exec
	s_and_b64 s[18:19], s[18:19], exec
	s_or_b64 s[18:19], s[0:1], s[18:19]
	s_orn2_b64 s[0:1], s[24:25], exec
.LBB38_505:
	s_or_b64 exec, exec, s[22:23]
	s_mov_b64 s[24:25], 0
	s_mov_b64 s[26:27], 0
	;; [unrolled: 1-line block ×3, first 2 shown]
                                        ; implicit-def: $vgpr2_vgpr3
                                        ; implicit-def: $vgpr0_vgpr1
	s_and_saveexec_b64 s[22:23], s[0:1]
	s_cbranch_execz .LBB38_842
; %bb.506:
	v_cmp_gt_i32_e32 vcc, s38, v12
	s_mov_b64 s[34:35], -1
	s_mov_b64 s[0:1], s[18:19]
	s_mov_b64 s[28:29], s[20:21]
	s_and_saveexec_b64 s[24:25], vcc
	s_cbranch_execz .LBB38_760
; %bb.507:
	s_waitcnt vmcnt(0)
	v_mul_lo_u32 v0, v12, s9
	v_ashrrev_i32_e32 v1, 31, v0
	s_and_b32 s30, 0xffff, s42
	s_cmp_lt_i32 s30, 11
	v_lshl_add_u64 v[2:3], s[6:7], 0, v[0:1]
	s_cbranch_scc1 .LBB38_514
; %bb.508:
	s_cmp_gt_i32 s30, 25
	s_cbranch_scc0 .LBB38_515
; %bb.509:
	s_cmp_gt_i32 s30, 28
	s_cbranch_scc0 .LBB38_516
	;; [unrolled: 3-line block ×4, first 2 shown]
; %bb.512:
	s_cmp_eq_u32 s30, 46
	s_mov_b64 s[28:29], 0
	s_cbranch_scc0 .LBB38_523
; %bb.513:
	global_load_dword v0, v[2:3], off
	s_mov_b32 s0, 0x2f800000
	s_mov_b32 s1, 0xcf800000
	s_waitcnt vmcnt(0)
	v_lshlrev_b32_e32 v0, 16, v0
	v_trunc_f32_e32 v0, v0
	v_mul_f32_e64 v1, |v0|, s0
	v_floor_f32_e32 v1, v1
	v_fma_f32 v4, v1, s1, |v0|
	v_cvt_u32_f32_e32 v4, v4
	v_cvt_u32_f32_e32 v1, v1
	v_ashrrev_i32_e32 v5, 31, v0
	s_mov_b64 s[0:1], -1
	v_xor_b32_e32 v0, v4, v5
	v_xor_b32_e32 v1, v1, v5
	v_sub_co_u32_e32 v0, vcc, v0, v5
	s_nop 1
	v_subb_co_u32_e32 v1, vcc, v1, v5, vcc
	s_branch .LBB38_524
.LBB38_514:
	s_mov_b64 s[28:29], -1
	s_mov_b64 s[0:1], 0
                                        ; implicit-def: $vgpr0_vgpr1
	s_mov_b64 s[26:27], s[18:19]
	s_branch .LBB38_585
.LBB38_515:
	s_mov_b64 s[28:29], -1
	s_mov_b64 s[0:1], 0
	s_mov_b64 s[26:27], s[18:19]
                                        ; implicit-def: $vgpr0_vgpr1
	s_branch .LBB38_551
.LBB38_516:
	s_mov_b64 s[28:29], -1
	s_mov_b64 s[0:1], 0
	s_mov_b64 s[26:27], s[18:19]
                                        ; implicit-def: $vgpr0_vgpr1
	s_branch .LBB38_534
.LBB38_517:
	s_mov_b64 s[28:29], -1
	s_mov_b64 s[0:1], 0
	s_mov_b64 s[26:27], s[18:19]
                                        ; implicit-def: $vgpr0_vgpr1
	s_branch .LBB38_529
.LBB38_518:
	s_andn2_saveexec_b64 s[26:27], s[26:27]
	s_cbranch_execz .LBB38_307
.LBB38_519:
	s_mov_b32 s30, 0x46000000
	v_add_f32_e64 v7, |v6|, s30
	v_and_b32_e32 v7, 0xff, v7
	v_cmp_ne_u32_e32 vcc, 0, v7
	s_andn2_b64 s[24:25], s[24:25], exec
	s_and_b64 s[30:31], vcc, exec
	s_or_b64 s[24:25], s[24:25], s[30:31]
	s_or_b64 exec, exec, s[26:27]
	v_mov_b32_e32 v8, 0
	s_and_saveexec_b64 s[26:27], s[24:25]
	s_cbranch_execnz .LBB38_308
	s_branch .LBB38_309
.LBB38_520:
	s_mov_b64 s[28:29], -1
	s_mov_b64 s[0:1], 0
	s_mov_b64 s[26:27], s[18:19]
                                        ; implicit-def: $vgpr0_vgpr1
	s_branch .LBB38_524
.LBB38_521:
	s_andn2_saveexec_b64 s[26:27], s[26:27]
	s_cbranch_execz .LBB38_320
.LBB38_522:
	s_mov_b32 s30, 0x42800000
	v_add_f32_e64 v7, |v6|, s30
	v_and_b32_e32 v7, 0xff, v7
	v_cmp_ne_u32_e32 vcc, 0, v7
	s_andn2_b64 s[24:25], s[24:25], exec
	s_and_b64 s[30:31], vcc, exec
	s_or_b64 s[24:25], s[24:25], s[30:31]
	s_or_b64 exec, exec, s[26:27]
	v_mov_b32_e32 v8, 0
	s_and_saveexec_b64 s[26:27], s[24:25]
	s_cbranch_execnz .LBB38_321
	s_branch .LBB38_322
.LBB38_523:
	s_mov_b64 s[26:27], -1
                                        ; implicit-def: $vgpr0_vgpr1
	s_mov_b64 s[0:1], 0
.LBB38_524:
	s_and_b64 vcc, exec, s[28:29]
	s_cbranch_vccz .LBB38_528
; %bb.525:
	s_cmp_eq_u32 s30, 44
	s_cbranch_scc0 .LBB38_527
; %bb.526:
	global_load_ubyte v0, v[2:3], off
	s_mov_b32 s0, 0x2f800000
	s_mov_b32 s1, 0xcf800000
	s_mov_b64 s[26:27], 0
	s_waitcnt vmcnt(0)
	v_lshlrev_b32_e32 v1, 23, v0
	v_trunc_f32_e32 v1, v1
	v_mul_f32_e64 v4, |v1|, s0
	v_floor_f32_e32 v4, v4
	v_fma_f32 v5, v4, s1, |v1|
	v_cvt_u32_f32_e32 v5, v5
	v_cvt_u32_f32_e32 v4, v4
	v_ashrrev_i32_e32 v1, 31, v1
	s_mov_b64 s[0:1], -1
	v_xor_b32_e32 v5, v5, v1
	v_xor_b32_e32 v4, v4, v1
	v_sub_co_u32_e32 v5, vcc, v5, v1
	s_nop 1
	v_subb_co_u32_e32 v1, vcc, v4, v1, vcc
	v_cmp_ne_u32_e32 vcc, 0, v0
	s_nop 1
	v_cndmask_b32_e32 v1, 0, v1, vcc
	v_cndmask_b32_e32 v0, 0, v5, vcc
	s_branch .LBB38_528
.LBB38_527:
	s_mov_b64 s[26:27], -1
                                        ; implicit-def: $vgpr0_vgpr1
.LBB38_528:
	s_mov_b64 s[28:29], 0
.LBB38_529:
	s_and_b64 vcc, exec, s[28:29]
	s_cbranch_vccz .LBB38_533
; %bb.530:
	s_cmp_eq_u32 s30, 29
	s_cbranch_scc0 .LBB38_532
; %bb.531:
	global_load_dwordx2 v[0:1], v[2:3], off
	s_mov_b64 s[0:1], -1
	s_mov_b64 s[26:27], 0
	s_branch .LBB38_533
.LBB38_532:
	s_mov_b64 s[26:27], -1
                                        ; implicit-def: $vgpr0_vgpr1
.LBB38_533:
	s_mov_b64 s[28:29], 0
.LBB38_534:
	s_and_b64 vcc, exec, s[28:29]
	s_cbranch_vccz .LBB38_550
; %bb.535:
	s_cmp_lt_i32 s30, 27
	s_cbranch_scc1 .LBB38_538
; %bb.536:
	s_cmp_gt_i32 s30, 27
	s_cbranch_scc0 .LBB38_539
; %bb.537:
	global_load_dword v0, v[2:3], off
	s_waitcnt vmcnt(1)
	v_mov_b32_e32 v1, 0
	s_mov_b64 s[0:1], 0
	s_branch .LBB38_540
.LBB38_538:
	s_mov_b64 s[0:1], -1
                                        ; implicit-def: $vgpr0_vgpr1
	s_branch .LBB38_543
.LBB38_539:
	s_mov_b64 s[0:1], -1
                                        ; implicit-def: $vgpr0_vgpr1
.LBB38_540:
	s_andn2_b64 vcc, exec, s[0:1]
	s_cbranch_vccnz .LBB38_542
; %bb.541:
	global_load_ushort v0, v[2:3], off
	s_mov_b32 s0, 0
	s_waitcnt vmcnt(1)
	v_mov_b32_e32 v1, s0
	s_waitcnt vmcnt(0)
	v_and_b32_e32 v0, 0xffff, v0
.LBB38_542:
	s_mov_b64 s[0:1], 0
.LBB38_543:
	s_andn2_b64 vcc, exec, s[0:1]
	s_cbranch_vccnz .LBB38_549
; %bb.544:
	global_load_ubyte v4, v[2:3], off
	s_movk_i32 s0, 0x7f
	s_mov_b64 s[28:29], 0
	s_waitcnt vmcnt(0)
	v_cmp_lt_i16_e32 vcc, s0, v4
	s_and_saveexec_b64 s[0:1], vcc
	s_xor_b64 s[0:1], exec, s[0:1]
	s_cbranch_execz .LBB38_561
; %bb.545:
	s_movk_i32 s28, 0x80
	v_cmp_ne_u16_e32 vcc, s28, v4
	s_and_b64 s[28:29], vcc, exec
	s_andn2_saveexec_b64 s[0:1], s[0:1]
	s_cbranch_execnz .LBB38_562
.LBB38_546:
	s_or_b64 exec, exec, s[0:1]
	v_mov_b64_e32 v[0:1], 0
	s_and_saveexec_b64 s[0:1], s[28:29]
	s_cbranch_execz .LBB38_548
.LBB38_547:
	v_and_b32_e32 v1, 0xffff, v4
	v_lshlrev_b32_e32 v0, 24, v4
	v_and_b32_e32 v4, 7, v1
	v_ffbh_u32_e32 v6, v4
	v_min_u32_e32 v6, 32, v6
	v_subrev_u32_e32 v7, 28, v6
	v_bfe_u32 v5, v1, 3, 4
	v_lshlrev_b32_e32 v1, v7, v1
	v_sub_u32_e32 v6, 29, v6
	v_and_b32_e32 v1, 7, v1
	v_cmp_eq_u32_e32 vcc, 0, v5
	v_and_b32_e32 v0, 0x80000000, v0
	s_mov_b32 s28, 0x2f800000
	v_cndmask_b32_e32 v5, v5, v6, vcc
	v_cndmask_b32_e32 v1, v4, v1, vcc
	v_mov_b32_e32 v4, 0x3b800000
	v_lshlrev_b32_e32 v1, 20, v1
	v_lshl_add_u32 v4, v5, 23, v4
	v_or3_b32 v0, v0, v4, v1
	v_trunc_f32_e32 v0, v0
	v_mul_f32_e64 v1, |v0|, s28
	v_floor_f32_e32 v1, v1
	s_mov_b32 s28, 0xcf800000
	v_fma_f32 v4, v1, s28, |v0|
	v_cvt_u32_f32_e32 v4, v4
	v_cvt_u32_f32_e32 v1, v1
	v_ashrrev_i32_e32 v5, 31, v0
	v_xor_b32_e32 v0, v4, v5
	v_xor_b32_e32 v1, v1, v5
	v_sub_co_u32_e32 v0, vcc, v0, v5
	s_nop 1
	v_subb_co_u32_e32 v1, vcc, v1, v5, vcc
.LBB38_548:
	s_or_b64 exec, exec, s[0:1]
.LBB38_549:
	s_mov_b64 s[0:1], -1
.LBB38_550:
	s_mov_b64 s[28:29], 0
.LBB38_551:
	s_and_b64 vcc, exec, s[28:29]
	s_cbranch_vccz .LBB38_584
; %bb.552:
	s_cmp_gt_i32 s30, 22
	s_cbranch_scc0 .LBB38_560
; %bb.553:
	s_cmp_lt_i32 s30, 24
	s_cbranch_scc1 .LBB38_563
; %bb.554:
	s_cmp_gt_i32 s30, 24
	s_cbranch_scc0 .LBB38_564
; %bb.555:
	global_load_ubyte v4, v[2:3], off
	s_movk_i32 s0, 0x7f
	s_mov_b64 s[28:29], 0
	s_waitcnt vmcnt(0)
	v_cmp_lt_i16_e32 vcc, s0, v4
	s_and_saveexec_b64 s[0:1], vcc
	s_xor_b64 s[0:1], exec, s[0:1]
	s_cbranch_execz .LBB38_576
; %bb.556:
	s_movk_i32 s28, 0x80
	v_cmp_ne_u16_e32 vcc, s28, v4
	s_and_b64 s[28:29], vcc, exec
	s_andn2_saveexec_b64 s[0:1], s[0:1]
	s_cbranch_execnz .LBB38_577
.LBB38_557:
	s_or_b64 exec, exec, s[0:1]
	v_mov_b64_e32 v[0:1], 0
	s_and_saveexec_b64 s[0:1], s[28:29]
	s_cbranch_execz .LBB38_559
.LBB38_558:
	v_and_b32_e32 v1, 0xffff, v4
	v_lshlrev_b32_e32 v0, 24, v4
	v_and_b32_e32 v4, 3, v1
	v_ffbh_u32_e32 v6, v4
	v_min_u32_e32 v6, 32, v6
	v_subrev_u32_e32 v7, 29, v6
	v_bfe_u32 v5, v1, 2, 5
	v_lshlrev_b32_e32 v1, v7, v1
	v_sub_u32_e32 v6, 30, v6
	v_and_b32_e32 v1, 3, v1
	v_cmp_eq_u32_e32 vcc, 0, v5
	v_and_b32_e32 v0, 0x80000000, v0
	s_mov_b32 s28, 0x2f800000
	v_cndmask_b32_e32 v5, v5, v6, vcc
	v_cndmask_b32_e32 v1, v4, v1, vcc
	v_mov_b32_e32 v4, 0x37800000
	v_lshlrev_b32_e32 v1, 21, v1
	v_lshl_add_u32 v4, v5, 23, v4
	v_or3_b32 v0, v0, v4, v1
	v_trunc_f32_e32 v0, v0
	v_mul_f32_e64 v1, |v0|, s28
	v_floor_f32_e32 v1, v1
	s_mov_b32 s28, 0xcf800000
	v_fma_f32 v4, v1, s28, |v0|
	v_cvt_u32_f32_e32 v4, v4
	v_cvt_u32_f32_e32 v1, v1
	v_ashrrev_i32_e32 v5, 31, v0
	v_xor_b32_e32 v0, v4, v5
	v_xor_b32_e32 v1, v1, v5
	v_sub_co_u32_e32 v0, vcc, v0, v5
	s_nop 1
	v_subb_co_u32_e32 v1, vcc, v1, v5, vcc
.LBB38_559:
	s_or_b64 exec, exec, s[0:1]
	s_mov_b64 s[0:1], 0
	s_branch .LBB38_565
.LBB38_560:
	s_mov_b64 s[28:29], -1
                                        ; implicit-def: $vgpr0_vgpr1
	s_branch .LBB38_571
.LBB38_561:
	s_andn2_saveexec_b64 s[0:1], s[0:1]
	s_cbranch_execz .LBB38_546
.LBB38_562:
	v_cmp_ne_u16_e32 vcc, 0, v4
	s_andn2_b64 s[28:29], s[28:29], exec
	s_and_b64 s[34:35], vcc, exec
	s_or_b64 s[28:29], s[28:29], s[34:35]
	s_or_b64 exec, exec, s[0:1]
	v_mov_b64_e32 v[0:1], 0
	s_and_saveexec_b64 s[0:1], s[28:29]
	s_cbranch_execnz .LBB38_547
	s_branch .LBB38_548
.LBB38_563:
	s_mov_b64 s[0:1], -1
                                        ; implicit-def: $vgpr0_vgpr1
	s_branch .LBB38_568
.LBB38_564:
	s_mov_b64 s[0:1], -1
                                        ; implicit-def: $vgpr0_vgpr1
.LBB38_565:
	s_and_b64 vcc, exec, s[0:1]
	s_cbranch_vccz .LBB38_567
; %bb.566:
	global_load_ubyte v0, v[2:3], off
	s_mov_b32 s0, 0x7f800000
	s_brev_b32 s1, 1
	s_mov_b32 s28, 0x2f800000
	s_mov_b32 s29, 0xcf800000
	s_waitcnt vmcnt(0)
	v_lshlrev_b32_e32 v0, 24, v0
	v_and_b32_e32 v1, 0x7f000000, v0
	v_ffbh_u32_e32 v4, v1
	v_min_u32_e32 v4, 32, v4
	v_sub_u32_e64 v4, v4, 4 clamp
	v_lshlrev_b32_e32 v6, v4, v1
	v_lshlrev_b32_e32 v4, 23, v4
	v_lshrrev_b32_e32 v6, 4, v6
	v_add_u32_e32 v5, 0x1000000, v1
	v_sub_u32_e32 v4, v6, v4
	v_ashrrev_i32_e32 v5, 8, v5
	v_add_u32_e32 v4, 0x3c000000, v4
	v_and_or_b32 v4, v5, s0, v4
	v_cmp_ne_u32_e32 vcc, 0, v1
	s_nop 1
	v_cndmask_b32_e32 v1, 0, v4, vcc
	v_and_or_b32 v0, v0, s1, v1
	v_trunc_f32_e32 v0, v0
	v_mul_f32_e64 v1, |v0|, s28
	v_floor_f32_e32 v1, v1
	v_fma_f32 v4, v1, s29, |v0|
	v_cvt_u32_f32_e32 v4, v4
	v_cvt_u32_f32_e32 v1, v1
	v_ashrrev_i32_e32 v5, 31, v0
	v_xor_b32_e32 v0, v4, v5
	v_xor_b32_e32 v1, v1, v5
	v_sub_co_u32_e32 v0, vcc, v0, v5
	s_nop 1
	v_subb_co_u32_e32 v1, vcc, v1, v5, vcc
.LBB38_567:
	s_mov_b64 s[0:1], 0
.LBB38_568:
	s_andn2_b64 vcc, exec, s[0:1]
	s_cbranch_vccnz .LBB38_570
; %bb.569:
	global_load_ubyte v0, v[2:3], off
	s_movk_i32 s0, 0x7f00
	s_brev_b32 s1, 16
	s_brev_b32 s28, 1
	s_mov_b32 s29, 0x2f800000
	s_mov_b32 s31, 0xcf800000
	s_waitcnt vmcnt(0)
	v_lshlrev_b16_e32 v1, 8, v0
	v_lshlrev_b32_e32 v0, 25, v0
	v_lshrrev_b32_e32 v4, 4, v0
	v_and_or_b32 v5, v1, s0, 0.5
	v_or_b32_e32 v4, 0x70000000, v4
	v_add_f32_e32 v5, -0.5, v5
	v_mul_f32_e32 v4, 0x7800000, v4
	v_cmp_gt_u32_e32 vcc, s1, v0
	v_bfe_i32 v1, v1, 0, 16
	s_nop 0
	v_cndmask_b32_e32 v0, v4, v5, vcc
	v_and_or_b32 v0, v1, s28, v0
	v_trunc_f32_e32 v0, v0
	v_mul_f32_e64 v1, |v0|, s29
	v_floor_f32_e32 v1, v1
	v_fma_f32 v4, v1, s31, |v0|
	v_cvt_u32_f32_e32 v4, v4
	v_cvt_u32_f32_e32 v1, v1
	v_ashrrev_i32_e32 v5, 31, v0
	v_xor_b32_e32 v0, v4, v5
	v_xor_b32_e32 v1, v1, v5
	v_sub_co_u32_e32 v0, vcc, v0, v5
	s_nop 1
	v_subb_co_u32_e32 v1, vcc, v1, v5, vcc
.LBB38_570:
	s_mov_b64 s[28:29], 0
	s_mov_b64 s[0:1], -1
.LBB38_571:
	s_andn2_b64 vcc, exec, s[28:29]
	s_cbranch_vccnz .LBB38_584
; %bb.572:
	s_cmp_gt_i32 s30, 14
	s_cbranch_scc0 .LBB38_575
; %bb.573:
	s_cmp_eq_u32 s30, 15
	s_cbranch_scc0 .LBB38_578
; %bb.574:
	global_load_ushort v0, v[2:3], off
	s_mov_b32 s0, 0x2f800000
	s_mov_b32 s1, 0xcf800000
	s_mov_b64 s[26:27], 0
	s_waitcnt vmcnt(0)
	v_lshlrev_b32_e32 v0, 16, v0
	v_trunc_f32_e32 v0, v0
	v_mul_f32_e64 v1, |v0|, s0
	v_floor_f32_e32 v1, v1
	v_fma_f32 v4, v1, s1, |v0|
	v_cvt_u32_f32_e32 v4, v4
	v_cvt_u32_f32_e32 v1, v1
	v_ashrrev_i32_e32 v5, 31, v0
	s_mov_b64 s[0:1], -1
	v_xor_b32_e32 v0, v4, v5
	v_xor_b32_e32 v1, v1, v5
	v_sub_co_u32_e32 v0, vcc, v0, v5
	s_nop 1
	v_subb_co_u32_e32 v1, vcc, v1, v5, vcc
	s_branch .LBB38_579
.LBB38_575:
	s_mov_b64 s[28:29], -1
                                        ; implicit-def: $vgpr0_vgpr1
	s_branch .LBB38_580
.LBB38_576:
	s_andn2_saveexec_b64 s[0:1], s[0:1]
	s_cbranch_execz .LBB38_557
.LBB38_577:
	v_cmp_ne_u16_e32 vcc, 0, v4
	s_andn2_b64 s[28:29], s[28:29], exec
	s_and_b64 s[34:35], vcc, exec
	s_or_b64 s[28:29], s[28:29], s[34:35]
	s_or_b64 exec, exec, s[0:1]
	v_mov_b64_e32 v[0:1], 0
	s_and_saveexec_b64 s[0:1], s[28:29]
	s_cbranch_execnz .LBB38_558
	s_branch .LBB38_559
.LBB38_578:
	s_mov_b64 s[26:27], -1
                                        ; implicit-def: $vgpr0_vgpr1
.LBB38_579:
	s_mov_b64 s[28:29], 0
.LBB38_580:
	s_and_b64 vcc, exec, s[28:29]
	s_cbranch_vccz .LBB38_584
; %bb.581:
	s_cmp_eq_u32 s30, 11
	s_cbranch_scc0 .LBB38_583
; %bb.582:
	global_load_ubyte v0, v[2:3], off
	s_mov_b32 s26, 0
	s_mov_b64 s[0:1], -1
	s_waitcnt vmcnt(1)
	v_mov_b32_e32 v1, s26
	s_mov_b64 s[26:27], 0
	s_waitcnt vmcnt(0)
	v_cmp_ne_u16_e32 vcc, 0, v0
	s_nop 1
	v_cndmask_b32_e64 v0, 0, 1, vcc
	s_branch .LBB38_584
.LBB38_583:
	s_mov_b64 s[26:27], -1
                                        ; implicit-def: $vgpr0_vgpr1
.LBB38_584:
	s_mov_b64 s[28:29], 0
.LBB38_585:
	s_and_b64 vcc, exec, s[28:29]
	s_cbranch_vccz .LBB38_634
; %bb.586:
	s_cmp_lt_i32 s30, 5
	s_cbranch_scc1 .LBB38_591
; %bb.587:
	s_cmp_lt_i32 s30, 8
	s_cbranch_scc1 .LBB38_592
	;; [unrolled: 3-line block ×3, first 2 shown]
; %bb.589:
	s_cmp_gt_i32 s30, 9
	s_cbranch_scc0 .LBB38_594
; %bb.590:
	global_load_dwordx2 v[0:1], v[2:3], off
	s_movk_i32 s0, 0xffe0
	s_waitcnt vmcnt(0)
	v_trunc_f64_e32 v[4:5], v[0:1]
	v_ldexp_f64 v[0:1], v[4:5], s0
	v_floor_f64_e32 v[6:7], v[0:1]
	v_fmac_f64_e32 v[4:5], 0xc1f00000, v[6:7]
	v_cvt_i32_f64_e32 v1, v[6:7]
	v_cvt_u32_f64_e32 v0, v[4:5]
	s_mov_b64 s[0:1], 0
	s_branch .LBB38_595
.LBB38_591:
	s_mov_b64 s[0:1], -1
                                        ; implicit-def: $vgpr0_vgpr1
	s_branch .LBB38_613
.LBB38_592:
	s_mov_b64 s[0:1], -1
                                        ; implicit-def: $vgpr0_vgpr1
	s_branch .LBB38_601
.LBB38_593:
	s_mov_b64 s[0:1], -1
                                        ; implicit-def: $vgpr0_vgpr1
	s_branch .LBB38_598
.LBB38_594:
	s_mov_b64 s[0:1], -1
                                        ; implicit-def: $vgpr0_vgpr1
.LBB38_595:
	s_andn2_b64 vcc, exec, s[0:1]
	s_cbranch_vccnz .LBB38_597
; %bb.596:
	global_load_dword v0, v[2:3], off
	s_mov_b32 s0, 0x2f800000
	s_mov_b32 s1, 0xcf800000
	s_waitcnt vmcnt(0)
	v_trunc_f32_e32 v0, v0
	v_mul_f32_e64 v1, |v0|, s0
	v_floor_f32_e32 v1, v1
	v_cvt_u32_f32_e32 v4, v1
	v_fma_f32 v1, v1, s1, |v0|
	v_cvt_u32_f32_e32 v1, v1
	v_ashrrev_i32_e32 v5, 31, v0
	v_xor_b32_e32 v4, v4, v5
	v_xor_b32_e32 v0, v1, v5
	v_sub_co_u32_e32 v0, vcc, v0, v5
	s_nop 1
	v_subb_co_u32_e32 v1, vcc, v4, v5, vcc
.LBB38_597:
	s_mov_b64 s[0:1], 0
.LBB38_598:
	s_andn2_b64 vcc, exec, s[0:1]
	s_cbranch_vccnz .LBB38_600
; %bb.599:
	global_load_dword v0, v[2:3], off
	s_waitcnt vmcnt(0)
	v_cvt_f32_f16_e32 v0, v0
	v_cvt_i32_f32_e32 v0, v0
	v_ashrrev_i32_e32 v1, 31, v0
.LBB38_600:
	s_mov_b64 s[0:1], 0
.LBB38_601:
	s_andn2_b64 vcc, exec, s[0:1]
	s_cbranch_vccnz .LBB38_612
; %bb.602:
	s_cmp_lt_i32 s30, 6
	s_cbranch_scc1 .LBB38_605
; %bb.603:
	s_cmp_gt_i32 s30, 6
	s_cbranch_scc0 .LBB38_606
; %bb.604:
	global_load_dwordx2 v[0:1], v[2:3], off
	s_movk_i32 s0, 0xffe0
	s_waitcnt vmcnt(0)
	v_trunc_f64_e32 v[4:5], v[0:1]
	v_ldexp_f64 v[0:1], v[4:5], s0
	v_floor_f64_e32 v[6:7], v[0:1]
	v_fmac_f64_e32 v[4:5], 0xc1f00000, v[6:7]
	v_cvt_i32_f64_e32 v1, v[6:7]
	v_cvt_u32_f64_e32 v0, v[4:5]
	s_mov_b64 s[0:1], 0
	s_branch .LBB38_607
.LBB38_605:
	s_mov_b64 s[0:1], -1
                                        ; implicit-def: $vgpr0_vgpr1
	s_branch .LBB38_610
.LBB38_606:
	s_mov_b64 s[0:1], -1
                                        ; implicit-def: $vgpr0_vgpr1
.LBB38_607:
	s_andn2_b64 vcc, exec, s[0:1]
	s_cbranch_vccnz .LBB38_609
; %bb.608:
	global_load_dword v0, v[2:3], off
	s_mov_b32 s0, 0x2f800000
	s_mov_b32 s1, 0xcf800000
	s_waitcnt vmcnt(0)
	v_trunc_f32_e32 v0, v0
	v_mul_f32_e64 v1, |v0|, s0
	v_floor_f32_e32 v1, v1
	v_cvt_u32_f32_e32 v4, v1
	v_fma_f32 v1, v1, s1, |v0|
	v_cvt_u32_f32_e32 v1, v1
	v_ashrrev_i32_e32 v5, 31, v0
	v_xor_b32_e32 v4, v4, v5
	v_xor_b32_e32 v0, v1, v5
	v_sub_co_u32_e32 v0, vcc, v0, v5
	s_nop 1
	v_subb_co_u32_e32 v1, vcc, v4, v5, vcc
.LBB38_609:
	s_mov_b64 s[0:1], 0
.LBB38_610:
	s_andn2_b64 vcc, exec, s[0:1]
	s_cbranch_vccnz .LBB38_612
; %bb.611:
	global_load_ushort v0, v[2:3], off
	s_waitcnt vmcnt(0)
	v_cvt_f32_f16_e32 v0, v0
	v_cvt_i32_f32_e32 v0, v0
	v_ashrrev_i32_e32 v1, 31, v0
.LBB38_612:
	s_mov_b64 s[0:1], 0
.LBB38_613:
	s_andn2_b64 vcc, exec, s[0:1]
	s_cbranch_vccnz .LBB38_633
; %bb.614:
	s_cmp_lt_i32 s30, 2
	s_cbranch_scc1 .LBB38_618
; %bb.615:
	s_cmp_lt_i32 s30, 3
	s_cbranch_scc1 .LBB38_619
; %bb.616:
	s_cmp_gt_i32 s30, 3
	s_cbranch_scc0 .LBB38_620
; %bb.617:
	global_load_dwordx2 v[0:1], v[2:3], off
	s_mov_b64 s[0:1], 0
	s_branch .LBB38_621
.LBB38_618:
	s_mov_b64 s[0:1], -1
                                        ; implicit-def: $vgpr0_vgpr1
	s_branch .LBB38_627
.LBB38_619:
	s_mov_b64 s[0:1], -1
                                        ; implicit-def: $vgpr0_vgpr1
	s_branch .LBB38_624
.LBB38_620:
	s_mov_b64 s[0:1], -1
                                        ; implicit-def: $vgpr0_vgpr1
.LBB38_621:
	s_andn2_b64 vcc, exec, s[0:1]
	s_cbranch_vccnz .LBB38_623
; %bb.622:
	global_load_dword v0, v[2:3], off
	s_waitcnt vmcnt(0)
	v_ashrrev_i32_e32 v1, 31, v0
.LBB38_623:
	s_mov_b64 s[0:1], 0
.LBB38_624:
	s_andn2_b64 vcc, exec, s[0:1]
	s_cbranch_vccnz .LBB38_626
; %bb.625:
	global_load_ushort v0, v[2:3], off
	s_waitcnt vmcnt(0)
	v_bfe_i32 v0, v0, 0, 16
	v_ashrrev_i32_e32 v1, 31, v0
.LBB38_626:
	s_mov_b64 s[0:1], 0
.LBB38_627:
	s_andn2_b64 vcc, exec, s[0:1]
	s_cbranch_vccnz .LBB38_633
; %bb.628:
	s_cmp_gt_i32 s30, 0
	s_cbranch_scc0 .LBB38_630
; %bb.629:
	global_load_sbyte v0, v[2:3], off
	s_mov_b64 s[0:1], 0
	s_waitcnt vmcnt(0)
	v_bfe_i32 v0, v0, 0, 16
	v_ashrrev_i32_e32 v1, 31, v0
	s_branch .LBB38_631
.LBB38_630:
	s_mov_b64 s[0:1], -1
                                        ; implicit-def: $vgpr0_vgpr1
.LBB38_631:
	s_andn2_b64 vcc, exec, s[0:1]
	s_cbranch_vccnz .LBB38_633
; %bb.632:
	global_load_ubyte v0, v[2:3], off
	s_mov_b32 s0, 0
	s_waitcnt vmcnt(1)
	v_mov_b32_e32 v1, s0
	s_waitcnt vmcnt(0)
	v_and_b32_e32 v0, 0xffff, v0
.LBB38_633:
	s_mov_b64 s[0:1], -1
.LBB38_634:
	s_andn2_b64 vcc, exec, s[0:1]
	s_cbranch_vccnz .LBB38_642
; %bb.635:
	v_mul_lo_u32 v4, v12, s8
	v_ashrrev_i32_e32 v5, 31, v4
	s_and_b32 s36, s33, 0xff
	s_waitcnt vmcnt(0)
	v_not_b32_e32 v3, v1
	v_not_b32_e32 v2, v0
	s_cmp_lt_i32 s36, 11
	v_lshl_add_u64 v[4:5], s[4:5], 0, v[4:5]
	s_cbranch_scc1 .LBB38_643
; %bb.636:
	s_and_b32 s37, 0xffff, s36
	s_cmp_gt_i32 s37, 25
	s_cbranch_scc0 .LBB38_644
; %bb.637:
	s_cmp_gt_i32 s37, 28
	s_cbranch_scc0 .LBB38_645
; %bb.638:
	;; [unrolled: 3-line block ×4, first 2 shown]
	s_mov_b64 s[30:31], 0
	s_mov_b64 s[0:1], -1
	s_cmp_eq_u32 s37, 46
	s_mov_b64 s[28:29], 0
	s_cbranch_scc0 .LBB38_648
; %bb.641:
	v_xor_b32_e32 v7, v2, v3
	v_ffbh_i32_e32 v6, v3
	v_ashrrev_i32_e32 v7, 31, v7
	v_add_u32_e32 v6, -1, v6
	v_add_u32_e32 v7, 32, v7
	v_min_u32_e32 v8, v6, v7
	v_lshlrev_b64 v[6:7], v8, v[2:3]
	v_min_u32_e32 v6, 1, v6
	v_or_b32_e32 v6, v7, v6
	v_cvt_f32_i32_e32 v6, v6
	v_sub_u32_e32 v7, 32, v8
	s_movk_i32 s0, 0x7fff
	s_mov_b64 s[28:29], -1
	v_ldexp_f32 v6, v6, v7
	v_bfe_u32 v7, v6, 16, 1
	v_add3_u32 v6, v6, v7, s0
	v_lshrrev_b32_e32 v6, 16, v6
	global_store_dword v[4:5], v6, off
	s_mov_b64 s[0:1], 0
	s_branch .LBB38_648
.LBB38_642:
	s_mov_b64 s[30:31], 0
                                        ; implicit-def: $vgpr12
	s_mov_b64 s[0:1], s[20:21]
	s_branch .LBB38_759
.LBB38_643:
	s_mov_b64 s[30:31], -1
	s_mov_b64 s[28:29], 0
	s_mov_b64 s[0:1], s[20:21]
	s_branch .LBB38_717
.LBB38_644:
	s_mov_b64 s[30:31], -1
	s_mov_b64 s[28:29], 0
	s_mov_b64 s[0:1], s[20:21]
	s_branch .LBB38_675
.LBB38_645:
	s_mov_b64 s[30:31], -1
	s_mov_b64 s[28:29], 0
	s_mov_b64 s[0:1], s[20:21]
	s_branch .LBB38_658
.LBB38_646:
	s_mov_b64 s[30:31], -1
	s_mov_b64 s[28:29], 0
	s_mov_b64 s[0:1], s[20:21]
	s_branch .LBB38_654
.LBB38_647:
	s_mov_b64 s[30:31], -1
	s_mov_b64 s[28:29], 0
	s_mov_b64 s[0:1], s[20:21]
.LBB38_648:
	s_and_b64 vcc, exec, s[30:31]
	s_cbranch_vccz .LBB38_653
; %bb.649:
	s_cmp_eq_u32 s37, 44
	s_mov_b64 s[0:1], -1
	s_cbranch_scc0 .LBB38_653
; %bb.650:
	v_xor_b32_e32 v7, v2, v3
	v_ffbh_i32_e32 v6, v3
	v_ashrrev_i32_e32 v7, 31, v7
	v_add_u32_e32 v6, -1, v6
	v_add_u32_e32 v7, 32, v7
	v_min_u32_e32 v8, v6, v7
	v_lshlrev_b64 v[6:7], v8, v[2:3]
	v_min_u32_e32 v6, 1, v6
	v_or_b32_e32 v6, v7, v6
	v_cvt_f32_i32_e32 v6, v6
	v_sub_u32_e32 v7, 32, v8
	s_movk_i32 s0, 0xff
	v_mov_b32_e32 v8, 0xff
	v_ldexp_f32 v6, v6, v7
	v_bfe_u32 v7, v6, 23, 8
	v_cmp_ne_u32_e32 vcc, s0, v7
	s_and_saveexec_b64 s[28:29], vcc
; %bb.651:
	s_mov_b32 s0, 0x3fffff
	v_lshrrev_b32_e32 v8, 23, v6
	v_and_b32_e32 v9, 0x400000, v6
	v_and_or_b32 v6, v6, s0, v7
	v_cmp_ne_u32_e32 vcc, 0, v9
	v_cmp_ne_u32_e64 s[0:1], 0, v6
	s_and_b64 s[0:1], vcc, s[0:1]
	s_nop 0
	v_cndmask_b32_e64 v6, 0, 1, s[0:1]
	v_add_u32_e32 v8, v8, v6
; %bb.652:
	s_or_b64 exec, exec, s[28:29]
	s_mov_b64 s[28:29], -1
	s_mov_b64 s[0:1], 0
	global_store_byte v[4:5], v8, off
.LBB38_653:
	s_mov_b64 s[30:31], 0
.LBB38_654:
	s_and_b64 vcc, exec, s[30:31]
	s_cbranch_vccz .LBB38_657
; %bb.655:
	s_cmp_eq_u32 s37, 29
	s_mov_b64 s[0:1], -1
	s_cbranch_scc0 .LBB38_657
; %bb.656:
	global_store_dwordx2 v[4:5], v[2:3], off
	s_mov_b64 s[28:29], -1
	s_mov_b64 s[0:1], 0
.LBB38_657:
	s_mov_b64 s[30:31], 0
.LBB38_658:
	s_and_b64 vcc, exec, s[30:31]
	s_cbranch_vccz .LBB38_674
; %bb.659:
	s_cmp_lt_i32 s37, 27
	s_mov_b64 s[28:29], -1
	s_cbranch_scc1 .LBB38_665
; %bb.660:
	s_cmp_gt_i32 s37, 27
	s_cbranch_scc0 .LBB38_662
; %bb.661:
	s_mov_b64 s[28:29], 0
	global_store_dword v[4:5], v2, off
.LBB38_662:
	s_andn2_b64 vcc, exec, s[28:29]
	s_cbranch_vccnz .LBB38_664
; %bb.663:
	global_store_short v[4:5], v2, off
.LBB38_664:
	s_mov_b64 s[28:29], 0
.LBB38_665:
	s_andn2_b64 vcc, exec, s[28:29]
	s_cbranch_vccnz .LBB38_673
; %bb.666:
	v_xor_b32_e32 v7, v2, v3
	v_ffbh_i32_e32 v6, v3
	v_ashrrev_i32_e32 v7, 31, v7
	v_add_u32_e32 v6, -1, v6
	v_add_u32_e32 v7, 32, v7
	v_min_u32_e32 v8, v6, v7
	v_lshlrev_b64 v[6:7], v8, v[2:3]
	v_min_u32_e32 v6, 1, v6
	v_or_b32_e32 v6, v7, v6
	v_cvt_f32_i32_e32 v6, v6
	v_sub_u32_e32 v7, 32, v8
	s_mov_b32 s28, 0x43800000
	v_mov_b32_e32 v8, 0x80
	v_ldexp_f32 v6, v6, v7
	v_and_b32_e32 v7, 0x7fffffff, v6
	v_cmp_gt_u32_e32 vcc, s28, v7
	s_and_saveexec_b64 s[28:29], vcc
	s_cbranch_execz .LBB38_672
; %bb.667:
	s_mov_b32 s30, 0x3bffffff
	v_cmp_lt_u32_e32 vcc, s30, v7
	s_mov_b64 s[30:31], 0
                                        ; implicit-def: $vgpr7
	s_and_saveexec_b64 s[34:35], vcc
	s_xor_b64 s[34:35], exec, s[34:35]
	s_cbranch_execz .LBB38_773
; %bb.668:
	v_bfe_u32 v7, v6, 20, 1
	s_mov_b32 s39, 0x487ffff
	v_add3_u32 v7, v6, v7, s39
	s_mov_b64 s[30:31], exec
	v_lshrrev_b32_e32 v7, 20, v7
	s_andn2_saveexec_b64 s[34:35], s[34:35]
	s_cbranch_execnz .LBB38_774
.LBB38_669:
	s_or_b64 exec, exec, s[34:35]
	v_mov_b32_e32 v8, 0
	s_and_saveexec_b64 s[34:35], s[30:31]
.LBB38_670:
	v_lshrrev_b32_e32 v6, 24, v6
	s_movk_i32 s30, 0x80
	v_and_or_b32 v8, v6, s30, v7
.LBB38_671:
	s_or_b64 exec, exec, s[34:35]
.LBB38_672:
	s_or_b64 exec, exec, s[28:29]
	global_store_byte v[4:5], v8, off
.LBB38_673:
	s_mov_b64 s[28:29], -1
.LBB38_674:
	s_mov_b64 s[30:31], 0
.LBB38_675:
	s_and_b64 vcc, exec, s[30:31]
	s_cbranch_vccz .LBB38_716
; %bb.676:
	s_cmp_gt_i32 s37, 22
	s_mov_b64 s[30:31], -1
	s_cbranch_scc0 .LBB38_708
; %bb.677:
	s_cmp_lt_i32 s37, 24
	s_mov_b64 s[28:29], -1
	s_cbranch_scc1 .LBB38_697
; %bb.678:
	s_cmp_gt_i32 s37, 24
	s_cbranch_scc0 .LBB38_686
; %bb.679:
	v_xor_b32_e32 v7, v2, v3
	v_ffbh_i32_e32 v6, v3
	v_ashrrev_i32_e32 v7, 31, v7
	v_add_u32_e32 v6, -1, v6
	v_add_u32_e32 v7, 32, v7
	v_min_u32_e32 v8, v6, v7
	v_lshlrev_b64 v[6:7], v8, v[2:3]
	v_min_u32_e32 v6, 1, v6
	v_or_b32_e32 v6, v7, v6
	v_cvt_f32_i32_e32 v6, v6
	v_sub_u32_e32 v7, 32, v8
	s_mov_b32 s28, 0x47800000
	v_mov_b32_e32 v8, 0x80
	v_ldexp_f32 v6, v6, v7
	v_and_b32_e32 v7, 0x7fffffff, v6
	v_cmp_gt_u32_e32 vcc, s28, v7
	s_and_saveexec_b64 s[28:29], vcc
	s_cbranch_execz .LBB38_685
; %bb.680:
	s_mov_b32 s30, 0x37ffffff
	v_cmp_lt_u32_e32 vcc, s30, v7
	s_mov_b64 s[30:31], 0
                                        ; implicit-def: $vgpr7
	s_and_saveexec_b64 s[34:35], vcc
	s_xor_b64 s[34:35], exec, s[34:35]
	s_cbranch_execz .LBB38_776
; %bb.681:
	v_bfe_u32 v7, v6, 21, 1
	s_mov_b32 s39, 0x88fffff
	v_add3_u32 v7, v6, v7, s39
	s_mov_b64 s[30:31], exec
	v_lshrrev_b32_e32 v7, 21, v7
	s_andn2_saveexec_b64 s[34:35], s[34:35]
	s_cbranch_execnz .LBB38_777
.LBB38_682:
	s_or_b64 exec, exec, s[34:35]
	v_mov_b32_e32 v8, 0
	s_and_saveexec_b64 s[34:35], s[30:31]
.LBB38_683:
	v_lshrrev_b32_e32 v6, 24, v6
	s_movk_i32 s30, 0x80
	v_and_or_b32 v8, v6, s30, v7
.LBB38_684:
	s_or_b64 exec, exec, s[34:35]
.LBB38_685:
	s_or_b64 exec, exec, s[28:29]
	s_mov_b64 s[28:29], 0
	global_store_byte v[4:5], v8, off
.LBB38_686:
	s_and_b64 vcc, exec, s[28:29]
	s_cbranch_vccz .LBB38_696
; %bb.687:
	v_xor_b32_e32 v7, v2, v3
	v_ffbh_i32_e32 v6, v3
	v_ashrrev_i32_e32 v7, 31, v7
	v_add_u32_e32 v6, -1, v6
	v_add_u32_e32 v7, 32, v7
	v_min_u32_e32 v8, v6, v7
	v_lshlrev_b64 v[6:7], v8, v[2:3]
	v_min_u32_e32 v6, 1, v6
	v_or_b32_e32 v6, v7, v6
	v_cvt_f32_i32_e32 v6, v6
	v_sub_u32_e32 v7, 32, v8
	s_mov_b32 s28, 0x43f00000
	v_ldexp_f32 v6, v6, v7
	v_and_b32_e32 v8, 0x7fffffff, v6
	v_cmp_gt_u32_e32 vcc, s28, v8
                                        ; implicit-def: $vgpr7
	s_and_saveexec_b64 s[28:29], vcc
	s_xor_b64 s[28:29], exec, s[28:29]
	s_cbranch_execz .LBB38_693
; %bb.688:
	s_mov_b32 s30, 0x3c7fffff
	v_cmp_lt_u32_e32 vcc, s30, v8
                                        ; implicit-def: $vgpr7
	s_and_saveexec_b64 s[30:31], vcc
	s_xor_b64 s[30:31], exec, s[30:31]
; %bb.689:
	v_bfe_u32 v7, v6, 20, 1
	s_mov_b32 s34, 0x407ffff
	v_add3_u32 v7, v6, v7, s34
	v_lshrrev_b32_e32 v8, 20, v7
	v_and_b32_e32 v7, 0xff00000, v7
	s_mov_b32 s34, 0x7f00000
	v_mov_b32_e32 v9, 0x7e
	v_cmp_ne_u32_e32 vcc, s34, v7
	s_nop 1
	v_cndmask_b32_e32 v7, v9, v8, vcc
; %bb.690:
	s_andn2_saveexec_b64 s[30:31], s[30:31]
; %bb.691:
	s_mov_b32 s34, 0x46800000
	v_add_f32_e64 v7, |v6|, s34
; %bb.692:
	s_or_b64 exec, exec, s[30:31]
                                        ; implicit-def: $vgpr8
.LBB38_693:
	s_andn2_saveexec_b64 s[28:29], s[28:29]
; %bb.694:
	s_mov_b32 s30, 0x7f800000
	v_mov_b32_e32 v7, 0x7e
	v_mov_b32_e32 v9, 0x7f
	v_cmp_lt_u32_e32 vcc, s30, v8
	s_nop 1
	v_cndmask_b32_e32 v7, v7, v9, vcc
; %bb.695:
	s_or_b64 exec, exec, s[28:29]
	v_lshrrev_b32_e32 v6, 24, v6
	s_movk_i32 s28, 0x80
	v_and_or_b32 v6, v6, s28, v7
	global_store_byte v[4:5], v6, off
.LBB38_696:
	s_mov_b64 s[28:29], 0
.LBB38_697:
	s_andn2_b64 vcc, exec, s[28:29]
	s_cbranch_vccnz .LBB38_707
; %bb.698:
	v_xor_b32_e32 v7, v2, v3
	v_ffbh_i32_e32 v6, v3
	v_ashrrev_i32_e32 v7, 31, v7
	v_add_u32_e32 v6, -1, v6
	v_add_u32_e32 v7, 32, v7
	v_min_u32_e32 v8, v6, v7
	v_lshlrev_b64 v[6:7], v8, v[2:3]
	v_min_u32_e32 v6, 1, v6
	v_or_b32_e32 v6, v7, v6
	v_cvt_f32_i32_e32 v6, v6
	v_sub_u32_e32 v7, 32, v8
	s_mov_b32 s28, 0x47800000
	v_ldexp_f32 v6, v6, v7
	v_and_b32_e32 v8, 0x7fffffff, v6
	v_cmp_gt_u32_e32 vcc, s28, v8
                                        ; implicit-def: $vgpr7
	s_and_saveexec_b64 s[28:29], vcc
	s_xor_b64 s[28:29], exec, s[28:29]
	s_cbranch_execz .LBB38_704
; %bb.699:
	s_mov_b32 s30, 0x387fffff
	v_cmp_lt_u32_e32 vcc, s30, v8
                                        ; implicit-def: $vgpr7
	s_and_saveexec_b64 s[30:31], vcc
	s_xor_b64 s[30:31], exec, s[30:31]
; %bb.700:
	v_bfe_u32 v7, v6, 21, 1
	s_mov_b32 s34, 0x80fffff
	v_add3_u32 v7, v6, v7, s34
	v_lshrrev_b32_e32 v7, 21, v7
; %bb.701:
	s_andn2_saveexec_b64 s[30:31], s[30:31]
; %bb.702:
	s_mov_b32 s34, 0x43000000
	v_add_f32_e64 v7, |v6|, s34
; %bb.703:
	s_or_b64 exec, exec, s[30:31]
                                        ; implicit-def: $vgpr8
.LBB38_704:
	s_andn2_saveexec_b64 s[28:29], s[28:29]
; %bb.705:
	s_mov_b32 s30, 0x7f800000
	v_mov_b32_e32 v7, 0x7c
	v_mov_b32_e32 v9, 0x7f
	v_cmp_lt_u32_e32 vcc, s30, v8
	s_nop 1
	v_cndmask_b32_e32 v7, v7, v9, vcc
; %bb.706:
	s_or_b64 exec, exec, s[28:29]
	v_lshrrev_b32_e32 v6, 24, v6
	s_movk_i32 s28, 0x80
	v_and_or_b32 v6, v6, s28, v7
	global_store_byte v[4:5], v6, off
.LBB38_707:
	s_mov_b64 s[30:31], 0
	s_mov_b64 s[28:29], -1
.LBB38_708:
	s_andn2_b64 vcc, exec, s[30:31]
	s_cbranch_vccnz .LBB38_716
; %bb.709:
	s_cmp_gt_i32 s37, 14
	s_mov_b64 s[30:31], -1
	s_cbranch_scc0 .LBB38_713
; %bb.710:
	s_cmp_eq_u32 s37, 15
	s_mov_b64 s[0:1], -1
	s_cbranch_scc0 .LBB38_712
; %bb.711:
	v_xor_b32_e32 v7, v2, v3
	v_ffbh_i32_e32 v6, v3
	v_ashrrev_i32_e32 v7, 31, v7
	v_add_u32_e32 v6, -1, v6
	v_add_u32_e32 v7, 32, v7
	v_min_u32_e32 v8, v6, v7
	v_lshlrev_b64 v[6:7], v8, v[2:3]
	v_min_u32_e32 v6, 1, v6
	v_or_b32_e32 v6, v7, v6
	v_cvt_f32_i32_e32 v6, v6
	v_sub_u32_e32 v7, 32, v8
	s_movk_i32 s0, 0x7fff
	s_mov_b64 s[28:29], -1
	v_ldexp_f32 v6, v6, v7
	v_bfe_u32 v7, v6, 16, 1
	v_add3_u32 v6, v6, v7, s0
	global_store_short_d16_hi v[4:5], v6, off
	s_mov_b64 s[0:1], 0
.LBB38_712:
	s_mov_b64 s[30:31], 0
.LBB38_713:
	s_and_b64 vcc, exec, s[30:31]
	s_cbranch_vccz .LBB38_716
; %bb.714:
	s_cmp_eq_u32 s37, 11
	s_mov_b64 s[0:1], -1
	s_cbranch_scc0 .LBB38_716
; %bb.715:
	v_cmp_ne_u64_e32 vcc, -1, v[0:1]
	s_mov_b64 s[28:29], -1
	s_mov_b64 s[0:1], 0
	v_cndmask_b32_e64 v0, 0, 1, vcc
	global_store_byte v[4:5], v0, off
.LBB38_716:
	s_mov_b64 s[30:31], 0
.LBB38_717:
	s_and_b64 vcc, exec, s[30:31]
	s_cbranch_vccz .LBB38_756
; %bb.718:
	s_and_b32 s30, 0xffff, s36
	s_cmp_lt_i32 s30, 5
	s_mov_b64 s[28:29], -1
	s_cbranch_scc1 .LBB38_739
; %bb.719:
	s_cmp_lt_i32 s30, 8
	s_cbranch_scc1 .LBB38_729
; %bb.720:
	s_cmp_lt_i32 s30, 9
	s_cbranch_scc1 .LBB38_726
; %bb.721:
	s_cmp_gt_i32 s30, 9
	s_cbranch_scc0 .LBB38_723
; %bb.722:
	v_cvt_f64_i32_e32 v[0:1], v3
	v_ldexp_f64 v[0:1], v[0:1], 32
	v_cvt_f64_u32_e32 v[6:7], v2
	v_mov_b32_e32 v8, 0
	v_add_f64 v[6:7], v[0:1], v[6:7]
	v_mov_b32_e32 v9, v8
	s_mov_b64 s[28:29], 0
	global_store_dwordx4 v[4:5], v[6:9], off
.LBB38_723:
	s_andn2_b64 vcc, exec, s[28:29]
	s_cbranch_vccnz .LBB38_725
; %bb.724:
	v_xor_b32_e32 v1, v2, v3
	v_ffbh_i32_e32 v0, v3
	v_ashrrev_i32_e32 v1, 31, v1
	v_add_u32_e32 v0, -1, v0
	v_add_u32_e32 v1, 32, v1
	v_min_u32_e32 v6, v0, v1
	v_lshlrev_b64 v[0:1], v6, v[2:3]
	v_min_u32_e32 v0, 1, v0
	v_or_b32_e32 v0, v1, v0
	v_cvt_f32_i32_e32 v0, v0
	v_sub_u32_e32 v1, 32, v6
	v_ldexp_f32 v0, v0, v1
	v_mov_b32_e32 v1, 0
	global_store_dwordx2 v[4:5], v[0:1], off
.LBB38_725:
	s_mov_b64 s[28:29], 0
.LBB38_726:
	s_andn2_b64 vcc, exec, s[28:29]
	s_cbranch_vccnz .LBB38_728
; %bb.727:
	v_xor_b32_e32 v1, v2, v3
	v_ffbh_i32_e32 v0, v3
	v_ashrrev_i32_e32 v1, 31, v1
	v_add_u32_e32 v0, -1, v0
	v_add_u32_e32 v1, 32, v1
	v_min_u32_e32 v6, v0, v1
	v_lshlrev_b64 v[0:1], v6, v[2:3]
	v_min_u32_e32 v0, 1, v0
	v_or_b32_e32 v0, v1, v0
	v_cvt_f32_i32_e32 v0, v0
	v_sub_u32_e32 v1, 32, v6
	v_ldexp_f32 v0, v0, v1
	v_cvt_f16_f32_e32 v0, v0
	global_store_dword v[4:5], v0, off
.LBB38_728:
	s_mov_b64 s[28:29], 0
.LBB38_729:
	s_andn2_b64 vcc, exec, s[28:29]
	s_cbranch_vccnz .LBB38_738
; %bb.730:
	s_cmp_lt_i32 s30, 6
	s_mov_b64 s[28:29], -1
	s_cbranch_scc1 .LBB38_736
; %bb.731:
	s_cmp_gt_i32 s30, 6
	s_cbranch_scc0 .LBB38_733
; %bb.732:
	v_cvt_f64_i32_e32 v[0:1], v3
	v_ldexp_f64 v[0:1], v[0:1], 32
	v_cvt_f64_u32_e32 v[6:7], v2
	v_add_f64 v[0:1], v[0:1], v[6:7]
	s_mov_b64 s[28:29], 0
	global_store_dwordx2 v[4:5], v[0:1], off
.LBB38_733:
	s_andn2_b64 vcc, exec, s[28:29]
	s_cbranch_vccnz .LBB38_735
; %bb.734:
	v_xor_b32_e32 v1, v2, v3
	v_ffbh_i32_e32 v0, v3
	v_ashrrev_i32_e32 v1, 31, v1
	v_add_u32_e32 v0, -1, v0
	v_add_u32_e32 v1, 32, v1
	v_min_u32_e32 v6, v0, v1
	v_lshlrev_b64 v[0:1], v6, v[2:3]
	v_min_u32_e32 v0, 1, v0
	v_or_b32_e32 v0, v1, v0
	v_cvt_f32_i32_e32 v0, v0
	v_sub_u32_e32 v1, 32, v6
	v_ldexp_f32 v0, v0, v1
	global_store_dword v[4:5], v0, off
.LBB38_735:
	s_mov_b64 s[28:29], 0
.LBB38_736:
	s_andn2_b64 vcc, exec, s[28:29]
	s_cbranch_vccnz .LBB38_738
; %bb.737:
	v_xor_b32_e32 v1, v2, v3
	v_ffbh_i32_e32 v0, v3
	v_ashrrev_i32_e32 v1, 31, v1
	v_add_u32_e32 v0, -1, v0
	v_add_u32_e32 v1, 32, v1
	v_min_u32_e32 v6, v0, v1
	v_lshlrev_b64 v[0:1], v6, v[2:3]
	v_min_u32_e32 v0, 1, v0
	v_or_b32_e32 v0, v1, v0
	v_cvt_f32_i32_e32 v0, v0
	v_sub_u32_e32 v1, 32, v6
	v_ldexp_f32 v0, v0, v1
	v_cvt_f16_f32_e32 v0, v0
	global_store_short v[4:5], v0, off
.LBB38_738:
	s_mov_b64 s[28:29], 0
.LBB38_739:
	s_andn2_b64 vcc, exec, s[28:29]
	s_cbranch_vccnz .LBB38_755
; %bb.740:
	s_cmp_lt_i32 s30, 2
	s_mov_b64 s[28:29], -1
	s_cbranch_scc1 .LBB38_750
; %bb.741:
	s_cmp_lt_i32 s30, 3
	s_cbranch_scc1 .LBB38_747
; %bb.742:
	s_cmp_gt_i32 s30, 3
	s_cbranch_scc0 .LBB38_744
; %bb.743:
	s_mov_b64 s[28:29], 0
	global_store_dwordx2 v[4:5], v[2:3], off
.LBB38_744:
	s_andn2_b64 vcc, exec, s[28:29]
	s_cbranch_vccnz .LBB38_746
; %bb.745:
	global_store_dword v[4:5], v2, off
.LBB38_746:
	s_mov_b64 s[28:29], 0
.LBB38_747:
	s_andn2_b64 vcc, exec, s[28:29]
	s_cbranch_vccnz .LBB38_749
; %bb.748:
	global_store_short v[4:5], v2, off
.LBB38_749:
	s_mov_b64 s[28:29], 0
.LBB38_750:
	s_andn2_b64 vcc, exec, s[28:29]
	s_cbranch_vccnz .LBB38_755
; %bb.751:
	s_cmp_gt_i32 s30, 0
	s_mov_b64 s[28:29], -1
	s_cbranch_scc0 .LBB38_753
; %bb.752:
	s_mov_b64 s[28:29], 0
	global_store_byte v[4:5], v2, off
.LBB38_753:
	s_andn2_b64 vcc, exec, s[28:29]
	s_cbranch_vccnz .LBB38_755
; %bb.754:
	global_store_byte v[4:5], v2, off
.LBB38_755:
	s_mov_b64 s[28:29], -1
.LBB38_756:
	s_andn2_b64 vcc, exec, s[28:29]
	s_cbranch_vccnz .LBB38_758
; %bb.757:
	v_add_u32_e32 v12, 0x80, v12
	s_mov_b64 s[30:31], -1
	s_branch .LBB38_759
.LBB38_758:
	s_mov_b64 s[30:31], 0
                                        ; implicit-def: $vgpr12
.LBB38_759:
	s_andn2_b64 s[28:29], s[20:21], exec
	s_and_b64 s[0:1], s[0:1], exec
	s_or_b64 s[28:29], s[28:29], s[0:1]
	s_andn2_b64 s[0:1], s[18:19], exec
	s_and_b64 s[26:27], s[26:27], exec
	s_or_b64 s[0:1], s[0:1], s[26:27]
	s_orn2_b64 s[34:35], s[30:31], exec
.LBB38_760:
	s_or_b64 exec, exec, s[24:25]
	s_mov_b64 s[30:31], 0
	s_mov_b64 s[26:27], 0
	;; [unrolled: 1-line block ×3, first 2 shown]
                                        ; implicit-def: $vgpr2_vgpr3
                                        ; implicit-def: $vgpr0_vgpr1
	s_and_saveexec_b64 s[24:25], s[34:35]
	s_cbranch_execz .LBB38_841
; %bb.761:
	v_cmp_gt_i32_e32 vcc, s38, v12
	s_mov_b64 s[34:35], 0
	s_mov_b64 s[38:39], s[0:1]
	;; [unrolled: 1-line block ×3, first 2 shown]
                                        ; implicit-def: $vgpr2_vgpr3
                                        ; implicit-def: $vgpr0_vgpr1
	s_and_saveexec_b64 s[26:27], vcc
	s_cbranch_execz .LBB38_840
; %bb.762:
	s_waitcnt vmcnt(0)
	v_mul_lo_u32 v0, v12, s9
	v_ashrrev_i32_e32 v1, 31, v0
	s_and_b32 s40, 0xffff, s42
	s_cmp_lt_i32 s40, 11
	v_lshl_add_u64 v[2:3], s[6:7], 0, v[0:1]
	s_cbranch_scc1 .LBB38_769
; %bb.763:
	s_cmp_gt_i32 s40, 25
	s_cbranch_scc0 .LBB38_770
; %bb.764:
	s_cmp_gt_i32 s40, 28
	s_cbranch_scc0 .LBB38_771
	;; [unrolled: 3-line block ×4, first 2 shown]
; %bb.767:
	s_cmp_eq_u32 s40, 46
	s_mov_b64 s[38:39], 0
	s_cbranch_scc0 .LBB38_778
; %bb.768:
	global_load_dword v0, v[2:3], off
	s_mov_b32 s30, 0x2f800000
	s_mov_b32 s31, 0xcf800000
	s_mov_b64 s[36:37], -1
	s_waitcnt vmcnt(0)
	v_lshlrev_b32_e32 v0, 16, v0
	v_trunc_f32_e32 v0, v0
	v_mul_f32_e64 v1, |v0|, s30
	v_floor_f32_e32 v1, v1
	v_fma_f32 v4, v1, s31, |v0|
	v_cvt_u32_f32_e32 v4, v4
	v_cvt_u32_f32_e32 v1, v1
	v_ashrrev_i32_e32 v5, 31, v0
	s_mov_b64 s[30:31], 0
	v_xor_b32_e32 v0, v4, v5
	v_xor_b32_e32 v1, v1, v5
	v_sub_co_u32_e32 v0, vcc, v0, v5
	s_nop 1
	v_subb_co_u32_e32 v1, vcc, v1, v5, vcc
	s_branch .LBB38_780
.LBB38_769:
	s_mov_b64 s[38:39], -1
                                        ; implicit-def: $vgpr0_vgpr1
	s_mov_b64 s[30:31], s[0:1]
	s_branch .LBB38_839
.LBB38_770:
	s_mov_b64 s[38:39], -1
	s_mov_b64 s[30:31], s[0:1]
                                        ; implicit-def: $vgpr0_vgpr1
	s_branch .LBB38_807
.LBB38_771:
	s_mov_b64 s[38:39], -1
	s_mov_b64 s[30:31], s[0:1]
                                        ; implicit-def: $vgpr0_vgpr1
	s_branch .LBB38_790
.LBB38_772:
	s_mov_b64 s[38:39], -1
	s_mov_b64 s[30:31], s[0:1]
                                        ; implicit-def: $vgpr0_vgpr1
	s_branch .LBB38_785
.LBB38_773:
	s_andn2_saveexec_b64 s[34:35], s[34:35]
	s_cbranch_execz .LBB38_669
.LBB38_774:
	s_mov_b32 s39, 0x46000000
	v_add_f32_e64 v7, |v6|, s39
	v_and_b32_e32 v7, 0xff, v7
	v_cmp_ne_u32_e32 vcc, 0, v7
	s_andn2_b64 s[30:31], s[30:31], exec
	s_and_b64 s[40:41], vcc, exec
	s_or_b64 s[30:31], s[30:31], s[40:41]
	s_or_b64 exec, exec, s[34:35]
	v_mov_b32_e32 v8, 0
	s_and_saveexec_b64 s[34:35], s[30:31]
	s_cbranch_execnz .LBB38_670
	s_branch .LBB38_671
.LBB38_775:
	s_mov_b64 s[38:39], -1
	s_mov_b64 s[30:31], s[0:1]
	s_branch .LBB38_779
.LBB38_776:
	s_andn2_saveexec_b64 s[34:35], s[34:35]
	s_cbranch_execz .LBB38_682
.LBB38_777:
	s_mov_b32 s39, 0x42800000
	v_add_f32_e64 v7, |v6|, s39
	v_and_b32_e32 v7, 0xff, v7
	v_cmp_ne_u32_e32 vcc, 0, v7
	s_andn2_b64 s[30:31], s[30:31], exec
	s_and_b64 s[40:41], vcc, exec
	s_or_b64 s[30:31], s[30:31], s[40:41]
	s_or_b64 exec, exec, s[34:35]
	v_mov_b32_e32 v8, 0
	s_and_saveexec_b64 s[34:35], s[30:31]
	s_cbranch_execnz .LBB38_683
	s_branch .LBB38_684
.LBB38_778:
	s_mov_b64 s[30:31], -1
.LBB38_779:
                                        ; implicit-def: $vgpr0_vgpr1
.LBB38_780:
	s_and_b64 vcc, exec, s[38:39]
	s_cbranch_vccz .LBB38_784
; %bb.781:
	s_cmp_eq_u32 s40, 44
	s_cbranch_scc0 .LBB38_783
; %bb.782:
	global_load_ubyte v0, v[2:3], off
	s_mov_b32 s30, 0x2f800000
	s_mov_b32 s31, 0xcf800000
	s_mov_b64 s[36:37], -1
	s_waitcnt vmcnt(0)
	v_lshlrev_b32_e32 v1, 23, v0
	v_trunc_f32_e32 v1, v1
	v_mul_f32_e64 v4, |v1|, s30
	v_floor_f32_e32 v4, v4
	v_fma_f32 v5, v4, s31, |v1|
	v_cvt_u32_f32_e32 v5, v5
	v_cvt_u32_f32_e32 v4, v4
	v_ashrrev_i32_e32 v1, 31, v1
	s_mov_b64 s[30:31], 0
	v_xor_b32_e32 v5, v5, v1
	v_xor_b32_e32 v4, v4, v1
	v_sub_co_u32_e32 v5, vcc, v5, v1
	s_nop 1
	v_subb_co_u32_e32 v1, vcc, v4, v1, vcc
	v_cmp_ne_u32_e32 vcc, 0, v0
	s_nop 1
	v_cndmask_b32_e32 v1, 0, v1, vcc
	v_cndmask_b32_e32 v0, 0, v5, vcc
	s_branch .LBB38_784
.LBB38_783:
	s_mov_b64 s[30:31], -1
                                        ; implicit-def: $vgpr0_vgpr1
.LBB38_784:
	s_mov_b64 s[38:39], 0
.LBB38_785:
	s_and_b64 vcc, exec, s[38:39]
	s_cbranch_vccz .LBB38_789
; %bb.786:
	s_cmp_eq_u32 s40, 29
	s_cbranch_scc0 .LBB38_788
; %bb.787:
	global_load_dwordx2 v[0:1], v[2:3], off
	s_mov_b64 s[30:31], 0
	s_mov_b64 s[36:37], -1
	s_branch .LBB38_789
.LBB38_788:
	s_mov_b64 s[30:31], -1
                                        ; implicit-def: $vgpr0_vgpr1
.LBB38_789:
	s_mov_b64 s[38:39], 0
.LBB38_790:
	s_and_b64 vcc, exec, s[38:39]
	s_cbranch_vccz .LBB38_806
; %bb.791:
	s_cmp_lt_i32 s40, 27
	s_cbranch_scc1 .LBB38_794
; %bb.792:
	s_cmp_gt_i32 s40, 27
	s_cbranch_scc0 .LBB38_795
; %bb.793:
	global_load_dword v0, v[2:3], off
	s_waitcnt vmcnt(1)
	v_mov_b32_e32 v1, 0
	s_mov_b64 s[36:37], 0
	s_branch .LBB38_796
.LBB38_794:
	s_mov_b64 s[36:37], -1
                                        ; implicit-def: $vgpr0_vgpr1
	s_branch .LBB38_799
.LBB38_795:
	s_mov_b64 s[36:37], -1
                                        ; implicit-def: $vgpr0_vgpr1
.LBB38_796:
	s_andn2_b64 vcc, exec, s[36:37]
	s_cbranch_vccnz .LBB38_798
; %bb.797:
	global_load_ushort v0, v[2:3], off
	s_mov_b32 s36, 0
	s_waitcnt vmcnt(1)
	v_mov_b32_e32 v1, s36
	s_waitcnt vmcnt(0)
	v_and_b32_e32 v0, 0xffff, v0
.LBB38_798:
	s_mov_b64 s[36:37], 0
.LBB38_799:
	s_andn2_b64 vcc, exec, s[36:37]
	s_cbranch_vccnz .LBB38_805
; %bb.800:
	global_load_ubyte v4, v[2:3], off
	s_movk_i32 s36, 0x7f
	s_mov_b64 s[38:39], 0
	s_waitcnt vmcnt(0)
	v_cmp_lt_i16_e32 vcc, s36, v4
	s_and_saveexec_b64 s[36:37], vcc
	s_xor_b64 s[36:37], exec, s[36:37]
	s_cbranch_execz .LBB38_817
; %bb.801:
	s_movk_i32 s38, 0x80
	v_cmp_ne_u16_e32 vcc, s38, v4
	s_and_b64 s[38:39], vcc, exec
	s_andn2_saveexec_b64 s[36:37], s[36:37]
	s_cbranch_execnz .LBB38_818
.LBB38_802:
	s_or_b64 exec, exec, s[36:37]
	v_mov_b64_e32 v[0:1], 0
	s_and_saveexec_b64 s[36:37], s[38:39]
	s_cbranch_execz .LBB38_804
.LBB38_803:
	v_and_b32_e32 v1, 0xffff, v4
	v_lshlrev_b32_e32 v0, 24, v4
	v_and_b32_e32 v4, 7, v1
	v_ffbh_u32_e32 v6, v4
	v_min_u32_e32 v6, 32, v6
	v_subrev_u32_e32 v7, 28, v6
	v_bfe_u32 v5, v1, 3, 4
	v_lshlrev_b32_e32 v1, v7, v1
	v_sub_u32_e32 v6, 29, v6
	v_and_b32_e32 v1, 7, v1
	v_cmp_eq_u32_e32 vcc, 0, v5
	v_and_b32_e32 v0, 0x80000000, v0
	s_mov_b32 s38, 0x2f800000
	v_cndmask_b32_e32 v5, v5, v6, vcc
	v_cndmask_b32_e32 v1, v4, v1, vcc
	v_mov_b32_e32 v4, 0x3b800000
	v_lshlrev_b32_e32 v1, 20, v1
	v_lshl_add_u32 v4, v5, 23, v4
	v_or3_b32 v0, v0, v4, v1
	v_trunc_f32_e32 v0, v0
	v_mul_f32_e64 v1, |v0|, s38
	v_floor_f32_e32 v1, v1
	s_mov_b32 s38, 0xcf800000
	v_fma_f32 v4, v1, s38, |v0|
	v_cvt_u32_f32_e32 v4, v4
	v_cvt_u32_f32_e32 v1, v1
	v_ashrrev_i32_e32 v5, 31, v0
	v_xor_b32_e32 v0, v4, v5
	v_xor_b32_e32 v1, v1, v5
	v_sub_co_u32_e32 v0, vcc, v0, v5
	s_nop 1
	v_subb_co_u32_e32 v1, vcc, v1, v5, vcc
.LBB38_804:
	s_or_b64 exec, exec, s[36:37]
.LBB38_805:
	s_mov_b64 s[36:37], -1
.LBB38_806:
	s_mov_b64 s[38:39], 0
.LBB38_807:
	s_and_b64 vcc, exec, s[38:39]
	s_cbranch_vccz .LBB38_838
; %bb.808:
	s_cmp_gt_i32 s40, 22
	s_cbranch_scc0 .LBB38_816
; %bb.809:
	s_cmp_lt_i32 s40, 24
	s_cbranch_scc1 .LBB38_819
; %bb.810:
	s_cmp_gt_i32 s40, 24
	s_cbranch_scc0 .LBB38_820
; %bb.811:
	global_load_ubyte v4, v[2:3], off
	s_movk_i32 s34, 0x7f
	s_mov_b64 s[36:37], 0
	s_waitcnt vmcnt(0)
	v_cmp_lt_i16_e32 vcc, s34, v4
	s_and_saveexec_b64 s[34:35], vcc
	s_xor_b64 s[34:35], exec, s[34:35]
	s_cbranch_execz .LBB38_832
; %bb.812:
	s_movk_i32 s36, 0x80
	v_cmp_ne_u16_e32 vcc, s36, v4
	s_and_b64 s[36:37], vcc, exec
	s_andn2_saveexec_b64 s[34:35], s[34:35]
	s_cbranch_execnz .LBB38_833
.LBB38_813:
	s_or_b64 exec, exec, s[34:35]
	v_mov_b64_e32 v[0:1], 0
	s_and_saveexec_b64 s[34:35], s[36:37]
	s_cbranch_execz .LBB38_815
.LBB38_814:
	v_and_b32_e32 v1, 0xffff, v4
	v_lshlrev_b32_e32 v0, 24, v4
	v_and_b32_e32 v4, 3, v1
	v_ffbh_u32_e32 v6, v4
	v_min_u32_e32 v6, 32, v6
	v_subrev_u32_e32 v7, 29, v6
	v_bfe_u32 v5, v1, 2, 5
	v_lshlrev_b32_e32 v1, v7, v1
	v_sub_u32_e32 v6, 30, v6
	v_and_b32_e32 v1, 3, v1
	v_cmp_eq_u32_e32 vcc, 0, v5
	v_and_b32_e32 v0, 0x80000000, v0
	s_mov_b32 s36, 0x2f800000
	v_cndmask_b32_e32 v5, v5, v6, vcc
	v_cndmask_b32_e32 v1, v4, v1, vcc
	v_mov_b32_e32 v4, 0x37800000
	v_lshlrev_b32_e32 v1, 21, v1
	v_lshl_add_u32 v4, v5, 23, v4
	v_or3_b32 v0, v0, v4, v1
	v_trunc_f32_e32 v0, v0
	v_mul_f32_e64 v1, |v0|, s36
	v_floor_f32_e32 v1, v1
	s_mov_b32 s36, 0xcf800000
	v_fma_f32 v4, v1, s36, |v0|
	v_cvt_u32_f32_e32 v4, v4
	v_cvt_u32_f32_e32 v1, v1
	v_ashrrev_i32_e32 v5, 31, v0
	v_xor_b32_e32 v0, v4, v5
	v_xor_b32_e32 v1, v1, v5
	v_sub_co_u32_e32 v0, vcc, v0, v5
	s_nop 1
	v_subb_co_u32_e32 v1, vcc, v1, v5, vcc
.LBB38_815:
	s_or_b64 exec, exec, s[34:35]
	s_mov_b64 s[34:35], 0
	s_branch .LBB38_821
.LBB38_816:
	s_mov_b64 s[34:35], -1
                                        ; implicit-def: $vgpr0_vgpr1
	s_branch .LBB38_827
.LBB38_817:
	s_andn2_saveexec_b64 s[36:37], s[36:37]
	s_cbranch_execz .LBB38_802
.LBB38_818:
	v_cmp_ne_u16_e32 vcc, 0, v4
	s_andn2_b64 s[38:39], s[38:39], exec
	s_and_b64 s[44:45], vcc, exec
	s_or_b64 s[38:39], s[38:39], s[44:45]
	s_or_b64 exec, exec, s[36:37]
	v_mov_b64_e32 v[0:1], 0
	s_and_saveexec_b64 s[36:37], s[38:39]
	s_cbranch_execnz .LBB38_803
	s_branch .LBB38_804
.LBB38_819:
	s_mov_b64 s[34:35], -1
                                        ; implicit-def: $vgpr0_vgpr1
	s_branch .LBB38_824
.LBB38_820:
	s_mov_b64 s[34:35], -1
                                        ; implicit-def: $vgpr0_vgpr1
.LBB38_821:
	s_and_b64 vcc, exec, s[34:35]
	s_cbranch_vccz .LBB38_823
; %bb.822:
	global_load_ubyte v0, v[2:3], off
	s_mov_b32 s34, 0x7f800000
	s_brev_b32 s35, 1
	s_mov_b32 s36, 0x2f800000
	s_mov_b32 s37, 0xcf800000
	s_waitcnt vmcnt(0)
	v_lshlrev_b32_e32 v0, 24, v0
	v_and_b32_e32 v1, 0x7f000000, v0
	v_ffbh_u32_e32 v4, v1
	v_min_u32_e32 v4, 32, v4
	v_sub_u32_e64 v4, v4, 4 clamp
	v_lshlrev_b32_e32 v6, v4, v1
	v_lshlrev_b32_e32 v4, 23, v4
	v_lshrrev_b32_e32 v6, 4, v6
	v_add_u32_e32 v5, 0x1000000, v1
	v_sub_u32_e32 v4, v6, v4
	v_ashrrev_i32_e32 v5, 8, v5
	v_add_u32_e32 v4, 0x3c000000, v4
	v_and_or_b32 v4, v5, s34, v4
	v_cmp_ne_u32_e32 vcc, 0, v1
	s_nop 1
	v_cndmask_b32_e32 v1, 0, v4, vcc
	v_and_or_b32 v0, v0, s35, v1
	v_trunc_f32_e32 v0, v0
	v_mul_f32_e64 v1, |v0|, s36
	v_floor_f32_e32 v1, v1
	v_fma_f32 v4, v1, s37, |v0|
	v_cvt_u32_f32_e32 v4, v4
	v_cvt_u32_f32_e32 v1, v1
	v_ashrrev_i32_e32 v5, 31, v0
	v_xor_b32_e32 v0, v4, v5
	v_xor_b32_e32 v1, v1, v5
	v_sub_co_u32_e32 v0, vcc, v0, v5
	s_nop 1
	v_subb_co_u32_e32 v1, vcc, v1, v5, vcc
.LBB38_823:
	s_mov_b64 s[34:35], 0
.LBB38_824:
	s_andn2_b64 vcc, exec, s[34:35]
	s_cbranch_vccnz .LBB38_826
; %bb.825:
	global_load_ubyte v0, v[2:3], off
	s_movk_i32 s34, 0x7f00
	s_brev_b32 s35, 16
	s_brev_b32 s36, 1
	s_mov_b32 s37, 0x2f800000
	s_mov_b32 s38, 0xcf800000
	s_waitcnt vmcnt(0)
	v_lshlrev_b16_e32 v1, 8, v0
	v_lshlrev_b32_e32 v0, 25, v0
	v_lshrrev_b32_e32 v4, 4, v0
	v_and_or_b32 v5, v1, s34, 0.5
	v_or_b32_e32 v4, 0x70000000, v4
	v_add_f32_e32 v5, -0.5, v5
	v_mul_f32_e32 v4, 0x7800000, v4
	v_cmp_gt_u32_e32 vcc, s35, v0
	v_bfe_i32 v1, v1, 0, 16
	s_nop 0
	v_cndmask_b32_e32 v0, v4, v5, vcc
	v_and_or_b32 v0, v1, s36, v0
	v_trunc_f32_e32 v0, v0
	v_mul_f32_e64 v1, |v0|, s37
	v_floor_f32_e32 v1, v1
	v_fma_f32 v4, v1, s38, |v0|
	v_cvt_u32_f32_e32 v4, v4
	v_cvt_u32_f32_e32 v1, v1
	v_ashrrev_i32_e32 v5, 31, v0
	v_xor_b32_e32 v0, v4, v5
	v_xor_b32_e32 v1, v1, v5
	v_sub_co_u32_e32 v0, vcc, v0, v5
	s_nop 1
	v_subb_co_u32_e32 v1, vcc, v1, v5, vcc
.LBB38_826:
	s_mov_b64 s[34:35], 0
	s_mov_b64 s[36:37], -1
.LBB38_827:
	s_andn2_b64 vcc, exec, s[34:35]
	s_mov_b64 s[34:35], 0
	s_cbranch_vccnz .LBB38_838
; %bb.828:
	s_cmp_gt_i32 s40, 14
	s_cbranch_scc0 .LBB38_831
; %bb.829:
	s_cmp_eq_u32 s40, 15
	s_cbranch_scc0 .LBB38_834
; %bb.830:
	global_load_ushort v0, v[2:3], off
	s_mov_b32 s30, 0x2f800000
	s_mov_b32 s31, 0xcf800000
	s_mov_b64 s[36:37], -1
	s_waitcnt vmcnt(0)
	v_lshlrev_b32_e32 v0, 16, v0
	v_trunc_f32_e32 v0, v0
	v_mul_f32_e64 v1, |v0|, s30
	v_floor_f32_e32 v1, v1
	v_fma_f32 v4, v1, s31, |v0|
	v_cvt_u32_f32_e32 v4, v4
	v_cvt_u32_f32_e32 v1, v1
	v_ashrrev_i32_e32 v5, 31, v0
	s_mov_b64 s[30:31], 0
	v_xor_b32_e32 v0, v4, v5
	v_xor_b32_e32 v1, v1, v5
	v_sub_co_u32_e32 v0, vcc, v0, v5
	s_nop 1
	v_subb_co_u32_e32 v1, vcc, v1, v5, vcc
	s_branch .LBB38_835
.LBB38_831:
	s_mov_b64 s[38:39], -1
                                        ; implicit-def: $vgpr0_vgpr1
	s_branch .LBB38_836
.LBB38_832:
	s_andn2_saveexec_b64 s[34:35], s[34:35]
	s_cbranch_execz .LBB38_813
.LBB38_833:
	v_cmp_ne_u16_e32 vcc, 0, v4
	s_andn2_b64 s[36:37], s[36:37], exec
	s_and_b64 s[38:39], vcc, exec
	s_or_b64 s[36:37], s[36:37], s[38:39]
	s_or_b64 exec, exec, s[34:35]
	v_mov_b64_e32 v[0:1], 0
	s_and_saveexec_b64 s[34:35], s[36:37]
	s_cbranch_execnz .LBB38_814
	s_branch .LBB38_815
.LBB38_834:
	s_mov_b64 s[30:31], -1
                                        ; implicit-def: $vgpr0_vgpr1
.LBB38_835:
	s_mov_b64 s[38:39], 0
.LBB38_836:
	s_and_b64 vcc, exec, s[38:39]
	s_cbranch_vccz .LBB38_838
; %bb.837:
	s_cmp_lg_u32 s40, 11
	s_cselect_b64 s[38:39], -1, 0
	s_andn2_b64 s[30:31], s[30:31], exec
	s_and_b64 s[38:39], s[38:39], exec
	s_mov_b64 s[34:35], -1
	s_or_b64 s[30:31], s[30:31], s[38:39]
.LBB38_838:
	s_mov_b64 s[38:39], 0
.LBB38_839:
	s_and_b64 s[40:41], s[38:39], exec
	s_andn2_b64 s[38:39], s[0:1], exec
	s_and_b64 s[30:31], s[30:31], exec
	s_and_b64 s[36:37], s[36:37], exec
	;; [unrolled: 1-line block ×3, first 2 shown]
	s_or_b64 s[38:39], s[38:39], s[30:31]
.LBB38_840:
	s_or_b64 exec, exec, s[26:27]
	s_and_b64 s[30:31], s[34:35], exec
	s_andn2_b64 s[0:1], s[0:1], exec
	s_and_b64 s[34:35], s[38:39], exec
	s_and_b64 s[36:37], s[36:37], exec
	s_and_b64 s[26:27], s[40:41], exec
	s_or_b64 s[0:1], s[0:1], s[34:35]
.LBB38_841:
	s_or_b64 exec, exec, s[24:25]
	s_andn2_b64 s[20:21], s[20:21], exec
	s_and_b64 s[24:25], s[28:29], exec
	s_andn2_b64 s[18:19], s[18:19], exec
	s_and_b64 s[0:1], s[0:1], exec
	s_or_b64 s[20:21], s[20:21], s[24:25]
	s_and_b64 s[28:29], s[36:37], exec
	s_and_b64 s[26:27], s[26:27], exec
	;; [unrolled: 1-line block ×3, first 2 shown]
	s_or_b64 s[18:19], s[18:19], s[0:1]
.LBB38_842:
	s_or_b64 exec, exec, s[22:23]
	s_andn2_b64 s[0:1], s[12:13], exec
	s_and_b64 s[12:13], s[20:21], exec
	s_andn2_b64 s[14:15], s[14:15], exec
	s_and_b64 s[18:19], s[18:19], exec
	s_or_b64 s[12:13], s[0:1], s[12:13]
	s_and_b64 s[0:1], s[28:29], exec
	s_and_b64 s[22:23], s[26:27], exec
	;; [unrolled: 1-line block ×3, first 2 shown]
	s_or_b64 s[14:15], s[14:15], s[18:19]
	s_or_b64 exec, exec, s[16:17]
	s_mov_b64 s[16:17], 0
	s_and_saveexec_b64 s[18:19], s[14:15]
	s_cbranch_execz .LBB38_258
.LBB38_843:
	s_mov_b64 s[16:17], exec
	s_andn2_b64 s[20:21], s[20:21], exec
	s_trap 2
	s_or_b64 exec, exec, s[18:19]
	s_and_saveexec_b64 s[14:15], s[20:21]
	s_xor_b64 s[14:15], exec, s[14:15]
	s_cbranch_execnz .LBB38_259
.LBB38_844:
	s_or_b64 exec, exec, s[14:15]
	s_and_saveexec_b64 s[14:15], s[22:23]
	s_cbranch_execz .LBB38_890
.LBB38_845:
	s_sext_i32_i16 s18, s42
	s_cmp_lt_i32 s18, 5
	s_cbranch_scc1 .LBB38_850
; %bb.846:
	s_cmp_lt_i32 s18, 8
	s_cbranch_scc1 .LBB38_851
; %bb.847:
	;; [unrolled: 3-line block ×3, first 2 shown]
	s_cmp_gt_i32 s18, 9
	s_cbranch_scc0 .LBB38_853
; %bb.849:
	global_load_dwordx2 v[0:1], v[2:3], off
	s_movk_i32 s18, 0xffe0
	s_waitcnt vmcnt(0)
	v_trunc_f64_e32 v[4:5], v[0:1]
	v_ldexp_f64 v[0:1], v[4:5], s18
	v_floor_f64_e32 v[6:7], v[0:1]
	v_fmac_f64_e32 v[4:5], 0xc1f00000, v[6:7]
	v_cvt_i32_f64_e32 v1, v[6:7]
	v_cvt_u32_f64_e32 v0, v[4:5]
	s_mov_b64 s[18:19], 0
	s_branch .LBB38_854
.LBB38_850:
                                        ; implicit-def: $vgpr0_vgpr1
	s_branch .LBB38_871
.LBB38_851:
                                        ; implicit-def: $vgpr0_vgpr1
	s_branch .LBB38_860
.LBB38_852:
	s_mov_b64 s[18:19], -1
                                        ; implicit-def: $vgpr0_vgpr1
	s_branch .LBB38_857
.LBB38_853:
	s_mov_b64 s[18:19], -1
                                        ; implicit-def: $vgpr0_vgpr1
.LBB38_854:
	s_andn2_b64 vcc, exec, s[18:19]
	s_cbranch_vccnz .LBB38_856
; %bb.855:
	global_load_dword v0, v[2:3], off
	s_mov_b32 s18, 0x2f800000
	s_mov_b32 s19, 0xcf800000
	s_waitcnt vmcnt(0)
	v_trunc_f32_e32 v0, v0
	v_mul_f32_e64 v1, |v0|, s18
	v_floor_f32_e32 v1, v1
	v_cvt_u32_f32_e32 v4, v1
	v_fma_f32 v1, v1, s19, |v0|
	v_cvt_u32_f32_e32 v1, v1
	v_ashrrev_i32_e32 v5, 31, v0
	v_xor_b32_e32 v4, v4, v5
	v_xor_b32_e32 v0, v1, v5
	v_sub_co_u32_e32 v0, vcc, v0, v5
	s_nop 1
	v_subb_co_u32_e32 v1, vcc, v4, v5, vcc
.LBB38_856:
	s_mov_b64 s[18:19], 0
.LBB38_857:
	s_andn2_b64 vcc, exec, s[18:19]
	s_cbranch_vccnz .LBB38_859
; %bb.858:
	global_load_dword v0, v[2:3], off
	s_waitcnt vmcnt(0)
	v_cvt_f32_f16_e32 v0, v0
	v_cvt_i32_f32_e32 v0, v0
	v_ashrrev_i32_e32 v1, 31, v0
.LBB38_859:
	s_cbranch_execnz .LBB38_870
.LBB38_860:
	s_sext_i32_i16 s18, s42
	s_cmp_lt_i32 s18, 6
	s_cbranch_scc1 .LBB38_863
; %bb.861:
	s_cmp_gt_i32 s18, 6
	s_cbranch_scc0 .LBB38_864
; %bb.862:
	global_load_dwordx2 v[0:1], v[2:3], off
	s_movk_i32 s18, 0xffe0
	s_waitcnt vmcnt(0)
	v_trunc_f64_e32 v[4:5], v[0:1]
	v_ldexp_f64 v[0:1], v[4:5], s18
	v_floor_f64_e32 v[6:7], v[0:1]
	v_fmac_f64_e32 v[4:5], 0xc1f00000, v[6:7]
	v_cvt_i32_f64_e32 v1, v[6:7]
	v_cvt_u32_f64_e32 v0, v[4:5]
	s_mov_b64 s[18:19], 0
	s_branch .LBB38_865
.LBB38_863:
	s_mov_b64 s[18:19], -1
                                        ; implicit-def: $vgpr0_vgpr1
	s_branch .LBB38_868
.LBB38_864:
	s_mov_b64 s[18:19], -1
                                        ; implicit-def: $vgpr0_vgpr1
.LBB38_865:
	s_andn2_b64 vcc, exec, s[18:19]
	s_cbranch_vccnz .LBB38_867
; %bb.866:
	global_load_dword v0, v[2:3], off
	s_mov_b32 s18, 0x2f800000
	s_mov_b32 s19, 0xcf800000
	s_waitcnt vmcnt(0)
	v_trunc_f32_e32 v0, v0
	v_mul_f32_e64 v1, |v0|, s18
	v_floor_f32_e32 v1, v1
	v_cvt_u32_f32_e32 v4, v1
	v_fma_f32 v1, v1, s19, |v0|
	v_cvt_u32_f32_e32 v1, v1
	v_ashrrev_i32_e32 v5, 31, v0
	v_xor_b32_e32 v4, v4, v5
	v_xor_b32_e32 v0, v1, v5
	v_sub_co_u32_e32 v0, vcc, v0, v5
	s_nop 1
	v_subb_co_u32_e32 v1, vcc, v4, v5, vcc
.LBB38_867:
	s_mov_b64 s[18:19], 0
.LBB38_868:
	s_andn2_b64 vcc, exec, s[18:19]
	s_cbranch_vccnz .LBB38_870
; %bb.869:
	global_load_ushort v0, v[2:3], off
	s_waitcnt vmcnt(0)
	v_cvt_f32_f16_e32 v0, v0
	v_cvt_i32_f32_e32 v0, v0
	v_ashrrev_i32_e32 v1, 31, v0
.LBB38_870:
	s_cbranch_execnz .LBB38_889
.LBB38_871:
	s_sext_i32_i16 s18, s42
	s_cmp_lt_i32 s18, 2
	s_cbranch_scc1 .LBB38_875
; %bb.872:
	s_cmp_lt_i32 s18, 3
	s_cbranch_scc1 .LBB38_876
; %bb.873:
	s_cmp_gt_i32 s18, 3
	s_cbranch_scc0 .LBB38_877
; %bb.874:
	global_load_dwordx2 v[0:1], v[2:3], off
	s_mov_b64 s[18:19], 0
	s_branch .LBB38_878
.LBB38_875:
                                        ; implicit-def: $vgpr0_vgpr1
	s_branch .LBB38_884
.LBB38_876:
	s_mov_b64 s[18:19], -1
                                        ; implicit-def: $vgpr0_vgpr1
	s_branch .LBB38_881
.LBB38_877:
	s_mov_b64 s[18:19], -1
                                        ; implicit-def: $vgpr0_vgpr1
.LBB38_878:
	s_andn2_b64 vcc, exec, s[18:19]
	s_cbranch_vccnz .LBB38_880
; %bb.879:
	global_load_dword v0, v[2:3], off
	s_waitcnt vmcnt(0)
	v_ashrrev_i32_e32 v1, 31, v0
.LBB38_880:
	s_mov_b64 s[18:19], 0
.LBB38_881:
	s_andn2_b64 vcc, exec, s[18:19]
	s_cbranch_vccnz .LBB38_883
; %bb.882:
	global_load_ushort v0, v[2:3], off
	s_waitcnt vmcnt(0)
	v_bfe_i32 v0, v0, 0, 16
	v_ashrrev_i32_e32 v1, 31, v0
.LBB38_883:
	s_cbranch_execnz .LBB38_889
.LBB38_884:
	s_sext_i32_i16 s18, s42
	s_cmp_gt_i32 s18, 0
	s_cbranch_scc0 .LBB38_886
; %bb.885:
	global_load_sbyte v0, v[2:3], off
	s_mov_b64 s[18:19], 0
	s_waitcnt vmcnt(0)
	v_bfe_i32 v0, v0, 0, 16
	v_ashrrev_i32_e32 v1, 31, v0
	s_branch .LBB38_887
.LBB38_886:
	s_mov_b64 s[18:19], -1
                                        ; implicit-def: $vgpr0_vgpr1
.LBB38_887:
	s_andn2_b64 vcc, exec, s[18:19]
	s_cbranch_vccnz .LBB38_889
; %bb.888:
	global_load_ubyte v0, v[2:3], off
	s_mov_b32 s18, 0
	s_waitcnt vmcnt(1)
	v_mov_b32_e32 v1, s18
	s_waitcnt vmcnt(0)
	v_and_b32_e32 v0, 0xffff, v0
.LBB38_889:
	s_or_b64 s[0:1], s[0:1], exec
.LBB38_890:
	s_or_b64 exec, exec, s[14:15]
	s_mov_b64 s[20:21], 0
	s_mov_b64 s[18:19], 0
                                        ; implicit-def: $sgpr26
                                        ; implicit-def: $vgpr4_vgpr5
                                        ; implicit-def: $vgpr2_vgpr3
	s_and_saveexec_b64 s[14:15], s[0:1]
	s_cbranch_execz .LBB38_898
; %bb.891:
	v_mul_lo_u32 v4, v12, s8
	v_ashrrev_i32_e32 v5, 31, v4
	s_and_b32 s26, s33, 0xff
	s_waitcnt vmcnt(0)
	v_not_b32_e32 v3, v1
	v_not_b32_e32 v2, v0
	s_cmp_lt_i32 s26, 11
	v_lshl_add_u64 v[4:5], s[4:5], 0, v[4:5]
	s_cbranch_scc1 .LBB38_901
; %bb.892:
	s_and_b32 s27, 0xffff, s26
	s_mov_b64 s[20:21], -1
	s_cmp_gt_i32 s27, 25
	s_mov_b64 s[0:1], s[12:13]
	s_cbranch_scc0 .LBB38_929
; %bb.893:
	s_mov_b64 s[18:19], -1
	s_cmp_gt_i32 s27, 28
	s_mov_b64 s[0:1], s[12:13]
	s_cbranch_scc0 .LBB38_913
; %bb.894:
	s_cmp_gt_i32 s27, 43
	s_mov_b64 s[0:1], s[12:13]
	s_cbranch_scc0 .LBB38_909
; %bb.895:
	;; [unrolled: 4-line block ×3, first 2 shown]
	s_cmp_eq_u32 s27, 46
	s_mov_b64 s[0:1], -1
	s_cbranch_scc0 .LBB38_902
; %bb.897:
	v_xor_b32_e32 v7, v2, v3
	v_ffbh_i32_e32 v6, v3
	v_ashrrev_i32_e32 v7, 31, v7
	v_add_u32_e32 v6, -1, v6
	v_add_u32_e32 v7, 32, v7
	v_min_u32_e32 v8, v6, v7
	v_lshlrev_b64 v[6:7], v8, v[2:3]
	v_min_u32_e32 v6, 1, v6
	v_or_b32_e32 v6, v7, v6
	v_cvt_f32_i32_e32 v6, v6
	v_sub_u32_e32 v7, 32, v8
	s_movk_i32 s0, 0x7fff
	s_mov_b64 s[18:19], 0
	v_ldexp_f32 v6, v6, v7
	v_bfe_u32 v7, v6, 16, 1
	v_add3_u32 v6, v6, v7, s0
	v_lshrrev_b32_e32 v6, 16, v6
	global_store_dword v[4:5], v6, off
	s_mov_b64 s[0:1], 0
	s_branch .LBB38_903
.LBB38_898:
	s_or_b64 exec, exec, s[14:15]
	s_and_saveexec_b64 s[0:1], s[12:13]
	s_cbranch_execnz .LBB38_971
.LBB38_899:
	s_or_b64 exec, exec, s[0:1]
	s_and_saveexec_b64 s[0:1], s[20:21]
	s_xor_b64 s[0:1], exec, s[0:1]
	s_cbranch_execz .LBB38_972
.LBB38_900:
	s_waitcnt vmcnt(0)
	v_cmp_ne_u64_e32 vcc, -1, v[0:1]
	s_nop 1
	v_cndmask_b32_e64 v0, 0, 1, vcc
	global_store_byte v[4:5], v0, off
	s_or_b64 exec, exec, s[0:1]
	s_and_saveexec_b64 s[0:1], s[18:19]
	s_xor_b64 s[0:1], exec, s[0:1]
	s_cbranch_execz .LBB38_1010
	s_branch .LBB38_973
.LBB38_901:
	s_mov_b64 s[18:19], -1
	s_mov_b64 s[0:1], s[12:13]
	s_branch .LBB38_970
.LBB38_902:
	s_mov_b64 s[18:19], 0
.LBB38_903:
	s_and_b64 vcc, exec, s[18:19]
	s_cbranch_vccz .LBB38_908
; %bb.904:
	s_cmp_eq_u32 s27, 44
	s_mov_b64 s[0:1], -1
	s_cbranch_scc0 .LBB38_908
; %bb.905:
	v_xor_b32_e32 v7, v2, v3
	v_ffbh_i32_e32 v6, v3
	v_ashrrev_i32_e32 v7, 31, v7
	v_add_u32_e32 v6, -1, v6
	v_add_u32_e32 v7, 32, v7
	v_min_u32_e32 v8, v6, v7
	v_lshlrev_b64 v[6:7], v8, v[2:3]
	v_min_u32_e32 v6, 1, v6
	v_or_b32_e32 v6, v7, v6
	v_cvt_f32_i32_e32 v6, v6
	v_sub_u32_e32 v7, 32, v8
	s_movk_i32 s0, 0xff
	v_mov_b32_e32 v8, 0xff
	v_ldexp_f32 v6, v6, v7
	v_bfe_u32 v7, v6, 23, 8
	v_cmp_ne_u32_e32 vcc, s0, v7
	s_and_saveexec_b64 s[18:19], vcc
; %bb.906:
	s_mov_b32 s0, 0x3fffff
	v_lshrrev_b32_e32 v8, 23, v6
	v_and_b32_e32 v9, 0x400000, v6
	v_and_or_b32 v6, v6, s0, v7
	v_cmp_ne_u32_e32 vcc, 0, v9
	v_cmp_ne_u32_e64 s[0:1], 0, v6
	s_and_b64 s[0:1], vcc, s[0:1]
	s_nop 0
	v_cndmask_b32_e64 v6, 0, 1, s[0:1]
	v_add_u32_e32 v8, v8, v6
; %bb.907:
	s_or_b64 exec, exec, s[18:19]
	s_mov_b64 s[0:1], 0
	global_store_byte v[4:5], v8, off
.LBB38_908:
	s_mov_b64 s[18:19], 0
.LBB38_909:
	s_and_b64 vcc, exec, s[18:19]
	s_cbranch_vccz .LBB38_912
; %bb.910:
	s_cmp_eq_u32 s27, 29
	s_mov_b64 s[0:1], -1
	s_cbranch_scc0 .LBB38_912
; %bb.911:
	global_store_dwordx2 v[4:5], v[2:3], off
	s_mov_b64 s[0:1], 0
.LBB38_912:
	s_mov_b64 s[18:19], 0
.LBB38_913:
	s_and_b64 vcc, exec, s[18:19]
	s_cbranch_vccz .LBB38_928
; %bb.914:
	s_cmp_lt_i32 s27, 27
	s_mov_b64 s[18:19], -1
	s_cbranch_scc1 .LBB38_920
; %bb.915:
	s_cmp_gt_i32 s27, 27
	s_cbranch_scc0 .LBB38_917
; %bb.916:
	s_mov_b64 s[18:19], 0
	global_store_dword v[4:5], v2, off
.LBB38_917:
	s_andn2_b64 vcc, exec, s[18:19]
	s_cbranch_vccnz .LBB38_919
; %bb.918:
	global_store_short v[4:5], v2, off
.LBB38_919:
	s_mov_b64 s[18:19], 0
.LBB38_920:
	s_andn2_b64 vcc, exec, s[18:19]
	s_cbranch_vccnz .LBB38_928
; %bb.921:
	v_xor_b32_e32 v7, v2, v3
	v_ffbh_i32_e32 v6, v3
	v_ashrrev_i32_e32 v7, 31, v7
	v_add_u32_e32 v6, -1, v6
	v_add_u32_e32 v7, 32, v7
	v_min_u32_e32 v8, v6, v7
	v_lshlrev_b64 v[6:7], v8, v[2:3]
	v_min_u32_e32 v6, 1, v6
	v_or_b32_e32 v6, v7, v6
	v_cvt_f32_i32_e32 v6, v6
	v_sub_u32_e32 v7, 32, v8
	s_mov_b32 s18, 0x43800000
	v_mov_b32_e32 v8, 0x80
	v_ldexp_f32 v6, v6, v7
	v_and_b32_e32 v7, 0x7fffffff, v6
	v_cmp_gt_u32_e32 vcc, s18, v7
	s_and_saveexec_b64 s[18:19], vcc
	s_cbranch_execz .LBB38_927
; %bb.922:
	s_mov_b32 s20, 0x3bffffff
	v_cmp_lt_u32_e32 vcc, s20, v7
	s_mov_b64 s[20:21], 0
                                        ; implicit-def: $vgpr7
	s_and_saveexec_b64 s[22:23], vcc
	s_xor_b64 s[22:23], exec, s[22:23]
	s_cbranch_execz .LBB38_1025
; %bb.923:
	v_bfe_u32 v7, v6, 20, 1
	s_mov_b32 s24, 0x487ffff
	v_add3_u32 v7, v6, v7, s24
	s_mov_b64 s[20:21], exec
	v_lshrrev_b32_e32 v7, 20, v7
	s_andn2_saveexec_b64 s[22:23], s[22:23]
	s_cbranch_execnz .LBB38_1026
.LBB38_924:
	s_or_b64 exec, exec, s[22:23]
	v_mov_b32_e32 v8, 0
	s_and_saveexec_b64 s[22:23], s[20:21]
.LBB38_925:
	v_lshrrev_b32_e32 v6, 24, v6
	s_movk_i32 s20, 0x80
	v_and_or_b32 v8, v6, s20, v7
.LBB38_926:
	s_or_b64 exec, exec, s[22:23]
.LBB38_927:
	s_or_b64 exec, exec, s[18:19]
	global_store_byte v[4:5], v8, off
.LBB38_928:
	s_mov_b64 s[20:21], 0
.LBB38_929:
	s_mov_b64 s[18:19], 0
	s_and_b64 vcc, exec, s[20:21]
	s_cbranch_vccz .LBB38_969
; %bb.930:
	s_cmp_gt_i32 s27, 22
	s_mov_b64 s[20:21], -1
	s_cbranch_scc0 .LBB38_962
; %bb.931:
	s_cmp_lt_i32 s27, 24
	s_cbranch_scc1 .LBB38_951
; %bb.932:
	s_cmp_gt_i32 s27, 24
	s_cbranch_scc0 .LBB38_940
; %bb.933:
	v_xor_b32_e32 v7, v2, v3
	v_ffbh_i32_e32 v6, v3
	v_ashrrev_i32_e32 v7, 31, v7
	v_add_u32_e32 v6, -1, v6
	v_add_u32_e32 v7, 32, v7
	v_min_u32_e32 v8, v6, v7
	v_lshlrev_b64 v[6:7], v8, v[2:3]
	v_min_u32_e32 v6, 1, v6
	v_or_b32_e32 v6, v7, v6
	v_cvt_f32_i32_e32 v6, v6
	v_sub_u32_e32 v7, 32, v8
	s_mov_b32 s20, 0x47800000
	v_mov_b32_e32 v8, 0x80
	v_ldexp_f32 v6, v6, v7
	v_and_b32_e32 v7, 0x7fffffff, v6
	v_cmp_gt_u32_e32 vcc, s20, v7
	s_and_saveexec_b64 s[20:21], vcc
	s_cbranch_execz .LBB38_939
; %bb.934:
	s_mov_b32 s22, 0x37ffffff
	v_cmp_lt_u32_e32 vcc, s22, v7
	s_mov_b64 s[22:23], 0
                                        ; implicit-def: $vgpr7
	s_and_saveexec_b64 s[24:25], vcc
	s_xor_b64 s[24:25], exec, s[24:25]
	s_cbranch_execz .LBB38_1145
; %bb.935:
	v_bfe_u32 v7, v6, 21, 1
	s_mov_b32 s28, 0x88fffff
	v_add3_u32 v7, v6, v7, s28
	s_mov_b64 s[22:23], exec
	v_lshrrev_b32_e32 v7, 21, v7
	s_andn2_saveexec_b64 s[24:25], s[24:25]
	s_cbranch_execnz .LBB38_1146
.LBB38_936:
	s_or_b64 exec, exec, s[24:25]
	v_mov_b32_e32 v8, 0
	s_and_saveexec_b64 s[24:25], s[22:23]
.LBB38_937:
	v_lshrrev_b32_e32 v6, 24, v6
	s_movk_i32 s22, 0x80
	v_and_or_b32 v8, v6, s22, v7
.LBB38_938:
	s_or_b64 exec, exec, s[24:25]
.LBB38_939:
	s_or_b64 exec, exec, s[20:21]
	s_mov_b64 s[20:21], 0
	global_store_byte v[4:5], v8, off
.LBB38_940:
	s_and_b64 vcc, exec, s[20:21]
	s_cbranch_vccz .LBB38_950
; %bb.941:
	v_xor_b32_e32 v7, v2, v3
	v_ffbh_i32_e32 v6, v3
	v_ashrrev_i32_e32 v7, 31, v7
	v_add_u32_e32 v6, -1, v6
	v_add_u32_e32 v7, 32, v7
	v_min_u32_e32 v8, v6, v7
	v_lshlrev_b64 v[6:7], v8, v[2:3]
	v_min_u32_e32 v6, 1, v6
	v_or_b32_e32 v6, v7, v6
	v_cvt_f32_i32_e32 v6, v6
	v_sub_u32_e32 v7, 32, v8
	s_mov_b32 s20, 0x43f00000
	v_ldexp_f32 v6, v6, v7
	v_and_b32_e32 v8, 0x7fffffff, v6
	v_cmp_gt_u32_e32 vcc, s20, v8
                                        ; implicit-def: $vgpr7
	s_and_saveexec_b64 s[20:21], vcc
	s_xor_b64 s[20:21], exec, s[20:21]
	s_cbranch_execz .LBB38_947
; %bb.942:
	s_mov_b32 s22, 0x3c7fffff
	v_cmp_lt_u32_e32 vcc, s22, v8
                                        ; implicit-def: $vgpr7
	s_and_saveexec_b64 s[22:23], vcc
	s_xor_b64 s[22:23], exec, s[22:23]
; %bb.943:
	v_bfe_u32 v7, v6, 20, 1
	s_mov_b32 s24, 0x407ffff
	v_add3_u32 v7, v6, v7, s24
	v_lshrrev_b32_e32 v8, 20, v7
	v_and_b32_e32 v7, 0xff00000, v7
	s_mov_b32 s24, 0x7f00000
	v_mov_b32_e32 v9, 0x7e
	v_cmp_ne_u32_e32 vcc, s24, v7
	s_nop 1
	v_cndmask_b32_e32 v7, v9, v8, vcc
; %bb.944:
	s_andn2_saveexec_b64 s[22:23], s[22:23]
; %bb.945:
	s_mov_b32 s24, 0x46800000
	v_add_f32_e64 v7, |v6|, s24
; %bb.946:
	s_or_b64 exec, exec, s[22:23]
                                        ; implicit-def: $vgpr8
.LBB38_947:
	s_andn2_saveexec_b64 s[20:21], s[20:21]
; %bb.948:
	s_mov_b32 s22, 0x7f800000
	v_mov_b32_e32 v7, 0x7e
	v_mov_b32_e32 v9, 0x7f
	v_cmp_lt_u32_e32 vcc, s22, v8
	s_nop 1
	v_cndmask_b32_e32 v7, v7, v9, vcc
; %bb.949:
	s_or_b64 exec, exec, s[20:21]
	v_lshrrev_b32_e32 v6, 24, v6
	s_movk_i32 s20, 0x80
	v_and_or_b32 v6, v6, s20, v7
	global_store_byte v[4:5], v6, off
.LBB38_950:
	s_mov_b64 s[20:21], 0
.LBB38_951:
	s_andn2_b64 vcc, exec, s[20:21]
	s_cbranch_vccnz .LBB38_961
; %bb.952:
	v_xor_b32_e32 v7, v2, v3
	v_ffbh_i32_e32 v6, v3
	v_ashrrev_i32_e32 v7, 31, v7
	v_add_u32_e32 v6, -1, v6
	v_add_u32_e32 v7, 32, v7
	v_min_u32_e32 v8, v6, v7
	v_lshlrev_b64 v[6:7], v8, v[2:3]
	v_min_u32_e32 v6, 1, v6
	v_or_b32_e32 v6, v7, v6
	v_cvt_f32_i32_e32 v6, v6
	v_sub_u32_e32 v7, 32, v8
	s_mov_b32 s20, 0x47800000
	v_ldexp_f32 v6, v6, v7
	v_and_b32_e32 v8, 0x7fffffff, v6
	v_cmp_gt_u32_e32 vcc, s20, v8
                                        ; implicit-def: $vgpr7
	s_and_saveexec_b64 s[20:21], vcc
	s_xor_b64 s[20:21], exec, s[20:21]
	s_cbranch_execz .LBB38_958
; %bb.953:
	s_mov_b32 s22, 0x387fffff
	v_cmp_lt_u32_e32 vcc, s22, v8
                                        ; implicit-def: $vgpr7
	s_and_saveexec_b64 s[22:23], vcc
	s_xor_b64 s[22:23], exec, s[22:23]
; %bb.954:
	v_bfe_u32 v7, v6, 21, 1
	s_mov_b32 s24, 0x80fffff
	v_add3_u32 v7, v6, v7, s24
	v_lshrrev_b32_e32 v7, 21, v7
; %bb.955:
	s_andn2_saveexec_b64 s[22:23], s[22:23]
; %bb.956:
	s_mov_b32 s24, 0x43000000
	v_add_f32_e64 v7, |v6|, s24
; %bb.957:
	s_or_b64 exec, exec, s[22:23]
                                        ; implicit-def: $vgpr8
.LBB38_958:
	s_andn2_saveexec_b64 s[20:21], s[20:21]
; %bb.959:
	s_mov_b32 s22, 0x7f800000
	v_mov_b32_e32 v7, 0x7c
	v_mov_b32_e32 v9, 0x7f
	v_cmp_lt_u32_e32 vcc, s22, v8
	s_nop 1
	v_cndmask_b32_e32 v7, v7, v9, vcc
; %bb.960:
	s_or_b64 exec, exec, s[20:21]
	v_lshrrev_b32_e32 v6, 24, v6
	s_movk_i32 s20, 0x80
	v_and_or_b32 v6, v6, s20, v7
	global_store_byte v[4:5], v6, off
.LBB38_961:
	s_mov_b64 s[20:21], 0
.LBB38_962:
	s_andn2_b64 vcc, exec, s[20:21]
	s_mov_b64 s[20:21], 0
	s_cbranch_vccnz .LBB38_970
; %bb.963:
	s_cmp_gt_i32 s27, 14
	s_mov_b64 s[22:23], -1
	s_cbranch_scc0 .LBB38_967
; %bb.964:
	s_cmp_eq_u32 s27, 15
	s_mov_b64 s[0:1], -1
	s_cbranch_scc0 .LBB38_966
; %bb.965:
	v_xor_b32_e32 v7, v2, v3
	v_ffbh_i32_e32 v6, v3
	v_ashrrev_i32_e32 v7, 31, v7
	v_add_u32_e32 v6, -1, v6
	v_add_u32_e32 v7, 32, v7
	v_min_u32_e32 v8, v6, v7
	v_lshlrev_b64 v[6:7], v8, v[2:3]
	v_min_u32_e32 v6, 1, v6
	v_or_b32_e32 v6, v7, v6
	v_cvt_f32_i32_e32 v6, v6
	v_sub_u32_e32 v7, 32, v8
	s_movk_i32 s0, 0x7fff
	v_ldexp_f32 v6, v6, v7
	v_bfe_u32 v7, v6, 16, 1
	v_add3_u32 v6, v6, v7, s0
	global_store_short_d16_hi v[4:5], v6, off
	s_mov_b64 s[0:1], 0
.LBB38_966:
	s_mov_b64 s[22:23], 0
.LBB38_967:
	s_and_b64 vcc, exec, s[22:23]
	s_cbranch_vccz .LBB38_970
; %bb.968:
	s_cmp_lg_u32 s27, 11
	s_cselect_b64 s[22:23], -1, 0
	s_andn2_b64 s[0:1], s[0:1], exec
	s_and_b64 s[22:23], s[22:23], exec
	s_mov_b64 s[20:21], -1
	s_or_b64 s[0:1], s[0:1], s[22:23]
	s_branch .LBB38_970
.LBB38_969:
	s_mov_b64 s[20:21], 0
.LBB38_970:
	s_andn2_b64 s[12:13], s[12:13], exec
	s_and_b64 s[0:1], s[0:1], exec
	s_and_b64 s[18:19], s[18:19], exec
	;; [unrolled: 1-line block ×3, first 2 shown]
	s_or_b64 s[12:13], s[12:13], s[0:1]
	s_or_b64 exec, exec, s[14:15]
	s_and_saveexec_b64 s[0:1], s[12:13]
	s_cbranch_execz .LBB38_899
.LBB38_971:
	s_or_b64 s[16:17], s[16:17], exec
	s_andn2_b64 s[20:21], s[20:21], exec
	s_trap 2
	s_or_b64 exec, exec, s[0:1]
	s_and_saveexec_b64 s[0:1], s[20:21]
	s_xor_b64 s[0:1], exec, s[0:1]
	s_cbranch_execnz .LBB38_900
.LBB38_972:
	s_or_b64 exec, exec, s[0:1]
	s_and_saveexec_b64 s[0:1], s[18:19]
	s_xor_b64 s[0:1], exec, s[0:1]
	s_cbranch_execz .LBB38_1010
.LBB38_973:
	s_sext_i32_i16 s14, s26
	s_cmp_lt_i32 s14, 5
	s_mov_b64 s[12:13], -1
	s_cbranch_scc1 .LBB38_994
; %bb.974:
	s_cmp_lt_i32 s14, 8
	s_cbranch_scc1 .LBB38_984
; %bb.975:
	s_cmp_lt_i32 s14, 9
	s_cbranch_scc1 .LBB38_981
; %bb.976:
	s_cmp_gt_i32 s14, 9
	s_cbranch_scc0 .LBB38_978
; %bb.977:
	s_waitcnt vmcnt(0)
	v_cvt_f64_i32_e32 v[0:1], v3
	v_ldexp_f64 v[0:1], v[0:1], 32
	v_cvt_f64_u32_e32 v[6:7], v2
	v_mov_b32_e32 v8, 0
	v_add_f64 v[6:7], v[0:1], v[6:7]
	v_mov_b32_e32 v9, v8
	s_mov_b64 s[12:13], 0
	global_store_dwordx4 v[4:5], v[6:9], off
.LBB38_978:
	s_andn2_b64 vcc, exec, s[12:13]
	s_cbranch_vccnz .LBB38_980
; %bb.979:
	s_waitcnt vmcnt(0)
	v_xor_b32_e32 v1, v2, v3
	v_ffbh_i32_e32 v0, v3
	v_ashrrev_i32_e32 v1, 31, v1
	v_add_u32_e32 v0, -1, v0
	v_add_u32_e32 v1, 32, v1
	v_min_u32_e32 v6, v0, v1
	v_lshlrev_b64 v[0:1], v6, v[2:3]
	v_min_u32_e32 v0, 1, v0
	v_or_b32_e32 v0, v1, v0
	v_cvt_f32_i32_e32 v0, v0
	v_sub_u32_e32 v1, 32, v6
	v_ldexp_f32 v0, v0, v1
	v_mov_b32_e32 v1, 0
	global_store_dwordx2 v[4:5], v[0:1], off
.LBB38_980:
	s_mov_b64 s[12:13], 0
.LBB38_981:
	s_andn2_b64 vcc, exec, s[12:13]
	s_cbranch_vccnz .LBB38_983
; %bb.982:
	s_waitcnt vmcnt(0)
	v_xor_b32_e32 v1, v2, v3
	v_ffbh_i32_e32 v0, v3
	v_ashrrev_i32_e32 v1, 31, v1
	v_add_u32_e32 v0, -1, v0
	v_add_u32_e32 v1, 32, v1
	v_min_u32_e32 v6, v0, v1
	v_lshlrev_b64 v[0:1], v6, v[2:3]
	v_min_u32_e32 v0, 1, v0
	v_or_b32_e32 v0, v1, v0
	v_cvt_f32_i32_e32 v0, v0
	v_sub_u32_e32 v1, 32, v6
	v_ldexp_f32 v0, v0, v1
	v_cvt_f16_f32_e32 v0, v0
	global_store_dword v[4:5], v0, off
.LBB38_983:
	s_mov_b64 s[12:13], 0
.LBB38_984:
	s_andn2_b64 vcc, exec, s[12:13]
	s_cbranch_vccnz .LBB38_993
; %bb.985:
	s_sext_i32_i16 s14, s26
	s_cmp_lt_i32 s14, 6
	s_mov_b64 s[12:13], -1
	s_cbranch_scc1 .LBB38_991
; %bb.986:
	s_cmp_gt_i32 s14, 6
	s_cbranch_scc0 .LBB38_988
; %bb.987:
	s_waitcnt vmcnt(0)
	v_cvt_f64_i32_e32 v[0:1], v3
	v_ldexp_f64 v[0:1], v[0:1], 32
	v_cvt_f64_u32_e32 v[6:7], v2
	v_add_f64 v[0:1], v[0:1], v[6:7]
	s_mov_b64 s[12:13], 0
	global_store_dwordx2 v[4:5], v[0:1], off
.LBB38_988:
	s_andn2_b64 vcc, exec, s[12:13]
	s_cbranch_vccnz .LBB38_990
; %bb.989:
	s_waitcnt vmcnt(0)
	v_xor_b32_e32 v1, v2, v3
	v_ffbh_i32_e32 v0, v3
	v_ashrrev_i32_e32 v1, 31, v1
	v_add_u32_e32 v0, -1, v0
	v_add_u32_e32 v1, 32, v1
	v_min_u32_e32 v6, v0, v1
	v_lshlrev_b64 v[0:1], v6, v[2:3]
	v_min_u32_e32 v0, 1, v0
	v_or_b32_e32 v0, v1, v0
	v_cvt_f32_i32_e32 v0, v0
	v_sub_u32_e32 v1, 32, v6
	v_ldexp_f32 v0, v0, v1
	global_store_dword v[4:5], v0, off
.LBB38_990:
	s_mov_b64 s[12:13], 0
.LBB38_991:
	s_andn2_b64 vcc, exec, s[12:13]
	s_cbranch_vccnz .LBB38_993
; %bb.992:
	s_waitcnt vmcnt(0)
	v_xor_b32_e32 v1, v2, v3
	v_ffbh_i32_e32 v0, v3
	v_ashrrev_i32_e32 v1, 31, v1
	v_add_u32_e32 v0, -1, v0
	v_add_u32_e32 v1, 32, v1
	v_min_u32_e32 v6, v0, v1
	v_lshlrev_b64 v[0:1], v6, v[2:3]
	v_min_u32_e32 v0, 1, v0
	v_or_b32_e32 v0, v1, v0
	v_cvt_f32_i32_e32 v0, v0
	v_sub_u32_e32 v1, 32, v6
	v_ldexp_f32 v0, v0, v1
	v_cvt_f16_f32_e32 v0, v0
	global_store_short v[4:5], v0, off
.LBB38_993:
	s_mov_b64 s[12:13], 0
.LBB38_994:
	s_andn2_b64 vcc, exec, s[12:13]
	s_cbranch_vccnz .LBB38_1010
; %bb.995:
	s_sext_i32_i16 s14, s26
	s_cmp_lt_i32 s14, 2
	s_mov_b64 s[12:13], -1
	s_cbranch_scc1 .LBB38_1005
; %bb.996:
	s_cmp_lt_i32 s14, 3
	s_cbranch_scc1 .LBB38_1002
; %bb.997:
	s_cmp_gt_i32 s14, 3
	s_cbranch_scc0 .LBB38_999
; %bb.998:
	s_mov_b64 s[12:13], 0
	global_store_dwordx2 v[4:5], v[2:3], off
.LBB38_999:
	s_andn2_b64 vcc, exec, s[12:13]
	s_cbranch_vccnz .LBB38_1001
; %bb.1000:
	global_store_dword v[4:5], v2, off
.LBB38_1001:
	s_mov_b64 s[12:13], 0
.LBB38_1002:
	s_andn2_b64 vcc, exec, s[12:13]
	s_cbranch_vccnz .LBB38_1004
; %bb.1003:
	global_store_short v[4:5], v2, off
.LBB38_1004:
	s_mov_b64 s[12:13], 0
.LBB38_1005:
	s_andn2_b64 vcc, exec, s[12:13]
	s_cbranch_vccnz .LBB38_1010
; %bb.1006:
	s_sext_i32_i16 s12, s26
	s_cmp_gt_i32 s12, 0
	s_mov_b64 s[12:13], -1
	s_cbranch_scc0 .LBB38_1008
; %bb.1007:
	s_mov_b64 s[12:13], 0
	global_store_byte v[4:5], v2, off
.LBB38_1008:
	s_andn2_b64 vcc, exec, s[12:13]
	s_cbranch_vccnz .LBB38_1010
; %bb.1009:
	global_store_byte v[4:5], v2, off
.LBB38_1010:
	s_or_b64 exec, exec, s[0:1]
	s_and_b64 s[12:13], s[16:17], exec
                                        ; implicit-def: $vgpr12
.LBB38_1011:
	s_or_saveexec_b64 s[2:3], s[2:3]
	s_mov_b64 s[0:1], 0
                                        ; implicit-def: $sgpr20
                                        ; implicit-def: $vgpr2_vgpr3
                                        ; implicit-def: $vgpr0_vgpr1
                                        ; implicit-def: $vgpr4_vgpr5
	s_xor_b64 exec, exec, s[2:3]
	s_cbranch_execz .LBB38_1396
; %bb.1012:
	v_mul_lo_u32 v2, s9, v12
	v_ashrrev_i32_e32 v3, 31, v2
	s_and_b32 s20, 0xffff, s42
	s_cmp_lt_i32 s20, 11
	v_lshl_add_u64 v[4:5], s[6:7], 0, v[2:3]
	s_cbranch_scc1 .LBB38_1019
; %bb.1013:
	s_cmp_gt_i32 s20, 25
	s_cbranch_scc0 .LBB38_1021
; %bb.1014:
	s_cmp_gt_i32 s20, 28
	s_cbranch_scc0 .LBB38_1022
	;; [unrolled: 3-line block ×4, first 2 shown]
; %bb.1017:
	s_cmp_eq_u32 s20, 46
	s_mov_b64 s[14:15], 0
	s_cbranch_scc0 .LBB38_1027
; %bb.1018:
	global_load_dword v0, v[4:5], off
	s_mov_b32 s0, 0x2f800000
	s_mov_b32 s1, 0xcf800000
	s_mov_b64 s[16:17], -1
	s_waitcnt vmcnt(0)
	v_lshlrev_b32_e32 v0, 16, v0
	v_trunc_f32_e32 v0, v0
	v_mul_f32_e64 v1, |v0|, s0
	v_floor_f32_e32 v1, v1
	v_fma_f32 v3, v1, s1, |v0|
	v_cvt_u32_f32_e32 v3, v3
	v_cvt_u32_f32_e32 v1, v1
	v_ashrrev_i32_e32 v6, 31, v0
	s_mov_b64 s[0:1], 0
	v_xor_b32_e32 v0, v3, v6
	v_xor_b32_e32 v1, v1, v6
	v_sub_co_u32_e32 v0, vcc, v0, v6
	s_nop 1
	v_subb_co_u32_e32 v1, vcc, v1, v6, vcc
	s_branch .LBB38_1028
.LBB38_1019:
	s_mov_b64 s[16:17], 0
                                        ; implicit-def: $vgpr0_vgpr1
	s_mov_b64 s[14:15], s[12:13]
	s_cbranch_execnz .LBB38_1086
.LBB38_1020:
	s_andn2_b64 vcc, exec, s[16:17]
	s_cbranch_vccz .LBB38_1131
	s_branch .LBB38_1393
.LBB38_1021:
	s_mov_b64 s[16:17], 0
                                        ; implicit-def: $vgpr0_vgpr1
	s_cbranch_execnz .LBB38_1053
	s_branch .LBB38_1082
.LBB38_1022:
	s_mov_b64 s[16:17], 0
                                        ; implicit-def: $vgpr0_vgpr1
	s_cbranch_execz .LBB38_1052
	s_branch .LBB38_1037
.LBB38_1023:
	s_mov_b64 s[16:17], 0
                                        ; implicit-def: $vgpr0_vgpr1
	s_cbranch_execnz .LBB38_1033
	s_branch .LBB38_1036
.LBB38_1024:
	s_mov_b64 s[14:15], -1
	s_mov_b64 s[16:17], 0
                                        ; implicit-def: $vgpr0_vgpr1
	s_branch .LBB38_1028
.LBB38_1025:
	s_andn2_saveexec_b64 s[22:23], s[22:23]
	s_cbranch_execz .LBB38_924
.LBB38_1026:
	s_mov_b32 s24, 0x46000000
	v_add_f32_e64 v7, |v6|, s24
	v_and_b32_e32 v7, 0xff, v7
	v_cmp_ne_u32_e32 vcc, 0, v7
	s_andn2_b64 s[20:21], s[20:21], exec
	s_and_b64 s[24:25], vcc, exec
	s_or_b64 s[20:21], s[20:21], s[24:25]
	s_or_b64 exec, exec, s[22:23]
	v_mov_b32_e32 v8, 0
	s_and_saveexec_b64 s[22:23], s[20:21]
	s_cbranch_execnz .LBB38_925
	s_branch .LBB38_926
.LBB38_1027:
	s_mov_b64 s[0:1], -1
                                        ; implicit-def: $vgpr0_vgpr1
	s_mov_b64 s[16:17], 0
.LBB38_1028:
	s_and_b64 vcc, exec, s[14:15]
	s_cbranch_vccz .LBB38_1031
; %bb.1029:
	s_cmp_eq_u32 s20, 44
	s_cbranch_scc0 .LBB38_1032
; %bb.1030:
	global_load_ubyte v0, v[4:5], off
	s_mov_b32 s0, 0x2f800000
	s_mov_b32 s1, 0xcf800000
	s_mov_b64 s[16:17], -1
	s_waitcnt vmcnt(0)
	v_lshlrev_b32_e32 v1, 23, v0
	v_trunc_f32_e32 v1, v1
	v_mul_f32_e64 v3, |v1|, s0
	v_floor_f32_e32 v3, v3
	v_fma_f32 v6, v3, s1, |v1|
	v_cvt_u32_f32_e32 v6, v6
	v_cvt_u32_f32_e32 v3, v3
	v_ashrrev_i32_e32 v1, 31, v1
	s_mov_b64 s[0:1], 0
	v_xor_b32_e32 v6, v6, v1
	v_xor_b32_e32 v3, v3, v1
	v_sub_co_u32_e32 v6, vcc, v6, v1
	s_nop 1
	v_subb_co_u32_e32 v1, vcc, v3, v1, vcc
	v_cmp_ne_u32_e32 vcc, 0, v0
	s_nop 1
	v_cndmask_b32_e32 v1, 0, v1, vcc
	v_cndmask_b32_e32 v0, 0, v6, vcc
.LBB38_1031:
	s_branch .LBB38_1036
.LBB38_1032:
	s_mov_b64 s[0:1], -1
                                        ; implicit-def: $vgpr0_vgpr1
	s_branch .LBB38_1036
.LBB38_1033:
	s_cmp_eq_u32 s20, 29
	s_cbranch_scc0 .LBB38_1035
; %bb.1034:
	global_load_dwordx2 v[0:1], v[4:5], off
	s_mov_b64 s[0:1], 0
	s_mov_b64 s[16:17], -1
	s_branch .LBB38_1036
.LBB38_1035:
	s_mov_b64 s[0:1], -1
                                        ; implicit-def: $vgpr0_vgpr1
.LBB38_1036:
	s_branch .LBB38_1052
.LBB38_1037:
	s_cmp_lt_i32 s20, 27
	s_cbranch_scc1 .LBB38_1040
; %bb.1038:
	s_cmp_gt_i32 s20, 27
	s_cbranch_scc0 .LBB38_1041
; %bb.1039:
	global_load_dword v0, v[4:5], off
	s_waitcnt vmcnt(1)
	v_mov_b32_e32 v1, 0
	s_mov_b64 s[14:15], 0
	s_branch .LBB38_1042
.LBB38_1040:
	s_mov_b64 s[14:15], -1
                                        ; implicit-def: $vgpr0_vgpr1
	s_branch .LBB38_1045
.LBB38_1041:
	s_mov_b64 s[14:15], -1
                                        ; implicit-def: $vgpr0_vgpr1
.LBB38_1042:
	s_andn2_b64 vcc, exec, s[14:15]
	s_cbranch_vccnz .LBB38_1044
; %bb.1043:
	global_load_ushort v0, v[4:5], off
	s_mov_b32 s14, 0
	s_waitcnt vmcnt(1)
	v_mov_b32_e32 v1, s14
	s_waitcnt vmcnt(0)
	v_and_b32_e32 v0, 0xffff, v0
.LBB38_1044:
	s_mov_b64 s[14:15], 0
.LBB38_1045:
	s_andn2_b64 vcc, exec, s[14:15]
	s_cbranch_vccnz .LBB38_1051
; %bb.1046:
	global_load_ubyte v3, v[4:5], off
	s_movk_i32 s14, 0x7f
	s_mov_b64 s[16:17], 0
	s_waitcnt vmcnt(0)
	v_cmp_lt_i16_e32 vcc, s14, v3
	s_and_saveexec_b64 s[14:15], vcc
	s_xor_b64 s[14:15], exec, s[14:15]
	s_cbranch_execz .LBB38_1062
; %bb.1047:
	s_movk_i32 s16, 0x80
	v_cmp_ne_u16_e32 vcc, s16, v3
	s_and_b64 s[16:17], vcc, exec
	s_andn2_saveexec_b64 s[14:15], s[14:15]
	s_cbranch_execnz .LBB38_1063
.LBB38_1048:
	s_or_b64 exec, exec, s[14:15]
	v_mov_b64_e32 v[0:1], 0
	s_and_saveexec_b64 s[14:15], s[16:17]
	s_cbranch_execz .LBB38_1050
.LBB38_1049:
	v_and_b32_e32 v1, 0xffff, v3
	v_lshlrev_b32_e32 v0, 24, v3
	v_and_b32_e32 v3, 7, v1
	v_ffbh_u32_e32 v7, v3
	v_min_u32_e32 v7, 32, v7
	v_subrev_u32_e32 v8, 28, v7
	v_bfe_u32 v6, v1, 3, 4
	v_lshlrev_b32_e32 v1, v8, v1
	v_sub_u32_e32 v7, 29, v7
	v_and_b32_e32 v1, 7, v1
	v_cmp_eq_u32_e32 vcc, 0, v6
	v_and_b32_e32 v0, 0x80000000, v0
	s_mov_b32 s16, 0x2f800000
	v_cndmask_b32_e32 v6, v6, v7, vcc
	v_cndmask_b32_e32 v1, v3, v1, vcc
	v_mov_b32_e32 v3, 0x3b800000
	v_lshlrev_b32_e32 v1, 20, v1
	v_lshl_add_u32 v3, v6, 23, v3
	v_or3_b32 v0, v0, v3, v1
	v_trunc_f32_e32 v0, v0
	v_mul_f32_e64 v1, |v0|, s16
	v_floor_f32_e32 v1, v1
	s_mov_b32 s16, 0xcf800000
	v_fma_f32 v3, v1, s16, |v0|
	v_cvt_u32_f32_e32 v3, v3
	v_cvt_u32_f32_e32 v1, v1
	v_ashrrev_i32_e32 v6, 31, v0
	v_xor_b32_e32 v0, v3, v6
	v_xor_b32_e32 v1, v1, v6
	v_sub_co_u32_e32 v0, vcc, v0, v6
	s_nop 1
	v_subb_co_u32_e32 v1, vcc, v1, v6, vcc
.LBB38_1050:
	s_or_b64 exec, exec, s[14:15]
.LBB38_1051:
	s_mov_b64 s[16:17], -1
.LBB38_1052:
	s_branch .LBB38_1082
.LBB38_1053:
	s_cmp_gt_i32 s20, 22
	s_cbranch_scc0 .LBB38_1061
; %bb.1054:
	s_cmp_lt_i32 s20, 24
	s_cbranch_scc1 .LBB38_1064
; %bb.1055:
	s_cmp_gt_i32 s20, 24
	s_cbranch_scc0 .LBB38_1065
; %bb.1056:
	global_load_ubyte v3, v[4:5], off
	s_movk_i32 s10, 0x7f
	s_mov_b64 s[14:15], 0
	s_waitcnt vmcnt(0)
	v_cmp_lt_i16_e32 vcc, s10, v3
	s_and_saveexec_b64 s[10:11], vcc
	s_xor_b64 s[10:11], exec, s[10:11]
	s_cbranch_execz .LBB38_1076
; %bb.1057:
	s_movk_i32 s14, 0x80
	v_cmp_ne_u16_e32 vcc, s14, v3
	s_and_b64 s[14:15], vcc, exec
	s_andn2_saveexec_b64 s[10:11], s[10:11]
	s_cbranch_execnz .LBB38_1077
.LBB38_1058:
	s_or_b64 exec, exec, s[10:11]
	v_mov_b64_e32 v[0:1], 0
	s_and_saveexec_b64 s[10:11], s[14:15]
	s_cbranch_execz .LBB38_1060
.LBB38_1059:
	v_and_b32_e32 v1, 0xffff, v3
	v_lshlrev_b32_e32 v0, 24, v3
	v_and_b32_e32 v3, 3, v1
	v_ffbh_u32_e32 v7, v3
	v_min_u32_e32 v7, 32, v7
	v_subrev_u32_e32 v8, 29, v7
	v_bfe_u32 v6, v1, 2, 5
	v_lshlrev_b32_e32 v1, v8, v1
	v_sub_u32_e32 v7, 30, v7
	v_and_b32_e32 v1, 3, v1
	v_cmp_eq_u32_e32 vcc, 0, v6
	v_and_b32_e32 v0, 0x80000000, v0
	s_mov_b32 s14, 0x2f800000
	v_cndmask_b32_e32 v6, v6, v7, vcc
	v_cndmask_b32_e32 v1, v3, v1, vcc
	v_mov_b32_e32 v3, 0x37800000
	v_lshlrev_b32_e32 v1, 21, v1
	v_lshl_add_u32 v3, v6, 23, v3
	v_or3_b32 v0, v0, v3, v1
	v_trunc_f32_e32 v0, v0
	v_mul_f32_e64 v1, |v0|, s14
	v_floor_f32_e32 v1, v1
	s_mov_b32 s14, 0xcf800000
	v_fma_f32 v3, v1, s14, |v0|
	v_cvt_u32_f32_e32 v3, v3
	v_cvt_u32_f32_e32 v1, v1
	v_ashrrev_i32_e32 v6, 31, v0
	v_xor_b32_e32 v0, v3, v6
	v_xor_b32_e32 v1, v1, v6
	v_sub_co_u32_e32 v0, vcc, v0, v6
	s_nop 1
	v_subb_co_u32_e32 v1, vcc, v1, v6, vcc
.LBB38_1060:
	s_or_b64 exec, exec, s[10:11]
	s_mov_b64 s[10:11], 0
	s_branch .LBB38_1066
.LBB38_1061:
                                        ; implicit-def: $vgpr0_vgpr1
	s_mov_b64 s[10:11], 0
	s_branch .LBB38_1072
.LBB38_1062:
	s_andn2_saveexec_b64 s[14:15], s[14:15]
	s_cbranch_execz .LBB38_1048
.LBB38_1063:
	v_cmp_ne_u16_e32 vcc, 0, v3
	s_andn2_b64 s[16:17], s[16:17], exec
	s_and_b64 s[18:19], vcc, exec
	s_or_b64 s[16:17], s[16:17], s[18:19]
	s_or_b64 exec, exec, s[14:15]
	v_mov_b64_e32 v[0:1], 0
	s_and_saveexec_b64 s[14:15], s[16:17]
	s_cbranch_execnz .LBB38_1049
	s_branch .LBB38_1050
.LBB38_1064:
	s_mov_b64 s[10:11], -1
                                        ; implicit-def: $vgpr0_vgpr1
	s_branch .LBB38_1069
.LBB38_1065:
	s_mov_b64 s[10:11], -1
                                        ; implicit-def: $vgpr0_vgpr1
.LBB38_1066:
	s_and_b64 vcc, exec, s[10:11]
	s_cbranch_vccz .LBB38_1068
; %bb.1067:
	global_load_ubyte v0, v[4:5], off
	s_mov_b32 s10, 0x7f800000
	s_brev_b32 s11, 1
	s_mov_b32 s14, 0x2f800000
	s_mov_b32 s15, 0xcf800000
	s_waitcnt vmcnt(0)
	v_lshlrev_b32_e32 v0, 24, v0
	v_and_b32_e32 v1, 0x7f000000, v0
	v_ffbh_u32_e32 v3, v1
	v_min_u32_e32 v3, 32, v3
	v_sub_u32_e64 v3, v3, 4 clamp
	v_lshlrev_b32_e32 v7, v3, v1
	v_lshlrev_b32_e32 v3, 23, v3
	v_lshrrev_b32_e32 v7, 4, v7
	v_add_u32_e32 v6, 0x1000000, v1
	v_sub_u32_e32 v3, v7, v3
	v_ashrrev_i32_e32 v6, 8, v6
	v_add_u32_e32 v3, 0x3c000000, v3
	v_and_or_b32 v3, v6, s10, v3
	v_cmp_ne_u32_e32 vcc, 0, v1
	s_nop 1
	v_cndmask_b32_e32 v1, 0, v3, vcc
	v_and_or_b32 v0, v0, s11, v1
	v_trunc_f32_e32 v0, v0
	v_mul_f32_e64 v1, |v0|, s14
	v_floor_f32_e32 v1, v1
	v_fma_f32 v3, v1, s15, |v0|
	v_cvt_u32_f32_e32 v3, v3
	v_cvt_u32_f32_e32 v1, v1
	v_ashrrev_i32_e32 v6, 31, v0
	v_xor_b32_e32 v0, v3, v6
	v_xor_b32_e32 v1, v1, v6
	v_sub_co_u32_e32 v0, vcc, v0, v6
	s_nop 1
	v_subb_co_u32_e32 v1, vcc, v1, v6, vcc
.LBB38_1068:
	s_mov_b64 s[10:11], 0
.LBB38_1069:
	s_andn2_b64 vcc, exec, s[10:11]
	s_cbranch_vccnz .LBB38_1071
; %bb.1070:
	global_load_ubyte v0, v[4:5], off
	s_movk_i32 s10, 0x7f00
	s_brev_b32 s11, 16
	s_brev_b32 s14, 1
	s_mov_b32 s15, 0x2f800000
	s_mov_b32 s16, 0xcf800000
	s_waitcnt vmcnt(0)
	v_lshlrev_b16_e32 v1, 8, v0
	v_lshlrev_b32_e32 v0, 25, v0
	v_lshrrev_b32_e32 v3, 4, v0
	v_and_or_b32 v6, v1, s10, 0.5
	v_or_b32_e32 v3, 0x70000000, v3
	v_add_f32_e32 v6, -0.5, v6
	v_mul_f32_e32 v3, 0x7800000, v3
	v_cmp_gt_u32_e32 vcc, s11, v0
	v_bfe_i32 v1, v1, 0, 16
	s_nop 0
	v_cndmask_b32_e32 v0, v3, v6, vcc
	v_and_or_b32 v0, v1, s14, v0
	v_trunc_f32_e32 v0, v0
	v_mul_f32_e64 v1, |v0|, s15
	v_floor_f32_e32 v1, v1
	v_fma_f32 v3, v1, s16, |v0|
	v_cvt_u32_f32_e32 v3, v3
	v_cvt_u32_f32_e32 v1, v1
	v_ashrrev_i32_e32 v6, 31, v0
	v_xor_b32_e32 v0, v3, v6
	v_xor_b32_e32 v1, v1, v6
	v_sub_co_u32_e32 v0, vcc, v0, v6
	s_nop 1
	v_subb_co_u32_e32 v1, vcc, v1, v6, vcc
.LBB38_1071:
	s_mov_b64 s[16:17], -1
	s_mov_b64 s[10:11], 0
	s_cbranch_execnz .LBB38_1082
.LBB38_1072:
	s_cmp_gt_i32 s20, 14
	s_cbranch_scc0 .LBB38_1075
; %bb.1073:
	s_cmp_eq_u32 s20, 15
	s_cbranch_scc0 .LBB38_1078
; %bb.1074:
	global_load_ushort v0, v[4:5], off
	s_mov_b32 s0, 0x2f800000
	s_mov_b32 s1, 0xcf800000
	s_mov_b64 s[16:17], -1
	s_waitcnt vmcnt(0)
	v_lshlrev_b32_e32 v0, 16, v0
	v_trunc_f32_e32 v0, v0
	v_mul_f32_e64 v1, |v0|, s0
	v_floor_f32_e32 v1, v1
	v_fma_f32 v3, v1, s1, |v0|
	v_cvt_u32_f32_e32 v3, v3
	v_cvt_u32_f32_e32 v1, v1
	v_ashrrev_i32_e32 v6, 31, v0
	s_mov_b64 s[0:1], 0
	v_xor_b32_e32 v0, v3, v6
	v_xor_b32_e32 v1, v1, v6
	v_sub_co_u32_e32 v0, vcc, v0, v6
	s_nop 1
	v_subb_co_u32_e32 v1, vcc, v1, v6, vcc
	s_branch .LBB38_1079
.LBB38_1075:
	s_mov_b64 s[14:15], -1
                                        ; implicit-def: $vgpr0_vgpr1
	s_branch .LBB38_1080
.LBB38_1076:
	s_andn2_saveexec_b64 s[10:11], s[10:11]
	s_cbranch_execz .LBB38_1058
.LBB38_1077:
	v_cmp_ne_u16_e32 vcc, 0, v3
	s_andn2_b64 s[14:15], s[14:15], exec
	s_and_b64 s[16:17], vcc, exec
	s_or_b64 s[14:15], s[14:15], s[16:17]
	s_or_b64 exec, exec, s[10:11]
	v_mov_b64_e32 v[0:1], 0
	s_and_saveexec_b64 s[10:11], s[14:15]
	s_cbranch_execnz .LBB38_1059
	s_branch .LBB38_1060
.LBB38_1078:
	s_mov_b64 s[0:1], -1
                                        ; implicit-def: $vgpr0_vgpr1
.LBB38_1079:
	s_mov_b64 s[14:15], 0
.LBB38_1080:
	s_and_b64 vcc, exec, s[14:15]
	s_cbranch_vccz .LBB38_1082
; %bb.1081:
	s_cmp_lg_u32 s20, 11
	s_mov_b64 s[10:11], -1
	s_cselect_b64 s[0:1], -1, 0
.LBB38_1082:
	s_and_b64 vcc, exec, s[0:1]
	s_mov_b64 s[14:15], s[12:13]
	s_cbranch_vccnz .LBB38_1143
; %bb.1083:
	s_andn2_b64 vcc, exec, s[10:11]
	s_cbranch_vccnz .LBB38_1085
.LBB38_1084:
	global_load_ubyte v0, v[4:5], off
	s_mov_b32 s0, 0
	s_waitcnt vmcnt(1)
	v_mov_b32_e32 v1, s0
	s_mov_b64 s[16:17], -1
	s_waitcnt vmcnt(0)
	v_cmp_ne_u16_e32 vcc, 0, v0
	s_nop 1
	v_cndmask_b32_e64 v0, 0, 1, vcc
.LBB38_1085:
	s_branch .LBB38_1020
.LBB38_1086:
	s_cmp_lt_i32 s20, 5
	s_cbranch_scc1 .LBB38_1091
; %bb.1087:
	s_cmp_lt_i32 s20, 8
	s_cbranch_scc1 .LBB38_1092
; %bb.1088:
	s_cmp_lt_i32 s20, 9
	s_cbranch_scc1 .LBB38_1093
; %bb.1089:
	s_cmp_gt_i32 s20, 9
	s_cbranch_scc0 .LBB38_1094
; %bb.1090:
	global_load_dwordx2 v[0:1], v[4:5], off
	s_movk_i32 s0, 0xffe0
	s_waitcnt vmcnt(0)
	v_trunc_f64_e32 v[6:7], v[0:1]
	v_ldexp_f64 v[0:1], v[6:7], s0
	v_floor_f64_e32 v[8:9], v[0:1]
	v_fmac_f64_e32 v[6:7], 0xc1f00000, v[8:9]
	v_cvt_i32_f64_e32 v1, v[8:9]
	v_cvt_u32_f64_e32 v0, v[6:7]
	s_mov_b64 s[0:1], 0
	s_branch .LBB38_1095
.LBB38_1091:
                                        ; implicit-def: $vgpr0_vgpr1
	s_branch .LBB38_1112
.LBB38_1092:
                                        ; implicit-def: $vgpr0_vgpr1
	s_branch .LBB38_1101
.LBB38_1093:
	s_mov_b64 s[0:1], -1
                                        ; implicit-def: $vgpr0_vgpr1
	s_branch .LBB38_1098
.LBB38_1094:
	s_mov_b64 s[0:1], -1
                                        ; implicit-def: $vgpr0_vgpr1
.LBB38_1095:
	s_andn2_b64 vcc, exec, s[0:1]
	s_cbranch_vccnz .LBB38_1097
; %bb.1096:
	global_load_dword v0, v[4:5], off
	s_mov_b32 s0, 0x2f800000
	s_mov_b32 s1, 0xcf800000
	s_waitcnt vmcnt(0)
	v_trunc_f32_e32 v0, v0
	v_mul_f32_e64 v1, |v0|, s0
	v_floor_f32_e32 v1, v1
	v_cvt_u32_f32_e32 v3, v1
	v_fma_f32 v1, v1, s1, |v0|
	v_cvt_u32_f32_e32 v1, v1
	v_ashrrev_i32_e32 v6, 31, v0
	v_xor_b32_e32 v3, v3, v6
	v_xor_b32_e32 v0, v1, v6
	v_sub_co_u32_e32 v0, vcc, v0, v6
	s_nop 1
	v_subb_co_u32_e32 v1, vcc, v3, v6, vcc
.LBB38_1097:
	s_mov_b64 s[0:1], 0
.LBB38_1098:
	s_andn2_b64 vcc, exec, s[0:1]
	s_cbranch_vccnz .LBB38_1100
; %bb.1099:
	global_load_dword v0, v[4:5], off
	s_waitcnt vmcnt(0)
	v_cvt_f32_f16_e32 v0, v0
	v_cvt_i32_f32_e32 v0, v0
	v_ashrrev_i32_e32 v1, 31, v0
.LBB38_1100:
	s_cbranch_execnz .LBB38_1111
.LBB38_1101:
	s_cmp_lt_i32 s20, 6
	s_cbranch_scc1 .LBB38_1104
; %bb.1102:
	s_cmp_gt_i32 s20, 6
	s_cbranch_scc0 .LBB38_1105
; %bb.1103:
	global_load_dwordx2 v[0:1], v[4:5], off
	s_movk_i32 s0, 0xffe0
	s_waitcnt vmcnt(0)
	v_trunc_f64_e32 v[6:7], v[0:1]
	v_ldexp_f64 v[0:1], v[6:7], s0
	v_floor_f64_e32 v[8:9], v[0:1]
	v_fmac_f64_e32 v[6:7], 0xc1f00000, v[8:9]
	v_cvt_i32_f64_e32 v1, v[8:9]
	v_cvt_u32_f64_e32 v0, v[6:7]
	s_mov_b64 s[0:1], 0
	s_branch .LBB38_1106
.LBB38_1104:
	s_mov_b64 s[0:1], -1
                                        ; implicit-def: $vgpr0_vgpr1
	s_branch .LBB38_1109
.LBB38_1105:
	s_mov_b64 s[0:1], -1
                                        ; implicit-def: $vgpr0_vgpr1
.LBB38_1106:
	s_andn2_b64 vcc, exec, s[0:1]
	s_cbranch_vccnz .LBB38_1108
; %bb.1107:
	global_load_dword v0, v[4:5], off
	s_mov_b32 s0, 0x2f800000
	s_mov_b32 s1, 0xcf800000
	s_waitcnt vmcnt(0)
	v_trunc_f32_e32 v0, v0
	v_mul_f32_e64 v1, |v0|, s0
	v_floor_f32_e32 v1, v1
	v_cvt_u32_f32_e32 v3, v1
	v_fma_f32 v1, v1, s1, |v0|
	v_cvt_u32_f32_e32 v1, v1
	v_ashrrev_i32_e32 v6, 31, v0
	v_xor_b32_e32 v3, v3, v6
	v_xor_b32_e32 v0, v1, v6
	v_sub_co_u32_e32 v0, vcc, v0, v6
	s_nop 1
	v_subb_co_u32_e32 v1, vcc, v3, v6, vcc
.LBB38_1108:
	s_mov_b64 s[0:1], 0
.LBB38_1109:
	s_andn2_b64 vcc, exec, s[0:1]
	s_cbranch_vccnz .LBB38_1111
; %bb.1110:
	global_load_ushort v0, v[4:5], off
	s_waitcnt vmcnt(0)
	v_cvt_f32_f16_e32 v0, v0
	v_cvt_i32_f32_e32 v0, v0
	v_ashrrev_i32_e32 v1, 31, v0
.LBB38_1111:
	s_cbranch_execnz .LBB38_1130
.LBB38_1112:
	s_cmp_lt_i32 s20, 2
	s_cbranch_scc1 .LBB38_1116
; %bb.1113:
	s_cmp_lt_i32 s20, 3
	s_cbranch_scc1 .LBB38_1117
; %bb.1114:
	s_cmp_gt_i32 s20, 3
	s_cbranch_scc0 .LBB38_1118
; %bb.1115:
	global_load_dwordx2 v[0:1], v[4:5], off
	s_mov_b64 s[0:1], 0
	s_branch .LBB38_1119
.LBB38_1116:
                                        ; implicit-def: $vgpr0_vgpr1
	s_branch .LBB38_1125
.LBB38_1117:
	s_mov_b64 s[0:1], -1
                                        ; implicit-def: $vgpr0_vgpr1
	s_branch .LBB38_1122
.LBB38_1118:
	s_mov_b64 s[0:1], -1
                                        ; implicit-def: $vgpr0_vgpr1
.LBB38_1119:
	s_andn2_b64 vcc, exec, s[0:1]
	s_cbranch_vccnz .LBB38_1121
; %bb.1120:
	global_load_dword v0, v[4:5], off
	s_waitcnt vmcnt(0)
	v_ashrrev_i32_e32 v1, 31, v0
.LBB38_1121:
	s_mov_b64 s[0:1], 0
.LBB38_1122:
	s_andn2_b64 vcc, exec, s[0:1]
	s_cbranch_vccnz .LBB38_1124
; %bb.1123:
	global_load_ushort v0, v[4:5], off
	s_waitcnt vmcnt(0)
	v_bfe_i32 v0, v0, 0, 16
	v_ashrrev_i32_e32 v1, 31, v0
.LBB38_1124:
	s_cbranch_execnz .LBB38_1130
.LBB38_1125:
	s_cmp_gt_i32 s20, 0
	s_cbranch_scc0 .LBB38_1127
; %bb.1126:
	global_load_sbyte v0, v[4:5], off
	s_mov_b64 s[0:1], 0
	s_waitcnt vmcnt(0)
	v_bfe_i32 v0, v0, 0, 16
	v_ashrrev_i32_e32 v1, 31, v0
	s_branch .LBB38_1128
.LBB38_1127:
	s_mov_b64 s[0:1], -1
                                        ; implicit-def: $vgpr0_vgpr1
.LBB38_1128:
	s_andn2_b64 vcc, exec, s[0:1]
	s_cbranch_vccnz .LBB38_1130
; %bb.1129:
	global_load_ubyte v0, v[4:5], off
	s_mov_b32 s0, 0
	s_waitcnt vmcnt(1)
	v_mov_b32_e32 v1, s0
	s_waitcnt vmcnt(0)
	v_and_b32_e32 v0, 0xffff, v0
.LBB38_1130:
.LBB38_1131:
	s_lshl_b32 s9, s9, 7
	v_add_u32_e32 v4, s9, v2
	v_ashrrev_i32_e32 v5, 31, v4
	s_cmp_lt_i32 s20, 11
	v_lshl_add_u64 v[6:7], s[6:7], 0, v[4:5]
	s_cbranch_scc1 .LBB38_1138
; %bb.1132:
	s_cmp_gt_i32 s20, 25
	s_mov_b64 s[10:11], 0
	s_cbranch_scc0 .LBB38_1140
; %bb.1133:
	s_cmp_gt_i32 s20, 28
	s_cbranch_scc0 .LBB38_1141
; %bb.1134:
	s_cmp_gt_i32 s20, 43
	;; [unrolled: 3-line block ×3, first 2 shown]
	s_cbranch_scc0 .LBB38_1144
; %bb.1136:
	s_cmp_eq_u32 s20, 46
	s_mov_b64 s[18:19], 0
	s_cbranch_scc0 .LBB38_1147
; %bb.1137:
	global_load_dword v2, v[6:7], off
	s_mov_b32 s0, 0x2f800000
	s_mov_b32 s1, 0xcf800000
	s_mov_b64 s[16:17], -1
	s_waitcnt vmcnt(0)
	v_lshlrev_b32_e32 v2, 16, v2
	v_trunc_f32_e32 v2, v2
	v_mul_f32_e64 v3, |v2|, s0
	v_floor_f32_e32 v3, v3
	v_fma_f32 v5, v3, s1, |v2|
	v_cvt_u32_f32_e32 v5, v5
	v_cvt_u32_f32_e32 v3, v3
	v_ashrrev_i32_e32 v8, 31, v2
	s_mov_b64 s[0:1], 0
	v_xor_b32_e32 v2, v5, v8
	v_xor_b32_e32 v3, v3, v8
	v_sub_co_u32_e32 v2, vcc, v2, v8
	s_nop 1
	v_subb_co_u32_e32 v3, vcc, v3, v8, vcc
	s_branch .LBB38_1148
.LBB38_1138:
	s_mov_b64 s[16:17], 0
                                        ; implicit-def: $vgpr2_vgpr3
	s_cbranch_execnz .LBB38_1209
.LBB38_1139:
	s_andn2_b64 vcc, exec, s[16:17]
	s_cbranch_vccz .LBB38_1256
	s_branch .LBB38_1393
.LBB38_1140:
	s_mov_b64 s[16:17], 0
	s_mov_b64 s[0:1], 0
                                        ; implicit-def: $vgpr2_vgpr3
	s_cbranch_execnz .LBB38_1175
	s_branch .LBB38_1205
.LBB38_1141:
	s_mov_b64 s[18:19], -1
	s_mov_b64 s[16:17], 0
	s_mov_b64 s[0:1], 0
                                        ; implicit-def: $vgpr2_vgpr3
	s_branch .LBB38_1158
.LBB38_1142:
	s_mov_b64 s[18:19], -1
	s_mov_b64 s[16:17], 0
	s_mov_b64 s[0:1], 0
                                        ; implicit-def: $vgpr2_vgpr3
	s_branch .LBB38_1153
.LBB38_1143:
	s_or_b64 s[14:15], s[12:13], exec
	s_trap 2
	s_cbranch_execz .LBB38_1084
	s_branch .LBB38_1085
.LBB38_1144:
	s_mov_b64 s[18:19], -1
	s_mov_b64 s[16:17], 0
	s_mov_b64 s[0:1], 0
                                        ; implicit-def: $vgpr2_vgpr3
	s_branch .LBB38_1148
.LBB38_1145:
	s_andn2_saveexec_b64 s[24:25], s[24:25]
	s_cbranch_execz .LBB38_936
.LBB38_1146:
	s_mov_b32 s28, 0x42800000
	v_add_f32_e64 v7, |v6|, s28
	v_and_b32_e32 v7, 0xff, v7
	v_cmp_ne_u32_e32 vcc, 0, v7
	s_andn2_b64 s[22:23], s[22:23], exec
	s_and_b64 s[28:29], vcc, exec
	s_or_b64 s[22:23], s[22:23], s[28:29]
	s_or_b64 exec, exec, s[24:25]
	v_mov_b32_e32 v8, 0
	s_and_saveexec_b64 s[24:25], s[22:23]
	s_cbranch_execnz .LBB38_937
	s_branch .LBB38_938
.LBB38_1147:
	s_mov_b64 s[0:1], -1
                                        ; implicit-def: $vgpr2_vgpr3
	s_mov_b64 s[16:17], 0
.LBB38_1148:
	s_and_b64 vcc, exec, s[18:19]
	s_cbranch_vccz .LBB38_1152
; %bb.1149:
	s_cmp_eq_u32 s20, 44
	s_cbranch_scc0 .LBB38_1151
; %bb.1150:
	global_load_ubyte v2, v[6:7], off
	s_mov_b32 s0, 0x2f800000
	s_mov_b32 s1, 0xcf800000
	s_mov_b64 s[16:17], -1
	s_waitcnt vmcnt(0)
	v_lshlrev_b32_e32 v3, 23, v2
	v_trunc_f32_e32 v3, v3
	v_mul_f32_e64 v5, |v3|, s0
	v_floor_f32_e32 v5, v5
	v_fma_f32 v8, v5, s1, |v3|
	v_cvt_u32_f32_e32 v8, v8
	v_cvt_u32_f32_e32 v5, v5
	v_ashrrev_i32_e32 v3, 31, v3
	s_mov_b64 s[0:1], 0
	v_xor_b32_e32 v8, v8, v3
	v_xor_b32_e32 v5, v5, v3
	v_sub_co_u32_e32 v8, vcc, v8, v3
	s_nop 1
	v_subb_co_u32_e32 v3, vcc, v5, v3, vcc
	v_cmp_ne_u32_e32 vcc, 0, v2
	s_nop 1
	v_cndmask_b32_e32 v3, 0, v3, vcc
	v_cndmask_b32_e32 v2, 0, v8, vcc
	s_branch .LBB38_1152
.LBB38_1151:
	s_mov_b64 s[0:1], -1
                                        ; implicit-def: $vgpr2_vgpr3
.LBB38_1152:
	s_mov_b64 s[18:19], 0
.LBB38_1153:
	s_and_b64 vcc, exec, s[18:19]
	s_cbranch_vccz .LBB38_1157
; %bb.1154:
	s_cmp_eq_u32 s20, 29
	s_cbranch_scc0 .LBB38_1156
; %bb.1155:
	global_load_dwordx2 v[2:3], v[6:7], off
	s_mov_b64 s[0:1], 0
	s_mov_b64 s[16:17], -1
	s_branch .LBB38_1157
.LBB38_1156:
	s_mov_b64 s[0:1], -1
                                        ; implicit-def: $vgpr2_vgpr3
.LBB38_1157:
	s_mov_b64 s[18:19], 0
.LBB38_1158:
	s_and_b64 vcc, exec, s[18:19]
	s_cbranch_vccz .LBB38_1174
; %bb.1159:
	s_cmp_lt_i32 s20, 27
	s_cbranch_scc1 .LBB38_1162
; %bb.1160:
	s_cmp_gt_i32 s20, 27
	s_cbranch_scc0 .LBB38_1163
; %bb.1161:
	global_load_dword v2, v[6:7], off
	s_waitcnt vmcnt(1)
	v_mov_b32_e32 v3, 0
	s_mov_b64 s[16:17], 0
	s_branch .LBB38_1164
.LBB38_1162:
	s_mov_b64 s[16:17], -1
                                        ; implicit-def: $vgpr2_vgpr3
	s_branch .LBB38_1167
.LBB38_1163:
	s_mov_b64 s[16:17], -1
                                        ; implicit-def: $vgpr2_vgpr3
.LBB38_1164:
	s_andn2_b64 vcc, exec, s[16:17]
	s_cbranch_vccnz .LBB38_1166
; %bb.1165:
	global_load_ushort v2, v[6:7], off
	s_mov_b32 s16, 0
	s_waitcnt vmcnt(1)
	v_mov_b32_e32 v3, s16
	s_waitcnt vmcnt(0)
	v_and_b32_e32 v2, 0xffff, v2
.LBB38_1166:
	s_mov_b64 s[16:17], 0
.LBB38_1167:
	s_andn2_b64 vcc, exec, s[16:17]
	s_cbranch_vccnz .LBB38_1173
; %bb.1168:
	global_load_ubyte v5, v[6:7], off
	s_movk_i32 s16, 0x7f
	s_mov_b64 s[18:19], 0
	s_waitcnt vmcnt(0)
	v_cmp_lt_i16_e32 vcc, s16, v5
	s_and_saveexec_b64 s[16:17], vcc
	s_xor_b64 s[16:17], exec, s[16:17]
	s_cbranch_execz .LBB38_1184
; %bb.1169:
	s_movk_i32 s18, 0x80
	v_cmp_ne_u16_e32 vcc, s18, v5
	s_and_b64 s[18:19], vcc, exec
	s_andn2_saveexec_b64 s[16:17], s[16:17]
	s_cbranch_execnz .LBB38_1185
.LBB38_1170:
	s_or_b64 exec, exec, s[16:17]
	v_mov_b64_e32 v[2:3], 0
	s_and_saveexec_b64 s[16:17], s[18:19]
	s_cbranch_execz .LBB38_1172
.LBB38_1171:
	v_and_b32_e32 v3, 0xffff, v5
	v_lshlrev_b32_e32 v2, 24, v5
	v_and_b32_e32 v5, 7, v3
	v_ffbh_u32_e32 v9, v5
	v_min_u32_e32 v9, 32, v9
	v_subrev_u32_e32 v10, 28, v9
	v_bfe_u32 v8, v3, 3, 4
	v_lshlrev_b32_e32 v3, v10, v3
	v_sub_u32_e32 v9, 29, v9
	v_and_b32_e32 v3, 7, v3
	v_cmp_eq_u32_e32 vcc, 0, v8
	v_and_b32_e32 v2, 0x80000000, v2
	s_mov_b32 s18, 0x2f800000
	v_cndmask_b32_e32 v8, v8, v9, vcc
	v_cndmask_b32_e32 v3, v5, v3, vcc
	v_mov_b32_e32 v5, 0x3b800000
	v_lshlrev_b32_e32 v3, 20, v3
	v_lshl_add_u32 v5, v8, 23, v5
	v_or3_b32 v2, v2, v5, v3
	v_trunc_f32_e32 v2, v2
	v_mul_f32_e64 v3, |v2|, s18
	v_floor_f32_e32 v3, v3
	s_mov_b32 s18, 0xcf800000
	v_fma_f32 v5, v3, s18, |v2|
	v_cvt_u32_f32_e32 v5, v5
	v_cvt_u32_f32_e32 v3, v3
	v_ashrrev_i32_e32 v8, 31, v2
	v_xor_b32_e32 v2, v5, v8
	v_xor_b32_e32 v3, v3, v8
	v_sub_co_u32_e32 v2, vcc, v2, v8
	s_nop 1
	v_subb_co_u32_e32 v3, vcc, v3, v8, vcc
.LBB38_1172:
	s_or_b64 exec, exec, s[16:17]
.LBB38_1173:
	s_mov_b64 s[16:17], -1
.LBB38_1174:
	s_branch .LBB38_1205
.LBB38_1175:
	s_cmp_gt_i32 s20, 22
	s_cbranch_scc0 .LBB38_1183
; %bb.1176:
	s_cmp_lt_i32 s20, 24
	s_cbranch_scc1 .LBB38_1186
; %bb.1177:
	s_cmp_gt_i32 s20, 24
	s_cbranch_scc0 .LBB38_1187
; %bb.1178:
	global_load_ubyte v5, v[6:7], off
	s_movk_i32 s10, 0x7f
	s_mov_b64 s[16:17], 0
	s_waitcnt vmcnt(0)
	v_cmp_lt_i16_e32 vcc, s10, v5
	s_and_saveexec_b64 s[10:11], vcc
	s_xor_b64 s[10:11], exec, s[10:11]
	s_cbranch_execz .LBB38_1199
; %bb.1179:
	s_movk_i32 s16, 0x80
	v_cmp_ne_u16_e32 vcc, s16, v5
	s_and_b64 s[16:17], vcc, exec
	s_andn2_saveexec_b64 s[10:11], s[10:11]
	s_cbranch_execnz .LBB38_1200
.LBB38_1180:
	s_or_b64 exec, exec, s[10:11]
	v_mov_b64_e32 v[2:3], 0
	s_and_saveexec_b64 s[10:11], s[16:17]
	s_cbranch_execz .LBB38_1182
.LBB38_1181:
	v_and_b32_e32 v3, 0xffff, v5
	v_lshlrev_b32_e32 v2, 24, v5
	v_and_b32_e32 v5, 3, v3
	v_ffbh_u32_e32 v9, v5
	v_min_u32_e32 v9, 32, v9
	v_subrev_u32_e32 v10, 29, v9
	v_bfe_u32 v8, v3, 2, 5
	v_lshlrev_b32_e32 v3, v10, v3
	v_sub_u32_e32 v9, 30, v9
	v_and_b32_e32 v3, 3, v3
	v_cmp_eq_u32_e32 vcc, 0, v8
	v_and_b32_e32 v2, 0x80000000, v2
	s_mov_b32 s16, 0x2f800000
	v_cndmask_b32_e32 v8, v8, v9, vcc
	v_cndmask_b32_e32 v3, v5, v3, vcc
	v_mov_b32_e32 v5, 0x37800000
	v_lshlrev_b32_e32 v3, 21, v3
	v_lshl_add_u32 v5, v8, 23, v5
	v_or3_b32 v2, v2, v5, v3
	v_trunc_f32_e32 v2, v2
	v_mul_f32_e64 v3, |v2|, s16
	v_floor_f32_e32 v3, v3
	s_mov_b32 s16, 0xcf800000
	v_fma_f32 v5, v3, s16, |v2|
	v_cvt_u32_f32_e32 v5, v5
	v_cvt_u32_f32_e32 v3, v3
	v_ashrrev_i32_e32 v8, 31, v2
	v_xor_b32_e32 v2, v5, v8
	v_xor_b32_e32 v3, v3, v8
	v_sub_co_u32_e32 v2, vcc, v2, v8
	s_nop 1
	v_subb_co_u32_e32 v3, vcc, v3, v8, vcc
.LBB38_1182:
	s_or_b64 exec, exec, s[10:11]
	s_mov_b64 s[10:11], 0
	s_branch .LBB38_1188
.LBB38_1183:
	s_mov_b64 s[10:11], -1
                                        ; implicit-def: $vgpr2_vgpr3
	s_branch .LBB38_1194
.LBB38_1184:
	s_andn2_saveexec_b64 s[16:17], s[16:17]
	s_cbranch_execz .LBB38_1170
.LBB38_1185:
	v_cmp_ne_u16_e32 vcc, 0, v5
	s_andn2_b64 s[18:19], s[18:19], exec
	s_and_b64 s[22:23], vcc, exec
	s_or_b64 s[18:19], s[18:19], s[22:23]
	s_or_b64 exec, exec, s[16:17]
	v_mov_b64_e32 v[2:3], 0
	s_and_saveexec_b64 s[16:17], s[18:19]
	s_cbranch_execnz .LBB38_1171
	s_branch .LBB38_1172
.LBB38_1186:
	s_mov_b64 s[10:11], -1
                                        ; implicit-def: $vgpr2_vgpr3
	s_branch .LBB38_1191
.LBB38_1187:
	s_mov_b64 s[10:11], -1
                                        ; implicit-def: $vgpr2_vgpr3
.LBB38_1188:
	s_and_b64 vcc, exec, s[10:11]
	s_cbranch_vccz .LBB38_1190
; %bb.1189:
	global_load_ubyte v2, v[6:7], off
	s_mov_b32 s10, 0x7f800000
	s_brev_b32 s11, 1
	s_mov_b32 s16, 0x2f800000
	s_mov_b32 s17, 0xcf800000
	s_waitcnt vmcnt(0)
	v_lshlrev_b32_e32 v2, 24, v2
	v_and_b32_e32 v3, 0x7f000000, v2
	v_ffbh_u32_e32 v5, v3
	v_min_u32_e32 v5, 32, v5
	v_sub_u32_e64 v5, v5, 4 clamp
	v_lshlrev_b32_e32 v9, v5, v3
	v_lshlrev_b32_e32 v5, 23, v5
	v_lshrrev_b32_e32 v9, 4, v9
	v_add_u32_e32 v8, 0x1000000, v3
	v_sub_u32_e32 v5, v9, v5
	v_ashrrev_i32_e32 v8, 8, v8
	v_add_u32_e32 v5, 0x3c000000, v5
	v_and_or_b32 v5, v8, s10, v5
	v_cmp_ne_u32_e32 vcc, 0, v3
	s_nop 1
	v_cndmask_b32_e32 v3, 0, v5, vcc
	v_and_or_b32 v2, v2, s11, v3
	v_trunc_f32_e32 v2, v2
	v_mul_f32_e64 v3, |v2|, s16
	v_floor_f32_e32 v3, v3
	v_fma_f32 v5, v3, s17, |v2|
	v_cvt_u32_f32_e32 v5, v5
	v_cvt_u32_f32_e32 v3, v3
	v_ashrrev_i32_e32 v8, 31, v2
	v_xor_b32_e32 v2, v5, v8
	v_xor_b32_e32 v3, v3, v8
	v_sub_co_u32_e32 v2, vcc, v2, v8
	s_nop 1
	v_subb_co_u32_e32 v3, vcc, v3, v8, vcc
.LBB38_1190:
	s_mov_b64 s[10:11], 0
.LBB38_1191:
	s_andn2_b64 vcc, exec, s[10:11]
	s_cbranch_vccnz .LBB38_1193
; %bb.1192:
	global_load_ubyte v2, v[6:7], off
	s_movk_i32 s10, 0x7f00
	s_brev_b32 s11, 16
	s_brev_b32 s16, 1
	s_mov_b32 s17, 0x2f800000
	s_mov_b32 s18, 0xcf800000
	s_waitcnt vmcnt(0)
	v_lshlrev_b16_e32 v3, 8, v2
	v_lshlrev_b32_e32 v2, 25, v2
	v_lshrrev_b32_e32 v5, 4, v2
	v_and_or_b32 v8, v3, s10, 0.5
	v_or_b32_e32 v5, 0x70000000, v5
	v_add_f32_e32 v8, -0.5, v8
	v_mul_f32_e32 v5, 0x7800000, v5
	v_cmp_gt_u32_e32 vcc, s11, v2
	v_bfe_i32 v3, v3, 0, 16
	s_nop 0
	v_cndmask_b32_e32 v2, v5, v8, vcc
	v_and_or_b32 v2, v3, s16, v2
	v_trunc_f32_e32 v2, v2
	v_mul_f32_e64 v3, |v2|, s17
	v_floor_f32_e32 v3, v3
	v_fma_f32 v5, v3, s18, |v2|
	v_cvt_u32_f32_e32 v5, v5
	v_cvt_u32_f32_e32 v3, v3
	v_ashrrev_i32_e32 v8, 31, v2
	v_xor_b32_e32 v2, v5, v8
	v_xor_b32_e32 v3, v3, v8
	v_sub_co_u32_e32 v2, vcc, v2, v8
	s_nop 1
	v_subb_co_u32_e32 v3, vcc, v3, v8, vcc
.LBB38_1193:
	s_mov_b64 s[10:11], 0
	s_mov_b64 s[16:17], -1
.LBB38_1194:
	s_andn2_b64 vcc, exec, s[10:11]
	s_mov_b64 s[10:11], 0
	s_cbranch_vccnz .LBB38_1205
; %bb.1195:
	s_cmp_gt_i32 s20, 14
	s_cbranch_scc0 .LBB38_1198
; %bb.1196:
	s_cmp_eq_u32 s20, 15
	s_cbranch_scc0 .LBB38_1201
; %bb.1197:
	global_load_ushort v2, v[6:7], off
	s_mov_b32 s0, 0x2f800000
	s_mov_b32 s1, 0xcf800000
	s_mov_b64 s[16:17], -1
	s_waitcnt vmcnt(0)
	v_lshlrev_b32_e32 v2, 16, v2
	v_trunc_f32_e32 v2, v2
	v_mul_f32_e64 v3, |v2|, s0
	v_floor_f32_e32 v3, v3
	v_fma_f32 v5, v3, s1, |v2|
	v_cvt_u32_f32_e32 v5, v5
	v_cvt_u32_f32_e32 v3, v3
	v_ashrrev_i32_e32 v8, 31, v2
	s_mov_b64 s[0:1], 0
	v_xor_b32_e32 v2, v5, v8
	v_xor_b32_e32 v3, v3, v8
	v_sub_co_u32_e32 v2, vcc, v2, v8
	s_nop 1
	v_subb_co_u32_e32 v3, vcc, v3, v8, vcc
	s_branch .LBB38_1202
.LBB38_1198:
	s_mov_b64 s[18:19], -1
                                        ; implicit-def: $vgpr2_vgpr3
	s_branch .LBB38_1203
.LBB38_1199:
	s_andn2_saveexec_b64 s[10:11], s[10:11]
	s_cbranch_execz .LBB38_1180
.LBB38_1200:
	v_cmp_ne_u16_e32 vcc, 0, v5
	s_andn2_b64 s[16:17], s[16:17], exec
	s_and_b64 s[18:19], vcc, exec
	s_or_b64 s[16:17], s[16:17], s[18:19]
	s_or_b64 exec, exec, s[10:11]
	v_mov_b64_e32 v[2:3], 0
	s_and_saveexec_b64 s[10:11], s[16:17]
	s_cbranch_execnz .LBB38_1181
	s_branch .LBB38_1182
.LBB38_1201:
	s_mov_b64 s[0:1], -1
                                        ; implicit-def: $vgpr2_vgpr3
.LBB38_1202:
	s_mov_b64 s[18:19], 0
.LBB38_1203:
	s_and_b64 vcc, exec, s[18:19]
	s_cbranch_vccz .LBB38_1205
; %bb.1204:
	s_cmp_lg_u32 s20, 11
	s_mov_b64 s[10:11], -1
	s_cselect_b64 s[0:1], -1, 0
.LBB38_1205:
	s_and_b64 vcc, exec, s[0:1]
	s_cbranch_vccnz .LBB38_1278
; %bb.1206:
	s_andn2_b64 vcc, exec, s[10:11]
	s_cbranch_vccnz .LBB38_1208
.LBB38_1207:
	global_load_ubyte v2, v[6:7], off
	s_mov_b32 s0, 0
	s_waitcnt vmcnt(1)
	v_mov_b32_e32 v3, s0
	s_mov_b64 s[16:17], -1
	s_waitcnt vmcnt(0)
	v_cmp_ne_u16_e32 vcc, 0, v2
	s_nop 1
	v_cndmask_b32_e64 v2, 0, 1, vcc
.LBB38_1208:
	s_branch .LBB38_1139
.LBB38_1209:
	s_cmp_lt_i32 s20, 5
	s_cbranch_scc1 .LBB38_1214
; %bb.1210:
	s_cmp_lt_i32 s20, 8
	s_cbranch_scc1 .LBB38_1215
; %bb.1211:
	;; [unrolled: 3-line block ×3, first 2 shown]
	s_cmp_gt_i32 s20, 9
	s_cbranch_scc0 .LBB38_1217
; %bb.1213:
	global_load_dwordx2 v[2:3], v[6:7], off
	s_movk_i32 s0, 0xffe0
	s_waitcnt vmcnt(0)
	v_trunc_f64_e32 v[8:9], v[2:3]
	v_ldexp_f64 v[2:3], v[8:9], s0
	v_floor_f64_e32 v[10:11], v[2:3]
	v_fmac_f64_e32 v[8:9], 0xc1f00000, v[10:11]
	v_cvt_i32_f64_e32 v3, v[10:11]
	v_cvt_u32_f64_e32 v2, v[8:9]
	s_mov_b64 s[0:1], 0
	s_branch .LBB38_1218
.LBB38_1214:
                                        ; implicit-def: $vgpr2_vgpr3
	s_branch .LBB38_1236
.LBB38_1215:
	s_mov_b64 s[0:1], -1
                                        ; implicit-def: $vgpr2_vgpr3
	s_branch .LBB38_1224
.LBB38_1216:
	s_mov_b64 s[0:1], -1
                                        ; implicit-def: $vgpr2_vgpr3
	s_branch .LBB38_1221
.LBB38_1217:
	s_mov_b64 s[0:1], -1
                                        ; implicit-def: $vgpr2_vgpr3
.LBB38_1218:
	s_andn2_b64 vcc, exec, s[0:1]
	s_cbranch_vccnz .LBB38_1220
; %bb.1219:
	global_load_dword v2, v[6:7], off
	s_mov_b32 s0, 0x2f800000
	s_mov_b32 s1, 0xcf800000
	s_waitcnt vmcnt(0)
	v_trunc_f32_e32 v2, v2
	v_mul_f32_e64 v3, |v2|, s0
	v_floor_f32_e32 v3, v3
	v_cvt_u32_f32_e32 v5, v3
	v_fma_f32 v3, v3, s1, |v2|
	v_cvt_u32_f32_e32 v3, v3
	v_ashrrev_i32_e32 v8, 31, v2
	v_xor_b32_e32 v5, v5, v8
	v_xor_b32_e32 v2, v3, v8
	v_sub_co_u32_e32 v2, vcc, v2, v8
	s_nop 1
	v_subb_co_u32_e32 v3, vcc, v5, v8, vcc
.LBB38_1220:
	s_mov_b64 s[0:1], 0
.LBB38_1221:
	s_andn2_b64 vcc, exec, s[0:1]
	s_cbranch_vccnz .LBB38_1223
; %bb.1222:
	global_load_dword v2, v[6:7], off
	s_waitcnt vmcnt(0)
	v_cvt_f32_f16_e32 v2, v2
	v_cvt_i32_f32_e32 v2, v2
	v_ashrrev_i32_e32 v3, 31, v2
.LBB38_1223:
	s_mov_b64 s[0:1], 0
.LBB38_1224:
	s_andn2_b64 vcc, exec, s[0:1]
	s_cbranch_vccnz .LBB38_1235
; %bb.1225:
	s_cmp_lt_i32 s20, 6
	s_cbranch_scc1 .LBB38_1228
; %bb.1226:
	s_cmp_gt_i32 s20, 6
	s_cbranch_scc0 .LBB38_1229
; %bb.1227:
	global_load_dwordx2 v[2:3], v[6:7], off
	s_movk_i32 s0, 0xffe0
	s_waitcnt vmcnt(0)
	v_trunc_f64_e32 v[8:9], v[2:3]
	v_ldexp_f64 v[2:3], v[8:9], s0
	v_floor_f64_e32 v[10:11], v[2:3]
	v_fmac_f64_e32 v[8:9], 0xc1f00000, v[10:11]
	v_cvt_i32_f64_e32 v3, v[10:11]
	v_cvt_u32_f64_e32 v2, v[8:9]
	s_mov_b64 s[0:1], 0
	s_branch .LBB38_1230
.LBB38_1228:
	s_mov_b64 s[0:1], -1
                                        ; implicit-def: $vgpr2_vgpr3
	s_branch .LBB38_1233
.LBB38_1229:
	s_mov_b64 s[0:1], -1
                                        ; implicit-def: $vgpr2_vgpr3
.LBB38_1230:
	s_andn2_b64 vcc, exec, s[0:1]
	s_cbranch_vccnz .LBB38_1232
; %bb.1231:
	global_load_dword v2, v[6:7], off
	s_mov_b32 s0, 0x2f800000
	s_mov_b32 s1, 0xcf800000
	s_waitcnt vmcnt(0)
	v_trunc_f32_e32 v2, v2
	v_mul_f32_e64 v3, |v2|, s0
	v_floor_f32_e32 v3, v3
	v_cvt_u32_f32_e32 v5, v3
	v_fma_f32 v3, v3, s1, |v2|
	v_cvt_u32_f32_e32 v3, v3
	v_ashrrev_i32_e32 v8, 31, v2
	v_xor_b32_e32 v5, v5, v8
	v_xor_b32_e32 v2, v3, v8
	v_sub_co_u32_e32 v2, vcc, v2, v8
	s_nop 1
	v_subb_co_u32_e32 v3, vcc, v5, v8, vcc
.LBB38_1232:
	s_mov_b64 s[0:1], 0
.LBB38_1233:
	s_andn2_b64 vcc, exec, s[0:1]
	s_cbranch_vccnz .LBB38_1235
; %bb.1234:
	global_load_ushort v2, v[6:7], off
	s_waitcnt vmcnt(0)
	v_cvt_f32_f16_e32 v2, v2
	v_cvt_i32_f32_e32 v2, v2
	v_ashrrev_i32_e32 v3, 31, v2
.LBB38_1235:
	s_cbranch_execnz .LBB38_1255
.LBB38_1236:
	s_cmp_lt_i32 s20, 2
	s_cbranch_scc1 .LBB38_1240
; %bb.1237:
	s_cmp_lt_i32 s20, 3
	s_cbranch_scc1 .LBB38_1241
; %bb.1238:
	s_cmp_gt_i32 s20, 3
	s_cbranch_scc0 .LBB38_1242
; %bb.1239:
	global_load_dwordx2 v[2:3], v[6:7], off
	s_mov_b64 s[0:1], 0
	s_branch .LBB38_1243
.LBB38_1240:
	s_mov_b64 s[0:1], -1
                                        ; implicit-def: $vgpr2_vgpr3
	s_branch .LBB38_1249
.LBB38_1241:
	s_mov_b64 s[0:1], -1
                                        ; implicit-def: $vgpr2_vgpr3
	s_branch .LBB38_1246
.LBB38_1242:
	s_mov_b64 s[0:1], -1
                                        ; implicit-def: $vgpr2_vgpr3
.LBB38_1243:
	s_andn2_b64 vcc, exec, s[0:1]
	s_cbranch_vccnz .LBB38_1245
; %bb.1244:
	global_load_dword v2, v[6:7], off
	s_waitcnt vmcnt(0)
	v_ashrrev_i32_e32 v3, 31, v2
.LBB38_1245:
	s_mov_b64 s[0:1], 0
.LBB38_1246:
	s_andn2_b64 vcc, exec, s[0:1]
	s_cbranch_vccnz .LBB38_1248
; %bb.1247:
	global_load_ushort v2, v[6:7], off
	s_waitcnt vmcnt(0)
	v_bfe_i32 v2, v2, 0, 16
	v_ashrrev_i32_e32 v3, 31, v2
.LBB38_1248:
	s_mov_b64 s[0:1], 0
.LBB38_1249:
	s_andn2_b64 vcc, exec, s[0:1]
	s_cbranch_vccnz .LBB38_1255
; %bb.1250:
	s_cmp_gt_i32 s20, 0
	s_cbranch_scc0 .LBB38_1252
; %bb.1251:
	global_load_sbyte v2, v[6:7], off
	s_mov_b64 s[0:1], 0
	s_waitcnt vmcnt(0)
	v_bfe_i32 v2, v2, 0, 16
	v_ashrrev_i32_e32 v3, 31, v2
	s_branch .LBB38_1253
.LBB38_1252:
	s_mov_b64 s[0:1], -1
                                        ; implicit-def: $vgpr2_vgpr3
.LBB38_1253:
	s_andn2_b64 vcc, exec, s[0:1]
	s_cbranch_vccnz .LBB38_1255
; %bb.1254:
	global_load_ubyte v2, v[6:7], off
	s_mov_b32 s0, 0
	s_waitcnt vmcnt(1)
	v_mov_b32_e32 v3, s0
	s_waitcnt vmcnt(0)
	v_and_b32_e32 v2, 0xffff, v2
.LBB38_1255:
.LBB38_1256:
	v_add_u32_e32 v4, s9, v4
	v_ashrrev_i32_e32 v5, 31, v4
	s_cmp_lt_i32 s20, 11
	v_lshl_add_u64 v[8:9], s[6:7], 0, v[4:5]
	s_cbranch_scc1 .LBB38_1263
; %bb.1257:
	s_cmp_gt_i32 s20, 25
	s_mov_b64 s[10:11], 0
	s_cbranch_scc0 .LBB38_1272
; %bb.1258:
	s_cmp_gt_i32 s20, 28
	s_cbranch_scc0 .LBB38_1274
; %bb.1259:
	s_cmp_gt_i32 s20, 43
	;; [unrolled: 3-line block ×3, first 2 shown]
	s_cbranch_scc0 .LBB38_1279
; %bb.1261:
	s_cmp_eq_u32 s20, 46
	s_mov_b64 s[18:19], 0
	s_cbranch_scc0 .LBB38_1281
; %bb.1262:
	global_load_dword v5, v[8:9], off
	s_mov_b32 s0, 0x2f800000
	s_mov_b32 s1, 0xcf800000
	s_mov_b64 s[16:17], -1
	s_waitcnt vmcnt(0)
	v_lshlrev_b32_e32 v5, 16, v5
	v_trunc_f32_e32 v5, v5
	v_mul_f32_e64 v6, |v5|, s0
	v_floor_f32_e32 v6, v6
	v_fma_f32 v7, v6, s1, |v5|
	v_cvt_u32_f32_e32 v6, v6
	v_cvt_u32_f32_e32 v7, v7
	v_ashrrev_i32_e32 v5, 31, v5
	s_mov_b64 s[0:1], 0
	v_xor_b32_e32 v10, v6, v5
	v_xor_b32_e32 v6, v7, v5
	v_sub_co_u32_e32 v6, vcc, v6, v5
	s_nop 1
	v_subb_co_u32_e32 v7, vcc, v10, v5, vcc
	s_branch .LBB38_1282
.LBB38_1263:
	s_mov_b64 s[16:17], 0
                                        ; implicit-def: $vgpr6_vgpr7
	s_cbranch_execnz .LBB38_1345
.LBB38_1264:
	s_andn2_b64 vcc, exec, s[16:17]
	s_cbranch_vccnz .LBB38_1393
.LBB38_1265:
	v_add_u32_e32 v4, s9, v4
	v_ashrrev_i32_e32 v5, 31, v4
	s_cmp_lt_i32 s20, 11
	v_lshl_add_u64 v[8:9], s[6:7], 0, v[4:5]
	s_cbranch_scc1 .LBB38_1273
; %bb.1266:
	s_cmp_gt_i32 s20, 25
	s_mov_b64 s[6:7], 0
	s_cbranch_scc0 .LBB38_1275
; %bb.1267:
	s_cmp_gt_i32 s20, 28
	s_cbranch_scc0 .LBB38_1277
; %bb.1268:
	s_cmp_gt_i32 s20, 43
	s_cbranch_scc0 .LBB38_1280
; %bb.1269:
	s_cmp_gt_i32 s20, 45
	s_cbranch_scc0 .LBB38_1285
; %bb.1270:
	s_cmp_eq_u32 s20, 46
	s_mov_b64 s[16:17], 0
	s_cbranch_scc0 .LBB38_1440
; %bb.1271:
	global_load_dword v4, v[8:9], off
	s_mov_b32 s0, 0x2f800000
	s_mov_b32 s1, 0xcf800000
	s_mov_b64 s[10:11], -1
	s_waitcnt vmcnt(0)
	v_lshlrev_b32_e32 v4, 16, v4
	v_trunc_f32_e32 v4, v4
	v_mul_f32_e64 v5, |v4|, s0
	v_floor_f32_e32 v5, v5
	v_fma_f32 v10, v5, s1, |v4|
	v_cvt_u32_f32_e32 v10, v10
	v_cvt_u32_f32_e32 v5, v5
	v_ashrrev_i32_e32 v11, 31, v4
	s_mov_b64 s[0:1], 0
	v_xor_b32_e32 v4, v10, v11
	v_xor_b32_e32 v5, v5, v11
	v_sub_co_u32_e32 v4, vcc, v4, v11
	s_nop 1
	v_subb_co_u32_e32 v5, vcc, v5, v11, vcc
	s_branch .LBB38_1441
.LBB38_1272:
	s_mov_b64 s[18:19], -1
	s_mov_b64 s[16:17], 0
	s_mov_b64 s[0:1], 0
                                        ; implicit-def: $vgpr6_vgpr7
	s_branch .LBB38_1310
.LBB38_1273:
	s_mov_b64 s[0:1], -1
	s_mov_b64 s[10:11], 0
                                        ; implicit-def: $vgpr4_vgpr5
	s_branch .LBB38_1503
.LBB38_1274:
	s_mov_b64 s[18:19], -1
	s_mov_b64 s[16:17], 0
	s_mov_b64 s[0:1], 0
                                        ; implicit-def: $vgpr6_vgpr7
	s_branch .LBB38_1293
.LBB38_1275:
	s_mov_b64 s[16:17], -1
	s_mov_b64 s[10:11], 0
	s_mov_b64 s[0:1], 0
                                        ; implicit-def: $vgpr4_vgpr5
	s_branch .LBB38_1468
.LBB38_1276:
	s_mov_b64 s[18:19], -1
	s_mov_b64 s[16:17], 0
	s_mov_b64 s[0:1], 0
                                        ; implicit-def: $vgpr6_vgpr7
	s_branch .LBB38_1288
.LBB38_1277:
	s_mov_b64 s[16:17], -1
	s_mov_b64 s[10:11], 0
	s_mov_b64 s[0:1], 0
                                        ; implicit-def: $vgpr4_vgpr5
	s_branch .LBB38_1451
.LBB38_1278:
	s_trap 2
	s_or_b64 s[14:15], s[14:15], exec
	s_cbranch_execz .LBB38_1207
	s_branch .LBB38_1208
.LBB38_1279:
	s_mov_b64 s[18:19], -1
	s_mov_b64 s[16:17], 0
	s_mov_b64 s[0:1], 0
                                        ; implicit-def: $vgpr6_vgpr7
	s_branch .LBB38_1282
.LBB38_1280:
	s_mov_b64 s[16:17], -1
	s_mov_b64 s[10:11], 0
	s_mov_b64 s[0:1], 0
                                        ; implicit-def: $vgpr4_vgpr5
	s_branch .LBB38_1446
.LBB38_1281:
	s_mov_b64 s[0:1], -1
                                        ; implicit-def: $vgpr6_vgpr7
	s_mov_b64 s[16:17], 0
.LBB38_1282:
	s_and_b64 vcc, exec, s[18:19]
	s_cbranch_vccz .LBB38_1287
; %bb.1283:
	s_cmp_eq_u32 s20, 44
	s_cbranch_scc0 .LBB38_1286
; %bb.1284:
	global_load_ubyte v5, v[8:9], off
	s_mov_b32 s0, 0x2f800000
	s_mov_b32 s1, 0xcf800000
	s_mov_b64 s[16:17], -1
	s_waitcnt vmcnt(0)
	v_lshlrev_b32_e32 v6, 23, v5
	v_trunc_f32_e32 v6, v6
	v_mul_f32_e64 v7, |v6|, s0
	v_floor_f32_e32 v7, v7
	v_fma_f32 v10, v7, s1, |v6|
	v_cvt_u32_f32_e32 v10, v10
	v_cvt_u32_f32_e32 v7, v7
	v_ashrrev_i32_e32 v6, 31, v6
	s_mov_b64 s[0:1], 0
	v_xor_b32_e32 v10, v10, v6
	v_xor_b32_e32 v7, v7, v6
	v_sub_co_u32_e32 v10, vcc, v10, v6
	s_nop 1
	v_subb_co_u32_e32 v6, vcc, v7, v6, vcc
	v_cmp_ne_u32_e32 vcc, 0, v5
	s_nop 1
	v_cndmask_b32_e32 v7, 0, v6, vcc
	v_cndmask_b32_e32 v6, 0, v10, vcc
	s_branch .LBB38_1287
.LBB38_1285:
	s_mov_b64 s[16:17], -1
	s_mov_b64 s[10:11], 0
	s_mov_b64 s[0:1], 0
                                        ; implicit-def: $vgpr4_vgpr5
	s_branch .LBB38_1441
.LBB38_1286:
	s_mov_b64 s[0:1], -1
                                        ; implicit-def: $vgpr6_vgpr7
.LBB38_1287:
	s_mov_b64 s[18:19], 0
.LBB38_1288:
	s_and_b64 vcc, exec, s[18:19]
	s_cbranch_vccz .LBB38_1292
; %bb.1289:
	s_cmp_eq_u32 s20, 29
	s_cbranch_scc0 .LBB38_1291
; %bb.1290:
	global_load_dwordx2 v[6:7], v[8:9], off
	s_mov_b64 s[0:1], 0
	s_mov_b64 s[16:17], -1
	s_branch .LBB38_1292
.LBB38_1291:
	s_mov_b64 s[0:1], -1
                                        ; implicit-def: $vgpr6_vgpr7
.LBB38_1292:
	s_mov_b64 s[18:19], 0
.LBB38_1293:
	s_and_b64 vcc, exec, s[18:19]
	s_cbranch_vccz .LBB38_1309
; %bb.1294:
	s_cmp_lt_i32 s20, 27
	s_cbranch_scc1 .LBB38_1297
; %bb.1295:
	s_cmp_gt_i32 s20, 27
	s_cbranch_scc0 .LBB38_1298
; %bb.1296:
	global_load_dword v6, v[8:9], off
	s_waitcnt vmcnt(1)
	v_mov_b32_e32 v7, 0
	s_mov_b64 s[16:17], 0
	s_branch .LBB38_1299
.LBB38_1297:
	s_mov_b64 s[16:17], -1
                                        ; implicit-def: $vgpr6_vgpr7
	s_branch .LBB38_1302
.LBB38_1298:
	s_mov_b64 s[16:17], -1
                                        ; implicit-def: $vgpr6_vgpr7
.LBB38_1299:
	s_andn2_b64 vcc, exec, s[16:17]
	s_cbranch_vccnz .LBB38_1301
; %bb.1300:
	global_load_ushort v5, v[8:9], off
	s_mov_b32 s16, 0
	s_waitcnt vmcnt(1)
	v_mov_b32_e32 v7, s16
	s_waitcnt vmcnt(0)
	v_and_b32_e32 v6, 0xffff, v5
.LBB38_1301:
	s_mov_b64 s[16:17], 0
.LBB38_1302:
	s_andn2_b64 vcc, exec, s[16:17]
	s_cbranch_vccnz .LBB38_1308
; %bb.1303:
	global_load_ubyte v5, v[8:9], off
	s_movk_i32 s16, 0x7f
	s_mov_b64 s[18:19], 0
	s_waitcnt vmcnt(0)
	v_cmp_lt_i16_e32 vcc, s16, v5
	s_and_saveexec_b64 s[16:17], vcc
	s_xor_b64 s[16:17], exec, s[16:17]
	s_cbranch_execz .LBB38_1320
; %bb.1304:
	s_movk_i32 s18, 0x80
	v_cmp_ne_u16_e32 vcc, s18, v5
	s_and_b64 s[18:19], vcc, exec
	s_andn2_saveexec_b64 s[16:17], s[16:17]
	s_cbranch_execnz .LBB38_1321
.LBB38_1305:
	s_or_b64 exec, exec, s[16:17]
	v_mov_b64_e32 v[6:7], 0
	s_and_saveexec_b64 s[16:17], s[18:19]
	s_cbranch_execz .LBB38_1307
.LBB38_1306:
	v_lshlrev_b32_e32 v6, 24, v5
	v_and_b32_e32 v5, 0xffff, v5
	v_and_b32_e32 v7, 7, v5
	v_ffbh_u32_e32 v11, v7
	v_min_u32_e32 v11, 32, v11
	v_subrev_u32_e32 v13, 28, v11
	v_bfe_u32 v10, v5, 3, 4
	v_lshlrev_b32_e32 v5, v13, v5
	v_sub_u32_e32 v11, 29, v11
	v_and_b32_e32 v5, 7, v5
	v_cmp_eq_u32_e32 vcc, 0, v10
	v_and_b32_e32 v6, 0x80000000, v6
	s_mov_b32 s18, 0x2f800000
	v_cndmask_b32_e32 v10, v10, v11, vcc
	v_cndmask_b32_e32 v5, v7, v5, vcc
	v_mov_b32_e32 v7, 0x3b800000
	v_lshlrev_b32_e32 v5, 20, v5
	v_lshl_add_u32 v7, v10, 23, v7
	v_or3_b32 v5, v6, v7, v5
	v_trunc_f32_e32 v5, v5
	v_mul_f32_e64 v6, |v5|, s18
	v_floor_f32_e32 v6, v6
	s_mov_b32 s18, 0xcf800000
	v_fma_f32 v7, v6, s18, |v5|
	v_cvt_u32_f32_e32 v6, v6
	v_cvt_u32_f32_e32 v7, v7
	v_ashrrev_i32_e32 v5, 31, v5
	v_xor_b32_e32 v10, v6, v5
	v_xor_b32_e32 v6, v7, v5
	v_sub_co_u32_e32 v6, vcc, v6, v5
	s_nop 1
	v_subb_co_u32_e32 v7, vcc, v10, v5, vcc
.LBB38_1307:
	s_or_b64 exec, exec, s[16:17]
.LBB38_1308:
	s_mov_b64 s[16:17], -1
.LBB38_1309:
	s_mov_b64 s[18:19], 0
.LBB38_1310:
	s_and_b64 vcc, exec, s[18:19]
	s_cbranch_vccz .LBB38_1341
; %bb.1311:
	s_cmp_gt_i32 s20, 22
	s_cbranch_scc0 .LBB38_1319
; %bb.1312:
	s_cmp_lt_i32 s20, 24
	s_cbranch_scc1 .LBB38_1322
; %bb.1313:
	s_cmp_gt_i32 s20, 24
	s_cbranch_scc0 .LBB38_1323
; %bb.1314:
	global_load_ubyte v5, v[8:9], off
	s_movk_i32 s10, 0x7f
	s_mov_b64 s[16:17], 0
	s_waitcnt vmcnt(0)
	v_cmp_lt_i16_e32 vcc, s10, v5
	s_and_saveexec_b64 s[10:11], vcc
	s_xor_b64 s[10:11], exec, s[10:11]
	s_cbranch_execz .LBB38_1335
; %bb.1315:
	s_movk_i32 s16, 0x80
	v_cmp_ne_u16_e32 vcc, s16, v5
	s_and_b64 s[16:17], vcc, exec
	s_andn2_saveexec_b64 s[10:11], s[10:11]
	s_cbranch_execnz .LBB38_1336
.LBB38_1316:
	s_or_b64 exec, exec, s[10:11]
	v_mov_b64_e32 v[6:7], 0
	s_and_saveexec_b64 s[10:11], s[16:17]
	s_cbranch_execz .LBB38_1318
.LBB38_1317:
	v_lshlrev_b32_e32 v6, 24, v5
	v_and_b32_e32 v5, 0xffff, v5
	v_and_b32_e32 v7, 3, v5
	v_ffbh_u32_e32 v11, v7
	v_min_u32_e32 v11, 32, v11
	v_subrev_u32_e32 v13, 29, v11
	v_bfe_u32 v10, v5, 2, 5
	v_lshlrev_b32_e32 v5, v13, v5
	v_sub_u32_e32 v11, 30, v11
	v_and_b32_e32 v5, 3, v5
	v_cmp_eq_u32_e32 vcc, 0, v10
	v_and_b32_e32 v6, 0x80000000, v6
	s_mov_b32 s16, 0x2f800000
	v_cndmask_b32_e32 v10, v10, v11, vcc
	v_cndmask_b32_e32 v5, v7, v5, vcc
	v_mov_b32_e32 v7, 0x37800000
	v_lshlrev_b32_e32 v5, 21, v5
	v_lshl_add_u32 v7, v10, 23, v7
	v_or3_b32 v5, v6, v7, v5
	v_trunc_f32_e32 v5, v5
	v_mul_f32_e64 v6, |v5|, s16
	v_floor_f32_e32 v6, v6
	s_mov_b32 s16, 0xcf800000
	v_fma_f32 v7, v6, s16, |v5|
	v_cvt_u32_f32_e32 v6, v6
	v_cvt_u32_f32_e32 v7, v7
	v_ashrrev_i32_e32 v5, 31, v5
	v_xor_b32_e32 v10, v6, v5
	v_xor_b32_e32 v6, v7, v5
	v_sub_co_u32_e32 v6, vcc, v6, v5
	s_nop 1
	v_subb_co_u32_e32 v7, vcc, v10, v5, vcc
.LBB38_1318:
	s_or_b64 exec, exec, s[10:11]
	s_mov_b64 s[10:11], 0
	s_branch .LBB38_1324
.LBB38_1319:
	s_mov_b64 s[10:11], -1
                                        ; implicit-def: $vgpr6_vgpr7
	s_branch .LBB38_1330
.LBB38_1320:
	s_andn2_saveexec_b64 s[16:17], s[16:17]
	s_cbranch_execz .LBB38_1305
.LBB38_1321:
	v_cmp_ne_u16_e32 vcc, 0, v5
	s_andn2_b64 s[18:19], s[18:19], exec
	s_and_b64 s[22:23], vcc, exec
	s_or_b64 s[18:19], s[18:19], s[22:23]
	s_or_b64 exec, exec, s[16:17]
	v_mov_b64_e32 v[6:7], 0
	s_and_saveexec_b64 s[16:17], s[18:19]
	s_cbranch_execnz .LBB38_1306
	s_branch .LBB38_1307
.LBB38_1322:
	s_mov_b64 s[10:11], -1
                                        ; implicit-def: $vgpr6_vgpr7
	s_branch .LBB38_1327
.LBB38_1323:
	s_mov_b64 s[10:11], -1
                                        ; implicit-def: $vgpr6_vgpr7
.LBB38_1324:
	s_and_b64 vcc, exec, s[10:11]
	s_cbranch_vccz .LBB38_1326
; %bb.1325:
	global_load_ubyte v5, v[8:9], off
	s_mov_b32 s10, 0x7f800000
	s_brev_b32 s11, 1
	s_mov_b32 s16, 0x2f800000
	s_mov_b32 s17, 0xcf800000
	s_waitcnt vmcnt(0)
	v_lshlrev_b32_e32 v5, 24, v5
	v_and_b32_e32 v6, 0x7f000000, v5
	v_ffbh_u32_e32 v7, v6
	v_min_u32_e32 v7, 32, v7
	v_sub_u32_e64 v7, v7, 4 clamp
	v_lshlrev_b32_e32 v11, v7, v6
	v_lshlrev_b32_e32 v7, 23, v7
	v_lshrrev_b32_e32 v11, 4, v11
	v_add_u32_e32 v10, 0x1000000, v6
	v_sub_u32_e32 v7, v11, v7
	v_ashrrev_i32_e32 v10, 8, v10
	v_add_u32_e32 v7, 0x3c000000, v7
	v_and_or_b32 v7, v10, s10, v7
	v_cmp_ne_u32_e32 vcc, 0, v6
	s_nop 1
	v_cndmask_b32_e32 v6, 0, v7, vcc
	v_and_or_b32 v5, v5, s11, v6
	v_trunc_f32_e32 v5, v5
	v_mul_f32_e64 v6, |v5|, s16
	v_floor_f32_e32 v6, v6
	v_fma_f32 v7, v6, s17, |v5|
	v_cvt_u32_f32_e32 v6, v6
	v_cvt_u32_f32_e32 v7, v7
	v_ashrrev_i32_e32 v5, 31, v5
	v_xor_b32_e32 v10, v6, v5
	v_xor_b32_e32 v6, v7, v5
	v_sub_co_u32_e32 v6, vcc, v6, v5
	s_nop 1
	v_subb_co_u32_e32 v7, vcc, v10, v5, vcc
.LBB38_1326:
	s_mov_b64 s[10:11], 0
.LBB38_1327:
	s_andn2_b64 vcc, exec, s[10:11]
	s_cbranch_vccnz .LBB38_1329
; %bb.1328:
	global_load_ubyte v5, v[8:9], off
	s_movk_i32 s10, 0x7f00
	s_brev_b32 s11, 16
	s_brev_b32 s16, 1
	s_mov_b32 s17, 0x2f800000
	s_mov_b32 s18, 0xcf800000
	s_waitcnt vmcnt(0)
	v_lshlrev_b16_e32 v6, 8, v5
	v_lshlrev_b32_e32 v5, 25, v5
	v_lshrrev_b32_e32 v7, 4, v5
	v_and_or_b32 v10, v6, s10, 0.5
	v_or_b32_e32 v7, 0x70000000, v7
	v_add_f32_e32 v10, -0.5, v10
	v_mul_f32_e32 v7, 0x7800000, v7
	v_cmp_gt_u32_e32 vcc, s11, v5
	v_bfe_i32 v6, v6, 0, 16
	s_nop 0
	v_cndmask_b32_e32 v5, v7, v10, vcc
	v_and_or_b32 v5, v6, s16, v5
	v_trunc_f32_e32 v5, v5
	v_mul_f32_e64 v6, |v5|, s17
	v_floor_f32_e32 v6, v6
	v_fma_f32 v7, v6, s18, |v5|
	v_cvt_u32_f32_e32 v6, v6
	v_cvt_u32_f32_e32 v7, v7
	v_ashrrev_i32_e32 v5, 31, v5
	v_xor_b32_e32 v10, v6, v5
	v_xor_b32_e32 v6, v7, v5
	v_sub_co_u32_e32 v6, vcc, v6, v5
	s_nop 1
	v_subb_co_u32_e32 v7, vcc, v10, v5, vcc
.LBB38_1329:
	s_mov_b64 s[10:11], 0
	s_mov_b64 s[16:17], -1
.LBB38_1330:
	s_andn2_b64 vcc, exec, s[10:11]
	s_mov_b64 s[10:11], 0
	s_cbranch_vccnz .LBB38_1341
; %bb.1331:
	s_cmp_gt_i32 s20, 14
	s_cbranch_scc0 .LBB38_1334
; %bb.1332:
	s_cmp_eq_u32 s20, 15
	s_cbranch_scc0 .LBB38_1337
; %bb.1333:
	global_load_ushort v5, v[8:9], off
	s_mov_b32 s0, 0x2f800000
	s_mov_b32 s1, 0xcf800000
	s_mov_b64 s[16:17], -1
	s_waitcnt vmcnt(0)
	v_lshlrev_b32_e32 v5, 16, v5
	v_trunc_f32_e32 v5, v5
	v_mul_f32_e64 v6, |v5|, s0
	v_floor_f32_e32 v6, v6
	v_fma_f32 v7, v6, s1, |v5|
	v_cvt_u32_f32_e32 v6, v6
	v_cvt_u32_f32_e32 v7, v7
	v_ashrrev_i32_e32 v5, 31, v5
	s_mov_b64 s[0:1], 0
	v_xor_b32_e32 v10, v6, v5
	v_xor_b32_e32 v6, v7, v5
	v_sub_co_u32_e32 v6, vcc, v6, v5
	s_nop 1
	v_subb_co_u32_e32 v7, vcc, v10, v5, vcc
	s_branch .LBB38_1338
.LBB38_1334:
	s_mov_b64 s[18:19], -1
                                        ; implicit-def: $vgpr6_vgpr7
	s_branch .LBB38_1339
.LBB38_1335:
	s_andn2_saveexec_b64 s[10:11], s[10:11]
	s_cbranch_execz .LBB38_1316
.LBB38_1336:
	v_cmp_ne_u16_e32 vcc, 0, v5
	s_andn2_b64 s[16:17], s[16:17], exec
	s_and_b64 s[18:19], vcc, exec
	s_or_b64 s[16:17], s[16:17], s[18:19]
	s_or_b64 exec, exec, s[10:11]
	v_mov_b64_e32 v[6:7], 0
	s_and_saveexec_b64 s[10:11], s[16:17]
	s_cbranch_execnz .LBB38_1317
	s_branch .LBB38_1318
.LBB38_1337:
	s_mov_b64 s[0:1], -1
                                        ; implicit-def: $vgpr6_vgpr7
.LBB38_1338:
	s_mov_b64 s[18:19], 0
.LBB38_1339:
	s_and_b64 vcc, exec, s[18:19]
	s_cbranch_vccz .LBB38_1341
; %bb.1340:
	s_cmp_lg_u32 s20, 11
	s_mov_b64 s[10:11], -1
	s_cselect_b64 s[0:1], -1, 0
.LBB38_1341:
	s_and_b64 vcc, exec, s[0:1]
	s_cbranch_vccnz .LBB38_1439
; %bb.1342:
	s_andn2_b64 vcc, exec, s[10:11]
	s_cbranch_vccnz .LBB38_1344
.LBB38_1343:
	global_load_ubyte v5, v[8:9], off
	s_mov_b32 s0, 0
	s_waitcnt vmcnt(1)
	v_mov_b32_e32 v7, s0
	s_mov_b64 s[16:17], -1
	s_waitcnt vmcnt(0)
	v_cmp_ne_u16_e32 vcc, 0, v5
	s_nop 1
	v_cndmask_b32_e64 v6, 0, 1, vcc
.LBB38_1344:
	s_branch .LBB38_1264
.LBB38_1345:
	s_cmp_lt_i32 s20, 5
	s_cbranch_scc1 .LBB38_1350
; %bb.1346:
	s_cmp_lt_i32 s20, 8
	s_cbranch_scc1 .LBB38_1351
; %bb.1347:
	s_cmp_lt_i32 s20, 9
	s_cbranch_scc1 .LBB38_1352
; %bb.1348:
	s_cmp_gt_i32 s20, 9
	s_cbranch_scc0 .LBB38_1353
; %bb.1349:
	global_load_dwordx2 v[6:7], v[8:9], off
	s_movk_i32 s0, 0xffe0
	s_waitcnt vmcnt(0)
	v_trunc_f64_e32 v[10:11], v[6:7]
	v_ldexp_f64 v[6:7], v[10:11], s0
	v_floor_f64_e32 v[14:15], v[6:7]
	v_fmac_f64_e32 v[10:11], 0xc1f00000, v[14:15]
	v_cvt_i32_f64_e32 v7, v[14:15]
	v_cvt_u32_f64_e32 v6, v[10:11]
	s_mov_b64 s[0:1], 0
	s_branch .LBB38_1354
.LBB38_1350:
	s_mov_b64 s[0:1], -1
                                        ; implicit-def: $vgpr6_vgpr7
	s_branch .LBB38_1372
.LBB38_1351:
	s_mov_b64 s[0:1], -1
                                        ; implicit-def: $vgpr6_vgpr7
	s_branch .LBB38_1360
.LBB38_1352:
	s_mov_b64 s[0:1], -1
                                        ; implicit-def: $vgpr6_vgpr7
	s_branch .LBB38_1357
.LBB38_1353:
	s_mov_b64 s[0:1], -1
                                        ; implicit-def: $vgpr6_vgpr7
.LBB38_1354:
	s_andn2_b64 vcc, exec, s[0:1]
	s_cbranch_vccnz .LBB38_1356
; %bb.1355:
	global_load_dword v5, v[8:9], off
	s_mov_b32 s0, 0x2f800000
	s_mov_b32 s1, 0xcf800000
	s_waitcnt vmcnt(0)
	v_trunc_f32_e32 v5, v5
	v_mul_f32_e64 v6, |v5|, s0
	v_floor_f32_e32 v6, v6
	v_cvt_u32_f32_e32 v7, v6
	v_fma_f32 v6, v6, s1, |v5|
	v_cvt_u32_f32_e32 v6, v6
	v_ashrrev_i32_e32 v5, 31, v5
	v_xor_b32_e32 v7, v7, v5
	v_xor_b32_e32 v6, v6, v5
	v_sub_co_u32_e32 v6, vcc, v6, v5
	s_nop 1
	v_subb_co_u32_e32 v7, vcc, v7, v5, vcc
.LBB38_1356:
	s_mov_b64 s[0:1], 0
.LBB38_1357:
	s_andn2_b64 vcc, exec, s[0:1]
	s_cbranch_vccnz .LBB38_1359
; %bb.1358:
	global_load_dword v5, v[8:9], off
	s_waitcnt vmcnt(0)
	v_cvt_f32_f16_e32 v5, v5
	v_cvt_i32_f32_e32 v6, v5
	v_ashrrev_i32_e32 v7, 31, v6
.LBB38_1359:
	s_mov_b64 s[0:1], 0
.LBB38_1360:
	s_andn2_b64 vcc, exec, s[0:1]
	s_cbranch_vccnz .LBB38_1371
; %bb.1361:
	s_cmp_lt_i32 s20, 6
	s_cbranch_scc1 .LBB38_1364
; %bb.1362:
	s_cmp_gt_i32 s20, 6
	s_cbranch_scc0 .LBB38_1365
; %bb.1363:
	global_load_dwordx2 v[6:7], v[8:9], off
	s_movk_i32 s0, 0xffe0
	s_waitcnt vmcnt(0)
	v_trunc_f64_e32 v[10:11], v[6:7]
	v_ldexp_f64 v[6:7], v[10:11], s0
	v_floor_f64_e32 v[14:15], v[6:7]
	v_fmac_f64_e32 v[10:11], 0xc1f00000, v[14:15]
	v_cvt_i32_f64_e32 v7, v[14:15]
	v_cvt_u32_f64_e32 v6, v[10:11]
	s_mov_b64 s[0:1], 0
	s_branch .LBB38_1366
.LBB38_1364:
	s_mov_b64 s[0:1], -1
                                        ; implicit-def: $vgpr6_vgpr7
	s_branch .LBB38_1369
.LBB38_1365:
	s_mov_b64 s[0:1], -1
                                        ; implicit-def: $vgpr6_vgpr7
.LBB38_1366:
	s_andn2_b64 vcc, exec, s[0:1]
	s_cbranch_vccnz .LBB38_1368
; %bb.1367:
	global_load_dword v5, v[8:9], off
	s_mov_b32 s0, 0x2f800000
	s_mov_b32 s1, 0xcf800000
	s_waitcnt vmcnt(0)
	v_trunc_f32_e32 v5, v5
	v_mul_f32_e64 v6, |v5|, s0
	v_floor_f32_e32 v6, v6
	v_cvt_u32_f32_e32 v7, v6
	v_fma_f32 v6, v6, s1, |v5|
	v_cvt_u32_f32_e32 v6, v6
	v_ashrrev_i32_e32 v5, 31, v5
	v_xor_b32_e32 v7, v7, v5
	v_xor_b32_e32 v6, v6, v5
	v_sub_co_u32_e32 v6, vcc, v6, v5
	s_nop 1
	v_subb_co_u32_e32 v7, vcc, v7, v5, vcc
.LBB38_1368:
	s_mov_b64 s[0:1], 0
.LBB38_1369:
	s_andn2_b64 vcc, exec, s[0:1]
	s_cbranch_vccnz .LBB38_1371
; %bb.1370:
	global_load_ushort v5, v[8:9], off
	s_waitcnt vmcnt(0)
	v_cvt_f32_f16_e32 v5, v5
	v_cvt_i32_f32_e32 v6, v5
	v_ashrrev_i32_e32 v7, 31, v6
.LBB38_1371:
	s_mov_b64 s[0:1], 0
.LBB38_1372:
	s_andn2_b64 vcc, exec, s[0:1]
	s_cbranch_vccnz .LBB38_1392
; %bb.1373:
	s_cmp_lt_i32 s20, 2
	s_cbranch_scc1 .LBB38_1377
; %bb.1374:
	s_cmp_lt_i32 s20, 3
	s_cbranch_scc1 .LBB38_1378
; %bb.1375:
	s_cmp_gt_i32 s20, 3
	s_cbranch_scc0 .LBB38_1379
; %bb.1376:
	global_load_dwordx2 v[6:7], v[8:9], off
	s_mov_b64 s[0:1], 0
	s_branch .LBB38_1380
.LBB38_1377:
	s_mov_b64 s[0:1], -1
                                        ; implicit-def: $vgpr6_vgpr7
	s_branch .LBB38_1386
.LBB38_1378:
	s_mov_b64 s[0:1], -1
                                        ; implicit-def: $vgpr6_vgpr7
	s_branch .LBB38_1383
.LBB38_1379:
	s_mov_b64 s[0:1], -1
                                        ; implicit-def: $vgpr6_vgpr7
.LBB38_1380:
	s_andn2_b64 vcc, exec, s[0:1]
	s_cbranch_vccnz .LBB38_1382
; %bb.1381:
	global_load_dword v6, v[8:9], off
	s_waitcnt vmcnt(0)
	v_ashrrev_i32_e32 v7, 31, v6
.LBB38_1382:
	s_mov_b64 s[0:1], 0
.LBB38_1383:
	s_andn2_b64 vcc, exec, s[0:1]
	s_cbranch_vccnz .LBB38_1385
; %bb.1384:
	global_load_ushort v5, v[8:9], off
	s_waitcnt vmcnt(0)
	v_bfe_i32 v6, v5, 0, 16
	v_ashrrev_i32_e32 v7, 31, v6
.LBB38_1385:
	s_mov_b64 s[0:1], 0
.LBB38_1386:
	s_andn2_b64 vcc, exec, s[0:1]
	s_cbranch_vccnz .LBB38_1392
; %bb.1387:
	s_cmp_gt_i32 s20, 0
	s_cbranch_scc0 .LBB38_1389
; %bb.1388:
	global_load_sbyte v5, v[8:9], off
	s_mov_b64 s[0:1], 0
	s_waitcnt vmcnt(0)
	v_bfe_i32 v6, v5, 0, 16
	v_ashrrev_i32_e32 v7, 31, v6
	s_branch .LBB38_1390
.LBB38_1389:
	s_mov_b64 s[0:1], -1
                                        ; implicit-def: $vgpr6_vgpr7
.LBB38_1390:
	s_andn2_b64 vcc, exec, s[0:1]
	s_cbranch_vccnz .LBB38_1392
; %bb.1391:
	global_load_ubyte v5, v[8:9], off
	s_mov_b32 s0, 0
	s_waitcnt vmcnt(1)
	v_mov_b32_e32 v7, s0
	s_waitcnt vmcnt(0)
	v_and_b32_e32 v6, 0xffff, v5
.LBB38_1392:
	s_branch .LBB38_1265
.LBB38_1393:
	s_mov_b64 s[0:1], 0
                                        ; implicit-def: $sgpr20
                                        ; implicit-def: $vgpr2_vgpr3
                                        ; implicit-def: $vgpr0_vgpr1
                                        ; implicit-def: $vgpr4_vgpr5
.LBB38_1394:
	s_mov_b64 s[4:5], 0
.LBB38_1395:
	s_and_b64 s[10:11], s[4:5], exec
	s_andn2_b64 s[4:5], s[12:13], exec
	s_and_b64 s[6:7], s[14:15], exec
	s_and_b64 s[0:1], s[0:1], exec
	s_or_b64 s[12:13], s[4:5], s[6:7]
.LBB38_1396:
	s_or_b64 exec, exec, s[2:3]
	s_and_saveexec_b64 s[2:3], s[12:13]
	s_cbranch_execz .LBB38_1399
; %bb.1397:
	; divergent unreachable
	s_or_b64 exec, exec, s[2:3]
	s_and_saveexec_b64 s[2:3], s[10:11]
	s_xor_b64 s[2:3], exec, s[2:3]
	s_cbranch_execnz .LBB38_1400
.LBB38_1398:
	s_or_b64 exec, exec, s[2:3]
	s_and_saveexec_b64 s[2:3], s[0:1]
	s_cbranch_execnz .LBB38_1401
	s_branch .LBB38_1438
.LBB38_1399:
	s_or_b64 exec, exec, s[2:3]
	s_and_saveexec_b64 s[2:3], s[10:11]
	s_xor_b64 s[2:3], exec, s[2:3]
	s_cbranch_execz .LBB38_1398
.LBB38_1400:
	s_waitcnt vmcnt(0)
	v_cmp_ne_u64_e32 vcc, -1, v[4:5]
	s_nop 1
	v_cndmask_b32_e64 v4, 0, 1, vcc
	global_store_byte v[2:3], v4, off
	s_or_b64 exec, exec, s[2:3]
	s_and_saveexec_b64 s[2:3], s[0:1]
	s_cbranch_execz .LBB38_1438
.LBB38_1401:
	s_sext_i32_i16 s2, s20
	s_cmp_lt_i32 s2, 5
	s_mov_b64 s[0:1], -1
	s_cbranch_scc1 .LBB38_1422
; %bb.1402:
	s_cmp_lt_i32 s2, 8
	s_cbranch_scc1 .LBB38_1412
; %bb.1403:
	s_cmp_lt_i32 s2, 9
	s_cbranch_scc1 .LBB38_1409
; %bb.1404:
	s_cmp_gt_i32 s2, 9
	s_cbranch_scc0 .LBB38_1406
; %bb.1405:
	s_waitcnt vmcnt(0)
	v_cvt_f64_i32_e32 v[4:5], v1
	v_ldexp_f64 v[4:5], v[4:5], 32
	v_cvt_f64_u32_e32 v[6:7], v0
	v_add_f64 v[4:5], v[4:5], v[6:7]
	v_mov_b32_e32 v6, 0
	v_mov_b32_e32 v7, v6
	global_store_dwordx4 v[2:3], v[4:7], off
	s_mov_b64 s[0:1], 0
.LBB38_1406:
	s_andn2_b64 vcc, exec, s[0:1]
	s_cbranch_vccnz .LBB38_1408
; %bb.1407:
	s_waitcnt vmcnt(0)
	v_xor_b32_e32 v5, v0, v1
	v_ffbh_i32_e32 v4, v1
	v_ashrrev_i32_e32 v5, 31, v5
	v_add_u32_e32 v4, -1, v4
	v_add_u32_e32 v5, 32, v5
	v_min_u32_e32 v6, v4, v5
	v_lshlrev_b64 v[4:5], v6, v[0:1]
	v_min_u32_e32 v4, 1, v4
	v_or_b32_e32 v4, v5, v4
	v_cvt_f32_i32_e32 v4, v4
	v_sub_u32_e32 v5, 32, v6
	v_ldexp_f32 v4, v4, v5
	v_mov_b32_e32 v5, 0
	global_store_dwordx2 v[2:3], v[4:5], off
.LBB38_1408:
	s_mov_b64 s[0:1], 0
.LBB38_1409:
	s_andn2_b64 vcc, exec, s[0:1]
	s_cbranch_vccnz .LBB38_1411
; %bb.1410:
	s_waitcnt vmcnt(0)
	v_xor_b32_e32 v5, v0, v1
	v_ffbh_i32_e32 v4, v1
	v_ashrrev_i32_e32 v5, 31, v5
	v_add_u32_e32 v4, -1, v4
	v_add_u32_e32 v5, 32, v5
	v_min_u32_e32 v6, v4, v5
	v_lshlrev_b64 v[4:5], v6, v[0:1]
	v_min_u32_e32 v4, 1, v4
	v_or_b32_e32 v4, v5, v4
	v_cvt_f32_i32_e32 v4, v4
	v_sub_u32_e32 v5, 32, v6
	v_ldexp_f32 v4, v4, v5
	v_cvt_f16_f32_e32 v4, v4
	global_store_dword v[2:3], v4, off
.LBB38_1411:
	s_mov_b64 s[0:1], 0
.LBB38_1412:
	s_andn2_b64 vcc, exec, s[0:1]
	s_cbranch_vccnz .LBB38_1421
; %bb.1413:
	s_sext_i32_i16 s2, s20
	s_cmp_lt_i32 s2, 6
	s_mov_b64 s[0:1], -1
	s_cbranch_scc1 .LBB38_1419
; %bb.1414:
	s_cmp_gt_i32 s2, 6
	s_cbranch_scc0 .LBB38_1416
; %bb.1415:
	s_waitcnt vmcnt(0)
	v_cvt_f64_i32_e32 v[4:5], v1
	v_ldexp_f64 v[4:5], v[4:5], 32
	v_cvt_f64_u32_e32 v[6:7], v0
	v_add_f64 v[4:5], v[4:5], v[6:7]
	global_store_dwordx2 v[2:3], v[4:5], off
	s_mov_b64 s[0:1], 0
.LBB38_1416:
	s_andn2_b64 vcc, exec, s[0:1]
	s_cbranch_vccnz .LBB38_1418
; %bb.1417:
	s_waitcnt vmcnt(0)
	v_xor_b32_e32 v5, v0, v1
	v_ffbh_i32_e32 v4, v1
	v_ashrrev_i32_e32 v5, 31, v5
	v_add_u32_e32 v4, -1, v4
	v_add_u32_e32 v5, 32, v5
	v_min_u32_e32 v6, v4, v5
	v_lshlrev_b64 v[4:5], v6, v[0:1]
	v_min_u32_e32 v4, 1, v4
	v_or_b32_e32 v4, v5, v4
	v_cvt_f32_i32_e32 v4, v4
	v_sub_u32_e32 v5, 32, v6
	v_ldexp_f32 v4, v4, v5
	global_store_dword v[2:3], v4, off
.LBB38_1418:
	s_mov_b64 s[0:1], 0
.LBB38_1419:
	s_andn2_b64 vcc, exec, s[0:1]
	s_cbranch_vccnz .LBB38_1421
; %bb.1420:
	s_waitcnt vmcnt(0)
	v_xor_b32_e32 v5, v0, v1
	v_ffbh_i32_e32 v4, v1
	v_ashrrev_i32_e32 v5, 31, v5
	v_add_u32_e32 v4, -1, v4
	v_add_u32_e32 v5, 32, v5
	v_min_u32_e32 v6, v4, v5
	v_lshlrev_b64 v[4:5], v6, v[0:1]
	v_min_u32_e32 v4, 1, v4
	v_or_b32_e32 v4, v5, v4
	v_cvt_f32_i32_e32 v4, v4
	v_sub_u32_e32 v5, 32, v6
	v_ldexp_f32 v4, v4, v5
	v_cvt_f16_f32_e32 v4, v4
	global_store_short v[2:3], v4, off
.LBB38_1421:
	s_mov_b64 s[0:1], 0
.LBB38_1422:
	s_andn2_b64 vcc, exec, s[0:1]
	s_cbranch_vccnz .LBB38_1438
; %bb.1423:
	s_sext_i32_i16 s2, s20
	s_cmp_lt_i32 s2, 2
	s_mov_b64 s[0:1], -1
	s_cbranch_scc1 .LBB38_1433
; %bb.1424:
	s_cmp_lt_i32 s2, 3
	s_cbranch_scc1 .LBB38_1430
; %bb.1425:
	s_cmp_gt_i32 s2, 3
	s_cbranch_scc0 .LBB38_1427
; %bb.1426:
	s_waitcnt vmcnt(0)
	global_store_dwordx2 v[2:3], v[0:1], off
	s_mov_b64 s[0:1], 0
.LBB38_1427:
	s_andn2_b64 vcc, exec, s[0:1]
	s_cbranch_vccnz .LBB38_1429
; %bb.1428:
	s_waitcnt vmcnt(0)
	global_store_dword v[2:3], v0, off
.LBB38_1429:
	s_mov_b64 s[0:1], 0
.LBB38_1430:
	s_andn2_b64 vcc, exec, s[0:1]
	s_cbranch_vccnz .LBB38_1432
; %bb.1431:
	s_waitcnt vmcnt(0)
	global_store_short v[2:3], v0, off
.LBB38_1432:
	s_mov_b64 s[0:1], 0
.LBB38_1433:
	s_andn2_b64 vcc, exec, s[0:1]
	s_cbranch_vccnz .LBB38_1438
; %bb.1434:
	s_sext_i32_i16 s0, s20
	s_cmp_gt_i32 s0, 0
	s_mov_b64 s[0:1], -1
	s_cbranch_scc0 .LBB38_1436
; %bb.1435:
	s_waitcnt vmcnt(0)
	global_store_byte v[2:3], v0, off
	s_mov_b64 s[0:1], 0
.LBB38_1436:
	s_andn2_b64 vcc, exec, s[0:1]
	s_cbranch_vccnz .LBB38_1438
; %bb.1437:
	s_waitcnt vmcnt(0)
	global_store_byte v[2:3], v0, off
	s_endpgm
.LBB38_1438:
	s_endpgm
.LBB38_1439:
	s_trap 2
	s_or_b64 s[14:15], s[14:15], exec
	s_cbranch_execz .LBB38_1343
	s_branch .LBB38_1344
.LBB38_1440:
	s_mov_b64 s[0:1], -1
                                        ; implicit-def: $vgpr4_vgpr5
	s_mov_b64 s[10:11], 0
.LBB38_1441:
	s_and_b64 vcc, exec, s[16:17]
	s_cbranch_vccz .LBB38_1445
; %bb.1442:
	s_cmp_eq_u32 s20, 44
	s_cbranch_scc0 .LBB38_1444
; %bb.1443:
	global_load_ubyte v4, v[8:9], off
	s_mov_b32 s0, 0x2f800000
	s_mov_b32 s1, 0xcf800000
	s_mov_b64 s[10:11], -1
	s_waitcnt vmcnt(0)
	v_lshlrev_b32_e32 v5, 23, v4
	v_trunc_f32_e32 v5, v5
	v_mul_f32_e64 v10, |v5|, s0
	v_floor_f32_e32 v10, v10
	v_fma_f32 v11, v10, s1, |v5|
	v_cvt_u32_f32_e32 v11, v11
	v_cvt_u32_f32_e32 v10, v10
	v_ashrrev_i32_e32 v5, 31, v5
	s_mov_b64 s[0:1], 0
	v_xor_b32_e32 v11, v11, v5
	v_xor_b32_e32 v10, v10, v5
	v_sub_co_u32_e32 v11, vcc, v11, v5
	s_nop 1
	v_subb_co_u32_e32 v5, vcc, v10, v5, vcc
	v_cmp_ne_u32_e32 vcc, 0, v4
	s_nop 1
	v_cndmask_b32_e32 v5, 0, v5, vcc
	v_cndmask_b32_e32 v4, 0, v11, vcc
	s_branch .LBB38_1445
.LBB38_1444:
	s_mov_b64 s[0:1], -1
                                        ; implicit-def: $vgpr4_vgpr5
.LBB38_1445:
	s_mov_b64 s[16:17], 0
.LBB38_1446:
	s_and_b64 vcc, exec, s[16:17]
	s_cbranch_vccz .LBB38_1450
; %bb.1447:
	s_cmp_eq_u32 s20, 29
	s_cbranch_scc0 .LBB38_1449
; %bb.1448:
	global_load_dwordx2 v[4:5], v[8:9], off
	s_mov_b64 s[0:1], 0
	s_mov_b64 s[10:11], -1
	s_branch .LBB38_1450
.LBB38_1449:
	s_mov_b64 s[0:1], -1
                                        ; implicit-def: $vgpr4_vgpr5
.LBB38_1450:
	s_mov_b64 s[16:17], 0
.LBB38_1451:
	s_and_b64 vcc, exec, s[16:17]
	s_cbranch_vccz .LBB38_1467
; %bb.1452:
	s_cmp_lt_i32 s20, 27
	s_cbranch_scc1 .LBB38_1455
; %bb.1453:
	s_cmp_gt_i32 s20, 27
	s_cbranch_scc0 .LBB38_1456
; %bb.1454:
	global_load_dword v4, v[8:9], off
	s_waitcnt vmcnt(1)
	v_mov_b32_e32 v5, 0
	s_mov_b64 s[10:11], 0
	s_branch .LBB38_1457
.LBB38_1455:
	s_mov_b64 s[10:11], -1
                                        ; implicit-def: $vgpr4_vgpr5
	s_branch .LBB38_1460
.LBB38_1456:
	s_mov_b64 s[10:11], -1
                                        ; implicit-def: $vgpr4_vgpr5
.LBB38_1457:
	s_andn2_b64 vcc, exec, s[10:11]
	s_cbranch_vccnz .LBB38_1459
; %bb.1458:
	global_load_ushort v4, v[8:9], off
	s_mov_b32 s9, 0
	s_waitcnt vmcnt(1)
	v_mov_b32_e32 v5, s9
	s_waitcnt vmcnt(0)
	v_and_b32_e32 v4, 0xffff, v4
.LBB38_1459:
	s_mov_b64 s[10:11], 0
.LBB38_1460:
	s_andn2_b64 vcc, exec, s[10:11]
	s_cbranch_vccnz .LBB38_1466
; %bb.1461:
	global_load_ubyte v10, v[8:9], off
	s_movk_i32 s9, 0x7f
	s_mov_b64 s[16:17], 0
	s_waitcnt vmcnt(0)
	v_cmp_lt_i16_e32 vcc, s9, v10
	s_and_saveexec_b64 s[10:11], vcc
	s_xor_b64 s[10:11], exec, s[10:11]
	s_cbranch_execz .LBB38_1478
; %bb.1462:
	s_movk_i32 s9, 0x80
	v_cmp_ne_u16_e32 vcc, s9, v10
	s_and_b64 s[16:17], vcc, exec
	s_andn2_saveexec_b64 s[10:11], s[10:11]
	s_cbranch_execnz .LBB38_1479
.LBB38_1463:
	s_or_b64 exec, exec, s[10:11]
	v_mov_b64_e32 v[4:5], 0
	s_and_saveexec_b64 s[10:11], s[16:17]
	s_cbranch_execz .LBB38_1465
.LBB38_1464:
	v_and_b32_e32 v5, 0xffff, v10
	v_lshlrev_b32_e32 v4, 24, v10
	v_and_b32_e32 v10, 7, v5
	v_ffbh_u32_e32 v13, v10
	v_min_u32_e32 v13, 32, v13
	v_subrev_u32_e32 v14, 28, v13
	v_bfe_u32 v11, v5, 3, 4
	v_lshlrev_b32_e32 v5, v14, v5
	v_sub_u32_e32 v13, 29, v13
	v_and_b32_e32 v5, 7, v5
	v_cmp_eq_u32_e32 vcc, 0, v11
	v_and_b32_e32 v4, 0x80000000, v4
	s_mov_b32 s9, 0x2f800000
	v_cndmask_b32_e32 v11, v11, v13, vcc
	v_cndmask_b32_e32 v5, v10, v5, vcc
	v_mov_b32_e32 v10, 0x3b800000
	v_lshlrev_b32_e32 v5, 20, v5
	v_lshl_add_u32 v10, v11, 23, v10
	v_or3_b32 v4, v4, v10, v5
	v_trunc_f32_e32 v4, v4
	v_mul_f32_e64 v5, |v4|, s9
	v_floor_f32_e32 v5, v5
	s_mov_b32 s9, 0xcf800000
	v_fma_f32 v10, v5, s9, |v4|
	v_cvt_u32_f32_e32 v10, v10
	v_cvt_u32_f32_e32 v5, v5
	v_ashrrev_i32_e32 v11, 31, v4
	v_xor_b32_e32 v4, v10, v11
	v_xor_b32_e32 v5, v5, v11
	v_sub_co_u32_e32 v4, vcc, v4, v11
	s_nop 1
	v_subb_co_u32_e32 v5, vcc, v5, v11, vcc
.LBB38_1465:
	s_or_b64 exec, exec, s[10:11]
.LBB38_1466:
	s_mov_b64 s[10:11], -1
.LBB38_1467:
	s_mov_b64 s[16:17], 0
.LBB38_1468:
	s_and_b64 vcc, exec, s[16:17]
	s_cbranch_vccz .LBB38_1499
; %bb.1469:
	s_cmp_gt_i32 s20, 22
	s_cbranch_scc0 .LBB38_1477
; %bb.1470:
	s_cmp_lt_i32 s20, 24
	s_cbranch_scc1 .LBB38_1480
; %bb.1471:
	s_cmp_gt_i32 s20, 24
	s_cbranch_scc0 .LBB38_1481
; %bb.1472:
	global_load_ubyte v10, v[8:9], off
	s_movk_i32 s6, 0x7f
	s_mov_b64 s[10:11], 0
	s_waitcnt vmcnt(0)
	v_cmp_lt_i16_e32 vcc, s6, v10
	s_and_saveexec_b64 s[6:7], vcc
	s_xor_b64 s[6:7], exec, s[6:7]
	s_cbranch_execz .LBB38_1493
; %bb.1473:
	s_movk_i32 s9, 0x80
	v_cmp_ne_u16_e32 vcc, s9, v10
	s_and_b64 s[10:11], vcc, exec
	s_andn2_saveexec_b64 s[6:7], s[6:7]
	s_cbranch_execnz .LBB38_1494
.LBB38_1474:
	s_or_b64 exec, exec, s[6:7]
	v_mov_b64_e32 v[4:5], 0
	s_and_saveexec_b64 s[6:7], s[10:11]
	s_cbranch_execz .LBB38_1476
.LBB38_1475:
	v_and_b32_e32 v5, 0xffff, v10
	v_lshlrev_b32_e32 v4, 24, v10
	v_and_b32_e32 v10, 3, v5
	v_ffbh_u32_e32 v13, v10
	v_min_u32_e32 v13, 32, v13
	v_subrev_u32_e32 v14, 29, v13
	v_bfe_u32 v11, v5, 2, 5
	v_lshlrev_b32_e32 v5, v14, v5
	v_sub_u32_e32 v13, 30, v13
	v_and_b32_e32 v5, 3, v5
	v_cmp_eq_u32_e32 vcc, 0, v11
	v_and_b32_e32 v4, 0x80000000, v4
	s_mov_b32 s9, 0x2f800000
	v_cndmask_b32_e32 v11, v11, v13, vcc
	v_cndmask_b32_e32 v5, v10, v5, vcc
	v_mov_b32_e32 v10, 0x37800000
	v_lshlrev_b32_e32 v5, 21, v5
	v_lshl_add_u32 v10, v11, 23, v10
	v_or3_b32 v4, v4, v10, v5
	v_trunc_f32_e32 v4, v4
	v_mul_f32_e64 v5, |v4|, s9
	v_floor_f32_e32 v5, v5
	s_mov_b32 s9, 0xcf800000
	v_fma_f32 v10, v5, s9, |v4|
	v_cvt_u32_f32_e32 v10, v10
	v_cvt_u32_f32_e32 v5, v5
	v_ashrrev_i32_e32 v11, 31, v4
	v_xor_b32_e32 v4, v10, v11
	v_xor_b32_e32 v5, v5, v11
	v_sub_co_u32_e32 v4, vcc, v4, v11
	s_nop 1
	v_subb_co_u32_e32 v5, vcc, v5, v11, vcc
.LBB38_1476:
	s_or_b64 exec, exec, s[6:7]
	s_mov_b64 s[6:7], 0
	s_branch .LBB38_1482
.LBB38_1477:
	s_mov_b64 s[6:7], -1
                                        ; implicit-def: $vgpr4_vgpr5
	s_branch .LBB38_1488
.LBB38_1478:
	s_andn2_saveexec_b64 s[10:11], s[10:11]
	s_cbranch_execz .LBB38_1463
.LBB38_1479:
	v_cmp_ne_u16_e32 vcc, 0, v10
	s_andn2_b64 s[16:17], s[16:17], exec
	s_and_b64 s[18:19], vcc, exec
	s_or_b64 s[16:17], s[16:17], s[18:19]
	s_or_b64 exec, exec, s[10:11]
	v_mov_b64_e32 v[4:5], 0
	s_and_saveexec_b64 s[10:11], s[16:17]
	s_cbranch_execnz .LBB38_1464
	s_branch .LBB38_1465
.LBB38_1480:
	s_mov_b64 s[6:7], -1
                                        ; implicit-def: $vgpr4_vgpr5
	s_branch .LBB38_1485
.LBB38_1481:
	s_mov_b64 s[6:7], -1
                                        ; implicit-def: $vgpr4_vgpr5
.LBB38_1482:
	s_and_b64 vcc, exec, s[6:7]
	s_cbranch_vccz .LBB38_1484
; %bb.1483:
	global_load_ubyte v4, v[8:9], off
	s_mov_b32 s6, 0x7f800000
	s_brev_b32 s7, 1
	s_mov_b32 s9, 0x2f800000
	s_mov_b32 s10, 0xcf800000
	s_waitcnt vmcnt(0)
	v_lshlrev_b32_e32 v4, 24, v4
	v_and_b32_e32 v5, 0x7f000000, v4
	v_ffbh_u32_e32 v10, v5
	v_min_u32_e32 v10, 32, v10
	v_sub_u32_e64 v10, v10, 4 clamp
	v_lshlrev_b32_e32 v13, v10, v5
	v_lshlrev_b32_e32 v10, 23, v10
	v_lshrrev_b32_e32 v13, 4, v13
	v_add_u32_e32 v11, 0x1000000, v5
	v_sub_u32_e32 v10, v13, v10
	v_ashrrev_i32_e32 v11, 8, v11
	v_add_u32_e32 v10, 0x3c000000, v10
	v_and_or_b32 v10, v11, s6, v10
	v_cmp_ne_u32_e32 vcc, 0, v5
	s_nop 1
	v_cndmask_b32_e32 v5, 0, v10, vcc
	v_and_or_b32 v4, v4, s7, v5
	v_trunc_f32_e32 v4, v4
	v_mul_f32_e64 v5, |v4|, s9
	v_floor_f32_e32 v5, v5
	v_fma_f32 v10, v5, s10, |v4|
	v_cvt_u32_f32_e32 v10, v10
	v_cvt_u32_f32_e32 v5, v5
	v_ashrrev_i32_e32 v11, 31, v4
	v_xor_b32_e32 v4, v10, v11
	v_xor_b32_e32 v5, v5, v11
	v_sub_co_u32_e32 v4, vcc, v4, v11
	s_nop 1
	v_subb_co_u32_e32 v5, vcc, v5, v11, vcc
.LBB38_1484:
	s_mov_b64 s[6:7], 0
.LBB38_1485:
	s_andn2_b64 vcc, exec, s[6:7]
	s_cbranch_vccnz .LBB38_1487
; %bb.1486:
	global_load_ubyte v4, v[8:9], off
	s_movk_i32 s6, 0x7f00
	s_brev_b32 s7, 16
	s_brev_b32 s9, 1
	s_mov_b32 s10, 0x2f800000
	s_mov_b32 s11, 0xcf800000
	s_waitcnt vmcnt(0)
	v_lshlrev_b16_e32 v5, 8, v4
	v_lshlrev_b32_e32 v4, 25, v4
	v_lshrrev_b32_e32 v10, 4, v4
	v_and_or_b32 v11, v5, s6, 0.5
	v_or_b32_e32 v10, 0x70000000, v10
	v_add_f32_e32 v11, -0.5, v11
	v_mul_f32_e32 v10, 0x7800000, v10
	v_cmp_gt_u32_e32 vcc, s7, v4
	v_bfe_i32 v5, v5, 0, 16
	s_nop 0
	v_cndmask_b32_e32 v4, v10, v11, vcc
	v_and_or_b32 v4, v5, s9, v4
	v_trunc_f32_e32 v4, v4
	v_mul_f32_e64 v5, |v4|, s10
	v_floor_f32_e32 v5, v5
	v_fma_f32 v10, v5, s11, |v4|
	v_cvt_u32_f32_e32 v10, v10
	v_cvt_u32_f32_e32 v5, v5
	v_ashrrev_i32_e32 v11, 31, v4
	v_xor_b32_e32 v4, v10, v11
	v_xor_b32_e32 v5, v5, v11
	v_sub_co_u32_e32 v4, vcc, v4, v11
	s_nop 1
	v_subb_co_u32_e32 v5, vcc, v5, v11, vcc
.LBB38_1487:
	s_mov_b64 s[6:7], 0
	s_mov_b64 s[10:11], -1
.LBB38_1488:
	s_andn2_b64 vcc, exec, s[6:7]
	s_mov_b64 s[6:7], 0
	s_cbranch_vccnz .LBB38_1499
; %bb.1489:
	s_cmp_gt_i32 s20, 14
	s_cbranch_scc0 .LBB38_1492
; %bb.1490:
	s_cmp_eq_u32 s20, 15
	s_cbranch_scc0 .LBB38_1495
; %bb.1491:
	global_load_ushort v4, v[8:9], off
	s_mov_b32 s0, 0x2f800000
	s_mov_b32 s1, 0xcf800000
	s_mov_b64 s[10:11], -1
	s_waitcnt vmcnt(0)
	v_lshlrev_b32_e32 v4, 16, v4
	v_trunc_f32_e32 v4, v4
	v_mul_f32_e64 v5, |v4|, s0
	v_floor_f32_e32 v5, v5
	v_fma_f32 v10, v5, s1, |v4|
	v_cvt_u32_f32_e32 v10, v10
	v_cvt_u32_f32_e32 v5, v5
	v_ashrrev_i32_e32 v11, 31, v4
	s_mov_b64 s[0:1], 0
	v_xor_b32_e32 v4, v10, v11
	v_xor_b32_e32 v5, v5, v11
	v_sub_co_u32_e32 v4, vcc, v4, v11
	s_nop 1
	v_subb_co_u32_e32 v5, vcc, v5, v11, vcc
	s_branch .LBB38_1496
.LBB38_1492:
	s_mov_b64 s[16:17], -1
                                        ; implicit-def: $vgpr4_vgpr5
	s_branch .LBB38_1497
.LBB38_1493:
	s_andn2_saveexec_b64 s[6:7], s[6:7]
	s_cbranch_execz .LBB38_1474
.LBB38_1494:
	v_cmp_ne_u16_e32 vcc, 0, v10
	s_andn2_b64 s[10:11], s[10:11], exec
	s_and_b64 s[16:17], vcc, exec
	s_or_b64 s[10:11], s[10:11], s[16:17]
	s_or_b64 exec, exec, s[6:7]
	v_mov_b64_e32 v[4:5], 0
	s_and_saveexec_b64 s[6:7], s[10:11]
	s_cbranch_execnz .LBB38_1475
	s_branch .LBB38_1476
.LBB38_1495:
	s_mov_b64 s[0:1], -1
                                        ; implicit-def: $vgpr4_vgpr5
.LBB38_1496:
	s_mov_b64 s[16:17], 0
.LBB38_1497:
	s_and_b64 vcc, exec, s[16:17]
	s_cbranch_vccz .LBB38_1499
; %bb.1498:
	s_cmp_lg_u32 s20, 11
	s_mov_b64 s[6:7], -1
	s_cselect_b64 s[0:1], -1, 0
.LBB38_1499:
	s_and_b64 vcc, exec, s[0:1]
	s_cbranch_vccnz .LBB38_1988
; %bb.1500:
	s_andn2_b64 vcc, exec, s[6:7]
	s_cbranch_vccnz .LBB38_1502
.LBB38_1501:
	global_load_ubyte v4, v[8:9], off
	s_mov_b32 s0, 0
	s_waitcnt vmcnt(1)
	v_mov_b32_e32 v5, s0
	s_mov_b64 s[10:11], -1
	s_waitcnt vmcnt(0)
	v_cmp_ne_u16_e32 vcc, 0, v4
	s_nop 1
	v_cndmask_b32_e64 v4, 0, 1, vcc
.LBB38_1502:
	s_mov_b64 s[0:1], 0
.LBB38_1503:
	s_and_b64 vcc, exec, s[0:1]
	s_cbranch_vccz .LBB38_1552
; %bb.1504:
	s_cmp_lt_i32 s20, 5
	s_cbranch_scc1 .LBB38_1509
; %bb.1505:
	s_cmp_lt_i32 s20, 8
	s_cbranch_scc1 .LBB38_1510
	;; [unrolled: 3-line block ×3, first 2 shown]
; %bb.1507:
	s_cmp_gt_i32 s20, 9
	s_cbranch_scc0 .LBB38_1512
; %bb.1508:
	global_load_dwordx2 v[4:5], v[8:9], off
	s_movk_i32 s0, 0xffe0
	s_waitcnt vmcnt(0)
	v_trunc_f64_e32 v[10:11], v[4:5]
	v_ldexp_f64 v[4:5], v[10:11], s0
	v_floor_f64_e32 v[14:15], v[4:5]
	v_fmac_f64_e32 v[10:11], 0xc1f00000, v[14:15]
	v_cvt_i32_f64_e32 v5, v[14:15]
	v_cvt_u32_f64_e32 v4, v[10:11]
	s_mov_b64 s[0:1], 0
	s_branch .LBB38_1513
.LBB38_1509:
	s_mov_b64 s[0:1], -1
                                        ; implicit-def: $vgpr4_vgpr5
	s_branch .LBB38_1531
.LBB38_1510:
	s_mov_b64 s[0:1], -1
                                        ; implicit-def: $vgpr4_vgpr5
	s_branch .LBB38_1519
.LBB38_1511:
	s_mov_b64 s[0:1], -1
                                        ; implicit-def: $vgpr4_vgpr5
	s_branch .LBB38_1516
.LBB38_1512:
	s_mov_b64 s[0:1], -1
                                        ; implicit-def: $vgpr4_vgpr5
.LBB38_1513:
	s_andn2_b64 vcc, exec, s[0:1]
	s_cbranch_vccnz .LBB38_1515
; %bb.1514:
	global_load_dword v4, v[8:9], off
	s_mov_b32 s0, 0x2f800000
	s_mov_b32 s1, 0xcf800000
	s_waitcnt vmcnt(0)
	v_trunc_f32_e32 v4, v4
	v_mul_f32_e64 v5, |v4|, s0
	v_floor_f32_e32 v5, v5
	v_cvt_u32_f32_e32 v10, v5
	v_fma_f32 v5, v5, s1, |v4|
	v_cvt_u32_f32_e32 v5, v5
	v_ashrrev_i32_e32 v11, 31, v4
	v_xor_b32_e32 v10, v10, v11
	v_xor_b32_e32 v4, v5, v11
	v_sub_co_u32_e32 v4, vcc, v4, v11
	s_nop 1
	v_subb_co_u32_e32 v5, vcc, v10, v11, vcc
.LBB38_1515:
	s_mov_b64 s[0:1], 0
.LBB38_1516:
	s_andn2_b64 vcc, exec, s[0:1]
	s_cbranch_vccnz .LBB38_1518
; %bb.1517:
	global_load_dword v4, v[8:9], off
	s_waitcnt vmcnt(0)
	v_cvt_f32_f16_e32 v4, v4
	v_cvt_i32_f32_e32 v4, v4
	v_ashrrev_i32_e32 v5, 31, v4
.LBB38_1518:
	s_mov_b64 s[0:1], 0
.LBB38_1519:
	s_andn2_b64 vcc, exec, s[0:1]
	s_cbranch_vccnz .LBB38_1530
; %bb.1520:
	s_cmp_lt_i32 s20, 6
	s_cbranch_scc1 .LBB38_1523
; %bb.1521:
	s_cmp_gt_i32 s20, 6
	s_cbranch_scc0 .LBB38_1524
; %bb.1522:
	global_load_dwordx2 v[4:5], v[8:9], off
	s_movk_i32 s0, 0xffe0
	s_waitcnt vmcnt(0)
	v_trunc_f64_e32 v[10:11], v[4:5]
	v_ldexp_f64 v[4:5], v[10:11], s0
	v_floor_f64_e32 v[14:15], v[4:5]
	v_fmac_f64_e32 v[10:11], 0xc1f00000, v[14:15]
	v_cvt_i32_f64_e32 v5, v[14:15]
	v_cvt_u32_f64_e32 v4, v[10:11]
	s_mov_b64 s[0:1], 0
	s_branch .LBB38_1525
.LBB38_1523:
	s_mov_b64 s[0:1], -1
                                        ; implicit-def: $vgpr4_vgpr5
	s_branch .LBB38_1528
.LBB38_1524:
	s_mov_b64 s[0:1], -1
                                        ; implicit-def: $vgpr4_vgpr5
.LBB38_1525:
	s_andn2_b64 vcc, exec, s[0:1]
	s_cbranch_vccnz .LBB38_1527
; %bb.1526:
	global_load_dword v4, v[8:9], off
	s_mov_b32 s0, 0x2f800000
	s_mov_b32 s1, 0xcf800000
	s_waitcnt vmcnt(0)
	v_trunc_f32_e32 v4, v4
	v_mul_f32_e64 v5, |v4|, s0
	v_floor_f32_e32 v5, v5
	v_cvt_u32_f32_e32 v10, v5
	v_fma_f32 v5, v5, s1, |v4|
	v_cvt_u32_f32_e32 v5, v5
	v_ashrrev_i32_e32 v11, 31, v4
	v_xor_b32_e32 v10, v10, v11
	v_xor_b32_e32 v4, v5, v11
	v_sub_co_u32_e32 v4, vcc, v4, v11
	s_nop 1
	v_subb_co_u32_e32 v5, vcc, v10, v11, vcc
.LBB38_1527:
	s_mov_b64 s[0:1], 0
.LBB38_1528:
	s_andn2_b64 vcc, exec, s[0:1]
	s_cbranch_vccnz .LBB38_1530
; %bb.1529:
	global_load_ushort v4, v[8:9], off
	s_waitcnt vmcnt(0)
	v_cvt_f32_f16_e32 v4, v4
	v_cvt_i32_f32_e32 v4, v4
	v_ashrrev_i32_e32 v5, 31, v4
.LBB38_1530:
	s_mov_b64 s[0:1], 0
.LBB38_1531:
	s_andn2_b64 vcc, exec, s[0:1]
	s_cbranch_vccnz .LBB38_1551
; %bb.1532:
	s_cmp_lt_i32 s20, 2
	s_cbranch_scc1 .LBB38_1536
; %bb.1533:
	s_cmp_lt_i32 s20, 3
	s_cbranch_scc1 .LBB38_1537
; %bb.1534:
	s_cmp_gt_i32 s20, 3
	s_cbranch_scc0 .LBB38_1538
; %bb.1535:
	global_load_dwordx2 v[4:5], v[8:9], off
	s_mov_b64 s[0:1], 0
	s_branch .LBB38_1539
.LBB38_1536:
	s_mov_b64 s[0:1], -1
                                        ; implicit-def: $vgpr4_vgpr5
	s_branch .LBB38_1545
.LBB38_1537:
	s_mov_b64 s[0:1], -1
                                        ; implicit-def: $vgpr4_vgpr5
	s_branch .LBB38_1542
.LBB38_1538:
	s_mov_b64 s[0:1], -1
                                        ; implicit-def: $vgpr4_vgpr5
.LBB38_1539:
	s_andn2_b64 vcc, exec, s[0:1]
	s_cbranch_vccnz .LBB38_1541
; %bb.1540:
	global_load_dword v4, v[8:9], off
	s_waitcnt vmcnt(0)
	v_ashrrev_i32_e32 v5, 31, v4
.LBB38_1541:
	s_mov_b64 s[0:1], 0
.LBB38_1542:
	s_andn2_b64 vcc, exec, s[0:1]
	s_cbranch_vccnz .LBB38_1544
; %bb.1543:
	global_load_ushort v4, v[8:9], off
	s_waitcnt vmcnt(0)
	v_bfe_i32 v4, v4, 0, 16
	v_ashrrev_i32_e32 v5, 31, v4
.LBB38_1544:
	s_mov_b64 s[0:1], 0
.LBB38_1545:
	s_andn2_b64 vcc, exec, s[0:1]
	s_cbranch_vccnz .LBB38_1551
; %bb.1546:
	s_cmp_gt_i32 s20, 0
	s_cbranch_scc0 .LBB38_1548
; %bb.1547:
	global_load_sbyte v4, v[8:9], off
	s_mov_b64 s[0:1], 0
	s_waitcnt vmcnt(0)
	v_bfe_i32 v4, v4, 0, 16
	v_ashrrev_i32_e32 v5, 31, v4
	s_branch .LBB38_1549
.LBB38_1548:
	s_mov_b64 s[0:1], -1
                                        ; implicit-def: $vgpr4_vgpr5
.LBB38_1549:
	s_andn2_b64 vcc, exec, s[0:1]
	s_cbranch_vccnz .LBB38_1551
; %bb.1550:
	global_load_ubyte v4, v[8:9], off
	s_mov_b32 s0, 0
	s_waitcnt vmcnt(1)
	v_mov_b32_e32 v5, s0
	s_waitcnt vmcnt(0)
	v_and_b32_e32 v4, 0xffff, v4
.LBB38_1551:
	s_mov_b64 s[10:11], -1
.LBB38_1552:
	s_andn2_b64 vcc, exec, s[10:11]
	s_cbranch_vccnz .LBB38_1986
; %bb.1553:
	v_mul_lo_u32 v8, s8, v12
	v_ashrrev_i32_e32 v9, 31, v8
	s_and_b32 s20, s33, 0xff
	s_waitcnt vmcnt(0)
	v_not_b32_e32 v11, v1
	v_not_b32_e32 v10, v0
	s_cmp_lt_i32 s20, 11
	v_lshl_add_u64 v[12:13], s[4:5], 0, v[8:9]
	s_cbranch_scc1 .LBB38_1631
; %bb.1554:
	s_and_b32 s9, 0xffff, s20
	s_mov_b64 s[16:17], -1
	s_mov_b64 s[6:7], 0
	s_cmp_gt_i32 s9, 25
	s_mov_b64 s[10:11], 0
	s_mov_b64 s[0:1], 0
	s_cbranch_scc0 .LBB38_1587
; %bb.1555:
	s_cmp_gt_i32 s9, 28
	s_cbranch_scc0 .LBB38_1570
; %bb.1556:
	s_cmp_gt_i32 s9, 43
	;; [unrolled: 3-line block ×3, first 2 shown]
	s_cbranch_scc0 .LBB38_1560
; %bb.1558:
	s_mov_b64 s[0:1], -1
	s_mov_b64 s[16:17], 0
	s_cmp_eq_u32 s9, 46
	s_cbranch_scc0 .LBB38_1560
; %bb.1559:
	v_xor_b32_e32 v14, v10, v11
	v_ffbh_i32_e32 v9, v11
	v_ashrrev_i32_e32 v14, 31, v14
	v_add_u32_e32 v9, -1, v9
	v_add_u32_e32 v14, 32, v14
	v_min_u32_e32 v9, v9, v14
	v_lshlrev_b64 v[14:15], v9, v[10:11]
	v_min_u32_e32 v14, 1, v14
	v_or_b32_e32 v14, v15, v14
	v_cvt_f32_i32_e32 v14, v14
	v_sub_u32_e32 v9, 32, v9
	s_movk_i32 s0, 0x7fff
	s_mov_b64 s[10:11], -1
	v_ldexp_f32 v9, v14, v9
	v_bfe_u32 v14, v9, 16, 1
	v_add3_u32 v9, v9, v14, s0
	v_lshrrev_b32_e32 v9, 16, v9
	global_store_dword v[12:13], v9, off
	s_mov_b64 s[0:1], 0
.LBB38_1560:
	s_and_b64 vcc, exec, s[16:17]
	s_cbranch_vccz .LBB38_1565
; %bb.1561:
	s_cmp_eq_u32 s9, 44
	s_mov_b64 s[0:1], -1
	s_cbranch_scc0 .LBB38_1565
; %bb.1562:
	v_xor_b32_e32 v14, v10, v11
	v_ffbh_i32_e32 v9, v11
	v_ashrrev_i32_e32 v14, 31, v14
	v_add_u32_e32 v9, -1, v9
	v_add_u32_e32 v14, 32, v14
	v_min_u32_e32 v9, v9, v14
	v_lshlrev_b64 v[14:15], v9, v[10:11]
	v_min_u32_e32 v14, 1, v14
	v_or_b32_e32 v14, v15, v14
	v_cvt_f32_i32_e32 v14, v14
	v_sub_u32_e32 v9, 32, v9
	s_movk_i32 s0, 0xff
	v_mov_b32_e32 v15, 0xff
	v_ldexp_f32 v9, v14, v9
	v_bfe_u32 v14, v9, 23, 8
	v_cmp_ne_u32_e32 vcc, s0, v14
	s_and_saveexec_b64 s[10:11], vcc
; %bb.1563:
	s_mov_b32 s0, 0x3fffff
	v_lshrrev_b32_e32 v15, 23, v9
	v_and_b32_e32 v16, 0x400000, v9
	v_and_or_b32 v9, v9, s0, v14
	v_cmp_ne_u32_e32 vcc, 0, v16
	v_cmp_ne_u32_e64 s[0:1], 0, v9
	s_and_b64 s[0:1], vcc, s[0:1]
	s_nop 0
	v_cndmask_b32_e64 v9, 0, 1, s[0:1]
	v_add_u32_e32 v15, v15, v9
; %bb.1564:
	s_or_b64 exec, exec, s[10:11]
	s_mov_b64 s[0:1], 0
	s_mov_b64 s[10:11], -1
	global_store_byte v[12:13], v15, off
.LBB38_1565:
	s_mov_b64 s[16:17], 0
.LBB38_1566:
	s_and_b64 vcc, exec, s[16:17]
	s_cbranch_vccz .LBB38_1569
; %bb.1567:
	s_cmp_eq_u32 s9, 29
	s_mov_b64 s[0:1], -1
	s_cbranch_scc0 .LBB38_1569
; %bb.1568:
	global_store_dwordx2 v[12:13], v[10:11], off
	s_mov_b64 s[0:1], 0
	s_mov_b64 s[10:11], -1
.LBB38_1569:
	s_mov_b64 s[16:17], 0
.LBB38_1570:
	s_and_b64 vcc, exec, s[16:17]
	s_cbranch_vccz .LBB38_1586
; %bb.1571:
	s_cmp_lt_i32 s9, 27
	s_mov_b64 s[10:11], -1
	s_cbranch_scc1 .LBB38_1577
; %bb.1572:
	s_cmp_gt_i32 s9, 27
	s_cbranch_scc0 .LBB38_1574
; %bb.1573:
	s_mov_b64 s[10:11], 0
	global_store_dword v[12:13], v10, off
.LBB38_1574:
	s_andn2_b64 vcc, exec, s[10:11]
	s_cbranch_vccnz .LBB38_1576
; %bb.1575:
	global_store_short v[12:13], v10, off
.LBB38_1576:
	s_mov_b64 s[10:11], 0
.LBB38_1577:
	s_andn2_b64 vcc, exec, s[10:11]
	s_cbranch_vccnz .LBB38_1585
; %bb.1578:
	v_xor_b32_e32 v14, v10, v11
	v_ffbh_i32_e32 v9, v11
	v_ashrrev_i32_e32 v14, 31, v14
	v_add_u32_e32 v9, -1, v9
	v_add_u32_e32 v14, 32, v14
	v_min_u32_e32 v9, v9, v14
	v_lshlrev_b64 v[14:15], v9, v[10:11]
	v_min_u32_e32 v14, 1, v14
	v_or_b32_e32 v14, v15, v14
	v_cvt_f32_i32_e32 v14, v14
	v_sub_u32_e32 v9, 32, v9
	s_mov_b32 s10, 0x43800000
	v_mov_b32_e32 v15, 0x80
	v_ldexp_f32 v9, v14, v9
	v_and_b32_e32 v14, 0x7fffffff, v9
	v_cmp_gt_u32_e32 vcc, s10, v14
	s_and_saveexec_b64 s[10:11], vcc
	s_cbranch_execz .LBB38_1584
; %bb.1579:
	s_mov_b32 s16, 0x3bffffff
	v_cmp_lt_u32_e32 vcc, s16, v14
	s_mov_b64 s[16:17], 0
                                        ; implicit-def: $vgpr14
	s_and_saveexec_b64 s[18:19], vcc
	s_xor_b64 s[18:19], exec, s[18:19]
	s_cbranch_execz .LBB38_1989
; %bb.1580:
	v_bfe_u32 v14, v9, 20, 1
	s_mov_b32 s21, 0x487ffff
	v_add3_u32 v14, v9, v14, s21
	s_mov_b64 s[16:17], exec
	v_lshrrev_b32_e32 v14, 20, v14
	s_andn2_saveexec_b64 s[18:19], s[18:19]
	s_cbranch_execnz .LBB38_1990
.LBB38_1581:
	s_or_b64 exec, exec, s[18:19]
	v_mov_b32_e32 v15, 0
	s_and_saveexec_b64 s[18:19], s[16:17]
.LBB38_1582:
	v_lshrrev_b32_e32 v9, 24, v9
	s_movk_i32 s16, 0x80
	v_and_or_b32 v15, v9, s16, v14
.LBB38_1583:
	s_or_b64 exec, exec, s[18:19]
.LBB38_1584:
	s_or_b64 exec, exec, s[10:11]
	global_store_byte v[12:13], v15, off
.LBB38_1585:
	s_mov_b64 s[10:11], -1
.LBB38_1586:
	s_mov_b64 s[16:17], 0
.LBB38_1587:
	s_and_b64 vcc, exec, s[16:17]
	s_cbranch_vccz .LBB38_1627
; %bb.1588:
	s_cmp_gt_i32 s9, 22
	s_mov_b64 s[6:7], -1
	s_cbranch_scc0 .LBB38_1620
; %bb.1589:
	s_cmp_lt_i32 s9, 24
	s_cbranch_scc1 .LBB38_1609
; %bb.1590:
	s_cmp_gt_i32 s9, 24
	s_cbranch_scc0 .LBB38_1598
; %bb.1591:
	v_xor_b32_e32 v14, v10, v11
	v_ffbh_i32_e32 v9, v11
	v_ashrrev_i32_e32 v14, 31, v14
	v_add_u32_e32 v9, -1, v9
	v_add_u32_e32 v14, 32, v14
	v_min_u32_e32 v9, v9, v14
	v_lshlrev_b64 v[14:15], v9, v[10:11]
	v_min_u32_e32 v14, 1, v14
	v_or_b32_e32 v14, v15, v14
	v_cvt_f32_i32_e32 v14, v14
	v_sub_u32_e32 v9, 32, v9
	s_mov_b32 s6, 0x47800000
	v_mov_b32_e32 v15, 0x80
	v_ldexp_f32 v9, v14, v9
	v_and_b32_e32 v14, 0x7fffffff, v9
	v_cmp_gt_u32_e32 vcc, s6, v14
	s_and_saveexec_b64 s[6:7], vcc
	s_cbranch_execz .LBB38_1597
; %bb.1592:
	s_mov_b32 s10, 0x37ffffff
	v_cmp_lt_u32_e32 vcc, s10, v14
	s_mov_b64 s[10:11], 0
                                        ; implicit-def: $vgpr14
	s_and_saveexec_b64 s[16:17], vcc
	s_xor_b64 s[16:17], exec, s[16:17]
	s_cbranch_execz .LBB38_1992
; %bb.1593:
	v_bfe_u32 v14, v9, 21, 1
	s_mov_b32 s18, 0x88fffff
	v_add3_u32 v14, v9, v14, s18
	s_mov_b64 s[10:11], exec
	v_lshrrev_b32_e32 v14, 21, v14
	s_andn2_saveexec_b64 s[16:17], s[16:17]
	s_cbranch_execnz .LBB38_1993
.LBB38_1594:
	s_or_b64 exec, exec, s[16:17]
	v_mov_b32_e32 v15, 0
	s_and_saveexec_b64 s[16:17], s[10:11]
.LBB38_1595:
	v_lshrrev_b32_e32 v9, 24, v9
	s_movk_i32 s10, 0x80
	v_and_or_b32 v15, v9, s10, v14
.LBB38_1596:
	s_or_b64 exec, exec, s[16:17]
.LBB38_1597:
	s_or_b64 exec, exec, s[6:7]
	s_mov_b64 s[6:7], 0
	global_store_byte v[12:13], v15, off
.LBB38_1598:
	s_and_b64 vcc, exec, s[6:7]
	s_cbranch_vccz .LBB38_1608
; %bb.1599:
	v_xor_b32_e32 v14, v10, v11
	v_ffbh_i32_e32 v9, v11
	v_ashrrev_i32_e32 v14, 31, v14
	v_add_u32_e32 v9, -1, v9
	v_add_u32_e32 v14, 32, v14
	v_min_u32_e32 v9, v9, v14
	v_lshlrev_b64 v[14:15], v9, v[10:11]
	v_min_u32_e32 v14, 1, v14
	v_or_b32_e32 v14, v15, v14
	v_cvt_f32_i32_e32 v14, v14
	v_sub_u32_e32 v9, 32, v9
	s_mov_b32 s6, 0x43f00000
	v_ldexp_f32 v9, v14, v9
	v_and_b32_e32 v15, 0x7fffffff, v9
	v_cmp_gt_u32_e32 vcc, s6, v15
                                        ; implicit-def: $vgpr14
	s_and_saveexec_b64 s[6:7], vcc
	s_xor_b64 s[6:7], exec, s[6:7]
	s_cbranch_execz .LBB38_1605
; %bb.1600:
	s_mov_b32 s10, 0x3c7fffff
	v_cmp_lt_u32_e32 vcc, s10, v15
                                        ; implicit-def: $vgpr14
	s_and_saveexec_b64 s[10:11], vcc
	s_xor_b64 s[10:11], exec, s[10:11]
; %bb.1601:
	v_bfe_u32 v14, v9, 20, 1
	s_mov_b32 s16, 0x407ffff
	v_add3_u32 v14, v9, v14, s16
	v_lshrrev_b32_e32 v15, 20, v14
	v_and_b32_e32 v14, 0xff00000, v14
	s_mov_b32 s16, 0x7f00000
	v_mov_b32_e32 v16, 0x7e
	v_cmp_ne_u32_e32 vcc, s16, v14
	s_nop 1
	v_cndmask_b32_e32 v14, v16, v15, vcc
; %bb.1602:
	s_andn2_saveexec_b64 s[10:11], s[10:11]
; %bb.1603:
	s_mov_b32 s16, 0x46800000
	v_add_f32_e64 v14, |v9|, s16
; %bb.1604:
	s_or_b64 exec, exec, s[10:11]
                                        ; implicit-def: $vgpr15
.LBB38_1605:
	s_andn2_saveexec_b64 s[6:7], s[6:7]
; %bb.1606:
	s_mov_b32 s10, 0x7f800000
	v_mov_b32_e32 v14, 0x7e
	v_mov_b32_e32 v16, 0x7f
	v_cmp_lt_u32_e32 vcc, s10, v15
	s_nop 1
	v_cndmask_b32_e32 v14, v14, v16, vcc
; %bb.1607:
	s_or_b64 exec, exec, s[6:7]
	v_lshrrev_b32_e32 v9, 24, v9
	s_movk_i32 s6, 0x80
	v_and_or_b32 v9, v9, s6, v14
	global_store_byte v[12:13], v9, off
.LBB38_1608:
	s_mov_b64 s[6:7], 0
.LBB38_1609:
	s_andn2_b64 vcc, exec, s[6:7]
	s_cbranch_vccnz .LBB38_1619
; %bb.1610:
	v_xor_b32_e32 v14, v10, v11
	v_ffbh_i32_e32 v9, v11
	v_ashrrev_i32_e32 v14, 31, v14
	v_add_u32_e32 v9, -1, v9
	v_add_u32_e32 v14, 32, v14
	v_min_u32_e32 v9, v9, v14
	v_lshlrev_b64 v[14:15], v9, v[10:11]
	v_min_u32_e32 v14, 1, v14
	v_or_b32_e32 v14, v15, v14
	v_cvt_f32_i32_e32 v14, v14
	v_sub_u32_e32 v9, 32, v9
	s_mov_b32 s6, 0x47800000
	v_ldexp_f32 v9, v14, v9
	v_and_b32_e32 v15, 0x7fffffff, v9
	v_cmp_gt_u32_e32 vcc, s6, v15
                                        ; implicit-def: $vgpr14
	s_and_saveexec_b64 s[6:7], vcc
	s_xor_b64 s[6:7], exec, s[6:7]
	s_cbranch_execz .LBB38_1616
; %bb.1611:
	s_mov_b32 s10, 0x387fffff
	v_cmp_lt_u32_e32 vcc, s10, v15
                                        ; implicit-def: $vgpr14
	s_and_saveexec_b64 s[10:11], vcc
	s_xor_b64 s[10:11], exec, s[10:11]
; %bb.1612:
	v_bfe_u32 v14, v9, 21, 1
	s_mov_b32 s16, 0x80fffff
	v_add3_u32 v14, v9, v14, s16
	v_lshrrev_b32_e32 v14, 21, v14
; %bb.1613:
	s_andn2_saveexec_b64 s[10:11], s[10:11]
; %bb.1614:
	s_mov_b32 s16, 0x43000000
	v_add_f32_e64 v14, |v9|, s16
; %bb.1615:
	s_or_b64 exec, exec, s[10:11]
                                        ; implicit-def: $vgpr15
.LBB38_1616:
	s_andn2_saveexec_b64 s[6:7], s[6:7]
; %bb.1617:
	s_mov_b32 s10, 0x7f800000
	v_mov_b32_e32 v14, 0x7c
	v_mov_b32_e32 v16, 0x7f
	v_cmp_lt_u32_e32 vcc, s10, v15
	s_nop 1
	v_cndmask_b32_e32 v14, v14, v16, vcc
; %bb.1618:
	s_or_b64 exec, exec, s[6:7]
	v_lshrrev_b32_e32 v9, 24, v9
	s_movk_i32 s6, 0x80
	v_and_or_b32 v9, v9, s6, v14
	global_store_byte v[12:13], v9, off
.LBB38_1619:
	s_mov_b64 s[6:7], 0
	s_mov_b64 s[10:11], -1
.LBB38_1620:
	s_andn2_b64 vcc, exec, s[6:7]
	s_mov_b64 s[6:7], 0
	s_cbranch_vccnz .LBB38_1627
; %bb.1621:
	s_cmp_gt_i32 s9, 14
	s_mov_b64 s[16:17], -1
	s_cbranch_scc0 .LBB38_1625
; %bb.1622:
	s_cmp_eq_u32 s9, 15
	s_mov_b64 s[0:1], -1
	s_cbranch_scc0 .LBB38_1624
; %bb.1623:
	v_xor_b32_e32 v14, v10, v11
	v_ffbh_i32_e32 v9, v11
	v_ashrrev_i32_e32 v14, 31, v14
	v_add_u32_e32 v9, -1, v9
	v_add_u32_e32 v14, 32, v14
	v_min_u32_e32 v9, v9, v14
	v_lshlrev_b64 v[14:15], v9, v[10:11]
	v_min_u32_e32 v14, 1, v14
	v_or_b32_e32 v14, v15, v14
	v_cvt_f32_i32_e32 v14, v14
	v_sub_u32_e32 v9, 32, v9
	s_movk_i32 s0, 0x7fff
	s_mov_b64 s[10:11], -1
	v_ldexp_f32 v9, v14, v9
	v_bfe_u32 v14, v9, 16, 1
	v_add3_u32 v9, v9, v14, s0
	global_store_short_d16_hi v[12:13], v9, off
	s_mov_b64 s[0:1], 0
.LBB38_1624:
	s_mov_b64 s[16:17], 0
.LBB38_1625:
	s_and_b64 vcc, exec, s[16:17]
	s_cbranch_vccz .LBB38_1627
; %bb.1626:
	s_cmp_lg_u32 s9, 11
	s_mov_b64 s[6:7], -1
	s_cselect_b64 s[0:1], -1, 0
.LBB38_1627:
	s_and_b64 vcc, exec, s[0:1]
	s_cbranch_vccnz .LBB38_1991
; %bb.1628:
	s_andn2_b64 vcc, exec, s[6:7]
	s_cbranch_vccnz .LBB38_1630
.LBB38_1629:
	v_cmp_ne_u64_e32 vcc, -1, v[0:1]
	s_mov_b64 s[10:11], -1
	s_nop 0
	v_cndmask_b32_e64 v0, 0, 1, vcc
	global_store_byte v[12:13], v0, off
.LBB38_1630:
	s_mov_b64 s[0:1], 0
	s_branch .LBB38_1632
.LBB38_1631:
	s_mov_b64 s[0:1], -1
	s_mov_b64 s[10:11], 0
.LBB38_1632:
	s_and_b64 vcc, exec, s[0:1]
	s_cbranch_vccz .LBB38_1671
; %bb.1633:
	s_and_b32 s6, 0xffff, s20
	s_cmp_lt_i32 s6, 5
	s_mov_b64 s[0:1], -1
	s_cbranch_scc1 .LBB38_1654
; %bb.1634:
	s_cmp_lt_i32 s6, 8
	s_cbranch_scc1 .LBB38_1644
; %bb.1635:
	s_cmp_lt_i32 s6, 9
	s_cbranch_scc1 .LBB38_1641
; %bb.1636:
	s_cmp_gt_i32 s6, 9
	s_cbranch_scc0 .LBB38_1638
; %bb.1637:
	v_cvt_f64_i32_e32 v[0:1], v11
	v_ldexp_f64 v[0:1], v[0:1], 32
	v_cvt_f64_u32_e32 v[14:15], v10
	v_mov_b32_e32 v16, 0
	v_add_f64 v[14:15], v[0:1], v[14:15]
	v_mov_b32_e32 v17, v16
	global_store_dwordx4 v[12:13], v[14:17], off
	s_mov_b64 s[0:1], 0
.LBB38_1638:
	s_andn2_b64 vcc, exec, s[0:1]
	s_cbranch_vccnz .LBB38_1640
; %bb.1639:
	v_xor_b32_e32 v1, v10, v11
	v_ffbh_i32_e32 v0, v11
	v_ashrrev_i32_e32 v1, 31, v1
	v_add_u32_e32 v0, -1, v0
	v_add_u32_e32 v1, 32, v1
	v_min_u32_e32 v9, v0, v1
	v_lshlrev_b64 v[0:1], v9, v[10:11]
	v_min_u32_e32 v0, 1, v0
	v_or_b32_e32 v0, v1, v0
	v_cvt_f32_i32_e32 v0, v0
	v_sub_u32_e32 v1, 32, v9
	v_ldexp_f32 v0, v0, v1
	v_mov_b32_e32 v1, 0
	global_store_dwordx2 v[12:13], v[0:1], off
.LBB38_1640:
	s_mov_b64 s[0:1], 0
.LBB38_1641:
	s_andn2_b64 vcc, exec, s[0:1]
	s_cbranch_vccnz .LBB38_1643
; %bb.1642:
	v_xor_b32_e32 v1, v10, v11
	v_ffbh_i32_e32 v0, v11
	v_ashrrev_i32_e32 v1, 31, v1
	v_add_u32_e32 v0, -1, v0
	v_add_u32_e32 v1, 32, v1
	v_min_u32_e32 v9, v0, v1
	v_lshlrev_b64 v[0:1], v9, v[10:11]
	v_min_u32_e32 v0, 1, v0
	v_or_b32_e32 v0, v1, v0
	v_cvt_f32_i32_e32 v0, v0
	v_sub_u32_e32 v1, 32, v9
	v_ldexp_f32 v0, v0, v1
	v_cvt_f16_f32_e32 v0, v0
	global_store_dword v[12:13], v0, off
.LBB38_1643:
	s_mov_b64 s[0:1], 0
.LBB38_1644:
	s_andn2_b64 vcc, exec, s[0:1]
	s_cbranch_vccnz .LBB38_1653
; %bb.1645:
	s_cmp_lt_i32 s6, 6
	s_mov_b64 s[0:1], -1
	s_cbranch_scc1 .LBB38_1651
; %bb.1646:
	s_cmp_gt_i32 s6, 6
	s_cbranch_scc0 .LBB38_1648
; %bb.1647:
	v_cvt_f64_i32_e32 v[0:1], v11
	v_ldexp_f64 v[0:1], v[0:1], 32
	v_cvt_f64_u32_e32 v[14:15], v10
	v_add_f64 v[0:1], v[0:1], v[14:15]
	global_store_dwordx2 v[12:13], v[0:1], off
	s_mov_b64 s[0:1], 0
.LBB38_1648:
	s_andn2_b64 vcc, exec, s[0:1]
	s_cbranch_vccnz .LBB38_1650
; %bb.1649:
	v_xor_b32_e32 v1, v10, v11
	v_ffbh_i32_e32 v0, v11
	v_ashrrev_i32_e32 v1, 31, v1
	v_add_u32_e32 v0, -1, v0
	v_add_u32_e32 v1, 32, v1
	v_min_u32_e32 v9, v0, v1
	v_lshlrev_b64 v[0:1], v9, v[10:11]
	v_min_u32_e32 v0, 1, v0
	v_or_b32_e32 v0, v1, v0
	v_cvt_f32_i32_e32 v0, v0
	v_sub_u32_e32 v1, 32, v9
	v_ldexp_f32 v0, v0, v1
	global_store_dword v[12:13], v0, off
.LBB38_1650:
	s_mov_b64 s[0:1], 0
.LBB38_1651:
	s_andn2_b64 vcc, exec, s[0:1]
	s_cbranch_vccnz .LBB38_1653
; %bb.1652:
	v_xor_b32_e32 v1, v10, v11
	v_ffbh_i32_e32 v0, v11
	v_ashrrev_i32_e32 v1, 31, v1
	v_add_u32_e32 v0, -1, v0
	v_add_u32_e32 v1, 32, v1
	v_min_u32_e32 v9, v0, v1
	v_lshlrev_b64 v[0:1], v9, v[10:11]
	v_min_u32_e32 v0, 1, v0
	v_or_b32_e32 v0, v1, v0
	v_cvt_f32_i32_e32 v0, v0
	v_sub_u32_e32 v1, 32, v9
	v_ldexp_f32 v0, v0, v1
	v_cvt_f16_f32_e32 v0, v0
	global_store_short v[12:13], v0, off
.LBB38_1653:
	s_mov_b64 s[0:1], 0
.LBB38_1654:
	s_andn2_b64 vcc, exec, s[0:1]
	s_cbranch_vccnz .LBB38_1670
; %bb.1655:
	s_cmp_lt_i32 s6, 2
	s_mov_b64 s[0:1], -1
	s_cbranch_scc1 .LBB38_1665
; %bb.1656:
	s_cmp_lt_i32 s6, 3
	s_cbranch_scc1 .LBB38_1662
; %bb.1657:
	s_cmp_gt_i32 s6, 3
	s_cbranch_scc0 .LBB38_1659
; %bb.1658:
	global_store_dwordx2 v[12:13], v[10:11], off
	s_mov_b64 s[0:1], 0
.LBB38_1659:
	s_andn2_b64 vcc, exec, s[0:1]
	s_cbranch_vccnz .LBB38_1661
; %bb.1660:
	global_store_dword v[12:13], v10, off
.LBB38_1661:
	s_mov_b64 s[0:1], 0
.LBB38_1662:
	s_andn2_b64 vcc, exec, s[0:1]
	s_cbranch_vccnz .LBB38_1664
; %bb.1663:
	global_store_short v[12:13], v10, off
.LBB38_1664:
	s_mov_b64 s[0:1], 0
.LBB38_1665:
	s_andn2_b64 vcc, exec, s[0:1]
	s_cbranch_vccnz .LBB38_1670
; %bb.1666:
	s_cmp_gt_i32 s6, 0
	s_mov_b64 s[0:1], -1
	s_cbranch_scc0 .LBB38_1668
; %bb.1667:
	global_store_byte v[12:13], v10, off
	s_mov_b64 s[0:1], 0
.LBB38_1668:
	s_andn2_b64 vcc, exec, s[0:1]
	s_cbranch_vccnz .LBB38_1670
; %bb.1669:
	global_store_byte v[12:13], v10, off
.LBB38_1670:
	s_mov_b64 s[10:11], -1
.LBB38_1671:
	s_andn2_b64 vcc, exec, s[10:11]
	s_cbranch_vccnz .LBB38_1986
; %bb.1672:
	s_lshl_b32 s18, s8, 7
	v_add_u32_e32 v0, s18, v8
	v_ashrrev_i32_e32 v1, 31, v0
	v_not_b32_e32 v11, v3
	v_not_b32_e32 v10, v2
	s_cmp_lt_i32 s20, 11
	v_lshl_add_u64 v[8:9], s[4:5], 0, v[0:1]
	s_cbranch_scc1 .LBB38_1750
; %bb.1673:
	s_and_b32 s19, 0xffff, s20
	s_mov_b64 s[10:11], -1
	s_mov_b64 s[6:7], 0
	s_cmp_gt_i32 s19, 25
	s_mov_b64 s[8:9], 0
	s_mov_b64 s[0:1], 0
	s_cbranch_scc0 .LBB38_1706
; %bb.1674:
	s_cmp_gt_i32 s19, 28
	s_cbranch_scc0 .LBB38_1689
; %bb.1675:
	s_cmp_gt_i32 s19, 43
	;; [unrolled: 3-line block ×3, first 2 shown]
	s_cbranch_scc0 .LBB38_1679
; %bb.1677:
	s_mov_b64 s[0:1], -1
	s_mov_b64 s[10:11], 0
	s_cmp_eq_u32 s19, 46
	s_cbranch_scc0 .LBB38_1679
; %bb.1678:
	v_xor_b32_e32 v12, v10, v11
	v_ffbh_i32_e32 v1, v11
	v_ashrrev_i32_e32 v12, 31, v12
	v_add_u32_e32 v1, -1, v1
	v_add_u32_e32 v12, 32, v12
	v_min_u32_e32 v1, v1, v12
	v_lshlrev_b64 v[12:13], v1, v[10:11]
	v_min_u32_e32 v12, 1, v12
	v_or_b32_e32 v12, v13, v12
	v_cvt_f32_i32_e32 v12, v12
	v_sub_u32_e32 v1, 32, v1
	s_movk_i32 s0, 0x7fff
	s_mov_b64 s[8:9], -1
	v_ldexp_f32 v1, v12, v1
	v_bfe_u32 v12, v1, 16, 1
	v_add3_u32 v1, v1, v12, s0
	v_lshrrev_b32_e32 v1, 16, v1
	global_store_dword v[8:9], v1, off
	s_mov_b64 s[0:1], 0
.LBB38_1679:
	s_and_b64 vcc, exec, s[10:11]
	s_cbranch_vccz .LBB38_1684
; %bb.1680:
	s_cmp_eq_u32 s19, 44
	s_mov_b64 s[0:1], -1
	s_cbranch_scc0 .LBB38_1684
; %bb.1681:
	v_xor_b32_e32 v12, v10, v11
	v_ffbh_i32_e32 v1, v11
	v_ashrrev_i32_e32 v12, 31, v12
	v_add_u32_e32 v1, -1, v1
	v_add_u32_e32 v12, 32, v12
	v_min_u32_e32 v1, v1, v12
	v_lshlrev_b64 v[12:13], v1, v[10:11]
	v_min_u32_e32 v12, 1, v12
	v_or_b32_e32 v12, v13, v12
	v_cvt_f32_i32_e32 v12, v12
	v_sub_u32_e32 v1, 32, v1
	s_movk_i32 s0, 0xff
	v_mov_b32_e32 v13, 0xff
	v_ldexp_f32 v1, v12, v1
	v_bfe_u32 v12, v1, 23, 8
	v_cmp_ne_u32_e32 vcc, s0, v12
	s_and_saveexec_b64 s[8:9], vcc
; %bb.1682:
	s_mov_b32 s0, 0x3fffff
	v_lshrrev_b32_e32 v13, 23, v1
	v_and_b32_e32 v14, 0x400000, v1
	v_and_or_b32 v1, v1, s0, v12
	v_cmp_ne_u32_e32 vcc, 0, v14
	v_cmp_ne_u32_e64 s[0:1], 0, v1
	s_and_b64 s[0:1], vcc, s[0:1]
	s_nop 0
	v_cndmask_b32_e64 v1, 0, 1, s[0:1]
	v_add_u32_e32 v13, v13, v1
; %bb.1683:
	s_or_b64 exec, exec, s[8:9]
	s_mov_b64 s[0:1], 0
	s_mov_b64 s[8:9], -1
	global_store_byte v[8:9], v13, off
.LBB38_1684:
	s_mov_b64 s[10:11], 0
.LBB38_1685:
	s_and_b64 vcc, exec, s[10:11]
	s_cbranch_vccz .LBB38_1688
; %bb.1686:
	s_cmp_eq_u32 s19, 29
	s_mov_b64 s[0:1], -1
	s_cbranch_scc0 .LBB38_1688
; %bb.1687:
	global_store_dwordx2 v[8:9], v[10:11], off
	s_mov_b64 s[0:1], 0
	s_mov_b64 s[8:9], -1
.LBB38_1688:
	s_mov_b64 s[10:11], 0
.LBB38_1689:
	s_and_b64 vcc, exec, s[10:11]
	s_cbranch_vccz .LBB38_1705
; %bb.1690:
	s_cmp_lt_i32 s19, 27
	s_mov_b64 s[8:9], -1
	s_cbranch_scc1 .LBB38_1696
; %bb.1691:
	s_cmp_gt_i32 s19, 27
	s_cbranch_scc0 .LBB38_1693
; %bb.1692:
	s_mov_b64 s[8:9], 0
	global_store_dword v[8:9], v10, off
.LBB38_1693:
	s_andn2_b64 vcc, exec, s[8:9]
	s_cbranch_vccnz .LBB38_1695
; %bb.1694:
	global_store_short v[8:9], v10, off
.LBB38_1695:
	s_mov_b64 s[8:9], 0
.LBB38_1696:
	s_andn2_b64 vcc, exec, s[8:9]
	s_cbranch_vccnz .LBB38_1704
; %bb.1697:
	v_xor_b32_e32 v12, v10, v11
	v_ffbh_i32_e32 v1, v11
	v_ashrrev_i32_e32 v12, 31, v12
	v_add_u32_e32 v1, -1, v1
	v_add_u32_e32 v12, 32, v12
	v_min_u32_e32 v1, v1, v12
	v_lshlrev_b64 v[12:13], v1, v[10:11]
	v_min_u32_e32 v12, 1, v12
	v_or_b32_e32 v12, v13, v12
	v_cvt_f32_i32_e32 v12, v12
	v_sub_u32_e32 v1, 32, v1
	s_mov_b32 s8, 0x43800000
	v_mov_b32_e32 v13, 0x80
	v_ldexp_f32 v1, v12, v1
	v_and_b32_e32 v12, 0x7fffffff, v1
	v_cmp_gt_u32_e32 vcc, s8, v12
	s_and_saveexec_b64 s[8:9], vcc
	s_cbranch_execz .LBB38_1703
; %bb.1698:
	s_mov_b32 s10, 0x3bffffff
	v_cmp_lt_u32_e32 vcc, s10, v12
	s_mov_b64 s[10:11], 0
                                        ; implicit-def: $vgpr12
	s_and_saveexec_b64 s[16:17], vcc
	s_xor_b64 s[16:17], exec, s[16:17]
	s_cbranch_execz .LBB38_1994
; %bb.1699:
	v_bfe_u32 v12, v1, 20, 1
	s_mov_b32 s21, 0x487ffff
	v_add3_u32 v12, v1, v12, s21
	s_mov_b64 s[10:11], exec
	v_lshrrev_b32_e32 v12, 20, v12
	s_andn2_saveexec_b64 s[16:17], s[16:17]
	s_cbranch_execnz .LBB38_1995
.LBB38_1700:
	s_or_b64 exec, exec, s[16:17]
	v_mov_b32_e32 v13, 0
	s_and_saveexec_b64 s[16:17], s[10:11]
.LBB38_1701:
	v_lshrrev_b32_e32 v1, 24, v1
	s_movk_i32 s10, 0x80
	v_and_or_b32 v13, v1, s10, v12
.LBB38_1702:
	s_or_b64 exec, exec, s[16:17]
.LBB38_1703:
	s_or_b64 exec, exec, s[8:9]
	global_store_byte v[8:9], v13, off
.LBB38_1704:
	s_mov_b64 s[8:9], -1
.LBB38_1705:
	s_mov_b64 s[10:11], 0
.LBB38_1706:
	s_and_b64 vcc, exec, s[10:11]
	s_cbranch_vccz .LBB38_1746
; %bb.1707:
	s_cmp_gt_i32 s19, 22
	s_mov_b64 s[6:7], -1
	s_cbranch_scc0 .LBB38_1739
; %bb.1708:
	s_cmp_lt_i32 s19, 24
	s_cbranch_scc1 .LBB38_1728
; %bb.1709:
	s_cmp_gt_i32 s19, 24
	s_cbranch_scc0 .LBB38_1717
; %bb.1710:
	v_xor_b32_e32 v12, v10, v11
	v_ffbh_i32_e32 v1, v11
	v_ashrrev_i32_e32 v12, 31, v12
	v_add_u32_e32 v1, -1, v1
	v_add_u32_e32 v12, 32, v12
	v_min_u32_e32 v1, v1, v12
	v_lshlrev_b64 v[12:13], v1, v[10:11]
	v_min_u32_e32 v12, 1, v12
	v_or_b32_e32 v12, v13, v12
	v_cvt_f32_i32_e32 v12, v12
	v_sub_u32_e32 v1, 32, v1
	s_mov_b32 s6, 0x47800000
	v_mov_b32_e32 v13, 0x80
	v_ldexp_f32 v1, v12, v1
	v_and_b32_e32 v12, 0x7fffffff, v1
	v_cmp_gt_u32_e32 vcc, s6, v12
	s_and_saveexec_b64 s[6:7], vcc
	s_cbranch_execz .LBB38_1716
; %bb.1711:
	s_mov_b32 s8, 0x37ffffff
	v_cmp_lt_u32_e32 vcc, s8, v12
	s_mov_b64 s[8:9], 0
                                        ; implicit-def: $vgpr12
	s_and_saveexec_b64 s[10:11], vcc
	s_xor_b64 s[10:11], exec, s[10:11]
	s_cbranch_execz .LBB38_1997
; %bb.1712:
	v_bfe_u32 v12, v1, 21, 1
	s_mov_b32 s16, 0x88fffff
	v_add3_u32 v12, v1, v12, s16
	s_mov_b64 s[8:9], exec
	v_lshrrev_b32_e32 v12, 21, v12
	s_andn2_saveexec_b64 s[10:11], s[10:11]
	s_cbranch_execnz .LBB38_1998
.LBB38_1713:
	s_or_b64 exec, exec, s[10:11]
	v_mov_b32_e32 v13, 0
	s_and_saveexec_b64 s[10:11], s[8:9]
.LBB38_1714:
	v_lshrrev_b32_e32 v1, 24, v1
	s_movk_i32 s8, 0x80
	v_and_or_b32 v13, v1, s8, v12
.LBB38_1715:
	s_or_b64 exec, exec, s[10:11]
.LBB38_1716:
	s_or_b64 exec, exec, s[6:7]
	s_mov_b64 s[6:7], 0
	global_store_byte v[8:9], v13, off
.LBB38_1717:
	s_and_b64 vcc, exec, s[6:7]
	s_cbranch_vccz .LBB38_1727
; %bb.1718:
	v_xor_b32_e32 v12, v10, v11
	v_ffbh_i32_e32 v1, v11
	v_ashrrev_i32_e32 v12, 31, v12
	v_add_u32_e32 v1, -1, v1
	v_add_u32_e32 v12, 32, v12
	v_min_u32_e32 v1, v1, v12
	v_lshlrev_b64 v[12:13], v1, v[10:11]
	v_min_u32_e32 v12, 1, v12
	v_or_b32_e32 v12, v13, v12
	v_cvt_f32_i32_e32 v12, v12
	v_sub_u32_e32 v1, 32, v1
	s_mov_b32 s6, 0x43f00000
	v_ldexp_f32 v1, v12, v1
	v_and_b32_e32 v13, 0x7fffffff, v1
	v_cmp_gt_u32_e32 vcc, s6, v13
                                        ; implicit-def: $vgpr12
	s_and_saveexec_b64 s[6:7], vcc
	s_xor_b64 s[6:7], exec, s[6:7]
	s_cbranch_execz .LBB38_1724
; %bb.1719:
	s_mov_b32 s8, 0x3c7fffff
	v_cmp_lt_u32_e32 vcc, s8, v13
                                        ; implicit-def: $vgpr12
	s_and_saveexec_b64 s[8:9], vcc
	s_xor_b64 s[8:9], exec, s[8:9]
; %bb.1720:
	v_bfe_u32 v12, v1, 20, 1
	s_mov_b32 s10, 0x407ffff
	v_add3_u32 v12, v1, v12, s10
	v_lshrrev_b32_e32 v13, 20, v12
	v_and_b32_e32 v12, 0xff00000, v12
	s_mov_b32 s10, 0x7f00000
	v_mov_b32_e32 v14, 0x7e
	v_cmp_ne_u32_e32 vcc, s10, v12
	s_nop 1
	v_cndmask_b32_e32 v12, v14, v13, vcc
; %bb.1721:
	s_andn2_saveexec_b64 s[8:9], s[8:9]
; %bb.1722:
	s_mov_b32 s10, 0x46800000
	v_add_f32_e64 v12, |v1|, s10
; %bb.1723:
	s_or_b64 exec, exec, s[8:9]
                                        ; implicit-def: $vgpr13
.LBB38_1724:
	s_andn2_saveexec_b64 s[6:7], s[6:7]
; %bb.1725:
	s_mov_b32 s8, 0x7f800000
	v_mov_b32_e32 v12, 0x7e
	v_mov_b32_e32 v14, 0x7f
	v_cmp_lt_u32_e32 vcc, s8, v13
	s_nop 1
	v_cndmask_b32_e32 v12, v12, v14, vcc
; %bb.1726:
	s_or_b64 exec, exec, s[6:7]
	v_lshrrev_b32_e32 v1, 24, v1
	s_movk_i32 s6, 0x80
	v_and_or_b32 v1, v1, s6, v12
	global_store_byte v[8:9], v1, off
.LBB38_1727:
	s_mov_b64 s[6:7], 0
.LBB38_1728:
	s_andn2_b64 vcc, exec, s[6:7]
	s_cbranch_vccnz .LBB38_1738
; %bb.1729:
	v_xor_b32_e32 v12, v10, v11
	v_ffbh_i32_e32 v1, v11
	v_ashrrev_i32_e32 v12, 31, v12
	v_add_u32_e32 v1, -1, v1
	v_add_u32_e32 v12, 32, v12
	v_min_u32_e32 v1, v1, v12
	v_lshlrev_b64 v[12:13], v1, v[10:11]
	v_min_u32_e32 v12, 1, v12
	v_or_b32_e32 v12, v13, v12
	v_cvt_f32_i32_e32 v12, v12
	v_sub_u32_e32 v1, 32, v1
	s_mov_b32 s6, 0x47800000
	v_ldexp_f32 v1, v12, v1
	v_and_b32_e32 v13, 0x7fffffff, v1
	v_cmp_gt_u32_e32 vcc, s6, v13
                                        ; implicit-def: $vgpr12
	s_and_saveexec_b64 s[6:7], vcc
	s_xor_b64 s[6:7], exec, s[6:7]
	s_cbranch_execz .LBB38_1735
; %bb.1730:
	s_mov_b32 s8, 0x387fffff
	v_cmp_lt_u32_e32 vcc, s8, v13
                                        ; implicit-def: $vgpr12
	s_and_saveexec_b64 s[8:9], vcc
	s_xor_b64 s[8:9], exec, s[8:9]
; %bb.1731:
	v_bfe_u32 v12, v1, 21, 1
	s_mov_b32 s10, 0x80fffff
	v_add3_u32 v12, v1, v12, s10
	v_lshrrev_b32_e32 v12, 21, v12
; %bb.1732:
	s_andn2_saveexec_b64 s[8:9], s[8:9]
; %bb.1733:
	s_mov_b32 s10, 0x43000000
	v_add_f32_e64 v12, |v1|, s10
; %bb.1734:
	s_or_b64 exec, exec, s[8:9]
                                        ; implicit-def: $vgpr13
.LBB38_1735:
	s_andn2_saveexec_b64 s[6:7], s[6:7]
; %bb.1736:
	s_mov_b32 s8, 0x7f800000
	v_mov_b32_e32 v12, 0x7c
	v_mov_b32_e32 v14, 0x7f
	v_cmp_lt_u32_e32 vcc, s8, v13
	s_nop 1
	v_cndmask_b32_e32 v12, v12, v14, vcc
; %bb.1737:
	s_or_b64 exec, exec, s[6:7]
	v_lshrrev_b32_e32 v1, 24, v1
	s_movk_i32 s6, 0x80
	v_and_or_b32 v1, v1, s6, v12
	global_store_byte v[8:9], v1, off
.LBB38_1738:
	s_mov_b64 s[6:7], 0
	s_mov_b64 s[8:9], -1
.LBB38_1739:
	s_andn2_b64 vcc, exec, s[6:7]
	s_mov_b64 s[6:7], 0
	s_cbranch_vccnz .LBB38_1746
; %bb.1740:
	s_cmp_gt_i32 s19, 14
	s_mov_b64 s[10:11], -1
	s_cbranch_scc0 .LBB38_1744
; %bb.1741:
	s_cmp_eq_u32 s19, 15
	s_mov_b64 s[0:1], -1
	s_cbranch_scc0 .LBB38_1743
; %bb.1742:
	v_xor_b32_e32 v12, v10, v11
	v_ffbh_i32_e32 v1, v11
	v_ashrrev_i32_e32 v12, 31, v12
	v_add_u32_e32 v1, -1, v1
	v_add_u32_e32 v12, 32, v12
	v_min_u32_e32 v1, v1, v12
	v_lshlrev_b64 v[12:13], v1, v[10:11]
	v_min_u32_e32 v12, 1, v12
	v_or_b32_e32 v12, v13, v12
	v_cvt_f32_i32_e32 v12, v12
	v_sub_u32_e32 v1, 32, v1
	s_movk_i32 s0, 0x7fff
	s_mov_b64 s[8:9], -1
	v_ldexp_f32 v1, v12, v1
	v_bfe_u32 v12, v1, 16, 1
	v_add3_u32 v1, v1, v12, s0
	global_store_short_d16_hi v[8:9], v1, off
	s_mov_b64 s[0:1], 0
.LBB38_1743:
	s_mov_b64 s[10:11], 0
.LBB38_1744:
	s_and_b64 vcc, exec, s[10:11]
	s_cbranch_vccz .LBB38_1746
; %bb.1745:
	s_cmp_lg_u32 s19, 11
	s_mov_b64 s[6:7], -1
	s_cselect_b64 s[0:1], -1, 0
.LBB38_1746:
	s_and_b64 vcc, exec, s[0:1]
	s_cbranch_vccnz .LBB38_1996
; %bb.1747:
	s_andn2_b64 vcc, exec, s[6:7]
	s_cbranch_vccnz .LBB38_1749
.LBB38_1748:
	v_cmp_ne_u64_e32 vcc, -1, v[2:3]
	s_mov_b64 s[8:9], -1
	s_nop 0
	v_cndmask_b32_e64 v1, 0, 1, vcc
	global_store_byte v[8:9], v1, off
.LBB38_1749:
	s_mov_b64 s[0:1], 0
	s_branch .LBB38_1751
.LBB38_1750:
	s_mov_b64 s[0:1], -1
	s_mov_b64 s[8:9], 0
.LBB38_1751:
	s_and_b64 vcc, exec, s[0:1]
	s_cbranch_vccz .LBB38_1790
; %bb.1752:
	s_and_b32 s6, 0xffff, s20
	s_cmp_lt_i32 s6, 5
	s_mov_b64 s[0:1], -1
	s_cbranch_scc1 .LBB38_1773
; %bb.1753:
	s_cmp_lt_i32 s6, 8
	s_cbranch_scc1 .LBB38_1763
; %bb.1754:
	s_cmp_lt_i32 s6, 9
	s_cbranch_scc1 .LBB38_1760
; %bb.1755:
	s_cmp_gt_i32 s6, 9
	s_cbranch_scc0 .LBB38_1757
; %bb.1756:
	v_cvt_f64_i32_e32 v[2:3], v11
	v_ldexp_f64 v[2:3], v[2:3], 32
	v_cvt_f64_u32_e32 v[12:13], v10
	v_mov_b32_e32 v14, 0
	v_add_f64 v[12:13], v[2:3], v[12:13]
	v_mov_b32_e32 v15, v14
	global_store_dwordx4 v[8:9], v[12:15], off
	s_mov_b64 s[0:1], 0
.LBB38_1757:
	s_andn2_b64 vcc, exec, s[0:1]
	s_cbranch_vccnz .LBB38_1759
; %bb.1758:
	v_xor_b32_e32 v2, v10, v11
	v_ffbh_i32_e32 v1, v11
	v_ashrrev_i32_e32 v2, 31, v2
	v_add_u32_e32 v1, -1, v1
	v_add_u32_e32 v2, 32, v2
	v_min_u32_e32 v1, v1, v2
	v_lshlrev_b64 v[2:3], v1, v[10:11]
	v_min_u32_e32 v2, 1, v2
	v_or_b32_e32 v2, v3, v2
	v_cvt_f32_i32_e32 v2, v2
	v_sub_u32_e32 v1, 32, v1
	v_mov_b32_e32 v3, 0
	v_ldexp_f32 v2, v2, v1
	global_store_dwordx2 v[8:9], v[2:3], off
.LBB38_1759:
	s_mov_b64 s[0:1], 0
.LBB38_1760:
	s_andn2_b64 vcc, exec, s[0:1]
	s_cbranch_vccnz .LBB38_1762
; %bb.1761:
	v_xor_b32_e32 v2, v10, v11
	v_ffbh_i32_e32 v1, v11
	v_ashrrev_i32_e32 v2, 31, v2
	v_add_u32_e32 v1, -1, v1
	v_add_u32_e32 v2, 32, v2
	v_min_u32_e32 v1, v1, v2
	v_lshlrev_b64 v[2:3], v1, v[10:11]
	v_min_u32_e32 v2, 1, v2
	v_or_b32_e32 v2, v3, v2
	v_cvt_f32_i32_e32 v2, v2
	v_sub_u32_e32 v1, 32, v1
	v_ldexp_f32 v1, v2, v1
	v_cvt_f16_f32_e32 v1, v1
	global_store_dword v[8:9], v1, off
.LBB38_1762:
	s_mov_b64 s[0:1], 0
.LBB38_1763:
	s_andn2_b64 vcc, exec, s[0:1]
	s_cbranch_vccnz .LBB38_1772
; %bb.1764:
	s_cmp_lt_i32 s6, 6
	s_mov_b64 s[0:1], -1
	s_cbranch_scc1 .LBB38_1770
; %bb.1765:
	s_cmp_gt_i32 s6, 6
	s_cbranch_scc0 .LBB38_1767
; %bb.1766:
	v_cvt_f64_i32_e32 v[2:3], v11
	v_ldexp_f64 v[2:3], v[2:3], 32
	v_cvt_f64_u32_e32 v[12:13], v10
	v_add_f64 v[2:3], v[2:3], v[12:13]
	global_store_dwordx2 v[8:9], v[2:3], off
	s_mov_b64 s[0:1], 0
.LBB38_1767:
	s_andn2_b64 vcc, exec, s[0:1]
	s_cbranch_vccnz .LBB38_1769
; %bb.1768:
	v_xor_b32_e32 v2, v10, v11
	v_ffbh_i32_e32 v1, v11
	v_ashrrev_i32_e32 v2, 31, v2
	v_add_u32_e32 v1, -1, v1
	v_add_u32_e32 v2, 32, v2
	v_min_u32_e32 v1, v1, v2
	v_lshlrev_b64 v[2:3], v1, v[10:11]
	v_min_u32_e32 v2, 1, v2
	v_or_b32_e32 v2, v3, v2
	v_cvt_f32_i32_e32 v2, v2
	v_sub_u32_e32 v1, 32, v1
	v_ldexp_f32 v1, v2, v1
	global_store_dword v[8:9], v1, off
.LBB38_1769:
	s_mov_b64 s[0:1], 0
.LBB38_1770:
	s_andn2_b64 vcc, exec, s[0:1]
	s_cbranch_vccnz .LBB38_1772
; %bb.1771:
	v_xor_b32_e32 v2, v10, v11
	v_ffbh_i32_e32 v1, v11
	v_ashrrev_i32_e32 v2, 31, v2
	v_add_u32_e32 v1, -1, v1
	v_add_u32_e32 v2, 32, v2
	v_min_u32_e32 v1, v1, v2
	v_lshlrev_b64 v[2:3], v1, v[10:11]
	v_min_u32_e32 v2, 1, v2
	v_or_b32_e32 v2, v3, v2
	v_cvt_f32_i32_e32 v2, v2
	v_sub_u32_e32 v1, 32, v1
	v_ldexp_f32 v1, v2, v1
	v_cvt_f16_f32_e32 v1, v1
	global_store_short v[8:9], v1, off
.LBB38_1772:
	s_mov_b64 s[0:1], 0
.LBB38_1773:
	s_andn2_b64 vcc, exec, s[0:1]
	s_cbranch_vccnz .LBB38_1789
; %bb.1774:
	s_cmp_lt_i32 s6, 2
	s_mov_b64 s[0:1], -1
	s_cbranch_scc1 .LBB38_1784
; %bb.1775:
	s_cmp_lt_i32 s6, 3
	s_cbranch_scc1 .LBB38_1781
; %bb.1776:
	s_cmp_gt_i32 s6, 3
	s_cbranch_scc0 .LBB38_1778
; %bb.1777:
	global_store_dwordx2 v[8:9], v[10:11], off
	s_mov_b64 s[0:1], 0
.LBB38_1778:
	s_andn2_b64 vcc, exec, s[0:1]
	s_cbranch_vccnz .LBB38_1780
; %bb.1779:
	global_store_dword v[8:9], v10, off
.LBB38_1780:
	s_mov_b64 s[0:1], 0
.LBB38_1781:
	s_andn2_b64 vcc, exec, s[0:1]
	s_cbranch_vccnz .LBB38_1783
; %bb.1782:
	global_store_short v[8:9], v10, off
.LBB38_1783:
	s_mov_b64 s[0:1], 0
.LBB38_1784:
	s_andn2_b64 vcc, exec, s[0:1]
	s_cbranch_vccnz .LBB38_1789
; %bb.1785:
	s_cmp_gt_i32 s6, 0
	s_mov_b64 s[0:1], -1
	s_cbranch_scc0 .LBB38_1787
; %bb.1786:
	global_store_byte v[8:9], v10, off
	s_mov_b64 s[0:1], 0
.LBB38_1787:
	s_andn2_b64 vcc, exec, s[0:1]
	s_cbranch_vccnz .LBB38_1789
; %bb.1788:
	global_store_byte v[8:9], v10, off
.LBB38_1789:
	s_mov_b64 s[8:9], -1
.LBB38_1790:
	s_andn2_b64 vcc, exec, s[8:9]
	s_cbranch_vccnz .LBB38_1986
; %bb.1791:
	v_add_u32_e32 v2, s18, v0
	v_ashrrev_i32_e32 v3, 31, v2
	v_not_b32_e32 v9, v7
	v_not_b32_e32 v8, v6
	s_cmp_lt_i32 s20, 11
	v_lshl_add_u64 v[0:1], s[4:5], 0, v[2:3]
	s_cbranch_scc1 .LBB38_1869
; %bb.1792:
	s_and_b32 s19, 0xffff, s20
	s_mov_b64 s[10:11], -1
	s_mov_b64 s[6:7], 0
	s_cmp_gt_i32 s19, 25
	s_mov_b64 s[8:9], 0
	s_mov_b64 s[0:1], 0
	s_cbranch_scc0 .LBB38_1825
; %bb.1793:
	s_cmp_gt_i32 s19, 28
	s_cbranch_scc0 .LBB38_1808
; %bb.1794:
	s_cmp_gt_i32 s19, 43
	;; [unrolled: 3-line block ×3, first 2 shown]
	s_cbranch_scc0 .LBB38_1798
; %bb.1796:
	s_mov_b64 s[0:1], -1
	s_mov_b64 s[10:11], 0
	s_cmp_eq_u32 s19, 46
	s_cbranch_scc0 .LBB38_1798
; %bb.1797:
	v_xor_b32_e32 v10, v8, v9
	v_ffbh_i32_e32 v3, v9
	v_ashrrev_i32_e32 v10, 31, v10
	v_add_u32_e32 v3, -1, v3
	v_add_u32_e32 v10, 32, v10
	v_min_u32_e32 v3, v3, v10
	v_lshlrev_b64 v[10:11], v3, v[8:9]
	v_min_u32_e32 v10, 1, v10
	v_or_b32_e32 v10, v11, v10
	v_cvt_f32_i32_e32 v10, v10
	v_sub_u32_e32 v3, 32, v3
	s_movk_i32 s0, 0x7fff
	s_mov_b64 s[8:9], -1
	v_ldexp_f32 v3, v10, v3
	v_bfe_u32 v10, v3, 16, 1
	v_add3_u32 v3, v3, v10, s0
	v_lshrrev_b32_e32 v3, 16, v3
	global_store_dword v[0:1], v3, off
	s_mov_b64 s[0:1], 0
.LBB38_1798:
	s_and_b64 vcc, exec, s[10:11]
	s_cbranch_vccz .LBB38_1803
; %bb.1799:
	s_cmp_eq_u32 s19, 44
	s_mov_b64 s[0:1], -1
	s_cbranch_scc0 .LBB38_1803
; %bb.1800:
	v_xor_b32_e32 v10, v8, v9
	v_ffbh_i32_e32 v3, v9
	v_ashrrev_i32_e32 v10, 31, v10
	v_add_u32_e32 v3, -1, v3
	v_add_u32_e32 v10, 32, v10
	v_min_u32_e32 v3, v3, v10
	v_lshlrev_b64 v[10:11], v3, v[8:9]
	v_min_u32_e32 v10, 1, v10
	v_or_b32_e32 v10, v11, v10
	v_cvt_f32_i32_e32 v10, v10
	v_sub_u32_e32 v3, 32, v3
	s_movk_i32 s0, 0xff
	v_mov_b32_e32 v11, 0xff
	v_ldexp_f32 v3, v10, v3
	v_bfe_u32 v10, v3, 23, 8
	v_cmp_ne_u32_e32 vcc, s0, v10
	s_and_saveexec_b64 s[8:9], vcc
; %bb.1801:
	s_mov_b32 s0, 0x3fffff
	v_lshrrev_b32_e32 v11, 23, v3
	v_and_b32_e32 v12, 0x400000, v3
	v_and_or_b32 v3, v3, s0, v10
	v_cmp_ne_u32_e32 vcc, 0, v12
	v_cmp_ne_u32_e64 s[0:1], 0, v3
	s_and_b64 s[0:1], vcc, s[0:1]
	s_nop 0
	v_cndmask_b32_e64 v3, 0, 1, s[0:1]
	v_add_u32_e32 v11, v11, v3
; %bb.1802:
	s_or_b64 exec, exec, s[8:9]
	s_mov_b64 s[0:1], 0
	s_mov_b64 s[8:9], -1
	global_store_byte v[0:1], v11, off
.LBB38_1803:
	s_mov_b64 s[10:11], 0
.LBB38_1804:
	s_and_b64 vcc, exec, s[10:11]
	s_cbranch_vccz .LBB38_1807
; %bb.1805:
	s_cmp_eq_u32 s19, 29
	s_mov_b64 s[0:1], -1
	s_cbranch_scc0 .LBB38_1807
; %bb.1806:
	global_store_dwordx2 v[0:1], v[8:9], off
	s_mov_b64 s[0:1], 0
	s_mov_b64 s[8:9], -1
.LBB38_1807:
	s_mov_b64 s[10:11], 0
.LBB38_1808:
	s_and_b64 vcc, exec, s[10:11]
	s_cbranch_vccz .LBB38_1824
; %bb.1809:
	s_cmp_lt_i32 s19, 27
	s_mov_b64 s[8:9], -1
	s_cbranch_scc1 .LBB38_1815
; %bb.1810:
	s_cmp_gt_i32 s19, 27
	s_cbranch_scc0 .LBB38_1812
; %bb.1811:
	s_mov_b64 s[8:9], 0
	global_store_dword v[0:1], v8, off
.LBB38_1812:
	s_andn2_b64 vcc, exec, s[8:9]
	s_cbranch_vccnz .LBB38_1814
; %bb.1813:
	global_store_short v[0:1], v8, off
.LBB38_1814:
	s_mov_b64 s[8:9], 0
.LBB38_1815:
	s_andn2_b64 vcc, exec, s[8:9]
	s_cbranch_vccnz .LBB38_1823
; %bb.1816:
	v_xor_b32_e32 v10, v8, v9
	v_ffbh_i32_e32 v3, v9
	v_ashrrev_i32_e32 v10, 31, v10
	v_add_u32_e32 v3, -1, v3
	v_add_u32_e32 v10, 32, v10
	v_min_u32_e32 v3, v3, v10
	v_lshlrev_b64 v[10:11], v3, v[8:9]
	v_min_u32_e32 v10, 1, v10
	v_or_b32_e32 v10, v11, v10
	v_cvt_f32_i32_e32 v10, v10
	v_sub_u32_e32 v3, 32, v3
	s_mov_b32 s8, 0x43800000
	v_mov_b32_e32 v11, 0x80
	v_ldexp_f32 v3, v10, v3
	v_and_b32_e32 v10, 0x7fffffff, v3
	v_cmp_gt_u32_e32 vcc, s8, v10
	s_and_saveexec_b64 s[8:9], vcc
	s_cbranch_execz .LBB38_1822
; %bb.1817:
	s_mov_b32 s10, 0x3bffffff
	v_cmp_lt_u32_e32 vcc, s10, v10
	s_mov_b64 s[10:11], 0
                                        ; implicit-def: $vgpr10
	s_and_saveexec_b64 s[16:17], vcc
	s_xor_b64 s[16:17], exec, s[16:17]
	s_cbranch_execz .LBB38_1999
; %bb.1818:
	v_bfe_u32 v10, v3, 20, 1
	s_mov_b32 s21, 0x487ffff
	v_add3_u32 v10, v3, v10, s21
	s_mov_b64 s[10:11], exec
	v_lshrrev_b32_e32 v10, 20, v10
	s_andn2_saveexec_b64 s[16:17], s[16:17]
	s_cbranch_execnz .LBB38_2000
.LBB38_1819:
	s_or_b64 exec, exec, s[16:17]
	v_mov_b32_e32 v11, 0
	s_and_saveexec_b64 s[16:17], s[10:11]
.LBB38_1820:
	v_lshrrev_b32_e32 v3, 24, v3
	s_movk_i32 s10, 0x80
	v_and_or_b32 v11, v3, s10, v10
.LBB38_1821:
	s_or_b64 exec, exec, s[16:17]
.LBB38_1822:
	s_or_b64 exec, exec, s[8:9]
	global_store_byte v[0:1], v11, off
.LBB38_1823:
	s_mov_b64 s[8:9], -1
.LBB38_1824:
	s_mov_b64 s[10:11], 0
.LBB38_1825:
	s_and_b64 vcc, exec, s[10:11]
	s_cbranch_vccz .LBB38_1865
; %bb.1826:
	s_cmp_gt_i32 s19, 22
	s_mov_b64 s[6:7], -1
	s_cbranch_scc0 .LBB38_1858
; %bb.1827:
	s_cmp_lt_i32 s19, 24
	s_cbranch_scc1 .LBB38_1847
; %bb.1828:
	s_cmp_gt_i32 s19, 24
	s_cbranch_scc0 .LBB38_1836
; %bb.1829:
	v_xor_b32_e32 v10, v8, v9
	v_ffbh_i32_e32 v3, v9
	v_ashrrev_i32_e32 v10, 31, v10
	v_add_u32_e32 v3, -1, v3
	v_add_u32_e32 v10, 32, v10
	v_min_u32_e32 v3, v3, v10
	v_lshlrev_b64 v[10:11], v3, v[8:9]
	v_min_u32_e32 v10, 1, v10
	v_or_b32_e32 v10, v11, v10
	v_cvt_f32_i32_e32 v10, v10
	v_sub_u32_e32 v3, 32, v3
	s_mov_b32 s6, 0x47800000
	v_mov_b32_e32 v11, 0x80
	v_ldexp_f32 v3, v10, v3
	v_and_b32_e32 v10, 0x7fffffff, v3
	v_cmp_gt_u32_e32 vcc, s6, v10
	s_and_saveexec_b64 s[6:7], vcc
	s_cbranch_execz .LBB38_1835
; %bb.1830:
	s_mov_b32 s8, 0x37ffffff
	v_cmp_lt_u32_e32 vcc, s8, v10
	s_mov_b64 s[8:9], 0
                                        ; implicit-def: $vgpr10
	s_and_saveexec_b64 s[10:11], vcc
	s_xor_b64 s[10:11], exec, s[10:11]
	s_cbranch_execz .LBB38_2002
; %bb.1831:
	v_bfe_u32 v10, v3, 21, 1
	s_mov_b32 s16, 0x88fffff
	v_add3_u32 v10, v3, v10, s16
	s_mov_b64 s[8:9], exec
	v_lshrrev_b32_e32 v10, 21, v10
	s_andn2_saveexec_b64 s[10:11], s[10:11]
	s_cbranch_execnz .LBB38_2003
.LBB38_1832:
	s_or_b64 exec, exec, s[10:11]
	v_mov_b32_e32 v11, 0
	s_and_saveexec_b64 s[10:11], s[8:9]
.LBB38_1833:
	v_lshrrev_b32_e32 v3, 24, v3
	s_movk_i32 s8, 0x80
	v_and_or_b32 v11, v3, s8, v10
.LBB38_1834:
	s_or_b64 exec, exec, s[10:11]
.LBB38_1835:
	s_or_b64 exec, exec, s[6:7]
	s_mov_b64 s[6:7], 0
	global_store_byte v[0:1], v11, off
.LBB38_1836:
	s_and_b64 vcc, exec, s[6:7]
	s_cbranch_vccz .LBB38_1846
; %bb.1837:
	v_xor_b32_e32 v10, v8, v9
	v_ffbh_i32_e32 v3, v9
	v_ashrrev_i32_e32 v10, 31, v10
	v_add_u32_e32 v3, -1, v3
	v_add_u32_e32 v10, 32, v10
	v_min_u32_e32 v3, v3, v10
	v_lshlrev_b64 v[10:11], v3, v[8:9]
	v_min_u32_e32 v10, 1, v10
	v_or_b32_e32 v10, v11, v10
	v_cvt_f32_i32_e32 v10, v10
	v_sub_u32_e32 v3, 32, v3
	s_mov_b32 s6, 0x43f00000
	v_ldexp_f32 v3, v10, v3
	v_and_b32_e32 v11, 0x7fffffff, v3
	v_cmp_gt_u32_e32 vcc, s6, v11
                                        ; implicit-def: $vgpr10
	s_and_saveexec_b64 s[6:7], vcc
	s_xor_b64 s[6:7], exec, s[6:7]
	s_cbranch_execz .LBB38_1843
; %bb.1838:
	s_mov_b32 s8, 0x3c7fffff
	v_cmp_lt_u32_e32 vcc, s8, v11
                                        ; implicit-def: $vgpr10
	s_and_saveexec_b64 s[8:9], vcc
	s_xor_b64 s[8:9], exec, s[8:9]
; %bb.1839:
	v_bfe_u32 v10, v3, 20, 1
	s_mov_b32 s10, 0x407ffff
	v_add3_u32 v10, v3, v10, s10
	v_lshrrev_b32_e32 v11, 20, v10
	v_and_b32_e32 v10, 0xff00000, v10
	s_mov_b32 s10, 0x7f00000
	v_mov_b32_e32 v12, 0x7e
	v_cmp_ne_u32_e32 vcc, s10, v10
	s_nop 1
	v_cndmask_b32_e32 v10, v12, v11, vcc
; %bb.1840:
	s_andn2_saveexec_b64 s[8:9], s[8:9]
; %bb.1841:
	s_mov_b32 s10, 0x46800000
	v_add_f32_e64 v10, |v3|, s10
; %bb.1842:
	s_or_b64 exec, exec, s[8:9]
                                        ; implicit-def: $vgpr11
.LBB38_1843:
	s_andn2_saveexec_b64 s[6:7], s[6:7]
; %bb.1844:
	s_mov_b32 s8, 0x7f800000
	v_mov_b32_e32 v10, 0x7e
	v_mov_b32_e32 v12, 0x7f
	v_cmp_lt_u32_e32 vcc, s8, v11
	s_nop 1
	v_cndmask_b32_e32 v10, v10, v12, vcc
; %bb.1845:
	s_or_b64 exec, exec, s[6:7]
	v_lshrrev_b32_e32 v3, 24, v3
	s_movk_i32 s6, 0x80
	v_and_or_b32 v3, v3, s6, v10
	global_store_byte v[0:1], v3, off
.LBB38_1846:
	s_mov_b64 s[6:7], 0
.LBB38_1847:
	s_andn2_b64 vcc, exec, s[6:7]
	s_cbranch_vccnz .LBB38_1857
; %bb.1848:
	v_xor_b32_e32 v10, v8, v9
	v_ffbh_i32_e32 v3, v9
	v_ashrrev_i32_e32 v10, 31, v10
	v_add_u32_e32 v3, -1, v3
	v_add_u32_e32 v10, 32, v10
	v_min_u32_e32 v3, v3, v10
	v_lshlrev_b64 v[10:11], v3, v[8:9]
	v_min_u32_e32 v10, 1, v10
	v_or_b32_e32 v10, v11, v10
	v_cvt_f32_i32_e32 v10, v10
	v_sub_u32_e32 v3, 32, v3
	s_mov_b32 s6, 0x47800000
	v_ldexp_f32 v3, v10, v3
	v_and_b32_e32 v11, 0x7fffffff, v3
	v_cmp_gt_u32_e32 vcc, s6, v11
                                        ; implicit-def: $vgpr10
	s_and_saveexec_b64 s[6:7], vcc
	s_xor_b64 s[6:7], exec, s[6:7]
	s_cbranch_execz .LBB38_1854
; %bb.1849:
	s_mov_b32 s8, 0x387fffff
	v_cmp_lt_u32_e32 vcc, s8, v11
                                        ; implicit-def: $vgpr10
	s_and_saveexec_b64 s[8:9], vcc
	s_xor_b64 s[8:9], exec, s[8:9]
; %bb.1850:
	v_bfe_u32 v10, v3, 21, 1
	s_mov_b32 s10, 0x80fffff
	v_add3_u32 v10, v3, v10, s10
	v_lshrrev_b32_e32 v10, 21, v10
; %bb.1851:
	s_andn2_saveexec_b64 s[8:9], s[8:9]
; %bb.1852:
	s_mov_b32 s10, 0x43000000
	v_add_f32_e64 v10, |v3|, s10
; %bb.1853:
	s_or_b64 exec, exec, s[8:9]
                                        ; implicit-def: $vgpr11
.LBB38_1854:
	s_andn2_saveexec_b64 s[6:7], s[6:7]
; %bb.1855:
	s_mov_b32 s8, 0x7f800000
	v_mov_b32_e32 v10, 0x7c
	v_mov_b32_e32 v12, 0x7f
	v_cmp_lt_u32_e32 vcc, s8, v11
	s_nop 1
	v_cndmask_b32_e32 v10, v10, v12, vcc
; %bb.1856:
	s_or_b64 exec, exec, s[6:7]
	v_lshrrev_b32_e32 v3, 24, v3
	s_movk_i32 s6, 0x80
	v_and_or_b32 v3, v3, s6, v10
	global_store_byte v[0:1], v3, off
.LBB38_1857:
	s_mov_b64 s[6:7], 0
	s_mov_b64 s[8:9], -1
.LBB38_1858:
	s_andn2_b64 vcc, exec, s[6:7]
	s_mov_b64 s[6:7], 0
	s_cbranch_vccnz .LBB38_1865
; %bb.1859:
	s_cmp_gt_i32 s19, 14
	s_mov_b64 s[10:11], -1
	s_cbranch_scc0 .LBB38_1863
; %bb.1860:
	s_cmp_eq_u32 s19, 15
	s_mov_b64 s[0:1], -1
	s_cbranch_scc0 .LBB38_1862
; %bb.1861:
	v_xor_b32_e32 v10, v8, v9
	v_ffbh_i32_e32 v3, v9
	v_ashrrev_i32_e32 v10, 31, v10
	v_add_u32_e32 v3, -1, v3
	v_add_u32_e32 v10, 32, v10
	v_min_u32_e32 v3, v3, v10
	v_lshlrev_b64 v[10:11], v3, v[8:9]
	v_min_u32_e32 v10, 1, v10
	v_or_b32_e32 v10, v11, v10
	v_cvt_f32_i32_e32 v10, v10
	v_sub_u32_e32 v3, 32, v3
	s_movk_i32 s0, 0x7fff
	s_mov_b64 s[8:9], -1
	v_ldexp_f32 v3, v10, v3
	v_bfe_u32 v10, v3, 16, 1
	v_add3_u32 v3, v3, v10, s0
	global_store_short_d16_hi v[0:1], v3, off
	s_mov_b64 s[0:1], 0
.LBB38_1862:
	s_mov_b64 s[10:11], 0
.LBB38_1863:
	s_and_b64 vcc, exec, s[10:11]
	s_cbranch_vccz .LBB38_1865
; %bb.1864:
	s_cmp_lg_u32 s19, 11
	s_mov_b64 s[6:7], -1
	s_cselect_b64 s[0:1], -1, 0
.LBB38_1865:
	s_and_b64 vcc, exec, s[0:1]
	s_cbranch_vccnz .LBB38_2001
; %bb.1866:
	s_andn2_b64 vcc, exec, s[6:7]
	s_cbranch_vccnz .LBB38_1868
.LBB38_1867:
	v_cmp_ne_u64_e32 vcc, -1, v[6:7]
	s_mov_b64 s[8:9], -1
	s_nop 0
	v_cndmask_b32_e64 v3, 0, 1, vcc
	global_store_byte v[0:1], v3, off
.LBB38_1868:
	s_mov_b64 s[0:1], 0
	s_branch .LBB38_1870
.LBB38_1869:
	s_mov_b64 s[0:1], -1
	s_mov_b64 s[8:9], 0
.LBB38_1870:
	s_and_b64 vcc, exec, s[0:1]
	s_cbranch_vccz .LBB38_1909
; %bb.1871:
	s_and_b32 s6, 0xffff, s20
	s_cmp_lt_i32 s6, 5
	s_mov_b64 s[0:1], -1
	s_cbranch_scc1 .LBB38_1892
; %bb.1872:
	s_cmp_lt_i32 s6, 8
	s_cbranch_scc1 .LBB38_1882
; %bb.1873:
	s_cmp_lt_i32 s6, 9
	s_cbranch_scc1 .LBB38_1879
; %bb.1874:
	s_cmp_gt_i32 s6, 9
	s_cbranch_scc0 .LBB38_1876
; %bb.1875:
	v_cvt_f64_i32_e32 v[6:7], v9
	v_ldexp_f64 v[6:7], v[6:7], 32
	v_cvt_f64_u32_e32 v[10:11], v8
	v_mov_b32_e32 v12, 0
	v_add_f64 v[10:11], v[6:7], v[10:11]
	v_mov_b32_e32 v13, v12
	global_store_dwordx4 v[0:1], v[10:13], off
	s_mov_b64 s[0:1], 0
.LBB38_1876:
	s_andn2_b64 vcc, exec, s[0:1]
	s_cbranch_vccnz .LBB38_1878
; %bb.1877:
	v_xor_b32_e32 v6, v8, v9
	v_ffbh_i32_e32 v3, v9
	v_ashrrev_i32_e32 v6, 31, v6
	v_add_u32_e32 v3, -1, v3
	v_add_u32_e32 v6, 32, v6
	v_min_u32_e32 v3, v3, v6
	v_lshlrev_b64 v[6:7], v3, v[8:9]
	v_min_u32_e32 v6, 1, v6
	v_or_b32_e32 v6, v7, v6
	v_cvt_f32_i32_e32 v6, v6
	v_sub_u32_e32 v3, 32, v3
	v_mov_b32_e32 v7, 0
	v_ldexp_f32 v6, v6, v3
	global_store_dwordx2 v[0:1], v[6:7], off
.LBB38_1878:
	s_mov_b64 s[0:1], 0
.LBB38_1879:
	s_andn2_b64 vcc, exec, s[0:1]
	s_cbranch_vccnz .LBB38_1881
; %bb.1880:
	v_xor_b32_e32 v6, v8, v9
	v_ffbh_i32_e32 v3, v9
	v_ashrrev_i32_e32 v6, 31, v6
	v_add_u32_e32 v3, -1, v3
	v_add_u32_e32 v6, 32, v6
	v_min_u32_e32 v3, v3, v6
	v_lshlrev_b64 v[6:7], v3, v[8:9]
	v_min_u32_e32 v6, 1, v6
	v_or_b32_e32 v6, v7, v6
	v_cvt_f32_i32_e32 v6, v6
	v_sub_u32_e32 v3, 32, v3
	v_ldexp_f32 v3, v6, v3
	v_cvt_f16_f32_e32 v3, v3
	global_store_dword v[0:1], v3, off
.LBB38_1881:
	s_mov_b64 s[0:1], 0
.LBB38_1882:
	s_andn2_b64 vcc, exec, s[0:1]
	s_cbranch_vccnz .LBB38_1891
; %bb.1883:
	s_cmp_lt_i32 s6, 6
	s_mov_b64 s[0:1], -1
	s_cbranch_scc1 .LBB38_1889
; %bb.1884:
	s_cmp_gt_i32 s6, 6
	s_cbranch_scc0 .LBB38_1886
; %bb.1885:
	v_cvt_f64_i32_e32 v[6:7], v9
	v_ldexp_f64 v[6:7], v[6:7], 32
	v_cvt_f64_u32_e32 v[10:11], v8
	v_add_f64 v[6:7], v[6:7], v[10:11]
	global_store_dwordx2 v[0:1], v[6:7], off
	s_mov_b64 s[0:1], 0
.LBB38_1886:
	s_andn2_b64 vcc, exec, s[0:1]
	s_cbranch_vccnz .LBB38_1888
; %bb.1887:
	v_xor_b32_e32 v6, v8, v9
	v_ffbh_i32_e32 v3, v9
	v_ashrrev_i32_e32 v6, 31, v6
	v_add_u32_e32 v3, -1, v3
	v_add_u32_e32 v6, 32, v6
	v_min_u32_e32 v3, v3, v6
	v_lshlrev_b64 v[6:7], v3, v[8:9]
	v_min_u32_e32 v6, 1, v6
	v_or_b32_e32 v6, v7, v6
	v_cvt_f32_i32_e32 v6, v6
	v_sub_u32_e32 v3, 32, v3
	v_ldexp_f32 v3, v6, v3
	global_store_dword v[0:1], v3, off
.LBB38_1888:
	s_mov_b64 s[0:1], 0
.LBB38_1889:
	s_andn2_b64 vcc, exec, s[0:1]
	s_cbranch_vccnz .LBB38_1891
; %bb.1890:
	v_xor_b32_e32 v6, v8, v9
	v_ffbh_i32_e32 v3, v9
	v_ashrrev_i32_e32 v6, 31, v6
	v_add_u32_e32 v3, -1, v3
	v_add_u32_e32 v6, 32, v6
	v_min_u32_e32 v3, v3, v6
	v_lshlrev_b64 v[6:7], v3, v[8:9]
	v_min_u32_e32 v6, 1, v6
	v_or_b32_e32 v6, v7, v6
	v_cvt_f32_i32_e32 v6, v6
	v_sub_u32_e32 v3, 32, v3
	v_ldexp_f32 v3, v6, v3
	v_cvt_f16_f32_e32 v3, v3
	global_store_short v[0:1], v3, off
.LBB38_1891:
	s_mov_b64 s[0:1], 0
.LBB38_1892:
	s_andn2_b64 vcc, exec, s[0:1]
	s_cbranch_vccnz .LBB38_1908
; %bb.1893:
	s_cmp_lt_i32 s6, 2
	s_mov_b64 s[0:1], -1
	s_cbranch_scc1 .LBB38_1903
; %bb.1894:
	s_cmp_lt_i32 s6, 3
	s_cbranch_scc1 .LBB38_1900
; %bb.1895:
	s_cmp_gt_i32 s6, 3
	s_cbranch_scc0 .LBB38_1897
; %bb.1896:
	global_store_dwordx2 v[0:1], v[8:9], off
	s_mov_b64 s[0:1], 0
.LBB38_1897:
	s_andn2_b64 vcc, exec, s[0:1]
	s_cbranch_vccnz .LBB38_1899
; %bb.1898:
	global_store_dword v[0:1], v8, off
.LBB38_1899:
	s_mov_b64 s[0:1], 0
.LBB38_1900:
	s_andn2_b64 vcc, exec, s[0:1]
	s_cbranch_vccnz .LBB38_1902
; %bb.1901:
	global_store_short v[0:1], v8, off
.LBB38_1902:
	s_mov_b64 s[0:1], 0
.LBB38_1903:
	s_andn2_b64 vcc, exec, s[0:1]
	s_cbranch_vccnz .LBB38_1908
; %bb.1904:
	s_cmp_gt_i32 s6, 0
	s_mov_b64 s[0:1], -1
	s_cbranch_scc0 .LBB38_1906
; %bb.1905:
	global_store_byte v[0:1], v8, off
	s_mov_b64 s[0:1], 0
.LBB38_1906:
	s_andn2_b64 vcc, exec, s[0:1]
	s_cbranch_vccnz .LBB38_1908
; %bb.1907:
	global_store_byte v[0:1], v8, off
.LBB38_1908:
	s_mov_b64 s[8:9], -1
.LBB38_1909:
	s_andn2_b64 vcc, exec, s[8:9]
	s_cbranch_vccnz .LBB38_1986
; %bb.1910:
	v_add_u32_e32 v2, s18, v2
	v_ashrrev_i32_e32 v3, 31, v2
	v_not_b32_e32 v1, v5
	v_not_b32_e32 v0, v4
	s_cmp_lt_i32 s20, 11
	v_lshl_add_u64 v[2:3], s[4:5], 0, v[2:3]
	s_cbranch_scc1 .LBB38_1987
; %bb.1911:
	s_and_b32 s16, 0xffff, s20
	s_mov_b64 s[6:7], -1
	s_mov_b64 s[4:5], 0
	s_cmp_gt_i32 s16, 25
	s_mov_b64 s[0:1], 0
	s_cbranch_scc0 .LBB38_1944
; %bb.1912:
	s_cmp_gt_i32 s16, 28
	s_cbranch_scc0 .LBB38_1928
; %bb.1913:
	s_cmp_gt_i32 s16, 43
	;; [unrolled: 3-line block ×3, first 2 shown]
	s_cbranch_scc0 .LBB38_1918
; %bb.1915:
	s_cmp_eq_u32 s16, 46
	s_mov_b64 s[0:1], -1
	s_cbranch_scc0 .LBB38_1917
; %bb.1916:
	v_xor_b32_e32 v7, v0, v1
	v_ffbh_i32_e32 v6, v1
	v_ashrrev_i32_e32 v7, 31, v7
	v_add_u32_e32 v6, -1, v6
	v_add_u32_e32 v7, 32, v7
	v_min_u32_e32 v8, v6, v7
	v_lshlrev_b64 v[6:7], v8, v[0:1]
	v_min_u32_e32 v6, 1, v6
	v_or_b32_e32 v6, v7, v6
	v_cvt_f32_i32_e32 v6, v6
	v_sub_u32_e32 v7, 32, v8
	s_movk_i32 s0, 0x7fff
	v_ldexp_f32 v6, v6, v7
	v_bfe_u32 v7, v6, 16, 1
	v_add3_u32 v6, v6, v7, s0
	v_lshrrev_b32_e32 v6, 16, v6
	global_store_dword v[2:3], v6, off
	s_mov_b64 s[0:1], 0
.LBB38_1917:
	s_mov_b64 s[6:7], 0
.LBB38_1918:
	s_and_b64 vcc, exec, s[6:7]
	s_cbranch_vccz .LBB38_1923
; %bb.1919:
	s_cmp_eq_u32 s16, 44
	s_mov_b64 s[0:1], -1
	s_cbranch_scc0 .LBB38_1923
; %bb.1920:
	v_xor_b32_e32 v7, v0, v1
	v_ffbh_i32_e32 v6, v1
	v_ashrrev_i32_e32 v7, 31, v7
	v_add_u32_e32 v6, -1, v6
	v_add_u32_e32 v7, 32, v7
	v_min_u32_e32 v8, v6, v7
	v_lshlrev_b64 v[6:7], v8, v[0:1]
	v_min_u32_e32 v6, 1, v6
	v_or_b32_e32 v6, v7, v6
	v_cvt_f32_i32_e32 v6, v6
	v_sub_u32_e32 v7, 32, v8
	s_movk_i32 s0, 0xff
	v_mov_b32_e32 v8, 0xff
	v_ldexp_f32 v6, v6, v7
	v_bfe_u32 v7, v6, 23, 8
	v_cmp_ne_u32_e32 vcc, s0, v7
	s_and_saveexec_b64 s[6:7], vcc
; %bb.1921:
	s_mov_b32 s0, 0x3fffff
	v_lshrrev_b32_e32 v8, 23, v6
	v_and_b32_e32 v9, 0x400000, v6
	v_and_or_b32 v6, v6, s0, v7
	v_cmp_ne_u32_e32 vcc, 0, v9
	v_cmp_ne_u32_e64 s[0:1], 0, v6
	s_and_b64 s[0:1], vcc, s[0:1]
	s_nop 0
	v_cndmask_b32_e64 v6, 0, 1, s[0:1]
	v_add_u32_e32 v8, v8, v6
; %bb.1922:
	s_or_b64 exec, exec, s[6:7]
	s_mov_b64 s[0:1], 0
	global_store_byte v[2:3], v8, off
.LBB38_1923:
	s_mov_b64 s[6:7], 0
.LBB38_1924:
	s_and_b64 vcc, exec, s[6:7]
	s_cbranch_vccz .LBB38_1927
; %bb.1925:
	s_cmp_eq_u32 s16, 29
	s_mov_b64 s[0:1], -1
	s_cbranch_scc0 .LBB38_1927
; %bb.1926:
	global_store_dwordx2 v[2:3], v[0:1], off
	s_mov_b64 s[0:1], 0
.LBB38_1927:
	s_mov_b64 s[6:7], 0
.LBB38_1928:
	s_and_b64 vcc, exec, s[6:7]
	s_cbranch_vccz .LBB38_1943
; %bb.1929:
	s_cmp_lt_i32 s16, 27
	s_mov_b64 s[6:7], -1
	s_cbranch_scc1 .LBB38_1935
; %bb.1930:
	s_cmp_gt_i32 s16, 27
	s_cbranch_scc0 .LBB38_1932
; %bb.1931:
	global_store_dword v[2:3], v0, off
	s_mov_b64 s[6:7], 0
.LBB38_1932:
	s_andn2_b64 vcc, exec, s[6:7]
	s_cbranch_vccnz .LBB38_1934
; %bb.1933:
	global_store_short v[2:3], v0, off
.LBB38_1934:
	s_mov_b64 s[6:7], 0
.LBB38_1935:
	s_andn2_b64 vcc, exec, s[6:7]
	s_cbranch_vccnz .LBB38_1943
; %bb.1936:
	v_xor_b32_e32 v7, v0, v1
	v_ffbh_i32_e32 v6, v1
	v_ashrrev_i32_e32 v7, 31, v7
	v_add_u32_e32 v6, -1, v6
	v_add_u32_e32 v7, 32, v7
	v_min_u32_e32 v8, v6, v7
	v_lshlrev_b64 v[6:7], v8, v[0:1]
	v_min_u32_e32 v6, 1, v6
	v_or_b32_e32 v6, v7, v6
	v_cvt_f32_i32_e32 v6, v6
	v_sub_u32_e32 v7, 32, v8
	s_mov_b32 s6, 0x43800000
	v_mov_b32_e32 v8, 0x80
	v_ldexp_f32 v6, v6, v7
	v_and_b32_e32 v7, 0x7fffffff, v6
	v_cmp_gt_u32_e32 vcc, s6, v7
	s_and_saveexec_b64 s[6:7], vcc
	s_cbranch_execz .LBB38_1942
; %bb.1937:
	s_mov_b32 s8, 0x3bffffff
	v_cmp_lt_u32_e32 vcc, s8, v7
	s_mov_b64 s[8:9], 0
                                        ; implicit-def: $vgpr7
	s_and_saveexec_b64 s[10:11], vcc
	s_xor_b64 s[10:11], exec, s[10:11]
	s_cbranch_execz .LBB38_2004
; %bb.1938:
	v_bfe_u32 v7, v6, 20, 1
	s_mov_b32 s17, 0x487ffff
	v_add3_u32 v7, v6, v7, s17
	s_mov_b64 s[8:9], exec
	v_lshrrev_b32_e32 v7, 20, v7
	s_andn2_saveexec_b64 s[10:11], s[10:11]
	s_cbranch_execnz .LBB38_2005
.LBB38_1939:
	s_or_b64 exec, exec, s[10:11]
	v_mov_b32_e32 v8, 0
	s_and_saveexec_b64 s[10:11], s[8:9]
.LBB38_1940:
	v_lshrrev_b32_e32 v6, 24, v6
	s_movk_i32 s8, 0x80
	v_and_or_b32 v8, v6, s8, v7
.LBB38_1941:
	s_or_b64 exec, exec, s[10:11]
.LBB38_1942:
	s_or_b64 exec, exec, s[6:7]
	global_store_byte v[2:3], v8, off
.LBB38_1943:
	s_mov_b64 s[6:7], 0
.LBB38_1944:
	s_and_b64 vcc, exec, s[6:7]
	s_cbranch_vccz .LBB38_1984
; %bb.1945:
	s_cmp_gt_i32 s16, 22
	s_mov_b64 s[4:5], -1
	s_cbranch_scc0 .LBB38_1977
; %bb.1946:
	s_cmp_lt_i32 s16, 24
	s_cbranch_scc1 .LBB38_1966
; %bb.1947:
	s_cmp_gt_i32 s16, 24
	s_cbranch_scc0 .LBB38_1955
; %bb.1948:
	v_xor_b32_e32 v7, v0, v1
	v_ffbh_i32_e32 v6, v1
	v_ashrrev_i32_e32 v7, 31, v7
	v_add_u32_e32 v6, -1, v6
	v_add_u32_e32 v7, 32, v7
	v_min_u32_e32 v8, v6, v7
	v_lshlrev_b64 v[6:7], v8, v[0:1]
	v_min_u32_e32 v6, 1, v6
	v_or_b32_e32 v6, v7, v6
	v_cvt_f32_i32_e32 v6, v6
	v_sub_u32_e32 v7, 32, v8
	s_mov_b32 s4, 0x47800000
	v_mov_b32_e32 v8, 0x80
	v_ldexp_f32 v6, v6, v7
	v_and_b32_e32 v7, 0x7fffffff, v6
	v_cmp_gt_u32_e32 vcc, s4, v7
	s_and_saveexec_b64 s[4:5], vcc
	s_cbranch_execz .LBB38_1954
; %bb.1949:
	s_mov_b32 s6, 0x37ffffff
	v_cmp_lt_u32_e32 vcc, s6, v7
	s_mov_b64 s[6:7], 0
                                        ; implicit-def: $vgpr7
	s_and_saveexec_b64 s[8:9], vcc
	s_xor_b64 s[8:9], exec, s[8:9]
	s_cbranch_execz .LBB38_2007
; %bb.1950:
	v_bfe_u32 v7, v6, 21, 1
	s_mov_b32 s10, 0x88fffff
	v_add3_u32 v7, v6, v7, s10
	s_mov_b64 s[6:7], exec
	v_lshrrev_b32_e32 v7, 21, v7
	s_andn2_saveexec_b64 s[8:9], s[8:9]
	s_cbranch_execnz .LBB38_2008
.LBB38_1951:
	s_or_b64 exec, exec, s[8:9]
	v_mov_b32_e32 v8, 0
	s_and_saveexec_b64 s[8:9], s[6:7]
.LBB38_1952:
	v_lshrrev_b32_e32 v6, 24, v6
	s_movk_i32 s6, 0x80
	v_and_or_b32 v8, v6, s6, v7
.LBB38_1953:
	s_or_b64 exec, exec, s[8:9]
.LBB38_1954:
	s_or_b64 exec, exec, s[4:5]
	s_mov_b64 s[4:5], 0
	global_store_byte v[2:3], v8, off
.LBB38_1955:
	s_and_b64 vcc, exec, s[4:5]
	s_cbranch_vccz .LBB38_1965
; %bb.1956:
	v_xor_b32_e32 v7, v0, v1
	v_ffbh_i32_e32 v6, v1
	v_ashrrev_i32_e32 v7, 31, v7
	v_add_u32_e32 v6, -1, v6
	v_add_u32_e32 v7, 32, v7
	v_min_u32_e32 v8, v6, v7
	v_lshlrev_b64 v[6:7], v8, v[0:1]
	v_min_u32_e32 v6, 1, v6
	v_or_b32_e32 v6, v7, v6
	v_cvt_f32_i32_e32 v6, v6
	v_sub_u32_e32 v7, 32, v8
	s_mov_b32 s4, 0x43f00000
	v_ldexp_f32 v6, v6, v7
	v_and_b32_e32 v8, 0x7fffffff, v6
	v_cmp_gt_u32_e32 vcc, s4, v8
                                        ; implicit-def: $vgpr7
	s_and_saveexec_b64 s[4:5], vcc
	s_xor_b64 s[4:5], exec, s[4:5]
	s_cbranch_execz .LBB38_1962
; %bb.1957:
	s_mov_b32 s6, 0x3c7fffff
	v_cmp_lt_u32_e32 vcc, s6, v8
                                        ; implicit-def: $vgpr7
	s_and_saveexec_b64 s[6:7], vcc
	s_xor_b64 s[6:7], exec, s[6:7]
; %bb.1958:
	v_bfe_u32 v7, v6, 20, 1
	s_mov_b32 s8, 0x407ffff
	v_add3_u32 v7, v6, v7, s8
	v_lshrrev_b32_e32 v8, 20, v7
	v_and_b32_e32 v7, 0xff00000, v7
	s_mov_b32 s8, 0x7f00000
	v_mov_b32_e32 v9, 0x7e
	v_cmp_ne_u32_e32 vcc, s8, v7
	s_nop 1
	v_cndmask_b32_e32 v7, v9, v8, vcc
; %bb.1959:
	s_andn2_saveexec_b64 s[6:7], s[6:7]
; %bb.1960:
	s_mov_b32 s8, 0x46800000
	v_add_f32_e64 v7, |v6|, s8
; %bb.1961:
	s_or_b64 exec, exec, s[6:7]
                                        ; implicit-def: $vgpr8
.LBB38_1962:
	s_andn2_saveexec_b64 s[4:5], s[4:5]
; %bb.1963:
	s_mov_b32 s6, 0x7f800000
	v_mov_b32_e32 v7, 0x7e
	v_mov_b32_e32 v9, 0x7f
	v_cmp_lt_u32_e32 vcc, s6, v8
	s_nop 1
	v_cndmask_b32_e32 v7, v7, v9, vcc
; %bb.1964:
	s_or_b64 exec, exec, s[4:5]
	v_lshrrev_b32_e32 v6, 24, v6
	s_movk_i32 s4, 0x80
	v_and_or_b32 v6, v6, s4, v7
	global_store_byte v[2:3], v6, off
.LBB38_1965:
	s_mov_b64 s[4:5], 0
.LBB38_1966:
	s_andn2_b64 vcc, exec, s[4:5]
	s_cbranch_vccnz .LBB38_1976
; %bb.1967:
	v_xor_b32_e32 v7, v0, v1
	v_ffbh_i32_e32 v6, v1
	v_ashrrev_i32_e32 v7, 31, v7
	v_add_u32_e32 v6, -1, v6
	v_add_u32_e32 v7, 32, v7
	v_min_u32_e32 v8, v6, v7
	v_lshlrev_b64 v[6:7], v8, v[0:1]
	v_min_u32_e32 v6, 1, v6
	v_or_b32_e32 v6, v7, v6
	v_cvt_f32_i32_e32 v6, v6
	v_sub_u32_e32 v7, 32, v8
	s_mov_b32 s4, 0x47800000
	v_ldexp_f32 v6, v6, v7
	v_and_b32_e32 v8, 0x7fffffff, v6
	v_cmp_gt_u32_e32 vcc, s4, v8
                                        ; implicit-def: $vgpr7
	s_and_saveexec_b64 s[4:5], vcc
	s_xor_b64 s[4:5], exec, s[4:5]
	s_cbranch_execz .LBB38_1973
; %bb.1968:
	s_mov_b32 s6, 0x387fffff
	v_cmp_lt_u32_e32 vcc, s6, v8
                                        ; implicit-def: $vgpr7
	s_and_saveexec_b64 s[6:7], vcc
	s_xor_b64 s[6:7], exec, s[6:7]
; %bb.1969:
	v_bfe_u32 v7, v6, 21, 1
	s_mov_b32 s8, 0x80fffff
	v_add3_u32 v7, v6, v7, s8
	v_lshrrev_b32_e32 v7, 21, v7
; %bb.1970:
	s_andn2_saveexec_b64 s[6:7], s[6:7]
; %bb.1971:
	s_mov_b32 s8, 0x43000000
	v_add_f32_e64 v7, |v6|, s8
; %bb.1972:
	s_or_b64 exec, exec, s[6:7]
                                        ; implicit-def: $vgpr8
.LBB38_1973:
	s_andn2_saveexec_b64 s[4:5], s[4:5]
; %bb.1974:
	s_mov_b32 s6, 0x7f800000
	v_mov_b32_e32 v7, 0x7c
	v_mov_b32_e32 v9, 0x7f
	v_cmp_lt_u32_e32 vcc, s6, v8
	s_nop 1
	v_cndmask_b32_e32 v7, v7, v9, vcc
; %bb.1975:
	s_or_b64 exec, exec, s[4:5]
	v_lshrrev_b32_e32 v6, 24, v6
	s_movk_i32 s4, 0x80
	v_and_or_b32 v6, v6, s4, v7
	global_store_byte v[2:3], v6, off
.LBB38_1976:
	s_mov_b64 s[4:5], 0
.LBB38_1977:
	s_andn2_b64 vcc, exec, s[4:5]
	s_mov_b64 s[4:5], 0
	s_cbranch_vccnz .LBB38_1984
; %bb.1978:
	s_cmp_gt_i32 s16, 14
	s_mov_b64 s[6:7], -1
	s_cbranch_scc0 .LBB38_1982
; %bb.1979:
	s_cmp_eq_u32 s16, 15
	s_mov_b64 s[0:1], -1
	s_cbranch_scc0 .LBB38_1981
; %bb.1980:
	v_xor_b32_e32 v7, v0, v1
	v_ffbh_i32_e32 v6, v1
	v_ashrrev_i32_e32 v7, 31, v7
	v_add_u32_e32 v6, -1, v6
	v_add_u32_e32 v7, 32, v7
	v_min_u32_e32 v8, v6, v7
	v_lshlrev_b64 v[6:7], v8, v[0:1]
	v_min_u32_e32 v6, 1, v6
	v_or_b32_e32 v6, v7, v6
	v_cvt_f32_i32_e32 v6, v6
	v_sub_u32_e32 v7, 32, v8
	s_movk_i32 s0, 0x7fff
	v_ldexp_f32 v6, v6, v7
	v_bfe_u32 v7, v6, 16, 1
	v_add3_u32 v6, v6, v7, s0
	global_store_short_d16_hi v[2:3], v6, off
	s_mov_b64 s[0:1], 0
.LBB38_1981:
	s_mov_b64 s[6:7], 0
.LBB38_1982:
	s_and_b64 vcc, exec, s[6:7]
	s_cbranch_vccz .LBB38_1984
; %bb.1983:
	s_cmp_lg_u32 s16, 11
	s_mov_b64 s[4:5], -1
	s_cselect_b64 s[0:1], -1, 0
.LBB38_1984:
	s_and_b64 vcc, exec, s[0:1]
	s_cbranch_vccnz .LBB38_2006
.LBB38_1985:
	s_mov_b64 s[0:1], 0
	s_branch .LBB38_1395
.LBB38_1986:
	s_mov_b64 s[0:1], 0
                                        ; implicit-def: $sgpr20
                                        ; implicit-def: $vgpr2_vgpr3
                                        ; implicit-def: $vgpr0_vgpr1
	s_branch .LBB38_1394
.LBB38_1987:
	s_mov_b64 s[4:5], 0
	s_mov_b64 s[0:1], -1
	s_branch .LBB38_1395
.LBB38_1988:
	s_trap 2
	s_or_b64 s[14:15], s[14:15], exec
	s_cbranch_execz .LBB38_1501
	s_branch .LBB38_1502
.LBB38_1989:
	s_andn2_saveexec_b64 s[18:19], s[18:19]
	s_cbranch_execz .LBB38_1581
.LBB38_1990:
	s_mov_b32 s21, 0x46000000
	v_add_f32_e64 v14, |v9|, s21
	v_and_b32_e32 v14, 0xff, v14
	v_cmp_ne_u32_e32 vcc, 0, v14
	s_andn2_b64 s[16:17], s[16:17], exec
	s_and_b64 s[22:23], vcc, exec
	s_or_b64 s[16:17], s[16:17], s[22:23]
	s_or_b64 exec, exec, s[18:19]
	v_mov_b32_e32 v15, 0
	s_and_saveexec_b64 s[18:19], s[16:17]
	s_cbranch_execnz .LBB38_1582
	s_branch .LBB38_1583
.LBB38_1991:
	s_trap 2
	s_or_b64 s[14:15], s[14:15], exec
	s_cbranch_execz .LBB38_1629
	s_branch .LBB38_1630
.LBB38_1992:
	s_andn2_saveexec_b64 s[16:17], s[16:17]
	s_cbranch_execz .LBB38_1594
.LBB38_1993:
	s_mov_b32 s18, 0x42800000
	v_add_f32_e64 v14, |v9|, s18
	v_and_b32_e32 v14, 0xff, v14
	v_cmp_ne_u32_e32 vcc, 0, v14
	s_andn2_b64 s[10:11], s[10:11], exec
	s_and_b64 s[18:19], vcc, exec
	s_or_b64 s[10:11], s[10:11], s[18:19]
	s_or_b64 exec, exec, s[16:17]
	v_mov_b32_e32 v15, 0
	s_and_saveexec_b64 s[16:17], s[10:11]
	s_cbranch_execnz .LBB38_1595
	s_branch .LBB38_1596
.LBB38_1994:
	s_andn2_saveexec_b64 s[16:17], s[16:17]
	s_cbranch_execz .LBB38_1700
.LBB38_1995:
	s_mov_b32 s21, 0x46000000
	v_add_f32_e64 v12, |v1|, s21
	v_and_b32_e32 v12, 0xff, v12
	v_cmp_ne_u32_e32 vcc, 0, v12
	s_andn2_b64 s[10:11], s[10:11], exec
	s_and_b64 s[22:23], vcc, exec
	s_or_b64 s[10:11], s[10:11], s[22:23]
	s_or_b64 exec, exec, s[16:17]
	v_mov_b32_e32 v13, 0
	s_and_saveexec_b64 s[16:17], s[10:11]
	s_cbranch_execnz .LBB38_1701
	s_branch .LBB38_1702
.LBB38_1996:
	s_trap 2
	s_or_b64 s[14:15], s[14:15], exec
	s_cbranch_execz .LBB38_1748
	s_branch .LBB38_1749
.LBB38_1997:
	s_andn2_saveexec_b64 s[10:11], s[10:11]
	s_cbranch_execz .LBB38_1713
.LBB38_1998:
	s_mov_b32 s16, 0x42800000
	v_add_f32_e64 v12, |v1|, s16
	v_and_b32_e32 v12, 0xff, v12
	v_cmp_ne_u32_e32 vcc, 0, v12
	s_andn2_b64 s[8:9], s[8:9], exec
	s_and_b64 s[16:17], vcc, exec
	s_or_b64 s[8:9], s[8:9], s[16:17]
	s_or_b64 exec, exec, s[10:11]
	v_mov_b32_e32 v13, 0
	s_and_saveexec_b64 s[10:11], s[8:9]
	s_cbranch_execnz .LBB38_1714
	s_branch .LBB38_1715
.LBB38_1999:
	s_andn2_saveexec_b64 s[16:17], s[16:17]
	s_cbranch_execz .LBB38_1819
.LBB38_2000:
	s_mov_b32 s21, 0x46000000
	v_add_f32_e64 v10, |v3|, s21
	v_and_b32_e32 v10, 0xff, v10
	v_cmp_ne_u32_e32 vcc, 0, v10
	s_andn2_b64 s[10:11], s[10:11], exec
	s_and_b64 s[22:23], vcc, exec
	s_or_b64 s[10:11], s[10:11], s[22:23]
	s_or_b64 exec, exec, s[16:17]
	v_mov_b32_e32 v11, 0
	s_and_saveexec_b64 s[16:17], s[10:11]
	s_cbranch_execnz .LBB38_1820
	s_branch .LBB38_1821
.LBB38_2001:
	s_trap 2
	s_or_b64 s[14:15], s[14:15], exec
	s_cbranch_execz .LBB38_1867
	s_branch .LBB38_1868
.LBB38_2002:
	s_andn2_saveexec_b64 s[10:11], s[10:11]
	s_cbranch_execz .LBB38_1832
.LBB38_2003:
	s_mov_b32 s16, 0x42800000
	v_add_f32_e64 v10, |v3|, s16
	v_and_b32_e32 v10, 0xff, v10
	v_cmp_ne_u32_e32 vcc, 0, v10
	s_andn2_b64 s[8:9], s[8:9], exec
	s_and_b64 s[16:17], vcc, exec
	s_or_b64 s[8:9], s[8:9], s[16:17]
	s_or_b64 exec, exec, s[10:11]
	v_mov_b32_e32 v11, 0
	s_and_saveexec_b64 s[10:11], s[8:9]
	s_cbranch_execnz .LBB38_1833
	s_branch .LBB38_1834
.LBB38_2004:
	s_andn2_saveexec_b64 s[10:11], s[10:11]
	s_cbranch_execz .LBB38_1939
.LBB38_2005:
	s_mov_b32 s17, 0x46000000
	v_add_f32_e64 v7, |v6|, s17
	v_and_b32_e32 v7, 0xff, v7
	v_cmp_ne_u32_e32 vcc, 0, v7
	s_andn2_b64 s[8:9], s[8:9], exec
	s_and_b64 s[18:19], vcc, exec
	s_or_b64 s[8:9], s[8:9], s[18:19]
	s_or_b64 exec, exec, s[10:11]
	v_mov_b32_e32 v8, 0
	s_and_saveexec_b64 s[10:11], s[8:9]
	s_cbranch_execnz .LBB38_1940
	s_branch .LBB38_1941
.LBB38_2006:
	s_mov_b64 s[4:5], 0
	s_or_b64 s[14:15], s[14:15], exec
	s_trap 2
	s_branch .LBB38_1985
.LBB38_2007:
	s_andn2_saveexec_b64 s[8:9], s[8:9]
	s_cbranch_execz .LBB38_1951
.LBB38_2008:
	s_mov_b32 s10, 0x42800000
	v_add_f32_e64 v7, |v6|, s10
	v_and_b32_e32 v7, 0xff, v7
	v_cmp_ne_u32_e32 vcc, 0, v7
	s_andn2_b64 s[6:7], s[6:7], exec
	s_and_b64 s[10:11], vcc, exec
	s_or_b64 s[6:7], s[6:7], s[10:11]
	s_or_b64 exec, exec, s[8:9]
	v_mov_b32_e32 v8, 0
	s_and_saveexec_b64 s[8:9], s[6:7]
	s_cbranch_execnz .LBB38_1952
	s_branch .LBB38_1953
	.section	.rodata,"a",@progbits
	.p2align	6, 0x0
	.amdhsa_kernel _ZN2at6native32elementwise_kernel_manual_unrollILi128ELi4EZNS0_15gpu_kernel_implIZZZNS0_23bitwise_not_kernel_cudaERNS_18TensorIteratorBaseEENKUlvE_clEvENKUlvE2_clEvEUllE_EEvS4_RKT_EUlibE_EEviT1_
		.amdhsa_group_segment_fixed_size 0
		.amdhsa_private_segment_fixed_size 0
		.amdhsa_kernarg_size 40
		.amdhsa_user_sgpr_count 2
		.amdhsa_user_sgpr_dispatch_ptr 0
		.amdhsa_user_sgpr_queue_ptr 0
		.amdhsa_user_sgpr_kernarg_segment_ptr 1
		.amdhsa_user_sgpr_dispatch_id 0
		.amdhsa_user_sgpr_kernarg_preload_length 0
		.amdhsa_user_sgpr_kernarg_preload_offset 0
		.amdhsa_user_sgpr_private_segment_size 0
		.amdhsa_uses_dynamic_stack 0
		.amdhsa_enable_private_segment 0
		.amdhsa_system_sgpr_workgroup_id_x 1
		.amdhsa_system_sgpr_workgroup_id_y 0
		.amdhsa_system_sgpr_workgroup_id_z 0
		.amdhsa_system_sgpr_workgroup_info 0
		.amdhsa_system_vgpr_workitem_id 0
		.amdhsa_next_free_vgpr 18
		.amdhsa_next_free_sgpr 46
		.amdhsa_accum_offset 20
		.amdhsa_reserve_vcc 1
		.amdhsa_float_round_mode_32 0
		.amdhsa_float_round_mode_16_64 0
		.amdhsa_float_denorm_mode_32 3
		.amdhsa_float_denorm_mode_16_64 3
		.amdhsa_dx10_clamp 1
		.amdhsa_ieee_mode 1
		.amdhsa_fp16_overflow 0
		.amdhsa_tg_split 0
		.amdhsa_exception_fp_ieee_invalid_op 0
		.amdhsa_exception_fp_denorm_src 0
		.amdhsa_exception_fp_ieee_div_zero 0
		.amdhsa_exception_fp_ieee_overflow 0
		.amdhsa_exception_fp_ieee_underflow 0
		.amdhsa_exception_fp_ieee_inexact 0
		.amdhsa_exception_int_div_zero 0
	.end_amdhsa_kernel
	.section	.text._ZN2at6native32elementwise_kernel_manual_unrollILi128ELi4EZNS0_15gpu_kernel_implIZZZNS0_23bitwise_not_kernel_cudaERNS_18TensorIteratorBaseEENKUlvE_clEvENKUlvE2_clEvEUllE_EEvS4_RKT_EUlibE_EEviT1_,"axG",@progbits,_ZN2at6native32elementwise_kernel_manual_unrollILi128ELi4EZNS0_15gpu_kernel_implIZZZNS0_23bitwise_not_kernel_cudaERNS_18TensorIteratorBaseEENKUlvE_clEvENKUlvE2_clEvEUllE_EEvS4_RKT_EUlibE_EEviT1_,comdat
.Lfunc_end38:
	.size	_ZN2at6native32elementwise_kernel_manual_unrollILi128ELi4EZNS0_15gpu_kernel_implIZZZNS0_23bitwise_not_kernel_cudaERNS_18TensorIteratorBaseEENKUlvE_clEvENKUlvE2_clEvEUllE_EEvS4_RKT_EUlibE_EEviT1_, .Lfunc_end38-_ZN2at6native32elementwise_kernel_manual_unrollILi128ELi4EZNS0_15gpu_kernel_implIZZZNS0_23bitwise_not_kernel_cudaERNS_18TensorIteratorBaseEENKUlvE_clEvENKUlvE2_clEvEUllE_EEvS4_RKT_EUlibE_EEviT1_
                                        ; -- End function
	.set _ZN2at6native32elementwise_kernel_manual_unrollILi128ELi4EZNS0_15gpu_kernel_implIZZZNS0_23bitwise_not_kernel_cudaERNS_18TensorIteratorBaseEENKUlvE_clEvENKUlvE2_clEvEUllE_EEvS4_RKT_EUlibE_EEviT1_.num_vgpr, 18
	.set _ZN2at6native32elementwise_kernel_manual_unrollILi128ELi4EZNS0_15gpu_kernel_implIZZZNS0_23bitwise_not_kernel_cudaERNS_18TensorIteratorBaseEENKUlvE_clEvENKUlvE2_clEvEUllE_EEvS4_RKT_EUlibE_EEviT1_.num_agpr, 0
	.set _ZN2at6native32elementwise_kernel_manual_unrollILi128ELi4EZNS0_15gpu_kernel_implIZZZNS0_23bitwise_not_kernel_cudaERNS_18TensorIteratorBaseEENKUlvE_clEvENKUlvE2_clEvEUllE_EEvS4_RKT_EUlibE_EEviT1_.numbered_sgpr, 46
	.set _ZN2at6native32elementwise_kernel_manual_unrollILi128ELi4EZNS0_15gpu_kernel_implIZZZNS0_23bitwise_not_kernel_cudaERNS_18TensorIteratorBaseEENKUlvE_clEvENKUlvE2_clEvEUllE_EEvS4_RKT_EUlibE_EEviT1_.num_named_barrier, 0
	.set _ZN2at6native32elementwise_kernel_manual_unrollILi128ELi4EZNS0_15gpu_kernel_implIZZZNS0_23bitwise_not_kernel_cudaERNS_18TensorIteratorBaseEENKUlvE_clEvENKUlvE2_clEvEUllE_EEvS4_RKT_EUlibE_EEviT1_.private_seg_size, 0
	.set _ZN2at6native32elementwise_kernel_manual_unrollILi128ELi4EZNS0_15gpu_kernel_implIZZZNS0_23bitwise_not_kernel_cudaERNS_18TensorIteratorBaseEENKUlvE_clEvENKUlvE2_clEvEUllE_EEvS4_RKT_EUlibE_EEviT1_.uses_vcc, 1
	.set _ZN2at6native32elementwise_kernel_manual_unrollILi128ELi4EZNS0_15gpu_kernel_implIZZZNS0_23bitwise_not_kernel_cudaERNS_18TensorIteratorBaseEENKUlvE_clEvENKUlvE2_clEvEUllE_EEvS4_RKT_EUlibE_EEviT1_.uses_flat_scratch, 0
	.set _ZN2at6native32elementwise_kernel_manual_unrollILi128ELi4EZNS0_15gpu_kernel_implIZZZNS0_23bitwise_not_kernel_cudaERNS_18TensorIteratorBaseEENKUlvE_clEvENKUlvE2_clEvEUllE_EEvS4_RKT_EUlibE_EEviT1_.has_dyn_sized_stack, 0
	.set _ZN2at6native32elementwise_kernel_manual_unrollILi128ELi4EZNS0_15gpu_kernel_implIZZZNS0_23bitwise_not_kernel_cudaERNS_18TensorIteratorBaseEENKUlvE_clEvENKUlvE2_clEvEUllE_EEvS4_RKT_EUlibE_EEviT1_.has_recursion, 0
	.set _ZN2at6native32elementwise_kernel_manual_unrollILi128ELi4EZNS0_15gpu_kernel_implIZZZNS0_23bitwise_not_kernel_cudaERNS_18TensorIteratorBaseEENKUlvE_clEvENKUlvE2_clEvEUllE_EEvS4_RKT_EUlibE_EEviT1_.has_indirect_call, 0
	.section	.AMDGPU.csdata,"",@progbits
; Kernel info:
; codeLenInByte = 40748
; TotalNumSgprs: 52
; NumVgprs: 18
; NumAgprs: 0
; TotalNumVgprs: 18
; ScratchSize: 0
; MemoryBound: 1
; FloatMode: 240
; IeeeMode: 1
; LDSByteSize: 0 bytes/workgroup (compile time only)
; SGPRBlocks: 6
; VGPRBlocks: 2
; NumSGPRsForWavesPerEU: 52
; NumVGPRsForWavesPerEU: 18
; AccumOffset: 20
; Occupancy: 8
; WaveLimiterHint : 0
; COMPUTE_PGM_RSRC2:SCRATCH_EN: 0
; COMPUTE_PGM_RSRC2:USER_SGPR: 2
; COMPUTE_PGM_RSRC2:TRAP_HANDLER: 0
; COMPUTE_PGM_RSRC2:TGID_X_EN: 1
; COMPUTE_PGM_RSRC2:TGID_Y_EN: 0
; COMPUTE_PGM_RSRC2:TGID_Z_EN: 0
; COMPUTE_PGM_RSRC2:TIDIG_COMP_CNT: 0
; COMPUTE_PGM_RSRC3_GFX90A:ACCUM_OFFSET: 4
; COMPUTE_PGM_RSRC3_GFX90A:TG_SPLIT: 0
	.section	.text._ZN2at6native32elementwise_kernel_manual_unrollILi128ELi4EZNS0_15gpu_kernel_implIZZZNS0_23bitwise_not_kernel_cudaERNS_18TensorIteratorBaseEENKUlvE_clEvENKUlvE2_clEvEUllE_EEvS4_RKT_EUlibE0_EEviT1_,"axG",@progbits,_ZN2at6native32elementwise_kernel_manual_unrollILi128ELi4EZNS0_15gpu_kernel_implIZZZNS0_23bitwise_not_kernel_cudaERNS_18TensorIteratorBaseEENKUlvE_clEvENKUlvE2_clEvEUllE_EEvS4_RKT_EUlibE0_EEviT1_,comdat
	.globl	_ZN2at6native32elementwise_kernel_manual_unrollILi128ELi4EZNS0_15gpu_kernel_implIZZZNS0_23bitwise_not_kernel_cudaERNS_18TensorIteratorBaseEENKUlvE_clEvENKUlvE2_clEvEUllE_EEvS4_RKT_EUlibE0_EEviT1_ ; -- Begin function _ZN2at6native32elementwise_kernel_manual_unrollILi128ELi4EZNS0_15gpu_kernel_implIZZZNS0_23bitwise_not_kernel_cudaERNS_18TensorIteratorBaseEENKUlvE_clEvENKUlvE2_clEvEUllE_EEvS4_RKT_EUlibE0_EEviT1_
	.p2align	8
	.type	_ZN2at6native32elementwise_kernel_manual_unrollILi128ELi4EZNS0_15gpu_kernel_implIZZZNS0_23bitwise_not_kernel_cudaERNS_18TensorIteratorBaseEENKUlvE_clEvENKUlvE2_clEvEUllE_EEvS4_RKT_EUlibE0_EEviT1_,@function
_ZN2at6native32elementwise_kernel_manual_unrollILi128ELi4EZNS0_15gpu_kernel_implIZZZNS0_23bitwise_not_kernel_cudaERNS_18TensorIteratorBaseEENKUlvE_clEvENKUlvE2_clEvEUllE_EEvS4_RKT_EUlibE0_EEviT1_: ; @_ZN2at6native32elementwise_kernel_manual_unrollILi128ELi4EZNS0_15gpu_kernel_implIZZZNS0_23bitwise_not_kernel_cudaERNS_18TensorIteratorBaseEENKUlvE_clEvENKUlvE2_clEvEUllE_EEvS4_RKT_EUlibE0_EEviT1_
; %bb.0:
	s_load_dword s70, s[0:1], 0x0
	s_load_dword s33, s[0:1], 0x8
	s_add_u32 s34, s0, 8
	s_addc_u32 s35, s1, 0
	v_lshl_or_b32 v14, s2, 9, v0
	v_or_b32_e32 v16, 0x180, v14
	s_waitcnt lgkmcnt(0)
	s_add_i32 s72, s33, -1
	s_cmp_gt_u32 s72, 1
	v_cmp_le_i32_e32 vcc, s70, v16
	s_cselect_b64 s[42:43], -1, 0
	s_mov_b64 s[40:41], 0
	s_mov_b64 s[24:25], 0
	s_and_saveexec_b64 s[2:3], vcc
	s_xor_b64 s[44:45], exec, s[2:3]
	s_cbranch_execz .LBB39_1074
; %bb.1:
	v_mov_b32_e32 v0, 0
	global_load_ushort v0, v0, s[34:35] offset:345
	s_load_dwordx4 s[28:31], s[34:35], 0x4
	s_load_dwordx2 s[46:47], s[34:35], 0x14
	s_load_dwordx4 s[24:27], s[34:35], 0xc4
	s_load_dwordx4 s[20:23], s[34:35], 0x148
	s_cmp_lg_u32 s33, 0
	s_cselect_b64 s[52:53], -1, 0
	s_add_u32 s50, s34, 0xc4
	s_addc_u32 s51, s35, 0
	s_min_u32 s75, s72, 15
	s_cmp_gt_u32 s33, 1
	s_cselect_b64 s[48:49], -1, 0
	v_cmp_gt_i32_e32 vcc, s70, v14
	s_mov_b64 s[4:5], -1
	s_mov_b64 s[62:63], 0
	s_mov_b64 s[56:57], 0
	;; [unrolled: 1-line block ×3, first 2 shown]
	s_waitcnt vmcnt(0)
	v_readfirstlane_b32 s73, v0
	s_and_b32 s2, 0xffff, s73
	s_lshr_b32 s74, s2, 8
	s_and_saveexec_b64 s[58:59], vcc
	s_cbranch_execz .LBB39_263
; %bb.2:
	s_andn2_b64 vcc, exec, s[42:43]
	s_cbranch_vccnz .LBB39_8
; %bb.3:
	s_andn2_b64 vcc, exec, s[52:53]
	s_cbranch_vccnz .LBB39_9
; %bb.4:
	s_add_i32 s57, s75, 1
	s_cmp_eq_u32 s72, 2
	s_cbranch_scc1 .LBB39_10
; %bb.5:
	s_and_b32 s56, s57, 28
	s_mov_b32 s60, 0
	v_mov_b32_e32 v0, 0
	v_mov_b32_e32 v2, 0
	s_mov_b64 s[2:3], s[34:35]
	s_mov_b64 s[54:55], s[50:51]
	v_mov_b32_e32 v4, v14
.LBB39_6:                               ; =>This Inner Loop Header: Depth=1
	s_load_dwordx8 s[12:19], s[2:3], 0x4
	s_load_dwordx4 s[36:39], s[2:3], 0x24
	s_load_dwordx8 s[4:11], s[54:55], 0x0
	s_add_u32 s2, s2, 48
	s_addc_u32 s3, s3, 0
	s_waitcnt lgkmcnt(0)
	v_mul_hi_u32 v1, s13, v4
	v_add_u32_e32 v1, v4, v1
	v_lshrrev_b32_e32 v1, s14, v1
	v_mul_lo_u32 v3, v1, s12
	v_mul_hi_u32 v5, s16, v1
	v_sub_u32_e32 v3, v4, v3
	v_add_u32_e32 v4, v1, v5
	v_lshrrev_b32_e32 v4, s17, v4
	v_mul_lo_u32 v6, v4, s15
	v_mul_hi_u32 v7, s19, v4
	v_sub_u32_e32 v1, v1, v6
	v_add_u32_e32 v6, v4, v7
	v_mul_lo_u32 v5, v3, s5
	v_mul_lo_u32 v3, v3, s4
	;; [unrolled: 1-line block ×4, first 2 shown]
	v_lshrrev_b32_e32 v6, s36, v6
	v_add3_u32 v0, v3, v0, v1
	v_mul_hi_u32 v3, s38, v6
	v_add3_u32 v1, v5, v2, v7
	v_mul_lo_u32 v2, v6, s18
	v_add_u32_e32 v3, v6, v3
	v_sub_u32_e32 v2, v4, v2
	v_lshrrev_b32_e32 v4, s39, v3
	s_add_i32 s60, s60, 4
	v_mul_lo_u32 v3, v4, s37
	s_add_u32 s54, s54, 32
	v_sub_u32_e32 v3, v6, v3
	s_addc_u32 s55, s55, 0
	v_mul_lo_u32 v5, v2, s8
	v_mul_lo_u32 v2, v2, s9
	;; [unrolled: 1-line block ×4, first 2 shown]
	s_cmp_lg_u32 s56, s60
	v_add3_u32 v2, v2, v1, v3
	v_add3_u32 v0, v5, v0, v6
	s_cbranch_scc1 .LBB39_6
; %bb.7:
	v_mov_b32_e32 v1, v2
	s_branch .LBB39_11
.LBB39_8:
                                        ; implicit-def: $vgpr2
                                        ; implicit-def: $vgpr0
	s_branch .LBB39_15
.LBB39_9:
	v_mov_b32_e32 v2, 0
	v_mov_b32_e32 v0, 0
	s_branch .LBB39_14
.LBB39_10:
	v_mov_b32_e32 v0, 0
	s_mov_b32 s56, 0
	v_mov_b32_e32 v1, v0
                                        ; implicit-def: $vgpr2
	v_mov_b32_e32 v4, v14
.LBB39_11:
	s_and_b32 s6, s57, 3
	s_cmp_eq_u32 s6, 0
	s_cbranch_scc1 .LBB39_14
; %bb.12:
	s_lshl_b32 s2, s56, 3
	s_add_u32 s2, s34, s2
	s_addc_u32 s3, s35, 0
	s_add_u32 s2, s2, 0xc4
	s_addc_u32 s3, s3, 0
	s_mul_i32 s4, s56, 12
	s_add_u32 s4, s34, s4
	s_addc_u32 s5, s35, 0
.LBB39_13:                              ; =>This Inner Loop Header: Depth=1
	s_load_dwordx2 s[8:9], s[4:5], 0x4
	s_load_dword s7, s[4:5], 0xc
	s_load_dwordx2 s[10:11], s[2:3], 0x0
	v_mov_b32_e32 v2, v1
	s_add_u32 s4, s4, 12
	s_waitcnt lgkmcnt(0)
	v_mul_hi_u32 v1, s9, v4
	v_add_u32_e32 v1, v4, v1
	v_lshrrev_b32_e32 v1, s7, v1
	s_addc_u32 s5, s5, 0
	v_mul_lo_u32 v3, v1, s8
	s_add_u32 s2, s2, 8
	v_sub_u32_e32 v5, v4, v3
	s_addc_u32 s3, s3, 0
	s_add_i32 s6, s6, -1
	v_mov_b32_e32 v4, v1
	v_mad_u64_u32 v[2:3], s[8:9], v5, s11, v[2:3]
	v_mad_u64_u32 v[0:1], s[8:9], v5, s10, v[0:1]
	s_cmp_lg_u32 s6, 0
	v_mov_b32_e32 v1, v2
	s_cbranch_scc1 .LBB39_13
.LBB39_14:
	s_cbranch_execnz .LBB39_17
.LBB39_15:
	s_waitcnt lgkmcnt(0)
	v_mul_hi_u32 v0, s29, v14
	v_add_u32_e32 v0, v14, v0
	v_lshrrev_b32_e32 v1, s30, v0
	v_mul_lo_u32 v0, v1, s28
	v_sub_u32_e32 v0, v14, v0
	v_mul_lo_u32 v2, v0, s25
	s_andn2_b64 vcc, exec, s[48:49]
	v_mul_lo_u32 v0, v0, s24
	s_cbranch_vccnz .LBB39_17
; %bb.16:
	v_mul_hi_u32 v3, s46, v1
	v_add_u32_e32 v3, v1, v3
	v_lshrrev_b32_e32 v3, s47, v3
	v_mul_lo_u32 v3, v3, s31
	v_sub_u32_e32 v3, v1, v3
	v_mad_u64_u32 v[0:1], s[2:3], v3, s26, v[0:1]
	v_mad_u64_u32 v[2:3], s[2:3], v3, s27, v[2:3]
.LBB39_17:
	v_mov_b32_e32 v3, 0
	s_and_b32 s8, 0xffff, s74
	s_cmp_lt_i32 s8, 11
	s_waitcnt lgkmcnt(0)
	v_lshl_add_u64 v[4:5], s[22:23], 0, v[2:3]
	s_cbranch_scc1 .LBB39_24
; %bb.18:
	s_cmp_gt_i32 s8, 25
	s_cbranch_scc0 .LBB39_33
; %bb.19:
	s_cmp_gt_i32 s8, 28
	s_cbranch_scc0 .LBB39_36
	;; [unrolled: 3-line block ×4, first 2 shown]
; %bb.22:
	s_cmp_eq_u32 s8, 46
	s_mov_b64 s[6:7], 0
	s_cbranch_scc0 .LBB39_42
; %bb.23:
	global_load_dword v1, v[4:5], off
	s_mov_b32 s2, 0x2f800000
	s_mov_b32 s3, 0xcf800000
	s_mov_b64 s[4:5], 0
	s_waitcnt vmcnt(0)
	v_lshlrev_b32_e32 v1, 16, v1
	v_trunc_f32_e32 v1, v1
	v_mul_f32_e64 v2, |v1|, s2
	v_floor_f32_e32 v2, v2
	v_fma_f32 v3, v2, s3, |v1|
	v_cvt_u32_f32_e32 v2, v2
	v_cvt_u32_f32_e32 v3, v3
	v_ashrrev_i32_e32 v1, 31, v1
	s_mov_b64 s[2:3], -1
	v_xor_b32_e32 v6, v2, v1
	v_xor_b32_e32 v2, v3, v1
	v_sub_co_u32_e32 v2, vcc, v2, v1
	s_nop 1
	v_subb_co_u32_e32 v3, vcc, v6, v1, vcc
	s_branch .LBB39_44
.LBB39_24:
	s_mov_b64 s[4:5], 0
                                        ; implicit-def: $vgpr2_vgpr3
	s_mov_b64 s[2:3], 0
	s_cbranch_execnz .LBB39_213
.LBB39_25:
	s_andn2_b64 vcc, exec, s[2:3]
	s_cbranch_vccnz .LBB39_260
.LBB39_26:
	v_mov_b32_e32 v1, 0
	s_and_b32 s12, s73, 0xff
	s_waitcnt vmcnt(0)
	v_not_b32_e32 v5, v3
	v_not_b32_e32 v4, v2
	s_cmp_lt_i32 s12, 11
	v_lshl_add_u64 v[0:1], s[20:21], 0, v[0:1]
	s_cbranch_scc1 .LBB39_34
; %bb.27:
	s_and_b32 s13, 0xffff, s12
	s_cmp_gt_i32 s13, 25
	s_cbranch_scc0 .LBB39_37
; %bb.28:
	s_cmp_gt_i32 s13, 28
	s_cbranch_scc0 .LBB39_39
; %bb.29:
	s_cmp_gt_i32 s13, 43
	s_cbranch_scc0 .LBB39_41
; %bb.30:
	s_cmp_gt_i32 s13, 45
	s_cbranch_scc0 .LBB39_47
; %bb.31:
	s_mov_b64 s[8:9], 0
	s_mov_b64 s[2:3], -1
	s_cmp_eq_u32 s13, 46
	s_mov_b64 s[6:7], 0
	s_cbranch_scc0 .LBB39_48
; %bb.32:
	v_xor_b32_e32 v7, v4, v5
	v_ffbh_i32_e32 v6, v5
	v_ashrrev_i32_e32 v7, 31, v7
	v_add_u32_e32 v6, -1, v6
	v_add_u32_e32 v7, 32, v7
	v_min_u32_e32 v8, v6, v7
	v_lshlrev_b64 v[6:7], v8, v[4:5]
	v_min_u32_e32 v6, 1, v6
	v_or_b32_e32 v6, v7, v6
	v_cvt_f32_i32_e32 v6, v6
	v_sub_u32_e32 v7, 32, v8
	s_movk_i32 s2, 0x7fff
	s_mov_b64 s[6:7], -1
	v_ldexp_f32 v6, v6, v7
	v_bfe_u32 v7, v6, 16, 1
	v_add3_u32 v6, v6, v7, s2
	v_lshrrev_b32_e32 v6, 16, v6
	global_store_dword v[0:1], v6, off
	s_mov_b64 s[2:3], 0
	s_branch .LBB39_48
.LBB39_33:
	s_mov_b64 s[4:5], 0
	s_mov_b64 s[2:3], 0
                                        ; implicit-def: $vgpr2_vgpr3
	s_cbranch_execnz .LBB39_180
	s_branch .LBB39_212
.LBB39_34:
	s_mov_b64 s[2:3], 0
	s_mov_b64 s[6:7], 0
	s_cbranch_execnz .LBB39_117
.LBB39_35:
	s_andn2_b64 vcc, exec, s[6:7]
	s_cbranch_vccnz .LBB39_261
	s_branch .LBB39_155
.LBB39_36:
	s_mov_b64 s[6:7], -1
	s_mov_b64 s[4:5], 0
	s_mov_b64 s[2:3], 0
                                        ; implicit-def: $vgpr2_vgpr3
	s_branch .LBB39_163
.LBB39_37:
	s_mov_b64 s[8:9], -1
	s_mov_b64 s[2:3], 0
	s_mov_b64 s[6:7], 0
	s_branch .LBB39_75
.LBB39_38:
	s_mov_b64 s[6:7], -1
	s_mov_b64 s[4:5], 0
	s_mov_b64 s[2:3], 0
                                        ; implicit-def: $vgpr2_vgpr3
	s_branch .LBB39_158
.LBB39_39:
	s_mov_b64 s[8:9], -1
	s_mov_b64 s[2:3], 0
	s_mov_b64 s[6:7], 0
	s_branch .LBB39_58
.LBB39_40:
	s_mov_b64 s[6:7], -1
	s_mov_b64 s[4:5], 0
	s_branch .LBB39_43
.LBB39_41:
	s_mov_b64 s[8:9], -1
	s_mov_b64 s[2:3], 0
	s_mov_b64 s[6:7], 0
	s_branch .LBB39_54
.LBB39_42:
	s_mov_b64 s[4:5], -1
.LBB39_43:
	s_mov_b64 s[2:3], 0
                                        ; implicit-def: $vgpr2_vgpr3
.LBB39_44:
	s_and_b64 vcc, exec, s[6:7]
	s_cbranch_vccz .LBB39_157
; %bb.45:
	s_cmp_eq_u32 s8, 44
	s_cbranch_scc0 .LBB39_156
; %bb.46:
	global_load_ubyte v1, v[4:5], off
	s_mov_b32 s2, 0x2f800000
	s_mov_b32 s3, 0xcf800000
	s_mov_b64 s[4:5], 0
	s_waitcnt vmcnt(0)
	v_lshlrev_b32_e32 v2, 23, v1
	v_trunc_f32_e32 v2, v2
	v_mul_f32_e64 v3, |v2|, s2
	v_floor_f32_e32 v3, v3
	v_fma_f32 v6, v3, s3, |v2|
	v_cvt_u32_f32_e32 v6, v6
	v_cvt_u32_f32_e32 v3, v3
	v_ashrrev_i32_e32 v2, 31, v2
	s_mov_b64 s[2:3], -1
	v_xor_b32_e32 v6, v6, v2
	v_xor_b32_e32 v3, v3, v2
	v_sub_co_u32_e32 v6, vcc, v6, v2
	s_nop 1
	v_subb_co_u32_e32 v2, vcc, v3, v2, vcc
	v_cmp_ne_u32_e32 vcc, 0, v1
	s_nop 1
	v_cndmask_b32_e32 v3, 0, v2, vcc
	v_cndmask_b32_e32 v2, 0, v6, vcc
	s_branch .LBB39_157
.LBB39_47:
	s_mov_b64 s[8:9], -1
	s_mov_b64 s[2:3], 0
	s_mov_b64 s[6:7], 0
.LBB39_48:
	s_and_b64 vcc, exec, s[8:9]
	s_cbranch_vccz .LBB39_53
; %bb.49:
	s_cmp_eq_u32 s13, 44
	s_mov_b64 s[2:3], -1
	s_cbranch_scc0 .LBB39_53
; %bb.50:
	v_xor_b32_e32 v7, v4, v5
	v_ffbh_i32_e32 v6, v5
	v_ashrrev_i32_e32 v7, 31, v7
	v_add_u32_e32 v6, -1, v6
	v_add_u32_e32 v7, 32, v7
	v_min_u32_e32 v8, v6, v7
	v_lshlrev_b64 v[6:7], v8, v[4:5]
	v_min_u32_e32 v6, 1, v6
	v_or_b32_e32 v6, v7, v6
	v_cvt_f32_i32_e32 v6, v6
	v_sub_u32_e32 v7, 32, v8
	s_movk_i32 s2, 0xff
	v_mov_b32_e32 v8, 0xff
	v_ldexp_f32 v6, v6, v7
	v_bfe_u32 v7, v6, 23, 8
	v_cmp_ne_u32_e32 vcc, s2, v7
	s_and_saveexec_b64 s[6:7], vcc
; %bb.51:
	s_mov_b32 s2, 0x3fffff
	v_lshrrev_b32_e32 v8, 23, v6
	v_and_b32_e32 v9, 0x400000, v6
	v_and_or_b32 v6, v6, s2, v7
	v_cmp_ne_u32_e32 vcc, 0, v9
	v_cmp_ne_u32_e64 s[2:3], 0, v6
	s_and_b64 s[2:3], vcc, s[2:3]
	s_nop 0
	v_cndmask_b32_e64 v6, 0, 1, s[2:3]
	v_add_u32_e32 v8, v8, v6
; %bb.52:
	s_or_b64 exec, exec, s[6:7]
	s_mov_b64 s[6:7], -1
	s_mov_b64 s[2:3], 0
	global_store_byte v[0:1], v8, off
.LBB39_53:
	s_mov_b64 s[8:9], 0
.LBB39_54:
	s_and_b64 vcc, exec, s[8:9]
	s_cbranch_vccz .LBB39_57
; %bb.55:
	s_cmp_eq_u32 s13, 29
	s_mov_b64 s[2:3], -1
	s_cbranch_scc0 .LBB39_57
; %bb.56:
	global_store_dwordx2 v[0:1], v[4:5], off
	s_mov_b64 s[6:7], -1
	s_mov_b64 s[2:3], 0
.LBB39_57:
	s_mov_b64 s[8:9], 0
.LBB39_58:
	s_and_b64 vcc, exec, s[8:9]
	s_cbranch_vccz .LBB39_74
; %bb.59:
	s_cmp_lt_i32 s13, 27
	s_mov_b64 s[6:7], -1
	s_cbranch_scc1 .LBB39_65
; %bb.60:
	s_cmp_gt_i32 s13, 27
	s_cbranch_scc0 .LBB39_62
; %bb.61:
	s_mov_b64 s[6:7], 0
	global_store_dword v[0:1], v4, off
.LBB39_62:
	s_andn2_b64 vcc, exec, s[6:7]
	s_cbranch_vccnz .LBB39_64
; %bb.63:
	global_store_short v[0:1], v4, off
.LBB39_64:
	s_mov_b64 s[6:7], 0
.LBB39_65:
	s_andn2_b64 vcc, exec, s[6:7]
	s_cbranch_vccnz .LBB39_73
; %bb.66:
	v_xor_b32_e32 v7, v4, v5
	v_ffbh_i32_e32 v6, v5
	v_ashrrev_i32_e32 v7, 31, v7
	v_add_u32_e32 v6, -1, v6
	v_add_u32_e32 v7, 32, v7
	v_min_u32_e32 v8, v6, v7
	v_lshlrev_b64 v[6:7], v8, v[4:5]
	v_min_u32_e32 v6, 1, v6
	v_or_b32_e32 v6, v7, v6
	v_cvt_f32_i32_e32 v6, v6
	v_sub_u32_e32 v7, 32, v8
	s_mov_b32 s6, 0x43800000
	v_mov_b32_e32 v8, 0x80
	v_ldexp_f32 v6, v6, v7
	v_and_b32_e32 v7, 0x7fffffff, v6
	v_cmp_gt_u32_e32 vcc, s6, v7
	s_and_saveexec_b64 s[6:7], vcc
	s_cbranch_execz .LBB39_72
; %bb.67:
	s_mov_b32 s8, 0x3bffffff
	v_cmp_lt_u32_e32 vcc, s8, v7
	s_mov_b64 s[8:9], 0
                                        ; implicit-def: $vgpr7
	s_and_saveexec_b64 s[10:11], vcc
	s_xor_b64 s[10:11], exec, s[10:11]
	s_cbranch_execz .LBB39_305
; %bb.68:
	v_bfe_u32 v7, v6, 20, 1
	s_mov_b32 s14, 0x487ffff
	v_add3_u32 v7, v6, v7, s14
	s_mov_b64 s[8:9], exec
	v_lshrrev_b32_e32 v7, 20, v7
	s_andn2_saveexec_b64 s[10:11], s[10:11]
	s_cbranch_execnz .LBB39_306
.LBB39_69:
	s_or_b64 exec, exec, s[10:11]
	v_mov_b32_e32 v8, 0
	s_and_saveexec_b64 s[10:11], s[8:9]
.LBB39_70:
	v_lshrrev_b32_e32 v6, 24, v6
	s_movk_i32 s8, 0x80
	v_and_or_b32 v8, v6, s8, v7
.LBB39_71:
	s_or_b64 exec, exec, s[10:11]
.LBB39_72:
	s_or_b64 exec, exec, s[6:7]
	global_store_byte v[0:1], v8, off
.LBB39_73:
	s_mov_b64 s[6:7], -1
.LBB39_74:
	s_mov_b64 s[8:9], 0
.LBB39_75:
	s_and_b64 vcc, exec, s[8:9]
	s_cbranch_vccz .LBB39_116
; %bb.76:
	s_cmp_gt_i32 s13, 22
	s_mov_b64 s[8:9], -1
	s_cbranch_scc0 .LBB39_108
; %bb.77:
	s_cmp_lt_i32 s13, 24
	s_mov_b64 s[6:7], -1
	s_cbranch_scc1 .LBB39_97
; %bb.78:
	s_cmp_gt_i32 s13, 24
	s_cbranch_scc0 .LBB39_86
; %bb.79:
	v_xor_b32_e32 v7, v4, v5
	v_ffbh_i32_e32 v6, v5
	v_ashrrev_i32_e32 v7, 31, v7
	v_add_u32_e32 v6, -1, v6
	v_add_u32_e32 v7, 32, v7
	v_min_u32_e32 v8, v6, v7
	v_lshlrev_b64 v[6:7], v8, v[4:5]
	v_min_u32_e32 v6, 1, v6
	v_or_b32_e32 v6, v7, v6
	v_cvt_f32_i32_e32 v6, v6
	v_sub_u32_e32 v7, 32, v8
	s_mov_b32 s6, 0x47800000
	v_mov_b32_e32 v8, 0x80
	v_ldexp_f32 v6, v6, v7
	v_and_b32_e32 v7, 0x7fffffff, v6
	v_cmp_gt_u32_e32 vcc, s6, v7
	s_and_saveexec_b64 s[6:7], vcc
	s_cbranch_execz .LBB39_85
; %bb.80:
	s_mov_b32 s8, 0x37ffffff
	v_cmp_lt_u32_e32 vcc, s8, v7
	s_mov_b64 s[8:9], 0
                                        ; implicit-def: $vgpr7
	s_and_saveexec_b64 s[10:11], vcc
	s_xor_b64 s[10:11], exec, s[10:11]
	s_cbranch_execz .LBB39_309
; %bb.81:
	v_bfe_u32 v7, v6, 21, 1
	s_mov_b32 s14, 0x88fffff
	v_add3_u32 v7, v6, v7, s14
	s_mov_b64 s[8:9], exec
	v_lshrrev_b32_e32 v7, 21, v7
	s_andn2_saveexec_b64 s[10:11], s[10:11]
	s_cbranch_execnz .LBB39_310
.LBB39_82:
	s_or_b64 exec, exec, s[10:11]
	v_mov_b32_e32 v8, 0
	s_and_saveexec_b64 s[10:11], s[8:9]
.LBB39_83:
	v_lshrrev_b32_e32 v6, 24, v6
	s_movk_i32 s8, 0x80
	v_and_or_b32 v8, v6, s8, v7
.LBB39_84:
	s_or_b64 exec, exec, s[10:11]
.LBB39_85:
	s_or_b64 exec, exec, s[6:7]
	s_mov_b64 s[6:7], 0
	global_store_byte v[0:1], v8, off
.LBB39_86:
	s_and_b64 vcc, exec, s[6:7]
	s_cbranch_vccz .LBB39_96
; %bb.87:
	v_xor_b32_e32 v7, v4, v5
	v_ffbh_i32_e32 v6, v5
	v_ashrrev_i32_e32 v7, 31, v7
	v_add_u32_e32 v6, -1, v6
	v_add_u32_e32 v7, 32, v7
	v_min_u32_e32 v8, v6, v7
	v_lshlrev_b64 v[6:7], v8, v[4:5]
	v_min_u32_e32 v6, 1, v6
	v_or_b32_e32 v6, v7, v6
	v_cvt_f32_i32_e32 v6, v6
	v_sub_u32_e32 v7, 32, v8
	s_mov_b32 s6, 0x43f00000
	v_ldexp_f32 v6, v6, v7
	v_and_b32_e32 v8, 0x7fffffff, v6
	v_cmp_gt_u32_e32 vcc, s6, v8
                                        ; implicit-def: $vgpr7
	s_and_saveexec_b64 s[6:7], vcc
	s_xor_b64 s[6:7], exec, s[6:7]
	s_cbranch_execz .LBB39_93
; %bb.88:
	s_mov_b32 s8, 0x3c7fffff
	v_cmp_lt_u32_e32 vcc, s8, v8
                                        ; implicit-def: $vgpr7
	s_and_saveexec_b64 s[8:9], vcc
	s_xor_b64 s[8:9], exec, s[8:9]
; %bb.89:
	v_bfe_u32 v7, v6, 20, 1
	s_mov_b32 s10, 0x407ffff
	v_add3_u32 v7, v6, v7, s10
	v_lshrrev_b32_e32 v8, 20, v7
	v_and_b32_e32 v7, 0xff00000, v7
	s_mov_b32 s10, 0x7f00000
	v_mov_b32_e32 v9, 0x7e
	v_cmp_ne_u32_e32 vcc, s10, v7
	s_nop 1
	v_cndmask_b32_e32 v7, v9, v8, vcc
; %bb.90:
	s_andn2_saveexec_b64 s[8:9], s[8:9]
; %bb.91:
	s_mov_b32 s10, 0x46800000
	v_add_f32_e64 v7, |v6|, s10
; %bb.92:
	s_or_b64 exec, exec, s[8:9]
                                        ; implicit-def: $vgpr8
.LBB39_93:
	s_andn2_saveexec_b64 s[6:7], s[6:7]
; %bb.94:
	s_mov_b32 s8, 0x7f800000
	v_mov_b32_e32 v7, 0x7e
	v_mov_b32_e32 v9, 0x7f
	v_cmp_lt_u32_e32 vcc, s8, v8
	s_nop 1
	v_cndmask_b32_e32 v7, v7, v9, vcc
; %bb.95:
	s_or_b64 exec, exec, s[6:7]
	v_lshrrev_b32_e32 v6, 24, v6
	s_movk_i32 s6, 0x80
	v_and_or_b32 v6, v6, s6, v7
	global_store_byte v[0:1], v6, off
.LBB39_96:
	s_mov_b64 s[6:7], 0
.LBB39_97:
	s_andn2_b64 vcc, exec, s[6:7]
	s_cbranch_vccnz .LBB39_107
; %bb.98:
	v_xor_b32_e32 v7, v4, v5
	v_ffbh_i32_e32 v6, v5
	v_ashrrev_i32_e32 v7, 31, v7
	v_add_u32_e32 v6, -1, v6
	v_add_u32_e32 v7, 32, v7
	v_min_u32_e32 v8, v6, v7
	v_lshlrev_b64 v[6:7], v8, v[4:5]
	v_min_u32_e32 v6, 1, v6
	v_or_b32_e32 v6, v7, v6
	v_cvt_f32_i32_e32 v6, v6
	v_sub_u32_e32 v7, 32, v8
	s_mov_b32 s6, 0x47800000
	v_ldexp_f32 v6, v6, v7
	v_and_b32_e32 v8, 0x7fffffff, v6
	v_cmp_gt_u32_e32 vcc, s6, v8
                                        ; implicit-def: $vgpr7
	s_and_saveexec_b64 s[6:7], vcc
	s_xor_b64 s[6:7], exec, s[6:7]
	s_cbranch_execz .LBB39_104
; %bb.99:
	s_mov_b32 s8, 0x387fffff
	v_cmp_lt_u32_e32 vcc, s8, v8
                                        ; implicit-def: $vgpr7
	s_and_saveexec_b64 s[8:9], vcc
	s_xor_b64 s[8:9], exec, s[8:9]
; %bb.100:
	v_bfe_u32 v7, v6, 21, 1
	s_mov_b32 s10, 0x80fffff
	v_add3_u32 v7, v6, v7, s10
	v_lshrrev_b32_e32 v7, 21, v7
; %bb.101:
	s_andn2_saveexec_b64 s[8:9], s[8:9]
; %bb.102:
	s_mov_b32 s10, 0x43000000
	v_add_f32_e64 v7, |v6|, s10
; %bb.103:
	s_or_b64 exec, exec, s[8:9]
                                        ; implicit-def: $vgpr8
.LBB39_104:
	s_andn2_saveexec_b64 s[6:7], s[6:7]
; %bb.105:
	s_mov_b32 s8, 0x7f800000
	v_mov_b32_e32 v7, 0x7c
	v_mov_b32_e32 v9, 0x7f
	v_cmp_lt_u32_e32 vcc, s8, v8
	s_nop 1
	v_cndmask_b32_e32 v7, v7, v9, vcc
; %bb.106:
	s_or_b64 exec, exec, s[6:7]
	v_lshrrev_b32_e32 v6, 24, v6
	s_movk_i32 s6, 0x80
	v_and_or_b32 v6, v6, s6, v7
	global_store_byte v[0:1], v6, off
.LBB39_107:
	s_mov_b64 s[8:9], 0
	s_mov_b64 s[6:7], -1
.LBB39_108:
	s_andn2_b64 vcc, exec, s[8:9]
	s_cbranch_vccnz .LBB39_116
; %bb.109:
	s_cmp_gt_i32 s13, 14
	s_mov_b64 s[8:9], -1
	s_cbranch_scc0 .LBB39_113
; %bb.110:
	s_cmp_eq_u32 s13, 15
	s_mov_b64 s[2:3], -1
	s_cbranch_scc0 .LBB39_112
; %bb.111:
	v_xor_b32_e32 v7, v4, v5
	v_ffbh_i32_e32 v6, v5
	v_ashrrev_i32_e32 v7, 31, v7
	v_add_u32_e32 v6, -1, v6
	v_add_u32_e32 v7, 32, v7
	v_min_u32_e32 v8, v6, v7
	v_lshlrev_b64 v[6:7], v8, v[4:5]
	v_min_u32_e32 v6, 1, v6
	v_or_b32_e32 v6, v7, v6
	v_cvt_f32_i32_e32 v6, v6
	v_sub_u32_e32 v7, 32, v8
	s_movk_i32 s2, 0x7fff
	s_mov_b64 s[6:7], -1
	v_ldexp_f32 v6, v6, v7
	v_bfe_u32 v7, v6, 16, 1
	v_add3_u32 v6, v6, v7, s2
	global_store_short_d16_hi v[0:1], v6, off
	s_mov_b64 s[2:3], 0
.LBB39_112:
	s_mov_b64 s[8:9], 0
.LBB39_113:
	s_and_b64 vcc, exec, s[8:9]
	s_cbranch_vccz .LBB39_116
; %bb.114:
	s_cmp_eq_u32 s13, 11
	s_mov_b64 s[2:3], -1
	s_cbranch_scc0 .LBB39_116
; %bb.115:
	v_cmp_ne_u64_e32 vcc, -1, v[2:3]
	s_mov_b64 s[6:7], -1
	s_mov_b64 s[2:3], 0
	v_cndmask_b32_e64 v2, 0, 1, vcc
	global_store_byte v[0:1], v2, off
.LBB39_116:
	s_branch .LBB39_35
.LBB39_117:
	s_and_b32 s8, 0xffff, s12
	s_cmp_lt_i32 s8, 5
	s_mov_b64 s[6:7], -1
	s_cbranch_scc1 .LBB39_138
; %bb.118:
	s_cmp_lt_i32 s8, 8
	s_cbranch_scc1 .LBB39_128
; %bb.119:
	s_cmp_lt_i32 s8, 9
	s_cbranch_scc1 .LBB39_125
; %bb.120:
	s_cmp_gt_i32 s8, 9
	s_cbranch_scc0 .LBB39_122
; %bb.121:
	v_cvt_f64_i32_e32 v[2:3], v5
	v_ldexp_f64 v[2:3], v[2:3], 32
	v_cvt_f64_u32_e32 v[6:7], v4
	v_mov_b32_e32 v8, 0
	v_add_f64 v[6:7], v[2:3], v[6:7]
	v_mov_b32_e32 v9, v8
	global_store_dwordx4 v[0:1], v[6:9], off
	s_mov_b64 s[6:7], 0
.LBB39_122:
	s_andn2_b64 vcc, exec, s[6:7]
	s_cbranch_vccnz .LBB39_124
; %bb.123:
	v_xor_b32_e32 v3, v4, v5
	v_ffbh_i32_e32 v2, v5
	v_ashrrev_i32_e32 v3, 31, v3
	v_add_u32_e32 v2, -1, v2
	v_add_u32_e32 v3, 32, v3
	v_min_u32_e32 v6, v2, v3
	v_lshlrev_b64 v[2:3], v6, v[4:5]
	v_min_u32_e32 v2, 1, v2
	v_or_b32_e32 v2, v3, v2
	v_cvt_f32_i32_e32 v2, v2
	v_sub_u32_e32 v3, 32, v6
	v_ldexp_f32 v2, v2, v3
	v_mov_b32_e32 v3, 0
	global_store_dwordx2 v[0:1], v[2:3], off
.LBB39_124:
	s_mov_b64 s[6:7], 0
.LBB39_125:
	s_andn2_b64 vcc, exec, s[6:7]
	s_cbranch_vccnz .LBB39_127
; %bb.126:
	v_xor_b32_e32 v3, v4, v5
	v_ffbh_i32_e32 v2, v5
	v_ashrrev_i32_e32 v3, 31, v3
	v_add_u32_e32 v2, -1, v2
	v_add_u32_e32 v3, 32, v3
	v_min_u32_e32 v6, v2, v3
	v_lshlrev_b64 v[2:3], v6, v[4:5]
	v_min_u32_e32 v2, 1, v2
	v_or_b32_e32 v2, v3, v2
	v_cvt_f32_i32_e32 v2, v2
	v_sub_u32_e32 v3, 32, v6
	v_ldexp_f32 v2, v2, v3
	v_cvt_f16_f32_e32 v2, v2
	global_store_dword v[0:1], v2, off
.LBB39_127:
	s_mov_b64 s[6:7], 0
.LBB39_128:
	s_andn2_b64 vcc, exec, s[6:7]
	s_cbranch_vccnz .LBB39_137
; %bb.129:
	s_cmp_lt_i32 s8, 6
	s_mov_b64 s[6:7], -1
	s_cbranch_scc1 .LBB39_135
; %bb.130:
	s_cmp_gt_i32 s8, 6
	s_cbranch_scc0 .LBB39_132
; %bb.131:
	v_cvt_f64_i32_e32 v[2:3], v5
	v_ldexp_f64 v[2:3], v[2:3], 32
	v_cvt_f64_u32_e32 v[6:7], v4
	v_add_f64 v[2:3], v[2:3], v[6:7]
	global_store_dwordx2 v[0:1], v[2:3], off
	s_mov_b64 s[6:7], 0
.LBB39_132:
	s_andn2_b64 vcc, exec, s[6:7]
	s_cbranch_vccnz .LBB39_134
; %bb.133:
	v_xor_b32_e32 v3, v4, v5
	v_ffbh_i32_e32 v2, v5
	v_ashrrev_i32_e32 v3, 31, v3
	v_add_u32_e32 v2, -1, v2
	v_add_u32_e32 v3, 32, v3
	v_min_u32_e32 v6, v2, v3
	v_lshlrev_b64 v[2:3], v6, v[4:5]
	v_min_u32_e32 v2, 1, v2
	v_or_b32_e32 v2, v3, v2
	v_cvt_f32_i32_e32 v2, v2
	v_sub_u32_e32 v3, 32, v6
	v_ldexp_f32 v2, v2, v3
	global_store_dword v[0:1], v2, off
.LBB39_134:
	s_mov_b64 s[6:7], 0
.LBB39_135:
	s_andn2_b64 vcc, exec, s[6:7]
	s_cbranch_vccnz .LBB39_137
; %bb.136:
	v_xor_b32_e32 v3, v4, v5
	v_ffbh_i32_e32 v2, v5
	v_ashrrev_i32_e32 v3, 31, v3
	v_add_u32_e32 v2, -1, v2
	v_add_u32_e32 v3, 32, v3
	v_min_u32_e32 v6, v2, v3
	v_lshlrev_b64 v[2:3], v6, v[4:5]
	v_min_u32_e32 v2, 1, v2
	v_or_b32_e32 v2, v3, v2
	v_cvt_f32_i32_e32 v2, v2
	v_sub_u32_e32 v3, 32, v6
	v_ldexp_f32 v2, v2, v3
	v_cvt_f16_f32_e32 v2, v2
	global_store_short v[0:1], v2, off
.LBB39_137:
	s_mov_b64 s[6:7], 0
.LBB39_138:
	s_andn2_b64 vcc, exec, s[6:7]
	s_cbranch_vccnz .LBB39_154
; %bb.139:
	s_cmp_lt_i32 s8, 2
	s_mov_b64 s[6:7], -1
	s_cbranch_scc1 .LBB39_149
; %bb.140:
	s_cmp_lt_i32 s8, 3
	s_cbranch_scc1 .LBB39_146
; %bb.141:
	s_cmp_gt_i32 s8, 3
	s_cbranch_scc0 .LBB39_143
; %bb.142:
	global_store_dwordx2 v[0:1], v[4:5], off
	s_mov_b64 s[6:7], 0
.LBB39_143:
	s_andn2_b64 vcc, exec, s[6:7]
	s_cbranch_vccnz .LBB39_145
; %bb.144:
	global_store_dword v[0:1], v4, off
.LBB39_145:
	s_mov_b64 s[6:7], 0
.LBB39_146:
	s_andn2_b64 vcc, exec, s[6:7]
	s_cbranch_vccnz .LBB39_148
; %bb.147:
	global_store_short v[0:1], v4, off
.LBB39_148:
	s_mov_b64 s[6:7], 0
.LBB39_149:
	s_andn2_b64 vcc, exec, s[6:7]
	s_cbranch_vccnz .LBB39_154
; %bb.150:
	s_cmp_gt_i32 s8, 0
	s_mov_b64 s[6:7], -1
	s_cbranch_scc0 .LBB39_152
; %bb.151:
	global_store_byte v[0:1], v4, off
	s_mov_b64 s[6:7], 0
.LBB39_152:
	s_andn2_b64 vcc, exec, s[6:7]
	s_cbranch_vccnz .LBB39_154
; %bb.153:
	global_store_byte v[0:1], v4, off
.LBB39_154:
.LBB39_155:
	v_add_u32_e32 v14, 0x80, v14
	s_mov_b64 s[6:7], -1
	s_branch .LBB39_262
.LBB39_156:
	s_mov_b64 s[4:5], -1
                                        ; implicit-def: $vgpr2_vgpr3
.LBB39_157:
	s_mov_b64 s[6:7], 0
.LBB39_158:
	s_and_b64 vcc, exec, s[6:7]
	s_cbranch_vccz .LBB39_162
; %bb.159:
	s_cmp_eq_u32 s8, 29
	s_cbranch_scc0 .LBB39_161
; %bb.160:
	global_load_dwordx2 v[2:3], v[4:5], off
	s_mov_b64 s[2:3], -1
	s_mov_b64 s[4:5], 0
	s_branch .LBB39_162
.LBB39_161:
	s_mov_b64 s[4:5], -1
                                        ; implicit-def: $vgpr2_vgpr3
.LBB39_162:
	s_mov_b64 s[6:7], 0
.LBB39_163:
	s_and_b64 vcc, exec, s[6:7]
	s_cbranch_vccz .LBB39_179
; %bb.164:
	s_cmp_lt_i32 s8, 27
	s_cbranch_scc1 .LBB39_167
; %bb.165:
	s_cmp_gt_i32 s8, 27
	s_cbranch_scc0 .LBB39_168
; %bb.166:
	global_load_dword v2, v[4:5], off
	s_waitcnt vmcnt(1)
	v_mov_b32_e32 v3, 0
	s_mov_b64 s[2:3], 0
	s_branch .LBB39_169
.LBB39_167:
	s_mov_b64 s[2:3], -1
                                        ; implicit-def: $vgpr2_vgpr3
	s_branch .LBB39_172
.LBB39_168:
	s_mov_b64 s[2:3], -1
                                        ; implicit-def: $vgpr2_vgpr3
.LBB39_169:
	s_andn2_b64 vcc, exec, s[2:3]
	s_cbranch_vccnz .LBB39_171
; %bb.170:
	global_load_ushort v1, v[4:5], off
	s_mov_b32 s2, 0
	s_waitcnt vmcnt(1)
	v_mov_b32_e32 v3, s2
	s_waitcnt vmcnt(0)
	v_and_b32_e32 v2, 0xffff, v1
.LBB39_171:
	s_mov_b64 s[2:3], 0
.LBB39_172:
	s_andn2_b64 vcc, exec, s[2:3]
	s_cbranch_vccnz .LBB39_178
; %bb.173:
	global_load_ubyte v1, v[4:5], off
	s_movk_i32 s2, 0x7f
	s_mov_b64 s[6:7], 0
	s_waitcnt vmcnt(0)
	v_cmp_lt_i16_e32 vcc, s2, v1
	s_and_saveexec_b64 s[2:3], vcc
	s_xor_b64 s[2:3], exec, s[2:3]
	s_cbranch_execz .LBB39_189
; %bb.174:
	s_movk_i32 s6, 0x80
	v_cmp_ne_u16_e32 vcc, s6, v1
	s_and_b64 s[6:7], vcc, exec
	s_andn2_saveexec_b64 s[2:3], s[2:3]
	s_cbranch_execnz .LBB39_190
.LBB39_175:
	s_or_b64 exec, exec, s[2:3]
	v_mov_b64_e32 v[2:3], 0
	s_and_saveexec_b64 s[2:3], s[6:7]
	s_cbranch_execz .LBB39_177
.LBB39_176:
	v_lshlrev_b32_e32 v2, 24, v1
	v_and_b32_e32 v1, 0xffff, v1
	v_and_b32_e32 v3, 7, v1
	v_ffbh_u32_e32 v7, v3
	v_min_u32_e32 v7, 32, v7
	v_subrev_u32_e32 v8, 28, v7
	v_bfe_u32 v6, v1, 3, 4
	v_lshlrev_b32_e32 v1, v8, v1
	v_sub_u32_e32 v7, 29, v7
	v_and_b32_e32 v1, 7, v1
	v_cmp_eq_u32_e32 vcc, 0, v6
	v_and_b32_e32 v2, 0x80000000, v2
	s_mov_b32 s6, 0x2f800000
	v_cndmask_b32_e32 v6, v6, v7, vcc
	v_cndmask_b32_e32 v1, v3, v1, vcc
	v_mov_b32_e32 v3, 0x3b800000
	v_lshlrev_b32_e32 v1, 20, v1
	v_lshl_add_u32 v3, v6, 23, v3
	v_or3_b32 v1, v2, v3, v1
	v_trunc_f32_e32 v1, v1
	v_mul_f32_e64 v2, |v1|, s6
	v_floor_f32_e32 v2, v2
	s_mov_b32 s6, 0xcf800000
	v_fma_f32 v3, v2, s6, |v1|
	v_cvt_u32_f32_e32 v2, v2
	v_cvt_u32_f32_e32 v3, v3
	v_ashrrev_i32_e32 v1, 31, v1
	v_xor_b32_e32 v6, v2, v1
	v_xor_b32_e32 v2, v3, v1
	v_sub_co_u32_e32 v2, vcc, v2, v1
	s_nop 1
	v_subb_co_u32_e32 v3, vcc, v6, v1, vcc
.LBB39_177:
	s_or_b64 exec, exec, s[2:3]
.LBB39_178:
	s_mov_b64 s[2:3], -1
.LBB39_179:
	s_branch .LBB39_212
.LBB39_180:
	s_cmp_gt_i32 s8, 22
	s_cbranch_scc0 .LBB39_188
; %bb.181:
	s_cmp_lt_i32 s8, 24
	s_cbranch_scc1 .LBB39_191
; %bb.182:
	s_cmp_gt_i32 s8, 24
	s_cbranch_scc0 .LBB39_192
; %bb.183:
	global_load_ubyte v1, v[4:5], off
	s_movk_i32 s2, 0x7f
	s_mov_b64 s[6:7], 0
	s_waitcnt vmcnt(0)
	v_cmp_lt_i16_e32 vcc, s2, v1
	s_and_saveexec_b64 s[2:3], vcc
	s_xor_b64 s[2:3], exec, s[2:3]
	s_cbranch_execz .LBB39_204
; %bb.184:
	s_movk_i32 s6, 0x80
	v_cmp_ne_u16_e32 vcc, s6, v1
	s_and_b64 s[6:7], vcc, exec
	s_andn2_saveexec_b64 s[2:3], s[2:3]
	s_cbranch_execnz .LBB39_205
.LBB39_185:
	s_or_b64 exec, exec, s[2:3]
	v_mov_b64_e32 v[2:3], 0
	s_and_saveexec_b64 s[2:3], s[6:7]
	s_cbranch_execz .LBB39_187
.LBB39_186:
	v_lshlrev_b32_e32 v2, 24, v1
	v_and_b32_e32 v1, 0xffff, v1
	v_and_b32_e32 v3, 3, v1
	v_ffbh_u32_e32 v7, v3
	v_min_u32_e32 v7, 32, v7
	v_subrev_u32_e32 v8, 29, v7
	v_bfe_u32 v6, v1, 2, 5
	v_lshlrev_b32_e32 v1, v8, v1
	v_sub_u32_e32 v7, 30, v7
	v_and_b32_e32 v1, 3, v1
	v_cmp_eq_u32_e32 vcc, 0, v6
	v_and_b32_e32 v2, 0x80000000, v2
	s_mov_b32 s6, 0x2f800000
	v_cndmask_b32_e32 v6, v6, v7, vcc
	v_cndmask_b32_e32 v1, v3, v1, vcc
	v_mov_b32_e32 v3, 0x37800000
	v_lshlrev_b32_e32 v1, 21, v1
	v_lshl_add_u32 v3, v6, 23, v3
	v_or3_b32 v1, v2, v3, v1
	v_trunc_f32_e32 v1, v1
	v_mul_f32_e64 v2, |v1|, s6
	v_floor_f32_e32 v2, v2
	s_mov_b32 s6, 0xcf800000
	v_fma_f32 v3, v2, s6, |v1|
	v_cvt_u32_f32_e32 v2, v2
	v_cvt_u32_f32_e32 v3, v3
	v_ashrrev_i32_e32 v1, 31, v1
	v_xor_b32_e32 v6, v2, v1
	v_xor_b32_e32 v2, v3, v1
	v_sub_co_u32_e32 v2, vcc, v2, v1
	s_nop 1
	v_subb_co_u32_e32 v3, vcc, v6, v1, vcc
.LBB39_187:
	s_or_b64 exec, exec, s[2:3]
	s_mov_b64 s[2:3], 0
	s_branch .LBB39_193
.LBB39_188:
	s_mov_b64 s[6:7], -1
                                        ; implicit-def: $vgpr2_vgpr3
	s_branch .LBB39_199
.LBB39_189:
	s_andn2_saveexec_b64 s[2:3], s[2:3]
	s_cbranch_execz .LBB39_175
.LBB39_190:
	v_cmp_ne_u16_e32 vcc, 0, v1
	s_andn2_b64 s[6:7], s[6:7], exec
	s_and_b64 s[10:11], vcc, exec
	s_or_b64 s[6:7], s[6:7], s[10:11]
	s_or_b64 exec, exec, s[2:3]
	v_mov_b64_e32 v[2:3], 0
	s_and_saveexec_b64 s[2:3], s[6:7]
	s_cbranch_execnz .LBB39_176
	s_branch .LBB39_177
.LBB39_191:
	s_mov_b64 s[2:3], -1
                                        ; implicit-def: $vgpr2_vgpr3
	s_branch .LBB39_196
.LBB39_192:
	s_mov_b64 s[2:3], -1
                                        ; implicit-def: $vgpr2_vgpr3
.LBB39_193:
	s_and_b64 vcc, exec, s[2:3]
	s_cbranch_vccz .LBB39_195
; %bb.194:
	global_load_ubyte v1, v[4:5], off
	s_mov_b32 s2, 0x7f800000
	s_brev_b32 s3, 1
	s_mov_b32 s6, 0x2f800000
	s_mov_b32 s7, 0xcf800000
	s_waitcnt vmcnt(0)
	v_lshlrev_b32_e32 v1, 24, v1
	v_and_b32_e32 v2, 0x7f000000, v1
	v_ffbh_u32_e32 v3, v2
	v_min_u32_e32 v3, 32, v3
	v_sub_u32_e64 v3, v3, 4 clamp
	v_lshlrev_b32_e32 v7, v3, v2
	v_lshlrev_b32_e32 v3, 23, v3
	v_lshrrev_b32_e32 v7, 4, v7
	v_add_u32_e32 v6, 0x1000000, v2
	v_sub_u32_e32 v3, v7, v3
	v_ashrrev_i32_e32 v6, 8, v6
	v_add_u32_e32 v3, 0x3c000000, v3
	v_and_or_b32 v3, v6, s2, v3
	v_cmp_ne_u32_e32 vcc, 0, v2
	s_nop 1
	v_cndmask_b32_e32 v2, 0, v3, vcc
	v_and_or_b32 v1, v1, s3, v2
	v_trunc_f32_e32 v1, v1
	v_mul_f32_e64 v2, |v1|, s6
	v_floor_f32_e32 v2, v2
	v_fma_f32 v3, v2, s7, |v1|
	v_cvt_u32_f32_e32 v2, v2
	v_cvt_u32_f32_e32 v3, v3
	v_ashrrev_i32_e32 v1, 31, v1
	v_xor_b32_e32 v6, v2, v1
	v_xor_b32_e32 v2, v3, v1
	v_sub_co_u32_e32 v2, vcc, v2, v1
	s_nop 1
	v_subb_co_u32_e32 v3, vcc, v6, v1, vcc
.LBB39_195:
	s_mov_b64 s[2:3], 0
.LBB39_196:
	s_andn2_b64 vcc, exec, s[2:3]
	s_cbranch_vccnz .LBB39_198
; %bb.197:
	global_load_ubyte v1, v[4:5], off
	s_movk_i32 s2, 0x7f00
	s_brev_b32 s3, 16
	s_brev_b32 s6, 1
	s_mov_b32 s7, 0x2f800000
	s_mov_b32 s9, 0xcf800000
	s_waitcnt vmcnt(0)
	v_lshlrev_b16_e32 v2, 8, v1
	v_lshlrev_b32_e32 v1, 25, v1
	v_lshrrev_b32_e32 v3, 4, v1
	v_and_or_b32 v6, v2, s2, 0.5
	v_or_b32_e32 v3, 0x70000000, v3
	v_add_f32_e32 v6, -0.5, v6
	v_mul_f32_e32 v3, 0x7800000, v3
	v_cmp_gt_u32_e32 vcc, s3, v1
	v_bfe_i32 v2, v2, 0, 16
	s_nop 0
	v_cndmask_b32_e32 v1, v3, v6, vcc
	v_and_or_b32 v1, v2, s6, v1
	v_trunc_f32_e32 v1, v1
	v_mul_f32_e64 v2, |v1|, s7
	v_floor_f32_e32 v2, v2
	v_fma_f32 v3, v2, s9, |v1|
	v_cvt_u32_f32_e32 v2, v2
	v_cvt_u32_f32_e32 v3, v3
	v_ashrrev_i32_e32 v1, 31, v1
	v_xor_b32_e32 v6, v2, v1
	v_xor_b32_e32 v2, v3, v1
	v_sub_co_u32_e32 v2, vcc, v2, v1
	s_nop 1
	v_subb_co_u32_e32 v3, vcc, v6, v1, vcc
.LBB39_198:
	s_mov_b64 s[6:7], 0
	s_mov_b64 s[2:3], -1
.LBB39_199:
	s_andn2_b64 vcc, exec, s[6:7]
	s_cbranch_vccnz .LBB39_212
; %bb.200:
	s_cmp_gt_i32 s8, 14
	s_cbranch_scc0 .LBB39_203
; %bb.201:
	s_cmp_eq_u32 s8, 15
	s_cbranch_scc0 .LBB39_206
; %bb.202:
	global_load_ushort v1, v[4:5], off
	s_mov_b32 s2, 0x2f800000
	s_mov_b32 s3, 0xcf800000
	s_mov_b64 s[4:5], 0
	s_waitcnt vmcnt(0)
	v_lshlrev_b32_e32 v1, 16, v1
	v_trunc_f32_e32 v1, v1
	v_mul_f32_e64 v2, |v1|, s2
	v_floor_f32_e32 v2, v2
	v_fma_f32 v3, v2, s3, |v1|
	v_cvt_u32_f32_e32 v2, v2
	v_cvt_u32_f32_e32 v3, v3
	v_ashrrev_i32_e32 v1, 31, v1
	s_mov_b64 s[2:3], -1
	v_xor_b32_e32 v6, v2, v1
	v_xor_b32_e32 v2, v3, v1
	v_sub_co_u32_e32 v2, vcc, v2, v1
	s_nop 1
	v_subb_co_u32_e32 v3, vcc, v6, v1, vcc
	s_branch .LBB39_207
.LBB39_203:
	s_mov_b64 s[6:7], -1
                                        ; implicit-def: $vgpr2_vgpr3
	s_branch .LBB39_208
.LBB39_204:
	s_andn2_saveexec_b64 s[2:3], s[2:3]
	s_cbranch_execz .LBB39_185
.LBB39_205:
	v_cmp_ne_u16_e32 vcc, 0, v1
	s_andn2_b64 s[6:7], s[6:7], exec
	s_and_b64 s[10:11], vcc, exec
	s_or_b64 s[6:7], s[6:7], s[10:11]
	s_or_b64 exec, exec, s[2:3]
	v_mov_b64_e32 v[2:3], 0
	s_and_saveexec_b64 s[2:3], s[6:7]
	s_cbranch_execnz .LBB39_186
	s_branch .LBB39_187
.LBB39_206:
	s_mov_b64 s[4:5], -1
                                        ; implicit-def: $vgpr2_vgpr3
.LBB39_207:
	s_mov_b64 s[6:7], 0
.LBB39_208:
	s_and_b64 vcc, exec, s[6:7]
	s_cbranch_vccz .LBB39_212
; %bb.209:
	s_cmp_eq_u32 s8, 11
	s_cbranch_scc0 .LBB39_211
; %bb.210:
	global_load_ubyte v1, v[4:5], off
	s_mov_b32 s4, 0
	s_mov_b64 s[2:3], -1
	s_waitcnt vmcnt(1)
	v_mov_b32_e32 v3, s4
	s_mov_b64 s[4:5], 0
	s_waitcnt vmcnt(0)
	v_cmp_ne_u16_e32 vcc, 0, v1
	s_nop 1
	v_cndmask_b32_e64 v2, 0, 1, vcc
	s_branch .LBB39_212
.LBB39_211:
	s_mov_b64 s[4:5], -1
                                        ; implicit-def: $vgpr2_vgpr3
.LBB39_212:
	s_branch .LBB39_25
.LBB39_213:
	s_cmp_lt_i32 s8, 5
	s_cbranch_scc1 .LBB39_218
; %bb.214:
	s_cmp_lt_i32 s8, 8
	s_cbranch_scc1 .LBB39_219
; %bb.215:
	;; [unrolled: 3-line block ×3, first 2 shown]
	s_cmp_gt_i32 s8, 9
	s_cbranch_scc0 .LBB39_221
; %bb.217:
	global_load_dwordx2 v[2:3], v[4:5], off
	s_movk_i32 s2, 0xffe0
	s_waitcnt vmcnt(0)
	v_trunc_f64_e32 v[6:7], v[2:3]
	v_ldexp_f64 v[2:3], v[6:7], s2
	v_floor_f64_e32 v[8:9], v[2:3]
	v_fmac_f64_e32 v[6:7], 0xc1f00000, v[8:9]
	v_cvt_i32_f64_e32 v3, v[8:9]
	v_cvt_u32_f64_e32 v2, v[6:7]
	s_mov_b64 s[2:3], 0
	s_branch .LBB39_222
.LBB39_218:
                                        ; implicit-def: $vgpr2_vgpr3
	s_branch .LBB39_240
.LBB39_219:
	s_mov_b64 s[2:3], -1
                                        ; implicit-def: $vgpr2_vgpr3
	s_branch .LBB39_228
.LBB39_220:
	s_mov_b64 s[2:3], -1
                                        ; implicit-def: $vgpr2_vgpr3
	s_branch .LBB39_225
.LBB39_221:
	s_mov_b64 s[2:3], -1
                                        ; implicit-def: $vgpr2_vgpr3
.LBB39_222:
	s_andn2_b64 vcc, exec, s[2:3]
	s_cbranch_vccnz .LBB39_224
; %bb.223:
	global_load_dword v1, v[4:5], off
	s_mov_b32 s2, 0x2f800000
	s_mov_b32 s3, 0xcf800000
	s_waitcnt vmcnt(0)
	v_trunc_f32_e32 v1, v1
	v_mul_f32_e64 v2, |v1|, s2
	v_floor_f32_e32 v2, v2
	v_cvt_u32_f32_e32 v3, v2
	v_fma_f32 v2, v2, s3, |v1|
	v_cvt_u32_f32_e32 v2, v2
	v_ashrrev_i32_e32 v1, 31, v1
	v_xor_b32_e32 v3, v3, v1
	v_xor_b32_e32 v2, v2, v1
	v_sub_co_u32_e32 v2, vcc, v2, v1
	s_nop 1
	v_subb_co_u32_e32 v3, vcc, v3, v1, vcc
.LBB39_224:
	s_mov_b64 s[2:3], 0
.LBB39_225:
	s_andn2_b64 vcc, exec, s[2:3]
	s_cbranch_vccnz .LBB39_227
; %bb.226:
	global_load_dword v1, v[4:5], off
	s_waitcnt vmcnt(0)
	v_cvt_f32_f16_e32 v1, v1
	v_cvt_i32_f32_e32 v2, v1
	v_ashrrev_i32_e32 v3, 31, v2
.LBB39_227:
	s_mov_b64 s[2:3], 0
.LBB39_228:
	s_andn2_b64 vcc, exec, s[2:3]
	s_cbranch_vccnz .LBB39_239
; %bb.229:
	s_cmp_lt_i32 s8, 6
	s_cbranch_scc1 .LBB39_232
; %bb.230:
	s_cmp_gt_i32 s8, 6
	s_cbranch_scc0 .LBB39_233
; %bb.231:
	global_load_dwordx2 v[2:3], v[4:5], off
	s_movk_i32 s2, 0xffe0
	s_waitcnt vmcnt(0)
	v_trunc_f64_e32 v[6:7], v[2:3]
	v_ldexp_f64 v[2:3], v[6:7], s2
	v_floor_f64_e32 v[8:9], v[2:3]
	v_fmac_f64_e32 v[6:7], 0xc1f00000, v[8:9]
	v_cvt_i32_f64_e32 v3, v[8:9]
	v_cvt_u32_f64_e32 v2, v[6:7]
	s_mov_b64 s[2:3], 0
	s_branch .LBB39_234
.LBB39_232:
	s_mov_b64 s[2:3], -1
                                        ; implicit-def: $vgpr2_vgpr3
	s_branch .LBB39_237
.LBB39_233:
	s_mov_b64 s[2:3], -1
                                        ; implicit-def: $vgpr2_vgpr3
.LBB39_234:
	s_andn2_b64 vcc, exec, s[2:3]
	s_cbranch_vccnz .LBB39_236
; %bb.235:
	global_load_dword v1, v[4:5], off
	s_mov_b32 s2, 0x2f800000
	s_mov_b32 s3, 0xcf800000
	s_waitcnt vmcnt(0)
	v_trunc_f32_e32 v1, v1
	v_mul_f32_e64 v2, |v1|, s2
	v_floor_f32_e32 v2, v2
	v_cvt_u32_f32_e32 v3, v2
	v_fma_f32 v2, v2, s3, |v1|
	v_cvt_u32_f32_e32 v2, v2
	v_ashrrev_i32_e32 v1, 31, v1
	v_xor_b32_e32 v3, v3, v1
	v_xor_b32_e32 v2, v2, v1
	v_sub_co_u32_e32 v2, vcc, v2, v1
	s_nop 1
	v_subb_co_u32_e32 v3, vcc, v3, v1, vcc
.LBB39_236:
	s_mov_b64 s[2:3], 0
.LBB39_237:
	s_andn2_b64 vcc, exec, s[2:3]
	s_cbranch_vccnz .LBB39_239
; %bb.238:
	global_load_ushort v1, v[4:5], off
	s_waitcnt vmcnt(0)
	v_cvt_f32_f16_e32 v1, v1
	v_cvt_i32_f32_e32 v2, v1
	v_ashrrev_i32_e32 v3, 31, v2
.LBB39_239:
	s_cbranch_execnz .LBB39_259
.LBB39_240:
	s_cmp_lt_i32 s8, 2
	s_cbranch_scc1 .LBB39_244
; %bb.241:
	s_cmp_lt_i32 s8, 3
	s_cbranch_scc1 .LBB39_245
; %bb.242:
	s_cmp_gt_i32 s8, 3
	s_cbranch_scc0 .LBB39_246
; %bb.243:
	global_load_dwordx2 v[2:3], v[4:5], off
	s_mov_b64 s[2:3], 0
	s_branch .LBB39_247
.LBB39_244:
	s_mov_b64 s[2:3], -1
                                        ; implicit-def: $vgpr2_vgpr3
	s_branch .LBB39_253
.LBB39_245:
	s_mov_b64 s[2:3], -1
                                        ; implicit-def: $vgpr2_vgpr3
	s_branch .LBB39_250
.LBB39_246:
	s_mov_b64 s[2:3], -1
                                        ; implicit-def: $vgpr2_vgpr3
.LBB39_247:
	s_andn2_b64 vcc, exec, s[2:3]
	s_cbranch_vccnz .LBB39_249
; %bb.248:
	global_load_dword v2, v[4:5], off
	s_waitcnt vmcnt(0)
	v_ashrrev_i32_e32 v3, 31, v2
.LBB39_249:
	s_mov_b64 s[2:3], 0
.LBB39_250:
	s_andn2_b64 vcc, exec, s[2:3]
	s_cbranch_vccnz .LBB39_252
; %bb.251:
	global_load_ushort v1, v[4:5], off
	s_waitcnt vmcnt(0)
	v_bfe_i32 v2, v1, 0, 16
	v_ashrrev_i32_e32 v3, 31, v2
.LBB39_252:
	s_mov_b64 s[2:3], 0
.LBB39_253:
	s_andn2_b64 vcc, exec, s[2:3]
	s_cbranch_vccnz .LBB39_259
; %bb.254:
	s_cmp_gt_i32 s8, 0
	s_cbranch_scc0 .LBB39_256
; %bb.255:
	global_load_sbyte v1, v[4:5], off
	s_mov_b64 s[2:3], 0
	s_waitcnt vmcnt(0)
	v_bfe_i32 v2, v1, 0, 16
	v_ashrrev_i32_e32 v3, 31, v2
	s_branch .LBB39_257
.LBB39_256:
	s_mov_b64 s[2:3], -1
                                        ; implicit-def: $vgpr2_vgpr3
.LBB39_257:
	s_andn2_b64 vcc, exec, s[2:3]
	s_cbranch_vccnz .LBB39_259
; %bb.258:
	global_load_ubyte v1, v[4:5], off
	s_mov_b32 s2, 0
	s_waitcnt vmcnt(1)
	v_mov_b32_e32 v3, s2
	s_waitcnt vmcnt(0)
	v_and_b32_e32 v2, 0xffff, v1
.LBB39_259:
	s_branch .LBB39_26
.LBB39_260:
	s_mov_b64 s[2:3], 0
.LBB39_261:
	s_mov_b64 s[6:7], 0
                                        ; implicit-def: $vgpr14
.LBB39_262:
	s_and_b64 s[54:55], s[2:3], exec
	s_and_b64 s[56:57], s[4:5], exec
	s_orn2_b64 s[4:5], s[6:7], exec
.LBB39_263:
	s_or_b64 exec, exec, s[58:59]
	s_mov_b64 s[8:9], 0
	s_mov_b64 s[2:3], 0
                                        ; implicit-def: $vgpr4_vgpr5
                                        ; implicit-def: $vgpr0
                                        ; implicit-def: $vgpr2_vgpr3
	s_and_saveexec_b64 s[58:59], s[4:5]
	s_cbranch_execz .LBB39_271
; %bb.264:
	v_cmp_gt_i32_e32 vcc, s70, v14
	s_mov_b64 s[2:3], -1
	s_mov_b64 s[60:61], s[56:57]
	s_mov_b64 s[62:63], s[54:55]
	s_and_saveexec_b64 s[64:65], vcc
	s_cbranch_execz .LBB39_536
; %bb.265:
	s_andn2_b64 vcc, exec, s[42:43]
	s_cbranch_vccnz .LBB39_274
; %bb.266:
	s_andn2_b64 vcc, exec, s[52:53]
	s_cbranch_vccnz .LBB39_275
; %bb.267:
	s_add_i32 s63, s75, 1
	s_cmp_eq_u32 s72, 2
	s_cbranch_scc1 .LBB39_276
; %bb.268:
	s_and_b32 s62, s63, 28
	s_mov_b32 s66, 0
	v_mov_b32_e32 v0, 0
	s_waitcnt vmcnt(0)
	v_mov_b32_e32 v2, 0
	s_mov_b64 s[2:3], s[34:35]
	s_mov_b64 s[60:61], s[50:51]
	v_mov_b32_e32 v4, v14
.LBB39_269:                             ; =>This Inner Loop Header: Depth=1
	s_load_dwordx8 s[12:19], s[2:3], 0x4
	s_load_dwordx4 s[36:39], s[2:3], 0x24
	s_load_dwordx8 s[4:11], s[60:61], 0x0
	s_add_u32 s2, s2, 48
	s_addc_u32 s3, s3, 0
	s_waitcnt lgkmcnt(0)
	v_mul_hi_u32 v1, s13, v4
	v_add_u32_e32 v1, v4, v1
	v_lshrrev_b32_e32 v1, s14, v1
	v_mul_lo_u32 v3, v1, s12
	v_mul_hi_u32 v5, s16, v1
	v_sub_u32_e32 v3, v4, v3
	v_add_u32_e32 v4, v1, v5
	v_lshrrev_b32_e32 v4, s17, v4
	v_mul_lo_u32 v6, v4, s15
	v_mul_hi_u32 v7, s19, v4
	v_sub_u32_e32 v1, v1, v6
	v_add_u32_e32 v6, v4, v7
	v_mul_lo_u32 v5, v3, s5
	v_mul_lo_u32 v3, v3, s4
	;; [unrolled: 1-line block ×4, first 2 shown]
	v_lshrrev_b32_e32 v6, s36, v6
	v_add3_u32 v0, v3, v0, v1
	v_mul_hi_u32 v3, s38, v6
	v_add3_u32 v1, v5, v2, v7
	v_mul_lo_u32 v2, v6, s18
	v_add_u32_e32 v3, v6, v3
	v_sub_u32_e32 v2, v4, v2
	v_lshrrev_b32_e32 v4, s39, v3
	s_add_i32 s66, s66, 4
	v_mul_lo_u32 v3, v4, s37
	s_add_u32 s60, s60, 32
	v_sub_u32_e32 v3, v6, v3
	s_addc_u32 s61, s61, 0
	v_mul_lo_u32 v5, v2, s8
	v_mul_lo_u32 v2, v2, s9
	v_mul_lo_u32 v6, v3, s10
	v_mul_lo_u32 v3, v3, s11
	s_cmp_eq_u32 s62, s66
	v_add3_u32 v2, v2, v1, v3
	v_add3_u32 v0, v5, v0, v6
	s_cbranch_scc0 .LBB39_269
; %bb.270:
	v_mov_b32_e32 v1, v2
	s_branch .LBB39_277
.LBB39_271:
	s_or_b64 exec, exec, s[58:59]
	s_mov_b64 s[4:5], 0
	s_and_saveexec_b64 s[6:7], s[56:57]
	s_cbranch_execnz .LBB39_906
.LBB39_272:
	s_or_b64 exec, exec, s[6:7]
	s_and_saveexec_b64 s[6:7], s[62:63]
	s_xor_b64 s[6:7], exec, s[6:7]
	s_cbranch_execz .LBB39_907
.LBB39_273:
	global_load_ubyte v1, v[4:5], off
	s_mov_b32 s10, 0
	s_waitcnt vmcnt(1)
	v_mov_b32_e32 v3, s10
	s_or_b64 s[2:3], s[2:3], exec
	s_waitcnt vmcnt(0)
	v_cmp_ne_u16_e32 vcc, 0, v1
	s_nop 1
	v_cndmask_b32_e64 v2, 0, 1, vcc
	s_or_b64 exec, exec, s[6:7]
	s_and_saveexec_b64 s[6:7], s[8:9]
	s_cbranch_execz .LBB39_953
	s_branch .LBB39_908
.LBB39_274:
                                        ; implicit-def: $vgpr2
                                        ; implicit-def: $vgpr0
	s_andn2_b64 vcc, exec, s[2:3]
	s_cbranch_vccz .LBB39_281
	s_branch .LBB39_283
.LBB39_275:
	s_waitcnt vmcnt(0)
	v_mov_b32_e32 v2, 0
	v_mov_b32_e32 v0, 0
	s_branch .LBB39_280
.LBB39_276:
	v_mov_b32_e32 v0, 0
	s_mov_b32 s62, 0
	v_mov_b32_e32 v1, v0
                                        ; implicit-def: $vgpr2
	v_mov_b32_e32 v4, v14
.LBB39_277:
	s_and_b32 s6, s63, 3
	s_cmp_eq_u32 s6, 0
	s_cbranch_scc1 .LBB39_280
; %bb.278:
	s_lshl_b32 s2, s62, 3
	s_add_u32 s2, s34, s2
	s_addc_u32 s3, s35, 0
	s_add_u32 s2, s2, 0xc4
	s_addc_u32 s3, s3, 0
	s_mul_i32 s4, s62, 12
	s_add_u32 s4, s34, s4
	s_addc_u32 s5, s35, 0
.LBB39_279:                             ; =>This Inner Loop Header: Depth=1
	s_load_dwordx2 s[8:9], s[4:5], 0x4
	s_load_dword s7, s[4:5], 0xc
	s_load_dwordx2 s[10:11], s[2:3], 0x0
	s_waitcnt vmcnt(0)
	v_mov_b32_e32 v2, v1
	s_add_u32 s4, s4, 12
	s_waitcnt lgkmcnt(0)
	v_mul_hi_u32 v1, s9, v4
	v_add_u32_e32 v1, v4, v1
	v_lshrrev_b32_e32 v1, s7, v1
	s_addc_u32 s5, s5, 0
	v_mul_lo_u32 v3, v1, s8
	s_add_u32 s2, s2, 8
	v_sub_u32_e32 v5, v4, v3
	s_addc_u32 s3, s3, 0
	s_add_i32 s6, s6, -1
	v_mov_b32_e32 v4, v1
	v_mad_u64_u32 v[2:3], s[8:9], v5, s11, v[2:3]
	v_mad_u64_u32 v[0:1], s[8:9], v5, s10, v[0:1]
	s_cmp_lg_u32 s6, 0
	v_mov_b32_e32 v1, v2
	s_cbranch_scc1 .LBB39_279
.LBB39_280:
	s_cbranch_execnz .LBB39_283
.LBB39_281:
	s_waitcnt lgkmcnt(0)
	v_mul_hi_u32 v0, s29, v14
	v_add_u32_e32 v0, v14, v0
	v_lshrrev_b32_e32 v1, s30, v0
	v_mul_lo_u32 v0, v1, s28
	v_sub_u32_e32 v0, v14, v0
	s_waitcnt vmcnt(0)
	v_mul_lo_u32 v2, v0, s25
	s_andn2_b64 vcc, exec, s[48:49]
	v_mul_lo_u32 v0, v0, s24
	s_cbranch_vccnz .LBB39_283
; %bb.282:
	v_mul_hi_u32 v3, s46, v1
	v_add_u32_e32 v3, v1, v3
	v_lshrrev_b32_e32 v3, s47, v3
	v_mul_lo_u32 v3, v3, s31
	v_sub_u32_e32 v3, v1, v3
	v_mad_u64_u32 v[0:1], s[2:3], v3, s26, v[0:1]
	v_mad_u64_u32 v[2:3], s[2:3], v3, s27, v[2:3]
.LBB39_283:
	s_waitcnt vmcnt(0)
	v_mov_b32_e32 v3, 0
	s_and_b32 s8, 0xffff, s74
	s_cmp_lt_i32 s8, 11
	s_waitcnt lgkmcnt(0)
	v_lshl_add_u64 v[4:5], s[22:23], 0, v[2:3]
	s_cbranch_scc1 .LBB39_290
; %bb.284:
	s_cmp_gt_i32 s8, 25
	s_cbranch_scc0 .LBB39_299
; %bb.285:
	s_cmp_gt_i32 s8, 28
	s_cbranch_scc0 .LBB39_301
	;; [unrolled: 3-line block ×4, first 2 shown]
; %bb.288:
	s_cmp_eq_u32 s8, 46
	s_mov_b64 s[6:7], 0
	s_cbranch_scc0 .LBB39_311
; %bb.289:
	global_load_dword v1, v[4:5], off
	s_mov_b32 s2, 0x2f800000
	s_mov_b32 s3, 0xcf800000
	s_mov_b64 s[4:5], 0
	s_waitcnt vmcnt(0)
	v_lshlrev_b32_e32 v1, 16, v1
	v_trunc_f32_e32 v1, v1
	v_mul_f32_e64 v2, |v1|, s2
	v_floor_f32_e32 v2, v2
	v_fma_f32 v3, v2, s3, |v1|
	v_cvt_u32_f32_e32 v2, v2
	v_cvt_u32_f32_e32 v3, v3
	v_ashrrev_i32_e32 v1, 31, v1
	s_mov_b64 s[2:3], -1
	v_xor_b32_e32 v6, v2, v1
	v_xor_b32_e32 v2, v3, v1
	v_sub_co_u32_e32 v2, vcc, v2, v1
	s_nop 1
	v_subb_co_u32_e32 v3, vcc, v6, v1, vcc
	s_branch .LBB39_312
.LBB39_290:
	s_mov_b64 s[2:3], 0
                                        ; implicit-def: $vgpr2_vgpr3
	s_mov_b64 s[4:5], s[56:57]
	s_cbranch_execnz .LBB39_485
.LBB39_291:
	s_andn2_b64 vcc, exec, s[2:3]
	s_cbranch_vccnz .LBB39_533
.LBB39_292:
	v_mov_b32_e32 v1, 0
	s_and_b32 s12, s73, 0xff
	s_waitcnt vmcnt(0)
	v_not_b32_e32 v5, v3
	v_not_b32_e32 v4, v2
	s_cmp_lt_i32 s12, 11
	v_lshl_add_u64 v[0:1], s[20:21], 0, v[0:1]
	s_cbranch_scc1 .LBB39_300
; %bb.293:
	s_and_b32 s13, 0xffff, s12
	s_cmp_gt_i32 s13, 25
	s_cbranch_scc0 .LBB39_302
; %bb.294:
	s_cmp_gt_i32 s13, 28
	s_cbranch_scc0 .LBB39_304
; %bb.295:
	;; [unrolled: 3-line block ×4, first 2 shown]
	s_mov_b64 s[8:9], 0
	s_mov_b64 s[2:3], -1
	s_cmp_eq_u32 s13, 46
	s_mov_b64 s[6:7], 0
	s_cbranch_scc0 .LBB39_316
; %bb.298:
	v_xor_b32_e32 v7, v4, v5
	v_ffbh_i32_e32 v6, v5
	v_ashrrev_i32_e32 v7, 31, v7
	v_add_u32_e32 v6, -1, v6
	v_add_u32_e32 v7, 32, v7
	v_min_u32_e32 v8, v6, v7
	v_lshlrev_b64 v[6:7], v8, v[4:5]
	v_min_u32_e32 v6, 1, v6
	v_or_b32_e32 v6, v7, v6
	v_cvt_f32_i32_e32 v6, v6
	v_sub_u32_e32 v7, 32, v8
	s_movk_i32 s2, 0x7fff
	s_mov_b64 s[6:7], -1
	v_ldexp_f32 v6, v6, v7
	v_bfe_u32 v7, v6, 16, 1
	v_add3_u32 v6, v6, v7, s2
	v_lshrrev_b32_e32 v6, 16, v6
	global_store_dword v[0:1], v6, off
	s_mov_b64 s[2:3], 0
	s_branch .LBB39_316
.LBB39_299:
	s_mov_b64 s[6:7], -1
	s_mov_b64 s[2:3], 0
	s_mov_b64 s[4:5], s[56:57]
                                        ; implicit-def: $vgpr2_vgpr3
	s_branch .LBB39_451
.LBB39_300:
	s_mov_b64 s[8:9], -1
	s_mov_b64 s[6:7], 0
	s_mov_b64 s[2:3], s[54:55]
	s_branch .LBB39_385
.LBB39_301:
	s_mov_b64 s[6:7], -1
	s_mov_b64 s[2:3], 0
	s_mov_b64 s[4:5], s[56:57]
                                        ; implicit-def: $vgpr2_vgpr3
	s_branch .LBB39_434
.LBB39_302:
	s_mov_b64 s[8:9], -1
	s_mov_b64 s[6:7], 0
	s_mov_b64 s[2:3], s[54:55]
	s_branch .LBB39_343
.LBB39_303:
	s_mov_b64 s[6:7], -1
	s_mov_b64 s[2:3], 0
	s_mov_b64 s[4:5], s[56:57]
                                        ; implicit-def: $vgpr2_vgpr3
	s_branch .LBB39_429
.LBB39_304:
	s_mov_b64 s[8:9], -1
	s_mov_b64 s[6:7], 0
	s_mov_b64 s[2:3], s[54:55]
	s_branch .LBB39_326
.LBB39_305:
	s_andn2_saveexec_b64 s[10:11], s[10:11]
	s_cbranch_execz .LBB39_69
.LBB39_306:
	s_mov_b32 s14, 0x46000000
	v_add_f32_e64 v7, |v6|, s14
	v_and_b32_e32 v7, 0xff, v7
	v_cmp_ne_u32_e32 vcc, 0, v7
	s_andn2_b64 s[8:9], s[8:9], exec
	s_and_b64 s[14:15], vcc, exec
	s_or_b64 s[8:9], s[8:9], s[14:15]
	s_or_b64 exec, exec, s[10:11]
	v_mov_b32_e32 v8, 0
	s_and_saveexec_b64 s[10:11], s[8:9]
	s_cbranch_execnz .LBB39_70
	s_branch .LBB39_71
.LBB39_307:
	s_mov_b64 s[6:7], -1
	s_mov_b64 s[2:3], 0
	s_mov_b64 s[4:5], s[56:57]
                                        ; implicit-def: $vgpr2_vgpr3
	s_branch .LBB39_312
.LBB39_308:
	s_mov_b64 s[8:9], -1
	s_mov_b64 s[6:7], 0
	s_mov_b64 s[2:3], s[54:55]
	s_branch .LBB39_322
.LBB39_309:
	s_andn2_saveexec_b64 s[10:11], s[10:11]
	s_cbranch_execz .LBB39_82
.LBB39_310:
	s_mov_b32 s14, 0x42800000
	v_add_f32_e64 v7, |v6|, s14
	v_and_b32_e32 v7, 0xff, v7
	v_cmp_ne_u32_e32 vcc, 0, v7
	s_andn2_b64 s[8:9], s[8:9], exec
	s_and_b64 s[14:15], vcc, exec
	s_or_b64 s[8:9], s[8:9], s[14:15]
	s_or_b64 exec, exec, s[10:11]
	v_mov_b32_e32 v8, 0
	s_and_saveexec_b64 s[10:11], s[8:9]
	s_cbranch_execnz .LBB39_83
	s_branch .LBB39_84
.LBB39_311:
	s_mov_b64 s[4:5], -1
                                        ; implicit-def: $vgpr2_vgpr3
	s_mov_b64 s[2:3], 0
.LBB39_312:
	s_and_b64 vcc, exec, s[6:7]
	s_cbranch_vccz .LBB39_428
; %bb.313:
	s_cmp_eq_u32 s8, 44
	s_cbranch_scc0 .LBB39_427
; %bb.314:
	global_load_ubyte v1, v[4:5], off
	s_mov_b32 s2, 0x2f800000
	s_mov_b32 s3, 0xcf800000
	s_mov_b64 s[4:5], 0
	s_waitcnt vmcnt(0)
	v_lshlrev_b32_e32 v2, 23, v1
	v_trunc_f32_e32 v2, v2
	v_mul_f32_e64 v3, |v2|, s2
	v_floor_f32_e32 v3, v3
	v_fma_f32 v6, v3, s3, |v2|
	v_cvt_u32_f32_e32 v6, v6
	v_cvt_u32_f32_e32 v3, v3
	v_ashrrev_i32_e32 v2, 31, v2
	s_mov_b64 s[2:3], -1
	v_xor_b32_e32 v6, v6, v2
	v_xor_b32_e32 v3, v3, v2
	v_sub_co_u32_e32 v6, vcc, v6, v2
	s_nop 1
	v_subb_co_u32_e32 v2, vcc, v3, v2, vcc
	v_cmp_ne_u32_e32 vcc, 0, v1
	s_nop 1
	v_cndmask_b32_e32 v3, 0, v2, vcc
	v_cndmask_b32_e32 v2, 0, v6, vcc
	s_branch .LBB39_428
.LBB39_315:
	s_mov_b64 s[8:9], -1
	s_mov_b64 s[6:7], 0
	s_mov_b64 s[2:3], s[54:55]
.LBB39_316:
	s_and_b64 vcc, exec, s[8:9]
	s_cbranch_vccz .LBB39_321
; %bb.317:
	s_cmp_eq_u32 s13, 44
	s_mov_b64 s[2:3], -1
	s_cbranch_scc0 .LBB39_321
; %bb.318:
	v_xor_b32_e32 v7, v4, v5
	v_ffbh_i32_e32 v6, v5
	v_ashrrev_i32_e32 v7, 31, v7
	v_add_u32_e32 v6, -1, v6
	v_add_u32_e32 v7, 32, v7
	v_min_u32_e32 v8, v6, v7
	v_lshlrev_b64 v[6:7], v8, v[4:5]
	v_min_u32_e32 v6, 1, v6
	v_or_b32_e32 v6, v7, v6
	v_cvt_f32_i32_e32 v6, v6
	v_sub_u32_e32 v7, 32, v8
	s_movk_i32 s2, 0xff
	v_mov_b32_e32 v8, 0xff
	v_ldexp_f32 v6, v6, v7
	v_bfe_u32 v7, v6, 23, 8
	v_cmp_ne_u32_e32 vcc, s2, v7
	s_and_saveexec_b64 s[6:7], vcc
; %bb.319:
	s_mov_b32 s2, 0x3fffff
	v_lshrrev_b32_e32 v8, 23, v6
	v_and_b32_e32 v9, 0x400000, v6
	v_and_or_b32 v6, v6, s2, v7
	v_cmp_ne_u32_e32 vcc, 0, v9
	v_cmp_ne_u32_e64 s[2:3], 0, v6
	s_and_b64 s[2:3], vcc, s[2:3]
	s_nop 0
	v_cndmask_b32_e64 v6, 0, 1, s[2:3]
	v_add_u32_e32 v8, v8, v6
; %bb.320:
	s_or_b64 exec, exec, s[6:7]
	s_mov_b64 s[6:7], -1
	s_mov_b64 s[2:3], 0
	global_store_byte v[0:1], v8, off
.LBB39_321:
	s_mov_b64 s[8:9], 0
.LBB39_322:
	s_and_b64 vcc, exec, s[8:9]
	s_cbranch_vccz .LBB39_325
; %bb.323:
	s_cmp_eq_u32 s13, 29
	s_mov_b64 s[2:3], -1
	s_cbranch_scc0 .LBB39_325
; %bb.324:
	global_store_dwordx2 v[0:1], v[4:5], off
	s_mov_b64 s[6:7], -1
	s_mov_b64 s[2:3], 0
.LBB39_325:
	s_mov_b64 s[8:9], 0
.LBB39_326:
	s_and_b64 vcc, exec, s[8:9]
	s_cbranch_vccz .LBB39_342
; %bb.327:
	s_cmp_lt_i32 s13, 27
	s_mov_b64 s[6:7], -1
	s_cbranch_scc1 .LBB39_333
; %bb.328:
	s_cmp_gt_i32 s13, 27
	s_cbranch_scc0 .LBB39_330
; %bb.329:
	s_mov_b64 s[6:7], 0
	global_store_dword v[0:1], v4, off
.LBB39_330:
	s_andn2_b64 vcc, exec, s[6:7]
	s_cbranch_vccnz .LBB39_332
; %bb.331:
	global_store_short v[0:1], v4, off
.LBB39_332:
	s_mov_b64 s[6:7], 0
.LBB39_333:
	s_andn2_b64 vcc, exec, s[6:7]
	s_cbranch_vccnz .LBB39_341
; %bb.334:
	v_xor_b32_e32 v7, v4, v5
	v_ffbh_i32_e32 v6, v5
	v_ashrrev_i32_e32 v7, 31, v7
	v_add_u32_e32 v6, -1, v6
	v_add_u32_e32 v7, 32, v7
	v_min_u32_e32 v8, v6, v7
	v_lshlrev_b64 v[6:7], v8, v[4:5]
	v_min_u32_e32 v6, 1, v6
	v_or_b32_e32 v6, v7, v6
	v_cvt_f32_i32_e32 v6, v6
	v_sub_u32_e32 v7, 32, v8
	s_mov_b32 s6, 0x43800000
	v_mov_b32_e32 v8, 0x80
	v_ldexp_f32 v6, v6, v7
	v_and_b32_e32 v7, 0x7fffffff, v6
	v_cmp_gt_u32_e32 vcc, s6, v7
	s_and_saveexec_b64 s[6:7], vcc
	s_cbranch_execz .LBB39_340
; %bb.335:
	s_mov_b32 s8, 0x3bffffff
	v_cmp_lt_u32_e32 vcc, s8, v7
	s_mov_b64 s[8:9], 0
                                        ; implicit-def: $vgpr7
	s_and_saveexec_b64 s[10:11], vcc
	s_xor_b64 s[10:11], exec, s[10:11]
	s_cbranch_execz .LBB39_565
; %bb.336:
	v_bfe_u32 v7, v6, 20, 1
	s_mov_b32 s14, 0x487ffff
	v_add3_u32 v7, v6, v7, s14
	s_mov_b64 s[8:9], exec
	v_lshrrev_b32_e32 v7, 20, v7
	s_andn2_saveexec_b64 s[10:11], s[10:11]
	s_cbranch_execnz .LBB39_566
.LBB39_337:
	s_or_b64 exec, exec, s[10:11]
	v_mov_b32_e32 v8, 0
	s_and_saveexec_b64 s[10:11], s[8:9]
.LBB39_338:
	v_lshrrev_b32_e32 v6, 24, v6
	s_movk_i32 s8, 0x80
	v_and_or_b32 v8, v6, s8, v7
.LBB39_339:
	s_or_b64 exec, exec, s[10:11]
.LBB39_340:
	s_or_b64 exec, exec, s[6:7]
	global_store_byte v[0:1], v8, off
.LBB39_341:
	s_mov_b64 s[6:7], -1
.LBB39_342:
	s_mov_b64 s[8:9], 0
.LBB39_343:
	s_and_b64 vcc, exec, s[8:9]
	s_cbranch_vccz .LBB39_384
; %bb.344:
	s_cmp_gt_i32 s13, 22
	s_mov_b64 s[8:9], -1
	s_cbranch_scc0 .LBB39_376
; %bb.345:
	s_cmp_lt_i32 s13, 24
	s_mov_b64 s[6:7], -1
	s_cbranch_scc1 .LBB39_365
; %bb.346:
	s_cmp_gt_i32 s13, 24
	s_cbranch_scc0 .LBB39_354
; %bb.347:
	v_xor_b32_e32 v7, v4, v5
	v_ffbh_i32_e32 v6, v5
	v_ashrrev_i32_e32 v7, 31, v7
	v_add_u32_e32 v6, -1, v6
	v_add_u32_e32 v7, 32, v7
	v_min_u32_e32 v8, v6, v7
	v_lshlrev_b64 v[6:7], v8, v[4:5]
	v_min_u32_e32 v6, 1, v6
	v_or_b32_e32 v6, v7, v6
	v_cvt_f32_i32_e32 v6, v6
	v_sub_u32_e32 v7, 32, v8
	s_mov_b32 s6, 0x47800000
	v_mov_b32_e32 v8, 0x80
	v_ldexp_f32 v6, v6, v7
	v_and_b32_e32 v7, 0x7fffffff, v6
	v_cmp_gt_u32_e32 vcc, s6, v7
	s_and_saveexec_b64 s[6:7], vcc
	s_cbranch_execz .LBB39_353
; %bb.348:
	s_mov_b32 s8, 0x37ffffff
	v_cmp_lt_u32_e32 vcc, s8, v7
	s_mov_b64 s[8:9], 0
                                        ; implicit-def: $vgpr7
	s_and_saveexec_b64 s[10:11], vcc
	s_xor_b64 s[10:11], exec, s[10:11]
	s_cbranch_execz .LBB39_568
; %bb.349:
	v_bfe_u32 v7, v6, 21, 1
	s_mov_b32 s14, 0x88fffff
	v_add3_u32 v7, v6, v7, s14
	s_mov_b64 s[8:9], exec
	v_lshrrev_b32_e32 v7, 21, v7
	s_andn2_saveexec_b64 s[10:11], s[10:11]
	s_cbranch_execnz .LBB39_569
.LBB39_350:
	s_or_b64 exec, exec, s[10:11]
	v_mov_b32_e32 v8, 0
	s_and_saveexec_b64 s[10:11], s[8:9]
.LBB39_351:
	v_lshrrev_b32_e32 v6, 24, v6
	s_movk_i32 s8, 0x80
	v_and_or_b32 v8, v6, s8, v7
.LBB39_352:
	s_or_b64 exec, exec, s[10:11]
.LBB39_353:
	s_or_b64 exec, exec, s[6:7]
	s_mov_b64 s[6:7], 0
	global_store_byte v[0:1], v8, off
.LBB39_354:
	s_and_b64 vcc, exec, s[6:7]
	s_cbranch_vccz .LBB39_364
; %bb.355:
	v_xor_b32_e32 v7, v4, v5
	v_ffbh_i32_e32 v6, v5
	v_ashrrev_i32_e32 v7, 31, v7
	v_add_u32_e32 v6, -1, v6
	v_add_u32_e32 v7, 32, v7
	v_min_u32_e32 v8, v6, v7
	v_lshlrev_b64 v[6:7], v8, v[4:5]
	v_min_u32_e32 v6, 1, v6
	v_or_b32_e32 v6, v7, v6
	v_cvt_f32_i32_e32 v6, v6
	v_sub_u32_e32 v7, 32, v8
	s_mov_b32 s6, 0x43f00000
	v_ldexp_f32 v6, v6, v7
	v_and_b32_e32 v8, 0x7fffffff, v6
	v_cmp_gt_u32_e32 vcc, s6, v8
                                        ; implicit-def: $vgpr7
	s_and_saveexec_b64 s[6:7], vcc
	s_xor_b64 s[6:7], exec, s[6:7]
	s_cbranch_execz .LBB39_361
; %bb.356:
	s_mov_b32 s8, 0x3c7fffff
	v_cmp_lt_u32_e32 vcc, s8, v8
                                        ; implicit-def: $vgpr7
	s_and_saveexec_b64 s[8:9], vcc
	s_xor_b64 s[8:9], exec, s[8:9]
; %bb.357:
	v_bfe_u32 v7, v6, 20, 1
	s_mov_b32 s10, 0x407ffff
	v_add3_u32 v7, v6, v7, s10
	v_lshrrev_b32_e32 v8, 20, v7
	v_and_b32_e32 v7, 0xff00000, v7
	s_mov_b32 s10, 0x7f00000
	v_mov_b32_e32 v9, 0x7e
	v_cmp_ne_u32_e32 vcc, s10, v7
	s_nop 1
	v_cndmask_b32_e32 v7, v9, v8, vcc
; %bb.358:
	s_andn2_saveexec_b64 s[8:9], s[8:9]
; %bb.359:
	s_mov_b32 s10, 0x46800000
	v_add_f32_e64 v7, |v6|, s10
; %bb.360:
	s_or_b64 exec, exec, s[8:9]
                                        ; implicit-def: $vgpr8
.LBB39_361:
	s_andn2_saveexec_b64 s[6:7], s[6:7]
; %bb.362:
	s_mov_b32 s8, 0x7f800000
	v_mov_b32_e32 v7, 0x7e
	v_mov_b32_e32 v9, 0x7f
	v_cmp_lt_u32_e32 vcc, s8, v8
	s_nop 1
	v_cndmask_b32_e32 v7, v7, v9, vcc
; %bb.363:
	s_or_b64 exec, exec, s[6:7]
	v_lshrrev_b32_e32 v6, 24, v6
	s_movk_i32 s6, 0x80
	v_and_or_b32 v6, v6, s6, v7
	global_store_byte v[0:1], v6, off
.LBB39_364:
	s_mov_b64 s[6:7], 0
.LBB39_365:
	s_andn2_b64 vcc, exec, s[6:7]
	s_cbranch_vccnz .LBB39_375
; %bb.366:
	v_xor_b32_e32 v7, v4, v5
	v_ffbh_i32_e32 v6, v5
	v_ashrrev_i32_e32 v7, 31, v7
	v_add_u32_e32 v6, -1, v6
	v_add_u32_e32 v7, 32, v7
	v_min_u32_e32 v8, v6, v7
	v_lshlrev_b64 v[6:7], v8, v[4:5]
	v_min_u32_e32 v6, 1, v6
	v_or_b32_e32 v6, v7, v6
	v_cvt_f32_i32_e32 v6, v6
	v_sub_u32_e32 v7, 32, v8
	s_mov_b32 s6, 0x47800000
	v_ldexp_f32 v6, v6, v7
	v_and_b32_e32 v8, 0x7fffffff, v6
	v_cmp_gt_u32_e32 vcc, s6, v8
                                        ; implicit-def: $vgpr7
	s_and_saveexec_b64 s[6:7], vcc
	s_xor_b64 s[6:7], exec, s[6:7]
	s_cbranch_execz .LBB39_372
; %bb.367:
	s_mov_b32 s8, 0x387fffff
	v_cmp_lt_u32_e32 vcc, s8, v8
                                        ; implicit-def: $vgpr7
	s_and_saveexec_b64 s[8:9], vcc
	s_xor_b64 s[8:9], exec, s[8:9]
; %bb.368:
	v_bfe_u32 v7, v6, 21, 1
	s_mov_b32 s10, 0x80fffff
	v_add3_u32 v7, v6, v7, s10
	v_lshrrev_b32_e32 v7, 21, v7
; %bb.369:
	s_andn2_saveexec_b64 s[8:9], s[8:9]
; %bb.370:
	s_mov_b32 s10, 0x43000000
	v_add_f32_e64 v7, |v6|, s10
; %bb.371:
	s_or_b64 exec, exec, s[8:9]
                                        ; implicit-def: $vgpr8
.LBB39_372:
	s_andn2_saveexec_b64 s[6:7], s[6:7]
; %bb.373:
	s_mov_b32 s8, 0x7f800000
	v_mov_b32_e32 v7, 0x7c
	v_mov_b32_e32 v9, 0x7f
	v_cmp_lt_u32_e32 vcc, s8, v8
	s_nop 1
	v_cndmask_b32_e32 v7, v7, v9, vcc
; %bb.374:
	s_or_b64 exec, exec, s[6:7]
	v_lshrrev_b32_e32 v6, 24, v6
	s_movk_i32 s6, 0x80
	v_and_or_b32 v6, v6, s6, v7
	global_store_byte v[0:1], v6, off
.LBB39_375:
	s_mov_b64 s[8:9], 0
	s_mov_b64 s[6:7], -1
.LBB39_376:
	s_andn2_b64 vcc, exec, s[8:9]
	s_cbranch_vccnz .LBB39_384
; %bb.377:
	s_cmp_gt_i32 s13, 14
	s_mov_b64 s[8:9], -1
	s_cbranch_scc0 .LBB39_381
; %bb.378:
	s_cmp_eq_u32 s13, 15
	s_mov_b64 s[2:3], -1
	s_cbranch_scc0 .LBB39_380
; %bb.379:
	v_xor_b32_e32 v7, v4, v5
	v_ffbh_i32_e32 v6, v5
	v_ashrrev_i32_e32 v7, 31, v7
	v_add_u32_e32 v6, -1, v6
	v_add_u32_e32 v7, 32, v7
	v_min_u32_e32 v8, v6, v7
	v_lshlrev_b64 v[6:7], v8, v[4:5]
	v_min_u32_e32 v6, 1, v6
	v_or_b32_e32 v6, v7, v6
	v_cvt_f32_i32_e32 v6, v6
	v_sub_u32_e32 v7, 32, v8
	s_movk_i32 s2, 0x7fff
	s_mov_b64 s[6:7], -1
	v_ldexp_f32 v6, v6, v7
	v_bfe_u32 v7, v6, 16, 1
	v_add3_u32 v6, v6, v7, s2
	global_store_short_d16_hi v[0:1], v6, off
	s_mov_b64 s[2:3], 0
.LBB39_380:
	s_mov_b64 s[8:9], 0
.LBB39_381:
	s_and_b64 vcc, exec, s[8:9]
	s_cbranch_vccz .LBB39_384
; %bb.382:
	s_cmp_eq_u32 s13, 11
	s_mov_b64 s[2:3], -1
	s_cbranch_scc0 .LBB39_384
; %bb.383:
	v_cmp_ne_u64_e32 vcc, -1, v[2:3]
	s_mov_b64 s[6:7], -1
	s_mov_b64 s[2:3], 0
	v_cndmask_b32_e64 v2, 0, 1, vcc
	global_store_byte v[0:1], v2, off
.LBB39_384:
	s_mov_b64 s[8:9], 0
.LBB39_385:
	s_and_b64 vcc, exec, s[8:9]
	s_cbranch_vccz .LBB39_424
; %bb.386:
	s_and_b32 s8, 0xffff, s12
	s_cmp_lt_i32 s8, 5
	s_mov_b64 s[6:7], -1
	s_cbranch_scc1 .LBB39_407
; %bb.387:
	s_cmp_lt_i32 s8, 8
	s_cbranch_scc1 .LBB39_397
; %bb.388:
	s_cmp_lt_i32 s8, 9
	s_cbranch_scc1 .LBB39_394
; %bb.389:
	s_cmp_gt_i32 s8, 9
	s_cbranch_scc0 .LBB39_391
; %bb.390:
	v_cvt_f64_i32_e32 v[2:3], v5
	v_ldexp_f64 v[2:3], v[2:3], 32
	v_cvt_f64_u32_e32 v[6:7], v4
	v_mov_b32_e32 v8, 0
	v_add_f64 v[6:7], v[2:3], v[6:7]
	v_mov_b32_e32 v9, v8
	s_mov_b64 s[6:7], 0
	global_store_dwordx4 v[0:1], v[6:9], off
.LBB39_391:
	s_andn2_b64 vcc, exec, s[6:7]
	s_cbranch_vccnz .LBB39_393
; %bb.392:
	v_xor_b32_e32 v3, v4, v5
	v_ffbh_i32_e32 v2, v5
	v_ashrrev_i32_e32 v3, 31, v3
	v_add_u32_e32 v2, -1, v2
	v_add_u32_e32 v3, 32, v3
	v_min_u32_e32 v6, v2, v3
	v_lshlrev_b64 v[2:3], v6, v[4:5]
	v_min_u32_e32 v2, 1, v2
	v_or_b32_e32 v2, v3, v2
	v_cvt_f32_i32_e32 v2, v2
	v_sub_u32_e32 v3, 32, v6
	v_ldexp_f32 v2, v2, v3
	v_mov_b32_e32 v3, 0
	global_store_dwordx2 v[0:1], v[2:3], off
.LBB39_393:
	s_mov_b64 s[6:7], 0
.LBB39_394:
	s_andn2_b64 vcc, exec, s[6:7]
	s_cbranch_vccnz .LBB39_396
; %bb.395:
	v_xor_b32_e32 v3, v4, v5
	v_ffbh_i32_e32 v2, v5
	v_ashrrev_i32_e32 v3, 31, v3
	v_add_u32_e32 v2, -1, v2
	v_add_u32_e32 v3, 32, v3
	v_min_u32_e32 v6, v2, v3
	v_lshlrev_b64 v[2:3], v6, v[4:5]
	v_min_u32_e32 v2, 1, v2
	v_or_b32_e32 v2, v3, v2
	v_cvt_f32_i32_e32 v2, v2
	v_sub_u32_e32 v3, 32, v6
	v_ldexp_f32 v2, v2, v3
	v_cvt_f16_f32_e32 v2, v2
	global_store_dword v[0:1], v2, off
.LBB39_396:
	s_mov_b64 s[6:7], 0
.LBB39_397:
	s_andn2_b64 vcc, exec, s[6:7]
	s_cbranch_vccnz .LBB39_406
; %bb.398:
	s_cmp_lt_i32 s8, 6
	s_mov_b64 s[6:7], -1
	s_cbranch_scc1 .LBB39_404
; %bb.399:
	s_cmp_gt_i32 s8, 6
	s_cbranch_scc0 .LBB39_401
; %bb.400:
	v_cvt_f64_i32_e32 v[2:3], v5
	v_ldexp_f64 v[2:3], v[2:3], 32
	v_cvt_f64_u32_e32 v[6:7], v4
	v_add_f64 v[2:3], v[2:3], v[6:7]
	s_mov_b64 s[6:7], 0
	global_store_dwordx2 v[0:1], v[2:3], off
.LBB39_401:
	s_andn2_b64 vcc, exec, s[6:7]
	s_cbranch_vccnz .LBB39_403
; %bb.402:
	v_xor_b32_e32 v3, v4, v5
	v_ffbh_i32_e32 v2, v5
	v_ashrrev_i32_e32 v3, 31, v3
	v_add_u32_e32 v2, -1, v2
	v_add_u32_e32 v3, 32, v3
	v_min_u32_e32 v6, v2, v3
	v_lshlrev_b64 v[2:3], v6, v[4:5]
	v_min_u32_e32 v2, 1, v2
	v_or_b32_e32 v2, v3, v2
	v_cvt_f32_i32_e32 v2, v2
	v_sub_u32_e32 v3, 32, v6
	v_ldexp_f32 v2, v2, v3
	global_store_dword v[0:1], v2, off
.LBB39_403:
	s_mov_b64 s[6:7], 0
.LBB39_404:
	s_andn2_b64 vcc, exec, s[6:7]
	s_cbranch_vccnz .LBB39_406
; %bb.405:
	v_xor_b32_e32 v3, v4, v5
	v_ffbh_i32_e32 v2, v5
	v_ashrrev_i32_e32 v3, 31, v3
	v_add_u32_e32 v2, -1, v2
	v_add_u32_e32 v3, 32, v3
	v_min_u32_e32 v6, v2, v3
	v_lshlrev_b64 v[2:3], v6, v[4:5]
	v_min_u32_e32 v2, 1, v2
	v_or_b32_e32 v2, v3, v2
	v_cvt_f32_i32_e32 v2, v2
	v_sub_u32_e32 v3, 32, v6
	v_ldexp_f32 v2, v2, v3
	v_cvt_f16_f32_e32 v2, v2
	global_store_short v[0:1], v2, off
.LBB39_406:
	s_mov_b64 s[6:7], 0
.LBB39_407:
	s_andn2_b64 vcc, exec, s[6:7]
	s_cbranch_vccnz .LBB39_423
; %bb.408:
	s_cmp_lt_i32 s8, 2
	s_mov_b64 s[6:7], -1
	s_cbranch_scc1 .LBB39_418
; %bb.409:
	s_cmp_lt_i32 s8, 3
	s_cbranch_scc1 .LBB39_415
; %bb.410:
	s_cmp_gt_i32 s8, 3
	s_cbranch_scc0 .LBB39_412
; %bb.411:
	s_mov_b64 s[6:7], 0
	global_store_dwordx2 v[0:1], v[4:5], off
.LBB39_412:
	s_andn2_b64 vcc, exec, s[6:7]
	s_cbranch_vccnz .LBB39_414
; %bb.413:
	global_store_dword v[0:1], v4, off
.LBB39_414:
	s_mov_b64 s[6:7], 0
.LBB39_415:
	s_andn2_b64 vcc, exec, s[6:7]
	s_cbranch_vccnz .LBB39_417
; %bb.416:
	global_store_short v[0:1], v4, off
.LBB39_417:
	s_mov_b64 s[6:7], 0
.LBB39_418:
	s_andn2_b64 vcc, exec, s[6:7]
	s_cbranch_vccnz .LBB39_423
; %bb.419:
	s_cmp_gt_i32 s8, 0
	s_mov_b64 s[6:7], -1
	s_cbranch_scc0 .LBB39_421
; %bb.420:
	s_mov_b64 s[6:7], 0
	global_store_byte v[0:1], v4, off
.LBB39_421:
	s_andn2_b64 vcc, exec, s[6:7]
	s_cbranch_vccnz .LBB39_423
; %bb.422:
	global_store_byte v[0:1], v4, off
.LBB39_423:
	s_mov_b64 s[6:7], -1
.LBB39_424:
	s_andn2_b64 vcc, exec, s[6:7]
	s_cbranch_vccnz .LBB39_426
; %bb.425:
	v_add_u32_e32 v14, 0x80, v14
	s_mov_b64 s[6:7], -1
	s_branch .LBB39_535
.LBB39_426:
	s_mov_b64 s[6:7], 0
	s_branch .LBB39_534
.LBB39_427:
	s_mov_b64 s[4:5], -1
                                        ; implicit-def: $vgpr2_vgpr3
.LBB39_428:
	s_mov_b64 s[6:7], 0
.LBB39_429:
	s_and_b64 vcc, exec, s[6:7]
	s_cbranch_vccz .LBB39_433
; %bb.430:
	s_cmp_eq_u32 s8, 29
	s_cbranch_scc0 .LBB39_432
; %bb.431:
	global_load_dwordx2 v[2:3], v[4:5], off
	s_mov_b64 s[2:3], -1
	s_mov_b64 s[4:5], 0
	s_branch .LBB39_433
.LBB39_432:
	s_mov_b64 s[4:5], -1
                                        ; implicit-def: $vgpr2_vgpr3
.LBB39_433:
	s_mov_b64 s[6:7], 0
.LBB39_434:
	s_and_b64 vcc, exec, s[6:7]
	s_cbranch_vccz .LBB39_450
; %bb.435:
	s_cmp_lt_i32 s8, 27
	s_cbranch_scc1 .LBB39_438
; %bb.436:
	s_cmp_gt_i32 s8, 27
	s_cbranch_scc0 .LBB39_439
; %bb.437:
	global_load_dword v2, v[4:5], off
	s_waitcnt vmcnt(1)
	v_mov_b32_e32 v3, 0
	s_mov_b64 s[2:3], 0
	s_branch .LBB39_440
.LBB39_438:
	s_mov_b64 s[2:3], -1
                                        ; implicit-def: $vgpr2_vgpr3
	s_branch .LBB39_443
.LBB39_439:
	s_mov_b64 s[2:3], -1
                                        ; implicit-def: $vgpr2_vgpr3
.LBB39_440:
	s_andn2_b64 vcc, exec, s[2:3]
	s_cbranch_vccnz .LBB39_442
; %bb.441:
	global_load_ushort v1, v[4:5], off
	s_mov_b32 s2, 0
	s_waitcnt vmcnt(1)
	v_mov_b32_e32 v3, s2
	s_waitcnt vmcnt(0)
	v_and_b32_e32 v2, 0xffff, v1
.LBB39_442:
	s_mov_b64 s[2:3], 0
.LBB39_443:
	s_andn2_b64 vcc, exec, s[2:3]
	s_cbranch_vccnz .LBB39_449
; %bb.444:
	global_load_ubyte v1, v[4:5], off
	s_movk_i32 s2, 0x7f
	s_mov_b64 s[6:7], 0
	s_waitcnt vmcnt(0)
	v_cmp_lt_i16_e32 vcc, s2, v1
	s_and_saveexec_b64 s[2:3], vcc
	s_xor_b64 s[2:3], exec, s[2:3]
	s_cbranch_execz .LBB39_461
; %bb.445:
	s_movk_i32 s6, 0x80
	v_cmp_ne_u16_e32 vcc, s6, v1
	s_and_b64 s[6:7], vcc, exec
	s_andn2_saveexec_b64 s[2:3], s[2:3]
	s_cbranch_execnz .LBB39_462
.LBB39_446:
	s_or_b64 exec, exec, s[2:3]
	v_mov_b64_e32 v[2:3], 0
	s_and_saveexec_b64 s[2:3], s[6:7]
	s_cbranch_execz .LBB39_448
.LBB39_447:
	v_lshlrev_b32_e32 v2, 24, v1
	v_and_b32_e32 v1, 0xffff, v1
	v_and_b32_e32 v3, 7, v1
	v_ffbh_u32_e32 v7, v3
	v_min_u32_e32 v7, 32, v7
	v_subrev_u32_e32 v8, 28, v7
	v_bfe_u32 v6, v1, 3, 4
	v_lshlrev_b32_e32 v1, v8, v1
	v_sub_u32_e32 v7, 29, v7
	v_and_b32_e32 v1, 7, v1
	v_cmp_eq_u32_e32 vcc, 0, v6
	v_and_b32_e32 v2, 0x80000000, v2
	s_mov_b32 s6, 0x2f800000
	v_cndmask_b32_e32 v6, v6, v7, vcc
	v_cndmask_b32_e32 v1, v3, v1, vcc
	v_mov_b32_e32 v3, 0x3b800000
	v_lshlrev_b32_e32 v1, 20, v1
	v_lshl_add_u32 v3, v6, 23, v3
	v_or3_b32 v1, v2, v3, v1
	v_trunc_f32_e32 v1, v1
	v_mul_f32_e64 v2, |v1|, s6
	v_floor_f32_e32 v2, v2
	s_mov_b32 s6, 0xcf800000
	v_fma_f32 v3, v2, s6, |v1|
	v_cvt_u32_f32_e32 v2, v2
	v_cvt_u32_f32_e32 v3, v3
	v_ashrrev_i32_e32 v1, 31, v1
	v_xor_b32_e32 v6, v2, v1
	v_xor_b32_e32 v2, v3, v1
	v_sub_co_u32_e32 v2, vcc, v2, v1
	s_nop 1
	v_subb_co_u32_e32 v3, vcc, v6, v1, vcc
.LBB39_448:
	s_or_b64 exec, exec, s[2:3]
.LBB39_449:
	s_mov_b64 s[2:3], -1
.LBB39_450:
	s_mov_b64 s[6:7], 0
.LBB39_451:
	s_and_b64 vcc, exec, s[6:7]
	s_cbranch_vccz .LBB39_484
; %bb.452:
	s_cmp_gt_i32 s8, 22
	s_cbranch_scc0 .LBB39_460
; %bb.453:
	s_cmp_lt_i32 s8, 24
	s_cbranch_scc1 .LBB39_463
; %bb.454:
	s_cmp_gt_i32 s8, 24
	s_cbranch_scc0 .LBB39_464
; %bb.455:
	global_load_ubyte v1, v[4:5], off
	s_movk_i32 s2, 0x7f
	s_mov_b64 s[6:7], 0
	s_waitcnt vmcnt(0)
	v_cmp_lt_i16_e32 vcc, s2, v1
	s_and_saveexec_b64 s[2:3], vcc
	s_xor_b64 s[2:3], exec, s[2:3]
	s_cbranch_execz .LBB39_476
; %bb.456:
	s_movk_i32 s6, 0x80
	v_cmp_ne_u16_e32 vcc, s6, v1
	s_and_b64 s[6:7], vcc, exec
	s_andn2_saveexec_b64 s[2:3], s[2:3]
	s_cbranch_execnz .LBB39_477
.LBB39_457:
	s_or_b64 exec, exec, s[2:3]
	v_mov_b64_e32 v[2:3], 0
	s_and_saveexec_b64 s[2:3], s[6:7]
	s_cbranch_execz .LBB39_459
.LBB39_458:
	v_lshlrev_b32_e32 v2, 24, v1
	v_and_b32_e32 v1, 0xffff, v1
	v_and_b32_e32 v3, 3, v1
	v_ffbh_u32_e32 v7, v3
	v_min_u32_e32 v7, 32, v7
	v_subrev_u32_e32 v8, 29, v7
	v_bfe_u32 v6, v1, 2, 5
	v_lshlrev_b32_e32 v1, v8, v1
	v_sub_u32_e32 v7, 30, v7
	v_and_b32_e32 v1, 3, v1
	v_cmp_eq_u32_e32 vcc, 0, v6
	v_and_b32_e32 v2, 0x80000000, v2
	s_mov_b32 s6, 0x2f800000
	v_cndmask_b32_e32 v6, v6, v7, vcc
	v_cndmask_b32_e32 v1, v3, v1, vcc
	v_mov_b32_e32 v3, 0x37800000
	v_lshlrev_b32_e32 v1, 21, v1
	v_lshl_add_u32 v3, v6, 23, v3
	v_or3_b32 v1, v2, v3, v1
	v_trunc_f32_e32 v1, v1
	v_mul_f32_e64 v2, |v1|, s6
	v_floor_f32_e32 v2, v2
	s_mov_b32 s6, 0xcf800000
	v_fma_f32 v3, v2, s6, |v1|
	v_cvt_u32_f32_e32 v2, v2
	v_cvt_u32_f32_e32 v3, v3
	v_ashrrev_i32_e32 v1, 31, v1
	v_xor_b32_e32 v6, v2, v1
	v_xor_b32_e32 v2, v3, v1
	v_sub_co_u32_e32 v2, vcc, v2, v1
	s_nop 1
	v_subb_co_u32_e32 v3, vcc, v6, v1, vcc
.LBB39_459:
	s_or_b64 exec, exec, s[2:3]
	s_mov_b64 s[2:3], 0
	s_branch .LBB39_465
.LBB39_460:
	s_mov_b64 s[6:7], -1
                                        ; implicit-def: $vgpr2_vgpr3
	s_branch .LBB39_471
.LBB39_461:
	s_andn2_saveexec_b64 s[2:3], s[2:3]
	s_cbranch_execz .LBB39_446
.LBB39_462:
	v_cmp_ne_u16_e32 vcc, 0, v1
	s_andn2_b64 s[6:7], s[6:7], exec
	s_and_b64 s[10:11], vcc, exec
	s_or_b64 s[6:7], s[6:7], s[10:11]
	s_or_b64 exec, exec, s[2:3]
	v_mov_b64_e32 v[2:3], 0
	s_and_saveexec_b64 s[2:3], s[6:7]
	s_cbranch_execnz .LBB39_447
	s_branch .LBB39_448
.LBB39_463:
	s_mov_b64 s[2:3], -1
                                        ; implicit-def: $vgpr2_vgpr3
	s_branch .LBB39_468
.LBB39_464:
	s_mov_b64 s[2:3], -1
                                        ; implicit-def: $vgpr2_vgpr3
.LBB39_465:
	s_and_b64 vcc, exec, s[2:3]
	s_cbranch_vccz .LBB39_467
; %bb.466:
	global_load_ubyte v1, v[4:5], off
	s_mov_b32 s2, 0x7f800000
	s_brev_b32 s3, 1
	s_mov_b32 s6, 0x2f800000
	s_mov_b32 s7, 0xcf800000
	s_waitcnt vmcnt(0)
	v_lshlrev_b32_e32 v1, 24, v1
	v_and_b32_e32 v2, 0x7f000000, v1
	v_ffbh_u32_e32 v3, v2
	v_min_u32_e32 v3, 32, v3
	v_sub_u32_e64 v3, v3, 4 clamp
	v_lshlrev_b32_e32 v7, v3, v2
	v_lshlrev_b32_e32 v3, 23, v3
	v_lshrrev_b32_e32 v7, 4, v7
	v_add_u32_e32 v6, 0x1000000, v2
	v_sub_u32_e32 v3, v7, v3
	v_ashrrev_i32_e32 v6, 8, v6
	v_add_u32_e32 v3, 0x3c000000, v3
	v_and_or_b32 v3, v6, s2, v3
	v_cmp_ne_u32_e32 vcc, 0, v2
	s_nop 1
	v_cndmask_b32_e32 v2, 0, v3, vcc
	v_and_or_b32 v1, v1, s3, v2
	v_trunc_f32_e32 v1, v1
	v_mul_f32_e64 v2, |v1|, s6
	v_floor_f32_e32 v2, v2
	v_fma_f32 v3, v2, s7, |v1|
	v_cvt_u32_f32_e32 v2, v2
	v_cvt_u32_f32_e32 v3, v3
	v_ashrrev_i32_e32 v1, 31, v1
	v_xor_b32_e32 v6, v2, v1
	v_xor_b32_e32 v2, v3, v1
	v_sub_co_u32_e32 v2, vcc, v2, v1
	s_nop 1
	v_subb_co_u32_e32 v3, vcc, v6, v1, vcc
.LBB39_467:
	s_mov_b64 s[2:3], 0
.LBB39_468:
	s_andn2_b64 vcc, exec, s[2:3]
	s_cbranch_vccnz .LBB39_470
; %bb.469:
	global_load_ubyte v1, v[4:5], off
	s_movk_i32 s2, 0x7f00
	s_brev_b32 s3, 16
	s_brev_b32 s6, 1
	s_mov_b32 s7, 0x2f800000
	s_mov_b32 s9, 0xcf800000
	s_waitcnt vmcnt(0)
	v_lshlrev_b16_e32 v2, 8, v1
	v_lshlrev_b32_e32 v1, 25, v1
	v_lshrrev_b32_e32 v3, 4, v1
	v_and_or_b32 v6, v2, s2, 0.5
	v_or_b32_e32 v3, 0x70000000, v3
	v_add_f32_e32 v6, -0.5, v6
	v_mul_f32_e32 v3, 0x7800000, v3
	v_cmp_gt_u32_e32 vcc, s3, v1
	v_bfe_i32 v2, v2, 0, 16
	s_nop 0
	v_cndmask_b32_e32 v1, v3, v6, vcc
	v_and_or_b32 v1, v2, s6, v1
	v_trunc_f32_e32 v1, v1
	v_mul_f32_e64 v2, |v1|, s7
	v_floor_f32_e32 v2, v2
	v_fma_f32 v3, v2, s9, |v1|
	v_cvt_u32_f32_e32 v2, v2
	v_cvt_u32_f32_e32 v3, v3
	v_ashrrev_i32_e32 v1, 31, v1
	v_xor_b32_e32 v6, v2, v1
	v_xor_b32_e32 v2, v3, v1
	v_sub_co_u32_e32 v2, vcc, v2, v1
	s_nop 1
	v_subb_co_u32_e32 v3, vcc, v6, v1, vcc
.LBB39_470:
	s_mov_b64 s[6:7], 0
	s_mov_b64 s[2:3], -1
.LBB39_471:
	s_andn2_b64 vcc, exec, s[6:7]
	s_cbranch_vccnz .LBB39_484
; %bb.472:
	s_cmp_gt_i32 s8, 14
	s_cbranch_scc0 .LBB39_475
; %bb.473:
	s_cmp_eq_u32 s8, 15
	s_cbranch_scc0 .LBB39_478
; %bb.474:
	global_load_ushort v1, v[4:5], off
	s_mov_b32 s2, 0x2f800000
	s_mov_b32 s3, 0xcf800000
	s_mov_b64 s[4:5], 0
	s_waitcnt vmcnt(0)
	v_lshlrev_b32_e32 v1, 16, v1
	v_trunc_f32_e32 v1, v1
	v_mul_f32_e64 v2, |v1|, s2
	v_floor_f32_e32 v2, v2
	v_fma_f32 v3, v2, s3, |v1|
	v_cvt_u32_f32_e32 v2, v2
	v_cvt_u32_f32_e32 v3, v3
	v_ashrrev_i32_e32 v1, 31, v1
	s_mov_b64 s[2:3], -1
	v_xor_b32_e32 v6, v2, v1
	v_xor_b32_e32 v2, v3, v1
	v_sub_co_u32_e32 v2, vcc, v2, v1
	s_nop 1
	v_subb_co_u32_e32 v3, vcc, v6, v1, vcc
	s_branch .LBB39_479
.LBB39_475:
	s_mov_b64 s[6:7], -1
                                        ; implicit-def: $vgpr2_vgpr3
	s_branch .LBB39_480
.LBB39_476:
	s_andn2_saveexec_b64 s[2:3], s[2:3]
	s_cbranch_execz .LBB39_457
.LBB39_477:
	v_cmp_ne_u16_e32 vcc, 0, v1
	s_andn2_b64 s[6:7], s[6:7], exec
	s_and_b64 s[10:11], vcc, exec
	s_or_b64 s[6:7], s[6:7], s[10:11]
	s_or_b64 exec, exec, s[2:3]
	v_mov_b64_e32 v[2:3], 0
	s_and_saveexec_b64 s[2:3], s[6:7]
	s_cbranch_execnz .LBB39_458
	s_branch .LBB39_459
.LBB39_478:
	s_mov_b64 s[4:5], -1
                                        ; implicit-def: $vgpr2_vgpr3
.LBB39_479:
	s_mov_b64 s[6:7], 0
.LBB39_480:
	s_and_b64 vcc, exec, s[6:7]
	s_cbranch_vccz .LBB39_484
; %bb.481:
	s_cmp_eq_u32 s8, 11
	s_cbranch_scc0 .LBB39_483
; %bb.482:
	global_load_ubyte v1, v[4:5], off
	s_mov_b32 s4, 0
	s_mov_b64 s[2:3], -1
	s_waitcnt vmcnt(1)
	v_mov_b32_e32 v3, s4
	s_mov_b64 s[4:5], 0
	s_waitcnt vmcnt(0)
	v_cmp_ne_u16_e32 vcc, 0, v1
	s_nop 1
	v_cndmask_b32_e64 v2, 0, 1, vcc
	s_branch .LBB39_484
.LBB39_483:
	s_mov_b64 s[4:5], -1
                                        ; implicit-def: $vgpr2_vgpr3
.LBB39_484:
	s_branch .LBB39_291
.LBB39_485:
	s_cmp_lt_i32 s8, 5
	s_cbranch_scc1 .LBB39_490
; %bb.486:
	s_cmp_lt_i32 s8, 8
	s_cbranch_scc1 .LBB39_491
; %bb.487:
	;; [unrolled: 3-line block ×3, first 2 shown]
	s_cmp_gt_i32 s8, 9
	s_cbranch_scc0 .LBB39_493
; %bb.489:
	global_load_dwordx2 v[2:3], v[4:5], off
	s_movk_i32 s2, 0xffe0
	s_waitcnt vmcnt(0)
	v_trunc_f64_e32 v[6:7], v[2:3]
	v_ldexp_f64 v[2:3], v[6:7], s2
	v_floor_f64_e32 v[8:9], v[2:3]
	v_fmac_f64_e32 v[6:7], 0xc1f00000, v[8:9]
	v_cvt_i32_f64_e32 v3, v[8:9]
	v_cvt_u32_f64_e32 v2, v[6:7]
	s_mov_b64 s[2:3], 0
	s_branch .LBB39_494
.LBB39_490:
	s_mov_b64 s[2:3], -1
                                        ; implicit-def: $vgpr2_vgpr3
	s_branch .LBB39_512
.LBB39_491:
	s_mov_b64 s[2:3], -1
                                        ; implicit-def: $vgpr2_vgpr3
	s_branch .LBB39_500
.LBB39_492:
	s_mov_b64 s[2:3], -1
                                        ; implicit-def: $vgpr2_vgpr3
	s_branch .LBB39_497
.LBB39_493:
	s_mov_b64 s[2:3], -1
                                        ; implicit-def: $vgpr2_vgpr3
.LBB39_494:
	s_andn2_b64 vcc, exec, s[2:3]
	s_cbranch_vccnz .LBB39_496
; %bb.495:
	global_load_dword v1, v[4:5], off
	s_mov_b32 s2, 0x2f800000
	s_mov_b32 s3, 0xcf800000
	s_waitcnt vmcnt(0)
	v_trunc_f32_e32 v1, v1
	v_mul_f32_e64 v2, |v1|, s2
	v_floor_f32_e32 v2, v2
	v_cvt_u32_f32_e32 v3, v2
	v_fma_f32 v2, v2, s3, |v1|
	v_cvt_u32_f32_e32 v2, v2
	v_ashrrev_i32_e32 v1, 31, v1
	v_xor_b32_e32 v3, v3, v1
	v_xor_b32_e32 v2, v2, v1
	v_sub_co_u32_e32 v2, vcc, v2, v1
	s_nop 1
	v_subb_co_u32_e32 v3, vcc, v3, v1, vcc
.LBB39_496:
	s_mov_b64 s[2:3], 0
.LBB39_497:
	s_andn2_b64 vcc, exec, s[2:3]
	s_cbranch_vccnz .LBB39_499
; %bb.498:
	global_load_dword v1, v[4:5], off
	s_waitcnt vmcnt(0)
	v_cvt_f32_f16_e32 v1, v1
	v_cvt_i32_f32_e32 v2, v1
	v_ashrrev_i32_e32 v3, 31, v2
.LBB39_499:
	s_mov_b64 s[2:3], 0
.LBB39_500:
	s_andn2_b64 vcc, exec, s[2:3]
	s_cbranch_vccnz .LBB39_511
; %bb.501:
	s_cmp_lt_i32 s8, 6
	s_cbranch_scc1 .LBB39_504
; %bb.502:
	s_cmp_gt_i32 s8, 6
	s_cbranch_scc0 .LBB39_505
; %bb.503:
	global_load_dwordx2 v[2:3], v[4:5], off
	s_movk_i32 s2, 0xffe0
	s_waitcnt vmcnt(0)
	v_trunc_f64_e32 v[6:7], v[2:3]
	v_ldexp_f64 v[2:3], v[6:7], s2
	v_floor_f64_e32 v[8:9], v[2:3]
	v_fmac_f64_e32 v[6:7], 0xc1f00000, v[8:9]
	v_cvt_i32_f64_e32 v3, v[8:9]
	v_cvt_u32_f64_e32 v2, v[6:7]
	s_mov_b64 s[2:3], 0
	s_branch .LBB39_506
.LBB39_504:
	s_mov_b64 s[2:3], -1
                                        ; implicit-def: $vgpr2_vgpr3
	s_branch .LBB39_509
.LBB39_505:
	s_mov_b64 s[2:3], -1
                                        ; implicit-def: $vgpr2_vgpr3
.LBB39_506:
	s_andn2_b64 vcc, exec, s[2:3]
	s_cbranch_vccnz .LBB39_508
; %bb.507:
	global_load_dword v1, v[4:5], off
	s_mov_b32 s2, 0x2f800000
	s_mov_b32 s3, 0xcf800000
	s_waitcnt vmcnt(0)
	v_trunc_f32_e32 v1, v1
	v_mul_f32_e64 v2, |v1|, s2
	v_floor_f32_e32 v2, v2
	v_cvt_u32_f32_e32 v3, v2
	v_fma_f32 v2, v2, s3, |v1|
	v_cvt_u32_f32_e32 v2, v2
	v_ashrrev_i32_e32 v1, 31, v1
	v_xor_b32_e32 v3, v3, v1
	v_xor_b32_e32 v2, v2, v1
	v_sub_co_u32_e32 v2, vcc, v2, v1
	s_nop 1
	v_subb_co_u32_e32 v3, vcc, v3, v1, vcc
.LBB39_508:
	s_mov_b64 s[2:3], 0
.LBB39_509:
	s_andn2_b64 vcc, exec, s[2:3]
	s_cbranch_vccnz .LBB39_511
; %bb.510:
	global_load_ushort v1, v[4:5], off
	s_waitcnt vmcnt(0)
	v_cvt_f32_f16_e32 v1, v1
	v_cvt_i32_f32_e32 v2, v1
	v_ashrrev_i32_e32 v3, 31, v2
.LBB39_511:
	s_mov_b64 s[2:3], 0
.LBB39_512:
	s_andn2_b64 vcc, exec, s[2:3]
	s_cbranch_vccnz .LBB39_532
; %bb.513:
	s_cmp_lt_i32 s8, 2
	s_cbranch_scc1 .LBB39_517
; %bb.514:
	s_cmp_lt_i32 s8, 3
	s_cbranch_scc1 .LBB39_518
; %bb.515:
	s_cmp_gt_i32 s8, 3
	s_cbranch_scc0 .LBB39_519
; %bb.516:
	global_load_dwordx2 v[2:3], v[4:5], off
	s_mov_b64 s[2:3], 0
	s_branch .LBB39_520
.LBB39_517:
	s_mov_b64 s[2:3], -1
                                        ; implicit-def: $vgpr2_vgpr3
	s_branch .LBB39_526
.LBB39_518:
	s_mov_b64 s[2:3], -1
                                        ; implicit-def: $vgpr2_vgpr3
	s_branch .LBB39_523
.LBB39_519:
	s_mov_b64 s[2:3], -1
                                        ; implicit-def: $vgpr2_vgpr3
.LBB39_520:
	s_andn2_b64 vcc, exec, s[2:3]
	s_cbranch_vccnz .LBB39_522
; %bb.521:
	global_load_dword v2, v[4:5], off
	s_waitcnt vmcnt(0)
	v_ashrrev_i32_e32 v3, 31, v2
.LBB39_522:
	s_mov_b64 s[2:3], 0
.LBB39_523:
	s_andn2_b64 vcc, exec, s[2:3]
	s_cbranch_vccnz .LBB39_525
; %bb.524:
	global_load_ushort v1, v[4:5], off
	s_waitcnt vmcnt(0)
	v_bfe_i32 v2, v1, 0, 16
	v_ashrrev_i32_e32 v3, 31, v2
.LBB39_525:
	s_mov_b64 s[2:3], 0
.LBB39_526:
	s_andn2_b64 vcc, exec, s[2:3]
	s_cbranch_vccnz .LBB39_532
; %bb.527:
	s_cmp_gt_i32 s8, 0
	s_cbranch_scc0 .LBB39_529
; %bb.528:
	global_load_sbyte v1, v[4:5], off
	s_mov_b64 s[2:3], 0
	s_waitcnt vmcnt(0)
	v_bfe_i32 v2, v1, 0, 16
	v_ashrrev_i32_e32 v3, 31, v2
	s_branch .LBB39_530
.LBB39_529:
	s_mov_b64 s[2:3], -1
                                        ; implicit-def: $vgpr2_vgpr3
.LBB39_530:
	s_andn2_b64 vcc, exec, s[2:3]
	s_cbranch_vccnz .LBB39_532
; %bb.531:
	global_load_ubyte v1, v[4:5], off
	s_mov_b32 s2, 0
	s_waitcnt vmcnt(1)
	v_mov_b32_e32 v3, s2
	s_waitcnt vmcnt(0)
	v_and_b32_e32 v2, 0xffff, v1
.LBB39_532:
	s_branch .LBB39_292
.LBB39_533:
	s_mov_b64 s[6:7], 0
	s_mov_b64 s[2:3], s[54:55]
.LBB39_534:
                                        ; implicit-def: $vgpr14
.LBB39_535:
	s_andn2_b64 s[8:9], s[54:55], exec
	s_and_b64 s[2:3], s[2:3], exec
	s_or_b64 s[62:63], s[8:9], s[2:3]
	s_andn2_b64 s[2:3], s[56:57], exec
	s_and_b64 s[4:5], s[4:5], exec
	s_or_b64 s[60:61], s[2:3], s[4:5]
	s_orn2_b64 s[2:3], s[6:7], exec
.LBB39_536:
	s_or_b64 exec, exec, s[64:65]
	s_mov_b64 s[4:5], 0
	s_mov_b64 s[6:7], 0
	;; [unrolled: 1-line block ×3, first 2 shown]
                                        ; implicit-def: $vgpr4_vgpr5
                                        ; implicit-def: $vgpr0
                                        ; implicit-def: $vgpr2_vgpr3
	s_and_saveexec_b64 s[64:65], s[2:3]
	s_cbranch_execz .LBB39_905
; %bb.537:
	v_cmp_gt_i32_e32 vcc, s70, v14
	s_mov_b64 s[6:7], -1
	s_mov_b64 s[2:3], s[60:61]
	s_mov_b64 s[68:69], s[62:63]
	s_and_saveexec_b64 s[66:67], vcc
	s_cbranch_execz .LBB39_808
; %bb.538:
	s_andn2_b64 vcc, exec, s[42:43]
	s_cbranch_vccnz .LBB39_544
; %bb.539:
	s_andn2_b64 vcc, exec, s[52:53]
	s_cbranch_vccnz .LBB39_545
; %bb.540:
	s_add_i32 s76, s75, 1
	s_cmp_eq_u32 s72, 2
	s_cbranch_scc1 .LBB39_546
; %bb.541:
	s_and_b32 s71, s76, 28
	s_mov_b32 s77, 0
	v_mov_b32_e32 v0, 0
	s_waitcnt vmcnt(0)
	v_mov_b32_e32 v2, 0
	s_mov_b64 s[2:3], s[34:35]
	s_mov_b64 s[68:69], s[50:51]
	v_mov_b32_e32 v4, v14
.LBB39_542:                             ; =>This Inner Loop Header: Depth=1
	s_load_dwordx8 s[12:19], s[2:3], 0x4
	s_load_dwordx4 s[36:39], s[2:3], 0x24
	s_load_dwordx8 s[4:11], s[68:69], 0x0
	s_add_u32 s2, s2, 48
	s_addc_u32 s3, s3, 0
	s_waitcnt lgkmcnt(0)
	v_mul_hi_u32 v1, s13, v4
	v_add_u32_e32 v1, v4, v1
	v_lshrrev_b32_e32 v1, s14, v1
	v_mul_lo_u32 v3, v1, s12
	v_mul_hi_u32 v5, s16, v1
	v_sub_u32_e32 v3, v4, v3
	v_add_u32_e32 v4, v1, v5
	v_lshrrev_b32_e32 v4, s17, v4
	v_mul_lo_u32 v6, v4, s15
	v_mul_hi_u32 v7, s19, v4
	v_sub_u32_e32 v1, v1, v6
	v_add_u32_e32 v6, v4, v7
	v_mul_lo_u32 v5, v3, s5
	v_mul_lo_u32 v3, v3, s4
	;; [unrolled: 1-line block ×4, first 2 shown]
	v_lshrrev_b32_e32 v6, s36, v6
	v_add3_u32 v0, v3, v0, v1
	v_mul_hi_u32 v3, s38, v6
	v_add3_u32 v1, v5, v2, v7
	v_mul_lo_u32 v2, v6, s18
	v_add_u32_e32 v3, v6, v3
	v_sub_u32_e32 v2, v4, v2
	v_lshrrev_b32_e32 v4, s39, v3
	s_add_i32 s77, s77, 4
	v_mul_lo_u32 v3, v4, s37
	s_add_u32 s68, s68, 32
	v_sub_u32_e32 v3, v6, v3
	s_addc_u32 s69, s69, 0
	v_mul_lo_u32 v5, v2, s8
	v_mul_lo_u32 v2, v2, s9
	;; [unrolled: 1-line block ×4, first 2 shown]
	s_cmp_eq_u32 s71, s77
	v_add3_u32 v2, v2, v1, v3
	v_add3_u32 v0, v5, v0, v6
	s_cbranch_scc0 .LBB39_542
; %bb.543:
	v_mov_b32_e32 v1, v2
	s_branch .LBB39_547
.LBB39_544:
	s_mov_b64 s[2:3], -1
                                        ; implicit-def: $vgpr2
                                        ; implicit-def: $vgpr0
	s_branch .LBB39_551
.LBB39_545:
	s_waitcnt vmcnt(0)
	v_mov_b32_e32 v2, 0
	v_mov_b32_e32 v0, 0
	s_branch .LBB39_550
.LBB39_546:
	v_mov_b32_e32 v0, 0
	s_mov_b32 s71, 0
	v_mov_b32_e32 v1, v0
                                        ; implicit-def: $vgpr2
	v_mov_b32_e32 v4, v14
.LBB39_547:
	s_and_b32 s6, s76, 3
	s_cmp_eq_u32 s6, 0
	s_cbranch_scc1 .LBB39_550
; %bb.548:
	s_lshl_b32 s2, s71, 3
	s_add_u32 s2, s34, s2
	s_addc_u32 s3, s35, 0
	s_add_u32 s2, s2, 0xc4
	s_addc_u32 s3, s3, 0
	s_mul_i32 s4, s71, 12
	s_add_u32 s4, s34, s4
	s_addc_u32 s5, s35, 0
.LBB39_549:                             ; =>This Inner Loop Header: Depth=1
	s_load_dwordx2 s[8:9], s[4:5], 0x4
	s_load_dword s7, s[4:5], 0xc
	s_load_dwordx2 s[10:11], s[2:3], 0x0
	s_waitcnt vmcnt(0)
	v_mov_b32_e32 v2, v1
	s_add_u32 s4, s4, 12
	s_waitcnt lgkmcnt(0)
	v_mul_hi_u32 v1, s9, v4
	v_add_u32_e32 v1, v4, v1
	v_lshrrev_b32_e32 v1, s7, v1
	s_addc_u32 s5, s5, 0
	v_mul_lo_u32 v3, v1, s8
	s_add_u32 s2, s2, 8
	v_sub_u32_e32 v5, v4, v3
	s_addc_u32 s3, s3, 0
	s_add_i32 s6, s6, -1
	v_mov_b32_e32 v4, v1
	v_mad_u64_u32 v[2:3], s[8:9], v5, s11, v[2:3]
	v_mad_u64_u32 v[0:1], s[8:9], v5, s10, v[0:1]
	s_cmp_lg_u32 s6, 0
	v_mov_b32_e32 v1, v2
	s_cbranch_scc1 .LBB39_549
.LBB39_550:
	s_mov_b64 s[2:3], 0
.LBB39_551:
	s_andn2_b64 vcc, exec, s[2:3]
	s_cbranch_vccnz .LBB39_554
; %bb.552:
	s_waitcnt lgkmcnt(0)
	v_mul_hi_u32 v0, s29, v14
	v_add_u32_e32 v0, v14, v0
	v_lshrrev_b32_e32 v1, s30, v0
	v_mul_lo_u32 v0, v1, s28
	v_sub_u32_e32 v0, v14, v0
	s_waitcnt vmcnt(0)
	v_mul_lo_u32 v2, v0, s25
	s_andn2_b64 vcc, exec, s[48:49]
	v_mul_lo_u32 v0, v0, s24
	s_cbranch_vccnz .LBB39_554
; %bb.553:
	v_mul_hi_u32 v3, s46, v1
	v_add_u32_e32 v3, v1, v3
	v_lshrrev_b32_e32 v3, s47, v3
	v_mul_lo_u32 v3, v3, s31
	v_sub_u32_e32 v3, v1, v3
	v_mad_u64_u32 v[0:1], s[2:3], v3, s26, v[0:1]
	v_mad_u64_u32 v[2:3], s[2:3], v3, s27, v[2:3]
.LBB39_554:
	s_waitcnt vmcnt(0)
	v_mov_b32_e32 v3, 0
	s_and_b32 s8, 0xffff, s74
	s_cmp_lt_i32 s8, 11
	s_waitcnt lgkmcnt(0)
	v_lshl_add_u64 v[4:5], s[22:23], 0, v[2:3]
	s_cbranch_scc1 .LBB39_561
; %bb.555:
	s_cmp_gt_i32 s8, 25
	s_cbranch_scc0 .LBB39_562
; %bb.556:
	s_cmp_gt_i32 s8, 28
	s_cbranch_scc0 .LBB39_563
; %bb.557:
	s_cmp_gt_i32 s8, 43
	s_cbranch_scc0 .LBB39_564
; %bb.558:
	s_cmp_gt_i32 s8, 45
	s_cbranch_scc0 .LBB39_567
; %bb.559:
	s_cmp_eq_u32 s8, 46
	s_mov_b64 s[6:7], 0
	s_cbranch_scc0 .LBB39_570
; %bb.560:
	global_load_dword v1, v[4:5], off
	s_mov_b32 s2, 0x2f800000
	s_mov_b32 s3, 0xcf800000
	s_mov_b64 s[4:5], 0
	s_waitcnt vmcnt(0)
	v_lshlrev_b32_e32 v1, 16, v1
	v_trunc_f32_e32 v1, v1
	v_mul_f32_e64 v2, |v1|, s2
	v_floor_f32_e32 v2, v2
	v_fma_f32 v3, v2, s3, |v1|
	v_cvt_u32_f32_e32 v2, v2
	v_cvt_u32_f32_e32 v3, v3
	v_ashrrev_i32_e32 v1, 31, v1
	s_mov_b64 s[2:3], -1
	v_xor_b32_e32 v6, v2, v1
	v_xor_b32_e32 v2, v3, v1
	v_sub_co_u32_e32 v2, vcc, v2, v1
	s_nop 1
	v_subb_co_u32_e32 v3, vcc, v6, v1, vcc
	s_branch .LBB39_571
.LBB39_561:
	s_mov_b64 s[6:7], -1
	s_mov_b64 s[2:3], 0
                                        ; implicit-def: $vgpr2_vgpr3
	s_mov_b64 s[4:5], s[60:61]
	s_branch .LBB39_632
.LBB39_562:
	s_mov_b64 s[6:7], -1
	s_mov_b64 s[2:3], 0
	s_mov_b64 s[4:5], s[60:61]
                                        ; implicit-def: $vgpr2_vgpr3
	s_branch .LBB39_598
.LBB39_563:
	s_mov_b64 s[6:7], -1
	s_mov_b64 s[2:3], 0
	s_mov_b64 s[4:5], s[60:61]
                                        ; implicit-def: $vgpr2_vgpr3
	s_branch .LBB39_581
.LBB39_564:
	s_mov_b64 s[6:7], -1
	s_mov_b64 s[2:3], 0
	s_mov_b64 s[4:5], s[60:61]
                                        ; implicit-def: $vgpr2_vgpr3
	s_branch .LBB39_576
.LBB39_565:
	s_andn2_saveexec_b64 s[10:11], s[10:11]
	s_cbranch_execz .LBB39_337
.LBB39_566:
	s_mov_b32 s14, 0x46000000
	v_add_f32_e64 v7, |v6|, s14
	v_and_b32_e32 v7, 0xff, v7
	v_cmp_ne_u32_e32 vcc, 0, v7
	s_andn2_b64 s[8:9], s[8:9], exec
	s_and_b64 s[14:15], vcc, exec
	s_or_b64 s[8:9], s[8:9], s[14:15]
	s_or_b64 exec, exec, s[10:11]
	v_mov_b32_e32 v8, 0
	s_and_saveexec_b64 s[10:11], s[8:9]
	s_cbranch_execnz .LBB39_338
	s_branch .LBB39_339
.LBB39_567:
	s_mov_b64 s[6:7], -1
	s_mov_b64 s[2:3], 0
	s_mov_b64 s[4:5], s[60:61]
                                        ; implicit-def: $vgpr2_vgpr3
	s_branch .LBB39_571
.LBB39_568:
	s_andn2_saveexec_b64 s[10:11], s[10:11]
	s_cbranch_execz .LBB39_350
.LBB39_569:
	s_mov_b32 s14, 0x42800000
	v_add_f32_e64 v7, |v6|, s14
	v_and_b32_e32 v7, 0xff, v7
	v_cmp_ne_u32_e32 vcc, 0, v7
	s_andn2_b64 s[8:9], s[8:9], exec
	s_and_b64 s[14:15], vcc, exec
	s_or_b64 s[8:9], s[8:9], s[14:15]
	s_or_b64 exec, exec, s[10:11]
	v_mov_b32_e32 v8, 0
	s_and_saveexec_b64 s[10:11], s[8:9]
	s_cbranch_execnz .LBB39_351
	s_branch .LBB39_352
.LBB39_570:
	s_mov_b64 s[4:5], -1
                                        ; implicit-def: $vgpr2_vgpr3
	s_mov_b64 s[2:3], 0
.LBB39_571:
	s_and_b64 vcc, exec, s[6:7]
	s_cbranch_vccz .LBB39_575
; %bb.572:
	s_cmp_eq_u32 s8, 44
	s_cbranch_scc0 .LBB39_574
; %bb.573:
	global_load_ubyte v1, v[4:5], off
	s_mov_b32 s2, 0x2f800000
	s_mov_b32 s3, 0xcf800000
	s_mov_b64 s[4:5], 0
	s_waitcnt vmcnt(0)
	v_lshlrev_b32_e32 v2, 23, v1
	v_trunc_f32_e32 v2, v2
	v_mul_f32_e64 v3, |v2|, s2
	v_floor_f32_e32 v3, v3
	v_fma_f32 v6, v3, s3, |v2|
	v_cvt_u32_f32_e32 v6, v6
	v_cvt_u32_f32_e32 v3, v3
	v_ashrrev_i32_e32 v2, 31, v2
	s_mov_b64 s[2:3], -1
	v_xor_b32_e32 v6, v6, v2
	v_xor_b32_e32 v3, v3, v2
	v_sub_co_u32_e32 v6, vcc, v6, v2
	s_nop 1
	v_subb_co_u32_e32 v2, vcc, v3, v2, vcc
	v_cmp_ne_u32_e32 vcc, 0, v1
	s_nop 1
	v_cndmask_b32_e32 v3, 0, v2, vcc
	v_cndmask_b32_e32 v2, 0, v6, vcc
	s_branch .LBB39_575
.LBB39_574:
	s_mov_b64 s[4:5], -1
                                        ; implicit-def: $vgpr2_vgpr3
.LBB39_575:
	s_mov_b64 s[6:7], 0
.LBB39_576:
	s_and_b64 vcc, exec, s[6:7]
	s_cbranch_vccz .LBB39_580
; %bb.577:
	s_cmp_eq_u32 s8, 29
	s_cbranch_scc0 .LBB39_579
; %bb.578:
	global_load_dwordx2 v[2:3], v[4:5], off
	s_mov_b64 s[2:3], -1
	s_mov_b64 s[4:5], 0
	s_branch .LBB39_580
.LBB39_579:
	s_mov_b64 s[4:5], -1
                                        ; implicit-def: $vgpr2_vgpr3
.LBB39_580:
	s_mov_b64 s[6:7], 0
.LBB39_581:
	s_and_b64 vcc, exec, s[6:7]
	s_cbranch_vccz .LBB39_597
; %bb.582:
	s_cmp_lt_i32 s8, 27
	s_cbranch_scc1 .LBB39_585
; %bb.583:
	s_cmp_gt_i32 s8, 27
	s_cbranch_scc0 .LBB39_586
; %bb.584:
	global_load_dword v2, v[4:5], off
	s_waitcnt vmcnt(1)
	v_mov_b32_e32 v3, 0
	s_mov_b64 s[2:3], 0
	s_branch .LBB39_587
.LBB39_585:
	s_mov_b64 s[2:3], -1
                                        ; implicit-def: $vgpr2_vgpr3
	s_branch .LBB39_590
.LBB39_586:
	s_mov_b64 s[2:3], -1
                                        ; implicit-def: $vgpr2_vgpr3
.LBB39_587:
	s_andn2_b64 vcc, exec, s[2:3]
	s_cbranch_vccnz .LBB39_589
; %bb.588:
	global_load_ushort v1, v[4:5], off
	s_mov_b32 s2, 0
	s_waitcnt vmcnt(1)
	v_mov_b32_e32 v3, s2
	s_waitcnt vmcnt(0)
	v_and_b32_e32 v2, 0xffff, v1
.LBB39_589:
	s_mov_b64 s[2:3], 0
.LBB39_590:
	s_andn2_b64 vcc, exec, s[2:3]
	s_cbranch_vccnz .LBB39_596
; %bb.591:
	global_load_ubyte v1, v[4:5], off
	s_movk_i32 s2, 0x7f
	s_mov_b64 s[6:7], 0
	s_waitcnt vmcnt(0)
	v_cmp_lt_i16_e32 vcc, s2, v1
	s_and_saveexec_b64 s[2:3], vcc
	s_xor_b64 s[2:3], exec, s[2:3]
	s_cbranch_execz .LBB39_608
; %bb.592:
	s_movk_i32 s6, 0x80
	v_cmp_ne_u16_e32 vcc, s6, v1
	s_and_b64 s[6:7], vcc, exec
	s_andn2_saveexec_b64 s[2:3], s[2:3]
	s_cbranch_execnz .LBB39_609
.LBB39_593:
	s_or_b64 exec, exec, s[2:3]
	v_mov_b64_e32 v[2:3], 0
	s_and_saveexec_b64 s[2:3], s[6:7]
	s_cbranch_execz .LBB39_595
.LBB39_594:
	v_lshlrev_b32_e32 v2, 24, v1
	v_and_b32_e32 v1, 0xffff, v1
	v_and_b32_e32 v3, 7, v1
	v_ffbh_u32_e32 v7, v3
	v_min_u32_e32 v7, 32, v7
	v_subrev_u32_e32 v8, 28, v7
	v_bfe_u32 v6, v1, 3, 4
	v_lshlrev_b32_e32 v1, v8, v1
	v_sub_u32_e32 v7, 29, v7
	v_and_b32_e32 v1, 7, v1
	v_cmp_eq_u32_e32 vcc, 0, v6
	v_and_b32_e32 v2, 0x80000000, v2
	s_mov_b32 s6, 0x2f800000
	v_cndmask_b32_e32 v6, v6, v7, vcc
	v_cndmask_b32_e32 v1, v3, v1, vcc
	v_mov_b32_e32 v3, 0x3b800000
	v_lshlrev_b32_e32 v1, 20, v1
	v_lshl_add_u32 v3, v6, 23, v3
	v_or3_b32 v1, v2, v3, v1
	v_trunc_f32_e32 v1, v1
	v_mul_f32_e64 v2, |v1|, s6
	v_floor_f32_e32 v2, v2
	s_mov_b32 s6, 0xcf800000
	v_fma_f32 v3, v2, s6, |v1|
	v_cvt_u32_f32_e32 v2, v2
	v_cvt_u32_f32_e32 v3, v3
	v_ashrrev_i32_e32 v1, 31, v1
	v_xor_b32_e32 v6, v2, v1
	v_xor_b32_e32 v2, v3, v1
	v_sub_co_u32_e32 v2, vcc, v2, v1
	s_nop 1
	v_subb_co_u32_e32 v3, vcc, v6, v1, vcc
.LBB39_595:
	s_or_b64 exec, exec, s[2:3]
.LBB39_596:
	s_mov_b64 s[2:3], -1
.LBB39_597:
	s_mov_b64 s[6:7], 0
.LBB39_598:
	s_and_b64 vcc, exec, s[6:7]
	s_cbranch_vccz .LBB39_631
; %bb.599:
	s_cmp_gt_i32 s8, 22
	s_cbranch_scc0 .LBB39_607
; %bb.600:
	s_cmp_lt_i32 s8, 24
	s_cbranch_scc1 .LBB39_610
; %bb.601:
	s_cmp_gt_i32 s8, 24
	s_cbranch_scc0 .LBB39_611
; %bb.602:
	global_load_ubyte v1, v[4:5], off
	s_movk_i32 s2, 0x7f
	s_mov_b64 s[6:7], 0
	s_waitcnt vmcnt(0)
	v_cmp_lt_i16_e32 vcc, s2, v1
	s_and_saveexec_b64 s[2:3], vcc
	s_xor_b64 s[2:3], exec, s[2:3]
	s_cbranch_execz .LBB39_623
; %bb.603:
	s_movk_i32 s6, 0x80
	v_cmp_ne_u16_e32 vcc, s6, v1
	s_and_b64 s[6:7], vcc, exec
	s_andn2_saveexec_b64 s[2:3], s[2:3]
	s_cbranch_execnz .LBB39_624
.LBB39_604:
	s_or_b64 exec, exec, s[2:3]
	v_mov_b64_e32 v[2:3], 0
	s_and_saveexec_b64 s[2:3], s[6:7]
	s_cbranch_execz .LBB39_606
.LBB39_605:
	v_lshlrev_b32_e32 v2, 24, v1
	v_and_b32_e32 v1, 0xffff, v1
	v_and_b32_e32 v3, 3, v1
	v_ffbh_u32_e32 v7, v3
	v_min_u32_e32 v7, 32, v7
	v_subrev_u32_e32 v8, 29, v7
	v_bfe_u32 v6, v1, 2, 5
	v_lshlrev_b32_e32 v1, v8, v1
	v_sub_u32_e32 v7, 30, v7
	v_and_b32_e32 v1, 3, v1
	v_cmp_eq_u32_e32 vcc, 0, v6
	v_and_b32_e32 v2, 0x80000000, v2
	s_mov_b32 s6, 0x2f800000
	v_cndmask_b32_e32 v6, v6, v7, vcc
	v_cndmask_b32_e32 v1, v3, v1, vcc
	v_mov_b32_e32 v3, 0x37800000
	v_lshlrev_b32_e32 v1, 21, v1
	v_lshl_add_u32 v3, v6, 23, v3
	v_or3_b32 v1, v2, v3, v1
	v_trunc_f32_e32 v1, v1
	v_mul_f32_e64 v2, |v1|, s6
	v_floor_f32_e32 v2, v2
	s_mov_b32 s6, 0xcf800000
	v_fma_f32 v3, v2, s6, |v1|
	v_cvt_u32_f32_e32 v2, v2
	v_cvt_u32_f32_e32 v3, v3
	v_ashrrev_i32_e32 v1, 31, v1
	v_xor_b32_e32 v6, v2, v1
	v_xor_b32_e32 v2, v3, v1
	v_sub_co_u32_e32 v2, vcc, v2, v1
	s_nop 1
	v_subb_co_u32_e32 v3, vcc, v6, v1, vcc
.LBB39_606:
	s_or_b64 exec, exec, s[2:3]
	s_mov_b64 s[2:3], 0
	s_branch .LBB39_612
.LBB39_607:
	s_mov_b64 s[6:7], -1
                                        ; implicit-def: $vgpr2_vgpr3
	s_branch .LBB39_618
.LBB39_608:
	s_andn2_saveexec_b64 s[2:3], s[2:3]
	s_cbranch_execz .LBB39_593
.LBB39_609:
	v_cmp_ne_u16_e32 vcc, 0, v1
	s_andn2_b64 s[6:7], s[6:7], exec
	s_and_b64 s[10:11], vcc, exec
	s_or_b64 s[6:7], s[6:7], s[10:11]
	s_or_b64 exec, exec, s[2:3]
	v_mov_b64_e32 v[2:3], 0
	s_and_saveexec_b64 s[2:3], s[6:7]
	s_cbranch_execnz .LBB39_594
	s_branch .LBB39_595
.LBB39_610:
	s_mov_b64 s[2:3], -1
                                        ; implicit-def: $vgpr2_vgpr3
	s_branch .LBB39_615
.LBB39_611:
	s_mov_b64 s[2:3], -1
                                        ; implicit-def: $vgpr2_vgpr3
.LBB39_612:
	s_and_b64 vcc, exec, s[2:3]
	s_cbranch_vccz .LBB39_614
; %bb.613:
	global_load_ubyte v1, v[4:5], off
	s_mov_b32 s2, 0x7f800000
	s_brev_b32 s3, 1
	s_mov_b32 s6, 0x2f800000
	s_mov_b32 s7, 0xcf800000
	s_waitcnt vmcnt(0)
	v_lshlrev_b32_e32 v1, 24, v1
	v_and_b32_e32 v2, 0x7f000000, v1
	v_ffbh_u32_e32 v3, v2
	v_min_u32_e32 v3, 32, v3
	v_sub_u32_e64 v3, v3, 4 clamp
	v_lshlrev_b32_e32 v7, v3, v2
	v_lshlrev_b32_e32 v3, 23, v3
	v_lshrrev_b32_e32 v7, 4, v7
	v_add_u32_e32 v6, 0x1000000, v2
	v_sub_u32_e32 v3, v7, v3
	v_ashrrev_i32_e32 v6, 8, v6
	v_add_u32_e32 v3, 0x3c000000, v3
	v_and_or_b32 v3, v6, s2, v3
	v_cmp_ne_u32_e32 vcc, 0, v2
	s_nop 1
	v_cndmask_b32_e32 v2, 0, v3, vcc
	v_and_or_b32 v1, v1, s3, v2
	v_trunc_f32_e32 v1, v1
	v_mul_f32_e64 v2, |v1|, s6
	v_floor_f32_e32 v2, v2
	v_fma_f32 v3, v2, s7, |v1|
	v_cvt_u32_f32_e32 v2, v2
	v_cvt_u32_f32_e32 v3, v3
	v_ashrrev_i32_e32 v1, 31, v1
	v_xor_b32_e32 v6, v2, v1
	v_xor_b32_e32 v2, v3, v1
	v_sub_co_u32_e32 v2, vcc, v2, v1
	s_nop 1
	v_subb_co_u32_e32 v3, vcc, v6, v1, vcc
.LBB39_614:
	s_mov_b64 s[2:3], 0
.LBB39_615:
	s_andn2_b64 vcc, exec, s[2:3]
	s_cbranch_vccnz .LBB39_617
; %bb.616:
	global_load_ubyte v1, v[4:5], off
	s_movk_i32 s2, 0x7f00
	s_brev_b32 s3, 16
	s_brev_b32 s6, 1
	s_mov_b32 s7, 0x2f800000
	s_mov_b32 s9, 0xcf800000
	s_waitcnt vmcnt(0)
	v_lshlrev_b16_e32 v2, 8, v1
	v_lshlrev_b32_e32 v1, 25, v1
	v_lshrrev_b32_e32 v3, 4, v1
	v_and_or_b32 v6, v2, s2, 0.5
	v_or_b32_e32 v3, 0x70000000, v3
	v_add_f32_e32 v6, -0.5, v6
	v_mul_f32_e32 v3, 0x7800000, v3
	v_cmp_gt_u32_e32 vcc, s3, v1
	v_bfe_i32 v2, v2, 0, 16
	s_nop 0
	v_cndmask_b32_e32 v1, v3, v6, vcc
	v_and_or_b32 v1, v2, s6, v1
	v_trunc_f32_e32 v1, v1
	v_mul_f32_e64 v2, |v1|, s7
	v_floor_f32_e32 v2, v2
	v_fma_f32 v3, v2, s9, |v1|
	v_cvt_u32_f32_e32 v2, v2
	v_cvt_u32_f32_e32 v3, v3
	v_ashrrev_i32_e32 v1, 31, v1
	v_xor_b32_e32 v6, v2, v1
	v_xor_b32_e32 v2, v3, v1
	v_sub_co_u32_e32 v2, vcc, v2, v1
	s_nop 1
	v_subb_co_u32_e32 v3, vcc, v6, v1, vcc
.LBB39_617:
	s_mov_b64 s[6:7], 0
	s_mov_b64 s[2:3], -1
.LBB39_618:
	s_andn2_b64 vcc, exec, s[6:7]
	s_cbranch_vccnz .LBB39_631
; %bb.619:
	s_cmp_gt_i32 s8, 14
	s_cbranch_scc0 .LBB39_622
; %bb.620:
	s_cmp_eq_u32 s8, 15
	s_cbranch_scc0 .LBB39_625
; %bb.621:
	global_load_ushort v1, v[4:5], off
	s_mov_b32 s2, 0x2f800000
	s_mov_b32 s3, 0xcf800000
	s_mov_b64 s[4:5], 0
	s_waitcnt vmcnt(0)
	v_lshlrev_b32_e32 v1, 16, v1
	v_trunc_f32_e32 v1, v1
	v_mul_f32_e64 v2, |v1|, s2
	v_floor_f32_e32 v2, v2
	v_fma_f32 v3, v2, s3, |v1|
	v_cvt_u32_f32_e32 v2, v2
	v_cvt_u32_f32_e32 v3, v3
	v_ashrrev_i32_e32 v1, 31, v1
	s_mov_b64 s[2:3], -1
	v_xor_b32_e32 v6, v2, v1
	v_xor_b32_e32 v2, v3, v1
	v_sub_co_u32_e32 v2, vcc, v2, v1
	s_nop 1
	v_subb_co_u32_e32 v3, vcc, v6, v1, vcc
	s_branch .LBB39_626
.LBB39_622:
	s_mov_b64 s[6:7], -1
                                        ; implicit-def: $vgpr2_vgpr3
	s_branch .LBB39_627
.LBB39_623:
	s_andn2_saveexec_b64 s[2:3], s[2:3]
	s_cbranch_execz .LBB39_604
.LBB39_624:
	v_cmp_ne_u16_e32 vcc, 0, v1
	s_andn2_b64 s[6:7], s[6:7], exec
	s_and_b64 s[10:11], vcc, exec
	s_or_b64 s[6:7], s[6:7], s[10:11]
	s_or_b64 exec, exec, s[2:3]
	v_mov_b64_e32 v[2:3], 0
	s_and_saveexec_b64 s[2:3], s[6:7]
	s_cbranch_execnz .LBB39_605
	s_branch .LBB39_606
.LBB39_625:
	s_mov_b64 s[4:5], -1
                                        ; implicit-def: $vgpr2_vgpr3
.LBB39_626:
	s_mov_b64 s[6:7], 0
.LBB39_627:
	s_and_b64 vcc, exec, s[6:7]
	s_cbranch_vccz .LBB39_631
; %bb.628:
	s_cmp_eq_u32 s8, 11
	s_cbranch_scc0 .LBB39_630
; %bb.629:
	global_load_ubyte v1, v[4:5], off
	s_mov_b32 s4, 0
	s_mov_b64 s[2:3], -1
	s_waitcnt vmcnt(1)
	v_mov_b32_e32 v3, s4
	s_mov_b64 s[4:5], 0
	s_waitcnt vmcnt(0)
	v_cmp_ne_u16_e32 vcc, 0, v1
	s_nop 1
	v_cndmask_b32_e64 v2, 0, 1, vcc
	s_branch .LBB39_631
.LBB39_630:
	s_mov_b64 s[4:5], -1
                                        ; implicit-def: $vgpr2_vgpr3
.LBB39_631:
	s_mov_b64 s[6:7], 0
.LBB39_632:
	s_and_b64 vcc, exec, s[6:7]
	s_cbranch_vccz .LBB39_681
; %bb.633:
	s_cmp_lt_i32 s8, 5
	s_cbranch_scc1 .LBB39_638
; %bb.634:
	s_cmp_lt_i32 s8, 8
	s_cbranch_scc1 .LBB39_639
	;; [unrolled: 3-line block ×3, first 2 shown]
; %bb.636:
	s_cmp_gt_i32 s8, 9
	s_cbranch_scc0 .LBB39_641
; %bb.637:
	global_load_dwordx2 v[2:3], v[4:5], off
	s_movk_i32 s2, 0xffe0
	s_waitcnt vmcnt(0)
	v_trunc_f64_e32 v[6:7], v[2:3]
	v_ldexp_f64 v[2:3], v[6:7], s2
	v_floor_f64_e32 v[8:9], v[2:3]
	v_fmac_f64_e32 v[6:7], 0xc1f00000, v[8:9]
	v_cvt_i32_f64_e32 v3, v[8:9]
	v_cvt_u32_f64_e32 v2, v[6:7]
	s_mov_b64 s[2:3], 0
	s_branch .LBB39_642
.LBB39_638:
	s_mov_b64 s[2:3], -1
                                        ; implicit-def: $vgpr2_vgpr3
	s_branch .LBB39_660
.LBB39_639:
	s_mov_b64 s[2:3], -1
                                        ; implicit-def: $vgpr2_vgpr3
	s_branch .LBB39_648
.LBB39_640:
	s_mov_b64 s[2:3], -1
                                        ; implicit-def: $vgpr2_vgpr3
	s_branch .LBB39_645
.LBB39_641:
	s_mov_b64 s[2:3], -1
                                        ; implicit-def: $vgpr2_vgpr3
.LBB39_642:
	s_andn2_b64 vcc, exec, s[2:3]
	s_cbranch_vccnz .LBB39_644
; %bb.643:
	global_load_dword v1, v[4:5], off
	s_mov_b32 s2, 0x2f800000
	s_mov_b32 s3, 0xcf800000
	s_waitcnt vmcnt(0)
	v_trunc_f32_e32 v1, v1
	v_mul_f32_e64 v2, |v1|, s2
	v_floor_f32_e32 v2, v2
	v_cvt_u32_f32_e32 v3, v2
	v_fma_f32 v2, v2, s3, |v1|
	v_cvt_u32_f32_e32 v2, v2
	v_ashrrev_i32_e32 v1, 31, v1
	v_xor_b32_e32 v3, v3, v1
	v_xor_b32_e32 v2, v2, v1
	v_sub_co_u32_e32 v2, vcc, v2, v1
	s_nop 1
	v_subb_co_u32_e32 v3, vcc, v3, v1, vcc
.LBB39_644:
	s_mov_b64 s[2:3], 0
.LBB39_645:
	s_andn2_b64 vcc, exec, s[2:3]
	s_cbranch_vccnz .LBB39_647
; %bb.646:
	global_load_dword v1, v[4:5], off
	s_waitcnt vmcnt(0)
	v_cvt_f32_f16_e32 v1, v1
	v_cvt_i32_f32_e32 v2, v1
	v_ashrrev_i32_e32 v3, 31, v2
.LBB39_647:
	s_mov_b64 s[2:3], 0
.LBB39_648:
	s_andn2_b64 vcc, exec, s[2:3]
	s_cbranch_vccnz .LBB39_659
; %bb.649:
	s_cmp_lt_i32 s8, 6
	s_cbranch_scc1 .LBB39_652
; %bb.650:
	s_cmp_gt_i32 s8, 6
	s_cbranch_scc0 .LBB39_653
; %bb.651:
	global_load_dwordx2 v[2:3], v[4:5], off
	s_movk_i32 s2, 0xffe0
	s_waitcnt vmcnt(0)
	v_trunc_f64_e32 v[6:7], v[2:3]
	v_ldexp_f64 v[2:3], v[6:7], s2
	v_floor_f64_e32 v[8:9], v[2:3]
	v_fmac_f64_e32 v[6:7], 0xc1f00000, v[8:9]
	v_cvt_i32_f64_e32 v3, v[8:9]
	v_cvt_u32_f64_e32 v2, v[6:7]
	s_mov_b64 s[2:3], 0
	s_branch .LBB39_654
.LBB39_652:
	s_mov_b64 s[2:3], -1
                                        ; implicit-def: $vgpr2_vgpr3
	s_branch .LBB39_657
.LBB39_653:
	s_mov_b64 s[2:3], -1
                                        ; implicit-def: $vgpr2_vgpr3
.LBB39_654:
	s_andn2_b64 vcc, exec, s[2:3]
	s_cbranch_vccnz .LBB39_656
; %bb.655:
	global_load_dword v1, v[4:5], off
	s_mov_b32 s2, 0x2f800000
	s_mov_b32 s3, 0xcf800000
	s_waitcnt vmcnt(0)
	v_trunc_f32_e32 v1, v1
	v_mul_f32_e64 v2, |v1|, s2
	v_floor_f32_e32 v2, v2
	v_cvt_u32_f32_e32 v3, v2
	v_fma_f32 v2, v2, s3, |v1|
	v_cvt_u32_f32_e32 v2, v2
	v_ashrrev_i32_e32 v1, 31, v1
	v_xor_b32_e32 v3, v3, v1
	v_xor_b32_e32 v2, v2, v1
	v_sub_co_u32_e32 v2, vcc, v2, v1
	s_nop 1
	v_subb_co_u32_e32 v3, vcc, v3, v1, vcc
.LBB39_656:
	s_mov_b64 s[2:3], 0
.LBB39_657:
	s_andn2_b64 vcc, exec, s[2:3]
	s_cbranch_vccnz .LBB39_659
; %bb.658:
	global_load_ushort v1, v[4:5], off
	s_waitcnt vmcnt(0)
	v_cvt_f32_f16_e32 v1, v1
	v_cvt_i32_f32_e32 v2, v1
	v_ashrrev_i32_e32 v3, 31, v2
.LBB39_659:
	s_mov_b64 s[2:3], 0
.LBB39_660:
	s_andn2_b64 vcc, exec, s[2:3]
	s_cbranch_vccnz .LBB39_680
; %bb.661:
	s_cmp_lt_i32 s8, 2
	s_cbranch_scc1 .LBB39_665
; %bb.662:
	s_cmp_lt_i32 s8, 3
	s_cbranch_scc1 .LBB39_666
; %bb.663:
	s_cmp_gt_i32 s8, 3
	s_cbranch_scc0 .LBB39_667
; %bb.664:
	global_load_dwordx2 v[2:3], v[4:5], off
	s_mov_b64 s[2:3], 0
	s_branch .LBB39_668
.LBB39_665:
	s_mov_b64 s[2:3], -1
                                        ; implicit-def: $vgpr2_vgpr3
	s_branch .LBB39_674
.LBB39_666:
	s_mov_b64 s[2:3], -1
                                        ; implicit-def: $vgpr2_vgpr3
	s_branch .LBB39_671
.LBB39_667:
	s_mov_b64 s[2:3], -1
                                        ; implicit-def: $vgpr2_vgpr3
.LBB39_668:
	s_andn2_b64 vcc, exec, s[2:3]
	s_cbranch_vccnz .LBB39_670
; %bb.669:
	global_load_dword v2, v[4:5], off
	s_waitcnt vmcnt(0)
	v_ashrrev_i32_e32 v3, 31, v2
.LBB39_670:
	s_mov_b64 s[2:3], 0
.LBB39_671:
	s_andn2_b64 vcc, exec, s[2:3]
	s_cbranch_vccnz .LBB39_673
; %bb.672:
	global_load_ushort v1, v[4:5], off
	s_waitcnt vmcnt(0)
	v_bfe_i32 v2, v1, 0, 16
	v_ashrrev_i32_e32 v3, 31, v2
.LBB39_673:
	s_mov_b64 s[2:3], 0
.LBB39_674:
	s_andn2_b64 vcc, exec, s[2:3]
	s_cbranch_vccnz .LBB39_680
; %bb.675:
	s_cmp_gt_i32 s8, 0
	s_cbranch_scc0 .LBB39_677
; %bb.676:
	global_load_sbyte v1, v[4:5], off
	s_mov_b64 s[2:3], 0
	s_waitcnt vmcnt(0)
	v_bfe_i32 v2, v1, 0, 16
	v_ashrrev_i32_e32 v3, 31, v2
	s_branch .LBB39_678
.LBB39_677:
	s_mov_b64 s[2:3], -1
                                        ; implicit-def: $vgpr2_vgpr3
.LBB39_678:
	s_andn2_b64 vcc, exec, s[2:3]
	s_cbranch_vccnz .LBB39_680
; %bb.679:
	global_load_ubyte v1, v[4:5], off
	s_mov_b32 s2, 0
	s_waitcnt vmcnt(1)
	v_mov_b32_e32 v3, s2
	s_waitcnt vmcnt(0)
	v_and_b32_e32 v2, 0xffff, v1
.LBB39_680:
	s_mov_b64 s[2:3], -1
.LBB39_681:
	s_andn2_b64 vcc, exec, s[2:3]
	s_cbranch_vccnz .LBB39_689
; %bb.682:
	v_mov_b32_e32 v1, 0
	s_and_b32 s12, s73, 0xff
	s_waitcnt vmcnt(0)
	v_not_b32_e32 v5, v3
	v_not_b32_e32 v4, v2
	s_cmp_lt_i32 s12, 11
	v_lshl_add_u64 v[0:1], s[20:21], 0, v[0:1]
	s_cbranch_scc1 .LBB39_690
; %bb.683:
	s_and_b32 s13, 0xffff, s12
	s_cmp_gt_i32 s13, 25
	s_cbranch_scc0 .LBB39_691
; %bb.684:
	s_cmp_gt_i32 s13, 28
	s_cbranch_scc0 .LBB39_692
; %bb.685:
	;; [unrolled: 3-line block ×4, first 2 shown]
	s_mov_b64 s[8:9], 0
	s_mov_b64 s[2:3], -1
	s_cmp_eq_u32 s13, 46
	s_mov_b64 s[6:7], 0
	s_cbranch_scc0 .LBB39_695
; %bb.688:
	v_xor_b32_e32 v7, v4, v5
	v_ffbh_i32_e32 v6, v5
	v_ashrrev_i32_e32 v7, 31, v7
	v_add_u32_e32 v6, -1, v6
	v_add_u32_e32 v7, 32, v7
	v_min_u32_e32 v8, v6, v7
	v_lshlrev_b64 v[6:7], v8, v[4:5]
	v_min_u32_e32 v6, 1, v6
	v_or_b32_e32 v6, v7, v6
	v_cvt_f32_i32_e32 v6, v6
	v_sub_u32_e32 v7, 32, v8
	s_movk_i32 s2, 0x7fff
	s_mov_b64 s[6:7], -1
	v_ldexp_f32 v6, v6, v7
	v_bfe_u32 v7, v6, 16, 1
	v_add3_u32 v6, v6, v7, s2
	v_lshrrev_b32_e32 v6, 16, v6
	global_store_dword v[0:1], v6, off
	s_mov_b64 s[2:3], 0
	s_branch .LBB39_695
.LBB39_689:
	s_mov_b64 s[6:7], 0
	s_mov_b64 s[2:3], s[62:63]
	s_branch .LBB39_806
.LBB39_690:
	s_mov_b64 s[8:9], -1
	s_mov_b64 s[6:7], 0
	s_mov_b64 s[2:3], s[62:63]
	s_branch .LBB39_764
.LBB39_691:
	s_mov_b64 s[8:9], -1
	s_mov_b64 s[6:7], 0
	s_mov_b64 s[2:3], s[62:63]
	s_branch .LBB39_722
.LBB39_692:
	s_mov_b64 s[8:9], -1
	s_mov_b64 s[6:7], 0
	s_mov_b64 s[2:3], s[62:63]
	s_branch .LBB39_705
.LBB39_693:
	s_mov_b64 s[8:9], -1
	s_mov_b64 s[6:7], 0
	s_mov_b64 s[2:3], s[62:63]
	s_branch .LBB39_701
.LBB39_694:
	s_mov_b64 s[8:9], -1
	s_mov_b64 s[6:7], 0
	s_mov_b64 s[2:3], s[62:63]
.LBB39_695:
	s_and_b64 vcc, exec, s[8:9]
	s_cbranch_vccz .LBB39_700
; %bb.696:
	s_cmp_eq_u32 s13, 44
	s_mov_b64 s[2:3], -1
	s_cbranch_scc0 .LBB39_700
; %bb.697:
	v_xor_b32_e32 v7, v4, v5
	v_ffbh_i32_e32 v6, v5
	v_ashrrev_i32_e32 v7, 31, v7
	v_add_u32_e32 v6, -1, v6
	v_add_u32_e32 v7, 32, v7
	v_min_u32_e32 v8, v6, v7
	v_lshlrev_b64 v[6:7], v8, v[4:5]
	v_min_u32_e32 v6, 1, v6
	v_or_b32_e32 v6, v7, v6
	v_cvt_f32_i32_e32 v6, v6
	v_sub_u32_e32 v7, 32, v8
	s_movk_i32 s2, 0xff
	v_mov_b32_e32 v8, 0xff
	v_ldexp_f32 v6, v6, v7
	v_bfe_u32 v7, v6, 23, 8
	v_cmp_ne_u32_e32 vcc, s2, v7
	s_and_saveexec_b64 s[6:7], vcc
; %bb.698:
	s_mov_b32 s2, 0x3fffff
	v_lshrrev_b32_e32 v8, 23, v6
	v_and_b32_e32 v9, 0x400000, v6
	v_and_or_b32 v6, v6, s2, v7
	v_cmp_ne_u32_e32 vcc, 0, v9
	v_cmp_ne_u32_e64 s[2:3], 0, v6
	s_and_b64 s[2:3], vcc, s[2:3]
	s_nop 0
	v_cndmask_b32_e64 v6, 0, 1, s[2:3]
	v_add_u32_e32 v8, v8, v6
; %bb.699:
	s_or_b64 exec, exec, s[6:7]
	s_mov_b64 s[6:7], -1
	s_mov_b64 s[2:3], 0
	global_store_byte v[0:1], v8, off
.LBB39_700:
	s_mov_b64 s[8:9], 0
.LBB39_701:
	s_and_b64 vcc, exec, s[8:9]
	s_cbranch_vccz .LBB39_704
; %bb.702:
	s_cmp_eq_u32 s13, 29
	s_mov_b64 s[2:3], -1
	s_cbranch_scc0 .LBB39_704
; %bb.703:
	global_store_dwordx2 v[0:1], v[4:5], off
	s_mov_b64 s[6:7], -1
	s_mov_b64 s[2:3], 0
.LBB39_704:
	s_mov_b64 s[8:9], 0
.LBB39_705:
	s_and_b64 vcc, exec, s[8:9]
	s_cbranch_vccz .LBB39_721
; %bb.706:
	s_cmp_lt_i32 s13, 27
	s_mov_b64 s[6:7], -1
	s_cbranch_scc1 .LBB39_712
; %bb.707:
	s_cmp_gt_i32 s13, 27
	s_cbranch_scc0 .LBB39_709
; %bb.708:
	s_mov_b64 s[6:7], 0
	global_store_dword v[0:1], v4, off
.LBB39_709:
	s_andn2_b64 vcc, exec, s[6:7]
	s_cbranch_vccnz .LBB39_711
; %bb.710:
	global_store_short v[0:1], v4, off
.LBB39_711:
	s_mov_b64 s[6:7], 0
.LBB39_712:
	s_andn2_b64 vcc, exec, s[6:7]
	s_cbranch_vccnz .LBB39_720
; %bb.713:
	v_xor_b32_e32 v7, v4, v5
	v_ffbh_i32_e32 v6, v5
	v_ashrrev_i32_e32 v7, 31, v7
	v_add_u32_e32 v6, -1, v6
	v_add_u32_e32 v7, 32, v7
	v_min_u32_e32 v8, v6, v7
	v_lshlrev_b64 v[6:7], v8, v[4:5]
	v_min_u32_e32 v6, 1, v6
	v_or_b32_e32 v6, v7, v6
	v_cvt_f32_i32_e32 v6, v6
	v_sub_u32_e32 v7, 32, v8
	s_mov_b32 s6, 0x43800000
	v_mov_b32_e32 v8, 0x80
	v_ldexp_f32 v6, v6, v7
	v_and_b32_e32 v7, 0x7fffffff, v6
	v_cmp_gt_u32_e32 vcc, s6, v7
	s_and_saveexec_b64 s[6:7], vcc
	s_cbranch_execz .LBB39_719
; %bb.714:
	s_mov_b32 s8, 0x3bffffff
	v_cmp_lt_u32_e32 vcc, s8, v7
	s_mov_b64 s[8:9], 0
                                        ; implicit-def: $vgpr7
	s_and_saveexec_b64 s[10:11], vcc
	s_xor_b64 s[10:11], exec, s[10:11]
	s_cbranch_execz .LBB39_837
; %bb.715:
	v_bfe_u32 v7, v6, 20, 1
	s_mov_b32 s14, 0x487ffff
	v_add3_u32 v7, v6, v7, s14
	s_mov_b64 s[8:9], exec
	v_lshrrev_b32_e32 v7, 20, v7
	s_andn2_saveexec_b64 s[10:11], s[10:11]
	s_cbranch_execnz .LBB39_838
.LBB39_716:
	s_or_b64 exec, exec, s[10:11]
	v_mov_b32_e32 v8, 0
	s_and_saveexec_b64 s[10:11], s[8:9]
.LBB39_717:
	v_lshrrev_b32_e32 v6, 24, v6
	s_movk_i32 s8, 0x80
	v_and_or_b32 v8, v6, s8, v7
.LBB39_718:
	s_or_b64 exec, exec, s[10:11]
.LBB39_719:
	s_or_b64 exec, exec, s[6:7]
	global_store_byte v[0:1], v8, off
.LBB39_720:
	s_mov_b64 s[6:7], -1
.LBB39_721:
	s_mov_b64 s[8:9], 0
.LBB39_722:
	s_and_b64 vcc, exec, s[8:9]
	s_cbranch_vccz .LBB39_763
; %bb.723:
	s_cmp_gt_i32 s13, 22
	s_mov_b64 s[8:9], -1
	s_cbranch_scc0 .LBB39_755
; %bb.724:
	s_cmp_lt_i32 s13, 24
	s_mov_b64 s[6:7], -1
	s_cbranch_scc1 .LBB39_744
; %bb.725:
	s_cmp_gt_i32 s13, 24
	s_cbranch_scc0 .LBB39_733
; %bb.726:
	v_xor_b32_e32 v7, v4, v5
	v_ffbh_i32_e32 v6, v5
	v_ashrrev_i32_e32 v7, 31, v7
	v_add_u32_e32 v6, -1, v6
	v_add_u32_e32 v7, 32, v7
	v_min_u32_e32 v8, v6, v7
	v_lshlrev_b64 v[6:7], v8, v[4:5]
	v_min_u32_e32 v6, 1, v6
	v_or_b32_e32 v6, v7, v6
	v_cvt_f32_i32_e32 v6, v6
	v_sub_u32_e32 v7, 32, v8
	s_mov_b32 s6, 0x47800000
	v_mov_b32_e32 v8, 0x80
	v_ldexp_f32 v6, v6, v7
	v_and_b32_e32 v7, 0x7fffffff, v6
	v_cmp_gt_u32_e32 vcc, s6, v7
	s_and_saveexec_b64 s[6:7], vcc
	s_cbranch_execz .LBB39_732
; %bb.727:
	s_mov_b32 s8, 0x37ffffff
	v_cmp_lt_u32_e32 vcc, s8, v7
	s_mov_b64 s[8:9], 0
                                        ; implicit-def: $vgpr7
	s_and_saveexec_b64 s[10:11], vcc
	s_xor_b64 s[10:11], exec, s[10:11]
	s_cbranch_execz .LBB39_840
; %bb.728:
	v_bfe_u32 v7, v6, 21, 1
	s_mov_b32 s14, 0x88fffff
	v_add3_u32 v7, v6, v7, s14
	s_mov_b64 s[8:9], exec
	v_lshrrev_b32_e32 v7, 21, v7
	s_andn2_saveexec_b64 s[10:11], s[10:11]
	s_cbranch_execnz .LBB39_841
.LBB39_729:
	s_or_b64 exec, exec, s[10:11]
	v_mov_b32_e32 v8, 0
	s_and_saveexec_b64 s[10:11], s[8:9]
.LBB39_730:
	v_lshrrev_b32_e32 v6, 24, v6
	s_movk_i32 s8, 0x80
	v_and_or_b32 v8, v6, s8, v7
.LBB39_731:
	s_or_b64 exec, exec, s[10:11]
.LBB39_732:
	s_or_b64 exec, exec, s[6:7]
	s_mov_b64 s[6:7], 0
	global_store_byte v[0:1], v8, off
.LBB39_733:
	s_and_b64 vcc, exec, s[6:7]
	s_cbranch_vccz .LBB39_743
; %bb.734:
	v_xor_b32_e32 v7, v4, v5
	v_ffbh_i32_e32 v6, v5
	v_ashrrev_i32_e32 v7, 31, v7
	v_add_u32_e32 v6, -1, v6
	v_add_u32_e32 v7, 32, v7
	v_min_u32_e32 v8, v6, v7
	v_lshlrev_b64 v[6:7], v8, v[4:5]
	v_min_u32_e32 v6, 1, v6
	v_or_b32_e32 v6, v7, v6
	v_cvt_f32_i32_e32 v6, v6
	v_sub_u32_e32 v7, 32, v8
	s_mov_b32 s6, 0x43f00000
	v_ldexp_f32 v6, v6, v7
	v_and_b32_e32 v8, 0x7fffffff, v6
	v_cmp_gt_u32_e32 vcc, s6, v8
                                        ; implicit-def: $vgpr7
	s_and_saveexec_b64 s[6:7], vcc
	s_xor_b64 s[6:7], exec, s[6:7]
	s_cbranch_execz .LBB39_740
; %bb.735:
	s_mov_b32 s8, 0x3c7fffff
	v_cmp_lt_u32_e32 vcc, s8, v8
                                        ; implicit-def: $vgpr7
	s_and_saveexec_b64 s[8:9], vcc
	s_xor_b64 s[8:9], exec, s[8:9]
; %bb.736:
	v_bfe_u32 v7, v6, 20, 1
	s_mov_b32 s10, 0x407ffff
	v_add3_u32 v7, v6, v7, s10
	v_lshrrev_b32_e32 v8, 20, v7
	v_and_b32_e32 v7, 0xff00000, v7
	s_mov_b32 s10, 0x7f00000
	v_mov_b32_e32 v9, 0x7e
	v_cmp_ne_u32_e32 vcc, s10, v7
	s_nop 1
	v_cndmask_b32_e32 v7, v9, v8, vcc
; %bb.737:
	s_andn2_saveexec_b64 s[8:9], s[8:9]
; %bb.738:
	s_mov_b32 s10, 0x46800000
	v_add_f32_e64 v7, |v6|, s10
; %bb.739:
	s_or_b64 exec, exec, s[8:9]
                                        ; implicit-def: $vgpr8
.LBB39_740:
	s_andn2_saveexec_b64 s[6:7], s[6:7]
; %bb.741:
	s_mov_b32 s8, 0x7f800000
	v_mov_b32_e32 v7, 0x7e
	v_mov_b32_e32 v9, 0x7f
	v_cmp_lt_u32_e32 vcc, s8, v8
	s_nop 1
	v_cndmask_b32_e32 v7, v7, v9, vcc
; %bb.742:
	s_or_b64 exec, exec, s[6:7]
	v_lshrrev_b32_e32 v6, 24, v6
	s_movk_i32 s6, 0x80
	v_and_or_b32 v6, v6, s6, v7
	global_store_byte v[0:1], v6, off
.LBB39_743:
	s_mov_b64 s[6:7], 0
.LBB39_744:
	s_andn2_b64 vcc, exec, s[6:7]
	s_cbranch_vccnz .LBB39_754
; %bb.745:
	v_xor_b32_e32 v7, v4, v5
	v_ffbh_i32_e32 v6, v5
	v_ashrrev_i32_e32 v7, 31, v7
	v_add_u32_e32 v6, -1, v6
	v_add_u32_e32 v7, 32, v7
	v_min_u32_e32 v8, v6, v7
	v_lshlrev_b64 v[6:7], v8, v[4:5]
	v_min_u32_e32 v6, 1, v6
	v_or_b32_e32 v6, v7, v6
	v_cvt_f32_i32_e32 v6, v6
	v_sub_u32_e32 v7, 32, v8
	s_mov_b32 s6, 0x47800000
	v_ldexp_f32 v6, v6, v7
	v_and_b32_e32 v8, 0x7fffffff, v6
	v_cmp_gt_u32_e32 vcc, s6, v8
                                        ; implicit-def: $vgpr7
	s_and_saveexec_b64 s[6:7], vcc
	s_xor_b64 s[6:7], exec, s[6:7]
	s_cbranch_execz .LBB39_751
; %bb.746:
	s_mov_b32 s8, 0x387fffff
	v_cmp_lt_u32_e32 vcc, s8, v8
                                        ; implicit-def: $vgpr7
	s_and_saveexec_b64 s[8:9], vcc
	s_xor_b64 s[8:9], exec, s[8:9]
; %bb.747:
	v_bfe_u32 v7, v6, 21, 1
	s_mov_b32 s10, 0x80fffff
	v_add3_u32 v7, v6, v7, s10
	v_lshrrev_b32_e32 v7, 21, v7
; %bb.748:
	s_andn2_saveexec_b64 s[8:9], s[8:9]
; %bb.749:
	s_mov_b32 s10, 0x43000000
	v_add_f32_e64 v7, |v6|, s10
; %bb.750:
	s_or_b64 exec, exec, s[8:9]
                                        ; implicit-def: $vgpr8
.LBB39_751:
	s_andn2_saveexec_b64 s[6:7], s[6:7]
; %bb.752:
	s_mov_b32 s8, 0x7f800000
	v_mov_b32_e32 v7, 0x7c
	v_mov_b32_e32 v9, 0x7f
	v_cmp_lt_u32_e32 vcc, s8, v8
	s_nop 1
	v_cndmask_b32_e32 v7, v7, v9, vcc
; %bb.753:
	s_or_b64 exec, exec, s[6:7]
	v_lshrrev_b32_e32 v6, 24, v6
	s_movk_i32 s6, 0x80
	v_and_or_b32 v6, v6, s6, v7
	global_store_byte v[0:1], v6, off
.LBB39_754:
	s_mov_b64 s[8:9], 0
	s_mov_b64 s[6:7], -1
.LBB39_755:
	s_andn2_b64 vcc, exec, s[8:9]
	s_cbranch_vccnz .LBB39_763
; %bb.756:
	s_cmp_gt_i32 s13, 14
	s_mov_b64 s[8:9], -1
	s_cbranch_scc0 .LBB39_760
; %bb.757:
	s_cmp_eq_u32 s13, 15
	s_mov_b64 s[2:3], -1
	s_cbranch_scc0 .LBB39_759
; %bb.758:
	v_xor_b32_e32 v7, v4, v5
	v_ffbh_i32_e32 v6, v5
	v_ashrrev_i32_e32 v7, 31, v7
	v_add_u32_e32 v6, -1, v6
	v_add_u32_e32 v7, 32, v7
	v_min_u32_e32 v8, v6, v7
	v_lshlrev_b64 v[6:7], v8, v[4:5]
	v_min_u32_e32 v6, 1, v6
	v_or_b32_e32 v6, v7, v6
	v_cvt_f32_i32_e32 v6, v6
	v_sub_u32_e32 v7, 32, v8
	s_movk_i32 s2, 0x7fff
	s_mov_b64 s[6:7], -1
	v_ldexp_f32 v6, v6, v7
	v_bfe_u32 v7, v6, 16, 1
	v_add3_u32 v6, v6, v7, s2
	global_store_short_d16_hi v[0:1], v6, off
	s_mov_b64 s[2:3], 0
.LBB39_759:
	s_mov_b64 s[8:9], 0
.LBB39_760:
	s_and_b64 vcc, exec, s[8:9]
	s_cbranch_vccz .LBB39_763
; %bb.761:
	s_cmp_eq_u32 s13, 11
	s_mov_b64 s[2:3], -1
	s_cbranch_scc0 .LBB39_763
; %bb.762:
	v_cmp_ne_u64_e32 vcc, -1, v[2:3]
	s_mov_b64 s[6:7], -1
	s_mov_b64 s[2:3], 0
	v_cndmask_b32_e64 v2, 0, 1, vcc
	global_store_byte v[0:1], v2, off
.LBB39_763:
	s_mov_b64 s[8:9], 0
.LBB39_764:
	s_and_b64 vcc, exec, s[8:9]
	s_cbranch_vccz .LBB39_803
; %bb.765:
	s_and_b32 s8, 0xffff, s12
	s_cmp_lt_i32 s8, 5
	s_mov_b64 s[6:7], -1
	s_cbranch_scc1 .LBB39_786
; %bb.766:
	s_cmp_lt_i32 s8, 8
	s_cbranch_scc1 .LBB39_776
; %bb.767:
	s_cmp_lt_i32 s8, 9
	s_cbranch_scc1 .LBB39_773
; %bb.768:
	s_cmp_gt_i32 s8, 9
	s_cbranch_scc0 .LBB39_770
; %bb.769:
	v_cvt_f64_i32_e32 v[2:3], v5
	v_ldexp_f64 v[2:3], v[2:3], 32
	v_cvt_f64_u32_e32 v[6:7], v4
	v_mov_b32_e32 v8, 0
	v_add_f64 v[6:7], v[2:3], v[6:7]
	v_mov_b32_e32 v9, v8
	s_mov_b64 s[6:7], 0
	global_store_dwordx4 v[0:1], v[6:9], off
.LBB39_770:
	s_andn2_b64 vcc, exec, s[6:7]
	s_cbranch_vccnz .LBB39_772
; %bb.771:
	v_xor_b32_e32 v3, v4, v5
	v_ffbh_i32_e32 v2, v5
	v_ashrrev_i32_e32 v3, 31, v3
	v_add_u32_e32 v2, -1, v2
	v_add_u32_e32 v3, 32, v3
	v_min_u32_e32 v6, v2, v3
	v_lshlrev_b64 v[2:3], v6, v[4:5]
	v_min_u32_e32 v2, 1, v2
	v_or_b32_e32 v2, v3, v2
	v_cvt_f32_i32_e32 v2, v2
	v_sub_u32_e32 v3, 32, v6
	v_ldexp_f32 v2, v2, v3
	v_mov_b32_e32 v3, 0
	global_store_dwordx2 v[0:1], v[2:3], off
.LBB39_772:
	s_mov_b64 s[6:7], 0
.LBB39_773:
	s_andn2_b64 vcc, exec, s[6:7]
	s_cbranch_vccnz .LBB39_775
; %bb.774:
	v_xor_b32_e32 v3, v4, v5
	v_ffbh_i32_e32 v2, v5
	v_ashrrev_i32_e32 v3, 31, v3
	v_add_u32_e32 v2, -1, v2
	v_add_u32_e32 v3, 32, v3
	v_min_u32_e32 v6, v2, v3
	v_lshlrev_b64 v[2:3], v6, v[4:5]
	v_min_u32_e32 v2, 1, v2
	v_or_b32_e32 v2, v3, v2
	v_cvt_f32_i32_e32 v2, v2
	v_sub_u32_e32 v3, 32, v6
	v_ldexp_f32 v2, v2, v3
	v_cvt_f16_f32_e32 v2, v2
	global_store_dword v[0:1], v2, off
.LBB39_775:
	s_mov_b64 s[6:7], 0
.LBB39_776:
	s_andn2_b64 vcc, exec, s[6:7]
	s_cbranch_vccnz .LBB39_785
; %bb.777:
	s_cmp_lt_i32 s8, 6
	s_mov_b64 s[6:7], -1
	s_cbranch_scc1 .LBB39_783
; %bb.778:
	s_cmp_gt_i32 s8, 6
	s_cbranch_scc0 .LBB39_780
; %bb.779:
	v_cvt_f64_i32_e32 v[2:3], v5
	v_ldexp_f64 v[2:3], v[2:3], 32
	v_cvt_f64_u32_e32 v[6:7], v4
	v_add_f64 v[2:3], v[2:3], v[6:7]
	s_mov_b64 s[6:7], 0
	global_store_dwordx2 v[0:1], v[2:3], off
.LBB39_780:
	s_andn2_b64 vcc, exec, s[6:7]
	s_cbranch_vccnz .LBB39_782
; %bb.781:
	v_xor_b32_e32 v3, v4, v5
	v_ffbh_i32_e32 v2, v5
	v_ashrrev_i32_e32 v3, 31, v3
	v_add_u32_e32 v2, -1, v2
	v_add_u32_e32 v3, 32, v3
	v_min_u32_e32 v6, v2, v3
	v_lshlrev_b64 v[2:3], v6, v[4:5]
	v_min_u32_e32 v2, 1, v2
	v_or_b32_e32 v2, v3, v2
	v_cvt_f32_i32_e32 v2, v2
	v_sub_u32_e32 v3, 32, v6
	v_ldexp_f32 v2, v2, v3
	global_store_dword v[0:1], v2, off
.LBB39_782:
	s_mov_b64 s[6:7], 0
.LBB39_783:
	s_andn2_b64 vcc, exec, s[6:7]
	s_cbranch_vccnz .LBB39_785
; %bb.784:
	v_xor_b32_e32 v3, v4, v5
	v_ffbh_i32_e32 v2, v5
	v_ashrrev_i32_e32 v3, 31, v3
	v_add_u32_e32 v2, -1, v2
	v_add_u32_e32 v3, 32, v3
	v_min_u32_e32 v6, v2, v3
	v_lshlrev_b64 v[2:3], v6, v[4:5]
	v_min_u32_e32 v2, 1, v2
	v_or_b32_e32 v2, v3, v2
	v_cvt_f32_i32_e32 v2, v2
	v_sub_u32_e32 v3, 32, v6
	v_ldexp_f32 v2, v2, v3
	v_cvt_f16_f32_e32 v2, v2
	global_store_short v[0:1], v2, off
.LBB39_785:
	s_mov_b64 s[6:7], 0
.LBB39_786:
	s_andn2_b64 vcc, exec, s[6:7]
	s_cbranch_vccnz .LBB39_802
; %bb.787:
	s_cmp_lt_i32 s8, 2
	s_mov_b64 s[6:7], -1
	s_cbranch_scc1 .LBB39_797
; %bb.788:
	s_cmp_lt_i32 s8, 3
	s_cbranch_scc1 .LBB39_794
; %bb.789:
	s_cmp_gt_i32 s8, 3
	s_cbranch_scc0 .LBB39_791
; %bb.790:
	s_mov_b64 s[6:7], 0
	global_store_dwordx2 v[0:1], v[4:5], off
.LBB39_791:
	s_andn2_b64 vcc, exec, s[6:7]
	s_cbranch_vccnz .LBB39_793
; %bb.792:
	global_store_dword v[0:1], v4, off
.LBB39_793:
	s_mov_b64 s[6:7], 0
.LBB39_794:
	s_andn2_b64 vcc, exec, s[6:7]
	s_cbranch_vccnz .LBB39_796
; %bb.795:
	global_store_short v[0:1], v4, off
.LBB39_796:
	s_mov_b64 s[6:7], 0
.LBB39_797:
	s_andn2_b64 vcc, exec, s[6:7]
	s_cbranch_vccnz .LBB39_802
; %bb.798:
	s_cmp_gt_i32 s8, 0
	s_mov_b64 s[6:7], -1
	s_cbranch_scc0 .LBB39_800
; %bb.799:
	s_mov_b64 s[6:7], 0
	global_store_byte v[0:1], v4, off
.LBB39_800:
	s_andn2_b64 vcc, exec, s[6:7]
	s_cbranch_vccnz .LBB39_802
; %bb.801:
	global_store_byte v[0:1], v4, off
.LBB39_802:
	s_mov_b64 s[6:7], -1
.LBB39_803:
	s_andn2_b64 vcc, exec, s[6:7]
	s_cbranch_vccnz .LBB39_805
; %bb.804:
	v_add_u32_e32 v14, 0x80, v14
	s_mov_b64 s[6:7], -1
	s_branch .LBB39_807
.LBB39_805:
	s_mov_b64 s[6:7], 0
.LBB39_806:
                                        ; implicit-def: $vgpr14
.LBB39_807:
	s_andn2_b64 s[8:9], s[62:63], exec
	s_and_b64 s[2:3], s[2:3], exec
	s_or_b64 s[68:69], s[8:9], s[2:3]
	s_andn2_b64 s[2:3], s[60:61], exec
	s_and_b64 s[4:5], s[4:5], exec
	s_or_b64 s[2:3], s[2:3], s[4:5]
	s_orn2_b64 s[6:7], s[6:7], exec
.LBB39_808:
	s_or_b64 exec, exec, s[66:67]
	s_mov_b64 s[4:5], 0
	s_mov_b64 s[10:11], 0
	s_mov_b64 s[8:9], 0
                                        ; implicit-def: $vgpr4_vgpr5
                                        ; implicit-def: $vgpr0
                                        ; implicit-def: $vgpr2_vgpr3
	s_and_saveexec_b64 s[66:67], s[6:7]
	s_cbranch_execz .LBB39_904
; %bb.809:
	v_cmp_gt_i32_e32 vcc, s70, v14
	s_mov_b64 s[6:7], 0
	s_mov_b64 s[12:13], s[2:3]
                                        ; implicit-def: $vgpr4_vgpr5
                                        ; implicit-def: $vgpr0
                                        ; implicit-def: $vgpr2_vgpr3
	s_and_saveexec_b64 s[70:71], vcc
	s_cbranch_execz .LBB39_903
; %bb.810:
	s_andn2_b64 vcc, exec, s[42:43]
	s_cbranch_vccnz .LBB39_816
; %bb.811:
	s_andn2_b64 vcc, exec, s[52:53]
	s_cbranch_vccnz .LBB39_817
; %bb.812:
	s_add_i32 s76, s75, 1
	s_cmp_eq_u32 s72, 2
	s_cbranch_scc1 .LBB39_818
; %bb.813:
	s_and_b32 s75, s76, 28
	s_mov_b32 s77, 0
	v_mov_b32_e32 v0, 0
	s_waitcnt vmcnt(0)
	v_mov_b32_e32 v2, 0
	s_mov_b64 s[52:53], s[34:35]
	v_mov_b32_e32 v4, v14
.LBB39_814:                             ; =>This Inner Loop Header: Depth=1
	s_load_dwordx8 s[12:19], s[52:53], 0x4
	s_load_dwordx4 s[36:39], s[52:53], 0x24
	s_load_dwordx8 s[4:11], s[50:51], 0x0
	s_add_u32 s52, s52, 48
	s_addc_u32 s53, s53, 0
	s_waitcnt lgkmcnt(0)
	v_mul_hi_u32 v1, s13, v4
	v_add_u32_e32 v1, v4, v1
	v_lshrrev_b32_e32 v1, s14, v1
	v_mul_lo_u32 v3, v1, s12
	v_mul_hi_u32 v5, s16, v1
	v_sub_u32_e32 v3, v4, v3
	v_add_u32_e32 v4, v1, v5
	v_lshrrev_b32_e32 v4, s17, v4
	v_mul_lo_u32 v6, v4, s15
	v_mul_hi_u32 v7, s19, v4
	v_sub_u32_e32 v1, v1, v6
	v_add_u32_e32 v6, v4, v7
	v_mul_lo_u32 v5, v3, s5
	v_mul_lo_u32 v3, v3, s4
	;; [unrolled: 1-line block ×4, first 2 shown]
	v_lshrrev_b32_e32 v6, s36, v6
	v_add3_u32 v0, v3, v0, v1
	v_mul_hi_u32 v3, s38, v6
	v_add3_u32 v1, v5, v2, v7
	v_mul_lo_u32 v2, v6, s18
	v_add_u32_e32 v3, v6, v3
	v_sub_u32_e32 v2, v4, v2
	v_lshrrev_b32_e32 v4, s39, v3
	s_add_i32 s77, s77, 4
	v_mul_lo_u32 v3, v4, s37
	s_add_u32 s50, s50, 32
	v_sub_u32_e32 v3, v6, v3
	s_addc_u32 s51, s51, 0
	v_mul_lo_u32 v5, v2, s8
	v_mul_lo_u32 v2, v2, s9
	;; [unrolled: 1-line block ×4, first 2 shown]
	s_cmp_eq_u32 s75, s77
	v_add3_u32 v2, v2, v1, v3
	v_add3_u32 v0, v5, v0, v6
	s_cbranch_scc0 .LBB39_814
; %bb.815:
	v_mov_b32_e32 v1, v2
	s_branch .LBB39_819
.LBB39_816:
	s_mov_b64 s[4:5], -1
                                        ; implicit-def: $vgpr2
                                        ; implicit-def: $vgpr0
	s_branch .LBB39_823
.LBB39_817:
	s_waitcnt vmcnt(0)
	v_mov_b32_e32 v2, 0
	v_mov_b32_e32 v0, 0
	s_branch .LBB39_822
.LBB39_818:
	v_mov_b32_e32 v0, 0
	s_mov_b32 s75, 0
	v_mov_b32_e32 v1, v0
                                        ; implicit-def: $vgpr2
	v_mov_b32_e32 v4, v14
.LBB39_819:
	s_and_b32 s8, s76, 3
	s_cmp_eq_u32 s8, 0
	s_cbranch_scc1 .LBB39_822
; %bb.820:
	s_lshl_b32 s4, s75, 3
	s_add_u32 s4, s34, s4
	s_addc_u32 s5, s35, 0
	s_add_u32 s4, s4, 0xc4
	s_addc_u32 s5, s5, 0
	s_mul_i32 s6, s75, 12
	s_add_u32 s6, s34, s6
	s_addc_u32 s7, s35, 0
.LBB39_821:                             ; =>This Inner Loop Header: Depth=1
	s_load_dwordx2 s[10:11], s[6:7], 0x4
	s_load_dword s9, s[6:7], 0xc
	s_load_dwordx2 s[12:13], s[4:5], 0x0
	s_waitcnt vmcnt(0)
	v_mov_b32_e32 v2, v1
	s_add_u32 s6, s6, 12
	s_waitcnt lgkmcnt(0)
	v_mul_hi_u32 v1, s11, v4
	v_add_u32_e32 v1, v4, v1
	v_lshrrev_b32_e32 v1, s9, v1
	s_addc_u32 s7, s7, 0
	v_mul_lo_u32 v3, v1, s10
	s_add_u32 s4, s4, 8
	v_sub_u32_e32 v5, v4, v3
	s_addc_u32 s5, s5, 0
	s_add_i32 s8, s8, -1
	v_mov_b32_e32 v4, v1
	v_mad_u64_u32 v[2:3], s[10:11], v5, s13, v[2:3]
	v_mad_u64_u32 v[0:1], s[10:11], v5, s12, v[0:1]
	s_cmp_lg_u32 s8, 0
	v_mov_b32_e32 v1, v2
	s_cbranch_scc1 .LBB39_821
.LBB39_822:
	s_mov_b64 s[4:5], 0
.LBB39_823:
	s_andn2_b64 vcc, exec, s[4:5]
	s_cbranch_vccnz .LBB39_826
; %bb.824:
	s_waitcnt lgkmcnt(0)
	v_mul_hi_u32 v0, s29, v14
	v_add_u32_e32 v0, v14, v0
	v_lshrrev_b32_e32 v1, s30, v0
	v_mul_lo_u32 v0, v1, s28
	v_sub_u32_e32 v0, v14, v0
	s_waitcnt vmcnt(0)
	v_mul_lo_u32 v2, v0, s25
	s_andn2_b64 vcc, exec, s[48:49]
	v_mul_lo_u32 v0, v0, s24
	s_cbranch_vccnz .LBB39_826
; %bb.825:
	v_mul_hi_u32 v3, s46, v1
	v_add_u32_e32 v3, v1, v3
	v_lshrrev_b32_e32 v3, s47, v3
	v_mul_lo_u32 v3, v3, s31
	v_sub_u32_e32 v3, v1, v3
	v_mad_u64_u32 v[0:1], s[4:5], v3, s26, v[0:1]
	v_mad_u64_u32 v[2:3], s[4:5], v3, s27, v[2:3]
.LBB39_826:
	s_waitcnt vmcnt(0)
	v_mov_b32_e32 v3, 0
	s_and_b32 s12, 0xffff, s74
	s_cmp_lt_i32 s12, 11
	s_waitcnt lgkmcnt(0)
	v_lshl_add_u64 v[4:5], s[22:23], 0, v[2:3]
	s_cbranch_scc1 .LBB39_833
; %bb.827:
	s_cmp_gt_i32 s12, 25
	s_mov_b64 s[6:7], 0
	s_cbranch_scc0 .LBB39_834
; %bb.828:
	s_cmp_gt_i32 s12, 28
	s_cbranch_scc0 .LBB39_835
; %bb.829:
	s_cmp_gt_i32 s12, 43
	;; [unrolled: 3-line block ×3, first 2 shown]
	s_cbranch_scc0 .LBB39_839
; %bb.831:
	s_cmp_eq_u32 s12, 46
	s_mov_b64 s[10:11], 0
	s_cbranch_scc0 .LBB39_842
; %bb.832:
	global_load_dword v1, v[4:5], off
	s_mov_b32 s4, 0x2f800000
	s_mov_b32 s5, 0xcf800000
	s_mov_b64 s[8:9], -1
	s_waitcnt vmcnt(0)
	v_lshlrev_b32_e32 v1, 16, v1
	v_trunc_f32_e32 v1, v1
	v_mul_f32_e64 v2, |v1|, s4
	v_floor_f32_e32 v2, v2
	v_fma_f32 v3, v2, s5, |v1|
	v_cvt_u32_f32_e32 v2, v2
	v_cvt_u32_f32_e32 v3, v3
	v_ashrrev_i32_e32 v1, 31, v1
	s_mov_b64 s[4:5], 0
	v_xor_b32_e32 v6, v2, v1
	v_xor_b32_e32 v2, v3, v1
	v_sub_co_u32_e32 v2, vcc, v2, v1
	s_nop 1
	v_subb_co_u32_e32 v3, vcc, v6, v1, vcc
	s_branch .LBB39_843
.LBB39_833:
	s_mov_b64 s[10:11], -1
	s_mov_b64 s[8:9], 0
	s_mov_b64 s[6:7], 0
	;; [unrolled: 1-line block ×3, first 2 shown]
                                        ; implicit-def: $vgpr2_vgpr3
	s_branch .LBB39_902
.LBB39_834:
	s_mov_b64 s[10:11], -1
	s_mov_b64 s[8:9], 0
	s_mov_b64 s[4:5], s[2:3]
                                        ; implicit-def: $vgpr2_vgpr3
	s_branch .LBB39_870
.LBB39_835:
	s_mov_b64 s[10:11], -1
	s_mov_b64 s[8:9], 0
	s_mov_b64 s[4:5], s[2:3]
                                        ; implicit-def: $vgpr2_vgpr3
	s_branch .LBB39_853
.LBB39_836:
	s_mov_b64 s[10:11], -1
	s_mov_b64 s[8:9], 0
	s_mov_b64 s[4:5], s[2:3]
                                        ; implicit-def: $vgpr2_vgpr3
	s_branch .LBB39_848
.LBB39_837:
	s_andn2_saveexec_b64 s[10:11], s[10:11]
	s_cbranch_execz .LBB39_716
.LBB39_838:
	s_mov_b32 s14, 0x46000000
	v_add_f32_e64 v7, |v6|, s14
	v_and_b32_e32 v7, 0xff, v7
	v_cmp_ne_u32_e32 vcc, 0, v7
	s_andn2_b64 s[8:9], s[8:9], exec
	s_and_b64 s[14:15], vcc, exec
	s_or_b64 s[8:9], s[8:9], s[14:15]
	s_or_b64 exec, exec, s[10:11]
	v_mov_b32_e32 v8, 0
	s_and_saveexec_b64 s[10:11], s[8:9]
	s_cbranch_execnz .LBB39_717
	s_branch .LBB39_718
.LBB39_839:
	s_mov_b64 s[10:11], -1
	s_mov_b64 s[8:9], 0
	s_mov_b64 s[4:5], s[2:3]
                                        ; implicit-def: $vgpr2_vgpr3
	s_branch .LBB39_843
.LBB39_840:
	s_andn2_saveexec_b64 s[10:11], s[10:11]
	s_cbranch_execz .LBB39_729
.LBB39_841:
	s_mov_b32 s14, 0x42800000
	v_add_f32_e64 v7, |v6|, s14
	v_and_b32_e32 v7, 0xff, v7
	v_cmp_ne_u32_e32 vcc, 0, v7
	s_andn2_b64 s[8:9], s[8:9], exec
	s_and_b64 s[14:15], vcc, exec
	s_or_b64 s[8:9], s[8:9], s[14:15]
	s_or_b64 exec, exec, s[10:11]
	v_mov_b32_e32 v8, 0
	s_and_saveexec_b64 s[10:11], s[8:9]
	s_cbranch_execnz .LBB39_730
	s_branch .LBB39_731
.LBB39_842:
	s_mov_b64 s[4:5], -1
                                        ; implicit-def: $vgpr2_vgpr3
	s_mov_b64 s[8:9], 0
.LBB39_843:
	s_and_b64 vcc, exec, s[10:11]
	s_cbranch_vccz .LBB39_847
; %bb.844:
	s_cmp_eq_u32 s12, 44
	s_cbranch_scc0 .LBB39_846
; %bb.845:
	global_load_ubyte v1, v[4:5], off
	s_mov_b32 s4, 0x2f800000
	s_mov_b32 s5, 0xcf800000
	s_mov_b64 s[8:9], -1
	s_waitcnt vmcnt(0)
	v_lshlrev_b32_e32 v2, 23, v1
	v_trunc_f32_e32 v2, v2
	v_mul_f32_e64 v3, |v2|, s4
	v_floor_f32_e32 v3, v3
	v_fma_f32 v6, v3, s5, |v2|
	v_cvt_u32_f32_e32 v6, v6
	v_cvt_u32_f32_e32 v3, v3
	v_ashrrev_i32_e32 v2, 31, v2
	s_mov_b64 s[4:5], 0
	v_xor_b32_e32 v6, v6, v2
	v_xor_b32_e32 v3, v3, v2
	v_sub_co_u32_e32 v6, vcc, v6, v2
	s_nop 1
	v_subb_co_u32_e32 v2, vcc, v3, v2, vcc
	v_cmp_ne_u32_e32 vcc, 0, v1
	s_nop 1
	v_cndmask_b32_e32 v3, 0, v2, vcc
	v_cndmask_b32_e32 v2, 0, v6, vcc
	s_branch .LBB39_847
.LBB39_846:
	s_mov_b64 s[4:5], -1
                                        ; implicit-def: $vgpr2_vgpr3
.LBB39_847:
	s_mov_b64 s[10:11], 0
.LBB39_848:
	s_and_b64 vcc, exec, s[10:11]
	s_cbranch_vccz .LBB39_852
; %bb.849:
	s_cmp_eq_u32 s12, 29
	s_cbranch_scc0 .LBB39_851
; %bb.850:
	global_load_dwordx2 v[2:3], v[4:5], off
	s_mov_b64 s[4:5], 0
	s_mov_b64 s[8:9], -1
	s_branch .LBB39_852
.LBB39_851:
	s_mov_b64 s[4:5], -1
                                        ; implicit-def: $vgpr2_vgpr3
.LBB39_852:
	s_mov_b64 s[10:11], 0
.LBB39_853:
	s_and_b64 vcc, exec, s[10:11]
	s_cbranch_vccz .LBB39_869
; %bb.854:
	s_cmp_lt_i32 s12, 27
	s_cbranch_scc1 .LBB39_857
; %bb.855:
	s_cmp_gt_i32 s12, 27
	s_cbranch_scc0 .LBB39_858
; %bb.856:
	global_load_dword v2, v[4:5], off
	s_waitcnt vmcnt(1)
	v_mov_b32_e32 v3, 0
	s_mov_b64 s[8:9], 0
	s_branch .LBB39_859
.LBB39_857:
	s_mov_b64 s[8:9], -1
                                        ; implicit-def: $vgpr2_vgpr3
	s_branch .LBB39_862
.LBB39_858:
	s_mov_b64 s[8:9], -1
                                        ; implicit-def: $vgpr2_vgpr3
.LBB39_859:
	s_andn2_b64 vcc, exec, s[8:9]
	s_cbranch_vccnz .LBB39_861
; %bb.860:
	global_load_ushort v1, v[4:5], off
	s_mov_b32 s8, 0
	s_waitcnt vmcnt(1)
	v_mov_b32_e32 v3, s8
	s_waitcnt vmcnt(0)
	v_and_b32_e32 v2, 0xffff, v1
.LBB39_861:
	s_mov_b64 s[8:9], 0
.LBB39_862:
	s_andn2_b64 vcc, exec, s[8:9]
	s_cbranch_vccnz .LBB39_868
; %bb.863:
	global_load_ubyte v1, v[4:5], off
	s_movk_i32 s8, 0x7f
	s_mov_b64 s[10:11], 0
	s_waitcnt vmcnt(0)
	v_cmp_lt_i16_e32 vcc, s8, v1
	s_and_saveexec_b64 s[8:9], vcc
	s_xor_b64 s[8:9], exec, s[8:9]
	s_cbranch_execz .LBB39_880
; %bb.864:
	s_movk_i32 s10, 0x80
	v_cmp_ne_u16_e32 vcc, s10, v1
	s_and_b64 s[10:11], vcc, exec
	s_andn2_saveexec_b64 s[8:9], s[8:9]
	s_cbranch_execnz .LBB39_881
.LBB39_865:
	s_or_b64 exec, exec, s[8:9]
	v_mov_b64_e32 v[2:3], 0
	s_and_saveexec_b64 s[8:9], s[10:11]
	s_cbranch_execz .LBB39_867
.LBB39_866:
	v_lshlrev_b32_e32 v2, 24, v1
	v_and_b32_e32 v1, 0xffff, v1
	v_and_b32_e32 v3, 7, v1
	v_ffbh_u32_e32 v7, v3
	v_min_u32_e32 v7, 32, v7
	v_subrev_u32_e32 v8, 28, v7
	v_bfe_u32 v6, v1, 3, 4
	v_lshlrev_b32_e32 v1, v8, v1
	v_sub_u32_e32 v7, 29, v7
	v_and_b32_e32 v1, 7, v1
	v_cmp_eq_u32_e32 vcc, 0, v6
	v_and_b32_e32 v2, 0x80000000, v2
	s_mov_b32 s10, 0x2f800000
	v_cndmask_b32_e32 v6, v6, v7, vcc
	v_cndmask_b32_e32 v1, v3, v1, vcc
	v_mov_b32_e32 v3, 0x3b800000
	v_lshlrev_b32_e32 v1, 20, v1
	v_lshl_add_u32 v3, v6, 23, v3
	v_or3_b32 v1, v2, v3, v1
	v_trunc_f32_e32 v1, v1
	v_mul_f32_e64 v2, |v1|, s10
	v_floor_f32_e32 v2, v2
	s_mov_b32 s10, 0xcf800000
	v_fma_f32 v3, v2, s10, |v1|
	v_cvt_u32_f32_e32 v2, v2
	v_cvt_u32_f32_e32 v3, v3
	v_ashrrev_i32_e32 v1, 31, v1
	v_xor_b32_e32 v6, v2, v1
	v_xor_b32_e32 v2, v3, v1
	v_sub_co_u32_e32 v2, vcc, v2, v1
	s_nop 1
	v_subb_co_u32_e32 v3, vcc, v6, v1, vcc
.LBB39_867:
	s_or_b64 exec, exec, s[8:9]
.LBB39_868:
	s_mov_b64 s[8:9], -1
.LBB39_869:
	s_mov_b64 s[10:11], 0
.LBB39_870:
	s_and_b64 vcc, exec, s[10:11]
	s_cbranch_vccz .LBB39_901
; %bb.871:
	s_cmp_gt_i32 s12, 22
	s_cbranch_scc0 .LBB39_879
; %bb.872:
	s_cmp_lt_i32 s12, 24
	s_cbranch_scc1 .LBB39_882
; %bb.873:
	s_cmp_gt_i32 s12, 24
	s_cbranch_scc0 .LBB39_883
; %bb.874:
	global_load_ubyte v1, v[4:5], off
	s_movk_i32 s6, 0x7f
	s_mov_b64 s[8:9], 0
	s_waitcnt vmcnt(0)
	v_cmp_lt_i16_e32 vcc, s6, v1
	s_and_saveexec_b64 s[6:7], vcc
	s_xor_b64 s[6:7], exec, s[6:7]
	s_cbranch_execz .LBB39_895
; %bb.875:
	s_movk_i32 s8, 0x80
	v_cmp_ne_u16_e32 vcc, s8, v1
	s_and_b64 s[8:9], vcc, exec
	s_andn2_saveexec_b64 s[6:7], s[6:7]
	s_cbranch_execnz .LBB39_896
.LBB39_876:
	s_or_b64 exec, exec, s[6:7]
	v_mov_b64_e32 v[2:3], 0
	s_and_saveexec_b64 s[6:7], s[8:9]
	s_cbranch_execz .LBB39_878
.LBB39_877:
	v_lshlrev_b32_e32 v2, 24, v1
	v_and_b32_e32 v1, 0xffff, v1
	v_and_b32_e32 v3, 3, v1
	v_ffbh_u32_e32 v7, v3
	v_min_u32_e32 v7, 32, v7
	v_subrev_u32_e32 v8, 29, v7
	v_bfe_u32 v6, v1, 2, 5
	v_lshlrev_b32_e32 v1, v8, v1
	v_sub_u32_e32 v7, 30, v7
	v_and_b32_e32 v1, 3, v1
	v_cmp_eq_u32_e32 vcc, 0, v6
	v_and_b32_e32 v2, 0x80000000, v2
	s_mov_b32 s8, 0x2f800000
	v_cndmask_b32_e32 v6, v6, v7, vcc
	v_cndmask_b32_e32 v1, v3, v1, vcc
	v_mov_b32_e32 v3, 0x37800000
	v_lshlrev_b32_e32 v1, 21, v1
	v_lshl_add_u32 v3, v6, 23, v3
	v_or3_b32 v1, v2, v3, v1
	v_trunc_f32_e32 v1, v1
	v_mul_f32_e64 v2, |v1|, s8
	v_floor_f32_e32 v2, v2
	s_mov_b32 s8, 0xcf800000
	v_fma_f32 v3, v2, s8, |v1|
	v_cvt_u32_f32_e32 v2, v2
	v_cvt_u32_f32_e32 v3, v3
	v_ashrrev_i32_e32 v1, 31, v1
	v_xor_b32_e32 v6, v2, v1
	v_xor_b32_e32 v2, v3, v1
	v_sub_co_u32_e32 v2, vcc, v2, v1
	s_nop 1
	v_subb_co_u32_e32 v3, vcc, v6, v1, vcc
.LBB39_878:
	s_or_b64 exec, exec, s[6:7]
	s_mov_b64 s[6:7], 0
	s_branch .LBB39_884
.LBB39_879:
	s_mov_b64 s[6:7], -1
                                        ; implicit-def: $vgpr2_vgpr3
	s_branch .LBB39_890
.LBB39_880:
	s_andn2_saveexec_b64 s[8:9], s[8:9]
	s_cbranch_execz .LBB39_865
.LBB39_881:
	v_cmp_ne_u16_e32 vcc, 0, v1
	s_andn2_b64 s[10:11], s[10:11], exec
	s_and_b64 s[14:15], vcc, exec
	s_or_b64 s[10:11], s[10:11], s[14:15]
	s_or_b64 exec, exec, s[8:9]
	v_mov_b64_e32 v[2:3], 0
	s_and_saveexec_b64 s[8:9], s[10:11]
	s_cbranch_execnz .LBB39_866
	s_branch .LBB39_867
.LBB39_882:
	s_mov_b64 s[6:7], -1
                                        ; implicit-def: $vgpr2_vgpr3
	s_branch .LBB39_887
.LBB39_883:
	s_mov_b64 s[6:7], -1
                                        ; implicit-def: $vgpr2_vgpr3
.LBB39_884:
	s_and_b64 vcc, exec, s[6:7]
	s_cbranch_vccz .LBB39_886
; %bb.885:
	global_load_ubyte v1, v[4:5], off
	s_mov_b32 s6, 0x7f800000
	s_brev_b32 s7, 1
	s_mov_b32 s8, 0x2f800000
	s_mov_b32 s9, 0xcf800000
	s_waitcnt vmcnt(0)
	v_lshlrev_b32_e32 v1, 24, v1
	v_and_b32_e32 v2, 0x7f000000, v1
	v_ffbh_u32_e32 v3, v2
	v_min_u32_e32 v3, 32, v3
	v_sub_u32_e64 v3, v3, 4 clamp
	v_lshlrev_b32_e32 v7, v3, v2
	v_lshlrev_b32_e32 v3, 23, v3
	v_lshrrev_b32_e32 v7, 4, v7
	v_add_u32_e32 v6, 0x1000000, v2
	v_sub_u32_e32 v3, v7, v3
	v_ashrrev_i32_e32 v6, 8, v6
	v_add_u32_e32 v3, 0x3c000000, v3
	v_and_or_b32 v3, v6, s6, v3
	v_cmp_ne_u32_e32 vcc, 0, v2
	s_nop 1
	v_cndmask_b32_e32 v2, 0, v3, vcc
	v_and_or_b32 v1, v1, s7, v2
	v_trunc_f32_e32 v1, v1
	v_mul_f32_e64 v2, |v1|, s8
	v_floor_f32_e32 v2, v2
	v_fma_f32 v3, v2, s9, |v1|
	v_cvt_u32_f32_e32 v2, v2
	v_cvt_u32_f32_e32 v3, v3
	v_ashrrev_i32_e32 v1, 31, v1
	v_xor_b32_e32 v6, v2, v1
	v_xor_b32_e32 v2, v3, v1
	v_sub_co_u32_e32 v2, vcc, v2, v1
	s_nop 1
	v_subb_co_u32_e32 v3, vcc, v6, v1, vcc
.LBB39_886:
	s_mov_b64 s[6:7], 0
.LBB39_887:
	s_andn2_b64 vcc, exec, s[6:7]
	s_cbranch_vccnz .LBB39_889
; %bb.888:
	global_load_ubyte v1, v[4:5], off
	s_movk_i32 s6, 0x7f00
	s_brev_b32 s7, 16
	s_brev_b32 s8, 1
	s_mov_b32 s9, 0x2f800000
	s_mov_b32 s10, 0xcf800000
	s_waitcnt vmcnt(0)
	v_lshlrev_b16_e32 v2, 8, v1
	v_lshlrev_b32_e32 v1, 25, v1
	v_lshrrev_b32_e32 v3, 4, v1
	v_and_or_b32 v6, v2, s6, 0.5
	v_or_b32_e32 v3, 0x70000000, v3
	v_add_f32_e32 v6, -0.5, v6
	v_mul_f32_e32 v3, 0x7800000, v3
	v_cmp_gt_u32_e32 vcc, s7, v1
	v_bfe_i32 v2, v2, 0, 16
	s_nop 0
	v_cndmask_b32_e32 v1, v3, v6, vcc
	v_and_or_b32 v1, v2, s8, v1
	v_trunc_f32_e32 v1, v1
	v_mul_f32_e64 v2, |v1|, s9
	v_floor_f32_e32 v2, v2
	v_fma_f32 v3, v2, s10, |v1|
	v_cvt_u32_f32_e32 v2, v2
	v_cvt_u32_f32_e32 v3, v3
	v_ashrrev_i32_e32 v1, 31, v1
	v_xor_b32_e32 v6, v2, v1
	v_xor_b32_e32 v2, v3, v1
	v_sub_co_u32_e32 v2, vcc, v2, v1
	s_nop 1
	v_subb_co_u32_e32 v3, vcc, v6, v1, vcc
.LBB39_889:
	s_mov_b64 s[6:7], 0
	s_mov_b64 s[8:9], -1
.LBB39_890:
	s_andn2_b64 vcc, exec, s[6:7]
	s_mov_b64 s[6:7], 0
	s_cbranch_vccnz .LBB39_901
; %bb.891:
	s_cmp_gt_i32 s12, 14
	s_cbranch_scc0 .LBB39_894
; %bb.892:
	s_cmp_eq_u32 s12, 15
	s_cbranch_scc0 .LBB39_897
; %bb.893:
	global_load_ushort v1, v[4:5], off
	s_mov_b32 s4, 0x2f800000
	s_mov_b32 s5, 0xcf800000
	s_mov_b64 s[8:9], -1
	s_waitcnt vmcnt(0)
	v_lshlrev_b32_e32 v1, 16, v1
	v_trunc_f32_e32 v1, v1
	v_mul_f32_e64 v2, |v1|, s4
	v_floor_f32_e32 v2, v2
	v_fma_f32 v3, v2, s5, |v1|
	v_cvt_u32_f32_e32 v2, v2
	v_cvt_u32_f32_e32 v3, v3
	v_ashrrev_i32_e32 v1, 31, v1
	s_mov_b64 s[4:5], 0
	v_xor_b32_e32 v6, v2, v1
	v_xor_b32_e32 v2, v3, v1
	v_sub_co_u32_e32 v2, vcc, v2, v1
	s_nop 1
	v_subb_co_u32_e32 v3, vcc, v6, v1, vcc
	s_branch .LBB39_898
.LBB39_894:
	s_mov_b64 s[10:11], -1
                                        ; implicit-def: $vgpr2_vgpr3
	s_branch .LBB39_899
.LBB39_895:
	s_andn2_saveexec_b64 s[6:7], s[6:7]
	s_cbranch_execz .LBB39_876
.LBB39_896:
	v_cmp_ne_u16_e32 vcc, 0, v1
	s_andn2_b64 s[8:9], s[8:9], exec
	s_and_b64 s[10:11], vcc, exec
	s_or_b64 s[8:9], s[8:9], s[10:11]
	s_or_b64 exec, exec, s[6:7]
	v_mov_b64_e32 v[2:3], 0
	s_and_saveexec_b64 s[6:7], s[8:9]
	s_cbranch_execnz .LBB39_877
	s_branch .LBB39_878
.LBB39_897:
	s_mov_b64 s[4:5], -1
                                        ; implicit-def: $vgpr2_vgpr3
.LBB39_898:
	s_mov_b64 s[10:11], 0
.LBB39_899:
	s_and_b64 vcc, exec, s[10:11]
	s_cbranch_vccz .LBB39_901
; %bb.900:
	s_cmp_lg_u32 s12, 11
	s_cselect_b64 s[10:11], -1, 0
	s_andn2_b64 s[4:5], s[4:5], exec
	s_and_b64 s[10:11], s[10:11], exec
	s_mov_b64 s[6:7], -1
	s_or_b64 s[4:5], s[4:5], s[10:11]
.LBB39_901:
	s_mov_b64 s[10:11], 0
.LBB39_902:
	s_andn2_b64 s[12:13], s[2:3], exec
	s_and_b64 s[4:5], s[4:5], exec
	s_and_b64 s[8:9], s[8:9], exec
	s_and_b64 s[10:11], s[10:11], exec
	s_and_b64 s[6:7], s[6:7], exec
	s_or_b64 s[12:13], s[12:13], s[4:5]
.LBB39_903:
	s_or_b64 exec, exec, s[70:71]
	s_and_b64 s[4:5], s[6:7], exec
	s_andn2_b64 s[2:3], s[2:3], exec
	s_and_b64 s[6:7], s[12:13], exec
	s_and_b64 s[8:9], s[8:9], exec
	;; [unrolled: 1-line block ×3, first 2 shown]
	s_or_b64 s[2:3], s[2:3], s[6:7]
.LBB39_904:
	s_or_b64 exec, exec, s[66:67]
	s_andn2_b64 s[6:7], s[62:63], exec
	s_and_b64 s[12:13], s[68:69], exec
	s_or_b64 s[62:63], s[6:7], s[12:13]
	s_and_b64 s[6:7], s[10:11], exec
	s_andn2_b64 s[10:11], s[60:61], exec
	s_and_b64 s[2:3], s[2:3], exec
	s_and_b64 s[8:9], s[8:9], exec
	;; [unrolled: 1-line block ×3, first 2 shown]
	s_or_b64 s[60:61], s[10:11], s[2:3]
.LBB39_905:
	s_or_b64 exec, exec, s[64:65]
	s_andn2_b64 s[2:3], s[54:55], exec
	s_and_b64 s[10:11], s[62:63], exec
	s_or_b64 s[54:55], s[2:3], s[10:11]
	s_and_b64 s[2:3], s[8:9], exec
	s_and_b64 s[8:9], s[6:7], exec
	;; [unrolled: 1-line block ×3, first 2 shown]
	s_andn2_b64 s[4:5], s[56:57], exec
	s_and_b64 s[6:7], s[60:61], exec
	s_or_b64 s[56:57], s[4:5], s[6:7]
	s_or_b64 exec, exec, s[58:59]
	s_mov_b64 s[4:5], 0
	s_and_saveexec_b64 s[6:7], s[56:57]
	s_cbranch_execz .LBB39_272
.LBB39_906:
	s_mov_b64 s[4:5], exec
	s_andn2_b64 s[62:63], s[62:63], exec
	s_trap 2
	s_or_b64 exec, exec, s[6:7]
	s_and_saveexec_b64 s[6:7], s[62:63]
	s_xor_b64 s[6:7], exec, s[6:7]
	s_cbranch_execnz .LBB39_273
.LBB39_907:
	s_or_b64 exec, exec, s[6:7]
	s_and_saveexec_b64 s[6:7], s[8:9]
	s_cbranch_execz .LBB39_953
.LBB39_908:
	s_sext_i32_i16 s8, s74
	s_cmp_lt_i32 s8, 5
	s_cbranch_scc1 .LBB39_913
; %bb.909:
	s_cmp_lt_i32 s8, 8
	s_cbranch_scc1 .LBB39_914
; %bb.910:
	;; [unrolled: 3-line block ×3, first 2 shown]
	s_cmp_gt_i32 s8, 9
	s_cbranch_scc0 .LBB39_916
; %bb.912:
	global_load_dwordx2 v[2:3], v[4:5], off
	s_movk_i32 s8, 0xffe0
	s_waitcnt vmcnt(0)
	v_trunc_f64_e32 v[6:7], v[2:3]
	v_ldexp_f64 v[2:3], v[6:7], s8
	v_floor_f64_e32 v[8:9], v[2:3]
	v_fmac_f64_e32 v[6:7], 0xc1f00000, v[8:9]
	v_cvt_i32_f64_e32 v3, v[8:9]
	v_cvt_u32_f64_e32 v2, v[6:7]
	s_mov_b64 s[8:9], 0
	s_branch .LBB39_917
.LBB39_913:
                                        ; implicit-def: $vgpr2_vgpr3
	s_branch .LBB39_934
.LBB39_914:
                                        ; implicit-def: $vgpr2_vgpr3
	s_branch .LBB39_923
.LBB39_915:
	s_mov_b64 s[8:9], -1
                                        ; implicit-def: $vgpr2_vgpr3
	s_branch .LBB39_920
.LBB39_916:
	s_mov_b64 s[8:9], -1
                                        ; implicit-def: $vgpr2_vgpr3
.LBB39_917:
	s_andn2_b64 vcc, exec, s[8:9]
	s_cbranch_vccnz .LBB39_919
; %bb.918:
	global_load_dword v1, v[4:5], off
	s_mov_b32 s8, 0x2f800000
	s_mov_b32 s9, 0xcf800000
	s_waitcnt vmcnt(0)
	v_trunc_f32_e32 v1, v1
	v_mul_f32_e64 v2, |v1|, s8
	v_floor_f32_e32 v2, v2
	v_cvt_u32_f32_e32 v3, v2
	v_fma_f32 v2, v2, s9, |v1|
	v_cvt_u32_f32_e32 v2, v2
	v_ashrrev_i32_e32 v1, 31, v1
	v_xor_b32_e32 v3, v3, v1
	v_xor_b32_e32 v2, v2, v1
	v_sub_co_u32_e32 v2, vcc, v2, v1
	s_nop 1
	v_subb_co_u32_e32 v3, vcc, v3, v1, vcc
.LBB39_919:
	s_mov_b64 s[8:9], 0
.LBB39_920:
	s_andn2_b64 vcc, exec, s[8:9]
	s_cbranch_vccnz .LBB39_922
; %bb.921:
	global_load_dword v1, v[4:5], off
	s_waitcnt vmcnt(0)
	v_cvt_f32_f16_e32 v1, v1
	v_cvt_i32_f32_e32 v2, v1
	v_ashrrev_i32_e32 v3, 31, v2
.LBB39_922:
	s_cbranch_execnz .LBB39_933
.LBB39_923:
	s_sext_i32_i16 s8, s74
	s_cmp_lt_i32 s8, 6
	s_cbranch_scc1 .LBB39_926
; %bb.924:
	s_cmp_gt_i32 s8, 6
	s_cbranch_scc0 .LBB39_927
; %bb.925:
	global_load_dwordx2 v[2:3], v[4:5], off
	s_movk_i32 s8, 0xffe0
	s_waitcnt vmcnt(0)
	v_trunc_f64_e32 v[6:7], v[2:3]
	v_ldexp_f64 v[2:3], v[6:7], s8
	v_floor_f64_e32 v[8:9], v[2:3]
	v_fmac_f64_e32 v[6:7], 0xc1f00000, v[8:9]
	v_cvt_i32_f64_e32 v3, v[8:9]
	v_cvt_u32_f64_e32 v2, v[6:7]
	s_mov_b64 s[8:9], 0
	s_branch .LBB39_928
.LBB39_926:
	s_mov_b64 s[8:9], -1
                                        ; implicit-def: $vgpr2_vgpr3
	s_branch .LBB39_931
.LBB39_927:
	s_mov_b64 s[8:9], -1
                                        ; implicit-def: $vgpr2_vgpr3
.LBB39_928:
	s_andn2_b64 vcc, exec, s[8:9]
	s_cbranch_vccnz .LBB39_930
; %bb.929:
	global_load_dword v1, v[4:5], off
	s_mov_b32 s8, 0x2f800000
	s_mov_b32 s9, 0xcf800000
	s_waitcnt vmcnt(0)
	v_trunc_f32_e32 v1, v1
	v_mul_f32_e64 v2, |v1|, s8
	v_floor_f32_e32 v2, v2
	v_cvt_u32_f32_e32 v3, v2
	v_fma_f32 v2, v2, s9, |v1|
	v_cvt_u32_f32_e32 v2, v2
	v_ashrrev_i32_e32 v1, 31, v1
	v_xor_b32_e32 v3, v3, v1
	v_xor_b32_e32 v2, v2, v1
	v_sub_co_u32_e32 v2, vcc, v2, v1
	s_nop 1
	v_subb_co_u32_e32 v3, vcc, v3, v1, vcc
.LBB39_930:
	s_mov_b64 s[8:9], 0
.LBB39_931:
	s_andn2_b64 vcc, exec, s[8:9]
	s_cbranch_vccnz .LBB39_933
; %bb.932:
	global_load_ushort v1, v[4:5], off
	s_waitcnt vmcnt(0)
	v_cvt_f32_f16_e32 v1, v1
	v_cvt_i32_f32_e32 v2, v1
	v_ashrrev_i32_e32 v3, 31, v2
.LBB39_933:
	s_cbranch_execnz .LBB39_952
.LBB39_934:
	s_sext_i32_i16 s8, s74
	s_cmp_lt_i32 s8, 2
	s_cbranch_scc1 .LBB39_938
; %bb.935:
	s_cmp_lt_i32 s8, 3
	s_cbranch_scc1 .LBB39_939
; %bb.936:
	s_cmp_gt_i32 s8, 3
	s_cbranch_scc0 .LBB39_940
; %bb.937:
	global_load_dwordx2 v[2:3], v[4:5], off
	s_mov_b64 s[8:9], 0
	s_branch .LBB39_941
.LBB39_938:
                                        ; implicit-def: $vgpr2_vgpr3
	s_branch .LBB39_947
.LBB39_939:
	s_mov_b64 s[8:9], -1
                                        ; implicit-def: $vgpr2_vgpr3
	s_branch .LBB39_944
.LBB39_940:
	s_mov_b64 s[8:9], -1
                                        ; implicit-def: $vgpr2_vgpr3
.LBB39_941:
	s_andn2_b64 vcc, exec, s[8:9]
	s_cbranch_vccnz .LBB39_943
; %bb.942:
	global_load_dword v2, v[4:5], off
	s_waitcnt vmcnt(0)
	v_ashrrev_i32_e32 v3, 31, v2
.LBB39_943:
	s_mov_b64 s[8:9], 0
.LBB39_944:
	s_andn2_b64 vcc, exec, s[8:9]
	s_cbranch_vccnz .LBB39_946
; %bb.945:
	global_load_ushort v1, v[4:5], off
	s_waitcnt vmcnt(0)
	v_bfe_i32 v2, v1, 0, 16
	v_ashrrev_i32_e32 v3, 31, v2
.LBB39_946:
	s_cbranch_execnz .LBB39_952
.LBB39_947:
	s_sext_i32_i16 s8, s74
	s_cmp_gt_i32 s8, 0
	s_cbranch_scc0 .LBB39_949
; %bb.948:
	global_load_sbyte v1, v[4:5], off
	s_mov_b64 s[8:9], 0
	s_waitcnt vmcnt(0)
	v_bfe_i32 v2, v1, 0, 16
	v_ashrrev_i32_e32 v3, 31, v2
	s_branch .LBB39_950
.LBB39_949:
	s_mov_b64 s[8:9], -1
                                        ; implicit-def: $vgpr2_vgpr3
.LBB39_950:
	s_andn2_b64 vcc, exec, s[8:9]
	s_cbranch_vccnz .LBB39_952
; %bb.951:
	global_load_ubyte v1, v[4:5], off
	s_mov_b32 s8, 0
	s_waitcnt vmcnt(1)
	v_mov_b32_e32 v3, s8
	s_waitcnt vmcnt(0)
	v_and_b32_e32 v2, 0xffff, v1
.LBB39_952:
	s_or_b64 s[2:3], s[2:3], exec
.LBB39_953:
	s_or_b64 exec, exec, s[6:7]
	s_mov_b64 s[10:11], 0
	s_mov_b64 s[8:9], 0
                                        ; implicit-def: $sgpr16
                                        ; implicit-def: $vgpr6_vgpr7
                                        ; implicit-def: $vgpr4_vgpr5
	s_and_saveexec_b64 s[6:7], s[2:3]
	s_cbranch_execz .LBB39_961
; %bb.954:
	v_mov_b32_e32 v1, 0
	s_and_b32 s16, s73, 0xff
	s_waitcnt vmcnt(0)
	v_not_b32_e32 v5, v3
	v_not_b32_e32 v4, v2
	s_cmp_lt_i32 s16, 11
	s_waitcnt lgkmcnt(0)
	v_lshl_add_u64 v[6:7], s[20:21], 0, v[0:1]
	s_cbranch_scc1 .LBB39_964
; %bb.955:
	s_and_b32 s17, 0xffff, s16
	s_mov_b64 s[10:11], -1
	s_cmp_gt_i32 s17, 25
	s_mov_b64 s[2:3], s[54:55]
	s_cbranch_scc0 .LBB39_992
; %bb.956:
	s_mov_b64 s[8:9], -1
	s_cmp_gt_i32 s17, 28
	s_mov_b64 s[2:3], s[54:55]
	s_cbranch_scc0 .LBB39_976
; %bb.957:
	s_cmp_gt_i32 s17, 43
	s_mov_b64 s[2:3], s[54:55]
	s_cbranch_scc0 .LBB39_972
; %bb.958:
	;; [unrolled: 4-line block ×3, first 2 shown]
	s_cmp_eq_u32 s17, 46
	s_mov_b64 s[2:3], -1
	s_cbranch_scc0 .LBB39_965
; %bb.960:
	v_xor_b32_e32 v1, v4, v5
	v_ffbh_i32_e32 v0, v5
	v_ashrrev_i32_e32 v1, 31, v1
	v_add_u32_e32 v0, -1, v0
	v_add_u32_e32 v1, 32, v1
	v_min_u32_e32 v8, v0, v1
	v_lshlrev_b64 v[0:1], v8, v[4:5]
	v_min_u32_e32 v0, 1, v0
	v_or_b32_e32 v0, v1, v0
	v_cvt_f32_i32_e32 v0, v0
	v_sub_u32_e32 v1, 32, v8
	s_movk_i32 s2, 0x7fff
	s_mov_b64 s[8:9], 0
	v_ldexp_f32 v0, v0, v1
	v_bfe_u32 v1, v0, 16, 1
	v_add3_u32 v0, v0, v1, s2
	v_lshrrev_b32_e32 v0, 16, v0
	global_store_dword v[6:7], v0, off
	s_mov_b64 s[2:3], 0
	s_branch .LBB39_966
.LBB39_961:
	s_or_b64 exec, exec, s[6:7]
	s_and_saveexec_b64 s[2:3], s[54:55]
	s_cbranch_execnz .LBB39_1034
.LBB39_962:
	s_or_b64 exec, exec, s[2:3]
	s_and_saveexec_b64 s[2:3], s[10:11]
	s_xor_b64 s[2:3], exec, s[2:3]
	s_cbranch_execz .LBB39_1035
.LBB39_963:
	s_waitcnt vmcnt(0)
	v_cmp_ne_u64_e32 vcc, -1, v[2:3]
	s_nop 1
	v_cndmask_b32_e64 v0, 0, 1, vcc
	global_store_byte v[6:7], v0, off
	s_or_b64 exec, exec, s[2:3]
	s_and_saveexec_b64 s[2:3], s[8:9]
	s_xor_b64 s[2:3], exec, s[2:3]
	s_cbranch_execz .LBB39_1073
	s_branch .LBB39_1036
.LBB39_964:
	s_mov_b64 s[8:9], -1
	s_mov_b64 s[2:3], s[54:55]
	s_branch .LBB39_1033
.LBB39_965:
	s_mov_b64 s[8:9], 0
.LBB39_966:
	s_and_b64 vcc, exec, s[8:9]
	s_cbranch_vccz .LBB39_971
; %bb.967:
	s_cmp_eq_u32 s17, 44
	s_mov_b64 s[2:3], -1
	s_cbranch_scc0 .LBB39_971
; %bb.968:
	v_xor_b32_e32 v1, v4, v5
	v_ffbh_i32_e32 v0, v5
	v_ashrrev_i32_e32 v1, 31, v1
	v_add_u32_e32 v0, -1, v0
	v_add_u32_e32 v1, 32, v1
	v_min_u32_e32 v8, v0, v1
	v_lshlrev_b64 v[0:1], v8, v[4:5]
	v_min_u32_e32 v0, 1, v0
	v_or_b32_e32 v0, v1, v0
	v_cvt_f32_i32_e32 v0, v0
	v_sub_u32_e32 v1, 32, v8
	s_movk_i32 s2, 0xff
	v_mov_b32_e32 v8, 0xff
	v_ldexp_f32 v0, v0, v1
	v_bfe_u32 v1, v0, 23, 8
	v_cmp_ne_u32_e32 vcc, s2, v1
	s_and_saveexec_b64 s[8:9], vcc
; %bb.969:
	s_mov_b32 s2, 0x3fffff
	v_lshrrev_b32_e32 v8, 23, v0
	v_and_b32_e32 v9, 0x400000, v0
	v_and_or_b32 v0, v0, s2, v1
	v_cmp_ne_u32_e32 vcc, 0, v9
	v_cmp_ne_u32_e64 s[2:3], 0, v0
	s_and_b64 s[2:3], vcc, s[2:3]
	s_nop 0
	v_cndmask_b32_e64 v0, 0, 1, s[2:3]
	v_add_u32_e32 v8, v8, v0
; %bb.970:
	s_or_b64 exec, exec, s[8:9]
	s_mov_b64 s[2:3], 0
	global_store_byte v[6:7], v8, off
.LBB39_971:
	s_mov_b64 s[8:9], 0
.LBB39_972:
	s_and_b64 vcc, exec, s[8:9]
	s_cbranch_vccz .LBB39_975
; %bb.973:
	s_cmp_eq_u32 s17, 29
	s_mov_b64 s[2:3], -1
	s_cbranch_scc0 .LBB39_975
; %bb.974:
	global_store_dwordx2 v[6:7], v[4:5], off
	s_mov_b64 s[2:3], 0
.LBB39_975:
	s_mov_b64 s[8:9], 0
.LBB39_976:
	s_and_b64 vcc, exec, s[8:9]
	s_cbranch_vccz .LBB39_991
; %bb.977:
	s_cmp_lt_i32 s17, 27
	s_mov_b64 s[8:9], -1
	s_cbranch_scc1 .LBB39_983
; %bb.978:
	s_cmp_gt_i32 s17, 27
	s_cbranch_scc0 .LBB39_980
; %bb.979:
	s_mov_b64 s[8:9], 0
	global_store_dword v[6:7], v4, off
.LBB39_980:
	s_andn2_b64 vcc, exec, s[8:9]
	s_cbranch_vccnz .LBB39_982
; %bb.981:
	global_store_short v[6:7], v4, off
.LBB39_982:
	s_mov_b64 s[8:9], 0
.LBB39_983:
	s_andn2_b64 vcc, exec, s[8:9]
	s_cbranch_vccnz .LBB39_991
; %bb.984:
	v_xor_b32_e32 v1, v4, v5
	v_ffbh_i32_e32 v0, v5
	v_ashrrev_i32_e32 v1, 31, v1
	v_add_u32_e32 v0, -1, v0
	v_add_u32_e32 v1, 32, v1
	v_min_u32_e32 v8, v0, v1
	v_lshlrev_b64 v[0:1], v8, v[4:5]
	v_min_u32_e32 v0, 1, v0
	v_or_b32_e32 v0, v1, v0
	v_cvt_f32_i32_e32 v0, v0
	v_sub_u32_e32 v1, 32, v8
	s_mov_b32 s8, 0x43800000
	v_mov_b32_e32 v8, 0x80
	v_ldexp_f32 v0, v0, v1
	v_and_b32_e32 v1, 0x7fffffff, v0
	v_cmp_gt_u32_e32 vcc, s8, v1
	s_and_saveexec_b64 s[8:9], vcc
	s_cbranch_execz .LBB39_990
; %bb.985:
	s_mov_b32 s10, 0x3bffffff
	v_cmp_lt_u32_e32 vcc, s10, v1
	s_mov_b64 s[10:11], 0
                                        ; implicit-def: $vgpr1
	s_and_saveexec_b64 s[12:13], vcc
	s_xor_b64 s[12:13], exec, s[12:13]
	s_cbranch_execz .LBB39_1144
; %bb.986:
	v_bfe_u32 v1, v0, 20, 1
	s_mov_b32 s14, 0x487ffff
	v_add3_u32 v1, v0, v1, s14
	s_mov_b64 s[10:11], exec
	v_lshrrev_b32_e32 v1, 20, v1
	s_andn2_saveexec_b64 s[12:13], s[12:13]
	s_cbranch_execnz .LBB39_1145
.LBB39_987:
	s_or_b64 exec, exec, s[12:13]
	v_mov_b32_e32 v8, 0
	s_and_saveexec_b64 s[12:13], s[10:11]
.LBB39_988:
	v_lshrrev_b32_e32 v0, 24, v0
	s_movk_i32 s10, 0x80
	v_and_or_b32 v8, v0, s10, v1
.LBB39_989:
	s_or_b64 exec, exec, s[12:13]
.LBB39_990:
	s_or_b64 exec, exec, s[8:9]
	global_store_byte v[6:7], v8, off
.LBB39_991:
	s_mov_b64 s[10:11], 0
.LBB39_992:
	s_mov_b64 s[8:9], 0
	s_and_b64 vcc, exec, s[10:11]
	s_cbranch_vccz .LBB39_1032
; %bb.993:
	s_cmp_gt_i32 s17, 22
	s_mov_b64 s[10:11], -1
	s_cbranch_scc0 .LBB39_1025
; %bb.994:
	s_cmp_lt_i32 s17, 24
	s_cbranch_scc1 .LBB39_1014
; %bb.995:
	s_cmp_gt_i32 s17, 24
	s_cbranch_scc0 .LBB39_1003
; %bb.996:
	v_xor_b32_e32 v1, v4, v5
	v_ffbh_i32_e32 v0, v5
	v_ashrrev_i32_e32 v1, 31, v1
	v_add_u32_e32 v0, -1, v0
	v_add_u32_e32 v1, 32, v1
	v_min_u32_e32 v8, v0, v1
	v_lshlrev_b64 v[0:1], v8, v[4:5]
	v_min_u32_e32 v0, 1, v0
	v_or_b32_e32 v0, v1, v0
	v_cvt_f32_i32_e32 v0, v0
	v_sub_u32_e32 v1, 32, v8
	s_mov_b32 s10, 0x47800000
	v_mov_b32_e32 v8, 0x80
	v_ldexp_f32 v0, v0, v1
	v_and_b32_e32 v1, 0x7fffffff, v0
	v_cmp_gt_u32_e32 vcc, s10, v1
	s_and_saveexec_b64 s[10:11], vcc
	s_cbranch_execz .LBB39_1002
; %bb.997:
	s_mov_b32 s12, 0x37ffffff
	v_cmp_lt_u32_e32 vcc, s12, v1
	s_mov_b64 s[12:13], 0
                                        ; implicit-def: $vgpr1
	s_and_saveexec_b64 s[14:15], vcc
	s_xor_b64 s[14:15], exec, s[14:15]
	s_cbranch_execz .LBB39_1264
; %bb.998:
	v_bfe_u32 v1, v0, 21, 1
	s_mov_b32 s18, 0x88fffff
	v_add3_u32 v1, v0, v1, s18
	s_mov_b64 s[12:13], exec
	v_lshrrev_b32_e32 v1, 21, v1
	s_andn2_saveexec_b64 s[14:15], s[14:15]
	s_cbranch_execnz .LBB39_1265
.LBB39_999:
	s_or_b64 exec, exec, s[14:15]
	v_mov_b32_e32 v8, 0
	s_and_saveexec_b64 s[14:15], s[12:13]
.LBB39_1000:
	v_lshrrev_b32_e32 v0, 24, v0
	s_movk_i32 s12, 0x80
	v_and_or_b32 v8, v0, s12, v1
.LBB39_1001:
	s_or_b64 exec, exec, s[14:15]
.LBB39_1002:
	s_or_b64 exec, exec, s[10:11]
	s_mov_b64 s[10:11], 0
	global_store_byte v[6:7], v8, off
.LBB39_1003:
	s_and_b64 vcc, exec, s[10:11]
	s_cbranch_vccz .LBB39_1013
; %bb.1004:
	v_xor_b32_e32 v1, v4, v5
	v_ffbh_i32_e32 v0, v5
	v_ashrrev_i32_e32 v1, 31, v1
	v_add_u32_e32 v0, -1, v0
	v_add_u32_e32 v1, 32, v1
	v_min_u32_e32 v8, v0, v1
	v_lshlrev_b64 v[0:1], v8, v[4:5]
	v_min_u32_e32 v0, 1, v0
	v_or_b32_e32 v0, v1, v0
	v_cvt_f32_i32_e32 v0, v0
	v_sub_u32_e32 v1, 32, v8
	s_mov_b32 s10, 0x43f00000
	v_ldexp_f32 v0, v0, v1
	v_and_b32_e32 v8, 0x7fffffff, v0
	v_cmp_gt_u32_e32 vcc, s10, v8
                                        ; implicit-def: $vgpr1
	s_and_saveexec_b64 s[10:11], vcc
	s_xor_b64 s[10:11], exec, s[10:11]
	s_cbranch_execz .LBB39_1010
; %bb.1005:
	s_mov_b32 s12, 0x3c7fffff
	v_cmp_lt_u32_e32 vcc, s12, v8
                                        ; implicit-def: $vgpr1
	s_and_saveexec_b64 s[12:13], vcc
	s_xor_b64 s[12:13], exec, s[12:13]
; %bb.1006:
	v_bfe_u32 v1, v0, 20, 1
	s_mov_b32 s14, 0x407ffff
	v_add3_u32 v1, v0, v1, s14
	v_lshrrev_b32_e32 v8, 20, v1
	v_and_b32_e32 v1, 0xff00000, v1
	s_mov_b32 s14, 0x7f00000
	v_mov_b32_e32 v9, 0x7e
	v_cmp_ne_u32_e32 vcc, s14, v1
	s_nop 1
	v_cndmask_b32_e32 v1, v9, v8, vcc
; %bb.1007:
	s_andn2_saveexec_b64 s[12:13], s[12:13]
; %bb.1008:
	s_mov_b32 s14, 0x46800000
	v_add_f32_e64 v1, |v0|, s14
; %bb.1009:
	s_or_b64 exec, exec, s[12:13]
                                        ; implicit-def: $vgpr8
.LBB39_1010:
	s_andn2_saveexec_b64 s[10:11], s[10:11]
; %bb.1011:
	s_mov_b32 s12, 0x7f800000
	v_mov_b32_e32 v1, 0x7e
	v_mov_b32_e32 v9, 0x7f
	v_cmp_lt_u32_e32 vcc, s12, v8
	s_nop 1
	v_cndmask_b32_e32 v1, v1, v9, vcc
; %bb.1012:
	s_or_b64 exec, exec, s[10:11]
	v_lshrrev_b32_e32 v0, 24, v0
	s_movk_i32 s10, 0x80
	v_and_or_b32 v0, v0, s10, v1
	global_store_byte v[6:7], v0, off
.LBB39_1013:
	s_mov_b64 s[10:11], 0
.LBB39_1014:
	s_andn2_b64 vcc, exec, s[10:11]
	s_cbranch_vccnz .LBB39_1024
; %bb.1015:
	v_xor_b32_e32 v1, v4, v5
	v_ffbh_i32_e32 v0, v5
	v_ashrrev_i32_e32 v1, 31, v1
	v_add_u32_e32 v0, -1, v0
	v_add_u32_e32 v1, 32, v1
	v_min_u32_e32 v8, v0, v1
	v_lshlrev_b64 v[0:1], v8, v[4:5]
	v_min_u32_e32 v0, 1, v0
	v_or_b32_e32 v0, v1, v0
	v_cvt_f32_i32_e32 v0, v0
	v_sub_u32_e32 v1, 32, v8
	s_mov_b32 s10, 0x47800000
	v_ldexp_f32 v0, v0, v1
	v_and_b32_e32 v8, 0x7fffffff, v0
	v_cmp_gt_u32_e32 vcc, s10, v8
                                        ; implicit-def: $vgpr1
	s_and_saveexec_b64 s[10:11], vcc
	s_xor_b64 s[10:11], exec, s[10:11]
	s_cbranch_execz .LBB39_1021
; %bb.1016:
	s_mov_b32 s12, 0x387fffff
	v_cmp_lt_u32_e32 vcc, s12, v8
                                        ; implicit-def: $vgpr1
	s_and_saveexec_b64 s[12:13], vcc
	s_xor_b64 s[12:13], exec, s[12:13]
; %bb.1017:
	v_bfe_u32 v1, v0, 21, 1
	s_mov_b32 s14, 0x80fffff
	v_add3_u32 v1, v0, v1, s14
	v_lshrrev_b32_e32 v1, 21, v1
; %bb.1018:
	s_andn2_saveexec_b64 s[12:13], s[12:13]
; %bb.1019:
	s_mov_b32 s14, 0x43000000
	v_add_f32_e64 v1, |v0|, s14
; %bb.1020:
	s_or_b64 exec, exec, s[12:13]
                                        ; implicit-def: $vgpr8
.LBB39_1021:
	s_andn2_saveexec_b64 s[10:11], s[10:11]
; %bb.1022:
	s_mov_b32 s12, 0x7f800000
	v_mov_b32_e32 v1, 0x7c
	v_mov_b32_e32 v9, 0x7f
	v_cmp_lt_u32_e32 vcc, s12, v8
	s_nop 1
	v_cndmask_b32_e32 v1, v1, v9, vcc
; %bb.1023:
	s_or_b64 exec, exec, s[10:11]
	v_lshrrev_b32_e32 v0, 24, v0
	s_movk_i32 s10, 0x80
	v_and_or_b32 v0, v0, s10, v1
	global_store_byte v[6:7], v0, off
.LBB39_1024:
	s_mov_b64 s[10:11], 0
.LBB39_1025:
	s_andn2_b64 vcc, exec, s[10:11]
	s_mov_b64 s[10:11], 0
	s_cbranch_vccnz .LBB39_1033
; %bb.1026:
	s_cmp_gt_i32 s17, 14
	s_mov_b64 s[12:13], -1
	s_cbranch_scc0 .LBB39_1030
; %bb.1027:
	s_cmp_eq_u32 s17, 15
	s_mov_b64 s[2:3], -1
	s_cbranch_scc0 .LBB39_1029
; %bb.1028:
	v_xor_b32_e32 v1, v4, v5
	v_ffbh_i32_e32 v0, v5
	v_ashrrev_i32_e32 v1, 31, v1
	v_add_u32_e32 v0, -1, v0
	v_add_u32_e32 v1, 32, v1
	v_min_u32_e32 v8, v0, v1
	v_lshlrev_b64 v[0:1], v8, v[4:5]
	v_min_u32_e32 v0, 1, v0
	v_or_b32_e32 v0, v1, v0
	v_cvt_f32_i32_e32 v0, v0
	v_sub_u32_e32 v1, 32, v8
	s_movk_i32 s2, 0x7fff
	v_ldexp_f32 v0, v0, v1
	v_bfe_u32 v1, v0, 16, 1
	v_add3_u32 v0, v0, v1, s2
	global_store_short_d16_hi v[6:7], v0, off
	s_mov_b64 s[2:3], 0
.LBB39_1029:
	s_mov_b64 s[12:13], 0
.LBB39_1030:
	s_and_b64 vcc, exec, s[12:13]
	s_cbranch_vccz .LBB39_1033
; %bb.1031:
	s_cmp_lg_u32 s17, 11
	s_cselect_b64 s[12:13], -1, 0
	s_andn2_b64 s[2:3], s[2:3], exec
	s_and_b64 s[12:13], s[12:13], exec
	s_mov_b64 s[10:11], -1
	s_or_b64 s[2:3], s[2:3], s[12:13]
	s_branch .LBB39_1033
.LBB39_1032:
	s_mov_b64 s[10:11], 0
.LBB39_1033:
	s_andn2_b64 s[12:13], s[54:55], exec
	s_and_b64 s[2:3], s[2:3], exec
	s_and_b64 s[8:9], s[8:9], exec
	;; [unrolled: 1-line block ×3, first 2 shown]
	s_or_b64 s[54:55], s[12:13], s[2:3]
	s_or_b64 exec, exec, s[6:7]
	s_and_saveexec_b64 s[2:3], s[54:55]
	s_cbranch_execz .LBB39_962
.LBB39_1034:
	s_or_b64 s[4:5], s[4:5], exec
	s_andn2_b64 s[10:11], s[10:11], exec
	s_trap 2
	s_or_b64 exec, exec, s[2:3]
	s_and_saveexec_b64 s[2:3], s[10:11]
	s_xor_b64 s[2:3], exec, s[2:3]
	s_cbranch_execnz .LBB39_963
.LBB39_1035:
	s_or_b64 exec, exec, s[2:3]
	s_and_saveexec_b64 s[2:3], s[8:9]
	s_xor_b64 s[2:3], exec, s[2:3]
	s_cbranch_execz .LBB39_1073
.LBB39_1036:
	s_sext_i32_i16 s8, s16
	s_cmp_lt_i32 s8, 5
	s_mov_b64 s[6:7], -1
	s_cbranch_scc1 .LBB39_1057
; %bb.1037:
	s_cmp_lt_i32 s8, 8
	s_cbranch_scc1 .LBB39_1047
; %bb.1038:
	s_cmp_lt_i32 s8, 9
	s_cbranch_scc1 .LBB39_1044
; %bb.1039:
	s_cmp_gt_i32 s8, 9
	s_cbranch_scc0 .LBB39_1041
; %bb.1040:
	v_cvt_f64_i32_e32 v[0:1], v5
	v_ldexp_f64 v[0:1], v[0:1], 32
	s_waitcnt vmcnt(0)
	v_cvt_f64_u32_e32 v[2:3], v4
	v_add_f64 v[0:1], v[0:1], v[2:3]
	v_mov_b32_e32 v2, 0
	v_mov_b32_e32 v3, v2
	s_mov_b64 s[6:7], 0
	global_store_dwordx4 v[6:7], v[0:3], off
.LBB39_1041:
	s_andn2_b64 vcc, exec, s[6:7]
	s_cbranch_vccnz .LBB39_1043
; %bb.1042:
	v_xor_b32_e32 v1, v4, v5
	v_ffbh_i32_e32 v0, v5
	v_ashrrev_i32_e32 v1, 31, v1
	v_add_u32_e32 v0, -1, v0
	v_add_u32_e32 v1, 32, v1
	s_waitcnt vmcnt(0)
	v_min_u32_e32 v2, v0, v1
	v_lshlrev_b64 v[0:1], v2, v[4:5]
	v_min_u32_e32 v0, 1, v0
	v_or_b32_e32 v0, v1, v0
	v_cvt_f32_i32_e32 v0, v0
	v_sub_u32_e32 v1, 32, v2
	v_ldexp_f32 v0, v0, v1
	v_mov_b32_e32 v1, 0
	global_store_dwordx2 v[6:7], v[0:1], off
.LBB39_1043:
	s_mov_b64 s[6:7], 0
.LBB39_1044:
	s_andn2_b64 vcc, exec, s[6:7]
	s_cbranch_vccnz .LBB39_1046
; %bb.1045:
	v_xor_b32_e32 v1, v4, v5
	v_ffbh_i32_e32 v0, v5
	v_ashrrev_i32_e32 v1, 31, v1
	v_add_u32_e32 v0, -1, v0
	v_add_u32_e32 v1, 32, v1
	s_waitcnt vmcnt(0)
	v_min_u32_e32 v2, v0, v1
	v_lshlrev_b64 v[0:1], v2, v[4:5]
	v_min_u32_e32 v0, 1, v0
	v_or_b32_e32 v0, v1, v0
	v_cvt_f32_i32_e32 v0, v0
	v_sub_u32_e32 v1, 32, v2
	v_ldexp_f32 v0, v0, v1
	v_cvt_f16_f32_e32 v0, v0
	global_store_dword v[6:7], v0, off
.LBB39_1046:
	s_mov_b64 s[6:7], 0
.LBB39_1047:
	s_andn2_b64 vcc, exec, s[6:7]
	s_cbranch_vccnz .LBB39_1056
; %bb.1048:
	s_sext_i32_i16 s8, s16
	s_cmp_lt_i32 s8, 6
	s_mov_b64 s[6:7], -1
	s_cbranch_scc1 .LBB39_1054
; %bb.1049:
	s_cmp_gt_i32 s8, 6
	s_cbranch_scc0 .LBB39_1051
; %bb.1050:
	v_cvt_f64_i32_e32 v[0:1], v5
	v_ldexp_f64 v[0:1], v[0:1], 32
	s_waitcnt vmcnt(0)
	v_cvt_f64_u32_e32 v[2:3], v4
	v_add_f64 v[0:1], v[0:1], v[2:3]
	s_mov_b64 s[6:7], 0
	global_store_dwordx2 v[6:7], v[0:1], off
.LBB39_1051:
	s_andn2_b64 vcc, exec, s[6:7]
	s_cbranch_vccnz .LBB39_1053
; %bb.1052:
	v_xor_b32_e32 v1, v4, v5
	v_ffbh_i32_e32 v0, v5
	v_ashrrev_i32_e32 v1, 31, v1
	v_add_u32_e32 v0, -1, v0
	v_add_u32_e32 v1, 32, v1
	s_waitcnt vmcnt(0)
	v_min_u32_e32 v2, v0, v1
	v_lshlrev_b64 v[0:1], v2, v[4:5]
	v_min_u32_e32 v0, 1, v0
	v_or_b32_e32 v0, v1, v0
	v_cvt_f32_i32_e32 v0, v0
	v_sub_u32_e32 v1, 32, v2
	v_ldexp_f32 v0, v0, v1
	global_store_dword v[6:7], v0, off
.LBB39_1053:
	s_mov_b64 s[6:7], 0
.LBB39_1054:
	s_andn2_b64 vcc, exec, s[6:7]
	s_cbranch_vccnz .LBB39_1056
; %bb.1055:
	v_xor_b32_e32 v1, v4, v5
	v_ffbh_i32_e32 v0, v5
	v_ashrrev_i32_e32 v1, 31, v1
	v_add_u32_e32 v0, -1, v0
	v_add_u32_e32 v1, 32, v1
	s_waitcnt vmcnt(0)
	v_min_u32_e32 v2, v0, v1
	v_lshlrev_b64 v[0:1], v2, v[4:5]
	v_min_u32_e32 v0, 1, v0
	v_or_b32_e32 v0, v1, v0
	v_cvt_f32_i32_e32 v0, v0
	v_sub_u32_e32 v1, 32, v2
	v_ldexp_f32 v0, v0, v1
	v_cvt_f16_f32_e32 v0, v0
	global_store_short v[6:7], v0, off
.LBB39_1056:
	s_mov_b64 s[6:7], 0
.LBB39_1057:
	s_andn2_b64 vcc, exec, s[6:7]
	s_cbranch_vccnz .LBB39_1073
; %bb.1058:
	s_sext_i32_i16 s8, s16
	s_cmp_lt_i32 s8, 2
	s_mov_b64 s[6:7], -1
	s_cbranch_scc1 .LBB39_1068
; %bb.1059:
	s_cmp_lt_i32 s8, 3
	s_cbranch_scc1 .LBB39_1065
; %bb.1060:
	s_cmp_gt_i32 s8, 3
	s_cbranch_scc0 .LBB39_1062
; %bb.1061:
	s_mov_b64 s[6:7], 0
	global_store_dwordx2 v[6:7], v[4:5], off
.LBB39_1062:
	s_andn2_b64 vcc, exec, s[6:7]
	s_cbranch_vccnz .LBB39_1064
; %bb.1063:
	global_store_dword v[6:7], v4, off
.LBB39_1064:
	s_mov_b64 s[6:7], 0
.LBB39_1065:
	s_andn2_b64 vcc, exec, s[6:7]
	s_cbranch_vccnz .LBB39_1067
; %bb.1066:
	global_store_short v[6:7], v4, off
.LBB39_1067:
	s_mov_b64 s[6:7], 0
.LBB39_1068:
	s_andn2_b64 vcc, exec, s[6:7]
	s_cbranch_vccnz .LBB39_1073
; %bb.1069:
	s_sext_i32_i16 s6, s16
	s_cmp_gt_i32 s6, 0
	s_mov_b64 s[6:7], -1
	s_cbranch_scc0 .LBB39_1071
; %bb.1070:
	s_mov_b64 s[6:7], 0
	global_store_byte v[6:7], v4, off
.LBB39_1071:
	s_andn2_b64 vcc, exec, s[6:7]
	s_cbranch_vccnz .LBB39_1073
; %bb.1072:
	global_store_byte v[6:7], v4, off
.LBB39_1073:
	s_or_b64 exec, exec, s[2:3]
	s_waitcnt lgkmcnt(0)
	s_and_b64 s[24:25], s[4:5], exec
                                        ; implicit-def: $vgpr16
                                        ; implicit-def: $vgpr14
.LBB39_1074:
	s_or_saveexec_b64 s[26:27], s[44:45]
	s_mov_b64 s[6:7], 0
                                        ; implicit-def: $vgpr0_vgpr1
                                        ; implicit-def: $sgpr14
                                        ; implicit-def: $vgpr2_vgpr3
                                        ; implicit-def: $vgpr12_vgpr13
	s_xor_b64 exec, exec, s[26:27]
	s_cbranch_execz .LBB39_1515
; %bb.1075:
	v_cndmask_b32_e64 v0, 0, 1, s[42:43]
	v_cmp_ne_u32_e64 s[2:3], 1, v0
	s_andn2_b64 vcc, exec, s[42:43]
	s_cbranch_vccnz .LBB39_1081
; %bb.1076:
	s_cmp_lg_u32 s33, 0
	s_mov_b32 s36, 0
	s_cbranch_scc0 .LBB39_1082
; %bb.1077:
	s_min_u32 s37, s72, 15
	s_add_i32 s37, s37, 1
	s_cmp_eq_u32 s72, 2
	s_cbranch_scc1 .LBB39_1083
; %bb.1078:
	s_and_b32 s36, s37, 28
	s_add_u32 s28, s34, 0xc4
	s_addc_u32 s29, s35, 0
	s_mov_b32 s38, 0
	v_mov_b32_e32 v6, 0
	v_mov_b32_e32 v8, 0
	s_mov_b64 s[30:31], s[34:35]
	v_mov_b32_e32 v0, v14
.LBB39_1079:                            ; =>This Inner Loop Header: Depth=1
	s_load_dwordx8 s[12:19], s[30:31], 0x4
	s_load_dwordx4 s[20:23], s[30:31], 0x24
	s_load_dwordx8 s[4:11], s[28:29], 0x0
	s_add_u32 s30, s30, 48
	s_addc_u32 s31, s31, 0
	s_waitcnt lgkmcnt(0)
	v_mul_hi_u32 v1, s13, v0
	v_add_u32_e32 v1, v0, v1
	v_lshrrev_b32_e32 v1, s14, v1
	s_waitcnt vmcnt(0)
	v_mul_lo_u32 v2, v1, s12
	v_mul_hi_u32 v3, s16, v1
	v_sub_u32_e32 v0, v0, v2
	v_add_u32_e32 v2, v1, v3
	v_lshrrev_b32_e32 v2, s17, v2
	v_mul_lo_u32 v4, v2, s15
	v_mul_hi_u32 v5, s19, v2
	v_sub_u32_e32 v1, v1, v4
	v_add_u32_e32 v4, v2, v5
	v_mul_lo_u32 v3, v0, s5
	v_mul_lo_u32 v0, v0, s4
	;; [unrolled: 1-line block ×4, first 2 shown]
	v_lshrrev_b32_e32 v4, s20, v4
	v_add3_u32 v1, v0, v6, v1
	v_add3_u32 v3, v3, v8, v5
	v_mul_lo_u32 v0, v4, s18
	v_mul_hi_u32 v5, s22, v4
	v_sub_u32_e32 v0, v2, v0
	v_add_u32_e32 v2, v4, v5
	v_mul_lo_u32 v5, v0, s8
	v_mul_lo_u32 v6, v0, s9
	v_lshrrev_b32_e32 v0, s23, v2
	s_add_i32 s38, s38, 4
	v_mul_lo_u32 v2, v0, s21
	s_add_u32 s28, s28, 32
	v_sub_u32_e32 v2, v4, v2
	s_addc_u32 s29, s29, 0
	v_mul_lo_u32 v4, v2, s10
	v_mul_lo_u32 v2, v2, s11
	s_cmp_lg_u32 s36, s38
	v_add3_u32 v8, v6, v3, v2
	v_add3_u32 v6, v5, v1, v4
	s_cbranch_scc1 .LBB39_1079
; %bb.1080:
	v_mov_b32_e32 v1, v8
	s_and_b32 s8, s37, 3
	s_cmp_eq_u32 s8, 0
	s_cbranch_scc0 .LBB39_1084
	s_branch .LBB39_1086
.LBB39_1081:
                                        ; implicit-def: $vgpr8
                                        ; implicit-def: $vgpr6
	s_branch .LBB39_1087
.LBB39_1082:
	v_mov_b32_e32 v8, 0
	v_mov_b32_e32 v6, 0
	s_branch .LBB39_1086
.LBB39_1083:
	v_mov_b32_e32 v6, 0
                                        ; implicit-def: $vgpr8
	v_mov_b32_e32 v1, v6
	v_mov_b32_e32 v0, v14
	s_and_b32 s8, s37, 3
	s_cmp_eq_u32 s8, 0
	s_cbranch_scc1 .LBB39_1086
.LBB39_1084:
	s_lshl_b32 s4, s36, 3
	s_add_u32 s4, s34, s4
	s_addc_u32 s5, s35, 0
	s_add_u32 s4, s4, 0xc4
	s_addc_u32 s5, s5, 0
	s_mul_i32 s6, s36, 12
	s_add_u32 s6, s34, s6
	s_addc_u32 s7, s35, 0
.LBB39_1085:                            ; =>This Inner Loop Header: Depth=1
	s_load_dwordx2 s[10:11], s[6:7], 0x4
	s_load_dword s9, s[6:7], 0xc
	s_load_dwordx2 s[12:13], s[4:5], 0x0
	s_waitcnt vmcnt(0)
	v_mov_b32_e32 v2, v1
	s_add_u32 s6, s6, 12
	s_waitcnt lgkmcnt(0)
	v_mul_hi_u32 v1, s11, v0
	v_add_u32_e32 v1, v0, v1
	v_lshrrev_b32_e32 v1, s9, v1
	s_addc_u32 s7, s7, 0
	v_mul_lo_u32 v3, v1, s10
	s_add_u32 s4, s4, 8
	v_sub_u32_e32 v3, v0, v3
	s_addc_u32 s5, s5, 0
	s_add_i32 s8, s8, -1
	v_mad_u64_u32 v[8:9], s[10:11], v3, s13, v[2:3]
	s_cmp_lg_u32 s8, 0
	v_mov_b32_e32 v0, v1
	v_mad_u64_u32 v[6:7], s[10:11], v3, s12, v[6:7]
	v_mov_b32_e32 v1, v8
	s_cbranch_scc1 .LBB39_1085
.LBB39_1086:
	s_cbranch_execnz .LBB39_1089
.LBB39_1087:
	s_load_dwordx4 s[4:7], s[34:35], 0x4
	s_load_dwordx2 s[8:9], s[34:35], 0xc4
	s_cmp_lt_u32 s33, 2
	s_waitcnt lgkmcnt(0)
	v_mul_hi_u32 v0, s5, v14
	v_add_u32_e32 v0, v14, v0
	v_lshrrev_b32_e32 v0, s6, v0
	v_mul_lo_u32 v1, v0, s4
	v_sub_u32_e32 v1, v14, v1
	v_mul_lo_u32 v8, v1, s9
	v_mul_lo_u32 v6, v1, s8
	s_cbranch_scc1 .LBB39_1089
; %bb.1088:
	s_load_dwordx4 s[4:7], s[34:35], 0x10
	s_load_dwordx2 s[8:9], s[34:35], 0xcc
	s_waitcnt lgkmcnt(0)
	v_mul_hi_u32 v1, s5, v0
	v_add_u32_e32 v1, v0, v1
	v_lshrrev_b32_e32 v1, s6, v1
	v_mul_lo_u32 v1, v1, s4
	v_sub_u32_e32 v0, v0, v1
	v_mad_u64_u32 v[6:7], s[4:5], v0, s8, v[6:7]
	v_mad_u64_u32 v[8:9], s[4:5], v0, s9, v[8:9]
.LBB39_1089:
	s_and_b64 vcc, exec, s[2:3]
	v_add_u32_e32 v0, 0x80, v14
	s_cbranch_vccnz .LBB39_1095
; %bb.1090:
	s_cmp_lg_u32 s33, 0
	s_mov_b32 s36, 0
	s_cbranch_scc0 .LBB39_1096
; %bb.1091:
	s_min_u32 s37, s72, 15
	s_add_i32 s37, s37, 1
	s_cmp_eq_u32 s72, 2
	s_cbranch_scc1 .LBB39_1097
; %bb.1092:
	s_and_b32 s36, s37, 28
	s_add_u32 s28, s34, 0xc4
	s_addc_u32 s29, s35, 0
	s_mov_b32 s38, 0
	v_mov_b32_e32 v4, 0
	v_mov_b32_e32 v10, 0
	s_mov_b64 s[30:31], s[34:35]
	s_waitcnt vmcnt(0)
	v_mov_b32_e32 v2, v0
.LBB39_1093:                            ; =>This Inner Loop Header: Depth=1
	s_load_dwordx8 s[12:19], s[30:31], 0x4
	s_load_dwordx4 s[20:23], s[30:31], 0x24
	s_load_dwordx8 s[4:11], s[28:29], 0x0
	s_add_u32 s30, s30, 48
	s_addc_u32 s31, s31, 0
	s_waitcnt lgkmcnt(0)
	v_mul_hi_u32 v1, s13, v2
	v_add_u32_e32 v1, v2, v1
	v_lshrrev_b32_e32 v1, s14, v1
	v_mul_lo_u32 v3, v1, s12
	v_mul_hi_u32 v5, s16, v1
	v_sub_u32_e32 v2, v2, v3
	v_add_u32_e32 v3, v1, v5
	v_lshrrev_b32_e32 v3, s17, v3
	v_mul_lo_u32 v7, v3, s15
	v_mul_hi_u32 v9, s19, v3
	v_sub_u32_e32 v1, v1, v7
	v_add_u32_e32 v7, v3, v9
	v_mul_lo_u32 v5, v2, s5
	v_mul_lo_u32 v2, v2, s4
	;; [unrolled: 1-line block ×4, first 2 shown]
	v_lshrrev_b32_e32 v7, s20, v7
	v_add3_u32 v1, v2, v4, v1
	v_add3_u32 v4, v5, v10, v9
	v_mul_lo_u32 v2, v7, s18
	v_mul_hi_u32 v5, s22, v7
	v_sub_u32_e32 v2, v3, v2
	v_add_u32_e32 v3, v7, v5
	v_mul_lo_u32 v5, v2, s8
	v_mul_lo_u32 v9, v2, s9
	v_lshrrev_b32_e32 v2, s23, v3
	s_add_i32 s38, s38, 4
	v_mul_lo_u32 v3, v2, s21
	s_add_u32 s28, s28, 32
	v_sub_u32_e32 v3, v7, v3
	s_addc_u32 s29, s29, 0
	v_mul_lo_u32 v7, v3, s10
	v_mul_lo_u32 v3, v3, s11
	s_cmp_lg_u32 s36, s38
	v_add3_u32 v10, v9, v4, v3
	v_add3_u32 v4, v5, v1, v7
	s_cbranch_scc1 .LBB39_1093
; %bb.1094:
	v_mov_b32_e32 v1, v10
	s_and_b32 s8, s37, 3
	s_cmp_eq_u32 s8, 0
	s_cbranch_scc0 .LBB39_1098
	s_branch .LBB39_1100
.LBB39_1095:
                                        ; implicit-def: $vgpr10
                                        ; implicit-def: $vgpr4
	s_branch .LBB39_1101
.LBB39_1096:
	v_mov_b32_e32 v10, 0
	v_mov_b32_e32 v4, 0
	s_branch .LBB39_1100
.LBB39_1097:
	v_mov_b32_e32 v4, 0
                                        ; implicit-def: $vgpr10
	v_mov_b32_e32 v1, v4
	s_waitcnt vmcnt(0)
	v_mov_b32_e32 v2, v0
	s_and_b32 s8, s37, 3
	s_cmp_eq_u32 s8, 0
	s_cbranch_scc1 .LBB39_1100
.LBB39_1098:
	s_lshl_b32 s4, s36, 3
	s_add_u32 s4, s34, s4
	s_addc_u32 s5, s35, 0
	s_add_u32 s4, s4, 0xc4
	s_addc_u32 s5, s5, 0
	s_mul_i32 s6, s36, 12
	s_add_u32 s6, s34, s6
	s_addc_u32 s7, s35, 0
.LBB39_1099:                            ; =>This Inner Loop Header: Depth=1
	s_load_dwordx2 s[10:11], s[6:7], 0x4
	s_load_dword s9, s[6:7], 0xc
	s_load_dwordx2 s[12:13], s[4:5], 0x0
	v_mov_b32_e32 v10, v1
	s_add_u32 s6, s6, 12
	s_waitcnt lgkmcnt(0)
	v_mul_hi_u32 v1, s11, v2
	v_add_u32_e32 v1, v2, v1
	v_lshrrev_b32_e32 v1, s9, v1
	s_addc_u32 s7, s7, 0
	v_mul_lo_u32 v3, v1, s10
	s_add_u32 s4, s4, 8
	v_sub_u32_e32 v3, v2, v3
	s_addc_u32 s5, s5, 0
	s_add_i32 s8, s8, -1
	v_mad_u64_u32 v[10:11], s[10:11], v3, s13, v[10:11]
	s_cmp_lg_u32 s8, 0
	v_mov_b32_e32 v2, v1
	v_mad_u64_u32 v[4:5], s[10:11], v3, s12, v[4:5]
	v_mov_b32_e32 v1, v10
	s_cbranch_scc1 .LBB39_1099
.LBB39_1100:
	s_cbranch_execnz .LBB39_1103
.LBB39_1101:
	s_load_dwordx4 s[4:7], s[34:35], 0x4
	s_load_dwordx2 s[8:9], s[34:35], 0xc4
	s_cmp_lt_u32 s33, 2
	s_waitcnt lgkmcnt(0)
	v_mul_hi_u32 v1, s5, v0
	v_add_u32_e32 v1, v0, v1
	v_lshrrev_b32_e32 v1, s6, v1
	s_waitcnt vmcnt(0)
	v_mul_lo_u32 v2, v1, s4
	v_sub_u32_e32 v0, v0, v2
	v_mul_lo_u32 v10, v0, s9
	v_mul_lo_u32 v4, v0, s8
	s_cbranch_scc1 .LBB39_1103
; %bb.1102:
	s_load_dwordx4 s[4:7], s[34:35], 0x10
	s_load_dwordx2 s[8:9], s[34:35], 0xcc
	s_waitcnt lgkmcnt(0)
	v_mul_hi_u32 v0, s5, v1
	v_add_u32_e32 v0, v1, v0
	v_lshrrev_b32_e32 v0, s6, v0
	v_mul_lo_u32 v0, v0, s4
	v_sub_u32_e32 v0, v1, v0
	v_mad_u64_u32 v[4:5], s[4:5], v0, s8, v[4:5]
	v_mad_u64_u32 v[10:11], s[4:5], v0, s9, v[10:11]
.LBB39_1103:
	s_and_b64 vcc, exec, s[2:3]
	v_add_u32_e32 v0, 0x100, v14
	s_cbranch_vccnz .LBB39_1109
; %bb.1104:
	s_cmp_lg_u32 s33, 0
	s_mov_b32 s36, 0
	s_cbranch_scc0 .LBB39_1110
; %bb.1105:
	s_min_u32 s37, s72, 15
	s_add_i32 s37, s37, 1
	s_cmp_eq_u32 s72, 2
	s_cbranch_scc1 .LBB39_1111
; %bb.1106:
	s_and_b32 s36, s37, 28
	s_add_u32 s28, s34, 0xc4
	s_addc_u32 s29, s35, 0
	s_mov_b32 s38, 0
	s_waitcnt vmcnt(0)
	v_mov_b32_e32 v2, 0
	v_mov_b32_e32 v14, 0
	s_mov_b64 s[30:31], s[34:35]
	v_mov_b32_e32 v5, v0
.LBB39_1107:                            ; =>This Inner Loop Header: Depth=1
	s_load_dwordx8 s[12:19], s[30:31], 0x4
	s_load_dwordx4 s[20:23], s[30:31], 0x24
	s_load_dwordx8 s[4:11], s[28:29], 0x0
	s_add_u32 s30, s30, 48
	s_addc_u32 s31, s31, 0
	s_waitcnt lgkmcnt(0)
	v_mul_hi_u32 v1, s13, v5
	v_add_u32_e32 v1, v5, v1
	v_lshrrev_b32_e32 v1, s14, v1
	v_mul_lo_u32 v3, v1, s12
	v_mul_hi_u32 v7, s16, v1
	v_sub_u32_e32 v3, v5, v3
	v_add_u32_e32 v5, v1, v7
	v_lshrrev_b32_e32 v5, s17, v5
	v_mul_lo_u32 v9, v5, s15
	v_mul_hi_u32 v11, s19, v5
	v_sub_u32_e32 v1, v1, v9
	v_add_u32_e32 v9, v5, v11
	v_mul_lo_u32 v7, v3, s5
	v_mul_lo_u32 v3, v3, s4
	v_mul_lo_u32 v11, v1, s7
	v_mul_lo_u32 v1, v1, s6
	v_lshrrev_b32_e32 v9, s20, v9
	v_add3_u32 v1, v3, v2, v1
	v_add3_u32 v2, v7, v14, v11
	v_mul_lo_u32 v3, v9, s18
	v_mul_hi_u32 v7, s22, v9
	v_sub_u32_e32 v3, v5, v3
	v_add_u32_e32 v5, v9, v7
	v_lshrrev_b32_e32 v5, s23, v5
	s_add_i32 s38, s38, 4
	v_mul_lo_u32 v11, v5, s21
	s_add_u32 s28, s28, 32
	v_sub_u32_e32 v9, v9, v11
	s_addc_u32 s29, s29, 0
	v_mul_lo_u32 v7, v3, s8
	v_mul_lo_u32 v3, v3, s9
	;; [unrolled: 1-line block ×4, first 2 shown]
	s_cmp_lg_u32 s36, s38
	v_add3_u32 v14, v3, v2, v9
	v_add3_u32 v2, v7, v1, v11
	s_cbranch_scc1 .LBB39_1107
; %bb.1108:
	v_mov_b32_e32 v1, v14
	s_and_b32 s8, s37, 3
	s_cmp_eq_u32 s8, 0
	s_cbranch_scc0 .LBB39_1112
	s_branch .LBB39_1114
.LBB39_1109:
                                        ; implicit-def: $vgpr14
                                        ; implicit-def: $vgpr2
	s_branch .LBB39_1115
.LBB39_1110:
	v_mov_b32_e32 v14, 0
	s_waitcnt vmcnt(0)
	v_mov_b32_e32 v2, 0
	s_branch .LBB39_1114
.LBB39_1111:
	s_waitcnt vmcnt(0)
	v_mov_b32_e32 v2, 0
                                        ; implicit-def: $vgpr14
	v_mov_b32_e32 v1, v2
	v_mov_b32_e32 v5, v0
	s_and_b32 s8, s37, 3
	s_cmp_eq_u32 s8, 0
	s_cbranch_scc1 .LBB39_1114
.LBB39_1112:
	s_lshl_b32 s4, s36, 3
	s_add_u32 s4, s34, s4
	s_addc_u32 s5, s35, 0
	s_add_u32 s4, s4, 0xc4
	s_addc_u32 s5, s5, 0
	s_mul_i32 s6, s36, 12
	s_add_u32 s6, s34, s6
	s_addc_u32 s7, s35, 0
.LBB39_1113:                            ; =>This Inner Loop Header: Depth=1
	s_load_dwordx2 s[10:11], s[6:7], 0x4
	s_load_dword s9, s[6:7], 0xc
	s_load_dwordx2 s[12:13], s[4:5], 0x0
	v_mov_b32_e32 v12, v1
	s_add_u32 s6, s6, 12
	s_waitcnt lgkmcnt(0)
	v_mul_hi_u32 v1, s11, v5
	v_add_u32_e32 v1, v5, v1
	v_lshrrev_b32_e32 v1, s9, v1
	s_addc_u32 s7, s7, 0
	v_mul_lo_u32 v3, v1, s10
	s_add_u32 s4, s4, 8
	v_sub_u32_e32 v3, v5, v3
	s_addc_u32 s5, s5, 0
	s_add_i32 s8, s8, -1
	v_mad_u64_u32 v[14:15], s[10:11], v3, s13, v[12:13]
	s_cmp_lg_u32 s8, 0
	v_mov_b32_e32 v5, v1
	v_mad_u64_u32 v[2:3], s[10:11], v3, s12, v[2:3]
	v_mov_b32_e32 v1, v14
	s_cbranch_scc1 .LBB39_1113
.LBB39_1114:
	s_cbranch_execnz .LBB39_1117
.LBB39_1115:
	s_load_dwordx4 s[4:7], s[34:35], 0x4
	s_load_dwordx2 s[8:9], s[34:35], 0xc4
	s_cmp_lt_u32 s33, 2
	s_waitcnt lgkmcnt(0)
	v_mul_hi_u32 v1, s5, v0
	v_add_u32_e32 v1, v0, v1
	v_lshrrev_b32_e32 v1, s6, v1
	s_waitcnt vmcnt(0)
	v_mul_lo_u32 v2, v1, s4
	v_sub_u32_e32 v0, v0, v2
	v_mul_lo_u32 v14, v0, s9
	v_mul_lo_u32 v2, v0, s8
	s_cbranch_scc1 .LBB39_1117
; %bb.1116:
	s_load_dwordx4 s[4:7], s[34:35], 0x10
	s_load_dwordx2 s[8:9], s[34:35], 0xcc
	s_waitcnt lgkmcnt(0)
	v_mul_hi_u32 v0, s5, v1
	v_add_u32_e32 v0, v1, v0
	v_lshrrev_b32_e32 v0, s6, v0
	v_mul_lo_u32 v0, v0, s4
	v_sub_u32_e32 v0, v1, v0
	v_mad_u64_u32 v[2:3], s[4:5], v0, s8, v[2:3]
	v_mad_u64_u32 v[14:15], s[4:5], v0, s9, v[14:15]
.LBB39_1117:
	s_and_b64 vcc, exec, s[2:3]
	s_cbranch_vccnz .LBB39_1123
; %bb.1118:
	s_cmp_lg_u32 s33, 0
	s_mov_b32 s30, 0
	s_cbranch_scc0 .LBB39_1124
; %bb.1119:
	s_min_u32 s31, s72, 15
	s_add_i32 s31, s31, 1
	s_cmp_eq_u32 s72, 2
	s_cbranch_scc1 .LBB39_1125
; %bb.1120:
	s_and_b32 s30, s31, 28
	s_add_u32 s2, s34, 0xc4
	s_addc_u32 s3, s35, 0
	s_mov_b32 s36, 0
	v_mov_b32_e32 v0, 0
	v_mov_b32_e32 v12, 0
	s_mov_b64 s[28:29], s[34:35]
	s_waitcnt vmcnt(0)
	v_mov_b32_e32 v3, v16
.LBB39_1121:                            ; =>This Inner Loop Header: Depth=1
	s_load_dwordx8 s[12:19], s[28:29], 0x4
	s_load_dwordx4 s[20:23], s[28:29], 0x24
	s_load_dwordx8 s[4:11], s[2:3], 0x0
	s_add_u32 s28, s28, 48
	s_addc_u32 s29, s29, 0
	s_waitcnt lgkmcnt(0)
	v_mul_hi_u32 v1, s13, v3
	v_add_u32_e32 v1, v3, v1
	v_lshrrev_b32_e32 v1, s14, v1
	v_mul_lo_u32 v5, v1, s12
	v_mul_hi_u32 v7, s16, v1
	v_sub_u32_e32 v3, v3, v5
	v_add_u32_e32 v5, v1, v7
	v_lshrrev_b32_e32 v5, s17, v5
	v_mul_lo_u32 v9, v5, s15
	v_mul_hi_u32 v11, s19, v5
	v_sub_u32_e32 v1, v1, v9
	v_add_u32_e32 v9, v5, v11
	v_mul_lo_u32 v7, v3, s5
	v_mul_lo_u32 v3, v3, s4
	;; [unrolled: 1-line block ×4, first 2 shown]
	v_lshrrev_b32_e32 v9, s20, v9
	v_add3_u32 v0, v3, v0, v1
	v_add3_u32 v1, v7, v12, v11
	v_mul_lo_u32 v3, v9, s18
	v_mul_hi_u32 v7, s22, v9
	v_sub_u32_e32 v3, v5, v3
	v_add_u32_e32 v5, v9, v7
	v_mul_lo_u32 v7, v3, s8
	v_mul_lo_u32 v11, v3, s9
	v_lshrrev_b32_e32 v3, s23, v5
	s_add_i32 s36, s36, 4
	v_mul_lo_u32 v5, v3, s21
	s_add_u32 s2, s2, 32
	v_sub_u32_e32 v5, v9, v5
	s_addc_u32 s3, s3, 0
	v_mul_lo_u32 v9, v5, s10
	v_mul_lo_u32 v5, v5, s11
	s_cmp_lg_u32 s30, s36
	v_add3_u32 v12, v11, v1, v5
	v_add3_u32 v0, v7, v0, v9
	s_cbranch_scc1 .LBB39_1121
; %bb.1122:
	v_mov_b32_e32 v1, v12
	s_and_b32 s6, s31, 3
	s_cmp_eq_u32 s6, 0
	s_cbranch_scc0 .LBB39_1126
	s_branch .LBB39_1128
.LBB39_1123:
                                        ; implicit-def: $vgpr12
                                        ; implicit-def: $vgpr0
	s_branch .LBB39_1129
.LBB39_1124:
	v_mov_b32_e32 v12, 0
	v_mov_b32_e32 v0, 0
	s_branch .LBB39_1128
.LBB39_1125:
	v_mov_b32_e32 v0, 0
                                        ; implicit-def: $vgpr12
	v_mov_b32_e32 v1, v0
	s_waitcnt vmcnt(0)
	v_mov_b32_e32 v3, v16
	s_and_b32 s6, s31, 3
	s_cmp_eq_u32 s6, 0
	s_cbranch_scc1 .LBB39_1128
.LBB39_1126:
	s_lshl_b32 s2, s30, 3
	s_add_u32 s2, s34, s2
	s_addc_u32 s3, s35, 0
	s_add_u32 s2, s2, 0xc4
	s_addc_u32 s3, s3, 0
	s_mul_i32 s4, s30, 12
	s_add_u32 s4, s34, s4
	s_addc_u32 s5, s35, 0
.LBB39_1127:                            ; =>This Inner Loop Header: Depth=1
	s_load_dwordx2 s[8:9], s[4:5], 0x4
	s_load_dword s7, s[4:5], 0xc
	s_load_dwordx2 s[10:11], s[2:3], 0x0
	v_mov_b32_e32 v12, v1
	s_add_u32 s4, s4, 12
	s_waitcnt lgkmcnt(0)
	v_mul_hi_u32 v1, s9, v3
	v_add_u32_e32 v1, v3, v1
	v_lshrrev_b32_e32 v1, s7, v1
	s_addc_u32 s5, s5, 0
	v_mul_lo_u32 v5, v1, s8
	s_add_u32 s2, s2, 8
	v_sub_u32_e32 v5, v3, v5
	s_addc_u32 s3, s3, 0
	s_add_i32 s6, s6, -1
	v_mov_b32_e32 v3, v1
	v_mad_u64_u32 v[12:13], s[8:9], v5, s11, v[12:13]
	v_mad_u64_u32 v[0:1], s[8:9], v5, s10, v[0:1]
	s_cmp_lg_u32 s6, 0
	v_mov_b32_e32 v1, v12
	s_cbranch_scc1 .LBB39_1127
.LBB39_1128:
	s_cbranch_execnz .LBB39_1131
.LBB39_1129:
	s_load_dwordx4 s[4:7], s[34:35], 0x4
	s_load_dwordx2 s[2:3], s[34:35], 0xc4
	s_cmp_lt_u32 s33, 2
	s_waitcnt lgkmcnt(0)
	v_mul_hi_u32 v0, s5, v16
	v_add_u32_e32 v0, v16, v0
	v_lshrrev_b32_e32 v1, s6, v0
	v_mul_lo_u32 v0, v1, s4
	v_sub_u32_e32 v0, v16, v0
	v_mul_lo_u32 v12, v0, s3
	v_mul_lo_u32 v0, v0, s2
	s_cbranch_scc1 .LBB39_1131
; %bb.1130:
	s_load_dwordx4 s[4:7], s[34:35], 0x10
	s_load_dwordx2 s[2:3], s[34:35], 0xcc
	s_waitcnt vmcnt(0) lgkmcnt(0)
	v_mul_hi_u32 v3, s5, v1
	v_add_u32_e32 v3, v1, v3
	v_lshrrev_b32_e32 v3, s6, v3
	v_mul_lo_u32 v3, v3, s4
	v_sub_u32_e32 v3, v1, v3
	v_mad_u64_u32 v[0:1], s[4:5], v3, s2, v[0:1]
	v_mad_u64_u32 v[12:13], s[2:3], v3, s3, v[12:13]
.LBB39_1131:
	s_load_dword s14, s[0:1], 0x160
	s_load_dwordx4 s[4:7], s[34:35], 0x148
	v_mov_b32_e32 v9, 0
	s_waitcnt lgkmcnt(0)
	s_bfe_u32 s12, s14, 0x80010
	s_cmp_lt_i32 s12, 11
	v_lshl_add_u64 v[16:17], s[6:7], 0, v[8:9]
	s_cbranch_scc1 .LBB39_1138
; %bb.1132:
	s_and_b32 s13, 0xffff, s12
	s_cmp_gt_i32 s13, 25
	s_mov_b64 s[8:9], 0
	s_cbranch_scc0 .LBB39_1140
; %bb.1133:
	s_cmp_gt_i32 s13, 28
	s_cbranch_scc0 .LBB39_1141
; %bb.1134:
	s_cmp_gt_i32 s13, 43
	;; [unrolled: 3-line block ×3, first 2 shown]
	s_cbranch_scc0 .LBB39_1143
; %bb.1136:
	s_cmp_eq_u32 s13, 46
	s_mov_b64 s[2:3], 0
	s_cbranch_scc0 .LBB39_1146
; %bb.1137:
	global_load_dword v1, v[16:17], off
	s_mov_b32 s0, 0x2f800000
	s_mov_b32 s1, 0xcf800000
	s_mov_b64 s[10:11], -1
	s_waitcnt vmcnt(0)
	v_lshlrev_b32_e32 v1, 16, v1
	v_trunc_f32_e32 v1, v1
	v_mul_f32_e64 v3, |v1|, s0
	v_floor_f32_e32 v3, v3
	v_fma_f32 v5, v3, s1, |v1|
	v_cvt_u32_f32_e32 v5, v5
	v_cvt_u32_f32_e32 v3, v3
	v_ashrrev_i32_e32 v1, 31, v1
	s_mov_b64 s[0:1], 0
	v_xor_b32_e32 v5, v5, v1
	v_xor_b32_e32 v3, v3, v1
	v_sub_co_u32_e32 v8, vcc, v5, v1
	s_nop 1
	v_subb_co_u32_e32 v9, vcc, v3, v1, vcc
	s_branch .LBB39_1147
.LBB39_1138:
	s_mov_b64 s[10:11], 0
                                        ; implicit-def: $vgpr8_vgpr9
	s_mov_b64 s[2:3], s[24:25]
	s_cbranch_execnz .LBB39_1205
.LBB39_1139:
	s_andn2_b64 vcc, exec, s[10:11]
	s_cbranch_vccz .LBB39_1250
	s_branch .LBB39_1512
.LBB39_1140:
	s_mov_b64 s[10:11], 0
	s_mov_b64 s[0:1], 0
                                        ; implicit-def: $vgpr8_vgpr9
	s_cbranch_execnz .LBB39_1172
	s_branch .LBB39_1201
.LBB39_1141:
	s_mov_b64 s[10:11], 0
	s_mov_b64 s[0:1], 0
                                        ; implicit-def: $vgpr8_vgpr9
	s_cbranch_execz .LBB39_1171
	s_branch .LBB39_1156
.LBB39_1142:
	s_mov_b64 s[10:11], 0
	s_mov_b64 s[0:1], 0
                                        ; implicit-def: $vgpr8_vgpr9
	s_cbranch_execnz .LBB39_1152
	s_branch .LBB39_1155
.LBB39_1143:
	s_mov_b64 s[2:3], -1
	s_mov_b64 s[10:11], 0
	s_mov_b64 s[0:1], 0
                                        ; implicit-def: $vgpr8_vgpr9
	s_branch .LBB39_1147
.LBB39_1144:
	s_andn2_saveexec_b64 s[12:13], s[12:13]
	s_cbranch_execz .LBB39_987
.LBB39_1145:
	s_mov_b32 s14, 0x46000000
	v_add_f32_e64 v1, |v0|, s14
	v_and_b32_e32 v1, 0xff, v1
	v_cmp_ne_u32_e32 vcc, 0, v1
	s_andn2_b64 s[10:11], s[10:11], exec
	s_and_b64 s[14:15], vcc, exec
	s_or_b64 s[10:11], s[10:11], s[14:15]
	s_or_b64 exec, exec, s[12:13]
	v_mov_b32_e32 v8, 0
	s_and_saveexec_b64 s[12:13], s[10:11]
	s_cbranch_execnz .LBB39_988
	s_branch .LBB39_989
.LBB39_1146:
	s_mov_b64 s[0:1], -1
                                        ; implicit-def: $vgpr8_vgpr9
	s_mov_b64 s[10:11], 0
.LBB39_1147:
	s_and_b64 vcc, exec, s[2:3]
	s_cbranch_vccz .LBB39_1150
; %bb.1148:
	s_cmp_eq_u32 s13, 44
	s_cbranch_scc0 .LBB39_1151
; %bb.1149:
	global_load_ubyte v1, v[16:17], off
	s_mov_b32 s0, 0x2f800000
	s_mov_b32 s1, 0xcf800000
	s_mov_b64 s[10:11], -1
	s_waitcnt vmcnt(0)
	v_lshlrev_b32_e32 v3, 23, v1
	v_trunc_f32_e32 v3, v3
	v_mul_f32_e64 v5, |v3|, s0
	v_floor_f32_e32 v5, v5
	v_fma_f32 v7, v5, s1, |v3|
	v_cvt_u32_f32_e32 v7, v7
	v_cvt_u32_f32_e32 v5, v5
	v_ashrrev_i32_e32 v3, 31, v3
	s_mov_b64 s[0:1], 0
	v_xor_b32_e32 v7, v7, v3
	v_xor_b32_e32 v5, v5, v3
	v_sub_co_u32_e32 v7, vcc, v7, v3
	s_nop 1
	v_subb_co_u32_e32 v3, vcc, v5, v3, vcc
	v_cmp_ne_u32_e32 vcc, 0, v1
	s_nop 1
	v_cndmask_b32_e32 v9, 0, v3, vcc
	v_cndmask_b32_e32 v8, 0, v7, vcc
.LBB39_1150:
	s_branch .LBB39_1155
.LBB39_1151:
	s_mov_b64 s[0:1], -1
                                        ; implicit-def: $vgpr8_vgpr9
	s_branch .LBB39_1155
.LBB39_1152:
	s_cmp_eq_u32 s13, 29
	s_cbranch_scc0 .LBB39_1154
; %bb.1153:
	global_load_dwordx2 v[8:9], v[16:17], off
	s_mov_b64 s[0:1], 0
	s_mov_b64 s[10:11], -1
	s_branch .LBB39_1155
.LBB39_1154:
	s_mov_b64 s[0:1], -1
                                        ; implicit-def: $vgpr8_vgpr9
.LBB39_1155:
	s_branch .LBB39_1171
.LBB39_1156:
	s_cmp_lt_i32 s13, 27
	s_cbranch_scc1 .LBB39_1159
; %bb.1157:
	s_cmp_gt_i32 s13, 27
	s_cbranch_scc0 .LBB39_1160
; %bb.1158:
	global_load_dword v8, v[16:17], off
	s_waitcnt vmcnt(1)
	v_mov_b32_e32 v9, 0
	s_mov_b64 s[2:3], 0
	s_branch .LBB39_1161
.LBB39_1159:
	s_mov_b64 s[2:3], -1
                                        ; implicit-def: $vgpr8_vgpr9
	s_branch .LBB39_1164
.LBB39_1160:
	s_mov_b64 s[2:3], -1
                                        ; implicit-def: $vgpr8_vgpr9
.LBB39_1161:
	s_andn2_b64 vcc, exec, s[2:3]
	s_cbranch_vccnz .LBB39_1163
; %bb.1162:
	global_load_ushort v1, v[16:17], off
	s_mov_b32 s2, 0
	s_waitcnt vmcnt(1)
	v_mov_b32_e32 v9, s2
	s_waitcnt vmcnt(0)
	v_and_b32_e32 v8, 0xffff, v1
.LBB39_1163:
	s_mov_b64 s[2:3], 0
.LBB39_1164:
	s_andn2_b64 vcc, exec, s[2:3]
	s_cbranch_vccnz .LBB39_1170
; %bb.1165:
	global_load_ubyte v1, v[16:17], off
	s_movk_i32 s2, 0x7f
	s_mov_b64 s[10:11], 0
	s_waitcnt vmcnt(0)
	v_cmp_lt_i16_e32 vcc, s2, v1
	s_and_saveexec_b64 s[2:3], vcc
	s_xor_b64 s[2:3], exec, s[2:3]
	s_cbranch_execz .LBB39_1181
; %bb.1166:
	s_movk_i32 s10, 0x80
	v_cmp_ne_u16_e32 vcc, s10, v1
	s_and_b64 s[10:11], vcc, exec
	s_andn2_saveexec_b64 s[2:3], s[2:3]
	s_cbranch_execnz .LBB39_1182
.LBB39_1167:
	s_or_b64 exec, exec, s[2:3]
	v_mov_b64_e32 v[8:9], 0
	s_and_saveexec_b64 s[2:3], s[10:11]
	s_cbranch_execz .LBB39_1169
.LBB39_1168:
	v_lshlrev_b32_e32 v3, 24, v1
	v_and_b32_e32 v1, 0xffff, v1
	v_and_b32_e32 v5, 7, v1
	v_ffbh_u32_e32 v8, v5
	v_min_u32_e32 v8, 32, v8
	v_subrev_u32_e32 v9, 28, v8
	v_bfe_u32 v7, v1, 3, 4
	v_lshlrev_b32_e32 v1, v9, v1
	v_sub_u32_e32 v8, 29, v8
	v_and_b32_e32 v1, 7, v1
	v_cmp_eq_u32_e32 vcc, 0, v7
	v_and_b32_e32 v3, 0x80000000, v3
	s_mov_b32 s10, 0x2f800000
	v_cndmask_b32_e32 v7, v7, v8, vcc
	v_cndmask_b32_e32 v1, v5, v1, vcc
	v_mov_b32_e32 v5, 0x3b800000
	v_lshlrev_b32_e32 v1, 20, v1
	v_lshl_add_u32 v5, v7, 23, v5
	v_or3_b32 v1, v3, v5, v1
	v_trunc_f32_e32 v1, v1
	v_mul_f32_e64 v3, |v1|, s10
	v_floor_f32_e32 v3, v3
	s_mov_b32 s10, 0xcf800000
	v_fma_f32 v5, v3, s10, |v1|
	v_cvt_u32_f32_e32 v5, v5
	v_cvt_u32_f32_e32 v3, v3
	v_ashrrev_i32_e32 v1, 31, v1
	v_xor_b32_e32 v5, v5, v1
	v_xor_b32_e32 v3, v3, v1
	v_sub_co_u32_e32 v8, vcc, v5, v1
	s_nop 1
	v_subb_co_u32_e32 v9, vcc, v3, v1, vcc
.LBB39_1169:
	s_or_b64 exec, exec, s[2:3]
.LBB39_1170:
	s_mov_b64 s[10:11], -1
.LBB39_1171:
	s_branch .LBB39_1201
.LBB39_1172:
	s_cmp_gt_i32 s13, 22
	s_cbranch_scc0 .LBB39_1180
; %bb.1173:
	s_cmp_lt_i32 s13, 24
	s_cbranch_scc1 .LBB39_1183
; %bb.1174:
	s_cmp_gt_i32 s13, 24
	s_cbranch_scc0 .LBB39_1184
; %bb.1175:
	global_load_ubyte v1, v[16:17], off
	s_movk_i32 s2, 0x7f
	s_waitcnt vmcnt(0)
	v_cmp_lt_i16_e32 vcc, s2, v1
	s_and_saveexec_b64 s[2:3], vcc
	s_xor_b64 s[2:3], exec, s[2:3]
	s_cbranch_execz .LBB39_1195
; %bb.1176:
	s_movk_i32 s8, 0x80
	v_cmp_ne_u16_e32 vcc, s8, v1
	s_and_b64 s[8:9], vcc, exec
	s_andn2_saveexec_b64 s[2:3], s[2:3]
	s_cbranch_execnz .LBB39_1196
.LBB39_1177:
	s_or_b64 exec, exec, s[2:3]
	v_mov_b64_e32 v[8:9], 0
	s_and_saveexec_b64 s[2:3], s[8:9]
	s_cbranch_execz .LBB39_1179
.LBB39_1178:
	v_lshlrev_b32_e32 v3, 24, v1
	v_and_b32_e32 v1, 0xffff, v1
	v_and_b32_e32 v5, 3, v1
	v_ffbh_u32_e32 v8, v5
	v_min_u32_e32 v8, 32, v8
	v_subrev_u32_e32 v9, 29, v8
	v_bfe_u32 v7, v1, 2, 5
	v_lshlrev_b32_e32 v1, v9, v1
	v_sub_u32_e32 v8, 30, v8
	v_and_b32_e32 v1, 3, v1
	v_cmp_eq_u32_e32 vcc, 0, v7
	v_and_b32_e32 v3, 0x80000000, v3
	s_mov_b32 s8, 0x2f800000
	v_cndmask_b32_e32 v7, v7, v8, vcc
	v_cndmask_b32_e32 v1, v5, v1, vcc
	v_mov_b32_e32 v5, 0x37800000
	v_lshlrev_b32_e32 v1, 21, v1
	v_lshl_add_u32 v5, v7, 23, v5
	v_or3_b32 v1, v3, v5, v1
	v_trunc_f32_e32 v1, v1
	v_mul_f32_e64 v3, |v1|, s8
	v_floor_f32_e32 v3, v3
	s_mov_b32 s8, 0xcf800000
	v_fma_f32 v5, v3, s8, |v1|
	v_cvt_u32_f32_e32 v5, v5
	v_cvt_u32_f32_e32 v3, v3
	v_ashrrev_i32_e32 v1, 31, v1
	v_xor_b32_e32 v5, v5, v1
	v_xor_b32_e32 v3, v3, v1
	v_sub_co_u32_e32 v8, vcc, v5, v1
	s_nop 1
	v_subb_co_u32_e32 v9, vcc, v3, v1, vcc
.LBB39_1179:
	s_or_b64 exec, exec, s[2:3]
	s_mov_b64 s[2:3], 0
	s_branch .LBB39_1185
.LBB39_1180:
                                        ; implicit-def: $vgpr8_vgpr9
	s_mov_b64 s[8:9], 0
	s_branch .LBB39_1191
.LBB39_1181:
	s_andn2_saveexec_b64 s[2:3], s[2:3]
	s_cbranch_execz .LBB39_1167
.LBB39_1182:
	v_cmp_ne_u16_e32 vcc, 0, v1
	s_andn2_b64 s[10:11], s[10:11], exec
	s_and_b64 s[16:17], vcc, exec
	s_or_b64 s[10:11], s[10:11], s[16:17]
	s_or_b64 exec, exec, s[2:3]
	v_mov_b64_e32 v[8:9], 0
	s_and_saveexec_b64 s[2:3], s[10:11]
	s_cbranch_execnz .LBB39_1168
	s_branch .LBB39_1169
.LBB39_1183:
	s_mov_b64 s[2:3], -1
                                        ; implicit-def: $vgpr8_vgpr9
	s_branch .LBB39_1188
.LBB39_1184:
	s_mov_b64 s[2:3], -1
                                        ; implicit-def: $vgpr8_vgpr9
.LBB39_1185:
	s_and_b64 vcc, exec, s[2:3]
	s_cbranch_vccz .LBB39_1187
; %bb.1186:
	global_load_ubyte v1, v[16:17], off
	s_mov_b32 s2, 0x7f800000
	s_brev_b32 s3, 1
	s_mov_b32 s8, 0x2f800000
	s_mov_b32 s9, 0xcf800000
	s_waitcnt vmcnt(0)
	v_lshlrev_b32_e32 v1, 24, v1
	v_and_b32_e32 v3, 0x7f000000, v1
	v_ffbh_u32_e32 v5, v3
	v_min_u32_e32 v5, 32, v5
	v_sub_u32_e64 v5, v5, 4 clamp
	v_lshlrev_b32_e32 v8, v5, v3
	v_lshlrev_b32_e32 v5, 23, v5
	v_lshrrev_b32_e32 v8, 4, v8
	v_add_u32_e32 v7, 0x1000000, v3
	v_sub_u32_e32 v5, v8, v5
	v_ashrrev_i32_e32 v7, 8, v7
	v_add_u32_e32 v5, 0x3c000000, v5
	v_and_or_b32 v5, v7, s2, v5
	v_cmp_ne_u32_e32 vcc, 0, v3
	s_nop 1
	v_cndmask_b32_e32 v3, 0, v5, vcc
	v_and_or_b32 v1, v1, s3, v3
	v_trunc_f32_e32 v1, v1
	v_mul_f32_e64 v3, |v1|, s8
	v_floor_f32_e32 v3, v3
	v_fma_f32 v5, v3, s9, |v1|
	v_cvt_u32_f32_e32 v5, v5
	v_cvt_u32_f32_e32 v3, v3
	v_ashrrev_i32_e32 v1, 31, v1
	v_xor_b32_e32 v5, v5, v1
	v_xor_b32_e32 v3, v3, v1
	v_sub_co_u32_e32 v8, vcc, v5, v1
	s_nop 1
	v_subb_co_u32_e32 v9, vcc, v3, v1, vcc
.LBB39_1187:
	s_mov_b64 s[2:3], 0
.LBB39_1188:
	s_andn2_b64 vcc, exec, s[2:3]
	s_cbranch_vccnz .LBB39_1190
; %bb.1189:
	global_load_ubyte v1, v[16:17], off
	s_movk_i32 s2, 0x7f00
	s_brev_b32 s3, 16
	s_brev_b32 s8, 1
	s_mov_b32 s9, 0x2f800000
	s_mov_b32 s10, 0xcf800000
	s_waitcnt vmcnt(0)
	v_lshlrev_b16_e32 v3, 8, v1
	v_lshlrev_b32_e32 v1, 25, v1
	v_lshrrev_b32_e32 v5, 4, v1
	v_and_or_b32 v7, v3, s2, 0.5
	v_or_b32_e32 v5, 0x70000000, v5
	v_add_f32_e32 v7, -0.5, v7
	v_mul_f32_e32 v5, 0x7800000, v5
	v_cmp_gt_u32_e32 vcc, s3, v1
	v_bfe_i32 v3, v3, 0, 16
	s_nop 0
	v_cndmask_b32_e32 v1, v5, v7, vcc
	v_and_or_b32 v1, v3, s8, v1
	v_trunc_f32_e32 v1, v1
	v_mul_f32_e64 v3, |v1|, s9
	v_floor_f32_e32 v3, v3
	v_fma_f32 v5, v3, s10, |v1|
	v_cvt_u32_f32_e32 v5, v5
	v_cvt_u32_f32_e32 v3, v3
	v_ashrrev_i32_e32 v1, 31, v1
	v_xor_b32_e32 v5, v5, v1
	v_xor_b32_e32 v3, v3, v1
	v_sub_co_u32_e32 v8, vcc, v5, v1
	s_nop 1
	v_subb_co_u32_e32 v9, vcc, v3, v1, vcc
.LBB39_1190:
	s_mov_b64 s[10:11], -1
	s_mov_b64 s[8:9], 0
	s_cbranch_execnz .LBB39_1201
.LBB39_1191:
	s_cmp_gt_i32 s13, 14
	s_cbranch_scc0 .LBB39_1194
; %bb.1192:
	s_cmp_eq_u32 s13, 15
	s_cbranch_scc0 .LBB39_1197
; %bb.1193:
	global_load_ushort v1, v[16:17], off
	s_mov_b32 s0, 0x2f800000
	s_mov_b32 s1, 0xcf800000
	s_mov_b64 s[10:11], -1
	s_waitcnt vmcnt(0)
	v_lshlrev_b32_e32 v1, 16, v1
	v_trunc_f32_e32 v1, v1
	v_mul_f32_e64 v3, |v1|, s0
	v_floor_f32_e32 v3, v3
	v_fma_f32 v5, v3, s1, |v1|
	v_cvt_u32_f32_e32 v5, v5
	v_cvt_u32_f32_e32 v3, v3
	v_ashrrev_i32_e32 v1, 31, v1
	s_mov_b64 s[0:1], 0
	v_xor_b32_e32 v5, v5, v1
	v_xor_b32_e32 v3, v3, v1
	v_sub_co_u32_e32 v8, vcc, v5, v1
	s_nop 1
	v_subb_co_u32_e32 v9, vcc, v3, v1, vcc
	s_branch .LBB39_1198
.LBB39_1194:
	s_mov_b64 s[2:3], -1
                                        ; implicit-def: $vgpr8_vgpr9
	s_branch .LBB39_1199
.LBB39_1195:
	s_andn2_saveexec_b64 s[2:3], s[2:3]
	s_cbranch_execz .LBB39_1177
.LBB39_1196:
	v_cmp_ne_u16_e32 vcc, 0, v1
	s_andn2_b64 s[8:9], s[8:9], exec
	s_and_b64 s[10:11], vcc, exec
	s_or_b64 s[8:9], s[8:9], s[10:11]
	s_or_b64 exec, exec, s[2:3]
	v_mov_b64_e32 v[8:9], 0
	s_and_saveexec_b64 s[2:3], s[8:9]
	s_cbranch_execnz .LBB39_1178
	s_branch .LBB39_1179
.LBB39_1197:
	s_mov_b64 s[0:1], -1
                                        ; implicit-def: $vgpr8_vgpr9
.LBB39_1198:
	s_mov_b64 s[2:3], 0
.LBB39_1199:
	s_and_b64 vcc, exec, s[2:3]
	s_cbranch_vccz .LBB39_1201
; %bb.1200:
	s_cmp_lg_u32 s13, 11
	s_mov_b64 s[8:9], -1
	s_cselect_b64 s[0:1], -1, 0
.LBB39_1201:
	s_and_b64 vcc, exec, s[0:1]
	s_mov_b64 s[2:3], s[24:25]
	s_cbranch_vccnz .LBB39_1262
; %bb.1202:
	s_andn2_b64 vcc, exec, s[8:9]
	s_cbranch_vccnz .LBB39_1204
.LBB39_1203:
	global_load_ubyte v1, v[16:17], off
	s_mov_b32 s0, 0
	s_waitcnt vmcnt(1)
	v_mov_b32_e32 v9, s0
	s_mov_b64 s[10:11], -1
	s_waitcnt vmcnt(0)
	v_cmp_ne_u16_e32 vcc, 0, v1
	s_nop 1
	v_cndmask_b32_e64 v8, 0, 1, vcc
.LBB39_1204:
	s_branch .LBB39_1139
.LBB39_1205:
	s_and_b32 s8, 0xffff, s12
	s_cmp_lt_i32 s8, 5
	s_cbranch_scc1 .LBB39_1210
; %bb.1206:
	s_cmp_lt_i32 s8, 8
	s_cbranch_scc1 .LBB39_1211
; %bb.1207:
	;; [unrolled: 3-line block ×3, first 2 shown]
	s_cmp_gt_i32 s8, 9
	s_cbranch_scc0 .LBB39_1213
; %bb.1209:
	global_load_dwordx2 v[8:9], v[16:17], off
	s_movk_i32 s0, 0xffe0
	s_waitcnt vmcnt(0)
	v_trunc_f64_e32 v[18:19], v[8:9]
	v_ldexp_f64 v[8:9], v[18:19], s0
	v_floor_f64_e32 v[20:21], v[8:9]
	v_fmac_f64_e32 v[18:19], 0xc1f00000, v[20:21]
	v_cvt_i32_f64_e32 v9, v[20:21]
	v_cvt_u32_f64_e32 v8, v[18:19]
	s_mov_b64 s[0:1], 0
	s_branch .LBB39_1214
.LBB39_1210:
                                        ; implicit-def: $vgpr8_vgpr9
	s_branch .LBB39_1231
.LBB39_1211:
                                        ; implicit-def: $vgpr8_vgpr9
	s_branch .LBB39_1220
.LBB39_1212:
	s_mov_b64 s[0:1], -1
                                        ; implicit-def: $vgpr8_vgpr9
	s_branch .LBB39_1217
.LBB39_1213:
	s_mov_b64 s[0:1], -1
                                        ; implicit-def: $vgpr8_vgpr9
.LBB39_1214:
	s_andn2_b64 vcc, exec, s[0:1]
	s_cbranch_vccnz .LBB39_1216
; %bb.1215:
	global_load_dword v1, v[16:17], off
	s_mov_b32 s0, 0x2f800000
	s_mov_b32 s1, 0xcf800000
	s_waitcnt vmcnt(0)
	v_trunc_f32_e32 v1, v1
	v_mul_f32_e64 v3, |v1|, s0
	v_floor_f32_e32 v3, v3
	v_cvt_u32_f32_e32 v5, v3
	v_fma_f32 v3, v3, s1, |v1|
	v_cvt_u32_f32_e32 v3, v3
	v_ashrrev_i32_e32 v1, 31, v1
	v_xor_b32_e32 v5, v5, v1
	v_xor_b32_e32 v3, v3, v1
	v_sub_co_u32_e32 v8, vcc, v3, v1
	s_nop 1
	v_subb_co_u32_e32 v9, vcc, v5, v1, vcc
.LBB39_1216:
	s_mov_b64 s[0:1], 0
.LBB39_1217:
	s_andn2_b64 vcc, exec, s[0:1]
	s_cbranch_vccnz .LBB39_1219
; %bb.1218:
	global_load_dword v1, v[16:17], off
	s_waitcnt vmcnt(0)
	v_cvt_f32_f16_e32 v1, v1
	v_cvt_i32_f32_e32 v8, v1
	v_ashrrev_i32_e32 v9, 31, v8
.LBB39_1219:
	s_cbranch_execnz .LBB39_1230
.LBB39_1220:
	s_cmp_lt_i32 s8, 6
	s_cbranch_scc1 .LBB39_1223
; %bb.1221:
	s_cmp_gt_i32 s8, 6
	s_cbranch_scc0 .LBB39_1224
; %bb.1222:
	global_load_dwordx2 v[8:9], v[16:17], off
	s_movk_i32 s0, 0xffe0
	s_waitcnt vmcnt(0)
	v_trunc_f64_e32 v[18:19], v[8:9]
	v_ldexp_f64 v[8:9], v[18:19], s0
	v_floor_f64_e32 v[20:21], v[8:9]
	v_fmac_f64_e32 v[18:19], 0xc1f00000, v[20:21]
	v_cvt_i32_f64_e32 v9, v[20:21]
	v_cvt_u32_f64_e32 v8, v[18:19]
	s_mov_b64 s[0:1], 0
	s_branch .LBB39_1225
.LBB39_1223:
	s_mov_b64 s[0:1], -1
                                        ; implicit-def: $vgpr8_vgpr9
	s_branch .LBB39_1228
.LBB39_1224:
	s_mov_b64 s[0:1], -1
                                        ; implicit-def: $vgpr8_vgpr9
.LBB39_1225:
	s_andn2_b64 vcc, exec, s[0:1]
	s_cbranch_vccnz .LBB39_1227
; %bb.1226:
	global_load_dword v1, v[16:17], off
	s_mov_b32 s0, 0x2f800000
	s_mov_b32 s1, 0xcf800000
	s_waitcnt vmcnt(0)
	v_trunc_f32_e32 v1, v1
	v_mul_f32_e64 v3, |v1|, s0
	v_floor_f32_e32 v3, v3
	v_cvt_u32_f32_e32 v5, v3
	v_fma_f32 v3, v3, s1, |v1|
	v_cvt_u32_f32_e32 v3, v3
	v_ashrrev_i32_e32 v1, 31, v1
	v_xor_b32_e32 v5, v5, v1
	v_xor_b32_e32 v3, v3, v1
	v_sub_co_u32_e32 v8, vcc, v3, v1
	s_nop 1
	v_subb_co_u32_e32 v9, vcc, v5, v1, vcc
.LBB39_1227:
	s_mov_b64 s[0:1], 0
.LBB39_1228:
	s_andn2_b64 vcc, exec, s[0:1]
	s_cbranch_vccnz .LBB39_1230
; %bb.1229:
	global_load_ushort v1, v[16:17], off
	s_waitcnt vmcnt(0)
	v_cvt_f32_f16_e32 v1, v1
	v_cvt_i32_f32_e32 v8, v1
	v_ashrrev_i32_e32 v9, 31, v8
.LBB39_1230:
	s_cbranch_execnz .LBB39_1249
.LBB39_1231:
	s_cmp_lt_i32 s8, 2
	s_cbranch_scc1 .LBB39_1235
; %bb.1232:
	s_cmp_lt_i32 s8, 3
	s_cbranch_scc1 .LBB39_1236
; %bb.1233:
	s_cmp_gt_i32 s8, 3
	s_cbranch_scc0 .LBB39_1237
; %bb.1234:
	global_load_dwordx2 v[8:9], v[16:17], off
	s_mov_b64 s[0:1], 0
	s_branch .LBB39_1238
.LBB39_1235:
                                        ; implicit-def: $vgpr8_vgpr9
	s_branch .LBB39_1244
.LBB39_1236:
	s_mov_b64 s[0:1], -1
                                        ; implicit-def: $vgpr8_vgpr9
	s_branch .LBB39_1241
.LBB39_1237:
	s_mov_b64 s[0:1], -1
                                        ; implicit-def: $vgpr8_vgpr9
.LBB39_1238:
	s_andn2_b64 vcc, exec, s[0:1]
	s_cbranch_vccnz .LBB39_1240
; %bb.1239:
	global_load_dword v8, v[16:17], off
	s_waitcnt vmcnt(0)
	v_ashrrev_i32_e32 v9, 31, v8
.LBB39_1240:
	s_mov_b64 s[0:1], 0
.LBB39_1241:
	s_andn2_b64 vcc, exec, s[0:1]
	s_cbranch_vccnz .LBB39_1243
; %bb.1242:
	global_load_ushort v1, v[16:17], off
	s_waitcnt vmcnt(0)
	v_bfe_i32 v8, v1, 0, 16
	v_ashrrev_i32_e32 v9, 31, v8
.LBB39_1243:
	s_cbranch_execnz .LBB39_1249
.LBB39_1244:
	s_cmp_gt_i32 s8, 0
	s_cbranch_scc0 .LBB39_1246
; %bb.1245:
	global_load_sbyte v1, v[16:17], off
	s_mov_b64 s[0:1], 0
	s_waitcnt vmcnt(0)
	v_bfe_i32 v8, v1, 0, 16
	v_ashrrev_i32_e32 v9, 31, v8
	s_branch .LBB39_1247
.LBB39_1246:
	s_mov_b64 s[0:1], -1
                                        ; implicit-def: $vgpr8_vgpr9
.LBB39_1247:
	s_andn2_b64 vcc, exec, s[0:1]
	s_cbranch_vccnz .LBB39_1249
; %bb.1248:
	global_load_ubyte v1, v[16:17], off
	s_mov_b32 s0, 0
	s_waitcnt vmcnt(1)
	v_mov_b32_e32 v9, s0
	s_waitcnt vmcnt(0)
	v_and_b32_e32 v8, 0xffff, v1
.LBB39_1249:
.LBB39_1250:
	s_lshr_b32 s0, s14, 16
	v_mov_b32_e32 v11, 0
	s_and_b32 s15, s0, 0xff
	s_cmp_lt_i32 s15, 11
	v_lshl_add_u64 v[16:17], s[6:7], 0, v[10:11]
	s_cbranch_scc1 .LBB39_1257
; %bb.1251:
	s_and_b32 s16, 0xffff, s15
	s_cmp_gt_i32 s16, 25
	s_mov_b64 s[8:9], 0
	s_cbranch_scc0 .LBB39_1259
; %bb.1252:
	s_cmp_gt_i32 s16, 28
	s_cbranch_scc0 .LBB39_1260
; %bb.1253:
	s_cmp_gt_i32 s16, 43
	;; [unrolled: 3-line block ×3, first 2 shown]
	s_cbranch_scc0 .LBB39_1263
; %bb.1255:
	s_cmp_eq_u32 s16, 46
	s_mov_b64 s[12:13], 0
	s_cbranch_scc0 .LBB39_1266
; %bb.1256:
	global_load_dword v1, v[16:17], off
	s_mov_b32 s0, 0x2f800000
	s_mov_b32 s1, 0xcf800000
	s_mov_b64 s[10:11], -1
	s_waitcnt vmcnt(0)
	v_lshlrev_b32_e32 v1, 16, v1
	v_trunc_f32_e32 v1, v1
	v_mul_f32_e64 v3, |v1|, s0
	v_floor_f32_e32 v3, v3
	v_fma_f32 v5, v3, s1, |v1|
	v_cvt_u32_f32_e32 v5, v5
	v_cvt_u32_f32_e32 v3, v3
	v_ashrrev_i32_e32 v1, 31, v1
	s_mov_b64 s[0:1], 0
	v_xor_b32_e32 v5, v5, v1
	v_xor_b32_e32 v3, v3, v1
	v_sub_co_u32_e32 v10, vcc, v5, v1
	s_nop 1
	v_subb_co_u32_e32 v11, vcc, v3, v1, vcc
	s_branch .LBB39_1267
.LBB39_1257:
	s_mov_b64 s[10:11], 0
                                        ; implicit-def: $vgpr10_vgpr11
	s_cbranch_execnz .LBB39_1328
.LBB39_1258:
	s_andn2_b64 vcc, exec, s[10:11]
	s_cbranch_vccz .LBB39_1375
	s_branch .LBB39_1512
.LBB39_1259:
	s_mov_b64 s[10:11], 0
	s_mov_b64 s[0:1], 0
                                        ; implicit-def: $vgpr10_vgpr11
	s_cbranch_execnz .LBB39_1294
	s_branch .LBB39_1324
.LBB39_1260:
	s_mov_b64 s[12:13], -1
	s_mov_b64 s[10:11], 0
	s_mov_b64 s[0:1], 0
                                        ; implicit-def: $vgpr10_vgpr11
	s_branch .LBB39_1277
.LBB39_1261:
	s_mov_b64 s[12:13], -1
	s_mov_b64 s[10:11], 0
	s_mov_b64 s[0:1], 0
                                        ; implicit-def: $vgpr10_vgpr11
	s_branch .LBB39_1272
.LBB39_1262:
	s_or_b64 s[2:3], s[24:25], exec
	s_trap 2
	s_cbranch_execz .LBB39_1203
	s_branch .LBB39_1204
.LBB39_1263:
	s_mov_b64 s[12:13], -1
	s_mov_b64 s[10:11], 0
	s_mov_b64 s[0:1], 0
                                        ; implicit-def: $vgpr10_vgpr11
	s_branch .LBB39_1267
.LBB39_1264:
	s_andn2_saveexec_b64 s[14:15], s[14:15]
	s_cbranch_execz .LBB39_999
.LBB39_1265:
	s_mov_b32 s18, 0x42800000
	v_add_f32_e64 v1, |v0|, s18
	v_and_b32_e32 v1, 0xff, v1
	v_cmp_ne_u32_e32 vcc, 0, v1
	s_andn2_b64 s[12:13], s[12:13], exec
	s_and_b64 s[18:19], vcc, exec
	s_or_b64 s[12:13], s[12:13], s[18:19]
	s_or_b64 exec, exec, s[14:15]
	v_mov_b32_e32 v8, 0
	s_and_saveexec_b64 s[14:15], s[12:13]
	s_cbranch_execnz .LBB39_1000
	s_branch .LBB39_1001
.LBB39_1266:
	s_mov_b64 s[0:1], -1
                                        ; implicit-def: $vgpr10_vgpr11
	s_mov_b64 s[10:11], 0
.LBB39_1267:
	s_and_b64 vcc, exec, s[12:13]
	s_cbranch_vccz .LBB39_1271
; %bb.1268:
	s_cmp_eq_u32 s16, 44
	s_cbranch_scc0 .LBB39_1270
; %bb.1269:
	global_load_ubyte v1, v[16:17], off
	s_mov_b32 s0, 0x2f800000
	s_mov_b32 s1, 0xcf800000
	s_mov_b64 s[10:11], -1
	s_waitcnt vmcnt(0)
	v_lshlrev_b32_e32 v3, 23, v1
	v_trunc_f32_e32 v3, v3
	v_mul_f32_e64 v5, |v3|, s0
	v_floor_f32_e32 v5, v5
	v_fma_f32 v7, v5, s1, |v3|
	v_cvt_u32_f32_e32 v7, v7
	v_cvt_u32_f32_e32 v5, v5
	v_ashrrev_i32_e32 v3, 31, v3
	s_mov_b64 s[0:1], 0
	v_xor_b32_e32 v7, v7, v3
	v_xor_b32_e32 v5, v5, v3
	v_sub_co_u32_e32 v7, vcc, v7, v3
	s_nop 1
	v_subb_co_u32_e32 v3, vcc, v5, v3, vcc
	v_cmp_ne_u32_e32 vcc, 0, v1
	s_nop 1
	v_cndmask_b32_e32 v11, 0, v3, vcc
	v_cndmask_b32_e32 v10, 0, v7, vcc
	s_branch .LBB39_1271
.LBB39_1270:
	s_mov_b64 s[0:1], -1
                                        ; implicit-def: $vgpr10_vgpr11
.LBB39_1271:
	s_mov_b64 s[12:13], 0
.LBB39_1272:
	s_and_b64 vcc, exec, s[12:13]
	s_cbranch_vccz .LBB39_1276
; %bb.1273:
	s_cmp_eq_u32 s16, 29
	s_cbranch_scc0 .LBB39_1275
; %bb.1274:
	global_load_dwordx2 v[10:11], v[16:17], off
	s_mov_b64 s[0:1], 0
	s_mov_b64 s[10:11], -1
	s_branch .LBB39_1276
.LBB39_1275:
	s_mov_b64 s[0:1], -1
                                        ; implicit-def: $vgpr10_vgpr11
.LBB39_1276:
	s_mov_b64 s[12:13], 0
.LBB39_1277:
	s_and_b64 vcc, exec, s[12:13]
	s_cbranch_vccz .LBB39_1293
; %bb.1278:
	s_cmp_lt_i32 s16, 27
	s_cbranch_scc1 .LBB39_1281
; %bb.1279:
	s_cmp_gt_i32 s16, 27
	s_cbranch_scc0 .LBB39_1282
; %bb.1280:
	global_load_dword v10, v[16:17], off
	s_waitcnt vmcnt(1)
	v_mov_b32_e32 v11, 0
	s_mov_b64 s[10:11], 0
	s_branch .LBB39_1283
.LBB39_1281:
	s_mov_b64 s[10:11], -1
                                        ; implicit-def: $vgpr10_vgpr11
	s_branch .LBB39_1286
.LBB39_1282:
	s_mov_b64 s[10:11], -1
                                        ; implicit-def: $vgpr10_vgpr11
.LBB39_1283:
	s_andn2_b64 vcc, exec, s[10:11]
	s_cbranch_vccnz .LBB39_1285
; %bb.1284:
	global_load_ushort v1, v[16:17], off
	s_mov_b32 s10, 0
	s_waitcnt vmcnt(1)
	v_mov_b32_e32 v11, s10
	s_waitcnt vmcnt(0)
	v_and_b32_e32 v10, 0xffff, v1
.LBB39_1285:
	s_mov_b64 s[10:11], 0
.LBB39_1286:
	s_andn2_b64 vcc, exec, s[10:11]
	s_cbranch_vccnz .LBB39_1292
; %bb.1287:
	global_load_ubyte v1, v[16:17], off
	s_movk_i32 s10, 0x7f
	s_mov_b64 s[12:13], 0
	s_waitcnt vmcnt(0)
	v_cmp_lt_i16_e32 vcc, s10, v1
	s_and_saveexec_b64 s[10:11], vcc
	s_xor_b64 s[10:11], exec, s[10:11]
	s_cbranch_execz .LBB39_1303
; %bb.1288:
	s_movk_i32 s12, 0x80
	v_cmp_ne_u16_e32 vcc, s12, v1
	s_and_b64 s[12:13], vcc, exec
	s_andn2_saveexec_b64 s[10:11], s[10:11]
	s_cbranch_execnz .LBB39_1304
.LBB39_1289:
	s_or_b64 exec, exec, s[10:11]
	v_mov_b64_e32 v[10:11], 0
	s_and_saveexec_b64 s[10:11], s[12:13]
	s_cbranch_execz .LBB39_1291
.LBB39_1290:
	v_lshlrev_b32_e32 v3, 24, v1
	v_and_b32_e32 v1, 0xffff, v1
	v_and_b32_e32 v5, 7, v1
	v_ffbh_u32_e32 v10, v5
	v_min_u32_e32 v10, 32, v10
	v_subrev_u32_e32 v11, 28, v10
	v_bfe_u32 v7, v1, 3, 4
	v_lshlrev_b32_e32 v1, v11, v1
	v_sub_u32_e32 v10, 29, v10
	v_and_b32_e32 v1, 7, v1
	v_cmp_eq_u32_e32 vcc, 0, v7
	v_and_b32_e32 v3, 0x80000000, v3
	s_mov_b32 s12, 0x2f800000
	v_cndmask_b32_e32 v7, v7, v10, vcc
	v_cndmask_b32_e32 v1, v5, v1, vcc
	v_mov_b32_e32 v5, 0x3b800000
	v_lshlrev_b32_e32 v1, 20, v1
	v_lshl_add_u32 v5, v7, 23, v5
	v_or3_b32 v1, v3, v5, v1
	v_trunc_f32_e32 v1, v1
	v_mul_f32_e64 v3, |v1|, s12
	v_floor_f32_e32 v3, v3
	s_mov_b32 s12, 0xcf800000
	v_fma_f32 v5, v3, s12, |v1|
	v_cvt_u32_f32_e32 v5, v5
	v_cvt_u32_f32_e32 v3, v3
	v_ashrrev_i32_e32 v1, 31, v1
	v_xor_b32_e32 v5, v5, v1
	v_xor_b32_e32 v3, v3, v1
	v_sub_co_u32_e32 v10, vcc, v5, v1
	s_nop 1
	v_subb_co_u32_e32 v11, vcc, v3, v1, vcc
.LBB39_1291:
	s_or_b64 exec, exec, s[10:11]
.LBB39_1292:
	s_mov_b64 s[10:11], -1
.LBB39_1293:
	s_branch .LBB39_1324
.LBB39_1294:
	s_cmp_gt_i32 s16, 22
	s_cbranch_scc0 .LBB39_1302
; %bb.1295:
	s_cmp_lt_i32 s16, 24
	s_cbranch_scc1 .LBB39_1305
; %bb.1296:
	s_cmp_gt_i32 s16, 24
	s_cbranch_scc0 .LBB39_1306
; %bb.1297:
	global_load_ubyte v1, v[16:17], off
	s_movk_i32 s8, 0x7f
	s_mov_b64 s[10:11], 0
	s_waitcnt vmcnt(0)
	v_cmp_lt_i16_e32 vcc, s8, v1
	s_and_saveexec_b64 s[8:9], vcc
	s_xor_b64 s[8:9], exec, s[8:9]
	s_cbranch_execz .LBB39_1318
; %bb.1298:
	s_movk_i32 s10, 0x80
	v_cmp_ne_u16_e32 vcc, s10, v1
	s_and_b64 s[10:11], vcc, exec
	s_andn2_saveexec_b64 s[8:9], s[8:9]
	s_cbranch_execnz .LBB39_1319
.LBB39_1299:
	s_or_b64 exec, exec, s[8:9]
	v_mov_b64_e32 v[10:11], 0
	s_and_saveexec_b64 s[8:9], s[10:11]
	s_cbranch_execz .LBB39_1301
.LBB39_1300:
	v_lshlrev_b32_e32 v3, 24, v1
	v_and_b32_e32 v1, 0xffff, v1
	v_and_b32_e32 v5, 3, v1
	v_ffbh_u32_e32 v10, v5
	v_min_u32_e32 v10, 32, v10
	v_subrev_u32_e32 v11, 29, v10
	v_bfe_u32 v7, v1, 2, 5
	v_lshlrev_b32_e32 v1, v11, v1
	v_sub_u32_e32 v10, 30, v10
	v_and_b32_e32 v1, 3, v1
	v_cmp_eq_u32_e32 vcc, 0, v7
	v_and_b32_e32 v3, 0x80000000, v3
	s_mov_b32 s10, 0x2f800000
	v_cndmask_b32_e32 v7, v7, v10, vcc
	v_cndmask_b32_e32 v1, v5, v1, vcc
	v_mov_b32_e32 v5, 0x37800000
	v_lshlrev_b32_e32 v1, 21, v1
	v_lshl_add_u32 v5, v7, 23, v5
	v_or3_b32 v1, v3, v5, v1
	v_trunc_f32_e32 v1, v1
	v_mul_f32_e64 v3, |v1|, s10
	v_floor_f32_e32 v3, v3
	s_mov_b32 s10, 0xcf800000
	v_fma_f32 v5, v3, s10, |v1|
	v_cvt_u32_f32_e32 v5, v5
	v_cvt_u32_f32_e32 v3, v3
	v_ashrrev_i32_e32 v1, 31, v1
	v_xor_b32_e32 v5, v5, v1
	v_xor_b32_e32 v3, v3, v1
	v_sub_co_u32_e32 v10, vcc, v5, v1
	s_nop 1
	v_subb_co_u32_e32 v11, vcc, v3, v1, vcc
.LBB39_1301:
	s_or_b64 exec, exec, s[8:9]
	s_mov_b64 s[8:9], 0
	s_branch .LBB39_1307
.LBB39_1302:
	s_mov_b64 s[8:9], -1
                                        ; implicit-def: $vgpr10_vgpr11
	s_branch .LBB39_1313
.LBB39_1303:
	s_andn2_saveexec_b64 s[10:11], s[10:11]
	s_cbranch_execz .LBB39_1289
.LBB39_1304:
	v_cmp_ne_u16_e32 vcc, 0, v1
	s_andn2_b64 s[12:13], s[12:13], exec
	s_and_b64 s[18:19], vcc, exec
	s_or_b64 s[12:13], s[12:13], s[18:19]
	s_or_b64 exec, exec, s[10:11]
	v_mov_b64_e32 v[10:11], 0
	s_and_saveexec_b64 s[10:11], s[12:13]
	s_cbranch_execnz .LBB39_1290
	s_branch .LBB39_1291
.LBB39_1305:
	s_mov_b64 s[8:9], -1
                                        ; implicit-def: $vgpr10_vgpr11
	s_branch .LBB39_1310
.LBB39_1306:
	s_mov_b64 s[8:9], -1
                                        ; implicit-def: $vgpr10_vgpr11
.LBB39_1307:
	s_and_b64 vcc, exec, s[8:9]
	s_cbranch_vccz .LBB39_1309
; %bb.1308:
	global_load_ubyte v1, v[16:17], off
	s_mov_b32 s8, 0x7f800000
	s_brev_b32 s9, 1
	s_mov_b32 s10, 0x2f800000
	s_mov_b32 s11, 0xcf800000
	s_waitcnt vmcnt(0)
	v_lshlrev_b32_e32 v1, 24, v1
	v_and_b32_e32 v3, 0x7f000000, v1
	v_ffbh_u32_e32 v5, v3
	v_min_u32_e32 v5, 32, v5
	v_sub_u32_e64 v5, v5, 4 clamp
	v_lshlrev_b32_e32 v10, v5, v3
	v_lshlrev_b32_e32 v5, 23, v5
	v_lshrrev_b32_e32 v10, 4, v10
	v_add_u32_e32 v7, 0x1000000, v3
	v_sub_u32_e32 v5, v10, v5
	v_ashrrev_i32_e32 v7, 8, v7
	v_add_u32_e32 v5, 0x3c000000, v5
	v_and_or_b32 v5, v7, s8, v5
	v_cmp_ne_u32_e32 vcc, 0, v3
	s_nop 1
	v_cndmask_b32_e32 v3, 0, v5, vcc
	v_and_or_b32 v1, v1, s9, v3
	v_trunc_f32_e32 v1, v1
	v_mul_f32_e64 v3, |v1|, s10
	v_floor_f32_e32 v3, v3
	v_fma_f32 v5, v3, s11, |v1|
	v_cvt_u32_f32_e32 v5, v5
	v_cvt_u32_f32_e32 v3, v3
	v_ashrrev_i32_e32 v1, 31, v1
	v_xor_b32_e32 v5, v5, v1
	v_xor_b32_e32 v3, v3, v1
	v_sub_co_u32_e32 v10, vcc, v5, v1
	s_nop 1
	v_subb_co_u32_e32 v11, vcc, v3, v1, vcc
.LBB39_1309:
	s_mov_b64 s[8:9], 0
.LBB39_1310:
	s_andn2_b64 vcc, exec, s[8:9]
	s_cbranch_vccnz .LBB39_1312
; %bb.1311:
	global_load_ubyte v1, v[16:17], off
	s_movk_i32 s8, 0x7f00
	s_brev_b32 s9, 16
	s_brev_b32 s10, 1
	s_mov_b32 s11, 0x2f800000
	s_mov_b32 s12, 0xcf800000
	s_waitcnt vmcnt(0)
	v_lshlrev_b16_e32 v3, 8, v1
	v_lshlrev_b32_e32 v1, 25, v1
	v_lshrrev_b32_e32 v5, 4, v1
	v_and_or_b32 v7, v3, s8, 0.5
	v_or_b32_e32 v5, 0x70000000, v5
	v_add_f32_e32 v7, -0.5, v7
	v_mul_f32_e32 v5, 0x7800000, v5
	v_cmp_gt_u32_e32 vcc, s9, v1
	v_bfe_i32 v3, v3, 0, 16
	s_nop 0
	v_cndmask_b32_e32 v1, v5, v7, vcc
	v_and_or_b32 v1, v3, s10, v1
	v_trunc_f32_e32 v1, v1
	v_mul_f32_e64 v3, |v1|, s11
	v_floor_f32_e32 v3, v3
	v_fma_f32 v5, v3, s12, |v1|
	v_cvt_u32_f32_e32 v5, v5
	v_cvt_u32_f32_e32 v3, v3
	v_ashrrev_i32_e32 v1, 31, v1
	v_xor_b32_e32 v5, v5, v1
	v_xor_b32_e32 v3, v3, v1
	v_sub_co_u32_e32 v10, vcc, v5, v1
	s_nop 1
	v_subb_co_u32_e32 v11, vcc, v3, v1, vcc
.LBB39_1312:
	s_mov_b64 s[8:9], 0
	s_mov_b64 s[10:11], -1
.LBB39_1313:
	s_andn2_b64 vcc, exec, s[8:9]
	s_mov_b64 s[8:9], 0
	s_cbranch_vccnz .LBB39_1324
; %bb.1314:
	s_cmp_gt_i32 s16, 14
	s_cbranch_scc0 .LBB39_1317
; %bb.1315:
	s_cmp_eq_u32 s16, 15
	s_cbranch_scc0 .LBB39_1320
; %bb.1316:
	global_load_ushort v1, v[16:17], off
	s_mov_b32 s0, 0x2f800000
	s_mov_b32 s1, 0xcf800000
	s_mov_b64 s[10:11], -1
	s_waitcnt vmcnt(0)
	v_lshlrev_b32_e32 v1, 16, v1
	v_trunc_f32_e32 v1, v1
	v_mul_f32_e64 v3, |v1|, s0
	v_floor_f32_e32 v3, v3
	v_fma_f32 v5, v3, s1, |v1|
	v_cvt_u32_f32_e32 v5, v5
	v_cvt_u32_f32_e32 v3, v3
	v_ashrrev_i32_e32 v1, 31, v1
	s_mov_b64 s[0:1], 0
	v_xor_b32_e32 v5, v5, v1
	v_xor_b32_e32 v3, v3, v1
	v_sub_co_u32_e32 v10, vcc, v5, v1
	s_nop 1
	v_subb_co_u32_e32 v11, vcc, v3, v1, vcc
	s_branch .LBB39_1321
.LBB39_1317:
	s_mov_b64 s[12:13], -1
                                        ; implicit-def: $vgpr10_vgpr11
	s_branch .LBB39_1322
.LBB39_1318:
	s_andn2_saveexec_b64 s[8:9], s[8:9]
	s_cbranch_execz .LBB39_1299
.LBB39_1319:
	v_cmp_ne_u16_e32 vcc, 0, v1
	s_andn2_b64 s[10:11], s[10:11], exec
	s_and_b64 s[12:13], vcc, exec
	s_or_b64 s[10:11], s[10:11], s[12:13]
	s_or_b64 exec, exec, s[8:9]
	v_mov_b64_e32 v[10:11], 0
	s_and_saveexec_b64 s[8:9], s[10:11]
	s_cbranch_execnz .LBB39_1300
	s_branch .LBB39_1301
.LBB39_1320:
	s_mov_b64 s[0:1], -1
                                        ; implicit-def: $vgpr10_vgpr11
.LBB39_1321:
	s_mov_b64 s[12:13], 0
.LBB39_1322:
	s_and_b64 vcc, exec, s[12:13]
	s_cbranch_vccz .LBB39_1324
; %bb.1323:
	s_cmp_lg_u32 s16, 11
	s_mov_b64 s[8:9], -1
	s_cselect_b64 s[0:1], -1, 0
.LBB39_1324:
	s_and_b64 vcc, exec, s[0:1]
	s_cbranch_vccnz .LBB39_1397
; %bb.1325:
	s_andn2_b64 vcc, exec, s[8:9]
	s_cbranch_vccnz .LBB39_1327
.LBB39_1326:
	global_load_ubyte v1, v[16:17], off
	s_mov_b32 s0, 0
	s_waitcnt vmcnt(1)
	v_mov_b32_e32 v11, s0
	s_mov_b64 s[10:11], -1
	s_waitcnt vmcnt(0)
	v_cmp_ne_u16_e32 vcc, 0, v1
	s_nop 1
	v_cndmask_b32_e64 v10, 0, 1, vcc
.LBB39_1327:
	s_branch .LBB39_1258
.LBB39_1328:
	s_and_b32 s8, 0xffff, s15
	s_cmp_lt_i32 s8, 5
	s_cbranch_scc1 .LBB39_1333
; %bb.1329:
	s_cmp_lt_i32 s8, 8
	s_cbranch_scc1 .LBB39_1334
; %bb.1330:
	;; [unrolled: 3-line block ×3, first 2 shown]
	s_cmp_gt_i32 s8, 9
	s_cbranch_scc0 .LBB39_1336
; %bb.1332:
	global_load_dwordx2 v[10:11], v[16:17], off
	s_movk_i32 s0, 0xffe0
	s_waitcnt vmcnt(0)
	v_trunc_f64_e32 v[18:19], v[10:11]
	v_ldexp_f64 v[10:11], v[18:19], s0
	v_floor_f64_e32 v[20:21], v[10:11]
	v_fmac_f64_e32 v[18:19], 0xc1f00000, v[20:21]
	v_cvt_i32_f64_e32 v11, v[20:21]
	v_cvt_u32_f64_e32 v10, v[18:19]
	s_mov_b64 s[0:1], 0
	s_branch .LBB39_1337
.LBB39_1333:
                                        ; implicit-def: $vgpr10_vgpr11
	s_branch .LBB39_1355
.LBB39_1334:
	s_mov_b64 s[0:1], -1
                                        ; implicit-def: $vgpr10_vgpr11
	s_branch .LBB39_1343
.LBB39_1335:
	s_mov_b64 s[0:1], -1
                                        ; implicit-def: $vgpr10_vgpr11
	s_branch .LBB39_1340
.LBB39_1336:
	s_mov_b64 s[0:1], -1
                                        ; implicit-def: $vgpr10_vgpr11
.LBB39_1337:
	s_andn2_b64 vcc, exec, s[0:1]
	s_cbranch_vccnz .LBB39_1339
; %bb.1338:
	global_load_dword v1, v[16:17], off
	s_mov_b32 s0, 0x2f800000
	s_mov_b32 s1, 0xcf800000
	s_waitcnt vmcnt(0)
	v_trunc_f32_e32 v1, v1
	v_mul_f32_e64 v3, |v1|, s0
	v_floor_f32_e32 v3, v3
	v_cvt_u32_f32_e32 v5, v3
	v_fma_f32 v3, v3, s1, |v1|
	v_cvt_u32_f32_e32 v3, v3
	v_ashrrev_i32_e32 v1, 31, v1
	v_xor_b32_e32 v5, v5, v1
	v_xor_b32_e32 v3, v3, v1
	v_sub_co_u32_e32 v10, vcc, v3, v1
	s_nop 1
	v_subb_co_u32_e32 v11, vcc, v5, v1, vcc
.LBB39_1339:
	s_mov_b64 s[0:1], 0
.LBB39_1340:
	s_andn2_b64 vcc, exec, s[0:1]
	s_cbranch_vccnz .LBB39_1342
; %bb.1341:
	global_load_dword v1, v[16:17], off
	s_waitcnt vmcnt(0)
	v_cvt_f32_f16_e32 v1, v1
	v_cvt_i32_f32_e32 v10, v1
	v_ashrrev_i32_e32 v11, 31, v10
.LBB39_1342:
	s_mov_b64 s[0:1], 0
.LBB39_1343:
	s_andn2_b64 vcc, exec, s[0:1]
	s_cbranch_vccnz .LBB39_1354
; %bb.1344:
	s_cmp_lt_i32 s8, 6
	s_cbranch_scc1 .LBB39_1347
; %bb.1345:
	s_cmp_gt_i32 s8, 6
	s_cbranch_scc0 .LBB39_1348
; %bb.1346:
	global_load_dwordx2 v[10:11], v[16:17], off
	s_movk_i32 s0, 0xffe0
	s_waitcnt vmcnt(0)
	v_trunc_f64_e32 v[18:19], v[10:11]
	v_ldexp_f64 v[10:11], v[18:19], s0
	v_floor_f64_e32 v[20:21], v[10:11]
	v_fmac_f64_e32 v[18:19], 0xc1f00000, v[20:21]
	v_cvt_i32_f64_e32 v11, v[20:21]
	v_cvt_u32_f64_e32 v10, v[18:19]
	s_mov_b64 s[0:1], 0
	s_branch .LBB39_1349
.LBB39_1347:
	s_mov_b64 s[0:1], -1
                                        ; implicit-def: $vgpr10_vgpr11
	s_branch .LBB39_1352
.LBB39_1348:
	s_mov_b64 s[0:1], -1
                                        ; implicit-def: $vgpr10_vgpr11
.LBB39_1349:
	s_andn2_b64 vcc, exec, s[0:1]
	s_cbranch_vccnz .LBB39_1351
; %bb.1350:
	global_load_dword v1, v[16:17], off
	s_mov_b32 s0, 0x2f800000
	s_mov_b32 s1, 0xcf800000
	s_waitcnt vmcnt(0)
	v_trunc_f32_e32 v1, v1
	v_mul_f32_e64 v3, |v1|, s0
	v_floor_f32_e32 v3, v3
	v_cvt_u32_f32_e32 v5, v3
	v_fma_f32 v3, v3, s1, |v1|
	v_cvt_u32_f32_e32 v3, v3
	v_ashrrev_i32_e32 v1, 31, v1
	v_xor_b32_e32 v5, v5, v1
	v_xor_b32_e32 v3, v3, v1
	v_sub_co_u32_e32 v10, vcc, v3, v1
	s_nop 1
	v_subb_co_u32_e32 v11, vcc, v5, v1, vcc
.LBB39_1351:
	s_mov_b64 s[0:1], 0
.LBB39_1352:
	s_andn2_b64 vcc, exec, s[0:1]
	s_cbranch_vccnz .LBB39_1354
; %bb.1353:
	global_load_ushort v1, v[16:17], off
	s_waitcnt vmcnt(0)
	v_cvt_f32_f16_e32 v1, v1
	v_cvt_i32_f32_e32 v10, v1
	v_ashrrev_i32_e32 v11, 31, v10
.LBB39_1354:
	s_cbranch_execnz .LBB39_1374
.LBB39_1355:
	s_cmp_lt_i32 s8, 2
	s_cbranch_scc1 .LBB39_1359
; %bb.1356:
	s_cmp_lt_i32 s8, 3
	s_cbranch_scc1 .LBB39_1360
; %bb.1357:
	s_cmp_gt_i32 s8, 3
	s_cbranch_scc0 .LBB39_1361
; %bb.1358:
	global_load_dwordx2 v[10:11], v[16:17], off
	s_mov_b64 s[0:1], 0
	s_branch .LBB39_1362
.LBB39_1359:
	s_mov_b64 s[0:1], -1
                                        ; implicit-def: $vgpr10_vgpr11
	s_branch .LBB39_1368
.LBB39_1360:
	s_mov_b64 s[0:1], -1
                                        ; implicit-def: $vgpr10_vgpr11
	s_branch .LBB39_1365
.LBB39_1361:
	s_mov_b64 s[0:1], -1
                                        ; implicit-def: $vgpr10_vgpr11
.LBB39_1362:
	s_andn2_b64 vcc, exec, s[0:1]
	s_cbranch_vccnz .LBB39_1364
; %bb.1363:
	global_load_dword v10, v[16:17], off
	s_waitcnt vmcnt(0)
	v_ashrrev_i32_e32 v11, 31, v10
.LBB39_1364:
	s_mov_b64 s[0:1], 0
.LBB39_1365:
	s_andn2_b64 vcc, exec, s[0:1]
	s_cbranch_vccnz .LBB39_1367
; %bb.1366:
	global_load_ushort v1, v[16:17], off
	s_waitcnt vmcnt(0)
	v_bfe_i32 v10, v1, 0, 16
	v_ashrrev_i32_e32 v11, 31, v10
.LBB39_1367:
	s_mov_b64 s[0:1], 0
.LBB39_1368:
	s_andn2_b64 vcc, exec, s[0:1]
	s_cbranch_vccnz .LBB39_1374
; %bb.1369:
	s_cmp_gt_i32 s8, 0
	s_cbranch_scc0 .LBB39_1371
; %bb.1370:
	global_load_sbyte v1, v[16:17], off
	s_mov_b64 s[0:1], 0
	s_waitcnt vmcnt(0)
	v_bfe_i32 v10, v1, 0, 16
	v_ashrrev_i32_e32 v11, 31, v10
	s_branch .LBB39_1372
.LBB39_1371:
	s_mov_b64 s[0:1], -1
                                        ; implicit-def: $vgpr10_vgpr11
.LBB39_1372:
	s_andn2_b64 vcc, exec, s[0:1]
	s_cbranch_vccnz .LBB39_1374
; %bb.1373:
	global_load_ubyte v1, v[16:17], off
	s_mov_b32 s0, 0
	s_waitcnt vmcnt(1)
	v_mov_b32_e32 v11, s0
	s_waitcnt vmcnt(0)
	v_and_b32_e32 v10, 0xffff, v1
.LBB39_1374:
.LBB39_1375:
	v_mov_b32_e32 v15, 0
	s_cmp_lt_i32 s15, 11
	v_lshl_add_u64 v[16:17], s[6:7], 0, v[14:15]
	s_cbranch_scc1 .LBB39_1382
; %bb.1376:
	s_and_b32 s16, 0xffff, s15
	s_cmp_gt_i32 s16, 25
	s_mov_b64 s[8:9], 0
	s_cbranch_scc0 .LBB39_1391
; %bb.1377:
	s_cmp_gt_i32 s16, 28
	s_cbranch_scc0 .LBB39_1393
; %bb.1378:
	s_cmp_gt_i32 s16, 43
	;; [unrolled: 3-line block ×3, first 2 shown]
	s_cbranch_scc0 .LBB39_1398
; %bb.1380:
	s_cmp_eq_u32 s16, 46
	s_mov_b64 s[12:13], 0
	s_cbranch_scc0 .LBB39_1400
; %bb.1381:
	global_load_dword v1, v[16:17], off
	s_mov_b32 s0, 0x2f800000
	s_mov_b32 s1, 0xcf800000
	s_mov_b64 s[10:11], -1
	s_waitcnt vmcnt(0)
	v_lshlrev_b32_e32 v1, 16, v1
	v_trunc_f32_e32 v1, v1
	v_mul_f32_e64 v3, |v1|, s0
	v_floor_f32_e32 v3, v3
	v_fma_f32 v5, v3, s1, |v1|
	v_cvt_u32_f32_e32 v5, v5
	v_cvt_u32_f32_e32 v3, v3
	v_ashrrev_i32_e32 v1, 31, v1
	s_mov_b64 s[0:1], 0
	v_xor_b32_e32 v5, v5, v1
	v_xor_b32_e32 v3, v3, v1
	v_sub_co_u32_e32 v14, vcc, v5, v1
	s_nop 1
	v_subb_co_u32_e32 v15, vcc, v3, v1, vcc
	s_branch .LBB39_1401
.LBB39_1382:
	s_mov_b64 s[10:11], 0
                                        ; implicit-def: $vgpr14_vgpr15
	s_cbranch_execnz .LBB39_1464
.LBB39_1383:
	s_andn2_b64 vcc, exec, s[10:11]
	s_cbranch_vccnz .LBB39_1512
.LBB39_1384:
	v_mov_b32_e32 v13, 0
	s_cmp_lt_i32 s15, 11
	v_lshl_add_u64 v[16:17], s[6:7], 0, v[12:13]
	s_cbranch_scc1 .LBB39_1392
; %bb.1385:
	s_and_b32 s12, 0xffff, s15
	s_cmp_gt_i32 s12, 25
	s_mov_b64 s[6:7], 0
	s_cbranch_scc0 .LBB39_1394
; %bb.1386:
	s_cmp_gt_i32 s12, 28
	s_cbranch_scc0 .LBB39_1396
; %bb.1387:
	s_cmp_gt_i32 s12, 43
	;; [unrolled: 3-line block ×3, first 2 shown]
	s_cbranch_scc0 .LBB39_1404
; %bb.1389:
	s_cmp_eq_u32 s12, 46
	s_mov_b64 s[10:11], 0
	s_cbranch_scc0 .LBB39_1559
; %bb.1390:
	global_load_dword v1, v[16:17], off
	s_mov_b32 s0, 0x2f800000
	s_mov_b32 s1, 0xcf800000
	s_mov_b64 s[8:9], -1
	s_waitcnt vmcnt(0)
	v_lshlrev_b32_e32 v1, 16, v1
	v_trunc_f32_e32 v1, v1
	v_mul_f32_e64 v3, |v1|, s0
	v_floor_f32_e32 v3, v3
	v_fma_f32 v5, v3, s1, |v1|
	v_cvt_u32_f32_e32 v5, v5
	v_cvt_u32_f32_e32 v3, v3
	v_ashrrev_i32_e32 v1, 31, v1
	s_mov_b64 s[0:1], 0
	v_xor_b32_e32 v5, v5, v1
	v_xor_b32_e32 v3, v3, v1
	v_sub_co_u32_e32 v12, vcc, v5, v1
	s_nop 1
	v_subb_co_u32_e32 v13, vcc, v3, v1, vcc
	s_branch .LBB39_1560
.LBB39_1391:
	s_mov_b64 s[12:13], -1
	s_mov_b64 s[10:11], 0
	s_mov_b64 s[0:1], 0
                                        ; implicit-def: $vgpr14_vgpr15
	s_branch .LBB39_1429
.LBB39_1392:
	s_mov_b64 s[0:1], -1
	s_mov_b64 s[8:9], 0
                                        ; implicit-def: $vgpr12_vgpr13
	s_branch .LBB39_1622
.LBB39_1393:
	s_mov_b64 s[12:13], -1
	s_mov_b64 s[10:11], 0
	s_mov_b64 s[0:1], 0
                                        ; implicit-def: $vgpr14_vgpr15
	s_branch .LBB39_1412
.LBB39_1394:
	s_mov_b64 s[10:11], -1
	s_mov_b64 s[8:9], 0
	s_mov_b64 s[0:1], 0
                                        ; implicit-def: $vgpr12_vgpr13
	s_branch .LBB39_1587
.LBB39_1395:
	s_mov_b64 s[12:13], -1
	s_mov_b64 s[10:11], 0
	s_mov_b64 s[0:1], 0
                                        ; implicit-def: $vgpr14_vgpr15
	s_branch .LBB39_1407
.LBB39_1396:
	s_mov_b64 s[10:11], -1
	s_mov_b64 s[8:9], 0
	s_mov_b64 s[0:1], 0
                                        ; implicit-def: $vgpr12_vgpr13
	s_branch .LBB39_1570
.LBB39_1397:
	s_trap 2
	s_or_b64 s[2:3], s[2:3], exec
	s_cbranch_execz .LBB39_1326
	s_branch .LBB39_1327
.LBB39_1398:
	s_mov_b64 s[12:13], -1
	s_mov_b64 s[10:11], 0
	s_mov_b64 s[0:1], 0
                                        ; implicit-def: $vgpr14_vgpr15
	s_branch .LBB39_1401
.LBB39_1399:
	s_mov_b64 s[10:11], -1
	s_mov_b64 s[8:9], 0
	s_mov_b64 s[0:1], 0
                                        ; implicit-def: $vgpr12_vgpr13
	s_branch .LBB39_1565
.LBB39_1400:
	s_mov_b64 s[0:1], -1
                                        ; implicit-def: $vgpr14_vgpr15
	s_mov_b64 s[10:11], 0
.LBB39_1401:
	s_and_b64 vcc, exec, s[12:13]
	s_cbranch_vccz .LBB39_1406
; %bb.1402:
	s_cmp_eq_u32 s16, 44
	s_cbranch_scc0 .LBB39_1405
; %bb.1403:
	global_load_ubyte v1, v[16:17], off
	s_mov_b32 s0, 0x2f800000
	s_mov_b32 s1, 0xcf800000
	s_mov_b64 s[10:11], -1
	s_waitcnt vmcnt(0)
	v_lshlrev_b32_e32 v3, 23, v1
	v_trunc_f32_e32 v3, v3
	v_mul_f32_e64 v5, |v3|, s0
	v_floor_f32_e32 v5, v5
	v_fma_f32 v7, v5, s1, |v3|
	v_cvt_u32_f32_e32 v7, v7
	v_cvt_u32_f32_e32 v5, v5
	v_ashrrev_i32_e32 v3, 31, v3
	s_mov_b64 s[0:1], 0
	v_xor_b32_e32 v7, v7, v3
	v_xor_b32_e32 v5, v5, v3
	v_sub_co_u32_e32 v7, vcc, v7, v3
	s_nop 1
	v_subb_co_u32_e32 v3, vcc, v5, v3, vcc
	v_cmp_ne_u32_e32 vcc, 0, v1
	s_nop 1
	v_cndmask_b32_e32 v15, 0, v3, vcc
	v_cndmask_b32_e32 v14, 0, v7, vcc
	s_branch .LBB39_1406
.LBB39_1404:
	s_mov_b64 s[10:11], -1
	s_mov_b64 s[8:9], 0
	s_mov_b64 s[0:1], 0
                                        ; implicit-def: $vgpr12_vgpr13
	s_branch .LBB39_1560
.LBB39_1405:
	s_mov_b64 s[0:1], -1
                                        ; implicit-def: $vgpr14_vgpr15
.LBB39_1406:
	s_mov_b64 s[12:13], 0
.LBB39_1407:
	s_and_b64 vcc, exec, s[12:13]
	s_cbranch_vccz .LBB39_1411
; %bb.1408:
	s_cmp_eq_u32 s16, 29
	s_cbranch_scc0 .LBB39_1410
; %bb.1409:
	global_load_dwordx2 v[14:15], v[16:17], off
	s_mov_b64 s[0:1], 0
	s_mov_b64 s[10:11], -1
	s_branch .LBB39_1411
.LBB39_1410:
	s_mov_b64 s[0:1], -1
                                        ; implicit-def: $vgpr14_vgpr15
.LBB39_1411:
	s_mov_b64 s[12:13], 0
.LBB39_1412:
	s_and_b64 vcc, exec, s[12:13]
	s_cbranch_vccz .LBB39_1428
; %bb.1413:
	s_cmp_lt_i32 s16, 27
	s_cbranch_scc1 .LBB39_1416
; %bb.1414:
	s_cmp_gt_i32 s16, 27
	s_cbranch_scc0 .LBB39_1417
; %bb.1415:
	global_load_dword v14, v[16:17], off
	s_waitcnt vmcnt(1)
	v_mov_b32_e32 v15, 0
	s_mov_b64 s[10:11], 0
	s_branch .LBB39_1418
.LBB39_1416:
	s_mov_b64 s[10:11], -1
                                        ; implicit-def: $vgpr14_vgpr15
	s_branch .LBB39_1421
.LBB39_1417:
	s_mov_b64 s[10:11], -1
                                        ; implicit-def: $vgpr14_vgpr15
.LBB39_1418:
	s_andn2_b64 vcc, exec, s[10:11]
	s_cbranch_vccnz .LBB39_1420
; %bb.1419:
	global_load_ushort v1, v[16:17], off
	s_mov_b32 s10, 0
	s_waitcnt vmcnt(1)
	v_mov_b32_e32 v15, s10
	s_waitcnt vmcnt(0)
	v_and_b32_e32 v14, 0xffff, v1
.LBB39_1420:
	s_mov_b64 s[10:11], 0
.LBB39_1421:
	s_andn2_b64 vcc, exec, s[10:11]
	s_cbranch_vccnz .LBB39_1427
; %bb.1422:
	global_load_ubyte v1, v[16:17], off
	s_movk_i32 s10, 0x7f
	s_mov_b64 s[12:13], 0
	s_waitcnt vmcnt(0)
	v_cmp_lt_i16_e32 vcc, s10, v1
	s_and_saveexec_b64 s[10:11], vcc
	s_xor_b64 s[10:11], exec, s[10:11]
	s_cbranch_execz .LBB39_1439
; %bb.1423:
	s_movk_i32 s12, 0x80
	v_cmp_ne_u16_e32 vcc, s12, v1
	s_and_b64 s[12:13], vcc, exec
	s_andn2_saveexec_b64 s[10:11], s[10:11]
	s_cbranch_execnz .LBB39_1440
.LBB39_1424:
	s_or_b64 exec, exec, s[10:11]
	v_mov_b64_e32 v[14:15], 0
	s_and_saveexec_b64 s[10:11], s[12:13]
	s_cbranch_execz .LBB39_1426
.LBB39_1425:
	v_lshlrev_b32_e32 v3, 24, v1
	v_and_b32_e32 v1, 0xffff, v1
	v_and_b32_e32 v5, 7, v1
	v_ffbh_u32_e32 v13, v5
	v_min_u32_e32 v13, 32, v13
	v_subrev_u32_e32 v14, 28, v13
	v_bfe_u32 v7, v1, 3, 4
	v_lshlrev_b32_e32 v1, v14, v1
	v_sub_u32_e32 v13, 29, v13
	v_and_b32_e32 v1, 7, v1
	v_cmp_eq_u32_e32 vcc, 0, v7
	v_and_b32_e32 v3, 0x80000000, v3
	s_mov_b32 s12, 0x2f800000
	v_cndmask_b32_e32 v7, v7, v13, vcc
	v_cndmask_b32_e32 v1, v5, v1, vcc
	v_mov_b32_e32 v5, 0x3b800000
	v_lshlrev_b32_e32 v1, 20, v1
	v_lshl_add_u32 v5, v7, 23, v5
	v_or3_b32 v1, v3, v5, v1
	v_trunc_f32_e32 v1, v1
	v_mul_f32_e64 v3, |v1|, s12
	v_floor_f32_e32 v3, v3
	s_mov_b32 s12, 0xcf800000
	v_fma_f32 v5, v3, s12, |v1|
	v_cvt_u32_f32_e32 v5, v5
	v_cvt_u32_f32_e32 v3, v3
	v_ashrrev_i32_e32 v1, 31, v1
	v_xor_b32_e32 v5, v5, v1
	v_xor_b32_e32 v3, v3, v1
	v_sub_co_u32_e32 v14, vcc, v5, v1
	s_nop 1
	v_subb_co_u32_e32 v15, vcc, v3, v1, vcc
.LBB39_1426:
	s_or_b64 exec, exec, s[10:11]
.LBB39_1427:
	s_mov_b64 s[10:11], -1
.LBB39_1428:
	s_mov_b64 s[12:13], 0
.LBB39_1429:
	s_and_b64 vcc, exec, s[12:13]
	s_cbranch_vccz .LBB39_1460
; %bb.1430:
	s_cmp_gt_i32 s16, 22
	s_cbranch_scc0 .LBB39_1438
; %bb.1431:
	s_cmp_lt_i32 s16, 24
	s_cbranch_scc1 .LBB39_1441
; %bb.1432:
	s_cmp_gt_i32 s16, 24
	s_cbranch_scc0 .LBB39_1442
; %bb.1433:
	global_load_ubyte v1, v[16:17], off
	s_movk_i32 s8, 0x7f
	s_mov_b64 s[10:11], 0
	s_waitcnt vmcnt(0)
	v_cmp_lt_i16_e32 vcc, s8, v1
	s_and_saveexec_b64 s[8:9], vcc
	s_xor_b64 s[8:9], exec, s[8:9]
	s_cbranch_execz .LBB39_1454
; %bb.1434:
	s_movk_i32 s10, 0x80
	v_cmp_ne_u16_e32 vcc, s10, v1
	s_and_b64 s[10:11], vcc, exec
	s_andn2_saveexec_b64 s[8:9], s[8:9]
	s_cbranch_execnz .LBB39_1455
.LBB39_1435:
	s_or_b64 exec, exec, s[8:9]
	v_mov_b64_e32 v[14:15], 0
	s_and_saveexec_b64 s[8:9], s[10:11]
	s_cbranch_execz .LBB39_1437
.LBB39_1436:
	v_lshlrev_b32_e32 v3, 24, v1
	v_and_b32_e32 v1, 0xffff, v1
	v_and_b32_e32 v5, 3, v1
	v_ffbh_u32_e32 v13, v5
	v_min_u32_e32 v13, 32, v13
	v_subrev_u32_e32 v14, 29, v13
	v_bfe_u32 v7, v1, 2, 5
	v_lshlrev_b32_e32 v1, v14, v1
	v_sub_u32_e32 v13, 30, v13
	v_and_b32_e32 v1, 3, v1
	v_cmp_eq_u32_e32 vcc, 0, v7
	v_and_b32_e32 v3, 0x80000000, v3
	s_mov_b32 s10, 0x2f800000
	v_cndmask_b32_e32 v7, v7, v13, vcc
	v_cndmask_b32_e32 v1, v5, v1, vcc
	v_mov_b32_e32 v5, 0x37800000
	v_lshlrev_b32_e32 v1, 21, v1
	v_lshl_add_u32 v5, v7, 23, v5
	v_or3_b32 v1, v3, v5, v1
	v_trunc_f32_e32 v1, v1
	v_mul_f32_e64 v3, |v1|, s10
	v_floor_f32_e32 v3, v3
	s_mov_b32 s10, 0xcf800000
	v_fma_f32 v5, v3, s10, |v1|
	v_cvt_u32_f32_e32 v5, v5
	v_cvt_u32_f32_e32 v3, v3
	v_ashrrev_i32_e32 v1, 31, v1
	v_xor_b32_e32 v5, v5, v1
	v_xor_b32_e32 v3, v3, v1
	v_sub_co_u32_e32 v14, vcc, v5, v1
	s_nop 1
	v_subb_co_u32_e32 v15, vcc, v3, v1, vcc
.LBB39_1437:
	s_or_b64 exec, exec, s[8:9]
	s_mov_b64 s[8:9], 0
	s_branch .LBB39_1443
.LBB39_1438:
	s_mov_b64 s[8:9], -1
                                        ; implicit-def: $vgpr14_vgpr15
	s_branch .LBB39_1449
.LBB39_1439:
	s_andn2_saveexec_b64 s[10:11], s[10:11]
	s_cbranch_execz .LBB39_1424
.LBB39_1440:
	v_cmp_ne_u16_e32 vcc, 0, v1
	s_andn2_b64 s[12:13], s[12:13], exec
	s_and_b64 s[18:19], vcc, exec
	s_or_b64 s[12:13], s[12:13], s[18:19]
	s_or_b64 exec, exec, s[10:11]
	v_mov_b64_e32 v[14:15], 0
	s_and_saveexec_b64 s[10:11], s[12:13]
	s_cbranch_execnz .LBB39_1425
	s_branch .LBB39_1426
.LBB39_1441:
	s_mov_b64 s[8:9], -1
                                        ; implicit-def: $vgpr14_vgpr15
	s_branch .LBB39_1446
.LBB39_1442:
	s_mov_b64 s[8:9], -1
                                        ; implicit-def: $vgpr14_vgpr15
.LBB39_1443:
	s_and_b64 vcc, exec, s[8:9]
	s_cbranch_vccz .LBB39_1445
; %bb.1444:
	global_load_ubyte v1, v[16:17], off
	s_mov_b32 s8, 0x7f800000
	s_brev_b32 s9, 1
	s_mov_b32 s10, 0x2f800000
	s_mov_b32 s11, 0xcf800000
	s_waitcnt vmcnt(0)
	v_lshlrev_b32_e32 v1, 24, v1
	v_and_b32_e32 v3, 0x7f000000, v1
	v_ffbh_u32_e32 v5, v3
	v_min_u32_e32 v5, 32, v5
	v_sub_u32_e64 v5, v5, 4 clamp
	v_lshlrev_b32_e32 v13, v5, v3
	v_lshlrev_b32_e32 v5, 23, v5
	v_lshrrev_b32_e32 v13, 4, v13
	v_add_u32_e32 v7, 0x1000000, v3
	v_sub_u32_e32 v5, v13, v5
	v_ashrrev_i32_e32 v7, 8, v7
	v_add_u32_e32 v5, 0x3c000000, v5
	v_and_or_b32 v5, v7, s8, v5
	v_cmp_ne_u32_e32 vcc, 0, v3
	s_nop 1
	v_cndmask_b32_e32 v3, 0, v5, vcc
	v_and_or_b32 v1, v1, s9, v3
	v_trunc_f32_e32 v1, v1
	v_mul_f32_e64 v3, |v1|, s10
	v_floor_f32_e32 v3, v3
	v_fma_f32 v5, v3, s11, |v1|
	v_cvt_u32_f32_e32 v5, v5
	v_cvt_u32_f32_e32 v3, v3
	v_ashrrev_i32_e32 v1, 31, v1
	v_xor_b32_e32 v5, v5, v1
	v_xor_b32_e32 v3, v3, v1
	v_sub_co_u32_e32 v14, vcc, v5, v1
	s_nop 1
	v_subb_co_u32_e32 v15, vcc, v3, v1, vcc
.LBB39_1445:
	s_mov_b64 s[8:9], 0
.LBB39_1446:
	s_andn2_b64 vcc, exec, s[8:9]
	s_cbranch_vccnz .LBB39_1448
; %bb.1447:
	global_load_ubyte v1, v[16:17], off
	s_movk_i32 s8, 0x7f00
	s_brev_b32 s9, 16
	s_brev_b32 s10, 1
	s_mov_b32 s11, 0x2f800000
	s_mov_b32 s12, 0xcf800000
	s_waitcnt vmcnt(0)
	v_lshlrev_b16_e32 v3, 8, v1
	v_lshlrev_b32_e32 v1, 25, v1
	v_lshrrev_b32_e32 v5, 4, v1
	v_and_or_b32 v7, v3, s8, 0.5
	v_or_b32_e32 v5, 0x70000000, v5
	v_add_f32_e32 v7, -0.5, v7
	v_mul_f32_e32 v5, 0x7800000, v5
	v_cmp_gt_u32_e32 vcc, s9, v1
	v_bfe_i32 v3, v3, 0, 16
	s_nop 0
	v_cndmask_b32_e32 v1, v5, v7, vcc
	v_and_or_b32 v1, v3, s10, v1
	v_trunc_f32_e32 v1, v1
	v_mul_f32_e64 v3, |v1|, s11
	v_floor_f32_e32 v3, v3
	v_fma_f32 v5, v3, s12, |v1|
	v_cvt_u32_f32_e32 v5, v5
	v_cvt_u32_f32_e32 v3, v3
	v_ashrrev_i32_e32 v1, 31, v1
	v_xor_b32_e32 v5, v5, v1
	v_xor_b32_e32 v3, v3, v1
	v_sub_co_u32_e32 v14, vcc, v5, v1
	s_nop 1
	v_subb_co_u32_e32 v15, vcc, v3, v1, vcc
.LBB39_1448:
	s_mov_b64 s[8:9], 0
	s_mov_b64 s[10:11], -1
.LBB39_1449:
	s_andn2_b64 vcc, exec, s[8:9]
	s_mov_b64 s[8:9], 0
	s_cbranch_vccnz .LBB39_1460
; %bb.1450:
	s_cmp_gt_i32 s16, 14
	s_cbranch_scc0 .LBB39_1453
; %bb.1451:
	s_cmp_eq_u32 s16, 15
	s_cbranch_scc0 .LBB39_1456
; %bb.1452:
	global_load_ushort v1, v[16:17], off
	s_mov_b32 s0, 0x2f800000
	s_mov_b32 s1, 0xcf800000
	s_mov_b64 s[10:11], -1
	s_waitcnt vmcnt(0)
	v_lshlrev_b32_e32 v1, 16, v1
	v_trunc_f32_e32 v1, v1
	v_mul_f32_e64 v3, |v1|, s0
	v_floor_f32_e32 v3, v3
	v_fma_f32 v5, v3, s1, |v1|
	v_cvt_u32_f32_e32 v5, v5
	v_cvt_u32_f32_e32 v3, v3
	v_ashrrev_i32_e32 v1, 31, v1
	s_mov_b64 s[0:1], 0
	v_xor_b32_e32 v5, v5, v1
	v_xor_b32_e32 v3, v3, v1
	v_sub_co_u32_e32 v14, vcc, v5, v1
	s_nop 1
	v_subb_co_u32_e32 v15, vcc, v3, v1, vcc
	s_branch .LBB39_1457
.LBB39_1453:
	s_mov_b64 s[12:13], -1
                                        ; implicit-def: $vgpr14_vgpr15
	s_branch .LBB39_1458
.LBB39_1454:
	s_andn2_saveexec_b64 s[8:9], s[8:9]
	s_cbranch_execz .LBB39_1435
.LBB39_1455:
	v_cmp_ne_u16_e32 vcc, 0, v1
	s_andn2_b64 s[10:11], s[10:11], exec
	s_and_b64 s[12:13], vcc, exec
	s_or_b64 s[10:11], s[10:11], s[12:13]
	s_or_b64 exec, exec, s[8:9]
	v_mov_b64_e32 v[14:15], 0
	s_and_saveexec_b64 s[8:9], s[10:11]
	s_cbranch_execnz .LBB39_1436
	s_branch .LBB39_1437
.LBB39_1456:
	s_mov_b64 s[0:1], -1
                                        ; implicit-def: $vgpr14_vgpr15
.LBB39_1457:
	s_mov_b64 s[12:13], 0
.LBB39_1458:
	s_and_b64 vcc, exec, s[12:13]
	s_cbranch_vccz .LBB39_1460
; %bb.1459:
	s_cmp_lg_u32 s16, 11
	s_mov_b64 s[8:9], -1
	s_cselect_b64 s[0:1], -1, 0
.LBB39_1460:
	s_and_b64 vcc, exec, s[0:1]
	s_cbranch_vccnz .LBB39_1558
; %bb.1461:
	s_andn2_b64 vcc, exec, s[8:9]
	s_cbranch_vccnz .LBB39_1463
.LBB39_1462:
	global_load_ubyte v1, v[16:17], off
	s_mov_b32 s0, 0
	s_waitcnt vmcnt(1)
	v_mov_b32_e32 v15, s0
	s_mov_b64 s[10:11], -1
	s_waitcnt vmcnt(0)
	v_cmp_ne_u16_e32 vcc, 0, v1
	s_nop 1
	v_cndmask_b32_e64 v14, 0, 1, vcc
.LBB39_1463:
	s_branch .LBB39_1383
.LBB39_1464:
	s_and_b32 s8, 0xffff, s15
	s_cmp_lt_i32 s8, 5
	s_cbranch_scc1 .LBB39_1469
; %bb.1465:
	s_cmp_lt_i32 s8, 8
	s_cbranch_scc1 .LBB39_1470
; %bb.1466:
	;; [unrolled: 3-line block ×3, first 2 shown]
	s_cmp_gt_i32 s8, 9
	s_cbranch_scc0 .LBB39_1472
; %bb.1468:
	global_load_dwordx2 v[14:15], v[16:17], off
	s_movk_i32 s0, 0xffe0
	s_waitcnt vmcnt(0)
	v_trunc_f64_e32 v[18:19], v[14:15]
	v_ldexp_f64 v[14:15], v[18:19], s0
	v_floor_f64_e32 v[20:21], v[14:15]
	v_fmac_f64_e32 v[18:19], 0xc1f00000, v[20:21]
	v_cvt_i32_f64_e32 v15, v[20:21]
	v_cvt_u32_f64_e32 v14, v[18:19]
	s_mov_b64 s[0:1], 0
	s_branch .LBB39_1473
.LBB39_1469:
	s_mov_b64 s[0:1], -1
                                        ; implicit-def: $vgpr14_vgpr15
	s_branch .LBB39_1491
.LBB39_1470:
	s_mov_b64 s[0:1], -1
                                        ; implicit-def: $vgpr14_vgpr15
	s_branch .LBB39_1479
.LBB39_1471:
	s_mov_b64 s[0:1], -1
                                        ; implicit-def: $vgpr14_vgpr15
	s_branch .LBB39_1476
.LBB39_1472:
	s_mov_b64 s[0:1], -1
                                        ; implicit-def: $vgpr14_vgpr15
.LBB39_1473:
	s_andn2_b64 vcc, exec, s[0:1]
	s_cbranch_vccnz .LBB39_1475
; %bb.1474:
	global_load_dword v1, v[16:17], off
	s_mov_b32 s0, 0x2f800000
	s_mov_b32 s1, 0xcf800000
	s_waitcnt vmcnt(0)
	v_trunc_f32_e32 v1, v1
	v_mul_f32_e64 v3, |v1|, s0
	v_floor_f32_e32 v3, v3
	v_cvt_u32_f32_e32 v5, v3
	v_fma_f32 v3, v3, s1, |v1|
	v_cvt_u32_f32_e32 v3, v3
	v_ashrrev_i32_e32 v1, 31, v1
	v_xor_b32_e32 v5, v5, v1
	v_xor_b32_e32 v3, v3, v1
	v_sub_co_u32_e32 v14, vcc, v3, v1
	s_nop 1
	v_subb_co_u32_e32 v15, vcc, v5, v1, vcc
.LBB39_1475:
	s_mov_b64 s[0:1], 0
.LBB39_1476:
	s_andn2_b64 vcc, exec, s[0:1]
	s_cbranch_vccnz .LBB39_1478
; %bb.1477:
	global_load_dword v1, v[16:17], off
	s_waitcnt vmcnt(0)
	v_cvt_f32_f16_e32 v1, v1
	v_cvt_i32_f32_e32 v14, v1
	v_ashrrev_i32_e32 v15, 31, v14
.LBB39_1478:
	s_mov_b64 s[0:1], 0
.LBB39_1479:
	s_andn2_b64 vcc, exec, s[0:1]
	s_cbranch_vccnz .LBB39_1490
; %bb.1480:
	s_cmp_lt_i32 s8, 6
	s_cbranch_scc1 .LBB39_1483
; %bb.1481:
	s_cmp_gt_i32 s8, 6
	s_cbranch_scc0 .LBB39_1484
; %bb.1482:
	global_load_dwordx2 v[14:15], v[16:17], off
	s_movk_i32 s0, 0xffe0
	s_waitcnt vmcnt(0)
	v_trunc_f64_e32 v[18:19], v[14:15]
	v_ldexp_f64 v[14:15], v[18:19], s0
	v_floor_f64_e32 v[20:21], v[14:15]
	v_fmac_f64_e32 v[18:19], 0xc1f00000, v[20:21]
	v_cvt_i32_f64_e32 v15, v[20:21]
	v_cvt_u32_f64_e32 v14, v[18:19]
	s_mov_b64 s[0:1], 0
	s_branch .LBB39_1485
.LBB39_1483:
	s_mov_b64 s[0:1], -1
                                        ; implicit-def: $vgpr14_vgpr15
	s_branch .LBB39_1488
.LBB39_1484:
	s_mov_b64 s[0:1], -1
                                        ; implicit-def: $vgpr14_vgpr15
.LBB39_1485:
	s_andn2_b64 vcc, exec, s[0:1]
	s_cbranch_vccnz .LBB39_1487
; %bb.1486:
	global_load_dword v1, v[16:17], off
	s_mov_b32 s0, 0x2f800000
	s_mov_b32 s1, 0xcf800000
	s_waitcnt vmcnt(0)
	v_trunc_f32_e32 v1, v1
	v_mul_f32_e64 v3, |v1|, s0
	v_floor_f32_e32 v3, v3
	v_cvt_u32_f32_e32 v5, v3
	v_fma_f32 v3, v3, s1, |v1|
	v_cvt_u32_f32_e32 v3, v3
	v_ashrrev_i32_e32 v1, 31, v1
	v_xor_b32_e32 v5, v5, v1
	v_xor_b32_e32 v3, v3, v1
	v_sub_co_u32_e32 v14, vcc, v3, v1
	s_nop 1
	v_subb_co_u32_e32 v15, vcc, v5, v1, vcc
.LBB39_1487:
	s_mov_b64 s[0:1], 0
.LBB39_1488:
	s_andn2_b64 vcc, exec, s[0:1]
	s_cbranch_vccnz .LBB39_1490
; %bb.1489:
	global_load_ushort v1, v[16:17], off
	s_waitcnt vmcnt(0)
	v_cvt_f32_f16_e32 v1, v1
	v_cvt_i32_f32_e32 v14, v1
	v_ashrrev_i32_e32 v15, 31, v14
.LBB39_1490:
	s_mov_b64 s[0:1], 0
.LBB39_1491:
	s_andn2_b64 vcc, exec, s[0:1]
	s_cbranch_vccnz .LBB39_1511
; %bb.1492:
	s_cmp_lt_i32 s8, 2
	s_cbranch_scc1 .LBB39_1496
; %bb.1493:
	s_cmp_lt_i32 s8, 3
	s_cbranch_scc1 .LBB39_1497
; %bb.1494:
	s_cmp_gt_i32 s8, 3
	s_cbranch_scc0 .LBB39_1498
; %bb.1495:
	global_load_dwordx2 v[14:15], v[16:17], off
	s_mov_b64 s[0:1], 0
	s_branch .LBB39_1499
.LBB39_1496:
	s_mov_b64 s[0:1], -1
                                        ; implicit-def: $vgpr14_vgpr15
	s_branch .LBB39_1505
.LBB39_1497:
	s_mov_b64 s[0:1], -1
                                        ; implicit-def: $vgpr14_vgpr15
	s_branch .LBB39_1502
.LBB39_1498:
	s_mov_b64 s[0:1], -1
                                        ; implicit-def: $vgpr14_vgpr15
.LBB39_1499:
	s_andn2_b64 vcc, exec, s[0:1]
	s_cbranch_vccnz .LBB39_1501
; %bb.1500:
	global_load_dword v14, v[16:17], off
	s_waitcnt vmcnt(0)
	v_ashrrev_i32_e32 v15, 31, v14
.LBB39_1501:
	s_mov_b64 s[0:1], 0
.LBB39_1502:
	s_andn2_b64 vcc, exec, s[0:1]
	s_cbranch_vccnz .LBB39_1504
; %bb.1503:
	global_load_ushort v1, v[16:17], off
	s_waitcnt vmcnt(0)
	v_bfe_i32 v14, v1, 0, 16
	v_ashrrev_i32_e32 v15, 31, v14
.LBB39_1504:
	s_mov_b64 s[0:1], 0
.LBB39_1505:
	s_andn2_b64 vcc, exec, s[0:1]
	s_cbranch_vccnz .LBB39_1511
; %bb.1506:
	s_cmp_gt_i32 s8, 0
	s_cbranch_scc0 .LBB39_1508
; %bb.1507:
	global_load_sbyte v1, v[16:17], off
	s_mov_b64 s[0:1], 0
	s_waitcnt vmcnt(0)
	v_bfe_i32 v14, v1, 0, 16
	v_ashrrev_i32_e32 v15, 31, v14
	s_branch .LBB39_1509
.LBB39_1508:
	s_mov_b64 s[0:1], -1
                                        ; implicit-def: $vgpr14_vgpr15
.LBB39_1509:
	s_andn2_b64 vcc, exec, s[0:1]
	s_cbranch_vccnz .LBB39_1511
; %bb.1510:
	global_load_ubyte v1, v[16:17], off
	s_mov_b32 s0, 0
	s_waitcnt vmcnt(1)
	v_mov_b32_e32 v15, s0
	s_waitcnt vmcnt(0)
	v_and_b32_e32 v14, 0xffff, v1
.LBB39_1511:
	s_branch .LBB39_1384
.LBB39_1512:
	s_mov_b64 s[0:1], 0
                                        ; implicit-def: $vgpr0_vgpr1
                                        ; implicit-def: $sgpr14
                                        ; implicit-def: $vgpr2_vgpr3
                                        ; implicit-def: $vgpr12_vgpr13
.LBB39_1513:
	s_mov_b64 s[4:5], 0
.LBB39_1514:
	s_and_b64 s[6:7], s[0:1], exec
	s_andn2_b64 s[0:1], s[24:25], exec
	s_and_b64 s[2:3], s[2:3], exec
	s_and_b64 s[40:41], s[4:5], exec
	s_or_b64 s[24:25], s[0:1], s[2:3]
.LBB39_1515:
	s_or_b64 exec, exec, s[26:27]
	s_and_saveexec_b64 s[0:1], s[24:25]
	s_cbranch_execz .LBB39_1518
; %bb.1516:
	; divergent unreachable
	s_or_b64 exec, exec, s[0:1]
	s_and_saveexec_b64 s[0:1], s[40:41]
	s_xor_b64 s[0:1], exec, s[0:1]
	s_cbranch_execnz .LBB39_1519
.LBB39_1517:
	s_or_b64 exec, exec, s[0:1]
	s_and_saveexec_b64 s[0:1], s[6:7]
	s_cbranch_execnz .LBB39_1520
	s_branch .LBB39_1557
.LBB39_1518:
	s_or_b64 exec, exec, s[0:1]
	s_and_saveexec_b64 s[0:1], s[40:41]
	s_xor_b64 s[0:1], exec, s[0:1]
	s_cbranch_execz .LBB39_1517
.LBB39_1519:
	s_waitcnt vmcnt(0)
	v_cmp_ne_u64_e32 vcc, -1, v[12:13]
	s_nop 1
	v_cndmask_b32_e64 v4, 0, 1, vcc
	global_store_byte v[0:1], v4, off
	s_or_b64 exec, exec, s[0:1]
	s_and_saveexec_b64 s[0:1], s[6:7]
	s_cbranch_execz .LBB39_1557
.LBB39_1520:
	s_sext_i32_i16 s2, s14
	s_cmp_lt_i32 s2, 5
	s_mov_b64 s[0:1], -1
	s_cbranch_scc1 .LBB39_1541
; %bb.1521:
	s_cmp_lt_i32 s2, 8
	s_cbranch_scc1 .LBB39_1531
; %bb.1522:
	s_cmp_lt_i32 s2, 9
	s_cbranch_scc1 .LBB39_1528
; %bb.1523:
	s_cmp_gt_i32 s2, 9
	s_cbranch_scc0 .LBB39_1525
; %bb.1524:
	s_waitcnt vmcnt(0)
	v_cvt_f64_i32_e32 v[4:5], v3
	v_ldexp_f64 v[4:5], v[4:5], 32
	v_cvt_f64_u32_e32 v[6:7], v2
	v_add_f64 v[4:5], v[4:5], v[6:7]
	v_mov_b32_e32 v6, 0
	v_mov_b32_e32 v7, v6
	global_store_dwordx4 v[0:1], v[4:7], off
	s_mov_b64 s[0:1], 0
.LBB39_1525:
	s_andn2_b64 vcc, exec, s[0:1]
	s_cbranch_vccnz .LBB39_1527
; %bb.1526:
	s_waitcnt vmcnt(0)
	v_xor_b32_e32 v5, v2, v3
	v_ffbh_i32_e32 v4, v3
	v_ashrrev_i32_e32 v5, 31, v5
	v_add_u32_e32 v4, -1, v4
	v_add_u32_e32 v5, 32, v5
	v_min_u32_e32 v6, v4, v5
	v_lshlrev_b64 v[4:5], v6, v[2:3]
	v_min_u32_e32 v4, 1, v4
	v_or_b32_e32 v4, v5, v4
	v_cvt_f32_i32_e32 v4, v4
	v_sub_u32_e32 v5, 32, v6
	v_ldexp_f32 v4, v4, v5
	v_mov_b32_e32 v5, 0
	global_store_dwordx2 v[0:1], v[4:5], off
.LBB39_1527:
	s_mov_b64 s[0:1], 0
.LBB39_1528:
	s_andn2_b64 vcc, exec, s[0:1]
	s_cbranch_vccnz .LBB39_1530
; %bb.1529:
	s_waitcnt vmcnt(0)
	v_xor_b32_e32 v5, v2, v3
	v_ffbh_i32_e32 v4, v3
	v_ashrrev_i32_e32 v5, 31, v5
	v_add_u32_e32 v4, -1, v4
	v_add_u32_e32 v5, 32, v5
	v_min_u32_e32 v6, v4, v5
	v_lshlrev_b64 v[4:5], v6, v[2:3]
	v_min_u32_e32 v4, 1, v4
	v_or_b32_e32 v4, v5, v4
	v_cvt_f32_i32_e32 v4, v4
	v_sub_u32_e32 v5, 32, v6
	v_ldexp_f32 v4, v4, v5
	v_cvt_f16_f32_e32 v4, v4
	global_store_dword v[0:1], v4, off
.LBB39_1530:
	s_mov_b64 s[0:1], 0
.LBB39_1531:
	s_andn2_b64 vcc, exec, s[0:1]
	s_cbranch_vccnz .LBB39_1540
; %bb.1532:
	s_sext_i32_i16 s2, s14
	s_cmp_lt_i32 s2, 6
	s_mov_b64 s[0:1], -1
	s_cbranch_scc1 .LBB39_1538
; %bb.1533:
	s_cmp_gt_i32 s2, 6
	s_cbranch_scc0 .LBB39_1535
; %bb.1534:
	s_waitcnt vmcnt(0)
	v_cvt_f64_i32_e32 v[4:5], v3
	v_ldexp_f64 v[4:5], v[4:5], 32
	v_cvt_f64_u32_e32 v[6:7], v2
	v_add_f64 v[4:5], v[4:5], v[6:7]
	global_store_dwordx2 v[0:1], v[4:5], off
	s_mov_b64 s[0:1], 0
.LBB39_1535:
	s_andn2_b64 vcc, exec, s[0:1]
	s_cbranch_vccnz .LBB39_1537
; %bb.1536:
	s_waitcnt vmcnt(0)
	v_xor_b32_e32 v5, v2, v3
	v_ffbh_i32_e32 v4, v3
	v_ashrrev_i32_e32 v5, 31, v5
	v_add_u32_e32 v4, -1, v4
	v_add_u32_e32 v5, 32, v5
	v_min_u32_e32 v6, v4, v5
	v_lshlrev_b64 v[4:5], v6, v[2:3]
	v_min_u32_e32 v4, 1, v4
	v_or_b32_e32 v4, v5, v4
	v_cvt_f32_i32_e32 v4, v4
	v_sub_u32_e32 v5, 32, v6
	v_ldexp_f32 v4, v4, v5
	global_store_dword v[0:1], v4, off
.LBB39_1537:
	s_mov_b64 s[0:1], 0
.LBB39_1538:
	s_andn2_b64 vcc, exec, s[0:1]
	s_cbranch_vccnz .LBB39_1540
; %bb.1539:
	s_waitcnt vmcnt(0)
	v_xor_b32_e32 v5, v2, v3
	v_ffbh_i32_e32 v4, v3
	v_ashrrev_i32_e32 v5, 31, v5
	v_add_u32_e32 v4, -1, v4
	v_add_u32_e32 v5, 32, v5
	v_min_u32_e32 v6, v4, v5
	v_lshlrev_b64 v[4:5], v6, v[2:3]
	v_min_u32_e32 v4, 1, v4
	v_or_b32_e32 v4, v5, v4
	v_cvt_f32_i32_e32 v4, v4
	v_sub_u32_e32 v5, 32, v6
	v_ldexp_f32 v4, v4, v5
	v_cvt_f16_f32_e32 v4, v4
	global_store_short v[0:1], v4, off
.LBB39_1540:
	s_mov_b64 s[0:1], 0
.LBB39_1541:
	s_andn2_b64 vcc, exec, s[0:1]
	s_cbranch_vccnz .LBB39_1557
; %bb.1542:
	s_sext_i32_i16 s2, s14
	s_cmp_lt_i32 s2, 2
	s_mov_b64 s[0:1], -1
	s_cbranch_scc1 .LBB39_1552
; %bb.1543:
	s_cmp_lt_i32 s2, 3
	s_cbranch_scc1 .LBB39_1549
; %bb.1544:
	s_cmp_gt_i32 s2, 3
	s_cbranch_scc0 .LBB39_1546
; %bb.1545:
	s_waitcnt vmcnt(0)
	global_store_dwordx2 v[0:1], v[2:3], off
	s_mov_b64 s[0:1], 0
.LBB39_1546:
	s_andn2_b64 vcc, exec, s[0:1]
	s_cbranch_vccnz .LBB39_1548
; %bb.1547:
	s_waitcnt vmcnt(0)
	global_store_dword v[0:1], v2, off
.LBB39_1548:
	s_mov_b64 s[0:1], 0
.LBB39_1549:
	s_andn2_b64 vcc, exec, s[0:1]
	s_cbranch_vccnz .LBB39_1551
; %bb.1550:
	s_waitcnt vmcnt(0)
	global_store_short v[0:1], v2, off
.LBB39_1551:
	s_mov_b64 s[0:1], 0
.LBB39_1552:
	s_andn2_b64 vcc, exec, s[0:1]
	s_cbranch_vccnz .LBB39_1557
; %bb.1553:
	s_sext_i32_i16 s0, s14
	s_cmp_gt_i32 s0, 0
	s_mov_b64 s[0:1], -1
	s_cbranch_scc0 .LBB39_1555
; %bb.1554:
	s_waitcnt vmcnt(0)
	global_store_byte v[0:1], v2, off
	s_mov_b64 s[0:1], 0
.LBB39_1555:
	s_andn2_b64 vcc, exec, s[0:1]
	s_cbranch_vccnz .LBB39_1557
; %bb.1556:
	s_waitcnt vmcnt(0)
	global_store_byte v[0:1], v2, off
	s_endpgm
.LBB39_1557:
	s_endpgm
.LBB39_1558:
	s_trap 2
	s_or_b64 s[2:3], s[2:3], exec
	s_cbranch_execz .LBB39_1462
	s_branch .LBB39_1463
.LBB39_1559:
	s_mov_b64 s[0:1], -1
                                        ; implicit-def: $vgpr12_vgpr13
	s_mov_b64 s[8:9], 0
.LBB39_1560:
	s_and_b64 vcc, exec, s[10:11]
	s_cbranch_vccz .LBB39_1564
; %bb.1561:
	s_cmp_eq_u32 s12, 44
	s_cbranch_scc0 .LBB39_1563
; %bb.1562:
	global_load_ubyte v1, v[16:17], off
	s_mov_b32 s0, 0x2f800000
	s_mov_b32 s1, 0xcf800000
	s_mov_b64 s[8:9], -1
	s_waitcnt vmcnt(0)
	v_lshlrev_b32_e32 v3, 23, v1
	v_trunc_f32_e32 v3, v3
	v_mul_f32_e64 v5, |v3|, s0
	v_floor_f32_e32 v5, v5
	v_fma_f32 v7, v5, s1, |v3|
	v_cvt_u32_f32_e32 v7, v7
	v_cvt_u32_f32_e32 v5, v5
	v_ashrrev_i32_e32 v3, 31, v3
	s_mov_b64 s[0:1], 0
	v_xor_b32_e32 v7, v7, v3
	v_xor_b32_e32 v5, v5, v3
	v_sub_co_u32_e32 v7, vcc, v7, v3
	s_nop 1
	v_subb_co_u32_e32 v3, vcc, v5, v3, vcc
	v_cmp_ne_u32_e32 vcc, 0, v1
	s_nop 1
	v_cndmask_b32_e32 v13, 0, v3, vcc
	v_cndmask_b32_e32 v12, 0, v7, vcc
	s_branch .LBB39_1564
.LBB39_1563:
	s_mov_b64 s[0:1], -1
                                        ; implicit-def: $vgpr12_vgpr13
.LBB39_1564:
	s_mov_b64 s[10:11], 0
.LBB39_1565:
	s_and_b64 vcc, exec, s[10:11]
	s_cbranch_vccz .LBB39_1569
; %bb.1566:
	s_cmp_eq_u32 s12, 29
	s_cbranch_scc0 .LBB39_1568
; %bb.1567:
	global_load_dwordx2 v[12:13], v[16:17], off
	s_mov_b64 s[0:1], 0
	s_mov_b64 s[8:9], -1
	s_branch .LBB39_1569
.LBB39_1568:
	s_mov_b64 s[0:1], -1
                                        ; implicit-def: $vgpr12_vgpr13
.LBB39_1569:
	s_mov_b64 s[10:11], 0
.LBB39_1570:
	s_and_b64 vcc, exec, s[10:11]
	s_cbranch_vccz .LBB39_1586
; %bb.1571:
	s_cmp_lt_i32 s12, 27
	s_cbranch_scc1 .LBB39_1574
; %bb.1572:
	s_cmp_gt_i32 s12, 27
	s_cbranch_scc0 .LBB39_1575
; %bb.1573:
	global_load_dword v12, v[16:17], off
	s_waitcnt vmcnt(1)
	v_mov_b32_e32 v13, 0
	s_mov_b64 s[8:9], 0
	s_branch .LBB39_1576
.LBB39_1574:
	s_mov_b64 s[8:9], -1
                                        ; implicit-def: $vgpr12_vgpr13
	s_branch .LBB39_1579
.LBB39_1575:
	s_mov_b64 s[8:9], -1
                                        ; implicit-def: $vgpr12_vgpr13
.LBB39_1576:
	s_andn2_b64 vcc, exec, s[8:9]
	s_cbranch_vccnz .LBB39_1578
; %bb.1577:
	global_load_ushort v1, v[16:17], off
	s_mov_b32 s8, 0
	s_waitcnt vmcnt(1)
	v_mov_b32_e32 v13, s8
	s_waitcnt vmcnt(0)
	v_and_b32_e32 v12, 0xffff, v1
.LBB39_1578:
	s_mov_b64 s[8:9], 0
.LBB39_1579:
	s_andn2_b64 vcc, exec, s[8:9]
	s_cbranch_vccnz .LBB39_1585
; %bb.1580:
	global_load_ubyte v1, v[16:17], off
	s_movk_i32 s8, 0x7f
	s_mov_b64 s[10:11], 0
	s_waitcnt vmcnt(0)
	v_cmp_lt_i16_e32 vcc, s8, v1
	s_and_saveexec_b64 s[8:9], vcc
	s_xor_b64 s[8:9], exec, s[8:9]
	s_cbranch_execz .LBB39_1597
; %bb.1581:
	s_movk_i32 s10, 0x80
	v_cmp_ne_u16_e32 vcc, s10, v1
	s_and_b64 s[10:11], vcc, exec
	s_andn2_saveexec_b64 s[8:9], s[8:9]
	s_cbranch_execnz .LBB39_1598
.LBB39_1582:
	s_or_b64 exec, exec, s[8:9]
	v_mov_b64_e32 v[12:13], 0
	s_and_saveexec_b64 s[8:9], s[10:11]
	s_cbranch_execz .LBB39_1584
.LBB39_1583:
	v_lshlrev_b32_e32 v3, 24, v1
	v_and_b32_e32 v1, 0xffff, v1
	v_and_b32_e32 v5, 7, v1
	v_ffbh_u32_e32 v12, v5
	v_min_u32_e32 v12, 32, v12
	v_subrev_u32_e32 v13, 28, v12
	v_bfe_u32 v7, v1, 3, 4
	v_lshlrev_b32_e32 v1, v13, v1
	v_sub_u32_e32 v12, 29, v12
	v_and_b32_e32 v1, 7, v1
	v_cmp_eq_u32_e32 vcc, 0, v7
	v_and_b32_e32 v3, 0x80000000, v3
	s_mov_b32 s10, 0x2f800000
	v_cndmask_b32_e32 v7, v7, v12, vcc
	v_cndmask_b32_e32 v1, v5, v1, vcc
	v_mov_b32_e32 v5, 0x3b800000
	v_lshlrev_b32_e32 v1, 20, v1
	v_lshl_add_u32 v5, v7, 23, v5
	v_or3_b32 v1, v3, v5, v1
	v_trunc_f32_e32 v1, v1
	v_mul_f32_e64 v3, |v1|, s10
	v_floor_f32_e32 v3, v3
	s_mov_b32 s10, 0xcf800000
	v_fma_f32 v5, v3, s10, |v1|
	v_cvt_u32_f32_e32 v5, v5
	v_cvt_u32_f32_e32 v3, v3
	v_ashrrev_i32_e32 v1, 31, v1
	v_xor_b32_e32 v5, v5, v1
	v_xor_b32_e32 v3, v3, v1
	v_sub_co_u32_e32 v12, vcc, v5, v1
	s_nop 1
	v_subb_co_u32_e32 v13, vcc, v3, v1, vcc
.LBB39_1584:
	s_or_b64 exec, exec, s[8:9]
.LBB39_1585:
	s_mov_b64 s[8:9], -1
.LBB39_1586:
	s_mov_b64 s[10:11], 0
.LBB39_1587:
	s_and_b64 vcc, exec, s[10:11]
	s_cbranch_vccz .LBB39_1618
; %bb.1588:
	s_cmp_gt_i32 s12, 22
	s_cbranch_scc0 .LBB39_1596
; %bb.1589:
	s_cmp_lt_i32 s12, 24
	s_cbranch_scc1 .LBB39_1599
; %bb.1590:
	s_cmp_gt_i32 s12, 24
	s_cbranch_scc0 .LBB39_1600
; %bb.1591:
	global_load_ubyte v1, v[16:17], off
	s_movk_i32 s6, 0x7f
	s_mov_b64 s[8:9], 0
	s_waitcnt vmcnt(0)
	v_cmp_lt_i16_e32 vcc, s6, v1
	s_and_saveexec_b64 s[6:7], vcc
	s_xor_b64 s[6:7], exec, s[6:7]
	s_cbranch_execz .LBB39_1612
; %bb.1592:
	s_movk_i32 s8, 0x80
	v_cmp_ne_u16_e32 vcc, s8, v1
	s_and_b64 s[8:9], vcc, exec
	s_andn2_saveexec_b64 s[6:7], s[6:7]
	s_cbranch_execnz .LBB39_1613
.LBB39_1593:
	s_or_b64 exec, exec, s[6:7]
	v_mov_b64_e32 v[12:13], 0
	s_and_saveexec_b64 s[6:7], s[8:9]
	s_cbranch_execz .LBB39_1595
.LBB39_1594:
	v_lshlrev_b32_e32 v3, 24, v1
	v_and_b32_e32 v1, 0xffff, v1
	v_and_b32_e32 v5, 3, v1
	v_ffbh_u32_e32 v12, v5
	v_min_u32_e32 v12, 32, v12
	v_subrev_u32_e32 v13, 29, v12
	v_bfe_u32 v7, v1, 2, 5
	v_lshlrev_b32_e32 v1, v13, v1
	v_sub_u32_e32 v12, 30, v12
	v_and_b32_e32 v1, 3, v1
	v_cmp_eq_u32_e32 vcc, 0, v7
	v_and_b32_e32 v3, 0x80000000, v3
	s_mov_b32 s8, 0x2f800000
	v_cndmask_b32_e32 v7, v7, v12, vcc
	v_cndmask_b32_e32 v1, v5, v1, vcc
	v_mov_b32_e32 v5, 0x37800000
	v_lshlrev_b32_e32 v1, 21, v1
	v_lshl_add_u32 v5, v7, 23, v5
	v_or3_b32 v1, v3, v5, v1
	v_trunc_f32_e32 v1, v1
	v_mul_f32_e64 v3, |v1|, s8
	v_floor_f32_e32 v3, v3
	s_mov_b32 s8, 0xcf800000
	v_fma_f32 v5, v3, s8, |v1|
	v_cvt_u32_f32_e32 v5, v5
	v_cvt_u32_f32_e32 v3, v3
	v_ashrrev_i32_e32 v1, 31, v1
	v_xor_b32_e32 v5, v5, v1
	v_xor_b32_e32 v3, v3, v1
	v_sub_co_u32_e32 v12, vcc, v5, v1
	s_nop 1
	v_subb_co_u32_e32 v13, vcc, v3, v1, vcc
.LBB39_1595:
	s_or_b64 exec, exec, s[6:7]
	s_mov_b64 s[6:7], 0
	s_branch .LBB39_1601
.LBB39_1596:
	s_mov_b64 s[6:7], -1
                                        ; implicit-def: $vgpr12_vgpr13
	s_branch .LBB39_1607
.LBB39_1597:
	s_andn2_saveexec_b64 s[8:9], s[8:9]
	s_cbranch_execz .LBB39_1582
.LBB39_1598:
	v_cmp_ne_u16_e32 vcc, 0, v1
	s_andn2_b64 s[10:11], s[10:11], exec
	s_and_b64 s[16:17], vcc, exec
	s_or_b64 s[10:11], s[10:11], s[16:17]
	s_or_b64 exec, exec, s[8:9]
	v_mov_b64_e32 v[12:13], 0
	s_and_saveexec_b64 s[8:9], s[10:11]
	s_cbranch_execnz .LBB39_1583
	s_branch .LBB39_1584
.LBB39_1599:
	s_mov_b64 s[6:7], -1
                                        ; implicit-def: $vgpr12_vgpr13
	s_branch .LBB39_1604
.LBB39_1600:
	s_mov_b64 s[6:7], -1
                                        ; implicit-def: $vgpr12_vgpr13
.LBB39_1601:
	s_and_b64 vcc, exec, s[6:7]
	s_cbranch_vccz .LBB39_1603
; %bb.1602:
	global_load_ubyte v1, v[16:17], off
	s_mov_b32 s6, 0x7f800000
	s_brev_b32 s7, 1
	s_mov_b32 s8, 0x2f800000
	s_mov_b32 s9, 0xcf800000
	s_waitcnt vmcnt(0)
	v_lshlrev_b32_e32 v1, 24, v1
	v_and_b32_e32 v3, 0x7f000000, v1
	v_ffbh_u32_e32 v5, v3
	v_min_u32_e32 v5, 32, v5
	v_sub_u32_e64 v5, v5, 4 clamp
	v_lshlrev_b32_e32 v12, v5, v3
	v_lshlrev_b32_e32 v5, 23, v5
	v_lshrrev_b32_e32 v12, 4, v12
	v_add_u32_e32 v7, 0x1000000, v3
	v_sub_u32_e32 v5, v12, v5
	v_ashrrev_i32_e32 v7, 8, v7
	v_add_u32_e32 v5, 0x3c000000, v5
	v_and_or_b32 v5, v7, s6, v5
	v_cmp_ne_u32_e32 vcc, 0, v3
	s_nop 1
	v_cndmask_b32_e32 v3, 0, v5, vcc
	v_and_or_b32 v1, v1, s7, v3
	v_trunc_f32_e32 v1, v1
	v_mul_f32_e64 v3, |v1|, s8
	v_floor_f32_e32 v3, v3
	v_fma_f32 v5, v3, s9, |v1|
	v_cvt_u32_f32_e32 v5, v5
	v_cvt_u32_f32_e32 v3, v3
	v_ashrrev_i32_e32 v1, 31, v1
	v_xor_b32_e32 v5, v5, v1
	v_xor_b32_e32 v3, v3, v1
	v_sub_co_u32_e32 v12, vcc, v5, v1
	s_nop 1
	v_subb_co_u32_e32 v13, vcc, v3, v1, vcc
.LBB39_1603:
	s_mov_b64 s[6:7], 0
.LBB39_1604:
	s_andn2_b64 vcc, exec, s[6:7]
	s_cbranch_vccnz .LBB39_1606
; %bb.1605:
	global_load_ubyte v1, v[16:17], off
	s_movk_i32 s6, 0x7f00
	s_brev_b32 s7, 16
	s_brev_b32 s8, 1
	s_mov_b32 s9, 0x2f800000
	s_mov_b32 s10, 0xcf800000
	s_waitcnt vmcnt(0)
	v_lshlrev_b16_e32 v3, 8, v1
	v_lshlrev_b32_e32 v1, 25, v1
	v_lshrrev_b32_e32 v5, 4, v1
	v_and_or_b32 v7, v3, s6, 0.5
	v_or_b32_e32 v5, 0x70000000, v5
	v_add_f32_e32 v7, -0.5, v7
	v_mul_f32_e32 v5, 0x7800000, v5
	v_cmp_gt_u32_e32 vcc, s7, v1
	v_bfe_i32 v3, v3, 0, 16
	s_nop 0
	v_cndmask_b32_e32 v1, v5, v7, vcc
	v_and_or_b32 v1, v3, s8, v1
	v_trunc_f32_e32 v1, v1
	v_mul_f32_e64 v3, |v1|, s9
	v_floor_f32_e32 v3, v3
	v_fma_f32 v5, v3, s10, |v1|
	v_cvt_u32_f32_e32 v5, v5
	v_cvt_u32_f32_e32 v3, v3
	v_ashrrev_i32_e32 v1, 31, v1
	v_xor_b32_e32 v5, v5, v1
	v_xor_b32_e32 v3, v3, v1
	v_sub_co_u32_e32 v12, vcc, v5, v1
	s_nop 1
	v_subb_co_u32_e32 v13, vcc, v3, v1, vcc
.LBB39_1606:
	s_mov_b64 s[6:7], 0
	s_mov_b64 s[8:9], -1
.LBB39_1607:
	s_andn2_b64 vcc, exec, s[6:7]
	s_mov_b64 s[6:7], 0
	s_cbranch_vccnz .LBB39_1618
; %bb.1608:
	s_cmp_gt_i32 s12, 14
	s_cbranch_scc0 .LBB39_1611
; %bb.1609:
	s_cmp_eq_u32 s12, 15
	s_cbranch_scc0 .LBB39_1614
; %bb.1610:
	global_load_ushort v1, v[16:17], off
	s_mov_b32 s0, 0x2f800000
	s_mov_b32 s1, 0xcf800000
	s_mov_b64 s[8:9], -1
	s_waitcnt vmcnt(0)
	v_lshlrev_b32_e32 v1, 16, v1
	v_trunc_f32_e32 v1, v1
	v_mul_f32_e64 v3, |v1|, s0
	v_floor_f32_e32 v3, v3
	v_fma_f32 v5, v3, s1, |v1|
	v_cvt_u32_f32_e32 v5, v5
	v_cvt_u32_f32_e32 v3, v3
	v_ashrrev_i32_e32 v1, 31, v1
	s_mov_b64 s[0:1], 0
	v_xor_b32_e32 v5, v5, v1
	v_xor_b32_e32 v3, v3, v1
	v_sub_co_u32_e32 v12, vcc, v5, v1
	s_nop 1
	v_subb_co_u32_e32 v13, vcc, v3, v1, vcc
	s_branch .LBB39_1615
.LBB39_1611:
	s_mov_b64 s[10:11], -1
                                        ; implicit-def: $vgpr12_vgpr13
	s_branch .LBB39_1616
.LBB39_1612:
	s_andn2_saveexec_b64 s[6:7], s[6:7]
	s_cbranch_execz .LBB39_1593
.LBB39_1613:
	v_cmp_ne_u16_e32 vcc, 0, v1
	s_andn2_b64 s[8:9], s[8:9], exec
	s_and_b64 s[10:11], vcc, exec
	s_or_b64 s[8:9], s[8:9], s[10:11]
	s_or_b64 exec, exec, s[6:7]
	v_mov_b64_e32 v[12:13], 0
	s_and_saveexec_b64 s[6:7], s[8:9]
	s_cbranch_execnz .LBB39_1594
	s_branch .LBB39_1595
.LBB39_1614:
	s_mov_b64 s[0:1], -1
                                        ; implicit-def: $vgpr12_vgpr13
.LBB39_1615:
	s_mov_b64 s[10:11], 0
.LBB39_1616:
	s_and_b64 vcc, exec, s[10:11]
	s_cbranch_vccz .LBB39_1618
; %bb.1617:
	s_cmp_lg_u32 s12, 11
	s_mov_b64 s[6:7], -1
	s_cselect_b64 s[0:1], -1, 0
.LBB39_1618:
	s_and_b64 vcc, exec, s[0:1]
	s_cbranch_vccnz .LBB39_2107
; %bb.1619:
	s_andn2_b64 vcc, exec, s[6:7]
	s_cbranch_vccnz .LBB39_1621
.LBB39_1620:
	global_load_ubyte v1, v[16:17], off
	s_mov_b32 s0, 0
	s_waitcnt vmcnt(1)
	v_mov_b32_e32 v13, s0
	s_mov_b64 s[8:9], -1
	s_waitcnt vmcnt(0)
	v_cmp_ne_u16_e32 vcc, 0, v1
	s_nop 1
	v_cndmask_b32_e64 v12, 0, 1, vcc
.LBB39_1621:
	s_mov_b64 s[0:1], 0
.LBB39_1622:
	s_and_b64 vcc, exec, s[0:1]
	s_cbranch_vccz .LBB39_1671
; %bb.1623:
	s_and_b32 s6, 0xffff, s15
	s_cmp_lt_i32 s6, 5
	s_cbranch_scc1 .LBB39_1628
; %bb.1624:
	s_cmp_lt_i32 s6, 8
	s_cbranch_scc1 .LBB39_1629
; %bb.1625:
	;; [unrolled: 3-line block ×3, first 2 shown]
	s_cmp_gt_i32 s6, 9
	s_cbranch_scc0 .LBB39_1631
; %bb.1627:
	global_load_dwordx2 v[12:13], v[16:17], off
	s_movk_i32 s0, 0xffe0
	s_waitcnt vmcnt(0)
	v_trunc_f64_e32 v[18:19], v[12:13]
	v_ldexp_f64 v[12:13], v[18:19], s0
	v_floor_f64_e32 v[20:21], v[12:13]
	v_fmac_f64_e32 v[18:19], 0xc1f00000, v[20:21]
	v_cvt_i32_f64_e32 v13, v[20:21]
	v_cvt_u32_f64_e32 v12, v[18:19]
	s_mov_b64 s[0:1], 0
	s_branch .LBB39_1632
.LBB39_1628:
	s_mov_b64 s[0:1], -1
                                        ; implicit-def: $vgpr12_vgpr13
	s_branch .LBB39_1650
.LBB39_1629:
	s_mov_b64 s[0:1], -1
                                        ; implicit-def: $vgpr12_vgpr13
	s_branch .LBB39_1638
.LBB39_1630:
	s_mov_b64 s[0:1], -1
                                        ; implicit-def: $vgpr12_vgpr13
	s_branch .LBB39_1635
.LBB39_1631:
	s_mov_b64 s[0:1], -1
                                        ; implicit-def: $vgpr12_vgpr13
.LBB39_1632:
	s_andn2_b64 vcc, exec, s[0:1]
	s_cbranch_vccnz .LBB39_1634
; %bb.1633:
	global_load_dword v1, v[16:17], off
	s_mov_b32 s0, 0x2f800000
	s_mov_b32 s1, 0xcf800000
	s_waitcnt vmcnt(0)
	v_trunc_f32_e32 v1, v1
	v_mul_f32_e64 v3, |v1|, s0
	v_floor_f32_e32 v3, v3
	v_cvt_u32_f32_e32 v5, v3
	v_fma_f32 v3, v3, s1, |v1|
	v_cvt_u32_f32_e32 v3, v3
	v_ashrrev_i32_e32 v1, 31, v1
	v_xor_b32_e32 v5, v5, v1
	v_xor_b32_e32 v3, v3, v1
	v_sub_co_u32_e32 v12, vcc, v3, v1
	s_nop 1
	v_subb_co_u32_e32 v13, vcc, v5, v1, vcc
.LBB39_1634:
	s_mov_b64 s[0:1], 0
.LBB39_1635:
	s_andn2_b64 vcc, exec, s[0:1]
	s_cbranch_vccnz .LBB39_1637
; %bb.1636:
	global_load_dword v1, v[16:17], off
	s_waitcnt vmcnt(0)
	v_cvt_f32_f16_e32 v1, v1
	v_cvt_i32_f32_e32 v12, v1
	v_ashrrev_i32_e32 v13, 31, v12
.LBB39_1637:
	s_mov_b64 s[0:1], 0
.LBB39_1638:
	s_andn2_b64 vcc, exec, s[0:1]
	s_cbranch_vccnz .LBB39_1649
; %bb.1639:
	s_cmp_lt_i32 s6, 6
	s_cbranch_scc1 .LBB39_1642
; %bb.1640:
	s_cmp_gt_i32 s6, 6
	s_cbranch_scc0 .LBB39_1643
; %bb.1641:
	global_load_dwordx2 v[12:13], v[16:17], off
	s_movk_i32 s0, 0xffe0
	s_waitcnt vmcnt(0)
	v_trunc_f64_e32 v[18:19], v[12:13]
	v_ldexp_f64 v[12:13], v[18:19], s0
	v_floor_f64_e32 v[20:21], v[12:13]
	v_fmac_f64_e32 v[18:19], 0xc1f00000, v[20:21]
	v_cvt_i32_f64_e32 v13, v[20:21]
	v_cvt_u32_f64_e32 v12, v[18:19]
	s_mov_b64 s[0:1], 0
	s_branch .LBB39_1644
.LBB39_1642:
	s_mov_b64 s[0:1], -1
                                        ; implicit-def: $vgpr12_vgpr13
	s_branch .LBB39_1647
.LBB39_1643:
	s_mov_b64 s[0:1], -1
                                        ; implicit-def: $vgpr12_vgpr13
.LBB39_1644:
	s_andn2_b64 vcc, exec, s[0:1]
	s_cbranch_vccnz .LBB39_1646
; %bb.1645:
	global_load_dword v1, v[16:17], off
	s_mov_b32 s0, 0x2f800000
	s_mov_b32 s1, 0xcf800000
	s_waitcnt vmcnt(0)
	v_trunc_f32_e32 v1, v1
	v_mul_f32_e64 v3, |v1|, s0
	v_floor_f32_e32 v3, v3
	v_cvt_u32_f32_e32 v5, v3
	v_fma_f32 v3, v3, s1, |v1|
	v_cvt_u32_f32_e32 v3, v3
	v_ashrrev_i32_e32 v1, 31, v1
	v_xor_b32_e32 v5, v5, v1
	v_xor_b32_e32 v3, v3, v1
	v_sub_co_u32_e32 v12, vcc, v3, v1
	s_nop 1
	v_subb_co_u32_e32 v13, vcc, v5, v1, vcc
.LBB39_1646:
	s_mov_b64 s[0:1], 0
.LBB39_1647:
	s_andn2_b64 vcc, exec, s[0:1]
	s_cbranch_vccnz .LBB39_1649
; %bb.1648:
	global_load_ushort v1, v[16:17], off
	s_waitcnt vmcnt(0)
	v_cvt_f32_f16_e32 v1, v1
	v_cvt_i32_f32_e32 v12, v1
	v_ashrrev_i32_e32 v13, 31, v12
.LBB39_1649:
	s_mov_b64 s[0:1], 0
.LBB39_1650:
	s_andn2_b64 vcc, exec, s[0:1]
	s_cbranch_vccnz .LBB39_1670
; %bb.1651:
	s_cmp_lt_i32 s6, 2
	s_cbranch_scc1 .LBB39_1655
; %bb.1652:
	s_cmp_lt_i32 s6, 3
	s_cbranch_scc1 .LBB39_1656
; %bb.1653:
	s_cmp_gt_i32 s6, 3
	s_cbranch_scc0 .LBB39_1657
; %bb.1654:
	global_load_dwordx2 v[12:13], v[16:17], off
	s_mov_b64 s[0:1], 0
	s_branch .LBB39_1658
.LBB39_1655:
	s_mov_b64 s[0:1], -1
                                        ; implicit-def: $vgpr12_vgpr13
	s_branch .LBB39_1664
.LBB39_1656:
	s_mov_b64 s[0:1], -1
                                        ; implicit-def: $vgpr12_vgpr13
	s_branch .LBB39_1661
.LBB39_1657:
	s_mov_b64 s[0:1], -1
                                        ; implicit-def: $vgpr12_vgpr13
.LBB39_1658:
	s_andn2_b64 vcc, exec, s[0:1]
	s_cbranch_vccnz .LBB39_1660
; %bb.1659:
	global_load_dword v12, v[16:17], off
	s_waitcnt vmcnt(0)
	v_ashrrev_i32_e32 v13, 31, v12
.LBB39_1660:
	s_mov_b64 s[0:1], 0
.LBB39_1661:
	s_andn2_b64 vcc, exec, s[0:1]
	s_cbranch_vccnz .LBB39_1663
; %bb.1662:
	global_load_ushort v1, v[16:17], off
	s_waitcnt vmcnt(0)
	v_bfe_i32 v12, v1, 0, 16
	v_ashrrev_i32_e32 v13, 31, v12
.LBB39_1663:
	s_mov_b64 s[0:1], 0
.LBB39_1664:
	s_andn2_b64 vcc, exec, s[0:1]
	s_cbranch_vccnz .LBB39_1670
; %bb.1665:
	s_cmp_gt_i32 s6, 0
	s_cbranch_scc0 .LBB39_1667
; %bb.1666:
	global_load_sbyte v1, v[16:17], off
	s_mov_b64 s[0:1], 0
	s_waitcnt vmcnt(0)
	v_bfe_i32 v12, v1, 0, 16
	v_ashrrev_i32_e32 v13, 31, v12
	s_branch .LBB39_1668
.LBB39_1667:
	s_mov_b64 s[0:1], -1
                                        ; implicit-def: $vgpr12_vgpr13
.LBB39_1668:
	s_andn2_b64 vcc, exec, s[0:1]
	s_cbranch_vccnz .LBB39_1670
; %bb.1669:
	global_load_ubyte v1, v[16:17], off
	s_mov_b32 s0, 0
	s_waitcnt vmcnt(1)
	v_mov_b32_e32 v13, s0
	s_waitcnt vmcnt(0)
	v_and_b32_e32 v12, 0xffff, v1
.LBB39_1670:
	s_mov_b64 s[8:9], -1
.LBB39_1671:
	s_andn2_b64 vcc, exec, s[8:9]
	s_cbranch_vccnz .LBB39_2105
; %bb.1672:
	s_bfe_u32 s15, s14, 0x80008
	v_mov_b32_e32 v7, 0
	s_waitcnt vmcnt(0)
	v_not_b32_e32 v17, v9
	v_not_b32_e32 v16, v8
	s_cmp_lt_i32 s15, 11
	v_lshl_add_u64 v[6:7], s[4:5], 0, v[6:7]
	s_cbranch_scc1 .LBB39_1750
; %bb.1673:
	s_and_b32 s16, 0xffff, s15
	s_mov_b64 s[10:11], -1
	s_mov_b64 s[6:7], 0
	s_cmp_gt_i32 s16, 25
	s_mov_b64 s[8:9], 0
	s_mov_b64 s[0:1], 0
	s_cbranch_scc0 .LBB39_1706
; %bb.1674:
	s_cmp_gt_i32 s16, 28
	s_cbranch_scc0 .LBB39_1689
; %bb.1675:
	s_cmp_gt_i32 s16, 43
	s_cbranch_scc0 .LBB39_1685
; %bb.1676:
	s_cmp_gt_i32 s16, 45
	s_cbranch_scc0 .LBB39_1679
; %bb.1677:
	s_mov_b64 s[0:1], -1
	s_mov_b64 s[10:11], 0
	s_cmp_eq_u32 s16, 46
	s_cbranch_scc0 .LBB39_1679
; %bb.1678:
	v_xor_b32_e32 v3, v16, v17
	v_ffbh_i32_e32 v1, v17
	v_ashrrev_i32_e32 v3, 31, v3
	v_add_u32_e32 v1, -1, v1
	v_add_u32_e32 v3, 32, v3
	v_min_u32_e32 v1, v1, v3
	v_lshlrev_b64 v[18:19], v1, v[16:17]
	v_min_u32_e32 v3, 1, v18
	v_or_b32_e32 v3, v19, v3
	v_cvt_f32_i32_e32 v3, v3
	v_sub_u32_e32 v1, 32, v1
	s_movk_i32 s0, 0x7fff
	s_mov_b64 s[8:9], -1
	v_ldexp_f32 v1, v3, v1
	v_bfe_u32 v3, v1, 16, 1
	v_add3_u32 v1, v1, v3, s0
	v_lshrrev_b32_e32 v1, 16, v1
	global_store_dword v[6:7], v1, off
	s_mov_b64 s[0:1], 0
.LBB39_1679:
	s_and_b64 vcc, exec, s[10:11]
	s_cbranch_vccz .LBB39_1684
; %bb.1680:
	s_cmp_eq_u32 s16, 44
	s_mov_b64 s[0:1], -1
	s_cbranch_scc0 .LBB39_1684
; %bb.1681:
	v_xor_b32_e32 v3, v16, v17
	v_ffbh_i32_e32 v1, v17
	v_ashrrev_i32_e32 v3, 31, v3
	v_add_u32_e32 v1, -1, v1
	v_add_u32_e32 v3, 32, v3
	v_min_u32_e32 v1, v1, v3
	v_lshlrev_b64 v[18:19], v1, v[16:17]
	v_min_u32_e32 v3, 1, v18
	v_or_b32_e32 v3, v19, v3
	v_cvt_f32_i32_e32 v3, v3
	v_sub_u32_e32 v1, 32, v1
	s_movk_i32 s0, 0xff
	v_mov_b32_e32 v5, 0xff
	v_ldexp_f32 v1, v3, v1
	v_bfe_u32 v3, v1, 23, 8
	v_cmp_ne_u32_e32 vcc, s0, v3
	s_and_saveexec_b64 s[8:9], vcc
; %bb.1682:
	s_mov_b32 s0, 0x3fffff
	v_lshrrev_b32_e32 v5, 23, v1
	v_and_b32_e32 v18, 0x400000, v1
	v_and_or_b32 v1, v1, s0, v3
	v_cmp_ne_u32_e32 vcc, 0, v18
	v_cmp_ne_u32_e64 s[0:1], 0, v1
	s_and_b64 s[0:1], vcc, s[0:1]
	s_nop 0
	v_cndmask_b32_e64 v1, 0, 1, s[0:1]
	v_add_u32_e32 v5, v5, v1
; %bb.1683:
	s_or_b64 exec, exec, s[8:9]
	s_mov_b64 s[0:1], 0
	s_mov_b64 s[8:9], -1
	global_store_byte v[6:7], v5, off
.LBB39_1684:
	s_mov_b64 s[10:11], 0
.LBB39_1685:
	s_and_b64 vcc, exec, s[10:11]
	s_cbranch_vccz .LBB39_1688
; %bb.1686:
	s_cmp_eq_u32 s16, 29
	s_mov_b64 s[0:1], -1
	s_cbranch_scc0 .LBB39_1688
; %bb.1687:
	global_store_dwordx2 v[6:7], v[16:17], off
	s_mov_b64 s[0:1], 0
	s_mov_b64 s[8:9], -1
.LBB39_1688:
	s_mov_b64 s[10:11], 0
.LBB39_1689:
	s_and_b64 vcc, exec, s[10:11]
	s_cbranch_vccz .LBB39_1705
; %bb.1690:
	s_cmp_lt_i32 s16, 27
	s_mov_b64 s[8:9], -1
	s_cbranch_scc1 .LBB39_1696
; %bb.1691:
	s_cmp_gt_i32 s16, 27
	s_cbranch_scc0 .LBB39_1693
; %bb.1692:
	s_mov_b64 s[8:9], 0
	global_store_dword v[6:7], v16, off
.LBB39_1693:
	s_andn2_b64 vcc, exec, s[8:9]
	s_cbranch_vccnz .LBB39_1695
; %bb.1694:
	global_store_short v[6:7], v16, off
.LBB39_1695:
	s_mov_b64 s[8:9], 0
.LBB39_1696:
	s_andn2_b64 vcc, exec, s[8:9]
	s_cbranch_vccnz .LBB39_1704
; %bb.1697:
	v_xor_b32_e32 v3, v16, v17
	v_ffbh_i32_e32 v1, v17
	v_ashrrev_i32_e32 v3, 31, v3
	v_add_u32_e32 v1, -1, v1
	v_add_u32_e32 v3, 32, v3
	v_min_u32_e32 v1, v1, v3
	v_lshlrev_b64 v[18:19], v1, v[16:17]
	v_min_u32_e32 v3, 1, v18
	v_or_b32_e32 v3, v19, v3
	v_cvt_f32_i32_e32 v3, v3
	v_sub_u32_e32 v1, 32, v1
	s_mov_b32 s8, 0x43800000
	v_mov_b32_e32 v5, 0x80
	v_ldexp_f32 v1, v3, v1
	v_and_b32_e32 v3, 0x7fffffff, v1
	v_cmp_gt_u32_e32 vcc, s8, v3
	s_and_saveexec_b64 s[8:9], vcc
	s_cbranch_execz .LBB39_1703
; %bb.1698:
	s_mov_b32 s10, 0x3bffffff
	v_cmp_lt_u32_e32 vcc, s10, v3
	s_mov_b64 s[10:11], 0
                                        ; implicit-def: $vgpr3
	s_and_saveexec_b64 s[12:13], vcc
	s_xor_b64 s[12:13], exec, s[12:13]
	s_cbranch_execz .LBB39_2108
; %bb.1699:
	v_bfe_u32 v3, v1, 20, 1
	s_mov_b32 s17, 0x487ffff
	v_add3_u32 v3, v1, v3, s17
	s_mov_b64 s[10:11], exec
	v_lshrrev_b32_e32 v3, 20, v3
	s_andn2_saveexec_b64 s[12:13], s[12:13]
	s_cbranch_execnz .LBB39_2109
.LBB39_1700:
	s_or_b64 exec, exec, s[12:13]
	v_mov_b32_e32 v5, 0
	s_and_saveexec_b64 s[12:13], s[10:11]
.LBB39_1701:
	v_lshrrev_b32_e32 v1, 24, v1
	s_movk_i32 s10, 0x80
	v_and_or_b32 v5, v1, s10, v3
.LBB39_1702:
	s_or_b64 exec, exec, s[12:13]
.LBB39_1703:
	s_or_b64 exec, exec, s[8:9]
	global_store_byte v[6:7], v5, off
.LBB39_1704:
	s_mov_b64 s[8:9], -1
.LBB39_1705:
	s_mov_b64 s[10:11], 0
.LBB39_1706:
	s_and_b64 vcc, exec, s[10:11]
	s_cbranch_vccz .LBB39_1746
; %bb.1707:
	s_cmp_gt_i32 s16, 22
	s_mov_b64 s[6:7], -1
	s_cbranch_scc0 .LBB39_1739
; %bb.1708:
	s_cmp_lt_i32 s16, 24
	s_cbranch_scc1 .LBB39_1728
; %bb.1709:
	s_cmp_gt_i32 s16, 24
	s_cbranch_scc0 .LBB39_1717
; %bb.1710:
	v_xor_b32_e32 v3, v16, v17
	v_ffbh_i32_e32 v1, v17
	v_ashrrev_i32_e32 v3, 31, v3
	v_add_u32_e32 v1, -1, v1
	v_add_u32_e32 v3, 32, v3
	v_min_u32_e32 v1, v1, v3
	v_lshlrev_b64 v[18:19], v1, v[16:17]
	v_min_u32_e32 v3, 1, v18
	v_or_b32_e32 v3, v19, v3
	v_cvt_f32_i32_e32 v3, v3
	v_sub_u32_e32 v1, 32, v1
	s_mov_b32 s6, 0x47800000
	v_mov_b32_e32 v5, 0x80
	v_ldexp_f32 v1, v3, v1
	v_and_b32_e32 v3, 0x7fffffff, v1
	v_cmp_gt_u32_e32 vcc, s6, v3
	s_and_saveexec_b64 s[6:7], vcc
	s_cbranch_execz .LBB39_1716
; %bb.1711:
	s_mov_b32 s8, 0x37ffffff
	v_cmp_lt_u32_e32 vcc, s8, v3
	s_mov_b64 s[8:9], 0
                                        ; implicit-def: $vgpr3
	s_and_saveexec_b64 s[10:11], vcc
	s_xor_b64 s[10:11], exec, s[10:11]
	s_cbranch_execz .LBB39_2111
; %bb.1712:
	v_bfe_u32 v3, v1, 21, 1
	s_mov_b32 s12, 0x88fffff
	v_add3_u32 v3, v1, v3, s12
	s_mov_b64 s[8:9], exec
	v_lshrrev_b32_e32 v3, 21, v3
	s_andn2_saveexec_b64 s[10:11], s[10:11]
	s_cbranch_execnz .LBB39_2112
.LBB39_1713:
	s_or_b64 exec, exec, s[10:11]
	v_mov_b32_e32 v5, 0
	s_and_saveexec_b64 s[10:11], s[8:9]
.LBB39_1714:
	v_lshrrev_b32_e32 v1, 24, v1
	s_movk_i32 s8, 0x80
	v_and_or_b32 v5, v1, s8, v3
.LBB39_1715:
	s_or_b64 exec, exec, s[10:11]
.LBB39_1716:
	s_or_b64 exec, exec, s[6:7]
	s_mov_b64 s[6:7], 0
	global_store_byte v[6:7], v5, off
.LBB39_1717:
	s_and_b64 vcc, exec, s[6:7]
	s_cbranch_vccz .LBB39_1727
; %bb.1718:
	v_xor_b32_e32 v3, v16, v17
	v_ffbh_i32_e32 v1, v17
	v_ashrrev_i32_e32 v3, 31, v3
	v_add_u32_e32 v1, -1, v1
	v_add_u32_e32 v3, 32, v3
	v_min_u32_e32 v1, v1, v3
	v_lshlrev_b64 v[18:19], v1, v[16:17]
	v_min_u32_e32 v3, 1, v18
	v_or_b32_e32 v3, v19, v3
	v_cvt_f32_i32_e32 v3, v3
	v_sub_u32_e32 v1, 32, v1
	s_mov_b32 s6, 0x43f00000
	v_ldexp_f32 v1, v3, v1
	v_and_b32_e32 v5, 0x7fffffff, v1
	v_cmp_gt_u32_e32 vcc, s6, v5
                                        ; implicit-def: $vgpr3
	s_and_saveexec_b64 s[6:7], vcc
	s_xor_b64 s[6:7], exec, s[6:7]
	s_cbranch_execz .LBB39_1724
; %bb.1719:
	s_mov_b32 s8, 0x3c7fffff
	v_cmp_lt_u32_e32 vcc, s8, v5
                                        ; implicit-def: $vgpr3
	s_and_saveexec_b64 s[8:9], vcc
	s_xor_b64 s[8:9], exec, s[8:9]
; %bb.1720:
	v_bfe_u32 v3, v1, 20, 1
	s_mov_b32 s10, 0x407ffff
	v_add3_u32 v3, v1, v3, s10
	v_lshrrev_b32_e32 v5, 20, v3
	v_and_b32_e32 v3, 0xff00000, v3
	s_mov_b32 s10, 0x7f00000
	v_mov_b32_e32 v18, 0x7e
	v_cmp_ne_u32_e32 vcc, s10, v3
	s_nop 1
	v_cndmask_b32_e32 v3, v18, v5, vcc
; %bb.1721:
	s_andn2_saveexec_b64 s[8:9], s[8:9]
; %bb.1722:
	s_mov_b32 s10, 0x46800000
	v_add_f32_e64 v3, |v1|, s10
; %bb.1723:
	s_or_b64 exec, exec, s[8:9]
                                        ; implicit-def: $vgpr5
.LBB39_1724:
	s_andn2_saveexec_b64 s[6:7], s[6:7]
; %bb.1725:
	s_mov_b32 s8, 0x7f800000
	v_mov_b32_e32 v3, 0x7e
	v_mov_b32_e32 v18, 0x7f
	v_cmp_lt_u32_e32 vcc, s8, v5
	s_nop 1
	v_cndmask_b32_e32 v3, v3, v18, vcc
; %bb.1726:
	s_or_b64 exec, exec, s[6:7]
	v_lshrrev_b32_e32 v1, 24, v1
	s_movk_i32 s6, 0x80
	v_and_or_b32 v1, v1, s6, v3
	global_store_byte v[6:7], v1, off
.LBB39_1727:
	s_mov_b64 s[6:7], 0
.LBB39_1728:
	s_andn2_b64 vcc, exec, s[6:7]
	s_cbranch_vccnz .LBB39_1738
; %bb.1729:
	v_xor_b32_e32 v3, v16, v17
	v_ffbh_i32_e32 v1, v17
	v_ashrrev_i32_e32 v3, 31, v3
	v_add_u32_e32 v1, -1, v1
	v_add_u32_e32 v3, 32, v3
	v_min_u32_e32 v1, v1, v3
	v_lshlrev_b64 v[18:19], v1, v[16:17]
	v_min_u32_e32 v3, 1, v18
	v_or_b32_e32 v3, v19, v3
	v_cvt_f32_i32_e32 v3, v3
	v_sub_u32_e32 v1, 32, v1
	s_mov_b32 s6, 0x47800000
	v_ldexp_f32 v1, v3, v1
	v_and_b32_e32 v5, 0x7fffffff, v1
	v_cmp_gt_u32_e32 vcc, s6, v5
                                        ; implicit-def: $vgpr3
	s_and_saveexec_b64 s[6:7], vcc
	s_xor_b64 s[6:7], exec, s[6:7]
	s_cbranch_execz .LBB39_1735
; %bb.1730:
	s_mov_b32 s8, 0x387fffff
	v_cmp_lt_u32_e32 vcc, s8, v5
                                        ; implicit-def: $vgpr3
	s_and_saveexec_b64 s[8:9], vcc
	s_xor_b64 s[8:9], exec, s[8:9]
; %bb.1731:
	v_bfe_u32 v3, v1, 21, 1
	s_mov_b32 s10, 0x80fffff
	v_add3_u32 v3, v1, v3, s10
	v_lshrrev_b32_e32 v3, 21, v3
; %bb.1732:
	s_andn2_saveexec_b64 s[8:9], s[8:9]
; %bb.1733:
	s_mov_b32 s10, 0x43000000
	v_add_f32_e64 v3, |v1|, s10
; %bb.1734:
	s_or_b64 exec, exec, s[8:9]
                                        ; implicit-def: $vgpr5
.LBB39_1735:
	s_andn2_saveexec_b64 s[6:7], s[6:7]
; %bb.1736:
	s_mov_b32 s8, 0x7f800000
	v_mov_b32_e32 v3, 0x7c
	v_mov_b32_e32 v18, 0x7f
	v_cmp_lt_u32_e32 vcc, s8, v5
	s_nop 1
	v_cndmask_b32_e32 v3, v3, v18, vcc
; %bb.1737:
	s_or_b64 exec, exec, s[6:7]
	v_lshrrev_b32_e32 v1, 24, v1
	s_movk_i32 s6, 0x80
	v_and_or_b32 v1, v1, s6, v3
	global_store_byte v[6:7], v1, off
.LBB39_1738:
	s_mov_b64 s[6:7], 0
	s_mov_b64 s[8:9], -1
.LBB39_1739:
	s_andn2_b64 vcc, exec, s[6:7]
	s_mov_b64 s[6:7], 0
	s_cbranch_vccnz .LBB39_1746
; %bb.1740:
	s_cmp_gt_i32 s16, 14
	s_mov_b64 s[10:11], -1
	s_cbranch_scc0 .LBB39_1744
; %bb.1741:
	s_cmp_eq_u32 s16, 15
	s_mov_b64 s[0:1], -1
	s_cbranch_scc0 .LBB39_1743
; %bb.1742:
	v_xor_b32_e32 v3, v16, v17
	v_ffbh_i32_e32 v1, v17
	v_ashrrev_i32_e32 v3, 31, v3
	v_add_u32_e32 v1, -1, v1
	v_add_u32_e32 v3, 32, v3
	v_min_u32_e32 v1, v1, v3
	v_lshlrev_b64 v[18:19], v1, v[16:17]
	v_min_u32_e32 v3, 1, v18
	v_or_b32_e32 v3, v19, v3
	v_cvt_f32_i32_e32 v3, v3
	v_sub_u32_e32 v1, 32, v1
	s_movk_i32 s0, 0x7fff
	s_mov_b64 s[8:9], -1
	v_ldexp_f32 v1, v3, v1
	v_bfe_u32 v3, v1, 16, 1
	v_add3_u32 v1, v1, v3, s0
	global_store_short_d16_hi v[6:7], v1, off
	s_mov_b64 s[0:1], 0
.LBB39_1743:
	s_mov_b64 s[10:11], 0
.LBB39_1744:
	s_and_b64 vcc, exec, s[10:11]
	s_cbranch_vccz .LBB39_1746
; %bb.1745:
	s_cmp_lg_u32 s16, 11
	s_mov_b64 s[6:7], -1
	s_cselect_b64 s[0:1], -1, 0
.LBB39_1746:
	s_and_b64 vcc, exec, s[0:1]
	s_cbranch_vccnz .LBB39_2110
; %bb.1747:
	s_andn2_b64 vcc, exec, s[6:7]
	s_cbranch_vccnz .LBB39_1749
.LBB39_1748:
	v_cmp_ne_u64_e32 vcc, -1, v[8:9]
	s_mov_b64 s[8:9], -1
	s_nop 0
	v_cndmask_b32_e64 v1, 0, 1, vcc
	global_store_byte v[6:7], v1, off
.LBB39_1749:
	s_mov_b64 s[0:1], 0
	s_branch .LBB39_1751
.LBB39_1750:
	s_mov_b64 s[0:1], -1
	s_mov_b64 s[8:9], 0
.LBB39_1751:
	s_and_b64 vcc, exec, s[0:1]
	s_cbranch_vccz .LBB39_1790
; %bb.1752:
	s_and_b32 s6, 0xffff, s15
	s_cmp_lt_i32 s6, 5
	s_mov_b64 s[0:1], -1
	s_cbranch_scc1 .LBB39_1773
; %bb.1753:
	s_cmp_lt_i32 s6, 8
	s_cbranch_scc1 .LBB39_1763
; %bb.1754:
	s_cmp_lt_i32 s6, 9
	s_cbranch_scc1 .LBB39_1760
; %bb.1755:
	s_cmp_gt_i32 s6, 9
	s_cbranch_scc0 .LBB39_1757
; %bb.1756:
	v_cvt_f64_i32_e32 v[8:9], v17
	v_ldexp_f64 v[8:9], v[8:9], 32
	v_cvt_f64_u32_e32 v[18:19], v16
	v_mov_b32_e32 v20, 0
	v_add_f64 v[18:19], v[8:9], v[18:19]
	v_mov_b32_e32 v21, v20
	global_store_dwordx4 v[6:7], v[18:21], off
	s_mov_b64 s[0:1], 0
.LBB39_1757:
	s_andn2_b64 vcc, exec, s[0:1]
	s_cbranch_vccnz .LBB39_1759
; %bb.1758:
	v_xor_b32_e32 v3, v16, v17
	v_ffbh_i32_e32 v1, v17
	v_ashrrev_i32_e32 v3, 31, v3
	v_add_u32_e32 v1, -1, v1
	v_add_u32_e32 v3, 32, v3
	v_min_u32_e32 v1, v1, v3
	v_lshlrev_b64 v[8:9], v1, v[16:17]
	v_min_u32_e32 v3, 1, v8
	v_or_b32_e32 v3, v9, v3
	v_cvt_f32_i32_e32 v3, v3
	v_sub_u32_e32 v1, 32, v1
	v_mov_b32_e32 v9, 0
	v_ldexp_f32 v8, v3, v1
	global_store_dwordx2 v[6:7], v[8:9], off
.LBB39_1759:
	s_mov_b64 s[0:1], 0
.LBB39_1760:
	s_andn2_b64 vcc, exec, s[0:1]
	s_cbranch_vccnz .LBB39_1762
; %bb.1761:
	v_xor_b32_e32 v3, v16, v17
	v_ffbh_i32_e32 v1, v17
	v_ashrrev_i32_e32 v3, 31, v3
	v_add_u32_e32 v1, -1, v1
	v_add_u32_e32 v3, 32, v3
	v_min_u32_e32 v1, v1, v3
	v_lshlrev_b64 v[8:9], v1, v[16:17]
	v_min_u32_e32 v3, 1, v8
	v_or_b32_e32 v3, v9, v3
	v_cvt_f32_i32_e32 v3, v3
	v_sub_u32_e32 v1, 32, v1
	v_ldexp_f32 v1, v3, v1
	v_cvt_f16_f32_e32 v1, v1
	global_store_dword v[6:7], v1, off
.LBB39_1762:
	s_mov_b64 s[0:1], 0
.LBB39_1763:
	s_andn2_b64 vcc, exec, s[0:1]
	s_cbranch_vccnz .LBB39_1772
; %bb.1764:
	s_cmp_lt_i32 s6, 6
	s_mov_b64 s[0:1], -1
	s_cbranch_scc1 .LBB39_1770
; %bb.1765:
	s_cmp_gt_i32 s6, 6
	s_cbranch_scc0 .LBB39_1767
; %bb.1766:
	v_cvt_f64_i32_e32 v[8:9], v17
	v_ldexp_f64 v[8:9], v[8:9], 32
	v_cvt_f64_u32_e32 v[18:19], v16
	v_add_f64 v[8:9], v[8:9], v[18:19]
	global_store_dwordx2 v[6:7], v[8:9], off
	s_mov_b64 s[0:1], 0
.LBB39_1767:
	s_andn2_b64 vcc, exec, s[0:1]
	s_cbranch_vccnz .LBB39_1769
; %bb.1768:
	v_xor_b32_e32 v3, v16, v17
	v_ffbh_i32_e32 v1, v17
	v_ashrrev_i32_e32 v3, 31, v3
	v_add_u32_e32 v1, -1, v1
	v_add_u32_e32 v3, 32, v3
	v_min_u32_e32 v1, v1, v3
	v_lshlrev_b64 v[8:9], v1, v[16:17]
	v_min_u32_e32 v3, 1, v8
	v_or_b32_e32 v3, v9, v3
	v_cvt_f32_i32_e32 v3, v3
	v_sub_u32_e32 v1, 32, v1
	v_ldexp_f32 v1, v3, v1
	global_store_dword v[6:7], v1, off
.LBB39_1769:
	s_mov_b64 s[0:1], 0
.LBB39_1770:
	s_andn2_b64 vcc, exec, s[0:1]
	s_cbranch_vccnz .LBB39_1772
; %bb.1771:
	v_xor_b32_e32 v3, v16, v17
	v_ffbh_i32_e32 v1, v17
	v_ashrrev_i32_e32 v3, 31, v3
	v_add_u32_e32 v1, -1, v1
	v_add_u32_e32 v3, 32, v3
	v_min_u32_e32 v1, v1, v3
	v_lshlrev_b64 v[8:9], v1, v[16:17]
	v_min_u32_e32 v3, 1, v8
	v_or_b32_e32 v3, v9, v3
	v_cvt_f32_i32_e32 v3, v3
	v_sub_u32_e32 v1, 32, v1
	v_ldexp_f32 v1, v3, v1
	v_cvt_f16_f32_e32 v1, v1
	global_store_short v[6:7], v1, off
.LBB39_1772:
	s_mov_b64 s[0:1], 0
.LBB39_1773:
	s_andn2_b64 vcc, exec, s[0:1]
	s_cbranch_vccnz .LBB39_1789
; %bb.1774:
	s_cmp_lt_i32 s6, 2
	s_mov_b64 s[0:1], -1
	s_cbranch_scc1 .LBB39_1784
; %bb.1775:
	s_cmp_lt_i32 s6, 3
	s_cbranch_scc1 .LBB39_1781
; %bb.1776:
	s_cmp_gt_i32 s6, 3
	s_cbranch_scc0 .LBB39_1778
; %bb.1777:
	global_store_dwordx2 v[6:7], v[16:17], off
	s_mov_b64 s[0:1], 0
.LBB39_1778:
	s_andn2_b64 vcc, exec, s[0:1]
	s_cbranch_vccnz .LBB39_1780
; %bb.1779:
	global_store_dword v[6:7], v16, off
.LBB39_1780:
	s_mov_b64 s[0:1], 0
.LBB39_1781:
	s_andn2_b64 vcc, exec, s[0:1]
	s_cbranch_vccnz .LBB39_1783
; %bb.1782:
	global_store_short v[6:7], v16, off
.LBB39_1783:
	s_mov_b64 s[0:1], 0
.LBB39_1784:
	s_andn2_b64 vcc, exec, s[0:1]
	s_cbranch_vccnz .LBB39_1789
; %bb.1785:
	s_cmp_gt_i32 s6, 0
	s_mov_b64 s[0:1], -1
	s_cbranch_scc0 .LBB39_1787
; %bb.1786:
	global_store_byte v[6:7], v16, off
	s_mov_b64 s[0:1], 0
.LBB39_1787:
	s_andn2_b64 vcc, exec, s[0:1]
	s_cbranch_vccnz .LBB39_1789
; %bb.1788:
	global_store_byte v[6:7], v16, off
.LBB39_1789:
	s_mov_b64 s[8:9], -1
.LBB39_1790:
	s_andn2_b64 vcc, exec, s[8:9]
	s_cbranch_vccnz .LBB39_2105
; %bb.1791:
	s_lshr_b32 s0, s14, 8
	s_and_b32 s14, s0, 0xff
	v_mov_b32_e32 v5, 0
	v_not_b32_e32 v7, v11
	v_not_b32_e32 v6, v10
	s_cmp_lt_i32 s14, 11
	v_lshl_add_u64 v[4:5], s[4:5], 0, v[4:5]
	s_cbranch_scc1 .LBB39_1869
; %bb.1792:
	s_and_b32 s15, 0xffff, s14
	s_mov_b64 s[10:11], -1
	s_mov_b64 s[6:7], 0
	s_cmp_gt_i32 s15, 25
	s_mov_b64 s[8:9], 0
	s_mov_b64 s[0:1], 0
	s_cbranch_scc0 .LBB39_1825
; %bb.1793:
	s_cmp_gt_i32 s15, 28
	s_cbranch_scc0 .LBB39_1808
; %bb.1794:
	s_cmp_gt_i32 s15, 43
	;; [unrolled: 3-line block ×3, first 2 shown]
	s_cbranch_scc0 .LBB39_1798
; %bb.1796:
	s_mov_b64 s[0:1], -1
	s_mov_b64 s[10:11], 0
	s_cmp_eq_u32 s15, 46
	s_cbranch_scc0 .LBB39_1798
; %bb.1797:
	v_xor_b32_e32 v3, v6, v7
	v_ffbh_i32_e32 v1, v7
	v_ashrrev_i32_e32 v3, 31, v3
	v_add_u32_e32 v1, -1, v1
	v_add_u32_e32 v3, 32, v3
	v_min_u32_e32 v1, v1, v3
	v_lshlrev_b64 v[8:9], v1, v[6:7]
	v_min_u32_e32 v3, 1, v8
	v_or_b32_e32 v3, v9, v3
	v_cvt_f32_i32_e32 v3, v3
	v_sub_u32_e32 v1, 32, v1
	s_movk_i32 s0, 0x7fff
	s_mov_b64 s[8:9], -1
	v_ldexp_f32 v1, v3, v1
	v_bfe_u32 v3, v1, 16, 1
	v_add3_u32 v1, v1, v3, s0
	v_lshrrev_b32_e32 v1, 16, v1
	global_store_dword v[4:5], v1, off
	s_mov_b64 s[0:1], 0
.LBB39_1798:
	s_and_b64 vcc, exec, s[10:11]
	s_cbranch_vccz .LBB39_1803
; %bb.1799:
	s_cmp_eq_u32 s15, 44
	s_mov_b64 s[0:1], -1
	s_cbranch_scc0 .LBB39_1803
; %bb.1800:
	v_xor_b32_e32 v3, v6, v7
	v_ffbh_i32_e32 v1, v7
	v_ashrrev_i32_e32 v3, 31, v3
	v_add_u32_e32 v1, -1, v1
	v_add_u32_e32 v3, 32, v3
	v_min_u32_e32 v1, v1, v3
	v_lshlrev_b64 v[8:9], v1, v[6:7]
	v_min_u32_e32 v3, 1, v8
	v_or_b32_e32 v3, v9, v3
	v_cvt_f32_i32_e32 v3, v3
	v_sub_u32_e32 v1, 32, v1
	s_movk_i32 s0, 0xff
	v_mov_b32_e32 v8, 0xff
	v_ldexp_f32 v1, v3, v1
	v_bfe_u32 v3, v1, 23, 8
	v_cmp_ne_u32_e32 vcc, s0, v3
	s_and_saveexec_b64 s[8:9], vcc
; %bb.1801:
	s_mov_b32 s0, 0x3fffff
	v_lshrrev_b32_e32 v8, 23, v1
	v_and_b32_e32 v9, 0x400000, v1
	v_and_or_b32 v1, v1, s0, v3
	v_cmp_ne_u32_e32 vcc, 0, v9
	v_cmp_ne_u32_e64 s[0:1], 0, v1
	s_and_b64 s[0:1], vcc, s[0:1]
	s_nop 0
	v_cndmask_b32_e64 v1, 0, 1, s[0:1]
	v_add_u32_e32 v8, v8, v1
; %bb.1802:
	s_or_b64 exec, exec, s[8:9]
	s_mov_b64 s[0:1], 0
	s_mov_b64 s[8:9], -1
	global_store_byte v[4:5], v8, off
.LBB39_1803:
	s_mov_b64 s[10:11], 0
.LBB39_1804:
	s_and_b64 vcc, exec, s[10:11]
	s_cbranch_vccz .LBB39_1807
; %bb.1805:
	s_cmp_eq_u32 s15, 29
	s_mov_b64 s[0:1], -1
	s_cbranch_scc0 .LBB39_1807
; %bb.1806:
	global_store_dwordx2 v[4:5], v[6:7], off
	s_mov_b64 s[0:1], 0
	s_mov_b64 s[8:9], -1
.LBB39_1807:
	s_mov_b64 s[10:11], 0
.LBB39_1808:
	s_and_b64 vcc, exec, s[10:11]
	s_cbranch_vccz .LBB39_1824
; %bb.1809:
	s_cmp_lt_i32 s15, 27
	s_mov_b64 s[8:9], -1
	s_cbranch_scc1 .LBB39_1815
; %bb.1810:
	s_cmp_gt_i32 s15, 27
	s_cbranch_scc0 .LBB39_1812
; %bb.1811:
	s_mov_b64 s[8:9], 0
	global_store_dword v[4:5], v6, off
.LBB39_1812:
	s_andn2_b64 vcc, exec, s[8:9]
	s_cbranch_vccnz .LBB39_1814
; %bb.1813:
	global_store_short v[4:5], v6, off
.LBB39_1814:
	s_mov_b64 s[8:9], 0
.LBB39_1815:
	s_andn2_b64 vcc, exec, s[8:9]
	s_cbranch_vccnz .LBB39_1823
; %bb.1816:
	v_xor_b32_e32 v3, v6, v7
	v_ffbh_i32_e32 v1, v7
	v_ashrrev_i32_e32 v3, 31, v3
	v_add_u32_e32 v1, -1, v1
	v_add_u32_e32 v3, 32, v3
	v_min_u32_e32 v1, v1, v3
	v_lshlrev_b64 v[8:9], v1, v[6:7]
	v_min_u32_e32 v3, 1, v8
	v_or_b32_e32 v3, v9, v3
	v_cvt_f32_i32_e32 v3, v3
	v_sub_u32_e32 v1, 32, v1
	s_mov_b32 s8, 0x43800000
	v_mov_b32_e32 v8, 0x80
	v_ldexp_f32 v1, v3, v1
	v_and_b32_e32 v3, 0x7fffffff, v1
	v_cmp_gt_u32_e32 vcc, s8, v3
	s_and_saveexec_b64 s[8:9], vcc
	s_cbranch_execz .LBB39_1822
; %bb.1817:
	s_mov_b32 s10, 0x3bffffff
	v_cmp_lt_u32_e32 vcc, s10, v3
	s_mov_b64 s[10:11], 0
                                        ; implicit-def: $vgpr3
	s_and_saveexec_b64 s[12:13], vcc
	s_xor_b64 s[12:13], exec, s[12:13]
	s_cbranch_execz .LBB39_2113
; %bb.1818:
	v_bfe_u32 v3, v1, 20, 1
	s_mov_b32 s16, 0x487ffff
	v_add3_u32 v3, v1, v3, s16
	s_mov_b64 s[10:11], exec
	v_lshrrev_b32_e32 v3, 20, v3
	s_andn2_saveexec_b64 s[12:13], s[12:13]
	s_cbranch_execnz .LBB39_2114
.LBB39_1819:
	s_or_b64 exec, exec, s[12:13]
	v_mov_b32_e32 v8, 0
	s_and_saveexec_b64 s[12:13], s[10:11]
.LBB39_1820:
	v_lshrrev_b32_e32 v1, 24, v1
	s_movk_i32 s10, 0x80
	v_and_or_b32 v8, v1, s10, v3
.LBB39_1821:
	s_or_b64 exec, exec, s[12:13]
.LBB39_1822:
	s_or_b64 exec, exec, s[8:9]
	global_store_byte v[4:5], v8, off
.LBB39_1823:
	s_mov_b64 s[8:9], -1
.LBB39_1824:
	s_mov_b64 s[10:11], 0
.LBB39_1825:
	s_and_b64 vcc, exec, s[10:11]
	s_cbranch_vccz .LBB39_1865
; %bb.1826:
	s_cmp_gt_i32 s15, 22
	s_mov_b64 s[6:7], -1
	s_cbranch_scc0 .LBB39_1858
; %bb.1827:
	s_cmp_lt_i32 s15, 24
	s_cbranch_scc1 .LBB39_1847
; %bb.1828:
	s_cmp_gt_i32 s15, 24
	s_cbranch_scc0 .LBB39_1836
; %bb.1829:
	v_xor_b32_e32 v3, v6, v7
	v_ffbh_i32_e32 v1, v7
	v_ashrrev_i32_e32 v3, 31, v3
	v_add_u32_e32 v1, -1, v1
	v_add_u32_e32 v3, 32, v3
	v_min_u32_e32 v1, v1, v3
	v_lshlrev_b64 v[8:9], v1, v[6:7]
	v_min_u32_e32 v3, 1, v8
	v_or_b32_e32 v3, v9, v3
	v_cvt_f32_i32_e32 v3, v3
	v_sub_u32_e32 v1, 32, v1
	s_mov_b32 s6, 0x47800000
	v_mov_b32_e32 v8, 0x80
	v_ldexp_f32 v1, v3, v1
	v_and_b32_e32 v3, 0x7fffffff, v1
	v_cmp_gt_u32_e32 vcc, s6, v3
	s_and_saveexec_b64 s[6:7], vcc
	s_cbranch_execz .LBB39_1835
; %bb.1830:
	s_mov_b32 s8, 0x37ffffff
	v_cmp_lt_u32_e32 vcc, s8, v3
	s_mov_b64 s[8:9], 0
                                        ; implicit-def: $vgpr3
	s_and_saveexec_b64 s[10:11], vcc
	s_xor_b64 s[10:11], exec, s[10:11]
	s_cbranch_execz .LBB39_2116
; %bb.1831:
	v_bfe_u32 v3, v1, 21, 1
	s_mov_b32 s12, 0x88fffff
	v_add3_u32 v3, v1, v3, s12
	s_mov_b64 s[8:9], exec
	v_lshrrev_b32_e32 v3, 21, v3
	s_andn2_saveexec_b64 s[10:11], s[10:11]
	s_cbranch_execnz .LBB39_2117
.LBB39_1832:
	s_or_b64 exec, exec, s[10:11]
	v_mov_b32_e32 v8, 0
	s_and_saveexec_b64 s[10:11], s[8:9]
.LBB39_1833:
	v_lshrrev_b32_e32 v1, 24, v1
	s_movk_i32 s8, 0x80
	v_and_or_b32 v8, v1, s8, v3
.LBB39_1834:
	s_or_b64 exec, exec, s[10:11]
.LBB39_1835:
	s_or_b64 exec, exec, s[6:7]
	s_mov_b64 s[6:7], 0
	global_store_byte v[4:5], v8, off
.LBB39_1836:
	s_and_b64 vcc, exec, s[6:7]
	s_cbranch_vccz .LBB39_1846
; %bb.1837:
	v_xor_b32_e32 v3, v6, v7
	v_ffbh_i32_e32 v1, v7
	v_ashrrev_i32_e32 v3, 31, v3
	v_add_u32_e32 v1, -1, v1
	v_add_u32_e32 v3, 32, v3
	v_min_u32_e32 v1, v1, v3
	v_lshlrev_b64 v[8:9], v1, v[6:7]
	v_min_u32_e32 v3, 1, v8
	v_or_b32_e32 v3, v9, v3
	v_cvt_f32_i32_e32 v3, v3
	v_sub_u32_e32 v1, 32, v1
	s_mov_b32 s6, 0x43f00000
	v_ldexp_f32 v1, v3, v1
	v_and_b32_e32 v8, 0x7fffffff, v1
	v_cmp_gt_u32_e32 vcc, s6, v8
                                        ; implicit-def: $vgpr3
	s_and_saveexec_b64 s[6:7], vcc
	s_xor_b64 s[6:7], exec, s[6:7]
	s_cbranch_execz .LBB39_1843
; %bb.1838:
	s_mov_b32 s8, 0x3c7fffff
	v_cmp_lt_u32_e32 vcc, s8, v8
                                        ; implicit-def: $vgpr3
	s_and_saveexec_b64 s[8:9], vcc
	s_xor_b64 s[8:9], exec, s[8:9]
; %bb.1839:
	v_bfe_u32 v3, v1, 20, 1
	s_mov_b32 s10, 0x407ffff
	v_add3_u32 v3, v1, v3, s10
	v_lshrrev_b32_e32 v8, 20, v3
	v_and_b32_e32 v3, 0xff00000, v3
	s_mov_b32 s10, 0x7f00000
	v_mov_b32_e32 v9, 0x7e
	v_cmp_ne_u32_e32 vcc, s10, v3
	s_nop 1
	v_cndmask_b32_e32 v3, v9, v8, vcc
; %bb.1840:
	s_andn2_saveexec_b64 s[8:9], s[8:9]
; %bb.1841:
	s_mov_b32 s10, 0x46800000
	v_add_f32_e64 v3, |v1|, s10
; %bb.1842:
	s_or_b64 exec, exec, s[8:9]
                                        ; implicit-def: $vgpr8
.LBB39_1843:
	s_andn2_saveexec_b64 s[6:7], s[6:7]
; %bb.1844:
	s_mov_b32 s8, 0x7f800000
	v_mov_b32_e32 v3, 0x7e
	v_mov_b32_e32 v9, 0x7f
	v_cmp_lt_u32_e32 vcc, s8, v8
	s_nop 1
	v_cndmask_b32_e32 v3, v3, v9, vcc
; %bb.1845:
	s_or_b64 exec, exec, s[6:7]
	v_lshrrev_b32_e32 v1, 24, v1
	s_movk_i32 s6, 0x80
	v_and_or_b32 v1, v1, s6, v3
	global_store_byte v[4:5], v1, off
.LBB39_1846:
	s_mov_b64 s[6:7], 0
.LBB39_1847:
	s_andn2_b64 vcc, exec, s[6:7]
	s_cbranch_vccnz .LBB39_1857
; %bb.1848:
	v_xor_b32_e32 v3, v6, v7
	v_ffbh_i32_e32 v1, v7
	v_ashrrev_i32_e32 v3, 31, v3
	v_add_u32_e32 v1, -1, v1
	v_add_u32_e32 v3, 32, v3
	v_min_u32_e32 v1, v1, v3
	v_lshlrev_b64 v[8:9], v1, v[6:7]
	v_min_u32_e32 v3, 1, v8
	v_or_b32_e32 v3, v9, v3
	v_cvt_f32_i32_e32 v3, v3
	v_sub_u32_e32 v1, 32, v1
	s_mov_b32 s6, 0x47800000
	v_ldexp_f32 v1, v3, v1
	v_and_b32_e32 v8, 0x7fffffff, v1
	v_cmp_gt_u32_e32 vcc, s6, v8
                                        ; implicit-def: $vgpr3
	s_and_saveexec_b64 s[6:7], vcc
	s_xor_b64 s[6:7], exec, s[6:7]
	s_cbranch_execz .LBB39_1854
; %bb.1849:
	s_mov_b32 s8, 0x387fffff
	v_cmp_lt_u32_e32 vcc, s8, v8
                                        ; implicit-def: $vgpr3
	s_and_saveexec_b64 s[8:9], vcc
	s_xor_b64 s[8:9], exec, s[8:9]
; %bb.1850:
	v_bfe_u32 v3, v1, 21, 1
	s_mov_b32 s10, 0x80fffff
	v_add3_u32 v3, v1, v3, s10
	v_lshrrev_b32_e32 v3, 21, v3
; %bb.1851:
	s_andn2_saveexec_b64 s[8:9], s[8:9]
; %bb.1852:
	s_mov_b32 s10, 0x43000000
	v_add_f32_e64 v3, |v1|, s10
; %bb.1853:
	s_or_b64 exec, exec, s[8:9]
                                        ; implicit-def: $vgpr8
.LBB39_1854:
	s_andn2_saveexec_b64 s[6:7], s[6:7]
; %bb.1855:
	s_mov_b32 s8, 0x7f800000
	v_mov_b32_e32 v3, 0x7c
	v_mov_b32_e32 v9, 0x7f
	v_cmp_lt_u32_e32 vcc, s8, v8
	s_nop 1
	v_cndmask_b32_e32 v3, v3, v9, vcc
; %bb.1856:
	s_or_b64 exec, exec, s[6:7]
	v_lshrrev_b32_e32 v1, 24, v1
	s_movk_i32 s6, 0x80
	v_and_or_b32 v1, v1, s6, v3
	global_store_byte v[4:5], v1, off
.LBB39_1857:
	s_mov_b64 s[6:7], 0
	s_mov_b64 s[8:9], -1
.LBB39_1858:
	s_andn2_b64 vcc, exec, s[6:7]
	s_mov_b64 s[6:7], 0
	s_cbranch_vccnz .LBB39_1865
; %bb.1859:
	s_cmp_gt_i32 s15, 14
	s_mov_b64 s[10:11], -1
	s_cbranch_scc0 .LBB39_1863
; %bb.1860:
	s_cmp_eq_u32 s15, 15
	s_mov_b64 s[0:1], -1
	s_cbranch_scc0 .LBB39_1862
; %bb.1861:
	v_xor_b32_e32 v3, v6, v7
	v_ffbh_i32_e32 v1, v7
	v_ashrrev_i32_e32 v3, 31, v3
	v_add_u32_e32 v1, -1, v1
	v_add_u32_e32 v3, 32, v3
	v_min_u32_e32 v1, v1, v3
	v_lshlrev_b64 v[8:9], v1, v[6:7]
	v_min_u32_e32 v3, 1, v8
	v_or_b32_e32 v3, v9, v3
	v_cvt_f32_i32_e32 v3, v3
	v_sub_u32_e32 v1, 32, v1
	s_movk_i32 s0, 0x7fff
	s_mov_b64 s[8:9], -1
	v_ldexp_f32 v1, v3, v1
	v_bfe_u32 v3, v1, 16, 1
	v_add3_u32 v1, v1, v3, s0
	global_store_short_d16_hi v[4:5], v1, off
	s_mov_b64 s[0:1], 0
.LBB39_1862:
	s_mov_b64 s[10:11], 0
.LBB39_1863:
	s_and_b64 vcc, exec, s[10:11]
	s_cbranch_vccz .LBB39_1865
; %bb.1864:
	s_cmp_lg_u32 s15, 11
	s_mov_b64 s[6:7], -1
	s_cselect_b64 s[0:1], -1, 0
.LBB39_1865:
	s_and_b64 vcc, exec, s[0:1]
	s_cbranch_vccnz .LBB39_2115
; %bb.1866:
	s_andn2_b64 vcc, exec, s[6:7]
	s_cbranch_vccnz .LBB39_1868
.LBB39_1867:
	v_cmp_ne_u64_e32 vcc, -1, v[10:11]
	s_mov_b64 s[8:9], -1
	s_nop 0
	v_cndmask_b32_e64 v1, 0, 1, vcc
	global_store_byte v[4:5], v1, off
.LBB39_1868:
	s_mov_b64 s[0:1], 0
	s_branch .LBB39_1870
.LBB39_1869:
	s_mov_b64 s[0:1], -1
	s_mov_b64 s[8:9], 0
.LBB39_1870:
	s_and_b64 vcc, exec, s[0:1]
	s_cbranch_vccz .LBB39_1909
; %bb.1871:
	s_and_b32 s6, 0xffff, s14
	s_cmp_lt_i32 s6, 5
	s_mov_b64 s[0:1], -1
	s_cbranch_scc1 .LBB39_1892
; %bb.1872:
	s_cmp_lt_i32 s6, 8
	s_cbranch_scc1 .LBB39_1882
; %bb.1873:
	s_cmp_lt_i32 s6, 9
	s_cbranch_scc1 .LBB39_1879
; %bb.1874:
	s_cmp_gt_i32 s6, 9
	s_cbranch_scc0 .LBB39_1876
; %bb.1875:
	v_cvt_f64_i32_e32 v[8:9], v7
	v_ldexp_f64 v[8:9], v[8:9], 32
	v_cvt_f64_u32_e32 v[10:11], v6
	v_add_f64 v[8:9], v[8:9], v[10:11]
	v_mov_b32_e32 v10, 0
	v_mov_b32_e32 v11, v10
	global_store_dwordx4 v[4:5], v[8:11], off
	s_mov_b64 s[0:1], 0
.LBB39_1876:
	s_andn2_b64 vcc, exec, s[0:1]
	s_cbranch_vccnz .LBB39_1878
; %bb.1877:
	v_xor_b32_e32 v3, v6, v7
	v_ffbh_i32_e32 v1, v7
	v_ashrrev_i32_e32 v3, 31, v3
	v_add_u32_e32 v1, -1, v1
	v_add_u32_e32 v3, 32, v3
	v_min_u32_e32 v1, v1, v3
	v_lshlrev_b64 v[8:9], v1, v[6:7]
	v_min_u32_e32 v3, 1, v8
	v_or_b32_e32 v3, v9, v3
	v_cvt_f32_i32_e32 v3, v3
	v_sub_u32_e32 v1, 32, v1
	v_mov_b32_e32 v9, 0
	v_ldexp_f32 v8, v3, v1
	global_store_dwordx2 v[4:5], v[8:9], off
.LBB39_1878:
	s_mov_b64 s[0:1], 0
.LBB39_1879:
	s_andn2_b64 vcc, exec, s[0:1]
	s_cbranch_vccnz .LBB39_1881
; %bb.1880:
	v_xor_b32_e32 v3, v6, v7
	v_ffbh_i32_e32 v1, v7
	v_ashrrev_i32_e32 v3, 31, v3
	v_add_u32_e32 v1, -1, v1
	v_add_u32_e32 v3, 32, v3
	v_min_u32_e32 v1, v1, v3
	v_lshlrev_b64 v[8:9], v1, v[6:7]
	v_min_u32_e32 v3, 1, v8
	v_or_b32_e32 v3, v9, v3
	v_cvt_f32_i32_e32 v3, v3
	v_sub_u32_e32 v1, 32, v1
	v_ldexp_f32 v1, v3, v1
	v_cvt_f16_f32_e32 v1, v1
	global_store_dword v[4:5], v1, off
.LBB39_1881:
	s_mov_b64 s[0:1], 0
.LBB39_1882:
	s_andn2_b64 vcc, exec, s[0:1]
	s_cbranch_vccnz .LBB39_1891
; %bb.1883:
	s_cmp_lt_i32 s6, 6
	s_mov_b64 s[0:1], -1
	s_cbranch_scc1 .LBB39_1889
; %bb.1884:
	s_cmp_gt_i32 s6, 6
	s_cbranch_scc0 .LBB39_1886
; %bb.1885:
	v_cvt_f64_i32_e32 v[8:9], v7
	v_ldexp_f64 v[8:9], v[8:9], 32
	v_cvt_f64_u32_e32 v[10:11], v6
	v_add_f64 v[8:9], v[8:9], v[10:11]
	global_store_dwordx2 v[4:5], v[8:9], off
	s_mov_b64 s[0:1], 0
.LBB39_1886:
	s_andn2_b64 vcc, exec, s[0:1]
	s_cbranch_vccnz .LBB39_1888
; %bb.1887:
	v_xor_b32_e32 v3, v6, v7
	v_ffbh_i32_e32 v1, v7
	v_ashrrev_i32_e32 v3, 31, v3
	v_add_u32_e32 v1, -1, v1
	v_add_u32_e32 v3, 32, v3
	v_min_u32_e32 v1, v1, v3
	v_lshlrev_b64 v[8:9], v1, v[6:7]
	v_min_u32_e32 v3, 1, v8
	v_or_b32_e32 v3, v9, v3
	v_cvt_f32_i32_e32 v3, v3
	v_sub_u32_e32 v1, 32, v1
	v_ldexp_f32 v1, v3, v1
	global_store_dword v[4:5], v1, off
.LBB39_1888:
	s_mov_b64 s[0:1], 0
.LBB39_1889:
	s_andn2_b64 vcc, exec, s[0:1]
	s_cbranch_vccnz .LBB39_1891
; %bb.1890:
	v_xor_b32_e32 v3, v6, v7
	v_ffbh_i32_e32 v1, v7
	v_ashrrev_i32_e32 v3, 31, v3
	v_add_u32_e32 v1, -1, v1
	v_add_u32_e32 v3, 32, v3
	v_min_u32_e32 v1, v1, v3
	v_lshlrev_b64 v[8:9], v1, v[6:7]
	v_min_u32_e32 v3, 1, v8
	v_or_b32_e32 v3, v9, v3
	v_cvt_f32_i32_e32 v3, v3
	v_sub_u32_e32 v1, 32, v1
	v_ldexp_f32 v1, v3, v1
	v_cvt_f16_f32_e32 v1, v1
	global_store_short v[4:5], v1, off
.LBB39_1891:
	s_mov_b64 s[0:1], 0
.LBB39_1892:
	s_andn2_b64 vcc, exec, s[0:1]
	s_cbranch_vccnz .LBB39_1908
; %bb.1893:
	s_cmp_lt_i32 s6, 2
	s_mov_b64 s[0:1], -1
	s_cbranch_scc1 .LBB39_1903
; %bb.1894:
	s_cmp_lt_i32 s6, 3
	s_cbranch_scc1 .LBB39_1900
; %bb.1895:
	s_cmp_gt_i32 s6, 3
	s_cbranch_scc0 .LBB39_1897
; %bb.1896:
	global_store_dwordx2 v[4:5], v[6:7], off
	s_mov_b64 s[0:1], 0
.LBB39_1897:
	s_andn2_b64 vcc, exec, s[0:1]
	s_cbranch_vccnz .LBB39_1899
; %bb.1898:
	global_store_dword v[4:5], v6, off
.LBB39_1899:
	s_mov_b64 s[0:1], 0
.LBB39_1900:
	s_andn2_b64 vcc, exec, s[0:1]
	s_cbranch_vccnz .LBB39_1902
; %bb.1901:
	global_store_short v[4:5], v6, off
.LBB39_1902:
	s_mov_b64 s[0:1], 0
.LBB39_1903:
	s_andn2_b64 vcc, exec, s[0:1]
	s_cbranch_vccnz .LBB39_1908
; %bb.1904:
	s_cmp_gt_i32 s6, 0
	s_mov_b64 s[0:1], -1
	s_cbranch_scc0 .LBB39_1906
; %bb.1905:
	global_store_byte v[4:5], v6, off
	s_mov_b64 s[0:1], 0
.LBB39_1906:
	s_andn2_b64 vcc, exec, s[0:1]
	s_cbranch_vccnz .LBB39_1908
; %bb.1907:
	global_store_byte v[4:5], v6, off
.LBB39_1908:
	s_mov_b64 s[8:9], -1
.LBB39_1909:
	s_andn2_b64 vcc, exec, s[8:9]
	s_cbranch_vccnz .LBB39_2105
; %bb.1910:
	v_mov_b32_e32 v3, 0
	v_not_b32_e32 v5, v15
	v_not_b32_e32 v4, v14
	s_cmp_lt_i32 s14, 11
	v_lshl_add_u64 v[2:3], s[4:5], 0, v[2:3]
	s_cbranch_scc1 .LBB39_1988
; %bb.1911:
	s_and_b32 s15, 0xffff, s14
	s_mov_b64 s[10:11], -1
	s_mov_b64 s[6:7], 0
	s_cmp_gt_i32 s15, 25
	s_mov_b64 s[8:9], 0
	s_mov_b64 s[0:1], 0
	s_cbranch_scc0 .LBB39_1944
; %bb.1912:
	s_cmp_gt_i32 s15, 28
	s_cbranch_scc0 .LBB39_1927
; %bb.1913:
	s_cmp_gt_i32 s15, 43
	;; [unrolled: 3-line block ×3, first 2 shown]
	s_cbranch_scc0 .LBB39_1917
; %bb.1915:
	s_mov_b64 s[0:1], -1
	s_mov_b64 s[10:11], 0
	s_cmp_eq_u32 s15, 46
	s_cbranch_scc0 .LBB39_1917
; %bb.1916:
	v_xor_b32_e32 v6, v4, v5
	v_ffbh_i32_e32 v1, v5
	v_ashrrev_i32_e32 v6, 31, v6
	v_add_u32_e32 v1, -1, v1
	v_add_u32_e32 v6, 32, v6
	v_min_u32_e32 v1, v1, v6
	v_lshlrev_b64 v[6:7], v1, v[4:5]
	v_min_u32_e32 v6, 1, v6
	v_or_b32_e32 v6, v7, v6
	v_cvt_f32_i32_e32 v6, v6
	v_sub_u32_e32 v1, 32, v1
	s_movk_i32 s0, 0x7fff
	s_mov_b64 s[8:9], -1
	v_ldexp_f32 v1, v6, v1
	v_bfe_u32 v6, v1, 16, 1
	v_add3_u32 v1, v1, v6, s0
	v_lshrrev_b32_e32 v1, 16, v1
	global_store_dword v[2:3], v1, off
	s_mov_b64 s[0:1], 0
.LBB39_1917:
	s_and_b64 vcc, exec, s[10:11]
	s_cbranch_vccz .LBB39_1922
; %bb.1918:
	s_cmp_eq_u32 s15, 44
	s_mov_b64 s[0:1], -1
	s_cbranch_scc0 .LBB39_1922
; %bb.1919:
	v_xor_b32_e32 v6, v4, v5
	v_ffbh_i32_e32 v1, v5
	v_ashrrev_i32_e32 v6, 31, v6
	v_add_u32_e32 v1, -1, v1
	v_add_u32_e32 v6, 32, v6
	v_min_u32_e32 v1, v1, v6
	v_lshlrev_b64 v[6:7], v1, v[4:5]
	v_min_u32_e32 v6, 1, v6
	v_or_b32_e32 v6, v7, v6
	v_cvt_f32_i32_e32 v6, v6
	v_sub_u32_e32 v1, 32, v1
	s_movk_i32 s0, 0xff
	v_mov_b32_e32 v7, 0xff
	v_ldexp_f32 v1, v6, v1
	v_bfe_u32 v6, v1, 23, 8
	v_cmp_ne_u32_e32 vcc, s0, v6
	s_and_saveexec_b64 s[8:9], vcc
; %bb.1920:
	s_mov_b32 s0, 0x3fffff
	v_lshrrev_b32_e32 v7, 23, v1
	v_and_b32_e32 v8, 0x400000, v1
	v_and_or_b32 v1, v1, s0, v6
	v_cmp_ne_u32_e32 vcc, 0, v8
	v_cmp_ne_u32_e64 s[0:1], 0, v1
	s_and_b64 s[0:1], vcc, s[0:1]
	s_nop 0
	v_cndmask_b32_e64 v1, 0, 1, s[0:1]
	v_add_u32_e32 v7, v7, v1
; %bb.1921:
	s_or_b64 exec, exec, s[8:9]
	s_mov_b64 s[0:1], 0
	s_mov_b64 s[8:9], -1
	global_store_byte v[2:3], v7, off
.LBB39_1922:
	s_mov_b64 s[10:11], 0
.LBB39_1923:
	s_and_b64 vcc, exec, s[10:11]
	s_cbranch_vccz .LBB39_1926
; %bb.1924:
	s_cmp_eq_u32 s15, 29
	s_mov_b64 s[0:1], -1
	s_cbranch_scc0 .LBB39_1926
; %bb.1925:
	global_store_dwordx2 v[2:3], v[4:5], off
	s_mov_b64 s[0:1], 0
	s_mov_b64 s[8:9], -1
.LBB39_1926:
	s_mov_b64 s[10:11], 0
.LBB39_1927:
	s_and_b64 vcc, exec, s[10:11]
	s_cbranch_vccz .LBB39_1943
; %bb.1928:
	s_cmp_lt_i32 s15, 27
	s_mov_b64 s[8:9], -1
	s_cbranch_scc1 .LBB39_1934
; %bb.1929:
	s_cmp_gt_i32 s15, 27
	s_cbranch_scc0 .LBB39_1931
; %bb.1930:
	s_mov_b64 s[8:9], 0
	global_store_dword v[2:3], v4, off
.LBB39_1931:
	s_andn2_b64 vcc, exec, s[8:9]
	s_cbranch_vccnz .LBB39_1933
; %bb.1932:
	global_store_short v[2:3], v4, off
.LBB39_1933:
	s_mov_b64 s[8:9], 0
.LBB39_1934:
	s_andn2_b64 vcc, exec, s[8:9]
	s_cbranch_vccnz .LBB39_1942
; %bb.1935:
	v_xor_b32_e32 v6, v4, v5
	v_ffbh_i32_e32 v1, v5
	v_ashrrev_i32_e32 v6, 31, v6
	v_add_u32_e32 v1, -1, v1
	v_add_u32_e32 v6, 32, v6
	v_min_u32_e32 v1, v1, v6
	v_lshlrev_b64 v[6:7], v1, v[4:5]
	v_min_u32_e32 v6, 1, v6
	v_or_b32_e32 v6, v7, v6
	v_cvt_f32_i32_e32 v6, v6
	v_sub_u32_e32 v1, 32, v1
	s_mov_b32 s8, 0x43800000
	v_mov_b32_e32 v7, 0x80
	v_ldexp_f32 v1, v6, v1
	v_and_b32_e32 v6, 0x7fffffff, v1
	v_cmp_gt_u32_e32 vcc, s8, v6
	s_and_saveexec_b64 s[8:9], vcc
	s_cbranch_execz .LBB39_1941
; %bb.1936:
	s_mov_b32 s10, 0x3bffffff
	v_cmp_lt_u32_e32 vcc, s10, v6
	s_mov_b64 s[10:11], 0
                                        ; implicit-def: $vgpr6
	s_and_saveexec_b64 s[12:13], vcc
	s_xor_b64 s[12:13], exec, s[12:13]
	s_cbranch_execz .LBB39_2118
; %bb.1937:
	v_bfe_u32 v6, v1, 20, 1
	s_mov_b32 s16, 0x487ffff
	v_add3_u32 v6, v1, v6, s16
	s_mov_b64 s[10:11], exec
	v_lshrrev_b32_e32 v6, 20, v6
	s_andn2_saveexec_b64 s[12:13], s[12:13]
	s_cbranch_execnz .LBB39_2119
.LBB39_1938:
	s_or_b64 exec, exec, s[12:13]
	v_mov_b32_e32 v7, 0
	s_and_saveexec_b64 s[12:13], s[10:11]
.LBB39_1939:
	v_lshrrev_b32_e32 v1, 24, v1
	s_movk_i32 s10, 0x80
	v_and_or_b32 v7, v1, s10, v6
.LBB39_1940:
	s_or_b64 exec, exec, s[12:13]
.LBB39_1941:
	s_or_b64 exec, exec, s[8:9]
	global_store_byte v[2:3], v7, off
.LBB39_1942:
	s_mov_b64 s[8:9], -1
.LBB39_1943:
	s_mov_b64 s[10:11], 0
.LBB39_1944:
	s_and_b64 vcc, exec, s[10:11]
	s_cbranch_vccz .LBB39_1984
; %bb.1945:
	s_cmp_gt_i32 s15, 22
	s_mov_b64 s[6:7], -1
	s_cbranch_scc0 .LBB39_1977
; %bb.1946:
	s_cmp_lt_i32 s15, 24
	s_cbranch_scc1 .LBB39_1966
; %bb.1947:
	s_cmp_gt_i32 s15, 24
	s_cbranch_scc0 .LBB39_1955
; %bb.1948:
	v_xor_b32_e32 v6, v4, v5
	v_ffbh_i32_e32 v1, v5
	v_ashrrev_i32_e32 v6, 31, v6
	v_add_u32_e32 v1, -1, v1
	v_add_u32_e32 v6, 32, v6
	v_min_u32_e32 v1, v1, v6
	v_lshlrev_b64 v[6:7], v1, v[4:5]
	v_min_u32_e32 v6, 1, v6
	v_or_b32_e32 v6, v7, v6
	v_cvt_f32_i32_e32 v6, v6
	v_sub_u32_e32 v1, 32, v1
	s_mov_b32 s6, 0x47800000
	v_mov_b32_e32 v7, 0x80
	v_ldexp_f32 v1, v6, v1
	v_and_b32_e32 v6, 0x7fffffff, v1
	v_cmp_gt_u32_e32 vcc, s6, v6
	s_and_saveexec_b64 s[6:7], vcc
	s_cbranch_execz .LBB39_1954
; %bb.1949:
	s_mov_b32 s8, 0x37ffffff
	v_cmp_lt_u32_e32 vcc, s8, v6
	s_mov_b64 s[8:9], 0
                                        ; implicit-def: $vgpr6
	s_and_saveexec_b64 s[10:11], vcc
	s_xor_b64 s[10:11], exec, s[10:11]
	s_cbranch_execz .LBB39_2121
; %bb.1950:
	v_bfe_u32 v6, v1, 21, 1
	s_mov_b32 s12, 0x88fffff
	v_add3_u32 v6, v1, v6, s12
	s_mov_b64 s[8:9], exec
	v_lshrrev_b32_e32 v6, 21, v6
	s_andn2_saveexec_b64 s[10:11], s[10:11]
	s_cbranch_execnz .LBB39_2122
.LBB39_1951:
	s_or_b64 exec, exec, s[10:11]
	v_mov_b32_e32 v7, 0
	s_and_saveexec_b64 s[10:11], s[8:9]
.LBB39_1952:
	v_lshrrev_b32_e32 v1, 24, v1
	s_movk_i32 s8, 0x80
	v_and_or_b32 v7, v1, s8, v6
.LBB39_1953:
	s_or_b64 exec, exec, s[10:11]
.LBB39_1954:
	s_or_b64 exec, exec, s[6:7]
	s_mov_b64 s[6:7], 0
	global_store_byte v[2:3], v7, off
.LBB39_1955:
	s_and_b64 vcc, exec, s[6:7]
	s_cbranch_vccz .LBB39_1965
; %bb.1956:
	v_xor_b32_e32 v6, v4, v5
	v_ffbh_i32_e32 v1, v5
	v_ashrrev_i32_e32 v6, 31, v6
	v_add_u32_e32 v1, -1, v1
	v_add_u32_e32 v6, 32, v6
	v_min_u32_e32 v1, v1, v6
	v_lshlrev_b64 v[6:7], v1, v[4:5]
	v_min_u32_e32 v6, 1, v6
	v_or_b32_e32 v6, v7, v6
	v_cvt_f32_i32_e32 v6, v6
	v_sub_u32_e32 v1, 32, v1
	s_mov_b32 s6, 0x43f00000
	v_ldexp_f32 v1, v6, v1
	v_and_b32_e32 v7, 0x7fffffff, v1
	v_cmp_gt_u32_e32 vcc, s6, v7
                                        ; implicit-def: $vgpr6
	s_and_saveexec_b64 s[6:7], vcc
	s_xor_b64 s[6:7], exec, s[6:7]
	s_cbranch_execz .LBB39_1962
; %bb.1957:
	s_mov_b32 s8, 0x3c7fffff
	v_cmp_lt_u32_e32 vcc, s8, v7
                                        ; implicit-def: $vgpr6
	s_and_saveexec_b64 s[8:9], vcc
	s_xor_b64 s[8:9], exec, s[8:9]
; %bb.1958:
	v_bfe_u32 v6, v1, 20, 1
	s_mov_b32 s10, 0x407ffff
	v_add3_u32 v6, v1, v6, s10
	v_lshrrev_b32_e32 v7, 20, v6
	v_and_b32_e32 v6, 0xff00000, v6
	s_mov_b32 s10, 0x7f00000
	v_mov_b32_e32 v8, 0x7e
	v_cmp_ne_u32_e32 vcc, s10, v6
	s_nop 1
	v_cndmask_b32_e32 v6, v8, v7, vcc
; %bb.1959:
	s_andn2_saveexec_b64 s[8:9], s[8:9]
; %bb.1960:
	s_mov_b32 s10, 0x46800000
	v_add_f32_e64 v6, |v1|, s10
; %bb.1961:
	s_or_b64 exec, exec, s[8:9]
                                        ; implicit-def: $vgpr7
.LBB39_1962:
	s_andn2_saveexec_b64 s[6:7], s[6:7]
; %bb.1963:
	s_mov_b32 s8, 0x7f800000
	v_mov_b32_e32 v6, 0x7e
	v_mov_b32_e32 v8, 0x7f
	v_cmp_lt_u32_e32 vcc, s8, v7
	s_nop 1
	v_cndmask_b32_e32 v6, v6, v8, vcc
; %bb.1964:
	s_or_b64 exec, exec, s[6:7]
	v_lshrrev_b32_e32 v1, 24, v1
	s_movk_i32 s6, 0x80
	v_and_or_b32 v1, v1, s6, v6
	global_store_byte v[2:3], v1, off
.LBB39_1965:
	s_mov_b64 s[6:7], 0
.LBB39_1966:
	s_andn2_b64 vcc, exec, s[6:7]
	s_cbranch_vccnz .LBB39_1976
; %bb.1967:
	v_xor_b32_e32 v6, v4, v5
	v_ffbh_i32_e32 v1, v5
	v_ashrrev_i32_e32 v6, 31, v6
	v_add_u32_e32 v1, -1, v1
	v_add_u32_e32 v6, 32, v6
	v_min_u32_e32 v1, v1, v6
	v_lshlrev_b64 v[6:7], v1, v[4:5]
	v_min_u32_e32 v6, 1, v6
	v_or_b32_e32 v6, v7, v6
	v_cvt_f32_i32_e32 v6, v6
	v_sub_u32_e32 v1, 32, v1
	s_mov_b32 s6, 0x47800000
	v_ldexp_f32 v1, v6, v1
	v_and_b32_e32 v7, 0x7fffffff, v1
	v_cmp_gt_u32_e32 vcc, s6, v7
                                        ; implicit-def: $vgpr6
	s_and_saveexec_b64 s[6:7], vcc
	s_xor_b64 s[6:7], exec, s[6:7]
	s_cbranch_execz .LBB39_1973
; %bb.1968:
	s_mov_b32 s8, 0x387fffff
	v_cmp_lt_u32_e32 vcc, s8, v7
                                        ; implicit-def: $vgpr6
	s_and_saveexec_b64 s[8:9], vcc
	s_xor_b64 s[8:9], exec, s[8:9]
; %bb.1969:
	v_bfe_u32 v6, v1, 21, 1
	s_mov_b32 s10, 0x80fffff
	v_add3_u32 v6, v1, v6, s10
	v_lshrrev_b32_e32 v6, 21, v6
; %bb.1970:
	s_andn2_saveexec_b64 s[8:9], s[8:9]
; %bb.1971:
	s_mov_b32 s10, 0x43000000
	v_add_f32_e64 v6, |v1|, s10
; %bb.1972:
	s_or_b64 exec, exec, s[8:9]
                                        ; implicit-def: $vgpr7
.LBB39_1973:
	s_andn2_saveexec_b64 s[6:7], s[6:7]
; %bb.1974:
	s_mov_b32 s8, 0x7f800000
	v_mov_b32_e32 v6, 0x7c
	v_mov_b32_e32 v8, 0x7f
	v_cmp_lt_u32_e32 vcc, s8, v7
	s_nop 1
	v_cndmask_b32_e32 v6, v6, v8, vcc
; %bb.1975:
	s_or_b64 exec, exec, s[6:7]
	v_lshrrev_b32_e32 v1, 24, v1
	s_movk_i32 s6, 0x80
	v_and_or_b32 v1, v1, s6, v6
	global_store_byte v[2:3], v1, off
.LBB39_1976:
	s_mov_b64 s[6:7], 0
	s_mov_b64 s[8:9], -1
.LBB39_1977:
	s_andn2_b64 vcc, exec, s[6:7]
	s_mov_b64 s[6:7], 0
	s_cbranch_vccnz .LBB39_1984
; %bb.1978:
	s_cmp_gt_i32 s15, 14
	s_mov_b64 s[10:11], -1
	s_cbranch_scc0 .LBB39_1982
; %bb.1979:
	s_cmp_eq_u32 s15, 15
	s_mov_b64 s[0:1], -1
	s_cbranch_scc0 .LBB39_1981
; %bb.1980:
	v_xor_b32_e32 v6, v4, v5
	v_ffbh_i32_e32 v1, v5
	v_ashrrev_i32_e32 v6, 31, v6
	v_add_u32_e32 v1, -1, v1
	v_add_u32_e32 v6, 32, v6
	v_min_u32_e32 v1, v1, v6
	v_lshlrev_b64 v[6:7], v1, v[4:5]
	v_min_u32_e32 v6, 1, v6
	v_or_b32_e32 v6, v7, v6
	v_cvt_f32_i32_e32 v6, v6
	v_sub_u32_e32 v1, 32, v1
	s_movk_i32 s0, 0x7fff
	s_mov_b64 s[8:9], -1
	v_ldexp_f32 v1, v6, v1
	v_bfe_u32 v6, v1, 16, 1
	v_add3_u32 v1, v1, v6, s0
	global_store_short_d16_hi v[2:3], v1, off
	s_mov_b64 s[0:1], 0
.LBB39_1981:
	s_mov_b64 s[10:11], 0
.LBB39_1982:
	s_and_b64 vcc, exec, s[10:11]
	s_cbranch_vccz .LBB39_1984
; %bb.1983:
	s_cmp_lg_u32 s15, 11
	s_mov_b64 s[6:7], -1
	s_cselect_b64 s[0:1], -1, 0
.LBB39_1984:
	s_and_b64 vcc, exec, s[0:1]
	s_cbranch_vccnz .LBB39_2120
; %bb.1985:
	s_andn2_b64 vcc, exec, s[6:7]
	s_cbranch_vccnz .LBB39_1987
.LBB39_1986:
	v_cmp_ne_u64_e32 vcc, -1, v[14:15]
	s_mov_b64 s[8:9], -1
	s_nop 0
	v_cndmask_b32_e64 v1, 0, 1, vcc
	global_store_byte v[2:3], v1, off
.LBB39_1987:
	s_mov_b64 s[0:1], 0
	s_branch .LBB39_1989
.LBB39_1988:
	s_mov_b64 s[0:1], -1
	s_mov_b64 s[8:9], 0
.LBB39_1989:
	s_and_b64 vcc, exec, s[0:1]
	s_cbranch_vccz .LBB39_2028
; %bb.1990:
	s_and_b32 s6, 0xffff, s14
	s_cmp_lt_i32 s6, 5
	s_mov_b64 s[0:1], -1
	s_cbranch_scc1 .LBB39_2011
; %bb.1991:
	s_cmp_lt_i32 s6, 8
	s_cbranch_scc1 .LBB39_2001
; %bb.1992:
	s_cmp_lt_i32 s6, 9
	s_cbranch_scc1 .LBB39_1998
; %bb.1993:
	s_cmp_gt_i32 s6, 9
	s_cbranch_scc0 .LBB39_1995
; %bb.1994:
	v_cvt_f64_i32_e32 v[6:7], v5
	v_ldexp_f64 v[6:7], v[6:7], 32
	v_cvt_f64_u32_e32 v[8:9], v4
	v_add_f64 v[6:7], v[6:7], v[8:9]
	v_mov_b32_e32 v8, 0
	v_mov_b32_e32 v9, v8
	global_store_dwordx4 v[2:3], v[6:9], off
	s_mov_b64 s[0:1], 0
.LBB39_1995:
	s_andn2_b64 vcc, exec, s[0:1]
	s_cbranch_vccnz .LBB39_1997
; %bb.1996:
	v_xor_b32_e32 v6, v4, v5
	v_ffbh_i32_e32 v1, v5
	v_ashrrev_i32_e32 v6, 31, v6
	v_add_u32_e32 v1, -1, v1
	v_add_u32_e32 v6, 32, v6
	v_min_u32_e32 v1, v1, v6
	v_lshlrev_b64 v[6:7], v1, v[4:5]
	v_min_u32_e32 v6, 1, v6
	v_or_b32_e32 v6, v7, v6
	v_cvt_f32_i32_e32 v6, v6
	v_sub_u32_e32 v1, 32, v1
	v_mov_b32_e32 v7, 0
	v_ldexp_f32 v6, v6, v1
	global_store_dwordx2 v[2:3], v[6:7], off
.LBB39_1997:
	s_mov_b64 s[0:1], 0
.LBB39_1998:
	s_andn2_b64 vcc, exec, s[0:1]
	s_cbranch_vccnz .LBB39_2000
; %bb.1999:
	v_xor_b32_e32 v6, v4, v5
	v_ffbh_i32_e32 v1, v5
	v_ashrrev_i32_e32 v6, 31, v6
	v_add_u32_e32 v1, -1, v1
	v_add_u32_e32 v6, 32, v6
	v_min_u32_e32 v1, v1, v6
	v_lshlrev_b64 v[6:7], v1, v[4:5]
	v_min_u32_e32 v6, 1, v6
	v_or_b32_e32 v6, v7, v6
	v_cvt_f32_i32_e32 v6, v6
	v_sub_u32_e32 v1, 32, v1
	v_ldexp_f32 v1, v6, v1
	v_cvt_f16_f32_e32 v1, v1
	global_store_dword v[2:3], v1, off
.LBB39_2000:
	s_mov_b64 s[0:1], 0
.LBB39_2001:
	s_andn2_b64 vcc, exec, s[0:1]
	s_cbranch_vccnz .LBB39_2010
; %bb.2002:
	s_cmp_lt_i32 s6, 6
	s_mov_b64 s[0:1], -1
	s_cbranch_scc1 .LBB39_2008
; %bb.2003:
	s_cmp_gt_i32 s6, 6
	s_cbranch_scc0 .LBB39_2005
; %bb.2004:
	v_cvt_f64_i32_e32 v[6:7], v5
	v_ldexp_f64 v[6:7], v[6:7], 32
	v_cvt_f64_u32_e32 v[8:9], v4
	v_add_f64 v[6:7], v[6:7], v[8:9]
	global_store_dwordx2 v[2:3], v[6:7], off
	s_mov_b64 s[0:1], 0
.LBB39_2005:
	s_andn2_b64 vcc, exec, s[0:1]
	s_cbranch_vccnz .LBB39_2007
; %bb.2006:
	v_xor_b32_e32 v6, v4, v5
	v_ffbh_i32_e32 v1, v5
	v_ashrrev_i32_e32 v6, 31, v6
	v_add_u32_e32 v1, -1, v1
	v_add_u32_e32 v6, 32, v6
	v_min_u32_e32 v1, v1, v6
	v_lshlrev_b64 v[6:7], v1, v[4:5]
	v_min_u32_e32 v6, 1, v6
	v_or_b32_e32 v6, v7, v6
	v_cvt_f32_i32_e32 v6, v6
	v_sub_u32_e32 v1, 32, v1
	v_ldexp_f32 v1, v6, v1
	global_store_dword v[2:3], v1, off
.LBB39_2007:
	s_mov_b64 s[0:1], 0
.LBB39_2008:
	s_andn2_b64 vcc, exec, s[0:1]
	s_cbranch_vccnz .LBB39_2010
; %bb.2009:
	v_xor_b32_e32 v6, v4, v5
	v_ffbh_i32_e32 v1, v5
	v_ashrrev_i32_e32 v6, 31, v6
	v_add_u32_e32 v1, -1, v1
	v_add_u32_e32 v6, 32, v6
	v_min_u32_e32 v1, v1, v6
	v_lshlrev_b64 v[6:7], v1, v[4:5]
	v_min_u32_e32 v6, 1, v6
	v_or_b32_e32 v6, v7, v6
	v_cvt_f32_i32_e32 v6, v6
	v_sub_u32_e32 v1, 32, v1
	v_ldexp_f32 v1, v6, v1
	v_cvt_f16_f32_e32 v1, v1
	global_store_short v[2:3], v1, off
.LBB39_2010:
	s_mov_b64 s[0:1], 0
.LBB39_2011:
	s_andn2_b64 vcc, exec, s[0:1]
	s_cbranch_vccnz .LBB39_2027
; %bb.2012:
	s_cmp_lt_i32 s6, 2
	s_mov_b64 s[0:1], -1
	s_cbranch_scc1 .LBB39_2022
; %bb.2013:
	s_cmp_lt_i32 s6, 3
	s_cbranch_scc1 .LBB39_2019
; %bb.2014:
	s_cmp_gt_i32 s6, 3
	s_cbranch_scc0 .LBB39_2016
; %bb.2015:
	global_store_dwordx2 v[2:3], v[4:5], off
	s_mov_b64 s[0:1], 0
.LBB39_2016:
	s_andn2_b64 vcc, exec, s[0:1]
	s_cbranch_vccnz .LBB39_2018
; %bb.2017:
	global_store_dword v[2:3], v4, off
.LBB39_2018:
	s_mov_b64 s[0:1], 0
.LBB39_2019:
	s_andn2_b64 vcc, exec, s[0:1]
	s_cbranch_vccnz .LBB39_2021
; %bb.2020:
	global_store_short v[2:3], v4, off
.LBB39_2021:
	s_mov_b64 s[0:1], 0
.LBB39_2022:
	s_andn2_b64 vcc, exec, s[0:1]
	s_cbranch_vccnz .LBB39_2027
; %bb.2023:
	s_cmp_gt_i32 s6, 0
	s_mov_b64 s[0:1], -1
	s_cbranch_scc0 .LBB39_2025
; %bb.2024:
	global_store_byte v[2:3], v4, off
	s_mov_b64 s[0:1], 0
.LBB39_2025:
	s_andn2_b64 vcc, exec, s[0:1]
	s_cbranch_vccnz .LBB39_2027
; %bb.2026:
	global_store_byte v[2:3], v4, off
.LBB39_2027:
	s_mov_b64 s[8:9], -1
.LBB39_2028:
	s_andn2_b64 vcc, exec, s[8:9]
	s_cbranch_vccnz .LBB39_2105
; %bb.2029:
	v_mov_b32_e32 v1, 0
	v_not_b32_e32 v3, v13
	v_not_b32_e32 v2, v12
	s_cmp_lt_i32 s14, 11
	v_lshl_add_u64 v[0:1], s[4:5], 0, v[0:1]
	s_cbranch_scc1 .LBB39_2106
; %bb.2030:
	s_and_b32 s12, 0xffff, s14
	s_mov_b64 s[6:7], -1
	s_mov_b64 s[4:5], 0
	s_cmp_gt_i32 s12, 25
	s_mov_b64 s[0:1], 0
	s_cbranch_scc0 .LBB39_2063
; %bb.2031:
	s_cmp_gt_i32 s12, 28
	s_cbranch_scc0 .LBB39_2047
; %bb.2032:
	s_cmp_gt_i32 s12, 43
	;; [unrolled: 3-line block ×3, first 2 shown]
	s_cbranch_scc0 .LBB39_2037
; %bb.2034:
	s_cmp_eq_u32 s12, 46
	s_mov_b64 s[0:1], -1
	s_cbranch_scc0 .LBB39_2036
; %bb.2035:
	v_xor_b32_e32 v5, v2, v3
	v_ffbh_i32_e32 v4, v3
	v_ashrrev_i32_e32 v5, 31, v5
	v_add_u32_e32 v4, -1, v4
	v_add_u32_e32 v5, 32, v5
	v_min_u32_e32 v6, v4, v5
	v_lshlrev_b64 v[4:5], v6, v[2:3]
	v_min_u32_e32 v4, 1, v4
	v_or_b32_e32 v4, v5, v4
	v_cvt_f32_i32_e32 v4, v4
	v_sub_u32_e32 v5, 32, v6
	s_movk_i32 s0, 0x7fff
	v_ldexp_f32 v4, v4, v5
	v_bfe_u32 v5, v4, 16, 1
	v_add3_u32 v4, v4, v5, s0
	v_lshrrev_b32_e32 v4, 16, v4
	global_store_dword v[0:1], v4, off
	s_mov_b64 s[0:1], 0
.LBB39_2036:
	s_mov_b64 s[6:7], 0
.LBB39_2037:
	s_and_b64 vcc, exec, s[6:7]
	s_cbranch_vccz .LBB39_2042
; %bb.2038:
	s_cmp_eq_u32 s12, 44
	s_mov_b64 s[0:1], -1
	s_cbranch_scc0 .LBB39_2042
; %bb.2039:
	v_xor_b32_e32 v5, v2, v3
	v_ffbh_i32_e32 v4, v3
	v_ashrrev_i32_e32 v5, 31, v5
	v_add_u32_e32 v4, -1, v4
	v_add_u32_e32 v5, 32, v5
	v_min_u32_e32 v6, v4, v5
	v_lshlrev_b64 v[4:5], v6, v[2:3]
	v_min_u32_e32 v4, 1, v4
	v_or_b32_e32 v4, v5, v4
	v_cvt_f32_i32_e32 v4, v4
	v_sub_u32_e32 v5, 32, v6
	s_movk_i32 s0, 0xff
	v_mov_b32_e32 v6, 0xff
	v_ldexp_f32 v4, v4, v5
	v_bfe_u32 v5, v4, 23, 8
	v_cmp_ne_u32_e32 vcc, s0, v5
	s_and_saveexec_b64 s[6:7], vcc
; %bb.2040:
	s_mov_b32 s0, 0x3fffff
	v_lshrrev_b32_e32 v6, 23, v4
	v_and_b32_e32 v7, 0x400000, v4
	v_and_or_b32 v4, v4, s0, v5
	v_cmp_ne_u32_e32 vcc, 0, v7
	v_cmp_ne_u32_e64 s[0:1], 0, v4
	s_and_b64 s[0:1], vcc, s[0:1]
	s_nop 0
	v_cndmask_b32_e64 v4, 0, 1, s[0:1]
	v_add_u32_e32 v6, v6, v4
; %bb.2041:
	s_or_b64 exec, exec, s[6:7]
	s_mov_b64 s[0:1], 0
	global_store_byte v[0:1], v6, off
.LBB39_2042:
	s_mov_b64 s[6:7], 0
.LBB39_2043:
	s_and_b64 vcc, exec, s[6:7]
	s_cbranch_vccz .LBB39_2046
; %bb.2044:
	s_cmp_eq_u32 s12, 29
	s_mov_b64 s[0:1], -1
	s_cbranch_scc0 .LBB39_2046
; %bb.2045:
	global_store_dwordx2 v[0:1], v[2:3], off
	s_mov_b64 s[0:1], 0
.LBB39_2046:
	s_mov_b64 s[6:7], 0
.LBB39_2047:
	s_and_b64 vcc, exec, s[6:7]
	s_cbranch_vccz .LBB39_2062
; %bb.2048:
	s_cmp_lt_i32 s12, 27
	s_mov_b64 s[6:7], -1
	s_cbranch_scc1 .LBB39_2054
; %bb.2049:
	s_cmp_gt_i32 s12, 27
	s_cbranch_scc0 .LBB39_2051
; %bb.2050:
	global_store_dword v[0:1], v2, off
	s_mov_b64 s[6:7], 0
.LBB39_2051:
	s_andn2_b64 vcc, exec, s[6:7]
	s_cbranch_vccnz .LBB39_2053
; %bb.2052:
	global_store_short v[0:1], v2, off
.LBB39_2053:
	s_mov_b64 s[6:7], 0
.LBB39_2054:
	s_andn2_b64 vcc, exec, s[6:7]
	s_cbranch_vccnz .LBB39_2062
; %bb.2055:
	v_xor_b32_e32 v5, v2, v3
	v_ffbh_i32_e32 v4, v3
	v_ashrrev_i32_e32 v5, 31, v5
	v_add_u32_e32 v4, -1, v4
	v_add_u32_e32 v5, 32, v5
	v_min_u32_e32 v6, v4, v5
	v_lshlrev_b64 v[4:5], v6, v[2:3]
	v_min_u32_e32 v4, 1, v4
	v_or_b32_e32 v4, v5, v4
	v_cvt_f32_i32_e32 v4, v4
	v_sub_u32_e32 v5, 32, v6
	s_mov_b32 s6, 0x43800000
	v_mov_b32_e32 v6, 0x80
	v_ldexp_f32 v4, v4, v5
	v_and_b32_e32 v5, 0x7fffffff, v4
	v_cmp_gt_u32_e32 vcc, s6, v5
	s_and_saveexec_b64 s[6:7], vcc
	s_cbranch_execz .LBB39_2061
; %bb.2056:
	s_mov_b32 s8, 0x3bffffff
	v_cmp_lt_u32_e32 vcc, s8, v5
	s_mov_b64 s[8:9], 0
                                        ; implicit-def: $vgpr5
	s_and_saveexec_b64 s[10:11], vcc
	s_xor_b64 s[10:11], exec, s[10:11]
	s_cbranch_execz .LBB39_2123
; %bb.2057:
	v_bfe_u32 v5, v4, 20, 1
	s_mov_b32 s13, 0x487ffff
	v_add3_u32 v5, v4, v5, s13
	s_mov_b64 s[8:9], exec
	v_lshrrev_b32_e32 v5, 20, v5
	s_andn2_saveexec_b64 s[10:11], s[10:11]
	s_cbranch_execnz .LBB39_2124
.LBB39_2058:
	s_or_b64 exec, exec, s[10:11]
	v_mov_b32_e32 v6, 0
	s_and_saveexec_b64 s[10:11], s[8:9]
.LBB39_2059:
	v_lshrrev_b32_e32 v4, 24, v4
	s_movk_i32 s8, 0x80
	v_and_or_b32 v6, v4, s8, v5
.LBB39_2060:
	s_or_b64 exec, exec, s[10:11]
.LBB39_2061:
	s_or_b64 exec, exec, s[6:7]
	global_store_byte v[0:1], v6, off
.LBB39_2062:
	s_mov_b64 s[6:7], 0
.LBB39_2063:
	s_and_b64 vcc, exec, s[6:7]
	s_cbranch_vccz .LBB39_2103
; %bb.2064:
	s_cmp_gt_i32 s12, 22
	s_mov_b64 s[4:5], -1
	s_cbranch_scc0 .LBB39_2096
; %bb.2065:
	s_cmp_lt_i32 s12, 24
	s_cbranch_scc1 .LBB39_2085
; %bb.2066:
	s_cmp_gt_i32 s12, 24
	s_cbranch_scc0 .LBB39_2074
; %bb.2067:
	v_xor_b32_e32 v5, v2, v3
	v_ffbh_i32_e32 v4, v3
	v_ashrrev_i32_e32 v5, 31, v5
	v_add_u32_e32 v4, -1, v4
	v_add_u32_e32 v5, 32, v5
	v_min_u32_e32 v6, v4, v5
	v_lshlrev_b64 v[4:5], v6, v[2:3]
	v_min_u32_e32 v4, 1, v4
	v_or_b32_e32 v4, v5, v4
	v_cvt_f32_i32_e32 v4, v4
	v_sub_u32_e32 v5, 32, v6
	s_mov_b32 s4, 0x47800000
	v_mov_b32_e32 v6, 0x80
	v_ldexp_f32 v4, v4, v5
	v_and_b32_e32 v5, 0x7fffffff, v4
	v_cmp_gt_u32_e32 vcc, s4, v5
	s_and_saveexec_b64 s[4:5], vcc
	s_cbranch_execz .LBB39_2073
; %bb.2068:
	s_mov_b32 s6, 0x37ffffff
	v_cmp_lt_u32_e32 vcc, s6, v5
	s_mov_b64 s[6:7], 0
                                        ; implicit-def: $vgpr5
	s_and_saveexec_b64 s[8:9], vcc
	s_xor_b64 s[8:9], exec, s[8:9]
	s_cbranch_execz .LBB39_2126
; %bb.2069:
	v_bfe_u32 v5, v4, 21, 1
	s_mov_b32 s10, 0x88fffff
	v_add3_u32 v5, v4, v5, s10
	s_mov_b64 s[6:7], exec
	v_lshrrev_b32_e32 v5, 21, v5
	s_andn2_saveexec_b64 s[8:9], s[8:9]
	s_cbranch_execnz .LBB39_2127
.LBB39_2070:
	s_or_b64 exec, exec, s[8:9]
	v_mov_b32_e32 v6, 0
	s_and_saveexec_b64 s[8:9], s[6:7]
.LBB39_2071:
	v_lshrrev_b32_e32 v4, 24, v4
	s_movk_i32 s6, 0x80
	v_and_or_b32 v6, v4, s6, v5
.LBB39_2072:
	s_or_b64 exec, exec, s[8:9]
.LBB39_2073:
	s_or_b64 exec, exec, s[4:5]
	s_mov_b64 s[4:5], 0
	global_store_byte v[0:1], v6, off
.LBB39_2074:
	s_and_b64 vcc, exec, s[4:5]
	s_cbranch_vccz .LBB39_2084
; %bb.2075:
	v_xor_b32_e32 v5, v2, v3
	v_ffbh_i32_e32 v4, v3
	v_ashrrev_i32_e32 v5, 31, v5
	v_add_u32_e32 v4, -1, v4
	v_add_u32_e32 v5, 32, v5
	v_min_u32_e32 v6, v4, v5
	v_lshlrev_b64 v[4:5], v6, v[2:3]
	v_min_u32_e32 v4, 1, v4
	v_or_b32_e32 v4, v5, v4
	v_cvt_f32_i32_e32 v4, v4
	v_sub_u32_e32 v5, 32, v6
	s_mov_b32 s4, 0x43f00000
	v_ldexp_f32 v4, v4, v5
	v_and_b32_e32 v6, 0x7fffffff, v4
	v_cmp_gt_u32_e32 vcc, s4, v6
                                        ; implicit-def: $vgpr5
	s_and_saveexec_b64 s[4:5], vcc
	s_xor_b64 s[4:5], exec, s[4:5]
	s_cbranch_execz .LBB39_2081
; %bb.2076:
	s_mov_b32 s6, 0x3c7fffff
	v_cmp_lt_u32_e32 vcc, s6, v6
                                        ; implicit-def: $vgpr5
	s_and_saveexec_b64 s[6:7], vcc
	s_xor_b64 s[6:7], exec, s[6:7]
; %bb.2077:
	v_bfe_u32 v5, v4, 20, 1
	s_mov_b32 s8, 0x407ffff
	v_add3_u32 v5, v4, v5, s8
	v_lshrrev_b32_e32 v6, 20, v5
	v_and_b32_e32 v5, 0xff00000, v5
	s_mov_b32 s8, 0x7f00000
	v_mov_b32_e32 v7, 0x7e
	v_cmp_ne_u32_e32 vcc, s8, v5
	s_nop 1
	v_cndmask_b32_e32 v5, v7, v6, vcc
; %bb.2078:
	s_andn2_saveexec_b64 s[6:7], s[6:7]
; %bb.2079:
	s_mov_b32 s8, 0x46800000
	v_add_f32_e64 v5, |v4|, s8
; %bb.2080:
	s_or_b64 exec, exec, s[6:7]
                                        ; implicit-def: $vgpr6
.LBB39_2081:
	s_andn2_saveexec_b64 s[4:5], s[4:5]
; %bb.2082:
	s_mov_b32 s6, 0x7f800000
	v_mov_b32_e32 v5, 0x7e
	v_mov_b32_e32 v7, 0x7f
	v_cmp_lt_u32_e32 vcc, s6, v6
	s_nop 1
	v_cndmask_b32_e32 v5, v5, v7, vcc
; %bb.2083:
	s_or_b64 exec, exec, s[4:5]
	v_lshrrev_b32_e32 v4, 24, v4
	s_movk_i32 s4, 0x80
	v_and_or_b32 v4, v4, s4, v5
	global_store_byte v[0:1], v4, off
.LBB39_2084:
	s_mov_b64 s[4:5], 0
.LBB39_2085:
	s_andn2_b64 vcc, exec, s[4:5]
	s_cbranch_vccnz .LBB39_2095
; %bb.2086:
	v_xor_b32_e32 v5, v2, v3
	v_ffbh_i32_e32 v4, v3
	v_ashrrev_i32_e32 v5, 31, v5
	v_add_u32_e32 v4, -1, v4
	v_add_u32_e32 v5, 32, v5
	v_min_u32_e32 v6, v4, v5
	v_lshlrev_b64 v[4:5], v6, v[2:3]
	v_min_u32_e32 v4, 1, v4
	v_or_b32_e32 v4, v5, v4
	v_cvt_f32_i32_e32 v4, v4
	v_sub_u32_e32 v5, 32, v6
	s_mov_b32 s4, 0x47800000
	v_ldexp_f32 v4, v4, v5
	v_and_b32_e32 v6, 0x7fffffff, v4
	v_cmp_gt_u32_e32 vcc, s4, v6
                                        ; implicit-def: $vgpr5
	s_and_saveexec_b64 s[4:5], vcc
	s_xor_b64 s[4:5], exec, s[4:5]
	s_cbranch_execz .LBB39_2092
; %bb.2087:
	s_mov_b32 s6, 0x387fffff
	v_cmp_lt_u32_e32 vcc, s6, v6
                                        ; implicit-def: $vgpr5
	s_and_saveexec_b64 s[6:7], vcc
	s_xor_b64 s[6:7], exec, s[6:7]
; %bb.2088:
	v_bfe_u32 v5, v4, 21, 1
	s_mov_b32 s8, 0x80fffff
	v_add3_u32 v5, v4, v5, s8
	v_lshrrev_b32_e32 v5, 21, v5
; %bb.2089:
	s_andn2_saveexec_b64 s[6:7], s[6:7]
; %bb.2090:
	s_mov_b32 s8, 0x43000000
	v_add_f32_e64 v5, |v4|, s8
; %bb.2091:
	s_or_b64 exec, exec, s[6:7]
                                        ; implicit-def: $vgpr6
.LBB39_2092:
	s_andn2_saveexec_b64 s[4:5], s[4:5]
; %bb.2093:
	s_mov_b32 s6, 0x7f800000
	v_mov_b32_e32 v5, 0x7c
	v_mov_b32_e32 v7, 0x7f
	v_cmp_lt_u32_e32 vcc, s6, v6
	s_nop 1
	v_cndmask_b32_e32 v5, v5, v7, vcc
; %bb.2094:
	s_or_b64 exec, exec, s[4:5]
	v_lshrrev_b32_e32 v4, 24, v4
	s_movk_i32 s4, 0x80
	v_and_or_b32 v4, v4, s4, v5
	global_store_byte v[0:1], v4, off
.LBB39_2095:
	s_mov_b64 s[4:5], 0
.LBB39_2096:
	s_andn2_b64 vcc, exec, s[4:5]
	s_mov_b64 s[4:5], 0
	s_cbranch_vccnz .LBB39_2103
; %bb.2097:
	s_cmp_gt_i32 s12, 14
	s_mov_b64 s[6:7], -1
	s_cbranch_scc0 .LBB39_2101
; %bb.2098:
	s_cmp_eq_u32 s12, 15
	s_mov_b64 s[0:1], -1
	s_cbranch_scc0 .LBB39_2100
; %bb.2099:
	v_xor_b32_e32 v5, v2, v3
	v_ffbh_i32_e32 v4, v3
	v_ashrrev_i32_e32 v5, 31, v5
	v_add_u32_e32 v4, -1, v4
	v_add_u32_e32 v5, 32, v5
	v_min_u32_e32 v6, v4, v5
	v_lshlrev_b64 v[4:5], v6, v[2:3]
	v_min_u32_e32 v4, 1, v4
	v_or_b32_e32 v4, v5, v4
	v_cvt_f32_i32_e32 v4, v4
	v_sub_u32_e32 v5, 32, v6
	s_movk_i32 s0, 0x7fff
	v_ldexp_f32 v4, v4, v5
	v_bfe_u32 v5, v4, 16, 1
	v_add3_u32 v4, v4, v5, s0
	global_store_short_d16_hi v[0:1], v4, off
	s_mov_b64 s[0:1], 0
.LBB39_2100:
	s_mov_b64 s[6:7], 0
.LBB39_2101:
	s_and_b64 vcc, exec, s[6:7]
	s_cbranch_vccz .LBB39_2103
; %bb.2102:
	s_cmp_lg_u32 s12, 11
	s_mov_b64 s[4:5], -1
	s_cselect_b64 s[0:1], -1, 0
.LBB39_2103:
	s_and_b64 vcc, exec, s[0:1]
	s_cbranch_vccnz .LBB39_2125
.LBB39_2104:
	s_mov_b64 s[0:1], 0
	s_branch .LBB39_1514
.LBB39_2105:
	s_mov_b64 s[0:1], 0
                                        ; implicit-def: $vgpr0_vgpr1
                                        ; implicit-def: $sgpr14
                                        ; implicit-def: $vgpr2_vgpr3
	s_branch .LBB39_1513
.LBB39_2106:
	s_mov_b64 s[4:5], 0
	s_mov_b64 s[0:1], -1
	s_branch .LBB39_1514
.LBB39_2107:
	s_trap 2
	s_or_b64 s[2:3], s[2:3], exec
	s_cbranch_execz .LBB39_1620
	s_branch .LBB39_1621
.LBB39_2108:
	s_andn2_saveexec_b64 s[12:13], s[12:13]
	s_cbranch_execz .LBB39_1700
.LBB39_2109:
	s_mov_b32 s17, 0x46000000
	v_add_f32_e64 v3, |v1|, s17
	v_and_b32_e32 v3, 0xff, v3
	v_cmp_ne_u32_e32 vcc, 0, v3
	s_andn2_b64 s[10:11], s[10:11], exec
	s_and_b64 s[18:19], vcc, exec
	s_or_b64 s[10:11], s[10:11], s[18:19]
	s_or_b64 exec, exec, s[12:13]
	v_mov_b32_e32 v5, 0
	s_and_saveexec_b64 s[12:13], s[10:11]
	s_cbranch_execnz .LBB39_1701
	s_branch .LBB39_1702
.LBB39_2110:
	s_trap 2
	s_or_b64 s[2:3], s[2:3], exec
	s_cbranch_execz .LBB39_1748
	s_branch .LBB39_1749
.LBB39_2111:
	s_andn2_saveexec_b64 s[10:11], s[10:11]
	s_cbranch_execz .LBB39_1713
.LBB39_2112:
	s_mov_b32 s12, 0x42800000
	v_add_f32_e64 v3, |v1|, s12
	v_and_b32_e32 v3, 0xff, v3
	v_cmp_ne_u32_e32 vcc, 0, v3
	s_andn2_b64 s[8:9], s[8:9], exec
	s_and_b64 s[12:13], vcc, exec
	s_or_b64 s[8:9], s[8:9], s[12:13]
	s_or_b64 exec, exec, s[10:11]
	v_mov_b32_e32 v5, 0
	s_and_saveexec_b64 s[10:11], s[8:9]
	s_cbranch_execnz .LBB39_1714
	s_branch .LBB39_1715
.LBB39_2113:
	s_andn2_saveexec_b64 s[12:13], s[12:13]
	s_cbranch_execz .LBB39_1819
.LBB39_2114:
	s_mov_b32 s16, 0x46000000
	v_add_f32_e64 v3, |v1|, s16
	v_and_b32_e32 v3, 0xff, v3
	v_cmp_ne_u32_e32 vcc, 0, v3
	s_andn2_b64 s[10:11], s[10:11], exec
	s_and_b64 s[16:17], vcc, exec
	s_or_b64 s[10:11], s[10:11], s[16:17]
	s_or_b64 exec, exec, s[12:13]
	v_mov_b32_e32 v8, 0
	s_and_saveexec_b64 s[12:13], s[10:11]
	s_cbranch_execnz .LBB39_1820
	s_branch .LBB39_1821
.LBB39_2115:
	s_trap 2
	s_or_b64 s[2:3], s[2:3], exec
	s_cbranch_execz .LBB39_1867
	s_branch .LBB39_1868
.LBB39_2116:
	s_andn2_saveexec_b64 s[10:11], s[10:11]
	s_cbranch_execz .LBB39_1832
.LBB39_2117:
	s_mov_b32 s12, 0x42800000
	v_add_f32_e64 v3, |v1|, s12
	v_and_b32_e32 v3, 0xff, v3
	v_cmp_ne_u32_e32 vcc, 0, v3
	s_andn2_b64 s[8:9], s[8:9], exec
	s_and_b64 s[12:13], vcc, exec
	s_or_b64 s[8:9], s[8:9], s[12:13]
	s_or_b64 exec, exec, s[10:11]
	v_mov_b32_e32 v8, 0
	s_and_saveexec_b64 s[10:11], s[8:9]
	s_cbranch_execnz .LBB39_1833
	s_branch .LBB39_1834
.LBB39_2118:
	s_andn2_saveexec_b64 s[12:13], s[12:13]
	s_cbranch_execz .LBB39_1938
.LBB39_2119:
	s_mov_b32 s16, 0x46000000
	v_add_f32_e64 v6, |v1|, s16
	v_and_b32_e32 v6, 0xff, v6
	v_cmp_ne_u32_e32 vcc, 0, v6
	s_andn2_b64 s[10:11], s[10:11], exec
	s_and_b64 s[16:17], vcc, exec
	s_or_b64 s[10:11], s[10:11], s[16:17]
	s_or_b64 exec, exec, s[12:13]
	v_mov_b32_e32 v7, 0
	s_and_saveexec_b64 s[12:13], s[10:11]
	s_cbranch_execnz .LBB39_1939
	s_branch .LBB39_1940
.LBB39_2120:
	s_trap 2
	s_or_b64 s[2:3], s[2:3], exec
	s_cbranch_execz .LBB39_1986
	s_branch .LBB39_1987
.LBB39_2121:
	s_andn2_saveexec_b64 s[10:11], s[10:11]
	s_cbranch_execz .LBB39_1951
.LBB39_2122:
	s_mov_b32 s12, 0x42800000
	v_add_f32_e64 v6, |v1|, s12
	v_and_b32_e32 v6, 0xff, v6
	v_cmp_ne_u32_e32 vcc, 0, v6
	s_andn2_b64 s[8:9], s[8:9], exec
	s_and_b64 s[12:13], vcc, exec
	s_or_b64 s[8:9], s[8:9], s[12:13]
	s_or_b64 exec, exec, s[10:11]
	v_mov_b32_e32 v7, 0
	s_and_saveexec_b64 s[10:11], s[8:9]
	s_cbranch_execnz .LBB39_1952
	s_branch .LBB39_1953
.LBB39_2123:
	s_andn2_saveexec_b64 s[10:11], s[10:11]
	s_cbranch_execz .LBB39_2058
.LBB39_2124:
	s_mov_b32 s13, 0x46000000
	v_add_f32_e64 v5, |v4|, s13
	v_and_b32_e32 v5, 0xff, v5
	v_cmp_ne_u32_e32 vcc, 0, v5
	s_andn2_b64 s[8:9], s[8:9], exec
	s_and_b64 s[16:17], vcc, exec
	s_or_b64 s[8:9], s[8:9], s[16:17]
	s_or_b64 exec, exec, s[10:11]
	v_mov_b32_e32 v6, 0
	s_and_saveexec_b64 s[10:11], s[8:9]
	s_cbranch_execnz .LBB39_2059
	s_branch .LBB39_2060
.LBB39_2125:
	s_mov_b64 s[4:5], 0
	s_or_b64 s[2:3], s[2:3], exec
	s_trap 2
	s_branch .LBB39_2104
.LBB39_2126:
	s_andn2_saveexec_b64 s[8:9], s[8:9]
	s_cbranch_execz .LBB39_2070
.LBB39_2127:
	s_mov_b32 s10, 0x42800000
	v_add_f32_e64 v5, |v4|, s10
	v_and_b32_e32 v5, 0xff, v5
	v_cmp_ne_u32_e32 vcc, 0, v5
	s_andn2_b64 s[6:7], s[6:7], exec
	s_and_b64 s[10:11], vcc, exec
	s_or_b64 s[6:7], s[6:7], s[10:11]
	s_or_b64 exec, exec, s[8:9]
	v_mov_b32_e32 v6, 0
	s_and_saveexec_b64 s[8:9], s[6:7]
	s_cbranch_execnz .LBB39_2071
	s_branch .LBB39_2072
	.section	.rodata,"a",@progbits
	.p2align	6, 0x0
	.amdhsa_kernel _ZN2at6native32elementwise_kernel_manual_unrollILi128ELi4EZNS0_15gpu_kernel_implIZZZNS0_23bitwise_not_kernel_cudaERNS_18TensorIteratorBaseEENKUlvE_clEvENKUlvE2_clEvEUllE_EEvS4_RKT_EUlibE0_EEviT1_
		.amdhsa_group_segment_fixed_size 0
		.amdhsa_private_segment_fixed_size 0
		.amdhsa_kernarg_size 360
		.amdhsa_user_sgpr_count 2
		.amdhsa_user_sgpr_dispatch_ptr 0
		.amdhsa_user_sgpr_queue_ptr 0
		.amdhsa_user_sgpr_kernarg_segment_ptr 1
		.amdhsa_user_sgpr_dispatch_id 0
		.amdhsa_user_sgpr_kernarg_preload_length 0
		.amdhsa_user_sgpr_kernarg_preload_offset 0
		.amdhsa_user_sgpr_private_segment_size 0
		.amdhsa_uses_dynamic_stack 0
		.amdhsa_enable_private_segment 0
		.amdhsa_system_sgpr_workgroup_id_x 1
		.amdhsa_system_sgpr_workgroup_id_y 0
		.amdhsa_system_sgpr_workgroup_id_z 0
		.amdhsa_system_sgpr_workgroup_info 0
		.amdhsa_system_vgpr_workitem_id 0
		.amdhsa_next_free_vgpr 22
		.amdhsa_next_free_sgpr 78
		.amdhsa_accum_offset 24
		.amdhsa_reserve_vcc 1
		.amdhsa_float_round_mode_32 0
		.amdhsa_float_round_mode_16_64 0
		.amdhsa_float_denorm_mode_32 3
		.amdhsa_float_denorm_mode_16_64 3
		.amdhsa_dx10_clamp 1
		.amdhsa_ieee_mode 1
		.amdhsa_fp16_overflow 0
		.amdhsa_tg_split 0
		.amdhsa_exception_fp_ieee_invalid_op 0
		.amdhsa_exception_fp_denorm_src 0
		.amdhsa_exception_fp_ieee_div_zero 0
		.amdhsa_exception_fp_ieee_overflow 0
		.amdhsa_exception_fp_ieee_underflow 0
		.amdhsa_exception_fp_ieee_inexact 0
		.amdhsa_exception_int_div_zero 0
	.end_amdhsa_kernel
	.section	.text._ZN2at6native32elementwise_kernel_manual_unrollILi128ELi4EZNS0_15gpu_kernel_implIZZZNS0_23bitwise_not_kernel_cudaERNS_18TensorIteratorBaseEENKUlvE_clEvENKUlvE2_clEvEUllE_EEvS4_RKT_EUlibE0_EEviT1_,"axG",@progbits,_ZN2at6native32elementwise_kernel_manual_unrollILi128ELi4EZNS0_15gpu_kernel_implIZZZNS0_23bitwise_not_kernel_cudaERNS_18TensorIteratorBaseEENKUlvE_clEvENKUlvE2_clEvEUllE_EEvS4_RKT_EUlibE0_EEviT1_,comdat
.Lfunc_end39:
	.size	_ZN2at6native32elementwise_kernel_manual_unrollILi128ELi4EZNS0_15gpu_kernel_implIZZZNS0_23bitwise_not_kernel_cudaERNS_18TensorIteratorBaseEENKUlvE_clEvENKUlvE2_clEvEUllE_EEvS4_RKT_EUlibE0_EEviT1_, .Lfunc_end39-_ZN2at6native32elementwise_kernel_manual_unrollILi128ELi4EZNS0_15gpu_kernel_implIZZZNS0_23bitwise_not_kernel_cudaERNS_18TensorIteratorBaseEENKUlvE_clEvENKUlvE2_clEvEUllE_EEvS4_RKT_EUlibE0_EEviT1_
                                        ; -- End function
	.set _ZN2at6native32elementwise_kernel_manual_unrollILi128ELi4EZNS0_15gpu_kernel_implIZZZNS0_23bitwise_not_kernel_cudaERNS_18TensorIteratorBaseEENKUlvE_clEvENKUlvE2_clEvEUllE_EEvS4_RKT_EUlibE0_EEviT1_.num_vgpr, 22
	.set _ZN2at6native32elementwise_kernel_manual_unrollILi128ELi4EZNS0_15gpu_kernel_implIZZZNS0_23bitwise_not_kernel_cudaERNS_18TensorIteratorBaseEENKUlvE_clEvENKUlvE2_clEvEUllE_EEvS4_RKT_EUlibE0_EEviT1_.num_agpr, 0
	.set _ZN2at6native32elementwise_kernel_manual_unrollILi128ELi4EZNS0_15gpu_kernel_implIZZZNS0_23bitwise_not_kernel_cudaERNS_18TensorIteratorBaseEENKUlvE_clEvENKUlvE2_clEvEUllE_EEvS4_RKT_EUlibE0_EEviT1_.numbered_sgpr, 78
	.set _ZN2at6native32elementwise_kernel_manual_unrollILi128ELi4EZNS0_15gpu_kernel_implIZZZNS0_23bitwise_not_kernel_cudaERNS_18TensorIteratorBaseEENKUlvE_clEvENKUlvE2_clEvEUllE_EEvS4_RKT_EUlibE0_EEviT1_.num_named_barrier, 0
	.set _ZN2at6native32elementwise_kernel_manual_unrollILi128ELi4EZNS0_15gpu_kernel_implIZZZNS0_23bitwise_not_kernel_cudaERNS_18TensorIteratorBaseEENKUlvE_clEvENKUlvE2_clEvEUllE_EEvS4_RKT_EUlibE0_EEviT1_.private_seg_size, 0
	.set _ZN2at6native32elementwise_kernel_manual_unrollILi128ELi4EZNS0_15gpu_kernel_implIZZZNS0_23bitwise_not_kernel_cudaERNS_18TensorIteratorBaseEENKUlvE_clEvENKUlvE2_clEvEUllE_EEvS4_RKT_EUlibE0_EEviT1_.uses_vcc, 1
	.set _ZN2at6native32elementwise_kernel_manual_unrollILi128ELi4EZNS0_15gpu_kernel_implIZZZNS0_23bitwise_not_kernel_cudaERNS_18TensorIteratorBaseEENKUlvE_clEvENKUlvE2_clEvEUllE_EEvS4_RKT_EUlibE0_EEviT1_.uses_flat_scratch, 0
	.set _ZN2at6native32elementwise_kernel_manual_unrollILi128ELi4EZNS0_15gpu_kernel_implIZZZNS0_23bitwise_not_kernel_cudaERNS_18TensorIteratorBaseEENKUlvE_clEvENKUlvE2_clEvEUllE_EEvS4_RKT_EUlibE0_EEviT1_.has_dyn_sized_stack, 0
	.set _ZN2at6native32elementwise_kernel_manual_unrollILi128ELi4EZNS0_15gpu_kernel_implIZZZNS0_23bitwise_not_kernel_cudaERNS_18TensorIteratorBaseEENKUlvE_clEvENKUlvE2_clEvEUllE_EEvS4_RKT_EUlibE0_EEviT1_.has_recursion, 0
	.set _ZN2at6native32elementwise_kernel_manual_unrollILi128ELi4EZNS0_15gpu_kernel_implIZZZNS0_23bitwise_not_kernel_cudaERNS_18TensorIteratorBaseEENKUlvE_clEvENKUlvE2_clEvEUllE_EEvS4_RKT_EUlibE0_EEviT1_.has_indirect_call, 0
	.section	.AMDGPU.csdata,"",@progbits
; Kernel info:
; codeLenInByte = 46300
; TotalNumSgprs: 84
; NumVgprs: 22
; NumAgprs: 0
; TotalNumVgprs: 22
; ScratchSize: 0
; MemoryBound: 1
; FloatMode: 240
; IeeeMode: 1
; LDSByteSize: 0 bytes/workgroup (compile time only)
; SGPRBlocks: 10
; VGPRBlocks: 2
; NumSGPRsForWavesPerEU: 84
; NumVGPRsForWavesPerEU: 22
; AccumOffset: 24
; Occupancy: 8
; WaveLimiterHint : 1
; COMPUTE_PGM_RSRC2:SCRATCH_EN: 0
; COMPUTE_PGM_RSRC2:USER_SGPR: 2
; COMPUTE_PGM_RSRC2:TRAP_HANDLER: 0
; COMPUTE_PGM_RSRC2:TGID_X_EN: 1
; COMPUTE_PGM_RSRC2:TGID_Y_EN: 0
; COMPUTE_PGM_RSRC2:TGID_Z_EN: 0
; COMPUTE_PGM_RSRC2:TIDIG_COMP_CNT: 0
; COMPUTE_PGM_RSRC3_GFX90A:ACCUM_OFFSET: 5
; COMPUTE_PGM_RSRC3_GFX90A:TG_SPLIT: 0
	.section	.text._ZN2at6native29vectorized_elementwise_kernelILi16EZZZNS0_23bitwise_not_kernel_cudaERNS_18TensorIteratorBaseEENKUlvE_clEvENKUlvE3_clEvEUlsE_St5arrayIPcLm2EEEEviT0_T1_,"axG",@progbits,_ZN2at6native29vectorized_elementwise_kernelILi16EZZZNS0_23bitwise_not_kernel_cudaERNS_18TensorIteratorBaseEENKUlvE_clEvENKUlvE3_clEvEUlsE_St5arrayIPcLm2EEEEviT0_T1_,comdat
	.globl	_ZN2at6native29vectorized_elementwise_kernelILi16EZZZNS0_23bitwise_not_kernel_cudaERNS_18TensorIteratorBaseEENKUlvE_clEvENKUlvE3_clEvEUlsE_St5arrayIPcLm2EEEEviT0_T1_ ; -- Begin function _ZN2at6native29vectorized_elementwise_kernelILi16EZZZNS0_23bitwise_not_kernel_cudaERNS_18TensorIteratorBaseEENKUlvE_clEvENKUlvE3_clEvEUlsE_St5arrayIPcLm2EEEEviT0_T1_
	.p2align	8
	.type	_ZN2at6native29vectorized_elementwise_kernelILi16EZZZNS0_23bitwise_not_kernel_cudaERNS_18TensorIteratorBaseEENKUlvE_clEvENKUlvE3_clEvEUlsE_St5arrayIPcLm2EEEEviT0_T1_,@function
_ZN2at6native29vectorized_elementwise_kernelILi16EZZZNS0_23bitwise_not_kernel_cudaERNS_18TensorIteratorBaseEENKUlvE_clEvENKUlvE3_clEvEUlsE_St5arrayIPcLm2EEEEviT0_T1_: ; @_ZN2at6native29vectorized_elementwise_kernelILi16EZZZNS0_23bitwise_not_kernel_cudaERNS_18TensorIteratorBaseEENKUlvE_clEvENKUlvE3_clEvEUlsE_St5arrayIPcLm2EEEEviT0_T1_
; %bb.0:
	s_load_dword s3, s[0:1], 0x0
	s_load_dwordx4 s[4:7], s[0:1], 0x8
	s_lshl_b32 s2, s2, 11
	s_mov_b64 s[0:1], -1
	s_waitcnt lgkmcnt(0)
	s_sub_i32 s10, s3, s2
	s_cmpk_gt_i32 s10, 0x7ff
	s_cbranch_scc0 .LBB40_2
; %bb.1:
	s_ashr_i32 s3, s2, 31
	s_lshl_b64 s[0:1], s[2:3], 1
	s_add_u32 s8, s6, s0
	s_addc_u32 s9, s7, s1
	v_lshlrev_b32_e32 v1, 4, v0
	global_load_dwordx4 v[2:5], v1, s[8:9]
	v_mov_b32_e32 v6, -1
	s_mov_b32 s3, 0x5040100
	s_add_u32 s0, s4, s0
	s_addc_u32 s1, s5, s1
	s_waitcnt vmcnt(0)
	v_xor_b32_e32 v7, -1, v2
	v_xor_b32_sdwa v2, v2, v6 dst_sel:DWORD dst_unused:UNUSED_PAD src0_sel:WORD_1 src1_sel:DWORD
	v_xor_b32_e32 v8, -1, v3
	v_xor_b32_sdwa v3, v3, v6 dst_sel:DWORD dst_unused:UNUSED_PAD src0_sel:WORD_1 src1_sel:DWORD
	;; [unrolled: 2-line block ×4, first 2 shown]
	v_perm_b32 v5, v5, v10, s3
	v_perm_b32 v4, v4, v9, s3
	v_perm_b32 v3, v3, v8, s3
	v_perm_b32 v2, v2, v7, s3
	global_store_dwordx4 v1, v[2:5], s[0:1]
	s_mov_b64 s[0:1], 0
.LBB40_2:
	s_andn2_b64 vcc, exec, s[0:1]
	s_cbranch_vccnz .LBB40_28
; %bb.3:
	v_cmp_gt_i32_e64 s[0:1], s10, v0
	v_mov_b32_e32 v1, -1
	v_or_b32_e32 v2, s2, v0
	v_mov_b32_e32 v4, -1
	v_mov_b32_e32 v3, v0
	s_and_saveexec_b64 s[8:9], s[0:1]
	s_cbranch_execz .LBB40_5
; %bb.4:
	v_mov_b32_e32 v3, 0
	v_lshl_add_u64 v[4:5], v[2:3], 1, s[6:7]
	global_load_ushort v4, v[4:5], off
	v_or_b32_e32 v3, 0x100, v0
	s_waitcnt vmcnt(0)
	v_xor_b32_e32 v4, -1, v4
.LBB40_5:
	s_or_b64 exec, exec, s[8:9]
	v_cmp_gt_i32_e32 vcc, s10, v3
	s_and_saveexec_b64 s[8:9], vcc
	s_cbranch_execz .LBB40_7
; %bb.6:
	v_add_u32_e32 v6, s2, v3
	v_mov_b32_e32 v7, 0
	v_lshl_add_u64 v[6:7], v[6:7], 1, s[6:7]
	global_load_ushort v1, v[6:7], off
	v_add_u32_e32 v3, 0x100, v3
	s_waitcnt vmcnt(0)
	v_xor_b32_e32 v1, -1, v1
.LBB40_7:
	s_or_b64 exec, exec, s[8:9]
	v_cmp_gt_i32_e32 vcc, s10, v3
	v_mov_b32_e32 v5, -1
	v_mov_b32_e32 v6, -1
	s_and_saveexec_b64 s[8:9], vcc
	s_cbranch_execz .LBB40_9
; %bb.8:
	v_add_u32_e32 v6, s2, v3
	v_mov_b32_e32 v7, 0
	v_lshl_add_u64 v[6:7], v[6:7], 1, s[6:7]
	global_load_ushort v6, v[6:7], off
	v_add_u32_e32 v3, 0x100, v3
	s_waitcnt vmcnt(0)
	v_xor_b32_e32 v6, -1, v6
.LBB40_9:
	s_or_b64 exec, exec, s[8:9]
	v_cmp_gt_i32_e32 vcc, s10, v3
	s_and_saveexec_b64 s[8:9], vcc
	s_cbranch_execz .LBB40_11
; %bb.10:
	v_add_u32_e32 v8, s2, v3
	v_mov_b32_e32 v9, 0
	v_lshl_add_u64 v[8:9], v[8:9], 1, s[6:7]
	global_load_ushort v5, v[8:9], off
	v_add_u32_e32 v3, 0x100, v3
	s_waitcnt vmcnt(0)
	v_xor_b32_e32 v5, -1, v5
.LBB40_11:
	s_or_b64 exec, exec, s[8:9]
	v_cmp_gt_i32_e32 vcc, s10, v3
	v_mov_b32_e32 v7, -1
	v_mov_b32_e32 v8, -1
	s_and_saveexec_b64 s[8:9], vcc
	s_cbranch_execz .LBB40_13
; %bb.12:
	v_add_u32_e32 v8, s2, v3
	v_mov_b32_e32 v9, 0
	v_lshl_add_u64 v[8:9], v[8:9], 1, s[6:7]
	global_load_ushort v8, v[8:9], off
	v_add_u32_e32 v3, 0x100, v3
	s_waitcnt vmcnt(0)
	v_xor_b32_e32 v8, -1, v8
.LBB40_13:
	;; [unrolled: 28-line block ×3, first 2 shown]
	s_or_b64 exec, exec, s[8:9]
	v_cmp_gt_i32_e32 vcc, s10, v3
	s_and_saveexec_b64 s[8:9], vcc
	s_cbranch_execz .LBB40_19
; %bb.18:
	v_add_u32_e32 v12, s2, v3
	v_mov_b32_e32 v13, 0
	v_lshl_add_u64 v[12:13], v[12:13], 1, s[6:7]
	global_load_ushort v3, v[12:13], off
	s_waitcnt vmcnt(0)
	v_xor_b32_e32 v9, -1, v3
.LBB40_19:
	s_or_b64 exec, exec, s[8:9]
	s_mov_b64 vcc, s[0:1]
	v_mov_b32_e32 v3, 0
	v_cndmask_b32_sdwa v4, v3, v4, vcc dst_sel:DWORD dst_unused:UNUSED_PAD src0_sel:DWORD src1_sel:WORD_0
	v_or_b32_e32 v12, 0x100, v0
	s_mov_b32 s3, 0x5040100
	v_perm_b32 v1, v1, v4, s3
	v_cmp_gt_i32_e32 vcc, s10, v12
	s_nop 1
	v_cndmask_b32_e32 v11, v4, v1, vcc
	v_or_b32_e32 v1, 0x200, v0
	v_and_b32_e32 v4, 0xffff, v6
	v_cmp_gt_i32_e32 vcc, s10, v1
	s_nop 1
	v_cndmask_b32_e32 v1, 0, v4, vcc
	v_or_b32_e32 v4, 0x300, v0
	v_perm_b32 v5, v5, v1, s3
	v_cmp_gt_i32_e32 vcc, s10, v4
	v_and_b32_e32 v4, 0xffff, v8
	s_nop 0
	v_cndmask_b32_e32 v5, v1, v5, vcc
	v_or_b32_e32 v1, 0x400, v0
	v_cmp_gt_i32_e32 vcc, s10, v1
	s_nop 1
	v_cndmask_b32_e32 v1, 0, v4, vcc
	v_or_b32_e32 v4, 0x500, v0
	v_perm_b32 v6, v7, v1, s3
	v_cmp_gt_i32_e32 vcc, s10, v4
	s_nop 1
	v_cndmask_b32_e32 v4, v1, v6, vcc
	v_or_b32_e32 v1, 0x600, v0
	v_cmp_gt_i32_e32 vcc, s10, v1
	v_or_b32_e32 v6, 0x700, v0
	s_nop 0
	v_cndmask_b32_sdwa v1, v3, v10, vcc dst_sel:DWORD dst_unused:UNUSED_PAD src0_sel:DWORD src1_sel:WORD_0
	v_perm_b32 v7, v9, v1, s3
	v_cmp_gt_i32_e32 vcc, s10, v6
	s_nop 1
	v_cndmask_b32_e32 v1, v1, v7, vcc
	s_and_saveexec_b64 s[6:7], s[0:1]
	s_cbranch_execnz .LBB40_29
; %bb.20:
	s_or_b64 exec, exec, s[6:7]
	v_cmp_gt_i32_e32 vcc, s10, v0
	s_and_saveexec_b64 s[0:1], vcc
	s_cbranch_execnz .LBB40_30
.LBB40_21:
	s_or_b64 exec, exec, s[0:1]
	v_cmp_gt_i32_e32 vcc, s10, v0
	s_and_saveexec_b64 s[0:1], vcc
	s_cbranch_execnz .LBB40_31
.LBB40_22:
	s_or_b64 exec, exec, s[0:1]
	v_cmp_gt_i32_e32 vcc, s10, v0
	s_and_saveexec_b64 s[0:1], vcc
	s_cbranch_execnz .LBB40_32
.LBB40_23:
	s_or_b64 exec, exec, s[0:1]
	v_cmp_gt_i32_e32 vcc, s10, v0
	s_and_saveexec_b64 s[0:1], vcc
	s_cbranch_execnz .LBB40_33
.LBB40_24:
	s_or_b64 exec, exec, s[0:1]
	v_cmp_gt_i32_e32 vcc, s10, v0
	s_and_saveexec_b64 s[0:1], vcc
	s_cbranch_execnz .LBB40_34
.LBB40_25:
	s_or_b64 exec, exec, s[0:1]
	v_cmp_gt_i32_e32 vcc, s10, v0
	s_and_saveexec_b64 s[0:1], vcc
	s_cbranch_execnz .LBB40_35
.LBB40_26:
	s_or_b64 exec, exec, s[0:1]
	v_cmp_gt_i32_e32 vcc, s10, v0
	s_and_saveexec_b64 s[0:1], vcc
	s_cbranch_execz .LBB40_28
.LBB40_27:
	v_add_u32_e32 v2, s2, v0
	v_mov_b32_e32 v3, 0
	v_lshl_add_u64 v[2:3], v[2:3], 1, s[4:5]
	global_store_short_d16_hi v[2:3], v1, off
.LBB40_28:
	s_endpgm
.LBB40_29:
	v_lshl_add_u64 v[2:3], v[2:3], 1, s[4:5]
	v_mov_b32_e32 v0, v12
	global_store_short v[2:3], v11, off
	s_or_b64 exec, exec, s[6:7]
	v_cmp_gt_i32_e32 vcc, s10, v0
	s_and_saveexec_b64 s[0:1], vcc
	s_cbranch_execz .LBB40_21
.LBB40_30:
	v_add_u32_e32 v2, s2, v0
	v_mov_b32_e32 v3, 0
	v_lshl_add_u64 v[2:3], v[2:3], 1, s[4:5]
	v_add_u32_e32 v0, 0x100, v0
	global_store_short_d16_hi v[2:3], v11, off
	s_or_b64 exec, exec, s[0:1]
	v_cmp_gt_i32_e32 vcc, s10, v0
	s_and_saveexec_b64 s[0:1], vcc
	s_cbranch_execz .LBB40_22
.LBB40_31:
	v_add_u32_e32 v2, s2, v0
	v_mov_b32_e32 v3, 0
	v_lshl_add_u64 v[2:3], v[2:3], 1, s[4:5]
	v_add_u32_e32 v0, 0x100, v0
	global_store_short v[2:3], v5, off
	s_or_b64 exec, exec, s[0:1]
	v_cmp_gt_i32_e32 vcc, s10, v0
	s_and_saveexec_b64 s[0:1], vcc
	s_cbranch_execz .LBB40_23
.LBB40_32:
	v_add_u32_e32 v2, s2, v0
	v_mov_b32_e32 v3, 0
	v_lshl_add_u64 v[2:3], v[2:3], 1, s[4:5]
	v_add_u32_e32 v0, 0x100, v0
	global_store_short_d16_hi v[2:3], v5, off
	s_or_b64 exec, exec, s[0:1]
	v_cmp_gt_i32_e32 vcc, s10, v0
	s_and_saveexec_b64 s[0:1], vcc
	s_cbranch_execz .LBB40_24
.LBB40_33:
	v_add_u32_e32 v2, s2, v0
	v_mov_b32_e32 v3, 0
	v_lshl_add_u64 v[2:3], v[2:3], 1, s[4:5]
	v_add_u32_e32 v0, 0x100, v0
	global_store_short v[2:3], v4, off
	s_or_b64 exec, exec, s[0:1]
	v_cmp_gt_i32_e32 vcc, s10, v0
	s_and_saveexec_b64 s[0:1], vcc
	s_cbranch_execz .LBB40_25
.LBB40_34:
	v_add_u32_e32 v2, s2, v0
	v_mov_b32_e32 v3, 0
	v_lshl_add_u64 v[2:3], v[2:3], 1, s[4:5]
	v_add_u32_e32 v0, 0x100, v0
	global_store_short_d16_hi v[2:3], v4, off
	s_or_b64 exec, exec, s[0:1]
	v_cmp_gt_i32_e32 vcc, s10, v0
	s_and_saveexec_b64 s[0:1], vcc
	s_cbranch_execz .LBB40_26
.LBB40_35:
	v_add_u32_e32 v2, s2, v0
	v_mov_b32_e32 v3, 0
	v_lshl_add_u64 v[2:3], v[2:3], 1, s[4:5]
	v_add_u32_e32 v0, 0x100, v0
	global_store_short v[2:3], v1, off
	s_or_b64 exec, exec, s[0:1]
	v_cmp_gt_i32_e32 vcc, s10, v0
	s_and_saveexec_b64 s[0:1], vcc
	s_cbranch_execnz .LBB40_27
	s_branch .LBB40_28
	.section	.rodata,"a",@progbits
	.p2align	6, 0x0
	.amdhsa_kernel _ZN2at6native29vectorized_elementwise_kernelILi16EZZZNS0_23bitwise_not_kernel_cudaERNS_18TensorIteratorBaseEENKUlvE_clEvENKUlvE3_clEvEUlsE_St5arrayIPcLm2EEEEviT0_T1_
		.amdhsa_group_segment_fixed_size 0
		.amdhsa_private_segment_fixed_size 0
		.amdhsa_kernarg_size 24
		.amdhsa_user_sgpr_count 2
		.amdhsa_user_sgpr_dispatch_ptr 0
		.amdhsa_user_sgpr_queue_ptr 0
		.amdhsa_user_sgpr_kernarg_segment_ptr 1
		.amdhsa_user_sgpr_dispatch_id 0
		.amdhsa_user_sgpr_kernarg_preload_length 0
		.amdhsa_user_sgpr_kernarg_preload_offset 0
		.amdhsa_user_sgpr_private_segment_size 0
		.amdhsa_uses_dynamic_stack 0
		.amdhsa_enable_private_segment 0
		.amdhsa_system_sgpr_workgroup_id_x 1
		.amdhsa_system_sgpr_workgroup_id_y 0
		.amdhsa_system_sgpr_workgroup_id_z 0
		.amdhsa_system_sgpr_workgroup_info 0
		.amdhsa_system_vgpr_workitem_id 0
		.amdhsa_next_free_vgpr 14
		.amdhsa_next_free_sgpr 11
		.amdhsa_accum_offset 16
		.amdhsa_reserve_vcc 1
		.amdhsa_float_round_mode_32 0
		.amdhsa_float_round_mode_16_64 0
		.amdhsa_float_denorm_mode_32 3
		.amdhsa_float_denorm_mode_16_64 3
		.amdhsa_dx10_clamp 1
		.amdhsa_ieee_mode 1
		.amdhsa_fp16_overflow 0
		.amdhsa_tg_split 0
		.amdhsa_exception_fp_ieee_invalid_op 0
		.amdhsa_exception_fp_denorm_src 0
		.amdhsa_exception_fp_ieee_div_zero 0
		.amdhsa_exception_fp_ieee_overflow 0
		.amdhsa_exception_fp_ieee_underflow 0
		.amdhsa_exception_fp_ieee_inexact 0
		.amdhsa_exception_int_div_zero 0
	.end_amdhsa_kernel
	.section	.text._ZN2at6native29vectorized_elementwise_kernelILi16EZZZNS0_23bitwise_not_kernel_cudaERNS_18TensorIteratorBaseEENKUlvE_clEvENKUlvE3_clEvEUlsE_St5arrayIPcLm2EEEEviT0_T1_,"axG",@progbits,_ZN2at6native29vectorized_elementwise_kernelILi16EZZZNS0_23bitwise_not_kernel_cudaERNS_18TensorIteratorBaseEENKUlvE_clEvENKUlvE3_clEvEUlsE_St5arrayIPcLm2EEEEviT0_T1_,comdat
.Lfunc_end40:
	.size	_ZN2at6native29vectorized_elementwise_kernelILi16EZZZNS0_23bitwise_not_kernel_cudaERNS_18TensorIteratorBaseEENKUlvE_clEvENKUlvE3_clEvEUlsE_St5arrayIPcLm2EEEEviT0_T1_, .Lfunc_end40-_ZN2at6native29vectorized_elementwise_kernelILi16EZZZNS0_23bitwise_not_kernel_cudaERNS_18TensorIteratorBaseEENKUlvE_clEvENKUlvE3_clEvEUlsE_St5arrayIPcLm2EEEEviT0_T1_
                                        ; -- End function
	.set _ZN2at6native29vectorized_elementwise_kernelILi16EZZZNS0_23bitwise_not_kernel_cudaERNS_18TensorIteratorBaseEENKUlvE_clEvENKUlvE3_clEvEUlsE_St5arrayIPcLm2EEEEviT0_T1_.num_vgpr, 14
	.set _ZN2at6native29vectorized_elementwise_kernelILi16EZZZNS0_23bitwise_not_kernel_cudaERNS_18TensorIteratorBaseEENKUlvE_clEvENKUlvE3_clEvEUlsE_St5arrayIPcLm2EEEEviT0_T1_.num_agpr, 0
	.set _ZN2at6native29vectorized_elementwise_kernelILi16EZZZNS0_23bitwise_not_kernel_cudaERNS_18TensorIteratorBaseEENKUlvE_clEvENKUlvE3_clEvEUlsE_St5arrayIPcLm2EEEEviT0_T1_.numbered_sgpr, 11
	.set _ZN2at6native29vectorized_elementwise_kernelILi16EZZZNS0_23bitwise_not_kernel_cudaERNS_18TensorIteratorBaseEENKUlvE_clEvENKUlvE3_clEvEUlsE_St5arrayIPcLm2EEEEviT0_T1_.num_named_barrier, 0
	.set _ZN2at6native29vectorized_elementwise_kernelILi16EZZZNS0_23bitwise_not_kernel_cudaERNS_18TensorIteratorBaseEENKUlvE_clEvENKUlvE3_clEvEUlsE_St5arrayIPcLm2EEEEviT0_T1_.private_seg_size, 0
	.set _ZN2at6native29vectorized_elementwise_kernelILi16EZZZNS0_23bitwise_not_kernel_cudaERNS_18TensorIteratorBaseEENKUlvE_clEvENKUlvE3_clEvEUlsE_St5arrayIPcLm2EEEEviT0_T1_.uses_vcc, 1
	.set _ZN2at6native29vectorized_elementwise_kernelILi16EZZZNS0_23bitwise_not_kernel_cudaERNS_18TensorIteratorBaseEENKUlvE_clEvENKUlvE3_clEvEUlsE_St5arrayIPcLm2EEEEviT0_T1_.uses_flat_scratch, 0
	.set _ZN2at6native29vectorized_elementwise_kernelILi16EZZZNS0_23bitwise_not_kernel_cudaERNS_18TensorIteratorBaseEENKUlvE_clEvENKUlvE3_clEvEUlsE_St5arrayIPcLm2EEEEviT0_T1_.has_dyn_sized_stack, 0
	.set _ZN2at6native29vectorized_elementwise_kernelILi16EZZZNS0_23bitwise_not_kernel_cudaERNS_18TensorIteratorBaseEENKUlvE_clEvENKUlvE3_clEvEUlsE_St5arrayIPcLm2EEEEviT0_T1_.has_recursion, 0
	.set _ZN2at6native29vectorized_elementwise_kernelILi16EZZZNS0_23bitwise_not_kernel_cudaERNS_18TensorIteratorBaseEENKUlvE_clEvENKUlvE3_clEvEUlsE_St5arrayIPcLm2EEEEviT0_T1_.has_indirect_call, 0
	.section	.AMDGPU.csdata,"",@progbits
; Kernel info:
; codeLenInByte = 1364
; TotalNumSgprs: 17
; NumVgprs: 14
; NumAgprs: 0
; TotalNumVgprs: 14
; ScratchSize: 0
; MemoryBound: 0
; FloatMode: 240
; IeeeMode: 1
; LDSByteSize: 0 bytes/workgroup (compile time only)
; SGPRBlocks: 2
; VGPRBlocks: 1
; NumSGPRsForWavesPerEU: 17
; NumVGPRsForWavesPerEU: 14
; AccumOffset: 16
; Occupancy: 8
; WaveLimiterHint : 0
; COMPUTE_PGM_RSRC2:SCRATCH_EN: 0
; COMPUTE_PGM_RSRC2:USER_SGPR: 2
; COMPUTE_PGM_RSRC2:TRAP_HANDLER: 0
; COMPUTE_PGM_RSRC2:TGID_X_EN: 1
; COMPUTE_PGM_RSRC2:TGID_Y_EN: 0
; COMPUTE_PGM_RSRC2:TGID_Z_EN: 0
; COMPUTE_PGM_RSRC2:TIDIG_COMP_CNT: 0
; COMPUTE_PGM_RSRC3_GFX90A:ACCUM_OFFSET: 3
; COMPUTE_PGM_RSRC3_GFX90A:TG_SPLIT: 0
	.section	.text._ZN2at6native29vectorized_elementwise_kernelILi8EZZZNS0_23bitwise_not_kernel_cudaERNS_18TensorIteratorBaseEENKUlvE_clEvENKUlvE3_clEvEUlsE_St5arrayIPcLm2EEEEviT0_T1_,"axG",@progbits,_ZN2at6native29vectorized_elementwise_kernelILi8EZZZNS0_23bitwise_not_kernel_cudaERNS_18TensorIteratorBaseEENKUlvE_clEvENKUlvE3_clEvEUlsE_St5arrayIPcLm2EEEEviT0_T1_,comdat
	.globl	_ZN2at6native29vectorized_elementwise_kernelILi8EZZZNS0_23bitwise_not_kernel_cudaERNS_18TensorIteratorBaseEENKUlvE_clEvENKUlvE3_clEvEUlsE_St5arrayIPcLm2EEEEviT0_T1_ ; -- Begin function _ZN2at6native29vectorized_elementwise_kernelILi8EZZZNS0_23bitwise_not_kernel_cudaERNS_18TensorIteratorBaseEENKUlvE_clEvENKUlvE3_clEvEUlsE_St5arrayIPcLm2EEEEviT0_T1_
	.p2align	8
	.type	_ZN2at6native29vectorized_elementwise_kernelILi8EZZZNS0_23bitwise_not_kernel_cudaERNS_18TensorIteratorBaseEENKUlvE_clEvENKUlvE3_clEvEUlsE_St5arrayIPcLm2EEEEviT0_T1_,@function
_ZN2at6native29vectorized_elementwise_kernelILi8EZZZNS0_23bitwise_not_kernel_cudaERNS_18TensorIteratorBaseEENKUlvE_clEvENKUlvE3_clEvEUlsE_St5arrayIPcLm2EEEEviT0_T1_: ; @_ZN2at6native29vectorized_elementwise_kernelILi8EZZZNS0_23bitwise_not_kernel_cudaERNS_18TensorIteratorBaseEENKUlvE_clEvENKUlvE3_clEvEUlsE_St5arrayIPcLm2EEEEviT0_T1_
; %bb.0:
	s_load_dword s3, s[0:1], 0x0
	s_load_dwordx4 s[4:7], s[0:1], 0x8
	s_lshl_b32 s2, s2, 11
	s_mov_b64 s[0:1], -1
	s_waitcnt lgkmcnt(0)
	s_sub_i32 s10, s3, s2
	s_cmpk_gt_i32 s10, 0x7ff
	s_cbranch_scc0 .LBB41_2
; %bb.1:
	s_ashr_i32 s3, s2, 31
	s_lshl_b64 s[0:1], s[2:3], 1
	s_add_u32 s8, s6, s0
	s_addc_u32 s9, s7, s1
	v_lshlrev_b32_e32 v1, 4, v0
	global_load_dwordx4 v[2:5], v1, s[8:9]
	v_mov_b32_e32 v6, -1
	s_mov_b32 s3, 0x5040100
	s_add_u32 s0, s4, s0
	s_addc_u32 s1, s5, s1
	s_waitcnt vmcnt(0)
	v_xor_b32_e32 v7, -1, v2
	v_xor_b32_sdwa v2, v2, v6 dst_sel:DWORD dst_unused:UNUSED_PAD src0_sel:WORD_1 src1_sel:DWORD
	v_xor_b32_e32 v8, -1, v3
	v_xor_b32_sdwa v3, v3, v6 dst_sel:DWORD dst_unused:UNUSED_PAD src0_sel:WORD_1 src1_sel:DWORD
	;; [unrolled: 2-line block ×4, first 2 shown]
	v_perm_b32 v5, v5, v10, s3
	v_perm_b32 v4, v4, v9, s3
	;; [unrolled: 1-line block ×4, first 2 shown]
	global_store_dwordx4 v1, v[2:5], s[0:1]
	s_mov_b64 s[0:1], 0
.LBB41_2:
	s_andn2_b64 vcc, exec, s[0:1]
	s_cbranch_vccnz .LBB41_28
; %bb.3:
	v_cmp_gt_i32_e64 s[0:1], s10, v0
	v_mov_b32_e32 v1, -1
	v_or_b32_e32 v2, s2, v0
	v_mov_b32_e32 v4, -1
	v_mov_b32_e32 v3, v0
	s_and_saveexec_b64 s[8:9], s[0:1]
	s_cbranch_execz .LBB41_5
; %bb.4:
	v_mov_b32_e32 v3, 0
	v_lshl_add_u64 v[4:5], v[2:3], 1, s[6:7]
	global_load_ushort v4, v[4:5], off
	v_or_b32_e32 v3, 0x100, v0
	s_waitcnt vmcnt(0)
	v_xor_b32_e32 v4, -1, v4
.LBB41_5:
	s_or_b64 exec, exec, s[8:9]
	v_cmp_gt_i32_e32 vcc, s10, v3
	s_and_saveexec_b64 s[8:9], vcc
	s_cbranch_execz .LBB41_7
; %bb.6:
	v_add_u32_e32 v6, s2, v3
	v_mov_b32_e32 v7, 0
	v_lshl_add_u64 v[6:7], v[6:7], 1, s[6:7]
	global_load_ushort v1, v[6:7], off
	v_add_u32_e32 v3, 0x100, v3
	s_waitcnt vmcnt(0)
	v_xor_b32_e32 v1, -1, v1
.LBB41_7:
	s_or_b64 exec, exec, s[8:9]
	v_cmp_gt_i32_e32 vcc, s10, v3
	v_mov_b32_e32 v5, -1
	v_mov_b32_e32 v6, -1
	s_and_saveexec_b64 s[8:9], vcc
	s_cbranch_execz .LBB41_9
; %bb.8:
	v_add_u32_e32 v6, s2, v3
	v_mov_b32_e32 v7, 0
	v_lshl_add_u64 v[6:7], v[6:7], 1, s[6:7]
	global_load_ushort v6, v[6:7], off
	v_add_u32_e32 v3, 0x100, v3
	s_waitcnt vmcnt(0)
	v_xor_b32_e32 v6, -1, v6
.LBB41_9:
	s_or_b64 exec, exec, s[8:9]
	v_cmp_gt_i32_e32 vcc, s10, v3
	s_and_saveexec_b64 s[8:9], vcc
	s_cbranch_execz .LBB41_11
; %bb.10:
	v_add_u32_e32 v8, s2, v3
	v_mov_b32_e32 v9, 0
	v_lshl_add_u64 v[8:9], v[8:9], 1, s[6:7]
	global_load_ushort v5, v[8:9], off
	v_add_u32_e32 v3, 0x100, v3
	s_waitcnt vmcnt(0)
	v_xor_b32_e32 v5, -1, v5
.LBB41_11:
	s_or_b64 exec, exec, s[8:9]
	v_cmp_gt_i32_e32 vcc, s10, v3
	v_mov_b32_e32 v7, -1
	v_mov_b32_e32 v8, -1
	s_and_saveexec_b64 s[8:9], vcc
	s_cbranch_execz .LBB41_13
; %bb.12:
	v_add_u32_e32 v8, s2, v3
	v_mov_b32_e32 v9, 0
	v_lshl_add_u64 v[8:9], v[8:9], 1, s[6:7]
	global_load_ushort v8, v[8:9], off
	v_add_u32_e32 v3, 0x100, v3
	s_waitcnt vmcnt(0)
	v_xor_b32_e32 v8, -1, v8
.LBB41_13:
	;; [unrolled: 28-line block ×3, first 2 shown]
	s_or_b64 exec, exec, s[8:9]
	v_cmp_gt_i32_e32 vcc, s10, v3
	s_and_saveexec_b64 s[8:9], vcc
	s_cbranch_execz .LBB41_19
; %bb.18:
	v_add_u32_e32 v12, s2, v3
	v_mov_b32_e32 v13, 0
	v_lshl_add_u64 v[12:13], v[12:13], 1, s[6:7]
	global_load_ushort v3, v[12:13], off
	s_waitcnt vmcnt(0)
	v_xor_b32_e32 v9, -1, v3
.LBB41_19:
	s_or_b64 exec, exec, s[8:9]
	s_mov_b64 vcc, s[0:1]
	v_mov_b32_e32 v3, 0
	v_cndmask_b32_sdwa v4, v3, v4, vcc dst_sel:DWORD dst_unused:UNUSED_PAD src0_sel:DWORD src1_sel:WORD_0
	v_or_b32_e32 v12, 0x100, v0
	s_mov_b32 s3, 0x5040100
	v_perm_b32 v1, v1, v4, s3
	v_cmp_gt_i32_e32 vcc, s10, v12
	s_nop 1
	v_cndmask_b32_e32 v11, v4, v1, vcc
	v_or_b32_e32 v1, 0x200, v0
	v_and_b32_e32 v4, 0xffff, v6
	v_cmp_gt_i32_e32 vcc, s10, v1
	s_nop 1
	v_cndmask_b32_e32 v1, 0, v4, vcc
	v_or_b32_e32 v4, 0x300, v0
	v_perm_b32 v5, v5, v1, s3
	v_cmp_gt_i32_e32 vcc, s10, v4
	v_and_b32_e32 v4, 0xffff, v8
	s_nop 0
	v_cndmask_b32_e32 v5, v1, v5, vcc
	v_or_b32_e32 v1, 0x400, v0
	v_cmp_gt_i32_e32 vcc, s10, v1
	s_nop 1
	v_cndmask_b32_e32 v1, 0, v4, vcc
	v_or_b32_e32 v4, 0x500, v0
	v_perm_b32 v6, v7, v1, s3
	v_cmp_gt_i32_e32 vcc, s10, v4
	s_nop 1
	v_cndmask_b32_e32 v4, v1, v6, vcc
	v_or_b32_e32 v1, 0x600, v0
	v_cmp_gt_i32_e32 vcc, s10, v1
	v_or_b32_e32 v6, 0x700, v0
	s_nop 0
	v_cndmask_b32_sdwa v1, v3, v10, vcc dst_sel:DWORD dst_unused:UNUSED_PAD src0_sel:DWORD src1_sel:WORD_0
	v_perm_b32 v7, v9, v1, s3
	v_cmp_gt_i32_e32 vcc, s10, v6
	s_nop 1
	v_cndmask_b32_e32 v1, v1, v7, vcc
	s_and_saveexec_b64 s[6:7], s[0:1]
	s_cbranch_execnz .LBB41_29
; %bb.20:
	s_or_b64 exec, exec, s[6:7]
	v_cmp_gt_i32_e32 vcc, s10, v0
	s_and_saveexec_b64 s[0:1], vcc
	s_cbranch_execnz .LBB41_30
.LBB41_21:
	s_or_b64 exec, exec, s[0:1]
	v_cmp_gt_i32_e32 vcc, s10, v0
	s_and_saveexec_b64 s[0:1], vcc
	s_cbranch_execnz .LBB41_31
.LBB41_22:
	s_or_b64 exec, exec, s[0:1]
	v_cmp_gt_i32_e32 vcc, s10, v0
	s_and_saveexec_b64 s[0:1], vcc
	s_cbranch_execnz .LBB41_32
.LBB41_23:
	s_or_b64 exec, exec, s[0:1]
	v_cmp_gt_i32_e32 vcc, s10, v0
	s_and_saveexec_b64 s[0:1], vcc
	s_cbranch_execnz .LBB41_33
.LBB41_24:
	s_or_b64 exec, exec, s[0:1]
	v_cmp_gt_i32_e32 vcc, s10, v0
	s_and_saveexec_b64 s[0:1], vcc
	s_cbranch_execnz .LBB41_34
.LBB41_25:
	s_or_b64 exec, exec, s[0:1]
	v_cmp_gt_i32_e32 vcc, s10, v0
	s_and_saveexec_b64 s[0:1], vcc
	s_cbranch_execnz .LBB41_35
.LBB41_26:
	s_or_b64 exec, exec, s[0:1]
	v_cmp_gt_i32_e32 vcc, s10, v0
	s_and_saveexec_b64 s[0:1], vcc
	s_cbranch_execz .LBB41_28
.LBB41_27:
	v_add_u32_e32 v2, s2, v0
	v_mov_b32_e32 v3, 0
	v_lshl_add_u64 v[2:3], v[2:3], 1, s[4:5]
	global_store_short_d16_hi v[2:3], v1, off
.LBB41_28:
	s_endpgm
.LBB41_29:
	v_lshl_add_u64 v[2:3], v[2:3], 1, s[4:5]
	v_mov_b32_e32 v0, v12
	global_store_short v[2:3], v11, off
	s_or_b64 exec, exec, s[6:7]
	v_cmp_gt_i32_e32 vcc, s10, v0
	s_and_saveexec_b64 s[0:1], vcc
	s_cbranch_execz .LBB41_21
.LBB41_30:
	v_add_u32_e32 v2, s2, v0
	v_mov_b32_e32 v3, 0
	v_lshl_add_u64 v[2:3], v[2:3], 1, s[4:5]
	v_add_u32_e32 v0, 0x100, v0
	global_store_short_d16_hi v[2:3], v11, off
	s_or_b64 exec, exec, s[0:1]
	v_cmp_gt_i32_e32 vcc, s10, v0
	s_and_saveexec_b64 s[0:1], vcc
	s_cbranch_execz .LBB41_22
.LBB41_31:
	v_add_u32_e32 v2, s2, v0
	v_mov_b32_e32 v3, 0
	v_lshl_add_u64 v[2:3], v[2:3], 1, s[4:5]
	v_add_u32_e32 v0, 0x100, v0
	global_store_short v[2:3], v5, off
	s_or_b64 exec, exec, s[0:1]
	v_cmp_gt_i32_e32 vcc, s10, v0
	s_and_saveexec_b64 s[0:1], vcc
	s_cbranch_execz .LBB41_23
.LBB41_32:
	v_add_u32_e32 v2, s2, v0
	v_mov_b32_e32 v3, 0
	v_lshl_add_u64 v[2:3], v[2:3], 1, s[4:5]
	v_add_u32_e32 v0, 0x100, v0
	global_store_short_d16_hi v[2:3], v5, off
	s_or_b64 exec, exec, s[0:1]
	v_cmp_gt_i32_e32 vcc, s10, v0
	s_and_saveexec_b64 s[0:1], vcc
	s_cbranch_execz .LBB41_24
.LBB41_33:
	v_add_u32_e32 v2, s2, v0
	v_mov_b32_e32 v3, 0
	v_lshl_add_u64 v[2:3], v[2:3], 1, s[4:5]
	v_add_u32_e32 v0, 0x100, v0
	global_store_short v[2:3], v4, off
	s_or_b64 exec, exec, s[0:1]
	v_cmp_gt_i32_e32 vcc, s10, v0
	s_and_saveexec_b64 s[0:1], vcc
	s_cbranch_execz .LBB41_25
.LBB41_34:
	v_add_u32_e32 v2, s2, v0
	v_mov_b32_e32 v3, 0
	v_lshl_add_u64 v[2:3], v[2:3], 1, s[4:5]
	v_add_u32_e32 v0, 0x100, v0
	global_store_short_d16_hi v[2:3], v4, off
	s_or_b64 exec, exec, s[0:1]
	v_cmp_gt_i32_e32 vcc, s10, v0
	s_and_saveexec_b64 s[0:1], vcc
	s_cbranch_execz .LBB41_26
.LBB41_35:
	v_add_u32_e32 v2, s2, v0
	v_mov_b32_e32 v3, 0
	v_lshl_add_u64 v[2:3], v[2:3], 1, s[4:5]
	v_add_u32_e32 v0, 0x100, v0
	global_store_short v[2:3], v1, off
	s_or_b64 exec, exec, s[0:1]
	v_cmp_gt_i32_e32 vcc, s10, v0
	s_and_saveexec_b64 s[0:1], vcc
	s_cbranch_execnz .LBB41_27
	s_branch .LBB41_28
	.section	.rodata,"a",@progbits
	.p2align	6, 0x0
	.amdhsa_kernel _ZN2at6native29vectorized_elementwise_kernelILi8EZZZNS0_23bitwise_not_kernel_cudaERNS_18TensorIteratorBaseEENKUlvE_clEvENKUlvE3_clEvEUlsE_St5arrayIPcLm2EEEEviT0_T1_
		.amdhsa_group_segment_fixed_size 0
		.amdhsa_private_segment_fixed_size 0
		.amdhsa_kernarg_size 24
		.amdhsa_user_sgpr_count 2
		.amdhsa_user_sgpr_dispatch_ptr 0
		.amdhsa_user_sgpr_queue_ptr 0
		.amdhsa_user_sgpr_kernarg_segment_ptr 1
		.amdhsa_user_sgpr_dispatch_id 0
		.amdhsa_user_sgpr_kernarg_preload_length 0
		.amdhsa_user_sgpr_kernarg_preload_offset 0
		.amdhsa_user_sgpr_private_segment_size 0
		.amdhsa_uses_dynamic_stack 0
		.amdhsa_enable_private_segment 0
		.amdhsa_system_sgpr_workgroup_id_x 1
		.amdhsa_system_sgpr_workgroup_id_y 0
		.amdhsa_system_sgpr_workgroup_id_z 0
		.amdhsa_system_sgpr_workgroup_info 0
		.amdhsa_system_vgpr_workitem_id 0
		.amdhsa_next_free_vgpr 14
		.amdhsa_next_free_sgpr 11
		.amdhsa_accum_offset 16
		.amdhsa_reserve_vcc 1
		.amdhsa_float_round_mode_32 0
		.amdhsa_float_round_mode_16_64 0
		.amdhsa_float_denorm_mode_32 3
		.amdhsa_float_denorm_mode_16_64 3
		.amdhsa_dx10_clamp 1
		.amdhsa_ieee_mode 1
		.amdhsa_fp16_overflow 0
		.amdhsa_tg_split 0
		.amdhsa_exception_fp_ieee_invalid_op 0
		.amdhsa_exception_fp_denorm_src 0
		.amdhsa_exception_fp_ieee_div_zero 0
		.amdhsa_exception_fp_ieee_overflow 0
		.amdhsa_exception_fp_ieee_underflow 0
		.amdhsa_exception_fp_ieee_inexact 0
		.amdhsa_exception_int_div_zero 0
	.end_amdhsa_kernel
	.section	.text._ZN2at6native29vectorized_elementwise_kernelILi8EZZZNS0_23bitwise_not_kernel_cudaERNS_18TensorIteratorBaseEENKUlvE_clEvENKUlvE3_clEvEUlsE_St5arrayIPcLm2EEEEviT0_T1_,"axG",@progbits,_ZN2at6native29vectorized_elementwise_kernelILi8EZZZNS0_23bitwise_not_kernel_cudaERNS_18TensorIteratorBaseEENKUlvE_clEvENKUlvE3_clEvEUlsE_St5arrayIPcLm2EEEEviT0_T1_,comdat
.Lfunc_end41:
	.size	_ZN2at6native29vectorized_elementwise_kernelILi8EZZZNS0_23bitwise_not_kernel_cudaERNS_18TensorIteratorBaseEENKUlvE_clEvENKUlvE3_clEvEUlsE_St5arrayIPcLm2EEEEviT0_T1_, .Lfunc_end41-_ZN2at6native29vectorized_elementwise_kernelILi8EZZZNS0_23bitwise_not_kernel_cudaERNS_18TensorIteratorBaseEENKUlvE_clEvENKUlvE3_clEvEUlsE_St5arrayIPcLm2EEEEviT0_T1_
                                        ; -- End function
	.set _ZN2at6native29vectorized_elementwise_kernelILi8EZZZNS0_23bitwise_not_kernel_cudaERNS_18TensorIteratorBaseEENKUlvE_clEvENKUlvE3_clEvEUlsE_St5arrayIPcLm2EEEEviT0_T1_.num_vgpr, 14
	.set _ZN2at6native29vectorized_elementwise_kernelILi8EZZZNS0_23bitwise_not_kernel_cudaERNS_18TensorIteratorBaseEENKUlvE_clEvENKUlvE3_clEvEUlsE_St5arrayIPcLm2EEEEviT0_T1_.num_agpr, 0
	.set _ZN2at6native29vectorized_elementwise_kernelILi8EZZZNS0_23bitwise_not_kernel_cudaERNS_18TensorIteratorBaseEENKUlvE_clEvENKUlvE3_clEvEUlsE_St5arrayIPcLm2EEEEviT0_T1_.numbered_sgpr, 11
	.set _ZN2at6native29vectorized_elementwise_kernelILi8EZZZNS0_23bitwise_not_kernel_cudaERNS_18TensorIteratorBaseEENKUlvE_clEvENKUlvE3_clEvEUlsE_St5arrayIPcLm2EEEEviT0_T1_.num_named_barrier, 0
	.set _ZN2at6native29vectorized_elementwise_kernelILi8EZZZNS0_23bitwise_not_kernel_cudaERNS_18TensorIteratorBaseEENKUlvE_clEvENKUlvE3_clEvEUlsE_St5arrayIPcLm2EEEEviT0_T1_.private_seg_size, 0
	.set _ZN2at6native29vectorized_elementwise_kernelILi8EZZZNS0_23bitwise_not_kernel_cudaERNS_18TensorIteratorBaseEENKUlvE_clEvENKUlvE3_clEvEUlsE_St5arrayIPcLm2EEEEviT0_T1_.uses_vcc, 1
	.set _ZN2at6native29vectorized_elementwise_kernelILi8EZZZNS0_23bitwise_not_kernel_cudaERNS_18TensorIteratorBaseEENKUlvE_clEvENKUlvE3_clEvEUlsE_St5arrayIPcLm2EEEEviT0_T1_.uses_flat_scratch, 0
	.set _ZN2at6native29vectorized_elementwise_kernelILi8EZZZNS0_23bitwise_not_kernel_cudaERNS_18TensorIteratorBaseEENKUlvE_clEvENKUlvE3_clEvEUlsE_St5arrayIPcLm2EEEEviT0_T1_.has_dyn_sized_stack, 0
	.set _ZN2at6native29vectorized_elementwise_kernelILi8EZZZNS0_23bitwise_not_kernel_cudaERNS_18TensorIteratorBaseEENKUlvE_clEvENKUlvE3_clEvEUlsE_St5arrayIPcLm2EEEEviT0_T1_.has_recursion, 0
	.set _ZN2at6native29vectorized_elementwise_kernelILi8EZZZNS0_23bitwise_not_kernel_cudaERNS_18TensorIteratorBaseEENKUlvE_clEvENKUlvE3_clEvEUlsE_St5arrayIPcLm2EEEEviT0_T1_.has_indirect_call, 0
	.section	.AMDGPU.csdata,"",@progbits
; Kernel info:
; codeLenInByte = 1364
; TotalNumSgprs: 17
; NumVgprs: 14
; NumAgprs: 0
; TotalNumVgprs: 14
; ScratchSize: 0
; MemoryBound: 0
; FloatMode: 240
; IeeeMode: 1
; LDSByteSize: 0 bytes/workgroup (compile time only)
; SGPRBlocks: 2
; VGPRBlocks: 1
; NumSGPRsForWavesPerEU: 17
; NumVGPRsForWavesPerEU: 14
; AccumOffset: 16
; Occupancy: 8
; WaveLimiterHint : 0
; COMPUTE_PGM_RSRC2:SCRATCH_EN: 0
; COMPUTE_PGM_RSRC2:USER_SGPR: 2
; COMPUTE_PGM_RSRC2:TRAP_HANDLER: 0
; COMPUTE_PGM_RSRC2:TGID_X_EN: 1
; COMPUTE_PGM_RSRC2:TGID_Y_EN: 0
; COMPUTE_PGM_RSRC2:TGID_Z_EN: 0
; COMPUTE_PGM_RSRC2:TIDIG_COMP_CNT: 0
; COMPUTE_PGM_RSRC3_GFX90A:ACCUM_OFFSET: 3
; COMPUTE_PGM_RSRC3_GFX90A:TG_SPLIT: 0
	.section	.text._ZN2at6native29vectorized_elementwise_kernelILi4EZZZNS0_23bitwise_not_kernel_cudaERNS_18TensorIteratorBaseEENKUlvE_clEvENKUlvE3_clEvEUlsE_St5arrayIPcLm2EEEEviT0_T1_,"axG",@progbits,_ZN2at6native29vectorized_elementwise_kernelILi4EZZZNS0_23bitwise_not_kernel_cudaERNS_18TensorIteratorBaseEENKUlvE_clEvENKUlvE3_clEvEUlsE_St5arrayIPcLm2EEEEviT0_T1_,comdat
	.globl	_ZN2at6native29vectorized_elementwise_kernelILi4EZZZNS0_23bitwise_not_kernel_cudaERNS_18TensorIteratorBaseEENKUlvE_clEvENKUlvE3_clEvEUlsE_St5arrayIPcLm2EEEEviT0_T1_ ; -- Begin function _ZN2at6native29vectorized_elementwise_kernelILi4EZZZNS0_23bitwise_not_kernel_cudaERNS_18TensorIteratorBaseEENKUlvE_clEvENKUlvE3_clEvEUlsE_St5arrayIPcLm2EEEEviT0_T1_
	.p2align	8
	.type	_ZN2at6native29vectorized_elementwise_kernelILi4EZZZNS0_23bitwise_not_kernel_cudaERNS_18TensorIteratorBaseEENKUlvE_clEvENKUlvE3_clEvEUlsE_St5arrayIPcLm2EEEEviT0_T1_,@function
_ZN2at6native29vectorized_elementwise_kernelILi4EZZZNS0_23bitwise_not_kernel_cudaERNS_18TensorIteratorBaseEENKUlvE_clEvENKUlvE3_clEvEUlsE_St5arrayIPcLm2EEEEviT0_T1_: ; @_ZN2at6native29vectorized_elementwise_kernelILi4EZZZNS0_23bitwise_not_kernel_cudaERNS_18TensorIteratorBaseEENKUlvE_clEvENKUlvE3_clEvEUlsE_St5arrayIPcLm2EEEEviT0_T1_
; %bb.0:
	s_load_dword s3, s[0:1], 0x0
	s_load_dwordx4 s[4:7], s[0:1], 0x8
	s_lshl_b32 s2, s2, 11
	s_mov_b64 s[0:1], -1
	s_waitcnt lgkmcnt(0)
	s_sub_i32 s10, s3, s2
	s_cmpk_gt_i32 s10, 0x7ff
	s_cbranch_scc0 .LBB42_2
; %bb.1:
	s_ashr_i32 s3, s2, 31
	s_lshl_b64 s[0:1], s[2:3], 1
	s_add_u32 s8, s6, s0
	s_addc_u32 s9, s7, s1
	v_lshlrev_b32_e32 v1, 3, v0
	global_load_dwordx2 v[2:3], v1, s[8:9]
	global_load_dwordx2 v[4:5], v1, s[8:9] offset:2048
	s_mov_b32 s3, 0xffff
	s_add_u32 s0, s4, s0
	s_addc_u32 s1, s5, s1
	s_waitcnt vmcnt(1)
	v_bfi_b32 v2, s3, v2, v2
	s_waitcnt vmcnt(0)
	v_bfi_b32 v4, s3, v4, v4
	v_not_b32_e32 v3, v3
	v_not_b32_e32 v2, v2
	;; [unrolled: 1-line block ×4, first 2 shown]
	global_store_dwordx2 v1, v[2:3], s[0:1]
	global_store_dwordx2 v1, v[4:5], s[0:1] offset:2048
	s_mov_b64 s[0:1], 0
.LBB42_2:
	s_andn2_b64 vcc, exec, s[0:1]
	s_cbranch_vccnz .LBB42_28
; %bb.3:
	v_cmp_gt_i32_e64 s[0:1], s10, v0
	v_mov_b32_e32 v1, -1
	v_or_b32_e32 v2, s2, v0
	v_mov_b32_e32 v4, -1
	v_mov_b32_e32 v3, v0
	s_and_saveexec_b64 s[8:9], s[0:1]
	s_cbranch_execz .LBB42_5
; %bb.4:
	v_mov_b32_e32 v3, 0
	v_lshl_add_u64 v[4:5], v[2:3], 1, s[6:7]
	global_load_ushort v4, v[4:5], off
	v_or_b32_e32 v3, 0x100, v0
	s_waitcnt vmcnt(0)
	v_xor_b32_e32 v4, -1, v4
.LBB42_5:
	s_or_b64 exec, exec, s[8:9]
	v_cmp_gt_i32_e32 vcc, s10, v3
	s_and_saveexec_b64 s[8:9], vcc
	s_cbranch_execz .LBB42_7
; %bb.6:
	v_add_u32_e32 v6, s2, v3
	v_mov_b32_e32 v7, 0
	v_lshl_add_u64 v[6:7], v[6:7], 1, s[6:7]
	global_load_ushort v1, v[6:7], off
	v_add_u32_e32 v3, 0x100, v3
	s_waitcnt vmcnt(0)
	v_xor_b32_e32 v1, -1, v1
.LBB42_7:
	s_or_b64 exec, exec, s[8:9]
	v_cmp_gt_i32_e32 vcc, s10, v3
	v_mov_b32_e32 v5, -1
	v_mov_b32_e32 v6, -1
	s_and_saveexec_b64 s[8:9], vcc
	s_cbranch_execz .LBB42_9
; %bb.8:
	v_add_u32_e32 v6, s2, v3
	v_mov_b32_e32 v7, 0
	v_lshl_add_u64 v[6:7], v[6:7], 1, s[6:7]
	global_load_ushort v6, v[6:7], off
	v_add_u32_e32 v3, 0x100, v3
	s_waitcnt vmcnt(0)
	v_xor_b32_e32 v6, -1, v6
.LBB42_9:
	s_or_b64 exec, exec, s[8:9]
	v_cmp_gt_i32_e32 vcc, s10, v3
	s_and_saveexec_b64 s[8:9], vcc
	s_cbranch_execz .LBB42_11
; %bb.10:
	v_add_u32_e32 v8, s2, v3
	v_mov_b32_e32 v9, 0
	v_lshl_add_u64 v[8:9], v[8:9], 1, s[6:7]
	global_load_ushort v5, v[8:9], off
	v_add_u32_e32 v3, 0x100, v3
	s_waitcnt vmcnt(0)
	v_xor_b32_e32 v5, -1, v5
.LBB42_11:
	s_or_b64 exec, exec, s[8:9]
	v_cmp_gt_i32_e32 vcc, s10, v3
	v_mov_b32_e32 v7, -1
	v_mov_b32_e32 v8, -1
	s_and_saveexec_b64 s[8:9], vcc
	s_cbranch_execz .LBB42_13
; %bb.12:
	v_add_u32_e32 v8, s2, v3
	v_mov_b32_e32 v9, 0
	v_lshl_add_u64 v[8:9], v[8:9], 1, s[6:7]
	global_load_ushort v8, v[8:9], off
	v_add_u32_e32 v3, 0x100, v3
	s_waitcnt vmcnt(0)
	v_xor_b32_e32 v8, -1, v8
.LBB42_13:
	;; [unrolled: 28-line block ×3, first 2 shown]
	s_or_b64 exec, exec, s[8:9]
	v_cmp_gt_i32_e32 vcc, s10, v3
	s_and_saveexec_b64 s[8:9], vcc
	s_cbranch_execz .LBB42_19
; %bb.18:
	v_add_u32_e32 v12, s2, v3
	v_mov_b32_e32 v13, 0
	v_lshl_add_u64 v[12:13], v[12:13], 1, s[6:7]
	global_load_ushort v3, v[12:13], off
	s_waitcnt vmcnt(0)
	v_xor_b32_e32 v9, -1, v3
.LBB42_19:
	s_or_b64 exec, exec, s[8:9]
	s_mov_b64 vcc, s[0:1]
	v_mov_b32_e32 v3, 0
	v_cndmask_b32_sdwa v4, v3, v4, vcc dst_sel:DWORD dst_unused:UNUSED_PAD src0_sel:DWORD src1_sel:WORD_0
	v_or_b32_e32 v12, 0x100, v0
	s_mov_b32 s3, 0x5040100
	v_perm_b32 v1, v1, v4, s3
	v_cmp_gt_i32_e32 vcc, s10, v12
	s_nop 1
	v_cndmask_b32_e32 v11, v4, v1, vcc
	v_or_b32_e32 v1, 0x200, v0
	v_and_b32_e32 v4, 0xffff, v6
	v_cmp_gt_i32_e32 vcc, s10, v1
	s_nop 1
	v_cndmask_b32_e32 v1, 0, v4, vcc
	v_or_b32_e32 v4, 0x300, v0
	v_perm_b32 v5, v5, v1, s3
	v_cmp_gt_i32_e32 vcc, s10, v4
	v_and_b32_e32 v4, 0xffff, v8
	s_nop 0
	v_cndmask_b32_e32 v5, v1, v5, vcc
	v_or_b32_e32 v1, 0x400, v0
	v_cmp_gt_i32_e32 vcc, s10, v1
	s_nop 1
	v_cndmask_b32_e32 v1, 0, v4, vcc
	v_or_b32_e32 v4, 0x500, v0
	v_perm_b32 v6, v7, v1, s3
	v_cmp_gt_i32_e32 vcc, s10, v4
	s_nop 1
	v_cndmask_b32_e32 v4, v1, v6, vcc
	v_or_b32_e32 v1, 0x600, v0
	v_cmp_gt_i32_e32 vcc, s10, v1
	v_or_b32_e32 v6, 0x700, v0
	s_nop 0
	v_cndmask_b32_sdwa v1, v3, v10, vcc dst_sel:DWORD dst_unused:UNUSED_PAD src0_sel:DWORD src1_sel:WORD_0
	v_perm_b32 v7, v9, v1, s3
	v_cmp_gt_i32_e32 vcc, s10, v6
	s_nop 1
	v_cndmask_b32_e32 v1, v1, v7, vcc
	s_and_saveexec_b64 s[6:7], s[0:1]
	s_cbranch_execnz .LBB42_29
; %bb.20:
	s_or_b64 exec, exec, s[6:7]
	v_cmp_gt_i32_e32 vcc, s10, v0
	s_and_saveexec_b64 s[0:1], vcc
	s_cbranch_execnz .LBB42_30
.LBB42_21:
	s_or_b64 exec, exec, s[0:1]
	v_cmp_gt_i32_e32 vcc, s10, v0
	s_and_saveexec_b64 s[0:1], vcc
	s_cbranch_execnz .LBB42_31
.LBB42_22:
	s_or_b64 exec, exec, s[0:1]
	v_cmp_gt_i32_e32 vcc, s10, v0
	s_and_saveexec_b64 s[0:1], vcc
	s_cbranch_execnz .LBB42_32
.LBB42_23:
	s_or_b64 exec, exec, s[0:1]
	v_cmp_gt_i32_e32 vcc, s10, v0
	s_and_saveexec_b64 s[0:1], vcc
	s_cbranch_execnz .LBB42_33
.LBB42_24:
	s_or_b64 exec, exec, s[0:1]
	v_cmp_gt_i32_e32 vcc, s10, v0
	s_and_saveexec_b64 s[0:1], vcc
	s_cbranch_execnz .LBB42_34
.LBB42_25:
	s_or_b64 exec, exec, s[0:1]
	v_cmp_gt_i32_e32 vcc, s10, v0
	s_and_saveexec_b64 s[0:1], vcc
	s_cbranch_execnz .LBB42_35
.LBB42_26:
	s_or_b64 exec, exec, s[0:1]
	v_cmp_gt_i32_e32 vcc, s10, v0
	s_and_saveexec_b64 s[0:1], vcc
	s_cbranch_execz .LBB42_28
.LBB42_27:
	v_add_u32_e32 v2, s2, v0
	v_mov_b32_e32 v3, 0
	v_lshl_add_u64 v[2:3], v[2:3], 1, s[4:5]
	global_store_short_d16_hi v[2:3], v1, off
.LBB42_28:
	s_endpgm
.LBB42_29:
	v_lshl_add_u64 v[2:3], v[2:3], 1, s[4:5]
	v_mov_b32_e32 v0, v12
	global_store_short v[2:3], v11, off
	s_or_b64 exec, exec, s[6:7]
	v_cmp_gt_i32_e32 vcc, s10, v0
	s_and_saveexec_b64 s[0:1], vcc
	s_cbranch_execz .LBB42_21
.LBB42_30:
	v_add_u32_e32 v2, s2, v0
	v_mov_b32_e32 v3, 0
	v_lshl_add_u64 v[2:3], v[2:3], 1, s[4:5]
	v_add_u32_e32 v0, 0x100, v0
	global_store_short_d16_hi v[2:3], v11, off
	s_or_b64 exec, exec, s[0:1]
	v_cmp_gt_i32_e32 vcc, s10, v0
	s_and_saveexec_b64 s[0:1], vcc
	s_cbranch_execz .LBB42_22
.LBB42_31:
	v_add_u32_e32 v2, s2, v0
	v_mov_b32_e32 v3, 0
	v_lshl_add_u64 v[2:3], v[2:3], 1, s[4:5]
	v_add_u32_e32 v0, 0x100, v0
	global_store_short v[2:3], v5, off
	s_or_b64 exec, exec, s[0:1]
	v_cmp_gt_i32_e32 vcc, s10, v0
	s_and_saveexec_b64 s[0:1], vcc
	s_cbranch_execz .LBB42_23
.LBB42_32:
	v_add_u32_e32 v2, s2, v0
	v_mov_b32_e32 v3, 0
	v_lshl_add_u64 v[2:3], v[2:3], 1, s[4:5]
	v_add_u32_e32 v0, 0x100, v0
	global_store_short_d16_hi v[2:3], v5, off
	s_or_b64 exec, exec, s[0:1]
	v_cmp_gt_i32_e32 vcc, s10, v0
	s_and_saveexec_b64 s[0:1], vcc
	s_cbranch_execz .LBB42_24
.LBB42_33:
	v_add_u32_e32 v2, s2, v0
	v_mov_b32_e32 v3, 0
	v_lshl_add_u64 v[2:3], v[2:3], 1, s[4:5]
	v_add_u32_e32 v0, 0x100, v0
	global_store_short v[2:3], v4, off
	s_or_b64 exec, exec, s[0:1]
	v_cmp_gt_i32_e32 vcc, s10, v0
	s_and_saveexec_b64 s[0:1], vcc
	s_cbranch_execz .LBB42_25
.LBB42_34:
	v_add_u32_e32 v2, s2, v0
	v_mov_b32_e32 v3, 0
	v_lshl_add_u64 v[2:3], v[2:3], 1, s[4:5]
	v_add_u32_e32 v0, 0x100, v0
	global_store_short_d16_hi v[2:3], v4, off
	s_or_b64 exec, exec, s[0:1]
	v_cmp_gt_i32_e32 vcc, s10, v0
	s_and_saveexec_b64 s[0:1], vcc
	s_cbranch_execz .LBB42_26
.LBB42_35:
	v_add_u32_e32 v2, s2, v0
	v_mov_b32_e32 v3, 0
	v_lshl_add_u64 v[2:3], v[2:3], 1, s[4:5]
	v_add_u32_e32 v0, 0x100, v0
	global_store_short v[2:3], v1, off
	s_or_b64 exec, exec, s[0:1]
	v_cmp_gt_i32_e32 vcc, s10, v0
	s_and_saveexec_b64 s[0:1], vcc
	s_cbranch_execnz .LBB42_27
	s_branch .LBB42_28
	.section	.rodata,"a",@progbits
	.p2align	6, 0x0
	.amdhsa_kernel _ZN2at6native29vectorized_elementwise_kernelILi4EZZZNS0_23bitwise_not_kernel_cudaERNS_18TensorIteratorBaseEENKUlvE_clEvENKUlvE3_clEvEUlsE_St5arrayIPcLm2EEEEviT0_T1_
		.amdhsa_group_segment_fixed_size 0
		.amdhsa_private_segment_fixed_size 0
		.amdhsa_kernarg_size 24
		.amdhsa_user_sgpr_count 2
		.amdhsa_user_sgpr_dispatch_ptr 0
		.amdhsa_user_sgpr_queue_ptr 0
		.amdhsa_user_sgpr_kernarg_segment_ptr 1
		.amdhsa_user_sgpr_dispatch_id 0
		.amdhsa_user_sgpr_kernarg_preload_length 0
		.amdhsa_user_sgpr_kernarg_preload_offset 0
		.amdhsa_user_sgpr_private_segment_size 0
		.amdhsa_uses_dynamic_stack 0
		.amdhsa_enable_private_segment 0
		.amdhsa_system_sgpr_workgroup_id_x 1
		.amdhsa_system_sgpr_workgroup_id_y 0
		.amdhsa_system_sgpr_workgroup_id_z 0
		.amdhsa_system_sgpr_workgroup_info 0
		.amdhsa_system_vgpr_workitem_id 0
		.amdhsa_next_free_vgpr 14
		.amdhsa_next_free_sgpr 11
		.amdhsa_accum_offset 16
		.amdhsa_reserve_vcc 1
		.amdhsa_float_round_mode_32 0
		.amdhsa_float_round_mode_16_64 0
		.amdhsa_float_denorm_mode_32 3
		.amdhsa_float_denorm_mode_16_64 3
		.amdhsa_dx10_clamp 1
		.amdhsa_ieee_mode 1
		.amdhsa_fp16_overflow 0
		.amdhsa_tg_split 0
		.amdhsa_exception_fp_ieee_invalid_op 0
		.amdhsa_exception_fp_denorm_src 0
		.amdhsa_exception_fp_ieee_div_zero 0
		.amdhsa_exception_fp_ieee_overflow 0
		.amdhsa_exception_fp_ieee_underflow 0
		.amdhsa_exception_fp_ieee_inexact 0
		.amdhsa_exception_int_div_zero 0
	.end_amdhsa_kernel
	.section	.text._ZN2at6native29vectorized_elementwise_kernelILi4EZZZNS0_23bitwise_not_kernel_cudaERNS_18TensorIteratorBaseEENKUlvE_clEvENKUlvE3_clEvEUlsE_St5arrayIPcLm2EEEEviT0_T1_,"axG",@progbits,_ZN2at6native29vectorized_elementwise_kernelILi4EZZZNS0_23bitwise_not_kernel_cudaERNS_18TensorIteratorBaseEENKUlvE_clEvENKUlvE3_clEvEUlsE_St5arrayIPcLm2EEEEviT0_T1_,comdat
.Lfunc_end42:
	.size	_ZN2at6native29vectorized_elementwise_kernelILi4EZZZNS0_23bitwise_not_kernel_cudaERNS_18TensorIteratorBaseEENKUlvE_clEvENKUlvE3_clEvEUlsE_St5arrayIPcLm2EEEEviT0_T1_, .Lfunc_end42-_ZN2at6native29vectorized_elementwise_kernelILi4EZZZNS0_23bitwise_not_kernel_cudaERNS_18TensorIteratorBaseEENKUlvE_clEvENKUlvE3_clEvEUlsE_St5arrayIPcLm2EEEEviT0_T1_
                                        ; -- End function
	.set _ZN2at6native29vectorized_elementwise_kernelILi4EZZZNS0_23bitwise_not_kernel_cudaERNS_18TensorIteratorBaseEENKUlvE_clEvENKUlvE3_clEvEUlsE_St5arrayIPcLm2EEEEviT0_T1_.num_vgpr, 14
	.set _ZN2at6native29vectorized_elementwise_kernelILi4EZZZNS0_23bitwise_not_kernel_cudaERNS_18TensorIteratorBaseEENKUlvE_clEvENKUlvE3_clEvEUlsE_St5arrayIPcLm2EEEEviT0_T1_.num_agpr, 0
	.set _ZN2at6native29vectorized_elementwise_kernelILi4EZZZNS0_23bitwise_not_kernel_cudaERNS_18TensorIteratorBaseEENKUlvE_clEvENKUlvE3_clEvEUlsE_St5arrayIPcLm2EEEEviT0_T1_.numbered_sgpr, 11
	.set _ZN2at6native29vectorized_elementwise_kernelILi4EZZZNS0_23bitwise_not_kernel_cudaERNS_18TensorIteratorBaseEENKUlvE_clEvENKUlvE3_clEvEUlsE_St5arrayIPcLm2EEEEviT0_T1_.num_named_barrier, 0
	.set _ZN2at6native29vectorized_elementwise_kernelILi4EZZZNS0_23bitwise_not_kernel_cudaERNS_18TensorIteratorBaseEENKUlvE_clEvENKUlvE3_clEvEUlsE_St5arrayIPcLm2EEEEviT0_T1_.private_seg_size, 0
	.set _ZN2at6native29vectorized_elementwise_kernelILi4EZZZNS0_23bitwise_not_kernel_cudaERNS_18TensorIteratorBaseEENKUlvE_clEvENKUlvE3_clEvEUlsE_St5arrayIPcLm2EEEEviT0_T1_.uses_vcc, 1
	.set _ZN2at6native29vectorized_elementwise_kernelILi4EZZZNS0_23bitwise_not_kernel_cudaERNS_18TensorIteratorBaseEENKUlvE_clEvENKUlvE3_clEvEUlsE_St5arrayIPcLm2EEEEviT0_T1_.uses_flat_scratch, 0
	.set _ZN2at6native29vectorized_elementwise_kernelILi4EZZZNS0_23bitwise_not_kernel_cudaERNS_18TensorIteratorBaseEENKUlvE_clEvENKUlvE3_clEvEUlsE_St5arrayIPcLm2EEEEviT0_T1_.has_dyn_sized_stack, 0
	.set _ZN2at6native29vectorized_elementwise_kernelILi4EZZZNS0_23bitwise_not_kernel_cudaERNS_18TensorIteratorBaseEENKUlvE_clEvENKUlvE3_clEvEUlsE_St5arrayIPcLm2EEEEviT0_T1_.has_recursion, 0
	.set _ZN2at6native29vectorized_elementwise_kernelILi4EZZZNS0_23bitwise_not_kernel_cudaERNS_18TensorIteratorBaseEENKUlvE_clEvENKUlvE3_clEvEUlsE_St5arrayIPcLm2EEEEviT0_T1_.has_indirect_call, 0
	.section	.AMDGPU.csdata,"",@progbits
; Kernel info:
; codeLenInByte = 1332
; TotalNumSgprs: 17
; NumVgprs: 14
; NumAgprs: 0
; TotalNumVgprs: 14
; ScratchSize: 0
; MemoryBound: 0
; FloatMode: 240
; IeeeMode: 1
; LDSByteSize: 0 bytes/workgroup (compile time only)
; SGPRBlocks: 2
; VGPRBlocks: 1
; NumSGPRsForWavesPerEU: 17
; NumVGPRsForWavesPerEU: 14
; AccumOffset: 16
; Occupancy: 8
; WaveLimiterHint : 1
; COMPUTE_PGM_RSRC2:SCRATCH_EN: 0
; COMPUTE_PGM_RSRC2:USER_SGPR: 2
; COMPUTE_PGM_RSRC2:TRAP_HANDLER: 0
; COMPUTE_PGM_RSRC2:TGID_X_EN: 1
; COMPUTE_PGM_RSRC2:TGID_Y_EN: 0
; COMPUTE_PGM_RSRC2:TGID_Z_EN: 0
; COMPUTE_PGM_RSRC2:TIDIG_COMP_CNT: 0
; COMPUTE_PGM_RSRC3_GFX90A:ACCUM_OFFSET: 3
; COMPUTE_PGM_RSRC3_GFX90A:TG_SPLIT: 0
	.section	.text._ZN2at6native29vectorized_elementwise_kernelILi2EZZZNS0_23bitwise_not_kernel_cudaERNS_18TensorIteratorBaseEENKUlvE_clEvENKUlvE3_clEvEUlsE_St5arrayIPcLm2EEEEviT0_T1_,"axG",@progbits,_ZN2at6native29vectorized_elementwise_kernelILi2EZZZNS0_23bitwise_not_kernel_cudaERNS_18TensorIteratorBaseEENKUlvE_clEvENKUlvE3_clEvEUlsE_St5arrayIPcLm2EEEEviT0_T1_,comdat
	.globl	_ZN2at6native29vectorized_elementwise_kernelILi2EZZZNS0_23bitwise_not_kernel_cudaERNS_18TensorIteratorBaseEENKUlvE_clEvENKUlvE3_clEvEUlsE_St5arrayIPcLm2EEEEviT0_T1_ ; -- Begin function _ZN2at6native29vectorized_elementwise_kernelILi2EZZZNS0_23bitwise_not_kernel_cudaERNS_18TensorIteratorBaseEENKUlvE_clEvENKUlvE3_clEvEUlsE_St5arrayIPcLm2EEEEviT0_T1_
	.p2align	8
	.type	_ZN2at6native29vectorized_elementwise_kernelILi2EZZZNS0_23bitwise_not_kernel_cudaERNS_18TensorIteratorBaseEENKUlvE_clEvENKUlvE3_clEvEUlsE_St5arrayIPcLm2EEEEviT0_T1_,@function
_ZN2at6native29vectorized_elementwise_kernelILi2EZZZNS0_23bitwise_not_kernel_cudaERNS_18TensorIteratorBaseEENKUlvE_clEvENKUlvE3_clEvEUlsE_St5arrayIPcLm2EEEEviT0_T1_: ; @_ZN2at6native29vectorized_elementwise_kernelILi2EZZZNS0_23bitwise_not_kernel_cudaERNS_18TensorIteratorBaseEENKUlvE_clEvENKUlvE3_clEvEUlsE_St5arrayIPcLm2EEEEviT0_T1_
; %bb.0:
	s_load_dword s3, s[0:1], 0x0
	s_load_dwordx4 s[4:7], s[0:1], 0x8
	s_lshl_b32 s2, s2, 11
	s_mov_b64 s[0:1], -1
	s_waitcnt lgkmcnt(0)
	s_sub_i32 s10, s3, s2
	s_cmpk_gt_i32 s10, 0x7ff
	s_cbranch_scc0 .LBB43_2
; %bb.1:
	s_ashr_i32 s3, s2, 31
	s_lshl_b64 s[0:1], s[2:3], 1
	s_add_u32 s8, s6, s0
	s_addc_u32 s9, s7, s1
	v_lshlrev_b32_e32 v1, 2, v0
	global_load_dword v2, v1, s[8:9] offset:3072
	global_load_dword v3, v1, s[8:9] offset:2048
	;; [unrolled: 1-line block ×3, first 2 shown]
	global_load_dword v5, v1, s[8:9]
	s_add_u32 s0, s4, s0
	s_addc_u32 s1, s5, s1
	s_waitcnt vmcnt(3)
	v_not_b32_e32 v2, v2
	s_waitcnt vmcnt(2)
	v_not_b32_e32 v3, v3
	;; [unrolled: 2-line block ×4, first 2 shown]
	global_store_dword v1, v5, s[0:1]
	global_store_dword v1, v4, s[0:1] offset:1024
	global_store_dword v1, v3, s[0:1] offset:2048
	;; [unrolled: 1-line block ×3, first 2 shown]
	s_mov_b64 s[0:1], 0
.LBB43_2:
	s_andn2_b64 vcc, exec, s[0:1]
	s_cbranch_vccnz .LBB43_28
; %bb.3:
	v_cmp_gt_i32_e64 s[0:1], s10, v0
	v_mov_b32_e32 v1, -1
	v_or_b32_e32 v2, s2, v0
	v_mov_b32_e32 v4, -1
	v_mov_b32_e32 v3, v0
	s_and_saveexec_b64 s[8:9], s[0:1]
	s_cbranch_execz .LBB43_5
; %bb.4:
	v_mov_b32_e32 v3, 0
	v_lshl_add_u64 v[4:5], v[2:3], 1, s[6:7]
	global_load_ushort v4, v[4:5], off
	v_or_b32_e32 v3, 0x100, v0
	s_waitcnt vmcnt(0)
	v_xor_b32_e32 v4, -1, v4
.LBB43_5:
	s_or_b64 exec, exec, s[8:9]
	v_cmp_gt_i32_e32 vcc, s10, v3
	s_and_saveexec_b64 s[8:9], vcc
	s_cbranch_execz .LBB43_7
; %bb.6:
	v_add_u32_e32 v6, s2, v3
	v_mov_b32_e32 v7, 0
	v_lshl_add_u64 v[6:7], v[6:7], 1, s[6:7]
	global_load_ushort v1, v[6:7], off
	v_add_u32_e32 v3, 0x100, v3
	s_waitcnt vmcnt(0)
	v_xor_b32_e32 v1, -1, v1
.LBB43_7:
	s_or_b64 exec, exec, s[8:9]
	v_cmp_gt_i32_e32 vcc, s10, v3
	v_mov_b32_e32 v5, -1
	v_mov_b32_e32 v6, -1
	s_and_saveexec_b64 s[8:9], vcc
	s_cbranch_execz .LBB43_9
; %bb.8:
	v_add_u32_e32 v6, s2, v3
	v_mov_b32_e32 v7, 0
	v_lshl_add_u64 v[6:7], v[6:7], 1, s[6:7]
	global_load_ushort v6, v[6:7], off
	v_add_u32_e32 v3, 0x100, v3
	s_waitcnt vmcnt(0)
	v_xor_b32_e32 v6, -1, v6
.LBB43_9:
	s_or_b64 exec, exec, s[8:9]
	v_cmp_gt_i32_e32 vcc, s10, v3
	s_and_saveexec_b64 s[8:9], vcc
	s_cbranch_execz .LBB43_11
; %bb.10:
	v_add_u32_e32 v8, s2, v3
	v_mov_b32_e32 v9, 0
	v_lshl_add_u64 v[8:9], v[8:9], 1, s[6:7]
	global_load_ushort v5, v[8:9], off
	v_add_u32_e32 v3, 0x100, v3
	s_waitcnt vmcnt(0)
	v_xor_b32_e32 v5, -1, v5
.LBB43_11:
	s_or_b64 exec, exec, s[8:9]
	v_cmp_gt_i32_e32 vcc, s10, v3
	v_mov_b32_e32 v7, -1
	v_mov_b32_e32 v8, -1
	s_and_saveexec_b64 s[8:9], vcc
	s_cbranch_execz .LBB43_13
; %bb.12:
	v_add_u32_e32 v8, s2, v3
	v_mov_b32_e32 v9, 0
	v_lshl_add_u64 v[8:9], v[8:9], 1, s[6:7]
	global_load_ushort v8, v[8:9], off
	v_add_u32_e32 v3, 0x100, v3
	s_waitcnt vmcnt(0)
	v_xor_b32_e32 v8, -1, v8
.LBB43_13:
	s_or_b64 exec, exec, s[8:9]
	v_cmp_gt_i32_e32 vcc, s10, v3
	s_and_saveexec_b64 s[8:9], vcc
	s_cbranch_execz .LBB43_15
; %bb.14:
	v_add_u32_e32 v10, s2, v3
	v_mov_b32_e32 v11, 0
	v_lshl_add_u64 v[10:11], v[10:11], 1, s[6:7]
	global_load_ushort v7, v[10:11], off
	v_add_u32_e32 v3, 0x100, v3
	s_waitcnt vmcnt(0)
	v_xor_b32_e32 v7, -1, v7
.LBB43_15:
	s_or_b64 exec, exec, s[8:9]
	v_cmp_gt_i32_e32 vcc, s10, v3
	v_mov_b32_e32 v9, -1
	v_mov_b32_e32 v10, -1
	s_and_saveexec_b64 s[8:9], vcc
	s_cbranch_execz .LBB43_17
; %bb.16:
	v_add_u32_e32 v10, s2, v3
	v_mov_b32_e32 v11, 0
	v_lshl_add_u64 v[10:11], v[10:11], 1, s[6:7]
	global_load_ushort v10, v[10:11], off
	v_add_u32_e32 v3, 0x100, v3
	s_waitcnt vmcnt(0)
	v_xor_b32_e32 v10, -1, v10
.LBB43_17:
	s_or_b64 exec, exec, s[8:9]
	v_cmp_gt_i32_e32 vcc, s10, v3
	s_and_saveexec_b64 s[8:9], vcc
	s_cbranch_execz .LBB43_19
; %bb.18:
	v_add_u32_e32 v12, s2, v3
	v_mov_b32_e32 v13, 0
	v_lshl_add_u64 v[12:13], v[12:13], 1, s[6:7]
	global_load_ushort v3, v[12:13], off
	s_waitcnt vmcnt(0)
	v_xor_b32_e32 v9, -1, v3
.LBB43_19:
	s_or_b64 exec, exec, s[8:9]
	s_mov_b64 vcc, s[0:1]
	v_mov_b32_e32 v3, 0
	v_cndmask_b32_sdwa v4, v3, v4, vcc dst_sel:DWORD dst_unused:UNUSED_PAD src0_sel:DWORD src1_sel:WORD_0
	v_or_b32_e32 v12, 0x100, v0
	s_mov_b32 s3, 0x5040100
	v_perm_b32 v1, v1, v4, s3
	v_cmp_gt_i32_e32 vcc, s10, v12
	s_nop 1
	v_cndmask_b32_e32 v11, v4, v1, vcc
	v_or_b32_e32 v1, 0x200, v0
	v_and_b32_e32 v4, 0xffff, v6
	v_cmp_gt_i32_e32 vcc, s10, v1
	s_nop 1
	v_cndmask_b32_e32 v1, 0, v4, vcc
	v_or_b32_e32 v4, 0x300, v0
	v_perm_b32 v5, v5, v1, s3
	v_cmp_gt_i32_e32 vcc, s10, v4
	v_and_b32_e32 v4, 0xffff, v8
	s_nop 0
	v_cndmask_b32_e32 v5, v1, v5, vcc
	v_or_b32_e32 v1, 0x400, v0
	v_cmp_gt_i32_e32 vcc, s10, v1
	s_nop 1
	v_cndmask_b32_e32 v1, 0, v4, vcc
	v_or_b32_e32 v4, 0x500, v0
	v_perm_b32 v6, v7, v1, s3
	v_cmp_gt_i32_e32 vcc, s10, v4
	s_nop 1
	v_cndmask_b32_e32 v4, v1, v6, vcc
	v_or_b32_e32 v1, 0x600, v0
	v_cmp_gt_i32_e32 vcc, s10, v1
	v_or_b32_e32 v6, 0x700, v0
	s_nop 0
	v_cndmask_b32_sdwa v1, v3, v10, vcc dst_sel:DWORD dst_unused:UNUSED_PAD src0_sel:DWORD src1_sel:WORD_0
	v_perm_b32 v7, v9, v1, s3
	v_cmp_gt_i32_e32 vcc, s10, v6
	s_nop 1
	v_cndmask_b32_e32 v1, v1, v7, vcc
	s_and_saveexec_b64 s[6:7], s[0:1]
	s_cbranch_execnz .LBB43_29
; %bb.20:
	s_or_b64 exec, exec, s[6:7]
	v_cmp_gt_i32_e32 vcc, s10, v0
	s_and_saveexec_b64 s[0:1], vcc
	s_cbranch_execnz .LBB43_30
.LBB43_21:
	s_or_b64 exec, exec, s[0:1]
	v_cmp_gt_i32_e32 vcc, s10, v0
	s_and_saveexec_b64 s[0:1], vcc
	s_cbranch_execnz .LBB43_31
.LBB43_22:
	s_or_b64 exec, exec, s[0:1]
	v_cmp_gt_i32_e32 vcc, s10, v0
	s_and_saveexec_b64 s[0:1], vcc
	s_cbranch_execnz .LBB43_32
.LBB43_23:
	s_or_b64 exec, exec, s[0:1]
	v_cmp_gt_i32_e32 vcc, s10, v0
	s_and_saveexec_b64 s[0:1], vcc
	s_cbranch_execnz .LBB43_33
.LBB43_24:
	s_or_b64 exec, exec, s[0:1]
	v_cmp_gt_i32_e32 vcc, s10, v0
	s_and_saveexec_b64 s[0:1], vcc
	s_cbranch_execnz .LBB43_34
.LBB43_25:
	s_or_b64 exec, exec, s[0:1]
	v_cmp_gt_i32_e32 vcc, s10, v0
	s_and_saveexec_b64 s[0:1], vcc
	s_cbranch_execnz .LBB43_35
.LBB43_26:
	s_or_b64 exec, exec, s[0:1]
	v_cmp_gt_i32_e32 vcc, s10, v0
	s_and_saveexec_b64 s[0:1], vcc
	s_cbranch_execz .LBB43_28
.LBB43_27:
	v_add_u32_e32 v2, s2, v0
	v_mov_b32_e32 v3, 0
	v_lshl_add_u64 v[2:3], v[2:3], 1, s[4:5]
	global_store_short_d16_hi v[2:3], v1, off
.LBB43_28:
	s_endpgm
.LBB43_29:
	v_lshl_add_u64 v[2:3], v[2:3], 1, s[4:5]
	v_mov_b32_e32 v0, v12
	global_store_short v[2:3], v11, off
	s_or_b64 exec, exec, s[6:7]
	v_cmp_gt_i32_e32 vcc, s10, v0
	s_and_saveexec_b64 s[0:1], vcc
	s_cbranch_execz .LBB43_21
.LBB43_30:
	v_add_u32_e32 v2, s2, v0
	v_mov_b32_e32 v3, 0
	v_lshl_add_u64 v[2:3], v[2:3], 1, s[4:5]
	v_add_u32_e32 v0, 0x100, v0
	global_store_short_d16_hi v[2:3], v11, off
	s_or_b64 exec, exec, s[0:1]
	v_cmp_gt_i32_e32 vcc, s10, v0
	s_and_saveexec_b64 s[0:1], vcc
	s_cbranch_execz .LBB43_22
.LBB43_31:
	v_add_u32_e32 v2, s2, v0
	v_mov_b32_e32 v3, 0
	v_lshl_add_u64 v[2:3], v[2:3], 1, s[4:5]
	v_add_u32_e32 v0, 0x100, v0
	global_store_short v[2:3], v5, off
	s_or_b64 exec, exec, s[0:1]
	v_cmp_gt_i32_e32 vcc, s10, v0
	s_and_saveexec_b64 s[0:1], vcc
	s_cbranch_execz .LBB43_23
.LBB43_32:
	v_add_u32_e32 v2, s2, v0
	v_mov_b32_e32 v3, 0
	v_lshl_add_u64 v[2:3], v[2:3], 1, s[4:5]
	v_add_u32_e32 v0, 0x100, v0
	global_store_short_d16_hi v[2:3], v5, off
	s_or_b64 exec, exec, s[0:1]
	v_cmp_gt_i32_e32 vcc, s10, v0
	s_and_saveexec_b64 s[0:1], vcc
	s_cbranch_execz .LBB43_24
.LBB43_33:
	v_add_u32_e32 v2, s2, v0
	v_mov_b32_e32 v3, 0
	v_lshl_add_u64 v[2:3], v[2:3], 1, s[4:5]
	v_add_u32_e32 v0, 0x100, v0
	global_store_short v[2:3], v4, off
	s_or_b64 exec, exec, s[0:1]
	v_cmp_gt_i32_e32 vcc, s10, v0
	s_and_saveexec_b64 s[0:1], vcc
	s_cbranch_execz .LBB43_25
.LBB43_34:
	v_add_u32_e32 v2, s2, v0
	v_mov_b32_e32 v3, 0
	v_lshl_add_u64 v[2:3], v[2:3], 1, s[4:5]
	v_add_u32_e32 v0, 0x100, v0
	global_store_short_d16_hi v[2:3], v4, off
	s_or_b64 exec, exec, s[0:1]
	v_cmp_gt_i32_e32 vcc, s10, v0
	s_and_saveexec_b64 s[0:1], vcc
	s_cbranch_execz .LBB43_26
.LBB43_35:
	v_add_u32_e32 v2, s2, v0
	v_mov_b32_e32 v3, 0
	v_lshl_add_u64 v[2:3], v[2:3], 1, s[4:5]
	v_add_u32_e32 v0, 0x100, v0
	global_store_short v[2:3], v1, off
	s_or_b64 exec, exec, s[0:1]
	v_cmp_gt_i32_e32 vcc, s10, v0
	s_and_saveexec_b64 s[0:1], vcc
	s_cbranch_execnz .LBB43_27
	s_branch .LBB43_28
	.section	.rodata,"a",@progbits
	.p2align	6, 0x0
	.amdhsa_kernel _ZN2at6native29vectorized_elementwise_kernelILi2EZZZNS0_23bitwise_not_kernel_cudaERNS_18TensorIteratorBaseEENKUlvE_clEvENKUlvE3_clEvEUlsE_St5arrayIPcLm2EEEEviT0_T1_
		.amdhsa_group_segment_fixed_size 0
		.amdhsa_private_segment_fixed_size 0
		.amdhsa_kernarg_size 24
		.amdhsa_user_sgpr_count 2
		.amdhsa_user_sgpr_dispatch_ptr 0
		.amdhsa_user_sgpr_queue_ptr 0
		.amdhsa_user_sgpr_kernarg_segment_ptr 1
		.amdhsa_user_sgpr_dispatch_id 0
		.amdhsa_user_sgpr_kernarg_preload_length 0
		.amdhsa_user_sgpr_kernarg_preload_offset 0
		.amdhsa_user_sgpr_private_segment_size 0
		.amdhsa_uses_dynamic_stack 0
		.amdhsa_enable_private_segment 0
		.amdhsa_system_sgpr_workgroup_id_x 1
		.amdhsa_system_sgpr_workgroup_id_y 0
		.amdhsa_system_sgpr_workgroup_id_z 0
		.amdhsa_system_sgpr_workgroup_info 0
		.amdhsa_system_vgpr_workitem_id 0
		.amdhsa_next_free_vgpr 14
		.amdhsa_next_free_sgpr 11
		.amdhsa_accum_offset 16
		.amdhsa_reserve_vcc 1
		.amdhsa_float_round_mode_32 0
		.amdhsa_float_round_mode_16_64 0
		.amdhsa_float_denorm_mode_32 3
		.amdhsa_float_denorm_mode_16_64 3
		.amdhsa_dx10_clamp 1
		.amdhsa_ieee_mode 1
		.amdhsa_fp16_overflow 0
		.amdhsa_tg_split 0
		.amdhsa_exception_fp_ieee_invalid_op 0
		.amdhsa_exception_fp_denorm_src 0
		.amdhsa_exception_fp_ieee_div_zero 0
		.amdhsa_exception_fp_ieee_overflow 0
		.amdhsa_exception_fp_ieee_underflow 0
		.amdhsa_exception_fp_ieee_inexact 0
		.amdhsa_exception_int_div_zero 0
	.end_amdhsa_kernel
	.section	.text._ZN2at6native29vectorized_elementwise_kernelILi2EZZZNS0_23bitwise_not_kernel_cudaERNS_18TensorIteratorBaseEENKUlvE_clEvENKUlvE3_clEvEUlsE_St5arrayIPcLm2EEEEviT0_T1_,"axG",@progbits,_ZN2at6native29vectorized_elementwise_kernelILi2EZZZNS0_23bitwise_not_kernel_cudaERNS_18TensorIteratorBaseEENKUlvE_clEvENKUlvE3_clEvEUlsE_St5arrayIPcLm2EEEEviT0_T1_,comdat
.Lfunc_end43:
	.size	_ZN2at6native29vectorized_elementwise_kernelILi2EZZZNS0_23bitwise_not_kernel_cudaERNS_18TensorIteratorBaseEENKUlvE_clEvENKUlvE3_clEvEUlsE_St5arrayIPcLm2EEEEviT0_T1_, .Lfunc_end43-_ZN2at6native29vectorized_elementwise_kernelILi2EZZZNS0_23bitwise_not_kernel_cudaERNS_18TensorIteratorBaseEENKUlvE_clEvENKUlvE3_clEvEUlsE_St5arrayIPcLm2EEEEviT0_T1_
                                        ; -- End function
	.set _ZN2at6native29vectorized_elementwise_kernelILi2EZZZNS0_23bitwise_not_kernel_cudaERNS_18TensorIteratorBaseEENKUlvE_clEvENKUlvE3_clEvEUlsE_St5arrayIPcLm2EEEEviT0_T1_.num_vgpr, 14
	.set _ZN2at6native29vectorized_elementwise_kernelILi2EZZZNS0_23bitwise_not_kernel_cudaERNS_18TensorIteratorBaseEENKUlvE_clEvENKUlvE3_clEvEUlsE_St5arrayIPcLm2EEEEviT0_T1_.num_agpr, 0
	.set _ZN2at6native29vectorized_elementwise_kernelILi2EZZZNS0_23bitwise_not_kernel_cudaERNS_18TensorIteratorBaseEENKUlvE_clEvENKUlvE3_clEvEUlsE_St5arrayIPcLm2EEEEviT0_T1_.numbered_sgpr, 11
	.set _ZN2at6native29vectorized_elementwise_kernelILi2EZZZNS0_23bitwise_not_kernel_cudaERNS_18TensorIteratorBaseEENKUlvE_clEvENKUlvE3_clEvEUlsE_St5arrayIPcLm2EEEEviT0_T1_.num_named_barrier, 0
	.set _ZN2at6native29vectorized_elementwise_kernelILi2EZZZNS0_23bitwise_not_kernel_cudaERNS_18TensorIteratorBaseEENKUlvE_clEvENKUlvE3_clEvEUlsE_St5arrayIPcLm2EEEEviT0_T1_.private_seg_size, 0
	.set _ZN2at6native29vectorized_elementwise_kernelILi2EZZZNS0_23bitwise_not_kernel_cudaERNS_18TensorIteratorBaseEENKUlvE_clEvENKUlvE3_clEvEUlsE_St5arrayIPcLm2EEEEviT0_T1_.uses_vcc, 1
	.set _ZN2at6native29vectorized_elementwise_kernelILi2EZZZNS0_23bitwise_not_kernel_cudaERNS_18TensorIteratorBaseEENKUlvE_clEvENKUlvE3_clEvEUlsE_St5arrayIPcLm2EEEEviT0_T1_.uses_flat_scratch, 0
	.set _ZN2at6native29vectorized_elementwise_kernelILi2EZZZNS0_23bitwise_not_kernel_cudaERNS_18TensorIteratorBaseEENKUlvE_clEvENKUlvE3_clEvEUlsE_St5arrayIPcLm2EEEEviT0_T1_.has_dyn_sized_stack, 0
	.set _ZN2at6native29vectorized_elementwise_kernelILi2EZZZNS0_23bitwise_not_kernel_cudaERNS_18TensorIteratorBaseEENKUlvE_clEvENKUlvE3_clEvEUlsE_St5arrayIPcLm2EEEEviT0_T1_.has_recursion, 0
	.set _ZN2at6native29vectorized_elementwise_kernelILi2EZZZNS0_23bitwise_not_kernel_cudaERNS_18TensorIteratorBaseEENKUlvE_clEvENKUlvE3_clEvEUlsE_St5arrayIPcLm2EEEEviT0_T1_.has_indirect_call, 0
	.section	.AMDGPU.csdata,"",@progbits
; Kernel info:
; codeLenInByte = 1348
; TotalNumSgprs: 17
; NumVgprs: 14
; NumAgprs: 0
; TotalNumVgprs: 14
; ScratchSize: 0
; MemoryBound: 0
; FloatMode: 240
; IeeeMode: 1
; LDSByteSize: 0 bytes/workgroup (compile time only)
; SGPRBlocks: 2
; VGPRBlocks: 1
; NumSGPRsForWavesPerEU: 17
; NumVGPRsForWavesPerEU: 14
; AccumOffset: 16
; Occupancy: 8
; WaveLimiterHint : 1
; COMPUTE_PGM_RSRC2:SCRATCH_EN: 0
; COMPUTE_PGM_RSRC2:USER_SGPR: 2
; COMPUTE_PGM_RSRC2:TRAP_HANDLER: 0
; COMPUTE_PGM_RSRC2:TGID_X_EN: 1
; COMPUTE_PGM_RSRC2:TGID_Y_EN: 0
; COMPUTE_PGM_RSRC2:TGID_Z_EN: 0
; COMPUTE_PGM_RSRC2:TIDIG_COMP_CNT: 0
; COMPUTE_PGM_RSRC3_GFX90A:ACCUM_OFFSET: 3
; COMPUTE_PGM_RSRC3_GFX90A:TG_SPLIT: 0
	.section	.text._ZN2at6native27unrolled_elementwise_kernelIZZZNS0_23bitwise_not_kernel_cudaERNS_18TensorIteratorBaseEENKUlvE_clEvENKUlvE3_clEvEUlsE_St5arrayIPcLm2EELi4E23TrivialOffsetCalculatorILi1EjESB_NS0_6memory15LoadWithoutCastENSC_16StoreWithoutCastEEEviT_T0_T2_T3_T4_T5_,"axG",@progbits,_ZN2at6native27unrolled_elementwise_kernelIZZZNS0_23bitwise_not_kernel_cudaERNS_18TensorIteratorBaseEENKUlvE_clEvENKUlvE3_clEvEUlsE_St5arrayIPcLm2EELi4E23TrivialOffsetCalculatorILi1EjESB_NS0_6memory15LoadWithoutCastENSC_16StoreWithoutCastEEEviT_T0_T2_T3_T4_T5_,comdat
	.globl	_ZN2at6native27unrolled_elementwise_kernelIZZZNS0_23bitwise_not_kernel_cudaERNS_18TensorIteratorBaseEENKUlvE_clEvENKUlvE3_clEvEUlsE_St5arrayIPcLm2EELi4E23TrivialOffsetCalculatorILi1EjESB_NS0_6memory15LoadWithoutCastENSC_16StoreWithoutCastEEEviT_T0_T2_T3_T4_T5_ ; -- Begin function _ZN2at6native27unrolled_elementwise_kernelIZZZNS0_23bitwise_not_kernel_cudaERNS_18TensorIteratorBaseEENKUlvE_clEvENKUlvE3_clEvEUlsE_St5arrayIPcLm2EELi4E23TrivialOffsetCalculatorILi1EjESB_NS0_6memory15LoadWithoutCastENSC_16StoreWithoutCastEEEviT_T0_T2_T3_T4_T5_
	.p2align	8
	.type	_ZN2at6native27unrolled_elementwise_kernelIZZZNS0_23bitwise_not_kernel_cudaERNS_18TensorIteratorBaseEENKUlvE_clEvENKUlvE3_clEvEUlsE_St5arrayIPcLm2EELi4E23TrivialOffsetCalculatorILi1EjESB_NS0_6memory15LoadWithoutCastENSC_16StoreWithoutCastEEEviT_T0_T2_T3_T4_T5_,@function
_ZN2at6native27unrolled_elementwise_kernelIZZZNS0_23bitwise_not_kernel_cudaERNS_18TensorIteratorBaseEENKUlvE_clEvENKUlvE3_clEvEUlsE_St5arrayIPcLm2EELi4E23TrivialOffsetCalculatorILi1EjESB_NS0_6memory15LoadWithoutCastENSC_16StoreWithoutCastEEEviT_T0_T2_T3_T4_T5_: ; @_ZN2at6native27unrolled_elementwise_kernelIZZZNS0_23bitwise_not_kernel_cudaERNS_18TensorIteratorBaseEENKUlvE_clEvENKUlvE3_clEvEUlsE_St5arrayIPcLm2EELi4E23TrivialOffsetCalculatorILi1EjESB_NS0_6memory15LoadWithoutCastENSC_16StoreWithoutCastEEEviT_T0_T2_T3_T4_T5_
; %bb.0:
	s_load_dword s3, s[0:1], 0x0
	s_load_dwordx4 s[4:7], s[0:1], 0x8
	s_lshl_b32 s8, s2, 10
	v_mov_b32_e32 v1, -1
	v_or_b32_e32 v2, s8, v0
	s_waitcnt lgkmcnt(0)
	s_sub_i32 s9, s3, s8
	v_cmp_gt_i32_e64 s[0:1], s9, v0
	v_mov_b32_e32 v4, -1
	v_mov_b32_e32 v3, v0
	s_and_saveexec_b64 s[2:3], s[0:1]
	s_cbranch_execz .LBB44_2
; %bb.1:
	v_mov_b32_e32 v3, 0
	v_lshl_add_u64 v[4:5], v[2:3], 1, s[6:7]
	global_load_ushort v4, v[4:5], off
	v_or_b32_e32 v3, 0x100, v0
	s_waitcnt vmcnt(0)
	v_xor_b32_e32 v4, -1, v4
.LBB44_2:
	s_or_b64 exec, exec, s[2:3]
	v_cmp_gt_i32_e32 vcc, s9, v3
	s_and_saveexec_b64 s[2:3], vcc
	s_cbranch_execz .LBB44_4
; %bb.3:
	v_add_u32_e32 v6, s8, v3
	v_mov_b32_e32 v7, 0
	v_lshl_add_u64 v[6:7], v[6:7], 1, s[6:7]
	global_load_ushort v1, v[6:7], off
	v_add_u32_e32 v3, 0x100, v3
	s_waitcnt vmcnt(0)
	v_xor_b32_e32 v1, -1, v1
.LBB44_4:
	s_or_b64 exec, exec, s[2:3]
	v_cmp_gt_i32_e32 vcc, s9, v3
	v_mov_b32_e32 v5, -1
	v_mov_b32_e32 v6, -1
	s_and_saveexec_b64 s[2:3], vcc
	s_cbranch_execz .LBB44_6
; %bb.5:
	v_add_u32_e32 v6, s8, v3
	v_mov_b32_e32 v7, 0
	v_lshl_add_u64 v[6:7], v[6:7], 1, s[6:7]
	global_load_ushort v6, v[6:7], off
	v_add_u32_e32 v3, 0x100, v3
	s_waitcnt vmcnt(0)
	v_xor_b32_e32 v6, -1, v6
.LBB44_6:
	s_or_b64 exec, exec, s[2:3]
	v_cmp_gt_i32_e32 vcc, s9, v3
	s_and_saveexec_b64 s[2:3], vcc
	s_cbranch_execz .LBB44_8
; %bb.7:
	v_add_u32_e32 v8, s8, v3
	v_mov_b32_e32 v9, 0
	v_lshl_add_u64 v[8:9], v[8:9], 1, s[6:7]
	global_load_ushort v3, v[8:9], off
	s_waitcnt vmcnt(0)
	v_xor_b32_e32 v5, -1, v3
.LBB44_8:
	s_or_b64 exec, exec, s[2:3]
	s_mov_b64 vcc, s[0:1]
	v_mov_b32_e32 v3, 0
	v_cndmask_b32_sdwa v4, v3, v4, vcc dst_sel:DWORD dst_unused:UNUSED_PAD src0_sel:DWORD src1_sel:WORD_0
	v_or_b32_e32 v7, 0x100, v0
	s_mov_b32 s2, 0x5040100
	v_perm_b32 v1, v1, v4, s2
	v_cmp_gt_i32_e32 vcc, s9, v7
	s_nop 1
	v_cndmask_b32_e32 v4, v4, v1, vcc
	v_or_b32_e32 v1, 0x200, v0
	v_cmp_gt_i32_e32 vcc, s9, v1
	s_nop 1
	v_cndmask_b32_sdwa v1, v3, v6, vcc dst_sel:DWORD dst_unused:UNUSED_PAD src0_sel:DWORD src1_sel:WORD_0
	v_or_b32_e32 v6, 0x300, v0
	v_perm_b32 v5, v5, v1, s2
	v_cmp_gt_i32_e32 vcc, s9, v6
	s_nop 1
	v_cndmask_b32_e32 v1, v1, v5, vcc
	s_and_saveexec_b64 s[2:3], s[0:1]
	s_cbranch_execnz .LBB44_13
; %bb.9:
	s_or_b64 exec, exec, s[2:3]
	v_cmp_gt_i32_e32 vcc, s9, v0
	s_and_saveexec_b64 s[0:1], vcc
	s_cbranch_execnz .LBB44_14
.LBB44_10:
	s_or_b64 exec, exec, s[0:1]
	v_cmp_gt_i32_e32 vcc, s9, v0
	s_and_saveexec_b64 s[0:1], vcc
	s_cbranch_execnz .LBB44_15
.LBB44_11:
	s_or_b64 exec, exec, s[0:1]
	v_cmp_gt_i32_e32 vcc, s9, v0
	s_and_saveexec_b64 s[0:1], vcc
	s_cbranch_execnz .LBB44_16
.LBB44_12:
	s_endpgm
.LBB44_13:
	v_lshl_add_u64 v[2:3], v[2:3], 1, s[4:5]
	v_mov_b32_e32 v0, v7
	global_store_short v[2:3], v4, off
	s_or_b64 exec, exec, s[2:3]
	v_cmp_gt_i32_e32 vcc, s9, v0
	s_and_saveexec_b64 s[0:1], vcc
	s_cbranch_execz .LBB44_10
.LBB44_14:
	v_add_u32_e32 v5, 0x100, v0
	v_add_u32_e32 v2, s8, v0
	v_mov_b32_e32 v3, 0
	v_lshl_add_u64 v[2:3], v[2:3], 1, s[4:5]
	v_mov_b32_e32 v0, v5
	global_store_short_d16_hi v[2:3], v4, off
	s_or_b64 exec, exec, s[0:1]
	v_cmp_gt_i32_e32 vcc, s9, v0
	s_and_saveexec_b64 s[0:1], vcc
	s_cbranch_execz .LBB44_11
.LBB44_15:
	v_add_u32_e32 v4, 0x100, v0
	v_add_u32_e32 v2, s8, v0
	v_mov_b32_e32 v3, 0
	v_lshl_add_u64 v[2:3], v[2:3], 1, s[4:5]
	v_mov_b32_e32 v0, v4
	global_store_short v[2:3], v1, off
	s_or_b64 exec, exec, s[0:1]
	v_cmp_gt_i32_e32 vcc, s9, v0
	s_and_saveexec_b64 s[0:1], vcc
	s_cbranch_execz .LBB44_12
.LBB44_16:
	v_add_u32_e32 v2, s8, v0
	v_mov_b32_e32 v3, 0
	v_lshl_add_u64 v[2:3], v[2:3], 1, s[4:5]
	global_store_short_d16_hi v[2:3], v1, off
	s_endpgm
	.section	.rodata,"a",@progbits
	.p2align	6, 0x0
	.amdhsa_kernel _ZN2at6native27unrolled_elementwise_kernelIZZZNS0_23bitwise_not_kernel_cudaERNS_18TensorIteratorBaseEENKUlvE_clEvENKUlvE3_clEvEUlsE_St5arrayIPcLm2EELi4E23TrivialOffsetCalculatorILi1EjESB_NS0_6memory15LoadWithoutCastENSC_16StoreWithoutCastEEEviT_T0_T2_T3_T4_T5_
		.amdhsa_group_segment_fixed_size 0
		.amdhsa_private_segment_fixed_size 0
		.amdhsa_kernarg_size 28
		.amdhsa_user_sgpr_count 2
		.amdhsa_user_sgpr_dispatch_ptr 0
		.amdhsa_user_sgpr_queue_ptr 0
		.amdhsa_user_sgpr_kernarg_segment_ptr 1
		.amdhsa_user_sgpr_dispatch_id 0
		.amdhsa_user_sgpr_kernarg_preload_length 0
		.amdhsa_user_sgpr_kernarg_preload_offset 0
		.amdhsa_user_sgpr_private_segment_size 0
		.amdhsa_uses_dynamic_stack 0
		.amdhsa_enable_private_segment 0
		.amdhsa_system_sgpr_workgroup_id_x 1
		.amdhsa_system_sgpr_workgroup_id_y 0
		.amdhsa_system_sgpr_workgroup_id_z 0
		.amdhsa_system_sgpr_workgroup_info 0
		.amdhsa_system_vgpr_workitem_id 0
		.amdhsa_next_free_vgpr 10
		.amdhsa_next_free_sgpr 10
		.amdhsa_accum_offset 12
		.amdhsa_reserve_vcc 1
		.amdhsa_float_round_mode_32 0
		.amdhsa_float_round_mode_16_64 0
		.amdhsa_float_denorm_mode_32 3
		.amdhsa_float_denorm_mode_16_64 3
		.amdhsa_dx10_clamp 1
		.amdhsa_ieee_mode 1
		.amdhsa_fp16_overflow 0
		.amdhsa_tg_split 0
		.amdhsa_exception_fp_ieee_invalid_op 0
		.amdhsa_exception_fp_denorm_src 0
		.amdhsa_exception_fp_ieee_div_zero 0
		.amdhsa_exception_fp_ieee_overflow 0
		.amdhsa_exception_fp_ieee_underflow 0
		.amdhsa_exception_fp_ieee_inexact 0
		.amdhsa_exception_int_div_zero 0
	.end_amdhsa_kernel
	.section	.text._ZN2at6native27unrolled_elementwise_kernelIZZZNS0_23bitwise_not_kernel_cudaERNS_18TensorIteratorBaseEENKUlvE_clEvENKUlvE3_clEvEUlsE_St5arrayIPcLm2EELi4E23TrivialOffsetCalculatorILi1EjESB_NS0_6memory15LoadWithoutCastENSC_16StoreWithoutCastEEEviT_T0_T2_T3_T4_T5_,"axG",@progbits,_ZN2at6native27unrolled_elementwise_kernelIZZZNS0_23bitwise_not_kernel_cudaERNS_18TensorIteratorBaseEENKUlvE_clEvENKUlvE3_clEvEUlsE_St5arrayIPcLm2EELi4E23TrivialOffsetCalculatorILi1EjESB_NS0_6memory15LoadWithoutCastENSC_16StoreWithoutCastEEEviT_T0_T2_T3_T4_T5_,comdat
.Lfunc_end44:
	.size	_ZN2at6native27unrolled_elementwise_kernelIZZZNS0_23bitwise_not_kernel_cudaERNS_18TensorIteratorBaseEENKUlvE_clEvENKUlvE3_clEvEUlsE_St5arrayIPcLm2EELi4E23TrivialOffsetCalculatorILi1EjESB_NS0_6memory15LoadWithoutCastENSC_16StoreWithoutCastEEEviT_T0_T2_T3_T4_T5_, .Lfunc_end44-_ZN2at6native27unrolled_elementwise_kernelIZZZNS0_23bitwise_not_kernel_cudaERNS_18TensorIteratorBaseEENKUlvE_clEvENKUlvE3_clEvEUlsE_St5arrayIPcLm2EELi4E23TrivialOffsetCalculatorILi1EjESB_NS0_6memory15LoadWithoutCastENSC_16StoreWithoutCastEEEviT_T0_T2_T3_T4_T5_
                                        ; -- End function
	.set _ZN2at6native27unrolled_elementwise_kernelIZZZNS0_23bitwise_not_kernel_cudaERNS_18TensorIteratorBaseEENKUlvE_clEvENKUlvE3_clEvEUlsE_St5arrayIPcLm2EELi4E23TrivialOffsetCalculatorILi1EjESB_NS0_6memory15LoadWithoutCastENSC_16StoreWithoutCastEEEviT_T0_T2_T3_T4_T5_.num_vgpr, 10
	.set _ZN2at6native27unrolled_elementwise_kernelIZZZNS0_23bitwise_not_kernel_cudaERNS_18TensorIteratorBaseEENKUlvE_clEvENKUlvE3_clEvEUlsE_St5arrayIPcLm2EELi4E23TrivialOffsetCalculatorILi1EjESB_NS0_6memory15LoadWithoutCastENSC_16StoreWithoutCastEEEviT_T0_T2_T3_T4_T5_.num_agpr, 0
	.set _ZN2at6native27unrolled_elementwise_kernelIZZZNS0_23bitwise_not_kernel_cudaERNS_18TensorIteratorBaseEENKUlvE_clEvENKUlvE3_clEvEUlsE_St5arrayIPcLm2EELi4E23TrivialOffsetCalculatorILi1EjESB_NS0_6memory15LoadWithoutCastENSC_16StoreWithoutCastEEEviT_T0_T2_T3_T4_T5_.numbered_sgpr, 10
	.set _ZN2at6native27unrolled_elementwise_kernelIZZZNS0_23bitwise_not_kernel_cudaERNS_18TensorIteratorBaseEENKUlvE_clEvENKUlvE3_clEvEUlsE_St5arrayIPcLm2EELi4E23TrivialOffsetCalculatorILi1EjESB_NS0_6memory15LoadWithoutCastENSC_16StoreWithoutCastEEEviT_T0_T2_T3_T4_T5_.num_named_barrier, 0
	.set _ZN2at6native27unrolled_elementwise_kernelIZZZNS0_23bitwise_not_kernel_cudaERNS_18TensorIteratorBaseEENKUlvE_clEvENKUlvE3_clEvEUlsE_St5arrayIPcLm2EELi4E23TrivialOffsetCalculatorILi1EjESB_NS0_6memory15LoadWithoutCastENSC_16StoreWithoutCastEEEviT_T0_T2_T3_T4_T5_.private_seg_size, 0
	.set _ZN2at6native27unrolled_elementwise_kernelIZZZNS0_23bitwise_not_kernel_cudaERNS_18TensorIteratorBaseEENKUlvE_clEvENKUlvE3_clEvEUlsE_St5arrayIPcLm2EELi4E23TrivialOffsetCalculatorILi1EjESB_NS0_6memory15LoadWithoutCastENSC_16StoreWithoutCastEEEviT_T0_T2_T3_T4_T5_.uses_vcc, 1
	.set _ZN2at6native27unrolled_elementwise_kernelIZZZNS0_23bitwise_not_kernel_cudaERNS_18TensorIteratorBaseEENKUlvE_clEvENKUlvE3_clEvEUlsE_St5arrayIPcLm2EELi4E23TrivialOffsetCalculatorILi1EjESB_NS0_6memory15LoadWithoutCastENSC_16StoreWithoutCastEEEviT_T0_T2_T3_T4_T5_.uses_flat_scratch, 0
	.set _ZN2at6native27unrolled_elementwise_kernelIZZZNS0_23bitwise_not_kernel_cudaERNS_18TensorIteratorBaseEENKUlvE_clEvENKUlvE3_clEvEUlsE_St5arrayIPcLm2EELi4E23TrivialOffsetCalculatorILi1EjESB_NS0_6memory15LoadWithoutCastENSC_16StoreWithoutCastEEEviT_T0_T2_T3_T4_T5_.has_dyn_sized_stack, 0
	.set _ZN2at6native27unrolled_elementwise_kernelIZZZNS0_23bitwise_not_kernel_cudaERNS_18TensorIteratorBaseEENKUlvE_clEvENKUlvE3_clEvEUlsE_St5arrayIPcLm2EELi4E23TrivialOffsetCalculatorILi1EjESB_NS0_6memory15LoadWithoutCastENSC_16StoreWithoutCastEEEviT_T0_T2_T3_T4_T5_.has_recursion, 0
	.set _ZN2at6native27unrolled_elementwise_kernelIZZZNS0_23bitwise_not_kernel_cudaERNS_18TensorIteratorBaseEENKUlvE_clEvENKUlvE3_clEvEUlsE_St5arrayIPcLm2EELi4E23TrivialOffsetCalculatorILi1EjESB_NS0_6memory15LoadWithoutCastENSC_16StoreWithoutCastEEEviT_T0_T2_T3_T4_T5_.has_indirect_call, 0
	.section	.AMDGPU.csdata,"",@progbits
; Kernel info:
; codeLenInByte = 600
; TotalNumSgprs: 16
; NumVgprs: 10
; NumAgprs: 0
; TotalNumVgprs: 10
; ScratchSize: 0
; MemoryBound: 0
; FloatMode: 240
; IeeeMode: 1
; LDSByteSize: 0 bytes/workgroup (compile time only)
; SGPRBlocks: 1
; VGPRBlocks: 1
; NumSGPRsForWavesPerEU: 16
; NumVGPRsForWavesPerEU: 10
; AccumOffset: 12
; Occupancy: 8
; WaveLimiterHint : 0
; COMPUTE_PGM_RSRC2:SCRATCH_EN: 0
; COMPUTE_PGM_RSRC2:USER_SGPR: 2
; COMPUTE_PGM_RSRC2:TRAP_HANDLER: 0
; COMPUTE_PGM_RSRC2:TGID_X_EN: 1
; COMPUTE_PGM_RSRC2:TGID_Y_EN: 0
; COMPUTE_PGM_RSRC2:TGID_Z_EN: 0
; COMPUTE_PGM_RSRC2:TIDIG_COMP_CNT: 0
; COMPUTE_PGM_RSRC3_GFX90A:ACCUM_OFFSET: 2
; COMPUTE_PGM_RSRC3_GFX90A:TG_SPLIT: 0
	.section	.text._ZN2at6native32elementwise_kernel_manual_unrollILi128ELi8EZNS0_22gpu_kernel_impl_nocastIZZZNS0_23bitwise_not_kernel_cudaERNS_18TensorIteratorBaseEENKUlvE_clEvENKUlvE3_clEvEUlsE_EEvS4_RKT_EUlibE_EEviT1_,"axG",@progbits,_ZN2at6native32elementwise_kernel_manual_unrollILi128ELi8EZNS0_22gpu_kernel_impl_nocastIZZZNS0_23bitwise_not_kernel_cudaERNS_18TensorIteratorBaseEENKUlvE_clEvENKUlvE3_clEvEUlsE_EEvS4_RKT_EUlibE_EEviT1_,comdat
	.globl	_ZN2at6native32elementwise_kernel_manual_unrollILi128ELi8EZNS0_22gpu_kernel_impl_nocastIZZZNS0_23bitwise_not_kernel_cudaERNS_18TensorIteratorBaseEENKUlvE_clEvENKUlvE3_clEvEUlsE_EEvS4_RKT_EUlibE_EEviT1_ ; -- Begin function _ZN2at6native32elementwise_kernel_manual_unrollILi128ELi8EZNS0_22gpu_kernel_impl_nocastIZZZNS0_23bitwise_not_kernel_cudaERNS_18TensorIteratorBaseEENKUlvE_clEvENKUlvE3_clEvEUlsE_EEvS4_RKT_EUlibE_EEviT1_
	.p2align	8
	.type	_ZN2at6native32elementwise_kernel_manual_unrollILi128ELi8EZNS0_22gpu_kernel_impl_nocastIZZZNS0_23bitwise_not_kernel_cudaERNS_18TensorIteratorBaseEENKUlvE_clEvENKUlvE3_clEvEUlsE_EEvS4_RKT_EUlibE_EEviT1_,@function
_ZN2at6native32elementwise_kernel_manual_unrollILi128ELi8EZNS0_22gpu_kernel_impl_nocastIZZZNS0_23bitwise_not_kernel_cudaERNS_18TensorIteratorBaseEENKUlvE_clEvENKUlvE3_clEvEUlsE_EEvS4_RKT_EUlibE_EEviT1_: ; @_ZN2at6native32elementwise_kernel_manual_unrollILi128ELi8EZNS0_22gpu_kernel_impl_nocastIZZZNS0_23bitwise_not_kernel_cudaERNS_18TensorIteratorBaseEENKUlvE_clEvENKUlvE3_clEvEUlsE_EEvS4_RKT_EUlibE_EEviT1_
; %bb.0:
	s_load_dword s55, s[0:1], 0x0
	s_load_dword s33, s[0:1], 0x8
	s_add_u32 s34, s0, 8
	s_addc_u32 s35, s1, 0
	v_lshl_or_b32 v24, s2, 10, v0
	v_or_b32_e32 v32, 0x380, v24
	s_waitcnt lgkmcnt(0)
	s_add_i32 s54, s33, -1
	s_cmp_gt_u32 s54, 1
	v_cmp_le_i32_e32 vcc, s55, v32
	s_cselect_b64 s[36:37], -1, 0
	s_and_saveexec_b64 s[0:1], vcc
	s_xor_b64 s[38:39], exec, s[0:1]
	s_cbranch_execz .LBB45_8
; %bb.1:
	s_load_dwordx4 s[24:27], s[34:35], 0x4
	s_load_dwordx2 s[40:41], s[34:35], 0x14
	s_load_dwordx4 s[20:23], s[34:35], 0xc4
	s_load_dwordx4 s[16:19], s[34:35], 0x148
	s_cmp_lg_u32 s33, 0
	s_cselect_b64 s[46:47], -1, 0
	s_add_u32 s44, s34, 0xc4
	s_addc_u32 s45, s35, 0
	s_min_u32 s56, s54, 15
	s_cmp_gt_u32 s33, 1
	s_cselect_b64 s[42:43], -1, 0
	v_cmp_gt_i32_e32 vcc, s55, v24
	s_and_saveexec_b64 s[48:49], vcc
	s_cbranch_execz .LBB45_15
; %bb.2:
	s_andn2_b64 vcc, exec, s[36:37]
	s_cbranch_vccnz .LBB45_23
; %bb.3:
	s_andn2_b64 vcc, exec, s[46:47]
	s_cbranch_vccnz .LBB45_131
; %bb.4:
	s_add_i32 s58, s56, 1
	s_cmp_eq_u32 s54, 2
	s_cbranch_scc1 .LBB45_133
; %bb.5:
	s_and_b32 s57, s58, 28
	s_mov_b32 s59, 0
	v_mov_b32_e32 v0, 0
	v_mov_b32_e32 v2, 0
	s_mov_b64 s[50:51], s[34:35]
	s_mov_b64 s[52:53], s[44:45]
	v_mov_b32_e32 v4, v24
.LBB45_6:                               ; =>This Inner Loop Header: Depth=1
	s_load_dwordx8 s[8:15], s[50:51], 0x4
	s_load_dwordx4 s[28:31], s[50:51], 0x24
	s_load_dwordx8 s[0:7], s[52:53], 0x0
	s_add_u32 s50, s50, 48
	s_addc_u32 s51, s51, 0
	s_waitcnt lgkmcnt(0)
	v_mul_hi_u32 v1, s9, v4
	v_add_u32_e32 v1, v4, v1
	v_lshrrev_b32_e32 v1, s10, v1
	v_mul_lo_u32 v3, v1, s8
	v_mul_hi_u32 v5, s12, v1
	v_sub_u32_e32 v3, v4, v3
	v_add_u32_e32 v4, v1, v5
	v_lshrrev_b32_e32 v4, s13, v4
	v_mul_lo_u32 v6, v4, s11
	v_mul_hi_u32 v7, s15, v4
	v_sub_u32_e32 v1, v1, v6
	v_add_u32_e32 v6, v4, v7
	v_mul_lo_u32 v5, v3, s1
	v_mul_lo_u32 v3, v3, s0
	;; [unrolled: 1-line block ×4, first 2 shown]
	v_lshrrev_b32_e32 v6, s28, v6
	v_add3_u32 v0, v3, v0, v1
	v_mul_hi_u32 v3, s30, v6
	v_add3_u32 v1, v5, v2, v7
	v_mul_lo_u32 v2, v6, s14
	v_add_u32_e32 v3, v6, v3
	v_sub_u32_e32 v2, v4, v2
	v_lshrrev_b32_e32 v4, s31, v3
	s_add_i32 s59, s59, 4
	v_mul_lo_u32 v3, v4, s29
	s_add_u32 s52, s52, 32
	v_sub_u32_e32 v3, v6, v3
	s_addc_u32 s53, s53, 0
	v_mul_lo_u32 v5, v2, s4
	v_mul_lo_u32 v2, v2, s5
	;; [unrolled: 1-line block ×4, first 2 shown]
	s_cmp_lg_u32 s57, s59
	v_add3_u32 v2, v2, v1, v3
	v_add3_u32 v0, v5, v0, v6
	s_cbranch_scc1 .LBB45_6
; %bb.7:
	v_mov_b32_e32 v1, v2
	s_branch .LBB45_134
.LBB45_8:
	s_andn2_saveexec_b64 s[0:1], s[38:39]
	s_cbranch_execz .LBB45_228
.LBB45_9:
	v_cndmask_b32_e64 v0, 0, 1, s[36:37]
	v_cmp_ne_u32_e64 s[0:1], 1, v0
	s_andn2_b64 vcc, exec, s[36:37]
	s_cbranch_vccnz .LBB45_22
; %bb.10:
	s_cmp_lg_u32 s33, 0
	s_waitcnt lgkmcnt(0)
	s_mov_b32 s26, 0
	s_cbranch_scc0 .LBB45_25
; %bb.11:
	s_min_u32 s27, s54, 15
	s_add_i32 s27, s27, 1
	s_cmp_eq_u32 s54, 2
	s_cbranch_scc1 .LBB45_26
; %bb.12:
	s_and_b32 s26, s27, 28
	s_add_u32 s2, s34, 0xc4
	s_addc_u32 s3, s35, 0
	s_mov_b32 s28, 0
	v_mov_b32_e32 v0, 0
	v_mov_b32_e32 v2, 0
	s_mov_b64 s[24:25], s[34:35]
	v_mov_b32_e32 v4, v24
.LBB45_13:                              ; =>This Inner Loop Header: Depth=1
	s_load_dwordx8 s[12:19], s[24:25], 0x4
	s_load_dwordx4 s[20:23], s[24:25], 0x24
	s_load_dwordx8 s[4:11], s[2:3], 0x0
	s_add_u32 s24, s24, 48
	s_addc_u32 s25, s25, 0
	s_waitcnt lgkmcnt(0)
	v_mul_hi_u32 v1, s13, v4
	v_add_u32_e32 v1, v4, v1
	v_lshrrev_b32_e32 v1, s14, v1
	v_mul_lo_u32 v3, v1, s12
	v_mul_hi_u32 v5, s16, v1
	v_sub_u32_e32 v3, v4, v3
	v_add_u32_e32 v4, v1, v5
	v_lshrrev_b32_e32 v4, s17, v4
	v_mul_lo_u32 v6, v4, s15
	v_mul_hi_u32 v7, s19, v4
	v_sub_u32_e32 v1, v1, v6
	v_add_u32_e32 v6, v4, v7
	v_mul_lo_u32 v5, v3, s5
	v_mul_lo_u32 v3, v3, s4
	;; [unrolled: 1-line block ×4, first 2 shown]
	v_lshrrev_b32_e32 v6, s20, v6
	v_add3_u32 v0, v3, v0, v1
	v_mul_hi_u32 v3, s22, v6
	v_add3_u32 v1, v5, v2, v7
	v_mul_lo_u32 v2, v6, s18
	v_add_u32_e32 v3, v6, v3
	v_sub_u32_e32 v2, v4, v2
	v_lshrrev_b32_e32 v4, s23, v3
	s_add_i32 s28, s28, 4
	v_mul_lo_u32 v3, v4, s21
	s_add_u32 s2, s2, 32
	v_sub_u32_e32 v3, v6, v3
	s_addc_u32 s3, s3, 0
	v_mul_lo_u32 v5, v2, s8
	v_mul_lo_u32 v2, v2, s9
	;; [unrolled: 1-line block ×4, first 2 shown]
	s_cmp_lg_u32 s26, s28
	v_add3_u32 v2, v2, v1, v3
	v_add3_u32 v0, v5, v0, v6
	s_cbranch_scc1 .LBB45_13
; %bb.14:
	v_mov_b32_e32 v1, v2
	s_and_b32 s6, s27, 3
	s_cmp_eq_u32 s6, 0
	s_cbranch_scc0 .LBB45_27
	s_branch .LBB45_29
.LBB45_15:
	s_or_b64 exec, exec, s[48:49]
	v_cmp_gt_i32_e32 vcc, s55, v24
	s_and_saveexec_b64 s[48:49], vcc
	s_cbranch_execz .LBB45_141
.LBB45_16:
	s_andn2_b64 vcc, exec, s[36:37]
	s_cbranch_vccnz .LBB45_24
; %bb.17:
	s_andn2_b64 vcc, exec, s[46:47]
	s_cbranch_vccnz .LBB45_132
; %bb.18:
	s_add_i32 s58, s56, 1
	s_cmp_eq_u32 s54, 2
	s_cbranch_scc1 .LBB45_150
; %bb.19:
	s_and_b32 s57, s58, 28
	s_mov_b32 s59, 0
	v_mov_b32_e32 v0, 0
	v_mov_b32_e32 v2, 0
	s_mov_b64 s[50:51], s[34:35]
	s_mov_b64 s[52:53], s[44:45]
	v_mov_b32_e32 v4, v24
.LBB45_20:                              ; =>This Inner Loop Header: Depth=1
	s_load_dwordx8 s[8:15], s[50:51], 0x4
	s_load_dwordx4 s[28:31], s[50:51], 0x24
	s_load_dwordx8 s[0:7], s[52:53], 0x0
	s_add_u32 s50, s50, 48
	s_addc_u32 s51, s51, 0
	s_waitcnt lgkmcnt(0)
	v_mul_hi_u32 v1, s9, v4
	v_add_u32_e32 v1, v4, v1
	v_lshrrev_b32_e32 v1, s10, v1
	v_mul_lo_u32 v3, v1, s8
	v_mul_hi_u32 v5, s12, v1
	v_sub_u32_e32 v3, v4, v3
	v_add_u32_e32 v4, v1, v5
	v_lshrrev_b32_e32 v4, s13, v4
	v_mul_lo_u32 v6, v4, s11
	v_mul_hi_u32 v7, s15, v4
	v_sub_u32_e32 v1, v1, v6
	v_add_u32_e32 v6, v4, v7
	v_mul_lo_u32 v5, v3, s1
	v_mul_lo_u32 v3, v3, s0
	;; [unrolled: 1-line block ×4, first 2 shown]
	v_lshrrev_b32_e32 v6, s28, v6
	v_add3_u32 v0, v3, v0, v1
	v_mul_hi_u32 v3, s30, v6
	v_add3_u32 v1, v5, v2, v7
	v_mul_lo_u32 v2, v6, s14
	v_add_u32_e32 v3, v6, v3
	v_sub_u32_e32 v2, v4, v2
	v_lshrrev_b32_e32 v4, s31, v3
	s_add_i32 s59, s59, 4
	v_mul_lo_u32 v3, v4, s29
	s_add_u32 s52, s52, 32
	v_sub_u32_e32 v3, v6, v3
	s_addc_u32 s53, s53, 0
	v_mul_lo_u32 v5, v2, s4
	v_mul_lo_u32 v2, v2, s5
	;; [unrolled: 1-line block ×4, first 2 shown]
	s_cmp_eq_u32 s57, s59
	v_add3_u32 v2, v2, v1, v3
	v_add3_u32 v0, v5, v0, v6
	s_cbranch_scc0 .LBB45_20
; %bb.21:
	v_mov_b32_e32 v1, v2
	s_branch .LBB45_151
.LBB45_22:
                                        ; implicit-def: $vgpr2
                                        ; implicit-def: $vgpr0
	s_branch .LBB45_30
.LBB45_23:
                                        ; implicit-def: $vgpr2
                                        ; implicit-def: $vgpr0
	s_branch .LBB45_138
.LBB45_24:
                                        ; implicit-def: $vgpr2
                                        ; implicit-def: $vgpr0
	s_branch .LBB45_155
.LBB45_25:
	v_mov_b32_e32 v2, 0
	v_mov_b32_e32 v0, 0
	s_branch .LBB45_29
.LBB45_26:
	v_mov_b32_e32 v0, 0
                                        ; implicit-def: $vgpr2
	v_mov_b32_e32 v1, v0
	v_mov_b32_e32 v4, v24
	s_and_b32 s6, s27, 3
	s_cmp_eq_u32 s6, 0
	s_cbranch_scc1 .LBB45_29
.LBB45_27:
	s_lshl_b32 s2, s26, 3
	s_add_u32 s2, s34, s2
	s_addc_u32 s3, s35, 0
	s_add_u32 s2, s2, 0xc4
	s_addc_u32 s3, s3, 0
	s_mul_i32 s4, s26, 12
	s_add_u32 s4, s34, s4
	s_addc_u32 s5, s35, 0
.LBB45_28:                              ; =>This Inner Loop Header: Depth=1
	s_load_dwordx2 s[8:9], s[4:5], 0x4
	s_load_dword s7, s[4:5], 0xc
	s_load_dwordx2 s[10:11], s[2:3], 0x0
	v_mov_b32_e32 v2, v1
	s_add_u32 s4, s4, 12
	s_waitcnt lgkmcnt(0)
	v_mul_hi_u32 v1, s9, v4
	v_add_u32_e32 v1, v4, v1
	v_lshrrev_b32_e32 v1, s7, v1
	s_addc_u32 s5, s5, 0
	v_mul_lo_u32 v3, v1, s8
	s_add_u32 s2, s2, 8
	v_sub_u32_e32 v5, v4, v3
	s_addc_u32 s3, s3, 0
	s_add_i32 s6, s6, -1
	v_mov_b32_e32 v4, v1
	v_mad_u64_u32 v[2:3], s[8:9], v5, s11, v[2:3]
	v_mad_u64_u32 v[0:1], s[8:9], v5, s10, v[0:1]
	s_cmp_lg_u32 s6, 0
	v_mov_b32_e32 v1, v2
	s_cbranch_scc1 .LBB45_28
.LBB45_29:
	s_cbranch_execnz .LBB45_32
.LBB45_30:
	s_load_dwordx4 s[4:7], s[34:35], 0x4
	s_load_dwordx2 s[2:3], s[34:35], 0xc4
	s_cmp_lt_u32 s33, 2
	s_waitcnt lgkmcnt(0)
	v_mul_hi_u32 v0, s5, v24
	v_add_u32_e32 v0, v24, v0
	v_lshrrev_b32_e32 v1, s6, v0
	v_mul_lo_u32 v0, v1, s4
	v_sub_u32_e32 v0, v24, v0
	v_mul_lo_u32 v2, v0, s3
	v_mul_lo_u32 v0, v0, s2
	s_cbranch_scc1 .LBB45_32
; %bb.31:
	s_load_dwordx4 s[4:7], s[34:35], 0x10
	s_load_dwordx2 s[2:3], s[34:35], 0xcc
	s_waitcnt lgkmcnt(0)
	v_mul_hi_u32 v3, s5, v1
	v_add_u32_e32 v3, v1, v3
	v_lshrrev_b32_e32 v3, s6, v3
	v_mul_lo_u32 v3, v3, s4
	v_sub_u32_e32 v3, v1, v3
	v_mad_u64_u32 v[0:1], s[4:5], v3, s2, v[0:1]
	v_mad_u64_u32 v[2:3], s[2:3], v3, s3, v[2:3]
.LBB45_32:
	s_and_b64 vcc, exec, s[0:1]
	v_add_u32_e32 v3, 0x80, v24
	s_cbranch_vccnz .LBB45_38
; %bb.33:
	s_cmp_lg_u32 s33, 0
	s_waitcnt lgkmcnt(0)
	s_mov_b32 s26, 0
	s_cbranch_scc0 .LBB45_39
; %bb.34:
	s_min_u32 s27, s54, 15
	s_add_i32 s27, s27, 1
	s_cmp_eq_u32 s54, 2
	s_cbranch_scc1 .LBB45_40
; %bb.35:
	s_and_b32 s26, s27, 28
	s_add_u32 s2, s34, 0xc4
	s_addc_u32 s3, s35, 0
	s_mov_b32 s28, 0
	v_mov_b32_e32 v4, 0
	v_mov_b32_e32 v6, 0
	s_mov_b64 s[24:25], s[34:35]
	v_mov_b32_e32 v8, v3
.LBB45_36:                              ; =>This Inner Loop Header: Depth=1
	s_load_dwordx8 s[12:19], s[24:25], 0x4
	s_load_dwordx4 s[20:23], s[24:25], 0x24
	s_load_dwordx8 s[4:11], s[2:3], 0x0
	s_add_u32 s24, s24, 48
	s_addc_u32 s25, s25, 0
	s_waitcnt lgkmcnt(0)
	v_mul_hi_u32 v1, s13, v8
	v_add_u32_e32 v1, v8, v1
	v_lshrrev_b32_e32 v1, s14, v1
	v_mul_hi_u32 v7, s16, v1
	v_add_u32_e32 v7, v1, v7
	v_lshrrev_b32_e32 v7, s17, v7
	v_mul_lo_u32 v5, v1, s12
	v_mul_lo_u32 v9, v7, s15
	v_mul_hi_u32 v10, s19, v7
	v_sub_u32_e32 v5, v8, v5
	v_sub_u32_e32 v1, v1, v9
	v_add_u32_e32 v9, v7, v10
	v_mul_lo_u32 v8, v5, s5
	v_mul_lo_u32 v5, v5, s4
	;; [unrolled: 1-line block ×4, first 2 shown]
	v_lshrrev_b32_e32 v9, s20, v9
	v_add3_u32 v1, v5, v4, v1
	v_add3_u32 v4, v8, v6, v10
	v_mul_hi_u32 v6, s22, v9
	v_add_u32_e32 v6, v9, v6
	v_lshrrev_b32_e32 v8, s23, v6
	s_add_i32 s28, s28, 4
	v_mul_lo_u32 v5, v9, s18
	v_mul_lo_u32 v6, v8, s21
	s_add_u32 s2, s2, 32
	v_sub_u32_e32 v5, v7, v5
	v_sub_u32_e32 v6, v9, v6
	s_addc_u32 s3, s3, 0
	v_mul_lo_u32 v7, v5, s8
	v_mul_lo_u32 v5, v5, s9
	;; [unrolled: 1-line block ×4, first 2 shown]
	s_cmp_lg_u32 s26, s28
	v_add3_u32 v6, v5, v4, v6
	v_add3_u32 v4, v7, v1, v9
	s_cbranch_scc1 .LBB45_36
; %bb.37:
	v_mov_b32_e32 v1, v6
	s_and_b32 s6, s27, 3
	s_cmp_eq_u32 s6, 0
	s_cbranch_scc0 .LBB45_41
	s_branch .LBB45_43
.LBB45_38:
                                        ; implicit-def: $vgpr6
                                        ; implicit-def: $vgpr4
	s_branch .LBB45_44
.LBB45_39:
	v_mov_b32_e32 v6, 0
	v_mov_b32_e32 v4, 0
	s_branch .LBB45_43
.LBB45_40:
	v_mov_b32_e32 v4, 0
                                        ; implicit-def: $vgpr6
	v_mov_b32_e32 v1, v4
	v_mov_b32_e32 v8, v3
	s_and_b32 s6, s27, 3
	s_cmp_eq_u32 s6, 0
	s_cbranch_scc1 .LBB45_43
.LBB45_41:
	s_lshl_b32 s2, s26, 3
	s_add_u32 s2, s34, s2
	s_addc_u32 s3, s35, 0
	s_add_u32 s2, s2, 0xc4
	s_addc_u32 s3, s3, 0
	s_mul_i32 s4, s26, 12
	s_add_u32 s4, s34, s4
	s_addc_u32 s5, s35, 0
.LBB45_42:                              ; =>This Inner Loop Header: Depth=1
	s_load_dwordx2 s[8:9], s[4:5], 0x4
	s_load_dword s7, s[4:5], 0xc
	s_load_dwordx2 s[10:11], s[2:3], 0x0
	v_mov_b32_e32 v6, v1
	s_add_u32 s4, s4, 12
	s_waitcnt lgkmcnt(0)
	v_mul_hi_u32 v1, s9, v8
	v_add_u32_e32 v1, v8, v1
	v_lshrrev_b32_e32 v1, s7, v1
	s_addc_u32 s5, s5, 0
	v_mul_lo_u32 v5, v1, s8
	s_add_u32 s2, s2, 8
	v_sub_u32_e32 v5, v8, v5
	s_addc_u32 s3, s3, 0
	s_add_i32 s6, s6, -1
	v_mad_u64_u32 v[6:7], s[8:9], v5, s11, v[6:7]
	s_cmp_lg_u32 s6, 0
	v_mov_b32_e32 v8, v1
	v_mad_u64_u32 v[4:5], s[8:9], v5, s10, v[4:5]
	v_mov_b32_e32 v1, v6
	s_cbranch_scc1 .LBB45_42
.LBB45_43:
	s_cbranch_execnz .LBB45_46
.LBB45_44:
	s_load_dwordx4 s[4:7], s[34:35], 0x4
	s_load_dwordx2 s[2:3], s[34:35], 0xc4
	s_cmp_lt_u32 s33, 2
	s_waitcnt lgkmcnt(0)
	v_mul_hi_u32 v1, s5, v3
	v_add_u32_e32 v1, v3, v1
	v_lshrrev_b32_e32 v1, s6, v1
	v_mul_lo_u32 v4, v1, s4
	v_sub_u32_e32 v3, v3, v4
	v_mul_lo_u32 v6, v3, s3
	v_mul_lo_u32 v4, v3, s2
	s_cbranch_scc1 .LBB45_46
; %bb.45:
	s_load_dwordx4 s[4:7], s[34:35], 0x10
	s_load_dwordx2 s[2:3], s[34:35], 0xcc
	s_waitcnt lgkmcnt(0)
	v_mul_hi_u32 v3, s5, v1
	v_add_u32_e32 v3, v1, v3
	v_lshrrev_b32_e32 v3, s6, v3
	v_mul_lo_u32 v3, v3, s4
	v_sub_u32_e32 v1, v1, v3
	v_mad_u64_u32 v[4:5], s[4:5], v1, s2, v[4:5]
	v_mad_u64_u32 v[6:7], s[2:3], v1, s3, v[6:7]
.LBB45_46:
	s_and_b64 vcc, exec, s[0:1]
	v_add_u32_e32 v3, 0x100, v24
	s_cbranch_vccnz .LBB45_52
; %bb.47:
	s_cmp_lg_u32 s33, 0
	s_waitcnt lgkmcnt(0)
	s_mov_b32 s26, 0
	s_cbranch_scc0 .LBB45_53
; %bb.48:
	s_min_u32 s27, s54, 15
	s_add_i32 s27, s27, 1
	s_cmp_eq_u32 s54, 2
	s_cbranch_scc1 .LBB45_54
; %bb.49:
	s_and_b32 s26, s27, 28
	s_add_u32 s2, s34, 0xc4
	s_addc_u32 s3, s35, 0
	s_mov_b32 s28, 0
	v_mov_b32_e32 v8, 0
	v_mov_b32_e32 v10, 0
	s_mov_b64 s[24:25], s[34:35]
	v_mov_b32_e32 v5, v3
.LBB45_50:                              ; =>This Inner Loop Header: Depth=1
	s_load_dwordx8 s[12:19], s[24:25], 0x4
	s_load_dwordx4 s[20:23], s[24:25], 0x24
	s_load_dwordx8 s[4:11], s[2:3], 0x0
	s_add_u32 s24, s24, 48
	s_addc_u32 s25, s25, 0
	s_waitcnt lgkmcnt(0)
	v_mul_hi_u32 v1, s13, v5
	v_add_u32_e32 v1, v5, v1
	v_lshrrev_b32_e32 v1, s14, v1
	v_mul_lo_u32 v7, v1, s12
	v_mul_hi_u32 v9, s16, v1
	v_sub_u32_e32 v5, v5, v7
	v_add_u32_e32 v7, v1, v9
	v_lshrrev_b32_e32 v7, s17, v7
	v_mul_lo_u32 v11, v7, s15
	v_mul_hi_u32 v12, s19, v7
	v_sub_u32_e32 v1, v1, v11
	v_add_u32_e32 v11, v7, v12
	v_mul_lo_u32 v9, v5, s5
	v_mul_lo_u32 v5, v5, s4
	;; [unrolled: 1-line block ×4, first 2 shown]
	v_lshrrev_b32_e32 v11, s20, v11
	v_add3_u32 v1, v5, v8, v1
	v_add3_u32 v8, v9, v10, v12
	v_mul_lo_u32 v5, v11, s18
	v_mul_hi_u32 v9, s22, v11
	v_sub_u32_e32 v5, v7, v5
	v_add_u32_e32 v7, v11, v9
	v_mul_lo_u32 v9, v5, s8
	v_mul_lo_u32 v10, v5, s9
	v_lshrrev_b32_e32 v5, s23, v7
	s_add_i32 s28, s28, 4
	v_mul_lo_u32 v7, v5, s21
	s_add_u32 s2, s2, 32
	v_sub_u32_e32 v7, v11, v7
	s_addc_u32 s3, s3, 0
	v_mul_lo_u32 v11, v7, s10
	v_mul_lo_u32 v7, v7, s11
	s_cmp_lg_u32 s26, s28
	v_add3_u32 v10, v10, v8, v7
	v_add3_u32 v8, v9, v1, v11
	s_cbranch_scc1 .LBB45_50
; %bb.51:
	v_mov_b32_e32 v1, v10
	s_and_b32 s6, s27, 3
	s_cmp_eq_u32 s6, 0
	s_cbranch_scc0 .LBB45_55
	s_branch .LBB45_57
.LBB45_52:
                                        ; implicit-def: $vgpr10
                                        ; implicit-def: $vgpr8
	s_branch .LBB45_58
.LBB45_53:
	v_mov_b32_e32 v10, 0
	v_mov_b32_e32 v8, 0
	s_branch .LBB45_57
.LBB45_54:
	v_mov_b32_e32 v8, 0
                                        ; implicit-def: $vgpr10
	v_mov_b32_e32 v1, v8
	v_mov_b32_e32 v5, v3
	s_and_b32 s6, s27, 3
	s_cmp_eq_u32 s6, 0
	s_cbranch_scc1 .LBB45_57
.LBB45_55:
	s_lshl_b32 s2, s26, 3
	s_add_u32 s2, s34, s2
	s_addc_u32 s3, s35, 0
	s_add_u32 s2, s2, 0xc4
	s_addc_u32 s3, s3, 0
	s_mul_i32 s4, s26, 12
	s_add_u32 s4, s34, s4
	s_addc_u32 s5, s35, 0
.LBB45_56:                              ; =>This Inner Loop Header: Depth=1
	s_load_dwordx2 s[8:9], s[4:5], 0x4
	s_load_dword s7, s[4:5], 0xc
	s_load_dwordx2 s[10:11], s[2:3], 0x0
	v_mov_b32_e32 v10, v1
	s_add_u32 s4, s4, 12
	s_waitcnt lgkmcnt(0)
	v_mul_hi_u32 v1, s9, v5
	v_add_u32_e32 v1, v5, v1
	v_lshrrev_b32_e32 v1, s7, v1
	s_addc_u32 s5, s5, 0
	v_mul_lo_u32 v7, v1, s8
	s_add_u32 s2, s2, 8
	v_sub_u32_e32 v7, v5, v7
	s_addc_u32 s3, s3, 0
	s_add_i32 s6, s6, -1
	v_mad_u64_u32 v[10:11], s[8:9], v7, s11, v[10:11]
	s_cmp_lg_u32 s6, 0
	v_mov_b32_e32 v5, v1
	v_mad_u64_u32 v[8:9], s[8:9], v7, s10, v[8:9]
	v_mov_b32_e32 v1, v10
	s_cbranch_scc1 .LBB45_56
.LBB45_57:
	s_cbranch_execnz .LBB45_60
.LBB45_58:
	s_load_dwordx4 s[4:7], s[34:35], 0x4
	s_load_dwordx2 s[2:3], s[34:35], 0xc4
	s_cmp_lt_u32 s33, 2
	s_waitcnt lgkmcnt(0)
	v_mul_hi_u32 v1, s5, v3
	v_add_u32_e32 v1, v3, v1
	v_lshrrev_b32_e32 v1, s6, v1
	v_mul_lo_u32 v5, v1, s4
	v_sub_u32_e32 v3, v3, v5
	v_mul_lo_u32 v10, v3, s3
	v_mul_lo_u32 v8, v3, s2
	s_cbranch_scc1 .LBB45_60
; %bb.59:
	s_load_dwordx4 s[4:7], s[34:35], 0x10
	s_load_dwordx2 s[2:3], s[34:35], 0xcc
	s_waitcnt lgkmcnt(0)
	v_mul_hi_u32 v3, s5, v1
	v_add_u32_e32 v3, v1, v3
	v_lshrrev_b32_e32 v3, s6, v3
	v_mul_lo_u32 v3, v3, s4
	v_sub_u32_e32 v1, v1, v3
	v_mad_u64_u32 v[8:9], s[4:5], v1, s2, v[8:9]
	v_mad_u64_u32 v[10:11], s[2:3], v1, s3, v[10:11]
.LBB45_60:
	s_and_b64 vcc, exec, s[0:1]
	v_add_u32_e32 v3, 0x180, v24
	s_cbranch_vccnz .LBB45_66
; %bb.61:
	s_cmp_lg_u32 s33, 0
	s_waitcnt lgkmcnt(0)
	s_mov_b32 s26, 0
	s_cbranch_scc0 .LBB45_67
; %bb.62:
	s_min_u32 s27, s54, 15
	s_add_i32 s27, s27, 1
	s_cmp_eq_u32 s54, 2
	s_cbranch_scc1 .LBB45_68
; %bb.63:
	s_and_b32 s26, s27, 28
	s_add_u32 s2, s34, 0xc4
	s_addc_u32 s3, s35, 0
	s_mov_b32 s28, 0
	v_mov_b32_e32 v12, 0
	v_mov_b32_e32 v14, 0
	s_mov_b64 s[24:25], s[34:35]
	v_mov_b32_e32 v5, v3
.LBB45_64:                              ; =>This Inner Loop Header: Depth=1
	s_load_dwordx8 s[12:19], s[24:25], 0x4
	s_load_dwordx4 s[20:23], s[24:25], 0x24
	s_load_dwordx8 s[4:11], s[2:3], 0x0
	s_add_u32 s24, s24, 48
	s_addc_u32 s25, s25, 0
	s_waitcnt lgkmcnt(0)
	v_mul_hi_u32 v1, s13, v5
	v_add_u32_e32 v1, v5, v1
	v_lshrrev_b32_e32 v1, s14, v1
	v_mul_lo_u32 v7, v1, s12
	v_mul_hi_u32 v9, s16, v1
	v_sub_u32_e32 v5, v5, v7
	v_add_u32_e32 v7, v1, v9
	v_lshrrev_b32_e32 v7, s17, v7
	v_mul_lo_u32 v11, v7, s15
	v_mul_hi_u32 v13, s19, v7
	v_sub_u32_e32 v1, v1, v11
	v_add_u32_e32 v11, v7, v13
	v_mul_lo_u32 v9, v5, s5
	v_mul_lo_u32 v5, v5, s4
	;; [unrolled: 1-line block ×4, first 2 shown]
	v_lshrrev_b32_e32 v11, s20, v11
	v_add3_u32 v1, v5, v12, v1
	v_mul_lo_u32 v5, v11, s18
	v_mul_hi_u32 v12, s22, v11
	v_sub_u32_e32 v5, v7, v5
	v_add_u32_e32 v7, v11, v12
	v_add3_u32 v9, v9, v14, v13
	v_mul_lo_u32 v12, v5, s8
	v_mul_lo_u32 v13, v5, s9
	v_lshrrev_b32_e32 v5, s23, v7
	s_add_i32 s28, s28, 4
	v_mul_lo_u32 v7, v5, s21
	s_add_u32 s2, s2, 32
	v_sub_u32_e32 v7, v11, v7
	s_addc_u32 s3, s3, 0
	v_mul_lo_u32 v11, v7, s10
	v_mul_lo_u32 v7, v7, s11
	s_cmp_lg_u32 s26, s28
	v_add3_u32 v14, v13, v9, v7
	v_add3_u32 v12, v12, v1, v11
	s_cbranch_scc1 .LBB45_64
; %bb.65:
	v_mov_b32_e32 v1, v14
	s_and_b32 s6, s27, 3
	s_cmp_eq_u32 s6, 0
	s_cbranch_scc0 .LBB45_69
	s_branch .LBB45_71
.LBB45_66:
                                        ; implicit-def: $vgpr14
                                        ; implicit-def: $vgpr12
	s_branch .LBB45_72
.LBB45_67:
	v_mov_b32_e32 v14, 0
	v_mov_b32_e32 v12, 0
	s_branch .LBB45_71
.LBB45_68:
	v_mov_b32_e32 v12, 0
                                        ; implicit-def: $vgpr14
	v_mov_b32_e32 v1, v12
	v_mov_b32_e32 v5, v3
	s_and_b32 s6, s27, 3
	s_cmp_eq_u32 s6, 0
	s_cbranch_scc1 .LBB45_71
.LBB45_69:
	s_lshl_b32 s2, s26, 3
	s_add_u32 s2, s34, s2
	s_addc_u32 s3, s35, 0
	s_add_u32 s2, s2, 0xc4
	s_addc_u32 s3, s3, 0
	s_mul_i32 s4, s26, 12
	s_add_u32 s4, s34, s4
	s_addc_u32 s5, s35, 0
.LBB45_70:                              ; =>This Inner Loop Header: Depth=1
	s_load_dwordx2 s[8:9], s[4:5], 0x4
	s_load_dword s7, s[4:5], 0xc
	s_load_dwordx2 s[10:11], s[2:3], 0x0
	v_mov_b32_e32 v14, v1
	s_add_u32 s4, s4, 12
	s_waitcnt lgkmcnt(0)
	v_mul_hi_u32 v1, s9, v5
	v_add_u32_e32 v1, v5, v1
	v_lshrrev_b32_e32 v1, s7, v1
	s_addc_u32 s5, s5, 0
	v_mul_lo_u32 v7, v1, s8
	s_add_u32 s2, s2, 8
	v_sub_u32_e32 v7, v5, v7
	s_addc_u32 s3, s3, 0
	s_add_i32 s6, s6, -1
	v_mad_u64_u32 v[14:15], s[8:9], v7, s11, v[14:15]
	s_cmp_lg_u32 s6, 0
	v_mov_b32_e32 v5, v1
	v_mad_u64_u32 v[12:13], s[8:9], v7, s10, v[12:13]
	v_mov_b32_e32 v1, v14
	s_cbranch_scc1 .LBB45_70
.LBB45_71:
	s_cbranch_execnz .LBB45_74
.LBB45_72:
	s_load_dwordx4 s[4:7], s[34:35], 0x4
	s_load_dwordx2 s[2:3], s[34:35], 0xc4
	s_cmp_lt_u32 s33, 2
	s_waitcnt lgkmcnt(0)
	v_mul_hi_u32 v1, s5, v3
	v_add_u32_e32 v1, v3, v1
	v_lshrrev_b32_e32 v1, s6, v1
	v_mul_lo_u32 v5, v1, s4
	v_sub_u32_e32 v3, v3, v5
	v_mul_lo_u32 v14, v3, s3
	v_mul_lo_u32 v12, v3, s2
	s_cbranch_scc1 .LBB45_74
; %bb.73:
	s_load_dwordx4 s[4:7], s[34:35], 0x10
	s_load_dwordx2 s[2:3], s[34:35], 0xcc
	s_waitcnt lgkmcnt(0)
	v_mul_hi_u32 v3, s5, v1
	v_add_u32_e32 v3, v1, v3
	v_lshrrev_b32_e32 v3, s6, v3
	v_mul_lo_u32 v3, v3, s4
	v_sub_u32_e32 v1, v1, v3
	v_mad_u64_u32 v[12:13], s[4:5], v1, s2, v[12:13]
	v_mad_u64_u32 v[14:15], s[2:3], v1, s3, v[14:15]
.LBB45_74:
	s_and_b64 vcc, exec, s[0:1]
	v_add_u32_e32 v3, 0x200, v24
	s_cbranch_vccnz .LBB45_80
; %bb.75:
	s_cmp_lg_u32 s33, 0
	s_waitcnt lgkmcnt(0)
	s_mov_b32 s26, 0
	s_cbranch_scc0 .LBB45_81
; %bb.76:
	s_min_u32 s27, s54, 15
	s_add_i32 s27, s27, 1
	s_cmp_eq_u32 s54, 2
	s_cbranch_scc1 .LBB45_82
; %bb.77:
	s_and_b32 s26, s27, 28
	s_add_u32 s2, s34, 0xc4
	s_addc_u32 s3, s35, 0
	s_mov_b32 s28, 0
	v_mov_b32_e32 v16, 0
	v_mov_b32_e32 v18, 0
	s_mov_b64 s[24:25], s[34:35]
	v_mov_b32_e32 v5, v3
.LBB45_78:                              ; =>This Inner Loop Header: Depth=1
	s_load_dwordx8 s[12:19], s[24:25], 0x4
	s_load_dwordx4 s[20:23], s[24:25], 0x24
	s_load_dwordx8 s[4:11], s[2:3], 0x0
	s_add_u32 s24, s24, 48
	s_addc_u32 s25, s25, 0
	s_waitcnt lgkmcnt(0)
	v_mul_hi_u32 v1, s13, v5
	v_add_u32_e32 v1, v5, v1
	v_lshrrev_b32_e32 v1, s14, v1
	v_mul_lo_u32 v7, v1, s12
	v_mul_hi_u32 v9, s16, v1
	v_sub_u32_e32 v5, v5, v7
	v_add_u32_e32 v7, v1, v9
	v_lshrrev_b32_e32 v7, s17, v7
	v_mul_lo_u32 v11, v7, s15
	v_mul_hi_u32 v13, s19, v7
	v_sub_u32_e32 v1, v1, v11
	v_add_u32_e32 v11, v7, v13
	v_mul_lo_u32 v9, v5, s5
	v_mul_lo_u32 v5, v5, s4
	;; [unrolled: 1-line block ×4, first 2 shown]
	v_lshrrev_b32_e32 v11, s20, v11
	v_add3_u32 v1, v5, v16, v1
	v_add3_u32 v9, v9, v18, v13
	v_mul_lo_u32 v5, v11, s18
	v_mul_hi_u32 v13, s22, v11
	v_sub_u32_e32 v5, v7, v5
	v_add_u32_e32 v7, v11, v13
	v_mul_lo_u32 v13, v5, s8
	v_mul_lo_u32 v15, v5, s9
	v_lshrrev_b32_e32 v5, s23, v7
	s_add_i32 s28, s28, 4
	v_mul_lo_u32 v7, v5, s21
	s_add_u32 s2, s2, 32
	v_sub_u32_e32 v7, v11, v7
	s_addc_u32 s3, s3, 0
	v_mul_lo_u32 v11, v7, s10
	v_mul_lo_u32 v7, v7, s11
	s_cmp_lg_u32 s26, s28
	v_add3_u32 v18, v15, v9, v7
	v_add3_u32 v16, v13, v1, v11
	s_cbranch_scc1 .LBB45_78
; %bb.79:
	v_mov_b32_e32 v1, v18
	s_and_b32 s6, s27, 3
	s_cmp_eq_u32 s6, 0
	s_cbranch_scc0 .LBB45_83
	s_branch .LBB45_85
.LBB45_80:
                                        ; implicit-def: $vgpr18
                                        ; implicit-def: $vgpr16
	s_branch .LBB45_86
.LBB45_81:
	v_mov_b32_e32 v18, 0
	v_mov_b32_e32 v16, 0
	s_branch .LBB45_85
.LBB45_82:
	v_mov_b32_e32 v16, 0
                                        ; implicit-def: $vgpr18
	v_mov_b32_e32 v1, v16
	v_mov_b32_e32 v5, v3
	s_and_b32 s6, s27, 3
	s_cmp_eq_u32 s6, 0
	s_cbranch_scc1 .LBB45_85
.LBB45_83:
	s_lshl_b32 s2, s26, 3
	s_add_u32 s2, s34, s2
	s_addc_u32 s3, s35, 0
	s_add_u32 s2, s2, 0xc4
	s_addc_u32 s3, s3, 0
	s_mul_i32 s4, s26, 12
	s_add_u32 s4, s34, s4
	s_addc_u32 s5, s35, 0
.LBB45_84:                              ; =>This Inner Loop Header: Depth=1
	s_load_dwordx2 s[8:9], s[4:5], 0x4
	s_load_dword s7, s[4:5], 0xc
	s_load_dwordx2 s[10:11], s[2:3], 0x0
	v_mov_b32_e32 v18, v1
	s_add_u32 s4, s4, 12
	s_waitcnt lgkmcnt(0)
	v_mul_hi_u32 v1, s9, v5
	v_add_u32_e32 v1, v5, v1
	v_lshrrev_b32_e32 v1, s7, v1
	s_addc_u32 s5, s5, 0
	v_mul_lo_u32 v7, v1, s8
	s_add_u32 s2, s2, 8
	v_sub_u32_e32 v7, v5, v7
	s_addc_u32 s3, s3, 0
	s_add_i32 s6, s6, -1
	v_mad_u64_u32 v[18:19], s[8:9], v7, s11, v[18:19]
	s_cmp_lg_u32 s6, 0
	v_mov_b32_e32 v5, v1
	v_mad_u64_u32 v[16:17], s[8:9], v7, s10, v[16:17]
	v_mov_b32_e32 v1, v18
	s_cbranch_scc1 .LBB45_84
.LBB45_85:
	s_cbranch_execnz .LBB45_88
.LBB45_86:
	s_load_dwordx4 s[4:7], s[34:35], 0x4
	s_load_dwordx2 s[2:3], s[34:35], 0xc4
	s_cmp_lt_u32 s33, 2
	s_waitcnt lgkmcnt(0)
	v_mul_hi_u32 v1, s5, v3
	v_add_u32_e32 v1, v3, v1
	v_lshrrev_b32_e32 v1, s6, v1
	v_mul_lo_u32 v5, v1, s4
	v_sub_u32_e32 v3, v3, v5
	v_mul_lo_u32 v18, v3, s3
	v_mul_lo_u32 v16, v3, s2
	s_cbranch_scc1 .LBB45_88
; %bb.87:
	s_load_dwordx4 s[4:7], s[34:35], 0x10
	s_load_dwordx2 s[2:3], s[34:35], 0xcc
	s_waitcnt lgkmcnt(0)
	v_mul_hi_u32 v3, s5, v1
	v_add_u32_e32 v3, v1, v3
	v_lshrrev_b32_e32 v3, s6, v3
	v_mul_lo_u32 v3, v3, s4
	v_sub_u32_e32 v1, v1, v3
	v_mad_u64_u32 v[16:17], s[4:5], v1, s2, v[16:17]
	v_mad_u64_u32 v[18:19], s[2:3], v1, s3, v[18:19]
.LBB45_88:
	s_and_b64 vcc, exec, s[0:1]
	v_add_u32_e32 v3, 0x280, v24
	s_cbranch_vccnz .LBB45_94
; %bb.89:
	s_cmp_lg_u32 s33, 0
	s_waitcnt lgkmcnt(0)
	s_mov_b32 s26, 0
	s_cbranch_scc0 .LBB45_95
; %bb.90:
	s_min_u32 s27, s54, 15
	s_add_i32 s27, s27, 1
	s_cmp_eq_u32 s54, 2
	s_cbranch_scc1 .LBB45_96
; %bb.91:
	s_and_b32 s26, s27, 28
	s_add_u32 s2, s34, 0xc4
	s_addc_u32 s3, s35, 0
	s_mov_b32 s28, 0
	v_mov_b32_e32 v20, 0
	v_mov_b32_e32 v22, 0
	s_mov_b64 s[24:25], s[34:35]
	v_mov_b32_e32 v5, v3
.LBB45_92:                              ; =>This Inner Loop Header: Depth=1
	s_load_dwordx8 s[12:19], s[24:25], 0x4
	s_load_dwordx4 s[20:23], s[24:25], 0x24
	s_load_dwordx8 s[4:11], s[2:3], 0x0
	s_add_u32 s24, s24, 48
	s_addc_u32 s25, s25, 0
	s_waitcnt lgkmcnt(0)
	v_mul_hi_u32 v1, s13, v5
	v_add_u32_e32 v1, v5, v1
	v_lshrrev_b32_e32 v1, s14, v1
	v_mul_lo_u32 v7, v1, s12
	v_mul_hi_u32 v9, s16, v1
	v_sub_u32_e32 v5, v5, v7
	v_add_u32_e32 v7, v1, v9
	v_lshrrev_b32_e32 v7, s17, v7
	v_mul_lo_u32 v11, v7, s15
	v_mul_hi_u32 v13, s19, v7
	v_sub_u32_e32 v1, v1, v11
	v_add_u32_e32 v11, v7, v13
	v_mul_lo_u32 v9, v5, s5
	v_mul_lo_u32 v5, v5, s4
	;; [unrolled: 1-line block ×4, first 2 shown]
	v_lshrrev_b32_e32 v11, s20, v11
	v_add3_u32 v1, v5, v20, v1
	v_add3_u32 v9, v9, v22, v13
	v_mul_lo_u32 v5, v11, s18
	v_mul_hi_u32 v13, s22, v11
	v_sub_u32_e32 v5, v7, v5
	v_add_u32_e32 v7, v11, v13
	v_mul_lo_u32 v13, v5, s8
	v_mul_lo_u32 v15, v5, s9
	v_lshrrev_b32_e32 v5, s23, v7
	s_add_i32 s28, s28, 4
	v_mul_lo_u32 v7, v5, s21
	s_add_u32 s2, s2, 32
	v_sub_u32_e32 v7, v11, v7
	s_addc_u32 s3, s3, 0
	v_mul_lo_u32 v11, v7, s10
	v_mul_lo_u32 v7, v7, s11
	s_cmp_lg_u32 s26, s28
	v_add3_u32 v22, v15, v9, v7
	v_add3_u32 v20, v13, v1, v11
	s_cbranch_scc1 .LBB45_92
; %bb.93:
	v_mov_b32_e32 v1, v22
	s_and_b32 s6, s27, 3
	s_cmp_eq_u32 s6, 0
	s_cbranch_scc0 .LBB45_97
	s_branch .LBB45_99
.LBB45_94:
                                        ; implicit-def: $vgpr22
                                        ; implicit-def: $vgpr20
	s_branch .LBB45_100
.LBB45_95:
	v_mov_b32_e32 v22, 0
	v_mov_b32_e32 v20, 0
	s_branch .LBB45_99
.LBB45_96:
	v_mov_b32_e32 v20, 0
                                        ; implicit-def: $vgpr22
	v_mov_b32_e32 v1, v20
	v_mov_b32_e32 v5, v3
	s_and_b32 s6, s27, 3
	s_cmp_eq_u32 s6, 0
	s_cbranch_scc1 .LBB45_99
.LBB45_97:
	s_lshl_b32 s2, s26, 3
	s_add_u32 s2, s34, s2
	s_addc_u32 s3, s35, 0
	s_add_u32 s2, s2, 0xc4
	s_addc_u32 s3, s3, 0
	s_mul_i32 s4, s26, 12
	s_add_u32 s4, s34, s4
	s_addc_u32 s5, s35, 0
.LBB45_98:                              ; =>This Inner Loop Header: Depth=1
	s_load_dwordx2 s[8:9], s[4:5], 0x4
	s_load_dword s7, s[4:5], 0xc
	s_load_dwordx2 s[10:11], s[2:3], 0x0
	v_mov_b32_e32 v22, v1
	s_add_u32 s4, s4, 12
	s_waitcnt lgkmcnt(0)
	v_mul_hi_u32 v1, s9, v5
	v_add_u32_e32 v1, v5, v1
	v_lshrrev_b32_e32 v1, s7, v1
	s_addc_u32 s5, s5, 0
	v_mul_lo_u32 v7, v1, s8
	s_add_u32 s2, s2, 8
	v_sub_u32_e32 v7, v5, v7
	s_addc_u32 s3, s3, 0
	s_add_i32 s6, s6, -1
	v_mad_u64_u32 v[22:23], s[8:9], v7, s11, v[22:23]
	s_cmp_lg_u32 s6, 0
	v_mov_b32_e32 v5, v1
	v_mad_u64_u32 v[20:21], s[8:9], v7, s10, v[20:21]
	v_mov_b32_e32 v1, v22
	s_cbranch_scc1 .LBB45_98
.LBB45_99:
	s_cbranch_execnz .LBB45_102
.LBB45_100:
	s_load_dwordx4 s[4:7], s[34:35], 0x4
	s_load_dwordx2 s[2:3], s[34:35], 0xc4
	s_cmp_lt_u32 s33, 2
	s_waitcnt lgkmcnt(0)
	v_mul_hi_u32 v1, s5, v3
	v_add_u32_e32 v1, v3, v1
	v_lshrrev_b32_e32 v1, s6, v1
	v_mul_lo_u32 v5, v1, s4
	v_sub_u32_e32 v3, v3, v5
	v_mul_lo_u32 v22, v3, s3
	v_mul_lo_u32 v20, v3, s2
	s_cbranch_scc1 .LBB45_102
; %bb.101:
	s_load_dwordx4 s[4:7], s[34:35], 0x10
	s_load_dwordx2 s[2:3], s[34:35], 0xcc
	s_waitcnt lgkmcnt(0)
	v_mul_hi_u32 v3, s5, v1
	v_add_u32_e32 v3, v1, v3
	v_lshrrev_b32_e32 v3, s6, v3
	v_mul_lo_u32 v3, v3, s4
	v_sub_u32_e32 v1, v1, v3
	v_mad_u64_u32 v[20:21], s[4:5], v1, s2, v[20:21]
	v_mad_u64_u32 v[22:23], s[2:3], v1, s3, v[22:23]
.LBB45_102:
	s_and_b64 vcc, exec, s[0:1]
	v_add_u32_e32 v3, 0x300, v24
	s_cbranch_vccnz .LBB45_108
; %bb.103:
	s_cmp_lg_u32 s33, 0
	s_waitcnt lgkmcnt(0)
	s_mov_b32 s26, 0
	s_cbranch_scc0 .LBB45_109
; %bb.104:
	s_min_u32 s27, s54, 15
	s_add_i32 s27, s27, 1
	s_cmp_eq_u32 s54, 2
	s_cbranch_scc1 .LBB45_110
; %bb.105:
	s_and_b32 s26, s27, 28
	s_add_u32 s2, s34, 0xc4
	s_addc_u32 s3, s35, 0
	s_mov_b32 s28, 0
	v_mov_b32_e32 v24, 0
	v_mov_b32_e32 v26, 0
	s_mov_b64 s[24:25], s[34:35]
	v_mov_b32_e32 v5, v3
.LBB45_106:                             ; =>This Inner Loop Header: Depth=1
	s_load_dwordx8 s[12:19], s[24:25], 0x4
	s_load_dwordx4 s[20:23], s[24:25], 0x24
	s_load_dwordx8 s[4:11], s[2:3], 0x0
	s_add_u32 s24, s24, 48
	s_addc_u32 s25, s25, 0
	s_waitcnt lgkmcnt(0)
	v_mul_hi_u32 v1, s13, v5
	v_add_u32_e32 v1, v5, v1
	v_lshrrev_b32_e32 v1, s14, v1
	v_mul_lo_u32 v7, v1, s12
	v_mul_hi_u32 v9, s16, v1
	v_sub_u32_e32 v5, v5, v7
	v_add_u32_e32 v7, v1, v9
	v_lshrrev_b32_e32 v7, s17, v7
	v_mul_lo_u32 v11, v7, s15
	v_mul_hi_u32 v13, s19, v7
	v_sub_u32_e32 v1, v1, v11
	v_add_u32_e32 v11, v7, v13
	v_mul_lo_u32 v9, v5, s5
	v_mul_lo_u32 v5, v5, s4
	;; [unrolled: 1-line block ×4, first 2 shown]
	v_lshrrev_b32_e32 v11, s20, v11
	v_add3_u32 v1, v5, v24, v1
	v_add3_u32 v9, v9, v26, v13
	v_mul_lo_u32 v5, v11, s18
	v_mul_hi_u32 v13, s22, v11
	v_sub_u32_e32 v5, v7, v5
	v_add_u32_e32 v7, v11, v13
	v_mul_lo_u32 v13, v5, s8
	v_mul_lo_u32 v15, v5, s9
	v_lshrrev_b32_e32 v5, s23, v7
	s_add_i32 s28, s28, 4
	v_mul_lo_u32 v7, v5, s21
	s_add_u32 s2, s2, 32
	v_sub_u32_e32 v7, v11, v7
	s_addc_u32 s3, s3, 0
	v_mul_lo_u32 v11, v7, s10
	v_mul_lo_u32 v7, v7, s11
	s_cmp_lg_u32 s26, s28
	v_add3_u32 v26, v15, v9, v7
	v_add3_u32 v24, v13, v1, v11
	s_cbranch_scc1 .LBB45_106
; %bb.107:
	v_mov_b32_e32 v1, v26
	s_and_b32 s6, s27, 3
	s_cmp_eq_u32 s6, 0
	s_cbranch_scc0 .LBB45_111
	s_branch .LBB45_113
.LBB45_108:
                                        ; implicit-def: $vgpr26
                                        ; implicit-def: $vgpr24
	s_branch .LBB45_114
.LBB45_109:
	v_mov_b32_e32 v26, 0
	v_mov_b32_e32 v24, 0
	s_branch .LBB45_113
.LBB45_110:
	v_mov_b32_e32 v24, 0
                                        ; implicit-def: $vgpr26
	v_mov_b32_e32 v1, v24
	v_mov_b32_e32 v5, v3
	s_and_b32 s6, s27, 3
	s_cmp_eq_u32 s6, 0
	s_cbranch_scc1 .LBB45_113
.LBB45_111:
	s_lshl_b32 s2, s26, 3
	s_add_u32 s2, s34, s2
	s_addc_u32 s3, s35, 0
	s_add_u32 s2, s2, 0xc4
	s_addc_u32 s3, s3, 0
	s_mul_i32 s4, s26, 12
	s_add_u32 s4, s34, s4
	s_addc_u32 s5, s35, 0
.LBB45_112:                             ; =>This Inner Loop Header: Depth=1
	s_load_dwordx2 s[8:9], s[4:5], 0x4
	s_load_dword s7, s[4:5], 0xc
	s_load_dwordx2 s[10:11], s[2:3], 0x0
	v_mov_b32_e32 v26, v1
	s_add_u32 s4, s4, 12
	s_waitcnt lgkmcnt(0)
	v_mul_hi_u32 v1, s9, v5
	v_add_u32_e32 v1, v5, v1
	v_lshrrev_b32_e32 v1, s7, v1
	s_addc_u32 s5, s5, 0
	v_mul_lo_u32 v7, v1, s8
	s_add_u32 s2, s2, 8
	v_sub_u32_e32 v7, v5, v7
	s_addc_u32 s3, s3, 0
	s_add_i32 s6, s6, -1
	v_mad_u64_u32 v[26:27], s[8:9], v7, s11, v[26:27]
	s_cmp_lg_u32 s6, 0
	v_mov_b32_e32 v5, v1
	v_mad_u64_u32 v[24:25], s[8:9], v7, s10, v[24:25]
	v_mov_b32_e32 v1, v26
	s_cbranch_scc1 .LBB45_112
.LBB45_113:
	s_cbranch_execnz .LBB45_116
.LBB45_114:
	s_load_dwordx4 s[4:7], s[34:35], 0x4
	s_load_dwordx2 s[2:3], s[34:35], 0xc4
	s_cmp_lt_u32 s33, 2
	s_waitcnt lgkmcnt(0)
	v_mul_hi_u32 v1, s5, v3
	v_add_u32_e32 v1, v3, v1
	v_lshrrev_b32_e32 v1, s6, v1
	v_mul_lo_u32 v5, v1, s4
	v_sub_u32_e32 v3, v3, v5
	v_mul_lo_u32 v26, v3, s3
	v_mul_lo_u32 v24, v3, s2
	s_cbranch_scc1 .LBB45_116
; %bb.115:
	s_load_dwordx4 s[4:7], s[34:35], 0x10
	s_load_dwordx2 s[2:3], s[34:35], 0xcc
	s_waitcnt lgkmcnt(0)
	v_mul_hi_u32 v3, s5, v1
	v_add_u32_e32 v3, v1, v3
	v_lshrrev_b32_e32 v3, s6, v3
	v_mul_lo_u32 v3, v3, s4
	v_sub_u32_e32 v1, v1, v3
	v_mad_u64_u32 v[24:25], s[4:5], v1, s2, v[24:25]
	v_mad_u64_u32 v[26:27], s[2:3], v1, s3, v[26:27]
.LBB45_116:
	s_and_b64 vcc, exec, s[0:1]
	s_cbranch_vccnz .LBB45_122
; %bb.117:
	s_cmp_lg_u32 s33, 0
	s_waitcnt lgkmcnt(0)
	s_mov_b32 s24, 0
	s_cbranch_scc0 .LBB45_123
; %bb.118:
	s_min_u32 s25, s54, 15
	s_add_i32 s25, s25, 1
	s_cmp_eq_u32 s54, 2
	s_cbranch_scc1 .LBB45_124
; %bb.119:
	s_and_b32 s24, s25, 28
	s_add_u32 s20, s34, 0xc4
	s_addc_u32 s21, s35, 0
	s_mov_b32 s26, 0
	v_mov_b32_e32 v28, 0
	v_mov_b32_e32 v30, 0
	s_mov_b64 s[22:23], s[34:35]
	v_mov_b32_e32 v3, v32
.LBB45_120:                             ; =>This Inner Loop Header: Depth=1
	s_load_dwordx8 s[8:15], s[22:23], 0x4
	s_load_dwordx4 s[16:19], s[22:23], 0x24
	s_load_dwordx8 s[0:7], s[20:21], 0x0
	s_add_u32 s22, s22, 48
	s_addc_u32 s23, s23, 0
	s_waitcnt lgkmcnt(0)
	v_mul_hi_u32 v1, s9, v3
	v_add_u32_e32 v1, v3, v1
	v_lshrrev_b32_e32 v1, s10, v1
	v_mul_lo_u32 v5, v1, s8
	v_mul_hi_u32 v7, s12, v1
	v_sub_u32_e32 v3, v3, v5
	v_add_u32_e32 v5, v1, v7
	v_lshrrev_b32_e32 v5, s13, v5
	v_mul_lo_u32 v9, v5, s11
	v_mul_hi_u32 v11, s15, v5
	v_sub_u32_e32 v1, v1, v9
	v_add_u32_e32 v9, v5, v11
	v_mul_lo_u32 v7, v3, s1
	v_mul_lo_u32 v3, v3, s0
	;; [unrolled: 1-line block ×4, first 2 shown]
	v_lshrrev_b32_e32 v9, s16, v9
	v_add3_u32 v1, v3, v28, v1
	v_add3_u32 v7, v7, v30, v11
	v_mul_lo_u32 v3, v9, s14
	v_mul_hi_u32 v11, s18, v9
	v_sub_u32_e32 v3, v5, v3
	v_add_u32_e32 v5, v9, v11
	v_mul_lo_u32 v11, v3, s4
	v_mul_lo_u32 v13, v3, s5
	v_lshrrev_b32_e32 v3, s19, v5
	s_add_i32 s26, s26, 4
	v_mul_lo_u32 v5, v3, s17
	s_add_u32 s20, s20, 32
	v_sub_u32_e32 v5, v9, v5
	s_addc_u32 s21, s21, 0
	v_mul_lo_u32 v9, v5, s6
	v_mul_lo_u32 v5, v5, s7
	s_cmp_lg_u32 s24, s26
	v_add3_u32 v30, v13, v7, v5
	v_add3_u32 v28, v11, v1, v9
	s_cbranch_scc1 .LBB45_120
; %bb.121:
	v_mov_b32_e32 v1, v30
	s_and_b32 s4, s25, 3
	s_cmp_eq_u32 s4, 0
	s_cbranch_scc0 .LBB45_125
	s_branch .LBB45_127
.LBB45_122:
                                        ; implicit-def: $vgpr30
                                        ; implicit-def: $vgpr28
	s_branch .LBB45_128
.LBB45_123:
	v_mov_b32_e32 v30, 0
	v_mov_b32_e32 v28, 0
	s_branch .LBB45_127
.LBB45_124:
	v_mov_b32_e32 v28, 0
                                        ; implicit-def: $vgpr30
	v_mov_b32_e32 v1, v28
	v_mov_b32_e32 v3, v32
	s_and_b32 s4, s25, 3
	s_cmp_eq_u32 s4, 0
	s_cbranch_scc1 .LBB45_127
.LBB45_125:
	s_lshl_b32 s0, s24, 3
	s_add_u32 s0, s34, s0
	s_addc_u32 s1, s35, 0
	s_add_u32 s0, s0, 0xc4
	s_addc_u32 s1, s1, 0
	s_mul_i32 s2, s24, 12
	s_add_u32 s2, s34, s2
	s_addc_u32 s3, s35, 0
.LBB45_126:                             ; =>This Inner Loop Header: Depth=1
	s_load_dwordx2 s[6:7], s[2:3], 0x4
	s_load_dword s5, s[2:3], 0xc
	s_load_dwordx2 s[8:9], s[0:1], 0x0
	v_mov_b32_e32 v30, v1
	s_add_u32 s2, s2, 12
	s_waitcnt lgkmcnt(0)
	v_mul_hi_u32 v1, s7, v3
	v_add_u32_e32 v1, v3, v1
	v_lshrrev_b32_e32 v1, s5, v1
	s_addc_u32 s3, s3, 0
	v_mul_lo_u32 v5, v1, s6
	s_add_u32 s0, s0, 8
	v_sub_u32_e32 v5, v3, v5
	s_addc_u32 s1, s1, 0
	s_add_i32 s4, s4, -1
	v_mad_u64_u32 v[30:31], s[6:7], v5, s9, v[30:31]
	s_cmp_lg_u32 s4, 0
	v_mov_b32_e32 v3, v1
	v_mad_u64_u32 v[28:29], s[6:7], v5, s8, v[28:29]
	v_mov_b32_e32 v1, v30
	s_cbranch_scc1 .LBB45_126
.LBB45_127:
	s_cbranch_execnz .LBB45_130
.LBB45_128:
	s_load_dwordx4 s[0:3], s[34:35], 0x4
	s_load_dwordx2 s[4:5], s[34:35], 0xc4
	s_cmp_lt_u32 s33, 2
	s_waitcnt lgkmcnt(0)
	v_mul_hi_u32 v1, s1, v32
	v_add_u32_e32 v1, v32, v1
	v_lshrrev_b32_e32 v1, s2, v1
	v_mul_lo_u32 v3, v1, s0
	v_sub_u32_e32 v3, v32, v3
	v_mul_lo_u32 v30, v3, s5
	v_mul_lo_u32 v28, v3, s4
	s_cbranch_scc1 .LBB45_130
; %bb.129:
	s_load_dwordx4 s[0:3], s[34:35], 0x10
	s_load_dwordx2 s[4:5], s[34:35], 0xcc
	s_waitcnt lgkmcnt(0)
	v_mul_hi_u32 v3, s1, v1
	v_add_u32_e32 v3, v1, v3
	v_lshrrev_b32_e32 v3, s2, v3
	v_mul_lo_u32 v3, v3, s0
	v_sub_u32_e32 v1, v1, v3
	v_mad_u64_u32 v[28:29], s[0:1], v1, s4, v[28:29]
	v_mad_u64_u32 v[30:31], s[0:1], v1, s5, v[30:31]
.LBB45_130:
	s_load_dwordx4 s[0:3], s[34:35], 0x148
	s_waitcnt lgkmcnt(0)
	global_load_ushort v1, v2, s[2:3]
	global_load_ushort v3, v6, s[2:3]
	;; [unrolled: 1-line block ×8, first 2 shown]
	s_waitcnt vmcnt(7)
	v_xor_b32_e32 v1, -1, v1
	s_waitcnt vmcnt(6)
	v_xor_b32_e32 v2, -1, v3
	;; [unrolled: 2-line block ×8, first 2 shown]
	global_store_short v0, v1, s[0:1]
	global_store_short v4, v2, s[0:1]
	;; [unrolled: 1-line block ×8, first 2 shown]
	s_endpgm
.LBB45_131:
	v_mov_b32_e32 v2, 0
	v_mov_b32_e32 v0, 0
	s_branch .LBB45_137
.LBB45_132:
	v_mov_b32_e32 v2, 0
	v_mov_b32_e32 v0, 0
	s_branch .LBB45_154
.LBB45_133:
	v_mov_b32_e32 v0, 0
	s_mov_b32 s57, 0
	v_mov_b32_e32 v1, v0
                                        ; implicit-def: $vgpr2
	v_mov_b32_e32 v4, v24
.LBB45_134:
	s_and_b32 s4, s58, 3
	s_cmp_eq_u32 s4, 0
	s_cbranch_scc1 .LBB45_137
; %bb.135:
	s_lshl_b32 s0, s57, 3
	s_add_u32 s0, s34, s0
	s_addc_u32 s1, s35, 0
	s_add_u32 s0, s0, 0xc4
	s_addc_u32 s1, s1, 0
	s_mul_i32 s2, s57, 12
	s_add_u32 s2, s34, s2
	s_addc_u32 s3, s35, 0
.LBB45_136:                             ; =>This Inner Loop Header: Depth=1
	s_load_dwordx2 s[6:7], s[2:3], 0x4
	s_load_dword s5, s[2:3], 0xc
	s_load_dwordx2 s[8:9], s[0:1], 0x0
	v_mov_b32_e32 v2, v1
	s_add_u32 s2, s2, 12
	s_waitcnt lgkmcnt(0)
	v_mul_hi_u32 v1, s7, v4
	v_add_u32_e32 v1, v4, v1
	v_lshrrev_b32_e32 v1, s5, v1
	s_addc_u32 s3, s3, 0
	v_mul_lo_u32 v3, v1, s6
	s_add_u32 s0, s0, 8
	v_sub_u32_e32 v5, v4, v3
	s_addc_u32 s1, s1, 0
	s_add_i32 s4, s4, -1
	v_mov_b32_e32 v4, v1
	v_mad_u64_u32 v[2:3], s[6:7], v5, s9, v[2:3]
	v_mad_u64_u32 v[0:1], s[6:7], v5, s8, v[0:1]
	s_cmp_lg_u32 s4, 0
	v_mov_b32_e32 v1, v2
	s_cbranch_scc1 .LBB45_136
.LBB45_137:
	s_cbranch_execnz .LBB45_140
.LBB45_138:
	s_waitcnt lgkmcnt(0)
	v_mul_hi_u32 v0, s25, v24
	v_add_u32_e32 v0, v24, v0
	v_lshrrev_b32_e32 v1, s26, v0
	v_mul_lo_u32 v0, v1, s24
	v_sub_u32_e32 v0, v24, v0
	v_mul_lo_u32 v2, v0, s21
	s_andn2_b64 vcc, exec, s[42:43]
	v_mul_lo_u32 v0, v0, s20
	s_cbranch_vccnz .LBB45_140
; %bb.139:
	v_mul_hi_u32 v3, s40, v1
	v_add_u32_e32 v3, v1, v3
	v_lshrrev_b32_e32 v3, s41, v3
	v_mul_lo_u32 v3, v3, s27
	v_sub_u32_e32 v3, v1, v3
	v_mad_u64_u32 v[0:1], s[0:1], v3, s22, v[0:1]
	v_mad_u64_u32 v[2:3], s[0:1], v3, s23, v[2:3]
.LBB45_140:
	s_waitcnt lgkmcnt(0)
	global_load_ushort v1, v2, s[18:19]
	v_add_u32_e32 v24, 0x80, v24
	s_waitcnt vmcnt(0)
	v_xor_b32_e32 v1, -1, v1
	global_store_short v0, v1, s[16:17]
	s_or_b64 exec, exec, s[48:49]
	v_cmp_gt_i32_e32 vcc, s55, v24
	s_and_saveexec_b64 s[48:49], vcc
	s_cbranch_execnz .LBB45_16
.LBB45_141:
	s_or_b64 exec, exec, s[48:49]
	v_cmp_gt_i32_e32 vcc, s55, v24
	s_and_saveexec_b64 s[48:49], vcc
	s_cbranch_execz .LBB45_158
.LBB45_142:
	s_andn2_b64 vcc, exec, s[36:37]
	s_cbranch_vccnz .LBB45_148
; %bb.143:
	s_andn2_b64 vcc, exec, s[46:47]
	s_cbranch_vccnz .LBB45_149
; %bb.144:
	s_add_i32 s58, s56, 1
	s_cmp_eq_u32 s54, 2
	s_cbranch_scc1 .LBB45_167
; %bb.145:
	s_and_b32 s57, s58, 28
	s_mov_b32 s59, 0
	v_mov_b32_e32 v0, 0
	v_mov_b32_e32 v2, 0
	s_mov_b64 s[50:51], s[34:35]
	s_mov_b64 s[52:53], s[44:45]
	v_mov_b32_e32 v4, v24
.LBB45_146:                             ; =>This Inner Loop Header: Depth=1
	s_load_dwordx8 s[8:15], s[50:51], 0x4
	s_load_dwordx4 s[28:31], s[50:51], 0x24
	s_load_dwordx8 s[0:7], s[52:53], 0x0
	s_add_u32 s50, s50, 48
	s_addc_u32 s51, s51, 0
	s_waitcnt lgkmcnt(0)
	v_mul_hi_u32 v1, s9, v4
	v_add_u32_e32 v1, v4, v1
	v_lshrrev_b32_e32 v1, s10, v1
	v_mul_lo_u32 v3, v1, s8
	v_mul_hi_u32 v5, s12, v1
	v_sub_u32_e32 v3, v4, v3
	v_add_u32_e32 v4, v1, v5
	v_lshrrev_b32_e32 v4, s13, v4
	v_mul_lo_u32 v6, v4, s11
	v_mul_hi_u32 v7, s15, v4
	v_sub_u32_e32 v1, v1, v6
	v_add_u32_e32 v6, v4, v7
	v_mul_lo_u32 v5, v3, s1
	v_mul_lo_u32 v3, v3, s0
	;; [unrolled: 1-line block ×4, first 2 shown]
	v_lshrrev_b32_e32 v6, s28, v6
	v_add3_u32 v0, v3, v0, v1
	v_mul_hi_u32 v3, s30, v6
	v_add3_u32 v1, v5, v2, v7
	v_mul_lo_u32 v2, v6, s14
	v_add_u32_e32 v3, v6, v3
	v_sub_u32_e32 v2, v4, v2
	v_lshrrev_b32_e32 v4, s31, v3
	s_add_i32 s59, s59, 4
	v_mul_lo_u32 v3, v4, s29
	s_add_u32 s52, s52, 32
	v_sub_u32_e32 v3, v6, v3
	s_addc_u32 s53, s53, 0
	v_mul_lo_u32 v5, v2, s4
	v_mul_lo_u32 v2, v2, s5
	;; [unrolled: 1-line block ×4, first 2 shown]
	s_cmp_eq_u32 s57, s59
	v_add3_u32 v2, v2, v1, v3
	v_add3_u32 v0, v5, v0, v6
	s_cbranch_scc0 .LBB45_146
; %bb.147:
	v_mov_b32_e32 v1, v2
	s_branch .LBB45_168
.LBB45_148:
                                        ; implicit-def: $vgpr2
                                        ; implicit-def: $vgpr0
	s_branch .LBB45_172
.LBB45_149:
	v_mov_b32_e32 v2, 0
	v_mov_b32_e32 v0, 0
	s_branch .LBB45_171
.LBB45_150:
	v_mov_b32_e32 v0, 0
	s_mov_b32 s57, 0
	v_mov_b32_e32 v1, v0
                                        ; implicit-def: $vgpr2
	v_mov_b32_e32 v4, v24
.LBB45_151:
	s_and_b32 s4, s58, 3
	s_cmp_eq_u32 s4, 0
	s_cbranch_scc1 .LBB45_154
; %bb.152:
	s_lshl_b32 s0, s57, 3
	s_add_u32 s0, s34, s0
	s_addc_u32 s1, s35, 0
	s_add_u32 s0, s0, 0xc4
	s_addc_u32 s1, s1, 0
	s_mul_i32 s2, s57, 12
	s_add_u32 s2, s34, s2
	s_addc_u32 s3, s35, 0
.LBB45_153:                             ; =>This Inner Loop Header: Depth=1
	s_load_dwordx2 s[6:7], s[2:3], 0x4
	s_load_dword s5, s[2:3], 0xc
	s_load_dwordx2 s[8:9], s[0:1], 0x0
	v_mov_b32_e32 v2, v1
	s_add_u32 s2, s2, 12
	s_waitcnt lgkmcnt(0)
	v_mul_hi_u32 v1, s7, v4
	v_add_u32_e32 v1, v4, v1
	v_lshrrev_b32_e32 v1, s5, v1
	s_addc_u32 s3, s3, 0
	v_mul_lo_u32 v3, v1, s6
	s_add_u32 s0, s0, 8
	v_sub_u32_e32 v5, v4, v3
	s_addc_u32 s1, s1, 0
	s_add_i32 s4, s4, -1
	v_mov_b32_e32 v4, v1
	v_mad_u64_u32 v[2:3], s[6:7], v5, s9, v[2:3]
	v_mad_u64_u32 v[0:1], s[6:7], v5, s8, v[0:1]
	s_cmp_lg_u32 s4, 0
	v_mov_b32_e32 v1, v2
	s_cbranch_scc1 .LBB45_153
.LBB45_154:
	s_cbranch_execnz .LBB45_157
.LBB45_155:
	s_waitcnt lgkmcnt(0)
	v_mul_hi_u32 v0, s25, v24
	v_add_u32_e32 v0, v24, v0
	v_lshrrev_b32_e32 v1, s26, v0
	v_mul_lo_u32 v0, v1, s24
	v_sub_u32_e32 v0, v24, v0
	v_mul_lo_u32 v2, v0, s21
	s_andn2_b64 vcc, exec, s[42:43]
	v_mul_lo_u32 v0, v0, s20
	s_cbranch_vccnz .LBB45_157
; %bb.156:
	v_mul_hi_u32 v3, s40, v1
	v_add_u32_e32 v3, v1, v3
	v_lshrrev_b32_e32 v3, s41, v3
	v_mul_lo_u32 v3, v3, s27
	v_sub_u32_e32 v3, v1, v3
	v_mad_u64_u32 v[0:1], s[0:1], v3, s22, v[0:1]
	v_mad_u64_u32 v[2:3], s[0:1], v3, s23, v[2:3]
.LBB45_157:
	s_waitcnt lgkmcnt(0)
	global_load_ushort v1, v2, s[18:19]
	v_add_u32_e32 v24, 0x80, v24
	s_waitcnt vmcnt(0)
	v_xor_b32_e32 v1, -1, v1
	global_store_short v0, v1, s[16:17]
	s_or_b64 exec, exec, s[48:49]
	v_cmp_gt_i32_e32 vcc, s55, v24
	s_and_saveexec_b64 s[48:49], vcc
	s_cbranch_execnz .LBB45_142
.LBB45_158:
	s_or_b64 exec, exec, s[48:49]
	v_cmp_gt_i32_e32 vcc, s55, v24
	s_and_saveexec_b64 s[48:49], vcc
	s_cbranch_execz .LBB45_175
.LBB45_159:
	s_andn2_b64 vcc, exec, s[36:37]
	s_cbranch_vccnz .LBB45_165
; %bb.160:
	s_andn2_b64 vcc, exec, s[46:47]
	s_cbranch_vccnz .LBB45_166
; %bb.161:
	s_add_i32 s58, s56, 1
	s_cmp_eq_u32 s54, 2
	s_cbranch_scc1 .LBB45_184
; %bb.162:
	s_and_b32 s57, s58, 28
	s_mov_b32 s59, 0
	v_mov_b32_e32 v0, 0
	v_mov_b32_e32 v2, 0
	s_mov_b64 s[50:51], s[34:35]
	s_mov_b64 s[52:53], s[44:45]
	v_mov_b32_e32 v4, v24
.LBB45_163:                             ; =>This Inner Loop Header: Depth=1
	s_load_dwordx8 s[8:15], s[50:51], 0x4
	s_load_dwordx4 s[28:31], s[50:51], 0x24
	s_load_dwordx8 s[0:7], s[52:53], 0x0
	s_add_u32 s50, s50, 48
	s_addc_u32 s51, s51, 0
	s_waitcnt lgkmcnt(0)
	v_mul_hi_u32 v1, s9, v4
	v_add_u32_e32 v1, v4, v1
	v_lshrrev_b32_e32 v1, s10, v1
	v_mul_lo_u32 v3, v1, s8
	v_mul_hi_u32 v5, s12, v1
	v_sub_u32_e32 v3, v4, v3
	v_add_u32_e32 v4, v1, v5
	v_lshrrev_b32_e32 v4, s13, v4
	v_mul_lo_u32 v6, v4, s11
	v_mul_hi_u32 v7, s15, v4
	v_sub_u32_e32 v1, v1, v6
	v_add_u32_e32 v6, v4, v7
	v_mul_lo_u32 v5, v3, s1
	v_mul_lo_u32 v3, v3, s0
	v_mul_lo_u32 v7, v1, s3
	v_mul_lo_u32 v1, v1, s2
	v_lshrrev_b32_e32 v6, s28, v6
	v_add3_u32 v0, v3, v0, v1
	v_mul_hi_u32 v3, s30, v6
	v_add3_u32 v1, v5, v2, v7
	v_mul_lo_u32 v2, v6, s14
	v_add_u32_e32 v3, v6, v3
	v_sub_u32_e32 v2, v4, v2
	v_lshrrev_b32_e32 v4, s31, v3
	s_add_i32 s59, s59, 4
	v_mul_lo_u32 v3, v4, s29
	s_add_u32 s52, s52, 32
	v_sub_u32_e32 v3, v6, v3
	s_addc_u32 s53, s53, 0
	v_mul_lo_u32 v5, v2, s4
	v_mul_lo_u32 v2, v2, s5
	;; [unrolled: 1-line block ×4, first 2 shown]
	s_cmp_eq_u32 s57, s59
	v_add3_u32 v2, v2, v1, v3
	v_add3_u32 v0, v5, v0, v6
	s_cbranch_scc0 .LBB45_163
; %bb.164:
	v_mov_b32_e32 v1, v2
	s_branch .LBB45_185
.LBB45_165:
                                        ; implicit-def: $vgpr2
                                        ; implicit-def: $vgpr0
	s_branch .LBB45_189
.LBB45_166:
	v_mov_b32_e32 v2, 0
	v_mov_b32_e32 v0, 0
	s_branch .LBB45_188
.LBB45_167:
	v_mov_b32_e32 v0, 0
	s_mov_b32 s57, 0
	v_mov_b32_e32 v1, v0
                                        ; implicit-def: $vgpr2
	v_mov_b32_e32 v4, v24
.LBB45_168:
	s_and_b32 s4, s58, 3
	s_cmp_eq_u32 s4, 0
	s_cbranch_scc1 .LBB45_171
; %bb.169:
	s_lshl_b32 s0, s57, 3
	s_add_u32 s0, s34, s0
	s_addc_u32 s1, s35, 0
	s_add_u32 s0, s0, 0xc4
	s_addc_u32 s1, s1, 0
	s_mul_i32 s2, s57, 12
	s_add_u32 s2, s34, s2
	s_addc_u32 s3, s35, 0
.LBB45_170:                             ; =>This Inner Loop Header: Depth=1
	s_load_dwordx2 s[6:7], s[2:3], 0x4
	s_load_dword s5, s[2:3], 0xc
	s_load_dwordx2 s[8:9], s[0:1], 0x0
	v_mov_b32_e32 v2, v1
	s_add_u32 s2, s2, 12
	s_waitcnt lgkmcnt(0)
	v_mul_hi_u32 v1, s7, v4
	v_add_u32_e32 v1, v4, v1
	v_lshrrev_b32_e32 v1, s5, v1
	s_addc_u32 s3, s3, 0
	v_mul_lo_u32 v3, v1, s6
	s_add_u32 s0, s0, 8
	v_sub_u32_e32 v5, v4, v3
	s_addc_u32 s1, s1, 0
	s_add_i32 s4, s4, -1
	v_mov_b32_e32 v4, v1
	v_mad_u64_u32 v[2:3], s[6:7], v5, s9, v[2:3]
	v_mad_u64_u32 v[0:1], s[6:7], v5, s8, v[0:1]
	s_cmp_lg_u32 s4, 0
	v_mov_b32_e32 v1, v2
	s_cbranch_scc1 .LBB45_170
.LBB45_171:
	s_cbranch_execnz .LBB45_174
.LBB45_172:
	s_waitcnt lgkmcnt(0)
	v_mul_hi_u32 v0, s25, v24
	v_add_u32_e32 v0, v24, v0
	v_lshrrev_b32_e32 v1, s26, v0
	v_mul_lo_u32 v0, v1, s24
	v_sub_u32_e32 v0, v24, v0
	v_mul_lo_u32 v2, v0, s21
	s_andn2_b64 vcc, exec, s[42:43]
	v_mul_lo_u32 v0, v0, s20
	s_cbranch_vccnz .LBB45_174
; %bb.173:
	v_mul_hi_u32 v3, s40, v1
	v_add_u32_e32 v3, v1, v3
	v_lshrrev_b32_e32 v3, s41, v3
	v_mul_lo_u32 v3, v3, s27
	v_sub_u32_e32 v3, v1, v3
	v_mad_u64_u32 v[0:1], s[0:1], v3, s22, v[0:1]
	v_mad_u64_u32 v[2:3], s[0:1], v3, s23, v[2:3]
.LBB45_174:
	s_waitcnt lgkmcnt(0)
	global_load_ushort v1, v2, s[18:19]
	v_add_u32_e32 v24, 0x80, v24
	s_waitcnt vmcnt(0)
	v_xor_b32_e32 v1, -1, v1
	global_store_short v0, v1, s[16:17]
	s_or_b64 exec, exec, s[48:49]
	v_cmp_gt_i32_e32 vcc, s55, v24
	s_and_saveexec_b64 s[48:49], vcc
	s_cbranch_execnz .LBB45_159
.LBB45_175:
	s_or_b64 exec, exec, s[48:49]
	v_cmp_gt_i32_e32 vcc, s55, v24
	s_and_saveexec_b64 s[48:49], vcc
	s_cbranch_execz .LBB45_192
.LBB45_176:
	s_andn2_b64 vcc, exec, s[36:37]
	s_cbranch_vccnz .LBB45_182
; %bb.177:
	s_andn2_b64 vcc, exec, s[46:47]
	s_cbranch_vccnz .LBB45_183
; %bb.178:
	s_add_i32 s58, s56, 1
	s_cmp_eq_u32 s54, 2
	s_cbranch_scc1 .LBB45_201
; %bb.179:
	s_and_b32 s57, s58, 28
	s_mov_b32 s59, 0
	v_mov_b32_e32 v0, 0
	v_mov_b32_e32 v2, 0
	s_mov_b64 s[50:51], s[34:35]
	s_mov_b64 s[52:53], s[44:45]
	v_mov_b32_e32 v4, v24
.LBB45_180:                             ; =>This Inner Loop Header: Depth=1
	s_load_dwordx8 s[8:15], s[50:51], 0x4
	s_load_dwordx4 s[28:31], s[50:51], 0x24
	s_load_dwordx8 s[0:7], s[52:53], 0x0
	s_add_u32 s50, s50, 48
	s_addc_u32 s51, s51, 0
	s_waitcnt lgkmcnt(0)
	v_mul_hi_u32 v1, s9, v4
	v_add_u32_e32 v1, v4, v1
	v_lshrrev_b32_e32 v1, s10, v1
	v_mul_lo_u32 v3, v1, s8
	v_mul_hi_u32 v5, s12, v1
	v_sub_u32_e32 v3, v4, v3
	v_add_u32_e32 v4, v1, v5
	v_lshrrev_b32_e32 v4, s13, v4
	v_mul_lo_u32 v6, v4, s11
	v_mul_hi_u32 v7, s15, v4
	v_sub_u32_e32 v1, v1, v6
	v_add_u32_e32 v6, v4, v7
	v_mul_lo_u32 v5, v3, s1
	v_mul_lo_u32 v3, v3, s0
	;; [unrolled: 1-line block ×4, first 2 shown]
	v_lshrrev_b32_e32 v6, s28, v6
	v_add3_u32 v0, v3, v0, v1
	v_mul_hi_u32 v3, s30, v6
	v_add3_u32 v1, v5, v2, v7
	v_mul_lo_u32 v2, v6, s14
	v_add_u32_e32 v3, v6, v3
	v_sub_u32_e32 v2, v4, v2
	v_lshrrev_b32_e32 v4, s31, v3
	s_add_i32 s59, s59, 4
	v_mul_lo_u32 v3, v4, s29
	s_add_u32 s52, s52, 32
	v_sub_u32_e32 v3, v6, v3
	s_addc_u32 s53, s53, 0
	v_mul_lo_u32 v5, v2, s4
	v_mul_lo_u32 v2, v2, s5
	;; [unrolled: 1-line block ×4, first 2 shown]
	s_cmp_eq_u32 s57, s59
	v_add3_u32 v2, v2, v1, v3
	v_add3_u32 v0, v5, v0, v6
	s_cbranch_scc0 .LBB45_180
; %bb.181:
	v_mov_b32_e32 v1, v2
	s_branch .LBB45_202
.LBB45_182:
                                        ; implicit-def: $vgpr2
                                        ; implicit-def: $vgpr0
	s_branch .LBB45_206
.LBB45_183:
	v_mov_b32_e32 v2, 0
	v_mov_b32_e32 v0, 0
	s_branch .LBB45_205
.LBB45_184:
	v_mov_b32_e32 v0, 0
	s_mov_b32 s57, 0
	v_mov_b32_e32 v1, v0
                                        ; implicit-def: $vgpr2
	v_mov_b32_e32 v4, v24
.LBB45_185:
	s_and_b32 s4, s58, 3
	s_cmp_eq_u32 s4, 0
	s_cbranch_scc1 .LBB45_188
; %bb.186:
	s_lshl_b32 s0, s57, 3
	s_add_u32 s0, s34, s0
	s_addc_u32 s1, s35, 0
	s_add_u32 s0, s0, 0xc4
	s_addc_u32 s1, s1, 0
	s_mul_i32 s2, s57, 12
	s_add_u32 s2, s34, s2
	s_addc_u32 s3, s35, 0
.LBB45_187:                             ; =>This Inner Loop Header: Depth=1
	s_load_dwordx2 s[6:7], s[2:3], 0x4
	s_load_dword s5, s[2:3], 0xc
	s_load_dwordx2 s[8:9], s[0:1], 0x0
	v_mov_b32_e32 v2, v1
	s_add_u32 s2, s2, 12
	s_waitcnt lgkmcnt(0)
	v_mul_hi_u32 v1, s7, v4
	v_add_u32_e32 v1, v4, v1
	v_lshrrev_b32_e32 v1, s5, v1
	s_addc_u32 s3, s3, 0
	v_mul_lo_u32 v3, v1, s6
	s_add_u32 s0, s0, 8
	v_sub_u32_e32 v5, v4, v3
	s_addc_u32 s1, s1, 0
	s_add_i32 s4, s4, -1
	v_mov_b32_e32 v4, v1
	v_mad_u64_u32 v[2:3], s[6:7], v5, s9, v[2:3]
	v_mad_u64_u32 v[0:1], s[6:7], v5, s8, v[0:1]
	s_cmp_lg_u32 s4, 0
	v_mov_b32_e32 v1, v2
	s_cbranch_scc1 .LBB45_187
.LBB45_188:
	s_cbranch_execnz .LBB45_191
.LBB45_189:
	s_waitcnt lgkmcnt(0)
	v_mul_hi_u32 v0, s25, v24
	v_add_u32_e32 v0, v24, v0
	v_lshrrev_b32_e32 v1, s26, v0
	v_mul_lo_u32 v0, v1, s24
	v_sub_u32_e32 v0, v24, v0
	v_mul_lo_u32 v2, v0, s21
	s_andn2_b64 vcc, exec, s[42:43]
	v_mul_lo_u32 v0, v0, s20
	s_cbranch_vccnz .LBB45_191
; %bb.190:
	v_mul_hi_u32 v3, s40, v1
	v_add_u32_e32 v3, v1, v3
	v_lshrrev_b32_e32 v3, s41, v3
	v_mul_lo_u32 v3, v3, s27
	v_sub_u32_e32 v3, v1, v3
	v_mad_u64_u32 v[0:1], s[0:1], v3, s22, v[0:1]
	v_mad_u64_u32 v[2:3], s[0:1], v3, s23, v[2:3]
.LBB45_191:
	s_waitcnt lgkmcnt(0)
	global_load_ushort v1, v2, s[18:19]
	v_add_u32_e32 v24, 0x80, v24
	s_waitcnt vmcnt(0)
	v_xor_b32_e32 v1, -1, v1
	global_store_short v0, v1, s[16:17]
	s_or_b64 exec, exec, s[48:49]
	v_cmp_gt_i32_e32 vcc, s55, v24
	s_and_saveexec_b64 s[48:49], vcc
	s_cbranch_execnz .LBB45_176
.LBB45_192:
	s_or_b64 exec, exec, s[48:49]
	v_cmp_gt_i32_e32 vcc, s55, v24
	s_and_saveexec_b64 s[48:49], vcc
	s_cbranch_execz .LBB45_209
.LBB45_193:
	s_andn2_b64 vcc, exec, s[36:37]
	s_cbranch_vccnz .LBB45_199
; %bb.194:
	s_andn2_b64 vcc, exec, s[46:47]
	s_cbranch_vccnz .LBB45_200
; %bb.195:
	s_add_i32 s58, s56, 1
	s_cmp_eq_u32 s54, 2
	s_cbranch_scc1 .LBB45_218
; %bb.196:
	s_and_b32 s57, s58, 28
	s_mov_b32 s59, 0
	v_mov_b32_e32 v0, 0
	v_mov_b32_e32 v2, 0
	s_mov_b64 s[50:51], s[34:35]
	s_mov_b64 s[52:53], s[44:45]
	v_mov_b32_e32 v4, v24
.LBB45_197:                             ; =>This Inner Loop Header: Depth=1
	s_load_dwordx8 s[8:15], s[50:51], 0x4
	s_load_dwordx4 s[28:31], s[50:51], 0x24
	s_load_dwordx8 s[0:7], s[52:53], 0x0
	s_add_u32 s50, s50, 48
	s_addc_u32 s51, s51, 0
	s_waitcnt lgkmcnt(0)
	v_mul_hi_u32 v1, s9, v4
	v_add_u32_e32 v1, v4, v1
	v_lshrrev_b32_e32 v1, s10, v1
	v_mul_lo_u32 v3, v1, s8
	v_mul_hi_u32 v5, s12, v1
	v_sub_u32_e32 v3, v4, v3
	v_add_u32_e32 v4, v1, v5
	v_lshrrev_b32_e32 v4, s13, v4
	v_mul_lo_u32 v6, v4, s11
	v_mul_hi_u32 v7, s15, v4
	v_sub_u32_e32 v1, v1, v6
	v_add_u32_e32 v6, v4, v7
	v_mul_lo_u32 v5, v3, s1
	v_mul_lo_u32 v3, v3, s0
	;; [unrolled: 1-line block ×4, first 2 shown]
	v_lshrrev_b32_e32 v6, s28, v6
	v_add3_u32 v0, v3, v0, v1
	v_mul_hi_u32 v3, s30, v6
	v_add3_u32 v1, v5, v2, v7
	v_mul_lo_u32 v2, v6, s14
	v_add_u32_e32 v3, v6, v3
	v_sub_u32_e32 v2, v4, v2
	v_lshrrev_b32_e32 v4, s31, v3
	s_add_i32 s59, s59, 4
	v_mul_lo_u32 v3, v4, s29
	s_add_u32 s52, s52, 32
	v_sub_u32_e32 v3, v6, v3
	s_addc_u32 s53, s53, 0
	v_mul_lo_u32 v5, v2, s4
	v_mul_lo_u32 v2, v2, s5
	v_mul_lo_u32 v6, v3, s6
	v_mul_lo_u32 v3, v3, s7
	s_cmp_eq_u32 s57, s59
	v_add3_u32 v2, v2, v1, v3
	v_add3_u32 v0, v5, v0, v6
	s_cbranch_scc0 .LBB45_197
; %bb.198:
	v_mov_b32_e32 v1, v2
	s_branch .LBB45_219
.LBB45_199:
                                        ; implicit-def: $vgpr2
                                        ; implicit-def: $vgpr0
	s_branch .LBB45_223
.LBB45_200:
	v_mov_b32_e32 v2, 0
	v_mov_b32_e32 v0, 0
	s_branch .LBB45_222
.LBB45_201:
	v_mov_b32_e32 v0, 0
	s_mov_b32 s57, 0
	v_mov_b32_e32 v1, v0
                                        ; implicit-def: $vgpr2
	v_mov_b32_e32 v4, v24
.LBB45_202:
	s_and_b32 s4, s58, 3
	s_cmp_eq_u32 s4, 0
	s_cbranch_scc1 .LBB45_205
; %bb.203:
	s_lshl_b32 s0, s57, 3
	s_add_u32 s0, s34, s0
	s_addc_u32 s1, s35, 0
	s_add_u32 s0, s0, 0xc4
	s_addc_u32 s1, s1, 0
	s_mul_i32 s2, s57, 12
	s_add_u32 s2, s34, s2
	s_addc_u32 s3, s35, 0
.LBB45_204:                             ; =>This Inner Loop Header: Depth=1
	s_load_dwordx2 s[6:7], s[2:3], 0x4
	s_load_dword s5, s[2:3], 0xc
	s_load_dwordx2 s[8:9], s[0:1], 0x0
	v_mov_b32_e32 v2, v1
	s_add_u32 s2, s2, 12
	s_waitcnt lgkmcnt(0)
	v_mul_hi_u32 v1, s7, v4
	v_add_u32_e32 v1, v4, v1
	v_lshrrev_b32_e32 v1, s5, v1
	s_addc_u32 s3, s3, 0
	v_mul_lo_u32 v3, v1, s6
	s_add_u32 s0, s0, 8
	v_sub_u32_e32 v5, v4, v3
	s_addc_u32 s1, s1, 0
	s_add_i32 s4, s4, -1
	v_mov_b32_e32 v4, v1
	v_mad_u64_u32 v[2:3], s[6:7], v5, s9, v[2:3]
	v_mad_u64_u32 v[0:1], s[6:7], v5, s8, v[0:1]
	s_cmp_lg_u32 s4, 0
	v_mov_b32_e32 v1, v2
	s_cbranch_scc1 .LBB45_204
.LBB45_205:
	s_cbranch_execnz .LBB45_208
.LBB45_206:
	s_waitcnt lgkmcnt(0)
	v_mul_hi_u32 v0, s25, v24
	v_add_u32_e32 v0, v24, v0
	v_lshrrev_b32_e32 v1, s26, v0
	v_mul_lo_u32 v0, v1, s24
	v_sub_u32_e32 v0, v24, v0
	v_mul_lo_u32 v2, v0, s21
	s_andn2_b64 vcc, exec, s[42:43]
	v_mul_lo_u32 v0, v0, s20
	s_cbranch_vccnz .LBB45_208
; %bb.207:
	v_mul_hi_u32 v3, s40, v1
	v_add_u32_e32 v3, v1, v3
	v_lshrrev_b32_e32 v3, s41, v3
	v_mul_lo_u32 v3, v3, s27
	v_sub_u32_e32 v3, v1, v3
	v_mad_u64_u32 v[0:1], s[0:1], v3, s22, v[0:1]
	v_mad_u64_u32 v[2:3], s[0:1], v3, s23, v[2:3]
.LBB45_208:
	s_waitcnt lgkmcnt(0)
	global_load_ushort v1, v2, s[18:19]
	v_add_u32_e32 v24, 0x80, v24
	s_waitcnt vmcnt(0)
	v_xor_b32_e32 v1, -1, v1
	global_store_short v0, v1, s[16:17]
	s_or_b64 exec, exec, s[48:49]
	v_cmp_gt_i32_e32 vcc, s55, v24
	s_and_saveexec_b64 s[48:49], vcc
	s_cbranch_execnz .LBB45_193
.LBB45_209:
	s_or_b64 exec, exec, s[48:49]
	v_cmp_gt_i32_e32 vcc, s55, v24
	s_and_saveexec_b64 s[48:49], vcc
	s_cbranch_execz .LBB45_226
.LBB45_210:
	s_andn2_b64 vcc, exec, s[36:37]
	s_cbranch_vccnz .LBB45_216
; %bb.211:
	s_andn2_b64 vcc, exec, s[46:47]
	s_cbranch_vccnz .LBB45_217
; %bb.212:
	s_add_i32 s58, s56, 1
	s_cmp_eq_u32 s54, 2
	s_cbranch_scc1 .LBB45_229
; %bb.213:
	s_and_b32 s57, s58, 28
	s_mov_b32 s59, 0
	v_mov_b32_e32 v0, 0
	v_mov_b32_e32 v2, 0
	s_mov_b64 s[50:51], s[34:35]
	s_mov_b64 s[52:53], s[44:45]
	v_mov_b32_e32 v4, v24
.LBB45_214:                             ; =>This Inner Loop Header: Depth=1
	s_load_dwordx8 s[8:15], s[50:51], 0x4
	s_load_dwordx4 s[28:31], s[50:51], 0x24
	s_load_dwordx8 s[0:7], s[52:53], 0x0
	s_add_u32 s50, s50, 48
	s_addc_u32 s51, s51, 0
	s_waitcnt lgkmcnt(0)
	v_mul_hi_u32 v1, s9, v4
	v_add_u32_e32 v1, v4, v1
	v_lshrrev_b32_e32 v1, s10, v1
	v_mul_lo_u32 v3, v1, s8
	v_mul_hi_u32 v5, s12, v1
	v_sub_u32_e32 v3, v4, v3
	v_add_u32_e32 v4, v1, v5
	v_lshrrev_b32_e32 v4, s13, v4
	v_mul_lo_u32 v6, v4, s11
	v_mul_hi_u32 v7, s15, v4
	v_sub_u32_e32 v1, v1, v6
	v_add_u32_e32 v6, v4, v7
	v_mul_lo_u32 v5, v3, s1
	v_mul_lo_u32 v3, v3, s0
	;; [unrolled: 1-line block ×4, first 2 shown]
	v_lshrrev_b32_e32 v6, s28, v6
	v_add3_u32 v0, v3, v0, v1
	v_mul_hi_u32 v3, s30, v6
	v_add3_u32 v1, v5, v2, v7
	v_mul_lo_u32 v2, v6, s14
	v_add_u32_e32 v3, v6, v3
	v_sub_u32_e32 v2, v4, v2
	v_lshrrev_b32_e32 v4, s31, v3
	s_add_i32 s59, s59, 4
	v_mul_lo_u32 v3, v4, s29
	s_add_u32 s52, s52, 32
	v_sub_u32_e32 v3, v6, v3
	s_addc_u32 s53, s53, 0
	v_mul_lo_u32 v5, v2, s4
	v_mul_lo_u32 v2, v2, s5
	;; [unrolled: 1-line block ×4, first 2 shown]
	s_cmp_eq_u32 s57, s59
	v_add3_u32 v2, v2, v1, v3
	v_add3_u32 v0, v5, v0, v6
	s_cbranch_scc0 .LBB45_214
; %bb.215:
	v_mov_b32_e32 v1, v2
	s_branch .LBB45_230
.LBB45_216:
                                        ; implicit-def: $vgpr2
                                        ; implicit-def: $vgpr0
	s_branch .LBB45_234
.LBB45_217:
	v_mov_b32_e32 v2, 0
	v_mov_b32_e32 v0, 0
	s_branch .LBB45_233
.LBB45_218:
	v_mov_b32_e32 v0, 0
	s_mov_b32 s57, 0
	v_mov_b32_e32 v1, v0
                                        ; implicit-def: $vgpr2
	v_mov_b32_e32 v4, v24
.LBB45_219:
	s_and_b32 s4, s58, 3
	s_cmp_eq_u32 s4, 0
	s_cbranch_scc1 .LBB45_222
; %bb.220:
	s_lshl_b32 s0, s57, 3
	s_add_u32 s0, s34, s0
	s_addc_u32 s1, s35, 0
	s_add_u32 s0, s0, 0xc4
	s_addc_u32 s1, s1, 0
	s_mul_i32 s2, s57, 12
	s_add_u32 s2, s34, s2
	s_addc_u32 s3, s35, 0
.LBB45_221:                             ; =>This Inner Loop Header: Depth=1
	s_load_dwordx2 s[6:7], s[2:3], 0x4
	s_load_dword s5, s[2:3], 0xc
	s_load_dwordx2 s[8:9], s[0:1], 0x0
	v_mov_b32_e32 v2, v1
	s_add_u32 s2, s2, 12
	s_waitcnt lgkmcnt(0)
	v_mul_hi_u32 v1, s7, v4
	v_add_u32_e32 v1, v4, v1
	v_lshrrev_b32_e32 v1, s5, v1
	s_addc_u32 s3, s3, 0
	v_mul_lo_u32 v3, v1, s6
	s_add_u32 s0, s0, 8
	v_sub_u32_e32 v5, v4, v3
	s_addc_u32 s1, s1, 0
	s_add_i32 s4, s4, -1
	v_mov_b32_e32 v4, v1
	v_mad_u64_u32 v[2:3], s[6:7], v5, s9, v[2:3]
	v_mad_u64_u32 v[0:1], s[6:7], v5, s8, v[0:1]
	s_cmp_lg_u32 s4, 0
	v_mov_b32_e32 v1, v2
	s_cbranch_scc1 .LBB45_221
.LBB45_222:
	s_cbranch_execnz .LBB45_225
.LBB45_223:
	s_waitcnt lgkmcnt(0)
	v_mul_hi_u32 v0, s25, v24
	v_add_u32_e32 v0, v24, v0
	v_lshrrev_b32_e32 v1, s26, v0
	v_mul_lo_u32 v0, v1, s24
	v_sub_u32_e32 v0, v24, v0
	v_mul_lo_u32 v2, v0, s21
	s_andn2_b64 vcc, exec, s[42:43]
	v_mul_lo_u32 v0, v0, s20
	s_cbranch_vccnz .LBB45_225
; %bb.224:
	v_mul_hi_u32 v3, s40, v1
	v_add_u32_e32 v3, v1, v3
	v_lshrrev_b32_e32 v3, s41, v3
	v_mul_lo_u32 v3, v3, s27
	v_sub_u32_e32 v3, v1, v3
	v_mad_u64_u32 v[0:1], s[0:1], v3, s22, v[0:1]
	v_mad_u64_u32 v[2:3], s[0:1], v3, s23, v[2:3]
.LBB45_225:
	s_waitcnt lgkmcnt(0)
	global_load_ushort v1, v2, s[18:19]
	v_add_u32_e32 v24, 0x80, v24
	s_waitcnt vmcnt(0)
	v_xor_b32_e32 v1, -1, v1
	global_store_short v0, v1, s[16:17]
	s_or_b64 exec, exec, s[48:49]
	v_cmp_gt_i32_e32 vcc, s55, v24
	s_and_saveexec_b64 s[48:49], vcc
	s_cbranch_execnz .LBB45_210
.LBB45_226:
	s_or_b64 exec, exec, s[48:49]
	v_cmp_gt_i32_e32 vcc, s55, v24
	s_and_saveexec_b64 s[48:49], vcc
	s_cbranch_execnz .LBB45_237
.LBB45_227:
	s_or_b64 exec, exec, s[48:49]
                                        ; implicit-def: $vgpr32
                                        ; implicit-def: $vgpr24
	s_andn2_saveexec_b64 s[0:1], s[38:39]
	s_cbranch_execnz .LBB45_9
.LBB45_228:
	s_endpgm
.LBB45_229:
	v_mov_b32_e32 v0, 0
	s_mov_b32 s57, 0
	v_mov_b32_e32 v1, v0
                                        ; implicit-def: $vgpr2
	v_mov_b32_e32 v4, v24
.LBB45_230:
	s_and_b32 s4, s58, 3
	s_cmp_eq_u32 s4, 0
	s_cbranch_scc1 .LBB45_233
; %bb.231:
	s_lshl_b32 s0, s57, 3
	s_add_u32 s0, s34, s0
	s_addc_u32 s1, s35, 0
	s_add_u32 s0, s0, 0xc4
	s_addc_u32 s1, s1, 0
	s_mul_i32 s2, s57, 12
	s_add_u32 s2, s34, s2
	s_addc_u32 s3, s35, 0
.LBB45_232:                             ; =>This Inner Loop Header: Depth=1
	s_load_dwordx2 s[6:7], s[2:3], 0x4
	s_load_dword s5, s[2:3], 0xc
	s_load_dwordx2 s[8:9], s[0:1], 0x0
	v_mov_b32_e32 v2, v1
	s_add_u32 s2, s2, 12
	s_waitcnt lgkmcnt(0)
	v_mul_hi_u32 v1, s7, v4
	v_add_u32_e32 v1, v4, v1
	v_lshrrev_b32_e32 v1, s5, v1
	s_addc_u32 s3, s3, 0
	v_mul_lo_u32 v3, v1, s6
	s_add_u32 s0, s0, 8
	v_sub_u32_e32 v5, v4, v3
	s_addc_u32 s1, s1, 0
	s_add_i32 s4, s4, -1
	v_mov_b32_e32 v4, v1
	v_mad_u64_u32 v[2:3], s[6:7], v5, s9, v[2:3]
	v_mad_u64_u32 v[0:1], s[6:7], v5, s8, v[0:1]
	s_cmp_lg_u32 s4, 0
	v_mov_b32_e32 v1, v2
	s_cbranch_scc1 .LBB45_232
.LBB45_233:
	s_cbranch_execnz .LBB45_236
.LBB45_234:
	s_waitcnt lgkmcnt(0)
	v_mul_hi_u32 v0, s25, v24
	v_add_u32_e32 v0, v24, v0
	v_lshrrev_b32_e32 v1, s26, v0
	v_mul_lo_u32 v0, v1, s24
	v_sub_u32_e32 v0, v24, v0
	v_mul_lo_u32 v2, v0, s21
	s_andn2_b64 vcc, exec, s[42:43]
	v_mul_lo_u32 v0, v0, s20
	s_cbranch_vccnz .LBB45_236
; %bb.235:
	v_mul_hi_u32 v3, s40, v1
	v_add_u32_e32 v3, v1, v3
	v_lshrrev_b32_e32 v3, s41, v3
	v_mul_lo_u32 v3, v3, s27
	v_sub_u32_e32 v3, v1, v3
	v_mad_u64_u32 v[0:1], s[0:1], v3, s22, v[0:1]
	v_mad_u64_u32 v[2:3], s[0:1], v3, s23, v[2:3]
.LBB45_236:
	s_waitcnt lgkmcnt(0)
	global_load_ushort v1, v2, s[18:19]
	v_add_u32_e32 v24, 0x80, v24
	s_waitcnt vmcnt(0)
	v_xor_b32_e32 v1, -1, v1
	global_store_short v0, v1, s[16:17]
	s_or_b64 exec, exec, s[48:49]
	v_cmp_gt_i32_e32 vcc, s55, v24
	s_and_saveexec_b64 s[48:49], vcc
	s_cbranch_execz .LBB45_227
.LBB45_237:
	s_andn2_b64 vcc, exec, s[36:37]
	s_cbranch_vccnz .LBB45_243
; %bb.238:
	s_andn2_b64 vcc, exec, s[46:47]
	s_cbranch_vccnz .LBB45_244
; %bb.239:
	s_add_i32 s56, s56, 1
	s_cmp_eq_u32 s54, 2
	s_cbranch_scc1 .LBB45_245
; %bb.240:
	s_and_b32 s50, s56, 28
	s_mov_b32 s51, 0
	v_mov_b32_e32 v0, 0
	v_mov_b32_e32 v2, 0
	s_mov_b64 s[46:47], s[34:35]
	v_mov_b32_e32 v4, v24
.LBB45_241:                             ; =>This Inner Loop Header: Depth=1
	s_load_dwordx8 s[8:15], s[46:47], 0x4
	s_load_dwordx4 s[28:31], s[46:47], 0x24
	s_load_dwordx8 s[0:7], s[44:45], 0x0
	s_add_u32 s46, s46, 48
	s_addc_u32 s47, s47, 0
	s_waitcnt lgkmcnt(0)
	v_mul_hi_u32 v1, s9, v4
	v_add_u32_e32 v1, v4, v1
	v_lshrrev_b32_e32 v1, s10, v1
	v_mul_lo_u32 v3, v1, s8
	v_mul_hi_u32 v5, s12, v1
	v_sub_u32_e32 v3, v4, v3
	v_add_u32_e32 v4, v1, v5
	v_lshrrev_b32_e32 v4, s13, v4
	v_mul_lo_u32 v6, v4, s11
	v_mul_hi_u32 v7, s15, v4
	v_sub_u32_e32 v1, v1, v6
	v_add_u32_e32 v6, v4, v7
	v_mul_lo_u32 v5, v3, s1
	v_mul_lo_u32 v3, v3, s0
	;; [unrolled: 1-line block ×4, first 2 shown]
	v_lshrrev_b32_e32 v6, s28, v6
	v_add3_u32 v0, v3, v0, v1
	v_mul_hi_u32 v3, s30, v6
	v_add3_u32 v1, v5, v2, v7
	v_mul_lo_u32 v2, v6, s14
	v_add_u32_e32 v3, v6, v3
	v_sub_u32_e32 v2, v4, v2
	v_lshrrev_b32_e32 v4, s31, v3
	s_add_i32 s51, s51, 4
	v_mul_lo_u32 v3, v4, s29
	s_add_u32 s44, s44, 32
	v_sub_u32_e32 v3, v6, v3
	s_addc_u32 s45, s45, 0
	v_mul_lo_u32 v5, v2, s4
	v_mul_lo_u32 v2, v2, s5
	;; [unrolled: 1-line block ×4, first 2 shown]
	s_cmp_eq_u32 s50, s51
	v_add3_u32 v2, v2, v1, v3
	v_add3_u32 v0, v5, v0, v6
	s_cbranch_scc0 .LBB45_241
; %bb.242:
	v_mov_b32_e32 v1, v2
	s_branch .LBB45_246
.LBB45_243:
                                        ; implicit-def: $vgpr2
                                        ; implicit-def: $vgpr0
	s_branch .LBB45_250
.LBB45_244:
	v_mov_b32_e32 v2, 0
	v_mov_b32_e32 v0, 0
	s_branch .LBB45_249
.LBB45_245:
	v_mov_b32_e32 v0, 0
	s_mov_b32 s50, 0
	v_mov_b32_e32 v1, v0
                                        ; implicit-def: $vgpr2
	v_mov_b32_e32 v4, v24
.LBB45_246:
	s_and_b32 s4, s56, 3
	s_cmp_eq_u32 s4, 0
	s_cbranch_scc1 .LBB45_249
; %bb.247:
	s_lshl_b32 s0, s50, 3
	s_add_u32 s0, s34, s0
	s_addc_u32 s1, s35, 0
	s_add_u32 s0, s0, 0xc4
	s_addc_u32 s1, s1, 0
	s_mul_i32 s2, s50, 12
	s_add_u32 s2, s34, s2
	s_addc_u32 s3, s35, 0
.LBB45_248:                             ; =>This Inner Loop Header: Depth=1
	s_load_dwordx2 s[6:7], s[2:3], 0x4
	s_load_dword s5, s[2:3], 0xc
	s_load_dwordx2 s[8:9], s[0:1], 0x0
	v_mov_b32_e32 v2, v1
	s_add_u32 s2, s2, 12
	s_waitcnt lgkmcnt(0)
	v_mul_hi_u32 v1, s7, v4
	v_add_u32_e32 v1, v4, v1
	v_lshrrev_b32_e32 v1, s5, v1
	s_addc_u32 s3, s3, 0
	v_mul_lo_u32 v3, v1, s6
	s_add_u32 s0, s0, 8
	v_sub_u32_e32 v5, v4, v3
	s_addc_u32 s1, s1, 0
	s_add_i32 s4, s4, -1
	v_mov_b32_e32 v4, v1
	v_mad_u64_u32 v[2:3], s[6:7], v5, s9, v[2:3]
	v_mad_u64_u32 v[0:1], s[6:7], v5, s8, v[0:1]
	s_cmp_lg_u32 s4, 0
	v_mov_b32_e32 v1, v2
	s_cbranch_scc1 .LBB45_248
.LBB45_249:
	s_cbranch_execnz .LBB45_252
.LBB45_250:
	s_waitcnt lgkmcnt(0)
	v_mul_hi_u32 v0, s25, v24
	v_add_u32_e32 v0, v24, v0
	v_lshrrev_b32_e32 v1, s26, v0
	v_mul_lo_u32 v0, v1, s24
	v_sub_u32_e32 v0, v24, v0
	v_mul_lo_u32 v2, v0, s21
	s_andn2_b64 vcc, exec, s[42:43]
	v_mul_lo_u32 v0, v0, s20
	s_cbranch_vccnz .LBB45_252
; %bb.251:
	v_mul_hi_u32 v3, s40, v1
	v_add_u32_e32 v3, v1, v3
	v_lshrrev_b32_e32 v3, s41, v3
	v_mul_lo_u32 v3, v3, s27
	v_sub_u32_e32 v3, v1, v3
	v_mad_u64_u32 v[0:1], s[0:1], v3, s22, v[0:1]
	v_mad_u64_u32 v[2:3], s[0:1], v3, s23, v[2:3]
.LBB45_252:
	s_waitcnt lgkmcnt(0)
	global_load_ushort v1, v2, s[18:19]
	s_waitcnt vmcnt(0)
	v_xor_b32_e32 v1, -1, v1
	global_store_short v0, v1, s[16:17]
	s_or_b64 exec, exec, s[48:49]
                                        ; implicit-def: $vgpr32
                                        ; implicit-def: $vgpr24
	s_andn2_saveexec_b64 s[0:1], s[38:39]
	s_cbranch_execz .LBB45_228
	s_branch .LBB45_9
	.section	.rodata,"a",@progbits
	.p2align	6, 0x0
	.amdhsa_kernel _ZN2at6native32elementwise_kernel_manual_unrollILi128ELi8EZNS0_22gpu_kernel_impl_nocastIZZZNS0_23bitwise_not_kernel_cudaERNS_18TensorIteratorBaseEENKUlvE_clEvENKUlvE3_clEvEUlsE_EEvS4_RKT_EUlibE_EEviT1_
		.amdhsa_group_segment_fixed_size 0
		.amdhsa_private_segment_fixed_size 0
		.amdhsa_kernarg_size 360
		.amdhsa_user_sgpr_count 2
		.amdhsa_user_sgpr_dispatch_ptr 0
		.amdhsa_user_sgpr_queue_ptr 0
		.amdhsa_user_sgpr_kernarg_segment_ptr 1
		.amdhsa_user_sgpr_dispatch_id 0
		.amdhsa_user_sgpr_kernarg_preload_length 0
		.amdhsa_user_sgpr_kernarg_preload_offset 0
		.amdhsa_user_sgpr_private_segment_size 0
		.amdhsa_uses_dynamic_stack 0
		.amdhsa_enable_private_segment 0
		.amdhsa_system_sgpr_workgroup_id_x 1
		.amdhsa_system_sgpr_workgroup_id_y 0
		.amdhsa_system_sgpr_workgroup_id_z 0
		.amdhsa_system_sgpr_workgroup_info 0
		.amdhsa_system_vgpr_workitem_id 0
		.amdhsa_next_free_vgpr 33
		.amdhsa_next_free_sgpr 60
		.amdhsa_accum_offset 36
		.amdhsa_reserve_vcc 1
		.amdhsa_float_round_mode_32 0
		.amdhsa_float_round_mode_16_64 0
		.amdhsa_float_denorm_mode_32 3
		.amdhsa_float_denorm_mode_16_64 3
		.amdhsa_dx10_clamp 1
		.amdhsa_ieee_mode 1
		.amdhsa_fp16_overflow 0
		.amdhsa_tg_split 0
		.amdhsa_exception_fp_ieee_invalid_op 0
		.amdhsa_exception_fp_denorm_src 0
		.amdhsa_exception_fp_ieee_div_zero 0
		.amdhsa_exception_fp_ieee_overflow 0
		.amdhsa_exception_fp_ieee_underflow 0
		.amdhsa_exception_fp_ieee_inexact 0
		.amdhsa_exception_int_div_zero 0
	.end_amdhsa_kernel
	.section	.text._ZN2at6native32elementwise_kernel_manual_unrollILi128ELi8EZNS0_22gpu_kernel_impl_nocastIZZZNS0_23bitwise_not_kernel_cudaERNS_18TensorIteratorBaseEENKUlvE_clEvENKUlvE3_clEvEUlsE_EEvS4_RKT_EUlibE_EEviT1_,"axG",@progbits,_ZN2at6native32elementwise_kernel_manual_unrollILi128ELi8EZNS0_22gpu_kernel_impl_nocastIZZZNS0_23bitwise_not_kernel_cudaERNS_18TensorIteratorBaseEENKUlvE_clEvENKUlvE3_clEvEUlsE_EEvS4_RKT_EUlibE_EEviT1_,comdat
.Lfunc_end45:
	.size	_ZN2at6native32elementwise_kernel_manual_unrollILi128ELi8EZNS0_22gpu_kernel_impl_nocastIZZZNS0_23bitwise_not_kernel_cudaERNS_18TensorIteratorBaseEENKUlvE_clEvENKUlvE3_clEvEUlsE_EEvS4_RKT_EUlibE_EEviT1_, .Lfunc_end45-_ZN2at6native32elementwise_kernel_manual_unrollILi128ELi8EZNS0_22gpu_kernel_impl_nocastIZZZNS0_23bitwise_not_kernel_cudaERNS_18TensorIteratorBaseEENKUlvE_clEvENKUlvE3_clEvEUlsE_EEvS4_RKT_EUlibE_EEviT1_
                                        ; -- End function
	.set _ZN2at6native32elementwise_kernel_manual_unrollILi128ELi8EZNS0_22gpu_kernel_impl_nocastIZZZNS0_23bitwise_not_kernel_cudaERNS_18TensorIteratorBaseEENKUlvE_clEvENKUlvE3_clEvEUlsE_EEvS4_RKT_EUlibE_EEviT1_.num_vgpr, 33
	.set _ZN2at6native32elementwise_kernel_manual_unrollILi128ELi8EZNS0_22gpu_kernel_impl_nocastIZZZNS0_23bitwise_not_kernel_cudaERNS_18TensorIteratorBaseEENKUlvE_clEvENKUlvE3_clEvEUlsE_EEvS4_RKT_EUlibE_EEviT1_.num_agpr, 0
	.set _ZN2at6native32elementwise_kernel_manual_unrollILi128ELi8EZNS0_22gpu_kernel_impl_nocastIZZZNS0_23bitwise_not_kernel_cudaERNS_18TensorIteratorBaseEENKUlvE_clEvENKUlvE3_clEvEUlsE_EEvS4_RKT_EUlibE_EEviT1_.numbered_sgpr, 60
	.set _ZN2at6native32elementwise_kernel_manual_unrollILi128ELi8EZNS0_22gpu_kernel_impl_nocastIZZZNS0_23bitwise_not_kernel_cudaERNS_18TensorIteratorBaseEENKUlvE_clEvENKUlvE3_clEvEUlsE_EEvS4_RKT_EUlibE_EEviT1_.num_named_barrier, 0
	.set _ZN2at6native32elementwise_kernel_manual_unrollILi128ELi8EZNS0_22gpu_kernel_impl_nocastIZZZNS0_23bitwise_not_kernel_cudaERNS_18TensorIteratorBaseEENKUlvE_clEvENKUlvE3_clEvEUlsE_EEvS4_RKT_EUlibE_EEviT1_.private_seg_size, 0
	.set _ZN2at6native32elementwise_kernel_manual_unrollILi128ELi8EZNS0_22gpu_kernel_impl_nocastIZZZNS0_23bitwise_not_kernel_cudaERNS_18TensorIteratorBaseEENKUlvE_clEvENKUlvE3_clEvEUlsE_EEvS4_RKT_EUlibE_EEviT1_.uses_vcc, 1
	.set _ZN2at6native32elementwise_kernel_manual_unrollILi128ELi8EZNS0_22gpu_kernel_impl_nocastIZZZNS0_23bitwise_not_kernel_cudaERNS_18TensorIteratorBaseEENKUlvE_clEvENKUlvE3_clEvEUlsE_EEvS4_RKT_EUlibE_EEviT1_.uses_flat_scratch, 0
	.set _ZN2at6native32elementwise_kernel_manual_unrollILi128ELi8EZNS0_22gpu_kernel_impl_nocastIZZZNS0_23bitwise_not_kernel_cudaERNS_18TensorIteratorBaseEENKUlvE_clEvENKUlvE3_clEvEUlsE_EEvS4_RKT_EUlibE_EEviT1_.has_dyn_sized_stack, 0
	.set _ZN2at6native32elementwise_kernel_manual_unrollILi128ELi8EZNS0_22gpu_kernel_impl_nocastIZZZNS0_23bitwise_not_kernel_cudaERNS_18TensorIteratorBaseEENKUlvE_clEvENKUlvE3_clEvEUlsE_EEvS4_RKT_EUlibE_EEviT1_.has_recursion, 0
	.set _ZN2at6native32elementwise_kernel_manual_unrollILi128ELi8EZNS0_22gpu_kernel_impl_nocastIZZZNS0_23bitwise_not_kernel_cudaERNS_18TensorIteratorBaseEENKUlvE_clEvENKUlvE3_clEvEUlsE_EEvS4_RKT_EUlibE_EEviT1_.has_indirect_call, 0
	.section	.AMDGPU.csdata,"",@progbits
; Kernel info:
; codeLenInByte = 11456
; TotalNumSgprs: 66
; NumVgprs: 33
; NumAgprs: 0
; TotalNumVgprs: 33
; ScratchSize: 0
; MemoryBound: 0
; FloatMode: 240
; IeeeMode: 1
; LDSByteSize: 0 bytes/workgroup (compile time only)
; SGPRBlocks: 8
; VGPRBlocks: 4
; NumSGPRsForWavesPerEU: 66
; NumVGPRsForWavesPerEU: 33
; AccumOffset: 36
; Occupancy: 8
; WaveLimiterHint : 1
; COMPUTE_PGM_RSRC2:SCRATCH_EN: 0
; COMPUTE_PGM_RSRC2:USER_SGPR: 2
; COMPUTE_PGM_RSRC2:TRAP_HANDLER: 0
; COMPUTE_PGM_RSRC2:TGID_X_EN: 1
; COMPUTE_PGM_RSRC2:TGID_Y_EN: 0
; COMPUTE_PGM_RSRC2:TGID_Z_EN: 0
; COMPUTE_PGM_RSRC2:TIDIG_COMP_CNT: 0
; COMPUTE_PGM_RSRC3_GFX90A:ACCUM_OFFSET: 8
; COMPUTE_PGM_RSRC3_GFX90A:TG_SPLIT: 0
	.section	.text._ZN2at6native32elementwise_kernel_manual_unrollILi128ELi4EZNS0_15gpu_kernel_implIZZZNS0_23bitwise_not_kernel_cudaERNS_18TensorIteratorBaseEENKUlvE_clEvENKUlvE3_clEvEUlsE_EEvS4_RKT_EUlibE_EEviT1_,"axG",@progbits,_ZN2at6native32elementwise_kernel_manual_unrollILi128ELi4EZNS0_15gpu_kernel_implIZZZNS0_23bitwise_not_kernel_cudaERNS_18TensorIteratorBaseEENKUlvE_clEvENKUlvE3_clEvEUlsE_EEvS4_RKT_EUlibE_EEviT1_,comdat
	.globl	_ZN2at6native32elementwise_kernel_manual_unrollILi128ELi4EZNS0_15gpu_kernel_implIZZZNS0_23bitwise_not_kernel_cudaERNS_18TensorIteratorBaseEENKUlvE_clEvENKUlvE3_clEvEUlsE_EEvS4_RKT_EUlibE_EEviT1_ ; -- Begin function _ZN2at6native32elementwise_kernel_manual_unrollILi128ELi4EZNS0_15gpu_kernel_implIZZZNS0_23bitwise_not_kernel_cudaERNS_18TensorIteratorBaseEENKUlvE_clEvENKUlvE3_clEvEUlsE_EEvS4_RKT_EUlibE_EEviT1_
	.p2align	8
	.type	_ZN2at6native32elementwise_kernel_manual_unrollILi128ELi4EZNS0_15gpu_kernel_implIZZZNS0_23bitwise_not_kernel_cudaERNS_18TensorIteratorBaseEENKUlvE_clEvENKUlvE3_clEvEUlsE_EEvS4_RKT_EUlibE_EEviT1_,@function
_ZN2at6native32elementwise_kernel_manual_unrollILi128ELi4EZNS0_15gpu_kernel_implIZZZNS0_23bitwise_not_kernel_cudaERNS_18TensorIteratorBaseEENKUlvE_clEvENKUlvE3_clEvEUlsE_EEvS4_RKT_EUlibE_EEviT1_: ; @_ZN2at6native32elementwise_kernel_manual_unrollILi128ELi4EZNS0_15gpu_kernel_implIZZZNS0_23bitwise_not_kernel_cudaERNS_18TensorIteratorBaseEENKUlvE_clEvENKUlvE3_clEvEUlsE_EEvS4_RKT_EUlibE_EEviT1_
; %bb.0:
	v_mov_b32_e32 v1, 0
	global_load_ushort v1, v1, s[0:1] offset:33
	s_load_dwordx4 s[4:7], s[0:1], 0x8
	s_load_dwordx2 s[8:9], s[0:1], 0x18
	s_load_dword s38, s[0:1], 0x0
	v_lshl_or_b32 v10, s2, 9, v0
	v_or_b32_e32 v0, 0x180, v10
	s_mov_b64 s[10:11], 0
	s_mov_b64 s[12:13], 0
	s_waitcnt lgkmcnt(0)
	v_cmp_le_i32_e32 vcc, s38, v0
	s_waitcnt vmcnt(0)
	v_readfirstlane_b32 s33, v1
	s_and_b32 s0, 0xffff, s33
	s_lshr_b32 s42, s0, 8
	s_and_saveexec_b64 s[0:1], vcc
	s_xor_b64 s[2:3], exec, s[0:1]
	s_cbranch_execz .LBB46_1011
; %bb.1:
	v_cmp_gt_i32_e32 vcc, s38, v10
	s_mov_b64 s[18:19], -1
	s_mov_b64 s[20:21], 0
	s_mov_b64 s[14:15], 0
	s_and_saveexec_b64 s[16:17], vcc
	s_cbranch_execz .LBB46_248
; %bb.2:
	v_mul_lo_u32 v0, v10, s9
	v_ashrrev_i32_e32 v1, 31, v0
	s_and_b32 s18, 0xffff, s42
	s_cmp_lt_i32 s18, 11
	v_lshl_add_u64 v[2:3], s[6:7], 0, v[0:1]
	s_cbranch_scc1 .LBB46_9
; %bb.3:
	s_cmp_gt_i32 s18, 25
	s_cbranch_scc0 .LBB46_18
; %bb.4:
	s_cmp_gt_i32 s18, 28
	s_cbranch_scc0 .LBB46_22
	;; [unrolled: 3-line block ×4, first 2 shown]
; %bb.7:
	s_cmp_eq_u32 s18, 46
	s_cbranch_scc0 .LBB46_28
; %bb.8:
	global_load_dword v0, v[2:3], off
	s_mov_b64 s[0:1], -1
	s_waitcnt vmcnt(0)
	v_lshlrev_b32_e32 v0, 16, v0
	v_cvt_i32_f32_e32 v0, v0
	s_branch .LBB46_30
.LBB46_9:
                                        ; implicit-def: $vgpr0
	s_mov_b64 s[0:1], 0
	s_cbranch_execnz .LBB46_199
.LBB46_10:
	s_andn2_b64 vcc, exec, s[0:1]
	s_cbranch_vccnz .LBB46_246
.LBB46_11:
	v_mul_lo_u32 v2, v10, s8
	v_ashrrev_i32_e32 v3, 31, v2
	s_and_b32 s24, s33, 0xff
	s_waitcnt vmcnt(0)
	v_xor_b32_e32 v4, -1, v0
	s_cmp_lt_i32 s24, 11
	v_lshl_add_u64 v[2:3], s[4:5], 0, v[2:3]
	s_cbranch_scc1 .LBB46_19
; %bb.12:
	s_and_b32 s25, 0xffff, s24
	s_cmp_gt_i32 s25, 25
	s_cbranch_scc0 .LBB46_23
; %bb.13:
	s_cmp_gt_i32 s25, 28
	s_cbranch_scc0 .LBB46_25
; %bb.14:
	;; [unrolled: 3-line block ×4, first 2 shown]
	s_mov_b64 s[18:19], 0
	s_mov_b64 s[0:1], -1
	s_cmp_eq_u32 s25, 46
	s_mov_b64 s[12:13], 0
	s_cbranch_scc0 .LBB46_34
; %bb.17:
	v_cvt_f32_i32_sdwa v1, sext(v4) dst_sel:DWORD dst_unused:UNUSED_PAD src0_sel:WORD_0
	s_movk_i32 s0, 0x7fff
	s_mov_b64 s[12:13], -1
	v_bfe_u32 v5, v1, 16, 1
	v_add3_u32 v1, v1, v5, s0
	v_lshrrev_b32_e32 v1, 16, v1
	global_store_dword v[2:3], v1, off
	s_mov_b64 s[0:1], 0
	s_branch .LBB46_34
.LBB46_18:
	s_mov_b64 s[0:1], 0
                                        ; implicit-def: $vgpr0
	s_cbranch_execnz .LBB46_166
	s_branch .LBB46_198
.LBB46_19:
	s_mov_b64 s[0:1], 0
	s_mov_b64 s[12:13], 0
	s_cbranch_execnz .LBB46_103
.LBB46_20:
	s_andn2_b64 vcc, exec, s[12:13]
	s_cbranch_vccnz .LBB46_141
.LBB46_21:
	v_add_u32_e32 v10, 0x80, v10
	s_mov_b64 s[18:19], -1
	s_branch .LBB46_247
.LBB46_22:
	s_mov_b64 s[12:13], -1
	s_mov_b64 s[0:1], 0
                                        ; implicit-def: $vgpr0
	s_branch .LBB46_149
.LBB46_23:
	s_mov_b64 s[18:19], -1
	s_mov_b64 s[0:1], 0
	s_mov_b64 s[12:13], 0
	s_branch .LBB46_61
.LBB46_24:
	s_mov_b64 s[12:13], -1
	s_mov_b64 s[0:1], 0
                                        ; implicit-def: $vgpr0
	s_branch .LBB46_144
.LBB46_25:
	s_mov_b64 s[18:19], -1
	s_mov_b64 s[0:1], 0
	s_mov_b64 s[12:13], 0
	s_branch .LBB46_44
.LBB46_26:
	s_mov_b64 s[12:13], -1
	s_branch .LBB46_29
.LBB46_27:
	s_mov_b64 s[18:19], -1
	s_mov_b64 s[0:1], 0
	s_mov_b64 s[12:13], 0
	s_branch .LBB46_40
.LBB46_28:
	s_mov_b64 s[14:15], -1
.LBB46_29:
	s_mov_b64 s[0:1], 0
                                        ; implicit-def: $vgpr0
.LBB46_30:
	s_and_b64 vcc, exec, s[12:13]
	s_cbranch_vccz .LBB46_143
; %bb.31:
	s_cmp_eq_u32 s18, 44
	s_cbranch_scc0 .LBB46_142
; %bb.32:
	global_load_ubyte v0, v[2:3], off
	s_mov_b64 s[0:1], -1
	s_mov_b64 s[14:15], 0
	s_waitcnt vmcnt(0)
	v_lshlrev_b32_e32 v1, 23, v0
	v_cvt_i32_f32_e32 v1, v1
	v_cmp_ne_u32_e32 vcc, 0, v0
	s_nop 1
	v_cndmask_b32_e32 v0, 0, v1, vcc
	s_branch .LBB46_143
.LBB46_33:
	s_mov_b64 s[18:19], -1
	s_mov_b64 s[0:1], 0
	s_mov_b64 s[12:13], 0
.LBB46_34:
	s_and_b64 vcc, exec, s[18:19]
	s_cbranch_vccz .LBB46_39
; %bb.35:
	s_cmp_eq_u32 s25, 44
	s_mov_b64 s[0:1], -1
	s_cbranch_scc0 .LBB46_39
; %bb.36:
	v_cvt_f32_i32_sdwa v1, sext(v4) dst_sel:DWORD dst_unused:UNUSED_PAD src0_sel:WORD_0
	s_movk_i32 s0, 0xff
	v_mov_b32_e32 v6, 0xff
	v_bfe_u32 v5, v1, 23, 8
	v_cmp_ne_u32_e32 vcc, s0, v5
	s_and_saveexec_b64 s[12:13], vcc
; %bb.37:
	s_mov_b32 s0, 0x3fffff
	v_lshrrev_b32_e32 v6, 23, v1
	v_and_b32_e32 v7, 0x400000, v1
	v_and_or_b32 v1, v1, s0, v5
	v_cmp_ne_u32_e32 vcc, 0, v7
	v_cmp_ne_u32_e64 s[0:1], 0, v1
	s_and_b64 s[0:1], vcc, s[0:1]
	s_nop 0
	v_cndmask_b32_e64 v1, 0, 1, s[0:1]
	v_add_u32_e32 v6, v6, v1
; %bb.38:
	s_or_b64 exec, exec, s[12:13]
	s_mov_b64 s[12:13], -1
	s_mov_b64 s[0:1], 0
	global_store_byte v[2:3], v6, off
.LBB46_39:
	s_mov_b64 s[18:19], 0
.LBB46_40:
	s_and_b64 vcc, exec, s[18:19]
	s_cbranch_vccz .LBB46_43
; %bb.41:
	s_cmp_eq_u32 s25, 29
	s_mov_b64 s[0:1], -1
	s_cbranch_scc0 .LBB46_43
; %bb.42:
	v_bfe_i32 v6, v4, 0, 16
	v_ashrrev_i32_e32 v7, 31, v6
	global_store_dwordx2 v[2:3], v[6:7], off
	s_mov_b64 s[12:13], -1
	s_mov_b64 s[0:1], 0
.LBB46_43:
	s_mov_b64 s[18:19], 0
.LBB46_44:
	s_and_b64 vcc, exec, s[18:19]
	s_cbranch_vccz .LBB46_60
; %bb.45:
	s_cmp_lt_i32 s25, 27
	s_mov_b64 s[12:13], -1
	s_cbranch_scc1 .LBB46_51
; %bb.46:
	s_cmp_gt_i32 s25, 27
	s_cbranch_scc0 .LBB46_48
; %bb.47:
	v_bfe_i32 v1, v4, 0, 16
	s_mov_b64 s[12:13], 0
	global_store_dword v[2:3], v1, off
.LBB46_48:
	s_andn2_b64 vcc, exec, s[12:13]
	s_cbranch_vccnz .LBB46_50
; %bb.49:
	global_store_short v[2:3], v4, off
.LBB46_50:
	s_mov_b64 s[12:13], 0
.LBB46_51:
	s_andn2_b64 vcc, exec, s[12:13]
	s_cbranch_vccnz .LBB46_59
; %bb.52:
	v_cvt_f32_i32_sdwa v1, sext(v4) dst_sel:DWORD dst_unused:UNUSED_PAD src0_sel:WORD_0
	s_mov_b32 s12, 0x43800000
	v_mov_b32_e32 v6, 0x80
	v_and_b32_e32 v5, 0x7fffffff, v1
	v_cmp_gt_u32_e32 vcc, s12, v5
	s_and_saveexec_b64 s[12:13], vcc
	s_cbranch_execz .LBB46_58
; %bb.53:
	s_mov_b32 s18, 0x3bffffff
	v_cmp_lt_u32_e32 vcc, s18, v5
	s_mov_b64 s[18:19], 0
                                        ; implicit-def: $vgpr5
	s_and_saveexec_b64 s[22:23], vcc
	s_xor_b64 s[22:23], exec, s[22:23]
	s_cbranch_execz .LBB46_275
; %bb.54:
	v_bfe_u32 v5, v1, 20, 1
	s_mov_b32 s26, 0x487ffff
	v_add3_u32 v5, v1, v5, s26
	s_mov_b64 s[18:19], exec
	v_lshrrev_b32_e32 v5, 20, v5
	s_andn2_saveexec_b64 s[22:23], s[22:23]
	s_cbranch_execnz .LBB46_276
.LBB46_55:
	s_or_b64 exec, exec, s[22:23]
	v_mov_b32_e32 v6, 0
	s_and_saveexec_b64 s[22:23], s[18:19]
.LBB46_56:
	v_lshrrev_b32_e32 v1, 24, v1
	s_movk_i32 s18, 0x80
	v_and_or_b32 v6, v1, s18, v5
.LBB46_57:
	s_or_b64 exec, exec, s[22:23]
.LBB46_58:
	s_or_b64 exec, exec, s[12:13]
	global_store_byte v[2:3], v6, off
.LBB46_59:
	s_mov_b64 s[12:13], -1
.LBB46_60:
	s_mov_b64 s[18:19], 0
.LBB46_61:
	s_and_b64 vcc, exec, s[18:19]
	s_cbranch_vccz .LBB46_102
; %bb.62:
	s_cmp_gt_i32 s25, 22
	s_mov_b64 s[18:19], -1
	s_cbranch_scc0 .LBB46_94
; %bb.63:
	s_cmp_lt_i32 s25, 24
	s_mov_b64 s[12:13], -1
	s_cbranch_scc1 .LBB46_83
; %bb.64:
	s_cmp_gt_i32 s25, 24
	s_cbranch_scc0 .LBB46_72
; %bb.65:
	v_cvt_f32_i32_sdwa v1, sext(v4) dst_sel:DWORD dst_unused:UNUSED_PAD src0_sel:WORD_0
	s_mov_b32 s12, 0x47800000
	v_mov_b32_e32 v6, 0x80
	v_and_b32_e32 v5, 0x7fffffff, v1
	v_cmp_gt_u32_e32 vcc, s12, v5
	s_and_saveexec_b64 s[12:13], vcc
	s_cbranch_execz .LBB46_71
; %bb.66:
	s_mov_b32 s18, 0x37ffffff
	v_cmp_lt_u32_e32 vcc, s18, v5
	s_mov_b64 s[18:19], 0
                                        ; implicit-def: $vgpr5
	s_and_saveexec_b64 s[22:23], vcc
	s_xor_b64 s[22:23], exec, s[22:23]
	s_cbranch_execz .LBB46_279
; %bb.67:
	v_bfe_u32 v5, v1, 21, 1
	s_mov_b32 s26, 0x88fffff
	v_add3_u32 v5, v1, v5, s26
	s_mov_b64 s[18:19], exec
	v_lshrrev_b32_e32 v5, 21, v5
	s_andn2_saveexec_b64 s[22:23], s[22:23]
	s_cbranch_execnz .LBB46_280
.LBB46_68:
	s_or_b64 exec, exec, s[22:23]
	v_mov_b32_e32 v6, 0
	s_and_saveexec_b64 s[22:23], s[18:19]
.LBB46_69:
	v_lshrrev_b32_e32 v1, 24, v1
	s_movk_i32 s18, 0x80
	v_and_or_b32 v6, v1, s18, v5
.LBB46_70:
	s_or_b64 exec, exec, s[22:23]
.LBB46_71:
	s_or_b64 exec, exec, s[12:13]
	s_mov_b64 s[12:13], 0
	global_store_byte v[2:3], v6, off
.LBB46_72:
	s_and_b64 vcc, exec, s[12:13]
	s_cbranch_vccz .LBB46_82
; %bb.73:
	v_cvt_f32_i32_sdwa v1, sext(v4) dst_sel:DWORD dst_unused:UNUSED_PAD src0_sel:WORD_0
	s_mov_b32 s12, 0x43f00000
                                        ; implicit-def: $vgpr5
	v_and_b32_e32 v6, 0x7fffffff, v1
	v_cmp_gt_u32_e32 vcc, s12, v6
	s_and_saveexec_b64 s[12:13], vcc
	s_xor_b64 s[12:13], exec, s[12:13]
	s_cbranch_execz .LBB46_79
; %bb.74:
	s_mov_b32 s18, 0x3c7fffff
	v_cmp_lt_u32_e32 vcc, s18, v6
                                        ; implicit-def: $vgpr5
	s_and_saveexec_b64 s[18:19], vcc
	s_xor_b64 s[18:19], exec, s[18:19]
; %bb.75:
	v_bfe_u32 v5, v1, 20, 1
	s_mov_b32 s22, 0x407ffff
	v_add3_u32 v5, v1, v5, s22
	v_lshrrev_b32_e32 v6, 20, v5
	v_and_b32_e32 v5, 0xff00000, v5
	s_mov_b32 s22, 0x7f00000
	v_mov_b32_e32 v7, 0x7e
	v_cmp_ne_u32_e32 vcc, s22, v5
	s_nop 1
	v_cndmask_b32_e32 v5, v7, v6, vcc
; %bb.76:
	s_andn2_saveexec_b64 s[18:19], s[18:19]
; %bb.77:
	s_mov_b32 s22, 0x46800000
	v_add_f32_e64 v5, |v1|, s22
; %bb.78:
	s_or_b64 exec, exec, s[18:19]
                                        ; implicit-def: $vgpr6
.LBB46_79:
	s_andn2_saveexec_b64 s[12:13], s[12:13]
; %bb.80:
	s_mov_b32 s18, 0x7f800000
	v_mov_b32_e32 v5, 0x7e
	v_mov_b32_e32 v7, 0x7f
	v_cmp_lt_u32_e32 vcc, s18, v6
	s_nop 1
	v_cndmask_b32_e32 v5, v5, v7, vcc
; %bb.81:
	s_or_b64 exec, exec, s[12:13]
	v_lshrrev_b32_e32 v1, 24, v1
	s_movk_i32 s12, 0x80
	v_and_or_b32 v1, v1, s12, v5
	global_store_byte v[2:3], v1, off
.LBB46_82:
	s_mov_b64 s[12:13], 0
.LBB46_83:
	s_andn2_b64 vcc, exec, s[12:13]
	s_cbranch_vccnz .LBB46_93
; %bb.84:
	v_cvt_f32_i32_sdwa v1, sext(v4) dst_sel:DWORD dst_unused:UNUSED_PAD src0_sel:WORD_0
	s_mov_b32 s12, 0x47800000
                                        ; implicit-def: $vgpr5
	v_and_b32_e32 v6, 0x7fffffff, v1
	v_cmp_gt_u32_e32 vcc, s12, v6
	s_and_saveexec_b64 s[12:13], vcc
	s_xor_b64 s[12:13], exec, s[12:13]
	s_cbranch_execz .LBB46_90
; %bb.85:
	s_mov_b32 s18, 0x387fffff
	v_cmp_lt_u32_e32 vcc, s18, v6
                                        ; implicit-def: $vgpr5
	s_and_saveexec_b64 s[18:19], vcc
	s_xor_b64 s[18:19], exec, s[18:19]
; %bb.86:
	v_bfe_u32 v5, v1, 21, 1
	s_mov_b32 s22, 0x80fffff
	v_add3_u32 v5, v1, v5, s22
	v_lshrrev_b32_e32 v5, 21, v5
; %bb.87:
	s_andn2_saveexec_b64 s[18:19], s[18:19]
; %bb.88:
	s_mov_b32 s22, 0x43000000
	v_add_f32_e64 v5, |v1|, s22
; %bb.89:
	s_or_b64 exec, exec, s[18:19]
                                        ; implicit-def: $vgpr6
.LBB46_90:
	s_andn2_saveexec_b64 s[12:13], s[12:13]
; %bb.91:
	s_mov_b32 s18, 0x7f800000
	v_mov_b32_e32 v5, 0x7c
	v_mov_b32_e32 v7, 0x7f
	v_cmp_lt_u32_e32 vcc, s18, v6
	s_nop 1
	v_cndmask_b32_e32 v5, v5, v7, vcc
; %bb.92:
	s_or_b64 exec, exec, s[12:13]
	v_lshrrev_b32_e32 v1, 24, v1
	s_movk_i32 s12, 0x80
	v_and_or_b32 v1, v1, s12, v5
	global_store_byte v[2:3], v1, off
.LBB46_93:
	s_mov_b64 s[18:19], 0
	s_mov_b64 s[12:13], -1
.LBB46_94:
	s_andn2_b64 vcc, exec, s[18:19]
	s_cbranch_vccnz .LBB46_102
; %bb.95:
	s_cmp_gt_i32 s25, 14
	s_mov_b64 s[18:19], -1
	s_cbranch_scc0 .LBB46_99
; %bb.96:
	s_cmp_eq_u32 s25, 15
	s_mov_b64 s[0:1], -1
	s_cbranch_scc0 .LBB46_98
; %bb.97:
	v_cvt_f32_i32_sdwa v1, sext(v4) dst_sel:DWORD dst_unused:UNUSED_PAD src0_sel:WORD_0
	s_movk_i32 s0, 0x7fff
	s_mov_b64 s[12:13], -1
	v_bfe_u32 v5, v1, 16, 1
	v_add3_u32 v1, v1, v5, s0
	global_store_short_d16_hi v[2:3], v1, off
	s_mov_b64 s[0:1], 0
.LBB46_98:
	s_mov_b64 s[18:19], 0
.LBB46_99:
	s_and_b64 vcc, exec, s[18:19]
	s_cbranch_vccz .LBB46_102
; %bb.100:
	s_cmp_eq_u32 s25, 11
	s_mov_b64 s[0:1], -1
	s_cbranch_scc0 .LBB46_102
; %bb.101:
	v_cmp_ne_u16_e32 vcc, -1, v0
	s_mov_b64 s[12:13], -1
	s_mov_b64 s[0:1], 0
	v_cndmask_b32_e64 v0, 0, 1, vcc
	global_store_byte v[2:3], v0, off
.LBB46_102:
	s_branch .LBB46_20
.LBB46_103:
	s_and_b32 s18, 0xffff, s24
	s_cmp_lt_i32 s18, 5
	s_mov_b64 s[12:13], -1
	s_cbranch_scc1 .LBB46_124
; %bb.104:
	s_cmp_lt_i32 s18, 8
	s_cbranch_scc1 .LBB46_114
; %bb.105:
	s_cmp_lt_i32 s18, 9
	s_cbranch_scc1 .LBB46_111
; %bb.106:
	s_cmp_gt_i32 s18, 9
	s_cbranch_scc0 .LBB46_108
; %bb.107:
	v_bfe_i32 v0, v4, 0, 16
	v_mov_b32_e32 v8, 0
	v_cvt_f64_i32_e32 v[6:7], v0
	v_mov_b32_e32 v9, v8
	global_store_dwordx4 v[2:3], v[6:9], off
	s_mov_b64 s[12:13], 0
.LBB46_108:
	s_andn2_b64 vcc, exec, s[12:13]
	s_cbranch_vccnz .LBB46_110
; %bb.109:
	v_cvt_f32_i32_sdwa v0, sext(v4) dst_sel:DWORD dst_unused:UNUSED_PAD src0_sel:WORD_0
	v_mov_b32_e32 v1, 0
	global_store_dwordx2 v[2:3], v[0:1], off
.LBB46_110:
	s_mov_b64 s[12:13], 0
.LBB46_111:
	s_andn2_b64 vcc, exec, s[12:13]
	s_cbranch_vccnz .LBB46_113
; %bb.112:
	v_cvt_f16_i16_e32 v0, v4
	global_store_dword v[2:3], v0, off
.LBB46_113:
	s_mov_b64 s[12:13], 0
.LBB46_114:
	s_andn2_b64 vcc, exec, s[12:13]
	s_cbranch_vccnz .LBB46_123
; %bb.115:
	s_cmp_lt_i32 s18, 6
	s_mov_b64 s[12:13], -1
	s_cbranch_scc1 .LBB46_121
; %bb.116:
	s_cmp_gt_i32 s18, 6
	s_cbranch_scc0 .LBB46_118
; %bb.117:
	v_bfe_i32 v0, v4, 0, 16
	v_cvt_f64_i32_e32 v[0:1], v0
	global_store_dwordx2 v[2:3], v[0:1], off
	s_mov_b64 s[12:13], 0
.LBB46_118:
	s_andn2_b64 vcc, exec, s[12:13]
	s_cbranch_vccnz .LBB46_120
; %bb.119:
	v_cvt_f32_i32_sdwa v0, sext(v4) dst_sel:DWORD dst_unused:UNUSED_PAD src0_sel:WORD_0
	global_store_dword v[2:3], v0, off
.LBB46_120:
	s_mov_b64 s[12:13], 0
.LBB46_121:
	s_andn2_b64 vcc, exec, s[12:13]
	s_cbranch_vccnz .LBB46_123
; %bb.122:
	v_cvt_f16_i16_e32 v0, v4
	global_store_short v[2:3], v0, off
.LBB46_123:
	s_mov_b64 s[12:13], 0
.LBB46_124:
	s_andn2_b64 vcc, exec, s[12:13]
	s_cbranch_vccnz .LBB46_140
; %bb.125:
	s_cmp_lt_i32 s18, 2
	s_mov_b64 s[12:13], -1
	s_cbranch_scc1 .LBB46_135
; %bb.126:
	s_cmp_lt_i32 s18, 3
	s_cbranch_scc1 .LBB46_132
; %bb.127:
	s_cmp_gt_i32 s18, 3
	v_bfe_i32 v0, v4, 0, 16
	s_cbranch_scc0 .LBB46_129
; %bb.128:
	v_ashrrev_i32_e32 v1, 31, v0
	global_store_dwordx2 v[2:3], v[0:1], off
	s_mov_b64 s[12:13], 0
.LBB46_129:
	s_andn2_b64 vcc, exec, s[12:13]
	s_cbranch_vccnz .LBB46_131
; %bb.130:
	global_store_dword v[2:3], v0, off
.LBB46_131:
	s_mov_b64 s[12:13], 0
.LBB46_132:
	s_andn2_b64 vcc, exec, s[12:13]
	s_cbranch_vccnz .LBB46_134
; %bb.133:
	global_store_short v[2:3], v4, off
.LBB46_134:
	s_mov_b64 s[12:13], 0
.LBB46_135:
	s_andn2_b64 vcc, exec, s[12:13]
	s_cbranch_vccnz .LBB46_140
; %bb.136:
	s_cmp_gt_i32 s18, 0
	s_mov_b64 s[12:13], -1
	s_cbranch_scc0 .LBB46_138
; %bb.137:
	global_store_byte v[2:3], v4, off
	s_mov_b64 s[12:13], 0
.LBB46_138:
	s_andn2_b64 vcc, exec, s[12:13]
	s_cbranch_vccnz .LBB46_140
; %bb.139:
	global_store_byte v[2:3], v4, off
.LBB46_140:
	s_branch .LBB46_21
.LBB46_141:
	s_mov_b64 s[18:19], 0
                                        ; implicit-def: $vgpr10
	s_branch .LBB46_247
.LBB46_142:
	s_mov_b64 s[14:15], -1
                                        ; implicit-def: $vgpr0
.LBB46_143:
	s_mov_b64 s[12:13], 0
.LBB46_144:
	s_and_b64 vcc, exec, s[12:13]
	s_cbranch_vccz .LBB46_148
; %bb.145:
	s_cmp_eq_u32 s18, 29
	s_cbranch_scc0 .LBB46_147
; %bb.146:
	global_load_dwordx2 v[0:1], v[2:3], off
	s_mov_b64 s[0:1], -1
	s_mov_b64 s[14:15], 0
	s_branch .LBB46_148
.LBB46_147:
	s_mov_b64 s[14:15], -1
                                        ; implicit-def: $vgpr0
.LBB46_148:
	s_mov_b64 s[12:13], 0
.LBB46_149:
	s_and_b64 vcc, exec, s[12:13]
	s_cbranch_vccz .LBB46_165
; %bb.150:
	s_cmp_lt_i32 s18, 27
	s_cbranch_scc1 .LBB46_153
; %bb.151:
	s_cmp_gt_i32 s18, 27
	s_cbranch_scc0 .LBB46_154
; %bb.152:
	global_load_dword v0, v[2:3], off
	s_mov_b64 s[0:1], 0
	s_branch .LBB46_155
.LBB46_153:
	s_mov_b64 s[0:1], -1
                                        ; implicit-def: $vgpr0
	s_branch .LBB46_158
.LBB46_154:
	s_mov_b64 s[0:1], -1
                                        ; implicit-def: $vgpr0
.LBB46_155:
	s_andn2_b64 vcc, exec, s[0:1]
	s_cbranch_vccnz .LBB46_157
; %bb.156:
	global_load_ushort v0, v[2:3], off
.LBB46_157:
	s_mov_b64 s[0:1], 0
.LBB46_158:
	s_andn2_b64 vcc, exec, s[0:1]
	s_cbranch_vccnz .LBB46_164
; %bb.159:
	global_load_ubyte v1, v[2:3], off
	s_movk_i32 s0, 0x7f
	s_mov_b64 s[12:13], 0
	s_waitcnt vmcnt(0)
	v_cmp_lt_i16_e32 vcc, s0, v1
	s_and_saveexec_b64 s[0:1], vcc
	s_xor_b64 s[0:1], exec, s[0:1]
	s_cbranch_execz .LBB46_175
; %bb.160:
	s_movk_i32 s12, 0x80
	v_cmp_ne_u16_e32 vcc, s12, v1
	s_and_b64 s[12:13], vcc, exec
	s_andn2_saveexec_b64 s[0:1], s[0:1]
	s_cbranch_execnz .LBB46_176
.LBB46_161:
	s_or_b64 exec, exec, s[0:1]
	v_mov_b32_e32 v0, 0
	s_and_saveexec_b64 s[0:1], s[12:13]
	s_cbranch_execz .LBB46_163
.LBB46_162:
	v_lshlrev_b32_e32 v0, 24, v1
	v_and_b32_e32 v1, 0xffff, v1
	v_and_b32_e32 v4, 7, v1
	v_ffbh_u32_e32 v6, v4
	v_min_u32_e32 v6, 32, v6
	v_subrev_u32_e32 v7, 28, v6
	v_bfe_u32 v5, v1, 3, 4
	v_lshlrev_b32_e32 v1, v7, v1
	v_sub_u32_e32 v6, 29, v6
	v_and_b32_e32 v1, 7, v1
	v_cmp_eq_u32_e32 vcc, 0, v5
	v_and_b32_e32 v0, 0x80000000, v0
	s_nop 0
	v_cndmask_b32_e32 v5, v5, v6, vcc
	v_cndmask_b32_e32 v1, v4, v1, vcc
	v_mov_b32_e32 v4, 0x3b800000
	v_lshlrev_b32_e32 v1, 20, v1
	v_lshl_add_u32 v4, v5, 23, v4
	v_or3_b32 v0, v0, v4, v1
	v_cvt_i32_f32_e32 v0, v0
.LBB46_163:
	s_or_b64 exec, exec, s[0:1]
.LBB46_164:
	s_mov_b64 s[0:1], -1
.LBB46_165:
	s_branch .LBB46_198
.LBB46_166:
	s_cmp_gt_i32 s18, 22
	s_cbranch_scc0 .LBB46_174
; %bb.167:
	s_cmp_lt_i32 s18, 24
	s_cbranch_scc1 .LBB46_177
; %bb.168:
	s_cmp_gt_i32 s18, 24
	s_cbranch_scc0 .LBB46_178
; %bb.169:
	global_load_ubyte v1, v[2:3], off
	s_movk_i32 s0, 0x7f
	s_mov_b64 s[12:13], 0
	s_waitcnt vmcnt(0)
	v_cmp_lt_i16_e32 vcc, s0, v1
	s_and_saveexec_b64 s[0:1], vcc
	s_xor_b64 s[0:1], exec, s[0:1]
	s_cbranch_execz .LBB46_190
; %bb.170:
	s_movk_i32 s12, 0x80
	v_cmp_ne_u16_e32 vcc, s12, v1
	s_and_b64 s[12:13], vcc, exec
	s_andn2_saveexec_b64 s[0:1], s[0:1]
	s_cbranch_execnz .LBB46_191
.LBB46_171:
	s_or_b64 exec, exec, s[0:1]
	v_mov_b32_e32 v0, 0
	s_and_saveexec_b64 s[0:1], s[12:13]
	s_cbranch_execz .LBB46_173
.LBB46_172:
	v_lshlrev_b32_e32 v0, 24, v1
	v_and_b32_e32 v1, 0xffff, v1
	v_and_b32_e32 v4, 3, v1
	v_ffbh_u32_e32 v6, v4
	v_min_u32_e32 v6, 32, v6
	v_subrev_u32_e32 v7, 29, v6
	v_bfe_u32 v5, v1, 2, 5
	v_lshlrev_b32_e32 v1, v7, v1
	v_sub_u32_e32 v6, 30, v6
	v_and_b32_e32 v1, 3, v1
	v_cmp_eq_u32_e32 vcc, 0, v5
	v_and_b32_e32 v0, 0x80000000, v0
	s_nop 0
	v_cndmask_b32_e32 v5, v5, v6, vcc
	v_cndmask_b32_e32 v1, v4, v1, vcc
	v_mov_b32_e32 v4, 0x37800000
	v_lshlrev_b32_e32 v1, 21, v1
	v_lshl_add_u32 v4, v5, 23, v4
	v_or3_b32 v0, v0, v4, v1
	v_cvt_i32_f32_e32 v0, v0
.LBB46_173:
	s_or_b64 exec, exec, s[0:1]
	s_mov_b64 s[0:1], 0
	s_branch .LBB46_179
.LBB46_174:
	s_mov_b64 s[12:13], -1
                                        ; implicit-def: $vgpr0
	s_branch .LBB46_185
.LBB46_175:
	s_andn2_saveexec_b64 s[0:1], s[0:1]
	s_cbranch_execz .LBB46_161
.LBB46_176:
	v_cmp_ne_u16_e32 vcc, 0, v1
	s_andn2_b64 s[12:13], s[12:13], exec
	s_and_b64 s[22:23], vcc, exec
	s_or_b64 s[12:13], s[12:13], s[22:23]
	s_or_b64 exec, exec, s[0:1]
	v_mov_b32_e32 v0, 0
	s_and_saveexec_b64 s[0:1], s[12:13]
	s_cbranch_execnz .LBB46_162
	s_branch .LBB46_163
.LBB46_177:
	s_mov_b64 s[0:1], -1
                                        ; implicit-def: $vgpr0
	s_branch .LBB46_182
.LBB46_178:
	s_mov_b64 s[0:1], -1
                                        ; implicit-def: $vgpr0
.LBB46_179:
	s_and_b64 vcc, exec, s[0:1]
	s_cbranch_vccz .LBB46_181
; %bb.180:
	global_load_ubyte v0, v[2:3], off
	s_mov_b32 s0, 0x7f800000
	s_waitcnt vmcnt(0)
	v_lshlrev_b32_e32 v0, 24, v0
	v_and_b32_e32 v1, 0x7f000000, v0
	v_ffbh_u32_e32 v4, v1
	v_min_u32_e32 v4, 32, v4
	v_sub_u32_e64 v4, v4, 4 clamp
	v_lshlrev_b32_e32 v6, v4, v1
	v_lshlrev_b32_e32 v4, 23, v4
	v_lshrrev_b32_e32 v6, 4, v6
	v_add_u32_e32 v5, 0x1000000, v1
	v_sub_u32_e32 v4, v6, v4
	v_ashrrev_i32_e32 v5, 8, v5
	v_add_u32_e32 v4, 0x3c000000, v4
	v_and_or_b32 v4, v5, s0, v4
	v_cmp_ne_u32_e32 vcc, 0, v1
	s_brev_b32 s0, 1
	s_nop 0
	v_cndmask_b32_e32 v1, 0, v4, vcc
	v_and_or_b32 v0, v0, s0, v1
	v_cvt_i32_f32_e32 v0, v0
.LBB46_181:
	s_mov_b64 s[0:1], 0
.LBB46_182:
	s_andn2_b64 vcc, exec, s[0:1]
	s_cbranch_vccnz .LBB46_184
; %bb.183:
	global_load_ubyte v0, v[2:3], off
	s_movk_i32 s0, 0x7f00
	s_brev_b32 s1, 16
	s_waitcnt vmcnt(0)
	v_lshlrev_b16_e32 v1, 8, v0
	v_lshlrev_b32_e32 v0, 25, v0
	v_lshrrev_b32_e32 v4, 4, v0
	v_and_or_b32 v5, v1, s0, 0.5
	v_or_b32_e32 v4, 0x70000000, v4
	v_add_f32_e32 v5, -0.5, v5
	v_mul_f32_e32 v4, 0x7800000, v4
	v_cmp_gt_u32_e32 vcc, s1, v0
	v_bfe_i32 v1, v1, 0, 16
	s_brev_b32 s0, 1
	v_cndmask_b32_e32 v0, v4, v5, vcc
	v_and_or_b32 v0, v1, s0, v0
	v_cvt_i32_f32_e32 v0, v0
.LBB46_184:
	s_mov_b64 s[12:13], 0
	s_mov_b64 s[0:1], -1
.LBB46_185:
	s_andn2_b64 vcc, exec, s[12:13]
	s_cbranch_vccnz .LBB46_198
; %bb.186:
	s_cmp_gt_i32 s18, 14
	s_cbranch_scc0 .LBB46_189
; %bb.187:
	s_cmp_eq_u32 s18, 15
	s_cbranch_scc0 .LBB46_192
; %bb.188:
	global_load_ushort v0, v[2:3], off
	s_mov_b64 s[0:1], -1
	s_mov_b64 s[14:15], 0
	s_waitcnt vmcnt(0)
	v_lshlrev_b32_e32 v0, 16, v0
	v_cvt_i32_f32_e32 v0, v0
	s_branch .LBB46_193
.LBB46_189:
	s_mov_b64 s[12:13], -1
                                        ; implicit-def: $vgpr0
	s_branch .LBB46_194
.LBB46_190:
	s_andn2_saveexec_b64 s[0:1], s[0:1]
	s_cbranch_execz .LBB46_171
.LBB46_191:
	v_cmp_ne_u16_e32 vcc, 0, v1
	s_andn2_b64 s[12:13], s[12:13], exec
	s_and_b64 s[22:23], vcc, exec
	s_or_b64 s[12:13], s[12:13], s[22:23]
	s_or_b64 exec, exec, s[0:1]
	v_mov_b32_e32 v0, 0
	s_and_saveexec_b64 s[0:1], s[12:13]
	s_cbranch_execnz .LBB46_172
	s_branch .LBB46_173
.LBB46_192:
	s_mov_b64 s[14:15], -1
                                        ; implicit-def: $vgpr0
.LBB46_193:
	s_mov_b64 s[12:13], 0
.LBB46_194:
	s_and_b64 vcc, exec, s[12:13]
	s_cbranch_vccz .LBB46_198
; %bb.195:
	s_cmp_eq_u32 s18, 11
	s_cbranch_scc0 .LBB46_197
; %bb.196:
	global_load_ubyte v0, v[2:3], off
	s_mov_b64 s[0:1], -1
	s_mov_b64 s[14:15], 0
	s_waitcnt vmcnt(0)
	v_cmp_ne_u16_e32 vcc, 0, v0
	s_nop 1
	v_cndmask_b32_e64 v0, 0, 1, vcc
	s_branch .LBB46_198
.LBB46_197:
	s_mov_b64 s[14:15], -1
                                        ; implicit-def: $vgpr0
.LBB46_198:
	s_branch .LBB46_10
.LBB46_199:
	s_cmp_lt_i32 s18, 5
	s_cbranch_scc1 .LBB46_204
; %bb.200:
	s_cmp_lt_i32 s18, 8
	s_cbranch_scc1 .LBB46_205
; %bb.201:
	;; [unrolled: 3-line block ×3, first 2 shown]
	s_cmp_gt_i32 s18, 9
	s_cbranch_scc0 .LBB46_207
; %bb.203:
	global_load_dwordx2 v[0:1], v[2:3], off
	s_mov_b64 s[0:1], 0
	s_waitcnt vmcnt(0)
	v_cvt_i32_f64_e32 v0, v[0:1]
	s_branch .LBB46_208
.LBB46_204:
                                        ; implicit-def: $vgpr0
	s_branch .LBB46_226
.LBB46_205:
	s_mov_b64 s[0:1], -1
                                        ; implicit-def: $vgpr0
	s_branch .LBB46_214
.LBB46_206:
	s_mov_b64 s[0:1], -1
                                        ; implicit-def: $vgpr0
	s_branch .LBB46_211
.LBB46_207:
	s_mov_b64 s[0:1], -1
                                        ; implicit-def: $vgpr0
.LBB46_208:
	s_andn2_b64 vcc, exec, s[0:1]
	s_cbranch_vccnz .LBB46_210
; %bb.209:
	global_load_dword v0, v[2:3], off
	s_waitcnt vmcnt(0)
	v_cvt_i32_f32_e32 v0, v0
.LBB46_210:
	s_mov_b64 s[0:1], 0
.LBB46_211:
	s_andn2_b64 vcc, exec, s[0:1]
	s_cbranch_vccnz .LBB46_213
; %bb.212:
	global_load_dword v0, v[2:3], off
	s_waitcnt vmcnt(0)
	v_cvt_i16_f16_e32 v0, v0
.LBB46_213:
	s_mov_b64 s[0:1], 0
.LBB46_214:
	s_andn2_b64 vcc, exec, s[0:1]
	s_cbranch_vccnz .LBB46_225
; %bb.215:
	s_cmp_lt_i32 s18, 6
	s_cbranch_scc1 .LBB46_218
; %bb.216:
	s_cmp_gt_i32 s18, 6
	s_cbranch_scc0 .LBB46_219
; %bb.217:
	global_load_dwordx2 v[0:1], v[2:3], off
	s_mov_b64 s[0:1], 0
	s_waitcnt vmcnt(0)
	v_cvt_i32_f64_e32 v0, v[0:1]
	s_branch .LBB46_220
.LBB46_218:
	s_mov_b64 s[0:1], -1
                                        ; implicit-def: $vgpr0
	s_branch .LBB46_223
.LBB46_219:
	s_mov_b64 s[0:1], -1
                                        ; implicit-def: $vgpr0
.LBB46_220:
	s_andn2_b64 vcc, exec, s[0:1]
	s_cbranch_vccnz .LBB46_222
; %bb.221:
	global_load_dword v0, v[2:3], off
	s_waitcnt vmcnt(0)
	v_cvt_i32_f32_e32 v0, v0
.LBB46_222:
	s_mov_b64 s[0:1], 0
.LBB46_223:
	s_andn2_b64 vcc, exec, s[0:1]
	s_cbranch_vccnz .LBB46_225
; %bb.224:
	global_load_ushort v0, v[2:3], off
	s_waitcnt vmcnt(0)
	v_cvt_i16_f16_e32 v0, v0
.LBB46_225:
	s_cbranch_execnz .LBB46_245
.LBB46_226:
	s_cmp_lt_i32 s18, 2
	s_cbranch_scc1 .LBB46_230
; %bb.227:
	s_cmp_lt_i32 s18, 3
	s_cbranch_scc1 .LBB46_231
; %bb.228:
	s_cmp_gt_i32 s18, 3
	s_cbranch_scc0 .LBB46_232
; %bb.229:
	global_load_dwordx2 v[0:1], v[2:3], off
	s_mov_b64 s[0:1], 0
	s_branch .LBB46_233
.LBB46_230:
	s_mov_b64 s[0:1], -1
                                        ; implicit-def: $vgpr0
	s_branch .LBB46_239
.LBB46_231:
	s_mov_b64 s[0:1], -1
                                        ; implicit-def: $vgpr0
	s_branch .LBB46_236
.LBB46_232:
	s_mov_b64 s[0:1], -1
                                        ; implicit-def: $vgpr0
.LBB46_233:
	s_andn2_b64 vcc, exec, s[0:1]
	s_cbranch_vccnz .LBB46_235
; %bb.234:
	global_load_dword v0, v[2:3], off
.LBB46_235:
	s_mov_b64 s[0:1], 0
.LBB46_236:
	s_andn2_b64 vcc, exec, s[0:1]
	s_cbranch_vccnz .LBB46_238
; %bb.237:
	global_load_ushort v0, v[2:3], off
.LBB46_238:
	s_mov_b64 s[0:1], 0
.LBB46_239:
	s_andn2_b64 vcc, exec, s[0:1]
	s_cbranch_vccnz .LBB46_245
; %bb.240:
	s_cmp_gt_i32 s18, 0
	s_cbranch_scc0 .LBB46_242
; %bb.241:
	global_load_sbyte v0, v[2:3], off
	s_mov_b64 s[0:1], 0
	s_branch .LBB46_243
.LBB46_242:
	s_mov_b64 s[0:1], -1
                                        ; implicit-def: $vgpr0
.LBB46_243:
	s_andn2_b64 vcc, exec, s[0:1]
	s_cbranch_vccnz .LBB46_245
; %bb.244:
	global_load_ubyte v0, v[2:3], off
.LBB46_245:
	s_branch .LBB46_11
.LBB46_246:
	s_mov_b64 s[0:1], 0
                                        ; implicit-def: $vgpr10
	s_mov_b64 s[18:19], 0
.LBB46_247:
	s_and_b64 s[12:13], s[0:1], exec
	s_and_b64 s[14:15], s[14:15], exec
	s_orn2_b64 s[18:19], s[18:19], exec
.LBB46_248:
	s_or_b64 exec, exec, s[16:17]
	s_mov_b64 s[22:23], 0
	s_mov_b64 s[0:1], 0
                                        ; implicit-def: $vgpr2_vgpr3
                                        ; implicit-def: $vgpr0
	s_and_saveexec_b64 s[16:17], s[18:19]
	s_cbranch_execz .LBB46_257
; %bb.249:
	v_cmp_gt_i32_e32 vcc, s38, v10
	s_mov_b64 s[0:1], -1
	s_mov_b64 s[18:19], s[14:15]
	s_mov_b64 s[20:21], s[12:13]
	s_and_saveexec_b64 s[22:23], vcc
	s_cbranch_execz .LBB46_505
; %bb.250:
	s_waitcnt vmcnt(0)
	v_mul_lo_u32 v0, v10, s9
	v_ashrrev_i32_e32 v1, 31, v0
	s_and_b32 s24, 0xffff, s42
	s_cmp_lt_i32 s24, 11
	v_lshl_add_u64 v[2:3], s[6:7], 0, v[0:1]
	s_cbranch_scc1 .LBB46_260
; %bb.251:
	s_cmp_gt_i32 s24, 25
	s_cbranch_scc0 .LBB46_269
; %bb.252:
	s_cmp_gt_i32 s24, 28
	s_cbranch_scc0 .LBB46_271
	;; [unrolled: 3-line block ×4, first 2 shown]
; %bb.255:
	s_cmp_eq_u32 s24, 46
	s_mov_b64 s[20:21], 0
	s_cbranch_scc0 .LBB46_281
; %bb.256:
	global_load_dword v0, v[2:3], off
	s_mov_b64 s[18:19], 0
	s_waitcnt vmcnt(0)
	v_lshlrev_b32_e32 v0, 16, v0
	v_cvt_i32_f32_e32 v0, v0
	s_branch .LBB46_282
.LBB46_257:
	s_or_b64 exec, exec, s[16:17]
	s_mov_b64 s[16:17], 0
	s_and_saveexec_b64 s[18:19], s[14:15]
	s_cbranch_execnz .LBB46_843
.LBB46_258:
	s_or_b64 exec, exec, s[18:19]
	s_and_saveexec_b64 s[14:15], s[20:21]
	s_xor_b64 s[14:15], exec, s[14:15]
	s_cbranch_execz .LBB46_844
.LBB46_259:
	global_load_ubyte v0, v[2:3], off
	s_or_b64 s[0:1], s[0:1], exec
	s_waitcnt vmcnt(0)
	v_cmp_ne_u16_e32 vcc, 0, v0
	s_nop 1
	v_cndmask_b32_e64 v0, 0, 1, vcc
	s_or_b64 exec, exec, s[14:15]
	s_and_saveexec_b64 s[14:15], s[22:23]
	s_cbranch_execz .LBB46_890
	s_branch .LBB46_845
.LBB46_260:
	s_mov_b64 s[0:1], 0
                                        ; implicit-def: $vgpr0
	s_mov_b64 s[18:19], s[14:15]
	s_cbranch_execnz .LBB46_455
.LBB46_261:
	s_andn2_b64 vcc, exec, s[0:1]
	s_cbranch_vccnz .LBB46_503
.LBB46_262:
	v_mul_lo_u32 v2, v10, s8
	v_ashrrev_i32_e32 v3, 31, v2
	s_and_b32 s28, s33, 0xff
	s_waitcnt vmcnt(0)
	v_xor_b32_e32 v4, -1, v0
	s_cmp_lt_i32 s28, 11
	v_lshl_add_u64 v[2:3], s[4:5], 0, v[2:3]
	s_cbranch_scc1 .LBB46_270
; %bb.263:
	s_and_b32 s29, 0xffff, s28
	s_cmp_gt_i32 s29, 25
	s_cbranch_scc0 .LBB46_272
; %bb.264:
	s_cmp_gt_i32 s29, 28
	s_cbranch_scc0 .LBB46_274
; %bb.265:
	;; [unrolled: 3-line block ×4, first 2 shown]
	s_mov_b64 s[24:25], 0
	s_mov_b64 s[0:1], -1
	s_cmp_eq_u32 s29, 46
	s_mov_b64 s[20:21], 0
	s_cbranch_scc0 .LBB46_286
; %bb.268:
	v_cvt_f32_i32_sdwa v1, sext(v4) dst_sel:DWORD dst_unused:UNUSED_PAD src0_sel:WORD_0
	s_movk_i32 s0, 0x7fff
	s_mov_b64 s[20:21], -1
	v_bfe_u32 v5, v1, 16, 1
	v_add3_u32 v1, v1, v5, s0
	v_lshrrev_b32_e32 v1, 16, v1
	global_store_dword v[2:3], v1, off
	s_mov_b64 s[0:1], 0
	s_branch .LBB46_286
.LBB46_269:
	s_mov_b64 s[20:21], -1
	s_mov_b64 s[0:1], 0
	s_mov_b64 s[18:19], s[14:15]
                                        ; implicit-def: $vgpr0
	s_branch .LBB46_421
.LBB46_270:
	s_mov_b64 s[24:25], -1
	s_mov_b64 s[20:21], 0
	s_mov_b64 s[0:1], s[12:13]
	s_branch .LBB46_355
.LBB46_271:
	s_mov_b64 s[20:21], -1
	s_mov_b64 s[0:1], 0
	s_mov_b64 s[18:19], s[14:15]
                                        ; implicit-def: $vgpr0
	s_branch .LBB46_404
.LBB46_272:
	s_mov_b64 s[24:25], -1
	s_mov_b64 s[20:21], 0
	s_mov_b64 s[0:1], s[12:13]
	s_branch .LBB46_313
.LBB46_273:
	s_mov_b64 s[20:21], -1
	s_mov_b64 s[0:1], 0
	s_mov_b64 s[18:19], s[14:15]
                                        ; implicit-def: $vgpr0
	s_branch .LBB46_399
.LBB46_274:
	s_mov_b64 s[24:25], -1
	s_mov_b64 s[20:21], 0
	s_mov_b64 s[0:1], s[12:13]
	s_branch .LBB46_296
.LBB46_275:
	s_andn2_saveexec_b64 s[22:23], s[22:23]
	s_cbranch_execz .LBB46_55
.LBB46_276:
	s_mov_b32 s26, 0x46000000
	v_add_f32_e64 v5, |v1|, s26
	v_and_b32_e32 v5, 0xff, v5
	v_cmp_ne_u32_e32 vcc, 0, v5
	s_andn2_b64 s[18:19], s[18:19], exec
	s_and_b64 s[26:27], vcc, exec
	s_or_b64 s[18:19], s[18:19], s[26:27]
	s_or_b64 exec, exec, s[22:23]
	v_mov_b32_e32 v6, 0
	s_and_saveexec_b64 s[22:23], s[18:19]
	s_cbranch_execnz .LBB46_56
	s_branch .LBB46_57
.LBB46_277:
	s_mov_b64 s[20:21], -1
	s_mov_b64 s[0:1], 0
	s_mov_b64 s[18:19], s[14:15]
                                        ; implicit-def: $vgpr0
	s_branch .LBB46_282
.LBB46_278:
	s_mov_b64 s[24:25], -1
	s_mov_b64 s[20:21], 0
	s_mov_b64 s[0:1], s[12:13]
	s_branch .LBB46_292
.LBB46_279:
	s_andn2_saveexec_b64 s[22:23], s[22:23]
	s_cbranch_execz .LBB46_68
.LBB46_280:
	s_mov_b32 s26, 0x42800000
	v_add_f32_e64 v5, |v1|, s26
	v_and_b32_e32 v5, 0xff, v5
	v_cmp_ne_u32_e32 vcc, 0, v5
	s_andn2_b64 s[18:19], s[18:19], exec
	s_and_b64 s[26:27], vcc, exec
	s_or_b64 s[18:19], s[18:19], s[26:27]
	s_or_b64 exec, exec, s[22:23]
	v_mov_b32_e32 v6, 0
	s_and_saveexec_b64 s[22:23], s[18:19]
	s_cbranch_execnz .LBB46_69
	s_branch .LBB46_70
.LBB46_281:
	s_mov_b64 s[18:19], -1
                                        ; implicit-def: $vgpr0
	s_mov_b64 s[0:1], 0
.LBB46_282:
	s_and_b64 vcc, exec, s[20:21]
	s_cbranch_vccz .LBB46_398
; %bb.283:
	s_cmp_eq_u32 s24, 44
	s_cbranch_scc0 .LBB46_397
; %bb.284:
	global_load_ubyte v0, v[2:3], off
	s_mov_b64 s[0:1], -1
	s_mov_b64 s[18:19], 0
	s_waitcnt vmcnt(0)
	v_lshlrev_b32_e32 v1, 23, v0
	v_cvt_i32_f32_e32 v1, v1
	v_cmp_ne_u32_e32 vcc, 0, v0
	s_nop 1
	v_cndmask_b32_e32 v0, 0, v1, vcc
	s_branch .LBB46_398
.LBB46_285:
	s_mov_b64 s[24:25], -1
	s_mov_b64 s[20:21], 0
	s_mov_b64 s[0:1], s[12:13]
.LBB46_286:
	s_and_b64 vcc, exec, s[24:25]
	s_cbranch_vccz .LBB46_291
; %bb.287:
	s_cmp_eq_u32 s29, 44
	s_mov_b64 s[0:1], -1
	s_cbranch_scc0 .LBB46_291
; %bb.288:
	v_cvt_f32_i32_sdwa v1, sext(v4) dst_sel:DWORD dst_unused:UNUSED_PAD src0_sel:WORD_0
	s_movk_i32 s0, 0xff
	v_mov_b32_e32 v6, 0xff
	v_bfe_u32 v5, v1, 23, 8
	v_cmp_ne_u32_e32 vcc, s0, v5
	s_and_saveexec_b64 s[20:21], vcc
; %bb.289:
	s_mov_b32 s0, 0x3fffff
	v_lshrrev_b32_e32 v6, 23, v1
	v_and_b32_e32 v7, 0x400000, v1
	v_and_or_b32 v1, v1, s0, v5
	v_cmp_ne_u32_e32 vcc, 0, v7
	v_cmp_ne_u32_e64 s[0:1], 0, v1
	s_and_b64 s[0:1], vcc, s[0:1]
	s_nop 0
	v_cndmask_b32_e64 v1, 0, 1, s[0:1]
	v_add_u32_e32 v6, v6, v1
; %bb.290:
	s_or_b64 exec, exec, s[20:21]
	s_mov_b64 s[20:21], -1
	s_mov_b64 s[0:1], 0
	global_store_byte v[2:3], v6, off
.LBB46_291:
	s_mov_b64 s[24:25], 0
.LBB46_292:
	s_and_b64 vcc, exec, s[24:25]
	s_cbranch_vccz .LBB46_295
; %bb.293:
	s_cmp_eq_u32 s29, 29
	s_mov_b64 s[0:1], -1
	s_cbranch_scc0 .LBB46_295
; %bb.294:
	v_bfe_i32 v6, v4, 0, 16
	v_ashrrev_i32_e32 v7, 31, v6
	global_store_dwordx2 v[2:3], v[6:7], off
	s_mov_b64 s[20:21], -1
	s_mov_b64 s[0:1], 0
.LBB46_295:
	s_mov_b64 s[24:25], 0
.LBB46_296:
	s_and_b64 vcc, exec, s[24:25]
	s_cbranch_vccz .LBB46_312
; %bb.297:
	s_cmp_lt_i32 s29, 27
	s_mov_b64 s[20:21], -1
	s_cbranch_scc1 .LBB46_303
; %bb.298:
	s_cmp_gt_i32 s29, 27
	s_cbranch_scc0 .LBB46_300
; %bb.299:
	v_bfe_i32 v1, v4, 0, 16
	s_mov_b64 s[20:21], 0
	global_store_dword v[2:3], v1, off
.LBB46_300:
	s_andn2_b64 vcc, exec, s[20:21]
	s_cbranch_vccnz .LBB46_302
; %bb.301:
	global_store_short v[2:3], v4, off
.LBB46_302:
	s_mov_b64 s[20:21], 0
.LBB46_303:
	s_andn2_b64 vcc, exec, s[20:21]
	s_cbranch_vccnz .LBB46_311
; %bb.304:
	v_cvt_f32_i32_sdwa v1, sext(v4) dst_sel:DWORD dst_unused:UNUSED_PAD src0_sel:WORD_0
	s_mov_b32 s20, 0x43800000
	v_mov_b32_e32 v6, 0x80
	v_and_b32_e32 v5, 0x7fffffff, v1
	v_cmp_gt_u32_e32 vcc, s20, v5
	s_and_saveexec_b64 s[20:21], vcc
	s_cbranch_execz .LBB46_310
; %bb.305:
	s_mov_b32 s24, 0x3bffffff
	v_cmp_lt_u32_e32 vcc, s24, v5
	s_mov_b64 s[24:25], 0
                                        ; implicit-def: $vgpr5
	s_and_saveexec_b64 s[26:27], vcc
	s_xor_b64 s[26:27], exec, s[26:27]
	s_cbranch_execz .LBB46_518
; %bb.306:
	v_bfe_u32 v5, v1, 20, 1
	s_mov_b32 s30, 0x487ffff
	v_add3_u32 v5, v1, v5, s30
	s_mov_b64 s[24:25], exec
	v_lshrrev_b32_e32 v5, 20, v5
	s_andn2_saveexec_b64 s[26:27], s[26:27]
	s_cbranch_execnz .LBB46_519
.LBB46_307:
	s_or_b64 exec, exec, s[26:27]
	v_mov_b32_e32 v6, 0
	s_and_saveexec_b64 s[26:27], s[24:25]
.LBB46_308:
	v_lshrrev_b32_e32 v1, 24, v1
	s_movk_i32 s24, 0x80
	v_and_or_b32 v6, v1, s24, v5
.LBB46_309:
	s_or_b64 exec, exec, s[26:27]
.LBB46_310:
	s_or_b64 exec, exec, s[20:21]
	global_store_byte v[2:3], v6, off
.LBB46_311:
	s_mov_b64 s[20:21], -1
.LBB46_312:
	s_mov_b64 s[24:25], 0
.LBB46_313:
	s_and_b64 vcc, exec, s[24:25]
	s_cbranch_vccz .LBB46_354
; %bb.314:
	s_cmp_gt_i32 s29, 22
	s_mov_b64 s[24:25], -1
	s_cbranch_scc0 .LBB46_346
; %bb.315:
	s_cmp_lt_i32 s29, 24
	s_mov_b64 s[20:21], -1
	s_cbranch_scc1 .LBB46_335
; %bb.316:
	s_cmp_gt_i32 s29, 24
	s_cbranch_scc0 .LBB46_324
; %bb.317:
	v_cvt_f32_i32_sdwa v1, sext(v4) dst_sel:DWORD dst_unused:UNUSED_PAD src0_sel:WORD_0
	s_mov_b32 s20, 0x47800000
	v_mov_b32_e32 v6, 0x80
	v_and_b32_e32 v5, 0x7fffffff, v1
	v_cmp_gt_u32_e32 vcc, s20, v5
	s_and_saveexec_b64 s[20:21], vcc
	s_cbranch_execz .LBB46_323
; %bb.318:
	s_mov_b32 s24, 0x37ffffff
	v_cmp_lt_u32_e32 vcc, s24, v5
	s_mov_b64 s[24:25], 0
                                        ; implicit-def: $vgpr5
	s_and_saveexec_b64 s[26:27], vcc
	s_xor_b64 s[26:27], exec, s[26:27]
	s_cbranch_execz .LBB46_521
; %bb.319:
	v_bfe_u32 v5, v1, 21, 1
	s_mov_b32 s30, 0x88fffff
	v_add3_u32 v5, v1, v5, s30
	s_mov_b64 s[24:25], exec
	v_lshrrev_b32_e32 v5, 21, v5
	s_andn2_saveexec_b64 s[26:27], s[26:27]
	s_cbranch_execnz .LBB46_522
.LBB46_320:
	s_or_b64 exec, exec, s[26:27]
	v_mov_b32_e32 v6, 0
	s_and_saveexec_b64 s[26:27], s[24:25]
.LBB46_321:
	v_lshrrev_b32_e32 v1, 24, v1
	s_movk_i32 s24, 0x80
	v_and_or_b32 v6, v1, s24, v5
.LBB46_322:
	s_or_b64 exec, exec, s[26:27]
.LBB46_323:
	s_or_b64 exec, exec, s[20:21]
	s_mov_b64 s[20:21], 0
	global_store_byte v[2:3], v6, off
.LBB46_324:
	s_and_b64 vcc, exec, s[20:21]
	s_cbranch_vccz .LBB46_334
; %bb.325:
	v_cvt_f32_i32_sdwa v1, sext(v4) dst_sel:DWORD dst_unused:UNUSED_PAD src0_sel:WORD_0
	s_mov_b32 s20, 0x43f00000
                                        ; implicit-def: $vgpr5
	v_and_b32_e32 v6, 0x7fffffff, v1
	v_cmp_gt_u32_e32 vcc, s20, v6
	s_and_saveexec_b64 s[20:21], vcc
	s_xor_b64 s[20:21], exec, s[20:21]
	s_cbranch_execz .LBB46_331
; %bb.326:
	s_mov_b32 s24, 0x3c7fffff
	v_cmp_lt_u32_e32 vcc, s24, v6
                                        ; implicit-def: $vgpr5
	s_and_saveexec_b64 s[24:25], vcc
	s_xor_b64 s[24:25], exec, s[24:25]
; %bb.327:
	v_bfe_u32 v5, v1, 20, 1
	s_mov_b32 s26, 0x407ffff
	v_add3_u32 v5, v1, v5, s26
	v_lshrrev_b32_e32 v6, 20, v5
	v_and_b32_e32 v5, 0xff00000, v5
	s_mov_b32 s26, 0x7f00000
	v_mov_b32_e32 v7, 0x7e
	v_cmp_ne_u32_e32 vcc, s26, v5
	s_nop 1
	v_cndmask_b32_e32 v5, v7, v6, vcc
; %bb.328:
	s_andn2_saveexec_b64 s[24:25], s[24:25]
; %bb.329:
	s_mov_b32 s26, 0x46800000
	v_add_f32_e64 v5, |v1|, s26
; %bb.330:
	s_or_b64 exec, exec, s[24:25]
                                        ; implicit-def: $vgpr6
.LBB46_331:
	s_andn2_saveexec_b64 s[20:21], s[20:21]
; %bb.332:
	s_mov_b32 s24, 0x7f800000
	v_mov_b32_e32 v5, 0x7e
	v_mov_b32_e32 v7, 0x7f
	v_cmp_lt_u32_e32 vcc, s24, v6
	s_nop 1
	v_cndmask_b32_e32 v5, v5, v7, vcc
; %bb.333:
	s_or_b64 exec, exec, s[20:21]
	v_lshrrev_b32_e32 v1, 24, v1
	s_movk_i32 s20, 0x80
	v_and_or_b32 v1, v1, s20, v5
	global_store_byte v[2:3], v1, off
.LBB46_334:
	s_mov_b64 s[20:21], 0
.LBB46_335:
	s_andn2_b64 vcc, exec, s[20:21]
	s_cbranch_vccnz .LBB46_345
; %bb.336:
	v_cvt_f32_i32_sdwa v1, sext(v4) dst_sel:DWORD dst_unused:UNUSED_PAD src0_sel:WORD_0
	s_mov_b32 s20, 0x47800000
                                        ; implicit-def: $vgpr5
	v_and_b32_e32 v6, 0x7fffffff, v1
	v_cmp_gt_u32_e32 vcc, s20, v6
	s_and_saveexec_b64 s[20:21], vcc
	s_xor_b64 s[20:21], exec, s[20:21]
	s_cbranch_execz .LBB46_342
; %bb.337:
	s_mov_b32 s24, 0x387fffff
	v_cmp_lt_u32_e32 vcc, s24, v6
                                        ; implicit-def: $vgpr5
	s_and_saveexec_b64 s[24:25], vcc
	s_xor_b64 s[24:25], exec, s[24:25]
; %bb.338:
	v_bfe_u32 v5, v1, 21, 1
	s_mov_b32 s26, 0x80fffff
	v_add3_u32 v5, v1, v5, s26
	v_lshrrev_b32_e32 v5, 21, v5
; %bb.339:
	s_andn2_saveexec_b64 s[24:25], s[24:25]
; %bb.340:
	s_mov_b32 s26, 0x43000000
	v_add_f32_e64 v5, |v1|, s26
; %bb.341:
	s_or_b64 exec, exec, s[24:25]
                                        ; implicit-def: $vgpr6
.LBB46_342:
	s_andn2_saveexec_b64 s[20:21], s[20:21]
; %bb.343:
	s_mov_b32 s24, 0x7f800000
	v_mov_b32_e32 v5, 0x7c
	v_mov_b32_e32 v7, 0x7f
	v_cmp_lt_u32_e32 vcc, s24, v6
	s_nop 1
	v_cndmask_b32_e32 v5, v5, v7, vcc
; %bb.344:
	s_or_b64 exec, exec, s[20:21]
	v_lshrrev_b32_e32 v1, 24, v1
	s_movk_i32 s20, 0x80
	v_and_or_b32 v1, v1, s20, v5
	global_store_byte v[2:3], v1, off
.LBB46_345:
	s_mov_b64 s[24:25], 0
	s_mov_b64 s[20:21], -1
.LBB46_346:
	s_andn2_b64 vcc, exec, s[24:25]
	s_cbranch_vccnz .LBB46_354
; %bb.347:
	s_cmp_gt_i32 s29, 14
	s_mov_b64 s[24:25], -1
	s_cbranch_scc0 .LBB46_351
; %bb.348:
	s_cmp_eq_u32 s29, 15
	s_mov_b64 s[0:1], -1
	s_cbranch_scc0 .LBB46_350
; %bb.349:
	v_cvt_f32_i32_sdwa v1, sext(v4) dst_sel:DWORD dst_unused:UNUSED_PAD src0_sel:WORD_0
	s_movk_i32 s0, 0x7fff
	s_mov_b64 s[20:21], -1
	v_bfe_u32 v5, v1, 16, 1
	v_add3_u32 v1, v1, v5, s0
	global_store_short_d16_hi v[2:3], v1, off
	s_mov_b64 s[0:1], 0
.LBB46_350:
	s_mov_b64 s[24:25], 0
.LBB46_351:
	s_and_b64 vcc, exec, s[24:25]
	s_cbranch_vccz .LBB46_354
; %bb.352:
	s_cmp_eq_u32 s29, 11
	s_mov_b64 s[0:1], -1
	s_cbranch_scc0 .LBB46_354
; %bb.353:
	v_cmp_ne_u16_e32 vcc, -1, v0
	s_mov_b64 s[20:21], -1
	s_mov_b64 s[0:1], 0
	v_cndmask_b32_e64 v0, 0, 1, vcc
	global_store_byte v[2:3], v0, off
.LBB46_354:
	s_mov_b64 s[24:25], 0
.LBB46_355:
	s_and_b64 vcc, exec, s[24:25]
	s_cbranch_vccz .LBB46_394
; %bb.356:
	s_and_b32 s24, 0xffff, s28
	s_cmp_lt_i32 s24, 5
	s_mov_b64 s[20:21], -1
	s_cbranch_scc1 .LBB46_377
; %bb.357:
	s_cmp_lt_i32 s24, 8
	s_cbranch_scc1 .LBB46_367
; %bb.358:
	s_cmp_lt_i32 s24, 9
	s_cbranch_scc1 .LBB46_364
; %bb.359:
	s_cmp_gt_i32 s24, 9
	s_cbranch_scc0 .LBB46_361
; %bb.360:
	v_bfe_i32 v0, v4, 0, 16
	v_mov_b32_e32 v8, 0
	v_cvt_f64_i32_e32 v[6:7], v0
	v_mov_b32_e32 v9, v8
	s_mov_b64 s[20:21], 0
	global_store_dwordx4 v[2:3], v[6:9], off
.LBB46_361:
	s_andn2_b64 vcc, exec, s[20:21]
	s_cbranch_vccnz .LBB46_363
; %bb.362:
	v_cvt_f32_i32_sdwa v0, sext(v4) dst_sel:DWORD dst_unused:UNUSED_PAD src0_sel:WORD_0
	v_mov_b32_e32 v1, 0
	global_store_dwordx2 v[2:3], v[0:1], off
.LBB46_363:
	s_mov_b64 s[20:21], 0
.LBB46_364:
	s_andn2_b64 vcc, exec, s[20:21]
	s_cbranch_vccnz .LBB46_366
; %bb.365:
	v_cvt_f16_i16_e32 v0, v4
	global_store_dword v[2:3], v0, off
.LBB46_366:
	s_mov_b64 s[20:21], 0
.LBB46_367:
	s_andn2_b64 vcc, exec, s[20:21]
	s_cbranch_vccnz .LBB46_376
; %bb.368:
	s_cmp_lt_i32 s24, 6
	s_mov_b64 s[20:21], -1
	s_cbranch_scc1 .LBB46_374
; %bb.369:
	s_cmp_gt_i32 s24, 6
	s_cbranch_scc0 .LBB46_371
; %bb.370:
	v_bfe_i32 v0, v4, 0, 16
	v_cvt_f64_i32_e32 v[0:1], v0
	s_mov_b64 s[20:21], 0
	global_store_dwordx2 v[2:3], v[0:1], off
.LBB46_371:
	s_andn2_b64 vcc, exec, s[20:21]
	s_cbranch_vccnz .LBB46_373
; %bb.372:
	v_cvt_f32_i32_sdwa v0, sext(v4) dst_sel:DWORD dst_unused:UNUSED_PAD src0_sel:WORD_0
	global_store_dword v[2:3], v0, off
.LBB46_373:
	s_mov_b64 s[20:21], 0
.LBB46_374:
	s_andn2_b64 vcc, exec, s[20:21]
	s_cbranch_vccnz .LBB46_376
; %bb.375:
	v_cvt_f16_i16_e32 v0, v4
	global_store_short v[2:3], v0, off
.LBB46_376:
	s_mov_b64 s[20:21], 0
.LBB46_377:
	s_andn2_b64 vcc, exec, s[20:21]
	s_cbranch_vccnz .LBB46_393
; %bb.378:
	s_cmp_lt_i32 s24, 2
	s_mov_b64 s[20:21], -1
	s_cbranch_scc1 .LBB46_388
; %bb.379:
	s_cmp_lt_i32 s24, 3
	s_cbranch_scc1 .LBB46_385
; %bb.380:
	s_cmp_gt_i32 s24, 3
	v_bfe_i32 v0, v4, 0, 16
	s_cbranch_scc0 .LBB46_382
; %bb.381:
	v_ashrrev_i32_e32 v1, 31, v0
	s_mov_b64 s[20:21], 0
	global_store_dwordx2 v[2:3], v[0:1], off
.LBB46_382:
	s_andn2_b64 vcc, exec, s[20:21]
	s_cbranch_vccnz .LBB46_384
; %bb.383:
	global_store_dword v[2:3], v0, off
.LBB46_384:
	s_mov_b64 s[20:21], 0
.LBB46_385:
	s_andn2_b64 vcc, exec, s[20:21]
	s_cbranch_vccnz .LBB46_387
; %bb.386:
	global_store_short v[2:3], v4, off
.LBB46_387:
	s_mov_b64 s[20:21], 0
.LBB46_388:
	s_andn2_b64 vcc, exec, s[20:21]
	s_cbranch_vccnz .LBB46_393
; %bb.389:
	s_cmp_gt_i32 s24, 0
	s_mov_b64 s[20:21], -1
	s_cbranch_scc0 .LBB46_391
; %bb.390:
	s_mov_b64 s[20:21], 0
	global_store_byte v[2:3], v4, off
.LBB46_391:
	s_andn2_b64 vcc, exec, s[20:21]
	s_cbranch_vccnz .LBB46_393
; %bb.392:
	global_store_byte v[2:3], v4, off
.LBB46_393:
	s_mov_b64 s[20:21], -1
.LBB46_394:
	s_andn2_b64 vcc, exec, s[20:21]
	s_cbranch_vccnz .LBB46_396
; %bb.395:
	v_add_u32_e32 v10, 0x80, v10
	s_mov_b64 s[24:25], -1
	s_branch .LBB46_504
.LBB46_396:
	s_mov_b64 s[24:25], 0
                                        ; implicit-def: $vgpr10
	s_branch .LBB46_504
.LBB46_397:
	s_mov_b64 s[18:19], -1
                                        ; implicit-def: $vgpr0
.LBB46_398:
	s_mov_b64 s[20:21], 0
.LBB46_399:
	s_and_b64 vcc, exec, s[20:21]
	s_cbranch_vccz .LBB46_403
; %bb.400:
	s_cmp_eq_u32 s24, 29
	s_cbranch_scc0 .LBB46_402
; %bb.401:
	global_load_dwordx2 v[0:1], v[2:3], off
	s_mov_b64 s[0:1], -1
	s_mov_b64 s[18:19], 0
	s_branch .LBB46_403
.LBB46_402:
	s_mov_b64 s[18:19], -1
                                        ; implicit-def: $vgpr0
.LBB46_403:
	s_mov_b64 s[20:21], 0
.LBB46_404:
	s_and_b64 vcc, exec, s[20:21]
	s_cbranch_vccz .LBB46_420
; %bb.405:
	s_cmp_lt_i32 s24, 27
	s_cbranch_scc1 .LBB46_408
; %bb.406:
	s_cmp_gt_i32 s24, 27
	s_cbranch_scc0 .LBB46_409
; %bb.407:
	global_load_dword v0, v[2:3], off
	s_mov_b64 s[0:1], 0
	s_branch .LBB46_410
.LBB46_408:
	s_mov_b64 s[0:1], -1
                                        ; implicit-def: $vgpr0
	s_branch .LBB46_413
.LBB46_409:
	s_mov_b64 s[0:1], -1
                                        ; implicit-def: $vgpr0
.LBB46_410:
	s_andn2_b64 vcc, exec, s[0:1]
	s_cbranch_vccnz .LBB46_412
; %bb.411:
	global_load_ushort v0, v[2:3], off
.LBB46_412:
	s_mov_b64 s[0:1], 0
.LBB46_413:
	s_andn2_b64 vcc, exec, s[0:1]
	s_cbranch_vccnz .LBB46_419
; %bb.414:
	global_load_ubyte v1, v[2:3], off
	s_movk_i32 s0, 0x7f
	s_mov_b64 s[20:21], 0
	s_waitcnt vmcnt(0)
	v_cmp_lt_i16_e32 vcc, s0, v1
	s_and_saveexec_b64 s[0:1], vcc
	s_xor_b64 s[0:1], exec, s[0:1]
	s_cbranch_execz .LBB46_431
; %bb.415:
	s_movk_i32 s20, 0x80
	v_cmp_ne_u16_e32 vcc, s20, v1
	s_and_b64 s[20:21], vcc, exec
	s_andn2_saveexec_b64 s[0:1], s[0:1]
	s_cbranch_execnz .LBB46_432
.LBB46_416:
	s_or_b64 exec, exec, s[0:1]
	v_mov_b32_e32 v0, 0
	s_and_saveexec_b64 s[0:1], s[20:21]
	s_cbranch_execz .LBB46_418
.LBB46_417:
	v_lshlrev_b32_e32 v0, 24, v1
	v_and_b32_e32 v1, 0xffff, v1
	v_and_b32_e32 v4, 7, v1
	v_ffbh_u32_e32 v6, v4
	v_min_u32_e32 v6, 32, v6
	v_subrev_u32_e32 v7, 28, v6
	v_bfe_u32 v5, v1, 3, 4
	v_lshlrev_b32_e32 v1, v7, v1
	v_sub_u32_e32 v6, 29, v6
	v_and_b32_e32 v1, 7, v1
	v_cmp_eq_u32_e32 vcc, 0, v5
	v_and_b32_e32 v0, 0x80000000, v0
	s_nop 0
	v_cndmask_b32_e32 v5, v5, v6, vcc
	v_cndmask_b32_e32 v1, v4, v1, vcc
	v_mov_b32_e32 v4, 0x3b800000
	v_lshlrev_b32_e32 v1, 20, v1
	v_lshl_add_u32 v4, v5, 23, v4
	v_or3_b32 v0, v0, v4, v1
	v_cvt_i32_f32_e32 v0, v0
.LBB46_418:
	s_or_b64 exec, exec, s[0:1]
.LBB46_419:
	s_mov_b64 s[0:1], -1
.LBB46_420:
	s_mov_b64 s[20:21], 0
.LBB46_421:
	s_and_b64 vcc, exec, s[20:21]
	s_cbranch_vccz .LBB46_454
; %bb.422:
	s_cmp_gt_i32 s24, 22
	s_cbranch_scc0 .LBB46_430
; %bb.423:
	s_cmp_lt_i32 s24, 24
	s_cbranch_scc1 .LBB46_433
; %bb.424:
	s_cmp_gt_i32 s24, 24
	s_cbranch_scc0 .LBB46_434
; %bb.425:
	global_load_ubyte v1, v[2:3], off
	s_movk_i32 s0, 0x7f
	s_mov_b64 s[20:21], 0
	s_waitcnt vmcnt(0)
	v_cmp_lt_i16_e32 vcc, s0, v1
	s_and_saveexec_b64 s[0:1], vcc
	s_xor_b64 s[0:1], exec, s[0:1]
	s_cbranch_execz .LBB46_446
; %bb.426:
	s_movk_i32 s20, 0x80
	v_cmp_ne_u16_e32 vcc, s20, v1
	s_and_b64 s[20:21], vcc, exec
	s_andn2_saveexec_b64 s[0:1], s[0:1]
	s_cbranch_execnz .LBB46_447
.LBB46_427:
	s_or_b64 exec, exec, s[0:1]
	v_mov_b32_e32 v0, 0
	s_and_saveexec_b64 s[0:1], s[20:21]
	s_cbranch_execz .LBB46_429
.LBB46_428:
	v_lshlrev_b32_e32 v0, 24, v1
	v_and_b32_e32 v1, 0xffff, v1
	v_and_b32_e32 v4, 3, v1
	v_ffbh_u32_e32 v6, v4
	v_min_u32_e32 v6, 32, v6
	v_subrev_u32_e32 v7, 29, v6
	v_bfe_u32 v5, v1, 2, 5
	v_lshlrev_b32_e32 v1, v7, v1
	v_sub_u32_e32 v6, 30, v6
	v_and_b32_e32 v1, 3, v1
	v_cmp_eq_u32_e32 vcc, 0, v5
	v_and_b32_e32 v0, 0x80000000, v0
	s_nop 0
	v_cndmask_b32_e32 v5, v5, v6, vcc
	v_cndmask_b32_e32 v1, v4, v1, vcc
	v_mov_b32_e32 v4, 0x37800000
	v_lshlrev_b32_e32 v1, 21, v1
	v_lshl_add_u32 v4, v5, 23, v4
	v_or3_b32 v0, v0, v4, v1
	v_cvt_i32_f32_e32 v0, v0
.LBB46_429:
	s_or_b64 exec, exec, s[0:1]
	s_mov_b64 s[0:1], 0
	s_branch .LBB46_435
.LBB46_430:
	s_mov_b64 s[20:21], -1
                                        ; implicit-def: $vgpr0
	s_branch .LBB46_441
.LBB46_431:
	s_andn2_saveexec_b64 s[0:1], s[0:1]
	s_cbranch_execz .LBB46_416
.LBB46_432:
	v_cmp_ne_u16_e32 vcc, 0, v1
	s_andn2_b64 s[20:21], s[20:21], exec
	s_and_b64 s[26:27], vcc, exec
	s_or_b64 s[20:21], s[20:21], s[26:27]
	s_or_b64 exec, exec, s[0:1]
	v_mov_b32_e32 v0, 0
	s_and_saveexec_b64 s[0:1], s[20:21]
	s_cbranch_execnz .LBB46_417
	s_branch .LBB46_418
.LBB46_433:
	s_mov_b64 s[0:1], -1
                                        ; implicit-def: $vgpr0
	s_branch .LBB46_438
.LBB46_434:
	s_mov_b64 s[0:1], -1
                                        ; implicit-def: $vgpr0
.LBB46_435:
	s_and_b64 vcc, exec, s[0:1]
	s_cbranch_vccz .LBB46_437
; %bb.436:
	global_load_ubyte v0, v[2:3], off
	s_mov_b32 s0, 0x7f800000
	s_waitcnt vmcnt(0)
	v_lshlrev_b32_e32 v0, 24, v0
	v_and_b32_e32 v1, 0x7f000000, v0
	v_ffbh_u32_e32 v4, v1
	v_min_u32_e32 v4, 32, v4
	v_sub_u32_e64 v4, v4, 4 clamp
	v_lshlrev_b32_e32 v6, v4, v1
	v_lshlrev_b32_e32 v4, 23, v4
	v_lshrrev_b32_e32 v6, 4, v6
	v_add_u32_e32 v5, 0x1000000, v1
	v_sub_u32_e32 v4, v6, v4
	v_ashrrev_i32_e32 v5, 8, v5
	v_add_u32_e32 v4, 0x3c000000, v4
	v_and_or_b32 v4, v5, s0, v4
	v_cmp_ne_u32_e32 vcc, 0, v1
	s_brev_b32 s0, 1
	s_nop 0
	v_cndmask_b32_e32 v1, 0, v4, vcc
	v_and_or_b32 v0, v0, s0, v1
	v_cvt_i32_f32_e32 v0, v0
.LBB46_437:
	s_mov_b64 s[0:1], 0
.LBB46_438:
	s_andn2_b64 vcc, exec, s[0:1]
	s_cbranch_vccnz .LBB46_440
; %bb.439:
	global_load_ubyte v0, v[2:3], off
	s_movk_i32 s0, 0x7f00
	s_brev_b32 s1, 16
	s_waitcnt vmcnt(0)
	v_lshlrev_b16_e32 v1, 8, v0
	v_lshlrev_b32_e32 v0, 25, v0
	v_lshrrev_b32_e32 v4, 4, v0
	v_and_or_b32 v5, v1, s0, 0.5
	v_or_b32_e32 v4, 0x70000000, v4
	v_add_f32_e32 v5, -0.5, v5
	v_mul_f32_e32 v4, 0x7800000, v4
	v_cmp_gt_u32_e32 vcc, s1, v0
	v_bfe_i32 v1, v1, 0, 16
	s_brev_b32 s0, 1
	v_cndmask_b32_e32 v0, v4, v5, vcc
	v_and_or_b32 v0, v1, s0, v0
	v_cvt_i32_f32_e32 v0, v0
.LBB46_440:
	s_mov_b64 s[20:21], 0
	s_mov_b64 s[0:1], -1
.LBB46_441:
	s_andn2_b64 vcc, exec, s[20:21]
	s_cbranch_vccnz .LBB46_454
; %bb.442:
	s_cmp_gt_i32 s24, 14
	s_cbranch_scc0 .LBB46_445
; %bb.443:
	s_cmp_eq_u32 s24, 15
	s_cbranch_scc0 .LBB46_448
; %bb.444:
	global_load_ushort v0, v[2:3], off
	s_mov_b64 s[0:1], -1
	s_mov_b64 s[18:19], 0
	s_waitcnt vmcnt(0)
	v_lshlrev_b32_e32 v0, 16, v0
	v_cvt_i32_f32_e32 v0, v0
	s_branch .LBB46_449
.LBB46_445:
	s_mov_b64 s[20:21], -1
                                        ; implicit-def: $vgpr0
	s_branch .LBB46_450
.LBB46_446:
	s_andn2_saveexec_b64 s[0:1], s[0:1]
	s_cbranch_execz .LBB46_427
.LBB46_447:
	v_cmp_ne_u16_e32 vcc, 0, v1
	s_andn2_b64 s[20:21], s[20:21], exec
	s_and_b64 s[26:27], vcc, exec
	s_or_b64 s[20:21], s[20:21], s[26:27]
	s_or_b64 exec, exec, s[0:1]
	v_mov_b32_e32 v0, 0
	s_and_saveexec_b64 s[0:1], s[20:21]
	s_cbranch_execnz .LBB46_428
	s_branch .LBB46_429
.LBB46_448:
	s_mov_b64 s[18:19], -1
                                        ; implicit-def: $vgpr0
.LBB46_449:
	s_mov_b64 s[20:21], 0
.LBB46_450:
	s_and_b64 vcc, exec, s[20:21]
	s_cbranch_vccz .LBB46_454
; %bb.451:
	s_cmp_eq_u32 s24, 11
	s_cbranch_scc0 .LBB46_453
; %bb.452:
	global_load_ubyte v0, v[2:3], off
	s_mov_b64 s[0:1], -1
	s_mov_b64 s[18:19], 0
	s_waitcnt vmcnt(0)
	v_cmp_ne_u16_e32 vcc, 0, v0
	s_nop 1
	v_cndmask_b32_e64 v0, 0, 1, vcc
	s_branch .LBB46_454
.LBB46_453:
	s_mov_b64 s[18:19], -1
                                        ; implicit-def: $vgpr0
.LBB46_454:
	s_branch .LBB46_261
.LBB46_455:
	s_cmp_lt_i32 s24, 5
	s_cbranch_scc1 .LBB46_460
; %bb.456:
	s_cmp_lt_i32 s24, 8
	s_cbranch_scc1 .LBB46_461
; %bb.457:
	;; [unrolled: 3-line block ×3, first 2 shown]
	s_cmp_gt_i32 s24, 9
	s_cbranch_scc0 .LBB46_463
; %bb.459:
	global_load_dwordx2 v[0:1], v[2:3], off
	s_mov_b64 s[0:1], 0
	s_waitcnt vmcnt(0)
	v_cvt_i32_f64_e32 v0, v[0:1]
	s_branch .LBB46_464
.LBB46_460:
	s_mov_b64 s[0:1], -1
                                        ; implicit-def: $vgpr0
	s_branch .LBB46_482
.LBB46_461:
	s_mov_b64 s[0:1], -1
                                        ; implicit-def: $vgpr0
	s_branch .LBB46_470
.LBB46_462:
	s_mov_b64 s[0:1], -1
                                        ; implicit-def: $vgpr0
	s_branch .LBB46_467
.LBB46_463:
	s_mov_b64 s[0:1], -1
                                        ; implicit-def: $vgpr0
.LBB46_464:
	s_andn2_b64 vcc, exec, s[0:1]
	s_cbranch_vccnz .LBB46_466
; %bb.465:
	global_load_dword v0, v[2:3], off
	s_waitcnt vmcnt(0)
	v_cvt_i32_f32_e32 v0, v0
.LBB46_466:
	s_mov_b64 s[0:1], 0
.LBB46_467:
	s_andn2_b64 vcc, exec, s[0:1]
	s_cbranch_vccnz .LBB46_469
; %bb.468:
	global_load_dword v0, v[2:3], off
	s_waitcnt vmcnt(0)
	v_cvt_i16_f16_e32 v0, v0
.LBB46_469:
	s_mov_b64 s[0:1], 0
.LBB46_470:
	s_andn2_b64 vcc, exec, s[0:1]
	s_cbranch_vccnz .LBB46_481
; %bb.471:
	s_cmp_lt_i32 s24, 6
	s_cbranch_scc1 .LBB46_474
; %bb.472:
	s_cmp_gt_i32 s24, 6
	s_cbranch_scc0 .LBB46_475
; %bb.473:
	global_load_dwordx2 v[0:1], v[2:3], off
	s_mov_b64 s[0:1], 0
	s_waitcnt vmcnt(0)
	v_cvt_i32_f64_e32 v0, v[0:1]
	s_branch .LBB46_476
.LBB46_474:
	s_mov_b64 s[0:1], -1
                                        ; implicit-def: $vgpr0
	s_branch .LBB46_479
.LBB46_475:
	s_mov_b64 s[0:1], -1
                                        ; implicit-def: $vgpr0
.LBB46_476:
	s_andn2_b64 vcc, exec, s[0:1]
	s_cbranch_vccnz .LBB46_478
; %bb.477:
	global_load_dword v0, v[2:3], off
	s_waitcnt vmcnt(0)
	v_cvt_i32_f32_e32 v0, v0
.LBB46_478:
	s_mov_b64 s[0:1], 0
.LBB46_479:
	s_andn2_b64 vcc, exec, s[0:1]
	s_cbranch_vccnz .LBB46_481
; %bb.480:
	global_load_ushort v0, v[2:3], off
	s_waitcnt vmcnt(0)
	v_cvt_i16_f16_e32 v0, v0
.LBB46_481:
	s_mov_b64 s[0:1], 0
.LBB46_482:
	s_andn2_b64 vcc, exec, s[0:1]
	s_cbranch_vccnz .LBB46_502
; %bb.483:
	s_cmp_lt_i32 s24, 2
	s_cbranch_scc1 .LBB46_487
; %bb.484:
	s_cmp_lt_i32 s24, 3
	s_cbranch_scc1 .LBB46_488
; %bb.485:
	s_cmp_gt_i32 s24, 3
	s_cbranch_scc0 .LBB46_489
; %bb.486:
	global_load_dwordx2 v[0:1], v[2:3], off
	s_mov_b64 s[0:1], 0
	s_branch .LBB46_490
.LBB46_487:
	s_mov_b64 s[0:1], -1
                                        ; implicit-def: $vgpr0
	s_branch .LBB46_496
.LBB46_488:
	s_mov_b64 s[0:1], -1
                                        ; implicit-def: $vgpr0
	s_branch .LBB46_493
.LBB46_489:
	s_mov_b64 s[0:1], -1
                                        ; implicit-def: $vgpr0
.LBB46_490:
	s_andn2_b64 vcc, exec, s[0:1]
	s_cbranch_vccnz .LBB46_492
; %bb.491:
	global_load_dword v0, v[2:3], off
.LBB46_492:
	s_mov_b64 s[0:1], 0
.LBB46_493:
	s_andn2_b64 vcc, exec, s[0:1]
	s_cbranch_vccnz .LBB46_495
; %bb.494:
	global_load_ushort v0, v[2:3], off
.LBB46_495:
	s_mov_b64 s[0:1], 0
.LBB46_496:
	s_andn2_b64 vcc, exec, s[0:1]
	s_cbranch_vccnz .LBB46_502
; %bb.497:
	s_cmp_gt_i32 s24, 0
	s_cbranch_scc0 .LBB46_499
; %bb.498:
	global_load_sbyte v0, v[2:3], off
	s_mov_b64 s[0:1], 0
	s_branch .LBB46_500
.LBB46_499:
	s_mov_b64 s[0:1], -1
                                        ; implicit-def: $vgpr0
.LBB46_500:
	s_andn2_b64 vcc, exec, s[0:1]
	s_cbranch_vccnz .LBB46_502
; %bb.501:
	global_load_ubyte v0, v[2:3], off
.LBB46_502:
	s_branch .LBB46_262
.LBB46_503:
	s_mov_b64 s[24:25], 0
                                        ; implicit-def: $vgpr10
	s_mov_b64 s[0:1], s[12:13]
.LBB46_504:
	s_andn2_b64 s[20:21], s[12:13], exec
	s_and_b64 s[0:1], s[0:1], exec
	s_or_b64 s[20:21], s[20:21], s[0:1]
	s_andn2_b64 s[0:1], s[14:15], exec
	s_and_b64 s[18:19], s[18:19], exec
	s_or_b64 s[18:19], s[0:1], s[18:19]
	s_orn2_b64 s[0:1], s[24:25], exec
.LBB46_505:
	s_or_b64 exec, exec, s[22:23]
	s_mov_b64 s[24:25], 0
	s_mov_b64 s[26:27], 0
	;; [unrolled: 1-line block ×3, first 2 shown]
                                        ; implicit-def: $vgpr2_vgpr3
                                        ; implicit-def: $vgpr0
	s_and_saveexec_b64 s[22:23], s[0:1]
	s_cbranch_execz .LBB46_842
; %bb.506:
	v_cmp_gt_i32_e32 vcc, s38, v10
	s_mov_b64 s[34:35], -1
	s_mov_b64 s[0:1], s[18:19]
	s_mov_b64 s[28:29], s[20:21]
	s_and_saveexec_b64 s[24:25], vcc
	s_cbranch_execz .LBB46_760
; %bb.507:
	s_waitcnt vmcnt(0)
	v_mul_lo_u32 v0, v10, s9
	v_ashrrev_i32_e32 v1, 31, v0
	s_and_b32 s30, 0xffff, s42
	s_cmp_lt_i32 s30, 11
	v_lshl_add_u64 v[2:3], s[6:7], 0, v[0:1]
	s_cbranch_scc1 .LBB46_514
; %bb.508:
	s_cmp_gt_i32 s30, 25
	s_cbranch_scc0 .LBB46_515
; %bb.509:
	s_cmp_gt_i32 s30, 28
	s_cbranch_scc0 .LBB46_516
; %bb.510:
	s_cmp_gt_i32 s30, 43
	s_cbranch_scc0 .LBB46_517
; %bb.511:
	s_cmp_gt_i32 s30, 45
	s_cbranch_scc0 .LBB46_520
; %bb.512:
	s_cmp_eq_u32 s30, 46
	s_mov_b64 s[28:29], 0
	s_cbranch_scc0 .LBB46_523
; %bb.513:
	global_load_dword v0, v[2:3], off
	s_mov_b64 s[0:1], -1
	s_waitcnt vmcnt(0)
	v_lshlrev_b32_e32 v0, 16, v0
	v_cvt_i32_f32_e32 v0, v0
	s_branch .LBB46_524
.LBB46_514:
	s_mov_b64 s[28:29], -1
	s_mov_b64 s[0:1], 0
                                        ; implicit-def: $vgpr0
	s_mov_b64 s[26:27], s[18:19]
	s_branch .LBB46_585
.LBB46_515:
	s_mov_b64 s[28:29], -1
	s_mov_b64 s[0:1], 0
	s_mov_b64 s[26:27], s[18:19]
                                        ; implicit-def: $vgpr0
	s_branch .LBB46_551
.LBB46_516:
	s_mov_b64 s[28:29], -1
	s_mov_b64 s[0:1], 0
	s_mov_b64 s[26:27], s[18:19]
                                        ; implicit-def: $vgpr0
	s_branch .LBB46_534
.LBB46_517:
	s_mov_b64 s[28:29], -1
	s_mov_b64 s[0:1], 0
	s_mov_b64 s[26:27], s[18:19]
                                        ; implicit-def: $vgpr0
	s_branch .LBB46_529
.LBB46_518:
	s_andn2_saveexec_b64 s[26:27], s[26:27]
	s_cbranch_execz .LBB46_307
.LBB46_519:
	s_mov_b32 s30, 0x46000000
	v_add_f32_e64 v5, |v1|, s30
	v_and_b32_e32 v5, 0xff, v5
	v_cmp_ne_u32_e32 vcc, 0, v5
	s_andn2_b64 s[24:25], s[24:25], exec
	s_and_b64 s[30:31], vcc, exec
	s_or_b64 s[24:25], s[24:25], s[30:31]
	s_or_b64 exec, exec, s[26:27]
	v_mov_b32_e32 v6, 0
	s_and_saveexec_b64 s[26:27], s[24:25]
	s_cbranch_execnz .LBB46_308
	s_branch .LBB46_309
.LBB46_520:
	s_mov_b64 s[28:29], -1
	s_mov_b64 s[0:1], 0
	s_mov_b64 s[26:27], s[18:19]
                                        ; implicit-def: $vgpr0
	s_branch .LBB46_524
.LBB46_521:
	s_andn2_saveexec_b64 s[26:27], s[26:27]
	s_cbranch_execz .LBB46_320
.LBB46_522:
	s_mov_b32 s30, 0x42800000
	v_add_f32_e64 v5, |v1|, s30
	v_and_b32_e32 v5, 0xff, v5
	v_cmp_ne_u32_e32 vcc, 0, v5
	s_andn2_b64 s[24:25], s[24:25], exec
	s_and_b64 s[30:31], vcc, exec
	s_or_b64 s[24:25], s[24:25], s[30:31]
	s_or_b64 exec, exec, s[26:27]
	v_mov_b32_e32 v6, 0
	s_and_saveexec_b64 s[26:27], s[24:25]
	s_cbranch_execnz .LBB46_321
	s_branch .LBB46_322
.LBB46_523:
	s_mov_b64 s[26:27], -1
                                        ; implicit-def: $vgpr0
	s_mov_b64 s[0:1], 0
.LBB46_524:
	s_and_b64 vcc, exec, s[28:29]
	s_cbranch_vccz .LBB46_528
; %bb.525:
	s_cmp_eq_u32 s30, 44
	s_cbranch_scc0 .LBB46_527
; %bb.526:
	global_load_ubyte v0, v[2:3], off
	s_mov_b64 s[0:1], -1
	s_mov_b64 s[26:27], 0
	s_waitcnt vmcnt(0)
	v_lshlrev_b32_e32 v1, 23, v0
	v_cvt_i32_f32_e32 v1, v1
	v_cmp_ne_u32_e32 vcc, 0, v0
	s_nop 1
	v_cndmask_b32_e32 v0, 0, v1, vcc
	s_branch .LBB46_528
.LBB46_527:
	s_mov_b64 s[26:27], -1
                                        ; implicit-def: $vgpr0
.LBB46_528:
	s_mov_b64 s[28:29], 0
.LBB46_529:
	s_and_b64 vcc, exec, s[28:29]
	s_cbranch_vccz .LBB46_533
; %bb.530:
	s_cmp_eq_u32 s30, 29
	s_cbranch_scc0 .LBB46_532
; %bb.531:
	global_load_dwordx2 v[0:1], v[2:3], off
	s_mov_b64 s[0:1], -1
	s_mov_b64 s[26:27], 0
	s_branch .LBB46_533
.LBB46_532:
	s_mov_b64 s[26:27], -1
                                        ; implicit-def: $vgpr0
.LBB46_533:
	s_mov_b64 s[28:29], 0
.LBB46_534:
	s_and_b64 vcc, exec, s[28:29]
	s_cbranch_vccz .LBB46_550
; %bb.535:
	s_cmp_lt_i32 s30, 27
	s_cbranch_scc1 .LBB46_538
; %bb.536:
	s_cmp_gt_i32 s30, 27
	s_cbranch_scc0 .LBB46_539
; %bb.537:
	global_load_dword v0, v[2:3], off
	s_mov_b64 s[0:1], 0
	s_branch .LBB46_540
.LBB46_538:
	s_mov_b64 s[0:1], -1
                                        ; implicit-def: $vgpr0
	s_branch .LBB46_543
.LBB46_539:
	s_mov_b64 s[0:1], -1
                                        ; implicit-def: $vgpr0
.LBB46_540:
	s_andn2_b64 vcc, exec, s[0:1]
	s_cbranch_vccnz .LBB46_542
; %bb.541:
	global_load_ushort v0, v[2:3], off
.LBB46_542:
	s_mov_b64 s[0:1], 0
.LBB46_543:
	s_andn2_b64 vcc, exec, s[0:1]
	s_cbranch_vccnz .LBB46_549
; %bb.544:
	global_load_ubyte v1, v[2:3], off
	s_movk_i32 s0, 0x7f
	s_mov_b64 s[28:29], 0
	s_waitcnt vmcnt(0)
	v_cmp_lt_i16_e32 vcc, s0, v1
	s_and_saveexec_b64 s[0:1], vcc
	s_xor_b64 s[0:1], exec, s[0:1]
	s_cbranch_execz .LBB46_561
; %bb.545:
	s_movk_i32 s28, 0x80
	v_cmp_ne_u16_e32 vcc, s28, v1
	s_and_b64 s[28:29], vcc, exec
	s_andn2_saveexec_b64 s[0:1], s[0:1]
	s_cbranch_execnz .LBB46_562
.LBB46_546:
	s_or_b64 exec, exec, s[0:1]
	v_mov_b32_e32 v0, 0
	s_and_saveexec_b64 s[0:1], s[28:29]
	s_cbranch_execz .LBB46_548
.LBB46_547:
	v_lshlrev_b32_e32 v0, 24, v1
	v_and_b32_e32 v1, 0xffff, v1
	v_and_b32_e32 v4, 7, v1
	v_ffbh_u32_e32 v6, v4
	v_min_u32_e32 v6, 32, v6
	v_subrev_u32_e32 v7, 28, v6
	v_bfe_u32 v5, v1, 3, 4
	v_lshlrev_b32_e32 v1, v7, v1
	v_sub_u32_e32 v6, 29, v6
	v_and_b32_e32 v1, 7, v1
	v_cmp_eq_u32_e32 vcc, 0, v5
	v_and_b32_e32 v0, 0x80000000, v0
	s_nop 0
	v_cndmask_b32_e32 v5, v5, v6, vcc
	v_cndmask_b32_e32 v1, v4, v1, vcc
	v_mov_b32_e32 v4, 0x3b800000
	v_lshlrev_b32_e32 v1, 20, v1
	v_lshl_add_u32 v4, v5, 23, v4
	v_or3_b32 v0, v0, v4, v1
	v_cvt_i32_f32_e32 v0, v0
.LBB46_548:
	s_or_b64 exec, exec, s[0:1]
.LBB46_549:
	s_mov_b64 s[0:1], -1
.LBB46_550:
	s_mov_b64 s[28:29], 0
.LBB46_551:
	s_and_b64 vcc, exec, s[28:29]
	s_cbranch_vccz .LBB46_584
; %bb.552:
	s_cmp_gt_i32 s30, 22
	s_cbranch_scc0 .LBB46_560
; %bb.553:
	s_cmp_lt_i32 s30, 24
	s_cbranch_scc1 .LBB46_563
; %bb.554:
	s_cmp_gt_i32 s30, 24
	s_cbranch_scc0 .LBB46_564
; %bb.555:
	global_load_ubyte v1, v[2:3], off
	s_movk_i32 s0, 0x7f
	s_mov_b64 s[28:29], 0
	s_waitcnt vmcnt(0)
	v_cmp_lt_i16_e32 vcc, s0, v1
	s_and_saveexec_b64 s[0:1], vcc
	s_xor_b64 s[0:1], exec, s[0:1]
	s_cbranch_execz .LBB46_576
; %bb.556:
	s_movk_i32 s28, 0x80
	v_cmp_ne_u16_e32 vcc, s28, v1
	s_and_b64 s[28:29], vcc, exec
	s_andn2_saveexec_b64 s[0:1], s[0:1]
	s_cbranch_execnz .LBB46_577
.LBB46_557:
	s_or_b64 exec, exec, s[0:1]
	v_mov_b32_e32 v0, 0
	s_and_saveexec_b64 s[0:1], s[28:29]
	s_cbranch_execz .LBB46_559
.LBB46_558:
	v_lshlrev_b32_e32 v0, 24, v1
	v_and_b32_e32 v1, 0xffff, v1
	v_and_b32_e32 v4, 3, v1
	v_ffbh_u32_e32 v6, v4
	v_min_u32_e32 v6, 32, v6
	v_subrev_u32_e32 v7, 29, v6
	v_bfe_u32 v5, v1, 2, 5
	v_lshlrev_b32_e32 v1, v7, v1
	v_sub_u32_e32 v6, 30, v6
	v_and_b32_e32 v1, 3, v1
	v_cmp_eq_u32_e32 vcc, 0, v5
	v_and_b32_e32 v0, 0x80000000, v0
	s_nop 0
	v_cndmask_b32_e32 v5, v5, v6, vcc
	v_cndmask_b32_e32 v1, v4, v1, vcc
	v_mov_b32_e32 v4, 0x37800000
	v_lshlrev_b32_e32 v1, 21, v1
	v_lshl_add_u32 v4, v5, 23, v4
	v_or3_b32 v0, v0, v4, v1
	v_cvt_i32_f32_e32 v0, v0
.LBB46_559:
	s_or_b64 exec, exec, s[0:1]
	s_mov_b64 s[0:1], 0
	s_branch .LBB46_565
.LBB46_560:
	s_mov_b64 s[28:29], -1
                                        ; implicit-def: $vgpr0
	s_branch .LBB46_571
.LBB46_561:
	s_andn2_saveexec_b64 s[0:1], s[0:1]
	s_cbranch_execz .LBB46_546
.LBB46_562:
	v_cmp_ne_u16_e32 vcc, 0, v1
	s_andn2_b64 s[28:29], s[28:29], exec
	s_and_b64 s[34:35], vcc, exec
	s_or_b64 s[28:29], s[28:29], s[34:35]
	s_or_b64 exec, exec, s[0:1]
	v_mov_b32_e32 v0, 0
	s_and_saveexec_b64 s[0:1], s[28:29]
	s_cbranch_execnz .LBB46_547
	s_branch .LBB46_548
.LBB46_563:
	s_mov_b64 s[0:1], -1
                                        ; implicit-def: $vgpr0
	s_branch .LBB46_568
.LBB46_564:
	s_mov_b64 s[0:1], -1
                                        ; implicit-def: $vgpr0
.LBB46_565:
	s_and_b64 vcc, exec, s[0:1]
	s_cbranch_vccz .LBB46_567
; %bb.566:
	global_load_ubyte v0, v[2:3], off
	s_mov_b32 s0, 0x7f800000
	s_waitcnt vmcnt(0)
	v_lshlrev_b32_e32 v0, 24, v0
	v_and_b32_e32 v1, 0x7f000000, v0
	v_ffbh_u32_e32 v4, v1
	v_min_u32_e32 v4, 32, v4
	v_sub_u32_e64 v4, v4, 4 clamp
	v_lshlrev_b32_e32 v6, v4, v1
	v_lshlrev_b32_e32 v4, 23, v4
	v_lshrrev_b32_e32 v6, 4, v6
	v_add_u32_e32 v5, 0x1000000, v1
	v_sub_u32_e32 v4, v6, v4
	v_ashrrev_i32_e32 v5, 8, v5
	v_add_u32_e32 v4, 0x3c000000, v4
	v_and_or_b32 v4, v5, s0, v4
	v_cmp_ne_u32_e32 vcc, 0, v1
	s_brev_b32 s0, 1
	s_nop 0
	v_cndmask_b32_e32 v1, 0, v4, vcc
	v_and_or_b32 v0, v0, s0, v1
	v_cvt_i32_f32_e32 v0, v0
.LBB46_567:
	s_mov_b64 s[0:1], 0
.LBB46_568:
	s_andn2_b64 vcc, exec, s[0:1]
	s_cbranch_vccnz .LBB46_570
; %bb.569:
	global_load_ubyte v0, v[2:3], off
	s_movk_i32 s0, 0x7f00
	s_brev_b32 s1, 16
	s_waitcnt vmcnt(0)
	v_lshlrev_b16_e32 v1, 8, v0
	v_lshlrev_b32_e32 v0, 25, v0
	v_lshrrev_b32_e32 v4, 4, v0
	v_and_or_b32 v5, v1, s0, 0.5
	v_or_b32_e32 v4, 0x70000000, v4
	v_add_f32_e32 v5, -0.5, v5
	v_mul_f32_e32 v4, 0x7800000, v4
	v_cmp_gt_u32_e32 vcc, s1, v0
	v_bfe_i32 v1, v1, 0, 16
	s_brev_b32 s0, 1
	v_cndmask_b32_e32 v0, v4, v5, vcc
	v_and_or_b32 v0, v1, s0, v0
	v_cvt_i32_f32_e32 v0, v0
.LBB46_570:
	s_mov_b64 s[28:29], 0
	s_mov_b64 s[0:1], -1
.LBB46_571:
	s_andn2_b64 vcc, exec, s[28:29]
	s_cbranch_vccnz .LBB46_584
; %bb.572:
	s_cmp_gt_i32 s30, 14
	s_cbranch_scc0 .LBB46_575
; %bb.573:
	s_cmp_eq_u32 s30, 15
	s_cbranch_scc0 .LBB46_578
; %bb.574:
	global_load_ushort v0, v[2:3], off
	s_mov_b64 s[0:1], -1
	s_mov_b64 s[26:27], 0
	s_waitcnt vmcnt(0)
	v_lshlrev_b32_e32 v0, 16, v0
	v_cvt_i32_f32_e32 v0, v0
	s_branch .LBB46_579
.LBB46_575:
	s_mov_b64 s[28:29], -1
                                        ; implicit-def: $vgpr0
	s_branch .LBB46_580
.LBB46_576:
	s_andn2_saveexec_b64 s[0:1], s[0:1]
	s_cbranch_execz .LBB46_557
.LBB46_577:
	v_cmp_ne_u16_e32 vcc, 0, v1
	s_andn2_b64 s[28:29], s[28:29], exec
	s_and_b64 s[34:35], vcc, exec
	s_or_b64 s[28:29], s[28:29], s[34:35]
	s_or_b64 exec, exec, s[0:1]
	v_mov_b32_e32 v0, 0
	s_and_saveexec_b64 s[0:1], s[28:29]
	s_cbranch_execnz .LBB46_558
	s_branch .LBB46_559
.LBB46_578:
	s_mov_b64 s[26:27], -1
                                        ; implicit-def: $vgpr0
.LBB46_579:
	s_mov_b64 s[28:29], 0
.LBB46_580:
	s_and_b64 vcc, exec, s[28:29]
	s_cbranch_vccz .LBB46_584
; %bb.581:
	s_cmp_eq_u32 s30, 11
	s_cbranch_scc0 .LBB46_583
; %bb.582:
	global_load_ubyte v0, v[2:3], off
	s_mov_b64 s[0:1], -1
	s_mov_b64 s[26:27], 0
	s_waitcnt vmcnt(0)
	v_cmp_ne_u16_e32 vcc, 0, v0
	s_nop 1
	v_cndmask_b32_e64 v0, 0, 1, vcc
	s_branch .LBB46_584
.LBB46_583:
	s_mov_b64 s[26:27], -1
                                        ; implicit-def: $vgpr0
.LBB46_584:
	s_mov_b64 s[28:29], 0
.LBB46_585:
	s_and_b64 vcc, exec, s[28:29]
	s_cbranch_vccz .LBB46_634
; %bb.586:
	s_cmp_lt_i32 s30, 5
	s_cbranch_scc1 .LBB46_591
; %bb.587:
	s_cmp_lt_i32 s30, 8
	s_cbranch_scc1 .LBB46_592
	;; [unrolled: 3-line block ×3, first 2 shown]
; %bb.589:
	s_cmp_gt_i32 s30, 9
	s_cbranch_scc0 .LBB46_594
; %bb.590:
	global_load_dwordx2 v[0:1], v[2:3], off
	s_mov_b64 s[0:1], 0
	s_waitcnt vmcnt(0)
	v_cvt_i32_f64_e32 v0, v[0:1]
	s_branch .LBB46_595
.LBB46_591:
	s_mov_b64 s[0:1], -1
                                        ; implicit-def: $vgpr0
	s_branch .LBB46_613
.LBB46_592:
	s_mov_b64 s[0:1], -1
                                        ; implicit-def: $vgpr0
	s_branch .LBB46_601
.LBB46_593:
	s_mov_b64 s[0:1], -1
                                        ; implicit-def: $vgpr0
	s_branch .LBB46_598
.LBB46_594:
	s_mov_b64 s[0:1], -1
                                        ; implicit-def: $vgpr0
.LBB46_595:
	s_andn2_b64 vcc, exec, s[0:1]
	s_cbranch_vccnz .LBB46_597
; %bb.596:
	global_load_dword v0, v[2:3], off
	s_waitcnt vmcnt(0)
	v_cvt_i32_f32_e32 v0, v0
.LBB46_597:
	s_mov_b64 s[0:1], 0
.LBB46_598:
	s_andn2_b64 vcc, exec, s[0:1]
	s_cbranch_vccnz .LBB46_600
; %bb.599:
	global_load_dword v0, v[2:3], off
	s_waitcnt vmcnt(0)
	v_cvt_i16_f16_e32 v0, v0
.LBB46_600:
	s_mov_b64 s[0:1], 0
.LBB46_601:
	s_andn2_b64 vcc, exec, s[0:1]
	s_cbranch_vccnz .LBB46_612
; %bb.602:
	s_cmp_lt_i32 s30, 6
	s_cbranch_scc1 .LBB46_605
; %bb.603:
	s_cmp_gt_i32 s30, 6
	s_cbranch_scc0 .LBB46_606
; %bb.604:
	global_load_dwordx2 v[0:1], v[2:3], off
	s_mov_b64 s[0:1], 0
	s_waitcnt vmcnt(0)
	v_cvt_i32_f64_e32 v0, v[0:1]
	s_branch .LBB46_607
.LBB46_605:
	s_mov_b64 s[0:1], -1
                                        ; implicit-def: $vgpr0
	s_branch .LBB46_610
.LBB46_606:
	s_mov_b64 s[0:1], -1
                                        ; implicit-def: $vgpr0
.LBB46_607:
	s_andn2_b64 vcc, exec, s[0:1]
	s_cbranch_vccnz .LBB46_609
; %bb.608:
	global_load_dword v0, v[2:3], off
	s_waitcnt vmcnt(0)
	v_cvt_i32_f32_e32 v0, v0
.LBB46_609:
	s_mov_b64 s[0:1], 0
.LBB46_610:
	s_andn2_b64 vcc, exec, s[0:1]
	s_cbranch_vccnz .LBB46_612
; %bb.611:
	global_load_ushort v0, v[2:3], off
	s_waitcnt vmcnt(0)
	v_cvt_i16_f16_e32 v0, v0
.LBB46_612:
	s_mov_b64 s[0:1], 0
.LBB46_613:
	s_andn2_b64 vcc, exec, s[0:1]
	s_cbranch_vccnz .LBB46_633
; %bb.614:
	s_cmp_lt_i32 s30, 2
	s_cbranch_scc1 .LBB46_618
; %bb.615:
	s_cmp_lt_i32 s30, 3
	s_cbranch_scc1 .LBB46_619
; %bb.616:
	s_cmp_gt_i32 s30, 3
	s_cbranch_scc0 .LBB46_620
; %bb.617:
	global_load_dwordx2 v[0:1], v[2:3], off
	s_mov_b64 s[0:1], 0
	s_branch .LBB46_621
.LBB46_618:
	s_mov_b64 s[0:1], -1
                                        ; implicit-def: $vgpr0
	s_branch .LBB46_627
.LBB46_619:
	s_mov_b64 s[0:1], -1
                                        ; implicit-def: $vgpr0
	s_branch .LBB46_624
.LBB46_620:
	s_mov_b64 s[0:1], -1
                                        ; implicit-def: $vgpr0
.LBB46_621:
	s_andn2_b64 vcc, exec, s[0:1]
	s_cbranch_vccnz .LBB46_623
; %bb.622:
	global_load_dword v0, v[2:3], off
.LBB46_623:
	s_mov_b64 s[0:1], 0
.LBB46_624:
	s_andn2_b64 vcc, exec, s[0:1]
	s_cbranch_vccnz .LBB46_626
; %bb.625:
	global_load_ushort v0, v[2:3], off
.LBB46_626:
	s_mov_b64 s[0:1], 0
.LBB46_627:
	s_andn2_b64 vcc, exec, s[0:1]
	s_cbranch_vccnz .LBB46_633
; %bb.628:
	s_cmp_gt_i32 s30, 0
	s_cbranch_scc0 .LBB46_630
; %bb.629:
	global_load_sbyte v0, v[2:3], off
	s_mov_b64 s[0:1], 0
	s_branch .LBB46_631
.LBB46_630:
	s_mov_b64 s[0:1], -1
                                        ; implicit-def: $vgpr0
.LBB46_631:
	s_andn2_b64 vcc, exec, s[0:1]
	s_cbranch_vccnz .LBB46_633
; %bb.632:
	global_load_ubyte v0, v[2:3], off
.LBB46_633:
	s_mov_b64 s[0:1], -1
.LBB46_634:
	s_andn2_b64 vcc, exec, s[0:1]
	s_cbranch_vccnz .LBB46_642
; %bb.635:
	v_mul_lo_u32 v2, v10, s8
	v_ashrrev_i32_e32 v3, 31, v2
	s_and_b32 s36, s33, 0xff
	s_waitcnt vmcnt(0)
	v_xor_b32_e32 v4, -1, v0
	s_cmp_lt_i32 s36, 11
	v_lshl_add_u64 v[2:3], s[4:5], 0, v[2:3]
	s_cbranch_scc1 .LBB46_643
; %bb.636:
	s_and_b32 s37, 0xffff, s36
	s_cmp_gt_i32 s37, 25
	s_cbranch_scc0 .LBB46_644
; %bb.637:
	s_cmp_gt_i32 s37, 28
	s_cbranch_scc0 .LBB46_645
; %bb.638:
	;; [unrolled: 3-line block ×4, first 2 shown]
	s_mov_b64 s[30:31], 0
	s_mov_b64 s[0:1], -1
	s_cmp_eq_u32 s37, 46
	s_mov_b64 s[28:29], 0
	s_cbranch_scc0 .LBB46_648
; %bb.641:
	v_cvt_f32_i32_sdwa v1, sext(v4) dst_sel:DWORD dst_unused:UNUSED_PAD src0_sel:WORD_0
	s_movk_i32 s0, 0x7fff
	s_mov_b64 s[28:29], -1
	v_bfe_u32 v5, v1, 16, 1
	v_add3_u32 v1, v1, v5, s0
	v_lshrrev_b32_e32 v1, 16, v1
	global_store_dword v[2:3], v1, off
	s_mov_b64 s[0:1], 0
	s_branch .LBB46_648
.LBB46_642:
	s_mov_b64 s[30:31], 0
                                        ; implicit-def: $vgpr10
	s_mov_b64 s[0:1], s[20:21]
	s_branch .LBB46_759
.LBB46_643:
	s_mov_b64 s[30:31], -1
	s_mov_b64 s[28:29], 0
	s_mov_b64 s[0:1], s[20:21]
	s_branch .LBB46_717
.LBB46_644:
	s_mov_b64 s[30:31], -1
	s_mov_b64 s[28:29], 0
	s_mov_b64 s[0:1], s[20:21]
	s_branch .LBB46_675
.LBB46_645:
	s_mov_b64 s[30:31], -1
	s_mov_b64 s[28:29], 0
	s_mov_b64 s[0:1], s[20:21]
	s_branch .LBB46_658
.LBB46_646:
	s_mov_b64 s[30:31], -1
	s_mov_b64 s[28:29], 0
	s_mov_b64 s[0:1], s[20:21]
	s_branch .LBB46_654
.LBB46_647:
	s_mov_b64 s[30:31], -1
	s_mov_b64 s[28:29], 0
	s_mov_b64 s[0:1], s[20:21]
.LBB46_648:
	s_and_b64 vcc, exec, s[30:31]
	s_cbranch_vccz .LBB46_653
; %bb.649:
	s_cmp_eq_u32 s37, 44
	s_mov_b64 s[0:1], -1
	s_cbranch_scc0 .LBB46_653
; %bb.650:
	v_cvt_f32_i32_sdwa v1, sext(v4) dst_sel:DWORD dst_unused:UNUSED_PAD src0_sel:WORD_0
	s_movk_i32 s0, 0xff
	v_mov_b32_e32 v6, 0xff
	v_bfe_u32 v5, v1, 23, 8
	v_cmp_ne_u32_e32 vcc, s0, v5
	s_and_saveexec_b64 s[28:29], vcc
; %bb.651:
	s_mov_b32 s0, 0x3fffff
	v_lshrrev_b32_e32 v6, 23, v1
	v_and_b32_e32 v7, 0x400000, v1
	v_and_or_b32 v1, v1, s0, v5
	v_cmp_ne_u32_e32 vcc, 0, v7
	v_cmp_ne_u32_e64 s[0:1], 0, v1
	s_and_b64 s[0:1], vcc, s[0:1]
	s_nop 0
	v_cndmask_b32_e64 v1, 0, 1, s[0:1]
	v_add_u32_e32 v6, v6, v1
; %bb.652:
	s_or_b64 exec, exec, s[28:29]
	s_mov_b64 s[28:29], -1
	s_mov_b64 s[0:1], 0
	global_store_byte v[2:3], v6, off
.LBB46_653:
	s_mov_b64 s[30:31], 0
.LBB46_654:
	s_and_b64 vcc, exec, s[30:31]
	s_cbranch_vccz .LBB46_657
; %bb.655:
	s_cmp_eq_u32 s37, 29
	s_mov_b64 s[0:1], -1
	s_cbranch_scc0 .LBB46_657
; %bb.656:
	v_bfe_i32 v6, v4, 0, 16
	v_ashrrev_i32_e32 v7, 31, v6
	global_store_dwordx2 v[2:3], v[6:7], off
	s_mov_b64 s[28:29], -1
	s_mov_b64 s[0:1], 0
.LBB46_657:
	s_mov_b64 s[30:31], 0
.LBB46_658:
	s_and_b64 vcc, exec, s[30:31]
	s_cbranch_vccz .LBB46_674
; %bb.659:
	s_cmp_lt_i32 s37, 27
	s_mov_b64 s[28:29], -1
	s_cbranch_scc1 .LBB46_665
; %bb.660:
	s_cmp_gt_i32 s37, 27
	s_cbranch_scc0 .LBB46_662
; %bb.661:
	v_bfe_i32 v1, v4, 0, 16
	s_mov_b64 s[28:29], 0
	global_store_dword v[2:3], v1, off
.LBB46_662:
	s_andn2_b64 vcc, exec, s[28:29]
	s_cbranch_vccnz .LBB46_664
; %bb.663:
	global_store_short v[2:3], v4, off
.LBB46_664:
	s_mov_b64 s[28:29], 0
.LBB46_665:
	s_andn2_b64 vcc, exec, s[28:29]
	s_cbranch_vccnz .LBB46_673
; %bb.666:
	v_cvt_f32_i32_sdwa v1, sext(v4) dst_sel:DWORD dst_unused:UNUSED_PAD src0_sel:WORD_0
	s_mov_b32 s28, 0x43800000
	v_mov_b32_e32 v6, 0x80
	v_and_b32_e32 v5, 0x7fffffff, v1
	v_cmp_gt_u32_e32 vcc, s28, v5
	s_and_saveexec_b64 s[28:29], vcc
	s_cbranch_execz .LBB46_672
; %bb.667:
	s_mov_b32 s30, 0x3bffffff
	v_cmp_lt_u32_e32 vcc, s30, v5
	s_mov_b64 s[30:31], 0
                                        ; implicit-def: $vgpr5
	s_and_saveexec_b64 s[34:35], vcc
	s_xor_b64 s[34:35], exec, s[34:35]
	s_cbranch_execz .LBB46_773
; %bb.668:
	v_bfe_u32 v5, v1, 20, 1
	s_mov_b32 s39, 0x487ffff
	v_add3_u32 v5, v1, v5, s39
	s_mov_b64 s[30:31], exec
	v_lshrrev_b32_e32 v5, 20, v5
	s_andn2_saveexec_b64 s[34:35], s[34:35]
	s_cbranch_execnz .LBB46_774
.LBB46_669:
	s_or_b64 exec, exec, s[34:35]
	v_mov_b32_e32 v6, 0
	s_and_saveexec_b64 s[34:35], s[30:31]
.LBB46_670:
	v_lshrrev_b32_e32 v1, 24, v1
	s_movk_i32 s30, 0x80
	v_and_or_b32 v6, v1, s30, v5
.LBB46_671:
	s_or_b64 exec, exec, s[34:35]
.LBB46_672:
	s_or_b64 exec, exec, s[28:29]
	global_store_byte v[2:3], v6, off
.LBB46_673:
	s_mov_b64 s[28:29], -1
.LBB46_674:
	s_mov_b64 s[30:31], 0
.LBB46_675:
	s_and_b64 vcc, exec, s[30:31]
	s_cbranch_vccz .LBB46_716
; %bb.676:
	s_cmp_gt_i32 s37, 22
	s_mov_b64 s[30:31], -1
	s_cbranch_scc0 .LBB46_708
; %bb.677:
	s_cmp_lt_i32 s37, 24
	s_mov_b64 s[28:29], -1
	s_cbranch_scc1 .LBB46_697
; %bb.678:
	s_cmp_gt_i32 s37, 24
	s_cbranch_scc0 .LBB46_686
; %bb.679:
	v_cvt_f32_i32_sdwa v1, sext(v4) dst_sel:DWORD dst_unused:UNUSED_PAD src0_sel:WORD_0
	s_mov_b32 s28, 0x47800000
	v_mov_b32_e32 v6, 0x80
	v_and_b32_e32 v5, 0x7fffffff, v1
	v_cmp_gt_u32_e32 vcc, s28, v5
	s_and_saveexec_b64 s[28:29], vcc
	s_cbranch_execz .LBB46_685
; %bb.680:
	s_mov_b32 s30, 0x37ffffff
	v_cmp_lt_u32_e32 vcc, s30, v5
	s_mov_b64 s[30:31], 0
                                        ; implicit-def: $vgpr5
	s_and_saveexec_b64 s[34:35], vcc
	s_xor_b64 s[34:35], exec, s[34:35]
	s_cbranch_execz .LBB46_776
; %bb.681:
	v_bfe_u32 v5, v1, 21, 1
	s_mov_b32 s39, 0x88fffff
	v_add3_u32 v5, v1, v5, s39
	s_mov_b64 s[30:31], exec
	v_lshrrev_b32_e32 v5, 21, v5
	s_andn2_saveexec_b64 s[34:35], s[34:35]
	s_cbranch_execnz .LBB46_777
.LBB46_682:
	s_or_b64 exec, exec, s[34:35]
	v_mov_b32_e32 v6, 0
	s_and_saveexec_b64 s[34:35], s[30:31]
.LBB46_683:
	v_lshrrev_b32_e32 v1, 24, v1
	s_movk_i32 s30, 0x80
	v_and_or_b32 v6, v1, s30, v5
.LBB46_684:
	s_or_b64 exec, exec, s[34:35]
.LBB46_685:
	s_or_b64 exec, exec, s[28:29]
	s_mov_b64 s[28:29], 0
	global_store_byte v[2:3], v6, off
.LBB46_686:
	s_and_b64 vcc, exec, s[28:29]
	s_cbranch_vccz .LBB46_696
; %bb.687:
	v_cvt_f32_i32_sdwa v1, sext(v4) dst_sel:DWORD dst_unused:UNUSED_PAD src0_sel:WORD_0
	s_mov_b32 s28, 0x43f00000
                                        ; implicit-def: $vgpr5
	v_and_b32_e32 v6, 0x7fffffff, v1
	v_cmp_gt_u32_e32 vcc, s28, v6
	s_and_saveexec_b64 s[28:29], vcc
	s_xor_b64 s[28:29], exec, s[28:29]
	s_cbranch_execz .LBB46_693
; %bb.688:
	s_mov_b32 s30, 0x3c7fffff
	v_cmp_lt_u32_e32 vcc, s30, v6
                                        ; implicit-def: $vgpr5
	s_and_saveexec_b64 s[30:31], vcc
	s_xor_b64 s[30:31], exec, s[30:31]
; %bb.689:
	v_bfe_u32 v5, v1, 20, 1
	s_mov_b32 s34, 0x407ffff
	v_add3_u32 v5, v1, v5, s34
	v_lshrrev_b32_e32 v6, 20, v5
	v_and_b32_e32 v5, 0xff00000, v5
	s_mov_b32 s34, 0x7f00000
	v_mov_b32_e32 v7, 0x7e
	v_cmp_ne_u32_e32 vcc, s34, v5
	s_nop 1
	v_cndmask_b32_e32 v5, v7, v6, vcc
; %bb.690:
	s_andn2_saveexec_b64 s[30:31], s[30:31]
; %bb.691:
	s_mov_b32 s34, 0x46800000
	v_add_f32_e64 v5, |v1|, s34
; %bb.692:
	s_or_b64 exec, exec, s[30:31]
                                        ; implicit-def: $vgpr6
.LBB46_693:
	s_andn2_saveexec_b64 s[28:29], s[28:29]
; %bb.694:
	s_mov_b32 s30, 0x7f800000
	v_mov_b32_e32 v5, 0x7e
	v_mov_b32_e32 v7, 0x7f
	v_cmp_lt_u32_e32 vcc, s30, v6
	s_nop 1
	v_cndmask_b32_e32 v5, v5, v7, vcc
; %bb.695:
	s_or_b64 exec, exec, s[28:29]
	v_lshrrev_b32_e32 v1, 24, v1
	s_movk_i32 s28, 0x80
	v_and_or_b32 v1, v1, s28, v5
	global_store_byte v[2:3], v1, off
.LBB46_696:
	s_mov_b64 s[28:29], 0
.LBB46_697:
	s_andn2_b64 vcc, exec, s[28:29]
	s_cbranch_vccnz .LBB46_707
; %bb.698:
	v_cvt_f32_i32_sdwa v1, sext(v4) dst_sel:DWORD dst_unused:UNUSED_PAD src0_sel:WORD_0
	s_mov_b32 s28, 0x47800000
                                        ; implicit-def: $vgpr5
	v_and_b32_e32 v6, 0x7fffffff, v1
	v_cmp_gt_u32_e32 vcc, s28, v6
	s_and_saveexec_b64 s[28:29], vcc
	s_xor_b64 s[28:29], exec, s[28:29]
	s_cbranch_execz .LBB46_704
; %bb.699:
	s_mov_b32 s30, 0x387fffff
	v_cmp_lt_u32_e32 vcc, s30, v6
                                        ; implicit-def: $vgpr5
	s_and_saveexec_b64 s[30:31], vcc
	s_xor_b64 s[30:31], exec, s[30:31]
; %bb.700:
	v_bfe_u32 v5, v1, 21, 1
	s_mov_b32 s34, 0x80fffff
	v_add3_u32 v5, v1, v5, s34
	v_lshrrev_b32_e32 v5, 21, v5
; %bb.701:
	s_andn2_saveexec_b64 s[30:31], s[30:31]
; %bb.702:
	s_mov_b32 s34, 0x43000000
	v_add_f32_e64 v5, |v1|, s34
; %bb.703:
	s_or_b64 exec, exec, s[30:31]
                                        ; implicit-def: $vgpr6
.LBB46_704:
	s_andn2_saveexec_b64 s[28:29], s[28:29]
; %bb.705:
	s_mov_b32 s30, 0x7f800000
	v_mov_b32_e32 v5, 0x7c
	v_mov_b32_e32 v7, 0x7f
	v_cmp_lt_u32_e32 vcc, s30, v6
	s_nop 1
	v_cndmask_b32_e32 v5, v5, v7, vcc
; %bb.706:
	s_or_b64 exec, exec, s[28:29]
	v_lshrrev_b32_e32 v1, 24, v1
	s_movk_i32 s28, 0x80
	v_and_or_b32 v1, v1, s28, v5
	global_store_byte v[2:3], v1, off
.LBB46_707:
	s_mov_b64 s[30:31], 0
	s_mov_b64 s[28:29], -1
.LBB46_708:
	s_andn2_b64 vcc, exec, s[30:31]
	s_cbranch_vccnz .LBB46_716
; %bb.709:
	s_cmp_gt_i32 s37, 14
	s_mov_b64 s[30:31], -1
	s_cbranch_scc0 .LBB46_713
; %bb.710:
	s_cmp_eq_u32 s37, 15
	s_mov_b64 s[0:1], -1
	s_cbranch_scc0 .LBB46_712
; %bb.711:
	v_cvt_f32_i32_sdwa v1, sext(v4) dst_sel:DWORD dst_unused:UNUSED_PAD src0_sel:WORD_0
	s_movk_i32 s0, 0x7fff
	s_mov_b64 s[28:29], -1
	v_bfe_u32 v5, v1, 16, 1
	v_add3_u32 v1, v1, v5, s0
	global_store_short_d16_hi v[2:3], v1, off
	s_mov_b64 s[0:1], 0
.LBB46_712:
	s_mov_b64 s[30:31], 0
.LBB46_713:
	s_and_b64 vcc, exec, s[30:31]
	s_cbranch_vccz .LBB46_716
; %bb.714:
	s_cmp_eq_u32 s37, 11
	s_mov_b64 s[0:1], -1
	s_cbranch_scc0 .LBB46_716
; %bb.715:
	v_cmp_ne_u16_e32 vcc, -1, v0
	s_mov_b64 s[28:29], -1
	s_mov_b64 s[0:1], 0
	v_cndmask_b32_e64 v0, 0, 1, vcc
	global_store_byte v[2:3], v0, off
.LBB46_716:
	s_mov_b64 s[30:31], 0
.LBB46_717:
	s_and_b64 vcc, exec, s[30:31]
	s_cbranch_vccz .LBB46_756
; %bb.718:
	s_and_b32 s30, 0xffff, s36
	s_cmp_lt_i32 s30, 5
	s_mov_b64 s[28:29], -1
	s_cbranch_scc1 .LBB46_739
; %bb.719:
	s_cmp_lt_i32 s30, 8
	s_cbranch_scc1 .LBB46_729
; %bb.720:
	s_cmp_lt_i32 s30, 9
	s_cbranch_scc1 .LBB46_726
; %bb.721:
	s_cmp_gt_i32 s30, 9
	s_cbranch_scc0 .LBB46_723
; %bb.722:
	v_bfe_i32 v0, v4, 0, 16
	v_mov_b32_e32 v8, 0
	v_cvt_f64_i32_e32 v[6:7], v0
	v_mov_b32_e32 v9, v8
	s_mov_b64 s[28:29], 0
	global_store_dwordx4 v[2:3], v[6:9], off
.LBB46_723:
	s_andn2_b64 vcc, exec, s[28:29]
	s_cbranch_vccnz .LBB46_725
; %bb.724:
	v_cvt_f32_i32_sdwa v0, sext(v4) dst_sel:DWORD dst_unused:UNUSED_PAD src0_sel:WORD_0
	v_mov_b32_e32 v1, 0
	global_store_dwordx2 v[2:3], v[0:1], off
.LBB46_725:
	s_mov_b64 s[28:29], 0
.LBB46_726:
	s_andn2_b64 vcc, exec, s[28:29]
	s_cbranch_vccnz .LBB46_728
; %bb.727:
	v_cvt_f16_i16_e32 v0, v4
	global_store_dword v[2:3], v0, off
.LBB46_728:
	s_mov_b64 s[28:29], 0
.LBB46_729:
	s_andn2_b64 vcc, exec, s[28:29]
	s_cbranch_vccnz .LBB46_738
; %bb.730:
	s_cmp_lt_i32 s30, 6
	s_mov_b64 s[28:29], -1
	s_cbranch_scc1 .LBB46_736
; %bb.731:
	s_cmp_gt_i32 s30, 6
	s_cbranch_scc0 .LBB46_733
; %bb.732:
	v_bfe_i32 v0, v4, 0, 16
	v_cvt_f64_i32_e32 v[0:1], v0
	s_mov_b64 s[28:29], 0
	global_store_dwordx2 v[2:3], v[0:1], off
.LBB46_733:
	s_andn2_b64 vcc, exec, s[28:29]
	s_cbranch_vccnz .LBB46_735
; %bb.734:
	v_cvt_f32_i32_sdwa v0, sext(v4) dst_sel:DWORD dst_unused:UNUSED_PAD src0_sel:WORD_0
	global_store_dword v[2:3], v0, off
.LBB46_735:
	s_mov_b64 s[28:29], 0
.LBB46_736:
	s_andn2_b64 vcc, exec, s[28:29]
	s_cbranch_vccnz .LBB46_738
; %bb.737:
	v_cvt_f16_i16_e32 v0, v4
	global_store_short v[2:3], v0, off
.LBB46_738:
	s_mov_b64 s[28:29], 0
.LBB46_739:
	s_andn2_b64 vcc, exec, s[28:29]
	s_cbranch_vccnz .LBB46_755
; %bb.740:
	s_cmp_lt_i32 s30, 2
	s_mov_b64 s[28:29], -1
	s_cbranch_scc1 .LBB46_750
; %bb.741:
	s_cmp_lt_i32 s30, 3
	s_cbranch_scc1 .LBB46_747
; %bb.742:
	s_cmp_gt_i32 s30, 3
	v_bfe_i32 v0, v4, 0, 16
	s_cbranch_scc0 .LBB46_744
; %bb.743:
	v_ashrrev_i32_e32 v1, 31, v0
	s_mov_b64 s[28:29], 0
	global_store_dwordx2 v[2:3], v[0:1], off
.LBB46_744:
	s_andn2_b64 vcc, exec, s[28:29]
	s_cbranch_vccnz .LBB46_746
; %bb.745:
	global_store_dword v[2:3], v0, off
.LBB46_746:
	s_mov_b64 s[28:29], 0
.LBB46_747:
	s_andn2_b64 vcc, exec, s[28:29]
	s_cbranch_vccnz .LBB46_749
; %bb.748:
	global_store_short v[2:3], v4, off
.LBB46_749:
	s_mov_b64 s[28:29], 0
.LBB46_750:
	s_andn2_b64 vcc, exec, s[28:29]
	s_cbranch_vccnz .LBB46_755
; %bb.751:
	s_cmp_gt_i32 s30, 0
	s_mov_b64 s[28:29], -1
	s_cbranch_scc0 .LBB46_753
; %bb.752:
	s_mov_b64 s[28:29], 0
	global_store_byte v[2:3], v4, off
.LBB46_753:
	s_andn2_b64 vcc, exec, s[28:29]
	s_cbranch_vccnz .LBB46_755
; %bb.754:
	global_store_byte v[2:3], v4, off
.LBB46_755:
	s_mov_b64 s[28:29], -1
.LBB46_756:
	s_andn2_b64 vcc, exec, s[28:29]
	s_cbranch_vccnz .LBB46_758
; %bb.757:
	v_add_u32_e32 v10, 0x80, v10
	s_mov_b64 s[30:31], -1
	s_branch .LBB46_759
.LBB46_758:
	s_mov_b64 s[30:31], 0
                                        ; implicit-def: $vgpr10
.LBB46_759:
	s_andn2_b64 s[28:29], s[20:21], exec
	s_and_b64 s[0:1], s[0:1], exec
	s_or_b64 s[28:29], s[28:29], s[0:1]
	s_andn2_b64 s[0:1], s[18:19], exec
	s_and_b64 s[26:27], s[26:27], exec
	s_or_b64 s[0:1], s[0:1], s[26:27]
	s_orn2_b64 s[34:35], s[30:31], exec
.LBB46_760:
	s_or_b64 exec, exec, s[24:25]
	s_mov_b64 s[30:31], 0
	s_mov_b64 s[26:27], 0
	;; [unrolled: 1-line block ×3, first 2 shown]
                                        ; implicit-def: $vgpr2_vgpr3
                                        ; implicit-def: $vgpr0
	s_and_saveexec_b64 s[24:25], s[34:35]
	s_cbranch_execz .LBB46_841
; %bb.761:
	v_cmp_gt_i32_e32 vcc, s38, v10
	s_mov_b64 s[34:35], 0
	s_mov_b64 s[38:39], s[0:1]
	;; [unrolled: 1-line block ×3, first 2 shown]
                                        ; implicit-def: $vgpr2_vgpr3
                                        ; implicit-def: $vgpr0
	s_and_saveexec_b64 s[26:27], vcc
	s_cbranch_execz .LBB46_840
; %bb.762:
	s_waitcnt vmcnt(0)
	v_mul_lo_u32 v0, v10, s9
	v_ashrrev_i32_e32 v1, 31, v0
	s_and_b32 s40, 0xffff, s42
	s_cmp_lt_i32 s40, 11
	v_lshl_add_u64 v[2:3], s[6:7], 0, v[0:1]
	s_cbranch_scc1 .LBB46_769
; %bb.763:
	s_cmp_gt_i32 s40, 25
	s_cbranch_scc0 .LBB46_770
; %bb.764:
	s_cmp_gt_i32 s40, 28
	s_cbranch_scc0 .LBB46_771
	;; [unrolled: 3-line block ×4, first 2 shown]
; %bb.767:
	s_cmp_eq_u32 s40, 46
	s_mov_b64 s[38:39], 0
	s_cbranch_scc0 .LBB46_778
; %bb.768:
	global_load_dword v0, v[2:3], off
	s_mov_b64 s[36:37], -1
	s_waitcnt vmcnt(0)
	v_lshlrev_b32_e32 v0, 16, v0
	v_cvt_i32_f32_e32 v0, v0
	s_branch .LBB46_780
.LBB46_769:
	s_mov_b64 s[38:39], -1
                                        ; implicit-def: $vgpr0
	s_mov_b64 s[30:31], s[0:1]
	s_branch .LBB46_839
.LBB46_770:
	s_mov_b64 s[38:39], -1
	s_mov_b64 s[30:31], s[0:1]
                                        ; implicit-def: $vgpr0
	s_branch .LBB46_807
.LBB46_771:
	s_mov_b64 s[38:39], -1
	s_mov_b64 s[30:31], s[0:1]
                                        ; implicit-def: $vgpr0
	s_branch .LBB46_790
.LBB46_772:
	s_mov_b64 s[38:39], -1
	s_mov_b64 s[30:31], s[0:1]
                                        ; implicit-def: $vgpr0
	s_branch .LBB46_785
.LBB46_773:
	s_andn2_saveexec_b64 s[34:35], s[34:35]
	s_cbranch_execz .LBB46_669
.LBB46_774:
	s_mov_b32 s39, 0x46000000
	v_add_f32_e64 v5, |v1|, s39
	v_and_b32_e32 v5, 0xff, v5
	v_cmp_ne_u32_e32 vcc, 0, v5
	s_andn2_b64 s[30:31], s[30:31], exec
	s_and_b64 s[40:41], vcc, exec
	s_or_b64 s[30:31], s[30:31], s[40:41]
	s_or_b64 exec, exec, s[34:35]
	v_mov_b32_e32 v6, 0
	s_and_saveexec_b64 s[34:35], s[30:31]
	s_cbranch_execnz .LBB46_670
	s_branch .LBB46_671
.LBB46_775:
	s_mov_b64 s[38:39], -1
	s_mov_b64 s[30:31], s[0:1]
	s_branch .LBB46_779
.LBB46_776:
	s_andn2_saveexec_b64 s[34:35], s[34:35]
	s_cbranch_execz .LBB46_682
.LBB46_777:
	s_mov_b32 s39, 0x42800000
	v_add_f32_e64 v5, |v1|, s39
	v_and_b32_e32 v5, 0xff, v5
	v_cmp_ne_u32_e32 vcc, 0, v5
	s_andn2_b64 s[30:31], s[30:31], exec
	s_and_b64 s[40:41], vcc, exec
	s_or_b64 s[30:31], s[30:31], s[40:41]
	s_or_b64 exec, exec, s[34:35]
	v_mov_b32_e32 v6, 0
	s_and_saveexec_b64 s[34:35], s[30:31]
	s_cbranch_execnz .LBB46_683
	s_branch .LBB46_684
.LBB46_778:
	s_mov_b64 s[30:31], -1
.LBB46_779:
                                        ; implicit-def: $vgpr0
.LBB46_780:
	s_and_b64 vcc, exec, s[38:39]
	s_cbranch_vccz .LBB46_784
; %bb.781:
	s_cmp_eq_u32 s40, 44
	s_cbranch_scc0 .LBB46_783
; %bb.782:
	global_load_ubyte v0, v[2:3], off
	s_mov_b64 s[30:31], 0
	s_mov_b64 s[36:37], -1
	s_waitcnt vmcnt(0)
	v_lshlrev_b32_e32 v1, 23, v0
	v_cvt_i32_f32_e32 v1, v1
	v_cmp_ne_u32_e32 vcc, 0, v0
	s_nop 1
	v_cndmask_b32_e32 v0, 0, v1, vcc
	s_branch .LBB46_784
.LBB46_783:
	s_mov_b64 s[30:31], -1
                                        ; implicit-def: $vgpr0
.LBB46_784:
	s_mov_b64 s[38:39], 0
.LBB46_785:
	s_and_b64 vcc, exec, s[38:39]
	s_cbranch_vccz .LBB46_789
; %bb.786:
	s_cmp_eq_u32 s40, 29
	s_cbranch_scc0 .LBB46_788
; %bb.787:
	global_load_dwordx2 v[0:1], v[2:3], off
	s_mov_b64 s[30:31], 0
	s_mov_b64 s[36:37], -1
	s_branch .LBB46_789
.LBB46_788:
	s_mov_b64 s[30:31], -1
                                        ; implicit-def: $vgpr0
.LBB46_789:
	s_mov_b64 s[38:39], 0
.LBB46_790:
	s_and_b64 vcc, exec, s[38:39]
	s_cbranch_vccz .LBB46_806
; %bb.791:
	s_cmp_lt_i32 s40, 27
	s_cbranch_scc1 .LBB46_794
; %bb.792:
	s_cmp_gt_i32 s40, 27
	s_cbranch_scc0 .LBB46_795
; %bb.793:
	global_load_dword v0, v[2:3], off
	s_mov_b64 s[36:37], 0
	s_branch .LBB46_796
.LBB46_794:
	s_mov_b64 s[36:37], -1
                                        ; implicit-def: $vgpr0
	s_branch .LBB46_799
.LBB46_795:
	s_mov_b64 s[36:37], -1
                                        ; implicit-def: $vgpr0
.LBB46_796:
	s_andn2_b64 vcc, exec, s[36:37]
	s_cbranch_vccnz .LBB46_798
; %bb.797:
	global_load_ushort v0, v[2:3], off
.LBB46_798:
	s_mov_b64 s[36:37], 0
.LBB46_799:
	s_andn2_b64 vcc, exec, s[36:37]
	s_cbranch_vccnz .LBB46_805
; %bb.800:
	global_load_ubyte v1, v[2:3], off
	s_movk_i32 s36, 0x7f
	s_mov_b64 s[38:39], 0
	s_waitcnt vmcnt(0)
	v_cmp_lt_i16_e32 vcc, s36, v1
	s_and_saveexec_b64 s[36:37], vcc
	s_xor_b64 s[36:37], exec, s[36:37]
	s_cbranch_execz .LBB46_817
; %bb.801:
	s_movk_i32 s38, 0x80
	v_cmp_ne_u16_e32 vcc, s38, v1
	s_and_b64 s[38:39], vcc, exec
	s_andn2_saveexec_b64 s[36:37], s[36:37]
	s_cbranch_execnz .LBB46_818
.LBB46_802:
	s_or_b64 exec, exec, s[36:37]
	v_mov_b32_e32 v0, 0
	s_and_saveexec_b64 s[36:37], s[38:39]
	s_cbranch_execz .LBB46_804
.LBB46_803:
	v_lshlrev_b32_e32 v0, 24, v1
	v_and_b32_e32 v1, 0xffff, v1
	v_and_b32_e32 v4, 7, v1
	v_ffbh_u32_e32 v6, v4
	v_min_u32_e32 v6, 32, v6
	v_subrev_u32_e32 v7, 28, v6
	v_bfe_u32 v5, v1, 3, 4
	v_lshlrev_b32_e32 v1, v7, v1
	v_sub_u32_e32 v6, 29, v6
	v_and_b32_e32 v1, 7, v1
	v_cmp_eq_u32_e32 vcc, 0, v5
	v_and_b32_e32 v0, 0x80000000, v0
	s_nop 0
	v_cndmask_b32_e32 v5, v5, v6, vcc
	v_cndmask_b32_e32 v1, v4, v1, vcc
	v_mov_b32_e32 v4, 0x3b800000
	v_lshlrev_b32_e32 v1, 20, v1
	v_lshl_add_u32 v4, v5, 23, v4
	v_or3_b32 v0, v0, v4, v1
	v_cvt_i32_f32_e32 v0, v0
.LBB46_804:
	s_or_b64 exec, exec, s[36:37]
.LBB46_805:
	s_mov_b64 s[36:37], -1
.LBB46_806:
	s_mov_b64 s[38:39], 0
.LBB46_807:
	s_and_b64 vcc, exec, s[38:39]
	s_cbranch_vccz .LBB46_838
; %bb.808:
	s_cmp_gt_i32 s40, 22
	s_cbranch_scc0 .LBB46_816
; %bb.809:
	s_cmp_lt_i32 s40, 24
	s_cbranch_scc1 .LBB46_819
; %bb.810:
	s_cmp_gt_i32 s40, 24
	s_cbranch_scc0 .LBB46_820
; %bb.811:
	global_load_ubyte v1, v[2:3], off
	s_movk_i32 s34, 0x7f
	s_mov_b64 s[36:37], 0
	s_waitcnt vmcnt(0)
	v_cmp_lt_i16_e32 vcc, s34, v1
	s_and_saveexec_b64 s[34:35], vcc
	s_xor_b64 s[34:35], exec, s[34:35]
	s_cbranch_execz .LBB46_832
; %bb.812:
	s_movk_i32 s36, 0x80
	v_cmp_ne_u16_e32 vcc, s36, v1
	s_and_b64 s[36:37], vcc, exec
	s_andn2_saveexec_b64 s[34:35], s[34:35]
	s_cbranch_execnz .LBB46_833
.LBB46_813:
	s_or_b64 exec, exec, s[34:35]
	v_mov_b32_e32 v0, 0
	s_and_saveexec_b64 s[34:35], s[36:37]
	s_cbranch_execz .LBB46_815
.LBB46_814:
	v_lshlrev_b32_e32 v0, 24, v1
	v_and_b32_e32 v1, 0xffff, v1
	v_and_b32_e32 v4, 3, v1
	v_ffbh_u32_e32 v6, v4
	v_min_u32_e32 v6, 32, v6
	v_subrev_u32_e32 v7, 29, v6
	v_bfe_u32 v5, v1, 2, 5
	v_lshlrev_b32_e32 v1, v7, v1
	v_sub_u32_e32 v6, 30, v6
	v_and_b32_e32 v1, 3, v1
	v_cmp_eq_u32_e32 vcc, 0, v5
	v_and_b32_e32 v0, 0x80000000, v0
	s_nop 0
	v_cndmask_b32_e32 v5, v5, v6, vcc
	v_cndmask_b32_e32 v1, v4, v1, vcc
	v_mov_b32_e32 v4, 0x37800000
	v_lshlrev_b32_e32 v1, 21, v1
	v_lshl_add_u32 v4, v5, 23, v4
	v_or3_b32 v0, v0, v4, v1
	v_cvt_i32_f32_e32 v0, v0
.LBB46_815:
	s_or_b64 exec, exec, s[34:35]
	s_mov_b64 s[34:35], 0
	s_branch .LBB46_821
.LBB46_816:
	s_mov_b64 s[34:35], -1
                                        ; implicit-def: $vgpr0
	s_branch .LBB46_827
.LBB46_817:
	s_andn2_saveexec_b64 s[36:37], s[36:37]
	s_cbranch_execz .LBB46_802
.LBB46_818:
	v_cmp_ne_u16_e32 vcc, 0, v1
	s_andn2_b64 s[38:39], s[38:39], exec
	s_and_b64 s[44:45], vcc, exec
	s_or_b64 s[38:39], s[38:39], s[44:45]
	s_or_b64 exec, exec, s[36:37]
	v_mov_b32_e32 v0, 0
	s_and_saveexec_b64 s[36:37], s[38:39]
	s_cbranch_execnz .LBB46_803
	s_branch .LBB46_804
.LBB46_819:
	s_mov_b64 s[34:35], -1
                                        ; implicit-def: $vgpr0
	s_branch .LBB46_824
.LBB46_820:
	s_mov_b64 s[34:35], -1
                                        ; implicit-def: $vgpr0
.LBB46_821:
	s_and_b64 vcc, exec, s[34:35]
	s_cbranch_vccz .LBB46_823
; %bb.822:
	global_load_ubyte v0, v[2:3], off
	s_mov_b32 s34, 0x7f800000
	s_waitcnt vmcnt(0)
	v_lshlrev_b32_e32 v0, 24, v0
	v_and_b32_e32 v1, 0x7f000000, v0
	v_ffbh_u32_e32 v4, v1
	v_min_u32_e32 v4, 32, v4
	v_sub_u32_e64 v4, v4, 4 clamp
	v_lshlrev_b32_e32 v6, v4, v1
	v_lshlrev_b32_e32 v4, 23, v4
	v_lshrrev_b32_e32 v6, 4, v6
	v_add_u32_e32 v5, 0x1000000, v1
	v_sub_u32_e32 v4, v6, v4
	v_ashrrev_i32_e32 v5, 8, v5
	v_add_u32_e32 v4, 0x3c000000, v4
	v_and_or_b32 v4, v5, s34, v4
	v_cmp_ne_u32_e32 vcc, 0, v1
	s_brev_b32 s34, 1
	s_nop 0
	v_cndmask_b32_e32 v1, 0, v4, vcc
	v_and_or_b32 v0, v0, s34, v1
	v_cvt_i32_f32_e32 v0, v0
.LBB46_823:
	s_mov_b64 s[34:35], 0
.LBB46_824:
	s_andn2_b64 vcc, exec, s[34:35]
	s_cbranch_vccnz .LBB46_826
; %bb.825:
	global_load_ubyte v0, v[2:3], off
	s_movk_i32 s34, 0x7f00
	s_brev_b32 s35, 16
	s_waitcnt vmcnt(0)
	v_lshlrev_b16_e32 v1, 8, v0
	v_lshlrev_b32_e32 v0, 25, v0
	v_lshrrev_b32_e32 v4, 4, v0
	v_and_or_b32 v5, v1, s34, 0.5
	v_or_b32_e32 v4, 0x70000000, v4
	v_add_f32_e32 v5, -0.5, v5
	v_mul_f32_e32 v4, 0x7800000, v4
	v_cmp_gt_u32_e32 vcc, s35, v0
	v_bfe_i32 v1, v1, 0, 16
	s_brev_b32 s34, 1
	v_cndmask_b32_e32 v0, v4, v5, vcc
	v_and_or_b32 v0, v1, s34, v0
	v_cvt_i32_f32_e32 v0, v0
.LBB46_826:
	s_mov_b64 s[34:35], 0
	s_mov_b64 s[36:37], -1
.LBB46_827:
	s_andn2_b64 vcc, exec, s[34:35]
	s_mov_b64 s[34:35], 0
	s_cbranch_vccnz .LBB46_838
; %bb.828:
	s_cmp_gt_i32 s40, 14
	s_cbranch_scc0 .LBB46_831
; %bb.829:
	s_cmp_eq_u32 s40, 15
	s_cbranch_scc0 .LBB46_834
; %bb.830:
	global_load_ushort v0, v[2:3], off
	s_mov_b64 s[30:31], 0
	s_mov_b64 s[36:37], -1
	s_waitcnt vmcnt(0)
	v_lshlrev_b32_e32 v0, 16, v0
	v_cvt_i32_f32_e32 v0, v0
	s_branch .LBB46_835
.LBB46_831:
	s_mov_b64 s[38:39], -1
                                        ; implicit-def: $vgpr0
	s_branch .LBB46_836
.LBB46_832:
	s_andn2_saveexec_b64 s[34:35], s[34:35]
	s_cbranch_execz .LBB46_813
.LBB46_833:
	v_cmp_ne_u16_e32 vcc, 0, v1
	s_andn2_b64 s[36:37], s[36:37], exec
	s_and_b64 s[38:39], vcc, exec
	s_or_b64 s[36:37], s[36:37], s[38:39]
	s_or_b64 exec, exec, s[34:35]
	v_mov_b32_e32 v0, 0
	s_and_saveexec_b64 s[34:35], s[36:37]
	s_cbranch_execnz .LBB46_814
	s_branch .LBB46_815
.LBB46_834:
	s_mov_b64 s[30:31], -1
                                        ; implicit-def: $vgpr0
.LBB46_835:
	s_mov_b64 s[38:39], 0
.LBB46_836:
	s_and_b64 vcc, exec, s[38:39]
	s_cbranch_vccz .LBB46_838
; %bb.837:
	s_cmp_lg_u32 s40, 11
	s_cselect_b64 s[38:39], -1, 0
	s_andn2_b64 s[30:31], s[30:31], exec
	s_and_b64 s[38:39], s[38:39], exec
	s_mov_b64 s[34:35], -1
	s_or_b64 s[30:31], s[30:31], s[38:39]
.LBB46_838:
	s_mov_b64 s[38:39], 0
.LBB46_839:
	s_and_b64 s[40:41], s[38:39], exec
	s_andn2_b64 s[38:39], s[0:1], exec
	s_and_b64 s[30:31], s[30:31], exec
	s_and_b64 s[36:37], s[36:37], exec
	;; [unrolled: 1-line block ×3, first 2 shown]
	s_or_b64 s[38:39], s[38:39], s[30:31]
.LBB46_840:
	s_or_b64 exec, exec, s[26:27]
	s_and_b64 s[30:31], s[34:35], exec
	s_andn2_b64 s[0:1], s[0:1], exec
	s_and_b64 s[34:35], s[38:39], exec
	s_and_b64 s[36:37], s[36:37], exec
	;; [unrolled: 1-line block ×3, first 2 shown]
	s_or_b64 s[0:1], s[0:1], s[34:35]
.LBB46_841:
	s_or_b64 exec, exec, s[24:25]
	s_andn2_b64 s[20:21], s[20:21], exec
	s_and_b64 s[24:25], s[28:29], exec
	s_andn2_b64 s[18:19], s[18:19], exec
	s_and_b64 s[0:1], s[0:1], exec
	s_or_b64 s[20:21], s[20:21], s[24:25]
	s_and_b64 s[28:29], s[36:37], exec
	s_and_b64 s[26:27], s[26:27], exec
	;; [unrolled: 1-line block ×3, first 2 shown]
	s_or_b64 s[18:19], s[18:19], s[0:1]
.LBB46_842:
	s_or_b64 exec, exec, s[22:23]
	s_andn2_b64 s[0:1], s[12:13], exec
	s_and_b64 s[12:13], s[20:21], exec
	s_andn2_b64 s[14:15], s[14:15], exec
	s_and_b64 s[18:19], s[18:19], exec
	s_or_b64 s[12:13], s[0:1], s[12:13]
	s_and_b64 s[0:1], s[28:29], exec
	s_and_b64 s[22:23], s[26:27], exec
	;; [unrolled: 1-line block ×3, first 2 shown]
	s_or_b64 s[14:15], s[14:15], s[18:19]
	s_or_b64 exec, exec, s[16:17]
	s_mov_b64 s[16:17], 0
	s_and_saveexec_b64 s[18:19], s[14:15]
	s_cbranch_execz .LBB46_258
.LBB46_843:
	s_mov_b64 s[16:17], exec
	s_andn2_b64 s[20:21], s[20:21], exec
	s_trap 2
	s_or_b64 exec, exec, s[18:19]
	s_and_saveexec_b64 s[14:15], s[20:21]
	s_xor_b64 s[14:15], exec, s[14:15]
	s_cbranch_execnz .LBB46_259
.LBB46_844:
	s_or_b64 exec, exec, s[14:15]
	s_and_saveexec_b64 s[14:15], s[22:23]
	s_cbranch_execz .LBB46_890
.LBB46_845:
	s_sext_i32_i16 s18, s42
	s_cmp_lt_i32 s18, 5
	s_cbranch_scc1 .LBB46_850
; %bb.846:
	s_cmp_lt_i32 s18, 8
	s_cbranch_scc1 .LBB46_851
; %bb.847:
	;; [unrolled: 3-line block ×3, first 2 shown]
	s_cmp_gt_i32 s18, 9
	s_cbranch_scc0 .LBB46_853
; %bb.849:
	global_load_dwordx2 v[0:1], v[2:3], off
	s_mov_b64 s[18:19], 0
	s_waitcnt vmcnt(0)
	v_cvt_i32_f64_e32 v0, v[0:1]
	s_branch .LBB46_854
.LBB46_850:
                                        ; implicit-def: $vgpr0
	s_branch .LBB46_871
.LBB46_851:
                                        ; implicit-def: $vgpr0
	s_branch .LBB46_860
.LBB46_852:
	s_mov_b64 s[18:19], -1
                                        ; implicit-def: $vgpr0
	s_branch .LBB46_857
.LBB46_853:
	s_mov_b64 s[18:19], -1
                                        ; implicit-def: $vgpr0
.LBB46_854:
	s_andn2_b64 vcc, exec, s[18:19]
	s_cbranch_vccnz .LBB46_856
; %bb.855:
	global_load_dword v0, v[2:3], off
	s_waitcnt vmcnt(0)
	v_cvt_i32_f32_e32 v0, v0
.LBB46_856:
	s_mov_b64 s[18:19], 0
.LBB46_857:
	s_andn2_b64 vcc, exec, s[18:19]
	s_cbranch_vccnz .LBB46_859
; %bb.858:
	global_load_dword v0, v[2:3], off
	s_waitcnt vmcnt(0)
	v_cvt_i16_f16_e32 v0, v0
.LBB46_859:
	s_cbranch_execnz .LBB46_870
.LBB46_860:
	s_sext_i32_i16 s18, s42
	s_cmp_lt_i32 s18, 6
	s_cbranch_scc1 .LBB46_863
; %bb.861:
	s_cmp_gt_i32 s18, 6
	s_cbranch_scc0 .LBB46_864
; %bb.862:
	global_load_dwordx2 v[0:1], v[2:3], off
	s_mov_b64 s[18:19], 0
	s_waitcnt vmcnt(0)
	v_cvt_i32_f64_e32 v0, v[0:1]
	s_branch .LBB46_865
.LBB46_863:
	s_mov_b64 s[18:19], -1
                                        ; implicit-def: $vgpr0
	s_branch .LBB46_868
.LBB46_864:
	s_mov_b64 s[18:19], -1
                                        ; implicit-def: $vgpr0
.LBB46_865:
	s_andn2_b64 vcc, exec, s[18:19]
	s_cbranch_vccnz .LBB46_867
; %bb.866:
	global_load_dword v0, v[2:3], off
	s_waitcnt vmcnt(0)
	v_cvt_i32_f32_e32 v0, v0
.LBB46_867:
	s_mov_b64 s[18:19], 0
.LBB46_868:
	s_andn2_b64 vcc, exec, s[18:19]
	s_cbranch_vccnz .LBB46_870
; %bb.869:
	global_load_ushort v0, v[2:3], off
	s_waitcnt vmcnt(0)
	v_cvt_i16_f16_e32 v0, v0
.LBB46_870:
	s_cbranch_execnz .LBB46_889
.LBB46_871:
	s_sext_i32_i16 s18, s42
	s_cmp_lt_i32 s18, 2
	s_cbranch_scc1 .LBB46_875
; %bb.872:
	s_cmp_lt_i32 s18, 3
	s_cbranch_scc1 .LBB46_876
; %bb.873:
	s_cmp_gt_i32 s18, 3
	s_cbranch_scc0 .LBB46_877
; %bb.874:
	global_load_dwordx2 v[0:1], v[2:3], off
	s_mov_b64 s[18:19], 0
	s_branch .LBB46_878
.LBB46_875:
                                        ; implicit-def: $vgpr0
	s_branch .LBB46_884
.LBB46_876:
	s_mov_b64 s[18:19], -1
                                        ; implicit-def: $vgpr0
	s_branch .LBB46_881
.LBB46_877:
	s_mov_b64 s[18:19], -1
                                        ; implicit-def: $vgpr0
.LBB46_878:
	s_andn2_b64 vcc, exec, s[18:19]
	s_cbranch_vccnz .LBB46_880
; %bb.879:
	global_load_dword v0, v[2:3], off
.LBB46_880:
	s_mov_b64 s[18:19], 0
.LBB46_881:
	s_andn2_b64 vcc, exec, s[18:19]
	s_cbranch_vccnz .LBB46_883
; %bb.882:
	global_load_ushort v0, v[2:3], off
.LBB46_883:
	s_cbranch_execnz .LBB46_889
.LBB46_884:
	s_sext_i32_i16 s18, s42
	s_cmp_gt_i32 s18, 0
	s_cbranch_scc0 .LBB46_886
; %bb.885:
	global_load_sbyte v0, v[2:3], off
	s_mov_b64 s[18:19], 0
	s_branch .LBB46_887
.LBB46_886:
	s_mov_b64 s[18:19], -1
                                        ; implicit-def: $vgpr0
.LBB46_887:
	s_andn2_b64 vcc, exec, s[18:19]
	s_cbranch_vccnz .LBB46_889
; %bb.888:
	global_load_ubyte v0, v[2:3], off
.LBB46_889:
	s_or_b64 s[0:1], s[0:1], exec
.LBB46_890:
	s_or_b64 exec, exec, s[14:15]
	s_mov_b64 s[20:21], 0
	s_mov_b64 s[18:19], 0
                                        ; implicit-def: $sgpr26
                                        ; implicit-def: $vgpr2_vgpr3
                                        ; implicit-def: $vgpr4
	s_and_saveexec_b64 s[14:15], s[0:1]
	s_cbranch_execz .LBB46_898
; %bb.891:
	v_mul_lo_u32 v2, v10, s8
	v_ashrrev_i32_e32 v3, 31, v2
	s_and_b32 s26, s33, 0xff
	s_waitcnt vmcnt(0)
	v_xor_b32_e32 v4, -1, v0
	s_cmp_lt_i32 s26, 11
	v_lshl_add_u64 v[2:3], s[4:5], 0, v[2:3]
	s_cbranch_scc1 .LBB46_901
; %bb.892:
	s_and_b32 s27, 0xffff, s26
	s_mov_b64 s[20:21], -1
	s_cmp_gt_i32 s27, 25
	s_mov_b64 s[0:1], s[12:13]
	s_cbranch_scc0 .LBB46_929
; %bb.893:
	s_mov_b64 s[18:19], -1
	s_cmp_gt_i32 s27, 28
	s_mov_b64 s[0:1], s[12:13]
	s_cbranch_scc0 .LBB46_913
; %bb.894:
	s_cmp_gt_i32 s27, 43
	s_mov_b64 s[0:1], s[12:13]
	s_cbranch_scc0 .LBB46_909
; %bb.895:
	;; [unrolled: 4-line block ×3, first 2 shown]
	s_cmp_eq_u32 s27, 46
	s_mov_b64 s[0:1], -1
	s_cbranch_scc0 .LBB46_902
; %bb.897:
	v_cvt_f32_i32_sdwa v1, sext(v4) dst_sel:DWORD dst_unused:UNUSED_PAD src0_sel:WORD_0
	s_movk_i32 s0, 0x7fff
	s_mov_b64 s[18:19], 0
	v_bfe_u32 v5, v1, 16, 1
	v_add3_u32 v1, v1, v5, s0
	v_lshrrev_b32_e32 v1, 16, v1
	global_store_dword v[2:3], v1, off
	s_mov_b64 s[0:1], 0
	s_branch .LBB46_903
.LBB46_898:
	s_or_b64 exec, exec, s[14:15]
	s_and_saveexec_b64 s[0:1], s[12:13]
	s_cbranch_execnz .LBB46_971
.LBB46_899:
	s_or_b64 exec, exec, s[0:1]
	s_and_saveexec_b64 s[0:1], s[20:21]
	s_xor_b64 s[0:1], exec, s[0:1]
	s_cbranch_execz .LBB46_972
.LBB46_900:
	s_waitcnt vmcnt(0)
	v_cmp_ne_u16_e32 vcc, -1, v0
	s_nop 1
	v_cndmask_b32_e64 v0, 0, 1, vcc
	global_store_byte v[2:3], v0, off
	s_or_b64 exec, exec, s[0:1]
	s_and_saveexec_b64 s[0:1], s[18:19]
	s_xor_b64 s[0:1], exec, s[0:1]
	s_cbranch_execz .LBB46_1010
	s_branch .LBB46_973
.LBB46_901:
	s_mov_b64 s[18:19], -1
	s_mov_b64 s[0:1], s[12:13]
	s_branch .LBB46_970
.LBB46_902:
	s_mov_b64 s[18:19], 0
.LBB46_903:
	s_and_b64 vcc, exec, s[18:19]
	s_cbranch_vccz .LBB46_908
; %bb.904:
	s_cmp_eq_u32 s27, 44
	s_mov_b64 s[0:1], -1
	s_cbranch_scc0 .LBB46_908
; %bb.905:
	v_cvt_f32_i32_sdwa v1, sext(v4) dst_sel:DWORD dst_unused:UNUSED_PAD src0_sel:WORD_0
	s_movk_i32 s0, 0xff
	v_mov_b32_e32 v6, 0xff
	v_bfe_u32 v5, v1, 23, 8
	v_cmp_ne_u32_e32 vcc, s0, v5
	s_and_saveexec_b64 s[18:19], vcc
; %bb.906:
	s_mov_b32 s0, 0x3fffff
	v_lshrrev_b32_e32 v6, 23, v1
	v_and_b32_e32 v7, 0x400000, v1
	v_and_or_b32 v1, v1, s0, v5
	v_cmp_ne_u32_e32 vcc, 0, v7
	v_cmp_ne_u32_e64 s[0:1], 0, v1
	s_and_b64 s[0:1], vcc, s[0:1]
	s_nop 0
	v_cndmask_b32_e64 v1, 0, 1, s[0:1]
	v_add_u32_e32 v6, v6, v1
; %bb.907:
	s_or_b64 exec, exec, s[18:19]
	s_mov_b64 s[0:1], 0
	global_store_byte v[2:3], v6, off
.LBB46_908:
	s_mov_b64 s[18:19], 0
.LBB46_909:
	s_and_b64 vcc, exec, s[18:19]
	s_cbranch_vccz .LBB46_912
; %bb.910:
	s_cmp_eq_u32 s27, 29
	s_mov_b64 s[0:1], -1
	s_cbranch_scc0 .LBB46_912
; %bb.911:
	v_bfe_i32 v6, v4, 0, 16
	v_ashrrev_i32_e32 v7, 31, v6
	global_store_dwordx2 v[2:3], v[6:7], off
	s_mov_b64 s[0:1], 0
.LBB46_912:
	s_mov_b64 s[18:19], 0
.LBB46_913:
	s_and_b64 vcc, exec, s[18:19]
	s_cbranch_vccz .LBB46_928
; %bb.914:
	s_cmp_lt_i32 s27, 27
	s_mov_b64 s[18:19], -1
	s_cbranch_scc1 .LBB46_920
; %bb.915:
	s_cmp_gt_i32 s27, 27
	s_cbranch_scc0 .LBB46_917
; %bb.916:
	v_bfe_i32 v1, v4, 0, 16
	s_mov_b64 s[18:19], 0
	global_store_dword v[2:3], v1, off
.LBB46_917:
	s_andn2_b64 vcc, exec, s[18:19]
	s_cbranch_vccnz .LBB46_919
; %bb.918:
	global_store_short v[2:3], v4, off
.LBB46_919:
	s_mov_b64 s[18:19], 0
.LBB46_920:
	s_andn2_b64 vcc, exec, s[18:19]
	s_cbranch_vccnz .LBB46_928
; %bb.921:
	v_cvt_f32_i32_sdwa v1, sext(v4) dst_sel:DWORD dst_unused:UNUSED_PAD src0_sel:WORD_0
	s_mov_b32 s18, 0x43800000
	v_mov_b32_e32 v6, 0x80
	v_and_b32_e32 v5, 0x7fffffff, v1
	v_cmp_gt_u32_e32 vcc, s18, v5
	s_and_saveexec_b64 s[18:19], vcc
	s_cbranch_execz .LBB46_927
; %bb.922:
	s_mov_b32 s20, 0x3bffffff
	v_cmp_lt_u32_e32 vcc, s20, v5
	s_mov_b64 s[20:21], 0
                                        ; implicit-def: $vgpr5
	s_and_saveexec_b64 s[22:23], vcc
	s_xor_b64 s[22:23], exec, s[22:23]
	s_cbranch_execz .LBB46_1025
; %bb.923:
	v_bfe_u32 v5, v1, 20, 1
	s_mov_b32 s24, 0x487ffff
	v_add3_u32 v5, v1, v5, s24
	s_mov_b64 s[20:21], exec
	v_lshrrev_b32_e32 v5, 20, v5
	s_andn2_saveexec_b64 s[22:23], s[22:23]
	s_cbranch_execnz .LBB46_1026
.LBB46_924:
	s_or_b64 exec, exec, s[22:23]
	v_mov_b32_e32 v6, 0
	s_and_saveexec_b64 s[22:23], s[20:21]
.LBB46_925:
	v_lshrrev_b32_e32 v1, 24, v1
	s_movk_i32 s20, 0x80
	v_and_or_b32 v6, v1, s20, v5
.LBB46_926:
	s_or_b64 exec, exec, s[22:23]
.LBB46_927:
	s_or_b64 exec, exec, s[18:19]
	global_store_byte v[2:3], v6, off
.LBB46_928:
	s_mov_b64 s[20:21], 0
.LBB46_929:
	s_mov_b64 s[18:19], 0
	s_and_b64 vcc, exec, s[20:21]
	s_cbranch_vccz .LBB46_969
; %bb.930:
	s_cmp_gt_i32 s27, 22
	s_mov_b64 s[20:21], -1
	s_cbranch_scc0 .LBB46_962
; %bb.931:
	s_cmp_lt_i32 s27, 24
	s_cbranch_scc1 .LBB46_951
; %bb.932:
	s_cmp_gt_i32 s27, 24
	s_cbranch_scc0 .LBB46_940
; %bb.933:
	v_cvt_f32_i32_sdwa v1, sext(v4) dst_sel:DWORD dst_unused:UNUSED_PAD src0_sel:WORD_0
	s_mov_b32 s20, 0x47800000
	v_mov_b32_e32 v6, 0x80
	v_and_b32_e32 v5, 0x7fffffff, v1
	v_cmp_gt_u32_e32 vcc, s20, v5
	s_and_saveexec_b64 s[20:21], vcc
	s_cbranch_execz .LBB46_939
; %bb.934:
	s_mov_b32 s22, 0x37ffffff
	v_cmp_lt_u32_e32 vcc, s22, v5
	s_mov_b64 s[22:23], 0
                                        ; implicit-def: $vgpr5
	s_and_saveexec_b64 s[24:25], vcc
	s_xor_b64 s[24:25], exec, s[24:25]
	s_cbranch_execz .LBB46_1145
; %bb.935:
	v_bfe_u32 v5, v1, 21, 1
	s_mov_b32 s28, 0x88fffff
	v_add3_u32 v5, v1, v5, s28
	s_mov_b64 s[22:23], exec
	v_lshrrev_b32_e32 v5, 21, v5
	s_andn2_saveexec_b64 s[24:25], s[24:25]
	s_cbranch_execnz .LBB46_1146
.LBB46_936:
	s_or_b64 exec, exec, s[24:25]
	v_mov_b32_e32 v6, 0
	s_and_saveexec_b64 s[24:25], s[22:23]
.LBB46_937:
	v_lshrrev_b32_e32 v1, 24, v1
	s_movk_i32 s22, 0x80
	v_and_or_b32 v6, v1, s22, v5
.LBB46_938:
	s_or_b64 exec, exec, s[24:25]
.LBB46_939:
	s_or_b64 exec, exec, s[20:21]
	s_mov_b64 s[20:21], 0
	global_store_byte v[2:3], v6, off
.LBB46_940:
	s_and_b64 vcc, exec, s[20:21]
	s_cbranch_vccz .LBB46_950
; %bb.941:
	v_cvt_f32_i32_sdwa v1, sext(v4) dst_sel:DWORD dst_unused:UNUSED_PAD src0_sel:WORD_0
	s_mov_b32 s20, 0x43f00000
                                        ; implicit-def: $vgpr5
	v_and_b32_e32 v6, 0x7fffffff, v1
	v_cmp_gt_u32_e32 vcc, s20, v6
	s_and_saveexec_b64 s[20:21], vcc
	s_xor_b64 s[20:21], exec, s[20:21]
	s_cbranch_execz .LBB46_947
; %bb.942:
	s_mov_b32 s22, 0x3c7fffff
	v_cmp_lt_u32_e32 vcc, s22, v6
                                        ; implicit-def: $vgpr5
	s_and_saveexec_b64 s[22:23], vcc
	s_xor_b64 s[22:23], exec, s[22:23]
; %bb.943:
	v_bfe_u32 v5, v1, 20, 1
	s_mov_b32 s24, 0x407ffff
	v_add3_u32 v5, v1, v5, s24
	v_lshrrev_b32_e32 v6, 20, v5
	v_and_b32_e32 v5, 0xff00000, v5
	s_mov_b32 s24, 0x7f00000
	v_mov_b32_e32 v7, 0x7e
	v_cmp_ne_u32_e32 vcc, s24, v5
	s_nop 1
	v_cndmask_b32_e32 v5, v7, v6, vcc
; %bb.944:
	s_andn2_saveexec_b64 s[22:23], s[22:23]
; %bb.945:
	s_mov_b32 s24, 0x46800000
	v_add_f32_e64 v5, |v1|, s24
; %bb.946:
	s_or_b64 exec, exec, s[22:23]
                                        ; implicit-def: $vgpr6
.LBB46_947:
	s_andn2_saveexec_b64 s[20:21], s[20:21]
; %bb.948:
	s_mov_b32 s22, 0x7f800000
	v_mov_b32_e32 v5, 0x7e
	v_mov_b32_e32 v7, 0x7f
	v_cmp_lt_u32_e32 vcc, s22, v6
	s_nop 1
	v_cndmask_b32_e32 v5, v5, v7, vcc
; %bb.949:
	s_or_b64 exec, exec, s[20:21]
	v_lshrrev_b32_e32 v1, 24, v1
	s_movk_i32 s20, 0x80
	v_and_or_b32 v1, v1, s20, v5
	global_store_byte v[2:3], v1, off
.LBB46_950:
	s_mov_b64 s[20:21], 0
.LBB46_951:
	s_andn2_b64 vcc, exec, s[20:21]
	s_cbranch_vccnz .LBB46_961
; %bb.952:
	v_cvt_f32_i32_sdwa v1, sext(v4) dst_sel:DWORD dst_unused:UNUSED_PAD src0_sel:WORD_0
	s_mov_b32 s20, 0x47800000
                                        ; implicit-def: $vgpr5
	v_and_b32_e32 v6, 0x7fffffff, v1
	v_cmp_gt_u32_e32 vcc, s20, v6
	s_and_saveexec_b64 s[20:21], vcc
	s_xor_b64 s[20:21], exec, s[20:21]
	s_cbranch_execz .LBB46_958
; %bb.953:
	s_mov_b32 s22, 0x387fffff
	v_cmp_lt_u32_e32 vcc, s22, v6
                                        ; implicit-def: $vgpr5
	s_and_saveexec_b64 s[22:23], vcc
	s_xor_b64 s[22:23], exec, s[22:23]
; %bb.954:
	v_bfe_u32 v5, v1, 21, 1
	s_mov_b32 s24, 0x80fffff
	v_add3_u32 v5, v1, v5, s24
	v_lshrrev_b32_e32 v5, 21, v5
; %bb.955:
	s_andn2_saveexec_b64 s[22:23], s[22:23]
; %bb.956:
	s_mov_b32 s24, 0x43000000
	v_add_f32_e64 v5, |v1|, s24
; %bb.957:
	s_or_b64 exec, exec, s[22:23]
                                        ; implicit-def: $vgpr6
.LBB46_958:
	s_andn2_saveexec_b64 s[20:21], s[20:21]
; %bb.959:
	s_mov_b32 s22, 0x7f800000
	v_mov_b32_e32 v5, 0x7c
	v_mov_b32_e32 v7, 0x7f
	v_cmp_lt_u32_e32 vcc, s22, v6
	s_nop 1
	v_cndmask_b32_e32 v5, v5, v7, vcc
; %bb.960:
	s_or_b64 exec, exec, s[20:21]
	v_lshrrev_b32_e32 v1, 24, v1
	s_movk_i32 s20, 0x80
	v_and_or_b32 v1, v1, s20, v5
	global_store_byte v[2:3], v1, off
.LBB46_961:
	s_mov_b64 s[20:21], 0
.LBB46_962:
	s_andn2_b64 vcc, exec, s[20:21]
	s_mov_b64 s[20:21], 0
	s_cbranch_vccnz .LBB46_970
; %bb.963:
	s_cmp_gt_i32 s27, 14
	s_mov_b64 s[22:23], -1
	s_cbranch_scc0 .LBB46_967
; %bb.964:
	s_cmp_eq_u32 s27, 15
	s_mov_b64 s[0:1], -1
	s_cbranch_scc0 .LBB46_966
; %bb.965:
	v_cvt_f32_i32_sdwa v1, sext(v4) dst_sel:DWORD dst_unused:UNUSED_PAD src0_sel:WORD_0
	s_movk_i32 s0, 0x7fff
	v_bfe_u32 v5, v1, 16, 1
	v_add3_u32 v1, v1, v5, s0
	global_store_short_d16_hi v[2:3], v1, off
	s_mov_b64 s[0:1], 0
.LBB46_966:
	s_mov_b64 s[22:23], 0
.LBB46_967:
	s_and_b64 vcc, exec, s[22:23]
	s_cbranch_vccz .LBB46_970
; %bb.968:
	s_cmp_lg_u32 s27, 11
	s_cselect_b64 s[22:23], -1, 0
	s_andn2_b64 s[0:1], s[0:1], exec
	s_and_b64 s[22:23], s[22:23], exec
	s_mov_b64 s[20:21], -1
	s_or_b64 s[0:1], s[0:1], s[22:23]
	s_branch .LBB46_970
.LBB46_969:
	s_mov_b64 s[20:21], 0
.LBB46_970:
	s_andn2_b64 s[12:13], s[12:13], exec
	s_and_b64 s[0:1], s[0:1], exec
	s_and_b64 s[18:19], s[18:19], exec
	;; [unrolled: 1-line block ×3, first 2 shown]
	s_or_b64 s[12:13], s[12:13], s[0:1]
	s_or_b64 exec, exec, s[14:15]
	s_and_saveexec_b64 s[0:1], s[12:13]
	s_cbranch_execz .LBB46_899
.LBB46_971:
	s_or_b64 s[16:17], s[16:17], exec
	s_andn2_b64 s[20:21], s[20:21], exec
	s_trap 2
	s_or_b64 exec, exec, s[0:1]
	s_and_saveexec_b64 s[0:1], s[20:21]
	s_xor_b64 s[0:1], exec, s[0:1]
	s_cbranch_execnz .LBB46_900
.LBB46_972:
	s_or_b64 exec, exec, s[0:1]
	s_and_saveexec_b64 s[0:1], s[18:19]
	s_xor_b64 s[0:1], exec, s[0:1]
	s_cbranch_execz .LBB46_1010
.LBB46_973:
	s_sext_i32_i16 s14, s26
	s_cmp_lt_i32 s14, 5
	s_mov_b64 s[12:13], -1
	s_cbranch_scc1 .LBB46_994
; %bb.974:
	s_cmp_lt_i32 s14, 8
	s_cbranch_scc1 .LBB46_984
; %bb.975:
	s_cmp_lt_i32 s14, 9
	s_cbranch_scc1 .LBB46_981
; %bb.976:
	s_cmp_gt_i32 s14, 9
	s_cbranch_scc0 .LBB46_978
; %bb.977:
	s_waitcnt vmcnt(0)
	v_bfe_i32 v0, v4, 0, 16
	v_mov_b32_e32 v8, 0
	v_cvt_f64_i32_e32 v[6:7], v0
	v_mov_b32_e32 v9, v8
	s_mov_b64 s[12:13], 0
	global_store_dwordx4 v[2:3], v[6:9], off
.LBB46_978:
	s_andn2_b64 vcc, exec, s[12:13]
	s_cbranch_vccnz .LBB46_980
; %bb.979:
	s_waitcnt vmcnt(0)
	v_cvt_f32_i32_sdwa v0, sext(v4) dst_sel:DWORD dst_unused:UNUSED_PAD src0_sel:WORD_0
	v_mov_b32_e32 v1, 0
	global_store_dwordx2 v[2:3], v[0:1], off
.LBB46_980:
	s_mov_b64 s[12:13], 0
.LBB46_981:
	s_andn2_b64 vcc, exec, s[12:13]
	s_cbranch_vccnz .LBB46_983
; %bb.982:
	s_waitcnt vmcnt(0)
	v_cvt_f16_i16_e32 v0, v4
	global_store_dword v[2:3], v0, off
.LBB46_983:
	s_mov_b64 s[12:13], 0
.LBB46_984:
	s_andn2_b64 vcc, exec, s[12:13]
	s_cbranch_vccnz .LBB46_993
; %bb.985:
	s_sext_i32_i16 s14, s26
	s_cmp_lt_i32 s14, 6
	s_mov_b64 s[12:13], -1
	s_cbranch_scc1 .LBB46_991
; %bb.986:
	s_cmp_gt_i32 s14, 6
	s_cbranch_scc0 .LBB46_988
; %bb.987:
	s_waitcnt vmcnt(0)
	v_bfe_i32 v0, v4, 0, 16
	v_cvt_f64_i32_e32 v[0:1], v0
	s_mov_b64 s[12:13], 0
	global_store_dwordx2 v[2:3], v[0:1], off
.LBB46_988:
	s_andn2_b64 vcc, exec, s[12:13]
	s_cbranch_vccnz .LBB46_990
; %bb.989:
	s_waitcnt vmcnt(0)
	v_cvt_f32_i32_sdwa v0, sext(v4) dst_sel:DWORD dst_unused:UNUSED_PAD src0_sel:WORD_0
	global_store_dword v[2:3], v0, off
.LBB46_990:
	s_mov_b64 s[12:13], 0
.LBB46_991:
	s_andn2_b64 vcc, exec, s[12:13]
	s_cbranch_vccnz .LBB46_993
; %bb.992:
	s_waitcnt vmcnt(0)
	v_cvt_f16_i16_e32 v0, v4
	global_store_short v[2:3], v0, off
.LBB46_993:
	s_mov_b64 s[12:13], 0
.LBB46_994:
	s_andn2_b64 vcc, exec, s[12:13]
	s_cbranch_vccnz .LBB46_1010
; %bb.995:
	s_sext_i32_i16 s14, s26
	s_cmp_lt_i32 s14, 2
	s_mov_b64 s[12:13], -1
	s_cbranch_scc1 .LBB46_1005
; %bb.996:
	s_cmp_lt_i32 s14, 3
	s_cbranch_scc1 .LBB46_1002
; %bb.997:
	s_cmp_gt_i32 s14, 3
	s_waitcnt vmcnt(0)
	v_bfe_i32 v0, v4, 0, 16
	s_cbranch_scc0 .LBB46_999
; %bb.998:
	v_ashrrev_i32_e32 v1, 31, v0
	s_mov_b64 s[12:13], 0
	global_store_dwordx2 v[2:3], v[0:1], off
.LBB46_999:
	s_andn2_b64 vcc, exec, s[12:13]
	s_cbranch_vccnz .LBB46_1001
; %bb.1000:
	global_store_dword v[2:3], v0, off
.LBB46_1001:
	s_mov_b64 s[12:13], 0
.LBB46_1002:
	s_andn2_b64 vcc, exec, s[12:13]
	s_cbranch_vccnz .LBB46_1004
; %bb.1003:
	global_store_short v[2:3], v4, off
.LBB46_1004:
	s_mov_b64 s[12:13], 0
.LBB46_1005:
	s_andn2_b64 vcc, exec, s[12:13]
	s_cbranch_vccnz .LBB46_1010
; %bb.1006:
	s_sext_i32_i16 s12, s26
	s_cmp_gt_i32 s12, 0
	s_mov_b64 s[12:13], -1
	s_cbranch_scc0 .LBB46_1008
; %bb.1007:
	s_mov_b64 s[12:13], 0
	global_store_byte v[2:3], v4, off
.LBB46_1008:
	s_andn2_b64 vcc, exec, s[12:13]
	s_cbranch_vccnz .LBB46_1010
; %bb.1009:
	global_store_byte v[2:3], v4, off
.LBB46_1010:
	s_or_b64 exec, exec, s[0:1]
	s_and_b64 s[12:13], s[16:17], exec
                                        ; implicit-def: $vgpr10
.LBB46_1011:
	s_or_saveexec_b64 s[2:3], s[2:3]
	s_mov_b64 s[0:1], 0
                                        ; implicit-def: $sgpr20
                                        ; implicit-def: $vgpr2_vgpr3
                                        ; implicit-def: $vgpr5
                                        ; implicit-def: $vgpr0
	s_xor_b64 exec, exec, s[2:3]
	s_cbranch_execz .LBB46_1396
; %bb.1012:
	s_waitcnt vmcnt(0)
	v_mul_lo_u32 v0, s9, v10
	v_ashrrev_i32_e32 v1, 31, v0
	s_and_b32 s20, 0xffff, s42
	s_cmp_lt_i32 s20, 11
	v_lshl_add_u64 v[2:3], s[6:7], 0, v[0:1]
	s_cbranch_scc1 .LBB46_1019
; %bb.1013:
	s_cmp_gt_i32 s20, 25
	s_cbranch_scc0 .LBB46_1021
; %bb.1014:
	s_cmp_gt_i32 s20, 28
	s_cbranch_scc0 .LBB46_1022
	;; [unrolled: 3-line block ×4, first 2 shown]
; %bb.1017:
	s_cmp_eq_u32 s20, 46
	s_mov_b64 s[14:15], 0
	s_cbranch_scc0 .LBB46_1027
; %bb.1018:
	global_load_dword v1, v[2:3], off
	s_mov_b64 s[16:17], -1
	s_waitcnt vmcnt(0)
	v_lshlrev_b32_e32 v1, 16, v1
	v_cvt_i32_f32_e32 v6, v1
	s_branch .LBB46_1028
.LBB46_1019:
	s_mov_b64 s[16:17], 0
                                        ; implicit-def: $vgpr6
	s_mov_b64 s[14:15], s[12:13]
	s_cbranch_execnz .LBB46_1086
.LBB46_1020:
	s_andn2_b64 vcc, exec, s[16:17]
	s_cbranch_vccz .LBB46_1131
	s_branch .LBB46_1393
.LBB46_1021:
	s_mov_b64 s[16:17], 0
                                        ; implicit-def: $vgpr6
	s_cbranch_execnz .LBB46_1053
	s_branch .LBB46_1082
.LBB46_1022:
	s_mov_b64 s[16:17], 0
                                        ; implicit-def: $vgpr6
	s_cbranch_execz .LBB46_1052
	s_branch .LBB46_1037
.LBB46_1023:
	s_mov_b64 s[16:17], 0
                                        ; implicit-def: $vgpr6
	s_cbranch_execnz .LBB46_1033
	s_branch .LBB46_1036
.LBB46_1024:
	s_mov_b64 s[14:15], -1
	s_mov_b64 s[16:17], 0
                                        ; implicit-def: $vgpr6
	s_branch .LBB46_1028
.LBB46_1025:
	s_andn2_saveexec_b64 s[22:23], s[22:23]
	s_cbranch_execz .LBB46_924
.LBB46_1026:
	s_mov_b32 s24, 0x46000000
	v_add_f32_e64 v5, |v1|, s24
	v_and_b32_e32 v5, 0xff, v5
	v_cmp_ne_u32_e32 vcc, 0, v5
	s_andn2_b64 s[20:21], s[20:21], exec
	s_and_b64 s[24:25], vcc, exec
	s_or_b64 s[20:21], s[20:21], s[24:25]
	s_or_b64 exec, exec, s[22:23]
	v_mov_b32_e32 v6, 0
	s_and_saveexec_b64 s[22:23], s[20:21]
	s_cbranch_execnz .LBB46_925
	s_branch .LBB46_926
.LBB46_1027:
	s_mov_b64 s[0:1], -1
                                        ; implicit-def: $vgpr6
	s_mov_b64 s[16:17], 0
.LBB46_1028:
	s_and_b64 vcc, exec, s[14:15]
	s_cbranch_vccz .LBB46_1031
; %bb.1029:
	s_cmp_eq_u32 s20, 44
	s_cbranch_scc0 .LBB46_1032
; %bb.1030:
	global_load_ubyte v1, v[2:3], off
	s_mov_b64 s[0:1], 0
	s_mov_b64 s[16:17], -1
	s_waitcnt vmcnt(0)
	v_lshlrev_b32_e32 v4, 23, v1
	v_cvt_i32_f32_e32 v4, v4
	v_cmp_ne_u32_e32 vcc, 0, v1
	s_nop 1
	v_cndmask_b32_e32 v6, 0, v4, vcc
.LBB46_1031:
	s_branch .LBB46_1036
.LBB46_1032:
	s_mov_b64 s[0:1], -1
                                        ; implicit-def: $vgpr6
	s_branch .LBB46_1036
.LBB46_1033:
	s_cmp_eq_u32 s20, 29
	s_cbranch_scc0 .LBB46_1035
; %bb.1034:
	global_load_dwordx2 v[6:7], v[2:3], off
	s_mov_b64 s[0:1], 0
	s_mov_b64 s[16:17], -1
	s_branch .LBB46_1036
.LBB46_1035:
	s_mov_b64 s[0:1], -1
                                        ; implicit-def: $vgpr6
.LBB46_1036:
	s_branch .LBB46_1052
.LBB46_1037:
	s_cmp_lt_i32 s20, 27
	s_cbranch_scc1 .LBB46_1040
; %bb.1038:
	s_cmp_gt_i32 s20, 27
	s_cbranch_scc0 .LBB46_1041
; %bb.1039:
	global_load_dword v6, v[2:3], off
	s_mov_b64 s[14:15], 0
	s_branch .LBB46_1042
.LBB46_1040:
	s_mov_b64 s[14:15], -1
                                        ; implicit-def: $vgpr6
	s_branch .LBB46_1045
.LBB46_1041:
	s_mov_b64 s[14:15], -1
                                        ; implicit-def: $vgpr6
.LBB46_1042:
	s_andn2_b64 vcc, exec, s[14:15]
	s_cbranch_vccnz .LBB46_1044
; %bb.1043:
	global_load_ushort v6, v[2:3], off
.LBB46_1044:
	s_mov_b64 s[14:15], 0
.LBB46_1045:
	s_andn2_b64 vcc, exec, s[14:15]
	s_cbranch_vccnz .LBB46_1051
; %bb.1046:
	global_load_ubyte v1, v[2:3], off
	s_movk_i32 s14, 0x7f
	s_mov_b64 s[16:17], 0
	s_waitcnt vmcnt(0)
	v_cmp_lt_i16_e32 vcc, s14, v1
	s_and_saveexec_b64 s[14:15], vcc
	s_xor_b64 s[14:15], exec, s[14:15]
	s_cbranch_execz .LBB46_1062
; %bb.1047:
	s_movk_i32 s16, 0x80
	v_cmp_ne_u16_e32 vcc, s16, v1
	s_and_b64 s[16:17], vcc, exec
	s_andn2_saveexec_b64 s[14:15], s[14:15]
	s_cbranch_execnz .LBB46_1063
.LBB46_1048:
	s_or_b64 exec, exec, s[14:15]
	v_mov_b32_e32 v6, 0
	s_and_saveexec_b64 s[14:15], s[16:17]
	s_cbranch_execz .LBB46_1050
.LBB46_1049:
	v_lshlrev_b32_e32 v4, 24, v1
	v_and_b32_e32 v1, 0xffff, v1
	v_and_b32_e32 v5, 7, v1
	v_ffbh_u32_e32 v7, v5
	v_min_u32_e32 v7, 32, v7
	v_subrev_u32_e32 v8, 28, v7
	v_bfe_u32 v6, v1, 3, 4
	v_lshlrev_b32_e32 v1, v8, v1
	v_sub_u32_e32 v7, 29, v7
	v_and_b32_e32 v1, 7, v1
	v_cmp_eq_u32_e32 vcc, 0, v6
	v_and_b32_e32 v4, 0x80000000, v4
	s_nop 0
	v_cndmask_b32_e32 v6, v6, v7, vcc
	v_cndmask_b32_e32 v1, v5, v1, vcc
	v_mov_b32_e32 v5, 0x3b800000
	v_lshlrev_b32_e32 v1, 20, v1
	v_lshl_add_u32 v5, v6, 23, v5
	v_or3_b32 v1, v4, v5, v1
	v_cvt_i32_f32_e32 v6, v1
.LBB46_1050:
	s_or_b64 exec, exec, s[14:15]
.LBB46_1051:
	s_mov_b64 s[16:17], -1
.LBB46_1052:
	s_branch .LBB46_1082
.LBB46_1053:
	s_cmp_gt_i32 s20, 22
	s_cbranch_scc0 .LBB46_1061
; %bb.1054:
	s_cmp_lt_i32 s20, 24
	s_cbranch_scc1 .LBB46_1064
; %bb.1055:
	s_cmp_gt_i32 s20, 24
	s_cbranch_scc0 .LBB46_1065
; %bb.1056:
	global_load_ubyte v1, v[2:3], off
	s_movk_i32 s10, 0x7f
	s_mov_b64 s[14:15], 0
	s_waitcnt vmcnt(0)
	v_cmp_lt_i16_e32 vcc, s10, v1
	s_and_saveexec_b64 s[10:11], vcc
	s_xor_b64 s[10:11], exec, s[10:11]
	s_cbranch_execz .LBB46_1076
; %bb.1057:
	s_movk_i32 s14, 0x80
	v_cmp_ne_u16_e32 vcc, s14, v1
	s_and_b64 s[14:15], vcc, exec
	s_andn2_saveexec_b64 s[10:11], s[10:11]
	s_cbranch_execnz .LBB46_1077
.LBB46_1058:
	s_or_b64 exec, exec, s[10:11]
	v_mov_b32_e32 v6, 0
	s_and_saveexec_b64 s[10:11], s[14:15]
	s_cbranch_execz .LBB46_1060
.LBB46_1059:
	v_lshlrev_b32_e32 v4, 24, v1
	v_and_b32_e32 v1, 0xffff, v1
	v_and_b32_e32 v5, 3, v1
	v_ffbh_u32_e32 v7, v5
	v_min_u32_e32 v7, 32, v7
	v_subrev_u32_e32 v8, 29, v7
	v_bfe_u32 v6, v1, 2, 5
	v_lshlrev_b32_e32 v1, v8, v1
	v_sub_u32_e32 v7, 30, v7
	v_and_b32_e32 v1, 3, v1
	v_cmp_eq_u32_e32 vcc, 0, v6
	v_and_b32_e32 v4, 0x80000000, v4
	s_nop 0
	v_cndmask_b32_e32 v6, v6, v7, vcc
	v_cndmask_b32_e32 v1, v5, v1, vcc
	v_mov_b32_e32 v5, 0x37800000
	v_lshlrev_b32_e32 v1, 21, v1
	v_lshl_add_u32 v5, v6, 23, v5
	v_or3_b32 v1, v4, v5, v1
	v_cvt_i32_f32_e32 v6, v1
.LBB46_1060:
	s_or_b64 exec, exec, s[10:11]
	s_mov_b64 s[10:11], 0
	s_branch .LBB46_1066
.LBB46_1061:
                                        ; implicit-def: $vgpr6
	s_mov_b64 s[10:11], 0
	s_branch .LBB46_1072
.LBB46_1062:
	s_andn2_saveexec_b64 s[14:15], s[14:15]
	s_cbranch_execz .LBB46_1048
.LBB46_1063:
	v_cmp_ne_u16_e32 vcc, 0, v1
	s_andn2_b64 s[16:17], s[16:17], exec
	s_and_b64 s[18:19], vcc, exec
	s_or_b64 s[16:17], s[16:17], s[18:19]
	s_or_b64 exec, exec, s[14:15]
	v_mov_b32_e32 v6, 0
	s_and_saveexec_b64 s[14:15], s[16:17]
	s_cbranch_execnz .LBB46_1049
	s_branch .LBB46_1050
.LBB46_1064:
	s_mov_b64 s[10:11], -1
                                        ; implicit-def: $vgpr6
	s_branch .LBB46_1069
.LBB46_1065:
	s_mov_b64 s[10:11], -1
                                        ; implicit-def: $vgpr6
.LBB46_1066:
	s_and_b64 vcc, exec, s[10:11]
	s_cbranch_vccz .LBB46_1068
; %bb.1067:
	global_load_ubyte v1, v[2:3], off
	s_mov_b32 s10, 0x7f800000
	s_waitcnt vmcnt(0)
	v_lshlrev_b32_e32 v1, 24, v1
	v_and_b32_e32 v4, 0x7f000000, v1
	v_ffbh_u32_e32 v5, v4
	v_min_u32_e32 v5, 32, v5
	v_sub_u32_e64 v5, v5, 4 clamp
	v_lshlrev_b32_e32 v7, v5, v4
	v_lshlrev_b32_e32 v5, 23, v5
	v_lshrrev_b32_e32 v7, 4, v7
	v_add_u32_e32 v6, 0x1000000, v4
	v_sub_u32_e32 v5, v7, v5
	v_ashrrev_i32_e32 v6, 8, v6
	v_add_u32_e32 v5, 0x3c000000, v5
	v_and_or_b32 v5, v6, s10, v5
	v_cmp_ne_u32_e32 vcc, 0, v4
	s_brev_b32 s10, 1
	s_nop 0
	v_cndmask_b32_e32 v4, 0, v5, vcc
	v_and_or_b32 v1, v1, s10, v4
	v_cvt_i32_f32_e32 v6, v1
.LBB46_1068:
	s_mov_b64 s[10:11], 0
.LBB46_1069:
	s_andn2_b64 vcc, exec, s[10:11]
	s_cbranch_vccnz .LBB46_1071
; %bb.1070:
	global_load_ubyte v1, v[2:3], off
	s_movk_i32 s10, 0x7f00
	s_brev_b32 s11, 16
	s_waitcnt vmcnt(0)
	v_lshlrev_b16_e32 v4, 8, v1
	v_lshlrev_b32_e32 v1, 25, v1
	v_lshrrev_b32_e32 v5, 4, v1
	v_and_or_b32 v6, v4, s10, 0.5
	v_or_b32_e32 v5, 0x70000000, v5
	v_add_f32_e32 v6, -0.5, v6
	v_mul_f32_e32 v5, 0x7800000, v5
	v_cmp_gt_u32_e32 vcc, s11, v1
	v_bfe_i32 v4, v4, 0, 16
	s_brev_b32 s10, 1
	v_cndmask_b32_e32 v1, v5, v6, vcc
	v_and_or_b32 v1, v4, s10, v1
	v_cvt_i32_f32_e32 v6, v1
.LBB46_1071:
	s_mov_b64 s[16:17], -1
	s_mov_b64 s[10:11], 0
	s_cbranch_execnz .LBB46_1082
.LBB46_1072:
	s_cmp_gt_i32 s20, 14
	s_cbranch_scc0 .LBB46_1075
; %bb.1073:
	s_cmp_eq_u32 s20, 15
	s_cbranch_scc0 .LBB46_1078
; %bb.1074:
	global_load_ushort v1, v[2:3], off
	s_mov_b64 s[0:1], 0
	s_mov_b64 s[16:17], -1
	s_waitcnt vmcnt(0)
	v_lshlrev_b32_e32 v1, 16, v1
	v_cvt_i32_f32_e32 v6, v1
	s_branch .LBB46_1079
.LBB46_1075:
	s_mov_b64 s[14:15], -1
                                        ; implicit-def: $vgpr6
	s_branch .LBB46_1080
.LBB46_1076:
	s_andn2_saveexec_b64 s[10:11], s[10:11]
	s_cbranch_execz .LBB46_1058
.LBB46_1077:
	v_cmp_ne_u16_e32 vcc, 0, v1
	s_andn2_b64 s[14:15], s[14:15], exec
	s_and_b64 s[16:17], vcc, exec
	s_or_b64 s[14:15], s[14:15], s[16:17]
	s_or_b64 exec, exec, s[10:11]
	v_mov_b32_e32 v6, 0
	s_and_saveexec_b64 s[10:11], s[14:15]
	s_cbranch_execnz .LBB46_1059
	s_branch .LBB46_1060
.LBB46_1078:
	s_mov_b64 s[0:1], -1
                                        ; implicit-def: $vgpr6
.LBB46_1079:
	s_mov_b64 s[14:15], 0
.LBB46_1080:
	s_and_b64 vcc, exec, s[14:15]
	s_cbranch_vccz .LBB46_1082
; %bb.1081:
	s_cmp_lg_u32 s20, 11
	s_mov_b64 s[10:11], -1
	s_cselect_b64 s[0:1], -1, 0
.LBB46_1082:
	s_and_b64 vcc, exec, s[0:1]
	s_mov_b64 s[14:15], s[12:13]
	s_cbranch_vccnz .LBB46_1143
; %bb.1083:
	s_andn2_b64 vcc, exec, s[10:11]
	s_cbranch_vccnz .LBB46_1085
.LBB46_1084:
	global_load_ubyte v1, v[2:3], off
	s_mov_b64 s[16:17], -1
	s_waitcnt vmcnt(0)
	v_cmp_ne_u16_e32 vcc, 0, v1
	s_nop 1
	v_cndmask_b32_e64 v6, 0, 1, vcc
.LBB46_1085:
	s_branch .LBB46_1020
.LBB46_1086:
	s_cmp_lt_i32 s20, 5
	s_cbranch_scc1 .LBB46_1091
; %bb.1087:
	s_cmp_lt_i32 s20, 8
	s_cbranch_scc1 .LBB46_1092
; %bb.1088:
	s_cmp_lt_i32 s20, 9
	s_cbranch_scc1 .LBB46_1093
; %bb.1089:
	s_cmp_gt_i32 s20, 9
	s_cbranch_scc0 .LBB46_1094
; %bb.1090:
	global_load_dwordx2 v[4:5], v[2:3], off
	s_mov_b64 s[0:1], 0
	s_waitcnt vmcnt(0)
	v_cvt_i32_f64_e32 v6, v[4:5]
	s_branch .LBB46_1095
.LBB46_1091:
                                        ; implicit-def: $vgpr6
	s_branch .LBB46_1112
.LBB46_1092:
                                        ; implicit-def: $vgpr6
	s_branch .LBB46_1101
.LBB46_1093:
	s_mov_b64 s[0:1], -1
                                        ; implicit-def: $vgpr6
	s_branch .LBB46_1098
.LBB46_1094:
	s_mov_b64 s[0:1], -1
                                        ; implicit-def: $vgpr6
.LBB46_1095:
	s_andn2_b64 vcc, exec, s[0:1]
	s_cbranch_vccnz .LBB46_1097
; %bb.1096:
	global_load_dword v1, v[2:3], off
	s_waitcnt vmcnt(0)
	v_cvt_i32_f32_e32 v6, v1
.LBB46_1097:
	s_mov_b64 s[0:1], 0
.LBB46_1098:
	s_andn2_b64 vcc, exec, s[0:1]
	s_cbranch_vccnz .LBB46_1100
; %bb.1099:
	global_load_dword v1, v[2:3], off
	s_waitcnt vmcnt(0)
	v_cvt_i16_f16_e32 v6, v1
.LBB46_1100:
	s_cbranch_execnz .LBB46_1111
.LBB46_1101:
	s_cmp_lt_i32 s20, 6
	s_cbranch_scc1 .LBB46_1104
; %bb.1102:
	s_cmp_gt_i32 s20, 6
	s_cbranch_scc0 .LBB46_1105
; %bb.1103:
	global_load_dwordx2 v[4:5], v[2:3], off
	s_mov_b64 s[0:1], 0
	s_waitcnt vmcnt(0)
	v_cvt_i32_f64_e32 v6, v[4:5]
	s_branch .LBB46_1106
.LBB46_1104:
	s_mov_b64 s[0:1], -1
                                        ; implicit-def: $vgpr6
	s_branch .LBB46_1109
.LBB46_1105:
	s_mov_b64 s[0:1], -1
                                        ; implicit-def: $vgpr6
.LBB46_1106:
	s_andn2_b64 vcc, exec, s[0:1]
	s_cbranch_vccnz .LBB46_1108
; %bb.1107:
	global_load_dword v1, v[2:3], off
	s_waitcnt vmcnt(0)
	v_cvt_i32_f32_e32 v6, v1
.LBB46_1108:
	s_mov_b64 s[0:1], 0
.LBB46_1109:
	s_andn2_b64 vcc, exec, s[0:1]
	s_cbranch_vccnz .LBB46_1111
; %bb.1110:
	global_load_ushort v1, v[2:3], off
	s_waitcnt vmcnt(0)
	v_cvt_i16_f16_e32 v6, v1
.LBB46_1111:
	s_cbranch_execnz .LBB46_1130
.LBB46_1112:
	s_cmp_lt_i32 s20, 2
	s_cbranch_scc1 .LBB46_1116
; %bb.1113:
	s_cmp_lt_i32 s20, 3
	s_cbranch_scc1 .LBB46_1117
; %bb.1114:
	s_cmp_gt_i32 s20, 3
	s_cbranch_scc0 .LBB46_1118
; %bb.1115:
	global_load_dwordx2 v[6:7], v[2:3], off
	s_mov_b64 s[0:1], 0
	s_branch .LBB46_1119
.LBB46_1116:
                                        ; implicit-def: $vgpr6
	s_branch .LBB46_1125
.LBB46_1117:
	s_mov_b64 s[0:1], -1
                                        ; implicit-def: $vgpr6
	s_branch .LBB46_1122
.LBB46_1118:
	s_mov_b64 s[0:1], -1
                                        ; implicit-def: $vgpr6
.LBB46_1119:
	s_andn2_b64 vcc, exec, s[0:1]
	s_cbranch_vccnz .LBB46_1121
; %bb.1120:
	global_load_dword v6, v[2:3], off
.LBB46_1121:
	s_mov_b64 s[0:1], 0
.LBB46_1122:
	s_andn2_b64 vcc, exec, s[0:1]
	s_cbranch_vccnz .LBB46_1124
; %bb.1123:
	global_load_ushort v6, v[2:3], off
.LBB46_1124:
	s_cbranch_execnz .LBB46_1130
.LBB46_1125:
	s_cmp_gt_i32 s20, 0
	s_cbranch_scc0 .LBB46_1127
; %bb.1126:
	global_load_sbyte v6, v[2:3], off
	s_mov_b64 s[0:1], 0
	s_branch .LBB46_1128
.LBB46_1127:
	s_mov_b64 s[0:1], -1
                                        ; implicit-def: $vgpr6
.LBB46_1128:
	s_andn2_b64 vcc, exec, s[0:1]
	s_cbranch_vccnz .LBB46_1130
; %bb.1129:
	global_load_ubyte v6, v[2:3], off
.LBB46_1130:
.LBB46_1131:
	s_lshl_b32 s9, s9, 7
	v_add_u32_e32 v0, s9, v0
	v_ashrrev_i32_e32 v1, 31, v0
	s_cmp_lt_i32 s20, 11
	v_lshl_add_u64 v[2:3], s[6:7], 0, v[0:1]
	s_cbranch_scc1 .LBB46_1138
; %bb.1132:
	s_cmp_gt_i32 s20, 25
	s_mov_b64 s[10:11], 0
	s_cbranch_scc0 .LBB46_1140
; %bb.1133:
	s_cmp_gt_i32 s20, 28
	s_cbranch_scc0 .LBB46_1141
; %bb.1134:
	s_cmp_gt_i32 s20, 43
	;; [unrolled: 3-line block ×3, first 2 shown]
	s_cbranch_scc0 .LBB46_1144
; %bb.1136:
	s_cmp_eq_u32 s20, 46
	s_mov_b64 s[18:19], 0
	s_cbranch_scc0 .LBB46_1147
; %bb.1137:
	global_load_dword v1, v[2:3], off
	s_mov_b64 s[0:1], 0
	s_mov_b64 s[16:17], -1
	s_waitcnt vmcnt(0)
	v_lshlrev_b32_e32 v1, 16, v1
	v_cvt_i32_f32_e32 v4, v1
	s_branch .LBB46_1148
.LBB46_1138:
	s_mov_b64 s[16:17], 0
                                        ; implicit-def: $vgpr4
	s_cbranch_execnz .LBB46_1209
.LBB46_1139:
	s_andn2_b64 vcc, exec, s[16:17]
	s_cbranch_vccz .LBB46_1256
	s_branch .LBB46_1393
.LBB46_1140:
	s_mov_b64 s[16:17], 0
	s_mov_b64 s[0:1], 0
                                        ; implicit-def: $vgpr4
	s_cbranch_execnz .LBB46_1175
	s_branch .LBB46_1205
.LBB46_1141:
	s_mov_b64 s[18:19], -1
	s_mov_b64 s[16:17], 0
	s_mov_b64 s[0:1], 0
                                        ; implicit-def: $vgpr4
	s_branch .LBB46_1158
.LBB46_1142:
	s_mov_b64 s[18:19], -1
	s_mov_b64 s[16:17], 0
	s_mov_b64 s[0:1], 0
                                        ; implicit-def: $vgpr4
	s_branch .LBB46_1153
.LBB46_1143:
	s_or_b64 s[14:15], s[12:13], exec
	s_trap 2
	s_cbranch_execz .LBB46_1084
	s_branch .LBB46_1085
.LBB46_1144:
	s_mov_b64 s[18:19], -1
	s_mov_b64 s[16:17], 0
	s_mov_b64 s[0:1], 0
                                        ; implicit-def: $vgpr4
	s_branch .LBB46_1148
.LBB46_1145:
	s_andn2_saveexec_b64 s[24:25], s[24:25]
	s_cbranch_execz .LBB46_936
.LBB46_1146:
	s_mov_b32 s28, 0x42800000
	v_add_f32_e64 v5, |v1|, s28
	v_and_b32_e32 v5, 0xff, v5
	v_cmp_ne_u32_e32 vcc, 0, v5
	s_andn2_b64 s[22:23], s[22:23], exec
	s_and_b64 s[28:29], vcc, exec
	s_or_b64 s[22:23], s[22:23], s[28:29]
	s_or_b64 exec, exec, s[24:25]
	v_mov_b32_e32 v6, 0
	s_and_saveexec_b64 s[24:25], s[22:23]
	s_cbranch_execnz .LBB46_937
	s_branch .LBB46_938
.LBB46_1147:
	s_mov_b64 s[0:1], -1
                                        ; implicit-def: $vgpr4
	s_mov_b64 s[16:17], 0
.LBB46_1148:
	s_and_b64 vcc, exec, s[18:19]
	s_cbranch_vccz .LBB46_1152
; %bb.1149:
	s_cmp_eq_u32 s20, 44
	s_cbranch_scc0 .LBB46_1151
; %bb.1150:
	global_load_ubyte v1, v[2:3], off
	s_mov_b64 s[0:1], 0
	s_mov_b64 s[16:17], -1
	s_waitcnt vmcnt(0)
	v_lshlrev_b32_e32 v4, 23, v1
	v_cvt_i32_f32_e32 v4, v4
	v_cmp_ne_u32_e32 vcc, 0, v1
	s_nop 1
	v_cndmask_b32_e32 v4, 0, v4, vcc
	s_branch .LBB46_1152
.LBB46_1151:
	s_mov_b64 s[0:1], -1
                                        ; implicit-def: $vgpr4
.LBB46_1152:
	s_mov_b64 s[18:19], 0
.LBB46_1153:
	s_and_b64 vcc, exec, s[18:19]
	s_cbranch_vccz .LBB46_1157
; %bb.1154:
	s_cmp_eq_u32 s20, 29
	s_cbranch_scc0 .LBB46_1156
; %bb.1155:
	global_load_dwordx2 v[4:5], v[2:3], off
	s_mov_b64 s[0:1], 0
	s_mov_b64 s[16:17], -1
	s_branch .LBB46_1157
.LBB46_1156:
	s_mov_b64 s[0:1], -1
                                        ; implicit-def: $vgpr4
.LBB46_1157:
	s_mov_b64 s[18:19], 0
.LBB46_1158:
	s_and_b64 vcc, exec, s[18:19]
	s_cbranch_vccz .LBB46_1174
; %bb.1159:
	s_cmp_lt_i32 s20, 27
	s_cbranch_scc1 .LBB46_1162
; %bb.1160:
	s_cmp_gt_i32 s20, 27
	s_cbranch_scc0 .LBB46_1163
; %bb.1161:
	global_load_dword v4, v[2:3], off
	s_mov_b64 s[16:17], 0
	s_branch .LBB46_1164
.LBB46_1162:
	s_mov_b64 s[16:17], -1
                                        ; implicit-def: $vgpr4
	s_branch .LBB46_1167
.LBB46_1163:
	s_mov_b64 s[16:17], -1
                                        ; implicit-def: $vgpr4
.LBB46_1164:
	s_andn2_b64 vcc, exec, s[16:17]
	s_cbranch_vccnz .LBB46_1166
; %bb.1165:
	global_load_ushort v4, v[2:3], off
.LBB46_1166:
	s_mov_b64 s[16:17], 0
.LBB46_1167:
	s_andn2_b64 vcc, exec, s[16:17]
	s_cbranch_vccnz .LBB46_1173
; %bb.1168:
	global_load_ubyte v1, v[2:3], off
	s_movk_i32 s16, 0x7f
	s_mov_b64 s[18:19], 0
	s_waitcnt vmcnt(0)
	v_cmp_lt_i16_e32 vcc, s16, v1
	s_and_saveexec_b64 s[16:17], vcc
	s_xor_b64 s[16:17], exec, s[16:17]
	s_cbranch_execz .LBB46_1184
; %bb.1169:
	s_movk_i32 s18, 0x80
	v_cmp_ne_u16_e32 vcc, s18, v1
	s_and_b64 s[18:19], vcc, exec
	s_andn2_saveexec_b64 s[16:17], s[16:17]
	s_cbranch_execnz .LBB46_1185
.LBB46_1170:
	s_or_b64 exec, exec, s[16:17]
	v_mov_b32_e32 v4, 0
	s_and_saveexec_b64 s[16:17], s[18:19]
	s_cbranch_execz .LBB46_1172
.LBB46_1171:
	v_lshlrev_b32_e32 v4, 24, v1
	v_and_b32_e32 v1, 0xffff, v1
	v_and_b32_e32 v5, 7, v1
	v_ffbh_u32_e32 v8, v5
	v_min_u32_e32 v8, 32, v8
	v_subrev_u32_e32 v9, 28, v8
	v_bfe_u32 v7, v1, 3, 4
	v_lshlrev_b32_e32 v1, v9, v1
	v_sub_u32_e32 v8, 29, v8
	v_and_b32_e32 v1, 7, v1
	v_cmp_eq_u32_e32 vcc, 0, v7
	v_and_b32_e32 v4, 0x80000000, v4
	s_nop 0
	v_cndmask_b32_e32 v7, v7, v8, vcc
	v_cndmask_b32_e32 v1, v5, v1, vcc
	v_mov_b32_e32 v5, 0x3b800000
	v_lshlrev_b32_e32 v1, 20, v1
	v_lshl_add_u32 v5, v7, 23, v5
	v_or3_b32 v1, v4, v5, v1
	v_cvt_i32_f32_e32 v4, v1
.LBB46_1172:
	s_or_b64 exec, exec, s[16:17]
.LBB46_1173:
	s_mov_b64 s[16:17], -1
.LBB46_1174:
	s_branch .LBB46_1205
.LBB46_1175:
	s_cmp_gt_i32 s20, 22
	s_cbranch_scc0 .LBB46_1183
; %bb.1176:
	s_cmp_lt_i32 s20, 24
	s_cbranch_scc1 .LBB46_1186
; %bb.1177:
	s_cmp_gt_i32 s20, 24
	s_cbranch_scc0 .LBB46_1187
; %bb.1178:
	global_load_ubyte v1, v[2:3], off
	s_movk_i32 s10, 0x7f
	s_mov_b64 s[16:17], 0
	s_waitcnt vmcnt(0)
	v_cmp_lt_i16_e32 vcc, s10, v1
	s_and_saveexec_b64 s[10:11], vcc
	s_xor_b64 s[10:11], exec, s[10:11]
	s_cbranch_execz .LBB46_1199
; %bb.1179:
	s_movk_i32 s16, 0x80
	v_cmp_ne_u16_e32 vcc, s16, v1
	s_and_b64 s[16:17], vcc, exec
	s_andn2_saveexec_b64 s[10:11], s[10:11]
	s_cbranch_execnz .LBB46_1200
.LBB46_1180:
	s_or_b64 exec, exec, s[10:11]
	v_mov_b32_e32 v4, 0
	s_and_saveexec_b64 s[10:11], s[16:17]
	s_cbranch_execz .LBB46_1182
.LBB46_1181:
	v_lshlrev_b32_e32 v4, 24, v1
	v_and_b32_e32 v1, 0xffff, v1
	v_and_b32_e32 v5, 3, v1
	v_ffbh_u32_e32 v8, v5
	v_min_u32_e32 v8, 32, v8
	v_subrev_u32_e32 v9, 29, v8
	v_bfe_u32 v7, v1, 2, 5
	v_lshlrev_b32_e32 v1, v9, v1
	v_sub_u32_e32 v8, 30, v8
	v_and_b32_e32 v1, 3, v1
	v_cmp_eq_u32_e32 vcc, 0, v7
	v_and_b32_e32 v4, 0x80000000, v4
	s_nop 0
	v_cndmask_b32_e32 v7, v7, v8, vcc
	v_cndmask_b32_e32 v1, v5, v1, vcc
	v_mov_b32_e32 v5, 0x37800000
	v_lshlrev_b32_e32 v1, 21, v1
	v_lshl_add_u32 v5, v7, 23, v5
	v_or3_b32 v1, v4, v5, v1
	v_cvt_i32_f32_e32 v4, v1
.LBB46_1182:
	s_or_b64 exec, exec, s[10:11]
	s_mov_b64 s[10:11], 0
	s_branch .LBB46_1188
.LBB46_1183:
	s_mov_b64 s[10:11], -1
                                        ; implicit-def: $vgpr4
	s_branch .LBB46_1194
.LBB46_1184:
	s_andn2_saveexec_b64 s[16:17], s[16:17]
	s_cbranch_execz .LBB46_1170
.LBB46_1185:
	v_cmp_ne_u16_e32 vcc, 0, v1
	s_andn2_b64 s[18:19], s[18:19], exec
	s_and_b64 s[22:23], vcc, exec
	s_or_b64 s[18:19], s[18:19], s[22:23]
	s_or_b64 exec, exec, s[16:17]
	v_mov_b32_e32 v4, 0
	s_and_saveexec_b64 s[16:17], s[18:19]
	s_cbranch_execnz .LBB46_1171
	s_branch .LBB46_1172
.LBB46_1186:
	s_mov_b64 s[10:11], -1
                                        ; implicit-def: $vgpr4
	s_branch .LBB46_1191
.LBB46_1187:
	s_mov_b64 s[10:11], -1
                                        ; implicit-def: $vgpr4
.LBB46_1188:
	s_and_b64 vcc, exec, s[10:11]
	s_cbranch_vccz .LBB46_1190
; %bb.1189:
	global_load_ubyte v1, v[2:3], off
	s_mov_b32 s10, 0x7f800000
	s_waitcnt vmcnt(0)
	v_lshlrev_b32_e32 v1, 24, v1
	v_and_b32_e32 v4, 0x7f000000, v1
	v_ffbh_u32_e32 v5, v4
	v_min_u32_e32 v5, 32, v5
	v_sub_u32_e64 v5, v5, 4 clamp
	v_lshlrev_b32_e32 v8, v5, v4
	v_lshlrev_b32_e32 v5, 23, v5
	v_lshrrev_b32_e32 v8, 4, v8
	v_add_u32_e32 v7, 0x1000000, v4
	v_sub_u32_e32 v5, v8, v5
	v_ashrrev_i32_e32 v7, 8, v7
	v_add_u32_e32 v5, 0x3c000000, v5
	v_and_or_b32 v5, v7, s10, v5
	v_cmp_ne_u32_e32 vcc, 0, v4
	s_brev_b32 s10, 1
	s_nop 0
	v_cndmask_b32_e32 v4, 0, v5, vcc
	v_and_or_b32 v1, v1, s10, v4
	v_cvt_i32_f32_e32 v4, v1
.LBB46_1190:
	s_mov_b64 s[10:11], 0
.LBB46_1191:
	s_andn2_b64 vcc, exec, s[10:11]
	s_cbranch_vccnz .LBB46_1193
; %bb.1192:
	global_load_ubyte v1, v[2:3], off
	s_movk_i32 s10, 0x7f00
	s_brev_b32 s11, 16
	s_waitcnt vmcnt(0)
	v_lshlrev_b16_e32 v4, 8, v1
	v_lshlrev_b32_e32 v1, 25, v1
	v_lshrrev_b32_e32 v5, 4, v1
	v_and_or_b32 v7, v4, s10, 0.5
	v_or_b32_e32 v5, 0x70000000, v5
	v_add_f32_e32 v7, -0.5, v7
	v_mul_f32_e32 v5, 0x7800000, v5
	v_cmp_gt_u32_e32 vcc, s11, v1
	v_bfe_i32 v4, v4, 0, 16
	s_brev_b32 s10, 1
	v_cndmask_b32_e32 v1, v5, v7, vcc
	v_and_or_b32 v1, v4, s10, v1
	v_cvt_i32_f32_e32 v4, v1
.LBB46_1193:
	s_mov_b64 s[10:11], 0
	s_mov_b64 s[16:17], -1
.LBB46_1194:
	s_andn2_b64 vcc, exec, s[10:11]
	s_mov_b64 s[10:11], 0
	s_cbranch_vccnz .LBB46_1205
; %bb.1195:
	s_cmp_gt_i32 s20, 14
	s_cbranch_scc0 .LBB46_1198
; %bb.1196:
	s_cmp_eq_u32 s20, 15
	s_cbranch_scc0 .LBB46_1201
; %bb.1197:
	global_load_ushort v1, v[2:3], off
	s_mov_b64 s[0:1], 0
	s_mov_b64 s[16:17], -1
	s_waitcnt vmcnt(0)
	v_lshlrev_b32_e32 v1, 16, v1
	v_cvt_i32_f32_e32 v4, v1
	s_branch .LBB46_1202
.LBB46_1198:
	s_mov_b64 s[18:19], -1
                                        ; implicit-def: $vgpr4
	s_branch .LBB46_1203
.LBB46_1199:
	s_andn2_saveexec_b64 s[10:11], s[10:11]
	s_cbranch_execz .LBB46_1180
.LBB46_1200:
	v_cmp_ne_u16_e32 vcc, 0, v1
	s_andn2_b64 s[16:17], s[16:17], exec
	s_and_b64 s[18:19], vcc, exec
	s_or_b64 s[16:17], s[16:17], s[18:19]
	s_or_b64 exec, exec, s[10:11]
	v_mov_b32_e32 v4, 0
	s_and_saveexec_b64 s[10:11], s[16:17]
	s_cbranch_execnz .LBB46_1181
	s_branch .LBB46_1182
.LBB46_1201:
	s_mov_b64 s[0:1], -1
                                        ; implicit-def: $vgpr4
.LBB46_1202:
	s_mov_b64 s[18:19], 0
.LBB46_1203:
	s_and_b64 vcc, exec, s[18:19]
	s_cbranch_vccz .LBB46_1205
; %bb.1204:
	s_cmp_lg_u32 s20, 11
	s_mov_b64 s[10:11], -1
	s_cselect_b64 s[0:1], -1, 0
.LBB46_1205:
	s_and_b64 vcc, exec, s[0:1]
	s_cbranch_vccnz .LBB46_1278
; %bb.1206:
	s_andn2_b64 vcc, exec, s[10:11]
	s_cbranch_vccnz .LBB46_1208
.LBB46_1207:
	global_load_ubyte v1, v[2:3], off
	s_mov_b64 s[16:17], -1
	s_waitcnt vmcnt(0)
	v_cmp_ne_u16_e32 vcc, 0, v1
	s_nop 1
	v_cndmask_b32_e64 v4, 0, 1, vcc
.LBB46_1208:
	s_branch .LBB46_1139
.LBB46_1209:
	s_cmp_lt_i32 s20, 5
	s_cbranch_scc1 .LBB46_1214
; %bb.1210:
	s_cmp_lt_i32 s20, 8
	s_cbranch_scc1 .LBB46_1215
; %bb.1211:
	;; [unrolled: 3-line block ×3, first 2 shown]
	s_cmp_gt_i32 s20, 9
	s_cbranch_scc0 .LBB46_1217
; %bb.1213:
	global_load_dwordx2 v[4:5], v[2:3], off
	s_mov_b64 s[0:1], 0
	s_waitcnt vmcnt(0)
	v_cvt_i32_f64_e32 v4, v[4:5]
	s_branch .LBB46_1218
.LBB46_1214:
                                        ; implicit-def: $vgpr4
	s_branch .LBB46_1236
.LBB46_1215:
	s_mov_b64 s[0:1], -1
                                        ; implicit-def: $vgpr4
	s_branch .LBB46_1224
.LBB46_1216:
	s_mov_b64 s[0:1], -1
                                        ; implicit-def: $vgpr4
	s_branch .LBB46_1221
.LBB46_1217:
	s_mov_b64 s[0:1], -1
                                        ; implicit-def: $vgpr4
.LBB46_1218:
	s_andn2_b64 vcc, exec, s[0:1]
	s_cbranch_vccnz .LBB46_1220
; %bb.1219:
	global_load_dword v1, v[2:3], off
	s_waitcnt vmcnt(0)
	v_cvt_i32_f32_e32 v4, v1
.LBB46_1220:
	s_mov_b64 s[0:1], 0
.LBB46_1221:
	s_andn2_b64 vcc, exec, s[0:1]
	s_cbranch_vccnz .LBB46_1223
; %bb.1222:
	global_load_dword v1, v[2:3], off
	s_waitcnt vmcnt(0)
	v_cvt_i16_f16_e32 v4, v1
.LBB46_1223:
	s_mov_b64 s[0:1], 0
.LBB46_1224:
	s_andn2_b64 vcc, exec, s[0:1]
	s_cbranch_vccnz .LBB46_1235
; %bb.1225:
	s_cmp_lt_i32 s20, 6
	s_cbranch_scc1 .LBB46_1228
; %bb.1226:
	s_cmp_gt_i32 s20, 6
	s_cbranch_scc0 .LBB46_1229
; %bb.1227:
	global_load_dwordx2 v[4:5], v[2:3], off
	s_mov_b64 s[0:1], 0
	s_waitcnt vmcnt(0)
	v_cvt_i32_f64_e32 v4, v[4:5]
	s_branch .LBB46_1230
.LBB46_1228:
	s_mov_b64 s[0:1], -1
                                        ; implicit-def: $vgpr4
	s_branch .LBB46_1233
.LBB46_1229:
	s_mov_b64 s[0:1], -1
                                        ; implicit-def: $vgpr4
.LBB46_1230:
	s_andn2_b64 vcc, exec, s[0:1]
	s_cbranch_vccnz .LBB46_1232
; %bb.1231:
	global_load_dword v1, v[2:3], off
	s_waitcnt vmcnt(0)
	v_cvt_i32_f32_e32 v4, v1
.LBB46_1232:
	s_mov_b64 s[0:1], 0
.LBB46_1233:
	s_andn2_b64 vcc, exec, s[0:1]
	s_cbranch_vccnz .LBB46_1235
; %bb.1234:
	global_load_ushort v1, v[2:3], off
	s_waitcnt vmcnt(0)
	v_cvt_i16_f16_e32 v4, v1
.LBB46_1235:
	s_cbranch_execnz .LBB46_1255
.LBB46_1236:
	s_cmp_lt_i32 s20, 2
	s_cbranch_scc1 .LBB46_1240
; %bb.1237:
	s_cmp_lt_i32 s20, 3
	s_cbranch_scc1 .LBB46_1241
; %bb.1238:
	s_cmp_gt_i32 s20, 3
	s_cbranch_scc0 .LBB46_1242
; %bb.1239:
	global_load_dwordx2 v[4:5], v[2:3], off
	s_mov_b64 s[0:1], 0
	s_branch .LBB46_1243
.LBB46_1240:
	s_mov_b64 s[0:1], -1
                                        ; implicit-def: $vgpr4
	s_branch .LBB46_1249
.LBB46_1241:
	s_mov_b64 s[0:1], -1
                                        ; implicit-def: $vgpr4
	s_branch .LBB46_1246
.LBB46_1242:
	s_mov_b64 s[0:1], -1
                                        ; implicit-def: $vgpr4
.LBB46_1243:
	s_andn2_b64 vcc, exec, s[0:1]
	s_cbranch_vccnz .LBB46_1245
; %bb.1244:
	global_load_dword v4, v[2:3], off
.LBB46_1245:
	s_mov_b64 s[0:1], 0
.LBB46_1246:
	s_andn2_b64 vcc, exec, s[0:1]
	s_cbranch_vccnz .LBB46_1248
; %bb.1247:
	global_load_ushort v4, v[2:3], off
.LBB46_1248:
	s_mov_b64 s[0:1], 0
.LBB46_1249:
	s_andn2_b64 vcc, exec, s[0:1]
	s_cbranch_vccnz .LBB46_1255
; %bb.1250:
	s_cmp_gt_i32 s20, 0
	s_cbranch_scc0 .LBB46_1252
; %bb.1251:
	global_load_sbyte v4, v[2:3], off
	s_mov_b64 s[0:1], 0
	s_branch .LBB46_1253
.LBB46_1252:
	s_mov_b64 s[0:1], -1
                                        ; implicit-def: $vgpr4
.LBB46_1253:
	s_andn2_b64 vcc, exec, s[0:1]
	s_cbranch_vccnz .LBB46_1255
; %bb.1254:
	global_load_ubyte v4, v[2:3], off
.LBB46_1255:
.LBB46_1256:
	v_add_u32_e32 v0, s9, v0
	v_ashrrev_i32_e32 v1, 31, v0
	s_cmp_lt_i32 s20, 11
	v_lshl_add_u64 v[8:9], s[6:7], 0, v[0:1]
	s_cbranch_scc1 .LBB46_1263
; %bb.1257:
	s_cmp_gt_i32 s20, 25
	s_mov_b64 s[10:11], 0
	s_cbranch_scc0 .LBB46_1272
; %bb.1258:
	s_cmp_gt_i32 s20, 28
	s_cbranch_scc0 .LBB46_1274
; %bb.1259:
	s_cmp_gt_i32 s20, 43
	;; [unrolled: 3-line block ×3, first 2 shown]
	s_cbranch_scc0 .LBB46_1279
; %bb.1261:
	s_cmp_eq_u32 s20, 46
	s_mov_b64 s[18:19], 0
	s_cbranch_scc0 .LBB46_1281
; %bb.1262:
	global_load_dword v1, v[8:9], off
	s_mov_b64 s[0:1], 0
	s_mov_b64 s[16:17], -1
	s_waitcnt vmcnt(0)
	v_lshlrev_b32_e32 v1, 16, v1
	v_cvt_i32_f32_e32 v2, v1
	s_branch .LBB46_1282
.LBB46_1263:
	s_mov_b64 s[16:17], 0
                                        ; implicit-def: $vgpr2
	s_cbranch_execnz .LBB46_1345
.LBB46_1264:
	s_andn2_b64 vcc, exec, s[16:17]
	s_cbranch_vccnz .LBB46_1393
.LBB46_1265:
	v_add_u32_e32 v0, s9, v0
	v_ashrrev_i32_e32 v1, 31, v0
	s_cmp_lt_i32 s20, 11
	v_lshl_add_u64 v[8:9], s[6:7], 0, v[0:1]
	s_cbranch_scc1 .LBB46_1273
; %bb.1266:
	s_cmp_gt_i32 s20, 25
	s_mov_b64 s[6:7], 0
	s_cbranch_scc0 .LBB46_1275
; %bb.1267:
	s_cmp_gt_i32 s20, 28
	s_cbranch_scc0 .LBB46_1277
; %bb.1268:
	s_cmp_gt_i32 s20, 43
	;; [unrolled: 3-line block ×3, first 2 shown]
	s_cbranch_scc0 .LBB46_1285
; %bb.1270:
	s_cmp_eq_u32 s20, 46
	s_mov_b64 s[16:17], 0
	s_cbranch_scc0 .LBB46_1440
; %bb.1271:
	global_load_dword v0, v[8:9], off
	s_mov_b64 s[0:1], 0
	s_mov_b64 s[10:11], -1
	s_waitcnt vmcnt(0)
	v_lshlrev_b32_e32 v0, 16, v0
	v_cvt_i32_f32_e32 v0, v0
	s_branch .LBB46_1441
.LBB46_1272:
	s_mov_b64 s[18:19], -1
	s_mov_b64 s[16:17], 0
	s_mov_b64 s[0:1], 0
                                        ; implicit-def: $vgpr2
	s_branch .LBB46_1310
.LBB46_1273:
	s_mov_b64 s[0:1], -1
	s_mov_b64 s[10:11], 0
                                        ; implicit-def: $vgpr0
	s_branch .LBB46_1503
.LBB46_1274:
	s_mov_b64 s[18:19], -1
	s_mov_b64 s[16:17], 0
	s_mov_b64 s[0:1], 0
                                        ; implicit-def: $vgpr2
	s_branch .LBB46_1293
.LBB46_1275:
	s_mov_b64 s[16:17], -1
	s_mov_b64 s[10:11], 0
	s_mov_b64 s[0:1], 0
                                        ; implicit-def: $vgpr0
	s_branch .LBB46_1468
.LBB46_1276:
	s_mov_b64 s[18:19], -1
	s_mov_b64 s[16:17], 0
	s_mov_b64 s[0:1], 0
                                        ; implicit-def: $vgpr2
	s_branch .LBB46_1288
.LBB46_1277:
	s_mov_b64 s[16:17], -1
	s_mov_b64 s[10:11], 0
	s_mov_b64 s[0:1], 0
                                        ; implicit-def: $vgpr0
	s_branch .LBB46_1451
.LBB46_1278:
	s_trap 2
	s_or_b64 s[14:15], s[14:15], exec
	s_cbranch_execz .LBB46_1207
	s_branch .LBB46_1208
.LBB46_1279:
	s_mov_b64 s[18:19], -1
	s_mov_b64 s[16:17], 0
	s_mov_b64 s[0:1], 0
                                        ; implicit-def: $vgpr2
	s_branch .LBB46_1282
.LBB46_1280:
	s_mov_b64 s[16:17], -1
	s_mov_b64 s[10:11], 0
	s_mov_b64 s[0:1], 0
                                        ; implicit-def: $vgpr0
	s_branch .LBB46_1446
.LBB46_1281:
	s_mov_b64 s[0:1], -1
                                        ; implicit-def: $vgpr2
	s_mov_b64 s[16:17], 0
.LBB46_1282:
	s_and_b64 vcc, exec, s[18:19]
	s_cbranch_vccz .LBB46_1287
; %bb.1283:
	s_cmp_eq_u32 s20, 44
	s_cbranch_scc0 .LBB46_1286
; %bb.1284:
	global_load_ubyte v1, v[8:9], off
	s_mov_b64 s[0:1], 0
	s_mov_b64 s[16:17], -1
	s_waitcnt vmcnt(0)
	v_lshlrev_b32_e32 v2, 23, v1
	v_cvt_i32_f32_e32 v2, v2
	v_cmp_ne_u32_e32 vcc, 0, v1
	s_nop 1
	v_cndmask_b32_e32 v2, 0, v2, vcc
	s_branch .LBB46_1287
.LBB46_1285:
	s_mov_b64 s[16:17], -1
	s_mov_b64 s[10:11], 0
	s_mov_b64 s[0:1], 0
                                        ; implicit-def: $vgpr0
	s_branch .LBB46_1441
.LBB46_1286:
	s_mov_b64 s[0:1], -1
                                        ; implicit-def: $vgpr2
.LBB46_1287:
	s_mov_b64 s[18:19], 0
.LBB46_1288:
	s_and_b64 vcc, exec, s[18:19]
	s_cbranch_vccz .LBB46_1292
; %bb.1289:
	s_cmp_eq_u32 s20, 29
	s_cbranch_scc0 .LBB46_1291
; %bb.1290:
	global_load_dwordx2 v[2:3], v[8:9], off
	s_mov_b64 s[0:1], 0
	s_mov_b64 s[16:17], -1
	s_branch .LBB46_1292
.LBB46_1291:
	s_mov_b64 s[0:1], -1
                                        ; implicit-def: $vgpr2
.LBB46_1292:
	s_mov_b64 s[18:19], 0
.LBB46_1293:
	s_and_b64 vcc, exec, s[18:19]
	s_cbranch_vccz .LBB46_1309
; %bb.1294:
	s_cmp_lt_i32 s20, 27
	s_cbranch_scc1 .LBB46_1297
; %bb.1295:
	s_cmp_gt_i32 s20, 27
	s_cbranch_scc0 .LBB46_1298
; %bb.1296:
	global_load_dword v2, v[8:9], off
	s_mov_b64 s[16:17], 0
	s_branch .LBB46_1299
.LBB46_1297:
	s_mov_b64 s[16:17], -1
                                        ; implicit-def: $vgpr2
	s_branch .LBB46_1302
.LBB46_1298:
	s_mov_b64 s[16:17], -1
                                        ; implicit-def: $vgpr2
.LBB46_1299:
	s_andn2_b64 vcc, exec, s[16:17]
	s_cbranch_vccnz .LBB46_1301
; %bb.1300:
	global_load_ushort v2, v[8:9], off
.LBB46_1301:
	s_mov_b64 s[16:17], 0
.LBB46_1302:
	s_andn2_b64 vcc, exec, s[16:17]
	s_cbranch_vccnz .LBB46_1308
; %bb.1303:
	global_load_ubyte v1, v[8:9], off
	s_movk_i32 s16, 0x7f
	s_mov_b64 s[18:19], 0
	s_waitcnt vmcnt(0)
	v_cmp_lt_i16_e32 vcc, s16, v1
	s_and_saveexec_b64 s[16:17], vcc
	s_xor_b64 s[16:17], exec, s[16:17]
	s_cbranch_execz .LBB46_1320
; %bb.1304:
	s_movk_i32 s18, 0x80
	v_cmp_ne_u16_e32 vcc, s18, v1
	s_and_b64 s[18:19], vcc, exec
	s_andn2_saveexec_b64 s[16:17], s[16:17]
	s_cbranch_execnz .LBB46_1321
.LBB46_1305:
	s_or_b64 exec, exec, s[16:17]
	v_mov_b32_e32 v2, 0
	s_and_saveexec_b64 s[16:17], s[18:19]
	s_cbranch_execz .LBB46_1307
.LBB46_1306:
	v_lshlrev_b32_e32 v2, 24, v1
	v_and_b32_e32 v1, 0xffff, v1
	v_and_b32_e32 v3, 7, v1
	v_ffbh_u32_e32 v7, v3
	v_min_u32_e32 v7, 32, v7
	v_subrev_u32_e32 v11, 28, v7
	v_bfe_u32 v5, v1, 3, 4
	v_lshlrev_b32_e32 v1, v11, v1
	v_sub_u32_e32 v7, 29, v7
	v_and_b32_e32 v1, 7, v1
	v_cmp_eq_u32_e32 vcc, 0, v5
	v_and_b32_e32 v2, 0x80000000, v2
	s_nop 0
	v_cndmask_b32_e32 v5, v5, v7, vcc
	v_cndmask_b32_e32 v1, v3, v1, vcc
	v_mov_b32_e32 v3, 0x3b800000
	v_lshlrev_b32_e32 v1, 20, v1
	v_lshl_add_u32 v3, v5, 23, v3
	v_or3_b32 v1, v2, v3, v1
	v_cvt_i32_f32_e32 v2, v1
.LBB46_1307:
	s_or_b64 exec, exec, s[16:17]
.LBB46_1308:
	s_mov_b64 s[16:17], -1
.LBB46_1309:
	s_mov_b64 s[18:19], 0
.LBB46_1310:
	s_and_b64 vcc, exec, s[18:19]
	s_cbranch_vccz .LBB46_1341
; %bb.1311:
	s_cmp_gt_i32 s20, 22
	s_cbranch_scc0 .LBB46_1319
; %bb.1312:
	s_cmp_lt_i32 s20, 24
	s_cbranch_scc1 .LBB46_1322
; %bb.1313:
	s_cmp_gt_i32 s20, 24
	s_cbranch_scc0 .LBB46_1323
; %bb.1314:
	global_load_ubyte v1, v[8:9], off
	s_movk_i32 s10, 0x7f
	s_mov_b64 s[16:17], 0
	s_waitcnt vmcnt(0)
	v_cmp_lt_i16_e32 vcc, s10, v1
	s_and_saveexec_b64 s[10:11], vcc
	s_xor_b64 s[10:11], exec, s[10:11]
	s_cbranch_execz .LBB46_1335
; %bb.1315:
	s_movk_i32 s16, 0x80
	v_cmp_ne_u16_e32 vcc, s16, v1
	s_and_b64 s[16:17], vcc, exec
	s_andn2_saveexec_b64 s[10:11], s[10:11]
	s_cbranch_execnz .LBB46_1336
.LBB46_1316:
	s_or_b64 exec, exec, s[10:11]
	v_mov_b32_e32 v2, 0
	s_and_saveexec_b64 s[10:11], s[16:17]
	s_cbranch_execz .LBB46_1318
.LBB46_1317:
	v_lshlrev_b32_e32 v2, 24, v1
	v_and_b32_e32 v1, 0xffff, v1
	v_and_b32_e32 v3, 3, v1
	v_ffbh_u32_e32 v7, v3
	v_min_u32_e32 v7, 32, v7
	v_subrev_u32_e32 v11, 29, v7
	v_bfe_u32 v5, v1, 2, 5
	v_lshlrev_b32_e32 v1, v11, v1
	v_sub_u32_e32 v7, 30, v7
	v_and_b32_e32 v1, 3, v1
	v_cmp_eq_u32_e32 vcc, 0, v5
	v_and_b32_e32 v2, 0x80000000, v2
	s_nop 0
	v_cndmask_b32_e32 v5, v5, v7, vcc
	v_cndmask_b32_e32 v1, v3, v1, vcc
	v_mov_b32_e32 v3, 0x37800000
	v_lshlrev_b32_e32 v1, 21, v1
	v_lshl_add_u32 v3, v5, 23, v3
	v_or3_b32 v1, v2, v3, v1
	v_cvt_i32_f32_e32 v2, v1
.LBB46_1318:
	s_or_b64 exec, exec, s[10:11]
	s_mov_b64 s[10:11], 0
	s_branch .LBB46_1324
.LBB46_1319:
	s_mov_b64 s[10:11], -1
                                        ; implicit-def: $vgpr2
	s_branch .LBB46_1330
.LBB46_1320:
	s_andn2_saveexec_b64 s[16:17], s[16:17]
	s_cbranch_execz .LBB46_1305
.LBB46_1321:
	v_cmp_ne_u16_e32 vcc, 0, v1
	s_andn2_b64 s[18:19], s[18:19], exec
	s_and_b64 s[22:23], vcc, exec
	s_or_b64 s[18:19], s[18:19], s[22:23]
	s_or_b64 exec, exec, s[16:17]
	v_mov_b32_e32 v2, 0
	s_and_saveexec_b64 s[16:17], s[18:19]
	s_cbranch_execnz .LBB46_1306
	s_branch .LBB46_1307
.LBB46_1322:
	s_mov_b64 s[10:11], -1
                                        ; implicit-def: $vgpr2
	s_branch .LBB46_1327
.LBB46_1323:
	s_mov_b64 s[10:11], -1
                                        ; implicit-def: $vgpr2
.LBB46_1324:
	s_and_b64 vcc, exec, s[10:11]
	s_cbranch_vccz .LBB46_1326
; %bb.1325:
	global_load_ubyte v1, v[8:9], off
	s_mov_b32 s10, 0x7f800000
	s_waitcnt vmcnt(0)
	v_lshlrev_b32_e32 v1, 24, v1
	v_and_b32_e32 v2, 0x7f000000, v1
	v_ffbh_u32_e32 v3, v2
	v_min_u32_e32 v3, 32, v3
	v_sub_u32_e64 v3, v3, 4 clamp
	v_lshlrev_b32_e32 v7, v3, v2
	v_lshlrev_b32_e32 v3, 23, v3
	v_lshrrev_b32_e32 v7, 4, v7
	v_add_u32_e32 v5, 0x1000000, v2
	v_sub_u32_e32 v3, v7, v3
	v_ashrrev_i32_e32 v5, 8, v5
	v_add_u32_e32 v3, 0x3c000000, v3
	v_and_or_b32 v3, v5, s10, v3
	v_cmp_ne_u32_e32 vcc, 0, v2
	s_brev_b32 s10, 1
	s_nop 0
	v_cndmask_b32_e32 v2, 0, v3, vcc
	v_and_or_b32 v1, v1, s10, v2
	v_cvt_i32_f32_e32 v2, v1
.LBB46_1326:
	s_mov_b64 s[10:11], 0
.LBB46_1327:
	s_andn2_b64 vcc, exec, s[10:11]
	s_cbranch_vccnz .LBB46_1329
; %bb.1328:
	global_load_ubyte v1, v[8:9], off
	s_movk_i32 s10, 0x7f00
	s_brev_b32 s11, 16
	s_waitcnt vmcnt(0)
	v_lshlrev_b16_e32 v2, 8, v1
	v_lshlrev_b32_e32 v1, 25, v1
	v_lshrrev_b32_e32 v3, 4, v1
	v_and_or_b32 v5, v2, s10, 0.5
	v_or_b32_e32 v3, 0x70000000, v3
	v_add_f32_e32 v5, -0.5, v5
	v_mul_f32_e32 v3, 0x7800000, v3
	v_cmp_gt_u32_e32 vcc, s11, v1
	v_bfe_i32 v2, v2, 0, 16
	s_brev_b32 s10, 1
	v_cndmask_b32_e32 v1, v3, v5, vcc
	v_and_or_b32 v1, v2, s10, v1
	v_cvt_i32_f32_e32 v2, v1
.LBB46_1329:
	s_mov_b64 s[10:11], 0
	s_mov_b64 s[16:17], -1
.LBB46_1330:
	s_andn2_b64 vcc, exec, s[10:11]
	s_mov_b64 s[10:11], 0
	s_cbranch_vccnz .LBB46_1341
; %bb.1331:
	s_cmp_gt_i32 s20, 14
	s_cbranch_scc0 .LBB46_1334
; %bb.1332:
	s_cmp_eq_u32 s20, 15
	s_cbranch_scc0 .LBB46_1337
; %bb.1333:
	global_load_ushort v1, v[8:9], off
	s_mov_b64 s[0:1], 0
	s_mov_b64 s[16:17], -1
	s_waitcnt vmcnt(0)
	v_lshlrev_b32_e32 v1, 16, v1
	v_cvt_i32_f32_e32 v2, v1
	s_branch .LBB46_1338
.LBB46_1334:
	s_mov_b64 s[18:19], -1
                                        ; implicit-def: $vgpr2
	s_branch .LBB46_1339
.LBB46_1335:
	s_andn2_saveexec_b64 s[10:11], s[10:11]
	s_cbranch_execz .LBB46_1316
.LBB46_1336:
	v_cmp_ne_u16_e32 vcc, 0, v1
	s_andn2_b64 s[16:17], s[16:17], exec
	s_and_b64 s[18:19], vcc, exec
	s_or_b64 s[16:17], s[16:17], s[18:19]
	s_or_b64 exec, exec, s[10:11]
	v_mov_b32_e32 v2, 0
	s_and_saveexec_b64 s[10:11], s[16:17]
	s_cbranch_execnz .LBB46_1317
	s_branch .LBB46_1318
.LBB46_1337:
	s_mov_b64 s[0:1], -1
                                        ; implicit-def: $vgpr2
.LBB46_1338:
	s_mov_b64 s[18:19], 0
.LBB46_1339:
	s_and_b64 vcc, exec, s[18:19]
	s_cbranch_vccz .LBB46_1341
; %bb.1340:
	s_cmp_lg_u32 s20, 11
	s_mov_b64 s[10:11], -1
	s_cselect_b64 s[0:1], -1, 0
.LBB46_1341:
	s_and_b64 vcc, exec, s[0:1]
	s_cbranch_vccnz .LBB46_1439
; %bb.1342:
	s_andn2_b64 vcc, exec, s[10:11]
	s_cbranch_vccnz .LBB46_1344
.LBB46_1343:
	global_load_ubyte v1, v[8:9], off
	s_mov_b64 s[16:17], -1
	s_waitcnt vmcnt(0)
	v_cmp_ne_u16_e32 vcc, 0, v1
	s_nop 1
	v_cndmask_b32_e64 v2, 0, 1, vcc
.LBB46_1344:
	s_branch .LBB46_1264
.LBB46_1345:
	s_cmp_lt_i32 s20, 5
	s_cbranch_scc1 .LBB46_1350
; %bb.1346:
	s_cmp_lt_i32 s20, 8
	s_cbranch_scc1 .LBB46_1351
; %bb.1347:
	;; [unrolled: 3-line block ×3, first 2 shown]
	s_cmp_gt_i32 s20, 9
	s_cbranch_scc0 .LBB46_1353
; %bb.1349:
	global_load_dwordx2 v[2:3], v[8:9], off
	s_mov_b64 s[0:1], 0
	s_waitcnt vmcnt(0)
	v_cvt_i32_f64_e32 v2, v[2:3]
	s_branch .LBB46_1354
.LBB46_1350:
	s_mov_b64 s[0:1], -1
                                        ; implicit-def: $vgpr2
	s_branch .LBB46_1372
.LBB46_1351:
	s_mov_b64 s[0:1], -1
                                        ; implicit-def: $vgpr2
	s_branch .LBB46_1360
.LBB46_1352:
	s_mov_b64 s[0:1], -1
                                        ; implicit-def: $vgpr2
	s_branch .LBB46_1357
.LBB46_1353:
	s_mov_b64 s[0:1], -1
                                        ; implicit-def: $vgpr2
.LBB46_1354:
	s_andn2_b64 vcc, exec, s[0:1]
	s_cbranch_vccnz .LBB46_1356
; %bb.1355:
	global_load_dword v1, v[8:9], off
	s_waitcnt vmcnt(0)
	v_cvt_i32_f32_e32 v2, v1
.LBB46_1356:
	s_mov_b64 s[0:1], 0
.LBB46_1357:
	s_andn2_b64 vcc, exec, s[0:1]
	s_cbranch_vccnz .LBB46_1359
; %bb.1358:
	global_load_dword v1, v[8:9], off
	s_waitcnt vmcnt(0)
	v_cvt_i16_f16_e32 v2, v1
.LBB46_1359:
	s_mov_b64 s[0:1], 0
.LBB46_1360:
	s_andn2_b64 vcc, exec, s[0:1]
	s_cbranch_vccnz .LBB46_1371
; %bb.1361:
	s_cmp_lt_i32 s20, 6
	s_cbranch_scc1 .LBB46_1364
; %bb.1362:
	s_cmp_gt_i32 s20, 6
	s_cbranch_scc0 .LBB46_1365
; %bb.1363:
	global_load_dwordx2 v[2:3], v[8:9], off
	s_mov_b64 s[0:1], 0
	s_waitcnt vmcnt(0)
	v_cvt_i32_f64_e32 v2, v[2:3]
	s_branch .LBB46_1366
.LBB46_1364:
	s_mov_b64 s[0:1], -1
                                        ; implicit-def: $vgpr2
	s_branch .LBB46_1369
.LBB46_1365:
	s_mov_b64 s[0:1], -1
                                        ; implicit-def: $vgpr2
.LBB46_1366:
	s_andn2_b64 vcc, exec, s[0:1]
	s_cbranch_vccnz .LBB46_1368
; %bb.1367:
	global_load_dword v1, v[8:9], off
	s_waitcnt vmcnt(0)
	v_cvt_i32_f32_e32 v2, v1
.LBB46_1368:
	s_mov_b64 s[0:1], 0
.LBB46_1369:
	s_andn2_b64 vcc, exec, s[0:1]
	s_cbranch_vccnz .LBB46_1371
; %bb.1370:
	global_load_ushort v1, v[8:9], off
	s_waitcnt vmcnt(0)
	v_cvt_i16_f16_e32 v2, v1
.LBB46_1371:
	s_mov_b64 s[0:1], 0
.LBB46_1372:
	s_andn2_b64 vcc, exec, s[0:1]
	s_cbranch_vccnz .LBB46_1392
; %bb.1373:
	s_cmp_lt_i32 s20, 2
	s_cbranch_scc1 .LBB46_1377
; %bb.1374:
	s_cmp_lt_i32 s20, 3
	s_cbranch_scc1 .LBB46_1378
; %bb.1375:
	s_cmp_gt_i32 s20, 3
	s_cbranch_scc0 .LBB46_1379
; %bb.1376:
	global_load_dwordx2 v[2:3], v[8:9], off
	s_mov_b64 s[0:1], 0
	s_branch .LBB46_1380
.LBB46_1377:
	s_mov_b64 s[0:1], -1
                                        ; implicit-def: $vgpr2
	s_branch .LBB46_1386
.LBB46_1378:
	s_mov_b64 s[0:1], -1
                                        ; implicit-def: $vgpr2
	s_branch .LBB46_1383
.LBB46_1379:
	s_mov_b64 s[0:1], -1
                                        ; implicit-def: $vgpr2
.LBB46_1380:
	s_andn2_b64 vcc, exec, s[0:1]
	s_cbranch_vccnz .LBB46_1382
; %bb.1381:
	global_load_dword v2, v[8:9], off
.LBB46_1382:
	s_mov_b64 s[0:1], 0
.LBB46_1383:
	s_andn2_b64 vcc, exec, s[0:1]
	s_cbranch_vccnz .LBB46_1385
; %bb.1384:
	global_load_ushort v2, v[8:9], off
.LBB46_1385:
	s_mov_b64 s[0:1], 0
.LBB46_1386:
	s_andn2_b64 vcc, exec, s[0:1]
	s_cbranch_vccnz .LBB46_1392
; %bb.1387:
	s_cmp_gt_i32 s20, 0
	s_cbranch_scc0 .LBB46_1389
; %bb.1388:
	global_load_sbyte v2, v[8:9], off
	s_mov_b64 s[0:1], 0
	s_branch .LBB46_1390
.LBB46_1389:
	s_mov_b64 s[0:1], -1
                                        ; implicit-def: $vgpr2
.LBB46_1390:
	s_andn2_b64 vcc, exec, s[0:1]
	s_cbranch_vccnz .LBB46_1392
; %bb.1391:
	global_load_ubyte v2, v[8:9], off
.LBB46_1392:
	s_branch .LBB46_1265
.LBB46_1393:
	s_mov_b64 s[0:1], 0
                                        ; implicit-def: $sgpr20
                                        ; implicit-def: $vgpr2_vgpr3
                                        ; implicit-def: $vgpr5
                                        ; implicit-def: $vgpr0
.LBB46_1394:
	s_mov_b64 s[4:5], 0
.LBB46_1395:
	s_and_b64 s[10:11], s[4:5], exec
	s_andn2_b64 s[4:5], s[12:13], exec
	s_and_b64 s[6:7], s[14:15], exec
	s_and_b64 s[0:1], s[0:1], exec
	s_or_b64 s[12:13], s[4:5], s[6:7]
.LBB46_1396:
	s_or_b64 exec, exec, s[2:3]
	s_and_saveexec_b64 s[2:3], s[12:13]
	s_cbranch_execz .LBB46_1399
; %bb.1397:
	; divergent unreachable
	s_or_b64 exec, exec, s[2:3]
	s_and_saveexec_b64 s[2:3], s[10:11]
	s_xor_b64 s[2:3], exec, s[2:3]
	s_cbranch_execnz .LBB46_1400
.LBB46_1398:
	s_or_b64 exec, exec, s[2:3]
	s_and_saveexec_b64 s[2:3], s[0:1]
	s_cbranch_execnz .LBB46_1401
	s_branch .LBB46_1438
.LBB46_1399:
	s_or_b64 exec, exec, s[2:3]
	s_and_saveexec_b64 s[2:3], s[10:11]
	s_xor_b64 s[2:3], exec, s[2:3]
	s_cbranch_execz .LBB46_1398
.LBB46_1400:
	s_waitcnt vmcnt(0)
	v_cmp_ne_u16_e32 vcc, -1, v0
	s_nop 1
	v_cndmask_b32_e64 v0, 0, 1, vcc
	global_store_byte v[2:3], v0, off
	s_or_b64 exec, exec, s[2:3]
	s_and_saveexec_b64 s[2:3], s[0:1]
	s_cbranch_execz .LBB46_1438
.LBB46_1401:
	s_sext_i32_i16 s2, s20
	s_cmp_lt_i32 s2, 5
	s_mov_b64 s[0:1], -1
	s_cbranch_scc1 .LBB46_1422
; %bb.1402:
	s_cmp_lt_i32 s2, 8
	s_cbranch_scc1 .LBB46_1412
; %bb.1403:
	s_cmp_lt_i32 s2, 9
	s_cbranch_scc1 .LBB46_1409
; %bb.1404:
	s_cmp_gt_i32 s2, 9
	s_cbranch_scc0 .LBB46_1406
; %bb.1405:
	s_waitcnt vmcnt(0)
	v_bfe_i32 v0, v5, 0, 16
	v_mov_b32_e32 v8, 0
	v_cvt_f64_i32_e32 v[6:7], v0
	v_mov_b32_e32 v9, v8
	global_store_dwordx4 v[2:3], v[6:9], off
	s_mov_b64 s[0:1], 0
.LBB46_1406:
	s_andn2_b64 vcc, exec, s[0:1]
	s_cbranch_vccnz .LBB46_1408
; %bb.1407:
	s_waitcnt vmcnt(0)
	v_cvt_f32_i32_sdwa v0, sext(v5) dst_sel:DWORD dst_unused:UNUSED_PAD src0_sel:WORD_0
	v_mov_b32_e32 v1, 0
	global_store_dwordx2 v[2:3], v[0:1], off
.LBB46_1408:
	s_mov_b64 s[0:1], 0
.LBB46_1409:
	s_andn2_b64 vcc, exec, s[0:1]
	s_cbranch_vccnz .LBB46_1411
; %bb.1410:
	s_waitcnt vmcnt(0)
	v_cvt_f16_i16_e32 v0, v5
	global_store_dword v[2:3], v0, off
.LBB46_1411:
	s_mov_b64 s[0:1], 0
.LBB46_1412:
	s_andn2_b64 vcc, exec, s[0:1]
	s_cbranch_vccnz .LBB46_1421
; %bb.1413:
	s_sext_i32_i16 s2, s20
	s_cmp_lt_i32 s2, 6
	s_mov_b64 s[0:1], -1
	s_cbranch_scc1 .LBB46_1419
; %bb.1414:
	s_cmp_gt_i32 s2, 6
	s_cbranch_scc0 .LBB46_1416
; %bb.1415:
	s_waitcnt vmcnt(0)
	v_bfe_i32 v0, v5, 0, 16
	v_cvt_f64_i32_e32 v[0:1], v0
	global_store_dwordx2 v[2:3], v[0:1], off
	s_mov_b64 s[0:1], 0
.LBB46_1416:
	s_andn2_b64 vcc, exec, s[0:1]
	s_cbranch_vccnz .LBB46_1418
; %bb.1417:
	s_waitcnt vmcnt(0)
	v_cvt_f32_i32_sdwa v0, sext(v5) dst_sel:DWORD dst_unused:UNUSED_PAD src0_sel:WORD_0
	global_store_dword v[2:3], v0, off
.LBB46_1418:
	s_mov_b64 s[0:1], 0
.LBB46_1419:
	s_andn2_b64 vcc, exec, s[0:1]
	s_cbranch_vccnz .LBB46_1421
; %bb.1420:
	s_waitcnt vmcnt(0)
	v_cvt_f16_i16_e32 v0, v5
	global_store_short v[2:3], v0, off
.LBB46_1421:
	s_mov_b64 s[0:1], 0
.LBB46_1422:
	s_andn2_b64 vcc, exec, s[0:1]
	s_cbranch_vccnz .LBB46_1438
; %bb.1423:
	s_sext_i32_i16 s2, s20
	s_cmp_lt_i32 s2, 2
	s_mov_b64 s[0:1], -1
	s_cbranch_scc1 .LBB46_1433
; %bb.1424:
	s_cmp_lt_i32 s2, 3
	s_cbranch_scc1 .LBB46_1430
; %bb.1425:
	s_cmp_gt_i32 s2, 3
	s_waitcnt vmcnt(0)
	v_bfe_i32 v0, v5, 0, 16
	s_cbranch_scc0 .LBB46_1427
; %bb.1426:
	v_ashrrev_i32_e32 v1, 31, v0
	global_store_dwordx2 v[2:3], v[0:1], off
	s_mov_b64 s[0:1], 0
.LBB46_1427:
	s_andn2_b64 vcc, exec, s[0:1]
	s_cbranch_vccnz .LBB46_1429
; %bb.1428:
	global_store_dword v[2:3], v0, off
.LBB46_1429:
	s_mov_b64 s[0:1], 0
.LBB46_1430:
	s_andn2_b64 vcc, exec, s[0:1]
	s_cbranch_vccnz .LBB46_1432
; %bb.1431:
	s_waitcnt vmcnt(0)
	global_store_short v[2:3], v5, off
.LBB46_1432:
	s_mov_b64 s[0:1], 0
.LBB46_1433:
	s_andn2_b64 vcc, exec, s[0:1]
	s_cbranch_vccnz .LBB46_1438
; %bb.1434:
	s_sext_i32_i16 s0, s20
	s_cmp_gt_i32 s0, 0
	s_mov_b64 s[0:1], -1
	s_cbranch_scc0 .LBB46_1436
; %bb.1435:
	s_waitcnt vmcnt(0)
	global_store_byte v[2:3], v5, off
	s_mov_b64 s[0:1], 0
.LBB46_1436:
	s_andn2_b64 vcc, exec, s[0:1]
	s_cbranch_vccnz .LBB46_1438
; %bb.1437:
	s_waitcnt vmcnt(0)
	global_store_byte v[2:3], v5, off
	s_endpgm
.LBB46_1438:
	s_endpgm
.LBB46_1439:
	s_trap 2
	s_or_b64 s[14:15], s[14:15], exec
	s_cbranch_execz .LBB46_1343
	s_branch .LBB46_1344
.LBB46_1440:
	s_mov_b64 s[0:1], -1
                                        ; implicit-def: $vgpr0
	s_mov_b64 s[10:11], 0
.LBB46_1441:
	s_and_b64 vcc, exec, s[16:17]
	s_cbranch_vccz .LBB46_1445
; %bb.1442:
	s_cmp_eq_u32 s20, 44
	s_cbranch_scc0 .LBB46_1444
; %bb.1443:
	global_load_ubyte v0, v[8:9], off
	s_mov_b64 s[0:1], 0
	s_mov_b64 s[10:11], -1
	s_waitcnt vmcnt(0)
	v_lshlrev_b32_e32 v1, 23, v0
	v_cvt_i32_f32_e32 v1, v1
	v_cmp_ne_u32_e32 vcc, 0, v0
	s_nop 1
	v_cndmask_b32_e32 v0, 0, v1, vcc
	s_branch .LBB46_1445
.LBB46_1444:
	s_mov_b64 s[0:1], -1
                                        ; implicit-def: $vgpr0
.LBB46_1445:
	s_mov_b64 s[16:17], 0
.LBB46_1446:
	s_and_b64 vcc, exec, s[16:17]
	s_cbranch_vccz .LBB46_1450
; %bb.1447:
	s_cmp_eq_u32 s20, 29
	s_cbranch_scc0 .LBB46_1449
; %bb.1448:
	global_load_dwordx2 v[0:1], v[8:9], off
	s_mov_b64 s[0:1], 0
	s_mov_b64 s[10:11], -1
	s_branch .LBB46_1450
.LBB46_1449:
	s_mov_b64 s[0:1], -1
                                        ; implicit-def: $vgpr0
.LBB46_1450:
	s_mov_b64 s[16:17], 0
.LBB46_1451:
	s_and_b64 vcc, exec, s[16:17]
	s_cbranch_vccz .LBB46_1467
; %bb.1452:
	s_cmp_lt_i32 s20, 27
	s_cbranch_scc1 .LBB46_1455
; %bb.1453:
	s_cmp_gt_i32 s20, 27
	s_cbranch_scc0 .LBB46_1456
; %bb.1454:
	global_load_dword v0, v[8:9], off
	s_mov_b64 s[10:11], 0
	s_branch .LBB46_1457
.LBB46_1455:
	s_mov_b64 s[10:11], -1
                                        ; implicit-def: $vgpr0
	s_branch .LBB46_1460
.LBB46_1456:
	s_mov_b64 s[10:11], -1
                                        ; implicit-def: $vgpr0
.LBB46_1457:
	s_andn2_b64 vcc, exec, s[10:11]
	s_cbranch_vccnz .LBB46_1459
; %bb.1458:
	global_load_ushort v0, v[8:9], off
.LBB46_1459:
	s_mov_b64 s[10:11], 0
.LBB46_1460:
	s_andn2_b64 vcc, exec, s[10:11]
	s_cbranch_vccnz .LBB46_1466
; %bb.1461:
	global_load_ubyte v1, v[8:9], off
	s_movk_i32 s9, 0x7f
	s_mov_b64 s[16:17], 0
	s_waitcnt vmcnt(0)
	v_cmp_lt_i16_e32 vcc, s9, v1
	s_and_saveexec_b64 s[10:11], vcc
	s_xor_b64 s[10:11], exec, s[10:11]
	s_cbranch_execz .LBB46_1478
; %bb.1462:
	s_movk_i32 s9, 0x80
	v_cmp_ne_u16_e32 vcc, s9, v1
	s_and_b64 s[16:17], vcc, exec
	s_andn2_saveexec_b64 s[10:11], s[10:11]
	s_cbranch_execnz .LBB46_1479
.LBB46_1463:
	s_or_b64 exec, exec, s[10:11]
	v_mov_b32_e32 v0, 0
	s_and_saveexec_b64 s[10:11], s[16:17]
	s_cbranch_execz .LBB46_1465
.LBB46_1464:
	v_lshlrev_b32_e32 v0, 24, v1
	v_and_b32_e32 v1, 0xffff, v1
	v_and_b32_e32 v3, 7, v1
	v_ffbh_u32_e32 v7, v3
	v_min_u32_e32 v7, 32, v7
	v_subrev_u32_e32 v11, 28, v7
	v_bfe_u32 v5, v1, 3, 4
	v_lshlrev_b32_e32 v1, v11, v1
	v_sub_u32_e32 v7, 29, v7
	v_and_b32_e32 v1, 7, v1
	v_cmp_eq_u32_e32 vcc, 0, v5
	v_and_b32_e32 v0, 0x80000000, v0
	s_nop 0
	v_cndmask_b32_e32 v5, v5, v7, vcc
	v_cndmask_b32_e32 v1, v3, v1, vcc
	v_mov_b32_e32 v3, 0x3b800000
	v_lshlrev_b32_e32 v1, 20, v1
	v_lshl_add_u32 v3, v5, 23, v3
	v_or3_b32 v0, v0, v3, v1
	v_cvt_i32_f32_e32 v0, v0
.LBB46_1465:
	s_or_b64 exec, exec, s[10:11]
.LBB46_1466:
	s_mov_b64 s[10:11], -1
.LBB46_1467:
	s_mov_b64 s[16:17], 0
.LBB46_1468:
	s_and_b64 vcc, exec, s[16:17]
	s_cbranch_vccz .LBB46_1499
; %bb.1469:
	s_cmp_gt_i32 s20, 22
	s_cbranch_scc0 .LBB46_1477
; %bb.1470:
	s_cmp_lt_i32 s20, 24
	s_cbranch_scc1 .LBB46_1480
; %bb.1471:
	s_cmp_gt_i32 s20, 24
	s_cbranch_scc0 .LBB46_1481
; %bb.1472:
	global_load_ubyte v1, v[8:9], off
	s_movk_i32 s6, 0x7f
	s_mov_b64 s[10:11], 0
	s_waitcnt vmcnt(0)
	v_cmp_lt_i16_e32 vcc, s6, v1
	s_and_saveexec_b64 s[6:7], vcc
	s_xor_b64 s[6:7], exec, s[6:7]
	s_cbranch_execz .LBB46_1493
; %bb.1473:
	s_movk_i32 s9, 0x80
	v_cmp_ne_u16_e32 vcc, s9, v1
	s_and_b64 s[10:11], vcc, exec
	s_andn2_saveexec_b64 s[6:7], s[6:7]
	s_cbranch_execnz .LBB46_1494
.LBB46_1474:
	s_or_b64 exec, exec, s[6:7]
	v_mov_b32_e32 v0, 0
	s_and_saveexec_b64 s[6:7], s[10:11]
	s_cbranch_execz .LBB46_1476
.LBB46_1475:
	v_lshlrev_b32_e32 v0, 24, v1
	v_and_b32_e32 v1, 0xffff, v1
	v_and_b32_e32 v3, 3, v1
	v_ffbh_u32_e32 v7, v3
	v_min_u32_e32 v7, 32, v7
	v_subrev_u32_e32 v11, 29, v7
	v_bfe_u32 v5, v1, 2, 5
	v_lshlrev_b32_e32 v1, v11, v1
	v_sub_u32_e32 v7, 30, v7
	v_and_b32_e32 v1, 3, v1
	v_cmp_eq_u32_e32 vcc, 0, v5
	v_and_b32_e32 v0, 0x80000000, v0
	s_nop 0
	v_cndmask_b32_e32 v5, v5, v7, vcc
	v_cndmask_b32_e32 v1, v3, v1, vcc
	v_mov_b32_e32 v3, 0x37800000
	v_lshlrev_b32_e32 v1, 21, v1
	v_lshl_add_u32 v3, v5, 23, v3
	v_or3_b32 v0, v0, v3, v1
	v_cvt_i32_f32_e32 v0, v0
.LBB46_1476:
	s_or_b64 exec, exec, s[6:7]
	s_mov_b64 s[6:7], 0
	s_branch .LBB46_1482
.LBB46_1477:
	s_mov_b64 s[6:7], -1
                                        ; implicit-def: $vgpr0
	s_branch .LBB46_1488
.LBB46_1478:
	s_andn2_saveexec_b64 s[10:11], s[10:11]
	s_cbranch_execz .LBB46_1463
.LBB46_1479:
	v_cmp_ne_u16_e32 vcc, 0, v1
	s_andn2_b64 s[16:17], s[16:17], exec
	s_and_b64 s[18:19], vcc, exec
	s_or_b64 s[16:17], s[16:17], s[18:19]
	s_or_b64 exec, exec, s[10:11]
	v_mov_b32_e32 v0, 0
	s_and_saveexec_b64 s[10:11], s[16:17]
	s_cbranch_execnz .LBB46_1464
	s_branch .LBB46_1465
.LBB46_1480:
	s_mov_b64 s[6:7], -1
                                        ; implicit-def: $vgpr0
	s_branch .LBB46_1485
.LBB46_1481:
	s_mov_b64 s[6:7], -1
                                        ; implicit-def: $vgpr0
.LBB46_1482:
	s_and_b64 vcc, exec, s[6:7]
	s_cbranch_vccz .LBB46_1484
; %bb.1483:
	global_load_ubyte v0, v[8:9], off
	s_mov_b32 s6, 0x7f800000
	s_waitcnt vmcnt(0)
	v_lshlrev_b32_e32 v0, 24, v0
	v_and_b32_e32 v1, 0x7f000000, v0
	v_ffbh_u32_e32 v3, v1
	v_min_u32_e32 v3, 32, v3
	v_sub_u32_e64 v3, v3, 4 clamp
	v_lshlrev_b32_e32 v7, v3, v1
	v_lshlrev_b32_e32 v3, 23, v3
	v_lshrrev_b32_e32 v7, 4, v7
	v_add_u32_e32 v5, 0x1000000, v1
	v_sub_u32_e32 v3, v7, v3
	v_ashrrev_i32_e32 v5, 8, v5
	v_add_u32_e32 v3, 0x3c000000, v3
	v_and_or_b32 v3, v5, s6, v3
	v_cmp_ne_u32_e32 vcc, 0, v1
	s_brev_b32 s6, 1
	s_nop 0
	v_cndmask_b32_e32 v1, 0, v3, vcc
	v_and_or_b32 v0, v0, s6, v1
	v_cvt_i32_f32_e32 v0, v0
.LBB46_1484:
	s_mov_b64 s[6:7], 0
.LBB46_1485:
	s_andn2_b64 vcc, exec, s[6:7]
	s_cbranch_vccnz .LBB46_1487
; %bb.1486:
	global_load_ubyte v0, v[8:9], off
	s_movk_i32 s6, 0x7f00
	s_brev_b32 s7, 16
	s_waitcnt vmcnt(0)
	v_lshlrev_b16_e32 v1, 8, v0
	v_lshlrev_b32_e32 v0, 25, v0
	v_lshrrev_b32_e32 v3, 4, v0
	v_and_or_b32 v5, v1, s6, 0.5
	v_or_b32_e32 v3, 0x70000000, v3
	v_add_f32_e32 v5, -0.5, v5
	v_mul_f32_e32 v3, 0x7800000, v3
	v_cmp_gt_u32_e32 vcc, s7, v0
	v_bfe_i32 v1, v1, 0, 16
	s_brev_b32 s6, 1
	v_cndmask_b32_e32 v0, v3, v5, vcc
	v_and_or_b32 v0, v1, s6, v0
	v_cvt_i32_f32_e32 v0, v0
.LBB46_1487:
	s_mov_b64 s[6:7], 0
	s_mov_b64 s[10:11], -1
.LBB46_1488:
	s_andn2_b64 vcc, exec, s[6:7]
	s_mov_b64 s[6:7], 0
	s_cbranch_vccnz .LBB46_1499
; %bb.1489:
	s_cmp_gt_i32 s20, 14
	s_cbranch_scc0 .LBB46_1492
; %bb.1490:
	s_cmp_eq_u32 s20, 15
	s_cbranch_scc0 .LBB46_1495
; %bb.1491:
	global_load_ushort v0, v[8:9], off
	s_mov_b64 s[0:1], 0
	s_mov_b64 s[10:11], -1
	s_waitcnt vmcnt(0)
	v_lshlrev_b32_e32 v0, 16, v0
	v_cvt_i32_f32_e32 v0, v0
	s_branch .LBB46_1496
.LBB46_1492:
	s_mov_b64 s[16:17], -1
                                        ; implicit-def: $vgpr0
	s_branch .LBB46_1497
.LBB46_1493:
	s_andn2_saveexec_b64 s[6:7], s[6:7]
	s_cbranch_execz .LBB46_1474
.LBB46_1494:
	v_cmp_ne_u16_e32 vcc, 0, v1
	s_andn2_b64 s[10:11], s[10:11], exec
	s_and_b64 s[16:17], vcc, exec
	s_or_b64 s[10:11], s[10:11], s[16:17]
	s_or_b64 exec, exec, s[6:7]
	v_mov_b32_e32 v0, 0
	s_and_saveexec_b64 s[6:7], s[10:11]
	s_cbranch_execnz .LBB46_1475
	s_branch .LBB46_1476
.LBB46_1495:
	s_mov_b64 s[0:1], -1
                                        ; implicit-def: $vgpr0
.LBB46_1496:
	s_mov_b64 s[16:17], 0
.LBB46_1497:
	s_and_b64 vcc, exec, s[16:17]
	s_cbranch_vccz .LBB46_1499
; %bb.1498:
	s_cmp_lg_u32 s20, 11
	s_mov_b64 s[6:7], -1
	s_cselect_b64 s[0:1], -1, 0
.LBB46_1499:
	s_and_b64 vcc, exec, s[0:1]
	s_cbranch_vccnz .LBB46_1988
; %bb.1500:
	s_andn2_b64 vcc, exec, s[6:7]
	s_cbranch_vccnz .LBB46_1502
.LBB46_1501:
	global_load_ubyte v0, v[8:9], off
	s_mov_b64 s[10:11], -1
	s_waitcnt vmcnt(0)
	v_cmp_ne_u16_e32 vcc, 0, v0
	s_nop 1
	v_cndmask_b32_e64 v0, 0, 1, vcc
.LBB46_1502:
	s_mov_b64 s[0:1], 0
.LBB46_1503:
	s_and_b64 vcc, exec, s[0:1]
	s_cbranch_vccz .LBB46_1552
; %bb.1504:
	s_cmp_lt_i32 s20, 5
	s_cbranch_scc1 .LBB46_1509
; %bb.1505:
	s_cmp_lt_i32 s20, 8
	s_cbranch_scc1 .LBB46_1510
	;; [unrolled: 3-line block ×3, first 2 shown]
; %bb.1507:
	s_cmp_gt_i32 s20, 9
	s_cbranch_scc0 .LBB46_1512
; %bb.1508:
	global_load_dwordx2 v[0:1], v[8:9], off
	s_mov_b64 s[0:1], 0
	s_waitcnt vmcnt(0)
	v_cvt_i32_f64_e32 v0, v[0:1]
	s_branch .LBB46_1513
.LBB46_1509:
	s_mov_b64 s[0:1], -1
                                        ; implicit-def: $vgpr0
	s_branch .LBB46_1531
.LBB46_1510:
	s_mov_b64 s[0:1], -1
                                        ; implicit-def: $vgpr0
	s_branch .LBB46_1519
.LBB46_1511:
	s_mov_b64 s[0:1], -1
                                        ; implicit-def: $vgpr0
	s_branch .LBB46_1516
.LBB46_1512:
	s_mov_b64 s[0:1], -1
                                        ; implicit-def: $vgpr0
.LBB46_1513:
	s_andn2_b64 vcc, exec, s[0:1]
	s_cbranch_vccnz .LBB46_1515
; %bb.1514:
	global_load_dword v0, v[8:9], off
	s_waitcnt vmcnt(0)
	v_cvt_i32_f32_e32 v0, v0
.LBB46_1515:
	s_mov_b64 s[0:1], 0
.LBB46_1516:
	s_andn2_b64 vcc, exec, s[0:1]
	s_cbranch_vccnz .LBB46_1518
; %bb.1517:
	global_load_dword v0, v[8:9], off
	s_waitcnt vmcnt(0)
	v_cvt_i16_f16_e32 v0, v0
.LBB46_1518:
	s_mov_b64 s[0:1], 0
.LBB46_1519:
	s_andn2_b64 vcc, exec, s[0:1]
	s_cbranch_vccnz .LBB46_1530
; %bb.1520:
	s_cmp_lt_i32 s20, 6
	s_cbranch_scc1 .LBB46_1523
; %bb.1521:
	s_cmp_gt_i32 s20, 6
	s_cbranch_scc0 .LBB46_1524
; %bb.1522:
	global_load_dwordx2 v[0:1], v[8:9], off
	s_mov_b64 s[0:1], 0
	s_waitcnt vmcnt(0)
	v_cvt_i32_f64_e32 v0, v[0:1]
	s_branch .LBB46_1525
.LBB46_1523:
	s_mov_b64 s[0:1], -1
                                        ; implicit-def: $vgpr0
	s_branch .LBB46_1528
.LBB46_1524:
	s_mov_b64 s[0:1], -1
                                        ; implicit-def: $vgpr0
.LBB46_1525:
	s_andn2_b64 vcc, exec, s[0:1]
	s_cbranch_vccnz .LBB46_1527
; %bb.1526:
	global_load_dword v0, v[8:9], off
	s_waitcnt vmcnt(0)
	v_cvt_i32_f32_e32 v0, v0
.LBB46_1527:
	s_mov_b64 s[0:1], 0
.LBB46_1528:
	s_andn2_b64 vcc, exec, s[0:1]
	s_cbranch_vccnz .LBB46_1530
; %bb.1529:
	global_load_ushort v0, v[8:9], off
	s_waitcnt vmcnt(0)
	v_cvt_i16_f16_e32 v0, v0
.LBB46_1530:
	s_mov_b64 s[0:1], 0
.LBB46_1531:
	s_andn2_b64 vcc, exec, s[0:1]
	s_cbranch_vccnz .LBB46_1551
; %bb.1532:
	s_cmp_lt_i32 s20, 2
	s_cbranch_scc1 .LBB46_1536
; %bb.1533:
	s_cmp_lt_i32 s20, 3
	s_cbranch_scc1 .LBB46_1537
; %bb.1534:
	s_cmp_gt_i32 s20, 3
	s_cbranch_scc0 .LBB46_1538
; %bb.1535:
	global_load_dwordx2 v[0:1], v[8:9], off
	s_mov_b64 s[0:1], 0
	s_branch .LBB46_1539
.LBB46_1536:
	s_mov_b64 s[0:1], -1
                                        ; implicit-def: $vgpr0
	s_branch .LBB46_1545
.LBB46_1537:
	s_mov_b64 s[0:1], -1
                                        ; implicit-def: $vgpr0
	s_branch .LBB46_1542
.LBB46_1538:
	s_mov_b64 s[0:1], -1
                                        ; implicit-def: $vgpr0
.LBB46_1539:
	s_andn2_b64 vcc, exec, s[0:1]
	s_cbranch_vccnz .LBB46_1541
; %bb.1540:
	global_load_dword v0, v[8:9], off
.LBB46_1541:
	s_mov_b64 s[0:1], 0
.LBB46_1542:
	s_andn2_b64 vcc, exec, s[0:1]
	s_cbranch_vccnz .LBB46_1544
; %bb.1543:
	global_load_ushort v0, v[8:9], off
.LBB46_1544:
	s_mov_b64 s[0:1], 0
.LBB46_1545:
	s_andn2_b64 vcc, exec, s[0:1]
	s_cbranch_vccnz .LBB46_1551
; %bb.1546:
	s_cmp_gt_i32 s20, 0
	s_cbranch_scc0 .LBB46_1548
; %bb.1547:
	global_load_sbyte v0, v[8:9], off
	s_mov_b64 s[0:1], 0
	s_branch .LBB46_1549
.LBB46_1548:
	s_mov_b64 s[0:1], -1
                                        ; implicit-def: $vgpr0
.LBB46_1549:
	s_andn2_b64 vcc, exec, s[0:1]
	s_cbranch_vccnz .LBB46_1551
; %bb.1550:
	global_load_ubyte v0, v[8:9], off
.LBB46_1551:
	s_mov_b64 s[10:11], -1
.LBB46_1552:
	s_andn2_b64 vcc, exec, s[10:11]
	s_cbranch_vccnz .LBB46_1986
; %bb.1553:
	v_mul_lo_u32 v8, s8, v10
	v_ashrrev_i32_e32 v9, 31, v8
	s_and_b32 s20, s33, 0xff
	s_waitcnt vmcnt(0)
	v_xor_b32_e32 v1, -1, v6
	s_cmp_lt_i32 s20, 11
	v_lshl_add_u64 v[10:11], s[4:5], 0, v[8:9]
	s_cbranch_scc1 .LBB46_1631
; %bb.1554:
	s_and_b32 s9, 0xffff, s20
	s_mov_b64 s[16:17], -1
	s_mov_b64 s[6:7], 0
	s_cmp_gt_i32 s9, 25
	s_mov_b64 s[10:11], 0
	s_mov_b64 s[0:1], 0
	s_cbranch_scc0 .LBB46_1587
; %bb.1555:
	s_cmp_gt_i32 s9, 28
	s_cbranch_scc0 .LBB46_1570
; %bb.1556:
	s_cmp_gt_i32 s9, 43
	;; [unrolled: 3-line block ×3, first 2 shown]
	s_cbranch_scc0 .LBB46_1560
; %bb.1558:
	s_mov_b64 s[0:1], -1
	s_mov_b64 s[16:17], 0
	s_cmp_eq_u32 s9, 46
	s_cbranch_scc0 .LBB46_1560
; %bb.1559:
	v_cvt_f32_i32_sdwa v3, sext(v1) dst_sel:DWORD dst_unused:UNUSED_PAD src0_sel:WORD_0
	s_movk_i32 s10, 0x7fff
	s_mov_b64 s[0:1], 0
	v_bfe_u32 v5, v3, 16, 1
	v_add3_u32 v3, v3, v5, s10
	v_lshrrev_b32_e32 v3, 16, v3
	global_store_dword v[10:11], v3, off
	s_mov_b64 s[10:11], -1
.LBB46_1560:
	s_and_b64 vcc, exec, s[16:17]
	s_cbranch_vccz .LBB46_1565
; %bb.1561:
	s_cmp_eq_u32 s9, 44
	s_mov_b64 s[0:1], -1
	s_cbranch_scc0 .LBB46_1565
; %bb.1562:
	v_cvt_f32_i32_sdwa v3, sext(v1) dst_sel:DWORD dst_unused:UNUSED_PAD src0_sel:WORD_0
	s_movk_i32 s0, 0xff
	v_mov_b32_e32 v7, 0xff
	v_bfe_u32 v5, v3, 23, 8
	v_cmp_ne_u32_e32 vcc, s0, v5
	s_and_saveexec_b64 s[10:11], vcc
; %bb.1563:
	s_mov_b32 s0, 0x3fffff
	v_lshrrev_b32_e32 v7, 23, v3
	v_and_b32_e32 v9, 0x400000, v3
	v_and_or_b32 v3, v3, s0, v5
	v_cmp_ne_u32_e32 vcc, 0, v9
	v_cmp_ne_u32_e64 s[0:1], 0, v3
	s_and_b64 s[0:1], vcc, s[0:1]
	s_nop 0
	v_cndmask_b32_e64 v3, 0, 1, s[0:1]
	v_add_u32_e32 v7, v7, v3
; %bb.1564:
	s_or_b64 exec, exec, s[10:11]
	s_mov_b64 s[0:1], 0
	s_mov_b64 s[10:11], -1
	global_store_byte v[10:11], v7, off
.LBB46_1565:
	s_mov_b64 s[16:17], 0
.LBB46_1566:
	s_and_b64 vcc, exec, s[16:17]
	s_cbranch_vccz .LBB46_1569
; %bb.1567:
	s_cmp_eq_u32 s9, 29
	s_mov_b64 s[0:1], -1
	s_cbranch_scc0 .LBB46_1569
; %bb.1568:
	v_bfe_i32 v12, v1, 0, 16
	v_ashrrev_i32_e32 v13, 31, v12
	global_store_dwordx2 v[10:11], v[12:13], off
	s_mov_b64 s[0:1], 0
	s_mov_b64 s[10:11], -1
.LBB46_1569:
	s_mov_b64 s[16:17], 0
.LBB46_1570:
	s_and_b64 vcc, exec, s[16:17]
	s_cbranch_vccz .LBB46_1586
; %bb.1571:
	s_cmp_lt_i32 s9, 27
	s_mov_b64 s[10:11], -1
	s_cbranch_scc1 .LBB46_1577
; %bb.1572:
	s_cmp_gt_i32 s9, 27
	s_cbranch_scc0 .LBB46_1574
; %bb.1573:
	v_bfe_i32 v3, v1, 0, 16
	s_mov_b64 s[10:11], 0
	global_store_dword v[10:11], v3, off
.LBB46_1574:
	s_andn2_b64 vcc, exec, s[10:11]
	s_cbranch_vccnz .LBB46_1576
; %bb.1575:
	global_store_short v[10:11], v1, off
.LBB46_1576:
	s_mov_b64 s[10:11], 0
.LBB46_1577:
	s_andn2_b64 vcc, exec, s[10:11]
	s_cbranch_vccnz .LBB46_1585
; %bb.1578:
	v_cvt_f32_i32_sdwa v3, sext(v1) dst_sel:DWORD dst_unused:UNUSED_PAD src0_sel:WORD_0
	s_mov_b32 s10, 0x43800000
	v_mov_b32_e32 v7, 0x80
	v_and_b32_e32 v5, 0x7fffffff, v3
	v_cmp_gt_u32_e32 vcc, s10, v5
	s_and_saveexec_b64 s[10:11], vcc
	s_cbranch_execz .LBB46_1584
; %bb.1579:
	s_mov_b32 s16, 0x3bffffff
	v_cmp_lt_u32_e32 vcc, s16, v5
	s_mov_b64 s[16:17], 0
                                        ; implicit-def: $vgpr5
	s_and_saveexec_b64 s[18:19], vcc
	s_xor_b64 s[18:19], exec, s[18:19]
	s_cbranch_execz .LBB46_1989
; %bb.1580:
	v_bfe_u32 v5, v3, 20, 1
	s_mov_b32 s21, 0x487ffff
	v_add3_u32 v5, v3, v5, s21
	s_mov_b64 s[16:17], exec
	v_lshrrev_b32_e32 v5, 20, v5
	s_andn2_saveexec_b64 s[18:19], s[18:19]
	s_cbranch_execnz .LBB46_1990
.LBB46_1581:
	s_or_b64 exec, exec, s[18:19]
	v_mov_b32_e32 v7, 0
	s_and_saveexec_b64 s[18:19], s[16:17]
.LBB46_1582:
	v_lshrrev_b32_e32 v3, 24, v3
	s_movk_i32 s16, 0x80
	v_and_or_b32 v7, v3, s16, v5
.LBB46_1583:
	s_or_b64 exec, exec, s[18:19]
.LBB46_1584:
	s_or_b64 exec, exec, s[10:11]
	global_store_byte v[10:11], v7, off
.LBB46_1585:
	s_mov_b64 s[10:11], -1
.LBB46_1586:
	s_mov_b64 s[16:17], 0
.LBB46_1587:
	s_and_b64 vcc, exec, s[16:17]
	s_cbranch_vccz .LBB46_1627
; %bb.1588:
	s_cmp_gt_i32 s9, 22
	s_mov_b64 s[6:7], -1
	s_cbranch_scc0 .LBB46_1620
; %bb.1589:
	s_cmp_lt_i32 s9, 24
	s_cbranch_scc1 .LBB46_1609
; %bb.1590:
	s_cmp_gt_i32 s9, 24
	s_cbranch_scc0 .LBB46_1598
; %bb.1591:
	v_cvt_f32_i32_sdwa v3, sext(v1) dst_sel:DWORD dst_unused:UNUSED_PAD src0_sel:WORD_0
	s_mov_b32 s6, 0x47800000
	v_mov_b32_e32 v7, 0x80
	v_and_b32_e32 v5, 0x7fffffff, v3
	v_cmp_gt_u32_e32 vcc, s6, v5
	s_and_saveexec_b64 s[6:7], vcc
	s_cbranch_execz .LBB46_1597
; %bb.1592:
	s_mov_b32 s10, 0x37ffffff
	v_cmp_lt_u32_e32 vcc, s10, v5
	s_mov_b64 s[10:11], 0
                                        ; implicit-def: $vgpr5
	s_and_saveexec_b64 s[16:17], vcc
	s_xor_b64 s[16:17], exec, s[16:17]
	s_cbranch_execz .LBB46_1992
; %bb.1593:
	v_bfe_u32 v5, v3, 21, 1
	s_mov_b32 s18, 0x88fffff
	v_add3_u32 v5, v3, v5, s18
	s_mov_b64 s[10:11], exec
	v_lshrrev_b32_e32 v5, 21, v5
	s_andn2_saveexec_b64 s[16:17], s[16:17]
	s_cbranch_execnz .LBB46_1993
.LBB46_1594:
	s_or_b64 exec, exec, s[16:17]
	v_mov_b32_e32 v7, 0
	s_and_saveexec_b64 s[16:17], s[10:11]
.LBB46_1595:
	v_lshrrev_b32_e32 v3, 24, v3
	s_movk_i32 s10, 0x80
	v_and_or_b32 v7, v3, s10, v5
.LBB46_1596:
	s_or_b64 exec, exec, s[16:17]
.LBB46_1597:
	s_or_b64 exec, exec, s[6:7]
	s_mov_b64 s[6:7], 0
	global_store_byte v[10:11], v7, off
.LBB46_1598:
	s_and_b64 vcc, exec, s[6:7]
	s_cbranch_vccz .LBB46_1608
; %bb.1599:
	v_cvt_f32_i32_sdwa v3, sext(v1) dst_sel:DWORD dst_unused:UNUSED_PAD src0_sel:WORD_0
	s_mov_b32 s6, 0x43f00000
                                        ; implicit-def: $vgpr5
	v_and_b32_e32 v7, 0x7fffffff, v3
	v_cmp_gt_u32_e32 vcc, s6, v7
	s_and_saveexec_b64 s[6:7], vcc
	s_xor_b64 s[6:7], exec, s[6:7]
	s_cbranch_execz .LBB46_1605
; %bb.1600:
	s_mov_b32 s10, 0x3c7fffff
	v_cmp_lt_u32_e32 vcc, s10, v7
                                        ; implicit-def: $vgpr5
	s_and_saveexec_b64 s[10:11], vcc
	s_xor_b64 s[10:11], exec, s[10:11]
; %bb.1601:
	v_bfe_u32 v5, v3, 20, 1
	s_mov_b32 s16, 0x407ffff
	v_add3_u32 v5, v3, v5, s16
	v_lshrrev_b32_e32 v7, 20, v5
	v_and_b32_e32 v5, 0xff00000, v5
	s_mov_b32 s16, 0x7f00000
	v_mov_b32_e32 v9, 0x7e
	v_cmp_ne_u32_e32 vcc, s16, v5
	s_nop 1
	v_cndmask_b32_e32 v5, v9, v7, vcc
; %bb.1602:
	s_andn2_saveexec_b64 s[10:11], s[10:11]
; %bb.1603:
	s_mov_b32 s16, 0x46800000
	v_add_f32_e64 v5, |v3|, s16
; %bb.1604:
	s_or_b64 exec, exec, s[10:11]
                                        ; implicit-def: $vgpr7
.LBB46_1605:
	s_andn2_saveexec_b64 s[6:7], s[6:7]
; %bb.1606:
	s_mov_b32 s10, 0x7f800000
	v_mov_b32_e32 v5, 0x7e
	v_mov_b32_e32 v9, 0x7f
	v_cmp_lt_u32_e32 vcc, s10, v7
	s_nop 1
	v_cndmask_b32_e32 v5, v5, v9, vcc
; %bb.1607:
	s_or_b64 exec, exec, s[6:7]
	v_lshrrev_b32_e32 v3, 24, v3
	s_movk_i32 s6, 0x80
	v_and_or_b32 v3, v3, s6, v5
	global_store_byte v[10:11], v3, off
.LBB46_1608:
	s_mov_b64 s[6:7], 0
.LBB46_1609:
	s_andn2_b64 vcc, exec, s[6:7]
	s_cbranch_vccnz .LBB46_1619
; %bb.1610:
	v_cvt_f32_i32_sdwa v3, sext(v1) dst_sel:DWORD dst_unused:UNUSED_PAD src0_sel:WORD_0
	s_mov_b32 s6, 0x47800000
                                        ; implicit-def: $vgpr5
	v_and_b32_e32 v7, 0x7fffffff, v3
	v_cmp_gt_u32_e32 vcc, s6, v7
	s_and_saveexec_b64 s[6:7], vcc
	s_xor_b64 s[6:7], exec, s[6:7]
	s_cbranch_execz .LBB46_1616
; %bb.1611:
	s_mov_b32 s10, 0x387fffff
	v_cmp_lt_u32_e32 vcc, s10, v7
                                        ; implicit-def: $vgpr5
	s_and_saveexec_b64 s[10:11], vcc
	s_xor_b64 s[10:11], exec, s[10:11]
; %bb.1612:
	v_bfe_u32 v5, v3, 21, 1
	s_mov_b32 s16, 0x80fffff
	v_add3_u32 v5, v3, v5, s16
	v_lshrrev_b32_e32 v5, 21, v5
; %bb.1613:
	s_andn2_saveexec_b64 s[10:11], s[10:11]
; %bb.1614:
	s_mov_b32 s16, 0x43000000
	v_add_f32_e64 v5, |v3|, s16
; %bb.1615:
	s_or_b64 exec, exec, s[10:11]
                                        ; implicit-def: $vgpr7
.LBB46_1616:
	s_andn2_saveexec_b64 s[6:7], s[6:7]
; %bb.1617:
	s_mov_b32 s10, 0x7f800000
	v_mov_b32_e32 v5, 0x7c
	v_mov_b32_e32 v9, 0x7f
	v_cmp_lt_u32_e32 vcc, s10, v7
	s_nop 1
	v_cndmask_b32_e32 v5, v5, v9, vcc
; %bb.1618:
	s_or_b64 exec, exec, s[6:7]
	v_lshrrev_b32_e32 v3, 24, v3
	s_movk_i32 s6, 0x80
	v_and_or_b32 v3, v3, s6, v5
	global_store_byte v[10:11], v3, off
.LBB46_1619:
	s_mov_b64 s[6:7], 0
	s_mov_b64 s[10:11], -1
.LBB46_1620:
	s_andn2_b64 vcc, exec, s[6:7]
	s_mov_b64 s[6:7], 0
	s_cbranch_vccnz .LBB46_1627
; %bb.1621:
	s_cmp_gt_i32 s9, 14
	s_mov_b64 s[16:17], -1
	s_cbranch_scc0 .LBB46_1625
; %bb.1622:
	s_cmp_eq_u32 s9, 15
	s_mov_b64 s[0:1], -1
	s_cbranch_scc0 .LBB46_1624
; %bb.1623:
	v_cvt_f32_i32_sdwa v3, sext(v1) dst_sel:DWORD dst_unused:UNUSED_PAD src0_sel:WORD_0
	s_movk_i32 s6, 0x7fff
	s_mov_b64 s[0:1], 0
	s_mov_b64 s[10:11], -1
	v_bfe_u32 v5, v3, 16, 1
	v_add3_u32 v3, v3, v5, s6
	global_store_short_d16_hi v[10:11], v3, off
.LBB46_1624:
	s_mov_b64 s[16:17], 0
.LBB46_1625:
	s_mov_b64 s[6:7], 0
	s_and_b64 vcc, exec, s[16:17]
	s_cbranch_vccz .LBB46_1627
; %bb.1626:
	s_cmp_lg_u32 s9, 11
	s_mov_b64 s[6:7], -1
	s_cselect_b64 s[0:1], -1, 0
.LBB46_1627:
	s_and_b64 vcc, exec, s[0:1]
	s_cbranch_vccnz .LBB46_1991
; %bb.1628:
	s_andn2_b64 vcc, exec, s[6:7]
	s_cbranch_vccnz .LBB46_1630
.LBB46_1629:
	v_cmp_ne_u16_e32 vcc, -1, v6
	s_mov_b64 s[10:11], -1
	s_nop 0
	v_cndmask_b32_e64 v3, 0, 1, vcc
	global_store_byte v[10:11], v3, off
.LBB46_1630:
	s_mov_b64 s[0:1], 0
	s_branch .LBB46_1632
.LBB46_1631:
	s_mov_b64 s[0:1], -1
	s_mov_b64 s[10:11], 0
.LBB46_1632:
	s_and_b64 vcc, exec, s[0:1]
	s_cbranch_vccz .LBB46_1671
; %bb.1633:
	s_and_b32 s6, 0xffff, s20
	s_cmp_lt_i32 s6, 5
	s_mov_b64 s[0:1], -1
	s_cbranch_scc1 .LBB46_1654
; %bb.1634:
	s_cmp_lt_i32 s6, 8
	s_cbranch_scc1 .LBB46_1644
; %bb.1635:
	s_cmp_lt_i32 s6, 9
	s_cbranch_scc1 .LBB46_1641
; %bb.1636:
	s_cmp_gt_i32 s6, 9
	s_cbranch_scc0 .LBB46_1638
; %bb.1637:
	v_bfe_i32 v3, v1, 0, 16
	v_mov_b32_e32 v14, 0
	v_cvt_f64_i32_e32 v[12:13], v3
	v_mov_b32_e32 v15, v14
	global_store_dwordx4 v[10:11], v[12:15], off
	s_mov_b64 s[0:1], 0
.LBB46_1638:
	s_andn2_b64 vcc, exec, s[0:1]
	s_cbranch_vccnz .LBB46_1640
; %bb.1639:
	v_cvt_f32_i32_sdwa v6, sext(v1) dst_sel:DWORD dst_unused:UNUSED_PAD src0_sel:WORD_0
	v_mov_b32_e32 v7, 0
	global_store_dwordx2 v[10:11], v[6:7], off
.LBB46_1640:
	s_mov_b64 s[0:1], 0
.LBB46_1641:
	s_andn2_b64 vcc, exec, s[0:1]
	s_cbranch_vccnz .LBB46_1643
; %bb.1642:
	v_cvt_f16_i16_e32 v3, v1
	global_store_dword v[10:11], v3, off
.LBB46_1643:
	s_mov_b64 s[0:1], 0
.LBB46_1644:
	s_andn2_b64 vcc, exec, s[0:1]
	s_cbranch_vccnz .LBB46_1653
; %bb.1645:
	s_cmp_lt_i32 s6, 6
	s_mov_b64 s[0:1], -1
	s_cbranch_scc1 .LBB46_1651
; %bb.1646:
	s_cmp_gt_i32 s6, 6
	s_cbranch_scc0 .LBB46_1648
; %bb.1647:
	v_bfe_i32 v3, v1, 0, 16
	v_cvt_f64_i32_e32 v[6:7], v3
	global_store_dwordx2 v[10:11], v[6:7], off
	s_mov_b64 s[0:1], 0
.LBB46_1648:
	s_andn2_b64 vcc, exec, s[0:1]
	s_cbranch_vccnz .LBB46_1650
; %bb.1649:
	v_cvt_f32_i32_sdwa v3, sext(v1) dst_sel:DWORD dst_unused:UNUSED_PAD src0_sel:WORD_0
	global_store_dword v[10:11], v3, off
.LBB46_1650:
	s_mov_b64 s[0:1], 0
.LBB46_1651:
	s_andn2_b64 vcc, exec, s[0:1]
	s_cbranch_vccnz .LBB46_1653
; %bb.1652:
	v_cvt_f16_i16_e32 v3, v1
	global_store_short v[10:11], v3, off
.LBB46_1653:
	s_mov_b64 s[0:1], 0
.LBB46_1654:
	s_andn2_b64 vcc, exec, s[0:1]
	s_cbranch_vccnz .LBB46_1670
; %bb.1655:
	s_cmp_lt_i32 s6, 2
	s_mov_b64 s[0:1], -1
	s_cbranch_scc1 .LBB46_1665
; %bb.1656:
	s_cmp_lt_i32 s6, 3
	s_cbranch_scc1 .LBB46_1662
; %bb.1657:
	s_cmp_gt_i32 s6, 3
	v_bfe_i32 v6, v1, 0, 16
	s_cbranch_scc0 .LBB46_1659
; %bb.1658:
	v_ashrrev_i32_e32 v7, 31, v6
	global_store_dwordx2 v[10:11], v[6:7], off
	s_mov_b64 s[0:1], 0
.LBB46_1659:
	s_andn2_b64 vcc, exec, s[0:1]
	s_cbranch_vccnz .LBB46_1661
; %bb.1660:
	global_store_dword v[10:11], v6, off
.LBB46_1661:
	s_mov_b64 s[0:1], 0
.LBB46_1662:
	s_andn2_b64 vcc, exec, s[0:1]
	s_cbranch_vccnz .LBB46_1664
; %bb.1663:
	global_store_short v[10:11], v1, off
.LBB46_1664:
	s_mov_b64 s[0:1], 0
.LBB46_1665:
	s_andn2_b64 vcc, exec, s[0:1]
	s_cbranch_vccnz .LBB46_1670
; %bb.1666:
	s_cmp_gt_i32 s6, 0
	s_mov_b64 s[0:1], -1
	s_cbranch_scc0 .LBB46_1668
; %bb.1667:
	global_store_byte v[10:11], v1, off
	s_mov_b64 s[0:1], 0
.LBB46_1668:
	s_andn2_b64 vcc, exec, s[0:1]
	s_cbranch_vccnz .LBB46_1670
; %bb.1669:
	global_store_byte v[10:11], v1, off
.LBB46_1670:
	s_mov_b64 s[10:11], -1
.LBB46_1671:
	s_andn2_b64 vcc, exec, s[10:11]
	s_cbranch_vccnz .LBB46_1986
; %bb.1672:
	s_lshl_b32 s18, s8, 7
	v_add_u32_e32 v6, s18, v8
	v_ashrrev_i32_e32 v7, 31, v6
	v_xor_b32_e32 v1, -1, v4
	s_cmp_lt_i32 s20, 11
	v_lshl_add_u64 v[8:9], s[4:5], 0, v[6:7]
	s_cbranch_scc1 .LBB46_1750
; %bb.1673:
	s_and_b32 s19, 0xffff, s20
	s_mov_b64 s[10:11], -1
	s_mov_b64 s[6:7], 0
	s_cmp_gt_i32 s19, 25
	s_mov_b64 s[8:9], 0
	s_mov_b64 s[0:1], 0
	s_cbranch_scc0 .LBB46_1706
; %bb.1674:
	s_cmp_gt_i32 s19, 28
	s_cbranch_scc0 .LBB46_1689
; %bb.1675:
	s_cmp_gt_i32 s19, 43
	;; [unrolled: 3-line block ×3, first 2 shown]
	s_cbranch_scc0 .LBB46_1679
; %bb.1677:
	s_mov_b64 s[0:1], -1
	s_mov_b64 s[10:11], 0
	s_cmp_eq_u32 s19, 46
	s_cbranch_scc0 .LBB46_1679
; %bb.1678:
	v_cvt_f32_i32_sdwa v3, sext(v1) dst_sel:DWORD dst_unused:UNUSED_PAD src0_sel:WORD_0
	s_movk_i32 s8, 0x7fff
	s_mov_b64 s[0:1], 0
	v_bfe_u32 v5, v3, 16, 1
	v_add3_u32 v3, v3, v5, s8
	v_lshrrev_b32_e32 v3, 16, v3
	global_store_dword v[8:9], v3, off
	s_mov_b64 s[8:9], -1
.LBB46_1679:
	s_and_b64 vcc, exec, s[10:11]
	s_cbranch_vccz .LBB46_1684
; %bb.1680:
	s_cmp_eq_u32 s19, 44
	s_mov_b64 s[0:1], -1
	s_cbranch_scc0 .LBB46_1684
; %bb.1681:
	v_cvt_f32_i32_sdwa v3, sext(v1) dst_sel:DWORD dst_unused:UNUSED_PAD src0_sel:WORD_0
	s_movk_i32 s0, 0xff
	v_mov_b32_e32 v7, 0xff
	v_bfe_u32 v5, v3, 23, 8
	v_cmp_ne_u32_e32 vcc, s0, v5
	s_and_saveexec_b64 s[8:9], vcc
; %bb.1682:
	s_mov_b32 s0, 0x3fffff
	v_lshrrev_b32_e32 v7, 23, v3
	v_and_b32_e32 v10, 0x400000, v3
	v_and_or_b32 v3, v3, s0, v5
	v_cmp_ne_u32_e32 vcc, 0, v10
	v_cmp_ne_u32_e64 s[0:1], 0, v3
	s_and_b64 s[0:1], vcc, s[0:1]
	s_nop 0
	v_cndmask_b32_e64 v3, 0, 1, s[0:1]
	v_add_u32_e32 v7, v7, v3
; %bb.1683:
	s_or_b64 exec, exec, s[8:9]
	s_mov_b64 s[0:1], 0
	s_mov_b64 s[8:9], -1
	global_store_byte v[8:9], v7, off
.LBB46_1684:
	s_mov_b64 s[10:11], 0
.LBB46_1685:
	s_and_b64 vcc, exec, s[10:11]
	s_cbranch_vccz .LBB46_1688
; %bb.1686:
	s_cmp_eq_u32 s19, 29
	s_mov_b64 s[0:1], -1
	s_cbranch_scc0 .LBB46_1688
; %bb.1687:
	v_bfe_i32 v10, v1, 0, 16
	v_ashrrev_i32_e32 v11, 31, v10
	global_store_dwordx2 v[8:9], v[10:11], off
	s_mov_b64 s[0:1], 0
	s_mov_b64 s[8:9], -1
.LBB46_1688:
	s_mov_b64 s[10:11], 0
.LBB46_1689:
	s_and_b64 vcc, exec, s[10:11]
	s_cbranch_vccz .LBB46_1705
; %bb.1690:
	s_cmp_lt_i32 s19, 27
	s_mov_b64 s[8:9], -1
	s_cbranch_scc1 .LBB46_1696
; %bb.1691:
	s_cmp_gt_i32 s19, 27
	s_cbranch_scc0 .LBB46_1693
; %bb.1692:
	v_bfe_i32 v3, v1, 0, 16
	s_mov_b64 s[8:9], 0
	global_store_dword v[8:9], v3, off
.LBB46_1693:
	s_andn2_b64 vcc, exec, s[8:9]
	s_cbranch_vccnz .LBB46_1695
; %bb.1694:
	global_store_short v[8:9], v1, off
.LBB46_1695:
	s_mov_b64 s[8:9], 0
.LBB46_1696:
	s_andn2_b64 vcc, exec, s[8:9]
	s_cbranch_vccnz .LBB46_1704
; %bb.1697:
	v_cvt_f32_i32_sdwa v3, sext(v1) dst_sel:DWORD dst_unused:UNUSED_PAD src0_sel:WORD_0
	s_mov_b32 s8, 0x43800000
	v_mov_b32_e32 v7, 0x80
	v_and_b32_e32 v5, 0x7fffffff, v3
	v_cmp_gt_u32_e32 vcc, s8, v5
	s_and_saveexec_b64 s[8:9], vcc
	s_cbranch_execz .LBB46_1703
; %bb.1698:
	s_mov_b32 s10, 0x3bffffff
	v_cmp_lt_u32_e32 vcc, s10, v5
	s_mov_b64 s[10:11], 0
                                        ; implicit-def: $vgpr5
	s_and_saveexec_b64 s[16:17], vcc
	s_xor_b64 s[16:17], exec, s[16:17]
	s_cbranch_execz .LBB46_1994
; %bb.1699:
	v_bfe_u32 v5, v3, 20, 1
	s_mov_b32 s21, 0x487ffff
	v_add3_u32 v5, v3, v5, s21
	s_mov_b64 s[10:11], exec
	v_lshrrev_b32_e32 v5, 20, v5
	s_andn2_saveexec_b64 s[16:17], s[16:17]
	s_cbranch_execnz .LBB46_1995
.LBB46_1700:
	s_or_b64 exec, exec, s[16:17]
	v_mov_b32_e32 v7, 0
	s_and_saveexec_b64 s[16:17], s[10:11]
.LBB46_1701:
	v_lshrrev_b32_e32 v3, 24, v3
	s_movk_i32 s10, 0x80
	v_and_or_b32 v7, v3, s10, v5
.LBB46_1702:
	s_or_b64 exec, exec, s[16:17]
.LBB46_1703:
	s_or_b64 exec, exec, s[8:9]
	global_store_byte v[8:9], v7, off
.LBB46_1704:
	s_mov_b64 s[8:9], -1
.LBB46_1705:
	s_mov_b64 s[10:11], 0
.LBB46_1706:
	s_and_b64 vcc, exec, s[10:11]
	s_cbranch_vccz .LBB46_1746
; %bb.1707:
	s_cmp_gt_i32 s19, 22
	s_mov_b64 s[6:7], -1
	s_cbranch_scc0 .LBB46_1739
; %bb.1708:
	s_cmp_lt_i32 s19, 24
	s_cbranch_scc1 .LBB46_1728
; %bb.1709:
	s_cmp_gt_i32 s19, 24
	s_cbranch_scc0 .LBB46_1717
; %bb.1710:
	v_cvt_f32_i32_sdwa v3, sext(v1) dst_sel:DWORD dst_unused:UNUSED_PAD src0_sel:WORD_0
	s_mov_b32 s6, 0x47800000
	v_mov_b32_e32 v7, 0x80
	v_and_b32_e32 v5, 0x7fffffff, v3
	v_cmp_gt_u32_e32 vcc, s6, v5
	s_and_saveexec_b64 s[6:7], vcc
	s_cbranch_execz .LBB46_1716
; %bb.1711:
	s_mov_b32 s8, 0x37ffffff
	v_cmp_lt_u32_e32 vcc, s8, v5
	s_mov_b64 s[8:9], 0
                                        ; implicit-def: $vgpr5
	s_and_saveexec_b64 s[10:11], vcc
	s_xor_b64 s[10:11], exec, s[10:11]
	s_cbranch_execz .LBB46_1997
; %bb.1712:
	v_bfe_u32 v5, v3, 21, 1
	s_mov_b32 s16, 0x88fffff
	v_add3_u32 v5, v3, v5, s16
	s_mov_b64 s[8:9], exec
	v_lshrrev_b32_e32 v5, 21, v5
	s_andn2_saveexec_b64 s[10:11], s[10:11]
	s_cbranch_execnz .LBB46_1998
.LBB46_1713:
	s_or_b64 exec, exec, s[10:11]
	v_mov_b32_e32 v7, 0
	s_and_saveexec_b64 s[10:11], s[8:9]
.LBB46_1714:
	v_lshrrev_b32_e32 v3, 24, v3
	s_movk_i32 s8, 0x80
	v_and_or_b32 v7, v3, s8, v5
.LBB46_1715:
	s_or_b64 exec, exec, s[10:11]
.LBB46_1716:
	s_or_b64 exec, exec, s[6:7]
	s_mov_b64 s[6:7], 0
	global_store_byte v[8:9], v7, off
.LBB46_1717:
	s_and_b64 vcc, exec, s[6:7]
	s_cbranch_vccz .LBB46_1727
; %bb.1718:
	v_cvt_f32_i32_sdwa v3, sext(v1) dst_sel:DWORD dst_unused:UNUSED_PAD src0_sel:WORD_0
	s_mov_b32 s6, 0x43f00000
                                        ; implicit-def: $vgpr5
	v_and_b32_e32 v7, 0x7fffffff, v3
	v_cmp_gt_u32_e32 vcc, s6, v7
	s_and_saveexec_b64 s[6:7], vcc
	s_xor_b64 s[6:7], exec, s[6:7]
	s_cbranch_execz .LBB46_1724
; %bb.1719:
	s_mov_b32 s8, 0x3c7fffff
	v_cmp_lt_u32_e32 vcc, s8, v7
                                        ; implicit-def: $vgpr5
	s_and_saveexec_b64 s[8:9], vcc
	s_xor_b64 s[8:9], exec, s[8:9]
; %bb.1720:
	v_bfe_u32 v5, v3, 20, 1
	s_mov_b32 s10, 0x407ffff
	v_add3_u32 v5, v3, v5, s10
	v_lshrrev_b32_e32 v7, 20, v5
	v_and_b32_e32 v5, 0xff00000, v5
	s_mov_b32 s10, 0x7f00000
	v_mov_b32_e32 v10, 0x7e
	v_cmp_ne_u32_e32 vcc, s10, v5
	s_nop 1
	v_cndmask_b32_e32 v5, v10, v7, vcc
; %bb.1721:
	s_andn2_saveexec_b64 s[8:9], s[8:9]
; %bb.1722:
	s_mov_b32 s10, 0x46800000
	v_add_f32_e64 v5, |v3|, s10
; %bb.1723:
	s_or_b64 exec, exec, s[8:9]
                                        ; implicit-def: $vgpr7
.LBB46_1724:
	s_andn2_saveexec_b64 s[6:7], s[6:7]
; %bb.1725:
	s_mov_b32 s8, 0x7f800000
	v_mov_b32_e32 v5, 0x7e
	v_mov_b32_e32 v10, 0x7f
	v_cmp_lt_u32_e32 vcc, s8, v7
	s_nop 1
	v_cndmask_b32_e32 v5, v5, v10, vcc
; %bb.1726:
	s_or_b64 exec, exec, s[6:7]
	v_lshrrev_b32_e32 v3, 24, v3
	s_movk_i32 s6, 0x80
	v_and_or_b32 v3, v3, s6, v5
	global_store_byte v[8:9], v3, off
.LBB46_1727:
	s_mov_b64 s[6:7], 0
.LBB46_1728:
	s_andn2_b64 vcc, exec, s[6:7]
	s_cbranch_vccnz .LBB46_1738
; %bb.1729:
	v_cvt_f32_i32_sdwa v3, sext(v1) dst_sel:DWORD dst_unused:UNUSED_PAD src0_sel:WORD_0
	s_mov_b32 s6, 0x47800000
                                        ; implicit-def: $vgpr5
	v_and_b32_e32 v7, 0x7fffffff, v3
	v_cmp_gt_u32_e32 vcc, s6, v7
	s_and_saveexec_b64 s[6:7], vcc
	s_xor_b64 s[6:7], exec, s[6:7]
	s_cbranch_execz .LBB46_1735
; %bb.1730:
	s_mov_b32 s8, 0x387fffff
	v_cmp_lt_u32_e32 vcc, s8, v7
                                        ; implicit-def: $vgpr5
	s_and_saveexec_b64 s[8:9], vcc
	s_xor_b64 s[8:9], exec, s[8:9]
; %bb.1731:
	v_bfe_u32 v5, v3, 21, 1
	s_mov_b32 s10, 0x80fffff
	v_add3_u32 v5, v3, v5, s10
	v_lshrrev_b32_e32 v5, 21, v5
; %bb.1732:
	s_andn2_saveexec_b64 s[8:9], s[8:9]
; %bb.1733:
	s_mov_b32 s10, 0x43000000
	v_add_f32_e64 v5, |v3|, s10
; %bb.1734:
	s_or_b64 exec, exec, s[8:9]
                                        ; implicit-def: $vgpr7
.LBB46_1735:
	s_andn2_saveexec_b64 s[6:7], s[6:7]
; %bb.1736:
	s_mov_b32 s8, 0x7f800000
	v_mov_b32_e32 v5, 0x7c
	v_mov_b32_e32 v10, 0x7f
	v_cmp_lt_u32_e32 vcc, s8, v7
	s_nop 1
	v_cndmask_b32_e32 v5, v5, v10, vcc
; %bb.1737:
	s_or_b64 exec, exec, s[6:7]
	v_lshrrev_b32_e32 v3, 24, v3
	s_movk_i32 s6, 0x80
	v_and_or_b32 v3, v3, s6, v5
	global_store_byte v[8:9], v3, off
.LBB46_1738:
	s_mov_b64 s[6:7], 0
	s_mov_b64 s[8:9], -1
.LBB46_1739:
	s_andn2_b64 vcc, exec, s[6:7]
	s_mov_b64 s[6:7], 0
	s_cbranch_vccnz .LBB46_1746
; %bb.1740:
	s_cmp_gt_i32 s19, 14
	s_mov_b64 s[10:11], -1
	s_cbranch_scc0 .LBB46_1744
; %bb.1741:
	s_cmp_eq_u32 s19, 15
	s_mov_b64 s[0:1], -1
	s_cbranch_scc0 .LBB46_1743
; %bb.1742:
	v_cvt_f32_i32_sdwa v3, sext(v1) dst_sel:DWORD dst_unused:UNUSED_PAD src0_sel:WORD_0
	s_movk_i32 s6, 0x7fff
	s_mov_b64 s[0:1], 0
	s_mov_b64 s[8:9], -1
	v_bfe_u32 v5, v3, 16, 1
	v_add3_u32 v3, v3, v5, s6
	global_store_short_d16_hi v[8:9], v3, off
.LBB46_1743:
	s_mov_b64 s[10:11], 0
.LBB46_1744:
	s_mov_b64 s[6:7], 0
	s_and_b64 vcc, exec, s[10:11]
	s_cbranch_vccz .LBB46_1746
; %bb.1745:
	s_cmp_lg_u32 s19, 11
	s_mov_b64 s[6:7], -1
	s_cselect_b64 s[0:1], -1, 0
.LBB46_1746:
	s_and_b64 vcc, exec, s[0:1]
	s_cbranch_vccnz .LBB46_1996
; %bb.1747:
	s_andn2_b64 vcc, exec, s[6:7]
	s_cbranch_vccnz .LBB46_1749
.LBB46_1748:
	v_cmp_ne_u16_e32 vcc, -1, v4
	s_mov_b64 s[8:9], -1
	s_nop 0
	v_cndmask_b32_e64 v3, 0, 1, vcc
	global_store_byte v[8:9], v3, off
.LBB46_1749:
	s_mov_b64 s[0:1], 0
	s_branch .LBB46_1751
.LBB46_1750:
	s_mov_b64 s[0:1], -1
	s_mov_b64 s[8:9], 0
.LBB46_1751:
	s_and_b64 vcc, exec, s[0:1]
	s_cbranch_vccz .LBB46_1790
; %bb.1752:
	s_and_b32 s6, 0xffff, s20
	s_cmp_lt_i32 s6, 5
	s_mov_b64 s[0:1], -1
	s_cbranch_scc1 .LBB46_1773
; %bb.1753:
	s_cmp_lt_i32 s6, 8
	s_cbranch_scc1 .LBB46_1763
; %bb.1754:
	s_cmp_lt_i32 s6, 9
	s_cbranch_scc1 .LBB46_1760
; %bb.1755:
	s_cmp_gt_i32 s6, 9
	s_cbranch_scc0 .LBB46_1757
; %bb.1756:
	v_bfe_i32 v3, v1, 0, 16
	v_mov_b32_e32 v12, 0
	v_cvt_f64_i32_e32 v[10:11], v3
	v_mov_b32_e32 v13, v12
	global_store_dwordx4 v[8:9], v[10:13], off
	s_mov_b64 s[0:1], 0
.LBB46_1757:
	s_andn2_b64 vcc, exec, s[0:1]
	s_cbranch_vccnz .LBB46_1759
; %bb.1758:
	v_cvt_f32_i32_sdwa v4, sext(v1) dst_sel:DWORD dst_unused:UNUSED_PAD src0_sel:WORD_0
	v_mov_b32_e32 v5, 0
	global_store_dwordx2 v[8:9], v[4:5], off
.LBB46_1759:
	s_mov_b64 s[0:1], 0
.LBB46_1760:
	s_andn2_b64 vcc, exec, s[0:1]
	s_cbranch_vccnz .LBB46_1762
; %bb.1761:
	v_cvt_f16_i16_e32 v3, v1
	global_store_dword v[8:9], v3, off
.LBB46_1762:
	s_mov_b64 s[0:1], 0
.LBB46_1763:
	s_andn2_b64 vcc, exec, s[0:1]
	s_cbranch_vccnz .LBB46_1772
; %bb.1764:
	s_cmp_lt_i32 s6, 6
	s_mov_b64 s[0:1], -1
	s_cbranch_scc1 .LBB46_1770
; %bb.1765:
	s_cmp_gt_i32 s6, 6
	s_cbranch_scc0 .LBB46_1767
; %bb.1766:
	v_bfe_i32 v3, v1, 0, 16
	v_cvt_f64_i32_e32 v[4:5], v3
	global_store_dwordx2 v[8:9], v[4:5], off
	s_mov_b64 s[0:1], 0
.LBB46_1767:
	s_andn2_b64 vcc, exec, s[0:1]
	s_cbranch_vccnz .LBB46_1769
; %bb.1768:
	v_cvt_f32_i32_sdwa v3, sext(v1) dst_sel:DWORD dst_unused:UNUSED_PAD src0_sel:WORD_0
	global_store_dword v[8:9], v3, off
.LBB46_1769:
	s_mov_b64 s[0:1], 0
.LBB46_1770:
	s_andn2_b64 vcc, exec, s[0:1]
	s_cbranch_vccnz .LBB46_1772
; %bb.1771:
	v_cvt_f16_i16_e32 v3, v1
	global_store_short v[8:9], v3, off
.LBB46_1772:
	s_mov_b64 s[0:1], 0
.LBB46_1773:
	s_andn2_b64 vcc, exec, s[0:1]
	s_cbranch_vccnz .LBB46_1789
; %bb.1774:
	s_cmp_lt_i32 s6, 2
	s_mov_b64 s[0:1], -1
	s_cbranch_scc1 .LBB46_1784
; %bb.1775:
	s_cmp_lt_i32 s6, 3
	s_cbranch_scc1 .LBB46_1781
; %bb.1776:
	s_cmp_gt_i32 s6, 3
	v_bfe_i32 v4, v1, 0, 16
	s_cbranch_scc0 .LBB46_1778
; %bb.1777:
	v_ashrrev_i32_e32 v5, 31, v4
	global_store_dwordx2 v[8:9], v[4:5], off
	s_mov_b64 s[0:1], 0
.LBB46_1778:
	s_andn2_b64 vcc, exec, s[0:1]
	s_cbranch_vccnz .LBB46_1780
; %bb.1779:
	global_store_dword v[8:9], v4, off
.LBB46_1780:
	s_mov_b64 s[0:1], 0
.LBB46_1781:
	s_andn2_b64 vcc, exec, s[0:1]
	s_cbranch_vccnz .LBB46_1783
; %bb.1782:
	global_store_short v[8:9], v1, off
.LBB46_1783:
	s_mov_b64 s[0:1], 0
.LBB46_1784:
	s_andn2_b64 vcc, exec, s[0:1]
	s_cbranch_vccnz .LBB46_1789
; %bb.1785:
	s_cmp_gt_i32 s6, 0
	s_mov_b64 s[0:1], -1
	s_cbranch_scc0 .LBB46_1787
; %bb.1786:
	global_store_byte v[8:9], v1, off
	s_mov_b64 s[0:1], 0
.LBB46_1787:
	s_andn2_b64 vcc, exec, s[0:1]
	s_cbranch_vccnz .LBB46_1789
; %bb.1788:
	global_store_byte v[8:9], v1, off
.LBB46_1789:
	s_mov_b64 s[8:9], -1
.LBB46_1790:
	s_andn2_b64 vcc, exec, s[8:9]
	s_cbranch_vccnz .LBB46_1986
; %bb.1791:
	v_add_u32_e32 v4, s18, v6
	v_ashrrev_i32_e32 v5, 31, v4
	v_xor_b32_e32 v1, -1, v2
	s_cmp_lt_i32 s20, 11
	v_lshl_add_u64 v[6:7], s[4:5], 0, v[4:5]
	s_cbranch_scc1 .LBB46_1869
; %bb.1792:
	s_and_b32 s19, 0xffff, s20
	s_mov_b64 s[10:11], -1
	s_mov_b64 s[6:7], 0
	s_cmp_gt_i32 s19, 25
	s_mov_b64 s[8:9], 0
	s_mov_b64 s[0:1], 0
	s_cbranch_scc0 .LBB46_1825
; %bb.1793:
	s_cmp_gt_i32 s19, 28
	s_cbranch_scc0 .LBB46_1808
; %bb.1794:
	s_cmp_gt_i32 s19, 43
	;; [unrolled: 3-line block ×3, first 2 shown]
	s_cbranch_scc0 .LBB46_1798
; %bb.1796:
	s_mov_b64 s[0:1], -1
	s_mov_b64 s[10:11], 0
	s_cmp_eq_u32 s19, 46
	s_cbranch_scc0 .LBB46_1798
; %bb.1797:
	v_cvt_f32_i32_sdwa v3, sext(v1) dst_sel:DWORD dst_unused:UNUSED_PAD src0_sel:WORD_0
	s_movk_i32 s8, 0x7fff
	s_mov_b64 s[0:1], 0
	v_bfe_u32 v5, v3, 16, 1
	v_add3_u32 v3, v3, v5, s8
	v_lshrrev_b32_e32 v3, 16, v3
	global_store_dword v[6:7], v3, off
	s_mov_b64 s[8:9], -1
.LBB46_1798:
	s_and_b64 vcc, exec, s[10:11]
	s_cbranch_vccz .LBB46_1803
; %bb.1799:
	s_cmp_eq_u32 s19, 44
	s_mov_b64 s[0:1], -1
	s_cbranch_scc0 .LBB46_1803
; %bb.1800:
	v_cvt_f32_i32_sdwa v3, sext(v1) dst_sel:DWORD dst_unused:UNUSED_PAD src0_sel:WORD_0
	s_movk_i32 s0, 0xff
	v_mov_b32_e32 v8, 0xff
	v_bfe_u32 v5, v3, 23, 8
	v_cmp_ne_u32_e32 vcc, s0, v5
	s_and_saveexec_b64 s[8:9], vcc
; %bb.1801:
	s_mov_b32 s0, 0x3fffff
	v_lshrrev_b32_e32 v8, 23, v3
	v_and_b32_e32 v9, 0x400000, v3
	v_and_or_b32 v3, v3, s0, v5
	v_cmp_ne_u32_e32 vcc, 0, v9
	v_cmp_ne_u32_e64 s[0:1], 0, v3
	s_and_b64 s[0:1], vcc, s[0:1]
	s_nop 0
	v_cndmask_b32_e64 v3, 0, 1, s[0:1]
	v_add_u32_e32 v8, v8, v3
; %bb.1802:
	s_or_b64 exec, exec, s[8:9]
	s_mov_b64 s[0:1], 0
	s_mov_b64 s[8:9], -1
	global_store_byte v[6:7], v8, off
.LBB46_1803:
	s_mov_b64 s[10:11], 0
.LBB46_1804:
	s_and_b64 vcc, exec, s[10:11]
	s_cbranch_vccz .LBB46_1807
; %bb.1805:
	s_cmp_eq_u32 s19, 29
	s_mov_b64 s[0:1], -1
	s_cbranch_scc0 .LBB46_1807
; %bb.1806:
	v_bfe_i32 v8, v1, 0, 16
	v_ashrrev_i32_e32 v9, 31, v8
	global_store_dwordx2 v[6:7], v[8:9], off
	s_mov_b64 s[0:1], 0
	s_mov_b64 s[8:9], -1
.LBB46_1807:
	s_mov_b64 s[10:11], 0
.LBB46_1808:
	s_and_b64 vcc, exec, s[10:11]
	s_cbranch_vccz .LBB46_1824
; %bb.1809:
	s_cmp_lt_i32 s19, 27
	s_mov_b64 s[8:9], -1
	s_cbranch_scc1 .LBB46_1815
; %bb.1810:
	s_cmp_gt_i32 s19, 27
	s_cbranch_scc0 .LBB46_1812
; %bb.1811:
	v_bfe_i32 v3, v1, 0, 16
	s_mov_b64 s[8:9], 0
	global_store_dword v[6:7], v3, off
.LBB46_1812:
	s_andn2_b64 vcc, exec, s[8:9]
	s_cbranch_vccnz .LBB46_1814
; %bb.1813:
	global_store_short v[6:7], v1, off
.LBB46_1814:
	s_mov_b64 s[8:9], 0
.LBB46_1815:
	s_andn2_b64 vcc, exec, s[8:9]
	s_cbranch_vccnz .LBB46_1823
; %bb.1816:
	v_cvt_f32_i32_sdwa v3, sext(v1) dst_sel:DWORD dst_unused:UNUSED_PAD src0_sel:WORD_0
	s_mov_b32 s8, 0x43800000
	v_mov_b32_e32 v8, 0x80
	v_and_b32_e32 v5, 0x7fffffff, v3
	v_cmp_gt_u32_e32 vcc, s8, v5
	s_and_saveexec_b64 s[8:9], vcc
	s_cbranch_execz .LBB46_1822
; %bb.1817:
	s_mov_b32 s10, 0x3bffffff
	v_cmp_lt_u32_e32 vcc, s10, v5
	s_mov_b64 s[10:11], 0
                                        ; implicit-def: $vgpr5
	s_and_saveexec_b64 s[16:17], vcc
	s_xor_b64 s[16:17], exec, s[16:17]
	s_cbranch_execz .LBB46_1999
; %bb.1818:
	v_bfe_u32 v5, v3, 20, 1
	s_mov_b32 s21, 0x487ffff
	v_add3_u32 v5, v3, v5, s21
	s_mov_b64 s[10:11], exec
	v_lshrrev_b32_e32 v5, 20, v5
	s_andn2_saveexec_b64 s[16:17], s[16:17]
	s_cbranch_execnz .LBB46_2000
.LBB46_1819:
	s_or_b64 exec, exec, s[16:17]
	v_mov_b32_e32 v8, 0
	s_and_saveexec_b64 s[16:17], s[10:11]
.LBB46_1820:
	v_lshrrev_b32_e32 v3, 24, v3
	s_movk_i32 s10, 0x80
	v_and_or_b32 v8, v3, s10, v5
.LBB46_1821:
	s_or_b64 exec, exec, s[16:17]
.LBB46_1822:
	s_or_b64 exec, exec, s[8:9]
	global_store_byte v[6:7], v8, off
.LBB46_1823:
	s_mov_b64 s[8:9], -1
.LBB46_1824:
	s_mov_b64 s[10:11], 0
.LBB46_1825:
	s_and_b64 vcc, exec, s[10:11]
	s_cbranch_vccz .LBB46_1865
; %bb.1826:
	s_cmp_gt_i32 s19, 22
	s_mov_b64 s[6:7], -1
	s_cbranch_scc0 .LBB46_1858
; %bb.1827:
	s_cmp_lt_i32 s19, 24
	s_cbranch_scc1 .LBB46_1847
; %bb.1828:
	s_cmp_gt_i32 s19, 24
	s_cbranch_scc0 .LBB46_1836
; %bb.1829:
	v_cvt_f32_i32_sdwa v3, sext(v1) dst_sel:DWORD dst_unused:UNUSED_PAD src0_sel:WORD_0
	s_mov_b32 s6, 0x47800000
	v_mov_b32_e32 v8, 0x80
	v_and_b32_e32 v5, 0x7fffffff, v3
	v_cmp_gt_u32_e32 vcc, s6, v5
	s_and_saveexec_b64 s[6:7], vcc
	s_cbranch_execz .LBB46_1835
; %bb.1830:
	s_mov_b32 s8, 0x37ffffff
	v_cmp_lt_u32_e32 vcc, s8, v5
	s_mov_b64 s[8:9], 0
                                        ; implicit-def: $vgpr5
	s_and_saveexec_b64 s[10:11], vcc
	s_xor_b64 s[10:11], exec, s[10:11]
	s_cbranch_execz .LBB46_2002
; %bb.1831:
	v_bfe_u32 v5, v3, 21, 1
	s_mov_b32 s16, 0x88fffff
	v_add3_u32 v5, v3, v5, s16
	s_mov_b64 s[8:9], exec
	v_lshrrev_b32_e32 v5, 21, v5
	s_andn2_saveexec_b64 s[10:11], s[10:11]
	s_cbranch_execnz .LBB46_2003
.LBB46_1832:
	s_or_b64 exec, exec, s[10:11]
	v_mov_b32_e32 v8, 0
	s_and_saveexec_b64 s[10:11], s[8:9]
.LBB46_1833:
	v_lshrrev_b32_e32 v3, 24, v3
	s_movk_i32 s8, 0x80
	v_and_or_b32 v8, v3, s8, v5
.LBB46_1834:
	s_or_b64 exec, exec, s[10:11]
.LBB46_1835:
	s_or_b64 exec, exec, s[6:7]
	s_mov_b64 s[6:7], 0
	global_store_byte v[6:7], v8, off
.LBB46_1836:
	s_and_b64 vcc, exec, s[6:7]
	s_cbranch_vccz .LBB46_1846
; %bb.1837:
	v_cvt_f32_i32_sdwa v3, sext(v1) dst_sel:DWORD dst_unused:UNUSED_PAD src0_sel:WORD_0
	s_mov_b32 s6, 0x43f00000
                                        ; implicit-def: $vgpr5
	v_and_b32_e32 v8, 0x7fffffff, v3
	v_cmp_gt_u32_e32 vcc, s6, v8
	s_and_saveexec_b64 s[6:7], vcc
	s_xor_b64 s[6:7], exec, s[6:7]
	s_cbranch_execz .LBB46_1843
; %bb.1838:
	s_mov_b32 s8, 0x3c7fffff
	v_cmp_lt_u32_e32 vcc, s8, v8
                                        ; implicit-def: $vgpr5
	s_and_saveexec_b64 s[8:9], vcc
	s_xor_b64 s[8:9], exec, s[8:9]
; %bb.1839:
	v_bfe_u32 v5, v3, 20, 1
	s_mov_b32 s10, 0x407ffff
	v_add3_u32 v5, v3, v5, s10
	v_lshrrev_b32_e32 v8, 20, v5
	v_and_b32_e32 v5, 0xff00000, v5
	s_mov_b32 s10, 0x7f00000
	v_mov_b32_e32 v9, 0x7e
	v_cmp_ne_u32_e32 vcc, s10, v5
	s_nop 1
	v_cndmask_b32_e32 v5, v9, v8, vcc
; %bb.1840:
	s_andn2_saveexec_b64 s[8:9], s[8:9]
; %bb.1841:
	s_mov_b32 s10, 0x46800000
	v_add_f32_e64 v5, |v3|, s10
; %bb.1842:
	s_or_b64 exec, exec, s[8:9]
                                        ; implicit-def: $vgpr8
.LBB46_1843:
	s_andn2_saveexec_b64 s[6:7], s[6:7]
; %bb.1844:
	s_mov_b32 s8, 0x7f800000
	v_mov_b32_e32 v5, 0x7e
	v_mov_b32_e32 v9, 0x7f
	v_cmp_lt_u32_e32 vcc, s8, v8
	s_nop 1
	v_cndmask_b32_e32 v5, v5, v9, vcc
; %bb.1845:
	s_or_b64 exec, exec, s[6:7]
	v_lshrrev_b32_e32 v3, 24, v3
	s_movk_i32 s6, 0x80
	v_and_or_b32 v3, v3, s6, v5
	global_store_byte v[6:7], v3, off
.LBB46_1846:
	s_mov_b64 s[6:7], 0
.LBB46_1847:
	s_andn2_b64 vcc, exec, s[6:7]
	s_cbranch_vccnz .LBB46_1857
; %bb.1848:
	v_cvt_f32_i32_sdwa v3, sext(v1) dst_sel:DWORD dst_unused:UNUSED_PAD src0_sel:WORD_0
	s_mov_b32 s6, 0x47800000
                                        ; implicit-def: $vgpr5
	v_and_b32_e32 v8, 0x7fffffff, v3
	v_cmp_gt_u32_e32 vcc, s6, v8
	s_and_saveexec_b64 s[6:7], vcc
	s_xor_b64 s[6:7], exec, s[6:7]
	s_cbranch_execz .LBB46_1854
; %bb.1849:
	s_mov_b32 s8, 0x387fffff
	v_cmp_lt_u32_e32 vcc, s8, v8
                                        ; implicit-def: $vgpr5
	s_and_saveexec_b64 s[8:9], vcc
	s_xor_b64 s[8:9], exec, s[8:9]
; %bb.1850:
	v_bfe_u32 v5, v3, 21, 1
	s_mov_b32 s10, 0x80fffff
	v_add3_u32 v5, v3, v5, s10
	v_lshrrev_b32_e32 v5, 21, v5
; %bb.1851:
	s_andn2_saveexec_b64 s[8:9], s[8:9]
; %bb.1852:
	s_mov_b32 s10, 0x43000000
	v_add_f32_e64 v5, |v3|, s10
; %bb.1853:
	s_or_b64 exec, exec, s[8:9]
                                        ; implicit-def: $vgpr8
.LBB46_1854:
	s_andn2_saveexec_b64 s[6:7], s[6:7]
; %bb.1855:
	s_mov_b32 s8, 0x7f800000
	v_mov_b32_e32 v5, 0x7c
	v_mov_b32_e32 v9, 0x7f
	v_cmp_lt_u32_e32 vcc, s8, v8
	s_nop 1
	v_cndmask_b32_e32 v5, v5, v9, vcc
; %bb.1856:
	s_or_b64 exec, exec, s[6:7]
	v_lshrrev_b32_e32 v3, 24, v3
	s_movk_i32 s6, 0x80
	v_and_or_b32 v3, v3, s6, v5
	global_store_byte v[6:7], v3, off
.LBB46_1857:
	s_mov_b64 s[6:7], 0
	s_mov_b64 s[8:9], -1
.LBB46_1858:
	s_andn2_b64 vcc, exec, s[6:7]
	s_mov_b64 s[6:7], 0
	s_cbranch_vccnz .LBB46_1865
; %bb.1859:
	s_cmp_gt_i32 s19, 14
	s_mov_b64 s[10:11], -1
	s_cbranch_scc0 .LBB46_1863
; %bb.1860:
	s_cmp_eq_u32 s19, 15
	s_mov_b64 s[0:1], -1
	s_cbranch_scc0 .LBB46_1862
; %bb.1861:
	v_cvt_f32_i32_sdwa v3, sext(v1) dst_sel:DWORD dst_unused:UNUSED_PAD src0_sel:WORD_0
	s_movk_i32 s6, 0x7fff
	s_mov_b64 s[0:1], 0
	s_mov_b64 s[8:9], -1
	v_bfe_u32 v5, v3, 16, 1
	v_add3_u32 v3, v3, v5, s6
	global_store_short_d16_hi v[6:7], v3, off
.LBB46_1862:
	s_mov_b64 s[10:11], 0
.LBB46_1863:
	s_mov_b64 s[6:7], 0
	s_and_b64 vcc, exec, s[10:11]
	s_cbranch_vccz .LBB46_1865
; %bb.1864:
	s_cmp_lg_u32 s19, 11
	s_mov_b64 s[6:7], -1
	s_cselect_b64 s[0:1], -1, 0
.LBB46_1865:
	s_and_b64 vcc, exec, s[0:1]
	s_cbranch_vccnz .LBB46_2001
; %bb.1866:
	s_andn2_b64 vcc, exec, s[6:7]
	s_cbranch_vccnz .LBB46_1868
.LBB46_1867:
	v_cmp_ne_u16_e32 vcc, -1, v2
	s_mov_b64 s[8:9], -1
	s_nop 0
	v_cndmask_b32_e64 v2, 0, 1, vcc
	global_store_byte v[6:7], v2, off
.LBB46_1868:
	s_mov_b64 s[0:1], 0
	s_branch .LBB46_1870
.LBB46_1869:
	s_mov_b64 s[0:1], -1
	s_mov_b64 s[8:9], 0
.LBB46_1870:
	s_and_b64 vcc, exec, s[0:1]
	s_cbranch_vccz .LBB46_1909
; %bb.1871:
	s_and_b32 s6, 0xffff, s20
	s_cmp_lt_i32 s6, 5
	s_mov_b64 s[0:1], -1
	s_cbranch_scc1 .LBB46_1892
; %bb.1872:
	s_cmp_lt_i32 s6, 8
	s_cbranch_scc1 .LBB46_1882
; %bb.1873:
	s_cmp_lt_i32 s6, 9
	s_cbranch_scc1 .LBB46_1879
; %bb.1874:
	s_cmp_gt_i32 s6, 9
	s_cbranch_scc0 .LBB46_1876
; %bb.1875:
	v_bfe_i32 v2, v1, 0, 16
	v_mov_b32_e32 v10, 0
	v_cvt_f64_i32_e32 v[8:9], v2
	v_mov_b32_e32 v11, v10
	global_store_dwordx4 v[6:7], v[8:11], off
	s_mov_b64 s[0:1], 0
.LBB46_1876:
	s_andn2_b64 vcc, exec, s[0:1]
	s_cbranch_vccnz .LBB46_1878
; %bb.1877:
	v_cvt_f32_i32_sdwa v2, sext(v1) dst_sel:DWORD dst_unused:UNUSED_PAD src0_sel:WORD_0
	v_mov_b32_e32 v3, 0
	global_store_dwordx2 v[6:7], v[2:3], off
.LBB46_1878:
	s_mov_b64 s[0:1], 0
.LBB46_1879:
	s_andn2_b64 vcc, exec, s[0:1]
	s_cbranch_vccnz .LBB46_1881
; %bb.1880:
	v_cvt_f16_i16_e32 v2, v1
	global_store_dword v[6:7], v2, off
.LBB46_1881:
	s_mov_b64 s[0:1], 0
.LBB46_1882:
	s_andn2_b64 vcc, exec, s[0:1]
	s_cbranch_vccnz .LBB46_1891
; %bb.1883:
	s_cmp_lt_i32 s6, 6
	s_mov_b64 s[0:1], -1
	s_cbranch_scc1 .LBB46_1889
; %bb.1884:
	s_cmp_gt_i32 s6, 6
	s_cbranch_scc0 .LBB46_1886
; %bb.1885:
	v_bfe_i32 v2, v1, 0, 16
	v_cvt_f64_i32_e32 v[2:3], v2
	global_store_dwordx2 v[6:7], v[2:3], off
	s_mov_b64 s[0:1], 0
.LBB46_1886:
	s_andn2_b64 vcc, exec, s[0:1]
	s_cbranch_vccnz .LBB46_1888
; %bb.1887:
	v_cvt_f32_i32_sdwa v2, sext(v1) dst_sel:DWORD dst_unused:UNUSED_PAD src0_sel:WORD_0
	global_store_dword v[6:7], v2, off
.LBB46_1888:
	s_mov_b64 s[0:1], 0
.LBB46_1889:
	s_andn2_b64 vcc, exec, s[0:1]
	s_cbranch_vccnz .LBB46_1891
; %bb.1890:
	v_cvt_f16_i16_e32 v2, v1
	global_store_short v[6:7], v2, off
.LBB46_1891:
	s_mov_b64 s[0:1], 0
.LBB46_1892:
	s_andn2_b64 vcc, exec, s[0:1]
	s_cbranch_vccnz .LBB46_1908
; %bb.1893:
	s_cmp_lt_i32 s6, 2
	s_mov_b64 s[0:1], -1
	s_cbranch_scc1 .LBB46_1903
; %bb.1894:
	s_cmp_lt_i32 s6, 3
	s_cbranch_scc1 .LBB46_1900
; %bb.1895:
	s_cmp_gt_i32 s6, 3
	v_bfe_i32 v2, v1, 0, 16
	s_cbranch_scc0 .LBB46_1897
; %bb.1896:
	v_ashrrev_i32_e32 v3, 31, v2
	global_store_dwordx2 v[6:7], v[2:3], off
	s_mov_b64 s[0:1], 0
.LBB46_1897:
	s_andn2_b64 vcc, exec, s[0:1]
	s_cbranch_vccnz .LBB46_1899
; %bb.1898:
	global_store_dword v[6:7], v2, off
.LBB46_1899:
	s_mov_b64 s[0:1], 0
.LBB46_1900:
	s_andn2_b64 vcc, exec, s[0:1]
	s_cbranch_vccnz .LBB46_1902
; %bb.1901:
	global_store_short v[6:7], v1, off
.LBB46_1902:
	s_mov_b64 s[0:1], 0
.LBB46_1903:
	s_andn2_b64 vcc, exec, s[0:1]
	s_cbranch_vccnz .LBB46_1908
; %bb.1904:
	s_cmp_gt_i32 s6, 0
	s_mov_b64 s[0:1], -1
	s_cbranch_scc0 .LBB46_1906
; %bb.1905:
	global_store_byte v[6:7], v1, off
	s_mov_b64 s[0:1], 0
.LBB46_1906:
	s_andn2_b64 vcc, exec, s[0:1]
	s_cbranch_vccnz .LBB46_1908
; %bb.1907:
	global_store_byte v[6:7], v1, off
.LBB46_1908:
	s_mov_b64 s[8:9], -1
.LBB46_1909:
	s_andn2_b64 vcc, exec, s[8:9]
	s_cbranch_vccnz .LBB46_1986
; %bb.1910:
	v_add_u32_e32 v2, s18, v4
	v_ashrrev_i32_e32 v3, 31, v2
	v_xor_b32_e32 v5, -1, v0
	s_cmp_lt_i32 s20, 11
	v_lshl_add_u64 v[2:3], s[4:5], 0, v[2:3]
	s_cbranch_scc1 .LBB46_1987
; %bb.1911:
	s_and_b32 s16, 0xffff, s20
	s_mov_b64 s[6:7], -1
	s_mov_b64 s[4:5], 0
	s_cmp_gt_i32 s16, 25
	s_mov_b64 s[0:1], 0
	s_cbranch_scc0 .LBB46_1944
; %bb.1912:
	s_cmp_gt_i32 s16, 28
	s_cbranch_scc0 .LBB46_1928
; %bb.1913:
	s_cmp_gt_i32 s16, 43
	s_cbranch_scc0 .LBB46_1924
; %bb.1914:
	s_cmp_gt_i32 s16, 45
	s_cbranch_scc0 .LBB46_1918
; %bb.1915:
	s_cmp_eq_u32 s16, 46
	s_mov_b64 s[0:1], -1
	s_cbranch_scc0 .LBB46_1917
; %bb.1916:
	v_cvt_f32_i32_sdwa v1, sext(v5) dst_sel:DWORD dst_unused:UNUSED_PAD src0_sel:WORD_0
	s_movk_i32 s0, 0x7fff
	v_bfe_u32 v4, v1, 16, 1
	v_add3_u32 v1, v1, v4, s0
	v_lshrrev_b32_e32 v1, 16, v1
	global_store_dword v[2:3], v1, off
	s_mov_b64 s[0:1], 0
.LBB46_1917:
	s_mov_b64 s[6:7], 0
.LBB46_1918:
	s_and_b64 vcc, exec, s[6:7]
	s_cbranch_vccz .LBB46_1923
; %bb.1919:
	s_cmp_eq_u32 s16, 44
	s_mov_b64 s[0:1], -1
	s_cbranch_scc0 .LBB46_1923
; %bb.1920:
	v_cvt_f32_i32_sdwa v1, sext(v5) dst_sel:DWORD dst_unused:UNUSED_PAD src0_sel:WORD_0
	s_movk_i32 s0, 0xff
	v_mov_b32_e32 v6, 0xff
	v_bfe_u32 v4, v1, 23, 8
	v_cmp_ne_u32_e32 vcc, s0, v4
	s_and_saveexec_b64 s[6:7], vcc
; %bb.1921:
	s_mov_b32 s0, 0x3fffff
	v_lshrrev_b32_e32 v6, 23, v1
	v_and_b32_e32 v7, 0x400000, v1
	v_and_or_b32 v1, v1, s0, v4
	v_cmp_ne_u32_e32 vcc, 0, v7
	v_cmp_ne_u32_e64 s[0:1], 0, v1
	s_and_b64 s[0:1], vcc, s[0:1]
	s_nop 0
	v_cndmask_b32_e64 v1, 0, 1, s[0:1]
	v_add_u32_e32 v6, v6, v1
; %bb.1922:
	s_or_b64 exec, exec, s[6:7]
	s_mov_b64 s[0:1], 0
	global_store_byte v[2:3], v6, off
.LBB46_1923:
	s_mov_b64 s[6:7], 0
.LBB46_1924:
	s_and_b64 vcc, exec, s[6:7]
	s_cbranch_vccz .LBB46_1927
; %bb.1925:
	s_cmp_eq_u32 s16, 29
	s_mov_b64 s[0:1], -1
	s_cbranch_scc0 .LBB46_1927
; %bb.1926:
	v_bfe_i32 v6, v5, 0, 16
	v_ashrrev_i32_e32 v7, 31, v6
	global_store_dwordx2 v[2:3], v[6:7], off
	s_mov_b64 s[0:1], 0
.LBB46_1927:
	s_mov_b64 s[6:7], 0
.LBB46_1928:
	s_and_b64 vcc, exec, s[6:7]
	s_cbranch_vccz .LBB46_1943
; %bb.1929:
	s_cmp_lt_i32 s16, 27
	s_mov_b64 s[6:7], -1
	s_cbranch_scc1 .LBB46_1935
; %bb.1930:
	s_cmp_gt_i32 s16, 27
	s_cbranch_scc0 .LBB46_1932
; %bb.1931:
	v_bfe_i32 v1, v5, 0, 16
	global_store_dword v[2:3], v1, off
	s_mov_b64 s[6:7], 0
.LBB46_1932:
	s_andn2_b64 vcc, exec, s[6:7]
	s_cbranch_vccnz .LBB46_1934
; %bb.1933:
	global_store_short v[2:3], v5, off
.LBB46_1934:
	s_mov_b64 s[6:7], 0
.LBB46_1935:
	s_andn2_b64 vcc, exec, s[6:7]
	s_cbranch_vccnz .LBB46_1943
; %bb.1936:
	v_cvt_f32_i32_sdwa v1, sext(v5) dst_sel:DWORD dst_unused:UNUSED_PAD src0_sel:WORD_0
	s_mov_b32 s6, 0x43800000
	v_mov_b32_e32 v6, 0x80
	v_and_b32_e32 v4, 0x7fffffff, v1
	v_cmp_gt_u32_e32 vcc, s6, v4
	s_and_saveexec_b64 s[6:7], vcc
	s_cbranch_execz .LBB46_1942
; %bb.1937:
	s_mov_b32 s8, 0x3bffffff
	v_cmp_lt_u32_e32 vcc, s8, v4
	s_mov_b64 s[8:9], 0
                                        ; implicit-def: $vgpr4
	s_and_saveexec_b64 s[10:11], vcc
	s_xor_b64 s[10:11], exec, s[10:11]
	s_cbranch_execz .LBB46_2004
; %bb.1938:
	v_bfe_u32 v4, v1, 20, 1
	s_mov_b32 s17, 0x487ffff
	v_add3_u32 v4, v1, v4, s17
	s_mov_b64 s[8:9], exec
	v_lshrrev_b32_e32 v4, 20, v4
	s_andn2_saveexec_b64 s[10:11], s[10:11]
	s_cbranch_execnz .LBB46_2005
.LBB46_1939:
	s_or_b64 exec, exec, s[10:11]
	v_mov_b32_e32 v6, 0
	s_and_saveexec_b64 s[10:11], s[8:9]
.LBB46_1940:
	v_lshrrev_b32_e32 v1, 24, v1
	s_movk_i32 s8, 0x80
	v_and_or_b32 v6, v1, s8, v4
.LBB46_1941:
	s_or_b64 exec, exec, s[10:11]
.LBB46_1942:
	s_or_b64 exec, exec, s[6:7]
	global_store_byte v[2:3], v6, off
.LBB46_1943:
	s_mov_b64 s[6:7], 0
.LBB46_1944:
	s_and_b64 vcc, exec, s[6:7]
	s_cbranch_vccz .LBB46_1984
; %bb.1945:
	s_cmp_gt_i32 s16, 22
	s_mov_b64 s[4:5], -1
	s_cbranch_scc0 .LBB46_1977
; %bb.1946:
	s_cmp_lt_i32 s16, 24
	s_cbranch_scc1 .LBB46_1966
; %bb.1947:
	s_cmp_gt_i32 s16, 24
	s_cbranch_scc0 .LBB46_1955
; %bb.1948:
	v_cvt_f32_i32_sdwa v1, sext(v5) dst_sel:DWORD dst_unused:UNUSED_PAD src0_sel:WORD_0
	s_mov_b32 s4, 0x47800000
	v_mov_b32_e32 v6, 0x80
	v_and_b32_e32 v4, 0x7fffffff, v1
	v_cmp_gt_u32_e32 vcc, s4, v4
	s_and_saveexec_b64 s[4:5], vcc
	s_cbranch_execz .LBB46_1954
; %bb.1949:
	s_mov_b32 s6, 0x37ffffff
	v_cmp_lt_u32_e32 vcc, s6, v4
	s_mov_b64 s[6:7], 0
                                        ; implicit-def: $vgpr4
	s_and_saveexec_b64 s[8:9], vcc
	s_xor_b64 s[8:9], exec, s[8:9]
	s_cbranch_execz .LBB46_2007
; %bb.1950:
	v_bfe_u32 v4, v1, 21, 1
	s_mov_b32 s10, 0x88fffff
	v_add3_u32 v4, v1, v4, s10
	s_mov_b64 s[6:7], exec
	v_lshrrev_b32_e32 v4, 21, v4
	s_andn2_saveexec_b64 s[8:9], s[8:9]
	s_cbranch_execnz .LBB46_2008
.LBB46_1951:
	s_or_b64 exec, exec, s[8:9]
	v_mov_b32_e32 v6, 0
	s_and_saveexec_b64 s[8:9], s[6:7]
.LBB46_1952:
	v_lshrrev_b32_e32 v1, 24, v1
	s_movk_i32 s6, 0x80
	v_and_or_b32 v6, v1, s6, v4
.LBB46_1953:
	s_or_b64 exec, exec, s[8:9]
.LBB46_1954:
	s_or_b64 exec, exec, s[4:5]
	s_mov_b64 s[4:5], 0
	global_store_byte v[2:3], v6, off
.LBB46_1955:
	s_and_b64 vcc, exec, s[4:5]
	s_cbranch_vccz .LBB46_1965
; %bb.1956:
	v_cvt_f32_i32_sdwa v1, sext(v5) dst_sel:DWORD dst_unused:UNUSED_PAD src0_sel:WORD_0
	s_mov_b32 s4, 0x43f00000
                                        ; implicit-def: $vgpr4
	v_and_b32_e32 v6, 0x7fffffff, v1
	v_cmp_gt_u32_e32 vcc, s4, v6
	s_and_saveexec_b64 s[4:5], vcc
	s_xor_b64 s[4:5], exec, s[4:5]
	s_cbranch_execz .LBB46_1962
; %bb.1957:
	s_mov_b32 s6, 0x3c7fffff
	v_cmp_lt_u32_e32 vcc, s6, v6
                                        ; implicit-def: $vgpr4
	s_and_saveexec_b64 s[6:7], vcc
	s_xor_b64 s[6:7], exec, s[6:7]
; %bb.1958:
	v_bfe_u32 v4, v1, 20, 1
	s_mov_b32 s8, 0x407ffff
	v_add3_u32 v4, v1, v4, s8
	v_lshrrev_b32_e32 v6, 20, v4
	v_and_b32_e32 v4, 0xff00000, v4
	s_mov_b32 s8, 0x7f00000
	v_mov_b32_e32 v7, 0x7e
	v_cmp_ne_u32_e32 vcc, s8, v4
	s_nop 1
	v_cndmask_b32_e32 v4, v7, v6, vcc
; %bb.1959:
	s_andn2_saveexec_b64 s[6:7], s[6:7]
; %bb.1960:
	s_mov_b32 s8, 0x46800000
	v_add_f32_e64 v4, |v1|, s8
; %bb.1961:
	s_or_b64 exec, exec, s[6:7]
                                        ; implicit-def: $vgpr6
.LBB46_1962:
	s_andn2_saveexec_b64 s[4:5], s[4:5]
; %bb.1963:
	s_mov_b32 s6, 0x7f800000
	v_mov_b32_e32 v4, 0x7e
	v_mov_b32_e32 v7, 0x7f
	v_cmp_lt_u32_e32 vcc, s6, v6
	s_nop 1
	v_cndmask_b32_e32 v4, v4, v7, vcc
; %bb.1964:
	s_or_b64 exec, exec, s[4:5]
	v_lshrrev_b32_e32 v1, 24, v1
	s_movk_i32 s4, 0x80
	v_and_or_b32 v1, v1, s4, v4
	global_store_byte v[2:3], v1, off
.LBB46_1965:
	s_mov_b64 s[4:5], 0
.LBB46_1966:
	s_andn2_b64 vcc, exec, s[4:5]
	s_cbranch_vccnz .LBB46_1976
; %bb.1967:
	v_cvt_f32_i32_sdwa v1, sext(v5) dst_sel:DWORD dst_unused:UNUSED_PAD src0_sel:WORD_0
	s_mov_b32 s4, 0x47800000
                                        ; implicit-def: $vgpr4
	v_and_b32_e32 v6, 0x7fffffff, v1
	v_cmp_gt_u32_e32 vcc, s4, v6
	s_and_saveexec_b64 s[4:5], vcc
	s_xor_b64 s[4:5], exec, s[4:5]
	s_cbranch_execz .LBB46_1973
; %bb.1968:
	s_mov_b32 s6, 0x387fffff
	v_cmp_lt_u32_e32 vcc, s6, v6
                                        ; implicit-def: $vgpr4
	s_and_saveexec_b64 s[6:7], vcc
	s_xor_b64 s[6:7], exec, s[6:7]
; %bb.1969:
	v_bfe_u32 v4, v1, 21, 1
	s_mov_b32 s8, 0x80fffff
	v_add3_u32 v4, v1, v4, s8
	v_lshrrev_b32_e32 v4, 21, v4
; %bb.1970:
	s_andn2_saveexec_b64 s[6:7], s[6:7]
; %bb.1971:
	s_mov_b32 s8, 0x43000000
	v_add_f32_e64 v4, |v1|, s8
; %bb.1972:
	s_or_b64 exec, exec, s[6:7]
                                        ; implicit-def: $vgpr6
.LBB46_1973:
	s_andn2_saveexec_b64 s[4:5], s[4:5]
; %bb.1974:
	s_mov_b32 s6, 0x7f800000
	v_mov_b32_e32 v4, 0x7c
	v_mov_b32_e32 v7, 0x7f
	v_cmp_lt_u32_e32 vcc, s6, v6
	s_nop 1
	v_cndmask_b32_e32 v4, v4, v7, vcc
; %bb.1975:
	s_or_b64 exec, exec, s[4:5]
	v_lshrrev_b32_e32 v1, 24, v1
	s_movk_i32 s4, 0x80
	v_and_or_b32 v1, v1, s4, v4
	global_store_byte v[2:3], v1, off
.LBB46_1976:
	s_mov_b64 s[4:5], 0
.LBB46_1977:
	s_andn2_b64 vcc, exec, s[4:5]
	s_mov_b64 s[4:5], 0
	s_cbranch_vccnz .LBB46_1984
; %bb.1978:
	s_cmp_gt_i32 s16, 14
	s_mov_b64 s[6:7], -1
	s_cbranch_scc0 .LBB46_1982
; %bb.1979:
	s_cmp_eq_u32 s16, 15
	s_mov_b64 s[0:1], -1
	s_cbranch_scc0 .LBB46_1981
; %bb.1980:
	v_cvt_f32_i32_sdwa v1, sext(v5) dst_sel:DWORD dst_unused:UNUSED_PAD src0_sel:WORD_0
	s_movk_i32 s0, 0x7fff
	v_bfe_u32 v4, v1, 16, 1
	v_add3_u32 v1, v1, v4, s0
	global_store_short_d16_hi v[2:3], v1, off
	s_mov_b64 s[0:1], 0
.LBB46_1981:
	s_mov_b64 s[6:7], 0
.LBB46_1982:
	s_and_b64 vcc, exec, s[6:7]
	s_cbranch_vccz .LBB46_1984
; %bb.1983:
	s_cmp_lg_u32 s16, 11
	s_mov_b64 s[4:5], -1
	s_cselect_b64 s[0:1], -1, 0
.LBB46_1984:
	s_and_b64 vcc, exec, s[0:1]
	s_cbranch_vccnz .LBB46_2006
.LBB46_1985:
	s_mov_b64 s[0:1], 0
	s_branch .LBB46_1395
.LBB46_1986:
	s_mov_b64 s[0:1], 0
                                        ; implicit-def: $sgpr20
                                        ; implicit-def: $vgpr2_vgpr3
                                        ; implicit-def: $vgpr5
	s_branch .LBB46_1394
.LBB46_1987:
	s_mov_b64 s[4:5], 0
	s_mov_b64 s[0:1], -1
	s_branch .LBB46_1395
.LBB46_1988:
	s_trap 2
	s_or_b64 s[14:15], s[14:15], exec
	s_cbranch_execz .LBB46_1501
	s_branch .LBB46_1502
.LBB46_1989:
	s_andn2_saveexec_b64 s[18:19], s[18:19]
	s_cbranch_execz .LBB46_1581
.LBB46_1990:
	s_mov_b32 s21, 0x46000000
	v_add_f32_e64 v5, |v3|, s21
	v_and_b32_e32 v5, 0xff, v5
	v_cmp_ne_u32_e32 vcc, 0, v5
	s_andn2_b64 s[16:17], s[16:17], exec
	s_and_b64 s[22:23], vcc, exec
	s_or_b64 s[16:17], s[16:17], s[22:23]
	s_or_b64 exec, exec, s[18:19]
	v_mov_b32_e32 v7, 0
	s_and_saveexec_b64 s[18:19], s[16:17]
	s_cbranch_execnz .LBB46_1582
	s_branch .LBB46_1583
.LBB46_1991:
	s_trap 2
	s_or_b64 s[14:15], s[14:15], exec
	s_cbranch_execz .LBB46_1629
	s_branch .LBB46_1630
.LBB46_1992:
	s_andn2_saveexec_b64 s[16:17], s[16:17]
	s_cbranch_execz .LBB46_1594
.LBB46_1993:
	s_mov_b32 s18, 0x42800000
	v_add_f32_e64 v5, |v3|, s18
	v_and_b32_e32 v5, 0xff, v5
	v_cmp_ne_u32_e32 vcc, 0, v5
	s_andn2_b64 s[10:11], s[10:11], exec
	s_and_b64 s[18:19], vcc, exec
	s_or_b64 s[10:11], s[10:11], s[18:19]
	s_or_b64 exec, exec, s[16:17]
	v_mov_b32_e32 v7, 0
	s_and_saveexec_b64 s[16:17], s[10:11]
	s_cbranch_execnz .LBB46_1595
	s_branch .LBB46_1596
.LBB46_1994:
	s_andn2_saveexec_b64 s[16:17], s[16:17]
	s_cbranch_execz .LBB46_1700
.LBB46_1995:
	s_mov_b32 s21, 0x46000000
	v_add_f32_e64 v5, |v3|, s21
	v_and_b32_e32 v5, 0xff, v5
	v_cmp_ne_u32_e32 vcc, 0, v5
	s_andn2_b64 s[10:11], s[10:11], exec
	s_and_b64 s[22:23], vcc, exec
	s_or_b64 s[10:11], s[10:11], s[22:23]
	s_or_b64 exec, exec, s[16:17]
	v_mov_b32_e32 v7, 0
	s_and_saveexec_b64 s[16:17], s[10:11]
	s_cbranch_execnz .LBB46_1701
	s_branch .LBB46_1702
.LBB46_1996:
	s_trap 2
	s_or_b64 s[14:15], s[14:15], exec
	s_cbranch_execz .LBB46_1748
	s_branch .LBB46_1749
.LBB46_1997:
	s_andn2_saveexec_b64 s[10:11], s[10:11]
	s_cbranch_execz .LBB46_1713
.LBB46_1998:
	s_mov_b32 s16, 0x42800000
	v_add_f32_e64 v5, |v3|, s16
	v_and_b32_e32 v5, 0xff, v5
	v_cmp_ne_u32_e32 vcc, 0, v5
	s_andn2_b64 s[8:9], s[8:9], exec
	s_and_b64 s[16:17], vcc, exec
	s_or_b64 s[8:9], s[8:9], s[16:17]
	s_or_b64 exec, exec, s[10:11]
	v_mov_b32_e32 v7, 0
	s_and_saveexec_b64 s[10:11], s[8:9]
	s_cbranch_execnz .LBB46_1714
	s_branch .LBB46_1715
.LBB46_1999:
	s_andn2_saveexec_b64 s[16:17], s[16:17]
	s_cbranch_execz .LBB46_1819
.LBB46_2000:
	s_mov_b32 s21, 0x46000000
	v_add_f32_e64 v5, |v3|, s21
	v_and_b32_e32 v5, 0xff, v5
	v_cmp_ne_u32_e32 vcc, 0, v5
	s_andn2_b64 s[10:11], s[10:11], exec
	s_and_b64 s[22:23], vcc, exec
	s_or_b64 s[10:11], s[10:11], s[22:23]
	s_or_b64 exec, exec, s[16:17]
	v_mov_b32_e32 v8, 0
	s_and_saveexec_b64 s[16:17], s[10:11]
	s_cbranch_execnz .LBB46_1820
	s_branch .LBB46_1821
.LBB46_2001:
	s_trap 2
	s_or_b64 s[14:15], s[14:15], exec
	s_cbranch_execz .LBB46_1867
	s_branch .LBB46_1868
.LBB46_2002:
	s_andn2_saveexec_b64 s[10:11], s[10:11]
	s_cbranch_execz .LBB46_1832
.LBB46_2003:
	s_mov_b32 s16, 0x42800000
	v_add_f32_e64 v5, |v3|, s16
	v_and_b32_e32 v5, 0xff, v5
	v_cmp_ne_u32_e32 vcc, 0, v5
	s_andn2_b64 s[8:9], s[8:9], exec
	s_and_b64 s[16:17], vcc, exec
	s_or_b64 s[8:9], s[8:9], s[16:17]
	s_or_b64 exec, exec, s[10:11]
	v_mov_b32_e32 v8, 0
	s_and_saveexec_b64 s[10:11], s[8:9]
	s_cbranch_execnz .LBB46_1833
	s_branch .LBB46_1834
.LBB46_2004:
	s_andn2_saveexec_b64 s[10:11], s[10:11]
	s_cbranch_execz .LBB46_1939
.LBB46_2005:
	s_mov_b32 s17, 0x46000000
	v_add_f32_e64 v4, |v1|, s17
	v_and_b32_e32 v4, 0xff, v4
	v_cmp_ne_u32_e32 vcc, 0, v4
	s_andn2_b64 s[8:9], s[8:9], exec
	s_and_b64 s[18:19], vcc, exec
	s_or_b64 s[8:9], s[8:9], s[18:19]
	s_or_b64 exec, exec, s[10:11]
	v_mov_b32_e32 v6, 0
	s_and_saveexec_b64 s[10:11], s[8:9]
	s_cbranch_execnz .LBB46_1940
	s_branch .LBB46_1941
.LBB46_2006:
	s_mov_b64 s[4:5], 0
	s_or_b64 s[14:15], s[14:15], exec
	s_trap 2
	s_branch .LBB46_1985
.LBB46_2007:
	s_andn2_saveexec_b64 s[8:9], s[8:9]
	s_cbranch_execz .LBB46_1951
.LBB46_2008:
	s_mov_b32 s10, 0x42800000
	v_add_f32_e64 v4, |v1|, s10
	v_and_b32_e32 v4, 0xff, v4
	v_cmp_ne_u32_e32 vcc, 0, v4
	s_andn2_b64 s[6:7], s[6:7], exec
	s_and_b64 s[10:11], vcc, exec
	s_or_b64 s[6:7], s[6:7], s[10:11]
	s_or_b64 exec, exec, s[8:9]
	v_mov_b32_e32 v6, 0
	s_and_saveexec_b64 s[8:9], s[6:7]
	s_cbranch_execnz .LBB46_1952
	s_branch .LBB46_1953
	.section	.rodata,"a",@progbits
	.p2align	6, 0x0
	.amdhsa_kernel _ZN2at6native32elementwise_kernel_manual_unrollILi128ELi4EZNS0_15gpu_kernel_implIZZZNS0_23bitwise_not_kernel_cudaERNS_18TensorIteratorBaseEENKUlvE_clEvENKUlvE3_clEvEUlsE_EEvS4_RKT_EUlibE_EEviT1_
		.amdhsa_group_segment_fixed_size 0
		.amdhsa_private_segment_fixed_size 0
		.amdhsa_kernarg_size 40
		.amdhsa_user_sgpr_count 2
		.amdhsa_user_sgpr_dispatch_ptr 0
		.amdhsa_user_sgpr_queue_ptr 0
		.amdhsa_user_sgpr_kernarg_segment_ptr 1
		.amdhsa_user_sgpr_dispatch_id 0
		.amdhsa_user_sgpr_kernarg_preload_length 0
		.amdhsa_user_sgpr_kernarg_preload_offset 0
		.amdhsa_user_sgpr_private_segment_size 0
		.amdhsa_uses_dynamic_stack 0
		.amdhsa_enable_private_segment 0
		.amdhsa_system_sgpr_workgroup_id_x 1
		.amdhsa_system_sgpr_workgroup_id_y 0
		.amdhsa_system_sgpr_workgroup_id_z 0
		.amdhsa_system_sgpr_workgroup_info 0
		.amdhsa_system_vgpr_workitem_id 0
		.amdhsa_next_free_vgpr 16
		.amdhsa_next_free_sgpr 46
		.amdhsa_accum_offset 16
		.amdhsa_reserve_vcc 1
		.amdhsa_float_round_mode_32 0
		.amdhsa_float_round_mode_16_64 0
		.amdhsa_float_denorm_mode_32 3
		.amdhsa_float_denorm_mode_16_64 3
		.amdhsa_dx10_clamp 1
		.amdhsa_ieee_mode 1
		.amdhsa_fp16_overflow 0
		.amdhsa_tg_split 0
		.amdhsa_exception_fp_ieee_invalid_op 0
		.amdhsa_exception_fp_denorm_src 0
		.amdhsa_exception_fp_ieee_div_zero 0
		.amdhsa_exception_fp_ieee_overflow 0
		.amdhsa_exception_fp_ieee_underflow 0
		.amdhsa_exception_fp_ieee_inexact 0
		.amdhsa_exception_int_div_zero 0
	.end_amdhsa_kernel
	.section	.text._ZN2at6native32elementwise_kernel_manual_unrollILi128ELi4EZNS0_15gpu_kernel_implIZZZNS0_23bitwise_not_kernel_cudaERNS_18TensorIteratorBaseEENKUlvE_clEvENKUlvE3_clEvEUlsE_EEvS4_RKT_EUlibE_EEviT1_,"axG",@progbits,_ZN2at6native32elementwise_kernel_manual_unrollILi128ELi4EZNS0_15gpu_kernel_implIZZZNS0_23bitwise_not_kernel_cudaERNS_18TensorIteratorBaseEENKUlvE_clEvENKUlvE3_clEvEUlsE_EEvS4_RKT_EUlibE_EEviT1_,comdat
.Lfunc_end46:
	.size	_ZN2at6native32elementwise_kernel_manual_unrollILi128ELi4EZNS0_15gpu_kernel_implIZZZNS0_23bitwise_not_kernel_cudaERNS_18TensorIteratorBaseEENKUlvE_clEvENKUlvE3_clEvEUlsE_EEvS4_RKT_EUlibE_EEviT1_, .Lfunc_end46-_ZN2at6native32elementwise_kernel_manual_unrollILi128ELi4EZNS0_15gpu_kernel_implIZZZNS0_23bitwise_not_kernel_cudaERNS_18TensorIteratorBaseEENKUlvE_clEvENKUlvE3_clEvEUlsE_EEvS4_RKT_EUlibE_EEviT1_
                                        ; -- End function
	.set _ZN2at6native32elementwise_kernel_manual_unrollILi128ELi4EZNS0_15gpu_kernel_implIZZZNS0_23bitwise_not_kernel_cudaERNS_18TensorIteratorBaseEENKUlvE_clEvENKUlvE3_clEvEUlsE_EEvS4_RKT_EUlibE_EEviT1_.num_vgpr, 16
	.set _ZN2at6native32elementwise_kernel_manual_unrollILi128ELi4EZNS0_15gpu_kernel_implIZZZNS0_23bitwise_not_kernel_cudaERNS_18TensorIteratorBaseEENKUlvE_clEvENKUlvE3_clEvEUlsE_EEvS4_RKT_EUlibE_EEviT1_.num_agpr, 0
	.set _ZN2at6native32elementwise_kernel_manual_unrollILi128ELi4EZNS0_15gpu_kernel_implIZZZNS0_23bitwise_not_kernel_cudaERNS_18TensorIteratorBaseEENKUlvE_clEvENKUlvE3_clEvEUlsE_EEvS4_RKT_EUlibE_EEviT1_.numbered_sgpr, 46
	.set _ZN2at6native32elementwise_kernel_manual_unrollILi128ELi4EZNS0_15gpu_kernel_implIZZZNS0_23bitwise_not_kernel_cudaERNS_18TensorIteratorBaseEENKUlvE_clEvENKUlvE3_clEvEUlsE_EEvS4_RKT_EUlibE_EEviT1_.num_named_barrier, 0
	.set _ZN2at6native32elementwise_kernel_manual_unrollILi128ELi4EZNS0_15gpu_kernel_implIZZZNS0_23bitwise_not_kernel_cudaERNS_18TensorIteratorBaseEENKUlvE_clEvENKUlvE3_clEvEUlsE_EEvS4_RKT_EUlibE_EEviT1_.private_seg_size, 0
	.set _ZN2at6native32elementwise_kernel_manual_unrollILi128ELi4EZNS0_15gpu_kernel_implIZZZNS0_23bitwise_not_kernel_cudaERNS_18TensorIteratorBaseEENKUlvE_clEvENKUlvE3_clEvEUlsE_EEvS4_RKT_EUlibE_EEviT1_.uses_vcc, 1
	.set _ZN2at6native32elementwise_kernel_manual_unrollILi128ELi4EZNS0_15gpu_kernel_implIZZZNS0_23bitwise_not_kernel_cudaERNS_18TensorIteratorBaseEENKUlvE_clEvENKUlvE3_clEvEUlsE_EEvS4_RKT_EUlibE_EEviT1_.uses_flat_scratch, 0
	.set _ZN2at6native32elementwise_kernel_manual_unrollILi128ELi4EZNS0_15gpu_kernel_implIZZZNS0_23bitwise_not_kernel_cudaERNS_18TensorIteratorBaseEENKUlvE_clEvENKUlvE3_clEvEUlsE_EEvS4_RKT_EUlibE_EEviT1_.has_dyn_sized_stack, 0
	.set _ZN2at6native32elementwise_kernel_manual_unrollILi128ELi4EZNS0_15gpu_kernel_implIZZZNS0_23bitwise_not_kernel_cudaERNS_18TensorIteratorBaseEENKUlvE_clEvENKUlvE3_clEvEUlsE_EEvS4_RKT_EUlibE_EEviT1_.has_recursion, 0
	.set _ZN2at6native32elementwise_kernel_manual_unrollILi128ELi4EZNS0_15gpu_kernel_implIZZZNS0_23bitwise_not_kernel_cudaERNS_18TensorIteratorBaseEENKUlvE_clEvENKUlvE3_clEvEUlsE_EEvS4_RKT_EUlibE_EEviT1_.has_indirect_call, 0
	.section	.AMDGPU.csdata,"",@progbits
; Kernel info:
; codeLenInByte = 30032
; TotalNumSgprs: 52
; NumVgprs: 16
; NumAgprs: 0
; TotalNumVgprs: 16
; ScratchSize: 0
; MemoryBound: 1
; FloatMode: 240
; IeeeMode: 1
; LDSByteSize: 0 bytes/workgroup (compile time only)
; SGPRBlocks: 6
; VGPRBlocks: 1
; NumSGPRsForWavesPerEU: 52
; NumVGPRsForWavesPerEU: 16
; AccumOffset: 16
; Occupancy: 8
; WaveLimiterHint : 0
; COMPUTE_PGM_RSRC2:SCRATCH_EN: 0
; COMPUTE_PGM_RSRC2:USER_SGPR: 2
; COMPUTE_PGM_RSRC2:TRAP_HANDLER: 0
; COMPUTE_PGM_RSRC2:TGID_X_EN: 1
; COMPUTE_PGM_RSRC2:TGID_Y_EN: 0
; COMPUTE_PGM_RSRC2:TGID_Z_EN: 0
; COMPUTE_PGM_RSRC2:TIDIG_COMP_CNT: 0
; COMPUTE_PGM_RSRC3_GFX90A:ACCUM_OFFSET: 3
; COMPUTE_PGM_RSRC3_GFX90A:TG_SPLIT: 0
	.section	.text._ZN2at6native32elementwise_kernel_manual_unrollILi128ELi4EZNS0_15gpu_kernel_implIZZZNS0_23bitwise_not_kernel_cudaERNS_18TensorIteratorBaseEENKUlvE_clEvENKUlvE3_clEvEUlsE_EEvS4_RKT_EUlibE0_EEviT1_,"axG",@progbits,_ZN2at6native32elementwise_kernel_manual_unrollILi128ELi4EZNS0_15gpu_kernel_implIZZZNS0_23bitwise_not_kernel_cudaERNS_18TensorIteratorBaseEENKUlvE_clEvENKUlvE3_clEvEUlsE_EEvS4_RKT_EUlibE0_EEviT1_,comdat
	.globl	_ZN2at6native32elementwise_kernel_manual_unrollILi128ELi4EZNS0_15gpu_kernel_implIZZZNS0_23bitwise_not_kernel_cudaERNS_18TensorIteratorBaseEENKUlvE_clEvENKUlvE3_clEvEUlsE_EEvS4_RKT_EUlibE0_EEviT1_ ; -- Begin function _ZN2at6native32elementwise_kernel_manual_unrollILi128ELi4EZNS0_15gpu_kernel_implIZZZNS0_23bitwise_not_kernel_cudaERNS_18TensorIteratorBaseEENKUlvE_clEvENKUlvE3_clEvEUlsE_EEvS4_RKT_EUlibE0_EEviT1_
	.p2align	8
	.type	_ZN2at6native32elementwise_kernel_manual_unrollILi128ELi4EZNS0_15gpu_kernel_implIZZZNS0_23bitwise_not_kernel_cudaERNS_18TensorIteratorBaseEENKUlvE_clEvENKUlvE3_clEvEUlsE_EEvS4_RKT_EUlibE0_EEviT1_,@function
_ZN2at6native32elementwise_kernel_manual_unrollILi128ELi4EZNS0_15gpu_kernel_implIZZZNS0_23bitwise_not_kernel_cudaERNS_18TensorIteratorBaseEENKUlvE_clEvENKUlvE3_clEvEUlsE_EEvS4_RKT_EUlibE0_EEviT1_: ; @_ZN2at6native32elementwise_kernel_manual_unrollILi128ELi4EZNS0_15gpu_kernel_implIZZZNS0_23bitwise_not_kernel_cudaERNS_18TensorIteratorBaseEENKUlvE_clEvENKUlvE3_clEvEUlsE_EEvS4_RKT_EUlibE0_EEviT1_
; %bb.0:
	s_load_dword s70, s[0:1], 0x0
	s_load_dword s33, s[0:1], 0x8
	s_add_u32 s34, s0, 8
	s_addc_u32 s35, s1, 0
	v_lshl_or_b32 v9, s2, 9, v0
	v_or_b32_e32 v16, 0x180, v9
	s_waitcnt lgkmcnt(0)
	s_add_i32 s72, s33, -1
	s_cmp_gt_u32 s72, 1
	v_cmp_le_i32_e32 vcc, s70, v16
	s_cselect_b64 s[42:43], -1, 0
	s_mov_b64 s[40:41], 0
	s_mov_b64 s[24:25], 0
	s_and_saveexec_b64 s[2:3], vcc
	s_xor_b64 s[44:45], exec, s[2:3]
	s_cbranch_execz .LBB47_1074
; %bb.1:
	v_mov_b32_e32 v0, 0
	global_load_ushort v0, v0, s[34:35] offset:345
	s_load_dwordx4 s[28:31], s[34:35], 0x4
	s_load_dwordx2 s[46:47], s[34:35], 0x14
	s_load_dwordx4 s[24:27], s[34:35], 0xc4
	s_load_dwordx4 s[20:23], s[34:35], 0x148
	s_cmp_lg_u32 s33, 0
	s_cselect_b64 s[52:53], -1, 0
	s_add_u32 s50, s34, 0xc4
	s_addc_u32 s51, s35, 0
	s_min_u32 s75, s72, 15
	s_cmp_gt_u32 s33, 1
	s_cselect_b64 s[48:49], -1, 0
	v_cmp_gt_i32_e32 vcc, s70, v9
	s_mov_b64 s[4:5], -1
	s_mov_b64 s[62:63], 0
	s_mov_b64 s[56:57], 0
	s_mov_b64 s[54:55], 0
	s_waitcnt vmcnt(0)
	v_readfirstlane_b32 s73, v0
	s_and_b32 s2, 0xffff, s73
	s_lshr_b32 s74, s2, 8
	s_and_saveexec_b64 s[58:59], vcc
	s_cbranch_execz .LBB47_263
; %bb.2:
	s_andn2_b64 vcc, exec, s[42:43]
	s_cbranch_vccnz .LBB47_8
; %bb.3:
	s_andn2_b64 vcc, exec, s[52:53]
	s_cbranch_vccnz .LBB47_9
; %bb.4:
	s_add_i32 s57, s75, 1
	s_cmp_eq_u32 s72, 2
	s_cbranch_scc1 .LBB47_10
; %bb.5:
	s_and_b32 s56, s57, 28
	s_mov_b32 s60, 0
	v_mov_b32_e32 v2, 0
	v_mov_b32_e32 v0, 0
	s_mov_b64 s[2:3], s[34:35]
	s_mov_b64 s[54:55], s[50:51]
	v_mov_b32_e32 v4, v9
.LBB47_6:                               ; =>This Inner Loop Header: Depth=1
	s_load_dwordx8 s[12:19], s[2:3], 0x4
	s_load_dwordx4 s[36:39], s[2:3], 0x24
	s_load_dwordx8 s[4:11], s[54:55], 0x0
	s_add_u32 s2, s2, 48
	s_addc_u32 s3, s3, 0
	s_waitcnt lgkmcnt(0)
	v_mul_hi_u32 v1, s13, v4
	v_add_u32_e32 v1, v4, v1
	v_lshrrev_b32_e32 v1, s14, v1
	v_mul_lo_u32 v3, v1, s12
	v_mul_hi_u32 v5, s16, v1
	v_sub_u32_e32 v3, v4, v3
	v_add_u32_e32 v4, v1, v5
	v_lshrrev_b32_e32 v4, s17, v4
	v_mul_lo_u32 v6, v4, s15
	v_mul_hi_u32 v7, s19, v4
	v_sub_u32_e32 v1, v1, v6
	v_add_u32_e32 v6, v4, v7
	v_mul_lo_u32 v5, v3, s5
	v_mul_lo_u32 v3, v3, s4
	;; [unrolled: 1-line block ×4, first 2 shown]
	v_lshrrev_b32_e32 v6, s36, v6
	v_add3_u32 v1, v3, v2, v1
	v_mul_hi_u32 v3, s38, v6
	v_mul_lo_u32 v2, v6, s18
	v_add_u32_e32 v3, v6, v3
	v_sub_u32_e32 v2, v4, v2
	v_lshrrev_b32_e32 v4, s39, v3
	s_add_i32 s60, s60, 4
	v_mul_lo_u32 v3, v4, s37
	s_add_u32 s54, s54, 32
	v_sub_u32_e32 v3, v6, v3
	s_addc_u32 s55, s55, 0
	v_add3_u32 v0, v5, v0, v7
	v_mul_lo_u32 v5, v2, s8
	v_mul_lo_u32 v2, v2, s9
	;; [unrolled: 1-line block ×4, first 2 shown]
	s_cmp_lg_u32 s56, s60
	v_add3_u32 v0, v2, v0, v3
	v_add3_u32 v2, v5, v1, v6
	s_cbranch_scc1 .LBB47_6
; %bb.7:
	v_mov_b32_e32 v1, v0
	s_branch .LBB47_11
.LBB47_8:
                                        ; implicit-def: $vgpr0
                                        ; implicit-def: $vgpr2
	s_branch .LBB47_15
.LBB47_9:
	v_mov_b32_e32 v0, 0
	v_mov_b32_e32 v2, 0
	s_branch .LBB47_14
.LBB47_10:
	v_mov_b32_e32 v2, 0
	s_mov_b32 s56, 0
	v_mov_b32_e32 v1, v2
                                        ; implicit-def: $vgpr0
	v_mov_b32_e32 v4, v9
.LBB47_11:
	s_and_b32 s6, s57, 3
	s_cmp_eq_u32 s6, 0
	s_cbranch_scc1 .LBB47_14
; %bb.12:
	s_lshl_b32 s2, s56, 3
	s_add_u32 s2, s34, s2
	s_addc_u32 s3, s35, 0
	s_add_u32 s2, s2, 0xc4
	s_addc_u32 s3, s3, 0
	s_mul_i32 s4, s56, 12
	s_add_u32 s4, s34, s4
	s_addc_u32 s5, s35, 0
.LBB47_13:                              ; =>This Inner Loop Header: Depth=1
	s_load_dwordx2 s[8:9], s[4:5], 0x4
	s_load_dword s7, s[4:5], 0xc
	s_load_dwordx2 s[10:11], s[2:3], 0x0
	v_mov_b32_e32 v0, v1
	s_add_u32 s4, s4, 12
	s_waitcnt lgkmcnt(0)
	v_mul_hi_u32 v1, s9, v4
	v_add_u32_e32 v1, v4, v1
	v_lshrrev_b32_e32 v1, s7, v1
	s_addc_u32 s5, s5, 0
	v_mul_lo_u32 v3, v1, s8
	s_add_u32 s2, s2, 8
	v_sub_u32_e32 v3, v4, v3
	s_addc_u32 s3, s3, 0
	s_add_i32 s6, s6, -1
	v_mov_b32_e32 v4, v1
	v_mad_u64_u32 v[0:1], s[8:9], v3, s11, v[0:1]
	s_cmp_lg_u32 s6, 0
	v_mad_u64_u32 v[2:3], s[8:9], v3, s10, v[2:3]
	v_mov_b32_e32 v1, v0
	s_cbranch_scc1 .LBB47_13
.LBB47_14:
	s_cbranch_execnz .LBB47_17
.LBB47_15:
	s_waitcnt lgkmcnt(0)
	v_mul_hi_u32 v0, s29, v9
	v_add_u32_e32 v0, v9, v0
	v_lshrrev_b32_e32 v1, s30, v0
	v_mul_lo_u32 v0, v1, s28
	v_sub_u32_e32 v2, v9, v0
	v_mul_lo_u32 v0, v2, s25
	s_andn2_b64 vcc, exec, s[48:49]
	v_mul_lo_u32 v2, v2, s24
	s_cbranch_vccnz .LBB47_17
; %bb.16:
	v_mul_hi_u32 v3, s46, v1
	v_add_u32_e32 v3, v1, v3
	v_lshrrev_b32_e32 v3, s47, v3
	v_mul_lo_u32 v3, v3, s31
	v_sub_u32_e32 v1, v1, v3
	v_mad_u64_u32 v[2:3], s[2:3], v1, s26, v[2:3]
	v_mad_u64_u32 v[0:1], s[2:3], v1, s27, v[0:1]
.LBB47_17:
	v_mov_b32_e32 v1, 0
	s_and_b32 s8, 0xffff, s74
	s_cmp_lt_i32 s8, 11
	s_waitcnt lgkmcnt(0)
	v_lshl_add_u64 v[4:5], s[22:23], 0, v[0:1]
	s_cbranch_scc1 .LBB47_24
; %bb.18:
	s_cmp_gt_i32 s8, 25
	s_cbranch_scc0 .LBB47_33
; %bb.19:
	s_cmp_gt_i32 s8, 28
	s_cbranch_scc0 .LBB47_36
; %bb.20:
	s_cmp_gt_i32 s8, 43
	s_cbranch_scc0 .LBB47_38
; %bb.21:
	s_cmp_gt_i32 s8, 45
	s_cbranch_scc0 .LBB47_40
; %bb.22:
	s_cmp_eq_u32 s8, 46
	s_mov_b64 s[6:7], 0
	s_cbranch_scc0 .LBB47_42
; %bb.23:
	global_load_dword v0, v[4:5], off
	s_mov_b64 s[2:3], -1
	s_mov_b64 s[4:5], 0
	s_waitcnt vmcnt(0)
	v_lshlrev_b32_e32 v0, 16, v0
	v_cvt_i32_f32_e32 v0, v0
	s_branch .LBB47_44
.LBB47_24:
	s_mov_b64 s[4:5], 0
                                        ; implicit-def: $vgpr0
	s_mov_b64 s[2:3], 0
	s_cbranch_execnz .LBB47_213
.LBB47_25:
	s_andn2_b64 vcc, exec, s[2:3]
	s_cbranch_vccnz .LBB47_260
.LBB47_26:
	v_mov_b32_e32 v3, 0
	s_and_b32 s12, s73, 0xff
	s_waitcnt vmcnt(0)
	v_xor_b32_e32 v4, -1, v0
	s_cmp_lt_i32 s12, 11
	v_lshl_add_u64 v[2:3], s[20:21], 0, v[2:3]
	s_cbranch_scc1 .LBB47_34
; %bb.27:
	s_and_b32 s13, 0xffff, s12
	s_cmp_gt_i32 s13, 25
	s_cbranch_scc0 .LBB47_37
; %bb.28:
	s_cmp_gt_i32 s13, 28
	s_cbranch_scc0 .LBB47_39
; %bb.29:
	;; [unrolled: 3-line block ×4, first 2 shown]
	s_mov_b64 s[8:9], 0
	s_mov_b64 s[2:3], -1
	s_cmp_eq_u32 s13, 46
	s_mov_b64 s[6:7], 0
	s_cbranch_scc0 .LBB47_48
; %bb.32:
	v_cvt_f32_i32_sdwa v1, sext(v4) dst_sel:DWORD dst_unused:UNUSED_PAD src0_sel:WORD_0
	s_movk_i32 s2, 0x7fff
	s_mov_b64 s[6:7], -1
	v_bfe_u32 v5, v1, 16, 1
	v_add3_u32 v1, v1, v5, s2
	v_lshrrev_b32_e32 v1, 16, v1
	global_store_dword v[2:3], v1, off
	s_mov_b64 s[2:3], 0
	s_branch .LBB47_48
.LBB47_33:
	s_mov_b64 s[4:5], 0
	s_mov_b64 s[2:3], 0
                                        ; implicit-def: $vgpr0
	s_cbranch_execnz .LBB47_180
	s_branch .LBB47_212
.LBB47_34:
	s_mov_b64 s[2:3], 0
	s_mov_b64 s[6:7], 0
	s_cbranch_execnz .LBB47_117
.LBB47_35:
	s_andn2_b64 vcc, exec, s[6:7]
	s_cbranch_vccnz .LBB47_261
	s_branch .LBB47_155
.LBB47_36:
	s_mov_b64 s[6:7], -1
	s_mov_b64 s[4:5], 0
	s_mov_b64 s[2:3], 0
                                        ; implicit-def: $vgpr0
	s_branch .LBB47_163
.LBB47_37:
	s_mov_b64 s[8:9], -1
	s_mov_b64 s[2:3], 0
	s_mov_b64 s[6:7], 0
	s_branch .LBB47_75
.LBB47_38:
	s_mov_b64 s[6:7], -1
	s_mov_b64 s[4:5], 0
	s_mov_b64 s[2:3], 0
                                        ; implicit-def: $vgpr0
	s_branch .LBB47_158
.LBB47_39:
	s_mov_b64 s[8:9], -1
	s_mov_b64 s[2:3], 0
	s_mov_b64 s[6:7], 0
	s_branch .LBB47_58
.LBB47_40:
	s_mov_b64 s[6:7], -1
	s_mov_b64 s[4:5], 0
	s_branch .LBB47_43
.LBB47_41:
	s_mov_b64 s[8:9], -1
	s_mov_b64 s[2:3], 0
	s_mov_b64 s[6:7], 0
	s_branch .LBB47_54
.LBB47_42:
	s_mov_b64 s[4:5], -1
.LBB47_43:
	s_mov_b64 s[2:3], 0
                                        ; implicit-def: $vgpr0
.LBB47_44:
	s_and_b64 vcc, exec, s[6:7]
	s_cbranch_vccz .LBB47_157
; %bb.45:
	s_cmp_eq_u32 s8, 44
	s_cbranch_scc0 .LBB47_156
; %bb.46:
	global_load_ubyte v0, v[4:5], off
	s_mov_b64 s[2:3], -1
	s_mov_b64 s[4:5], 0
	s_waitcnt vmcnt(0)
	v_lshlrev_b32_e32 v1, 23, v0
	v_cvt_i32_f32_e32 v1, v1
	v_cmp_ne_u32_e32 vcc, 0, v0
	s_nop 1
	v_cndmask_b32_e32 v0, 0, v1, vcc
	s_branch .LBB47_157
.LBB47_47:
	s_mov_b64 s[8:9], -1
	s_mov_b64 s[2:3], 0
	s_mov_b64 s[6:7], 0
.LBB47_48:
	s_and_b64 vcc, exec, s[8:9]
	s_cbranch_vccz .LBB47_53
; %bb.49:
	s_cmp_eq_u32 s13, 44
	s_mov_b64 s[2:3], -1
	s_cbranch_scc0 .LBB47_53
; %bb.50:
	v_cvt_f32_i32_sdwa v1, sext(v4) dst_sel:DWORD dst_unused:UNUSED_PAD src0_sel:WORD_0
	s_movk_i32 s2, 0xff
	v_mov_b32_e32 v6, 0xff
	v_bfe_u32 v5, v1, 23, 8
	v_cmp_ne_u32_e32 vcc, s2, v5
	s_and_saveexec_b64 s[6:7], vcc
; %bb.51:
	s_mov_b32 s2, 0x3fffff
	v_lshrrev_b32_e32 v6, 23, v1
	v_and_b32_e32 v7, 0x400000, v1
	v_and_or_b32 v1, v1, s2, v5
	v_cmp_ne_u32_e32 vcc, 0, v7
	v_cmp_ne_u32_e64 s[2:3], 0, v1
	s_and_b64 s[2:3], vcc, s[2:3]
	s_nop 0
	v_cndmask_b32_e64 v1, 0, 1, s[2:3]
	v_add_u32_e32 v6, v6, v1
; %bb.52:
	s_or_b64 exec, exec, s[6:7]
	s_mov_b64 s[6:7], -1
	s_mov_b64 s[2:3], 0
	global_store_byte v[2:3], v6, off
.LBB47_53:
	s_mov_b64 s[8:9], 0
.LBB47_54:
	s_and_b64 vcc, exec, s[8:9]
	s_cbranch_vccz .LBB47_57
; %bb.55:
	s_cmp_eq_u32 s13, 29
	s_mov_b64 s[2:3], -1
	s_cbranch_scc0 .LBB47_57
; %bb.56:
	v_bfe_i32 v6, v4, 0, 16
	v_ashrrev_i32_e32 v7, 31, v6
	global_store_dwordx2 v[2:3], v[6:7], off
	s_mov_b64 s[6:7], -1
	s_mov_b64 s[2:3], 0
.LBB47_57:
	s_mov_b64 s[8:9], 0
.LBB47_58:
	s_and_b64 vcc, exec, s[8:9]
	s_cbranch_vccz .LBB47_74
; %bb.59:
	s_cmp_lt_i32 s13, 27
	s_mov_b64 s[6:7], -1
	s_cbranch_scc1 .LBB47_65
; %bb.60:
	s_cmp_gt_i32 s13, 27
	s_cbranch_scc0 .LBB47_62
; %bb.61:
	v_bfe_i32 v1, v4, 0, 16
	s_mov_b64 s[6:7], 0
	global_store_dword v[2:3], v1, off
.LBB47_62:
	s_andn2_b64 vcc, exec, s[6:7]
	s_cbranch_vccnz .LBB47_64
; %bb.63:
	global_store_short v[2:3], v4, off
.LBB47_64:
	s_mov_b64 s[6:7], 0
.LBB47_65:
	s_andn2_b64 vcc, exec, s[6:7]
	s_cbranch_vccnz .LBB47_73
; %bb.66:
	v_cvt_f32_i32_sdwa v1, sext(v4) dst_sel:DWORD dst_unused:UNUSED_PAD src0_sel:WORD_0
	s_mov_b32 s6, 0x43800000
	v_mov_b32_e32 v6, 0x80
	v_and_b32_e32 v5, 0x7fffffff, v1
	v_cmp_gt_u32_e32 vcc, s6, v5
	s_and_saveexec_b64 s[6:7], vcc
	s_cbranch_execz .LBB47_72
; %bb.67:
	s_mov_b32 s8, 0x3bffffff
	v_cmp_lt_u32_e32 vcc, s8, v5
	s_mov_b64 s[8:9], 0
                                        ; implicit-def: $vgpr5
	s_and_saveexec_b64 s[10:11], vcc
	s_xor_b64 s[10:11], exec, s[10:11]
	s_cbranch_execz .LBB47_305
; %bb.68:
	v_bfe_u32 v5, v1, 20, 1
	s_mov_b32 s14, 0x487ffff
	v_add3_u32 v5, v1, v5, s14
	s_mov_b64 s[8:9], exec
	v_lshrrev_b32_e32 v5, 20, v5
	s_andn2_saveexec_b64 s[10:11], s[10:11]
	s_cbranch_execnz .LBB47_306
.LBB47_69:
	s_or_b64 exec, exec, s[10:11]
	v_mov_b32_e32 v6, 0
	s_and_saveexec_b64 s[10:11], s[8:9]
.LBB47_70:
	v_lshrrev_b32_e32 v1, 24, v1
	s_movk_i32 s8, 0x80
	v_and_or_b32 v6, v1, s8, v5
.LBB47_71:
	s_or_b64 exec, exec, s[10:11]
.LBB47_72:
	s_or_b64 exec, exec, s[6:7]
	global_store_byte v[2:3], v6, off
.LBB47_73:
	s_mov_b64 s[6:7], -1
.LBB47_74:
	s_mov_b64 s[8:9], 0
.LBB47_75:
	s_and_b64 vcc, exec, s[8:9]
	s_cbranch_vccz .LBB47_116
; %bb.76:
	s_cmp_gt_i32 s13, 22
	s_mov_b64 s[8:9], -1
	s_cbranch_scc0 .LBB47_108
; %bb.77:
	s_cmp_lt_i32 s13, 24
	s_mov_b64 s[6:7], -1
	s_cbranch_scc1 .LBB47_97
; %bb.78:
	s_cmp_gt_i32 s13, 24
	s_cbranch_scc0 .LBB47_86
; %bb.79:
	v_cvt_f32_i32_sdwa v1, sext(v4) dst_sel:DWORD dst_unused:UNUSED_PAD src0_sel:WORD_0
	s_mov_b32 s6, 0x47800000
	v_mov_b32_e32 v6, 0x80
	v_and_b32_e32 v5, 0x7fffffff, v1
	v_cmp_gt_u32_e32 vcc, s6, v5
	s_and_saveexec_b64 s[6:7], vcc
	s_cbranch_execz .LBB47_85
; %bb.80:
	s_mov_b32 s8, 0x37ffffff
	v_cmp_lt_u32_e32 vcc, s8, v5
	s_mov_b64 s[8:9], 0
                                        ; implicit-def: $vgpr5
	s_and_saveexec_b64 s[10:11], vcc
	s_xor_b64 s[10:11], exec, s[10:11]
	s_cbranch_execz .LBB47_309
; %bb.81:
	v_bfe_u32 v5, v1, 21, 1
	s_mov_b32 s14, 0x88fffff
	v_add3_u32 v5, v1, v5, s14
	s_mov_b64 s[8:9], exec
	v_lshrrev_b32_e32 v5, 21, v5
	s_andn2_saveexec_b64 s[10:11], s[10:11]
	s_cbranch_execnz .LBB47_310
.LBB47_82:
	s_or_b64 exec, exec, s[10:11]
	v_mov_b32_e32 v6, 0
	s_and_saveexec_b64 s[10:11], s[8:9]
.LBB47_83:
	v_lshrrev_b32_e32 v1, 24, v1
	s_movk_i32 s8, 0x80
	v_and_or_b32 v6, v1, s8, v5
.LBB47_84:
	s_or_b64 exec, exec, s[10:11]
.LBB47_85:
	s_or_b64 exec, exec, s[6:7]
	s_mov_b64 s[6:7], 0
	global_store_byte v[2:3], v6, off
.LBB47_86:
	s_and_b64 vcc, exec, s[6:7]
	s_cbranch_vccz .LBB47_96
; %bb.87:
	v_cvt_f32_i32_sdwa v1, sext(v4) dst_sel:DWORD dst_unused:UNUSED_PAD src0_sel:WORD_0
	s_mov_b32 s6, 0x43f00000
                                        ; implicit-def: $vgpr5
	v_and_b32_e32 v6, 0x7fffffff, v1
	v_cmp_gt_u32_e32 vcc, s6, v6
	s_and_saveexec_b64 s[6:7], vcc
	s_xor_b64 s[6:7], exec, s[6:7]
	s_cbranch_execz .LBB47_93
; %bb.88:
	s_mov_b32 s8, 0x3c7fffff
	v_cmp_lt_u32_e32 vcc, s8, v6
                                        ; implicit-def: $vgpr5
	s_and_saveexec_b64 s[8:9], vcc
	s_xor_b64 s[8:9], exec, s[8:9]
; %bb.89:
	v_bfe_u32 v5, v1, 20, 1
	s_mov_b32 s10, 0x407ffff
	v_add3_u32 v5, v1, v5, s10
	v_lshrrev_b32_e32 v6, 20, v5
	v_and_b32_e32 v5, 0xff00000, v5
	s_mov_b32 s10, 0x7f00000
	v_mov_b32_e32 v7, 0x7e
	v_cmp_ne_u32_e32 vcc, s10, v5
	s_nop 1
	v_cndmask_b32_e32 v5, v7, v6, vcc
; %bb.90:
	s_andn2_saveexec_b64 s[8:9], s[8:9]
; %bb.91:
	s_mov_b32 s10, 0x46800000
	v_add_f32_e64 v5, |v1|, s10
; %bb.92:
	s_or_b64 exec, exec, s[8:9]
                                        ; implicit-def: $vgpr6
.LBB47_93:
	s_andn2_saveexec_b64 s[6:7], s[6:7]
; %bb.94:
	s_mov_b32 s8, 0x7f800000
	v_mov_b32_e32 v5, 0x7e
	v_mov_b32_e32 v7, 0x7f
	v_cmp_lt_u32_e32 vcc, s8, v6
	s_nop 1
	v_cndmask_b32_e32 v5, v5, v7, vcc
; %bb.95:
	s_or_b64 exec, exec, s[6:7]
	v_lshrrev_b32_e32 v1, 24, v1
	s_movk_i32 s6, 0x80
	v_and_or_b32 v1, v1, s6, v5
	global_store_byte v[2:3], v1, off
.LBB47_96:
	s_mov_b64 s[6:7], 0
.LBB47_97:
	s_andn2_b64 vcc, exec, s[6:7]
	s_cbranch_vccnz .LBB47_107
; %bb.98:
	v_cvt_f32_i32_sdwa v1, sext(v4) dst_sel:DWORD dst_unused:UNUSED_PAD src0_sel:WORD_0
	s_mov_b32 s6, 0x47800000
                                        ; implicit-def: $vgpr5
	v_and_b32_e32 v6, 0x7fffffff, v1
	v_cmp_gt_u32_e32 vcc, s6, v6
	s_and_saveexec_b64 s[6:7], vcc
	s_xor_b64 s[6:7], exec, s[6:7]
	s_cbranch_execz .LBB47_104
; %bb.99:
	s_mov_b32 s8, 0x387fffff
	v_cmp_lt_u32_e32 vcc, s8, v6
                                        ; implicit-def: $vgpr5
	s_and_saveexec_b64 s[8:9], vcc
	s_xor_b64 s[8:9], exec, s[8:9]
; %bb.100:
	v_bfe_u32 v5, v1, 21, 1
	s_mov_b32 s10, 0x80fffff
	v_add3_u32 v5, v1, v5, s10
	v_lshrrev_b32_e32 v5, 21, v5
; %bb.101:
	s_andn2_saveexec_b64 s[8:9], s[8:9]
; %bb.102:
	s_mov_b32 s10, 0x43000000
	v_add_f32_e64 v5, |v1|, s10
; %bb.103:
	s_or_b64 exec, exec, s[8:9]
                                        ; implicit-def: $vgpr6
.LBB47_104:
	s_andn2_saveexec_b64 s[6:7], s[6:7]
; %bb.105:
	s_mov_b32 s8, 0x7f800000
	v_mov_b32_e32 v5, 0x7c
	v_mov_b32_e32 v7, 0x7f
	v_cmp_lt_u32_e32 vcc, s8, v6
	s_nop 1
	v_cndmask_b32_e32 v5, v5, v7, vcc
; %bb.106:
	s_or_b64 exec, exec, s[6:7]
	v_lshrrev_b32_e32 v1, 24, v1
	s_movk_i32 s6, 0x80
	v_and_or_b32 v1, v1, s6, v5
	global_store_byte v[2:3], v1, off
.LBB47_107:
	s_mov_b64 s[8:9], 0
	s_mov_b64 s[6:7], -1
.LBB47_108:
	s_andn2_b64 vcc, exec, s[8:9]
	s_cbranch_vccnz .LBB47_116
; %bb.109:
	s_cmp_gt_i32 s13, 14
	s_mov_b64 s[8:9], -1
	s_cbranch_scc0 .LBB47_113
; %bb.110:
	s_cmp_eq_u32 s13, 15
	s_mov_b64 s[2:3], -1
	s_cbranch_scc0 .LBB47_112
; %bb.111:
	v_cvt_f32_i32_sdwa v1, sext(v4) dst_sel:DWORD dst_unused:UNUSED_PAD src0_sel:WORD_0
	s_movk_i32 s2, 0x7fff
	s_mov_b64 s[6:7], -1
	v_bfe_u32 v5, v1, 16, 1
	v_add3_u32 v1, v1, v5, s2
	global_store_short_d16_hi v[2:3], v1, off
	s_mov_b64 s[2:3], 0
.LBB47_112:
	s_mov_b64 s[8:9], 0
.LBB47_113:
	s_and_b64 vcc, exec, s[8:9]
	s_cbranch_vccz .LBB47_116
; %bb.114:
	s_cmp_eq_u32 s13, 11
	s_mov_b64 s[2:3], -1
	s_cbranch_scc0 .LBB47_116
; %bb.115:
	v_cmp_ne_u16_e32 vcc, -1, v0
	s_mov_b64 s[6:7], -1
	s_mov_b64 s[2:3], 0
	v_cndmask_b32_e64 v0, 0, 1, vcc
	global_store_byte v[2:3], v0, off
.LBB47_116:
	s_branch .LBB47_35
.LBB47_117:
	s_and_b32 s8, 0xffff, s12
	s_cmp_lt_i32 s8, 5
	s_mov_b64 s[6:7], -1
	s_cbranch_scc1 .LBB47_138
; %bb.118:
	s_cmp_lt_i32 s8, 8
	s_cbranch_scc1 .LBB47_128
; %bb.119:
	s_cmp_lt_i32 s8, 9
	s_cbranch_scc1 .LBB47_125
; %bb.120:
	s_cmp_gt_i32 s8, 9
	s_cbranch_scc0 .LBB47_122
; %bb.121:
	v_bfe_i32 v0, v4, 0, 16
	v_mov_b32_e32 v12, 0
	v_cvt_f64_i32_e32 v[10:11], v0
	v_mov_b32_e32 v13, v12
	global_store_dwordx4 v[2:3], v[10:13], off
	s_mov_b64 s[6:7], 0
.LBB47_122:
	s_andn2_b64 vcc, exec, s[6:7]
	s_cbranch_vccnz .LBB47_124
; %bb.123:
	v_cvt_f32_i32_sdwa v0, sext(v4) dst_sel:DWORD dst_unused:UNUSED_PAD src0_sel:WORD_0
	v_mov_b32_e32 v1, 0
	global_store_dwordx2 v[2:3], v[0:1], off
.LBB47_124:
	s_mov_b64 s[6:7], 0
.LBB47_125:
	s_andn2_b64 vcc, exec, s[6:7]
	s_cbranch_vccnz .LBB47_127
; %bb.126:
	v_cvt_f16_i16_e32 v0, v4
	global_store_dword v[2:3], v0, off
.LBB47_127:
	s_mov_b64 s[6:7], 0
.LBB47_128:
	s_andn2_b64 vcc, exec, s[6:7]
	s_cbranch_vccnz .LBB47_137
; %bb.129:
	s_cmp_lt_i32 s8, 6
	s_mov_b64 s[6:7], -1
	s_cbranch_scc1 .LBB47_135
; %bb.130:
	s_cmp_gt_i32 s8, 6
	s_cbranch_scc0 .LBB47_132
; %bb.131:
	v_bfe_i32 v0, v4, 0, 16
	v_cvt_f64_i32_e32 v[0:1], v0
	global_store_dwordx2 v[2:3], v[0:1], off
	s_mov_b64 s[6:7], 0
.LBB47_132:
	s_andn2_b64 vcc, exec, s[6:7]
	s_cbranch_vccnz .LBB47_134
; %bb.133:
	v_cvt_f32_i32_sdwa v0, sext(v4) dst_sel:DWORD dst_unused:UNUSED_PAD src0_sel:WORD_0
	global_store_dword v[2:3], v0, off
.LBB47_134:
	s_mov_b64 s[6:7], 0
.LBB47_135:
	s_andn2_b64 vcc, exec, s[6:7]
	s_cbranch_vccnz .LBB47_137
; %bb.136:
	v_cvt_f16_i16_e32 v0, v4
	global_store_short v[2:3], v0, off
.LBB47_137:
	s_mov_b64 s[6:7], 0
.LBB47_138:
	s_andn2_b64 vcc, exec, s[6:7]
	s_cbranch_vccnz .LBB47_154
; %bb.139:
	s_cmp_lt_i32 s8, 2
	s_mov_b64 s[6:7], -1
	s_cbranch_scc1 .LBB47_149
; %bb.140:
	s_cmp_lt_i32 s8, 3
	s_cbranch_scc1 .LBB47_146
; %bb.141:
	s_cmp_gt_i32 s8, 3
	v_bfe_i32 v0, v4, 0, 16
	s_cbranch_scc0 .LBB47_143
; %bb.142:
	v_ashrrev_i32_e32 v1, 31, v0
	global_store_dwordx2 v[2:3], v[0:1], off
	s_mov_b64 s[6:7], 0
.LBB47_143:
	s_andn2_b64 vcc, exec, s[6:7]
	s_cbranch_vccnz .LBB47_145
; %bb.144:
	global_store_dword v[2:3], v0, off
.LBB47_145:
	s_mov_b64 s[6:7], 0
.LBB47_146:
	s_andn2_b64 vcc, exec, s[6:7]
	s_cbranch_vccnz .LBB47_148
; %bb.147:
	global_store_short v[2:3], v4, off
.LBB47_148:
	s_mov_b64 s[6:7], 0
.LBB47_149:
	s_andn2_b64 vcc, exec, s[6:7]
	s_cbranch_vccnz .LBB47_154
; %bb.150:
	s_cmp_gt_i32 s8, 0
	s_mov_b64 s[6:7], -1
	s_cbranch_scc0 .LBB47_152
; %bb.151:
	global_store_byte v[2:3], v4, off
	s_mov_b64 s[6:7], 0
.LBB47_152:
	s_andn2_b64 vcc, exec, s[6:7]
	s_cbranch_vccnz .LBB47_154
; %bb.153:
	global_store_byte v[2:3], v4, off
.LBB47_154:
.LBB47_155:
	v_add_u32_e32 v9, 0x80, v9
	s_mov_b64 s[6:7], -1
	s_branch .LBB47_262
.LBB47_156:
	s_mov_b64 s[4:5], -1
                                        ; implicit-def: $vgpr0
.LBB47_157:
	s_mov_b64 s[6:7], 0
.LBB47_158:
	s_and_b64 vcc, exec, s[6:7]
	s_cbranch_vccz .LBB47_162
; %bb.159:
	s_cmp_eq_u32 s8, 29
	s_cbranch_scc0 .LBB47_161
; %bb.160:
	global_load_dwordx2 v[0:1], v[4:5], off
	s_mov_b64 s[2:3], -1
	s_mov_b64 s[4:5], 0
	s_branch .LBB47_162
.LBB47_161:
	s_mov_b64 s[4:5], -1
                                        ; implicit-def: $vgpr0
.LBB47_162:
	s_mov_b64 s[6:7], 0
.LBB47_163:
	s_and_b64 vcc, exec, s[6:7]
	s_cbranch_vccz .LBB47_179
; %bb.164:
	s_cmp_lt_i32 s8, 27
	s_cbranch_scc1 .LBB47_167
; %bb.165:
	s_cmp_gt_i32 s8, 27
	s_cbranch_scc0 .LBB47_168
; %bb.166:
	global_load_dword v0, v[4:5], off
	s_mov_b64 s[2:3], 0
	s_branch .LBB47_169
.LBB47_167:
	s_mov_b64 s[2:3], -1
                                        ; implicit-def: $vgpr0
	s_branch .LBB47_172
.LBB47_168:
	s_mov_b64 s[2:3], -1
                                        ; implicit-def: $vgpr0
.LBB47_169:
	s_andn2_b64 vcc, exec, s[2:3]
	s_cbranch_vccnz .LBB47_171
; %bb.170:
	global_load_ushort v0, v[4:5], off
.LBB47_171:
	s_mov_b64 s[2:3], 0
.LBB47_172:
	s_andn2_b64 vcc, exec, s[2:3]
	s_cbranch_vccnz .LBB47_178
; %bb.173:
	global_load_ubyte v1, v[4:5], off
	s_movk_i32 s2, 0x7f
	s_mov_b64 s[6:7], 0
	s_waitcnt vmcnt(0)
	v_cmp_lt_i16_e32 vcc, s2, v1
	s_and_saveexec_b64 s[2:3], vcc
	s_xor_b64 s[2:3], exec, s[2:3]
	s_cbranch_execz .LBB47_189
; %bb.174:
	s_movk_i32 s6, 0x80
	v_cmp_ne_u16_e32 vcc, s6, v1
	s_and_b64 s[6:7], vcc, exec
	s_andn2_saveexec_b64 s[2:3], s[2:3]
	s_cbranch_execnz .LBB47_190
.LBB47_175:
	s_or_b64 exec, exec, s[2:3]
	v_mov_b32_e32 v0, 0
	s_and_saveexec_b64 s[2:3], s[6:7]
	s_cbranch_execz .LBB47_177
.LBB47_176:
	v_lshlrev_b32_e32 v0, 24, v1
	v_and_b32_e32 v1, 0xffff, v1
	v_and_b32_e32 v3, 7, v1
	v_ffbh_u32_e32 v7, v3
	v_min_u32_e32 v7, 32, v7
	v_subrev_u32_e32 v8, 28, v7
	v_bfe_u32 v6, v1, 3, 4
	v_lshlrev_b32_e32 v1, v8, v1
	v_sub_u32_e32 v7, 29, v7
	v_and_b32_e32 v1, 7, v1
	v_cmp_eq_u32_e32 vcc, 0, v6
	v_and_b32_e32 v0, 0x80000000, v0
	s_nop 0
	v_cndmask_b32_e32 v6, v6, v7, vcc
	v_cndmask_b32_e32 v1, v3, v1, vcc
	v_mov_b32_e32 v3, 0x3b800000
	v_lshlrev_b32_e32 v1, 20, v1
	v_lshl_add_u32 v3, v6, 23, v3
	v_or3_b32 v0, v0, v3, v1
	v_cvt_i32_f32_e32 v0, v0
.LBB47_177:
	s_or_b64 exec, exec, s[2:3]
.LBB47_178:
	s_mov_b64 s[2:3], -1
.LBB47_179:
	s_branch .LBB47_212
.LBB47_180:
	s_cmp_gt_i32 s8, 22
	s_cbranch_scc0 .LBB47_188
; %bb.181:
	s_cmp_lt_i32 s8, 24
	s_cbranch_scc1 .LBB47_191
; %bb.182:
	s_cmp_gt_i32 s8, 24
	s_cbranch_scc0 .LBB47_192
; %bb.183:
	global_load_ubyte v1, v[4:5], off
	s_movk_i32 s2, 0x7f
	s_mov_b64 s[6:7], 0
	s_waitcnt vmcnt(0)
	v_cmp_lt_i16_e32 vcc, s2, v1
	s_and_saveexec_b64 s[2:3], vcc
	s_xor_b64 s[2:3], exec, s[2:3]
	s_cbranch_execz .LBB47_204
; %bb.184:
	s_movk_i32 s6, 0x80
	v_cmp_ne_u16_e32 vcc, s6, v1
	s_and_b64 s[6:7], vcc, exec
	s_andn2_saveexec_b64 s[2:3], s[2:3]
	s_cbranch_execnz .LBB47_205
.LBB47_185:
	s_or_b64 exec, exec, s[2:3]
	v_mov_b32_e32 v0, 0
	s_and_saveexec_b64 s[2:3], s[6:7]
	s_cbranch_execz .LBB47_187
.LBB47_186:
	v_lshlrev_b32_e32 v0, 24, v1
	v_and_b32_e32 v1, 0xffff, v1
	v_and_b32_e32 v3, 3, v1
	v_ffbh_u32_e32 v7, v3
	v_min_u32_e32 v7, 32, v7
	v_subrev_u32_e32 v8, 29, v7
	v_bfe_u32 v6, v1, 2, 5
	v_lshlrev_b32_e32 v1, v8, v1
	v_sub_u32_e32 v7, 30, v7
	v_and_b32_e32 v1, 3, v1
	v_cmp_eq_u32_e32 vcc, 0, v6
	v_and_b32_e32 v0, 0x80000000, v0
	s_nop 0
	v_cndmask_b32_e32 v6, v6, v7, vcc
	v_cndmask_b32_e32 v1, v3, v1, vcc
	v_mov_b32_e32 v3, 0x37800000
	v_lshlrev_b32_e32 v1, 21, v1
	v_lshl_add_u32 v3, v6, 23, v3
	v_or3_b32 v0, v0, v3, v1
	v_cvt_i32_f32_e32 v0, v0
.LBB47_187:
	s_or_b64 exec, exec, s[2:3]
	s_mov_b64 s[2:3], 0
	s_branch .LBB47_193
.LBB47_188:
	s_mov_b64 s[6:7], -1
                                        ; implicit-def: $vgpr0
	s_branch .LBB47_199
.LBB47_189:
	s_andn2_saveexec_b64 s[2:3], s[2:3]
	s_cbranch_execz .LBB47_175
.LBB47_190:
	v_cmp_ne_u16_e32 vcc, 0, v1
	s_andn2_b64 s[6:7], s[6:7], exec
	s_and_b64 s[10:11], vcc, exec
	s_or_b64 s[6:7], s[6:7], s[10:11]
	s_or_b64 exec, exec, s[2:3]
	v_mov_b32_e32 v0, 0
	s_and_saveexec_b64 s[2:3], s[6:7]
	s_cbranch_execnz .LBB47_176
	s_branch .LBB47_177
.LBB47_191:
	s_mov_b64 s[2:3], -1
                                        ; implicit-def: $vgpr0
	s_branch .LBB47_196
.LBB47_192:
	s_mov_b64 s[2:3], -1
                                        ; implicit-def: $vgpr0
.LBB47_193:
	s_and_b64 vcc, exec, s[2:3]
	s_cbranch_vccz .LBB47_195
; %bb.194:
	global_load_ubyte v0, v[4:5], off
	s_mov_b32 s2, 0x7f800000
	s_waitcnt vmcnt(0)
	v_lshlrev_b32_e32 v0, 24, v0
	v_and_b32_e32 v1, 0x7f000000, v0
	v_ffbh_u32_e32 v3, v1
	v_min_u32_e32 v3, 32, v3
	v_sub_u32_e64 v3, v3, 4 clamp
	v_lshlrev_b32_e32 v7, v3, v1
	v_lshlrev_b32_e32 v3, 23, v3
	v_lshrrev_b32_e32 v7, 4, v7
	v_add_u32_e32 v6, 0x1000000, v1
	v_sub_u32_e32 v3, v7, v3
	v_ashrrev_i32_e32 v6, 8, v6
	v_add_u32_e32 v3, 0x3c000000, v3
	v_and_or_b32 v3, v6, s2, v3
	v_cmp_ne_u32_e32 vcc, 0, v1
	s_brev_b32 s2, 1
	s_nop 0
	v_cndmask_b32_e32 v1, 0, v3, vcc
	v_and_or_b32 v0, v0, s2, v1
	v_cvt_i32_f32_e32 v0, v0
.LBB47_195:
	s_mov_b64 s[2:3], 0
.LBB47_196:
	s_andn2_b64 vcc, exec, s[2:3]
	s_cbranch_vccnz .LBB47_198
; %bb.197:
	global_load_ubyte v0, v[4:5], off
	s_movk_i32 s2, 0x7f00
	s_brev_b32 s3, 16
	s_waitcnt vmcnt(0)
	v_lshlrev_b16_e32 v1, 8, v0
	v_lshlrev_b32_e32 v0, 25, v0
	v_lshrrev_b32_e32 v3, 4, v0
	v_and_or_b32 v6, v1, s2, 0.5
	v_or_b32_e32 v3, 0x70000000, v3
	v_add_f32_e32 v6, -0.5, v6
	v_mul_f32_e32 v3, 0x7800000, v3
	v_cmp_gt_u32_e32 vcc, s3, v0
	v_bfe_i32 v1, v1, 0, 16
	s_brev_b32 s2, 1
	v_cndmask_b32_e32 v0, v3, v6, vcc
	v_and_or_b32 v0, v1, s2, v0
	v_cvt_i32_f32_e32 v0, v0
.LBB47_198:
	s_mov_b64 s[6:7], 0
	s_mov_b64 s[2:3], -1
.LBB47_199:
	s_andn2_b64 vcc, exec, s[6:7]
	s_cbranch_vccnz .LBB47_212
; %bb.200:
	s_cmp_gt_i32 s8, 14
	s_cbranch_scc0 .LBB47_203
; %bb.201:
	s_cmp_eq_u32 s8, 15
	s_cbranch_scc0 .LBB47_206
; %bb.202:
	global_load_ushort v0, v[4:5], off
	s_mov_b64 s[2:3], -1
	s_mov_b64 s[4:5], 0
	s_waitcnt vmcnt(0)
	v_lshlrev_b32_e32 v0, 16, v0
	v_cvt_i32_f32_e32 v0, v0
	s_branch .LBB47_207
.LBB47_203:
	s_mov_b64 s[6:7], -1
                                        ; implicit-def: $vgpr0
	s_branch .LBB47_208
.LBB47_204:
	s_andn2_saveexec_b64 s[2:3], s[2:3]
	s_cbranch_execz .LBB47_185
.LBB47_205:
	v_cmp_ne_u16_e32 vcc, 0, v1
	s_andn2_b64 s[6:7], s[6:7], exec
	s_and_b64 s[10:11], vcc, exec
	s_or_b64 s[6:7], s[6:7], s[10:11]
	s_or_b64 exec, exec, s[2:3]
	v_mov_b32_e32 v0, 0
	s_and_saveexec_b64 s[2:3], s[6:7]
	s_cbranch_execnz .LBB47_186
	s_branch .LBB47_187
.LBB47_206:
	s_mov_b64 s[4:5], -1
                                        ; implicit-def: $vgpr0
.LBB47_207:
	s_mov_b64 s[6:7], 0
.LBB47_208:
	s_and_b64 vcc, exec, s[6:7]
	s_cbranch_vccz .LBB47_212
; %bb.209:
	s_cmp_eq_u32 s8, 11
	s_cbranch_scc0 .LBB47_211
; %bb.210:
	global_load_ubyte v0, v[4:5], off
	s_mov_b64 s[2:3], -1
	s_mov_b64 s[4:5], 0
	s_waitcnt vmcnt(0)
	v_cmp_ne_u16_e32 vcc, 0, v0
	s_nop 1
	v_cndmask_b32_e64 v0, 0, 1, vcc
	s_branch .LBB47_212
.LBB47_211:
	s_mov_b64 s[4:5], -1
                                        ; implicit-def: $vgpr0
.LBB47_212:
	s_branch .LBB47_25
.LBB47_213:
	s_cmp_lt_i32 s8, 5
	s_cbranch_scc1 .LBB47_218
; %bb.214:
	s_cmp_lt_i32 s8, 8
	s_cbranch_scc1 .LBB47_219
; %bb.215:
	;; [unrolled: 3-line block ×3, first 2 shown]
	s_cmp_gt_i32 s8, 9
	s_cbranch_scc0 .LBB47_221
; %bb.217:
	global_load_dwordx2 v[0:1], v[4:5], off
	s_mov_b64 s[2:3], 0
	s_waitcnt vmcnt(0)
	v_cvt_i32_f64_e32 v0, v[0:1]
	s_branch .LBB47_222
.LBB47_218:
                                        ; implicit-def: $vgpr0
	s_branch .LBB47_240
.LBB47_219:
	s_mov_b64 s[2:3], -1
                                        ; implicit-def: $vgpr0
	s_branch .LBB47_228
.LBB47_220:
	s_mov_b64 s[2:3], -1
                                        ; implicit-def: $vgpr0
	s_branch .LBB47_225
.LBB47_221:
	s_mov_b64 s[2:3], -1
                                        ; implicit-def: $vgpr0
.LBB47_222:
	s_andn2_b64 vcc, exec, s[2:3]
	s_cbranch_vccnz .LBB47_224
; %bb.223:
	global_load_dword v0, v[4:5], off
	s_waitcnt vmcnt(0)
	v_cvt_i32_f32_e32 v0, v0
.LBB47_224:
	s_mov_b64 s[2:3], 0
.LBB47_225:
	s_andn2_b64 vcc, exec, s[2:3]
	s_cbranch_vccnz .LBB47_227
; %bb.226:
	global_load_dword v0, v[4:5], off
	s_waitcnt vmcnt(0)
	v_cvt_i16_f16_e32 v0, v0
.LBB47_227:
	s_mov_b64 s[2:3], 0
.LBB47_228:
	s_andn2_b64 vcc, exec, s[2:3]
	s_cbranch_vccnz .LBB47_239
; %bb.229:
	s_cmp_lt_i32 s8, 6
	s_cbranch_scc1 .LBB47_232
; %bb.230:
	s_cmp_gt_i32 s8, 6
	s_cbranch_scc0 .LBB47_233
; %bb.231:
	global_load_dwordx2 v[0:1], v[4:5], off
	s_mov_b64 s[2:3], 0
	s_waitcnt vmcnt(0)
	v_cvt_i32_f64_e32 v0, v[0:1]
	s_branch .LBB47_234
.LBB47_232:
	s_mov_b64 s[2:3], -1
                                        ; implicit-def: $vgpr0
	s_branch .LBB47_237
.LBB47_233:
	s_mov_b64 s[2:3], -1
                                        ; implicit-def: $vgpr0
.LBB47_234:
	s_andn2_b64 vcc, exec, s[2:3]
	s_cbranch_vccnz .LBB47_236
; %bb.235:
	global_load_dword v0, v[4:5], off
	s_waitcnt vmcnt(0)
	v_cvt_i32_f32_e32 v0, v0
.LBB47_236:
	s_mov_b64 s[2:3], 0
.LBB47_237:
	s_andn2_b64 vcc, exec, s[2:3]
	s_cbranch_vccnz .LBB47_239
; %bb.238:
	global_load_ushort v0, v[4:5], off
	s_waitcnt vmcnt(0)
	v_cvt_i16_f16_e32 v0, v0
.LBB47_239:
	s_cbranch_execnz .LBB47_259
.LBB47_240:
	s_cmp_lt_i32 s8, 2
	s_cbranch_scc1 .LBB47_244
; %bb.241:
	s_cmp_lt_i32 s8, 3
	s_cbranch_scc1 .LBB47_245
; %bb.242:
	s_cmp_gt_i32 s8, 3
	s_cbranch_scc0 .LBB47_246
; %bb.243:
	global_load_dwordx2 v[0:1], v[4:5], off
	s_mov_b64 s[2:3], 0
	s_branch .LBB47_247
.LBB47_244:
	s_mov_b64 s[2:3], -1
                                        ; implicit-def: $vgpr0
	s_branch .LBB47_253
.LBB47_245:
	s_mov_b64 s[2:3], -1
                                        ; implicit-def: $vgpr0
	s_branch .LBB47_250
.LBB47_246:
	s_mov_b64 s[2:3], -1
                                        ; implicit-def: $vgpr0
.LBB47_247:
	s_andn2_b64 vcc, exec, s[2:3]
	s_cbranch_vccnz .LBB47_249
; %bb.248:
	global_load_dword v0, v[4:5], off
.LBB47_249:
	s_mov_b64 s[2:3], 0
.LBB47_250:
	s_andn2_b64 vcc, exec, s[2:3]
	s_cbranch_vccnz .LBB47_252
; %bb.251:
	global_load_ushort v0, v[4:5], off
.LBB47_252:
	s_mov_b64 s[2:3], 0
.LBB47_253:
	s_andn2_b64 vcc, exec, s[2:3]
	s_cbranch_vccnz .LBB47_259
; %bb.254:
	s_cmp_gt_i32 s8, 0
	s_cbranch_scc0 .LBB47_256
; %bb.255:
	global_load_sbyte v0, v[4:5], off
	s_mov_b64 s[2:3], 0
	s_branch .LBB47_257
.LBB47_256:
	s_mov_b64 s[2:3], -1
                                        ; implicit-def: $vgpr0
.LBB47_257:
	s_andn2_b64 vcc, exec, s[2:3]
	s_cbranch_vccnz .LBB47_259
; %bb.258:
	global_load_ubyte v0, v[4:5], off
.LBB47_259:
	s_branch .LBB47_26
.LBB47_260:
	s_mov_b64 s[2:3], 0
.LBB47_261:
	s_mov_b64 s[6:7], 0
                                        ; implicit-def: $vgpr9
.LBB47_262:
	s_and_b64 s[54:55], s[2:3], exec
	s_and_b64 s[56:57], s[4:5], exec
	s_orn2_b64 s[4:5], s[6:7], exec
.LBB47_263:
	s_or_b64 exec, exec, s[58:59]
	s_mov_b64 s[8:9], 0
	s_mov_b64 s[2:3], 0
                                        ; implicit-def: $vgpr4_vgpr5
                                        ; implicit-def: $vgpr2
                                        ; implicit-def: $vgpr0
	s_and_saveexec_b64 s[58:59], s[4:5]
	s_cbranch_execz .LBB47_271
; %bb.264:
	v_cmp_gt_i32_e32 vcc, s70, v9
	s_mov_b64 s[2:3], -1
	s_mov_b64 s[60:61], s[56:57]
	s_mov_b64 s[62:63], s[54:55]
	s_and_saveexec_b64 s[64:65], vcc
	s_cbranch_execz .LBB47_536
; %bb.265:
	s_andn2_b64 vcc, exec, s[42:43]
	s_cbranch_vccnz .LBB47_274
; %bb.266:
	s_andn2_b64 vcc, exec, s[52:53]
	s_cbranch_vccnz .LBB47_275
; %bb.267:
	s_add_i32 s63, s75, 1
	s_cmp_eq_u32 s72, 2
	s_cbranch_scc1 .LBB47_276
; %bb.268:
	s_and_b32 s62, s63, 28
	s_mov_b32 s66, 0
	v_mov_b32_e32 v2, 0
	s_waitcnt vmcnt(0)
	v_mov_b32_e32 v0, 0
	s_mov_b64 s[2:3], s[34:35]
	s_mov_b64 s[60:61], s[50:51]
	v_mov_b32_e32 v4, v9
.LBB47_269:                             ; =>This Inner Loop Header: Depth=1
	s_load_dwordx8 s[12:19], s[2:3], 0x4
	s_load_dwordx4 s[36:39], s[2:3], 0x24
	s_load_dwordx8 s[4:11], s[60:61], 0x0
	s_add_u32 s2, s2, 48
	s_addc_u32 s3, s3, 0
	s_waitcnt lgkmcnt(0)
	v_mul_hi_u32 v1, s13, v4
	v_add_u32_e32 v1, v4, v1
	v_lshrrev_b32_e32 v1, s14, v1
	v_mul_lo_u32 v3, v1, s12
	v_mul_hi_u32 v5, s16, v1
	v_sub_u32_e32 v3, v4, v3
	v_add_u32_e32 v4, v1, v5
	v_lshrrev_b32_e32 v4, s17, v4
	v_mul_lo_u32 v6, v4, s15
	v_mul_hi_u32 v7, s19, v4
	v_sub_u32_e32 v1, v1, v6
	v_add_u32_e32 v6, v4, v7
	v_mul_lo_u32 v5, v3, s5
	v_mul_lo_u32 v3, v3, s4
	;; [unrolled: 1-line block ×4, first 2 shown]
	v_lshrrev_b32_e32 v6, s36, v6
	v_add3_u32 v1, v3, v2, v1
	v_mul_hi_u32 v3, s38, v6
	v_mul_lo_u32 v2, v6, s18
	v_add_u32_e32 v3, v6, v3
	v_sub_u32_e32 v2, v4, v2
	v_lshrrev_b32_e32 v4, s39, v3
	s_add_i32 s66, s66, 4
	v_mul_lo_u32 v3, v4, s37
	s_add_u32 s60, s60, 32
	v_sub_u32_e32 v3, v6, v3
	s_addc_u32 s61, s61, 0
	v_add3_u32 v0, v5, v0, v7
	v_mul_lo_u32 v5, v2, s8
	v_mul_lo_u32 v2, v2, s9
	;; [unrolled: 1-line block ×4, first 2 shown]
	s_cmp_eq_u32 s62, s66
	v_add3_u32 v0, v2, v0, v3
	v_add3_u32 v2, v5, v1, v6
	s_cbranch_scc0 .LBB47_269
; %bb.270:
	v_mov_b32_e32 v1, v0
	s_branch .LBB47_277
.LBB47_271:
	s_or_b64 exec, exec, s[58:59]
	s_mov_b64 s[4:5], 0
	s_and_saveexec_b64 s[6:7], s[56:57]
	s_cbranch_execnz .LBB47_906
.LBB47_272:
	s_or_b64 exec, exec, s[6:7]
	s_and_saveexec_b64 s[6:7], s[62:63]
	s_xor_b64 s[6:7], exec, s[6:7]
	s_cbranch_execz .LBB47_907
.LBB47_273:
	global_load_ubyte v0, v[4:5], off
	s_or_b64 s[2:3], s[2:3], exec
	s_waitcnt vmcnt(0)
	v_cmp_ne_u16_e32 vcc, 0, v0
	s_nop 1
	v_cndmask_b32_e64 v0, 0, 1, vcc
	s_or_b64 exec, exec, s[6:7]
	s_and_saveexec_b64 s[6:7], s[8:9]
	s_cbranch_execz .LBB47_953
	s_branch .LBB47_908
.LBB47_274:
                                        ; implicit-def: $vgpr0
                                        ; implicit-def: $vgpr2
	s_andn2_b64 vcc, exec, s[2:3]
	s_cbranch_vccz .LBB47_281
	s_branch .LBB47_283
.LBB47_275:
	s_waitcnt vmcnt(0)
	v_mov_b32_e32 v0, 0
	v_mov_b32_e32 v2, 0
	s_branch .LBB47_280
.LBB47_276:
	v_mov_b32_e32 v2, 0
	s_mov_b32 s62, 0
	s_waitcnt vmcnt(0)
	v_mov_b32_e32 v1, v2
                                        ; implicit-def: $vgpr0
	v_mov_b32_e32 v4, v9
.LBB47_277:
	s_and_b32 s6, s63, 3
	s_cmp_eq_u32 s6, 0
	s_cbranch_scc1 .LBB47_280
; %bb.278:
	s_lshl_b32 s2, s62, 3
	s_add_u32 s2, s34, s2
	s_addc_u32 s3, s35, 0
	s_add_u32 s2, s2, 0xc4
	s_addc_u32 s3, s3, 0
	s_mul_i32 s4, s62, 12
	s_add_u32 s4, s34, s4
	s_addc_u32 s5, s35, 0
.LBB47_279:                             ; =>This Inner Loop Header: Depth=1
	s_load_dwordx2 s[8:9], s[4:5], 0x4
	s_load_dword s7, s[4:5], 0xc
	s_load_dwordx2 s[10:11], s[2:3], 0x0
	v_mov_b32_e32 v0, v1
	s_add_u32 s4, s4, 12
	s_waitcnt lgkmcnt(0)
	v_mul_hi_u32 v1, s9, v4
	v_add_u32_e32 v1, v4, v1
	v_lshrrev_b32_e32 v1, s7, v1
	s_addc_u32 s5, s5, 0
	v_mul_lo_u32 v3, v1, s8
	s_add_u32 s2, s2, 8
	v_sub_u32_e32 v3, v4, v3
	s_addc_u32 s3, s3, 0
	s_add_i32 s6, s6, -1
	v_mov_b32_e32 v4, v1
	v_mad_u64_u32 v[0:1], s[8:9], v3, s11, v[0:1]
	s_cmp_lg_u32 s6, 0
	v_mad_u64_u32 v[2:3], s[8:9], v3, s10, v[2:3]
	v_mov_b32_e32 v1, v0
	s_cbranch_scc1 .LBB47_279
.LBB47_280:
	s_cbranch_execnz .LBB47_283
.LBB47_281:
	s_waitcnt vmcnt(0) lgkmcnt(0)
	v_mul_hi_u32 v0, s29, v9
	v_add_u32_e32 v0, v9, v0
	v_lshrrev_b32_e32 v1, s30, v0
	v_mul_lo_u32 v0, v1, s28
	v_sub_u32_e32 v2, v9, v0
	v_mul_lo_u32 v0, v2, s25
	s_andn2_b64 vcc, exec, s[48:49]
	v_mul_lo_u32 v2, v2, s24
	s_cbranch_vccnz .LBB47_283
; %bb.282:
	v_mul_hi_u32 v3, s46, v1
	v_add_u32_e32 v3, v1, v3
	v_lshrrev_b32_e32 v3, s47, v3
	v_mul_lo_u32 v3, v3, s31
	v_sub_u32_e32 v1, v1, v3
	v_mad_u64_u32 v[2:3], s[2:3], v1, s26, v[2:3]
	v_mad_u64_u32 v[0:1], s[2:3], v1, s27, v[0:1]
.LBB47_283:
	s_waitcnt vmcnt(0)
	v_mov_b32_e32 v1, 0
	s_and_b32 s8, 0xffff, s74
	s_cmp_lt_i32 s8, 11
	s_waitcnt lgkmcnt(0)
	v_lshl_add_u64 v[4:5], s[22:23], 0, v[0:1]
	s_cbranch_scc1 .LBB47_290
; %bb.284:
	s_cmp_gt_i32 s8, 25
	s_cbranch_scc0 .LBB47_299
; %bb.285:
	s_cmp_gt_i32 s8, 28
	s_cbranch_scc0 .LBB47_301
	;; [unrolled: 3-line block ×4, first 2 shown]
; %bb.288:
	s_cmp_eq_u32 s8, 46
	s_mov_b64 s[6:7], 0
	s_cbranch_scc0 .LBB47_311
; %bb.289:
	global_load_dword v0, v[4:5], off
	s_mov_b64 s[2:3], -1
	s_mov_b64 s[4:5], 0
	s_waitcnt vmcnt(0)
	v_lshlrev_b32_e32 v0, 16, v0
	v_cvt_i32_f32_e32 v0, v0
	s_branch .LBB47_312
.LBB47_290:
	s_mov_b64 s[2:3], 0
                                        ; implicit-def: $vgpr0
	s_mov_b64 s[4:5], s[56:57]
	s_cbranch_execnz .LBB47_485
.LBB47_291:
	s_andn2_b64 vcc, exec, s[2:3]
	s_cbranch_vccnz .LBB47_533
.LBB47_292:
	v_mov_b32_e32 v3, 0
	s_and_b32 s12, s73, 0xff
	s_waitcnt vmcnt(0)
	v_xor_b32_e32 v4, -1, v0
	s_cmp_lt_i32 s12, 11
	v_lshl_add_u64 v[2:3], s[20:21], 0, v[2:3]
	s_cbranch_scc1 .LBB47_300
; %bb.293:
	s_and_b32 s13, 0xffff, s12
	s_cmp_gt_i32 s13, 25
	s_cbranch_scc0 .LBB47_302
; %bb.294:
	s_cmp_gt_i32 s13, 28
	s_cbranch_scc0 .LBB47_304
; %bb.295:
	;; [unrolled: 3-line block ×4, first 2 shown]
	s_mov_b64 s[8:9], 0
	s_mov_b64 s[2:3], -1
	s_cmp_eq_u32 s13, 46
	s_mov_b64 s[6:7], 0
	s_cbranch_scc0 .LBB47_316
; %bb.298:
	v_cvt_f32_i32_sdwa v1, sext(v4) dst_sel:DWORD dst_unused:UNUSED_PAD src0_sel:WORD_0
	s_movk_i32 s2, 0x7fff
	s_mov_b64 s[6:7], -1
	v_bfe_u32 v5, v1, 16, 1
	v_add3_u32 v1, v1, v5, s2
	v_lshrrev_b32_e32 v1, 16, v1
	global_store_dword v[2:3], v1, off
	s_mov_b64 s[2:3], 0
	s_branch .LBB47_316
.LBB47_299:
	s_mov_b64 s[6:7], -1
	s_mov_b64 s[2:3], 0
	s_mov_b64 s[4:5], s[56:57]
                                        ; implicit-def: $vgpr0
	s_branch .LBB47_451
.LBB47_300:
	s_mov_b64 s[8:9], -1
	s_mov_b64 s[6:7], 0
	s_mov_b64 s[2:3], s[54:55]
	s_branch .LBB47_385
.LBB47_301:
	s_mov_b64 s[6:7], -1
	s_mov_b64 s[2:3], 0
	s_mov_b64 s[4:5], s[56:57]
                                        ; implicit-def: $vgpr0
	s_branch .LBB47_434
.LBB47_302:
	s_mov_b64 s[8:9], -1
	s_mov_b64 s[6:7], 0
	s_mov_b64 s[2:3], s[54:55]
	s_branch .LBB47_343
.LBB47_303:
	s_mov_b64 s[6:7], -1
	s_mov_b64 s[2:3], 0
	s_mov_b64 s[4:5], s[56:57]
                                        ; implicit-def: $vgpr0
	s_branch .LBB47_429
.LBB47_304:
	s_mov_b64 s[8:9], -1
	s_mov_b64 s[6:7], 0
	s_mov_b64 s[2:3], s[54:55]
	s_branch .LBB47_326
.LBB47_305:
	s_andn2_saveexec_b64 s[10:11], s[10:11]
	s_cbranch_execz .LBB47_69
.LBB47_306:
	s_mov_b32 s14, 0x46000000
	v_add_f32_e64 v5, |v1|, s14
	v_and_b32_e32 v5, 0xff, v5
	v_cmp_ne_u32_e32 vcc, 0, v5
	s_andn2_b64 s[8:9], s[8:9], exec
	s_and_b64 s[14:15], vcc, exec
	s_or_b64 s[8:9], s[8:9], s[14:15]
	s_or_b64 exec, exec, s[10:11]
	v_mov_b32_e32 v6, 0
	s_and_saveexec_b64 s[10:11], s[8:9]
	s_cbranch_execnz .LBB47_70
	s_branch .LBB47_71
.LBB47_307:
	s_mov_b64 s[6:7], -1
	s_mov_b64 s[2:3], 0
	s_mov_b64 s[4:5], s[56:57]
                                        ; implicit-def: $vgpr0
	s_branch .LBB47_312
.LBB47_308:
	s_mov_b64 s[8:9], -1
	s_mov_b64 s[6:7], 0
	s_mov_b64 s[2:3], s[54:55]
	s_branch .LBB47_322
.LBB47_309:
	s_andn2_saveexec_b64 s[10:11], s[10:11]
	s_cbranch_execz .LBB47_82
.LBB47_310:
	s_mov_b32 s14, 0x42800000
	v_add_f32_e64 v5, |v1|, s14
	v_and_b32_e32 v5, 0xff, v5
	v_cmp_ne_u32_e32 vcc, 0, v5
	s_andn2_b64 s[8:9], s[8:9], exec
	s_and_b64 s[14:15], vcc, exec
	s_or_b64 s[8:9], s[8:9], s[14:15]
	s_or_b64 exec, exec, s[10:11]
	v_mov_b32_e32 v6, 0
	s_and_saveexec_b64 s[10:11], s[8:9]
	s_cbranch_execnz .LBB47_83
	s_branch .LBB47_84
.LBB47_311:
	s_mov_b64 s[4:5], -1
                                        ; implicit-def: $vgpr0
	s_mov_b64 s[2:3], 0
.LBB47_312:
	s_and_b64 vcc, exec, s[6:7]
	s_cbranch_vccz .LBB47_428
; %bb.313:
	s_cmp_eq_u32 s8, 44
	s_cbranch_scc0 .LBB47_427
; %bb.314:
	global_load_ubyte v0, v[4:5], off
	s_mov_b64 s[2:3], -1
	s_mov_b64 s[4:5], 0
	s_waitcnt vmcnt(0)
	v_lshlrev_b32_e32 v1, 23, v0
	v_cvt_i32_f32_e32 v1, v1
	v_cmp_ne_u32_e32 vcc, 0, v0
	s_nop 1
	v_cndmask_b32_e32 v0, 0, v1, vcc
	s_branch .LBB47_428
.LBB47_315:
	s_mov_b64 s[8:9], -1
	s_mov_b64 s[6:7], 0
	s_mov_b64 s[2:3], s[54:55]
.LBB47_316:
	s_and_b64 vcc, exec, s[8:9]
	s_cbranch_vccz .LBB47_321
; %bb.317:
	s_cmp_eq_u32 s13, 44
	s_mov_b64 s[2:3], -1
	s_cbranch_scc0 .LBB47_321
; %bb.318:
	v_cvt_f32_i32_sdwa v1, sext(v4) dst_sel:DWORD dst_unused:UNUSED_PAD src0_sel:WORD_0
	s_movk_i32 s2, 0xff
	v_mov_b32_e32 v6, 0xff
	v_bfe_u32 v5, v1, 23, 8
	v_cmp_ne_u32_e32 vcc, s2, v5
	s_and_saveexec_b64 s[6:7], vcc
; %bb.319:
	s_mov_b32 s2, 0x3fffff
	v_lshrrev_b32_e32 v6, 23, v1
	v_and_b32_e32 v7, 0x400000, v1
	v_and_or_b32 v1, v1, s2, v5
	v_cmp_ne_u32_e32 vcc, 0, v7
	v_cmp_ne_u32_e64 s[2:3], 0, v1
	s_and_b64 s[2:3], vcc, s[2:3]
	s_nop 0
	v_cndmask_b32_e64 v1, 0, 1, s[2:3]
	v_add_u32_e32 v6, v6, v1
; %bb.320:
	s_or_b64 exec, exec, s[6:7]
	s_mov_b64 s[6:7], -1
	s_mov_b64 s[2:3], 0
	global_store_byte v[2:3], v6, off
.LBB47_321:
	s_mov_b64 s[8:9], 0
.LBB47_322:
	s_and_b64 vcc, exec, s[8:9]
	s_cbranch_vccz .LBB47_325
; %bb.323:
	s_cmp_eq_u32 s13, 29
	s_mov_b64 s[2:3], -1
	s_cbranch_scc0 .LBB47_325
; %bb.324:
	v_bfe_i32 v6, v4, 0, 16
	v_ashrrev_i32_e32 v7, 31, v6
	global_store_dwordx2 v[2:3], v[6:7], off
	s_mov_b64 s[6:7], -1
	s_mov_b64 s[2:3], 0
.LBB47_325:
	s_mov_b64 s[8:9], 0
.LBB47_326:
	s_and_b64 vcc, exec, s[8:9]
	s_cbranch_vccz .LBB47_342
; %bb.327:
	s_cmp_lt_i32 s13, 27
	s_mov_b64 s[6:7], -1
	s_cbranch_scc1 .LBB47_333
; %bb.328:
	s_cmp_gt_i32 s13, 27
	s_cbranch_scc0 .LBB47_330
; %bb.329:
	v_bfe_i32 v1, v4, 0, 16
	s_mov_b64 s[6:7], 0
	global_store_dword v[2:3], v1, off
.LBB47_330:
	s_andn2_b64 vcc, exec, s[6:7]
	s_cbranch_vccnz .LBB47_332
; %bb.331:
	global_store_short v[2:3], v4, off
.LBB47_332:
	s_mov_b64 s[6:7], 0
.LBB47_333:
	s_andn2_b64 vcc, exec, s[6:7]
	s_cbranch_vccnz .LBB47_341
; %bb.334:
	v_cvt_f32_i32_sdwa v1, sext(v4) dst_sel:DWORD dst_unused:UNUSED_PAD src0_sel:WORD_0
	s_mov_b32 s6, 0x43800000
	v_mov_b32_e32 v6, 0x80
	v_and_b32_e32 v5, 0x7fffffff, v1
	v_cmp_gt_u32_e32 vcc, s6, v5
	s_and_saveexec_b64 s[6:7], vcc
	s_cbranch_execz .LBB47_340
; %bb.335:
	s_mov_b32 s8, 0x3bffffff
	v_cmp_lt_u32_e32 vcc, s8, v5
	s_mov_b64 s[8:9], 0
                                        ; implicit-def: $vgpr5
	s_and_saveexec_b64 s[10:11], vcc
	s_xor_b64 s[10:11], exec, s[10:11]
	s_cbranch_execz .LBB47_565
; %bb.336:
	v_bfe_u32 v5, v1, 20, 1
	s_mov_b32 s14, 0x487ffff
	v_add3_u32 v5, v1, v5, s14
	s_mov_b64 s[8:9], exec
	v_lshrrev_b32_e32 v5, 20, v5
	s_andn2_saveexec_b64 s[10:11], s[10:11]
	s_cbranch_execnz .LBB47_566
.LBB47_337:
	s_or_b64 exec, exec, s[10:11]
	v_mov_b32_e32 v6, 0
	s_and_saveexec_b64 s[10:11], s[8:9]
.LBB47_338:
	v_lshrrev_b32_e32 v1, 24, v1
	s_movk_i32 s8, 0x80
	v_and_or_b32 v6, v1, s8, v5
.LBB47_339:
	s_or_b64 exec, exec, s[10:11]
.LBB47_340:
	s_or_b64 exec, exec, s[6:7]
	global_store_byte v[2:3], v6, off
.LBB47_341:
	s_mov_b64 s[6:7], -1
.LBB47_342:
	s_mov_b64 s[8:9], 0
.LBB47_343:
	s_and_b64 vcc, exec, s[8:9]
	s_cbranch_vccz .LBB47_384
; %bb.344:
	s_cmp_gt_i32 s13, 22
	s_mov_b64 s[8:9], -1
	s_cbranch_scc0 .LBB47_376
; %bb.345:
	s_cmp_lt_i32 s13, 24
	s_mov_b64 s[6:7], -1
	s_cbranch_scc1 .LBB47_365
; %bb.346:
	s_cmp_gt_i32 s13, 24
	s_cbranch_scc0 .LBB47_354
; %bb.347:
	v_cvt_f32_i32_sdwa v1, sext(v4) dst_sel:DWORD dst_unused:UNUSED_PAD src0_sel:WORD_0
	s_mov_b32 s6, 0x47800000
	v_mov_b32_e32 v6, 0x80
	v_and_b32_e32 v5, 0x7fffffff, v1
	v_cmp_gt_u32_e32 vcc, s6, v5
	s_and_saveexec_b64 s[6:7], vcc
	s_cbranch_execz .LBB47_353
; %bb.348:
	s_mov_b32 s8, 0x37ffffff
	v_cmp_lt_u32_e32 vcc, s8, v5
	s_mov_b64 s[8:9], 0
                                        ; implicit-def: $vgpr5
	s_and_saveexec_b64 s[10:11], vcc
	s_xor_b64 s[10:11], exec, s[10:11]
	s_cbranch_execz .LBB47_568
; %bb.349:
	v_bfe_u32 v5, v1, 21, 1
	s_mov_b32 s14, 0x88fffff
	v_add3_u32 v5, v1, v5, s14
	s_mov_b64 s[8:9], exec
	v_lshrrev_b32_e32 v5, 21, v5
	s_andn2_saveexec_b64 s[10:11], s[10:11]
	s_cbranch_execnz .LBB47_569
.LBB47_350:
	s_or_b64 exec, exec, s[10:11]
	v_mov_b32_e32 v6, 0
	s_and_saveexec_b64 s[10:11], s[8:9]
.LBB47_351:
	v_lshrrev_b32_e32 v1, 24, v1
	s_movk_i32 s8, 0x80
	v_and_or_b32 v6, v1, s8, v5
.LBB47_352:
	s_or_b64 exec, exec, s[10:11]
.LBB47_353:
	s_or_b64 exec, exec, s[6:7]
	s_mov_b64 s[6:7], 0
	global_store_byte v[2:3], v6, off
.LBB47_354:
	s_and_b64 vcc, exec, s[6:7]
	s_cbranch_vccz .LBB47_364
; %bb.355:
	v_cvt_f32_i32_sdwa v1, sext(v4) dst_sel:DWORD dst_unused:UNUSED_PAD src0_sel:WORD_0
	s_mov_b32 s6, 0x43f00000
                                        ; implicit-def: $vgpr5
	v_and_b32_e32 v6, 0x7fffffff, v1
	v_cmp_gt_u32_e32 vcc, s6, v6
	s_and_saveexec_b64 s[6:7], vcc
	s_xor_b64 s[6:7], exec, s[6:7]
	s_cbranch_execz .LBB47_361
; %bb.356:
	s_mov_b32 s8, 0x3c7fffff
	v_cmp_lt_u32_e32 vcc, s8, v6
                                        ; implicit-def: $vgpr5
	s_and_saveexec_b64 s[8:9], vcc
	s_xor_b64 s[8:9], exec, s[8:9]
; %bb.357:
	v_bfe_u32 v5, v1, 20, 1
	s_mov_b32 s10, 0x407ffff
	v_add3_u32 v5, v1, v5, s10
	v_lshrrev_b32_e32 v6, 20, v5
	v_and_b32_e32 v5, 0xff00000, v5
	s_mov_b32 s10, 0x7f00000
	v_mov_b32_e32 v7, 0x7e
	v_cmp_ne_u32_e32 vcc, s10, v5
	s_nop 1
	v_cndmask_b32_e32 v5, v7, v6, vcc
; %bb.358:
	s_andn2_saveexec_b64 s[8:9], s[8:9]
; %bb.359:
	s_mov_b32 s10, 0x46800000
	v_add_f32_e64 v5, |v1|, s10
; %bb.360:
	s_or_b64 exec, exec, s[8:9]
                                        ; implicit-def: $vgpr6
.LBB47_361:
	s_andn2_saveexec_b64 s[6:7], s[6:7]
; %bb.362:
	s_mov_b32 s8, 0x7f800000
	v_mov_b32_e32 v5, 0x7e
	v_mov_b32_e32 v7, 0x7f
	v_cmp_lt_u32_e32 vcc, s8, v6
	s_nop 1
	v_cndmask_b32_e32 v5, v5, v7, vcc
; %bb.363:
	s_or_b64 exec, exec, s[6:7]
	v_lshrrev_b32_e32 v1, 24, v1
	s_movk_i32 s6, 0x80
	v_and_or_b32 v1, v1, s6, v5
	global_store_byte v[2:3], v1, off
.LBB47_364:
	s_mov_b64 s[6:7], 0
.LBB47_365:
	s_andn2_b64 vcc, exec, s[6:7]
	s_cbranch_vccnz .LBB47_375
; %bb.366:
	v_cvt_f32_i32_sdwa v1, sext(v4) dst_sel:DWORD dst_unused:UNUSED_PAD src0_sel:WORD_0
	s_mov_b32 s6, 0x47800000
                                        ; implicit-def: $vgpr5
	v_and_b32_e32 v6, 0x7fffffff, v1
	v_cmp_gt_u32_e32 vcc, s6, v6
	s_and_saveexec_b64 s[6:7], vcc
	s_xor_b64 s[6:7], exec, s[6:7]
	s_cbranch_execz .LBB47_372
; %bb.367:
	s_mov_b32 s8, 0x387fffff
	v_cmp_lt_u32_e32 vcc, s8, v6
                                        ; implicit-def: $vgpr5
	s_and_saveexec_b64 s[8:9], vcc
	s_xor_b64 s[8:9], exec, s[8:9]
; %bb.368:
	v_bfe_u32 v5, v1, 21, 1
	s_mov_b32 s10, 0x80fffff
	v_add3_u32 v5, v1, v5, s10
	v_lshrrev_b32_e32 v5, 21, v5
; %bb.369:
	s_andn2_saveexec_b64 s[8:9], s[8:9]
; %bb.370:
	s_mov_b32 s10, 0x43000000
	v_add_f32_e64 v5, |v1|, s10
; %bb.371:
	s_or_b64 exec, exec, s[8:9]
                                        ; implicit-def: $vgpr6
.LBB47_372:
	s_andn2_saveexec_b64 s[6:7], s[6:7]
; %bb.373:
	s_mov_b32 s8, 0x7f800000
	v_mov_b32_e32 v5, 0x7c
	v_mov_b32_e32 v7, 0x7f
	v_cmp_lt_u32_e32 vcc, s8, v6
	s_nop 1
	v_cndmask_b32_e32 v5, v5, v7, vcc
; %bb.374:
	s_or_b64 exec, exec, s[6:7]
	v_lshrrev_b32_e32 v1, 24, v1
	s_movk_i32 s6, 0x80
	v_and_or_b32 v1, v1, s6, v5
	global_store_byte v[2:3], v1, off
.LBB47_375:
	s_mov_b64 s[8:9], 0
	s_mov_b64 s[6:7], -1
.LBB47_376:
	s_andn2_b64 vcc, exec, s[8:9]
	s_cbranch_vccnz .LBB47_384
; %bb.377:
	s_cmp_gt_i32 s13, 14
	s_mov_b64 s[8:9], -1
	s_cbranch_scc0 .LBB47_381
; %bb.378:
	s_cmp_eq_u32 s13, 15
	s_mov_b64 s[2:3], -1
	s_cbranch_scc0 .LBB47_380
; %bb.379:
	v_cvt_f32_i32_sdwa v1, sext(v4) dst_sel:DWORD dst_unused:UNUSED_PAD src0_sel:WORD_0
	s_movk_i32 s2, 0x7fff
	s_mov_b64 s[6:7], -1
	v_bfe_u32 v5, v1, 16, 1
	v_add3_u32 v1, v1, v5, s2
	global_store_short_d16_hi v[2:3], v1, off
	s_mov_b64 s[2:3], 0
.LBB47_380:
	s_mov_b64 s[8:9], 0
.LBB47_381:
	s_and_b64 vcc, exec, s[8:9]
	s_cbranch_vccz .LBB47_384
; %bb.382:
	s_cmp_eq_u32 s13, 11
	s_mov_b64 s[2:3], -1
	s_cbranch_scc0 .LBB47_384
; %bb.383:
	v_cmp_ne_u16_e32 vcc, -1, v0
	s_mov_b64 s[6:7], -1
	s_mov_b64 s[2:3], 0
	v_cndmask_b32_e64 v0, 0, 1, vcc
	global_store_byte v[2:3], v0, off
.LBB47_384:
	s_mov_b64 s[8:9], 0
.LBB47_385:
	s_and_b64 vcc, exec, s[8:9]
	s_cbranch_vccz .LBB47_424
; %bb.386:
	s_and_b32 s8, 0xffff, s12
	s_cmp_lt_i32 s8, 5
	s_mov_b64 s[6:7], -1
	s_cbranch_scc1 .LBB47_407
; %bb.387:
	s_cmp_lt_i32 s8, 8
	s_cbranch_scc1 .LBB47_397
; %bb.388:
	s_cmp_lt_i32 s8, 9
	s_cbranch_scc1 .LBB47_394
; %bb.389:
	s_cmp_gt_i32 s8, 9
	s_cbranch_scc0 .LBB47_391
; %bb.390:
	v_bfe_i32 v0, v4, 0, 16
	v_mov_b32_e32 v12, 0
	v_cvt_f64_i32_e32 v[10:11], v0
	v_mov_b32_e32 v13, v12
	s_mov_b64 s[6:7], 0
	global_store_dwordx4 v[2:3], v[10:13], off
.LBB47_391:
	s_andn2_b64 vcc, exec, s[6:7]
	s_cbranch_vccnz .LBB47_393
; %bb.392:
	v_cvt_f32_i32_sdwa v0, sext(v4) dst_sel:DWORD dst_unused:UNUSED_PAD src0_sel:WORD_0
	v_mov_b32_e32 v1, 0
	global_store_dwordx2 v[2:3], v[0:1], off
.LBB47_393:
	s_mov_b64 s[6:7], 0
.LBB47_394:
	s_andn2_b64 vcc, exec, s[6:7]
	s_cbranch_vccnz .LBB47_396
; %bb.395:
	v_cvt_f16_i16_e32 v0, v4
	global_store_dword v[2:3], v0, off
.LBB47_396:
	s_mov_b64 s[6:7], 0
.LBB47_397:
	s_andn2_b64 vcc, exec, s[6:7]
	s_cbranch_vccnz .LBB47_406
; %bb.398:
	s_cmp_lt_i32 s8, 6
	s_mov_b64 s[6:7], -1
	s_cbranch_scc1 .LBB47_404
; %bb.399:
	s_cmp_gt_i32 s8, 6
	s_cbranch_scc0 .LBB47_401
; %bb.400:
	v_bfe_i32 v0, v4, 0, 16
	v_cvt_f64_i32_e32 v[0:1], v0
	s_mov_b64 s[6:7], 0
	global_store_dwordx2 v[2:3], v[0:1], off
.LBB47_401:
	s_andn2_b64 vcc, exec, s[6:7]
	s_cbranch_vccnz .LBB47_403
; %bb.402:
	v_cvt_f32_i32_sdwa v0, sext(v4) dst_sel:DWORD dst_unused:UNUSED_PAD src0_sel:WORD_0
	global_store_dword v[2:3], v0, off
.LBB47_403:
	s_mov_b64 s[6:7], 0
.LBB47_404:
	s_andn2_b64 vcc, exec, s[6:7]
	s_cbranch_vccnz .LBB47_406
; %bb.405:
	v_cvt_f16_i16_e32 v0, v4
	global_store_short v[2:3], v0, off
.LBB47_406:
	s_mov_b64 s[6:7], 0
.LBB47_407:
	s_andn2_b64 vcc, exec, s[6:7]
	s_cbranch_vccnz .LBB47_423
; %bb.408:
	s_cmp_lt_i32 s8, 2
	s_mov_b64 s[6:7], -1
	s_cbranch_scc1 .LBB47_418
; %bb.409:
	s_cmp_lt_i32 s8, 3
	s_cbranch_scc1 .LBB47_415
; %bb.410:
	s_cmp_gt_i32 s8, 3
	v_bfe_i32 v0, v4, 0, 16
	s_cbranch_scc0 .LBB47_412
; %bb.411:
	v_ashrrev_i32_e32 v1, 31, v0
	s_mov_b64 s[6:7], 0
	global_store_dwordx2 v[2:3], v[0:1], off
.LBB47_412:
	s_andn2_b64 vcc, exec, s[6:7]
	s_cbranch_vccnz .LBB47_414
; %bb.413:
	global_store_dword v[2:3], v0, off
.LBB47_414:
	s_mov_b64 s[6:7], 0
.LBB47_415:
	s_andn2_b64 vcc, exec, s[6:7]
	s_cbranch_vccnz .LBB47_417
; %bb.416:
	global_store_short v[2:3], v4, off
.LBB47_417:
	s_mov_b64 s[6:7], 0
.LBB47_418:
	s_andn2_b64 vcc, exec, s[6:7]
	s_cbranch_vccnz .LBB47_423
; %bb.419:
	s_cmp_gt_i32 s8, 0
	s_mov_b64 s[6:7], -1
	s_cbranch_scc0 .LBB47_421
; %bb.420:
	s_mov_b64 s[6:7], 0
	global_store_byte v[2:3], v4, off
.LBB47_421:
	s_andn2_b64 vcc, exec, s[6:7]
	s_cbranch_vccnz .LBB47_423
; %bb.422:
	global_store_byte v[2:3], v4, off
.LBB47_423:
	s_mov_b64 s[6:7], -1
.LBB47_424:
	s_andn2_b64 vcc, exec, s[6:7]
	s_cbranch_vccnz .LBB47_426
; %bb.425:
	v_add_u32_e32 v9, 0x80, v9
	s_mov_b64 s[6:7], -1
	s_branch .LBB47_535
.LBB47_426:
	s_mov_b64 s[6:7], 0
	s_branch .LBB47_534
.LBB47_427:
	s_mov_b64 s[4:5], -1
                                        ; implicit-def: $vgpr0
.LBB47_428:
	s_mov_b64 s[6:7], 0
.LBB47_429:
	s_and_b64 vcc, exec, s[6:7]
	s_cbranch_vccz .LBB47_433
; %bb.430:
	s_cmp_eq_u32 s8, 29
	s_cbranch_scc0 .LBB47_432
; %bb.431:
	global_load_dwordx2 v[0:1], v[4:5], off
	s_mov_b64 s[2:3], -1
	s_mov_b64 s[4:5], 0
	s_branch .LBB47_433
.LBB47_432:
	s_mov_b64 s[4:5], -1
                                        ; implicit-def: $vgpr0
.LBB47_433:
	s_mov_b64 s[6:7], 0
.LBB47_434:
	s_and_b64 vcc, exec, s[6:7]
	s_cbranch_vccz .LBB47_450
; %bb.435:
	s_cmp_lt_i32 s8, 27
	s_cbranch_scc1 .LBB47_438
; %bb.436:
	s_cmp_gt_i32 s8, 27
	s_cbranch_scc0 .LBB47_439
; %bb.437:
	global_load_dword v0, v[4:5], off
	s_mov_b64 s[2:3], 0
	s_branch .LBB47_440
.LBB47_438:
	s_mov_b64 s[2:3], -1
                                        ; implicit-def: $vgpr0
	s_branch .LBB47_443
.LBB47_439:
	s_mov_b64 s[2:3], -1
                                        ; implicit-def: $vgpr0
.LBB47_440:
	s_andn2_b64 vcc, exec, s[2:3]
	s_cbranch_vccnz .LBB47_442
; %bb.441:
	global_load_ushort v0, v[4:5], off
.LBB47_442:
	s_mov_b64 s[2:3], 0
.LBB47_443:
	s_andn2_b64 vcc, exec, s[2:3]
	s_cbranch_vccnz .LBB47_449
; %bb.444:
	global_load_ubyte v1, v[4:5], off
	s_movk_i32 s2, 0x7f
	s_mov_b64 s[6:7], 0
	s_waitcnt vmcnt(0)
	v_cmp_lt_i16_e32 vcc, s2, v1
	s_and_saveexec_b64 s[2:3], vcc
	s_xor_b64 s[2:3], exec, s[2:3]
	s_cbranch_execz .LBB47_461
; %bb.445:
	s_movk_i32 s6, 0x80
	v_cmp_ne_u16_e32 vcc, s6, v1
	s_and_b64 s[6:7], vcc, exec
	s_andn2_saveexec_b64 s[2:3], s[2:3]
	s_cbranch_execnz .LBB47_462
.LBB47_446:
	s_or_b64 exec, exec, s[2:3]
	v_mov_b32_e32 v0, 0
	s_and_saveexec_b64 s[2:3], s[6:7]
	s_cbranch_execz .LBB47_448
.LBB47_447:
	v_lshlrev_b32_e32 v0, 24, v1
	v_and_b32_e32 v1, 0xffff, v1
	v_and_b32_e32 v3, 7, v1
	v_ffbh_u32_e32 v7, v3
	v_min_u32_e32 v7, 32, v7
	v_subrev_u32_e32 v8, 28, v7
	v_bfe_u32 v6, v1, 3, 4
	v_lshlrev_b32_e32 v1, v8, v1
	v_sub_u32_e32 v7, 29, v7
	v_and_b32_e32 v1, 7, v1
	v_cmp_eq_u32_e32 vcc, 0, v6
	v_and_b32_e32 v0, 0x80000000, v0
	s_nop 0
	v_cndmask_b32_e32 v6, v6, v7, vcc
	v_cndmask_b32_e32 v1, v3, v1, vcc
	v_mov_b32_e32 v3, 0x3b800000
	v_lshlrev_b32_e32 v1, 20, v1
	v_lshl_add_u32 v3, v6, 23, v3
	v_or3_b32 v0, v0, v3, v1
	v_cvt_i32_f32_e32 v0, v0
.LBB47_448:
	s_or_b64 exec, exec, s[2:3]
.LBB47_449:
	s_mov_b64 s[2:3], -1
.LBB47_450:
	s_mov_b64 s[6:7], 0
.LBB47_451:
	s_and_b64 vcc, exec, s[6:7]
	s_cbranch_vccz .LBB47_484
; %bb.452:
	s_cmp_gt_i32 s8, 22
	s_cbranch_scc0 .LBB47_460
; %bb.453:
	s_cmp_lt_i32 s8, 24
	s_cbranch_scc1 .LBB47_463
; %bb.454:
	s_cmp_gt_i32 s8, 24
	s_cbranch_scc0 .LBB47_464
; %bb.455:
	global_load_ubyte v1, v[4:5], off
	s_movk_i32 s2, 0x7f
	s_mov_b64 s[6:7], 0
	s_waitcnt vmcnt(0)
	v_cmp_lt_i16_e32 vcc, s2, v1
	s_and_saveexec_b64 s[2:3], vcc
	s_xor_b64 s[2:3], exec, s[2:3]
	s_cbranch_execz .LBB47_476
; %bb.456:
	s_movk_i32 s6, 0x80
	v_cmp_ne_u16_e32 vcc, s6, v1
	s_and_b64 s[6:7], vcc, exec
	s_andn2_saveexec_b64 s[2:3], s[2:3]
	s_cbranch_execnz .LBB47_477
.LBB47_457:
	s_or_b64 exec, exec, s[2:3]
	v_mov_b32_e32 v0, 0
	s_and_saveexec_b64 s[2:3], s[6:7]
	s_cbranch_execz .LBB47_459
.LBB47_458:
	v_lshlrev_b32_e32 v0, 24, v1
	v_and_b32_e32 v1, 0xffff, v1
	v_and_b32_e32 v3, 3, v1
	v_ffbh_u32_e32 v7, v3
	v_min_u32_e32 v7, 32, v7
	v_subrev_u32_e32 v8, 29, v7
	v_bfe_u32 v6, v1, 2, 5
	v_lshlrev_b32_e32 v1, v8, v1
	v_sub_u32_e32 v7, 30, v7
	v_and_b32_e32 v1, 3, v1
	v_cmp_eq_u32_e32 vcc, 0, v6
	v_and_b32_e32 v0, 0x80000000, v0
	s_nop 0
	v_cndmask_b32_e32 v6, v6, v7, vcc
	v_cndmask_b32_e32 v1, v3, v1, vcc
	v_mov_b32_e32 v3, 0x37800000
	v_lshlrev_b32_e32 v1, 21, v1
	v_lshl_add_u32 v3, v6, 23, v3
	v_or3_b32 v0, v0, v3, v1
	v_cvt_i32_f32_e32 v0, v0
.LBB47_459:
	s_or_b64 exec, exec, s[2:3]
	s_mov_b64 s[2:3], 0
	s_branch .LBB47_465
.LBB47_460:
	s_mov_b64 s[6:7], -1
                                        ; implicit-def: $vgpr0
	s_branch .LBB47_471
.LBB47_461:
	s_andn2_saveexec_b64 s[2:3], s[2:3]
	s_cbranch_execz .LBB47_446
.LBB47_462:
	v_cmp_ne_u16_e32 vcc, 0, v1
	s_andn2_b64 s[6:7], s[6:7], exec
	s_and_b64 s[10:11], vcc, exec
	s_or_b64 s[6:7], s[6:7], s[10:11]
	s_or_b64 exec, exec, s[2:3]
	v_mov_b32_e32 v0, 0
	s_and_saveexec_b64 s[2:3], s[6:7]
	s_cbranch_execnz .LBB47_447
	s_branch .LBB47_448
.LBB47_463:
	s_mov_b64 s[2:3], -1
                                        ; implicit-def: $vgpr0
	s_branch .LBB47_468
.LBB47_464:
	s_mov_b64 s[2:3], -1
                                        ; implicit-def: $vgpr0
.LBB47_465:
	s_and_b64 vcc, exec, s[2:3]
	s_cbranch_vccz .LBB47_467
; %bb.466:
	global_load_ubyte v0, v[4:5], off
	s_mov_b32 s2, 0x7f800000
	s_waitcnt vmcnt(0)
	v_lshlrev_b32_e32 v0, 24, v0
	v_and_b32_e32 v1, 0x7f000000, v0
	v_ffbh_u32_e32 v3, v1
	v_min_u32_e32 v3, 32, v3
	v_sub_u32_e64 v3, v3, 4 clamp
	v_lshlrev_b32_e32 v7, v3, v1
	v_lshlrev_b32_e32 v3, 23, v3
	v_lshrrev_b32_e32 v7, 4, v7
	v_add_u32_e32 v6, 0x1000000, v1
	v_sub_u32_e32 v3, v7, v3
	v_ashrrev_i32_e32 v6, 8, v6
	v_add_u32_e32 v3, 0x3c000000, v3
	v_and_or_b32 v3, v6, s2, v3
	v_cmp_ne_u32_e32 vcc, 0, v1
	s_brev_b32 s2, 1
	s_nop 0
	v_cndmask_b32_e32 v1, 0, v3, vcc
	v_and_or_b32 v0, v0, s2, v1
	v_cvt_i32_f32_e32 v0, v0
.LBB47_467:
	s_mov_b64 s[2:3], 0
.LBB47_468:
	s_andn2_b64 vcc, exec, s[2:3]
	s_cbranch_vccnz .LBB47_470
; %bb.469:
	global_load_ubyte v0, v[4:5], off
	s_movk_i32 s2, 0x7f00
	s_brev_b32 s3, 16
	s_waitcnt vmcnt(0)
	v_lshlrev_b16_e32 v1, 8, v0
	v_lshlrev_b32_e32 v0, 25, v0
	v_lshrrev_b32_e32 v3, 4, v0
	v_and_or_b32 v6, v1, s2, 0.5
	v_or_b32_e32 v3, 0x70000000, v3
	v_add_f32_e32 v6, -0.5, v6
	v_mul_f32_e32 v3, 0x7800000, v3
	v_cmp_gt_u32_e32 vcc, s3, v0
	v_bfe_i32 v1, v1, 0, 16
	s_brev_b32 s2, 1
	v_cndmask_b32_e32 v0, v3, v6, vcc
	v_and_or_b32 v0, v1, s2, v0
	v_cvt_i32_f32_e32 v0, v0
.LBB47_470:
	s_mov_b64 s[6:7], 0
	s_mov_b64 s[2:3], -1
.LBB47_471:
	s_andn2_b64 vcc, exec, s[6:7]
	s_cbranch_vccnz .LBB47_484
; %bb.472:
	s_cmp_gt_i32 s8, 14
	s_cbranch_scc0 .LBB47_475
; %bb.473:
	s_cmp_eq_u32 s8, 15
	s_cbranch_scc0 .LBB47_478
; %bb.474:
	global_load_ushort v0, v[4:5], off
	s_mov_b64 s[2:3], -1
	s_mov_b64 s[4:5], 0
	s_waitcnt vmcnt(0)
	v_lshlrev_b32_e32 v0, 16, v0
	v_cvt_i32_f32_e32 v0, v0
	s_branch .LBB47_479
.LBB47_475:
	s_mov_b64 s[6:7], -1
                                        ; implicit-def: $vgpr0
	s_branch .LBB47_480
.LBB47_476:
	s_andn2_saveexec_b64 s[2:3], s[2:3]
	s_cbranch_execz .LBB47_457
.LBB47_477:
	v_cmp_ne_u16_e32 vcc, 0, v1
	s_andn2_b64 s[6:7], s[6:7], exec
	s_and_b64 s[10:11], vcc, exec
	s_or_b64 s[6:7], s[6:7], s[10:11]
	s_or_b64 exec, exec, s[2:3]
	v_mov_b32_e32 v0, 0
	s_and_saveexec_b64 s[2:3], s[6:7]
	s_cbranch_execnz .LBB47_458
	s_branch .LBB47_459
.LBB47_478:
	s_mov_b64 s[4:5], -1
                                        ; implicit-def: $vgpr0
.LBB47_479:
	s_mov_b64 s[6:7], 0
.LBB47_480:
	s_and_b64 vcc, exec, s[6:7]
	s_cbranch_vccz .LBB47_484
; %bb.481:
	s_cmp_eq_u32 s8, 11
	s_cbranch_scc0 .LBB47_483
; %bb.482:
	global_load_ubyte v0, v[4:5], off
	s_mov_b64 s[2:3], -1
	s_mov_b64 s[4:5], 0
	s_waitcnt vmcnt(0)
	v_cmp_ne_u16_e32 vcc, 0, v0
	s_nop 1
	v_cndmask_b32_e64 v0, 0, 1, vcc
	s_branch .LBB47_484
.LBB47_483:
	s_mov_b64 s[4:5], -1
                                        ; implicit-def: $vgpr0
.LBB47_484:
	s_branch .LBB47_291
.LBB47_485:
	s_cmp_lt_i32 s8, 5
	s_cbranch_scc1 .LBB47_490
; %bb.486:
	s_cmp_lt_i32 s8, 8
	s_cbranch_scc1 .LBB47_491
; %bb.487:
	;; [unrolled: 3-line block ×3, first 2 shown]
	s_cmp_gt_i32 s8, 9
	s_cbranch_scc0 .LBB47_493
; %bb.489:
	global_load_dwordx2 v[0:1], v[4:5], off
	s_mov_b64 s[2:3], 0
	s_waitcnt vmcnt(0)
	v_cvt_i32_f64_e32 v0, v[0:1]
	s_branch .LBB47_494
.LBB47_490:
	s_mov_b64 s[2:3], -1
                                        ; implicit-def: $vgpr0
	s_branch .LBB47_512
.LBB47_491:
	s_mov_b64 s[2:3], -1
                                        ; implicit-def: $vgpr0
	s_branch .LBB47_500
.LBB47_492:
	s_mov_b64 s[2:3], -1
                                        ; implicit-def: $vgpr0
	s_branch .LBB47_497
.LBB47_493:
	s_mov_b64 s[2:3], -1
                                        ; implicit-def: $vgpr0
.LBB47_494:
	s_andn2_b64 vcc, exec, s[2:3]
	s_cbranch_vccnz .LBB47_496
; %bb.495:
	global_load_dword v0, v[4:5], off
	s_waitcnt vmcnt(0)
	v_cvt_i32_f32_e32 v0, v0
.LBB47_496:
	s_mov_b64 s[2:3], 0
.LBB47_497:
	s_andn2_b64 vcc, exec, s[2:3]
	s_cbranch_vccnz .LBB47_499
; %bb.498:
	global_load_dword v0, v[4:5], off
	s_waitcnt vmcnt(0)
	v_cvt_i16_f16_e32 v0, v0
.LBB47_499:
	s_mov_b64 s[2:3], 0
.LBB47_500:
	s_andn2_b64 vcc, exec, s[2:3]
	s_cbranch_vccnz .LBB47_511
; %bb.501:
	s_cmp_lt_i32 s8, 6
	s_cbranch_scc1 .LBB47_504
; %bb.502:
	s_cmp_gt_i32 s8, 6
	s_cbranch_scc0 .LBB47_505
; %bb.503:
	global_load_dwordx2 v[0:1], v[4:5], off
	s_mov_b64 s[2:3], 0
	s_waitcnt vmcnt(0)
	v_cvt_i32_f64_e32 v0, v[0:1]
	s_branch .LBB47_506
.LBB47_504:
	s_mov_b64 s[2:3], -1
                                        ; implicit-def: $vgpr0
	s_branch .LBB47_509
.LBB47_505:
	s_mov_b64 s[2:3], -1
                                        ; implicit-def: $vgpr0
.LBB47_506:
	s_andn2_b64 vcc, exec, s[2:3]
	s_cbranch_vccnz .LBB47_508
; %bb.507:
	global_load_dword v0, v[4:5], off
	s_waitcnt vmcnt(0)
	v_cvt_i32_f32_e32 v0, v0
.LBB47_508:
	s_mov_b64 s[2:3], 0
.LBB47_509:
	s_andn2_b64 vcc, exec, s[2:3]
	s_cbranch_vccnz .LBB47_511
; %bb.510:
	global_load_ushort v0, v[4:5], off
	s_waitcnt vmcnt(0)
	v_cvt_i16_f16_e32 v0, v0
.LBB47_511:
	s_mov_b64 s[2:3], 0
.LBB47_512:
	s_andn2_b64 vcc, exec, s[2:3]
	s_cbranch_vccnz .LBB47_532
; %bb.513:
	s_cmp_lt_i32 s8, 2
	s_cbranch_scc1 .LBB47_517
; %bb.514:
	s_cmp_lt_i32 s8, 3
	s_cbranch_scc1 .LBB47_518
; %bb.515:
	s_cmp_gt_i32 s8, 3
	s_cbranch_scc0 .LBB47_519
; %bb.516:
	global_load_dwordx2 v[0:1], v[4:5], off
	s_mov_b64 s[2:3], 0
	s_branch .LBB47_520
.LBB47_517:
	s_mov_b64 s[2:3], -1
                                        ; implicit-def: $vgpr0
	s_branch .LBB47_526
.LBB47_518:
	s_mov_b64 s[2:3], -1
                                        ; implicit-def: $vgpr0
	s_branch .LBB47_523
.LBB47_519:
	s_mov_b64 s[2:3], -1
                                        ; implicit-def: $vgpr0
.LBB47_520:
	s_andn2_b64 vcc, exec, s[2:3]
	s_cbranch_vccnz .LBB47_522
; %bb.521:
	global_load_dword v0, v[4:5], off
.LBB47_522:
	s_mov_b64 s[2:3], 0
.LBB47_523:
	s_andn2_b64 vcc, exec, s[2:3]
	s_cbranch_vccnz .LBB47_525
; %bb.524:
	global_load_ushort v0, v[4:5], off
.LBB47_525:
	s_mov_b64 s[2:3], 0
.LBB47_526:
	s_andn2_b64 vcc, exec, s[2:3]
	s_cbranch_vccnz .LBB47_532
; %bb.527:
	s_cmp_gt_i32 s8, 0
	s_cbranch_scc0 .LBB47_529
; %bb.528:
	global_load_sbyte v0, v[4:5], off
	s_mov_b64 s[2:3], 0
	s_branch .LBB47_530
.LBB47_529:
	s_mov_b64 s[2:3], -1
                                        ; implicit-def: $vgpr0
.LBB47_530:
	s_andn2_b64 vcc, exec, s[2:3]
	s_cbranch_vccnz .LBB47_532
; %bb.531:
	global_load_ubyte v0, v[4:5], off
.LBB47_532:
	s_branch .LBB47_292
.LBB47_533:
	s_mov_b64 s[6:7], 0
	s_mov_b64 s[2:3], s[54:55]
.LBB47_534:
                                        ; implicit-def: $vgpr9
.LBB47_535:
	s_andn2_b64 s[8:9], s[54:55], exec
	s_and_b64 s[2:3], s[2:3], exec
	s_or_b64 s[62:63], s[8:9], s[2:3]
	s_andn2_b64 s[2:3], s[56:57], exec
	s_and_b64 s[4:5], s[4:5], exec
	s_or_b64 s[60:61], s[2:3], s[4:5]
	s_orn2_b64 s[2:3], s[6:7], exec
.LBB47_536:
	s_or_b64 exec, exec, s[64:65]
	s_mov_b64 s[4:5], 0
	s_mov_b64 s[6:7], 0
	;; [unrolled: 1-line block ×3, first 2 shown]
                                        ; implicit-def: $vgpr4_vgpr5
                                        ; implicit-def: $vgpr2
                                        ; implicit-def: $vgpr0
	s_and_saveexec_b64 s[64:65], s[2:3]
	s_cbranch_execz .LBB47_905
; %bb.537:
	v_cmp_gt_i32_e32 vcc, s70, v9
	s_mov_b64 s[6:7], -1
	s_mov_b64 s[2:3], s[60:61]
	s_mov_b64 s[68:69], s[62:63]
	s_and_saveexec_b64 s[66:67], vcc
	s_cbranch_execz .LBB47_808
; %bb.538:
	s_andn2_b64 vcc, exec, s[42:43]
	s_cbranch_vccnz .LBB47_544
; %bb.539:
	s_andn2_b64 vcc, exec, s[52:53]
	s_cbranch_vccnz .LBB47_545
; %bb.540:
	s_add_i32 s76, s75, 1
	s_cmp_eq_u32 s72, 2
	s_cbranch_scc1 .LBB47_546
; %bb.541:
	s_and_b32 s71, s76, 28
	s_mov_b32 s77, 0
	v_mov_b32_e32 v2, 0
	s_waitcnt vmcnt(0)
	v_mov_b32_e32 v0, 0
	s_mov_b64 s[2:3], s[34:35]
	s_mov_b64 s[68:69], s[50:51]
	v_mov_b32_e32 v4, v9
.LBB47_542:                             ; =>This Inner Loop Header: Depth=1
	s_load_dwordx8 s[12:19], s[2:3], 0x4
	s_load_dwordx4 s[36:39], s[2:3], 0x24
	s_load_dwordx8 s[4:11], s[68:69], 0x0
	s_add_u32 s2, s2, 48
	s_addc_u32 s3, s3, 0
	s_waitcnt lgkmcnt(0)
	v_mul_hi_u32 v1, s13, v4
	v_add_u32_e32 v1, v4, v1
	v_lshrrev_b32_e32 v1, s14, v1
	v_mul_lo_u32 v3, v1, s12
	v_mul_hi_u32 v5, s16, v1
	v_sub_u32_e32 v3, v4, v3
	v_add_u32_e32 v4, v1, v5
	v_lshrrev_b32_e32 v4, s17, v4
	v_mul_lo_u32 v6, v4, s15
	v_mul_hi_u32 v7, s19, v4
	v_sub_u32_e32 v1, v1, v6
	v_add_u32_e32 v6, v4, v7
	v_mul_lo_u32 v5, v3, s5
	v_mul_lo_u32 v3, v3, s4
	;; [unrolled: 1-line block ×4, first 2 shown]
	v_lshrrev_b32_e32 v6, s36, v6
	v_add3_u32 v1, v3, v2, v1
	v_mul_hi_u32 v3, s38, v6
	v_mul_lo_u32 v2, v6, s18
	v_add_u32_e32 v3, v6, v3
	v_sub_u32_e32 v2, v4, v2
	v_lshrrev_b32_e32 v4, s39, v3
	s_add_i32 s77, s77, 4
	v_mul_lo_u32 v3, v4, s37
	s_add_u32 s68, s68, 32
	v_sub_u32_e32 v3, v6, v3
	s_addc_u32 s69, s69, 0
	v_add3_u32 v0, v5, v0, v7
	v_mul_lo_u32 v5, v2, s8
	v_mul_lo_u32 v2, v2, s9
	;; [unrolled: 1-line block ×4, first 2 shown]
	s_cmp_eq_u32 s71, s77
	v_add3_u32 v0, v2, v0, v3
	v_add3_u32 v2, v5, v1, v6
	s_cbranch_scc0 .LBB47_542
; %bb.543:
	v_mov_b32_e32 v1, v0
	s_branch .LBB47_547
.LBB47_544:
	s_mov_b64 s[2:3], -1
                                        ; implicit-def: $vgpr0
                                        ; implicit-def: $vgpr2
	s_branch .LBB47_551
.LBB47_545:
	s_waitcnt vmcnt(0)
	v_mov_b32_e32 v0, 0
	v_mov_b32_e32 v2, 0
	s_branch .LBB47_550
.LBB47_546:
	v_mov_b32_e32 v2, 0
	s_mov_b32 s71, 0
	s_waitcnt vmcnt(0)
	v_mov_b32_e32 v1, v2
                                        ; implicit-def: $vgpr0
	v_mov_b32_e32 v4, v9
.LBB47_547:
	s_and_b32 s6, s76, 3
	s_cmp_eq_u32 s6, 0
	s_cbranch_scc1 .LBB47_550
; %bb.548:
	s_lshl_b32 s2, s71, 3
	s_add_u32 s2, s34, s2
	s_addc_u32 s3, s35, 0
	s_add_u32 s2, s2, 0xc4
	s_addc_u32 s3, s3, 0
	s_mul_i32 s4, s71, 12
	s_add_u32 s4, s34, s4
	s_addc_u32 s5, s35, 0
.LBB47_549:                             ; =>This Inner Loop Header: Depth=1
	s_load_dwordx2 s[8:9], s[4:5], 0x4
	s_load_dword s7, s[4:5], 0xc
	s_load_dwordx2 s[10:11], s[2:3], 0x0
	v_mov_b32_e32 v0, v1
	s_add_u32 s4, s4, 12
	s_waitcnt lgkmcnt(0)
	v_mul_hi_u32 v1, s9, v4
	v_add_u32_e32 v1, v4, v1
	v_lshrrev_b32_e32 v1, s7, v1
	s_addc_u32 s5, s5, 0
	v_mul_lo_u32 v3, v1, s8
	s_add_u32 s2, s2, 8
	v_sub_u32_e32 v3, v4, v3
	s_addc_u32 s3, s3, 0
	s_add_i32 s6, s6, -1
	v_mov_b32_e32 v4, v1
	v_mad_u64_u32 v[0:1], s[8:9], v3, s11, v[0:1]
	s_cmp_lg_u32 s6, 0
	v_mad_u64_u32 v[2:3], s[8:9], v3, s10, v[2:3]
	v_mov_b32_e32 v1, v0
	s_cbranch_scc1 .LBB47_549
.LBB47_550:
	s_mov_b64 s[2:3], 0
.LBB47_551:
	s_andn2_b64 vcc, exec, s[2:3]
	s_cbranch_vccnz .LBB47_554
; %bb.552:
	s_waitcnt vmcnt(0) lgkmcnt(0)
	v_mul_hi_u32 v0, s29, v9
	v_add_u32_e32 v0, v9, v0
	v_lshrrev_b32_e32 v1, s30, v0
	v_mul_lo_u32 v0, v1, s28
	v_sub_u32_e32 v2, v9, v0
	v_mul_lo_u32 v0, v2, s25
	s_andn2_b64 vcc, exec, s[48:49]
	v_mul_lo_u32 v2, v2, s24
	s_cbranch_vccnz .LBB47_554
; %bb.553:
	v_mul_hi_u32 v3, s46, v1
	v_add_u32_e32 v3, v1, v3
	v_lshrrev_b32_e32 v3, s47, v3
	v_mul_lo_u32 v3, v3, s31
	v_sub_u32_e32 v1, v1, v3
	v_mad_u64_u32 v[2:3], s[2:3], v1, s26, v[2:3]
	v_mad_u64_u32 v[0:1], s[2:3], v1, s27, v[0:1]
.LBB47_554:
	s_waitcnt vmcnt(0)
	v_mov_b32_e32 v1, 0
	s_and_b32 s8, 0xffff, s74
	s_cmp_lt_i32 s8, 11
	s_waitcnt lgkmcnt(0)
	v_lshl_add_u64 v[4:5], s[22:23], 0, v[0:1]
	s_cbranch_scc1 .LBB47_561
; %bb.555:
	s_cmp_gt_i32 s8, 25
	s_cbranch_scc0 .LBB47_562
; %bb.556:
	s_cmp_gt_i32 s8, 28
	s_cbranch_scc0 .LBB47_563
	;; [unrolled: 3-line block ×4, first 2 shown]
; %bb.559:
	s_cmp_eq_u32 s8, 46
	s_mov_b64 s[6:7], 0
	s_cbranch_scc0 .LBB47_570
; %bb.560:
	global_load_dword v0, v[4:5], off
	s_mov_b64 s[2:3], -1
	s_mov_b64 s[4:5], 0
	s_waitcnt vmcnt(0)
	v_lshlrev_b32_e32 v0, 16, v0
	v_cvt_i32_f32_e32 v0, v0
	s_branch .LBB47_571
.LBB47_561:
	s_mov_b64 s[6:7], -1
	s_mov_b64 s[2:3], 0
                                        ; implicit-def: $vgpr0
	s_mov_b64 s[4:5], s[60:61]
	s_branch .LBB47_632
.LBB47_562:
	s_mov_b64 s[6:7], -1
	s_mov_b64 s[2:3], 0
	s_mov_b64 s[4:5], s[60:61]
                                        ; implicit-def: $vgpr0
	s_branch .LBB47_598
.LBB47_563:
	s_mov_b64 s[6:7], -1
	s_mov_b64 s[2:3], 0
	s_mov_b64 s[4:5], s[60:61]
                                        ; implicit-def: $vgpr0
	s_branch .LBB47_581
.LBB47_564:
	s_mov_b64 s[6:7], -1
	s_mov_b64 s[2:3], 0
	s_mov_b64 s[4:5], s[60:61]
                                        ; implicit-def: $vgpr0
	s_branch .LBB47_576
.LBB47_565:
	s_andn2_saveexec_b64 s[10:11], s[10:11]
	s_cbranch_execz .LBB47_337
.LBB47_566:
	s_mov_b32 s14, 0x46000000
	v_add_f32_e64 v5, |v1|, s14
	v_and_b32_e32 v5, 0xff, v5
	v_cmp_ne_u32_e32 vcc, 0, v5
	s_andn2_b64 s[8:9], s[8:9], exec
	s_and_b64 s[14:15], vcc, exec
	s_or_b64 s[8:9], s[8:9], s[14:15]
	s_or_b64 exec, exec, s[10:11]
	v_mov_b32_e32 v6, 0
	s_and_saveexec_b64 s[10:11], s[8:9]
	s_cbranch_execnz .LBB47_338
	s_branch .LBB47_339
.LBB47_567:
	s_mov_b64 s[6:7], -1
	s_mov_b64 s[2:3], 0
	s_mov_b64 s[4:5], s[60:61]
                                        ; implicit-def: $vgpr0
	s_branch .LBB47_571
.LBB47_568:
	s_andn2_saveexec_b64 s[10:11], s[10:11]
	s_cbranch_execz .LBB47_350
.LBB47_569:
	s_mov_b32 s14, 0x42800000
	v_add_f32_e64 v5, |v1|, s14
	v_and_b32_e32 v5, 0xff, v5
	v_cmp_ne_u32_e32 vcc, 0, v5
	s_andn2_b64 s[8:9], s[8:9], exec
	s_and_b64 s[14:15], vcc, exec
	s_or_b64 s[8:9], s[8:9], s[14:15]
	s_or_b64 exec, exec, s[10:11]
	v_mov_b32_e32 v6, 0
	s_and_saveexec_b64 s[10:11], s[8:9]
	s_cbranch_execnz .LBB47_351
	s_branch .LBB47_352
.LBB47_570:
	s_mov_b64 s[4:5], -1
                                        ; implicit-def: $vgpr0
	s_mov_b64 s[2:3], 0
.LBB47_571:
	s_and_b64 vcc, exec, s[6:7]
	s_cbranch_vccz .LBB47_575
; %bb.572:
	s_cmp_eq_u32 s8, 44
	s_cbranch_scc0 .LBB47_574
; %bb.573:
	global_load_ubyte v0, v[4:5], off
	s_mov_b64 s[2:3], -1
	s_mov_b64 s[4:5], 0
	s_waitcnt vmcnt(0)
	v_lshlrev_b32_e32 v1, 23, v0
	v_cvt_i32_f32_e32 v1, v1
	v_cmp_ne_u32_e32 vcc, 0, v0
	s_nop 1
	v_cndmask_b32_e32 v0, 0, v1, vcc
	s_branch .LBB47_575
.LBB47_574:
	s_mov_b64 s[4:5], -1
                                        ; implicit-def: $vgpr0
.LBB47_575:
	s_mov_b64 s[6:7], 0
.LBB47_576:
	s_and_b64 vcc, exec, s[6:7]
	s_cbranch_vccz .LBB47_580
; %bb.577:
	s_cmp_eq_u32 s8, 29
	s_cbranch_scc0 .LBB47_579
; %bb.578:
	global_load_dwordx2 v[0:1], v[4:5], off
	s_mov_b64 s[2:3], -1
	s_mov_b64 s[4:5], 0
	s_branch .LBB47_580
.LBB47_579:
	s_mov_b64 s[4:5], -1
                                        ; implicit-def: $vgpr0
.LBB47_580:
	s_mov_b64 s[6:7], 0
.LBB47_581:
	s_and_b64 vcc, exec, s[6:7]
	s_cbranch_vccz .LBB47_597
; %bb.582:
	s_cmp_lt_i32 s8, 27
	s_cbranch_scc1 .LBB47_585
; %bb.583:
	s_cmp_gt_i32 s8, 27
	s_cbranch_scc0 .LBB47_586
; %bb.584:
	global_load_dword v0, v[4:5], off
	s_mov_b64 s[2:3], 0
	s_branch .LBB47_587
.LBB47_585:
	s_mov_b64 s[2:3], -1
                                        ; implicit-def: $vgpr0
	s_branch .LBB47_590
.LBB47_586:
	s_mov_b64 s[2:3], -1
                                        ; implicit-def: $vgpr0
.LBB47_587:
	s_andn2_b64 vcc, exec, s[2:3]
	s_cbranch_vccnz .LBB47_589
; %bb.588:
	global_load_ushort v0, v[4:5], off
.LBB47_589:
	s_mov_b64 s[2:3], 0
.LBB47_590:
	s_andn2_b64 vcc, exec, s[2:3]
	s_cbranch_vccnz .LBB47_596
; %bb.591:
	global_load_ubyte v1, v[4:5], off
	s_movk_i32 s2, 0x7f
	s_mov_b64 s[6:7], 0
	s_waitcnt vmcnt(0)
	v_cmp_lt_i16_e32 vcc, s2, v1
	s_and_saveexec_b64 s[2:3], vcc
	s_xor_b64 s[2:3], exec, s[2:3]
	s_cbranch_execz .LBB47_608
; %bb.592:
	s_movk_i32 s6, 0x80
	v_cmp_ne_u16_e32 vcc, s6, v1
	s_and_b64 s[6:7], vcc, exec
	s_andn2_saveexec_b64 s[2:3], s[2:3]
	s_cbranch_execnz .LBB47_609
.LBB47_593:
	s_or_b64 exec, exec, s[2:3]
	v_mov_b32_e32 v0, 0
	s_and_saveexec_b64 s[2:3], s[6:7]
	s_cbranch_execz .LBB47_595
.LBB47_594:
	v_lshlrev_b32_e32 v0, 24, v1
	v_and_b32_e32 v1, 0xffff, v1
	v_and_b32_e32 v3, 7, v1
	v_ffbh_u32_e32 v7, v3
	v_min_u32_e32 v7, 32, v7
	v_subrev_u32_e32 v8, 28, v7
	v_bfe_u32 v6, v1, 3, 4
	v_lshlrev_b32_e32 v1, v8, v1
	v_sub_u32_e32 v7, 29, v7
	v_and_b32_e32 v1, 7, v1
	v_cmp_eq_u32_e32 vcc, 0, v6
	v_and_b32_e32 v0, 0x80000000, v0
	s_nop 0
	v_cndmask_b32_e32 v6, v6, v7, vcc
	v_cndmask_b32_e32 v1, v3, v1, vcc
	v_mov_b32_e32 v3, 0x3b800000
	v_lshlrev_b32_e32 v1, 20, v1
	v_lshl_add_u32 v3, v6, 23, v3
	v_or3_b32 v0, v0, v3, v1
	v_cvt_i32_f32_e32 v0, v0
.LBB47_595:
	s_or_b64 exec, exec, s[2:3]
.LBB47_596:
	s_mov_b64 s[2:3], -1
.LBB47_597:
	s_mov_b64 s[6:7], 0
.LBB47_598:
	s_and_b64 vcc, exec, s[6:7]
	s_cbranch_vccz .LBB47_631
; %bb.599:
	s_cmp_gt_i32 s8, 22
	s_cbranch_scc0 .LBB47_607
; %bb.600:
	s_cmp_lt_i32 s8, 24
	s_cbranch_scc1 .LBB47_610
; %bb.601:
	s_cmp_gt_i32 s8, 24
	s_cbranch_scc0 .LBB47_611
; %bb.602:
	global_load_ubyte v1, v[4:5], off
	s_movk_i32 s2, 0x7f
	s_mov_b64 s[6:7], 0
	s_waitcnt vmcnt(0)
	v_cmp_lt_i16_e32 vcc, s2, v1
	s_and_saveexec_b64 s[2:3], vcc
	s_xor_b64 s[2:3], exec, s[2:3]
	s_cbranch_execz .LBB47_623
; %bb.603:
	s_movk_i32 s6, 0x80
	v_cmp_ne_u16_e32 vcc, s6, v1
	s_and_b64 s[6:7], vcc, exec
	s_andn2_saveexec_b64 s[2:3], s[2:3]
	s_cbranch_execnz .LBB47_624
.LBB47_604:
	s_or_b64 exec, exec, s[2:3]
	v_mov_b32_e32 v0, 0
	s_and_saveexec_b64 s[2:3], s[6:7]
	s_cbranch_execz .LBB47_606
.LBB47_605:
	v_lshlrev_b32_e32 v0, 24, v1
	v_and_b32_e32 v1, 0xffff, v1
	v_and_b32_e32 v3, 3, v1
	v_ffbh_u32_e32 v7, v3
	v_min_u32_e32 v7, 32, v7
	v_subrev_u32_e32 v8, 29, v7
	v_bfe_u32 v6, v1, 2, 5
	v_lshlrev_b32_e32 v1, v8, v1
	v_sub_u32_e32 v7, 30, v7
	v_and_b32_e32 v1, 3, v1
	v_cmp_eq_u32_e32 vcc, 0, v6
	v_and_b32_e32 v0, 0x80000000, v0
	s_nop 0
	v_cndmask_b32_e32 v6, v6, v7, vcc
	v_cndmask_b32_e32 v1, v3, v1, vcc
	v_mov_b32_e32 v3, 0x37800000
	v_lshlrev_b32_e32 v1, 21, v1
	v_lshl_add_u32 v3, v6, 23, v3
	v_or3_b32 v0, v0, v3, v1
	v_cvt_i32_f32_e32 v0, v0
.LBB47_606:
	s_or_b64 exec, exec, s[2:3]
	s_mov_b64 s[2:3], 0
	s_branch .LBB47_612
.LBB47_607:
	s_mov_b64 s[6:7], -1
                                        ; implicit-def: $vgpr0
	s_branch .LBB47_618
.LBB47_608:
	s_andn2_saveexec_b64 s[2:3], s[2:3]
	s_cbranch_execz .LBB47_593
.LBB47_609:
	v_cmp_ne_u16_e32 vcc, 0, v1
	s_andn2_b64 s[6:7], s[6:7], exec
	s_and_b64 s[10:11], vcc, exec
	s_or_b64 s[6:7], s[6:7], s[10:11]
	s_or_b64 exec, exec, s[2:3]
	v_mov_b32_e32 v0, 0
	s_and_saveexec_b64 s[2:3], s[6:7]
	s_cbranch_execnz .LBB47_594
	s_branch .LBB47_595
.LBB47_610:
	s_mov_b64 s[2:3], -1
                                        ; implicit-def: $vgpr0
	s_branch .LBB47_615
.LBB47_611:
	s_mov_b64 s[2:3], -1
                                        ; implicit-def: $vgpr0
.LBB47_612:
	s_and_b64 vcc, exec, s[2:3]
	s_cbranch_vccz .LBB47_614
; %bb.613:
	global_load_ubyte v0, v[4:5], off
	s_mov_b32 s2, 0x7f800000
	s_waitcnt vmcnt(0)
	v_lshlrev_b32_e32 v0, 24, v0
	v_and_b32_e32 v1, 0x7f000000, v0
	v_ffbh_u32_e32 v3, v1
	v_min_u32_e32 v3, 32, v3
	v_sub_u32_e64 v3, v3, 4 clamp
	v_lshlrev_b32_e32 v7, v3, v1
	v_lshlrev_b32_e32 v3, 23, v3
	v_lshrrev_b32_e32 v7, 4, v7
	v_add_u32_e32 v6, 0x1000000, v1
	v_sub_u32_e32 v3, v7, v3
	v_ashrrev_i32_e32 v6, 8, v6
	v_add_u32_e32 v3, 0x3c000000, v3
	v_and_or_b32 v3, v6, s2, v3
	v_cmp_ne_u32_e32 vcc, 0, v1
	s_brev_b32 s2, 1
	s_nop 0
	v_cndmask_b32_e32 v1, 0, v3, vcc
	v_and_or_b32 v0, v0, s2, v1
	v_cvt_i32_f32_e32 v0, v0
.LBB47_614:
	s_mov_b64 s[2:3], 0
.LBB47_615:
	s_andn2_b64 vcc, exec, s[2:3]
	s_cbranch_vccnz .LBB47_617
; %bb.616:
	global_load_ubyte v0, v[4:5], off
	s_movk_i32 s2, 0x7f00
	s_brev_b32 s3, 16
	s_waitcnt vmcnt(0)
	v_lshlrev_b16_e32 v1, 8, v0
	v_lshlrev_b32_e32 v0, 25, v0
	v_lshrrev_b32_e32 v3, 4, v0
	v_and_or_b32 v6, v1, s2, 0.5
	v_or_b32_e32 v3, 0x70000000, v3
	v_add_f32_e32 v6, -0.5, v6
	v_mul_f32_e32 v3, 0x7800000, v3
	v_cmp_gt_u32_e32 vcc, s3, v0
	v_bfe_i32 v1, v1, 0, 16
	s_brev_b32 s2, 1
	v_cndmask_b32_e32 v0, v3, v6, vcc
	v_and_or_b32 v0, v1, s2, v0
	v_cvt_i32_f32_e32 v0, v0
.LBB47_617:
	s_mov_b64 s[6:7], 0
	s_mov_b64 s[2:3], -1
.LBB47_618:
	s_andn2_b64 vcc, exec, s[6:7]
	s_cbranch_vccnz .LBB47_631
; %bb.619:
	s_cmp_gt_i32 s8, 14
	s_cbranch_scc0 .LBB47_622
; %bb.620:
	s_cmp_eq_u32 s8, 15
	s_cbranch_scc0 .LBB47_625
; %bb.621:
	global_load_ushort v0, v[4:5], off
	s_mov_b64 s[2:3], -1
	s_mov_b64 s[4:5], 0
	s_waitcnt vmcnt(0)
	v_lshlrev_b32_e32 v0, 16, v0
	v_cvt_i32_f32_e32 v0, v0
	s_branch .LBB47_626
.LBB47_622:
	s_mov_b64 s[6:7], -1
                                        ; implicit-def: $vgpr0
	s_branch .LBB47_627
.LBB47_623:
	s_andn2_saveexec_b64 s[2:3], s[2:3]
	s_cbranch_execz .LBB47_604
.LBB47_624:
	v_cmp_ne_u16_e32 vcc, 0, v1
	s_andn2_b64 s[6:7], s[6:7], exec
	s_and_b64 s[10:11], vcc, exec
	s_or_b64 s[6:7], s[6:7], s[10:11]
	s_or_b64 exec, exec, s[2:3]
	v_mov_b32_e32 v0, 0
	s_and_saveexec_b64 s[2:3], s[6:7]
	s_cbranch_execnz .LBB47_605
	s_branch .LBB47_606
.LBB47_625:
	s_mov_b64 s[4:5], -1
                                        ; implicit-def: $vgpr0
.LBB47_626:
	s_mov_b64 s[6:7], 0
.LBB47_627:
	s_and_b64 vcc, exec, s[6:7]
	s_cbranch_vccz .LBB47_631
; %bb.628:
	s_cmp_eq_u32 s8, 11
	s_cbranch_scc0 .LBB47_630
; %bb.629:
	global_load_ubyte v0, v[4:5], off
	s_mov_b64 s[2:3], -1
	s_mov_b64 s[4:5], 0
	s_waitcnt vmcnt(0)
	v_cmp_ne_u16_e32 vcc, 0, v0
	s_nop 1
	v_cndmask_b32_e64 v0, 0, 1, vcc
	s_branch .LBB47_631
.LBB47_630:
	s_mov_b64 s[4:5], -1
                                        ; implicit-def: $vgpr0
.LBB47_631:
	s_mov_b64 s[6:7], 0
.LBB47_632:
	s_and_b64 vcc, exec, s[6:7]
	s_cbranch_vccz .LBB47_681
; %bb.633:
	s_cmp_lt_i32 s8, 5
	s_cbranch_scc1 .LBB47_638
; %bb.634:
	s_cmp_lt_i32 s8, 8
	s_cbranch_scc1 .LBB47_639
	;; [unrolled: 3-line block ×3, first 2 shown]
; %bb.636:
	s_cmp_gt_i32 s8, 9
	s_cbranch_scc0 .LBB47_641
; %bb.637:
	global_load_dwordx2 v[0:1], v[4:5], off
	s_mov_b64 s[2:3], 0
	s_waitcnt vmcnt(0)
	v_cvt_i32_f64_e32 v0, v[0:1]
	s_branch .LBB47_642
.LBB47_638:
	s_mov_b64 s[2:3], -1
                                        ; implicit-def: $vgpr0
	s_branch .LBB47_660
.LBB47_639:
	s_mov_b64 s[2:3], -1
                                        ; implicit-def: $vgpr0
	s_branch .LBB47_648
.LBB47_640:
	s_mov_b64 s[2:3], -1
                                        ; implicit-def: $vgpr0
	s_branch .LBB47_645
.LBB47_641:
	s_mov_b64 s[2:3], -1
                                        ; implicit-def: $vgpr0
.LBB47_642:
	s_andn2_b64 vcc, exec, s[2:3]
	s_cbranch_vccnz .LBB47_644
; %bb.643:
	global_load_dword v0, v[4:5], off
	s_waitcnt vmcnt(0)
	v_cvt_i32_f32_e32 v0, v0
.LBB47_644:
	s_mov_b64 s[2:3], 0
.LBB47_645:
	s_andn2_b64 vcc, exec, s[2:3]
	s_cbranch_vccnz .LBB47_647
; %bb.646:
	global_load_dword v0, v[4:5], off
	s_waitcnt vmcnt(0)
	v_cvt_i16_f16_e32 v0, v0
.LBB47_647:
	s_mov_b64 s[2:3], 0
.LBB47_648:
	s_andn2_b64 vcc, exec, s[2:3]
	s_cbranch_vccnz .LBB47_659
; %bb.649:
	s_cmp_lt_i32 s8, 6
	s_cbranch_scc1 .LBB47_652
; %bb.650:
	s_cmp_gt_i32 s8, 6
	s_cbranch_scc0 .LBB47_653
; %bb.651:
	global_load_dwordx2 v[0:1], v[4:5], off
	s_mov_b64 s[2:3], 0
	s_waitcnt vmcnt(0)
	v_cvt_i32_f64_e32 v0, v[0:1]
	s_branch .LBB47_654
.LBB47_652:
	s_mov_b64 s[2:3], -1
                                        ; implicit-def: $vgpr0
	s_branch .LBB47_657
.LBB47_653:
	s_mov_b64 s[2:3], -1
                                        ; implicit-def: $vgpr0
.LBB47_654:
	s_andn2_b64 vcc, exec, s[2:3]
	s_cbranch_vccnz .LBB47_656
; %bb.655:
	global_load_dword v0, v[4:5], off
	s_waitcnt vmcnt(0)
	v_cvt_i32_f32_e32 v0, v0
.LBB47_656:
	s_mov_b64 s[2:3], 0
.LBB47_657:
	s_andn2_b64 vcc, exec, s[2:3]
	s_cbranch_vccnz .LBB47_659
; %bb.658:
	global_load_ushort v0, v[4:5], off
	s_waitcnt vmcnt(0)
	v_cvt_i16_f16_e32 v0, v0
.LBB47_659:
	s_mov_b64 s[2:3], 0
.LBB47_660:
	s_andn2_b64 vcc, exec, s[2:3]
	s_cbranch_vccnz .LBB47_680
; %bb.661:
	s_cmp_lt_i32 s8, 2
	s_cbranch_scc1 .LBB47_665
; %bb.662:
	s_cmp_lt_i32 s8, 3
	s_cbranch_scc1 .LBB47_666
; %bb.663:
	s_cmp_gt_i32 s8, 3
	s_cbranch_scc0 .LBB47_667
; %bb.664:
	global_load_dwordx2 v[0:1], v[4:5], off
	s_mov_b64 s[2:3], 0
	s_branch .LBB47_668
.LBB47_665:
	s_mov_b64 s[2:3], -1
                                        ; implicit-def: $vgpr0
	s_branch .LBB47_674
.LBB47_666:
	s_mov_b64 s[2:3], -1
                                        ; implicit-def: $vgpr0
	s_branch .LBB47_671
.LBB47_667:
	s_mov_b64 s[2:3], -1
                                        ; implicit-def: $vgpr0
.LBB47_668:
	s_andn2_b64 vcc, exec, s[2:3]
	s_cbranch_vccnz .LBB47_670
; %bb.669:
	global_load_dword v0, v[4:5], off
.LBB47_670:
	s_mov_b64 s[2:3], 0
.LBB47_671:
	s_andn2_b64 vcc, exec, s[2:3]
	s_cbranch_vccnz .LBB47_673
; %bb.672:
	global_load_ushort v0, v[4:5], off
.LBB47_673:
	s_mov_b64 s[2:3], 0
.LBB47_674:
	s_andn2_b64 vcc, exec, s[2:3]
	s_cbranch_vccnz .LBB47_680
; %bb.675:
	s_cmp_gt_i32 s8, 0
	s_cbranch_scc0 .LBB47_677
; %bb.676:
	global_load_sbyte v0, v[4:5], off
	s_mov_b64 s[2:3], 0
	s_branch .LBB47_678
.LBB47_677:
	s_mov_b64 s[2:3], -1
                                        ; implicit-def: $vgpr0
.LBB47_678:
	s_andn2_b64 vcc, exec, s[2:3]
	s_cbranch_vccnz .LBB47_680
; %bb.679:
	global_load_ubyte v0, v[4:5], off
.LBB47_680:
	s_mov_b64 s[2:3], -1
.LBB47_681:
	s_andn2_b64 vcc, exec, s[2:3]
	s_cbranch_vccnz .LBB47_689
; %bb.682:
	v_mov_b32_e32 v3, 0
	s_and_b32 s12, s73, 0xff
	s_waitcnt vmcnt(0)
	v_xor_b32_e32 v4, -1, v0
	s_cmp_lt_i32 s12, 11
	v_lshl_add_u64 v[2:3], s[20:21], 0, v[2:3]
	s_cbranch_scc1 .LBB47_690
; %bb.683:
	s_and_b32 s13, 0xffff, s12
	s_cmp_gt_i32 s13, 25
	s_cbranch_scc0 .LBB47_691
; %bb.684:
	s_cmp_gt_i32 s13, 28
	s_cbranch_scc0 .LBB47_692
; %bb.685:
	;; [unrolled: 3-line block ×4, first 2 shown]
	s_mov_b64 s[8:9], 0
	s_mov_b64 s[2:3], -1
	s_cmp_eq_u32 s13, 46
	s_mov_b64 s[6:7], 0
	s_cbranch_scc0 .LBB47_695
; %bb.688:
	v_cvt_f32_i32_sdwa v1, sext(v4) dst_sel:DWORD dst_unused:UNUSED_PAD src0_sel:WORD_0
	s_movk_i32 s2, 0x7fff
	s_mov_b64 s[6:7], -1
	v_bfe_u32 v5, v1, 16, 1
	v_add3_u32 v1, v1, v5, s2
	v_lshrrev_b32_e32 v1, 16, v1
	global_store_dword v[2:3], v1, off
	s_mov_b64 s[2:3], 0
	s_branch .LBB47_695
.LBB47_689:
	s_mov_b64 s[6:7], 0
	s_mov_b64 s[2:3], s[62:63]
	s_branch .LBB47_806
.LBB47_690:
	s_mov_b64 s[8:9], -1
	s_mov_b64 s[6:7], 0
	s_mov_b64 s[2:3], s[62:63]
	s_branch .LBB47_764
.LBB47_691:
	s_mov_b64 s[8:9], -1
	s_mov_b64 s[6:7], 0
	s_mov_b64 s[2:3], s[62:63]
	s_branch .LBB47_722
.LBB47_692:
	s_mov_b64 s[8:9], -1
	s_mov_b64 s[6:7], 0
	s_mov_b64 s[2:3], s[62:63]
	s_branch .LBB47_705
.LBB47_693:
	s_mov_b64 s[8:9], -1
	s_mov_b64 s[6:7], 0
	s_mov_b64 s[2:3], s[62:63]
	s_branch .LBB47_701
.LBB47_694:
	s_mov_b64 s[8:9], -1
	s_mov_b64 s[6:7], 0
	s_mov_b64 s[2:3], s[62:63]
.LBB47_695:
	s_and_b64 vcc, exec, s[8:9]
	s_cbranch_vccz .LBB47_700
; %bb.696:
	s_cmp_eq_u32 s13, 44
	s_mov_b64 s[2:3], -1
	s_cbranch_scc0 .LBB47_700
; %bb.697:
	v_cvt_f32_i32_sdwa v1, sext(v4) dst_sel:DWORD dst_unused:UNUSED_PAD src0_sel:WORD_0
	s_movk_i32 s2, 0xff
	v_mov_b32_e32 v6, 0xff
	v_bfe_u32 v5, v1, 23, 8
	v_cmp_ne_u32_e32 vcc, s2, v5
	s_and_saveexec_b64 s[6:7], vcc
; %bb.698:
	s_mov_b32 s2, 0x3fffff
	v_lshrrev_b32_e32 v6, 23, v1
	v_and_b32_e32 v7, 0x400000, v1
	v_and_or_b32 v1, v1, s2, v5
	v_cmp_ne_u32_e32 vcc, 0, v7
	v_cmp_ne_u32_e64 s[2:3], 0, v1
	s_and_b64 s[2:3], vcc, s[2:3]
	s_nop 0
	v_cndmask_b32_e64 v1, 0, 1, s[2:3]
	v_add_u32_e32 v6, v6, v1
; %bb.699:
	s_or_b64 exec, exec, s[6:7]
	s_mov_b64 s[6:7], -1
	s_mov_b64 s[2:3], 0
	global_store_byte v[2:3], v6, off
.LBB47_700:
	s_mov_b64 s[8:9], 0
.LBB47_701:
	s_and_b64 vcc, exec, s[8:9]
	s_cbranch_vccz .LBB47_704
; %bb.702:
	s_cmp_eq_u32 s13, 29
	s_mov_b64 s[2:3], -1
	s_cbranch_scc0 .LBB47_704
; %bb.703:
	v_bfe_i32 v6, v4, 0, 16
	v_ashrrev_i32_e32 v7, 31, v6
	global_store_dwordx2 v[2:3], v[6:7], off
	s_mov_b64 s[6:7], -1
	s_mov_b64 s[2:3], 0
.LBB47_704:
	s_mov_b64 s[8:9], 0
.LBB47_705:
	s_and_b64 vcc, exec, s[8:9]
	s_cbranch_vccz .LBB47_721
; %bb.706:
	s_cmp_lt_i32 s13, 27
	s_mov_b64 s[6:7], -1
	s_cbranch_scc1 .LBB47_712
; %bb.707:
	s_cmp_gt_i32 s13, 27
	s_cbranch_scc0 .LBB47_709
; %bb.708:
	v_bfe_i32 v1, v4, 0, 16
	s_mov_b64 s[6:7], 0
	global_store_dword v[2:3], v1, off
.LBB47_709:
	s_andn2_b64 vcc, exec, s[6:7]
	s_cbranch_vccnz .LBB47_711
; %bb.710:
	global_store_short v[2:3], v4, off
.LBB47_711:
	s_mov_b64 s[6:7], 0
.LBB47_712:
	s_andn2_b64 vcc, exec, s[6:7]
	s_cbranch_vccnz .LBB47_720
; %bb.713:
	v_cvt_f32_i32_sdwa v1, sext(v4) dst_sel:DWORD dst_unused:UNUSED_PAD src0_sel:WORD_0
	s_mov_b32 s6, 0x43800000
	v_mov_b32_e32 v6, 0x80
	v_and_b32_e32 v5, 0x7fffffff, v1
	v_cmp_gt_u32_e32 vcc, s6, v5
	s_and_saveexec_b64 s[6:7], vcc
	s_cbranch_execz .LBB47_719
; %bb.714:
	s_mov_b32 s8, 0x3bffffff
	v_cmp_lt_u32_e32 vcc, s8, v5
	s_mov_b64 s[8:9], 0
                                        ; implicit-def: $vgpr5
	s_and_saveexec_b64 s[10:11], vcc
	s_xor_b64 s[10:11], exec, s[10:11]
	s_cbranch_execz .LBB47_837
; %bb.715:
	v_bfe_u32 v5, v1, 20, 1
	s_mov_b32 s14, 0x487ffff
	v_add3_u32 v5, v1, v5, s14
	s_mov_b64 s[8:9], exec
	v_lshrrev_b32_e32 v5, 20, v5
	s_andn2_saveexec_b64 s[10:11], s[10:11]
	s_cbranch_execnz .LBB47_838
.LBB47_716:
	s_or_b64 exec, exec, s[10:11]
	v_mov_b32_e32 v6, 0
	s_and_saveexec_b64 s[10:11], s[8:9]
.LBB47_717:
	v_lshrrev_b32_e32 v1, 24, v1
	s_movk_i32 s8, 0x80
	v_and_or_b32 v6, v1, s8, v5
.LBB47_718:
	s_or_b64 exec, exec, s[10:11]
.LBB47_719:
	s_or_b64 exec, exec, s[6:7]
	global_store_byte v[2:3], v6, off
.LBB47_720:
	s_mov_b64 s[6:7], -1
.LBB47_721:
	s_mov_b64 s[8:9], 0
.LBB47_722:
	s_and_b64 vcc, exec, s[8:9]
	s_cbranch_vccz .LBB47_763
; %bb.723:
	s_cmp_gt_i32 s13, 22
	s_mov_b64 s[8:9], -1
	s_cbranch_scc0 .LBB47_755
; %bb.724:
	s_cmp_lt_i32 s13, 24
	s_mov_b64 s[6:7], -1
	s_cbranch_scc1 .LBB47_744
; %bb.725:
	s_cmp_gt_i32 s13, 24
	s_cbranch_scc0 .LBB47_733
; %bb.726:
	v_cvt_f32_i32_sdwa v1, sext(v4) dst_sel:DWORD dst_unused:UNUSED_PAD src0_sel:WORD_0
	s_mov_b32 s6, 0x47800000
	v_mov_b32_e32 v6, 0x80
	v_and_b32_e32 v5, 0x7fffffff, v1
	v_cmp_gt_u32_e32 vcc, s6, v5
	s_and_saveexec_b64 s[6:7], vcc
	s_cbranch_execz .LBB47_732
; %bb.727:
	s_mov_b32 s8, 0x37ffffff
	v_cmp_lt_u32_e32 vcc, s8, v5
	s_mov_b64 s[8:9], 0
                                        ; implicit-def: $vgpr5
	s_and_saveexec_b64 s[10:11], vcc
	s_xor_b64 s[10:11], exec, s[10:11]
	s_cbranch_execz .LBB47_840
; %bb.728:
	v_bfe_u32 v5, v1, 21, 1
	s_mov_b32 s14, 0x88fffff
	v_add3_u32 v5, v1, v5, s14
	s_mov_b64 s[8:9], exec
	v_lshrrev_b32_e32 v5, 21, v5
	s_andn2_saveexec_b64 s[10:11], s[10:11]
	s_cbranch_execnz .LBB47_841
.LBB47_729:
	s_or_b64 exec, exec, s[10:11]
	v_mov_b32_e32 v6, 0
	s_and_saveexec_b64 s[10:11], s[8:9]
.LBB47_730:
	v_lshrrev_b32_e32 v1, 24, v1
	s_movk_i32 s8, 0x80
	v_and_or_b32 v6, v1, s8, v5
.LBB47_731:
	s_or_b64 exec, exec, s[10:11]
.LBB47_732:
	s_or_b64 exec, exec, s[6:7]
	s_mov_b64 s[6:7], 0
	global_store_byte v[2:3], v6, off
.LBB47_733:
	s_and_b64 vcc, exec, s[6:7]
	s_cbranch_vccz .LBB47_743
; %bb.734:
	v_cvt_f32_i32_sdwa v1, sext(v4) dst_sel:DWORD dst_unused:UNUSED_PAD src0_sel:WORD_0
	s_mov_b32 s6, 0x43f00000
                                        ; implicit-def: $vgpr5
	v_and_b32_e32 v6, 0x7fffffff, v1
	v_cmp_gt_u32_e32 vcc, s6, v6
	s_and_saveexec_b64 s[6:7], vcc
	s_xor_b64 s[6:7], exec, s[6:7]
	s_cbranch_execz .LBB47_740
; %bb.735:
	s_mov_b32 s8, 0x3c7fffff
	v_cmp_lt_u32_e32 vcc, s8, v6
                                        ; implicit-def: $vgpr5
	s_and_saveexec_b64 s[8:9], vcc
	s_xor_b64 s[8:9], exec, s[8:9]
; %bb.736:
	v_bfe_u32 v5, v1, 20, 1
	s_mov_b32 s10, 0x407ffff
	v_add3_u32 v5, v1, v5, s10
	v_lshrrev_b32_e32 v6, 20, v5
	v_and_b32_e32 v5, 0xff00000, v5
	s_mov_b32 s10, 0x7f00000
	v_mov_b32_e32 v7, 0x7e
	v_cmp_ne_u32_e32 vcc, s10, v5
	s_nop 1
	v_cndmask_b32_e32 v5, v7, v6, vcc
; %bb.737:
	s_andn2_saveexec_b64 s[8:9], s[8:9]
; %bb.738:
	s_mov_b32 s10, 0x46800000
	v_add_f32_e64 v5, |v1|, s10
; %bb.739:
	s_or_b64 exec, exec, s[8:9]
                                        ; implicit-def: $vgpr6
.LBB47_740:
	s_andn2_saveexec_b64 s[6:7], s[6:7]
; %bb.741:
	s_mov_b32 s8, 0x7f800000
	v_mov_b32_e32 v5, 0x7e
	v_mov_b32_e32 v7, 0x7f
	v_cmp_lt_u32_e32 vcc, s8, v6
	s_nop 1
	v_cndmask_b32_e32 v5, v5, v7, vcc
; %bb.742:
	s_or_b64 exec, exec, s[6:7]
	v_lshrrev_b32_e32 v1, 24, v1
	s_movk_i32 s6, 0x80
	v_and_or_b32 v1, v1, s6, v5
	global_store_byte v[2:3], v1, off
.LBB47_743:
	s_mov_b64 s[6:7], 0
.LBB47_744:
	s_andn2_b64 vcc, exec, s[6:7]
	s_cbranch_vccnz .LBB47_754
; %bb.745:
	v_cvt_f32_i32_sdwa v1, sext(v4) dst_sel:DWORD dst_unused:UNUSED_PAD src0_sel:WORD_0
	s_mov_b32 s6, 0x47800000
                                        ; implicit-def: $vgpr5
	v_and_b32_e32 v6, 0x7fffffff, v1
	v_cmp_gt_u32_e32 vcc, s6, v6
	s_and_saveexec_b64 s[6:7], vcc
	s_xor_b64 s[6:7], exec, s[6:7]
	s_cbranch_execz .LBB47_751
; %bb.746:
	s_mov_b32 s8, 0x387fffff
	v_cmp_lt_u32_e32 vcc, s8, v6
                                        ; implicit-def: $vgpr5
	s_and_saveexec_b64 s[8:9], vcc
	s_xor_b64 s[8:9], exec, s[8:9]
; %bb.747:
	v_bfe_u32 v5, v1, 21, 1
	s_mov_b32 s10, 0x80fffff
	v_add3_u32 v5, v1, v5, s10
	v_lshrrev_b32_e32 v5, 21, v5
; %bb.748:
	s_andn2_saveexec_b64 s[8:9], s[8:9]
; %bb.749:
	s_mov_b32 s10, 0x43000000
	v_add_f32_e64 v5, |v1|, s10
; %bb.750:
	s_or_b64 exec, exec, s[8:9]
                                        ; implicit-def: $vgpr6
.LBB47_751:
	s_andn2_saveexec_b64 s[6:7], s[6:7]
; %bb.752:
	s_mov_b32 s8, 0x7f800000
	v_mov_b32_e32 v5, 0x7c
	v_mov_b32_e32 v7, 0x7f
	v_cmp_lt_u32_e32 vcc, s8, v6
	s_nop 1
	v_cndmask_b32_e32 v5, v5, v7, vcc
; %bb.753:
	s_or_b64 exec, exec, s[6:7]
	v_lshrrev_b32_e32 v1, 24, v1
	s_movk_i32 s6, 0x80
	v_and_or_b32 v1, v1, s6, v5
	global_store_byte v[2:3], v1, off
.LBB47_754:
	s_mov_b64 s[8:9], 0
	s_mov_b64 s[6:7], -1
.LBB47_755:
	s_andn2_b64 vcc, exec, s[8:9]
	s_cbranch_vccnz .LBB47_763
; %bb.756:
	s_cmp_gt_i32 s13, 14
	s_mov_b64 s[8:9], -1
	s_cbranch_scc0 .LBB47_760
; %bb.757:
	s_cmp_eq_u32 s13, 15
	s_mov_b64 s[2:3], -1
	s_cbranch_scc0 .LBB47_759
; %bb.758:
	v_cvt_f32_i32_sdwa v1, sext(v4) dst_sel:DWORD dst_unused:UNUSED_PAD src0_sel:WORD_0
	s_movk_i32 s2, 0x7fff
	s_mov_b64 s[6:7], -1
	v_bfe_u32 v5, v1, 16, 1
	v_add3_u32 v1, v1, v5, s2
	global_store_short_d16_hi v[2:3], v1, off
	s_mov_b64 s[2:3], 0
.LBB47_759:
	s_mov_b64 s[8:9], 0
.LBB47_760:
	s_and_b64 vcc, exec, s[8:9]
	s_cbranch_vccz .LBB47_763
; %bb.761:
	s_cmp_eq_u32 s13, 11
	s_mov_b64 s[2:3], -1
	s_cbranch_scc0 .LBB47_763
; %bb.762:
	v_cmp_ne_u16_e32 vcc, -1, v0
	s_mov_b64 s[6:7], -1
	s_mov_b64 s[2:3], 0
	v_cndmask_b32_e64 v0, 0, 1, vcc
	global_store_byte v[2:3], v0, off
.LBB47_763:
	s_mov_b64 s[8:9], 0
.LBB47_764:
	s_and_b64 vcc, exec, s[8:9]
	s_cbranch_vccz .LBB47_803
; %bb.765:
	s_and_b32 s8, 0xffff, s12
	s_cmp_lt_i32 s8, 5
	s_mov_b64 s[6:7], -1
	s_cbranch_scc1 .LBB47_786
; %bb.766:
	s_cmp_lt_i32 s8, 8
	s_cbranch_scc1 .LBB47_776
; %bb.767:
	s_cmp_lt_i32 s8, 9
	s_cbranch_scc1 .LBB47_773
; %bb.768:
	s_cmp_gt_i32 s8, 9
	s_cbranch_scc0 .LBB47_770
; %bb.769:
	v_bfe_i32 v0, v4, 0, 16
	v_mov_b32_e32 v12, 0
	v_cvt_f64_i32_e32 v[10:11], v0
	v_mov_b32_e32 v13, v12
	s_mov_b64 s[6:7], 0
	global_store_dwordx4 v[2:3], v[10:13], off
.LBB47_770:
	s_andn2_b64 vcc, exec, s[6:7]
	s_cbranch_vccnz .LBB47_772
; %bb.771:
	v_cvt_f32_i32_sdwa v0, sext(v4) dst_sel:DWORD dst_unused:UNUSED_PAD src0_sel:WORD_0
	v_mov_b32_e32 v1, 0
	global_store_dwordx2 v[2:3], v[0:1], off
.LBB47_772:
	s_mov_b64 s[6:7], 0
.LBB47_773:
	s_andn2_b64 vcc, exec, s[6:7]
	s_cbranch_vccnz .LBB47_775
; %bb.774:
	v_cvt_f16_i16_e32 v0, v4
	global_store_dword v[2:3], v0, off
.LBB47_775:
	s_mov_b64 s[6:7], 0
.LBB47_776:
	s_andn2_b64 vcc, exec, s[6:7]
	s_cbranch_vccnz .LBB47_785
; %bb.777:
	s_cmp_lt_i32 s8, 6
	s_mov_b64 s[6:7], -1
	s_cbranch_scc1 .LBB47_783
; %bb.778:
	s_cmp_gt_i32 s8, 6
	s_cbranch_scc0 .LBB47_780
; %bb.779:
	v_bfe_i32 v0, v4, 0, 16
	v_cvt_f64_i32_e32 v[0:1], v0
	s_mov_b64 s[6:7], 0
	global_store_dwordx2 v[2:3], v[0:1], off
.LBB47_780:
	s_andn2_b64 vcc, exec, s[6:7]
	s_cbranch_vccnz .LBB47_782
; %bb.781:
	v_cvt_f32_i32_sdwa v0, sext(v4) dst_sel:DWORD dst_unused:UNUSED_PAD src0_sel:WORD_0
	global_store_dword v[2:3], v0, off
.LBB47_782:
	s_mov_b64 s[6:7], 0
.LBB47_783:
	s_andn2_b64 vcc, exec, s[6:7]
	s_cbranch_vccnz .LBB47_785
; %bb.784:
	v_cvt_f16_i16_e32 v0, v4
	global_store_short v[2:3], v0, off
.LBB47_785:
	s_mov_b64 s[6:7], 0
.LBB47_786:
	s_andn2_b64 vcc, exec, s[6:7]
	s_cbranch_vccnz .LBB47_802
; %bb.787:
	s_cmp_lt_i32 s8, 2
	s_mov_b64 s[6:7], -1
	s_cbranch_scc1 .LBB47_797
; %bb.788:
	s_cmp_lt_i32 s8, 3
	s_cbranch_scc1 .LBB47_794
; %bb.789:
	s_cmp_gt_i32 s8, 3
	v_bfe_i32 v0, v4, 0, 16
	s_cbranch_scc0 .LBB47_791
; %bb.790:
	v_ashrrev_i32_e32 v1, 31, v0
	s_mov_b64 s[6:7], 0
	global_store_dwordx2 v[2:3], v[0:1], off
.LBB47_791:
	s_andn2_b64 vcc, exec, s[6:7]
	s_cbranch_vccnz .LBB47_793
; %bb.792:
	global_store_dword v[2:3], v0, off
.LBB47_793:
	s_mov_b64 s[6:7], 0
.LBB47_794:
	s_andn2_b64 vcc, exec, s[6:7]
	s_cbranch_vccnz .LBB47_796
; %bb.795:
	global_store_short v[2:3], v4, off
.LBB47_796:
	s_mov_b64 s[6:7], 0
.LBB47_797:
	s_andn2_b64 vcc, exec, s[6:7]
	s_cbranch_vccnz .LBB47_802
; %bb.798:
	s_cmp_gt_i32 s8, 0
	s_mov_b64 s[6:7], -1
	s_cbranch_scc0 .LBB47_800
; %bb.799:
	s_mov_b64 s[6:7], 0
	global_store_byte v[2:3], v4, off
.LBB47_800:
	s_andn2_b64 vcc, exec, s[6:7]
	s_cbranch_vccnz .LBB47_802
; %bb.801:
	global_store_byte v[2:3], v4, off
.LBB47_802:
	s_mov_b64 s[6:7], -1
.LBB47_803:
	s_andn2_b64 vcc, exec, s[6:7]
	s_cbranch_vccnz .LBB47_805
; %bb.804:
	v_add_u32_e32 v9, 0x80, v9
	s_mov_b64 s[6:7], -1
	s_branch .LBB47_807
.LBB47_805:
	s_mov_b64 s[6:7], 0
.LBB47_806:
                                        ; implicit-def: $vgpr9
.LBB47_807:
	s_andn2_b64 s[8:9], s[62:63], exec
	s_and_b64 s[2:3], s[2:3], exec
	s_or_b64 s[68:69], s[8:9], s[2:3]
	s_andn2_b64 s[2:3], s[60:61], exec
	s_and_b64 s[4:5], s[4:5], exec
	s_or_b64 s[2:3], s[2:3], s[4:5]
	s_orn2_b64 s[6:7], s[6:7], exec
.LBB47_808:
	s_or_b64 exec, exec, s[66:67]
	s_mov_b64 s[4:5], 0
	s_mov_b64 s[10:11], 0
	s_mov_b64 s[8:9], 0
                                        ; implicit-def: $vgpr4_vgpr5
                                        ; implicit-def: $vgpr2
                                        ; implicit-def: $vgpr0
	s_and_saveexec_b64 s[66:67], s[6:7]
	s_cbranch_execz .LBB47_904
; %bb.809:
	v_cmp_gt_i32_e32 vcc, s70, v9
	s_mov_b64 s[6:7], 0
	s_mov_b64 s[12:13], s[2:3]
                                        ; implicit-def: $vgpr4_vgpr5
                                        ; implicit-def: $vgpr2
                                        ; implicit-def: $vgpr0
	s_and_saveexec_b64 s[70:71], vcc
	s_cbranch_execz .LBB47_903
; %bb.810:
	s_andn2_b64 vcc, exec, s[42:43]
	s_cbranch_vccnz .LBB47_816
; %bb.811:
	s_andn2_b64 vcc, exec, s[52:53]
	s_cbranch_vccnz .LBB47_817
; %bb.812:
	s_add_i32 s76, s75, 1
	s_cmp_eq_u32 s72, 2
	s_cbranch_scc1 .LBB47_818
; %bb.813:
	s_and_b32 s75, s76, 28
	s_mov_b32 s77, 0
	v_mov_b32_e32 v2, 0
	s_waitcnt vmcnt(0)
	v_mov_b32_e32 v0, 0
	s_mov_b64 s[52:53], s[34:35]
	v_mov_b32_e32 v4, v9
.LBB47_814:                             ; =>This Inner Loop Header: Depth=1
	s_load_dwordx8 s[12:19], s[52:53], 0x4
	s_load_dwordx4 s[36:39], s[52:53], 0x24
	s_load_dwordx8 s[4:11], s[50:51], 0x0
	s_add_u32 s52, s52, 48
	s_addc_u32 s53, s53, 0
	s_waitcnt lgkmcnt(0)
	v_mul_hi_u32 v1, s13, v4
	v_add_u32_e32 v1, v4, v1
	v_lshrrev_b32_e32 v1, s14, v1
	v_mul_lo_u32 v3, v1, s12
	v_mul_hi_u32 v5, s16, v1
	v_sub_u32_e32 v3, v4, v3
	v_add_u32_e32 v4, v1, v5
	v_lshrrev_b32_e32 v4, s17, v4
	v_mul_lo_u32 v6, v4, s15
	v_mul_hi_u32 v7, s19, v4
	v_sub_u32_e32 v1, v1, v6
	v_add_u32_e32 v6, v4, v7
	v_mul_lo_u32 v5, v3, s5
	v_mul_lo_u32 v3, v3, s4
	;; [unrolled: 1-line block ×4, first 2 shown]
	v_lshrrev_b32_e32 v6, s36, v6
	v_add3_u32 v1, v3, v2, v1
	v_mul_hi_u32 v3, s38, v6
	v_mul_lo_u32 v2, v6, s18
	v_add_u32_e32 v3, v6, v3
	v_sub_u32_e32 v2, v4, v2
	v_lshrrev_b32_e32 v4, s39, v3
	s_add_i32 s77, s77, 4
	v_mul_lo_u32 v3, v4, s37
	s_add_u32 s50, s50, 32
	v_sub_u32_e32 v3, v6, v3
	s_addc_u32 s51, s51, 0
	v_add3_u32 v0, v5, v0, v7
	v_mul_lo_u32 v5, v2, s8
	v_mul_lo_u32 v2, v2, s9
	v_mul_lo_u32 v6, v3, s10
	v_mul_lo_u32 v3, v3, s11
	s_cmp_eq_u32 s75, s77
	v_add3_u32 v0, v2, v0, v3
	v_add3_u32 v2, v5, v1, v6
	s_cbranch_scc0 .LBB47_814
; %bb.815:
	v_mov_b32_e32 v1, v0
	s_branch .LBB47_819
.LBB47_816:
	s_mov_b64 s[4:5], -1
                                        ; implicit-def: $vgpr0
                                        ; implicit-def: $vgpr2
	s_branch .LBB47_823
.LBB47_817:
	s_waitcnt vmcnt(0)
	v_mov_b32_e32 v0, 0
	v_mov_b32_e32 v2, 0
	s_branch .LBB47_822
.LBB47_818:
	v_mov_b32_e32 v2, 0
	s_mov_b32 s75, 0
	s_waitcnt vmcnt(0)
	v_mov_b32_e32 v1, v2
                                        ; implicit-def: $vgpr0
	v_mov_b32_e32 v4, v9
.LBB47_819:
	s_and_b32 s8, s76, 3
	s_cmp_eq_u32 s8, 0
	s_cbranch_scc1 .LBB47_822
; %bb.820:
	s_lshl_b32 s4, s75, 3
	s_add_u32 s4, s34, s4
	s_addc_u32 s5, s35, 0
	s_add_u32 s4, s4, 0xc4
	s_addc_u32 s5, s5, 0
	s_mul_i32 s6, s75, 12
	s_add_u32 s6, s34, s6
	s_addc_u32 s7, s35, 0
.LBB47_821:                             ; =>This Inner Loop Header: Depth=1
	s_load_dwordx2 s[10:11], s[6:7], 0x4
	s_load_dword s9, s[6:7], 0xc
	s_load_dwordx2 s[12:13], s[4:5], 0x0
	v_mov_b32_e32 v0, v1
	s_add_u32 s6, s6, 12
	s_waitcnt lgkmcnt(0)
	v_mul_hi_u32 v1, s11, v4
	v_add_u32_e32 v1, v4, v1
	v_lshrrev_b32_e32 v1, s9, v1
	s_addc_u32 s7, s7, 0
	v_mul_lo_u32 v3, v1, s10
	s_add_u32 s4, s4, 8
	v_sub_u32_e32 v3, v4, v3
	s_addc_u32 s5, s5, 0
	s_add_i32 s8, s8, -1
	v_mov_b32_e32 v4, v1
	v_mad_u64_u32 v[0:1], s[10:11], v3, s13, v[0:1]
	s_cmp_lg_u32 s8, 0
	v_mad_u64_u32 v[2:3], s[10:11], v3, s12, v[2:3]
	v_mov_b32_e32 v1, v0
	s_cbranch_scc1 .LBB47_821
.LBB47_822:
	s_mov_b64 s[4:5], 0
.LBB47_823:
	s_andn2_b64 vcc, exec, s[4:5]
	s_cbranch_vccnz .LBB47_826
; %bb.824:
	s_waitcnt vmcnt(0) lgkmcnt(0)
	v_mul_hi_u32 v0, s29, v9
	v_add_u32_e32 v0, v9, v0
	v_lshrrev_b32_e32 v1, s30, v0
	v_mul_lo_u32 v0, v1, s28
	v_sub_u32_e32 v2, v9, v0
	v_mul_lo_u32 v0, v2, s25
	s_andn2_b64 vcc, exec, s[48:49]
	v_mul_lo_u32 v2, v2, s24
	s_cbranch_vccnz .LBB47_826
; %bb.825:
	v_mul_hi_u32 v3, s46, v1
	v_add_u32_e32 v3, v1, v3
	v_lshrrev_b32_e32 v3, s47, v3
	v_mul_lo_u32 v3, v3, s31
	v_sub_u32_e32 v1, v1, v3
	v_mad_u64_u32 v[2:3], s[4:5], v1, s26, v[2:3]
	v_mad_u64_u32 v[0:1], s[4:5], v1, s27, v[0:1]
.LBB47_826:
	s_waitcnt vmcnt(0)
	v_mov_b32_e32 v1, 0
	s_and_b32 s12, 0xffff, s74
	s_cmp_lt_i32 s12, 11
	s_waitcnt lgkmcnt(0)
	v_lshl_add_u64 v[4:5], s[22:23], 0, v[0:1]
	s_cbranch_scc1 .LBB47_833
; %bb.827:
	s_cmp_gt_i32 s12, 25
	s_mov_b64 s[6:7], 0
	s_cbranch_scc0 .LBB47_834
; %bb.828:
	s_cmp_gt_i32 s12, 28
	s_cbranch_scc0 .LBB47_835
; %bb.829:
	s_cmp_gt_i32 s12, 43
	;; [unrolled: 3-line block ×3, first 2 shown]
	s_cbranch_scc0 .LBB47_839
; %bb.831:
	s_cmp_eq_u32 s12, 46
	s_mov_b64 s[10:11], 0
	s_cbranch_scc0 .LBB47_842
; %bb.832:
	global_load_dword v0, v[4:5], off
	s_mov_b64 s[4:5], 0
	s_mov_b64 s[8:9], -1
	s_waitcnt vmcnt(0)
	v_lshlrev_b32_e32 v0, 16, v0
	v_cvt_i32_f32_e32 v0, v0
	s_branch .LBB47_843
.LBB47_833:
	s_mov_b64 s[10:11], -1
	s_mov_b64 s[8:9], 0
	s_mov_b64 s[6:7], 0
	;; [unrolled: 1-line block ×3, first 2 shown]
                                        ; implicit-def: $vgpr0
	s_branch .LBB47_902
.LBB47_834:
	s_mov_b64 s[10:11], -1
	s_mov_b64 s[8:9], 0
	s_mov_b64 s[4:5], s[2:3]
                                        ; implicit-def: $vgpr0
	s_branch .LBB47_870
.LBB47_835:
	s_mov_b64 s[10:11], -1
	s_mov_b64 s[8:9], 0
	s_mov_b64 s[4:5], s[2:3]
                                        ; implicit-def: $vgpr0
	s_branch .LBB47_853
.LBB47_836:
	s_mov_b64 s[10:11], -1
	s_mov_b64 s[8:9], 0
	s_mov_b64 s[4:5], s[2:3]
                                        ; implicit-def: $vgpr0
	s_branch .LBB47_848
.LBB47_837:
	s_andn2_saveexec_b64 s[10:11], s[10:11]
	s_cbranch_execz .LBB47_716
.LBB47_838:
	s_mov_b32 s14, 0x46000000
	v_add_f32_e64 v5, |v1|, s14
	v_and_b32_e32 v5, 0xff, v5
	v_cmp_ne_u32_e32 vcc, 0, v5
	s_andn2_b64 s[8:9], s[8:9], exec
	s_and_b64 s[14:15], vcc, exec
	s_or_b64 s[8:9], s[8:9], s[14:15]
	s_or_b64 exec, exec, s[10:11]
	v_mov_b32_e32 v6, 0
	s_and_saveexec_b64 s[10:11], s[8:9]
	s_cbranch_execnz .LBB47_717
	s_branch .LBB47_718
.LBB47_839:
	s_mov_b64 s[10:11], -1
	s_mov_b64 s[8:9], 0
	s_mov_b64 s[4:5], s[2:3]
                                        ; implicit-def: $vgpr0
	s_branch .LBB47_843
.LBB47_840:
	s_andn2_saveexec_b64 s[10:11], s[10:11]
	s_cbranch_execz .LBB47_729
.LBB47_841:
	s_mov_b32 s14, 0x42800000
	v_add_f32_e64 v5, |v1|, s14
	v_and_b32_e32 v5, 0xff, v5
	v_cmp_ne_u32_e32 vcc, 0, v5
	s_andn2_b64 s[8:9], s[8:9], exec
	s_and_b64 s[14:15], vcc, exec
	s_or_b64 s[8:9], s[8:9], s[14:15]
	s_or_b64 exec, exec, s[10:11]
	v_mov_b32_e32 v6, 0
	s_and_saveexec_b64 s[10:11], s[8:9]
	s_cbranch_execnz .LBB47_730
	s_branch .LBB47_731
.LBB47_842:
	s_mov_b64 s[4:5], -1
                                        ; implicit-def: $vgpr0
	s_mov_b64 s[8:9], 0
.LBB47_843:
	s_and_b64 vcc, exec, s[10:11]
	s_cbranch_vccz .LBB47_847
; %bb.844:
	s_cmp_eq_u32 s12, 44
	s_cbranch_scc0 .LBB47_846
; %bb.845:
	global_load_ubyte v0, v[4:5], off
	s_mov_b64 s[4:5], 0
	s_mov_b64 s[8:9], -1
	s_waitcnt vmcnt(0)
	v_lshlrev_b32_e32 v1, 23, v0
	v_cvt_i32_f32_e32 v1, v1
	v_cmp_ne_u32_e32 vcc, 0, v0
	s_nop 1
	v_cndmask_b32_e32 v0, 0, v1, vcc
	s_branch .LBB47_847
.LBB47_846:
	s_mov_b64 s[4:5], -1
                                        ; implicit-def: $vgpr0
.LBB47_847:
	s_mov_b64 s[10:11], 0
.LBB47_848:
	s_and_b64 vcc, exec, s[10:11]
	s_cbranch_vccz .LBB47_852
; %bb.849:
	s_cmp_eq_u32 s12, 29
	s_cbranch_scc0 .LBB47_851
; %bb.850:
	global_load_dwordx2 v[0:1], v[4:5], off
	s_mov_b64 s[4:5], 0
	s_mov_b64 s[8:9], -1
	s_branch .LBB47_852
.LBB47_851:
	s_mov_b64 s[4:5], -1
                                        ; implicit-def: $vgpr0
.LBB47_852:
	s_mov_b64 s[10:11], 0
.LBB47_853:
	s_and_b64 vcc, exec, s[10:11]
	s_cbranch_vccz .LBB47_869
; %bb.854:
	s_cmp_lt_i32 s12, 27
	s_cbranch_scc1 .LBB47_857
; %bb.855:
	s_cmp_gt_i32 s12, 27
	s_cbranch_scc0 .LBB47_858
; %bb.856:
	global_load_dword v0, v[4:5], off
	s_mov_b64 s[8:9], 0
	s_branch .LBB47_859
.LBB47_857:
	s_mov_b64 s[8:9], -1
                                        ; implicit-def: $vgpr0
	s_branch .LBB47_862
.LBB47_858:
	s_mov_b64 s[8:9], -1
                                        ; implicit-def: $vgpr0
.LBB47_859:
	s_andn2_b64 vcc, exec, s[8:9]
	s_cbranch_vccnz .LBB47_861
; %bb.860:
	global_load_ushort v0, v[4:5], off
.LBB47_861:
	s_mov_b64 s[8:9], 0
.LBB47_862:
	s_andn2_b64 vcc, exec, s[8:9]
	s_cbranch_vccnz .LBB47_868
; %bb.863:
	global_load_ubyte v1, v[4:5], off
	s_movk_i32 s8, 0x7f
	s_mov_b64 s[10:11], 0
	s_waitcnt vmcnt(0)
	v_cmp_lt_i16_e32 vcc, s8, v1
	s_and_saveexec_b64 s[8:9], vcc
	s_xor_b64 s[8:9], exec, s[8:9]
	s_cbranch_execz .LBB47_880
; %bb.864:
	s_movk_i32 s10, 0x80
	v_cmp_ne_u16_e32 vcc, s10, v1
	s_and_b64 s[10:11], vcc, exec
	s_andn2_saveexec_b64 s[8:9], s[8:9]
	s_cbranch_execnz .LBB47_881
.LBB47_865:
	s_or_b64 exec, exec, s[8:9]
	v_mov_b32_e32 v0, 0
	s_and_saveexec_b64 s[8:9], s[10:11]
	s_cbranch_execz .LBB47_867
.LBB47_866:
	v_lshlrev_b32_e32 v0, 24, v1
	v_and_b32_e32 v1, 0xffff, v1
	v_and_b32_e32 v3, 7, v1
	v_ffbh_u32_e32 v7, v3
	v_min_u32_e32 v7, 32, v7
	v_subrev_u32_e32 v8, 28, v7
	v_bfe_u32 v6, v1, 3, 4
	v_lshlrev_b32_e32 v1, v8, v1
	v_sub_u32_e32 v7, 29, v7
	v_and_b32_e32 v1, 7, v1
	v_cmp_eq_u32_e32 vcc, 0, v6
	v_and_b32_e32 v0, 0x80000000, v0
	s_nop 0
	v_cndmask_b32_e32 v6, v6, v7, vcc
	v_cndmask_b32_e32 v1, v3, v1, vcc
	v_mov_b32_e32 v3, 0x3b800000
	v_lshlrev_b32_e32 v1, 20, v1
	v_lshl_add_u32 v3, v6, 23, v3
	v_or3_b32 v0, v0, v3, v1
	v_cvt_i32_f32_e32 v0, v0
.LBB47_867:
	s_or_b64 exec, exec, s[8:9]
.LBB47_868:
	s_mov_b64 s[8:9], -1
.LBB47_869:
	s_mov_b64 s[10:11], 0
.LBB47_870:
	s_and_b64 vcc, exec, s[10:11]
	s_cbranch_vccz .LBB47_901
; %bb.871:
	s_cmp_gt_i32 s12, 22
	s_cbranch_scc0 .LBB47_879
; %bb.872:
	s_cmp_lt_i32 s12, 24
	s_cbranch_scc1 .LBB47_882
; %bb.873:
	s_cmp_gt_i32 s12, 24
	s_cbranch_scc0 .LBB47_883
; %bb.874:
	global_load_ubyte v1, v[4:5], off
	s_movk_i32 s6, 0x7f
	s_mov_b64 s[8:9], 0
	s_waitcnt vmcnt(0)
	v_cmp_lt_i16_e32 vcc, s6, v1
	s_and_saveexec_b64 s[6:7], vcc
	s_xor_b64 s[6:7], exec, s[6:7]
	s_cbranch_execz .LBB47_895
; %bb.875:
	s_movk_i32 s8, 0x80
	v_cmp_ne_u16_e32 vcc, s8, v1
	s_and_b64 s[8:9], vcc, exec
	s_andn2_saveexec_b64 s[6:7], s[6:7]
	s_cbranch_execnz .LBB47_896
.LBB47_876:
	s_or_b64 exec, exec, s[6:7]
	v_mov_b32_e32 v0, 0
	s_and_saveexec_b64 s[6:7], s[8:9]
	s_cbranch_execz .LBB47_878
.LBB47_877:
	v_lshlrev_b32_e32 v0, 24, v1
	v_and_b32_e32 v1, 0xffff, v1
	v_and_b32_e32 v3, 3, v1
	v_ffbh_u32_e32 v7, v3
	v_min_u32_e32 v7, 32, v7
	v_subrev_u32_e32 v8, 29, v7
	v_bfe_u32 v6, v1, 2, 5
	v_lshlrev_b32_e32 v1, v8, v1
	v_sub_u32_e32 v7, 30, v7
	v_and_b32_e32 v1, 3, v1
	v_cmp_eq_u32_e32 vcc, 0, v6
	v_and_b32_e32 v0, 0x80000000, v0
	s_nop 0
	v_cndmask_b32_e32 v6, v6, v7, vcc
	v_cndmask_b32_e32 v1, v3, v1, vcc
	v_mov_b32_e32 v3, 0x37800000
	v_lshlrev_b32_e32 v1, 21, v1
	v_lshl_add_u32 v3, v6, 23, v3
	v_or3_b32 v0, v0, v3, v1
	v_cvt_i32_f32_e32 v0, v0
.LBB47_878:
	s_or_b64 exec, exec, s[6:7]
	s_mov_b64 s[6:7], 0
	s_branch .LBB47_884
.LBB47_879:
	s_mov_b64 s[6:7], -1
                                        ; implicit-def: $vgpr0
	s_branch .LBB47_890
.LBB47_880:
	s_andn2_saveexec_b64 s[8:9], s[8:9]
	s_cbranch_execz .LBB47_865
.LBB47_881:
	v_cmp_ne_u16_e32 vcc, 0, v1
	s_andn2_b64 s[10:11], s[10:11], exec
	s_and_b64 s[14:15], vcc, exec
	s_or_b64 s[10:11], s[10:11], s[14:15]
	s_or_b64 exec, exec, s[8:9]
	v_mov_b32_e32 v0, 0
	s_and_saveexec_b64 s[8:9], s[10:11]
	s_cbranch_execnz .LBB47_866
	s_branch .LBB47_867
.LBB47_882:
	s_mov_b64 s[6:7], -1
                                        ; implicit-def: $vgpr0
	s_branch .LBB47_887
.LBB47_883:
	s_mov_b64 s[6:7], -1
                                        ; implicit-def: $vgpr0
.LBB47_884:
	s_and_b64 vcc, exec, s[6:7]
	s_cbranch_vccz .LBB47_886
; %bb.885:
	global_load_ubyte v0, v[4:5], off
	s_mov_b32 s6, 0x7f800000
	s_waitcnt vmcnt(0)
	v_lshlrev_b32_e32 v0, 24, v0
	v_and_b32_e32 v1, 0x7f000000, v0
	v_ffbh_u32_e32 v3, v1
	v_min_u32_e32 v3, 32, v3
	v_sub_u32_e64 v3, v3, 4 clamp
	v_lshlrev_b32_e32 v7, v3, v1
	v_lshlrev_b32_e32 v3, 23, v3
	v_lshrrev_b32_e32 v7, 4, v7
	v_add_u32_e32 v6, 0x1000000, v1
	v_sub_u32_e32 v3, v7, v3
	v_ashrrev_i32_e32 v6, 8, v6
	v_add_u32_e32 v3, 0x3c000000, v3
	v_and_or_b32 v3, v6, s6, v3
	v_cmp_ne_u32_e32 vcc, 0, v1
	s_brev_b32 s6, 1
	s_nop 0
	v_cndmask_b32_e32 v1, 0, v3, vcc
	v_and_or_b32 v0, v0, s6, v1
	v_cvt_i32_f32_e32 v0, v0
.LBB47_886:
	s_mov_b64 s[6:7], 0
.LBB47_887:
	s_andn2_b64 vcc, exec, s[6:7]
	s_cbranch_vccnz .LBB47_889
; %bb.888:
	global_load_ubyte v0, v[4:5], off
	s_movk_i32 s6, 0x7f00
	s_brev_b32 s7, 16
	s_waitcnt vmcnt(0)
	v_lshlrev_b16_e32 v1, 8, v0
	v_lshlrev_b32_e32 v0, 25, v0
	v_lshrrev_b32_e32 v3, 4, v0
	v_and_or_b32 v6, v1, s6, 0.5
	v_or_b32_e32 v3, 0x70000000, v3
	v_add_f32_e32 v6, -0.5, v6
	v_mul_f32_e32 v3, 0x7800000, v3
	v_cmp_gt_u32_e32 vcc, s7, v0
	v_bfe_i32 v1, v1, 0, 16
	s_brev_b32 s6, 1
	v_cndmask_b32_e32 v0, v3, v6, vcc
	v_and_or_b32 v0, v1, s6, v0
	v_cvt_i32_f32_e32 v0, v0
.LBB47_889:
	s_mov_b64 s[6:7], 0
	s_mov_b64 s[8:9], -1
.LBB47_890:
	s_andn2_b64 vcc, exec, s[6:7]
	s_mov_b64 s[6:7], 0
	s_cbranch_vccnz .LBB47_901
; %bb.891:
	s_cmp_gt_i32 s12, 14
	s_cbranch_scc0 .LBB47_894
; %bb.892:
	s_cmp_eq_u32 s12, 15
	s_cbranch_scc0 .LBB47_897
; %bb.893:
	global_load_ushort v0, v[4:5], off
	s_mov_b64 s[4:5], 0
	s_mov_b64 s[8:9], -1
	s_waitcnt vmcnt(0)
	v_lshlrev_b32_e32 v0, 16, v0
	v_cvt_i32_f32_e32 v0, v0
	s_branch .LBB47_898
.LBB47_894:
	s_mov_b64 s[10:11], -1
                                        ; implicit-def: $vgpr0
	s_branch .LBB47_899
.LBB47_895:
	s_andn2_saveexec_b64 s[6:7], s[6:7]
	s_cbranch_execz .LBB47_876
.LBB47_896:
	v_cmp_ne_u16_e32 vcc, 0, v1
	s_andn2_b64 s[8:9], s[8:9], exec
	s_and_b64 s[10:11], vcc, exec
	s_or_b64 s[8:9], s[8:9], s[10:11]
	s_or_b64 exec, exec, s[6:7]
	v_mov_b32_e32 v0, 0
	s_and_saveexec_b64 s[6:7], s[8:9]
	s_cbranch_execnz .LBB47_877
	s_branch .LBB47_878
.LBB47_897:
	s_mov_b64 s[4:5], -1
                                        ; implicit-def: $vgpr0
.LBB47_898:
	s_mov_b64 s[10:11], 0
.LBB47_899:
	s_and_b64 vcc, exec, s[10:11]
	s_cbranch_vccz .LBB47_901
; %bb.900:
	s_cmp_lg_u32 s12, 11
	s_cselect_b64 s[10:11], -1, 0
	s_andn2_b64 s[4:5], s[4:5], exec
	s_and_b64 s[10:11], s[10:11], exec
	s_mov_b64 s[6:7], -1
	s_or_b64 s[4:5], s[4:5], s[10:11]
.LBB47_901:
	s_mov_b64 s[10:11], 0
.LBB47_902:
	s_andn2_b64 s[12:13], s[2:3], exec
	s_and_b64 s[4:5], s[4:5], exec
	s_and_b64 s[8:9], s[8:9], exec
	s_and_b64 s[10:11], s[10:11], exec
	s_and_b64 s[6:7], s[6:7], exec
	s_or_b64 s[12:13], s[12:13], s[4:5]
.LBB47_903:
	s_or_b64 exec, exec, s[70:71]
	s_and_b64 s[4:5], s[6:7], exec
	s_andn2_b64 s[2:3], s[2:3], exec
	s_and_b64 s[6:7], s[12:13], exec
	s_and_b64 s[8:9], s[8:9], exec
	;; [unrolled: 1-line block ×3, first 2 shown]
	s_or_b64 s[2:3], s[2:3], s[6:7]
.LBB47_904:
	s_or_b64 exec, exec, s[66:67]
	s_andn2_b64 s[6:7], s[62:63], exec
	s_and_b64 s[12:13], s[68:69], exec
	s_or_b64 s[62:63], s[6:7], s[12:13]
	s_and_b64 s[6:7], s[10:11], exec
	s_andn2_b64 s[10:11], s[60:61], exec
	s_and_b64 s[2:3], s[2:3], exec
	s_and_b64 s[8:9], s[8:9], exec
	;; [unrolled: 1-line block ×3, first 2 shown]
	s_or_b64 s[60:61], s[10:11], s[2:3]
.LBB47_905:
	s_or_b64 exec, exec, s[64:65]
	s_andn2_b64 s[2:3], s[54:55], exec
	s_and_b64 s[10:11], s[62:63], exec
	s_or_b64 s[54:55], s[2:3], s[10:11]
	s_and_b64 s[2:3], s[8:9], exec
	s_and_b64 s[8:9], s[6:7], exec
	;; [unrolled: 1-line block ×3, first 2 shown]
	s_andn2_b64 s[4:5], s[56:57], exec
	s_and_b64 s[6:7], s[60:61], exec
	s_or_b64 s[56:57], s[4:5], s[6:7]
	s_or_b64 exec, exec, s[58:59]
	s_mov_b64 s[4:5], 0
	s_and_saveexec_b64 s[6:7], s[56:57]
	s_cbranch_execz .LBB47_272
.LBB47_906:
	s_mov_b64 s[4:5], exec
	s_andn2_b64 s[62:63], s[62:63], exec
	s_trap 2
	s_or_b64 exec, exec, s[6:7]
	s_and_saveexec_b64 s[6:7], s[62:63]
	s_xor_b64 s[6:7], exec, s[6:7]
	s_cbranch_execnz .LBB47_273
.LBB47_907:
	s_or_b64 exec, exec, s[6:7]
	s_and_saveexec_b64 s[6:7], s[8:9]
	s_cbranch_execz .LBB47_953
.LBB47_908:
	s_sext_i32_i16 s8, s74
	s_cmp_lt_i32 s8, 5
	s_cbranch_scc1 .LBB47_913
; %bb.909:
	s_cmp_lt_i32 s8, 8
	s_cbranch_scc1 .LBB47_914
; %bb.910:
	s_cmp_lt_i32 s8, 9
	s_cbranch_scc1 .LBB47_915
; %bb.911:
	s_cmp_gt_i32 s8, 9
	s_cbranch_scc0 .LBB47_916
; %bb.912:
	global_load_dwordx2 v[0:1], v[4:5], off
	s_mov_b64 s[8:9], 0
	s_waitcnt vmcnt(0)
	v_cvt_i32_f64_e32 v0, v[0:1]
	s_branch .LBB47_917
.LBB47_913:
                                        ; implicit-def: $vgpr0
	s_branch .LBB47_934
.LBB47_914:
                                        ; implicit-def: $vgpr0
	s_branch .LBB47_923
.LBB47_915:
	s_mov_b64 s[8:9], -1
                                        ; implicit-def: $vgpr0
	s_branch .LBB47_920
.LBB47_916:
	s_mov_b64 s[8:9], -1
                                        ; implicit-def: $vgpr0
.LBB47_917:
	s_andn2_b64 vcc, exec, s[8:9]
	s_cbranch_vccnz .LBB47_919
; %bb.918:
	global_load_dword v0, v[4:5], off
	s_waitcnt vmcnt(0)
	v_cvt_i32_f32_e32 v0, v0
.LBB47_919:
	s_mov_b64 s[8:9], 0
.LBB47_920:
	s_andn2_b64 vcc, exec, s[8:9]
	s_cbranch_vccnz .LBB47_922
; %bb.921:
	global_load_dword v0, v[4:5], off
	s_waitcnt vmcnt(0)
	v_cvt_i16_f16_e32 v0, v0
.LBB47_922:
	s_cbranch_execnz .LBB47_933
.LBB47_923:
	s_sext_i32_i16 s8, s74
	s_cmp_lt_i32 s8, 6
	s_cbranch_scc1 .LBB47_926
; %bb.924:
	s_cmp_gt_i32 s8, 6
	s_cbranch_scc0 .LBB47_927
; %bb.925:
	global_load_dwordx2 v[0:1], v[4:5], off
	s_mov_b64 s[8:9], 0
	s_waitcnt vmcnt(0)
	v_cvt_i32_f64_e32 v0, v[0:1]
	s_branch .LBB47_928
.LBB47_926:
	s_mov_b64 s[8:9], -1
                                        ; implicit-def: $vgpr0
	s_branch .LBB47_931
.LBB47_927:
	s_mov_b64 s[8:9], -1
                                        ; implicit-def: $vgpr0
.LBB47_928:
	s_andn2_b64 vcc, exec, s[8:9]
	s_cbranch_vccnz .LBB47_930
; %bb.929:
	global_load_dword v0, v[4:5], off
	s_waitcnt vmcnt(0)
	v_cvt_i32_f32_e32 v0, v0
.LBB47_930:
	s_mov_b64 s[8:9], 0
.LBB47_931:
	s_andn2_b64 vcc, exec, s[8:9]
	s_cbranch_vccnz .LBB47_933
; %bb.932:
	global_load_ushort v0, v[4:5], off
	s_waitcnt vmcnt(0)
	v_cvt_i16_f16_e32 v0, v0
.LBB47_933:
	s_cbranch_execnz .LBB47_952
.LBB47_934:
	s_sext_i32_i16 s8, s74
	s_cmp_lt_i32 s8, 2
	s_cbranch_scc1 .LBB47_938
; %bb.935:
	s_cmp_lt_i32 s8, 3
	s_cbranch_scc1 .LBB47_939
; %bb.936:
	s_cmp_gt_i32 s8, 3
	s_cbranch_scc0 .LBB47_940
; %bb.937:
	global_load_dwordx2 v[0:1], v[4:5], off
	s_mov_b64 s[8:9], 0
	s_branch .LBB47_941
.LBB47_938:
                                        ; implicit-def: $vgpr0
	s_branch .LBB47_947
.LBB47_939:
	s_mov_b64 s[8:9], -1
                                        ; implicit-def: $vgpr0
	s_branch .LBB47_944
.LBB47_940:
	s_mov_b64 s[8:9], -1
                                        ; implicit-def: $vgpr0
.LBB47_941:
	s_andn2_b64 vcc, exec, s[8:9]
	s_cbranch_vccnz .LBB47_943
; %bb.942:
	global_load_dword v0, v[4:5], off
.LBB47_943:
	s_mov_b64 s[8:9], 0
.LBB47_944:
	s_andn2_b64 vcc, exec, s[8:9]
	s_cbranch_vccnz .LBB47_946
; %bb.945:
	global_load_ushort v0, v[4:5], off
.LBB47_946:
	s_cbranch_execnz .LBB47_952
.LBB47_947:
	s_sext_i32_i16 s8, s74
	s_cmp_gt_i32 s8, 0
	s_cbranch_scc0 .LBB47_949
; %bb.948:
	global_load_sbyte v0, v[4:5], off
	s_mov_b64 s[8:9], 0
	s_branch .LBB47_950
.LBB47_949:
	s_mov_b64 s[8:9], -1
                                        ; implicit-def: $vgpr0
.LBB47_950:
	s_andn2_b64 vcc, exec, s[8:9]
	s_cbranch_vccnz .LBB47_952
; %bb.951:
	global_load_ubyte v0, v[4:5], off
.LBB47_952:
	s_or_b64 s[2:3], s[2:3], exec
.LBB47_953:
	s_or_b64 exec, exec, s[6:7]
	s_mov_b64 s[10:11], 0
	s_mov_b64 s[8:9], 0
                                        ; implicit-def: $sgpr16
                                        ; implicit-def: $vgpr4_vgpr5
                                        ; implicit-def: $vgpr1
	s_and_saveexec_b64 s[6:7], s[2:3]
	s_cbranch_execz .LBB47_961
; %bb.954:
	v_mov_b32_e32 v3, 0
	s_and_b32 s16, s73, 0xff
	s_waitcnt vmcnt(0)
	v_xor_b32_e32 v1, -1, v0
	s_cmp_lt_i32 s16, 11
	s_waitcnt lgkmcnt(0)
	v_lshl_add_u64 v[4:5], s[20:21], 0, v[2:3]
	s_cbranch_scc1 .LBB47_964
; %bb.955:
	s_and_b32 s17, 0xffff, s16
	s_mov_b64 s[10:11], -1
	s_cmp_gt_i32 s17, 25
	s_mov_b64 s[2:3], s[54:55]
	s_cbranch_scc0 .LBB47_992
; %bb.956:
	s_mov_b64 s[8:9], -1
	s_cmp_gt_i32 s17, 28
	s_mov_b64 s[2:3], s[54:55]
	s_cbranch_scc0 .LBB47_976
; %bb.957:
	s_cmp_gt_i32 s17, 43
	s_mov_b64 s[2:3], s[54:55]
	s_cbranch_scc0 .LBB47_972
; %bb.958:
	;; [unrolled: 4-line block ×3, first 2 shown]
	s_cmp_eq_u32 s17, 46
	s_mov_b64 s[2:3], -1
	s_cbranch_scc0 .LBB47_965
; %bb.960:
	v_cvt_f32_i32_sdwa v2, sext(v1) dst_sel:DWORD dst_unused:UNUSED_PAD src0_sel:WORD_0
	s_movk_i32 s2, 0x7fff
	s_mov_b64 s[8:9], 0
	v_bfe_u32 v3, v2, 16, 1
	v_add3_u32 v2, v2, v3, s2
	v_lshrrev_b32_e32 v2, 16, v2
	global_store_dword v[4:5], v2, off
	s_mov_b64 s[2:3], 0
	s_branch .LBB47_966
.LBB47_961:
	s_or_b64 exec, exec, s[6:7]
	s_and_saveexec_b64 s[2:3], s[54:55]
	s_cbranch_execnz .LBB47_1034
.LBB47_962:
	s_or_b64 exec, exec, s[2:3]
	s_and_saveexec_b64 s[2:3], s[10:11]
	s_xor_b64 s[2:3], exec, s[2:3]
	s_cbranch_execz .LBB47_1035
.LBB47_963:
	s_waitcnt vmcnt(0)
	v_cmp_ne_u16_e32 vcc, -1, v0
	s_nop 1
	v_cndmask_b32_e64 v0, 0, 1, vcc
	global_store_byte v[4:5], v0, off
	s_or_b64 exec, exec, s[2:3]
	s_and_saveexec_b64 s[2:3], s[8:9]
	s_xor_b64 s[2:3], exec, s[2:3]
	s_cbranch_execz .LBB47_1073
	s_branch .LBB47_1036
.LBB47_964:
	s_mov_b64 s[8:9], -1
	s_mov_b64 s[2:3], s[54:55]
	s_branch .LBB47_1033
.LBB47_965:
	s_mov_b64 s[8:9], 0
.LBB47_966:
	s_and_b64 vcc, exec, s[8:9]
	s_cbranch_vccz .LBB47_971
; %bb.967:
	s_cmp_eq_u32 s17, 44
	s_mov_b64 s[2:3], -1
	s_cbranch_scc0 .LBB47_971
; %bb.968:
	v_cvt_f32_i32_sdwa v2, sext(v1) dst_sel:DWORD dst_unused:UNUSED_PAD src0_sel:WORD_0
	s_movk_i32 s2, 0xff
	v_mov_b32_e32 v6, 0xff
	v_bfe_u32 v3, v2, 23, 8
	v_cmp_ne_u32_e32 vcc, s2, v3
	s_and_saveexec_b64 s[8:9], vcc
; %bb.969:
	s_mov_b32 s2, 0x3fffff
	v_lshrrev_b32_e32 v6, 23, v2
	v_and_b32_e32 v7, 0x400000, v2
	v_and_or_b32 v2, v2, s2, v3
	v_cmp_ne_u32_e32 vcc, 0, v7
	v_cmp_ne_u32_e64 s[2:3], 0, v2
	s_and_b64 s[2:3], vcc, s[2:3]
	s_nop 0
	v_cndmask_b32_e64 v2, 0, 1, s[2:3]
	v_add_u32_e32 v6, v6, v2
; %bb.970:
	s_or_b64 exec, exec, s[8:9]
	s_mov_b64 s[2:3], 0
	global_store_byte v[4:5], v6, off
.LBB47_971:
	s_mov_b64 s[8:9], 0
.LBB47_972:
	s_and_b64 vcc, exec, s[8:9]
	s_cbranch_vccz .LBB47_975
; %bb.973:
	s_cmp_eq_u32 s17, 29
	s_mov_b64 s[2:3], -1
	s_cbranch_scc0 .LBB47_975
; %bb.974:
	v_bfe_i32 v2, v1, 0, 16
	v_ashrrev_i32_e32 v3, 31, v2
	global_store_dwordx2 v[4:5], v[2:3], off
	s_mov_b64 s[2:3], 0
.LBB47_975:
	s_mov_b64 s[8:9], 0
.LBB47_976:
	s_and_b64 vcc, exec, s[8:9]
	s_cbranch_vccz .LBB47_991
; %bb.977:
	s_cmp_lt_i32 s17, 27
	s_mov_b64 s[8:9], -1
	s_cbranch_scc1 .LBB47_983
; %bb.978:
	s_cmp_gt_i32 s17, 27
	s_cbranch_scc0 .LBB47_980
; %bb.979:
	v_bfe_i32 v2, v1, 0, 16
	s_mov_b64 s[8:9], 0
	global_store_dword v[4:5], v2, off
.LBB47_980:
	s_andn2_b64 vcc, exec, s[8:9]
	s_cbranch_vccnz .LBB47_982
; %bb.981:
	global_store_short v[4:5], v1, off
.LBB47_982:
	s_mov_b64 s[8:9], 0
.LBB47_983:
	s_andn2_b64 vcc, exec, s[8:9]
	s_cbranch_vccnz .LBB47_991
; %bb.984:
	v_cvt_f32_i32_sdwa v2, sext(v1) dst_sel:DWORD dst_unused:UNUSED_PAD src0_sel:WORD_0
	s_mov_b32 s8, 0x43800000
	v_mov_b32_e32 v6, 0x80
	v_and_b32_e32 v3, 0x7fffffff, v2
	v_cmp_gt_u32_e32 vcc, s8, v3
	s_and_saveexec_b64 s[8:9], vcc
	s_cbranch_execz .LBB47_990
; %bb.985:
	s_mov_b32 s10, 0x3bffffff
	v_cmp_lt_u32_e32 vcc, s10, v3
	s_mov_b64 s[10:11], 0
                                        ; implicit-def: $vgpr3
	s_and_saveexec_b64 s[12:13], vcc
	s_xor_b64 s[12:13], exec, s[12:13]
	s_cbranch_execz .LBB47_1144
; %bb.986:
	v_bfe_u32 v3, v2, 20, 1
	s_mov_b32 s14, 0x487ffff
	v_add3_u32 v3, v2, v3, s14
	s_mov_b64 s[10:11], exec
	v_lshrrev_b32_e32 v3, 20, v3
	s_andn2_saveexec_b64 s[12:13], s[12:13]
	s_cbranch_execnz .LBB47_1145
.LBB47_987:
	s_or_b64 exec, exec, s[12:13]
	v_mov_b32_e32 v6, 0
	s_and_saveexec_b64 s[12:13], s[10:11]
.LBB47_988:
	v_lshrrev_b32_e32 v2, 24, v2
	s_movk_i32 s10, 0x80
	v_and_or_b32 v6, v2, s10, v3
.LBB47_989:
	s_or_b64 exec, exec, s[12:13]
.LBB47_990:
	s_or_b64 exec, exec, s[8:9]
	global_store_byte v[4:5], v6, off
.LBB47_991:
	s_mov_b64 s[10:11], 0
.LBB47_992:
	s_mov_b64 s[8:9], 0
	s_and_b64 vcc, exec, s[10:11]
	s_cbranch_vccz .LBB47_1032
; %bb.993:
	s_cmp_gt_i32 s17, 22
	s_mov_b64 s[10:11], -1
	s_cbranch_scc0 .LBB47_1025
; %bb.994:
	s_cmp_lt_i32 s17, 24
	s_cbranch_scc1 .LBB47_1014
; %bb.995:
	s_cmp_gt_i32 s17, 24
	s_cbranch_scc0 .LBB47_1003
; %bb.996:
	v_cvt_f32_i32_sdwa v2, sext(v1) dst_sel:DWORD dst_unused:UNUSED_PAD src0_sel:WORD_0
	s_mov_b32 s10, 0x47800000
	v_mov_b32_e32 v6, 0x80
	v_and_b32_e32 v3, 0x7fffffff, v2
	v_cmp_gt_u32_e32 vcc, s10, v3
	s_and_saveexec_b64 s[10:11], vcc
	s_cbranch_execz .LBB47_1002
; %bb.997:
	s_mov_b32 s12, 0x37ffffff
	v_cmp_lt_u32_e32 vcc, s12, v3
	s_mov_b64 s[12:13], 0
                                        ; implicit-def: $vgpr3
	s_and_saveexec_b64 s[14:15], vcc
	s_xor_b64 s[14:15], exec, s[14:15]
	s_cbranch_execz .LBB47_1264
; %bb.998:
	v_bfe_u32 v3, v2, 21, 1
	s_mov_b32 s18, 0x88fffff
	v_add3_u32 v3, v2, v3, s18
	s_mov_b64 s[12:13], exec
	v_lshrrev_b32_e32 v3, 21, v3
	s_andn2_saveexec_b64 s[14:15], s[14:15]
	s_cbranch_execnz .LBB47_1265
.LBB47_999:
	s_or_b64 exec, exec, s[14:15]
	v_mov_b32_e32 v6, 0
	s_and_saveexec_b64 s[14:15], s[12:13]
.LBB47_1000:
	v_lshrrev_b32_e32 v2, 24, v2
	s_movk_i32 s12, 0x80
	v_and_or_b32 v6, v2, s12, v3
.LBB47_1001:
	s_or_b64 exec, exec, s[14:15]
.LBB47_1002:
	s_or_b64 exec, exec, s[10:11]
	s_mov_b64 s[10:11], 0
	global_store_byte v[4:5], v6, off
.LBB47_1003:
	s_and_b64 vcc, exec, s[10:11]
	s_cbranch_vccz .LBB47_1013
; %bb.1004:
	v_cvt_f32_i32_sdwa v2, sext(v1) dst_sel:DWORD dst_unused:UNUSED_PAD src0_sel:WORD_0
	s_mov_b32 s10, 0x43f00000
                                        ; implicit-def: $vgpr3
	v_and_b32_e32 v6, 0x7fffffff, v2
	v_cmp_gt_u32_e32 vcc, s10, v6
	s_and_saveexec_b64 s[10:11], vcc
	s_xor_b64 s[10:11], exec, s[10:11]
	s_cbranch_execz .LBB47_1010
; %bb.1005:
	s_mov_b32 s12, 0x3c7fffff
	v_cmp_lt_u32_e32 vcc, s12, v6
                                        ; implicit-def: $vgpr3
	s_and_saveexec_b64 s[12:13], vcc
	s_xor_b64 s[12:13], exec, s[12:13]
; %bb.1006:
	v_bfe_u32 v3, v2, 20, 1
	s_mov_b32 s14, 0x407ffff
	v_add3_u32 v3, v2, v3, s14
	v_lshrrev_b32_e32 v6, 20, v3
	v_and_b32_e32 v3, 0xff00000, v3
	s_mov_b32 s14, 0x7f00000
	v_mov_b32_e32 v7, 0x7e
	v_cmp_ne_u32_e32 vcc, s14, v3
	s_nop 1
	v_cndmask_b32_e32 v3, v7, v6, vcc
; %bb.1007:
	s_andn2_saveexec_b64 s[12:13], s[12:13]
; %bb.1008:
	s_mov_b32 s14, 0x46800000
	v_add_f32_e64 v3, |v2|, s14
; %bb.1009:
	s_or_b64 exec, exec, s[12:13]
                                        ; implicit-def: $vgpr6
.LBB47_1010:
	s_andn2_saveexec_b64 s[10:11], s[10:11]
; %bb.1011:
	s_mov_b32 s12, 0x7f800000
	v_mov_b32_e32 v3, 0x7e
	v_mov_b32_e32 v7, 0x7f
	v_cmp_lt_u32_e32 vcc, s12, v6
	s_nop 1
	v_cndmask_b32_e32 v3, v3, v7, vcc
; %bb.1012:
	s_or_b64 exec, exec, s[10:11]
	v_lshrrev_b32_e32 v2, 24, v2
	s_movk_i32 s10, 0x80
	v_and_or_b32 v2, v2, s10, v3
	global_store_byte v[4:5], v2, off
.LBB47_1013:
	s_mov_b64 s[10:11], 0
.LBB47_1014:
	s_andn2_b64 vcc, exec, s[10:11]
	s_cbranch_vccnz .LBB47_1024
; %bb.1015:
	v_cvt_f32_i32_sdwa v2, sext(v1) dst_sel:DWORD dst_unused:UNUSED_PAD src0_sel:WORD_0
	s_mov_b32 s10, 0x47800000
                                        ; implicit-def: $vgpr3
	v_and_b32_e32 v6, 0x7fffffff, v2
	v_cmp_gt_u32_e32 vcc, s10, v6
	s_and_saveexec_b64 s[10:11], vcc
	s_xor_b64 s[10:11], exec, s[10:11]
	s_cbranch_execz .LBB47_1021
; %bb.1016:
	s_mov_b32 s12, 0x387fffff
	v_cmp_lt_u32_e32 vcc, s12, v6
                                        ; implicit-def: $vgpr3
	s_and_saveexec_b64 s[12:13], vcc
	s_xor_b64 s[12:13], exec, s[12:13]
; %bb.1017:
	v_bfe_u32 v3, v2, 21, 1
	s_mov_b32 s14, 0x80fffff
	v_add3_u32 v3, v2, v3, s14
	v_lshrrev_b32_e32 v3, 21, v3
; %bb.1018:
	s_andn2_saveexec_b64 s[12:13], s[12:13]
; %bb.1019:
	s_mov_b32 s14, 0x43000000
	v_add_f32_e64 v3, |v2|, s14
; %bb.1020:
	s_or_b64 exec, exec, s[12:13]
                                        ; implicit-def: $vgpr6
.LBB47_1021:
	s_andn2_saveexec_b64 s[10:11], s[10:11]
; %bb.1022:
	s_mov_b32 s12, 0x7f800000
	v_mov_b32_e32 v3, 0x7c
	v_mov_b32_e32 v7, 0x7f
	v_cmp_lt_u32_e32 vcc, s12, v6
	s_nop 1
	v_cndmask_b32_e32 v3, v3, v7, vcc
; %bb.1023:
	s_or_b64 exec, exec, s[10:11]
	v_lshrrev_b32_e32 v2, 24, v2
	s_movk_i32 s10, 0x80
	v_and_or_b32 v2, v2, s10, v3
	global_store_byte v[4:5], v2, off
.LBB47_1024:
	s_mov_b64 s[10:11], 0
.LBB47_1025:
	s_andn2_b64 vcc, exec, s[10:11]
	s_mov_b64 s[10:11], 0
	s_cbranch_vccnz .LBB47_1033
; %bb.1026:
	s_cmp_gt_i32 s17, 14
	s_mov_b64 s[12:13], -1
	s_cbranch_scc0 .LBB47_1030
; %bb.1027:
	s_cmp_eq_u32 s17, 15
	s_mov_b64 s[2:3], -1
	s_cbranch_scc0 .LBB47_1029
; %bb.1028:
	v_cvt_f32_i32_sdwa v2, sext(v1) dst_sel:DWORD dst_unused:UNUSED_PAD src0_sel:WORD_0
	s_movk_i32 s2, 0x7fff
	v_bfe_u32 v3, v2, 16, 1
	v_add3_u32 v2, v2, v3, s2
	global_store_short_d16_hi v[4:5], v2, off
	s_mov_b64 s[2:3], 0
.LBB47_1029:
	s_mov_b64 s[12:13], 0
.LBB47_1030:
	s_and_b64 vcc, exec, s[12:13]
	s_cbranch_vccz .LBB47_1033
; %bb.1031:
	s_cmp_lg_u32 s17, 11
	s_cselect_b64 s[12:13], -1, 0
	s_andn2_b64 s[2:3], s[2:3], exec
	s_and_b64 s[12:13], s[12:13], exec
	s_mov_b64 s[10:11], -1
	s_or_b64 s[2:3], s[2:3], s[12:13]
	s_branch .LBB47_1033
.LBB47_1032:
	s_mov_b64 s[10:11], 0
.LBB47_1033:
	s_andn2_b64 s[12:13], s[54:55], exec
	s_and_b64 s[2:3], s[2:3], exec
	s_and_b64 s[8:9], s[8:9], exec
	;; [unrolled: 1-line block ×3, first 2 shown]
	s_or_b64 s[54:55], s[12:13], s[2:3]
	s_or_b64 exec, exec, s[6:7]
	s_and_saveexec_b64 s[2:3], s[54:55]
	s_cbranch_execz .LBB47_962
.LBB47_1034:
	s_or_b64 s[4:5], s[4:5], exec
	s_andn2_b64 s[10:11], s[10:11], exec
	s_trap 2
	s_or_b64 exec, exec, s[2:3]
	s_and_saveexec_b64 s[2:3], s[10:11]
	s_xor_b64 s[2:3], exec, s[2:3]
	s_cbranch_execnz .LBB47_963
.LBB47_1035:
	s_or_b64 exec, exec, s[2:3]
	s_and_saveexec_b64 s[2:3], s[8:9]
	s_xor_b64 s[2:3], exec, s[2:3]
	s_cbranch_execz .LBB47_1073
.LBB47_1036:
	s_sext_i32_i16 s8, s16
	s_cmp_lt_i32 s8, 5
	s_mov_b64 s[6:7], -1
	s_cbranch_scc1 .LBB47_1057
; %bb.1037:
	s_cmp_lt_i32 s8, 8
	s_cbranch_scc1 .LBB47_1047
; %bb.1038:
	s_cmp_lt_i32 s8, 9
	s_cbranch_scc1 .LBB47_1044
; %bb.1039:
	s_cmp_gt_i32 s8, 9
	s_cbranch_scc0 .LBB47_1041
; %bb.1040:
	s_waitcnt vmcnt(0)
	v_bfe_i32 v0, v1, 0, 16
	v_mov_b32_e32 v8, 0
	v_cvt_f64_i32_e32 v[6:7], v0
	v_mov_b32_e32 v9, v8
	s_mov_b64 s[6:7], 0
	global_store_dwordx4 v[4:5], v[6:9], off
.LBB47_1041:
	s_andn2_b64 vcc, exec, s[6:7]
	s_cbranch_vccnz .LBB47_1043
; %bb.1042:
	s_waitcnt vmcnt(0)
	v_cvt_f32_i32_sdwa v2, sext(v1) dst_sel:DWORD dst_unused:UNUSED_PAD src0_sel:WORD_0
	v_mov_b32_e32 v3, 0
	global_store_dwordx2 v[4:5], v[2:3], off
.LBB47_1043:
	s_mov_b64 s[6:7], 0
.LBB47_1044:
	s_andn2_b64 vcc, exec, s[6:7]
	s_cbranch_vccnz .LBB47_1046
; %bb.1045:
	s_waitcnt vmcnt(0)
	v_cvt_f16_i16_e32 v0, v1
	global_store_dword v[4:5], v0, off
.LBB47_1046:
	s_mov_b64 s[6:7], 0
.LBB47_1047:
	s_andn2_b64 vcc, exec, s[6:7]
	s_cbranch_vccnz .LBB47_1056
; %bb.1048:
	s_sext_i32_i16 s8, s16
	s_cmp_lt_i32 s8, 6
	s_mov_b64 s[6:7], -1
	s_cbranch_scc1 .LBB47_1054
; %bb.1049:
	s_cmp_gt_i32 s8, 6
	s_cbranch_scc0 .LBB47_1051
; %bb.1050:
	s_waitcnt vmcnt(0)
	v_bfe_i32 v0, v1, 0, 16
	v_cvt_f64_i32_e32 v[2:3], v0
	s_mov_b64 s[6:7], 0
	global_store_dwordx2 v[4:5], v[2:3], off
.LBB47_1051:
	s_andn2_b64 vcc, exec, s[6:7]
	s_cbranch_vccnz .LBB47_1053
; %bb.1052:
	s_waitcnt vmcnt(0)
	v_cvt_f32_i32_sdwa v0, sext(v1) dst_sel:DWORD dst_unused:UNUSED_PAD src0_sel:WORD_0
	global_store_dword v[4:5], v0, off
.LBB47_1053:
	s_mov_b64 s[6:7], 0
.LBB47_1054:
	s_andn2_b64 vcc, exec, s[6:7]
	s_cbranch_vccnz .LBB47_1056
; %bb.1055:
	s_waitcnt vmcnt(0)
	v_cvt_f16_i16_e32 v0, v1
	global_store_short v[4:5], v0, off
.LBB47_1056:
	s_mov_b64 s[6:7], 0
.LBB47_1057:
	s_andn2_b64 vcc, exec, s[6:7]
	s_cbranch_vccnz .LBB47_1073
; %bb.1058:
	s_sext_i32_i16 s8, s16
	s_cmp_lt_i32 s8, 2
	s_mov_b64 s[6:7], -1
	s_cbranch_scc1 .LBB47_1068
; %bb.1059:
	s_cmp_lt_i32 s8, 3
	s_cbranch_scc1 .LBB47_1065
; %bb.1060:
	s_cmp_gt_i32 s8, 3
	s_cbranch_scc0 .LBB47_1062
; %bb.1061:
	s_waitcnt vmcnt(0)
	v_bfe_i32 v2, v1, 0, 16
	v_ashrrev_i32_e32 v3, 31, v2
	s_mov_b64 s[6:7], 0
	global_store_dwordx2 v[4:5], v[2:3], off
.LBB47_1062:
	s_andn2_b64 vcc, exec, s[6:7]
	s_cbranch_vccnz .LBB47_1064
; %bb.1063:
	s_waitcnt vmcnt(0)
	v_bfe_i32 v0, v1, 0, 16
	global_store_dword v[4:5], v0, off
.LBB47_1064:
	s_mov_b64 s[6:7], 0
.LBB47_1065:
	s_andn2_b64 vcc, exec, s[6:7]
	s_cbranch_vccnz .LBB47_1067
; %bb.1066:
	s_waitcnt vmcnt(0)
	global_store_short v[4:5], v1, off
.LBB47_1067:
	s_mov_b64 s[6:7], 0
.LBB47_1068:
	s_andn2_b64 vcc, exec, s[6:7]
	s_cbranch_vccnz .LBB47_1073
; %bb.1069:
	s_sext_i32_i16 s6, s16
	s_cmp_gt_i32 s6, 0
	s_mov_b64 s[6:7], -1
	s_cbranch_scc0 .LBB47_1071
; %bb.1070:
	s_mov_b64 s[6:7], 0
	s_waitcnt vmcnt(0)
	global_store_byte v[4:5], v1, off
.LBB47_1071:
	s_andn2_b64 vcc, exec, s[6:7]
	s_cbranch_vccnz .LBB47_1073
; %bb.1072:
	s_waitcnt vmcnt(0)
	global_store_byte v[4:5], v1, off
.LBB47_1073:
	s_or_b64 exec, exec, s[2:3]
	s_waitcnt lgkmcnt(0)
	s_and_b64 s[24:25], s[4:5], exec
                                        ; implicit-def: $vgpr16
                                        ; implicit-def: $vgpr9
.LBB47_1074:
	s_or_saveexec_b64 s[26:27], s[44:45]
	s_mov_b64 s[6:7], 0
                                        ; implicit-def: $vgpr0_vgpr1
                                        ; implicit-def: $sgpr14
                                        ; implicit-def: $vgpr2
                                        ; implicit-def: $vgpr8
	s_xor_b64 exec, exec, s[26:27]
	s_cbranch_execz .LBB47_1515
; %bb.1075:
	s_waitcnt vmcnt(0)
	v_cndmask_b32_e64 v0, 0, 1, s[42:43]
	v_cmp_ne_u32_e64 s[2:3], 1, v0
	s_andn2_b64 vcc, exec, s[42:43]
	s_cbranch_vccnz .LBB47_1081
; %bb.1076:
	s_cmp_lg_u32 s33, 0
	s_mov_b32 s36, 0
	s_cbranch_scc0 .LBB47_1082
; %bb.1077:
	s_min_u32 s37, s72, 15
	s_add_i32 s37, s37, 1
	s_cmp_eq_u32 s72, 2
	s_cbranch_scc1 .LBB47_1083
; %bb.1078:
	s_and_b32 s36, s37, 28
	s_add_u32 s28, s34, 0xc4
	s_addc_u32 s29, s35, 0
	s_mov_b32 s38, 0
	v_mov_b32_e32 v6, 0
	v_mov_b32_e32 v14, 0
	s_mov_b64 s[30:31], s[34:35]
	v_mov_b32_e32 v0, v9
.LBB47_1079:                            ; =>This Inner Loop Header: Depth=1
	s_load_dwordx8 s[12:19], s[30:31], 0x4
	s_load_dwordx4 s[20:23], s[30:31], 0x24
	s_load_dwordx8 s[4:11], s[28:29], 0x0
	s_add_u32 s30, s30, 48
	s_addc_u32 s31, s31, 0
	s_waitcnt lgkmcnt(0)
	v_mul_hi_u32 v1, s13, v0
	v_add_u32_e32 v1, v0, v1
	v_lshrrev_b32_e32 v1, s14, v1
	v_mul_lo_u32 v2, v1, s12
	v_mul_hi_u32 v3, s16, v1
	v_sub_u32_e32 v0, v0, v2
	v_add_u32_e32 v2, v1, v3
	v_lshrrev_b32_e32 v2, s17, v2
	v_mul_lo_u32 v4, v2, s15
	v_mul_hi_u32 v5, s19, v2
	v_sub_u32_e32 v1, v1, v4
	v_add_u32_e32 v4, v2, v5
	v_mul_lo_u32 v3, v0, s5
	v_mul_lo_u32 v0, v0, s4
	;; [unrolled: 1-line block ×4, first 2 shown]
	v_lshrrev_b32_e32 v4, s20, v4
	v_add3_u32 v1, v0, v6, v1
	v_add3_u32 v3, v3, v14, v5
	v_mul_lo_u32 v0, v4, s18
	v_mul_hi_u32 v5, s22, v4
	v_sub_u32_e32 v0, v2, v0
	v_add_u32_e32 v2, v4, v5
	v_mul_lo_u32 v5, v0, s8
	v_mul_lo_u32 v6, v0, s9
	v_lshrrev_b32_e32 v0, s23, v2
	s_add_i32 s38, s38, 4
	v_mul_lo_u32 v2, v0, s21
	s_add_u32 s28, s28, 32
	v_sub_u32_e32 v2, v4, v2
	s_addc_u32 s29, s29, 0
	v_mul_lo_u32 v4, v2, s10
	v_mul_lo_u32 v2, v2, s11
	s_cmp_lg_u32 s36, s38
	v_add3_u32 v14, v6, v3, v2
	v_add3_u32 v6, v5, v1, v4
	s_cbranch_scc1 .LBB47_1079
; %bb.1080:
	v_mov_b32_e32 v1, v14
	s_and_b32 s8, s37, 3
	s_cmp_eq_u32 s8, 0
	s_cbranch_scc0 .LBB47_1084
	s_branch .LBB47_1086
.LBB47_1081:
                                        ; implicit-def: $vgpr14
                                        ; implicit-def: $vgpr6
	s_branch .LBB47_1087
.LBB47_1082:
	v_mov_b32_e32 v14, 0
	v_mov_b32_e32 v6, 0
	s_branch .LBB47_1086
.LBB47_1083:
	v_mov_b32_e32 v6, 0
                                        ; implicit-def: $vgpr14
	v_mov_b32_e32 v1, v6
	v_mov_b32_e32 v0, v9
	s_and_b32 s8, s37, 3
	s_cmp_eq_u32 s8, 0
	s_cbranch_scc1 .LBB47_1086
.LBB47_1084:
	s_lshl_b32 s4, s36, 3
	s_add_u32 s4, s34, s4
	s_addc_u32 s5, s35, 0
	s_add_u32 s4, s4, 0xc4
	s_addc_u32 s5, s5, 0
	s_mul_i32 s6, s36, 12
	s_add_u32 s6, s34, s6
	s_addc_u32 s7, s35, 0
.LBB47_1085:                            ; =>This Inner Loop Header: Depth=1
	s_load_dwordx2 s[10:11], s[6:7], 0x4
	s_load_dword s9, s[6:7], 0xc
	s_load_dwordx2 s[12:13], s[4:5], 0x0
	v_mov_b32_e32 v2, v1
	s_add_u32 s6, s6, 12
	s_waitcnt lgkmcnt(0)
	v_mul_hi_u32 v1, s11, v0
	v_add_u32_e32 v1, v0, v1
	v_lshrrev_b32_e32 v1, s9, v1
	s_addc_u32 s7, s7, 0
	v_mul_lo_u32 v3, v1, s10
	s_add_u32 s4, s4, 8
	v_sub_u32_e32 v3, v0, v3
	s_addc_u32 s5, s5, 0
	s_add_i32 s8, s8, -1
	v_mad_u64_u32 v[14:15], s[10:11], v3, s13, v[2:3]
	s_cmp_lg_u32 s8, 0
	v_mov_b32_e32 v0, v1
	v_mad_u64_u32 v[6:7], s[10:11], v3, s12, v[6:7]
	v_mov_b32_e32 v1, v14
	s_cbranch_scc1 .LBB47_1085
.LBB47_1086:
	s_cbranch_execnz .LBB47_1089
.LBB47_1087:
	s_load_dwordx4 s[4:7], s[34:35], 0x4
	s_load_dwordx2 s[8:9], s[34:35], 0xc4
	s_cmp_lt_u32 s33, 2
	s_waitcnt lgkmcnt(0)
	v_mul_hi_u32 v0, s5, v9
	v_add_u32_e32 v0, v9, v0
	v_lshrrev_b32_e32 v0, s6, v0
	v_mul_lo_u32 v1, v0, s4
	v_sub_u32_e32 v1, v9, v1
	v_mul_lo_u32 v14, v1, s9
	v_mul_lo_u32 v6, v1, s8
	s_cbranch_scc1 .LBB47_1089
; %bb.1088:
	s_load_dwordx4 s[4:7], s[34:35], 0x10
	s_load_dwordx2 s[8:9], s[34:35], 0xcc
	s_waitcnt lgkmcnt(0)
	v_mul_hi_u32 v1, s5, v0
	v_add_u32_e32 v1, v0, v1
	v_lshrrev_b32_e32 v1, s6, v1
	v_mul_lo_u32 v1, v1, s4
	v_sub_u32_e32 v0, v0, v1
	v_mad_u64_u32 v[6:7], s[4:5], v0, s8, v[6:7]
	v_mad_u64_u32 v[14:15], s[4:5], v0, s9, v[14:15]
.LBB47_1089:
	s_and_b64 vcc, exec, s[2:3]
	v_add_u32_e32 v0, 0x80, v9
	s_cbranch_vccnz .LBB47_1095
; %bb.1090:
	s_cmp_lg_u32 s33, 0
	s_mov_b32 s36, 0
	s_cbranch_scc0 .LBB47_1096
; %bb.1091:
	s_min_u32 s37, s72, 15
	s_add_i32 s37, s37, 1
	s_cmp_eq_u32 s72, 2
	s_cbranch_scc1 .LBB47_1097
; %bb.1092:
	s_and_b32 s36, s37, 28
	s_add_u32 s28, s34, 0xc4
	s_addc_u32 s29, s35, 0
	s_mov_b32 s38, 0
	v_mov_b32_e32 v4, 0
	v_mov_b32_e32 v12, 0
	s_mov_b64 s[30:31], s[34:35]
	v_mov_b32_e32 v2, v0
.LBB47_1093:                            ; =>This Inner Loop Header: Depth=1
	s_load_dwordx8 s[12:19], s[30:31], 0x4
	s_load_dwordx4 s[20:23], s[30:31], 0x24
	s_load_dwordx8 s[4:11], s[28:29], 0x0
	s_add_u32 s30, s30, 48
	s_addc_u32 s31, s31, 0
	s_waitcnt lgkmcnt(0)
	v_mul_hi_u32 v1, s13, v2
	v_add_u32_e32 v1, v2, v1
	v_lshrrev_b32_e32 v1, s14, v1
	v_mul_lo_u32 v3, v1, s12
	v_mul_hi_u32 v5, s16, v1
	v_sub_u32_e32 v2, v2, v3
	v_add_u32_e32 v3, v1, v5
	v_lshrrev_b32_e32 v3, s17, v3
	v_mul_lo_u32 v7, v3, s15
	v_mul_hi_u32 v8, s19, v3
	v_sub_u32_e32 v1, v1, v7
	v_add_u32_e32 v7, v3, v8
	v_mul_lo_u32 v5, v2, s5
	v_mul_lo_u32 v2, v2, s4
	;; [unrolled: 1-line block ×4, first 2 shown]
	v_lshrrev_b32_e32 v7, s20, v7
	v_add3_u32 v1, v2, v4, v1
	v_add3_u32 v4, v5, v12, v8
	v_mul_lo_u32 v2, v7, s18
	v_mul_hi_u32 v5, s22, v7
	v_sub_u32_e32 v2, v3, v2
	v_add_u32_e32 v3, v7, v5
	v_mul_lo_u32 v5, v2, s8
	v_mul_lo_u32 v8, v2, s9
	v_lshrrev_b32_e32 v2, s23, v3
	s_add_i32 s38, s38, 4
	v_mul_lo_u32 v3, v2, s21
	s_add_u32 s28, s28, 32
	v_sub_u32_e32 v3, v7, v3
	s_addc_u32 s29, s29, 0
	v_mul_lo_u32 v7, v3, s10
	v_mul_lo_u32 v3, v3, s11
	s_cmp_lg_u32 s36, s38
	v_add3_u32 v12, v8, v4, v3
	v_add3_u32 v4, v5, v1, v7
	s_cbranch_scc1 .LBB47_1093
; %bb.1094:
	v_mov_b32_e32 v1, v12
	s_and_b32 s8, s37, 3
	s_cmp_eq_u32 s8, 0
	s_cbranch_scc0 .LBB47_1098
	s_branch .LBB47_1100
.LBB47_1095:
                                        ; implicit-def: $vgpr12
                                        ; implicit-def: $vgpr4
	s_branch .LBB47_1101
.LBB47_1096:
	v_mov_b32_e32 v12, 0
	v_mov_b32_e32 v4, 0
	s_branch .LBB47_1100
.LBB47_1097:
	v_mov_b32_e32 v4, 0
                                        ; implicit-def: $vgpr12
	v_mov_b32_e32 v1, v4
	v_mov_b32_e32 v2, v0
	s_and_b32 s8, s37, 3
	s_cmp_eq_u32 s8, 0
	s_cbranch_scc1 .LBB47_1100
.LBB47_1098:
	s_lshl_b32 s4, s36, 3
	s_add_u32 s4, s34, s4
	s_addc_u32 s5, s35, 0
	s_add_u32 s4, s4, 0xc4
	s_addc_u32 s5, s5, 0
	s_mul_i32 s6, s36, 12
	s_add_u32 s6, s34, s6
	s_addc_u32 s7, s35, 0
.LBB47_1099:                            ; =>This Inner Loop Header: Depth=1
	s_load_dwordx2 s[10:11], s[6:7], 0x4
	s_load_dword s9, s[6:7], 0xc
	s_load_dwordx2 s[12:13], s[4:5], 0x0
	v_mov_b32_e32 v8, v1
	s_add_u32 s6, s6, 12
	s_waitcnt lgkmcnt(0)
	v_mul_hi_u32 v1, s11, v2
	v_add_u32_e32 v1, v2, v1
	v_lshrrev_b32_e32 v1, s9, v1
	s_addc_u32 s7, s7, 0
	v_mul_lo_u32 v3, v1, s10
	s_add_u32 s4, s4, 8
	v_sub_u32_e32 v3, v2, v3
	s_addc_u32 s5, s5, 0
	s_add_i32 s8, s8, -1
	v_mad_u64_u32 v[12:13], s[10:11], v3, s13, v[8:9]
	s_cmp_lg_u32 s8, 0
	v_mov_b32_e32 v2, v1
	v_mad_u64_u32 v[4:5], s[10:11], v3, s12, v[4:5]
	v_mov_b32_e32 v1, v12
	s_cbranch_scc1 .LBB47_1099
.LBB47_1100:
	s_cbranch_execnz .LBB47_1103
.LBB47_1101:
	s_load_dwordx4 s[4:7], s[34:35], 0x4
	s_load_dwordx2 s[8:9], s[34:35], 0xc4
	s_cmp_lt_u32 s33, 2
	s_waitcnt lgkmcnt(0)
	v_mul_hi_u32 v1, s5, v0
	v_add_u32_e32 v1, v0, v1
	v_lshrrev_b32_e32 v1, s6, v1
	v_mul_lo_u32 v2, v1, s4
	v_sub_u32_e32 v0, v0, v2
	v_mul_lo_u32 v12, v0, s9
	v_mul_lo_u32 v4, v0, s8
	s_cbranch_scc1 .LBB47_1103
; %bb.1102:
	s_load_dwordx4 s[4:7], s[34:35], 0x10
	s_load_dwordx2 s[8:9], s[34:35], 0xcc
	s_waitcnt lgkmcnt(0)
	v_mul_hi_u32 v0, s5, v1
	v_add_u32_e32 v0, v1, v0
	v_lshrrev_b32_e32 v0, s6, v0
	v_mul_lo_u32 v0, v0, s4
	v_sub_u32_e32 v0, v1, v0
	v_mad_u64_u32 v[4:5], s[4:5], v0, s8, v[4:5]
	v_mad_u64_u32 v[12:13], s[4:5], v0, s9, v[12:13]
.LBB47_1103:
	s_and_b64 vcc, exec, s[2:3]
	v_add_u32_e32 v0, 0x100, v9
	s_cbranch_vccnz .LBB47_1109
; %bb.1104:
	s_cmp_lg_u32 s33, 0
	s_mov_b32 s36, 0
	s_cbranch_scc0 .LBB47_1110
; %bb.1105:
	s_min_u32 s37, s72, 15
	s_add_i32 s37, s37, 1
	s_cmp_eq_u32 s72, 2
	s_cbranch_scc1 .LBB47_1111
; %bb.1106:
	s_and_b32 s36, s37, 28
	s_add_u32 s28, s34, 0xc4
	s_addc_u32 s29, s35, 0
	s_mov_b32 s38, 0
	v_mov_b32_e32 v2, 0
	v_mov_b32_e32 v10, 0
	s_mov_b64 s[30:31], s[34:35]
	v_mov_b32_e32 v5, v0
.LBB47_1107:                            ; =>This Inner Loop Header: Depth=1
	s_load_dwordx8 s[12:19], s[30:31], 0x4
	s_load_dwordx4 s[20:23], s[30:31], 0x24
	s_load_dwordx8 s[4:11], s[28:29], 0x0
	s_add_u32 s30, s30, 48
	s_addc_u32 s31, s31, 0
	s_waitcnt lgkmcnt(0)
	v_mul_hi_u32 v1, s13, v5
	v_add_u32_e32 v1, v5, v1
	v_lshrrev_b32_e32 v1, s14, v1
	v_mul_lo_u32 v3, v1, s12
	v_mul_hi_u32 v7, s16, v1
	v_sub_u32_e32 v3, v5, v3
	v_add_u32_e32 v5, v1, v7
	v_lshrrev_b32_e32 v5, s17, v5
	v_mul_lo_u32 v8, v5, s15
	v_mul_hi_u32 v9, s19, v5
	v_sub_u32_e32 v1, v1, v8
	v_add_u32_e32 v8, v5, v9
	v_mul_lo_u32 v7, v3, s5
	v_mul_lo_u32 v3, v3, s4
	;; [unrolled: 1-line block ×4, first 2 shown]
	v_lshrrev_b32_e32 v8, s20, v8
	v_add3_u32 v1, v3, v2, v1
	v_add3_u32 v2, v7, v10, v9
	v_mul_lo_u32 v3, v8, s18
	v_mul_hi_u32 v7, s22, v8
	v_sub_u32_e32 v3, v5, v3
	v_add_u32_e32 v5, v8, v7
	v_lshrrev_b32_e32 v5, s23, v5
	s_add_i32 s38, s38, 4
	v_mul_lo_u32 v9, v5, s21
	s_add_u32 s28, s28, 32
	v_sub_u32_e32 v8, v8, v9
	s_addc_u32 s29, s29, 0
	v_mul_lo_u32 v7, v3, s8
	v_mul_lo_u32 v3, v3, s9
	;; [unrolled: 1-line block ×4, first 2 shown]
	s_cmp_lg_u32 s36, s38
	v_add3_u32 v10, v3, v2, v8
	v_add3_u32 v2, v7, v1, v9
	s_cbranch_scc1 .LBB47_1107
; %bb.1108:
	v_mov_b32_e32 v1, v10
	s_and_b32 s8, s37, 3
	s_cmp_eq_u32 s8, 0
	s_cbranch_scc0 .LBB47_1112
	s_branch .LBB47_1114
.LBB47_1109:
                                        ; implicit-def: $vgpr10
                                        ; implicit-def: $vgpr2
	s_branch .LBB47_1115
.LBB47_1110:
	v_mov_b32_e32 v10, 0
	v_mov_b32_e32 v2, 0
	s_branch .LBB47_1114
.LBB47_1111:
	v_mov_b32_e32 v2, 0
                                        ; implicit-def: $vgpr10
	v_mov_b32_e32 v1, v2
	v_mov_b32_e32 v5, v0
	s_and_b32 s8, s37, 3
	s_cmp_eq_u32 s8, 0
	s_cbranch_scc1 .LBB47_1114
.LBB47_1112:
	s_lshl_b32 s4, s36, 3
	s_add_u32 s4, s34, s4
	s_addc_u32 s5, s35, 0
	s_add_u32 s4, s4, 0xc4
	s_addc_u32 s5, s5, 0
	s_mul_i32 s6, s36, 12
	s_add_u32 s6, s34, s6
	s_addc_u32 s7, s35, 0
.LBB47_1113:                            ; =>This Inner Loop Header: Depth=1
	s_load_dwordx2 s[10:11], s[6:7], 0x4
	s_load_dword s9, s[6:7], 0xc
	s_load_dwordx2 s[12:13], s[4:5], 0x0
	v_mov_b32_e32 v8, v1
	s_add_u32 s6, s6, 12
	s_waitcnt lgkmcnt(0)
	v_mul_hi_u32 v1, s11, v5
	v_add_u32_e32 v1, v5, v1
	v_lshrrev_b32_e32 v1, s9, v1
	s_addc_u32 s7, s7, 0
	v_mul_lo_u32 v3, v1, s10
	s_add_u32 s4, s4, 8
	v_sub_u32_e32 v3, v5, v3
	s_addc_u32 s5, s5, 0
	s_add_i32 s8, s8, -1
	v_mad_u64_u32 v[10:11], s[10:11], v3, s13, v[8:9]
	s_cmp_lg_u32 s8, 0
	v_mov_b32_e32 v5, v1
	v_mad_u64_u32 v[2:3], s[10:11], v3, s12, v[2:3]
	v_mov_b32_e32 v1, v10
	s_cbranch_scc1 .LBB47_1113
.LBB47_1114:
	s_cbranch_execnz .LBB47_1117
.LBB47_1115:
	s_load_dwordx4 s[4:7], s[34:35], 0x4
	s_load_dwordx2 s[8:9], s[34:35], 0xc4
	s_cmp_lt_u32 s33, 2
	s_waitcnt lgkmcnt(0)
	v_mul_hi_u32 v1, s5, v0
	v_add_u32_e32 v1, v0, v1
	v_lshrrev_b32_e32 v1, s6, v1
	v_mul_lo_u32 v2, v1, s4
	v_sub_u32_e32 v0, v0, v2
	v_mul_lo_u32 v10, v0, s9
	v_mul_lo_u32 v2, v0, s8
	s_cbranch_scc1 .LBB47_1117
; %bb.1116:
	s_load_dwordx4 s[4:7], s[34:35], 0x10
	s_load_dwordx2 s[8:9], s[34:35], 0xcc
	s_waitcnt lgkmcnt(0)
	v_mul_hi_u32 v0, s5, v1
	v_add_u32_e32 v0, v1, v0
	v_lshrrev_b32_e32 v0, s6, v0
	v_mul_lo_u32 v0, v0, s4
	v_sub_u32_e32 v0, v1, v0
	v_mad_u64_u32 v[2:3], s[4:5], v0, s8, v[2:3]
	v_mad_u64_u32 v[10:11], s[4:5], v0, s9, v[10:11]
.LBB47_1117:
	s_and_b64 vcc, exec, s[2:3]
	s_cbranch_vccnz .LBB47_1123
; %bb.1118:
	s_cmp_lg_u32 s33, 0
	s_mov_b32 s30, 0
	s_cbranch_scc0 .LBB47_1124
; %bb.1119:
	s_min_u32 s31, s72, 15
	s_add_i32 s31, s31, 1
	s_cmp_eq_u32 s72, 2
	s_cbranch_scc1 .LBB47_1125
; %bb.1120:
	s_and_b32 s30, s31, 28
	s_add_u32 s2, s34, 0xc4
	s_addc_u32 s3, s35, 0
	s_mov_b32 s36, 0
	v_mov_b32_e32 v0, 0
	v_mov_b32_e32 v8, 0
	s_mov_b64 s[28:29], s[34:35]
	v_mov_b32_e32 v3, v16
.LBB47_1121:                            ; =>This Inner Loop Header: Depth=1
	s_load_dwordx8 s[12:19], s[28:29], 0x4
	s_load_dwordx4 s[20:23], s[28:29], 0x24
	s_load_dwordx8 s[4:11], s[2:3], 0x0
	s_add_u32 s28, s28, 48
	s_addc_u32 s29, s29, 0
	s_waitcnt lgkmcnt(0)
	v_mul_hi_u32 v1, s13, v3
	v_add_u32_e32 v1, v3, v1
	v_lshrrev_b32_e32 v1, s14, v1
	v_mul_lo_u32 v5, v1, s12
	v_mul_hi_u32 v7, s16, v1
	v_sub_u32_e32 v3, v3, v5
	v_add_u32_e32 v5, v1, v7
	v_lshrrev_b32_e32 v5, s17, v5
	v_mul_lo_u32 v9, v5, s15
	v_mul_hi_u32 v11, s19, v5
	v_sub_u32_e32 v1, v1, v9
	v_add_u32_e32 v9, v5, v11
	v_mul_lo_u32 v7, v3, s5
	v_mul_lo_u32 v3, v3, s4
	;; [unrolled: 1-line block ×4, first 2 shown]
	v_lshrrev_b32_e32 v9, s20, v9
	v_add3_u32 v0, v3, v0, v1
	v_add3_u32 v1, v7, v8, v11
	v_mul_lo_u32 v3, v9, s18
	v_mul_hi_u32 v7, s22, v9
	v_sub_u32_e32 v3, v5, v3
	v_add_u32_e32 v5, v9, v7
	v_mul_lo_u32 v7, v3, s8
	v_mul_lo_u32 v8, v3, s9
	v_lshrrev_b32_e32 v3, s23, v5
	s_add_i32 s36, s36, 4
	v_mul_lo_u32 v5, v3, s21
	s_add_u32 s2, s2, 32
	v_sub_u32_e32 v5, v9, v5
	s_addc_u32 s3, s3, 0
	v_mul_lo_u32 v9, v5, s10
	v_mul_lo_u32 v5, v5, s11
	s_cmp_lg_u32 s30, s36
	v_add3_u32 v8, v8, v1, v5
	v_add3_u32 v0, v7, v0, v9
	s_cbranch_scc1 .LBB47_1121
; %bb.1122:
	v_mov_b32_e32 v1, v8
	s_and_b32 s6, s31, 3
	s_cmp_eq_u32 s6, 0
	s_cbranch_scc0 .LBB47_1126
	s_branch .LBB47_1128
.LBB47_1123:
                                        ; implicit-def: $vgpr8
                                        ; implicit-def: $vgpr0
	s_branch .LBB47_1129
.LBB47_1124:
	v_mov_b32_e32 v8, 0
	v_mov_b32_e32 v0, 0
	s_branch .LBB47_1128
.LBB47_1125:
	v_mov_b32_e32 v0, 0
                                        ; implicit-def: $vgpr8
	v_mov_b32_e32 v1, v0
	v_mov_b32_e32 v3, v16
	s_and_b32 s6, s31, 3
	s_cmp_eq_u32 s6, 0
	s_cbranch_scc1 .LBB47_1128
.LBB47_1126:
	s_lshl_b32 s2, s30, 3
	s_add_u32 s2, s34, s2
	s_addc_u32 s3, s35, 0
	s_add_u32 s2, s2, 0xc4
	s_addc_u32 s3, s3, 0
	s_mul_i32 s4, s30, 12
	s_add_u32 s4, s34, s4
	s_addc_u32 s5, s35, 0
.LBB47_1127:                            ; =>This Inner Loop Header: Depth=1
	s_load_dwordx2 s[8:9], s[4:5], 0x4
	s_load_dword s7, s[4:5], 0xc
	s_load_dwordx2 s[10:11], s[2:3], 0x0
	v_mov_b32_e32 v8, v1
	s_add_u32 s4, s4, 12
	s_waitcnt lgkmcnt(0)
	v_mul_hi_u32 v1, s9, v3
	v_add_u32_e32 v1, v3, v1
	v_lshrrev_b32_e32 v1, s7, v1
	s_addc_u32 s5, s5, 0
	v_mul_lo_u32 v5, v1, s8
	s_add_u32 s2, s2, 8
	v_sub_u32_e32 v5, v3, v5
	s_addc_u32 s3, s3, 0
	s_add_i32 s6, s6, -1
	v_mov_b32_e32 v3, v1
	v_mad_u64_u32 v[8:9], s[8:9], v5, s11, v[8:9]
	v_mad_u64_u32 v[0:1], s[8:9], v5, s10, v[0:1]
	s_cmp_lg_u32 s6, 0
	v_mov_b32_e32 v1, v8
	s_cbranch_scc1 .LBB47_1127
.LBB47_1128:
	s_cbranch_execnz .LBB47_1131
.LBB47_1129:
	s_load_dwordx4 s[4:7], s[34:35], 0x4
	s_load_dwordx2 s[2:3], s[34:35], 0xc4
	s_cmp_lt_u32 s33, 2
	s_waitcnt lgkmcnt(0)
	v_mul_hi_u32 v0, s5, v16
	v_add_u32_e32 v0, v16, v0
	v_lshrrev_b32_e32 v1, s6, v0
	v_mul_lo_u32 v0, v1, s4
	v_sub_u32_e32 v0, v16, v0
	v_mul_lo_u32 v8, v0, s3
	v_mul_lo_u32 v0, v0, s2
	s_cbranch_scc1 .LBB47_1131
; %bb.1130:
	s_load_dwordx4 s[4:7], s[34:35], 0x10
	s_load_dwordx2 s[2:3], s[34:35], 0xcc
	s_waitcnt lgkmcnt(0)
	v_mul_hi_u32 v3, s5, v1
	v_add_u32_e32 v3, v1, v3
	v_lshrrev_b32_e32 v3, s6, v3
	v_mul_lo_u32 v3, v3, s4
	v_sub_u32_e32 v3, v1, v3
	v_mad_u64_u32 v[0:1], s[4:5], v3, s2, v[0:1]
	v_mad_u64_u32 v[8:9], s[2:3], v3, s3, v[8:9]
.LBB47_1131:
	s_load_dword s14, s[0:1], 0x160
	s_load_dwordx4 s[4:7], s[34:35], 0x148
	v_mov_b32_e32 v15, 0
	s_waitcnt lgkmcnt(0)
	s_bfe_u32 s12, s14, 0x80010
	s_cmp_lt_i32 s12, 11
	v_lshl_add_u64 v[16:17], s[6:7], 0, v[14:15]
	s_cbranch_scc1 .LBB47_1138
; %bb.1132:
	s_and_b32 s13, 0xffff, s12
	s_cmp_gt_i32 s13, 25
	s_mov_b64 s[8:9], 0
	s_cbranch_scc0 .LBB47_1140
; %bb.1133:
	s_cmp_gt_i32 s13, 28
	s_cbranch_scc0 .LBB47_1141
; %bb.1134:
	s_cmp_gt_i32 s13, 43
	;; [unrolled: 3-line block ×3, first 2 shown]
	s_cbranch_scc0 .LBB47_1143
; %bb.1136:
	s_cmp_eq_u32 s13, 46
	s_mov_b64 s[2:3], 0
	s_cbranch_scc0 .LBB47_1146
; %bb.1137:
	global_load_dword v1, v[16:17], off
	s_mov_b64 s[0:1], 0
	s_mov_b64 s[10:11], -1
	s_waitcnt vmcnt(0)
	v_lshlrev_b32_e32 v1, 16, v1
	v_cvt_i32_f32_e32 v14, v1
	s_branch .LBB47_1147
.LBB47_1138:
	s_mov_b64 s[10:11], 0
                                        ; implicit-def: $vgpr14
	s_mov_b64 s[2:3], s[24:25]
	s_cbranch_execnz .LBB47_1205
.LBB47_1139:
	s_andn2_b64 vcc, exec, s[10:11]
	s_cbranch_vccz .LBB47_1250
	s_branch .LBB47_1512
.LBB47_1140:
	s_mov_b64 s[10:11], 0
	s_mov_b64 s[0:1], 0
                                        ; implicit-def: $vgpr14
	s_cbranch_execnz .LBB47_1172
	s_branch .LBB47_1201
.LBB47_1141:
	s_mov_b64 s[10:11], 0
	s_mov_b64 s[0:1], 0
                                        ; implicit-def: $vgpr14
	s_cbranch_execz .LBB47_1171
	s_branch .LBB47_1156
.LBB47_1142:
	s_mov_b64 s[10:11], 0
	s_mov_b64 s[0:1], 0
                                        ; implicit-def: $vgpr14
	s_cbranch_execnz .LBB47_1152
	s_branch .LBB47_1155
.LBB47_1143:
	s_mov_b64 s[2:3], -1
	s_mov_b64 s[10:11], 0
	s_mov_b64 s[0:1], 0
                                        ; implicit-def: $vgpr14
	s_branch .LBB47_1147
.LBB47_1144:
	s_andn2_saveexec_b64 s[12:13], s[12:13]
	s_cbranch_execz .LBB47_987
.LBB47_1145:
	s_mov_b32 s14, 0x46000000
	v_add_f32_e64 v3, |v2|, s14
	v_and_b32_e32 v3, 0xff, v3
	v_cmp_ne_u32_e32 vcc, 0, v3
	s_andn2_b64 s[10:11], s[10:11], exec
	s_and_b64 s[14:15], vcc, exec
	s_or_b64 s[10:11], s[10:11], s[14:15]
	s_or_b64 exec, exec, s[12:13]
	v_mov_b32_e32 v6, 0
	s_and_saveexec_b64 s[12:13], s[10:11]
	s_cbranch_execnz .LBB47_988
	s_branch .LBB47_989
.LBB47_1146:
	s_mov_b64 s[0:1], -1
                                        ; implicit-def: $vgpr14
	s_mov_b64 s[10:11], 0
.LBB47_1147:
	s_and_b64 vcc, exec, s[2:3]
	s_cbranch_vccz .LBB47_1150
; %bb.1148:
	s_cmp_eq_u32 s13, 44
	s_cbranch_scc0 .LBB47_1151
; %bb.1149:
	global_load_ubyte v1, v[16:17], off
	s_mov_b64 s[0:1], 0
	s_mov_b64 s[10:11], -1
	s_waitcnt vmcnt(0)
	v_lshlrev_b32_e32 v3, 23, v1
	v_cvt_i32_f32_e32 v3, v3
	v_cmp_ne_u32_e32 vcc, 0, v1
	s_nop 1
	v_cndmask_b32_e32 v14, 0, v3, vcc
.LBB47_1150:
	s_branch .LBB47_1155
.LBB47_1151:
	s_mov_b64 s[0:1], -1
                                        ; implicit-def: $vgpr14
	s_branch .LBB47_1155
.LBB47_1152:
	s_cmp_eq_u32 s13, 29
	s_cbranch_scc0 .LBB47_1154
; %bb.1153:
	global_load_dwordx2 v[14:15], v[16:17], off
	s_mov_b64 s[0:1], 0
	s_mov_b64 s[10:11], -1
	s_branch .LBB47_1155
.LBB47_1154:
	s_mov_b64 s[0:1], -1
                                        ; implicit-def: $vgpr14
.LBB47_1155:
	s_branch .LBB47_1171
.LBB47_1156:
	s_cmp_lt_i32 s13, 27
	s_cbranch_scc1 .LBB47_1159
; %bb.1157:
	s_cmp_gt_i32 s13, 27
	s_cbranch_scc0 .LBB47_1160
; %bb.1158:
	global_load_dword v14, v[16:17], off
	s_mov_b64 s[2:3], 0
	s_branch .LBB47_1161
.LBB47_1159:
	s_mov_b64 s[2:3], -1
                                        ; implicit-def: $vgpr14
	s_branch .LBB47_1164
.LBB47_1160:
	s_mov_b64 s[2:3], -1
                                        ; implicit-def: $vgpr14
.LBB47_1161:
	s_andn2_b64 vcc, exec, s[2:3]
	s_cbranch_vccnz .LBB47_1163
; %bb.1162:
	global_load_ushort v14, v[16:17], off
.LBB47_1163:
	s_mov_b64 s[2:3], 0
.LBB47_1164:
	s_andn2_b64 vcc, exec, s[2:3]
	s_cbranch_vccnz .LBB47_1170
; %bb.1165:
	global_load_ubyte v1, v[16:17], off
	s_movk_i32 s2, 0x7f
	s_mov_b64 s[10:11], 0
	s_waitcnt vmcnt(0)
	v_cmp_lt_i16_e32 vcc, s2, v1
	s_and_saveexec_b64 s[2:3], vcc
	s_xor_b64 s[2:3], exec, s[2:3]
	s_cbranch_execz .LBB47_1181
; %bb.1166:
	s_movk_i32 s10, 0x80
	v_cmp_ne_u16_e32 vcc, s10, v1
	s_and_b64 s[10:11], vcc, exec
	s_andn2_saveexec_b64 s[2:3], s[2:3]
	s_cbranch_execnz .LBB47_1182
.LBB47_1167:
	s_or_b64 exec, exec, s[2:3]
	v_mov_b32_e32 v14, 0
	s_and_saveexec_b64 s[2:3], s[10:11]
	s_cbranch_execz .LBB47_1169
.LBB47_1168:
	v_lshlrev_b32_e32 v3, 24, v1
	v_and_b32_e32 v1, 0xffff, v1
	v_and_b32_e32 v5, 7, v1
	v_ffbh_u32_e32 v9, v5
	v_min_u32_e32 v9, 32, v9
	v_subrev_u32_e32 v11, 28, v9
	v_bfe_u32 v7, v1, 3, 4
	v_lshlrev_b32_e32 v1, v11, v1
	v_sub_u32_e32 v9, 29, v9
	v_and_b32_e32 v1, 7, v1
	v_cmp_eq_u32_e32 vcc, 0, v7
	v_and_b32_e32 v3, 0x80000000, v3
	s_nop 0
	v_cndmask_b32_e32 v7, v7, v9, vcc
	v_cndmask_b32_e32 v1, v5, v1, vcc
	v_mov_b32_e32 v5, 0x3b800000
	v_lshlrev_b32_e32 v1, 20, v1
	v_lshl_add_u32 v5, v7, 23, v5
	v_or3_b32 v1, v3, v5, v1
	v_cvt_i32_f32_e32 v14, v1
.LBB47_1169:
	s_or_b64 exec, exec, s[2:3]
.LBB47_1170:
	s_mov_b64 s[10:11], -1
.LBB47_1171:
	s_branch .LBB47_1201
.LBB47_1172:
	s_cmp_gt_i32 s13, 22
	s_cbranch_scc0 .LBB47_1180
; %bb.1173:
	s_cmp_lt_i32 s13, 24
	s_cbranch_scc1 .LBB47_1183
; %bb.1174:
	s_cmp_gt_i32 s13, 24
	s_cbranch_scc0 .LBB47_1184
; %bb.1175:
	global_load_ubyte v1, v[16:17], off
	s_movk_i32 s2, 0x7f
	s_waitcnt vmcnt(0)
	v_cmp_lt_i16_e32 vcc, s2, v1
	s_and_saveexec_b64 s[2:3], vcc
	s_xor_b64 s[2:3], exec, s[2:3]
	s_cbranch_execz .LBB47_1195
; %bb.1176:
	s_movk_i32 s8, 0x80
	v_cmp_ne_u16_e32 vcc, s8, v1
	s_and_b64 s[8:9], vcc, exec
	s_andn2_saveexec_b64 s[2:3], s[2:3]
	s_cbranch_execnz .LBB47_1196
.LBB47_1177:
	s_or_b64 exec, exec, s[2:3]
	v_mov_b32_e32 v14, 0
	s_and_saveexec_b64 s[2:3], s[8:9]
	s_cbranch_execz .LBB47_1179
.LBB47_1178:
	v_lshlrev_b32_e32 v3, 24, v1
	v_and_b32_e32 v1, 0xffff, v1
	v_and_b32_e32 v5, 3, v1
	v_ffbh_u32_e32 v9, v5
	v_min_u32_e32 v9, 32, v9
	v_subrev_u32_e32 v11, 29, v9
	v_bfe_u32 v7, v1, 2, 5
	v_lshlrev_b32_e32 v1, v11, v1
	v_sub_u32_e32 v9, 30, v9
	v_and_b32_e32 v1, 3, v1
	v_cmp_eq_u32_e32 vcc, 0, v7
	v_and_b32_e32 v3, 0x80000000, v3
	s_nop 0
	v_cndmask_b32_e32 v7, v7, v9, vcc
	v_cndmask_b32_e32 v1, v5, v1, vcc
	v_mov_b32_e32 v5, 0x37800000
	v_lshlrev_b32_e32 v1, 21, v1
	v_lshl_add_u32 v5, v7, 23, v5
	v_or3_b32 v1, v3, v5, v1
	v_cvt_i32_f32_e32 v14, v1
.LBB47_1179:
	s_or_b64 exec, exec, s[2:3]
	s_mov_b64 s[2:3], 0
	s_branch .LBB47_1185
.LBB47_1180:
                                        ; implicit-def: $vgpr14
	s_mov_b64 s[8:9], 0
	s_branch .LBB47_1191
.LBB47_1181:
	s_andn2_saveexec_b64 s[2:3], s[2:3]
	s_cbranch_execz .LBB47_1167
.LBB47_1182:
	v_cmp_ne_u16_e32 vcc, 0, v1
	s_andn2_b64 s[10:11], s[10:11], exec
	s_and_b64 s[16:17], vcc, exec
	s_or_b64 s[10:11], s[10:11], s[16:17]
	s_or_b64 exec, exec, s[2:3]
	v_mov_b32_e32 v14, 0
	s_and_saveexec_b64 s[2:3], s[10:11]
	s_cbranch_execnz .LBB47_1168
	s_branch .LBB47_1169
.LBB47_1183:
	s_mov_b64 s[2:3], -1
                                        ; implicit-def: $vgpr14
	s_branch .LBB47_1188
.LBB47_1184:
	s_mov_b64 s[2:3], -1
                                        ; implicit-def: $vgpr14
.LBB47_1185:
	s_and_b64 vcc, exec, s[2:3]
	s_cbranch_vccz .LBB47_1187
; %bb.1186:
	global_load_ubyte v1, v[16:17], off
	s_mov_b32 s2, 0x7f800000
	s_waitcnt vmcnt(0)
	v_lshlrev_b32_e32 v1, 24, v1
	v_and_b32_e32 v3, 0x7f000000, v1
	v_ffbh_u32_e32 v5, v3
	v_min_u32_e32 v5, 32, v5
	v_sub_u32_e64 v5, v5, 4 clamp
	v_lshlrev_b32_e32 v9, v5, v3
	v_lshlrev_b32_e32 v5, 23, v5
	v_lshrrev_b32_e32 v9, 4, v9
	v_add_u32_e32 v7, 0x1000000, v3
	v_sub_u32_e32 v5, v9, v5
	v_ashrrev_i32_e32 v7, 8, v7
	v_add_u32_e32 v5, 0x3c000000, v5
	v_and_or_b32 v5, v7, s2, v5
	v_cmp_ne_u32_e32 vcc, 0, v3
	s_brev_b32 s2, 1
	s_nop 0
	v_cndmask_b32_e32 v3, 0, v5, vcc
	v_and_or_b32 v1, v1, s2, v3
	v_cvt_i32_f32_e32 v14, v1
.LBB47_1187:
	s_mov_b64 s[2:3], 0
.LBB47_1188:
	s_andn2_b64 vcc, exec, s[2:3]
	s_cbranch_vccnz .LBB47_1190
; %bb.1189:
	global_load_ubyte v1, v[16:17], off
	s_movk_i32 s2, 0x7f00
	s_brev_b32 s3, 16
	s_waitcnt vmcnt(0)
	v_lshlrev_b16_e32 v3, 8, v1
	v_lshlrev_b32_e32 v1, 25, v1
	v_lshrrev_b32_e32 v5, 4, v1
	v_and_or_b32 v7, v3, s2, 0.5
	v_or_b32_e32 v5, 0x70000000, v5
	v_add_f32_e32 v7, -0.5, v7
	v_mul_f32_e32 v5, 0x7800000, v5
	v_cmp_gt_u32_e32 vcc, s3, v1
	v_bfe_i32 v3, v3, 0, 16
	s_brev_b32 s2, 1
	v_cndmask_b32_e32 v1, v5, v7, vcc
	v_and_or_b32 v1, v3, s2, v1
	v_cvt_i32_f32_e32 v14, v1
.LBB47_1190:
	s_mov_b64 s[10:11], -1
	s_mov_b64 s[8:9], 0
	s_cbranch_execnz .LBB47_1201
.LBB47_1191:
	s_cmp_gt_i32 s13, 14
	s_cbranch_scc0 .LBB47_1194
; %bb.1192:
	s_cmp_eq_u32 s13, 15
	s_cbranch_scc0 .LBB47_1197
; %bb.1193:
	global_load_ushort v1, v[16:17], off
	s_mov_b64 s[0:1], 0
	s_mov_b64 s[10:11], -1
	s_waitcnt vmcnt(0)
	v_lshlrev_b32_e32 v1, 16, v1
	v_cvt_i32_f32_e32 v14, v1
	s_branch .LBB47_1198
.LBB47_1194:
	s_mov_b64 s[2:3], -1
                                        ; implicit-def: $vgpr14
	s_branch .LBB47_1199
.LBB47_1195:
	s_andn2_saveexec_b64 s[2:3], s[2:3]
	s_cbranch_execz .LBB47_1177
.LBB47_1196:
	v_cmp_ne_u16_e32 vcc, 0, v1
	s_andn2_b64 s[8:9], s[8:9], exec
	s_and_b64 s[10:11], vcc, exec
	s_or_b64 s[8:9], s[8:9], s[10:11]
	s_or_b64 exec, exec, s[2:3]
	v_mov_b32_e32 v14, 0
	s_and_saveexec_b64 s[2:3], s[8:9]
	s_cbranch_execnz .LBB47_1178
	s_branch .LBB47_1179
.LBB47_1197:
	s_mov_b64 s[0:1], -1
                                        ; implicit-def: $vgpr14
.LBB47_1198:
	s_mov_b64 s[2:3], 0
.LBB47_1199:
	s_and_b64 vcc, exec, s[2:3]
	s_cbranch_vccz .LBB47_1201
; %bb.1200:
	s_cmp_lg_u32 s13, 11
	s_mov_b64 s[8:9], -1
	s_cselect_b64 s[0:1], -1, 0
.LBB47_1201:
	s_and_b64 vcc, exec, s[0:1]
	s_mov_b64 s[2:3], s[24:25]
	s_cbranch_vccnz .LBB47_1262
; %bb.1202:
	s_andn2_b64 vcc, exec, s[8:9]
	s_cbranch_vccnz .LBB47_1204
.LBB47_1203:
	global_load_ubyte v1, v[16:17], off
	s_mov_b64 s[10:11], -1
	s_waitcnt vmcnt(0)
	v_cmp_ne_u16_e32 vcc, 0, v1
	s_nop 1
	v_cndmask_b32_e64 v14, 0, 1, vcc
.LBB47_1204:
	s_branch .LBB47_1139
.LBB47_1205:
	s_and_b32 s8, 0xffff, s12
	s_cmp_lt_i32 s8, 5
	s_cbranch_scc1 .LBB47_1210
; %bb.1206:
	s_cmp_lt_i32 s8, 8
	s_cbranch_scc1 .LBB47_1211
; %bb.1207:
	s_cmp_lt_i32 s8, 9
	s_cbranch_scc1 .LBB47_1212
; %bb.1208:
	s_cmp_gt_i32 s8, 9
	s_cbranch_scc0 .LBB47_1213
; %bb.1209:
	global_load_dwordx2 v[14:15], v[16:17], off
	s_mov_b64 s[0:1], 0
	s_waitcnt vmcnt(0)
	v_cvt_i32_f64_e32 v14, v[14:15]
	s_branch .LBB47_1214
.LBB47_1210:
                                        ; implicit-def: $vgpr14
	s_branch .LBB47_1231
.LBB47_1211:
                                        ; implicit-def: $vgpr14
	s_branch .LBB47_1220
.LBB47_1212:
	s_mov_b64 s[0:1], -1
                                        ; implicit-def: $vgpr14
	s_branch .LBB47_1217
.LBB47_1213:
	s_mov_b64 s[0:1], -1
                                        ; implicit-def: $vgpr14
.LBB47_1214:
	s_andn2_b64 vcc, exec, s[0:1]
	s_cbranch_vccnz .LBB47_1216
; %bb.1215:
	global_load_dword v1, v[16:17], off
	s_waitcnt vmcnt(0)
	v_cvt_i32_f32_e32 v14, v1
.LBB47_1216:
	s_mov_b64 s[0:1], 0
.LBB47_1217:
	s_andn2_b64 vcc, exec, s[0:1]
	s_cbranch_vccnz .LBB47_1219
; %bb.1218:
	global_load_dword v1, v[16:17], off
	s_waitcnt vmcnt(0)
	v_cvt_i16_f16_e32 v14, v1
.LBB47_1219:
	s_cbranch_execnz .LBB47_1230
.LBB47_1220:
	s_cmp_lt_i32 s8, 6
	s_cbranch_scc1 .LBB47_1223
; %bb.1221:
	s_cmp_gt_i32 s8, 6
	s_cbranch_scc0 .LBB47_1224
; %bb.1222:
	global_load_dwordx2 v[14:15], v[16:17], off
	s_mov_b64 s[0:1], 0
	s_waitcnt vmcnt(0)
	v_cvt_i32_f64_e32 v14, v[14:15]
	s_branch .LBB47_1225
.LBB47_1223:
	s_mov_b64 s[0:1], -1
                                        ; implicit-def: $vgpr14
	s_branch .LBB47_1228
.LBB47_1224:
	s_mov_b64 s[0:1], -1
                                        ; implicit-def: $vgpr14
.LBB47_1225:
	s_andn2_b64 vcc, exec, s[0:1]
	s_cbranch_vccnz .LBB47_1227
; %bb.1226:
	global_load_dword v1, v[16:17], off
	s_waitcnt vmcnt(0)
	v_cvt_i32_f32_e32 v14, v1
.LBB47_1227:
	s_mov_b64 s[0:1], 0
.LBB47_1228:
	s_andn2_b64 vcc, exec, s[0:1]
	s_cbranch_vccnz .LBB47_1230
; %bb.1229:
	global_load_ushort v1, v[16:17], off
	s_waitcnt vmcnt(0)
	v_cvt_i16_f16_e32 v14, v1
.LBB47_1230:
	s_cbranch_execnz .LBB47_1249
.LBB47_1231:
	s_cmp_lt_i32 s8, 2
	s_cbranch_scc1 .LBB47_1235
; %bb.1232:
	s_cmp_lt_i32 s8, 3
	s_cbranch_scc1 .LBB47_1236
; %bb.1233:
	s_cmp_gt_i32 s8, 3
	s_cbranch_scc0 .LBB47_1237
; %bb.1234:
	global_load_dwordx2 v[14:15], v[16:17], off
	s_mov_b64 s[0:1], 0
	s_branch .LBB47_1238
.LBB47_1235:
                                        ; implicit-def: $vgpr14
	s_branch .LBB47_1244
.LBB47_1236:
	s_mov_b64 s[0:1], -1
                                        ; implicit-def: $vgpr14
	s_branch .LBB47_1241
.LBB47_1237:
	s_mov_b64 s[0:1], -1
                                        ; implicit-def: $vgpr14
.LBB47_1238:
	s_andn2_b64 vcc, exec, s[0:1]
	s_cbranch_vccnz .LBB47_1240
; %bb.1239:
	global_load_dword v14, v[16:17], off
.LBB47_1240:
	s_mov_b64 s[0:1], 0
.LBB47_1241:
	s_andn2_b64 vcc, exec, s[0:1]
	s_cbranch_vccnz .LBB47_1243
; %bb.1242:
	global_load_ushort v14, v[16:17], off
.LBB47_1243:
	s_cbranch_execnz .LBB47_1249
.LBB47_1244:
	s_cmp_gt_i32 s8, 0
	s_cbranch_scc0 .LBB47_1246
; %bb.1245:
	global_load_sbyte v14, v[16:17], off
	s_mov_b64 s[0:1], 0
	s_branch .LBB47_1247
.LBB47_1246:
	s_mov_b64 s[0:1], -1
                                        ; implicit-def: $vgpr14
.LBB47_1247:
	s_andn2_b64 vcc, exec, s[0:1]
	s_cbranch_vccnz .LBB47_1249
; %bb.1248:
	global_load_ubyte v14, v[16:17], off
.LBB47_1249:
.LBB47_1250:
	s_lshr_b32 s0, s14, 16
	v_mov_b32_e32 v13, 0
	s_and_b32 s15, s0, 0xff
	s_cmp_lt_i32 s15, 11
	v_lshl_add_u64 v[16:17], s[6:7], 0, v[12:13]
	s_cbranch_scc1 .LBB47_1257
; %bb.1251:
	s_and_b32 s16, 0xffff, s15
	s_cmp_gt_i32 s16, 25
	s_mov_b64 s[8:9], 0
	s_cbranch_scc0 .LBB47_1259
; %bb.1252:
	s_cmp_gt_i32 s16, 28
	s_cbranch_scc0 .LBB47_1260
; %bb.1253:
	s_cmp_gt_i32 s16, 43
	s_cbranch_scc0 .LBB47_1261
; %bb.1254:
	s_cmp_gt_i32 s16, 45
	s_cbranch_scc0 .LBB47_1263
; %bb.1255:
	s_cmp_eq_u32 s16, 46
	s_mov_b64 s[12:13], 0
	s_cbranch_scc0 .LBB47_1266
; %bb.1256:
	global_load_dword v1, v[16:17], off
	s_mov_b64 s[0:1], 0
	s_mov_b64 s[10:11], -1
	s_waitcnt vmcnt(0)
	v_lshlrev_b32_e32 v1, 16, v1
	v_cvt_i32_f32_e32 v12, v1
	s_branch .LBB47_1267
.LBB47_1257:
	s_mov_b64 s[10:11], 0
                                        ; implicit-def: $vgpr12
	s_cbranch_execnz .LBB47_1328
.LBB47_1258:
	s_andn2_b64 vcc, exec, s[10:11]
	s_cbranch_vccz .LBB47_1375
	s_branch .LBB47_1512
.LBB47_1259:
	s_mov_b64 s[10:11], 0
	s_mov_b64 s[0:1], 0
                                        ; implicit-def: $vgpr12
	s_cbranch_execnz .LBB47_1294
	s_branch .LBB47_1324
.LBB47_1260:
	s_mov_b64 s[12:13], -1
	s_mov_b64 s[10:11], 0
	s_mov_b64 s[0:1], 0
                                        ; implicit-def: $vgpr12
	s_branch .LBB47_1277
.LBB47_1261:
	s_mov_b64 s[12:13], -1
	s_mov_b64 s[10:11], 0
	s_mov_b64 s[0:1], 0
                                        ; implicit-def: $vgpr12
	s_branch .LBB47_1272
.LBB47_1262:
	s_or_b64 s[2:3], s[24:25], exec
	s_trap 2
	s_cbranch_execz .LBB47_1203
	s_branch .LBB47_1204
.LBB47_1263:
	s_mov_b64 s[12:13], -1
	s_mov_b64 s[10:11], 0
	s_mov_b64 s[0:1], 0
                                        ; implicit-def: $vgpr12
	s_branch .LBB47_1267
.LBB47_1264:
	s_andn2_saveexec_b64 s[14:15], s[14:15]
	s_cbranch_execz .LBB47_999
.LBB47_1265:
	s_mov_b32 s18, 0x42800000
	v_add_f32_e64 v3, |v2|, s18
	v_and_b32_e32 v3, 0xff, v3
	v_cmp_ne_u32_e32 vcc, 0, v3
	s_andn2_b64 s[12:13], s[12:13], exec
	s_and_b64 s[18:19], vcc, exec
	s_or_b64 s[12:13], s[12:13], s[18:19]
	s_or_b64 exec, exec, s[14:15]
	v_mov_b32_e32 v6, 0
	s_and_saveexec_b64 s[14:15], s[12:13]
	s_cbranch_execnz .LBB47_1000
	s_branch .LBB47_1001
.LBB47_1266:
	s_mov_b64 s[0:1], -1
                                        ; implicit-def: $vgpr12
	s_mov_b64 s[10:11], 0
.LBB47_1267:
	s_and_b64 vcc, exec, s[12:13]
	s_cbranch_vccz .LBB47_1271
; %bb.1268:
	s_cmp_eq_u32 s16, 44
	s_cbranch_scc0 .LBB47_1270
; %bb.1269:
	global_load_ubyte v1, v[16:17], off
	s_mov_b64 s[0:1], 0
	s_mov_b64 s[10:11], -1
	s_waitcnt vmcnt(0)
	v_lshlrev_b32_e32 v3, 23, v1
	v_cvt_i32_f32_e32 v3, v3
	v_cmp_ne_u32_e32 vcc, 0, v1
	s_nop 1
	v_cndmask_b32_e32 v12, 0, v3, vcc
	s_branch .LBB47_1271
.LBB47_1270:
	s_mov_b64 s[0:1], -1
                                        ; implicit-def: $vgpr12
.LBB47_1271:
	s_mov_b64 s[12:13], 0
.LBB47_1272:
	s_and_b64 vcc, exec, s[12:13]
	s_cbranch_vccz .LBB47_1276
; %bb.1273:
	s_cmp_eq_u32 s16, 29
	s_cbranch_scc0 .LBB47_1275
; %bb.1274:
	global_load_dwordx2 v[12:13], v[16:17], off
	s_mov_b64 s[0:1], 0
	s_mov_b64 s[10:11], -1
	s_branch .LBB47_1276
.LBB47_1275:
	s_mov_b64 s[0:1], -1
                                        ; implicit-def: $vgpr12
.LBB47_1276:
	s_mov_b64 s[12:13], 0
.LBB47_1277:
	s_and_b64 vcc, exec, s[12:13]
	s_cbranch_vccz .LBB47_1293
; %bb.1278:
	s_cmp_lt_i32 s16, 27
	s_cbranch_scc1 .LBB47_1281
; %bb.1279:
	s_cmp_gt_i32 s16, 27
	s_cbranch_scc0 .LBB47_1282
; %bb.1280:
	global_load_dword v12, v[16:17], off
	s_mov_b64 s[10:11], 0
	s_branch .LBB47_1283
.LBB47_1281:
	s_mov_b64 s[10:11], -1
                                        ; implicit-def: $vgpr12
	s_branch .LBB47_1286
.LBB47_1282:
	s_mov_b64 s[10:11], -1
                                        ; implicit-def: $vgpr12
.LBB47_1283:
	s_andn2_b64 vcc, exec, s[10:11]
	s_cbranch_vccnz .LBB47_1285
; %bb.1284:
	global_load_ushort v12, v[16:17], off
.LBB47_1285:
	s_mov_b64 s[10:11], 0
.LBB47_1286:
	s_andn2_b64 vcc, exec, s[10:11]
	s_cbranch_vccnz .LBB47_1292
; %bb.1287:
	global_load_ubyte v1, v[16:17], off
	s_movk_i32 s10, 0x7f
	s_mov_b64 s[12:13], 0
	s_waitcnt vmcnt(0)
	v_cmp_lt_i16_e32 vcc, s10, v1
	s_and_saveexec_b64 s[10:11], vcc
	s_xor_b64 s[10:11], exec, s[10:11]
	s_cbranch_execz .LBB47_1303
; %bb.1288:
	s_movk_i32 s12, 0x80
	v_cmp_ne_u16_e32 vcc, s12, v1
	s_and_b64 s[12:13], vcc, exec
	s_andn2_saveexec_b64 s[10:11], s[10:11]
	s_cbranch_execnz .LBB47_1304
.LBB47_1289:
	s_or_b64 exec, exec, s[10:11]
	v_mov_b32_e32 v12, 0
	s_and_saveexec_b64 s[10:11], s[12:13]
	s_cbranch_execz .LBB47_1291
.LBB47_1290:
	v_lshlrev_b32_e32 v3, 24, v1
	v_and_b32_e32 v1, 0xffff, v1
	v_and_b32_e32 v5, 7, v1
	v_ffbh_u32_e32 v9, v5
	v_min_u32_e32 v9, 32, v9
	v_subrev_u32_e32 v11, 28, v9
	v_bfe_u32 v7, v1, 3, 4
	v_lshlrev_b32_e32 v1, v11, v1
	v_sub_u32_e32 v9, 29, v9
	v_and_b32_e32 v1, 7, v1
	v_cmp_eq_u32_e32 vcc, 0, v7
	v_and_b32_e32 v3, 0x80000000, v3
	s_nop 0
	v_cndmask_b32_e32 v7, v7, v9, vcc
	v_cndmask_b32_e32 v1, v5, v1, vcc
	v_mov_b32_e32 v5, 0x3b800000
	v_lshlrev_b32_e32 v1, 20, v1
	v_lshl_add_u32 v5, v7, 23, v5
	v_or3_b32 v1, v3, v5, v1
	v_cvt_i32_f32_e32 v12, v1
.LBB47_1291:
	s_or_b64 exec, exec, s[10:11]
.LBB47_1292:
	s_mov_b64 s[10:11], -1
.LBB47_1293:
	s_branch .LBB47_1324
.LBB47_1294:
	s_cmp_gt_i32 s16, 22
	s_cbranch_scc0 .LBB47_1302
; %bb.1295:
	s_cmp_lt_i32 s16, 24
	s_cbranch_scc1 .LBB47_1305
; %bb.1296:
	s_cmp_gt_i32 s16, 24
	s_cbranch_scc0 .LBB47_1306
; %bb.1297:
	global_load_ubyte v1, v[16:17], off
	s_movk_i32 s8, 0x7f
	s_mov_b64 s[10:11], 0
	s_waitcnt vmcnt(0)
	v_cmp_lt_i16_e32 vcc, s8, v1
	s_and_saveexec_b64 s[8:9], vcc
	s_xor_b64 s[8:9], exec, s[8:9]
	s_cbranch_execz .LBB47_1318
; %bb.1298:
	s_movk_i32 s10, 0x80
	v_cmp_ne_u16_e32 vcc, s10, v1
	s_and_b64 s[10:11], vcc, exec
	s_andn2_saveexec_b64 s[8:9], s[8:9]
	s_cbranch_execnz .LBB47_1319
.LBB47_1299:
	s_or_b64 exec, exec, s[8:9]
	v_mov_b32_e32 v12, 0
	s_and_saveexec_b64 s[8:9], s[10:11]
	s_cbranch_execz .LBB47_1301
.LBB47_1300:
	v_lshlrev_b32_e32 v3, 24, v1
	v_and_b32_e32 v1, 0xffff, v1
	v_and_b32_e32 v5, 3, v1
	v_ffbh_u32_e32 v9, v5
	v_min_u32_e32 v9, 32, v9
	v_subrev_u32_e32 v11, 29, v9
	v_bfe_u32 v7, v1, 2, 5
	v_lshlrev_b32_e32 v1, v11, v1
	v_sub_u32_e32 v9, 30, v9
	v_and_b32_e32 v1, 3, v1
	v_cmp_eq_u32_e32 vcc, 0, v7
	v_and_b32_e32 v3, 0x80000000, v3
	s_nop 0
	v_cndmask_b32_e32 v7, v7, v9, vcc
	v_cndmask_b32_e32 v1, v5, v1, vcc
	v_mov_b32_e32 v5, 0x37800000
	v_lshlrev_b32_e32 v1, 21, v1
	v_lshl_add_u32 v5, v7, 23, v5
	v_or3_b32 v1, v3, v5, v1
	v_cvt_i32_f32_e32 v12, v1
.LBB47_1301:
	s_or_b64 exec, exec, s[8:9]
	s_mov_b64 s[8:9], 0
	s_branch .LBB47_1307
.LBB47_1302:
	s_mov_b64 s[8:9], -1
                                        ; implicit-def: $vgpr12
	s_branch .LBB47_1313
.LBB47_1303:
	s_andn2_saveexec_b64 s[10:11], s[10:11]
	s_cbranch_execz .LBB47_1289
.LBB47_1304:
	v_cmp_ne_u16_e32 vcc, 0, v1
	s_andn2_b64 s[12:13], s[12:13], exec
	s_and_b64 s[18:19], vcc, exec
	s_or_b64 s[12:13], s[12:13], s[18:19]
	s_or_b64 exec, exec, s[10:11]
	v_mov_b32_e32 v12, 0
	s_and_saveexec_b64 s[10:11], s[12:13]
	s_cbranch_execnz .LBB47_1290
	s_branch .LBB47_1291
.LBB47_1305:
	s_mov_b64 s[8:9], -1
                                        ; implicit-def: $vgpr12
	s_branch .LBB47_1310
.LBB47_1306:
	s_mov_b64 s[8:9], -1
                                        ; implicit-def: $vgpr12
.LBB47_1307:
	s_and_b64 vcc, exec, s[8:9]
	s_cbranch_vccz .LBB47_1309
; %bb.1308:
	global_load_ubyte v1, v[16:17], off
	s_mov_b32 s8, 0x7f800000
	s_waitcnt vmcnt(0)
	v_lshlrev_b32_e32 v1, 24, v1
	v_and_b32_e32 v3, 0x7f000000, v1
	v_ffbh_u32_e32 v5, v3
	v_min_u32_e32 v5, 32, v5
	v_sub_u32_e64 v5, v5, 4 clamp
	v_lshlrev_b32_e32 v9, v5, v3
	v_lshlrev_b32_e32 v5, 23, v5
	v_lshrrev_b32_e32 v9, 4, v9
	v_add_u32_e32 v7, 0x1000000, v3
	v_sub_u32_e32 v5, v9, v5
	v_ashrrev_i32_e32 v7, 8, v7
	v_add_u32_e32 v5, 0x3c000000, v5
	v_and_or_b32 v5, v7, s8, v5
	v_cmp_ne_u32_e32 vcc, 0, v3
	s_brev_b32 s8, 1
	s_nop 0
	v_cndmask_b32_e32 v3, 0, v5, vcc
	v_and_or_b32 v1, v1, s8, v3
	v_cvt_i32_f32_e32 v12, v1
.LBB47_1309:
	s_mov_b64 s[8:9], 0
.LBB47_1310:
	s_andn2_b64 vcc, exec, s[8:9]
	s_cbranch_vccnz .LBB47_1312
; %bb.1311:
	global_load_ubyte v1, v[16:17], off
	s_movk_i32 s8, 0x7f00
	s_brev_b32 s9, 16
	s_waitcnt vmcnt(0)
	v_lshlrev_b16_e32 v3, 8, v1
	v_lshlrev_b32_e32 v1, 25, v1
	v_lshrrev_b32_e32 v5, 4, v1
	v_and_or_b32 v7, v3, s8, 0.5
	v_or_b32_e32 v5, 0x70000000, v5
	v_add_f32_e32 v7, -0.5, v7
	v_mul_f32_e32 v5, 0x7800000, v5
	v_cmp_gt_u32_e32 vcc, s9, v1
	v_bfe_i32 v3, v3, 0, 16
	s_brev_b32 s8, 1
	v_cndmask_b32_e32 v1, v5, v7, vcc
	v_and_or_b32 v1, v3, s8, v1
	v_cvt_i32_f32_e32 v12, v1
.LBB47_1312:
	s_mov_b64 s[8:9], 0
	s_mov_b64 s[10:11], -1
.LBB47_1313:
	s_andn2_b64 vcc, exec, s[8:9]
	s_mov_b64 s[8:9], 0
	s_cbranch_vccnz .LBB47_1324
; %bb.1314:
	s_cmp_gt_i32 s16, 14
	s_cbranch_scc0 .LBB47_1317
; %bb.1315:
	s_cmp_eq_u32 s16, 15
	s_cbranch_scc0 .LBB47_1320
; %bb.1316:
	global_load_ushort v1, v[16:17], off
	s_mov_b64 s[0:1], 0
	s_mov_b64 s[10:11], -1
	s_waitcnt vmcnt(0)
	v_lshlrev_b32_e32 v1, 16, v1
	v_cvt_i32_f32_e32 v12, v1
	s_branch .LBB47_1321
.LBB47_1317:
	s_mov_b64 s[12:13], -1
                                        ; implicit-def: $vgpr12
	s_branch .LBB47_1322
.LBB47_1318:
	s_andn2_saveexec_b64 s[8:9], s[8:9]
	s_cbranch_execz .LBB47_1299
.LBB47_1319:
	v_cmp_ne_u16_e32 vcc, 0, v1
	s_andn2_b64 s[10:11], s[10:11], exec
	s_and_b64 s[12:13], vcc, exec
	s_or_b64 s[10:11], s[10:11], s[12:13]
	s_or_b64 exec, exec, s[8:9]
	v_mov_b32_e32 v12, 0
	s_and_saveexec_b64 s[8:9], s[10:11]
	s_cbranch_execnz .LBB47_1300
	s_branch .LBB47_1301
.LBB47_1320:
	s_mov_b64 s[0:1], -1
                                        ; implicit-def: $vgpr12
.LBB47_1321:
	s_mov_b64 s[12:13], 0
.LBB47_1322:
	s_and_b64 vcc, exec, s[12:13]
	s_cbranch_vccz .LBB47_1324
; %bb.1323:
	s_cmp_lg_u32 s16, 11
	s_mov_b64 s[8:9], -1
	s_cselect_b64 s[0:1], -1, 0
.LBB47_1324:
	s_and_b64 vcc, exec, s[0:1]
	s_cbranch_vccnz .LBB47_1397
; %bb.1325:
	s_andn2_b64 vcc, exec, s[8:9]
	s_cbranch_vccnz .LBB47_1327
.LBB47_1326:
	global_load_ubyte v1, v[16:17], off
	s_mov_b64 s[10:11], -1
	s_waitcnt vmcnt(0)
	v_cmp_ne_u16_e32 vcc, 0, v1
	s_nop 1
	v_cndmask_b32_e64 v12, 0, 1, vcc
.LBB47_1327:
	s_branch .LBB47_1258
.LBB47_1328:
	s_and_b32 s8, 0xffff, s15
	s_cmp_lt_i32 s8, 5
	s_cbranch_scc1 .LBB47_1333
; %bb.1329:
	s_cmp_lt_i32 s8, 8
	s_cbranch_scc1 .LBB47_1334
; %bb.1330:
	;; [unrolled: 3-line block ×3, first 2 shown]
	s_cmp_gt_i32 s8, 9
	s_cbranch_scc0 .LBB47_1336
; %bb.1332:
	global_load_dwordx2 v[12:13], v[16:17], off
	s_mov_b64 s[0:1], 0
	s_waitcnt vmcnt(0)
	v_cvt_i32_f64_e32 v12, v[12:13]
	s_branch .LBB47_1337
.LBB47_1333:
                                        ; implicit-def: $vgpr12
	s_branch .LBB47_1355
.LBB47_1334:
	s_mov_b64 s[0:1], -1
                                        ; implicit-def: $vgpr12
	s_branch .LBB47_1343
.LBB47_1335:
	s_mov_b64 s[0:1], -1
                                        ; implicit-def: $vgpr12
	s_branch .LBB47_1340
.LBB47_1336:
	s_mov_b64 s[0:1], -1
                                        ; implicit-def: $vgpr12
.LBB47_1337:
	s_andn2_b64 vcc, exec, s[0:1]
	s_cbranch_vccnz .LBB47_1339
; %bb.1338:
	global_load_dword v1, v[16:17], off
	s_waitcnt vmcnt(0)
	v_cvt_i32_f32_e32 v12, v1
.LBB47_1339:
	s_mov_b64 s[0:1], 0
.LBB47_1340:
	s_andn2_b64 vcc, exec, s[0:1]
	s_cbranch_vccnz .LBB47_1342
; %bb.1341:
	global_load_dword v1, v[16:17], off
	s_waitcnt vmcnt(0)
	v_cvt_i16_f16_e32 v12, v1
.LBB47_1342:
	s_mov_b64 s[0:1], 0
.LBB47_1343:
	s_andn2_b64 vcc, exec, s[0:1]
	s_cbranch_vccnz .LBB47_1354
; %bb.1344:
	s_cmp_lt_i32 s8, 6
	s_cbranch_scc1 .LBB47_1347
; %bb.1345:
	s_cmp_gt_i32 s8, 6
	s_cbranch_scc0 .LBB47_1348
; %bb.1346:
	global_load_dwordx2 v[12:13], v[16:17], off
	s_mov_b64 s[0:1], 0
	s_waitcnt vmcnt(0)
	v_cvt_i32_f64_e32 v12, v[12:13]
	s_branch .LBB47_1349
.LBB47_1347:
	s_mov_b64 s[0:1], -1
                                        ; implicit-def: $vgpr12
	s_branch .LBB47_1352
.LBB47_1348:
	s_mov_b64 s[0:1], -1
                                        ; implicit-def: $vgpr12
.LBB47_1349:
	s_andn2_b64 vcc, exec, s[0:1]
	s_cbranch_vccnz .LBB47_1351
; %bb.1350:
	global_load_dword v1, v[16:17], off
	s_waitcnt vmcnt(0)
	v_cvt_i32_f32_e32 v12, v1
.LBB47_1351:
	s_mov_b64 s[0:1], 0
.LBB47_1352:
	s_andn2_b64 vcc, exec, s[0:1]
	s_cbranch_vccnz .LBB47_1354
; %bb.1353:
	global_load_ushort v1, v[16:17], off
	s_waitcnt vmcnt(0)
	v_cvt_i16_f16_e32 v12, v1
.LBB47_1354:
	s_cbranch_execnz .LBB47_1374
.LBB47_1355:
	s_cmp_lt_i32 s8, 2
	s_cbranch_scc1 .LBB47_1359
; %bb.1356:
	s_cmp_lt_i32 s8, 3
	s_cbranch_scc1 .LBB47_1360
; %bb.1357:
	s_cmp_gt_i32 s8, 3
	s_cbranch_scc0 .LBB47_1361
; %bb.1358:
	global_load_dwordx2 v[12:13], v[16:17], off
	s_mov_b64 s[0:1], 0
	s_branch .LBB47_1362
.LBB47_1359:
	s_mov_b64 s[0:1], -1
                                        ; implicit-def: $vgpr12
	s_branch .LBB47_1368
.LBB47_1360:
	s_mov_b64 s[0:1], -1
                                        ; implicit-def: $vgpr12
	s_branch .LBB47_1365
.LBB47_1361:
	s_mov_b64 s[0:1], -1
                                        ; implicit-def: $vgpr12
.LBB47_1362:
	s_andn2_b64 vcc, exec, s[0:1]
	s_cbranch_vccnz .LBB47_1364
; %bb.1363:
	global_load_dword v12, v[16:17], off
.LBB47_1364:
	s_mov_b64 s[0:1], 0
.LBB47_1365:
	s_andn2_b64 vcc, exec, s[0:1]
	s_cbranch_vccnz .LBB47_1367
; %bb.1366:
	global_load_ushort v12, v[16:17], off
.LBB47_1367:
	s_mov_b64 s[0:1], 0
.LBB47_1368:
	s_andn2_b64 vcc, exec, s[0:1]
	s_cbranch_vccnz .LBB47_1374
; %bb.1369:
	s_cmp_gt_i32 s8, 0
	s_cbranch_scc0 .LBB47_1371
; %bb.1370:
	global_load_sbyte v12, v[16:17], off
	s_mov_b64 s[0:1], 0
	s_branch .LBB47_1372
.LBB47_1371:
	s_mov_b64 s[0:1], -1
                                        ; implicit-def: $vgpr12
.LBB47_1372:
	s_andn2_b64 vcc, exec, s[0:1]
	s_cbranch_vccnz .LBB47_1374
; %bb.1373:
	global_load_ubyte v12, v[16:17], off
.LBB47_1374:
.LBB47_1375:
	v_mov_b32_e32 v11, 0
	s_cmp_lt_i32 s15, 11
	v_lshl_add_u64 v[16:17], s[6:7], 0, v[10:11]
	s_cbranch_scc1 .LBB47_1382
; %bb.1376:
	s_and_b32 s16, 0xffff, s15
	s_cmp_gt_i32 s16, 25
	s_mov_b64 s[8:9], 0
	s_cbranch_scc0 .LBB47_1391
; %bb.1377:
	s_cmp_gt_i32 s16, 28
	s_cbranch_scc0 .LBB47_1393
; %bb.1378:
	s_cmp_gt_i32 s16, 43
	;; [unrolled: 3-line block ×3, first 2 shown]
	s_cbranch_scc0 .LBB47_1398
; %bb.1380:
	s_cmp_eq_u32 s16, 46
	s_mov_b64 s[12:13], 0
	s_cbranch_scc0 .LBB47_1400
; %bb.1381:
	global_load_dword v1, v[16:17], off
	s_mov_b64 s[0:1], 0
	s_mov_b64 s[10:11], -1
	s_waitcnt vmcnt(0)
	v_lshlrev_b32_e32 v1, 16, v1
	v_cvt_i32_f32_e32 v10, v1
	s_branch .LBB47_1401
.LBB47_1382:
	s_mov_b64 s[10:11], 0
                                        ; implicit-def: $vgpr10
	s_cbranch_execnz .LBB47_1464
.LBB47_1383:
	s_andn2_b64 vcc, exec, s[10:11]
	s_cbranch_vccnz .LBB47_1512
.LBB47_1384:
	v_mov_b32_e32 v9, 0
	s_cmp_lt_i32 s15, 11
	v_lshl_add_u64 v[16:17], s[6:7], 0, v[8:9]
	s_cbranch_scc1 .LBB47_1392
; %bb.1385:
	s_and_b32 s12, 0xffff, s15
	s_cmp_gt_i32 s12, 25
	s_mov_b64 s[6:7], 0
	s_cbranch_scc0 .LBB47_1394
; %bb.1386:
	s_cmp_gt_i32 s12, 28
	s_cbranch_scc0 .LBB47_1396
; %bb.1387:
	s_cmp_gt_i32 s12, 43
	;; [unrolled: 3-line block ×3, first 2 shown]
	s_cbranch_scc0 .LBB47_1404
; %bb.1389:
	s_cmp_eq_u32 s12, 46
	s_mov_b64 s[10:11], 0
	s_cbranch_scc0 .LBB47_1559
; %bb.1390:
	global_load_dword v1, v[16:17], off
	s_mov_b64 s[0:1], 0
	s_mov_b64 s[8:9], -1
	s_waitcnt vmcnt(0)
	v_lshlrev_b32_e32 v1, 16, v1
	v_cvt_i32_f32_e32 v8, v1
	s_branch .LBB47_1560
.LBB47_1391:
	s_mov_b64 s[12:13], -1
	s_mov_b64 s[10:11], 0
	s_mov_b64 s[0:1], 0
                                        ; implicit-def: $vgpr10
	s_branch .LBB47_1429
.LBB47_1392:
	s_mov_b64 s[0:1], -1
	s_mov_b64 s[8:9], 0
                                        ; implicit-def: $vgpr8
	s_branch .LBB47_1622
.LBB47_1393:
	s_mov_b64 s[12:13], -1
	s_mov_b64 s[10:11], 0
	s_mov_b64 s[0:1], 0
                                        ; implicit-def: $vgpr10
	s_branch .LBB47_1412
.LBB47_1394:
	s_mov_b64 s[10:11], -1
	s_mov_b64 s[8:9], 0
	s_mov_b64 s[0:1], 0
                                        ; implicit-def: $vgpr8
	s_branch .LBB47_1587
.LBB47_1395:
	s_mov_b64 s[12:13], -1
	s_mov_b64 s[10:11], 0
	s_mov_b64 s[0:1], 0
                                        ; implicit-def: $vgpr10
	s_branch .LBB47_1407
.LBB47_1396:
	s_mov_b64 s[10:11], -1
	s_mov_b64 s[8:9], 0
	s_mov_b64 s[0:1], 0
                                        ; implicit-def: $vgpr8
	s_branch .LBB47_1570
.LBB47_1397:
	s_trap 2
	s_or_b64 s[2:3], s[2:3], exec
	s_cbranch_execz .LBB47_1326
	s_branch .LBB47_1327
.LBB47_1398:
	s_mov_b64 s[12:13], -1
	s_mov_b64 s[10:11], 0
	s_mov_b64 s[0:1], 0
                                        ; implicit-def: $vgpr10
	s_branch .LBB47_1401
.LBB47_1399:
	s_mov_b64 s[10:11], -1
	s_mov_b64 s[8:9], 0
	s_mov_b64 s[0:1], 0
                                        ; implicit-def: $vgpr8
	s_branch .LBB47_1565
.LBB47_1400:
	s_mov_b64 s[0:1], -1
                                        ; implicit-def: $vgpr10
	s_mov_b64 s[10:11], 0
.LBB47_1401:
	s_and_b64 vcc, exec, s[12:13]
	s_cbranch_vccz .LBB47_1406
; %bb.1402:
	s_cmp_eq_u32 s16, 44
	s_cbranch_scc0 .LBB47_1405
; %bb.1403:
	global_load_ubyte v1, v[16:17], off
	s_mov_b64 s[0:1], 0
	s_mov_b64 s[10:11], -1
	s_waitcnt vmcnt(0)
	v_lshlrev_b32_e32 v3, 23, v1
	v_cvt_i32_f32_e32 v3, v3
	v_cmp_ne_u32_e32 vcc, 0, v1
	s_nop 1
	v_cndmask_b32_e32 v10, 0, v3, vcc
	s_branch .LBB47_1406
.LBB47_1404:
	s_mov_b64 s[10:11], -1
	s_mov_b64 s[8:9], 0
	s_mov_b64 s[0:1], 0
                                        ; implicit-def: $vgpr8
	s_branch .LBB47_1560
.LBB47_1405:
	s_mov_b64 s[0:1], -1
                                        ; implicit-def: $vgpr10
.LBB47_1406:
	s_mov_b64 s[12:13], 0
.LBB47_1407:
	s_and_b64 vcc, exec, s[12:13]
	s_cbranch_vccz .LBB47_1411
; %bb.1408:
	s_cmp_eq_u32 s16, 29
	s_cbranch_scc0 .LBB47_1410
; %bb.1409:
	global_load_dwordx2 v[10:11], v[16:17], off
	s_mov_b64 s[0:1], 0
	s_mov_b64 s[10:11], -1
	s_branch .LBB47_1411
.LBB47_1410:
	s_mov_b64 s[0:1], -1
                                        ; implicit-def: $vgpr10
.LBB47_1411:
	s_mov_b64 s[12:13], 0
.LBB47_1412:
	s_and_b64 vcc, exec, s[12:13]
	s_cbranch_vccz .LBB47_1428
; %bb.1413:
	s_cmp_lt_i32 s16, 27
	s_cbranch_scc1 .LBB47_1416
; %bb.1414:
	s_cmp_gt_i32 s16, 27
	s_cbranch_scc0 .LBB47_1417
; %bb.1415:
	global_load_dword v10, v[16:17], off
	s_mov_b64 s[10:11], 0
	s_branch .LBB47_1418
.LBB47_1416:
	s_mov_b64 s[10:11], -1
                                        ; implicit-def: $vgpr10
	s_branch .LBB47_1421
.LBB47_1417:
	s_mov_b64 s[10:11], -1
                                        ; implicit-def: $vgpr10
.LBB47_1418:
	s_andn2_b64 vcc, exec, s[10:11]
	s_cbranch_vccnz .LBB47_1420
; %bb.1419:
	global_load_ushort v10, v[16:17], off
.LBB47_1420:
	s_mov_b64 s[10:11], 0
.LBB47_1421:
	s_andn2_b64 vcc, exec, s[10:11]
	s_cbranch_vccnz .LBB47_1427
; %bb.1422:
	global_load_ubyte v1, v[16:17], off
	s_movk_i32 s10, 0x7f
	s_mov_b64 s[12:13], 0
	s_waitcnt vmcnt(0)
	v_cmp_lt_i16_e32 vcc, s10, v1
	s_and_saveexec_b64 s[10:11], vcc
	s_xor_b64 s[10:11], exec, s[10:11]
	s_cbranch_execz .LBB47_1439
; %bb.1423:
	s_movk_i32 s12, 0x80
	v_cmp_ne_u16_e32 vcc, s12, v1
	s_and_b64 s[12:13], vcc, exec
	s_andn2_saveexec_b64 s[10:11], s[10:11]
	s_cbranch_execnz .LBB47_1440
.LBB47_1424:
	s_or_b64 exec, exec, s[10:11]
	v_mov_b32_e32 v10, 0
	s_and_saveexec_b64 s[10:11], s[12:13]
	s_cbranch_execz .LBB47_1426
.LBB47_1425:
	v_lshlrev_b32_e32 v3, 24, v1
	v_and_b32_e32 v1, 0xffff, v1
	v_and_b32_e32 v5, 7, v1
	v_ffbh_u32_e32 v9, v5
	v_min_u32_e32 v9, 32, v9
	v_subrev_u32_e32 v10, 28, v9
	v_bfe_u32 v7, v1, 3, 4
	v_lshlrev_b32_e32 v1, v10, v1
	v_sub_u32_e32 v9, 29, v9
	v_and_b32_e32 v1, 7, v1
	v_cmp_eq_u32_e32 vcc, 0, v7
	v_and_b32_e32 v3, 0x80000000, v3
	s_nop 0
	v_cndmask_b32_e32 v7, v7, v9, vcc
	v_cndmask_b32_e32 v1, v5, v1, vcc
	v_mov_b32_e32 v5, 0x3b800000
	v_lshlrev_b32_e32 v1, 20, v1
	v_lshl_add_u32 v5, v7, 23, v5
	v_or3_b32 v1, v3, v5, v1
	v_cvt_i32_f32_e32 v10, v1
.LBB47_1426:
	s_or_b64 exec, exec, s[10:11]
.LBB47_1427:
	s_mov_b64 s[10:11], -1
.LBB47_1428:
	s_mov_b64 s[12:13], 0
.LBB47_1429:
	s_and_b64 vcc, exec, s[12:13]
	s_cbranch_vccz .LBB47_1460
; %bb.1430:
	s_cmp_gt_i32 s16, 22
	s_cbranch_scc0 .LBB47_1438
; %bb.1431:
	s_cmp_lt_i32 s16, 24
	s_cbranch_scc1 .LBB47_1441
; %bb.1432:
	s_cmp_gt_i32 s16, 24
	s_cbranch_scc0 .LBB47_1442
; %bb.1433:
	global_load_ubyte v1, v[16:17], off
	s_movk_i32 s8, 0x7f
	s_mov_b64 s[10:11], 0
	s_waitcnt vmcnt(0)
	v_cmp_lt_i16_e32 vcc, s8, v1
	s_and_saveexec_b64 s[8:9], vcc
	s_xor_b64 s[8:9], exec, s[8:9]
	s_cbranch_execz .LBB47_1454
; %bb.1434:
	s_movk_i32 s10, 0x80
	v_cmp_ne_u16_e32 vcc, s10, v1
	s_and_b64 s[10:11], vcc, exec
	s_andn2_saveexec_b64 s[8:9], s[8:9]
	s_cbranch_execnz .LBB47_1455
.LBB47_1435:
	s_or_b64 exec, exec, s[8:9]
	v_mov_b32_e32 v10, 0
	s_and_saveexec_b64 s[8:9], s[10:11]
	s_cbranch_execz .LBB47_1437
.LBB47_1436:
	v_lshlrev_b32_e32 v3, 24, v1
	v_and_b32_e32 v1, 0xffff, v1
	v_and_b32_e32 v5, 3, v1
	v_ffbh_u32_e32 v9, v5
	v_min_u32_e32 v9, 32, v9
	v_subrev_u32_e32 v10, 29, v9
	v_bfe_u32 v7, v1, 2, 5
	v_lshlrev_b32_e32 v1, v10, v1
	v_sub_u32_e32 v9, 30, v9
	v_and_b32_e32 v1, 3, v1
	v_cmp_eq_u32_e32 vcc, 0, v7
	v_and_b32_e32 v3, 0x80000000, v3
	s_nop 0
	v_cndmask_b32_e32 v7, v7, v9, vcc
	v_cndmask_b32_e32 v1, v5, v1, vcc
	v_mov_b32_e32 v5, 0x37800000
	v_lshlrev_b32_e32 v1, 21, v1
	v_lshl_add_u32 v5, v7, 23, v5
	v_or3_b32 v1, v3, v5, v1
	v_cvt_i32_f32_e32 v10, v1
.LBB47_1437:
	s_or_b64 exec, exec, s[8:9]
	s_mov_b64 s[8:9], 0
	s_branch .LBB47_1443
.LBB47_1438:
	s_mov_b64 s[8:9], -1
                                        ; implicit-def: $vgpr10
	s_branch .LBB47_1449
.LBB47_1439:
	s_andn2_saveexec_b64 s[10:11], s[10:11]
	s_cbranch_execz .LBB47_1424
.LBB47_1440:
	v_cmp_ne_u16_e32 vcc, 0, v1
	s_andn2_b64 s[12:13], s[12:13], exec
	s_and_b64 s[18:19], vcc, exec
	s_or_b64 s[12:13], s[12:13], s[18:19]
	s_or_b64 exec, exec, s[10:11]
	v_mov_b32_e32 v10, 0
	s_and_saveexec_b64 s[10:11], s[12:13]
	s_cbranch_execnz .LBB47_1425
	s_branch .LBB47_1426
.LBB47_1441:
	s_mov_b64 s[8:9], -1
                                        ; implicit-def: $vgpr10
	s_branch .LBB47_1446
.LBB47_1442:
	s_mov_b64 s[8:9], -1
                                        ; implicit-def: $vgpr10
.LBB47_1443:
	s_and_b64 vcc, exec, s[8:9]
	s_cbranch_vccz .LBB47_1445
; %bb.1444:
	global_load_ubyte v1, v[16:17], off
	s_mov_b32 s8, 0x7f800000
	s_waitcnt vmcnt(0)
	v_lshlrev_b32_e32 v1, 24, v1
	v_and_b32_e32 v3, 0x7f000000, v1
	v_ffbh_u32_e32 v5, v3
	v_min_u32_e32 v5, 32, v5
	v_sub_u32_e64 v5, v5, 4 clamp
	v_lshlrev_b32_e32 v9, v5, v3
	v_lshlrev_b32_e32 v5, 23, v5
	v_lshrrev_b32_e32 v9, 4, v9
	v_add_u32_e32 v7, 0x1000000, v3
	v_sub_u32_e32 v5, v9, v5
	v_ashrrev_i32_e32 v7, 8, v7
	v_add_u32_e32 v5, 0x3c000000, v5
	v_and_or_b32 v5, v7, s8, v5
	v_cmp_ne_u32_e32 vcc, 0, v3
	s_brev_b32 s8, 1
	s_nop 0
	v_cndmask_b32_e32 v3, 0, v5, vcc
	v_and_or_b32 v1, v1, s8, v3
	v_cvt_i32_f32_e32 v10, v1
.LBB47_1445:
	s_mov_b64 s[8:9], 0
.LBB47_1446:
	s_andn2_b64 vcc, exec, s[8:9]
	s_cbranch_vccnz .LBB47_1448
; %bb.1447:
	global_load_ubyte v1, v[16:17], off
	s_movk_i32 s8, 0x7f00
	s_brev_b32 s9, 16
	s_waitcnt vmcnt(0)
	v_lshlrev_b16_e32 v3, 8, v1
	v_lshlrev_b32_e32 v1, 25, v1
	v_lshrrev_b32_e32 v5, 4, v1
	v_and_or_b32 v7, v3, s8, 0.5
	v_or_b32_e32 v5, 0x70000000, v5
	v_add_f32_e32 v7, -0.5, v7
	v_mul_f32_e32 v5, 0x7800000, v5
	v_cmp_gt_u32_e32 vcc, s9, v1
	v_bfe_i32 v3, v3, 0, 16
	s_brev_b32 s8, 1
	v_cndmask_b32_e32 v1, v5, v7, vcc
	v_and_or_b32 v1, v3, s8, v1
	v_cvt_i32_f32_e32 v10, v1
.LBB47_1448:
	s_mov_b64 s[8:9], 0
	s_mov_b64 s[10:11], -1
.LBB47_1449:
	s_andn2_b64 vcc, exec, s[8:9]
	s_mov_b64 s[8:9], 0
	s_cbranch_vccnz .LBB47_1460
; %bb.1450:
	s_cmp_gt_i32 s16, 14
	s_cbranch_scc0 .LBB47_1453
; %bb.1451:
	s_cmp_eq_u32 s16, 15
	s_cbranch_scc0 .LBB47_1456
; %bb.1452:
	global_load_ushort v1, v[16:17], off
	s_mov_b64 s[0:1], 0
	s_mov_b64 s[10:11], -1
	s_waitcnt vmcnt(0)
	v_lshlrev_b32_e32 v1, 16, v1
	v_cvt_i32_f32_e32 v10, v1
	s_branch .LBB47_1457
.LBB47_1453:
	s_mov_b64 s[12:13], -1
                                        ; implicit-def: $vgpr10
	s_branch .LBB47_1458
.LBB47_1454:
	s_andn2_saveexec_b64 s[8:9], s[8:9]
	s_cbranch_execz .LBB47_1435
.LBB47_1455:
	v_cmp_ne_u16_e32 vcc, 0, v1
	s_andn2_b64 s[10:11], s[10:11], exec
	s_and_b64 s[12:13], vcc, exec
	s_or_b64 s[10:11], s[10:11], s[12:13]
	s_or_b64 exec, exec, s[8:9]
	v_mov_b32_e32 v10, 0
	s_and_saveexec_b64 s[8:9], s[10:11]
	s_cbranch_execnz .LBB47_1436
	s_branch .LBB47_1437
.LBB47_1456:
	s_mov_b64 s[0:1], -1
                                        ; implicit-def: $vgpr10
.LBB47_1457:
	s_mov_b64 s[12:13], 0
.LBB47_1458:
	s_and_b64 vcc, exec, s[12:13]
	s_cbranch_vccz .LBB47_1460
; %bb.1459:
	s_cmp_lg_u32 s16, 11
	s_mov_b64 s[8:9], -1
	s_cselect_b64 s[0:1], -1, 0
.LBB47_1460:
	s_and_b64 vcc, exec, s[0:1]
	s_cbranch_vccnz .LBB47_1558
; %bb.1461:
	s_andn2_b64 vcc, exec, s[8:9]
	s_cbranch_vccnz .LBB47_1463
.LBB47_1462:
	global_load_ubyte v1, v[16:17], off
	s_mov_b64 s[10:11], -1
	s_waitcnt vmcnt(0)
	v_cmp_ne_u16_e32 vcc, 0, v1
	s_nop 1
	v_cndmask_b32_e64 v10, 0, 1, vcc
.LBB47_1463:
	s_branch .LBB47_1383
.LBB47_1464:
	s_and_b32 s8, 0xffff, s15
	s_cmp_lt_i32 s8, 5
	s_cbranch_scc1 .LBB47_1469
; %bb.1465:
	s_cmp_lt_i32 s8, 8
	s_cbranch_scc1 .LBB47_1470
; %bb.1466:
	;; [unrolled: 3-line block ×3, first 2 shown]
	s_cmp_gt_i32 s8, 9
	s_cbranch_scc0 .LBB47_1472
; %bb.1468:
	global_load_dwordx2 v[10:11], v[16:17], off
	s_mov_b64 s[0:1], 0
	s_waitcnt vmcnt(0)
	v_cvt_i32_f64_e32 v10, v[10:11]
	s_branch .LBB47_1473
.LBB47_1469:
	s_mov_b64 s[0:1], -1
                                        ; implicit-def: $vgpr10
	s_branch .LBB47_1491
.LBB47_1470:
	s_mov_b64 s[0:1], -1
                                        ; implicit-def: $vgpr10
	s_branch .LBB47_1479
.LBB47_1471:
	s_mov_b64 s[0:1], -1
                                        ; implicit-def: $vgpr10
	s_branch .LBB47_1476
.LBB47_1472:
	s_mov_b64 s[0:1], -1
                                        ; implicit-def: $vgpr10
.LBB47_1473:
	s_andn2_b64 vcc, exec, s[0:1]
	s_cbranch_vccnz .LBB47_1475
; %bb.1474:
	global_load_dword v1, v[16:17], off
	s_waitcnt vmcnt(0)
	v_cvt_i32_f32_e32 v10, v1
.LBB47_1475:
	s_mov_b64 s[0:1], 0
.LBB47_1476:
	s_andn2_b64 vcc, exec, s[0:1]
	s_cbranch_vccnz .LBB47_1478
; %bb.1477:
	global_load_dword v1, v[16:17], off
	s_waitcnt vmcnt(0)
	v_cvt_i16_f16_e32 v10, v1
.LBB47_1478:
	s_mov_b64 s[0:1], 0
.LBB47_1479:
	s_andn2_b64 vcc, exec, s[0:1]
	s_cbranch_vccnz .LBB47_1490
; %bb.1480:
	s_cmp_lt_i32 s8, 6
	s_cbranch_scc1 .LBB47_1483
; %bb.1481:
	s_cmp_gt_i32 s8, 6
	s_cbranch_scc0 .LBB47_1484
; %bb.1482:
	global_load_dwordx2 v[10:11], v[16:17], off
	s_mov_b64 s[0:1], 0
	s_waitcnt vmcnt(0)
	v_cvt_i32_f64_e32 v10, v[10:11]
	s_branch .LBB47_1485
.LBB47_1483:
	s_mov_b64 s[0:1], -1
                                        ; implicit-def: $vgpr10
	s_branch .LBB47_1488
.LBB47_1484:
	s_mov_b64 s[0:1], -1
                                        ; implicit-def: $vgpr10
.LBB47_1485:
	s_andn2_b64 vcc, exec, s[0:1]
	s_cbranch_vccnz .LBB47_1487
; %bb.1486:
	global_load_dword v1, v[16:17], off
	s_waitcnt vmcnt(0)
	v_cvt_i32_f32_e32 v10, v1
.LBB47_1487:
	s_mov_b64 s[0:1], 0
.LBB47_1488:
	s_andn2_b64 vcc, exec, s[0:1]
	s_cbranch_vccnz .LBB47_1490
; %bb.1489:
	global_load_ushort v1, v[16:17], off
	s_waitcnt vmcnt(0)
	v_cvt_i16_f16_e32 v10, v1
.LBB47_1490:
	s_mov_b64 s[0:1], 0
.LBB47_1491:
	s_andn2_b64 vcc, exec, s[0:1]
	s_cbranch_vccnz .LBB47_1511
; %bb.1492:
	s_cmp_lt_i32 s8, 2
	s_cbranch_scc1 .LBB47_1496
; %bb.1493:
	s_cmp_lt_i32 s8, 3
	s_cbranch_scc1 .LBB47_1497
; %bb.1494:
	s_cmp_gt_i32 s8, 3
	s_cbranch_scc0 .LBB47_1498
; %bb.1495:
	global_load_dwordx2 v[10:11], v[16:17], off
	s_mov_b64 s[0:1], 0
	s_branch .LBB47_1499
.LBB47_1496:
	s_mov_b64 s[0:1], -1
                                        ; implicit-def: $vgpr10
	s_branch .LBB47_1505
.LBB47_1497:
	s_mov_b64 s[0:1], -1
                                        ; implicit-def: $vgpr10
	s_branch .LBB47_1502
.LBB47_1498:
	s_mov_b64 s[0:1], -1
                                        ; implicit-def: $vgpr10
.LBB47_1499:
	s_andn2_b64 vcc, exec, s[0:1]
	s_cbranch_vccnz .LBB47_1501
; %bb.1500:
	global_load_dword v10, v[16:17], off
.LBB47_1501:
	s_mov_b64 s[0:1], 0
.LBB47_1502:
	s_andn2_b64 vcc, exec, s[0:1]
	s_cbranch_vccnz .LBB47_1504
; %bb.1503:
	global_load_ushort v10, v[16:17], off
.LBB47_1504:
	s_mov_b64 s[0:1], 0
.LBB47_1505:
	s_andn2_b64 vcc, exec, s[0:1]
	s_cbranch_vccnz .LBB47_1511
; %bb.1506:
	s_cmp_gt_i32 s8, 0
	s_cbranch_scc0 .LBB47_1508
; %bb.1507:
	global_load_sbyte v10, v[16:17], off
	s_mov_b64 s[0:1], 0
	s_branch .LBB47_1509
.LBB47_1508:
	s_mov_b64 s[0:1], -1
                                        ; implicit-def: $vgpr10
.LBB47_1509:
	s_andn2_b64 vcc, exec, s[0:1]
	s_cbranch_vccnz .LBB47_1511
; %bb.1510:
	global_load_ubyte v10, v[16:17], off
.LBB47_1511:
	s_branch .LBB47_1384
.LBB47_1512:
	s_mov_b64 s[0:1], 0
                                        ; implicit-def: $vgpr0_vgpr1
                                        ; implicit-def: $sgpr14
                                        ; implicit-def: $vgpr2
                                        ; implicit-def: $vgpr8
.LBB47_1513:
	s_mov_b64 s[4:5], 0
.LBB47_1514:
	s_and_b64 s[6:7], s[0:1], exec
	s_andn2_b64 s[0:1], s[24:25], exec
	s_and_b64 s[2:3], s[2:3], exec
	s_and_b64 s[40:41], s[4:5], exec
	s_or_b64 s[24:25], s[0:1], s[2:3]
.LBB47_1515:
	s_or_b64 exec, exec, s[26:27]
	s_and_saveexec_b64 s[0:1], s[24:25]
	s_cbranch_execz .LBB47_1518
; %bb.1516:
	; divergent unreachable
	s_or_b64 exec, exec, s[0:1]
	s_and_saveexec_b64 s[0:1], s[40:41]
	s_xor_b64 s[0:1], exec, s[0:1]
	s_cbranch_execnz .LBB47_1519
.LBB47_1517:
	s_or_b64 exec, exec, s[0:1]
	s_and_saveexec_b64 s[0:1], s[6:7]
	s_cbranch_execnz .LBB47_1520
	s_branch .LBB47_1557
.LBB47_1518:
	s_or_b64 exec, exec, s[0:1]
	s_and_saveexec_b64 s[0:1], s[40:41]
	s_xor_b64 s[0:1], exec, s[0:1]
	s_cbranch_execz .LBB47_1517
.LBB47_1519:
	s_waitcnt vmcnt(0)
	v_cmp_ne_u16_e32 vcc, -1, v8
	s_nop 1
	v_cndmask_b32_e64 v3, 0, 1, vcc
	global_store_byte v[0:1], v3, off
	s_or_b64 exec, exec, s[0:1]
	s_and_saveexec_b64 s[0:1], s[6:7]
	s_cbranch_execz .LBB47_1557
.LBB47_1520:
	s_sext_i32_i16 s2, s14
	s_cmp_lt_i32 s2, 5
	s_mov_b64 s[0:1], -1
	s_cbranch_scc1 .LBB47_1541
; %bb.1521:
	s_cmp_lt_i32 s2, 8
	s_cbranch_scc1 .LBB47_1531
; %bb.1522:
	s_cmp_lt_i32 s2, 9
	s_cbranch_scc1 .LBB47_1528
; %bb.1523:
	s_cmp_gt_i32 s2, 9
	s_cbranch_scc0 .LBB47_1525
; %bb.1524:
	v_bfe_i32 v3, v2, 0, 16
	v_mov_b32_e32 v6, 0
	v_cvt_f64_i32_e32 v[4:5], v3
	v_mov_b32_e32 v7, v6
	s_waitcnt vmcnt(0)
	global_store_dwordx4 v[0:1], v[4:7], off
	s_mov_b64 s[0:1], 0
.LBB47_1525:
	s_andn2_b64 vcc, exec, s[0:1]
	s_cbranch_vccnz .LBB47_1527
; %bb.1526:
	v_cvt_f32_i32_sdwa v4, sext(v2) dst_sel:DWORD dst_unused:UNUSED_PAD src0_sel:WORD_0
	v_mov_b32_e32 v5, 0
	s_waitcnt vmcnt(0)
	global_store_dwordx2 v[0:1], v[4:5], off
.LBB47_1527:
	s_mov_b64 s[0:1], 0
.LBB47_1528:
	s_andn2_b64 vcc, exec, s[0:1]
	s_cbranch_vccnz .LBB47_1530
; %bb.1529:
	v_cvt_f16_i16_e32 v3, v2
	s_waitcnt vmcnt(0)
	global_store_dword v[0:1], v3, off
.LBB47_1530:
	s_mov_b64 s[0:1], 0
.LBB47_1531:
	s_andn2_b64 vcc, exec, s[0:1]
	s_cbranch_vccnz .LBB47_1540
; %bb.1532:
	s_sext_i32_i16 s2, s14
	s_cmp_lt_i32 s2, 6
	s_mov_b64 s[0:1], -1
	s_cbranch_scc1 .LBB47_1538
; %bb.1533:
	s_cmp_gt_i32 s2, 6
	s_cbranch_scc0 .LBB47_1535
; %bb.1534:
	v_bfe_i32 v3, v2, 0, 16
	v_cvt_f64_i32_e32 v[4:5], v3
	s_waitcnt vmcnt(0)
	global_store_dwordx2 v[0:1], v[4:5], off
	s_mov_b64 s[0:1], 0
.LBB47_1535:
	s_andn2_b64 vcc, exec, s[0:1]
	s_cbranch_vccnz .LBB47_1537
; %bb.1536:
	v_cvt_f32_i32_sdwa v3, sext(v2) dst_sel:DWORD dst_unused:UNUSED_PAD src0_sel:WORD_0
	s_waitcnt vmcnt(0)
	global_store_dword v[0:1], v3, off
.LBB47_1537:
	s_mov_b64 s[0:1], 0
.LBB47_1538:
	s_andn2_b64 vcc, exec, s[0:1]
	s_cbranch_vccnz .LBB47_1540
; %bb.1539:
	v_cvt_f16_i16_e32 v3, v2
	s_waitcnt vmcnt(0)
	global_store_short v[0:1], v3, off
.LBB47_1540:
	s_mov_b64 s[0:1], 0
.LBB47_1541:
	s_andn2_b64 vcc, exec, s[0:1]
	s_cbranch_vccnz .LBB47_1557
; %bb.1542:
	s_sext_i32_i16 s2, s14
	s_cmp_lt_i32 s2, 2
	s_mov_b64 s[0:1], -1
	s_cbranch_scc1 .LBB47_1552
; %bb.1543:
	s_cmp_lt_i32 s2, 3
	s_cbranch_scc1 .LBB47_1549
; %bb.1544:
	s_cmp_gt_i32 s2, 3
	s_cbranch_scc0 .LBB47_1546
; %bb.1545:
	v_bfe_i32 v4, v2, 0, 16
	v_ashrrev_i32_e32 v5, 31, v4
	s_waitcnt vmcnt(0)
	global_store_dwordx2 v[0:1], v[4:5], off
	s_mov_b64 s[0:1], 0
.LBB47_1546:
	s_andn2_b64 vcc, exec, s[0:1]
	s_cbranch_vccnz .LBB47_1548
; %bb.1547:
	v_bfe_i32 v3, v2, 0, 16
	s_waitcnt vmcnt(0)
	global_store_dword v[0:1], v3, off
.LBB47_1548:
	s_mov_b64 s[0:1], 0
.LBB47_1549:
	s_andn2_b64 vcc, exec, s[0:1]
	s_cbranch_vccnz .LBB47_1551
; %bb.1550:
	s_waitcnt vmcnt(0)
	global_store_short v[0:1], v2, off
.LBB47_1551:
	s_mov_b64 s[0:1], 0
.LBB47_1552:
	s_andn2_b64 vcc, exec, s[0:1]
	s_cbranch_vccnz .LBB47_1557
; %bb.1553:
	s_sext_i32_i16 s0, s14
	s_cmp_gt_i32 s0, 0
	s_mov_b64 s[0:1], -1
	s_cbranch_scc0 .LBB47_1555
; %bb.1554:
	s_waitcnt vmcnt(0)
	global_store_byte v[0:1], v2, off
	s_mov_b64 s[0:1], 0
.LBB47_1555:
	s_andn2_b64 vcc, exec, s[0:1]
	s_cbranch_vccnz .LBB47_1557
; %bb.1556:
	s_waitcnt vmcnt(0)
	global_store_byte v[0:1], v2, off
	s_endpgm
.LBB47_1557:
	s_endpgm
.LBB47_1558:
	s_trap 2
	s_or_b64 s[2:3], s[2:3], exec
	s_cbranch_execz .LBB47_1462
	s_branch .LBB47_1463
.LBB47_1559:
	s_mov_b64 s[0:1], -1
                                        ; implicit-def: $vgpr8
	s_mov_b64 s[8:9], 0
.LBB47_1560:
	s_and_b64 vcc, exec, s[10:11]
	s_cbranch_vccz .LBB47_1564
; %bb.1561:
	s_cmp_eq_u32 s12, 44
	s_cbranch_scc0 .LBB47_1563
; %bb.1562:
	global_load_ubyte v1, v[16:17], off
	s_mov_b64 s[0:1], 0
	s_mov_b64 s[8:9], -1
	s_waitcnt vmcnt(0)
	v_lshlrev_b32_e32 v3, 23, v1
	v_cvt_i32_f32_e32 v3, v3
	v_cmp_ne_u32_e32 vcc, 0, v1
	s_nop 1
	v_cndmask_b32_e32 v8, 0, v3, vcc
	s_branch .LBB47_1564
.LBB47_1563:
	s_mov_b64 s[0:1], -1
                                        ; implicit-def: $vgpr8
.LBB47_1564:
	s_mov_b64 s[10:11], 0
.LBB47_1565:
	s_and_b64 vcc, exec, s[10:11]
	s_cbranch_vccz .LBB47_1569
; %bb.1566:
	s_cmp_eq_u32 s12, 29
	s_cbranch_scc0 .LBB47_1568
; %bb.1567:
	global_load_dwordx2 v[8:9], v[16:17], off
	s_mov_b64 s[0:1], 0
	s_mov_b64 s[8:9], -1
	s_branch .LBB47_1569
.LBB47_1568:
	s_mov_b64 s[0:1], -1
                                        ; implicit-def: $vgpr8
.LBB47_1569:
	s_mov_b64 s[10:11], 0
.LBB47_1570:
	s_and_b64 vcc, exec, s[10:11]
	s_cbranch_vccz .LBB47_1586
; %bb.1571:
	s_cmp_lt_i32 s12, 27
	s_cbranch_scc1 .LBB47_1574
; %bb.1572:
	s_cmp_gt_i32 s12, 27
	s_cbranch_scc0 .LBB47_1575
; %bb.1573:
	global_load_dword v8, v[16:17], off
	s_mov_b64 s[8:9], 0
	s_branch .LBB47_1576
.LBB47_1574:
	s_mov_b64 s[8:9], -1
                                        ; implicit-def: $vgpr8
	s_branch .LBB47_1579
.LBB47_1575:
	s_mov_b64 s[8:9], -1
                                        ; implicit-def: $vgpr8
.LBB47_1576:
	s_andn2_b64 vcc, exec, s[8:9]
	s_cbranch_vccnz .LBB47_1578
; %bb.1577:
	global_load_ushort v8, v[16:17], off
.LBB47_1578:
	s_mov_b64 s[8:9], 0
.LBB47_1579:
	s_andn2_b64 vcc, exec, s[8:9]
	s_cbranch_vccnz .LBB47_1585
; %bb.1580:
	global_load_ubyte v1, v[16:17], off
	s_movk_i32 s8, 0x7f
	s_mov_b64 s[10:11], 0
	s_waitcnt vmcnt(0)
	v_cmp_lt_i16_e32 vcc, s8, v1
	s_and_saveexec_b64 s[8:9], vcc
	s_xor_b64 s[8:9], exec, s[8:9]
	s_cbranch_execz .LBB47_1597
; %bb.1581:
	s_movk_i32 s10, 0x80
	v_cmp_ne_u16_e32 vcc, s10, v1
	s_and_b64 s[10:11], vcc, exec
	s_andn2_saveexec_b64 s[8:9], s[8:9]
	s_cbranch_execnz .LBB47_1598
.LBB47_1582:
	s_or_b64 exec, exec, s[8:9]
	v_mov_b32_e32 v8, 0
	s_and_saveexec_b64 s[8:9], s[10:11]
	s_cbranch_execz .LBB47_1584
.LBB47_1583:
	v_lshlrev_b32_e32 v3, 24, v1
	v_and_b32_e32 v1, 0xffff, v1
	v_and_b32_e32 v5, 7, v1
	v_ffbh_u32_e32 v8, v5
	v_min_u32_e32 v8, 32, v8
	v_subrev_u32_e32 v9, 28, v8
	v_bfe_u32 v7, v1, 3, 4
	v_lshlrev_b32_e32 v1, v9, v1
	v_sub_u32_e32 v8, 29, v8
	v_and_b32_e32 v1, 7, v1
	v_cmp_eq_u32_e32 vcc, 0, v7
	v_and_b32_e32 v3, 0x80000000, v3
	s_nop 0
	v_cndmask_b32_e32 v7, v7, v8, vcc
	v_cndmask_b32_e32 v1, v5, v1, vcc
	v_mov_b32_e32 v5, 0x3b800000
	v_lshlrev_b32_e32 v1, 20, v1
	v_lshl_add_u32 v5, v7, 23, v5
	v_or3_b32 v1, v3, v5, v1
	v_cvt_i32_f32_e32 v8, v1
.LBB47_1584:
	s_or_b64 exec, exec, s[8:9]
.LBB47_1585:
	s_mov_b64 s[8:9], -1
.LBB47_1586:
	s_mov_b64 s[10:11], 0
.LBB47_1587:
	s_and_b64 vcc, exec, s[10:11]
	s_cbranch_vccz .LBB47_1618
; %bb.1588:
	s_cmp_gt_i32 s12, 22
	s_cbranch_scc0 .LBB47_1596
; %bb.1589:
	s_cmp_lt_i32 s12, 24
	s_cbranch_scc1 .LBB47_1599
; %bb.1590:
	s_cmp_gt_i32 s12, 24
	s_cbranch_scc0 .LBB47_1600
; %bb.1591:
	global_load_ubyte v1, v[16:17], off
	s_movk_i32 s6, 0x7f
	s_mov_b64 s[8:9], 0
	s_waitcnt vmcnt(0)
	v_cmp_lt_i16_e32 vcc, s6, v1
	s_and_saveexec_b64 s[6:7], vcc
	s_xor_b64 s[6:7], exec, s[6:7]
	s_cbranch_execz .LBB47_1612
; %bb.1592:
	s_movk_i32 s8, 0x80
	v_cmp_ne_u16_e32 vcc, s8, v1
	s_and_b64 s[8:9], vcc, exec
	s_andn2_saveexec_b64 s[6:7], s[6:7]
	s_cbranch_execnz .LBB47_1613
.LBB47_1593:
	s_or_b64 exec, exec, s[6:7]
	v_mov_b32_e32 v8, 0
	s_and_saveexec_b64 s[6:7], s[8:9]
	s_cbranch_execz .LBB47_1595
.LBB47_1594:
	v_lshlrev_b32_e32 v3, 24, v1
	v_and_b32_e32 v1, 0xffff, v1
	v_and_b32_e32 v5, 3, v1
	v_ffbh_u32_e32 v8, v5
	v_min_u32_e32 v8, 32, v8
	v_subrev_u32_e32 v9, 29, v8
	v_bfe_u32 v7, v1, 2, 5
	v_lshlrev_b32_e32 v1, v9, v1
	v_sub_u32_e32 v8, 30, v8
	v_and_b32_e32 v1, 3, v1
	v_cmp_eq_u32_e32 vcc, 0, v7
	v_and_b32_e32 v3, 0x80000000, v3
	s_nop 0
	v_cndmask_b32_e32 v7, v7, v8, vcc
	v_cndmask_b32_e32 v1, v5, v1, vcc
	v_mov_b32_e32 v5, 0x37800000
	v_lshlrev_b32_e32 v1, 21, v1
	v_lshl_add_u32 v5, v7, 23, v5
	v_or3_b32 v1, v3, v5, v1
	v_cvt_i32_f32_e32 v8, v1
.LBB47_1595:
	s_or_b64 exec, exec, s[6:7]
	s_mov_b64 s[6:7], 0
	s_branch .LBB47_1601
.LBB47_1596:
	s_mov_b64 s[6:7], -1
                                        ; implicit-def: $vgpr8
	s_branch .LBB47_1607
.LBB47_1597:
	s_andn2_saveexec_b64 s[8:9], s[8:9]
	s_cbranch_execz .LBB47_1582
.LBB47_1598:
	v_cmp_ne_u16_e32 vcc, 0, v1
	s_andn2_b64 s[10:11], s[10:11], exec
	s_and_b64 s[16:17], vcc, exec
	s_or_b64 s[10:11], s[10:11], s[16:17]
	s_or_b64 exec, exec, s[8:9]
	v_mov_b32_e32 v8, 0
	s_and_saveexec_b64 s[8:9], s[10:11]
	s_cbranch_execnz .LBB47_1583
	s_branch .LBB47_1584
.LBB47_1599:
	s_mov_b64 s[6:7], -1
                                        ; implicit-def: $vgpr8
	s_branch .LBB47_1604
.LBB47_1600:
	s_mov_b64 s[6:7], -1
                                        ; implicit-def: $vgpr8
.LBB47_1601:
	s_and_b64 vcc, exec, s[6:7]
	s_cbranch_vccz .LBB47_1603
; %bb.1602:
	global_load_ubyte v1, v[16:17], off
	s_mov_b32 s6, 0x7f800000
	s_waitcnt vmcnt(0)
	v_lshlrev_b32_e32 v1, 24, v1
	v_and_b32_e32 v3, 0x7f000000, v1
	v_ffbh_u32_e32 v5, v3
	v_min_u32_e32 v5, 32, v5
	v_sub_u32_e64 v5, v5, 4 clamp
	v_lshlrev_b32_e32 v8, v5, v3
	v_lshlrev_b32_e32 v5, 23, v5
	v_lshrrev_b32_e32 v8, 4, v8
	v_add_u32_e32 v7, 0x1000000, v3
	v_sub_u32_e32 v5, v8, v5
	v_ashrrev_i32_e32 v7, 8, v7
	v_add_u32_e32 v5, 0x3c000000, v5
	v_and_or_b32 v5, v7, s6, v5
	v_cmp_ne_u32_e32 vcc, 0, v3
	s_brev_b32 s6, 1
	s_nop 0
	v_cndmask_b32_e32 v3, 0, v5, vcc
	v_and_or_b32 v1, v1, s6, v3
	v_cvt_i32_f32_e32 v8, v1
.LBB47_1603:
	s_mov_b64 s[6:7], 0
.LBB47_1604:
	s_andn2_b64 vcc, exec, s[6:7]
	s_cbranch_vccnz .LBB47_1606
; %bb.1605:
	global_load_ubyte v1, v[16:17], off
	s_movk_i32 s6, 0x7f00
	s_brev_b32 s7, 16
	s_waitcnt vmcnt(0)
	v_lshlrev_b16_e32 v3, 8, v1
	v_lshlrev_b32_e32 v1, 25, v1
	v_lshrrev_b32_e32 v5, 4, v1
	v_and_or_b32 v7, v3, s6, 0.5
	v_or_b32_e32 v5, 0x70000000, v5
	v_add_f32_e32 v7, -0.5, v7
	v_mul_f32_e32 v5, 0x7800000, v5
	v_cmp_gt_u32_e32 vcc, s7, v1
	v_bfe_i32 v3, v3, 0, 16
	s_brev_b32 s6, 1
	v_cndmask_b32_e32 v1, v5, v7, vcc
	v_and_or_b32 v1, v3, s6, v1
	v_cvt_i32_f32_e32 v8, v1
.LBB47_1606:
	s_mov_b64 s[6:7], 0
	s_mov_b64 s[8:9], -1
.LBB47_1607:
	s_andn2_b64 vcc, exec, s[6:7]
	s_mov_b64 s[6:7], 0
	s_cbranch_vccnz .LBB47_1618
; %bb.1608:
	s_cmp_gt_i32 s12, 14
	s_cbranch_scc0 .LBB47_1611
; %bb.1609:
	s_cmp_eq_u32 s12, 15
	s_cbranch_scc0 .LBB47_1614
; %bb.1610:
	global_load_ushort v1, v[16:17], off
	s_mov_b64 s[0:1], 0
	s_mov_b64 s[8:9], -1
	s_waitcnt vmcnt(0)
	v_lshlrev_b32_e32 v1, 16, v1
	v_cvt_i32_f32_e32 v8, v1
	s_branch .LBB47_1615
.LBB47_1611:
	s_mov_b64 s[10:11], -1
                                        ; implicit-def: $vgpr8
	s_branch .LBB47_1616
.LBB47_1612:
	s_andn2_saveexec_b64 s[6:7], s[6:7]
	s_cbranch_execz .LBB47_1593
.LBB47_1613:
	v_cmp_ne_u16_e32 vcc, 0, v1
	s_andn2_b64 s[8:9], s[8:9], exec
	s_and_b64 s[10:11], vcc, exec
	s_or_b64 s[8:9], s[8:9], s[10:11]
	s_or_b64 exec, exec, s[6:7]
	v_mov_b32_e32 v8, 0
	s_and_saveexec_b64 s[6:7], s[8:9]
	s_cbranch_execnz .LBB47_1594
	s_branch .LBB47_1595
.LBB47_1614:
	s_mov_b64 s[0:1], -1
                                        ; implicit-def: $vgpr8
.LBB47_1615:
	s_mov_b64 s[10:11], 0
.LBB47_1616:
	s_and_b64 vcc, exec, s[10:11]
	s_cbranch_vccz .LBB47_1618
; %bb.1617:
	s_cmp_lg_u32 s12, 11
	s_mov_b64 s[6:7], -1
	s_cselect_b64 s[0:1], -1, 0
.LBB47_1618:
	s_and_b64 vcc, exec, s[0:1]
	s_cbranch_vccnz .LBB47_2107
; %bb.1619:
	s_andn2_b64 vcc, exec, s[6:7]
	s_cbranch_vccnz .LBB47_1621
.LBB47_1620:
	global_load_ubyte v1, v[16:17], off
	s_mov_b64 s[8:9], -1
	s_waitcnt vmcnt(0)
	v_cmp_ne_u16_e32 vcc, 0, v1
	s_nop 1
	v_cndmask_b32_e64 v8, 0, 1, vcc
.LBB47_1621:
	s_mov_b64 s[0:1], 0
.LBB47_1622:
	s_and_b64 vcc, exec, s[0:1]
	s_cbranch_vccz .LBB47_1671
; %bb.1623:
	s_and_b32 s6, 0xffff, s15
	s_cmp_lt_i32 s6, 5
	s_cbranch_scc1 .LBB47_1628
; %bb.1624:
	s_cmp_lt_i32 s6, 8
	s_cbranch_scc1 .LBB47_1629
; %bb.1625:
	;; [unrolled: 3-line block ×3, first 2 shown]
	s_cmp_gt_i32 s6, 9
	s_cbranch_scc0 .LBB47_1631
; %bb.1627:
	global_load_dwordx2 v[8:9], v[16:17], off
	s_mov_b64 s[0:1], 0
	s_waitcnt vmcnt(0)
	v_cvt_i32_f64_e32 v8, v[8:9]
	s_branch .LBB47_1632
.LBB47_1628:
	s_mov_b64 s[0:1], -1
                                        ; implicit-def: $vgpr8
	s_branch .LBB47_1650
.LBB47_1629:
	s_mov_b64 s[0:1], -1
                                        ; implicit-def: $vgpr8
	s_branch .LBB47_1638
.LBB47_1630:
	s_mov_b64 s[0:1], -1
                                        ; implicit-def: $vgpr8
	s_branch .LBB47_1635
.LBB47_1631:
	s_mov_b64 s[0:1], -1
                                        ; implicit-def: $vgpr8
.LBB47_1632:
	s_andn2_b64 vcc, exec, s[0:1]
	s_cbranch_vccnz .LBB47_1634
; %bb.1633:
	global_load_dword v1, v[16:17], off
	s_waitcnt vmcnt(0)
	v_cvt_i32_f32_e32 v8, v1
.LBB47_1634:
	s_mov_b64 s[0:1], 0
.LBB47_1635:
	s_andn2_b64 vcc, exec, s[0:1]
	s_cbranch_vccnz .LBB47_1637
; %bb.1636:
	global_load_dword v1, v[16:17], off
	s_waitcnt vmcnt(0)
	v_cvt_i16_f16_e32 v8, v1
.LBB47_1637:
	s_mov_b64 s[0:1], 0
.LBB47_1638:
	s_andn2_b64 vcc, exec, s[0:1]
	s_cbranch_vccnz .LBB47_1649
; %bb.1639:
	s_cmp_lt_i32 s6, 6
	s_cbranch_scc1 .LBB47_1642
; %bb.1640:
	s_cmp_gt_i32 s6, 6
	s_cbranch_scc0 .LBB47_1643
; %bb.1641:
	global_load_dwordx2 v[8:9], v[16:17], off
	s_mov_b64 s[0:1], 0
	s_waitcnt vmcnt(0)
	v_cvt_i32_f64_e32 v8, v[8:9]
	s_branch .LBB47_1644
.LBB47_1642:
	s_mov_b64 s[0:1], -1
                                        ; implicit-def: $vgpr8
	s_branch .LBB47_1647
.LBB47_1643:
	s_mov_b64 s[0:1], -1
                                        ; implicit-def: $vgpr8
.LBB47_1644:
	s_andn2_b64 vcc, exec, s[0:1]
	s_cbranch_vccnz .LBB47_1646
; %bb.1645:
	global_load_dword v1, v[16:17], off
	s_waitcnt vmcnt(0)
	v_cvt_i32_f32_e32 v8, v1
.LBB47_1646:
	s_mov_b64 s[0:1], 0
.LBB47_1647:
	s_andn2_b64 vcc, exec, s[0:1]
	s_cbranch_vccnz .LBB47_1649
; %bb.1648:
	global_load_ushort v1, v[16:17], off
	s_waitcnt vmcnt(0)
	v_cvt_i16_f16_e32 v8, v1
.LBB47_1649:
	s_mov_b64 s[0:1], 0
.LBB47_1650:
	s_andn2_b64 vcc, exec, s[0:1]
	s_cbranch_vccnz .LBB47_1670
; %bb.1651:
	s_cmp_lt_i32 s6, 2
	s_cbranch_scc1 .LBB47_1655
; %bb.1652:
	s_cmp_lt_i32 s6, 3
	s_cbranch_scc1 .LBB47_1656
; %bb.1653:
	s_cmp_gt_i32 s6, 3
	s_cbranch_scc0 .LBB47_1657
; %bb.1654:
	global_load_dwordx2 v[8:9], v[16:17], off
	s_mov_b64 s[0:1], 0
	s_branch .LBB47_1658
.LBB47_1655:
	s_mov_b64 s[0:1], -1
                                        ; implicit-def: $vgpr8
	s_branch .LBB47_1664
.LBB47_1656:
	s_mov_b64 s[0:1], -1
                                        ; implicit-def: $vgpr8
	s_branch .LBB47_1661
.LBB47_1657:
	s_mov_b64 s[0:1], -1
                                        ; implicit-def: $vgpr8
.LBB47_1658:
	s_andn2_b64 vcc, exec, s[0:1]
	s_cbranch_vccnz .LBB47_1660
; %bb.1659:
	global_load_dword v8, v[16:17], off
.LBB47_1660:
	s_mov_b64 s[0:1], 0
.LBB47_1661:
	s_andn2_b64 vcc, exec, s[0:1]
	s_cbranch_vccnz .LBB47_1663
; %bb.1662:
	global_load_ushort v8, v[16:17], off
.LBB47_1663:
	s_mov_b64 s[0:1], 0
.LBB47_1664:
	s_andn2_b64 vcc, exec, s[0:1]
	s_cbranch_vccnz .LBB47_1670
; %bb.1665:
	s_cmp_gt_i32 s6, 0
	s_cbranch_scc0 .LBB47_1667
; %bb.1666:
	global_load_sbyte v8, v[16:17], off
	s_mov_b64 s[0:1], 0
	s_branch .LBB47_1668
.LBB47_1667:
	s_mov_b64 s[0:1], -1
                                        ; implicit-def: $vgpr8
.LBB47_1668:
	s_andn2_b64 vcc, exec, s[0:1]
	s_cbranch_vccnz .LBB47_1670
; %bb.1669:
	global_load_ubyte v8, v[16:17], off
.LBB47_1670:
	s_mov_b64 s[8:9], -1
.LBB47_1671:
	s_andn2_b64 vcc, exec, s[8:9]
	s_cbranch_vccnz .LBB47_2105
; %bb.1672:
	s_bfe_u32 s15, s14, 0x80008
	v_mov_b32_e32 v7, 0
	s_waitcnt vmcnt(0)
	v_xor_b32_e32 v1, -1, v14
	s_cmp_lt_i32 s15, 11
	v_lshl_add_u64 v[6:7], s[4:5], 0, v[6:7]
	s_cbranch_scc1 .LBB47_1750
; %bb.1673:
	s_and_b32 s16, 0xffff, s15
	s_mov_b64 s[10:11], -1
	s_mov_b64 s[6:7], 0
	s_cmp_gt_i32 s16, 25
	s_mov_b64 s[8:9], 0
	s_mov_b64 s[0:1], 0
	s_cbranch_scc0 .LBB47_1706
; %bb.1674:
	s_cmp_gt_i32 s16, 28
	s_cbranch_scc0 .LBB47_1689
; %bb.1675:
	s_cmp_gt_i32 s16, 43
	;; [unrolled: 3-line block ×3, first 2 shown]
	s_cbranch_scc0 .LBB47_1679
; %bb.1677:
	s_mov_b64 s[0:1], -1
	s_mov_b64 s[10:11], 0
	s_cmp_eq_u32 s16, 46
	s_cbranch_scc0 .LBB47_1679
; %bb.1678:
	v_cvt_f32_i32_sdwa v3, sext(v1) dst_sel:DWORD dst_unused:UNUSED_PAD src0_sel:WORD_0
	s_movk_i32 s8, 0x7fff
	s_mov_b64 s[0:1], 0
	v_bfe_u32 v5, v3, 16, 1
	v_add3_u32 v3, v3, v5, s8
	v_lshrrev_b32_e32 v3, 16, v3
	global_store_dword v[6:7], v3, off
	s_mov_b64 s[8:9], -1
.LBB47_1679:
	s_and_b64 vcc, exec, s[10:11]
	s_cbranch_vccz .LBB47_1684
; %bb.1680:
	s_cmp_eq_u32 s16, 44
	s_mov_b64 s[0:1], -1
	s_cbranch_scc0 .LBB47_1684
; %bb.1681:
	v_cvt_f32_i32_sdwa v3, sext(v1) dst_sel:DWORD dst_unused:UNUSED_PAD src0_sel:WORD_0
	s_movk_i32 s0, 0xff
	v_mov_b32_e32 v9, 0xff
	v_bfe_u32 v5, v3, 23, 8
	v_cmp_ne_u32_e32 vcc, s0, v5
	s_and_saveexec_b64 s[8:9], vcc
; %bb.1682:
	s_mov_b32 s0, 0x3fffff
	v_lshrrev_b32_e32 v9, 23, v3
	v_and_b32_e32 v11, 0x400000, v3
	v_and_or_b32 v3, v3, s0, v5
	v_cmp_ne_u32_e32 vcc, 0, v11
	v_cmp_ne_u32_e64 s[0:1], 0, v3
	s_and_b64 s[0:1], vcc, s[0:1]
	s_nop 0
	v_cndmask_b32_e64 v3, 0, 1, s[0:1]
	v_add_u32_e32 v9, v9, v3
; %bb.1683:
	s_or_b64 exec, exec, s[8:9]
	s_mov_b64 s[0:1], 0
	s_mov_b64 s[8:9], -1
	global_store_byte v[6:7], v9, off
.LBB47_1684:
	s_mov_b64 s[10:11], 0
.LBB47_1685:
	s_and_b64 vcc, exec, s[10:11]
	s_cbranch_vccz .LBB47_1688
; %bb.1686:
	s_cmp_eq_u32 s16, 29
	s_mov_b64 s[0:1], -1
	s_cbranch_scc0 .LBB47_1688
; %bb.1687:
	v_bfe_i32 v16, v1, 0, 16
	v_ashrrev_i32_e32 v17, 31, v16
	global_store_dwordx2 v[6:7], v[16:17], off
	s_mov_b64 s[0:1], 0
	s_mov_b64 s[8:9], -1
.LBB47_1688:
	s_mov_b64 s[10:11], 0
.LBB47_1689:
	s_and_b64 vcc, exec, s[10:11]
	s_cbranch_vccz .LBB47_1705
; %bb.1690:
	s_cmp_lt_i32 s16, 27
	s_mov_b64 s[8:9], -1
	s_cbranch_scc1 .LBB47_1696
; %bb.1691:
	s_cmp_gt_i32 s16, 27
	s_cbranch_scc0 .LBB47_1693
; %bb.1692:
	v_bfe_i32 v3, v1, 0, 16
	s_mov_b64 s[8:9], 0
	global_store_dword v[6:7], v3, off
.LBB47_1693:
	s_andn2_b64 vcc, exec, s[8:9]
	s_cbranch_vccnz .LBB47_1695
; %bb.1694:
	global_store_short v[6:7], v1, off
.LBB47_1695:
	s_mov_b64 s[8:9], 0
.LBB47_1696:
	s_andn2_b64 vcc, exec, s[8:9]
	s_cbranch_vccnz .LBB47_1704
; %bb.1697:
	v_cvt_f32_i32_sdwa v3, sext(v1) dst_sel:DWORD dst_unused:UNUSED_PAD src0_sel:WORD_0
	s_mov_b32 s8, 0x43800000
	v_mov_b32_e32 v9, 0x80
	v_and_b32_e32 v5, 0x7fffffff, v3
	v_cmp_gt_u32_e32 vcc, s8, v5
	s_and_saveexec_b64 s[8:9], vcc
	s_cbranch_execz .LBB47_1703
; %bb.1698:
	s_mov_b32 s10, 0x3bffffff
	v_cmp_lt_u32_e32 vcc, s10, v5
	s_mov_b64 s[10:11], 0
                                        ; implicit-def: $vgpr5
	s_and_saveexec_b64 s[12:13], vcc
	s_xor_b64 s[12:13], exec, s[12:13]
	s_cbranch_execz .LBB47_2108
; %bb.1699:
	v_bfe_u32 v5, v3, 20, 1
	s_mov_b32 s17, 0x487ffff
	v_add3_u32 v5, v3, v5, s17
	s_mov_b64 s[10:11], exec
	v_lshrrev_b32_e32 v5, 20, v5
	s_andn2_saveexec_b64 s[12:13], s[12:13]
	s_cbranch_execnz .LBB47_2109
.LBB47_1700:
	s_or_b64 exec, exec, s[12:13]
	v_mov_b32_e32 v9, 0
	s_and_saveexec_b64 s[12:13], s[10:11]
.LBB47_1701:
	v_lshrrev_b32_e32 v3, 24, v3
	s_movk_i32 s10, 0x80
	v_and_or_b32 v9, v3, s10, v5
.LBB47_1702:
	s_or_b64 exec, exec, s[12:13]
.LBB47_1703:
	s_or_b64 exec, exec, s[8:9]
	global_store_byte v[6:7], v9, off
.LBB47_1704:
	s_mov_b64 s[8:9], -1
.LBB47_1705:
	s_mov_b64 s[10:11], 0
.LBB47_1706:
	s_and_b64 vcc, exec, s[10:11]
	s_cbranch_vccz .LBB47_1746
; %bb.1707:
	s_cmp_gt_i32 s16, 22
	s_mov_b64 s[6:7], -1
	s_cbranch_scc0 .LBB47_1739
; %bb.1708:
	s_cmp_lt_i32 s16, 24
	s_cbranch_scc1 .LBB47_1728
; %bb.1709:
	s_cmp_gt_i32 s16, 24
	s_cbranch_scc0 .LBB47_1717
; %bb.1710:
	v_cvt_f32_i32_sdwa v3, sext(v1) dst_sel:DWORD dst_unused:UNUSED_PAD src0_sel:WORD_0
	s_mov_b32 s6, 0x47800000
	v_mov_b32_e32 v9, 0x80
	v_and_b32_e32 v5, 0x7fffffff, v3
	v_cmp_gt_u32_e32 vcc, s6, v5
	s_and_saveexec_b64 s[6:7], vcc
	s_cbranch_execz .LBB47_1716
; %bb.1711:
	s_mov_b32 s8, 0x37ffffff
	v_cmp_lt_u32_e32 vcc, s8, v5
	s_mov_b64 s[8:9], 0
                                        ; implicit-def: $vgpr5
	s_and_saveexec_b64 s[10:11], vcc
	s_xor_b64 s[10:11], exec, s[10:11]
	s_cbranch_execz .LBB47_2111
; %bb.1712:
	v_bfe_u32 v5, v3, 21, 1
	s_mov_b32 s12, 0x88fffff
	v_add3_u32 v5, v3, v5, s12
	s_mov_b64 s[8:9], exec
	v_lshrrev_b32_e32 v5, 21, v5
	s_andn2_saveexec_b64 s[10:11], s[10:11]
	s_cbranch_execnz .LBB47_2112
.LBB47_1713:
	s_or_b64 exec, exec, s[10:11]
	v_mov_b32_e32 v9, 0
	s_and_saveexec_b64 s[10:11], s[8:9]
.LBB47_1714:
	v_lshrrev_b32_e32 v3, 24, v3
	s_movk_i32 s8, 0x80
	v_and_or_b32 v9, v3, s8, v5
.LBB47_1715:
	s_or_b64 exec, exec, s[10:11]
.LBB47_1716:
	s_or_b64 exec, exec, s[6:7]
	s_mov_b64 s[6:7], 0
	global_store_byte v[6:7], v9, off
.LBB47_1717:
	s_and_b64 vcc, exec, s[6:7]
	s_cbranch_vccz .LBB47_1727
; %bb.1718:
	v_cvt_f32_i32_sdwa v3, sext(v1) dst_sel:DWORD dst_unused:UNUSED_PAD src0_sel:WORD_0
	s_mov_b32 s6, 0x43f00000
                                        ; implicit-def: $vgpr5
	v_and_b32_e32 v9, 0x7fffffff, v3
	v_cmp_gt_u32_e32 vcc, s6, v9
	s_and_saveexec_b64 s[6:7], vcc
	s_xor_b64 s[6:7], exec, s[6:7]
	s_cbranch_execz .LBB47_1724
; %bb.1719:
	s_mov_b32 s8, 0x3c7fffff
	v_cmp_lt_u32_e32 vcc, s8, v9
                                        ; implicit-def: $vgpr5
	s_and_saveexec_b64 s[8:9], vcc
	s_xor_b64 s[8:9], exec, s[8:9]
; %bb.1720:
	v_bfe_u32 v5, v3, 20, 1
	s_mov_b32 s10, 0x407ffff
	v_add3_u32 v5, v3, v5, s10
	v_lshrrev_b32_e32 v9, 20, v5
	v_and_b32_e32 v5, 0xff00000, v5
	s_mov_b32 s10, 0x7f00000
	v_mov_b32_e32 v11, 0x7e
	v_cmp_ne_u32_e32 vcc, s10, v5
	s_nop 1
	v_cndmask_b32_e32 v5, v11, v9, vcc
; %bb.1721:
	s_andn2_saveexec_b64 s[8:9], s[8:9]
; %bb.1722:
	s_mov_b32 s10, 0x46800000
	v_add_f32_e64 v5, |v3|, s10
; %bb.1723:
	s_or_b64 exec, exec, s[8:9]
                                        ; implicit-def: $vgpr9
.LBB47_1724:
	s_andn2_saveexec_b64 s[6:7], s[6:7]
; %bb.1725:
	s_mov_b32 s8, 0x7f800000
	v_mov_b32_e32 v5, 0x7e
	v_mov_b32_e32 v11, 0x7f
	v_cmp_lt_u32_e32 vcc, s8, v9
	s_nop 1
	v_cndmask_b32_e32 v5, v5, v11, vcc
; %bb.1726:
	s_or_b64 exec, exec, s[6:7]
	v_lshrrev_b32_e32 v3, 24, v3
	s_movk_i32 s6, 0x80
	v_and_or_b32 v3, v3, s6, v5
	global_store_byte v[6:7], v3, off
.LBB47_1727:
	s_mov_b64 s[6:7], 0
.LBB47_1728:
	s_andn2_b64 vcc, exec, s[6:7]
	s_cbranch_vccnz .LBB47_1738
; %bb.1729:
	v_cvt_f32_i32_sdwa v3, sext(v1) dst_sel:DWORD dst_unused:UNUSED_PAD src0_sel:WORD_0
	s_mov_b32 s6, 0x47800000
                                        ; implicit-def: $vgpr5
	v_and_b32_e32 v9, 0x7fffffff, v3
	v_cmp_gt_u32_e32 vcc, s6, v9
	s_and_saveexec_b64 s[6:7], vcc
	s_xor_b64 s[6:7], exec, s[6:7]
	s_cbranch_execz .LBB47_1735
; %bb.1730:
	s_mov_b32 s8, 0x387fffff
	v_cmp_lt_u32_e32 vcc, s8, v9
                                        ; implicit-def: $vgpr5
	s_and_saveexec_b64 s[8:9], vcc
	s_xor_b64 s[8:9], exec, s[8:9]
; %bb.1731:
	v_bfe_u32 v5, v3, 21, 1
	s_mov_b32 s10, 0x80fffff
	v_add3_u32 v5, v3, v5, s10
	v_lshrrev_b32_e32 v5, 21, v5
; %bb.1732:
	s_andn2_saveexec_b64 s[8:9], s[8:9]
; %bb.1733:
	s_mov_b32 s10, 0x43000000
	v_add_f32_e64 v5, |v3|, s10
; %bb.1734:
	s_or_b64 exec, exec, s[8:9]
                                        ; implicit-def: $vgpr9
.LBB47_1735:
	s_andn2_saveexec_b64 s[6:7], s[6:7]
; %bb.1736:
	s_mov_b32 s8, 0x7f800000
	v_mov_b32_e32 v5, 0x7c
	v_mov_b32_e32 v11, 0x7f
	v_cmp_lt_u32_e32 vcc, s8, v9
	s_nop 1
	v_cndmask_b32_e32 v5, v5, v11, vcc
; %bb.1737:
	s_or_b64 exec, exec, s[6:7]
	v_lshrrev_b32_e32 v3, 24, v3
	s_movk_i32 s6, 0x80
	v_and_or_b32 v3, v3, s6, v5
	global_store_byte v[6:7], v3, off
.LBB47_1738:
	s_mov_b64 s[6:7], 0
	s_mov_b64 s[8:9], -1
.LBB47_1739:
	s_andn2_b64 vcc, exec, s[6:7]
	s_mov_b64 s[6:7], 0
	s_cbranch_vccnz .LBB47_1746
; %bb.1740:
	s_cmp_gt_i32 s16, 14
	s_mov_b64 s[10:11], -1
	s_cbranch_scc0 .LBB47_1744
; %bb.1741:
	s_cmp_eq_u32 s16, 15
	s_mov_b64 s[0:1], -1
	s_cbranch_scc0 .LBB47_1743
; %bb.1742:
	v_cvt_f32_i32_sdwa v3, sext(v1) dst_sel:DWORD dst_unused:UNUSED_PAD src0_sel:WORD_0
	s_movk_i32 s6, 0x7fff
	s_mov_b64 s[0:1], 0
	s_mov_b64 s[8:9], -1
	v_bfe_u32 v5, v3, 16, 1
	v_add3_u32 v3, v3, v5, s6
	global_store_short_d16_hi v[6:7], v3, off
.LBB47_1743:
	s_mov_b64 s[10:11], 0
.LBB47_1744:
	s_mov_b64 s[6:7], 0
	s_and_b64 vcc, exec, s[10:11]
	s_cbranch_vccz .LBB47_1746
; %bb.1745:
	s_cmp_lg_u32 s16, 11
	s_mov_b64 s[6:7], -1
	s_cselect_b64 s[0:1], -1, 0
.LBB47_1746:
	s_and_b64 vcc, exec, s[0:1]
	s_cbranch_vccnz .LBB47_2110
; %bb.1747:
	s_andn2_b64 vcc, exec, s[6:7]
	s_cbranch_vccnz .LBB47_1749
.LBB47_1748:
	v_cmp_ne_u16_e32 vcc, -1, v14
	s_mov_b64 s[8:9], -1
	s_nop 0
	v_cndmask_b32_e64 v3, 0, 1, vcc
	global_store_byte v[6:7], v3, off
.LBB47_1749:
	s_mov_b64 s[0:1], 0
	s_branch .LBB47_1751
.LBB47_1750:
	s_mov_b64 s[0:1], -1
	s_mov_b64 s[8:9], 0
.LBB47_1751:
	s_and_b64 vcc, exec, s[0:1]
	s_cbranch_vccz .LBB47_1790
; %bb.1752:
	s_and_b32 s6, 0xffff, s15
	s_cmp_lt_i32 s6, 5
	s_mov_b64 s[0:1], -1
	s_cbranch_scc1 .LBB47_1773
; %bb.1753:
	s_cmp_lt_i32 s6, 8
	s_cbranch_scc1 .LBB47_1763
; %bb.1754:
	s_cmp_lt_i32 s6, 9
	s_cbranch_scc1 .LBB47_1760
; %bb.1755:
	s_cmp_gt_i32 s6, 9
	s_cbranch_scc0 .LBB47_1757
; %bb.1756:
	v_bfe_i32 v3, v1, 0, 16
	v_mov_b32_e32 v16, 0
	v_cvt_f64_i32_e32 v[14:15], v3
	v_mov_b32_e32 v17, v16
	global_store_dwordx4 v[6:7], v[14:17], off
	s_mov_b64 s[0:1], 0
.LBB47_1757:
	s_andn2_b64 vcc, exec, s[0:1]
	s_cbranch_vccnz .LBB47_1759
; %bb.1758:
	v_cvt_f32_i32_sdwa v14, sext(v1) dst_sel:DWORD dst_unused:UNUSED_PAD src0_sel:WORD_0
	v_mov_b32_e32 v15, 0
	global_store_dwordx2 v[6:7], v[14:15], off
.LBB47_1759:
	s_mov_b64 s[0:1], 0
.LBB47_1760:
	s_andn2_b64 vcc, exec, s[0:1]
	s_cbranch_vccnz .LBB47_1762
; %bb.1761:
	v_cvt_f16_i16_e32 v3, v1
	global_store_dword v[6:7], v3, off
.LBB47_1762:
	s_mov_b64 s[0:1], 0
.LBB47_1763:
	s_andn2_b64 vcc, exec, s[0:1]
	s_cbranch_vccnz .LBB47_1772
; %bb.1764:
	s_cmp_lt_i32 s6, 6
	s_mov_b64 s[0:1], -1
	s_cbranch_scc1 .LBB47_1770
; %bb.1765:
	s_cmp_gt_i32 s6, 6
	s_cbranch_scc0 .LBB47_1767
; %bb.1766:
	v_bfe_i32 v3, v1, 0, 16
	v_cvt_f64_i32_e32 v[14:15], v3
	global_store_dwordx2 v[6:7], v[14:15], off
	s_mov_b64 s[0:1], 0
.LBB47_1767:
	s_andn2_b64 vcc, exec, s[0:1]
	s_cbranch_vccnz .LBB47_1769
; %bb.1768:
	v_cvt_f32_i32_sdwa v3, sext(v1) dst_sel:DWORD dst_unused:UNUSED_PAD src0_sel:WORD_0
	global_store_dword v[6:7], v3, off
.LBB47_1769:
	s_mov_b64 s[0:1], 0
.LBB47_1770:
	s_andn2_b64 vcc, exec, s[0:1]
	s_cbranch_vccnz .LBB47_1772
; %bb.1771:
	v_cvt_f16_i16_e32 v3, v1
	global_store_short v[6:7], v3, off
.LBB47_1772:
	s_mov_b64 s[0:1], 0
.LBB47_1773:
	s_andn2_b64 vcc, exec, s[0:1]
	s_cbranch_vccnz .LBB47_1789
; %bb.1774:
	s_cmp_lt_i32 s6, 2
	s_mov_b64 s[0:1], -1
	s_cbranch_scc1 .LBB47_1784
; %bb.1775:
	s_cmp_lt_i32 s6, 3
	s_cbranch_scc1 .LBB47_1781
; %bb.1776:
	s_cmp_gt_i32 s6, 3
	v_bfe_i32 v14, v1, 0, 16
	s_cbranch_scc0 .LBB47_1778
; %bb.1777:
	v_ashrrev_i32_e32 v15, 31, v14
	global_store_dwordx2 v[6:7], v[14:15], off
	s_mov_b64 s[0:1], 0
.LBB47_1778:
	s_andn2_b64 vcc, exec, s[0:1]
	s_cbranch_vccnz .LBB47_1780
; %bb.1779:
	global_store_dword v[6:7], v14, off
.LBB47_1780:
	s_mov_b64 s[0:1], 0
.LBB47_1781:
	s_andn2_b64 vcc, exec, s[0:1]
	s_cbranch_vccnz .LBB47_1783
; %bb.1782:
	global_store_short v[6:7], v1, off
.LBB47_1783:
	s_mov_b64 s[0:1], 0
.LBB47_1784:
	s_andn2_b64 vcc, exec, s[0:1]
	s_cbranch_vccnz .LBB47_1789
; %bb.1785:
	s_cmp_gt_i32 s6, 0
	s_mov_b64 s[0:1], -1
	s_cbranch_scc0 .LBB47_1787
; %bb.1786:
	global_store_byte v[6:7], v1, off
	s_mov_b64 s[0:1], 0
.LBB47_1787:
	s_andn2_b64 vcc, exec, s[0:1]
	s_cbranch_vccnz .LBB47_1789
; %bb.1788:
	global_store_byte v[6:7], v1, off
.LBB47_1789:
	s_mov_b64 s[8:9], -1
.LBB47_1790:
	s_andn2_b64 vcc, exec, s[8:9]
	s_cbranch_vccnz .LBB47_2105
; %bb.1791:
	s_lshr_b32 s0, s14, 8
	s_and_b32 s14, s0, 0xff
	v_mov_b32_e32 v5, 0
	v_xor_b32_e32 v1, -1, v12
	s_cmp_lt_i32 s14, 11
	v_lshl_add_u64 v[4:5], s[4:5], 0, v[4:5]
	s_cbranch_scc1 .LBB47_1869
; %bb.1792:
	s_and_b32 s15, 0xffff, s14
	s_mov_b64 s[10:11], -1
	s_mov_b64 s[6:7], 0
	s_cmp_gt_i32 s15, 25
	s_mov_b64 s[8:9], 0
	s_mov_b64 s[0:1], 0
	s_cbranch_scc0 .LBB47_1825
; %bb.1793:
	s_cmp_gt_i32 s15, 28
	s_cbranch_scc0 .LBB47_1808
; %bb.1794:
	s_cmp_gt_i32 s15, 43
	;; [unrolled: 3-line block ×3, first 2 shown]
	s_cbranch_scc0 .LBB47_1798
; %bb.1796:
	s_mov_b64 s[0:1], -1
	s_mov_b64 s[10:11], 0
	s_cmp_eq_u32 s15, 46
	s_cbranch_scc0 .LBB47_1798
; %bb.1797:
	v_cvt_f32_i32_sdwa v3, sext(v1) dst_sel:DWORD dst_unused:UNUSED_PAD src0_sel:WORD_0
	s_movk_i32 s8, 0x7fff
	s_mov_b64 s[0:1], 0
	v_bfe_u32 v6, v3, 16, 1
	v_add3_u32 v3, v3, v6, s8
	v_lshrrev_b32_e32 v3, 16, v3
	global_store_dword v[4:5], v3, off
	s_mov_b64 s[8:9], -1
.LBB47_1798:
	s_and_b64 vcc, exec, s[10:11]
	s_cbranch_vccz .LBB47_1803
; %bb.1799:
	s_cmp_eq_u32 s15, 44
	s_mov_b64 s[0:1], -1
	s_cbranch_scc0 .LBB47_1803
; %bb.1800:
	v_cvt_f32_i32_sdwa v3, sext(v1) dst_sel:DWORD dst_unused:UNUSED_PAD src0_sel:WORD_0
	s_movk_i32 s0, 0xff
	v_mov_b32_e32 v7, 0xff
	v_bfe_u32 v6, v3, 23, 8
	v_cmp_ne_u32_e32 vcc, s0, v6
	s_and_saveexec_b64 s[8:9], vcc
; %bb.1801:
	s_mov_b32 s0, 0x3fffff
	v_lshrrev_b32_e32 v7, 23, v3
	v_and_b32_e32 v9, 0x400000, v3
	v_and_or_b32 v3, v3, s0, v6
	v_cmp_ne_u32_e32 vcc, 0, v9
	v_cmp_ne_u32_e64 s[0:1], 0, v3
	s_and_b64 s[0:1], vcc, s[0:1]
	s_nop 0
	v_cndmask_b32_e64 v3, 0, 1, s[0:1]
	v_add_u32_e32 v7, v7, v3
; %bb.1802:
	s_or_b64 exec, exec, s[8:9]
	s_mov_b64 s[0:1], 0
	s_mov_b64 s[8:9], -1
	global_store_byte v[4:5], v7, off
.LBB47_1803:
	s_mov_b64 s[10:11], 0
.LBB47_1804:
	s_and_b64 vcc, exec, s[10:11]
	s_cbranch_vccz .LBB47_1807
; %bb.1805:
	s_cmp_eq_u32 s15, 29
	s_mov_b64 s[0:1], -1
	s_cbranch_scc0 .LBB47_1807
; %bb.1806:
	v_bfe_i32 v6, v1, 0, 16
	v_ashrrev_i32_e32 v7, 31, v6
	global_store_dwordx2 v[4:5], v[6:7], off
	s_mov_b64 s[0:1], 0
	s_mov_b64 s[8:9], -1
.LBB47_1807:
	s_mov_b64 s[10:11], 0
.LBB47_1808:
	s_and_b64 vcc, exec, s[10:11]
	s_cbranch_vccz .LBB47_1824
; %bb.1809:
	s_cmp_lt_i32 s15, 27
	s_mov_b64 s[8:9], -1
	s_cbranch_scc1 .LBB47_1815
; %bb.1810:
	s_cmp_gt_i32 s15, 27
	s_cbranch_scc0 .LBB47_1812
; %bb.1811:
	v_bfe_i32 v3, v1, 0, 16
	s_mov_b64 s[8:9], 0
	global_store_dword v[4:5], v3, off
.LBB47_1812:
	s_andn2_b64 vcc, exec, s[8:9]
	s_cbranch_vccnz .LBB47_1814
; %bb.1813:
	global_store_short v[4:5], v1, off
.LBB47_1814:
	s_mov_b64 s[8:9], 0
.LBB47_1815:
	s_andn2_b64 vcc, exec, s[8:9]
	s_cbranch_vccnz .LBB47_1823
; %bb.1816:
	v_cvt_f32_i32_sdwa v3, sext(v1) dst_sel:DWORD dst_unused:UNUSED_PAD src0_sel:WORD_0
	s_mov_b32 s8, 0x43800000
	v_mov_b32_e32 v7, 0x80
	v_and_b32_e32 v6, 0x7fffffff, v3
	v_cmp_gt_u32_e32 vcc, s8, v6
	s_and_saveexec_b64 s[8:9], vcc
	s_cbranch_execz .LBB47_1822
; %bb.1817:
	s_mov_b32 s10, 0x3bffffff
	v_cmp_lt_u32_e32 vcc, s10, v6
	s_mov_b64 s[10:11], 0
                                        ; implicit-def: $vgpr6
	s_and_saveexec_b64 s[12:13], vcc
	s_xor_b64 s[12:13], exec, s[12:13]
	s_cbranch_execz .LBB47_2113
; %bb.1818:
	v_bfe_u32 v6, v3, 20, 1
	s_mov_b32 s16, 0x487ffff
	v_add3_u32 v6, v3, v6, s16
	s_mov_b64 s[10:11], exec
	v_lshrrev_b32_e32 v6, 20, v6
	s_andn2_saveexec_b64 s[12:13], s[12:13]
	s_cbranch_execnz .LBB47_2114
.LBB47_1819:
	s_or_b64 exec, exec, s[12:13]
	v_mov_b32_e32 v7, 0
	s_and_saveexec_b64 s[12:13], s[10:11]
.LBB47_1820:
	v_lshrrev_b32_e32 v3, 24, v3
	s_movk_i32 s10, 0x80
	v_and_or_b32 v7, v3, s10, v6
.LBB47_1821:
	s_or_b64 exec, exec, s[12:13]
.LBB47_1822:
	s_or_b64 exec, exec, s[8:9]
	global_store_byte v[4:5], v7, off
.LBB47_1823:
	s_mov_b64 s[8:9], -1
.LBB47_1824:
	s_mov_b64 s[10:11], 0
.LBB47_1825:
	s_and_b64 vcc, exec, s[10:11]
	s_cbranch_vccz .LBB47_1865
; %bb.1826:
	s_cmp_gt_i32 s15, 22
	s_mov_b64 s[6:7], -1
	s_cbranch_scc0 .LBB47_1858
; %bb.1827:
	s_cmp_lt_i32 s15, 24
	s_cbranch_scc1 .LBB47_1847
; %bb.1828:
	s_cmp_gt_i32 s15, 24
	s_cbranch_scc0 .LBB47_1836
; %bb.1829:
	v_cvt_f32_i32_sdwa v3, sext(v1) dst_sel:DWORD dst_unused:UNUSED_PAD src0_sel:WORD_0
	s_mov_b32 s6, 0x47800000
	v_mov_b32_e32 v7, 0x80
	v_and_b32_e32 v6, 0x7fffffff, v3
	v_cmp_gt_u32_e32 vcc, s6, v6
	s_and_saveexec_b64 s[6:7], vcc
	s_cbranch_execz .LBB47_1835
; %bb.1830:
	s_mov_b32 s8, 0x37ffffff
	v_cmp_lt_u32_e32 vcc, s8, v6
	s_mov_b64 s[8:9], 0
                                        ; implicit-def: $vgpr6
	s_and_saveexec_b64 s[10:11], vcc
	s_xor_b64 s[10:11], exec, s[10:11]
	s_cbranch_execz .LBB47_2116
; %bb.1831:
	v_bfe_u32 v6, v3, 21, 1
	s_mov_b32 s12, 0x88fffff
	v_add3_u32 v6, v3, v6, s12
	s_mov_b64 s[8:9], exec
	v_lshrrev_b32_e32 v6, 21, v6
	s_andn2_saveexec_b64 s[10:11], s[10:11]
	s_cbranch_execnz .LBB47_2117
.LBB47_1832:
	s_or_b64 exec, exec, s[10:11]
	v_mov_b32_e32 v7, 0
	s_and_saveexec_b64 s[10:11], s[8:9]
.LBB47_1833:
	v_lshrrev_b32_e32 v3, 24, v3
	s_movk_i32 s8, 0x80
	v_and_or_b32 v7, v3, s8, v6
.LBB47_1834:
	s_or_b64 exec, exec, s[10:11]
.LBB47_1835:
	s_or_b64 exec, exec, s[6:7]
	s_mov_b64 s[6:7], 0
	global_store_byte v[4:5], v7, off
.LBB47_1836:
	s_and_b64 vcc, exec, s[6:7]
	s_cbranch_vccz .LBB47_1846
; %bb.1837:
	v_cvt_f32_i32_sdwa v3, sext(v1) dst_sel:DWORD dst_unused:UNUSED_PAD src0_sel:WORD_0
	s_mov_b32 s6, 0x43f00000
                                        ; implicit-def: $vgpr6
	v_and_b32_e32 v7, 0x7fffffff, v3
	v_cmp_gt_u32_e32 vcc, s6, v7
	s_and_saveexec_b64 s[6:7], vcc
	s_xor_b64 s[6:7], exec, s[6:7]
	s_cbranch_execz .LBB47_1843
; %bb.1838:
	s_mov_b32 s8, 0x3c7fffff
	v_cmp_lt_u32_e32 vcc, s8, v7
                                        ; implicit-def: $vgpr6
	s_and_saveexec_b64 s[8:9], vcc
	s_xor_b64 s[8:9], exec, s[8:9]
; %bb.1839:
	v_bfe_u32 v6, v3, 20, 1
	s_mov_b32 s10, 0x407ffff
	v_add3_u32 v6, v3, v6, s10
	v_lshrrev_b32_e32 v7, 20, v6
	v_and_b32_e32 v6, 0xff00000, v6
	s_mov_b32 s10, 0x7f00000
	v_mov_b32_e32 v9, 0x7e
	v_cmp_ne_u32_e32 vcc, s10, v6
	s_nop 1
	v_cndmask_b32_e32 v6, v9, v7, vcc
; %bb.1840:
	s_andn2_saveexec_b64 s[8:9], s[8:9]
; %bb.1841:
	s_mov_b32 s10, 0x46800000
	v_add_f32_e64 v6, |v3|, s10
; %bb.1842:
	s_or_b64 exec, exec, s[8:9]
                                        ; implicit-def: $vgpr7
.LBB47_1843:
	s_andn2_saveexec_b64 s[6:7], s[6:7]
; %bb.1844:
	s_mov_b32 s8, 0x7f800000
	v_mov_b32_e32 v6, 0x7e
	v_mov_b32_e32 v9, 0x7f
	v_cmp_lt_u32_e32 vcc, s8, v7
	s_nop 1
	v_cndmask_b32_e32 v6, v6, v9, vcc
; %bb.1845:
	s_or_b64 exec, exec, s[6:7]
	v_lshrrev_b32_e32 v3, 24, v3
	s_movk_i32 s6, 0x80
	v_and_or_b32 v3, v3, s6, v6
	global_store_byte v[4:5], v3, off
.LBB47_1846:
	s_mov_b64 s[6:7], 0
.LBB47_1847:
	s_andn2_b64 vcc, exec, s[6:7]
	s_cbranch_vccnz .LBB47_1857
; %bb.1848:
	v_cvt_f32_i32_sdwa v3, sext(v1) dst_sel:DWORD dst_unused:UNUSED_PAD src0_sel:WORD_0
	s_mov_b32 s6, 0x47800000
                                        ; implicit-def: $vgpr6
	v_and_b32_e32 v7, 0x7fffffff, v3
	v_cmp_gt_u32_e32 vcc, s6, v7
	s_and_saveexec_b64 s[6:7], vcc
	s_xor_b64 s[6:7], exec, s[6:7]
	s_cbranch_execz .LBB47_1854
; %bb.1849:
	s_mov_b32 s8, 0x387fffff
	v_cmp_lt_u32_e32 vcc, s8, v7
                                        ; implicit-def: $vgpr6
	s_and_saveexec_b64 s[8:9], vcc
	s_xor_b64 s[8:9], exec, s[8:9]
; %bb.1850:
	v_bfe_u32 v6, v3, 21, 1
	s_mov_b32 s10, 0x80fffff
	v_add3_u32 v6, v3, v6, s10
	v_lshrrev_b32_e32 v6, 21, v6
; %bb.1851:
	s_andn2_saveexec_b64 s[8:9], s[8:9]
; %bb.1852:
	s_mov_b32 s10, 0x43000000
	v_add_f32_e64 v6, |v3|, s10
; %bb.1853:
	s_or_b64 exec, exec, s[8:9]
                                        ; implicit-def: $vgpr7
.LBB47_1854:
	s_andn2_saveexec_b64 s[6:7], s[6:7]
; %bb.1855:
	s_mov_b32 s8, 0x7f800000
	v_mov_b32_e32 v6, 0x7c
	v_mov_b32_e32 v9, 0x7f
	v_cmp_lt_u32_e32 vcc, s8, v7
	s_nop 1
	v_cndmask_b32_e32 v6, v6, v9, vcc
; %bb.1856:
	s_or_b64 exec, exec, s[6:7]
	v_lshrrev_b32_e32 v3, 24, v3
	s_movk_i32 s6, 0x80
	v_and_or_b32 v3, v3, s6, v6
	global_store_byte v[4:5], v3, off
.LBB47_1857:
	s_mov_b64 s[6:7], 0
	s_mov_b64 s[8:9], -1
.LBB47_1858:
	s_andn2_b64 vcc, exec, s[6:7]
	s_mov_b64 s[6:7], 0
	s_cbranch_vccnz .LBB47_1865
; %bb.1859:
	s_cmp_gt_i32 s15, 14
	s_mov_b64 s[10:11], -1
	s_cbranch_scc0 .LBB47_1863
; %bb.1860:
	s_cmp_eq_u32 s15, 15
	s_mov_b64 s[0:1], -1
	s_cbranch_scc0 .LBB47_1862
; %bb.1861:
	v_cvt_f32_i32_sdwa v3, sext(v1) dst_sel:DWORD dst_unused:UNUSED_PAD src0_sel:WORD_0
	s_movk_i32 s6, 0x7fff
	s_mov_b64 s[0:1], 0
	s_mov_b64 s[8:9], -1
	v_bfe_u32 v6, v3, 16, 1
	v_add3_u32 v3, v3, v6, s6
	global_store_short_d16_hi v[4:5], v3, off
.LBB47_1862:
	s_mov_b64 s[10:11], 0
.LBB47_1863:
	s_mov_b64 s[6:7], 0
	s_and_b64 vcc, exec, s[10:11]
	s_cbranch_vccz .LBB47_1865
; %bb.1864:
	s_cmp_lg_u32 s15, 11
	s_mov_b64 s[6:7], -1
	s_cselect_b64 s[0:1], -1, 0
.LBB47_1865:
	s_and_b64 vcc, exec, s[0:1]
	s_cbranch_vccnz .LBB47_2115
; %bb.1866:
	s_andn2_b64 vcc, exec, s[6:7]
	s_cbranch_vccnz .LBB47_1868
.LBB47_1867:
	v_cmp_ne_u16_e32 vcc, -1, v12
	s_mov_b64 s[8:9], -1
	s_nop 0
	v_cndmask_b32_e64 v3, 0, 1, vcc
	global_store_byte v[4:5], v3, off
.LBB47_1868:
	s_mov_b64 s[0:1], 0
	s_branch .LBB47_1870
.LBB47_1869:
	s_mov_b64 s[0:1], -1
	s_mov_b64 s[8:9], 0
.LBB47_1870:
	s_and_b64 vcc, exec, s[0:1]
	s_cbranch_vccz .LBB47_1909
; %bb.1871:
	s_and_b32 s6, 0xffff, s14
	s_cmp_lt_i32 s6, 5
	s_mov_b64 s[0:1], -1
	s_cbranch_scc1 .LBB47_1892
; %bb.1872:
	s_cmp_lt_i32 s6, 8
	s_cbranch_scc1 .LBB47_1882
; %bb.1873:
	s_cmp_lt_i32 s6, 9
	s_cbranch_scc1 .LBB47_1879
; %bb.1874:
	s_cmp_gt_i32 s6, 9
	s_cbranch_scc0 .LBB47_1876
; %bb.1875:
	v_bfe_i32 v3, v1, 0, 16
	v_mov_b32_e32 v14, 0
	v_cvt_f64_i32_e32 v[12:13], v3
	v_mov_b32_e32 v15, v14
	global_store_dwordx4 v[4:5], v[12:15], off
	s_mov_b64 s[0:1], 0
.LBB47_1876:
	s_andn2_b64 vcc, exec, s[0:1]
	s_cbranch_vccnz .LBB47_1878
; %bb.1877:
	v_cvt_f32_i32_sdwa v6, sext(v1) dst_sel:DWORD dst_unused:UNUSED_PAD src0_sel:WORD_0
	v_mov_b32_e32 v7, 0
	global_store_dwordx2 v[4:5], v[6:7], off
.LBB47_1878:
	s_mov_b64 s[0:1], 0
.LBB47_1879:
	s_andn2_b64 vcc, exec, s[0:1]
	s_cbranch_vccnz .LBB47_1881
; %bb.1880:
	v_cvt_f16_i16_e32 v3, v1
	global_store_dword v[4:5], v3, off
.LBB47_1881:
	s_mov_b64 s[0:1], 0
.LBB47_1882:
	s_andn2_b64 vcc, exec, s[0:1]
	s_cbranch_vccnz .LBB47_1891
; %bb.1883:
	s_cmp_lt_i32 s6, 6
	s_mov_b64 s[0:1], -1
	s_cbranch_scc1 .LBB47_1889
; %bb.1884:
	s_cmp_gt_i32 s6, 6
	s_cbranch_scc0 .LBB47_1886
; %bb.1885:
	v_bfe_i32 v3, v1, 0, 16
	v_cvt_f64_i32_e32 v[6:7], v3
	global_store_dwordx2 v[4:5], v[6:7], off
	s_mov_b64 s[0:1], 0
.LBB47_1886:
	s_andn2_b64 vcc, exec, s[0:1]
	s_cbranch_vccnz .LBB47_1888
; %bb.1887:
	v_cvt_f32_i32_sdwa v3, sext(v1) dst_sel:DWORD dst_unused:UNUSED_PAD src0_sel:WORD_0
	global_store_dword v[4:5], v3, off
.LBB47_1888:
	s_mov_b64 s[0:1], 0
.LBB47_1889:
	s_andn2_b64 vcc, exec, s[0:1]
	s_cbranch_vccnz .LBB47_1891
; %bb.1890:
	v_cvt_f16_i16_e32 v3, v1
	global_store_short v[4:5], v3, off
.LBB47_1891:
	s_mov_b64 s[0:1], 0
.LBB47_1892:
	s_andn2_b64 vcc, exec, s[0:1]
	s_cbranch_vccnz .LBB47_1908
; %bb.1893:
	s_cmp_lt_i32 s6, 2
	s_mov_b64 s[0:1], -1
	s_cbranch_scc1 .LBB47_1903
; %bb.1894:
	s_cmp_lt_i32 s6, 3
	s_cbranch_scc1 .LBB47_1900
; %bb.1895:
	s_cmp_gt_i32 s6, 3
	s_cbranch_scc0 .LBB47_1897
; %bb.1896:
	v_bfe_i32 v6, v1, 0, 16
	v_ashrrev_i32_e32 v7, 31, v6
	global_store_dwordx2 v[4:5], v[6:7], off
	s_mov_b64 s[0:1], 0
.LBB47_1897:
	s_andn2_b64 vcc, exec, s[0:1]
	s_cbranch_vccnz .LBB47_1899
; %bb.1898:
	v_bfe_i32 v3, v1, 0, 16
	global_store_dword v[4:5], v3, off
.LBB47_1899:
	s_mov_b64 s[0:1], 0
.LBB47_1900:
	s_andn2_b64 vcc, exec, s[0:1]
	s_cbranch_vccnz .LBB47_1902
; %bb.1901:
	global_store_short v[4:5], v1, off
.LBB47_1902:
	s_mov_b64 s[0:1], 0
.LBB47_1903:
	s_andn2_b64 vcc, exec, s[0:1]
	s_cbranch_vccnz .LBB47_1908
; %bb.1904:
	s_cmp_gt_i32 s6, 0
	s_mov_b64 s[0:1], -1
	s_cbranch_scc0 .LBB47_1906
; %bb.1905:
	global_store_byte v[4:5], v1, off
	s_mov_b64 s[0:1], 0
.LBB47_1906:
	s_andn2_b64 vcc, exec, s[0:1]
	s_cbranch_vccnz .LBB47_1908
; %bb.1907:
	global_store_byte v[4:5], v1, off
.LBB47_1908:
	s_mov_b64 s[8:9], -1
.LBB47_1909:
	s_andn2_b64 vcc, exec, s[8:9]
	s_cbranch_vccnz .LBB47_2105
; %bb.1910:
	v_mov_b32_e32 v3, 0
	v_xor_b32_e32 v1, -1, v10
	s_cmp_lt_i32 s14, 11
	v_lshl_add_u64 v[2:3], s[4:5], 0, v[2:3]
	s_cbranch_scc1 .LBB47_1988
; %bb.1911:
	s_and_b32 s15, 0xffff, s14
	s_mov_b64 s[10:11], -1
	s_mov_b64 s[6:7], 0
	s_cmp_gt_i32 s15, 25
	s_mov_b64 s[8:9], 0
	s_mov_b64 s[0:1], 0
	s_cbranch_scc0 .LBB47_1944
; %bb.1912:
	s_cmp_gt_i32 s15, 28
	s_cbranch_scc0 .LBB47_1927
; %bb.1913:
	s_cmp_gt_i32 s15, 43
	;; [unrolled: 3-line block ×3, first 2 shown]
	s_cbranch_scc0 .LBB47_1917
; %bb.1915:
	s_mov_b64 s[0:1], -1
	s_mov_b64 s[10:11], 0
	s_cmp_eq_u32 s15, 46
	s_cbranch_scc0 .LBB47_1917
; %bb.1916:
	v_cvt_f32_i32_sdwa v4, sext(v1) dst_sel:DWORD dst_unused:UNUSED_PAD src0_sel:WORD_0
	s_movk_i32 s8, 0x7fff
	s_mov_b64 s[0:1], 0
	v_bfe_u32 v5, v4, 16, 1
	v_add3_u32 v4, v4, v5, s8
	v_lshrrev_b32_e32 v4, 16, v4
	global_store_dword v[2:3], v4, off
	s_mov_b64 s[8:9], -1
.LBB47_1917:
	s_and_b64 vcc, exec, s[10:11]
	s_cbranch_vccz .LBB47_1922
; %bb.1918:
	s_cmp_eq_u32 s15, 44
	s_mov_b64 s[0:1], -1
	s_cbranch_scc0 .LBB47_1922
; %bb.1919:
	v_cvt_f32_i32_sdwa v4, sext(v1) dst_sel:DWORD dst_unused:UNUSED_PAD src0_sel:WORD_0
	s_movk_i32 s0, 0xff
	v_mov_b32_e32 v6, 0xff
	v_bfe_u32 v5, v4, 23, 8
	v_cmp_ne_u32_e32 vcc, s0, v5
	s_and_saveexec_b64 s[8:9], vcc
; %bb.1920:
	s_mov_b32 s0, 0x3fffff
	v_lshrrev_b32_e32 v6, 23, v4
	v_and_b32_e32 v7, 0x400000, v4
	v_and_or_b32 v4, v4, s0, v5
	v_cmp_ne_u32_e32 vcc, 0, v7
	v_cmp_ne_u32_e64 s[0:1], 0, v4
	s_and_b64 s[0:1], vcc, s[0:1]
	s_nop 0
	v_cndmask_b32_e64 v4, 0, 1, s[0:1]
	v_add_u32_e32 v6, v6, v4
; %bb.1921:
	s_or_b64 exec, exec, s[8:9]
	s_mov_b64 s[0:1], 0
	s_mov_b64 s[8:9], -1
	global_store_byte v[2:3], v6, off
.LBB47_1922:
	s_mov_b64 s[10:11], 0
.LBB47_1923:
	s_and_b64 vcc, exec, s[10:11]
	s_cbranch_vccz .LBB47_1926
; %bb.1924:
	s_cmp_eq_u32 s15, 29
	s_mov_b64 s[0:1], -1
	s_cbranch_scc0 .LBB47_1926
; %bb.1925:
	v_bfe_i32 v4, v1, 0, 16
	v_ashrrev_i32_e32 v5, 31, v4
	global_store_dwordx2 v[2:3], v[4:5], off
	s_mov_b64 s[0:1], 0
	s_mov_b64 s[8:9], -1
.LBB47_1926:
	s_mov_b64 s[10:11], 0
.LBB47_1927:
	s_and_b64 vcc, exec, s[10:11]
	s_cbranch_vccz .LBB47_1943
; %bb.1928:
	s_cmp_lt_i32 s15, 27
	s_mov_b64 s[8:9], -1
	s_cbranch_scc1 .LBB47_1934
; %bb.1929:
	s_cmp_gt_i32 s15, 27
	s_cbranch_scc0 .LBB47_1931
; %bb.1930:
	v_bfe_i32 v4, v1, 0, 16
	s_mov_b64 s[8:9], 0
	global_store_dword v[2:3], v4, off
.LBB47_1931:
	s_andn2_b64 vcc, exec, s[8:9]
	s_cbranch_vccnz .LBB47_1933
; %bb.1932:
	global_store_short v[2:3], v1, off
.LBB47_1933:
	s_mov_b64 s[8:9], 0
.LBB47_1934:
	s_andn2_b64 vcc, exec, s[8:9]
	s_cbranch_vccnz .LBB47_1942
; %bb.1935:
	v_cvt_f32_i32_sdwa v4, sext(v1) dst_sel:DWORD dst_unused:UNUSED_PAD src0_sel:WORD_0
	s_mov_b32 s8, 0x43800000
	v_mov_b32_e32 v6, 0x80
	v_and_b32_e32 v5, 0x7fffffff, v4
	v_cmp_gt_u32_e32 vcc, s8, v5
	s_and_saveexec_b64 s[8:9], vcc
	s_cbranch_execz .LBB47_1941
; %bb.1936:
	s_mov_b32 s10, 0x3bffffff
	v_cmp_lt_u32_e32 vcc, s10, v5
	s_mov_b64 s[10:11], 0
                                        ; implicit-def: $vgpr5
	s_and_saveexec_b64 s[12:13], vcc
	s_xor_b64 s[12:13], exec, s[12:13]
	s_cbranch_execz .LBB47_2118
; %bb.1937:
	v_bfe_u32 v5, v4, 20, 1
	s_mov_b32 s16, 0x487ffff
	v_add3_u32 v5, v4, v5, s16
	s_mov_b64 s[10:11], exec
	v_lshrrev_b32_e32 v5, 20, v5
	s_andn2_saveexec_b64 s[12:13], s[12:13]
	s_cbranch_execnz .LBB47_2119
.LBB47_1938:
	s_or_b64 exec, exec, s[12:13]
	v_mov_b32_e32 v6, 0
	s_and_saveexec_b64 s[12:13], s[10:11]
.LBB47_1939:
	v_lshrrev_b32_e32 v4, 24, v4
	s_movk_i32 s10, 0x80
	v_and_or_b32 v6, v4, s10, v5
.LBB47_1940:
	s_or_b64 exec, exec, s[12:13]
.LBB47_1941:
	s_or_b64 exec, exec, s[8:9]
	global_store_byte v[2:3], v6, off
.LBB47_1942:
	s_mov_b64 s[8:9], -1
.LBB47_1943:
	s_mov_b64 s[10:11], 0
.LBB47_1944:
	s_and_b64 vcc, exec, s[10:11]
	s_cbranch_vccz .LBB47_1984
; %bb.1945:
	s_cmp_gt_i32 s15, 22
	s_mov_b64 s[6:7], -1
	s_cbranch_scc0 .LBB47_1977
; %bb.1946:
	s_cmp_lt_i32 s15, 24
	s_cbranch_scc1 .LBB47_1966
; %bb.1947:
	s_cmp_gt_i32 s15, 24
	s_cbranch_scc0 .LBB47_1955
; %bb.1948:
	v_cvt_f32_i32_sdwa v4, sext(v1) dst_sel:DWORD dst_unused:UNUSED_PAD src0_sel:WORD_0
	s_mov_b32 s6, 0x47800000
	v_mov_b32_e32 v6, 0x80
	v_and_b32_e32 v5, 0x7fffffff, v4
	v_cmp_gt_u32_e32 vcc, s6, v5
	s_and_saveexec_b64 s[6:7], vcc
	s_cbranch_execz .LBB47_1954
; %bb.1949:
	s_mov_b32 s8, 0x37ffffff
	v_cmp_lt_u32_e32 vcc, s8, v5
	s_mov_b64 s[8:9], 0
                                        ; implicit-def: $vgpr5
	s_and_saveexec_b64 s[10:11], vcc
	s_xor_b64 s[10:11], exec, s[10:11]
	s_cbranch_execz .LBB47_2121
; %bb.1950:
	v_bfe_u32 v5, v4, 21, 1
	s_mov_b32 s12, 0x88fffff
	v_add3_u32 v5, v4, v5, s12
	s_mov_b64 s[8:9], exec
	v_lshrrev_b32_e32 v5, 21, v5
	s_andn2_saveexec_b64 s[10:11], s[10:11]
	s_cbranch_execnz .LBB47_2122
.LBB47_1951:
	s_or_b64 exec, exec, s[10:11]
	v_mov_b32_e32 v6, 0
	s_and_saveexec_b64 s[10:11], s[8:9]
.LBB47_1952:
	v_lshrrev_b32_e32 v4, 24, v4
	s_movk_i32 s8, 0x80
	v_and_or_b32 v6, v4, s8, v5
.LBB47_1953:
	s_or_b64 exec, exec, s[10:11]
.LBB47_1954:
	s_or_b64 exec, exec, s[6:7]
	s_mov_b64 s[6:7], 0
	global_store_byte v[2:3], v6, off
.LBB47_1955:
	s_and_b64 vcc, exec, s[6:7]
	s_cbranch_vccz .LBB47_1965
; %bb.1956:
	v_cvt_f32_i32_sdwa v4, sext(v1) dst_sel:DWORD dst_unused:UNUSED_PAD src0_sel:WORD_0
	s_mov_b32 s6, 0x43f00000
                                        ; implicit-def: $vgpr5
	v_and_b32_e32 v6, 0x7fffffff, v4
	v_cmp_gt_u32_e32 vcc, s6, v6
	s_and_saveexec_b64 s[6:7], vcc
	s_xor_b64 s[6:7], exec, s[6:7]
	s_cbranch_execz .LBB47_1962
; %bb.1957:
	s_mov_b32 s8, 0x3c7fffff
	v_cmp_lt_u32_e32 vcc, s8, v6
                                        ; implicit-def: $vgpr5
	s_and_saveexec_b64 s[8:9], vcc
	s_xor_b64 s[8:9], exec, s[8:9]
; %bb.1958:
	v_bfe_u32 v5, v4, 20, 1
	s_mov_b32 s10, 0x407ffff
	v_add3_u32 v5, v4, v5, s10
	v_lshrrev_b32_e32 v6, 20, v5
	v_and_b32_e32 v5, 0xff00000, v5
	s_mov_b32 s10, 0x7f00000
	v_mov_b32_e32 v7, 0x7e
	v_cmp_ne_u32_e32 vcc, s10, v5
	s_nop 1
	v_cndmask_b32_e32 v5, v7, v6, vcc
; %bb.1959:
	s_andn2_saveexec_b64 s[8:9], s[8:9]
; %bb.1960:
	s_mov_b32 s10, 0x46800000
	v_add_f32_e64 v5, |v4|, s10
; %bb.1961:
	s_or_b64 exec, exec, s[8:9]
                                        ; implicit-def: $vgpr6
.LBB47_1962:
	s_andn2_saveexec_b64 s[6:7], s[6:7]
; %bb.1963:
	s_mov_b32 s8, 0x7f800000
	v_mov_b32_e32 v5, 0x7e
	v_mov_b32_e32 v7, 0x7f
	v_cmp_lt_u32_e32 vcc, s8, v6
	s_nop 1
	v_cndmask_b32_e32 v5, v5, v7, vcc
; %bb.1964:
	s_or_b64 exec, exec, s[6:7]
	v_lshrrev_b32_e32 v4, 24, v4
	s_movk_i32 s6, 0x80
	v_and_or_b32 v4, v4, s6, v5
	global_store_byte v[2:3], v4, off
.LBB47_1965:
	s_mov_b64 s[6:7], 0
.LBB47_1966:
	s_andn2_b64 vcc, exec, s[6:7]
	s_cbranch_vccnz .LBB47_1976
; %bb.1967:
	v_cvt_f32_i32_sdwa v4, sext(v1) dst_sel:DWORD dst_unused:UNUSED_PAD src0_sel:WORD_0
	s_mov_b32 s6, 0x47800000
                                        ; implicit-def: $vgpr5
	v_and_b32_e32 v6, 0x7fffffff, v4
	v_cmp_gt_u32_e32 vcc, s6, v6
	s_and_saveexec_b64 s[6:7], vcc
	s_xor_b64 s[6:7], exec, s[6:7]
	s_cbranch_execz .LBB47_1973
; %bb.1968:
	s_mov_b32 s8, 0x387fffff
	v_cmp_lt_u32_e32 vcc, s8, v6
                                        ; implicit-def: $vgpr5
	s_and_saveexec_b64 s[8:9], vcc
	s_xor_b64 s[8:9], exec, s[8:9]
; %bb.1969:
	v_bfe_u32 v5, v4, 21, 1
	s_mov_b32 s10, 0x80fffff
	v_add3_u32 v5, v4, v5, s10
	v_lshrrev_b32_e32 v5, 21, v5
; %bb.1970:
	s_andn2_saveexec_b64 s[8:9], s[8:9]
; %bb.1971:
	s_mov_b32 s10, 0x43000000
	v_add_f32_e64 v5, |v4|, s10
; %bb.1972:
	s_or_b64 exec, exec, s[8:9]
                                        ; implicit-def: $vgpr6
.LBB47_1973:
	s_andn2_saveexec_b64 s[6:7], s[6:7]
; %bb.1974:
	s_mov_b32 s8, 0x7f800000
	v_mov_b32_e32 v5, 0x7c
	v_mov_b32_e32 v7, 0x7f
	v_cmp_lt_u32_e32 vcc, s8, v6
	s_nop 1
	v_cndmask_b32_e32 v5, v5, v7, vcc
; %bb.1975:
	s_or_b64 exec, exec, s[6:7]
	v_lshrrev_b32_e32 v4, 24, v4
	s_movk_i32 s6, 0x80
	v_and_or_b32 v4, v4, s6, v5
	global_store_byte v[2:3], v4, off
.LBB47_1976:
	s_mov_b64 s[6:7], 0
	s_mov_b64 s[8:9], -1
.LBB47_1977:
	s_andn2_b64 vcc, exec, s[6:7]
	s_mov_b64 s[6:7], 0
	s_cbranch_vccnz .LBB47_1984
; %bb.1978:
	s_cmp_gt_i32 s15, 14
	s_mov_b64 s[10:11], -1
	s_cbranch_scc0 .LBB47_1982
; %bb.1979:
	s_cmp_eq_u32 s15, 15
	s_mov_b64 s[0:1], -1
	s_cbranch_scc0 .LBB47_1981
; %bb.1980:
	v_cvt_f32_i32_sdwa v4, sext(v1) dst_sel:DWORD dst_unused:UNUSED_PAD src0_sel:WORD_0
	s_movk_i32 s6, 0x7fff
	s_mov_b64 s[0:1], 0
	s_mov_b64 s[8:9], -1
	v_bfe_u32 v5, v4, 16, 1
	v_add3_u32 v4, v4, v5, s6
	global_store_short_d16_hi v[2:3], v4, off
.LBB47_1981:
	s_mov_b64 s[10:11], 0
.LBB47_1982:
	s_mov_b64 s[6:7], 0
	s_and_b64 vcc, exec, s[10:11]
	s_cbranch_vccz .LBB47_1984
; %bb.1983:
	s_cmp_lg_u32 s15, 11
	s_mov_b64 s[6:7], -1
	s_cselect_b64 s[0:1], -1, 0
.LBB47_1984:
	s_and_b64 vcc, exec, s[0:1]
	s_cbranch_vccnz .LBB47_2120
; %bb.1985:
	s_andn2_b64 vcc, exec, s[6:7]
	s_cbranch_vccnz .LBB47_1987
.LBB47_1986:
	v_cmp_ne_u16_e32 vcc, -1, v10
	s_mov_b64 s[8:9], -1
	s_nop 0
	v_cndmask_b32_e64 v4, 0, 1, vcc
	global_store_byte v[2:3], v4, off
.LBB47_1987:
	s_mov_b64 s[0:1], 0
	s_branch .LBB47_1989
.LBB47_1988:
	s_mov_b64 s[0:1], -1
	s_mov_b64 s[8:9], 0
.LBB47_1989:
	s_and_b64 vcc, exec, s[0:1]
	s_cbranch_vccz .LBB47_2028
; %bb.1990:
	s_and_b32 s6, 0xffff, s14
	s_cmp_lt_i32 s6, 5
	s_mov_b64 s[0:1], -1
	s_cbranch_scc1 .LBB47_2011
; %bb.1991:
	s_cmp_lt_i32 s6, 8
	s_cbranch_scc1 .LBB47_2001
; %bb.1992:
	s_cmp_lt_i32 s6, 9
	s_cbranch_scc1 .LBB47_1998
; %bb.1993:
	s_cmp_gt_i32 s6, 9
	s_cbranch_scc0 .LBB47_1995
; %bb.1994:
	v_bfe_i32 v4, v1, 0, 16
	v_mov_b32_e32 v6, 0
	v_cvt_f64_i32_e32 v[4:5], v4
	v_mov_b32_e32 v7, v6
	global_store_dwordx4 v[2:3], v[4:7], off
	s_mov_b64 s[0:1], 0
.LBB47_1995:
	s_andn2_b64 vcc, exec, s[0:1]
	s_cbranch_vccnz .LBB47_1997
; %bb.1996:
	v_cvt_f32_i32_sdwa v4, sext(v1) dst_sel:DWORD dst_unused:UNUSED_PAD src0_sel:WORD_0
	v_mov_b32_e32 v5, 0
	global_store_dwordx2 v[2:3], v[4:5], off
.LBB47_1997:
	s_mov_b64 s[0:1], 0
.LBB47_1998:
	s_andn2_b64 vcc, exec, s[0:1]
	s_cbranch_vccnz .LBB47_2000
; %bb.1999:
	v_cvt_f16_i16_e32 v4, v1
	global_store_dword v[2:3], v4, off
.LBB47_2000:
	s_mov_b64 s[0:1], 0
.LBB47_2001:
	s_andn2_b64 vcc, exec, s[0:1]
	s_cbranch_vccnz .LBB47_2010
; %bb.2002:
	s_cmp_lt_i32 s6, 6
	s_mov_b64 s[0:1], -1
	s_cbranch_scc1 .LBB47_2008
; %bb.2003:
	s_cmp_gt_i32 s6, 6
	s_cbranch_scc0 .LBB47_2005
; %bb.2004:
	v_bfe_i32 v4, v1, 0, 16
	v_cvt_f64_i32_e32 v[4:5], v4
	global_store_dwordx2 v[2:3], v[4:5], off
	s_mov_b64 s[0:1], 0
.LBB47_2005:
	s_andn2_b64 vcc, exec, s[0:1]
	s_cbranch_vccnz .LBB47_2007
; %bb.2006:
	v_cvt_f32_i32_sdwa v4, sext(v1) dst_sel:DWORD dst_unused:UNUSED_PAD src0_sel:WORD_0
	global_store_dword v[2:3], v4, off
.LBB47_2007:
	s_mov_b64 s[0:1], 0
.LBB47_2008:
	s_andn2_b64 vcc, exec, s[0:1]
	s_cbranch_vccnz .LBB47_2010
; %bb.2009:
	v_cvt_f16_i16_e32 v4, v1
	global_store_short v[2:3], v4, off
.LBB47_2010:
	s_mov_b64 s[0:1], 0
.LBB47_2011:
	s_andn2_b64 vcc, exec, s[0:1]
	s_cbranch_vccnz .LBB47_2027
; %bb.2012:
	s_cmp_lt_i32 s6, 2
	s_mov_b64 s[0:1], -1
	s_cbranch_scc1 .LBB47_2022
; %bb.2013:
	s_cmp_lt_i32 s6, 3
	s_cbranch_scc1 .LBB47_2019
; %bb.2014:
	s_cmp_gt_i32 s6, 3
	v_bfe_i32 v4, v1, 0, 16
	s_cbranch_scc0 .LBB47_2016
; %bb.2015:
	v_ashrrev_i32_e32 v5, 31, v4
	global_store_dwordx2 v[2:3], v[4:5], off
	s_mov_b64 s[0:1], 0
.LBB47_2016:
	s_andn2_b64 vcc, exec, s[0:1]
	s_cbranch_vccnz .LBB47_2018
; %bb.2017:
	global_store_dword v[2:3], v4, off
.LBB47_2018:
	s_mov_b64 s[0:1], 0
.LBB47_2019:
	s_andn2_b64 vcc, exec, s[0:1]
	s_cbranch_vccnz .LBB47_2021
; %bb.2020:
	global_store_short v[2:3], v1, off
.LBB47_2021:
	s_mov_b64 s[0:1], 0
.LBB47_2022:
	s_andn2_b64 vcc, exec, s[0:1]
	s_cbranch_vccnz .LBB47_2027
; %bb.2023:
	s_cmp_gt_i32 s6, 0
	s_mov_b64 s[0:1], -1
	s_cbranch_scc0 .LBB47_2025
; %bb.2024:
	global_store_byte v[2:3], v1, off
	s_mov_b64 s[0:1], 0
.LBB47_2025:
	s_andn2_b64 vcc, exec, s[0:1]
	s_cbranch_vccnz .LBB47_2027
; %bb.2026:
	global_store_byte v[2:3], v1, off
.LBB47_2027:
	s_mov_b64 s[8:9], -1
.LBB47_2028:
	s_andn2_b64 vcc, exec, s[8:9]
	s_cbranch_vccnz .LBB47_2105
; %bb.2029:
	v_mov_b32_e32 v1, 0
	v_xor_b32_e32 v2, -1, v8
	s_cmp_lt_i32 s14, 11
	v_lshl_add_u64 v[0:1], s[4:5], 0, v[0:1]
	s_cbranch_scc1 .LBB47_2106
; %bb.2030:
	s_and_b32 s12, 0xffff, s14
	s_mov_b64 s[6:7], -1
	s_mov_b64 s[4:5], 0
	s_cmp_gt_i32 s12, 25
	s_mov_b64 s[0:1], 0
	s_cbranch_scc0 .LBB47_2063
; %bb.2031:
	s_cmp_gt_i32 s12, 28
	s_cbranch_scc0 .LBB47_2047
; %bb.2032:
	s_cmp_gt_i32 s12, 43
	;; [unrolled: 3-line block ×3, first 2 shown]
	s_cbranch_scc0 .LBB47_2037
; %bb.2034:
	s_cmp_eq_u32 s12, 46
	s_mov_b64 s[0:1], -1
	s_cbranch_scc0 .LBB47_2036
; %bb.2035:
	v_cvt_f32_i32_sdwa v3, sext(v2) dst_sel:DWORD dst_unused:UNUSED_PAD src0_sel:WORD_0
	s_movk_i32 s0, 0x7fff
	v_bfe_u32 v4, v3, 16, 1
	v_add3_u32 v3, v3, v4, s0
	v_lshrrev_b32_e32 v3, 16, v3
	global_store_dword v[0:1], v3, off
	s_mov_b64 s[0:1], 0
.LBB47_2036:
	s_mov_b64 s[6:7], 0
.LBB47_2037:
	s_and_b64 vcc, exec, s[6:7]
	s_cbranch_vccz .LBB47_2042
; %bb.2038:
	s_cmp_eq_u32 s12, 44
	s_mov_b64 s[0:1], -1
	s_cbranch_scc0 .LBB47_2042
; %bb.2039:
	v_cvt_f32_i32_sdwa v3, sext(v2) dst_sel:DWORD dst_unused:UNUSED_PAD src0_sel:WORD_0
	s_movk_i32 s0, 0xff
	v_mov_b32_e32 v5, 0xff
	v_bfe_u32 v4, v3, 23, 8
	v_cmp_ne_u32_e32 vcc, s0, v4
	s_and_saveexec_b64 s[6:7], vcc
; %bb.2040:
	s_mov_b32 s0, 0x3fffff
	v_lshrrev_b32_e32 v5, 23, v3
	v_and_b32_e32 v6, 0x400000, v3
	v_and_or_b32 v3, v3, s0, v4
	v_cmp_ne_u32_e32 vcc, 0, v6
	v_cmp_ne_u32_e64 s[0:1], 0, v3
	s_and_b64 s[0:1], vcc, s[0:1]
	s_nop 0
	v_cndmask_b32_e64 v3, 0, 1, s[0:1]
	v_add_u32_e32 v5, v5, v3
; %bb.2041:
	s_or_b64 exec, exec, s[6:7]
	s_mov_b64 s[0:1], 0
	global_store_byte v[0:1], v5, off
.LBB47_2042:
	s_mov_b64 s[6:7], 0
.LBB47_2043:
	s_and_b64 vcc, exec, s[6:7]
	s_cbranch_vccz .LBB47_2046
; %bb.2044:
	s_cmp_eq_u32 s12, 29
	s_mov_b64 s[0:1], -1
	s_cbranch_scc0 .LBB47_2046
; %bb.2045:
	v_bfe_i32 v4, v2, 0, 16
	v_ashrrev_i32_e32 v5, 31, v4
	global_store_dwordx2 v[0:1], v[4:5], off
	s_mov_b64 s[0:1], 0
.LBB47_2046:
	s_mov_b64 s[6:7], 0
.LBB47_2047:
	s_and_b64 vcc, exec, s[6:7]
	s_cbranch_vccz .LBB47_2062
; %bb.2048:
	s_cmp_lt_i32 s12, 27
	s_mov_b64 s[6:7], -1
	s_cbranch_scc1 .LBB47_2054
; %bb.2049:
	s_cmp_gt_i32 s12, 27
	s_cbranch_scc0 .LBB47_2051
; %bb.2050:
	v_bfe_i32 v3, v2, 0, 16
	global_store_dword v[0:1], v3, off
	s_mov_b64 s[6:7], 0
.LBB47_2051:
	s_andn2_b64 vcc, exec, s[6:7]
	s_cbranch_vccnz .LBB47_2053
; %bb.2052:
	global_store_short v[0:1], v2, off
.LBB47_2053:
	s_mov_b64 s[6:7], 0
.LBB47_2054:
	s_andn2_b64 vcc, exec, s[6:7]
	s_cbranch_vccnz .LBB47_2062
; %bb.2055:
	v_cvt_f32_i32_sdwa v3, sext(v2) dst_sel:DWORD dst_unused:UNUSED_PAD src0_sel:WORD_0
	s_mov_b32 s6, 0x43800000
	v_mov_b32_e32 v5, 0x80
	v_and_b32_e32 v4, 0x7fffffff, v3
	v_cmp_gt_u32_e32 vcc, s6, v4
	s_and_saveexec_b64 s[6:7], vcc
	s_cbranch_execz .LBB47_2061
; %bb.2056:
	s_mov_b32 s8, 0x3bffffff
	v_cmp_lt_u32_e32 vcc, s8, v4
	s_mov_b64 s[8:9], 0
                                        ; implicit-def: $vgpr4
	s_and_saveexec_b64 s[10:11], vcc
	s_xor_b64 s[10:11], exec, s[10:11]
	s_cbranch_execz .LBB47_2123
; %bb.2057:
	v_bfe_u32 v4, v3, 20, 1
	s_mov_b32 s13, 0x487ffff
	v_add3_u32 v4, v3, v4, s13
	s_mov_b64 s[8:9], exec
	v_lshrrev_b32_e32 v4, 20, v4
	s_andn2_saveexec_b64 s[10:11], s[10:11]
	s_cbranch_execnz .LBB47_2124
.LBB47_2058:
	s_or_b64 exec, exec, s[10:11]
	v_mov_b32_e32 v5, 0
	s_and_saveexec_b64 s[10:11], s[8:9]
.LBB47_2059:
	v_lshrrev_b32_e32 v3, 24, v3
	s_movk_i32 s8, 0x80
	v_and_or_b32 v5, v3, s8, v4
.LBB47_2060:
	s_or_b64 exec, exec, s[10:11]
.LBB47_2061:
	s_or_b64 exec, exec, s[6:7]
	global_store_byte v[0:1], v5, off
.LBB47_2062:
	s_mov_b64 s[6:7], 0
.LBB47_2063:
	s_and_b64 vcc, exec, s[6:7]
	s_cbranch_vccz .LBB47_2103
; %bb.2064:
	s_cmp_gt_i32 s12, 22
	s_mov_b64 s[4:5], -1
	s_cbranch_scc0 .LBB47_2096
; %bb.2065:
	s_cmp_lt_i32 s12, 24
	s_cbranch_scc1 .LBB47_2085
; %bb.2066:
	s_cmp_gt_i32 s12, 24
	s_cbranch_scc0 .LBB47_2074
; %bb.2067:
	v_cvt_f32_i32_sdwa v3, sext(v2) dst_sel:DWORD dst_unused:UNUSED_PAD src0_sel:WORD_0
	s_mov_b32 s4, 0x47800000
	v_mov_b32_e32 v5, 0x80
	v_and_b32_e32 v4, 0x7fffffff, v3
	v_cmp_gt_u32_e32 vcc, s4, v4
	s_and_saveexec_b64 s[4:5], vcc
	s_cbranch_execz .LBB47_2073
; %bb.2068:
	s_mov_b32 s6, 0x37ffffff
	v_cmp_lt_u32_e32 vcc, s6, v4
	s_mov_b64 s[6:7], 0
                                        ; implicit-def: $vgpr4
	s_and_saveexec_b64 s[8:9], vcc
	s_xor_b64 s[8:9], exec, s[8:9]
	s_cbranch_execz .LBB47_2126
; %bb.2069:
	v_bfe_u32 v4, v3, 21, 1
	s_mov_b32 s10, 0x88fffff
	v_add3_u32 v4, v3, v4, s10
	s_mov_b64 s[6:7], exec
	v_lshrrev_b32_e32 v4, 21, v4
	s_andn2_saveexec_b64 s[8:9], s[8:9]
	s_cbranch_execnz .LBB47_2127
.LBB47_2070:
	s_or_b64 exec, exec, s[8:9]
	v_mov_b32_e32 v5, 0
	s_and_saveexec_b64 s[8:9], s[6:7]
.LBB47_2071:
	v_lshrrev_b32_e32 v3, 24, v3
	s_movk_i32 s6, 0x80
	v_and_or_b32 v5, v3, s6, v4
.LBB47_2072:
	s_or_b64 exec, exec, s[8:9]
.LBB47_2073:
	s_or_b64 exec, exec, s[4:5]
	s_mov_b64 s[4:5], 0
	global_store_byte v[0:1], v5, off
.LBB47_2074:
	s_and_b64 vcc, exec, s[4:5]
	s_cbranch_vccz .LBB47_2084
; %bb.2075:
	v_cvt_f32_i32_sdwa v3, sext(v2) dst_sel:DWORD dst_unused:UNUSED_PAD src0_sel:WORD_0
	s_mov_b32 s4, 0x43f00000
                                        ; implicit-def: $vgpr4
	v_and_b32_e32 v5, 0x7fffffff, v3
	v_cmp_gt_u32_e32 vcc, s4, v5
	s_and_saveexec_b64 s[4:5], vcc
	s_xor_b64 s[4:5], exec, s[4:5]
	s_cbranch_execz .LBB47_2081
; %bb.2076:
	s_mov_b32 s6, 0x3c7fffff
	v_cmp_lt_u32_e32 vcc, s6, v5
                                        ; implicit-def: $vgpr4
	s_and_saveexec_b64 s[6:7], vcc
	s_xor_b64 s[6:7], exec, s[6:7]
; %bb.2077:
	v_bfe_u32 v4, v3, 20, 1
	s_mov_b32 s8, 0x407ffff
	v_add3_u32 v4, v3, v4, s8
	v_lshrrev_b32_e32 v5, 20, v4
	v_and_b32_e32 v4, 0xff00000, v4
	s_mov_b32 s8, 0x7f00000
	v_mov_b32_e32 v6, 0x7e
	v_cmp_ne_u32_e32 vcc, s8, v4
	s_nop 1
	v_cndmask_b32_e32 v4, v6, v5, vcc
; %bb.2078:
	s_andn2_saveexec_b64 s[6:7], s[6:7]
; %bb.2079:
	s_mov_b32 s8, 0x46800000
	v_add_f32_e64 v4, |v3|, s8
; %bb.2080:
	s_or_b64 exec, exec, s[6:7]
                                        ; implicit-def: $vgpr5
.LBB47_2081:
	s_andn2_saveexec_b64 s[4:5], s[4:5]
; %bb.2082:
	s_mov_b32 s6, 0x7f800000
	v_mov_b32_e32 v4, 0x7e
	v_mov_b32_e32 v6, 0x7f
	v_cmp_lt_u32_e32 vcc, s6, v5
	s_nop 1
	v_cndmask_b32_e32 v4, v4, v6, vcc
; %bb.2083:
	s_or_b64 exec, exec, s[4:5]
	v_lshrrev_b32_e32 v3, 24, v3
	s_movk_i32 s4, 0x80
	v_and_or_b32 v3, v3, s4, v4
	global_store_byte v[0:1], v3, off
.LBB47_2084:
	s_mov_b64 s[4:5], 0
.LBB47_2085:
	s_andn2_b64 vcc, exec, s[4:5]
	s_cbranch_vccnz .LBB47_2095
; %bb.2086:
	v_cvt_f32_i32_sdwa v3, sext(v2) dst_sel:DWORD dst_unused:UNUSED_PAD src0_sel:WORD_0
	s_mov_b32 s4, 0x47800000
                                        ; implicit-def: $vgpr4
	v_and_b32_e32 v5, 0x7fffffff, v3
	v_cmp_gt_u32_e32 vcc, s4, v5
	s_and_saveexec_b64 s[4:5], vcc
	s_xor_b64 s[4:5], exec, s[4:5]
	s_cbranch_execz .LBB47_2092
; %bb.2087:
	s_mov_b32 s6, 0x387fffff
	v_cmp_lt_u32_e32 vcc, s6, v5
                                        ; implicit-def: $vgpr4
	s_and_saveexec_b64 s[6:7], vcc
	s_xor_b64 s[6:7], exec, s[6:7]
; %bb.2088:
	v_bfe_u32 v4, v3, 21, 1
	s_mov_b32 s8, 0x80fffff
	v_add3_u32 v4, v3, v4, s8
	v_lshrrev_b32_e32 v4, 21, v4
; %bb.2089:
	s_andn2_saveexec_b64 s[6:7], s[6:7]
; %bb.2090:
	s_mov_b32 s8, 0x43000000
	v_add_f32_e64 v4, |v3|, s8
; %bb.2091:
	s_or_b64 exec, exec, s[6:7]
                                        ; implicit-def: $vgpr5
.LBB47_2092:
	s_andn2_saveexec_b64 s[4:5], s[4:5]
; %bb.2093:
	s_mov_b32 s6, 0x7f800000
	v_mov_b32_e32 v4, 0x7c
	v_mov_b32_e32 v6, 0x7f
	v_cmp_lt_u32_e32 vcc, s6, v5
	s_nop 1
	v_cndmask_b32_e32 v4, v4, v6, vcc
; %bb.2094:
	s_or_b64 exec, exec, s[4:5]
	v_lshrrev_b32_e32 v3, 24, v3
	s_movk_i32 s4, 0x80
	v_and_or_b32 v3, v3, s4, v4
	global_store_byte v[0:1], v3, off
.LBB47_2095:
	s_mov_b64 s[4:5], 0
.LBB47_2096:
	s_andn2_b64 vcc, exec, s[4:5]
	s_mov_b64 s[4:5], 0
	s_cbranch_vccnz .LBB47_2103
; %bb.2097:
	s_cmp_gt_i32 s12, 14
	s_mov_b64 s[6:7], -1
	s_cbranch_scc0 .LBB47_2101
; %bb.2098:
	s_cmp_eq_u32 s12, 15
	s_mov_b64 s[0:1], -1
	s_cbranch_scc0 .LBB47_2100
; %bb.2099:
	v_cvt_f32_i32_sdwa v3, sext(v2) dst_sel:DWORD dst_unused:UNUSED_PAD src0_sel:WORD_0
	s_movk_i32 s0, 0x7fff
	v_bfe_u32 v4, v3, 16, 1
	v_add3_u32 v3, v3, v4, s0
	global_store_short_d16_hi v[0:1], v3, off
	s_mov_b64 s[0:1], 0
.LBB47_2100:
	s_mov_b64 s[6:7], 0
.LBB47_2101:
	s_and_b64 vcc, exec, s[6:7]
	s_cbranch_vccz .LBB47_2103
; %bb.2102:
	s_cmp_lg_u32 s12, 11
	s_mov_b64 s[4:5], -1
	s_cselect_b64 s[0:1], -1, 0
.LBB47_2103:
	s_and_b64 vcc, exec, s[0:1]
	s_cbranch_vccnz .LBB47_2125
.LBB47_2104:
	s_mov_b64 s[0:1], 0
	s_branch .LBB47_1514
.LBB47_2105:
	s_mov_b64 s[0:1], 0
                                        ; implicit-def: $vgpr0_vgpr1
                                        ; implicit-def: $sgpr14
                                        ; implicit-def: $vgpr2
	s_branch .LBB47_1513
.LBB47_2106:
	s_mov_b64 s[4:5], 0
	s_mov_b64 s[0:1], -1
	s_branch .LBB47_1514
.LBB47_2107:
	s_trap 2
	s_or_b64 s[2:3], s[2:3], exec
	s_cbranch_execz .LBB47_1620
	s_branch .LBB47_1621
.LBB47_2108:
	s_andn2_saveexec_b64 s[12:13], s[12:13]
	s_cbranch_execz .LBB47_1700
.LBB47_2109:
	s_mov_b32 s17, 0x46000000
	v_add_f32_e64 v5, |v3|, s17
	v_and_b32_e32 v5, 0xff, v5
	v_cmp_ne_u32_e32 vcc, 0, v5
	s_andn2_b64 s[10:11], s[10:11], exec
	s_and_b64 s[18:19], vcc, exec
	s_or_b64 s[10:11], s[10:11], s[18:19]
	s_or_b64 exec, exec, s[12:13]
	v_mov_b32_e32 v9, 0
	s_and_saveexec_b64 s[12:13], s[10:11]
	s_cbranch_execnz .LBB47_1701
	s_branch .LBB47_1702
.LBB47_2110:
	s_trap 2
	s_or_b64 s[2:3], s[2:3], exec
	s_cbranch_execz .LBB47_1748
	s_branch .LBB47_1749
.LBB47_2111:
	s_andn2_saveexec_b64 s[10:11], s[10:11]
	s_cbranch_execz .LBB47_1713
.LBB47_2112:
	s_mov_b32 s12, 0x42800000
	v_add_f32_e64 v5, |v3|, s12
	v_and_b32_e32 v5, 0xff, v5
	v_cmp_ne_u32_e32 vcc, 0, v5
	s_andn2_b64 s[8:9], s[8:9], exec
	s_and_b64 s[12:13], vcc, exec
	s_or_b64 s[8:9], s[8:9], s[12:13]
	s_or_b64 exec, exec, s[10:11]
	v_mov_b32_e32 v9, 0
	s_and_saveexec_b64 s[10:11], s[8:9]
	s_cbranch_execnz .LBB47_1714
	s_branch .LBB47_1715
.LBB47_2113:
	s_andn2_saveexec_b64 s[12:13], s[12:13]
	s_cbranch_execz .LBB47_1819
.LBB47_2114:
	s_mov_b32 s16, 0x46000000
	v_add_f32_e64 v6, |v3|, s16
	v_and_b32_e32 v6, 0xff, v6
	v_cmp_ne_u32_e32 vcc, 0, v6
	s_andn2_b64 s[10:11], s[10:11], exec
	s_and_b64 s[16:17], vcc, exec
	s_or_b64 s[10:11], s[10:11], s[16:17]
	s_or_b64 exec, exec, s[12:13]
	v_mov_b32_e32 v7, 0
	s_and_saveexec_b64 s[12:13], s[10:11]
	s_cbranch_execnz .LBB47_1820
	s_branch .LBB47_1821
.LBB47_2115:
	s_trap 2
	s_or_b64 s[2:3], s[2:3], exec
	s_cbranch_execz .LBB47_1867
	s_branch .LBB47_1868
.LBB47_2116:
	s_andn2_saveexec_b64 s[10:11], s[10:11]
	s_cbranch_execz .LBB47_1832
.LBB47_2117:
	s_mov_b32 s12, 0x42800000
	v_add_f32_e64 v6, |v3|, s12
	v_and_b32_e32 v6, 0xff, v6
	v_cmp_ne_u32_e32 vcc, 0, v6
	s_andn2_b64 s[8:9], s[8:9], exec
	s_and_b64 s[12:13], vcc, exec
	s_or_b64 s[8:9], s[8:9], s[12:13]
	s_or_b64 exec, exec, s[10:11]
	v_mov_b32_e32 v7, 0
	s_and_saveexec_b64 s[10:11], s[8:9]
	s_cbranch_execnz .LBB47_1833
	s_branch .LBB47_1834
.LBB47_2118:
	s_andn2_saveexec_b64 s[12:13], s[12:13]
	s_cbranch_execz .LBB47_1938
.LBB47_2119:
	s_mov_b32 s16, 0x46000000
	v_add_f32_e64 v5, |v4|, s16
	v_and_b32_e32 v5, 0xff, v5
	v_cmp_ne_u32_e32 vcc, 0, v5
	s_andn2_b64 s[10:11], s[10:11], exec
	s_and_b64 s[16:17], vcc, exec
	s_or_b64 s[10:11], s[10:11], s[16:17]
	s_or_b64 exec, exec, s[12:13]
	v_mov_b32_e32 v6, 0
	s_and_saveexec_b64 s[12:13], s[10:11]
	s_cbranch_execnz .LBB47_1939
	s_branch .LBB47_1940
.LBB47_2120:
	s_trap 2
	s_or_b64 s[2:3], s[2:3], exec
	s_cbranch_execz .LBB47_1986
	s_branch .LBB47_1987
.LBB47_2121:
	s_andn2_saveexec_b64 s[10:11], s[10:11]
	s_cbranch_execz .LBB47_1951
.LBB47_2122:
	s_mov_b32 s12, 0x42800000
	v_add_f32_e64 v5, |v4|, s12
	v_and_b32_e32 v5, 0xff, v5
	v_cmp_ne_u32_e32 vcc, 0, v5
	s_andn2_b64 s[8:9], s[8:9], exec
	s_and_b64 s[12:13], vcc, exec
	s_or_b64 s[8:9], s[8:9], s[12:13]
	s_or_b64 exec, exec, s[10:11]
	v_mov_b32_e32 v6, 0
	s_and_saveexec_b64 s[10:11], s[8:9]
	s_cbranch_execnz .LBB47_1952
	s_branch .LBB47_1953
.LBB47_2123:
	s_andn2_saveexec_b64 s[10:11], s[10:11]
	s_cbranch_execz .LBB47_2058
.LBB47_2124:
	s_mov_b32 s13, 0x46000000
	v_add_f32_e64 v4, |v3|, s13
	v_and_b32_e32 v4, 0xff, v4
	v_cmp_ne_u32_e32 vcc, 0, v4
	s_andn2_b64 s[8:9], s[8:9], exec
	s_and_b64 s[16:17], vcc, exec
	s_or_b64 s[8:9], s[8:9], s[16:17]
	s_or_b64 exec, exec, s[10:11]
	v_mov_b32_e32 v5, 0
	s_and_saveexec_b64 s[10:11], s[8:9]
	s_cbranch_execnz .LBB47_2059
	s_branch .LBB47_2060
.LBB47_2125:
	s_mov_b64 s[4:5], 0
	s_or_b64 s[2:3], s[2:3], exec
	s_trap 2
	s_branch .LBB47_2104
.LBB47_2126:
	s_andn2_saveexec_b64 s[8:9], s[8:9]
	s_cbranch_execz .LBB47_2070
.LBB47_2127:
	s_mov_b32 s10, 0x42800000
	v_add_f32_e64 v4, |v3|, s10
	v_and_b32_e32 v4, 0xff, v4
	v_cmp_ne_u32_e32 vcc, 0, v4
	s_andn2_b64 s[6:7], s[6:7], exec
	s_and_b64 s[10:11], vcc, exec
	s_or_b64 s[6:7], s[6:7], s[10:11]
	s_or_b64 exec, exec, s[8:9]
	v_mov_b32_e32 v5, 0
	s_and_saveexec_b64 s[8:9], s[6:7]
	s_cbranch_execnz .LBB47_2071
	s_branch .LBB47_2072
	.section	.rodata,"a",@progbits
	.p2align	6, 0x0
	.amdhsa_kernel _ZN2at6native32elementwise_kernel_manual_unrollILi128ELi4EZNS0_15gpu_kernel_implIZZZNS0_23bitwise_not_kernel_cudaERNS_18TensorIteratorBaseEENKUlvE_clEvENKUlvE3_clEvEUlsE_EEvS4_RKT_EUlibE0_EEviT1_
		.amdhsa_group_segment_fixed_size 0
		.amdhsa_private_segment_fixed_size 0
		.amdhsa_kernarg_size 360
		.amdhsa_user_sgpr_count 2
		.amdhsa_user_sgpr_dispatch_ptr 0
		.amdhsa_user_sgpr_queue_ptr 0
		.amdhsa_user_sgpr_kernarg_segment_ptr 1
		.amdhsa_user_sgpr_dispatch_id 0
		.amdhsa_user_sgpr_kernarg_preload_length 0
		.amdhsa_user_sgpr_kernarg_preload_offset 0
		.amdhsa_user_sgpr_private_segment_size 0
		.amdhsa_uses_dynamic_stack 0
		.amdhsa_enable_private_segment 0
		.amdhsa_system_sgpr_workgroup_id_x 1
		.amdhsa_system_sgpr_workgroup_id_y 0
		.amdhsa_system_sgpr_workgroup_id_z 0
		.amdhsa_system_sgpr_workgroup_info 0
		.amdhsa_system_vgpr_workitem_id 0
		.amdhsa_next_free_vgpr 18
		.amdhsa_next_free_sgpr 78
		.amdhsa_accum_offset 20
		.amdhsa_reserve_vcc 1
		.amdhsa_float_round_mode_32 0
		.amdhsa_float_round_mode_16_64 0
		.amdhsa_float_denorm_mode_32 3
		.amdhsa_float_denorm_mode_16_64 3
		.amdhsa_dx10_clamp 1
		.amdhsa_ieee_mode 1
		.amdhsa_fp16_overflow 0
		.amdhsa_tg_split 0
		.amdhsa_exception_fp_ieee_invalid_op 0
		.amdhsa_exception_fp_denorm_src 0
		.amdhsa_exception_fp_ieee_div_zero 0
		.amdhsa_exception_fp_ieee_overflow 0
		.amdhsa_exception_fp_ieee_underflow 0
		.amdhsa_exception_fp_ieee_inexact 0
		.amdhsa_exception_int_div_zero 0
	.end_amdhsa_kernel
	.section	.text._ZN2at6native32elementwise_kernel_manual_unrollILi128ELi4EZNS0_15gpu_kernel_implIZZZNS0_23bitwise_not_kernel_cudaERNS_18TensorIteratorBaseEENKUlvE_clEvENKUlvE3_clEvEUlsE_EEvS4_RKT_EUlibE0_EEviT1_,"axG",@progbits,_ZN2at6native32elementwise_kernel_manual_unrollILi128ELi4EZNS0_15gpu_kernel_implIZZZNS0_23bitwise_not_kernel_cudaERNS_18TensorIteratorBaseEENKUlvE_clEvENKUlvE3_clEvEUlsE_EEvS4_RKT_EUlibE0_EEviT1_,comdat
.Lfunc_end47:
	.size	_ZN2at6native32elementwise_kernel_manual_unrollILi128ELi4EZNS0_15gpu_kernel_implIZZZNS0_23bitwise_not_kernel_cudaERNS_18TensorIteratorBaseEENKUlvE_clEvENKUlvE3_clEvEUlsE_EEvS4_RKT_EUlibE0_EEviT1_, .Lfunc_end47-_ZN2at6native32elementwise_kernel_manual_unrollILi128ELi4EZNS0_15gpu_kernel_implIZZZNS0_23bitwise_not_kernel_cudaERNS_18TensorIteratorBaseEENKUlvE_clEvENKUlvE3_clEvEUlsE_EEvS4_RKT_EUlibE0_EEviT1_
                                        ; -- End function
	.set _ZN2at6native32elementwise_kernel_manual_unrollILi128ELi4EZNS0_15gpu_kernel_implIZZZNS0_23bitwise_not_kernel_cudaERNS_18TensorIteratorBaseEENKUlvE_clEvENKUlvE3_clEvEUlsE_EEvS4_RKT_EUlibE0_EEviT1_.num_vgpr, 18
	.set _ZN2at6native32elementwise_kernel_manual_unrollILi128ELi4EZNS0_15gpu_kernel_implIZZZNS0_23bitwise_not_kernel_cudaERNS_18TensorIteratorBaseEENKUlvE_clEvENKUlvE3_clEvEUlsE_EEvS4_RKT_EUlibE0_EEviT1_.num_agpr, 0
	.set _ZN2at6native32elementwise_kernel_manual_unrollILi128ELi4EZNS0_15gpu_kernel_implIZZZNS0_23bitwise_not_kernel_cudaERNS_18TensorIteratorBaseEENKUlvE_clEvENKUlvE3_clEvEUlsE_EEvS4_RKT_EUlibE0_EEviT1_.numbered_sgpr, 78
	.set _ZN2at6native32elementwise_kernel_manual_unrollILi128ELi4EZNS0_15gpu_kernel_implIZZZNS0_23bitwise_not_kernel_cudaERNS_18TensorIteratorBaseEENKUlvE_clEvENKUlvE3_clEvEUlsE_EEvS4_RKT_EUlibE0_EEviT1_.num_named_barrier, 0
	.set _ZN2at6native32elementwise_kernel_manual_unrollILi128ELi4EZNS0_15gpu_kernel_implIZZZNS0_23bitwise_not_kernel_cudaERNS_18TensorIteratorBaseEENKUlvE_clEvENKUlvE3_clEvEUlsE_EEvS4_RKT_EUlibE0_EEviT1_.private_seg_size, 0
	.set _ZN2at6native32elementwise_kernel_manual_unrollILi128ELi4EZNS0_15gpu_kernel_implIZZZNS0_23bitwise_not_kernel_cudaERNS_18TensorIteratorBaseEENKUlvE_clEvENKUlvE3_clEvEUlsE_EEvS4_RKT_EUlibE0_EEviT1_.uses_vcc, 1
	.set _ZN2at6native32elementwise_kernel_manual_unrollILi128ELi4EZNS0_15gpu_kernel_implIZZZNS0_23bitwise_not_kernel_cudaERNS_18TensorIteratorBaseEENKUlvE_clEvENKUlvE3_clEvEUlsE_EEvS4_RKT_EUlibE0_EEviT1_.uses_flat_scratch, 0
	.set _ZN2at6native32elementwise_kernel_manual_unrollILi128ELi4EZNS0_15gpu_kernel_implIZZZNS0_23bitwise_not_kernel_cudaERNS_18TensorIteratorBaseEENKUlvE_clEvENKUlvE3_clEvEUlsE_EEvS4_RKT_EUlibE0_EEviT1_.has_dyn_sized_stack, 0
	.set _ZN2at6native32elementwise_kernel_manual_unrollILi128ELi4EZNS0_15gpu_kernel_implIZZZNS0_23bitwise_not_kernel_cudaERNS_18TensorIteratorBaseEENKUlvE_clEvENKUlvE3_clEvEUlsE_EEvS4_RKT_EUlibE0_EEviT1_.has_recursion, 0
	.set _ZN2at6native32elementwise_kernel_manual_unrollILi128ELi4EZNS0_15gpu_kernel_implIZZZNS0_23bitwise_not_kernel_cudaERNS_18TensorIteratorBaseEENKUlvE_clEvENKUlvE3_clEvEUlsE_EEvS4_RKT_EUlibE0_EEviT1_.has_indirect_call, 0
	.section	.AMDGPU.csdata,"",@progbits
; Kernel info:
; codeLenInByte = 35584
; TotalNumSgprs: 84
; NumVgprs: 18
; NumAgprs: 0
; TotalNumVgprs: 18
; ScratchSize: 0
; MemoryBound: 1
; FloatMode: 240
; IeeeMode: 1
; LDSByteSize: 0 bytes/workgroup (compile time only)
; SGPRBlocks: 10
; VGPRBlocks: 2
; NumSGPRsForWavesPerEU: 84
; NumVGPRsForWavesPerEU: 18
; AccumOffset: 20
; Occupancy: 8
; WaveLimiterHint : 1
; COMPUTE_PGM_RSRC2:SCRATCH_EN: 0
; COMPUTE_PGM_RSRC2:USER_SGPR: 2
; COMPUTE_PGM_RSRC2:TRAP_HANDLER: 0
; COMPUTE_PGM_RSRC2:TGID_X_EN: 1
; COMPUTE_PGM_RSRC2:TGID_Y_EN: 0
; COMPUTE_PGM_RSRC2:TGID_Z_EN: 0
; COMPUTE_PGM_RSRC2:TIDIG_COMP_CNT: 0
; COMPUTE_PGM_RSRC3_GFX90A:ACCUM_OFFSET: 4
; COMPUTE_PGM_RSRC3_GFX90A:TG_SPLIT: 0
	.text
	.p2align	2                               ; -- Begin function _ZZZZN2at6native15exp_kernel_cudaERNS_18TensorIteratorBaseEENKUlvE_clEvENKUlvE_clEvENKUlN3c107complexIdEEE_clES7_
	.type	_ZZZZN2at6native15exp_kernel_cudaERNS_18TensorIteratorBaseEENKUlvE_clEvENKUlvE_clEvENKUlN3c107complexIdEEE_clES7_,@function
_ZZZZN2at6native15exp_kernel_cudaERNS_18TensorIteratorBaseEENKUlvE_clEvENKUlvE_clEvENKUlN3c107complexIdEEE_clES7_: ; @_ZZZZN2at6native15exp_kernel_cudaERNS_18TensorIteratorBaseEENKUlvE_clEvENKUlvE_clEvENKUlN3c107complexIdEEE_clES7_
; %bb.0:
	s_waitcnt vmcnt(0) expcnt(0) lgkmcnt(0)
	v_and_b32_e32 v7, 0x7fffffff, v3
	v_or_b32_e32 v4, v7, v2
	v_cmp_ne_u32_e32 vcc, 0, v4
                                        ; implicit-def: $vgpr4_vgpr5
	s_and_saveexec_b64 s[0:1], vcc
	s_xor_b64 s[4:5], exec, s[0:1]
	s_cbranch_execz .LBB48_6
; %bb.1:
	v_and_b32_e32 v6, 0x7fffffff, v1
	v_or_b32_e32 v4, v6, v0
	v_cmp_ne_u32_e32 vcc, 0, v4
                                        ; implicit-def: $vgpr4_vgpr5
	s_and_saveexec_b64 s[0:1], vcc
	s_xor_b64 s[6:7], exec, s[0:1]
	s_cbranch_execz .LBB48_33
; %bb.2:
	s_mov_b32 s0, 0x7ff00000
	v_cmp_gt_u32_e32 vcc, s0, v7
                                        ; implicit-def: $vgpr4_vgpr5
	s_and_saveexec_b64 s[0:1], vcc
	s_xor_b64 s[8:9], exec, s[0:1]
	s_cbranch_execz .LBB48_26
; %bb.3:
	v_add_u32_e32 v4, 0xbf79d1be, v1
	s_mov_b32 s0, 0x108aa2
	v_cmp_lt_u32_e32 vcc, s0, v4
                                        ; implicit-def: $vgpr4_vgpr5
	s_and_saveexec_b64 s[0:1], vcc
	s_xor_b64 s[2:3], exec, s[0:1]
	s_cbranch_execz .LBB48_15
; %bb.4:
	s_mov_b32 s0, 0
	s_mov_b32 s1, 0x41d00000
	v_cmp_nlt_f64_e64 s[10:11], |v[2:3]|, s[0:1]
                                        ; implicit-def: $vgpr12
                                        ; implicit-def: $vgpr4_vgpr5
                                        ; implicit-def: $vgpr6_vgpr7
	s_and_saveexec_b64 s[0:1], s[10:11]
	s_xor_b64 s[12:13], exec, s[0:1]
	s_cbranch_execz .LBB48_8
; %bb.5:
	s_mov_b32 s0, 0
	s_mov_b32 s1, 0x7b000000
	s_movk_i32 s14, 0xff80
	v_and_b32_e32 v10, 0x7fffffff, v3
	v_ldexp_f64 v[8:9], |v[2:3]|, s14
	v_cmp_ge_f64_e64 vcc, |v[2:3]|, s[0:1]
	v_trig_preop_f64 v[4:5], |v[2:3]|, 0
	v_trig_preop_f64 v[6:7], |v[2:3]|, 1
	v_cndmask_b32_e32 v9, v10, v9, vcc
	v_cndmask_b32_e32 v8, v2, v8, vcc
	v_mul_f64 v[12:13], v[4:5], v[8:9]
	v_mul_f64 v[10:11], v[6:7], v[8:9]
	v_fma_f64 v[4:5], v[4:5], v[8:9], -v[12:13]
	v_add_f64 v[14:15], v[10:11], v[4:5]
	v_add_f64 v[22:23], v[14:15], -v[10:11]
	v_add_f64 v[4:5], v[4:5], -v[22:23]
	;; [unrolled: 1-line block ×4, first 2 shown]
	v_fma_f64 v[6:7], v[6:7], v[8:9], -v[10:11]
	v_trig_preop_f64 v[10:11], |v[2:3]|, 2
	v_add_f64 v[4:5], v[4:5], v[22:23]
	v_mul_f64 v[22:23], v[10:11], v[8:9]
	v_add_f64 v[24:25], v[22:23], v[6:7]
	v_add_f64 v[16:17], v[12:13], v[14:15]
	;; [unrolled: 1-line block ×3, first 2 shown]
	v_ldexp_f64 v[18:19], v[16:17], -2
	v_add_f64 v[12:13], v[16:17], -v[12:13]
	v_add_f64 v[16:17], v[26:27], -v[24:25]
	;; [unrolled: 1-line block ×5, first 2 shown]
	v_add_f64 v[4:5], v[4:5], v[16:17]
	v_add_f64 v[16:17], v[24:25], -v[22:23]
	v_add_f64 v[6:7], v[6:7], -v[16:17]
	;; [unrolled: 1-line block ×4, first 2 shown]
	v_add_f64 v[6:7], v[6:7], v[16:17]
	s_mov_b32 s0, 0
	v_fract_f64_e32 v[20:21], v[18:19]
	v_add_f64 v[4:5], v[6:7], v[4:5]
	v_fma_f64 v[6:7], v[10:11], v[8:9], -v[22:23]
	s_mov_b32 s1, 0x7ff00000
	v_add_f64 v[12:13], v[14:15], -v[12:13]
	v_add_f64 v[4:5], v[6:7], v[4:5]
	v_ldexp_f64 v[6:7], v[20:21], 2
	v_cmp_neq_f64_e64 vcc, |v[18:19]|, s[0:1]
	v_add_f64 v[14:15], v[12:13], v[26:27]
	v_mov_b32_e32 v10, 0x40100000
	v_cndmask_b32_e32 v7, 0, v7, vcc
	v_cndmask_b32_e32 v6, 0, v6, vcc
	v_add_f64 v[8:9], v[14:15], v[6:7]
	v_cmp_gt_f64_e32 vcc, 0, v[8:9]
	v_mov_b32_e32 v8, 0
	v_add_f64 v[12:13], v[14:15], -v[12:13]
	v_cndmask_b32_e32 v9, 0, v10, vcc
	v_add_f64 v[6:7], v[6:7], v[8:9]
	v_add_f64 v[10:11], v[14:15], v[6:7]
	v_cvt_i32_f64_e32 v9, v[10:11]
	v_cvt_f64_i32_e32 v[10:11], v9
	v_add_f64 v[6:7], v[6:7], -v[10:11]
	v_add_f64 v[10:11], v[14:15], v[6:7]
	v_add_f64 v[12:13], v[26:27], -v[12:13]
	v_add_f64 v[6:7], v[10:11], -v[6:7]
	v_add_f64 v[4:5], v[12:13], v[4:5]
	v_add_f64 v[6:7], v[14:15], -v[6:7]
	v_add_f64 v[4:5], v[4:5], v[6:7]
	v_cmp_le_f64_e32 vcc, 0.5, v[10:11]
	v_mov_b32_e32 v6, 0x3ff00000
	s_mov_b32 s14, 0x33145c07
	v_addc_co_u32_e64 v12, s[0:1], 0, v9, vcc
	v_cndmask_b32_e32 v9, 0, v6, vcc
	v_add_f64 v[6:7], v[10:11], -v[8:9]
	v_add_f64 v[8:9], v[6:7], v[4:5]
	s_mov_b32 s0, 0x54442d18
	v_add_f64 v[6:7], v[8:9], -v[6:7]
	s_mov_b32 s1, 0x3ff921fb
	v_add_f64 v[4:5], v[4:5], -v[6:7]
	v_mul_f64 v[6:7], v[8:9], s[0:1]
	v_fma_f64 v[10:11], v[8:9], s[0:1], -v[6:7]
	s_mov_b32 s15, 0x3c91a626
	v_fmac_f64_e32 v[10:11], s[14:15], v[8:9]
	v_fmac_f64_e32 v[10:11], s[0:1], v[4:5]
	v_add_f64 v[4:5], v[6:7], v[10:11]
	v_add_f64 v[6:7], v[4:5], -v[6:7]
	v_add_f64 v[6:7], v[10:11], -v[6:7]
	s_andn2_saveexec_b64 s[0:1], s[12:13]
	s_cbranch_execz .LBB48_10
	s_branch .LBB48_9
.LBB48_6:
	s_andn2_saveexec_b64 s[2:3], s[4:5]
	s_cbranch_execz .LBB48_44
.LBB48_7:
	s_mov_b32 s0, 0x652b82fe
	s_mov_b32 s1, 0x3ff71547
	v_mul_f64 v[4:5], v[0:1], s[0:1]
	s_mov_b32 s0, 0xfefa39ef
	v_rndne_f64_e32 v[4:5], v[4:5]
	s_mov_b32 s1, 0xbfe62e42
	v_fma_f64 v[6:7], s[0:1], v[4:5], v[0:1]
	s_mov_b32 s0, 0x3b39803f
	s_mov_b32 s1, 0xbc7abc9e
	v_fmac_f64_e32 v[6:7], s[0:1], v[4:5]
	s_mov_b32 s0, 0x6a5dcb37
	v_mov_b32_e32 v8, 0xfca7ab0c
	v_mov_b32_e32 v9, 0x3e928af3
	s_mov_b32 s1, 0x3e5ade15
	v_fmac_f64_e32 v[8:9], s[0:1], v[6:7]
	v_mov_b32_e32 v10, 0x623fde64
	v_mov_b32_e32 v11, 0x3ec71dee
	v_fmac_f64_e32 v[10:11], v[6:7], v[8:9]
	v_mov_b32_e32 v8, 0x7c89e6b0
	v_mov_b32_e32 v9, 0x3efa0199
	;; [unrolled: 3-line block ×8, first 2 shown]
	s_mov_b32 s0, 0
	v_fmac_f64_e32 v[8:9], v[6:7], v[10:11]
	s_mov_b32 s1, 0x40900000
	v_fma_f64 v[8:9], v[6:7], v[8:9], 1.0
	v_cmp_nlt_f64_e32 vcc, s[0:1], v[0:1]
	s_mov_b32 s0, 0
	v_fma_f64 v[6:7], v[6:7], v[8:9], 1.0
	v_cvt_i32_f64_e32 v4, v[4:5]
	s_mov_b32 s1, 0xc090cc00
	v_ldexp_f64 v[4:5], v[6:7], v4
	v_mov_b32_e32 v6, 0x7ff00000
	v_cmp_ngt_f64_e64 s[0:1], s[0:1], v[0:1]
	v_cndmask_b32_e32 v5, v6, v5, vcc
	s_and_b64 vcc, s[0:1], vcc
	v_cndmask_b32_e64 v5, 0, v5, s[0:1]
	v_cndmask_b32_e32 v4, 0, v4, vcc
	s_or_b64 exec, exec, s[2:3]
	v_mov_b32_e32 v0, v4
	v_mov_b32_e32 v1, v5
	s_setpc_b64 s[30:31]
.LBB48_8:
	s_andn2_saveexec_b64 s[0:1], s[12:13]
	s_cbranch_execz .LBB48_10
.LBB48_9:
	s_mov_b32 s12, 0x6dc9c883
	s_mov_b32 s13, 0x3fe45f30
	v_mul_f64 v[4:5], |v[2:3]|, s[12:13]
	s_mov_b32 s12, 0x54442d18
	v_rndne_f64_e32 v[8:9], v[4:5]
	s_mov_b32 s13, 0xbff921fb
	v_fma_f64 v[4:5], v[8:9], s[12:13], |v[2:3]|
	s_mov_b32 s13, 0xbc91a626
	s_mov_b32 s12, 0x33145c00
	v_mul_f64 v[10:11], v[8:9], s[12:13]
	v_add_f64 v[14:15], v[4:5], v[10:11]
	v_fma_f64 v[6:7], s[12:13], v[8:9], v[4:5]
	s_mov_b32 s13, 0x3c91a626
	v_add_f64 v[4:5], v[4:5], -v[14:15]
	v_fma_f64 v[12:13], s[12:13], v[8:9], v[10:11]
	v_add_f64 v[4:5], v[4:5], v[10:11]
	v_add_f64 v[10:11], v[14:15], -v[6:7]
	v_add_f64 v[4:5], v[10:11], v[4:5]
	s_mov_b32 s12, 0x252049c0
	v_add_f64 v[10:11], v[4:5], -v[12:13]
	s_mov_b32 s13, 0xb97b839a
	v_fmac_f64_e32 v[10:11], s[12:13], v[8:9]
	v_add_f64 v[4:5], v[6:7], v[10:11]
	v_add_f64 v[6:7], v[4:5], -v[6:7]
	v_add_f64 v[6:7], v[10:11], -v[6:7]
	v_cvt_i32_f64_e32 v12, v[8:9]
.LBB48_10:
	s_or_b64 exec, exec, s[0:1]
                                        ; implicit-def: $vgpr13
                                        ; implicit-def: $vgpr8_vgpr9
                                        ; implicit-def: $vgpr10_vgpr11
	s_and_saveexec_b64 s[0:1], s[10:11]
	s_xor_b64 s[10:11], exec, s[0:1]
	s_cbranch_execz .LBB48_12
; %bb.11:
	s_mov_b32 s0, 0
	s_mov_b32 s1, 0x7b000000
	s_movk_i32 s12, 0xff80
	v_and_b32_e32 v13, 0x7fffffff, v3
	v_ldexp_f64 v[14:15], |v[2:3]|, s12
	v_cmp_ge_f64_e64 vcc, |v[2:3]|, s[0:1]
	v_trig_preop_f64 v[8:9], |v[2:3]|, 0
	v_trig_preop_f64 v[10:11], |v[2:3]|, 1
	v_cndmask_b32_e32 v15, v13, v15, vcc
	v_cndmask_b32_e32 v14, v2, v14, vcc
	v_mul_f64 v[18:19], v[8:9], v[14:15]
	v_mul_f64 v[16:17], v[10:11], v[14:15]
	v_fma_f64 v[8:9], v[8:9], v[14:15], -v[18:19]
	v_add_f64 v[20:21], v[16:17], v[8:9]
	v_add_f64 v[28:29], v[20:21], -v[16:17]
	v_add_f64 v[8:9], v[8:9], -v[28:29]
	;; [unrolled: 1-line block ×4, first 2 shown]
	v_fma_f64 v[10:11], v[10:11], v[14:15], -v[16:17]
	v_trig_preop_f64 v[16:17], |v[2:3]|, 2
	v_add_f64 v[8:9], v[8:9], v[28:29]
	v_mul_f64 v[28:29], v[16:17], v[14:15]
	v_add_f64 v[30:31], v[28:29], v[10:11]
	v_add_f64 v[22:23], v[18:19], v[20:21]
	;; [unrolled: 1-line block ×3, first 2 shown]
	v_ldexp_f64 v[24:25], v[22:23], -2
	v_add_f64 v[18:19], v[22:23], -v[18:19]
	v_add_f64 v[22:23], v[32:33], -v[30:31]
	;; [unrolled: 1-line block ×5, first 2 shown]
	v_add_f64 v[8:9], v[8:9], v[22:23]
	v_add_f64 v[22:23], v[30:31], -v[28:29]
	v_add_f64 v[10:11], v[10:11], -v[22:23]
	;; [unrolled: 1-line block ×4, first 2 shown]
	v_add_f64 v[10:11], v[10:11], v[22:23]
	s_mov_b32 s0, 0
	v_fract_f64_e32 v[26:27], v[24:25]
	v_add_f64 v[8:9], v[10:11], v[8:9]
	v_fma_f64 v[10:11], v[16:17], v[14:15], -v[28:29]
	s_mov_b32 s1, 0x7ff00000
	v_add_f64 v[18:19], v[20:21], -v[18:19]
	v_add_f64 v[8:9], v[10:11], v[8:9]
	v_ldexp_f64 v[10:11], v[26:27], 2
	v_cmp_neq_f64_e64 vcc, |v[24:25]|, s[0:1]
	v_add_f64 v[20:21], v[18:19], v[32:33]
	v_mov_b32_e32 v13, 0x40100000
	v_cndmask_b32_e32 v11, 0, v11, vcc
	v_cndmask_b32_e32 v10, 0, v10, vcc
	v_add_f64 v[14:15], v[20:21], v[10:11]
	v_cmp_gt_f64_e32 vcc, 0, v[14:15]
	v_mov_b32_e32 v14, 0
	v_add_f64 v[18:19], v[20:21], -v[18:19]
	v_cndmask_b32_e32 v15, 0, v13, vcc
	v_add_f64 v[10:11], v[10:11], v[14:15]
	v_add_f64 v[16:17], v[20:21], v[10:11]
	v_cvt_i32_f64_e32 v13, v[16:17]
	v_cvt_f64_i32_e32 v[16:17], v13
	v_add_f64 v[10:11], v[10:11], -v[16:17]
	v_add_f64 v[16:17], v[20:21], v[10:11]
	v_add_f64 v[18:19], v[32:33], -v[18:19]
	v_add_f64 v[10:11], v[16:17], -v[10:11]
	v_add_f64 v[8:9], v[18:19], v[8:9]
	v_add_f64 v[10:11], v[20:21], -v[10:11]
	v_add_f64 v[8:9], v[8:9], v[10:11]
	v_cmp_le_f64_e32 vcc, 0.5, v[16:17]
	v_mov_b32_e32 v10, 0x3ff00000
	s_mov_b32 s12, 0x33145c07
	v_cndmask_b32_e32 v15, 0, v10, vcc
	v_addc_co_u32_e64 v13, s[0:1], 0, v13, vcc
	v_add_f64 v[10:11], v[16:17], -v[14:15]
	v_add_f64 v[14:15], v[10:11], v[8:9]
	s_mov_b32 s0, 0x54442d18
	v_add_f64 v[10:11], v[14:15], -v[10:11]
	s_mov_b32 s1, 0x3ff921fb
	v_add_f64 v[8:9], v[8:9], -v[10:11]
	v_mul_f64 v[10:11], v[14:15], s[0:1]
	v_fma_f64 v[16:17], v[14:15], s[0:1], -v[10:11]
	s_mov_b32 s13, 0x3c91a626
	v_fmac_f64_e32 v[16:17], s[12:13], v[14:15]
	v_fmac_f64_e32 v[16:17], s[0:1], v[8:9]
	v_add_f64 v[8:9], v[10:11], v[16:17]
	v_add_f64 v[10:11], v[8:9], -v[10:11]
	v_add_f64 v[10:11], v[16:17], -v[10:11]
	s_andn2_saveexec_b64 s[0:1], s[10:11]
	s_cbranch_execnz .LBB48_13
	s_branch .LBB48_14
.LBB48_12:
	s_andn2_saveexec_b64 s[0:1], s[10:11]
	s_cbranch_execz .LBB48_14
.LBB48_13:
	s_mov_b32 s10, 0x6dc9c883
	s_mov_b32 s11, 0x3fe45f30
	v_mul_f64 v[8:9], |v[2:3]|, s[10:11]
	s_mov_b32 s10, 0x54442d18
	v_rndne_f64_e32 v[14:15], v[8:9]
	s_mov_b32 s11, 0xbff921fb
	v_fma_f64 v[8:9], v[14:15], s[10:11], |v[2:3]|
	s_mov_b32 s11, 0xbc91a626
	s_mov_b32 s10, 0x33145c00
	v_mul_f64 v[16:17], v[14:15], s[10:11]
	v_add_f64 v[20:21], v[8:9], v[16:17]
	v_fma_f64 v[10:11], s[10:11], v[14:15], v[8:9]
	s_mov_b32 s11, 0x3c91a626
	v_add_f64 v[8:9], v[8:9], -v[20:21]
	v_fma_f64 v[18:19], s[10:11], v[14:15], v[16:17]
	v_add_f64 v[8:9], v[8:9], v[16:17]
	v_add_f64 v[16:17], v[20:21], -v[10:11]
	v_add_f64 v[8:9], v[16:17], v[8:9]
	s_mov_b32 s10, 0x252049c0
	v_add_f64 v[16:17], v[8:9], -v[18:19]
	s_mov_b32 s11, 0xb97b839a
	v_fmac_f64_e32 v[16:17], s[10:11], v[14:15]
	v_add_f64 v[8:9], v[10:11], v[16:17]
	v_add_f64 v[10:11], v[8:9], -v[10:11]
	v_add_f64 v[10:11], v[16:17], -v[10:11]
	v_cvt_i32_f64_e32 v13, v[14:15]
.LBB48_14:
	s_or_b64 exec, exec, s[0:1]
	s_mov_b32 s0, 0x652b82fe
	s_mov_b32 s1, 0x3ff71547
	v_mul_f64 v[14:15], v[0:1], s[0:1]
	s_mov_b32 s0, 0xfefa39ef
	v_rndne_f64_e32 v[14:15], v[14:15]
	s_mov_b32 s1, 0xbfe62e42
	v_fma_f64 v[16:17], s[0:1], v[14:15], v[0:1]
	s_mov_b32 s0, 0x3b39803f
	s_mov_b32 s1, 0xbc7abc9e
	v_fmac_f64_e32 v[16:17], s[0:1], v[14:15]
	s_mov_b32 s0, 0x6a5dcb37
	v_mov_b32_e32 v18, 0xfca7ab0c
	v_mov_b32_e32 v19, 0x3e928af3
	s_mov_b32 s1, 0x3e5ade15
	v_fmac_f64_e32 v[18:19], s[0:1], v[16:17]
	v_mov_b32_e32 v20, 0x623fde64
	v_mov_b32_e32 v21, 0x3ec71dee
	v_fmac_f64_e32 v[20:21], v[16:17], v[18:19]
	v_mov_b32_e32 v18, 0x7c89e6b0
	v_mov_b32_e32 v19, 0x3efa0199
	;; [unrolled: 3-line block ×8, first 2 shown]
	v_fmac_f64_e32 v[18:19], v[16:17], v[20:21]
	s_mov_b32 s0, 0
	v_fma_f64 v[18:19], v[16:17], v[18:19], 1.0
	s_mov_b32 s1, 0x40900000
	v_fma_f64 v[16:17], v[16:17], v[18:19], 1.0
	v_cvt_i32_f64_e32 v14, v[14:15]
	v_cmp_nlt_f64_e32 vcc, s[0:1], v[0:1]
	s_mov_b32 s0, 0
	v_ldexp_f64 v[14:15], v[16:17], v14
	v_mov_b32_e32 v16, 0x7ff00000
	s_mov_b32 s1, 0xc090cc00
	v_cndmask_b32_e32 v15, v16, v15, vcc
	v_cmp_ngt_f64_e64 s[0:1], s[0:1], v[0:1]
	s_and_b64 vcc, s[0:1], vcc
	s_mov_b32 s14, 0x46cc5e42
	v_cndmask_b32_e64 v1, 0, v15, s[0:1]
	s_mov_b32 s0, 0x9037ab78
	s_mov_b32 s1, 0x3e21eeb6
	v_cndmask_b32_e32 v0, 0, v14, vcc
	v_mul_f64 v[14:15], v[4:5], v[4:5]
	s_mov_b32 s15, 0xbda907db
	v_mov_b64_e32 v[22:23], s[0:1]
	s_mov_b32 s0, 0xa17f65f6
	v_mul_f64 v[16:17], v[14:15], 0.5
	v_fma_f64 v[24:25], s[14:15], v[14:15], v[22:23]
	s_mov_b32 s1, 0xbe927e4f
	s_mov_b32 s16, 0x19f4ec90
	v_add_f64 v[18:19], -v[16:17], 1.0
	v_fma_f64 v[24:25], v[14:15], v[24:25], s[0:1]
	s_mov_b32 s17, 0x3efa01a0
	s_mov_b32 s18, 0x16c16967
	;; [unrolled: 1-line block ×3, first 2 shown]
	v_add_f64 v[20:21], -v[18:19], 1.0
	v_fma_f64 v[24:25], v[14:15], v[24:25], s[16:17]
	s_mov_b32 s19, 0xbf56c16c
	s_mov_b32 s13, 0x3fa55555
	v_add_f64 v[16:17], v[20:21], -v[16:17]
	v_fma_f64 v[24:25], v[14:15], v[24:25], s[18:19]
	v_mul_f64 v[20:21], v[14:15], v[14:15]
	v_fma_f64 v[24:25], v[14:15], v[24:25], s[12:13]
	v_fma_f64 v[16:17], v[4:5], -v[6:7], v[16:17]
	s_mov_b32 s20, 0xb42fdfa7
	v_fmac_f64_e32 v[16:17], v[20:21], v[24:25]
	s_mov_b32 s21, 0xbe5ae600
	s_mov_b32 s22, 0xf9a43bb8
	v_add_f64 v[16:17], v[18:19], v[16:17]
	s_mov_b32 s23, 0x3de5e0b2
	v_mov_b64_e32 v[18:19], s[20:21]
	s_mov_b32 s20, 0x796cde01
	v_fma_f64 v[20:21], s[22:23], v[14:15], v[18:19]
	s_mov_b32 s21, 0x3ec71de3
	s_mov_b32 s24, 0x19e83e5c
	;; [unrolled: 1-line block ×3, first 2 shown]
	v_fma_f64 v[20:21], v[14:15], v[20:21], s[20:21]
	s_mov_b32 s25, 0xbf2a01a0
	s_mov_b32 s11, 0x3f811111
	v_fma_f64 v[20:21], v[14:15], v[20:21], s[24:25]
	v_fma_f64 v[20:21], v[14:15], v[20:21], s[10:11]
	v_mul_f64 v[24:25], v[4:5], -v[14:15]
	v_mul_f64 v[26:27], v[6:7], 0.5
	v_fmac_f64_e32 v[26:27], v[24:25], v[20:21]
	v_fma_f64 v[6:7], v[14:15], v[26:27], -v[6:7]
	s_mov_b32 s27, 0xbfc55555
	s_mov_b32 s26, s12
	v_fmac_f64_e32 v[6:7], s[26:27], v[24:25]
	v_add_f64 v[4:5], v[4:5], -v[6:7]
	v_and_b32_e32 v6, 1, v12
	v_xor_b32_e32 v5, 0x80000000, v5
	v_cmp_eq_u32_e32 vcc, 0, v6
	s_brev_b32 s28, 1
	v_lshlrev_b32_e32 v6, 30, v12
	v_cndmask_b32_e32 v5, v5, v17, vcc
	v_bitop3_b32 v5, v5, v6, s28 bitop3:0x78
	v_mul_f64 v[6:7], v[8:9], v[8:9]
	v_mul_f64 v[14:15], v[6:7], 0.5
	v_fmac_f64_e32 v[22:23], s[14:15], v[6:7]
	v_cndmask_b32_e32 v4, v4, v16, vcc
	v_add_f64 v[16:17], -v[14:15], 1.0
	v_fma_f64 v[22:23], v[6:7], v[22:23], s[0:1]
	v_add_f64 v[20:21], -v[16:17], 1.0
	v_fma_f64 v[22:23], v[6:7], v[22:23], s[16:17]
	v_add_f64 v[14:15], v[20:21], -v[14:15]
	v_fma_f64 v[22:23], v[6:7], v[22:23], s[18:19]
	v_mul_f64 v[20:21], v[6:7], v[6:7]
	v_fma_f64 v[22:23], v[6:7], v[22:23], s[12:13]
	v_fma_f64 v[14:15], v[8:9], -v[10:11], v[14:15]
	v_fmac_f64_e32 v[14:15], v[20:21], v[22:23]
	v_fmac_f64_e32 v[18:19], s[22:23], v[6:7]
	v_add_f64 v[14:15], v[16:17], v[14:15]
	v_fma_f64 v[16:17], v[6:7], v[18:19], s[20:21]
	v_fma_f64 v[16:17], v[6:7], v[16:17], s[24:25]
	;; [unrolled: 1-line block ×3, first 2 shown]
	v_mul_f64 v[18:19], v[8:9], -v[6:7]
	v_mul_f64 v[20:21], v[10:11], 0.5
	v_fmac_f64_e32 v[20:21], v[18:19], v[16:17]
	s_movk_i32 s29, 0x1f8
	v_fma_f64 v[6:7], v[6:7], v[20:21], -v[10:11]
	v_cmp_class_f64_e64 vcc, v[2:3], s29
	v_fmac_f64_e32 v[6:7], s[26:27], v[18:19]
	v_and_b32_e32 v2, 1, v13
	v_add_f64 v[6:7], v[8:9], -v[6:7]
	v_cmp_eq_u32_e64 s[0:1], 0, v2
	v_mov_b32_e32 v12, 0x7ff80000
	v_cndmask_b32_e32 v4, 0, v4, vcc
	v_cndmask_b32_e64 v2, v14, v6, s[0:1]
	v_cndmask_b32_e64 v6, v15, v7, s[0:1]
	v_lshlrev_b32_e32 v7, 30, v13
	v_xor_b32_e32 v3, v7, v3
	v_bitop3_b32 v3, v6, v3, s28 bitop3:0x78
	v_cndmask_b32_e32 v5, v12, v5, vcc
	v_cndmask_b32_e32 v2, 0, v2, vcc
	;; [unrolled: 1-line block ×3, first 2 shown]
	v_mul_f64 v[4:5], v[0:1], v[4:5]
	v_mul_f64 v[2:3], v[0:1], v[2:3]
                                        ; implicit-def: $vgpr0_vgpr1
.LBB48_15:
	s_andn2_saveexec_b64 s[10:11], s[2:3]
	s_cbranch_execz .LBB48_18
; %bb.16:
	s_mov_b32 s0, 0
	s_mov_b32 s1, 0x41d00000
	v_cmp_nlt_f64_e64 s[2:3], |v[2:3]|, s[0:1]
                                        ; implicit-def: $vgpr12
                                        ; implicit-def: $vgpr4_vgpr5
                                        ; implicit-def: $vgpr6_vgpr7
	s_and_saveexec_b64 s[0:1], s[2:3]
	s_xor_b64 s[12:13], exec, s[0:1]
	s_cbranch_execz .LBB48_19
; %bb.17:
	s_mov_b32 s0, 0
	s_mov_b32 s1, 0x7b000000
	s_movk_i32 s14, 0xff80
	v_and_b32_e32 v10, 0x7fffffff, v3
	v_ldexp_f64 v[8:9], |v[2:3]|, s14
	v_cmp_ge_f64_e64 vcc, |v[2:3]|, s[0:1]
	v_trig_preop_f64 v[4:5], |v[2:3]|, 0
	v_trig_preop_f64 v[6:7], |v[2:3]|, 1
	v_cndmask_b32_e32 v9, v10, v9, vcc
	v_cndmask_b32_e32 v8, v2, v8, vcc
	v_mul_f64 v[12:13], v[4:5], v[8:9]
	v_mul_f64 v[10:11], v[6:7], v[8:9]
	v_fma_f64 v[4:5], v[4:5], v[8:9], -v[12:13]
	v_add_f64 v[14:15], v[10:11], v[4:5]
	v_add_f64 v[22:23], v[14:15], -v[10:11]
	v_add_f64 v[4:5], v[4:5], -v[22:23]
	;; [unrolled: 1-line block ×4, first 2 shown]
	v_fma_f64 v[6:7], v[6:7], v[8:9], -v[10:11]
	v_trig_preop_f64 v[10:11], |v[2:3]|, 2
	v_add_f64 v[4:5], v[4:5], v[22:23]
	v_mul_f64 v[22:23], v[10:11], v[8:9]
	v_add_f64 v[24:25], v[22:23], v[6:7]
	v_add_f64 v[16:17], v[12:13], v[14:15]
	;; [unrolled: 1-line block ×3, first 2 shown]
	v_ldexp_f64 v[18:19], v[16:17], -2
	v_add_f64 v[12:13], v[16:17], -v[12:13]
	v_add_f64 v[16:17], v[26:27], -v[24:25]
	;; [unrolled: 1-line block ×5, first 2 shown]
	v_add_f64 v[4:5], v[4:5], v[16:17]
	v_add_f64 v[16:17], v[24:25], -v[22:23]
	v_add_f64 v[6:7], v[6:7], -v[16:17]
	;; [unrolled: 1-line block ×4, first 2 shown]
	v_add_f64 v[6:7], v[6:7], v[16:17]
	s_mov_b32 s0, 0
	v_fract_f64_e32 v[20:21], v[18:19]
	v_add_f64 v[4:5], v[6:7], v[4:5]
	v_fma_f64 v[6:7], v[10:11], v[8:9], -v[22:23]
	s_mov_b32 s1, 0x7ff00000
	v_add_f64 v[12:13], v[14:15], -v[12:13]
	v_add_f64 v[4:5], v[6:7], v[4:5]
	v_ldexp_f64 v[6:7], v[20:21], 2
	v_cmp_neq_f64_e64 vcc, |v[18:19]|, s[0:1]
	v_add_f64 v[14:15], v[12:13], v[26:27]
	v_mov_b32_e32 v10, 0x40100000
	v_cndmask_b32_e32 v7, 0, v7, vcc
	v_cndmask_b32_e32 v6, 0, v6, vcc
	v_add_f64 v[8:9], v[14:15], v[6:7]
	v_cmp_gt_f64_e32 vcc, 0, v[8:9]
	v_mov_b32_e32 v8, 0
	v_add_f64 v[12:13], v[14:15], -v[12:13]
	v_cndmask_b32_e32 v9, 0, v10, vcc
	v_add_f64 v[6:7], v[6:7], v[8:9]
	v_add_f64 v[10:11], v[14:15], v[6:7]
	v_cvt_i32_f64_e32 v9, v[10:11]
	v_cvt_f64_i32_e32 v[10:11], v9
	v_add_f64 v[6:7], v[6:7], -v[10:11]
	v_add_f64 v[10:11], v[14:15], v[6:7]
	v_add_f64 v[12:13], v[26:27], -v[12:13]
	v_add_f64 v[6:7], v[10:11], -v[6:7]
	v_add_f64 v[4:5], v[12:13], v[4:5]
	v_add_f64 v[6:7], v[14:15], -v[6:7]
	v_add_f64 v[4:5], v[4:5], v[6:7]
	v_cmp_le_f64_e32 vcc, 0.5, v[10:11]
	v_mov_b32_e32 v6, 0x3ff00000
	s_mov_b32 s14, 0x33145c07
	v_addc_co_u32_e64 v12, s[0:1], 0, v9, vcc
	v_cndmask_b32_e32 v9, 0, v6, vcc
	v_add_f64 v[6:7], v[10:11], -v[8:9]
	v_add_f64 v[8:9], v[6:7], v[4:5]
	s_mov_b32 s0, 0x54442d18
	v_add_f64 v[6:7], v[8:9], -v[6:7]
	s_mov_b32 s1, 0x3ff921fb
	v_add_f64 v[4:5], v[4:5], -v[6:7]
	v_mul_f64 v[6:7], v[8:9], s[0:1]
	v_fma_f64 v[10:11], v[8:9], s[0:1], -v[6:7]
	s_mov_b32 s15, 0x3c91a626
	v_fmac_f64_e32 v[10:11], s[14:15], v[8:9]
	v_fmac_f64_e32 v[10:11], s[0:1], v[4:5]
	v_add_f64 v[4:5], v[6:7], v[10:11]
	v_add_f64 v[6:7], v[4:5], -v[6:7]
	v_add_f64 v[6:7], v[10:11], -v[6:7]
	s_andn2_saveexec_b64 s[0:1], s[12:13]
	s_cbranch_execz .LBB48_21
	s_branch .LBB48_20
.LBB48_18:
	s_or_b64 exec, exec, s[10:11]
                                        ; implicit-def: $vgpr0_vgpr1
                                        ; implicit-def: $vgpr6
	s_andn2_saveexec_b64 s[2:3], s[8:9]
	s_cbranch_execnz .LBB48_27
	s_branch .LBB48_32
.LBB48_19:
	s_andn2_saveexec_b64 s[0:1], s[12:13]
	s_cbranch_execz .LBB48_21
.LBB48_20:
	s_mov_b32 s12, 0x6dc9c883
	s_mov_b32 s13, 0x3fe45f30
	v_mul_f64 v[4:5], |v[2:3]|, s[12:13]
	s_mov_b32 s12, 0x54442d18
	v_rndne_f64_e32 v[8:9], v[4:5]
	s_mov_b32 s13, 0xbff921fb
	v_fma_f64 v[4:5], v[8:9], s[12:13], |v[2:3]|
	s_mov_b32 s13, 0xbc91a626
	s_mov_b32 s12, 0x33145c00
	v_mul_f64 v[10:11], v[8:9], s[12:13]
	v_add_f64 v[14:15], v[4:5], v[10:11]
	v_fma_f64 v[6:7], s[12:13], v[8:9], v[4:5]
	s_mov_b32 s13, 0x3c91a626
	v_add_f64 v[4:5], v[4:5], -v[14:15]
	v_fma_f64 v[12:13], s[12:13], v[8:9], v[10:11]
	v_add_f64 v[4:5], v[4:5], v[10:11]
	v_add_f64 v[10:11], v[14:15], -v[6:7]
	v_add_f64 v[4:5], v[10:11], v[4:5]
	s_mov_b32 s12, 0x252049c0
	v_add_f64 v[10:11], v[4:5], -v[12:13]
	s_mov_b32 s13, 0xb97b839a
	v_fmac_f64_e32 v[10:11], s[12:13], v[8:9]
	v_add_f64 v[4:5], v[6:7], v[10:11]
	v_add_f64 v[6:7], v[4:5], -v[6:7]
	v_add_f64 v[6:7], v[10:11], -v[6:7]
	v_cvt_i32_f64_e32 v12, v[8:9]
.LBB48_21:
	s_or_b64 exec, exec, s[0:1]
                                        ; implicit-def: $vgpr13
                                        ; implicit-def: $vgpr8_vgpr9
                                        ; implicit-def: $vgpr10_vgpr11
	s_and_saveexec_b64 s[0:1], s[2:3]
	s_xor_b64 s[2:3], exec, s[0:1]
	s_cbranch_execz .LBB48_23
; %bb.22:
	s_mov_b32 s0, 0
	s_mov_b32 s1, 0x7b000000
	s_movk_i32 s12, 0xff80
	v_and_b32_e32 v13, 0x7fffffff, v3
	v_ldexp_f64 v[14:15], |v[2:3]|, s12
	v_cmp_ge_f64_e64 vcc, |v[2:3]|, s[0:1]
	v_trig_preop_f64 v[8:9], |v[2:3]|, 0
	v_trig_preop_f64 v[10:11], |v[2:3]|, 1
	v_cndmask_b32_e32 v15, v13, v15, vcc
	v_cndmask_b32_e32 v14, v2, v14, vcc
	v_mul_f64 v[18:19], v[8:9], v[14:15]
	v_mul_f64 v[16:17], v[10:11], v[14:15]
	v_fma_f64 v[8:9], v[8:9], v[14:15], -v[18:19]
	v_add_f64 v[20:21], v[16:17], v[8:9]
	v_add_f64 v[28:29], v[20:21], -v[16:17]
	v_add_f64 v[8:9], v[8:9], -v[28:29]
	;; [unrolled: 1-line block ×4, first 2 shown]
	v_fma_f64 v[10:11], v[10:11], v[14:15], -v[16:17]
	v_trig_preop_f64 v[16:17], |v[2:3]|, 2
	v_add_f64 v[8:9], v[8:9], v[28:29]
	v_mul_f64 v[28:29], v[16:17], v[14:15]
	v_add_f64 v[30:31], v[28:29], v[10:11]
	v_add_f64 v[22:23], v[18:19], v[20:21]
	;; [unrolled: 1-line block ×3, first 2 shown]
	v_ldexp_f64 v[24:25], v[22:23], -2
	v_add_f64 v[18:19], v[22:23], -v[18:19]
	v_add_f64 v[22:23], v[32:33], -v[30:31]
	;; [unrolled: 1-line block ×5, first 2 shown]
	v_add_f64 v[8:9], v[8:9], v[22:23]
	v_add_f64 v[22:23], v[30:31], -v[28:29]
	v_add_f64 v[10:11], v[10:11], -v[22:23]
	;; [unrolled: 1-line block ×4, first 2 shown]
	v_add_f64 v[10:11], v[10:11], v[22:23]
	s_mov_b32 s0, 0
	v_fract_f64_e32 v[26:27], v[24:25]
	v_add_f64 v[8:9], v[10:11], v[8:9]
	v_fma_f64 v[10:11], v[16:17], v[14:15], -v[28:29]
	s_mov_b32 s1, 0x7ff00000
	v_add_f64 v[18:19], v[20:21], -v[18:19]
	v_add_f64 v[8:9], v[10:11], v[8:9]
	v_ldexp_f64 v[10:11], v[26:27], 2
	v_cmp_neq_f64_e64 vcc, |v[24:25]|, s[0:1]
	v_add_f64 v[20:21], v[18:19], v[32:33]
	v_mov_b32_e32 v13, 0x40100000
	v_cndmask_b32_e32 v11, 0, v11, vcc
	v_cndmask_b32_e32 v10, 0, v10, vcc
	v_add_f64 v[14:15], v[20:21], v[10:11]
	v_cmp_gt_f64_e32 vcc, 0, v[14:15]
	v_mov_b32_e32 v14, 0
	v_add_f64 v[18:19], v[20:21], -v[18:19]
	v_cndmask_b32_e32 v15, 0, v13, vcc
	v_add_f64 v[10:11], v[10:11], v[14:15]
	v_add_f64 v[16:17], v[20:21], v[10:11]
	v_cvt_i32_f64_e32 v13, v[16:17]
	v_cvt_f64_i32_e32 v[16:17], v13
	v_add_f64 v[10:11], v[10:11], -v[16:17]
	v_add_f64 v[16:17], v[20:21], v[10:11]
	v_add_f64 v[18:19], v[32:33], -v[18:19]
	v_add_f64 v[10:11], v[16:17], -v[10:11]
	v_add_f64 v[8:9], v[18:19], v[8:9]
	v_add_f64 v[10:11], v[20:21], -v[10:11]
	v_add_f64 v[8:9], v[8:9], v[10:11]
	v_cmp_le_f64_e32 vcc, 0.5, v[16:17]
	v_mov_b32_e32 v10, 0x3ff00000
	s_mov_b32 s12, 0x33145c07
	v_cndmask_b32_e32 v15, 0, v10, vcc
	v_addc_co_u32_e64 v13, s[0:1], 0, v13, vcc
	v_add_f64 v[10:11], v[16:17], -v[14:15]
	v_add_f64 v[14:15], v[10:11], v[8:9]
	s_mov_b32 s0, 0x54442d18
	v_add_f64 v[10:11], v[14:15], -v[10:11]
	s_mov_b32 s1, 0x3ff921fb
	v_add_f64 v[8:9], v[8:9], -v[10:11]
	v_mul_f64 v[10:11], v[14:15], s[0:1]
	v_fma_f64 v[16:17], v[14:15], s[0:1], -v[10:11]
	s_mov_b32 s13, 0x3c91a626
	v_fmac_f64_e32 v[16:17], s[12:13], v[14:15]
	v_fmac_f64_e32 v[16:17], s[0:1], v[8:9]
	v_add_f64 v[8:9], v[10:11], v[16:17]
	v_add_f64 v[10:11], v[8:9], -v[10:11]
	v_add_f64 v[10:11], v[16:17], -v[10:11]
	s_andn2_saveexec_b64 s[0:1], s[2:3]
	s_cbranch_execnz .LBB48_24
	s_branch .LBB48_25
.LBB48_23:
	s_andn2_saveexec_b64 s[0:1], s[2:3]
	s_cbranch_execz .LBB48_25
.LBB48_24:
	s_mov_b32 s2, 0x6dc9c883
	s_mov_b32 s3, 0x3fe45f30
	v_mul_f64 v[8:9], |v[2:3]|, s[2:3]
	s_mov_b32 s2, 0x54442d18
	v_rndne_f64_e32 v[14:15], v[8:9]
	s_mov_b32 s3, 0xbff921fb
	v_fma_f64 v[8:9], v[14:15], s[2:3], |v[2:3]|
	s_mov_b32 s3, 0xbc91a626
	s_mov_b32 s2, 0x33145c00
	v_mul_f64 v[16:17], v[14:15], s[2:3]
	v_add_f64 v[20:21], v[8:9], v[16:17]
	v_fma_f64 v[10:11], s[2:3], v[14:15], v[8:9]
	s_mov_b32 s3, 0x3c91a626
	v_add_f64 v[8:9], v[8:9], -v[20:21]
	v_fma_f64 v[18:19], s[2:3], v[14:15], v[16:17]
	v_add_f64 v[8:9], v[8:9], v[16:17]
	v_add_f64 v[16:17], v[20:21], -v[10:11]
	v_add_f64 v[8:9], v[16:17], v[8:9]
	s_mov_b32 s2, 0x252049c0
	v_add_f64 v[16:17], v[8:9], -v[18:19]
	s_mov_b32 s3, 0xb97b839a
	v_fmac_f64_e32 v[16:17], s[2:3], v[14:15]
	v_add_f64 v[8:9], v[10:11], v[16:17]
	v_add_f64 v[10:11], v[8:9], -v[10:11]
	v_add_f64 v[10:11], v[16:17], -v[10:11]
	v_cvt_i32_f64_e32 v13, v[14:15]
.LBB48_25:
	s_or_b64 exec, exec, s[0:1]
	s_mov_b32 s0, 0x9037ab78
	s_mov_b32 s1, 0x3e21eeb6
	;; [unrolled: 1-line block ×3, first 2 shown]
	v_mul_f64 v[14:15], v[4:5], v[4:5]
	s_mov_b32 s13, 0xbda907db
	v_mov_b64_e32 v[22:23], s[0:1]
	s_mov_b32 s14, 0xa17f65f6
	v_mul_f64 v[16:17], v[14:15], 0.5
	v_fma_f64 v[24:25], s[12:13], v[14:15], v[22:23]
	s_mov_b32 s15, 0xbe927e4f
	s_mov_b32 s16, 0x19f4ec90
	v_add_f64 v[18:19], -v[16:17], 1.0
	v_fma_f64 v[24:25], v[14:15], v[24:25], s[14:15]
	s_mov_b32 s17, 0x3efa01a0
	s_mov_b32 s18, 0x16c16967
	v_fma_f64 v[24:25], v[14:15], v[24:25], s[16:17]
	s_mov_b32 s19, 0xbf56c16c
	s_mov_b32 s20, 0x55555555
	v_add_f64 v[26:27], -v[18:19], 1.0
	v_fma_f64 v[24:25], v[14:15], v[24:25], s[18:19]
	s_mov_b32 s21, 0x3fa55555
	v_add_f64 v[16:17], v[26:27], -v[16:17]
	s_mov_b32 s0, 0xb42fdfa7
	v_mul_f64 v[20:21], v[14:15], v[14:15]
	v_fma_f64 v[24:25], v[14:15], v[24:25], s[20:21]
	v_fma_f64 v[16:17], v[4:5], -v[6:7], v[16:17]
	s_mov_b32 s1, 0xbe5ae600
	s_mov_b32 s22, 0xf9a43bb8
	v_fmac_f64_e32 v[16:17], v[20:21], v[24:25]
	s_mov_b32 s23, 0x3de5e0b2
	v_mov_b64_e32 v[20:21], s[0:1]
	s_mov_b32 s24, 0x796cde01
	v_fma_f64 v[24:25], s[22:23], v[14:15], v[20:21]
	s_mov_b32 s25, 0x3ec71de3
	s_mov_b32 s26, 0x19e83e5c
	v_fma_f64 v[24:25], v[14:15], v[24:25], s[24:25]
	s_mov_b32 s27, 0xbf2a01a0
	;; [unrolled: 3-line block ×3, first 2 shown]
	v_add_f64 v[16:17], v[18:19], v[16:17]
	v_mul_f64 v[18:19], v[4:5], -v[14:15]
	v_fma_f64 v[24:25], v[14:15], v[24:25], s[28:29]
	v_mul_f64 v[26:27], v[6:7], 0.5
	v_fmac_f64_e32 v[26:27], v[18:19], v[24:25]
	v_fma_f64 v[6:7], v[14:15], v[26:27], -v[6:7]
	s_mov_b32 s41, 0xbfc55555
	s_mov_b32 s40, s20
	v_fmac_f64_e32 v[6:7], s[40:41], v[18:19]
	s_mov_b32 s0, 0x19ba0da4
	v_and_b32_e32 v28, 1, v12
	v_add_f64 v[4:5], v[4:5], -v[6:7]
	s_mov_b32 s1, 0xc0937be3
	v_xor_b32_e32 v5, 0x80000000, v5
	v_cmp_eq_u32_e32 vcc, 0, v28
	v_add_f64 v[0:1], v[0:1], s[0:1]
	s_mov_b32 s0, 0x652b82fe
	s_brev_b32 s42, 1
	v_cndmask_b32_e32 v5, v5, v17, vcc
	v_lshlrev_b32_e32 v6, 30, v12
	s_mov_b32 s1, 0x3ff71547
	v_bitop3_b32 v5, v5, v6, s42 bitop3:0x78
	v_mul_f64 v[6:7], v[0:1], s[0:1]
	s_mov_b32 s0, 0xfefa39ef
	v_rndne_f64_e32 v[6:7], v[6:7]
	s_mov_b32 s1, 0xbfe62e42
	v_fma_f64 v[14:15], s[0:1], v[6:7], v[0:1]
	s_mov_b32 s0, 0x3b39803f
	s_mov_b32 s1, 0xbc7abc9e
	v_fmac_f64_e32 v[14:15], s[0:1], v[6:7]
	s_mov_b32 s0, 0x6a5dcb37
	v_cndmask_b32_e32 v4, v4, v16, vcc
	v_mov_b32_e32 v16, 0xfca7ab0c
	v_mov_b32_e32 v17, 0x3e928af3
	s_mov_b32 s1, 0x3e5ade15
	v_fmac_f64_e32 v[16:17], s[0:1], v[14:15]
	v_mov_b32_e32 v18, 0x623fde64
	v_mov_b32_e32 v19, 0x3ec71dee
	v_fmac_f64_e32 v[18:19], v[14:15], v[16:17]
	v_mov_b32_e32 v16, 0x7c89e6b0
	v_mov_b32_e32 v17, 0x3efa0199
	;; [unrolled: 3-line block ×8, first 2 shown]
	v_fmac_f64_e32 v[16:17], v[14:15], v[18:19]
	s_movk_i32 s2, 0x1f8
	v_fma_f64 v[16:17], v[14:15], v[16:17], 1.0
	s_mov_b32 s0, 0
	v_cmp_class_f64_e64 vcc, v[2:3], s2
	v_fma_f64 v[14:15], v[14:15], v[16:17], 1.0
	v_cvt_i32_f64_e32 v2, v[6:7]
	s_mov_b32 s1, 0x40900000
	s_mov_b32 s2, 0
	v_ldexp_f64 v[6:7], v[14:15], v2
	v_mov_b32_e32 v2, 0x7ff00000
	v_cmp_nlt_f64_e64 s[0:1], s[0:1], v[0:1]
	s_mov_b32 s3, 0xc090cc00
	v_mul_f64 v[16:17], v[8:9], v[8:9]
	v_cndmask_b32_e64 v2, v2, v7, s[0:1]
	v_cmp_ngt_f64_e64 s[2:3], s[2:3], v[0:1]
	v_mul_f64 v[18:19], v[16:17], 0.5
	v_fmac_f64_e32 v[22:23], s[12:13], v[16:17]
	v_cndmask_b32_e64 v2, 0, v2, s[2:3]
	v_add_f64 v[24:25], -v[18:19], 1.0
	v_fma_f64 v[22:23], v[16:17], v[22:23], s[14:15]
	v_and_b32_e32 v1, 0xfffff, v2
	v_lshrrev_b32_e32 v2, 20, v2
	v_add_f64 v[26:27], -v[24:25], 1.0
	v_fma_f64 v[22:23], v[16:17], v[22:23], s[16:17]
	s_and_b64 s[0:1], s[2:3], s[0:1]
	v_add_u32_e32 v2, 0xffffff09, v2
	v_add_f64 v[18:19], v[26:27], -v[18:19]
	v_fma_f64 v[22:23], v[16:17], v[22:23], s[18:19]
	v_fmac_f64_e32 v[20:21], s[22:23], v[16:17]
	v_cndmask_b32_e64 v0, 0, v6, s[0:1]
	v_lshrrev_b16_e32 v6, 15, v2
	v_mul_f64 v[26:27], v[16:17], v[16:17]
	v_fma_f64 v[22:23], v[16:17], v[22:23], s[20:21]
	v_fma_f64 v[18:19], v[8:9], -v[10:11], v[18:19]
	v_fma_f64 v[20:21], v[16:17], v[20:21], s[24:25]
	v_add_u16_e32 v6, v2, v6
	v_fmac_f64_e32 v[18:19], v[26:27], v[22:23]
	v_fma_f64 v[20:21], v[16:17], v[20:21], s[26:27]
	v_ashrrev_i16_e32 v6, 1, v6
	v_add_f64 v[18:19], v[24:25], v[18:19]
	v_fma_f64 v[20:21], v[16:17], v[20:21], s[28:29]
	v_mul_f64 v[22:23], v[8:9], -v[16:17]
	v_mul_f64 v[24:25], v[10:11], 0.5
	v_bfe_i32 v14, v6, 0, 16
	v_fmac_f64_e32 v[24:25], v[22:23], v[20:21]
	v_mov_b32_e32 v15, 0x3ff00000
	v_sub_u32_e32 v2, v2, v14
	v_fma_f64 v[10:11], v[16:17], v[24:25], -v[10:11]
	v_lshl_add_u32 v7, v14, 20, v15
	v_lshl_add_u32 v15, v2, 20, v15
	v_fmac_f64_e32 v[10:11], s[40:41], v[22:23]
	v_and_b32_e32 v2, 1, v13
	v_add_f64 v[8:9], v[8:9], -v[10:11]
	v_cmp_eq_u32_e64 s[0:1], 0, v2
	v_mov_b32_e32 v12, 0x7ff80000
	v_cndmask_b32_e32 v4, 0, v4, vcc
	v_cndmask_b32_e64 v2, v18, v8, s[0:1]
	v_cndmask_b32_e64 v8, v19, v9, s[0:1]
	v_lshlrev_b32_e32 v9, 30, v13
	v_xor_b32_e32 v3, v9, v3
	v_bitop3_b32 v3, v8, v3, s42 bitop3:0x78
	v_cndmask_b32_e32 v5, v12, v5, vcc
	v_or_b32_e32 v1, 0x7fe00000, v1
	v_cndmask_b32_e32 v2, 0, v2, vcc
	v_cndmask_b32_e32 v3, v12, v3, vcc
	v_mul_f64 v[4:5], v[0:1], v[4:5]
	v_mov_b32_e32 v6, 0
	v_mul_f64 v[0:1], v[0:1], v[2:3]
	v_mul_f64 v[4:5], v[4:5], v[6:7]
	v_mov_b32_e32 v14, v6
	v_mul_f64 v[0:1], v[0:1], v[6:7]
	v_mul_f64 v[4:5], v[4:5], v[14:15]
	;; [unrolled: 1-line block ×3, first 2 shown]
	s_or_b64 exec, exec, s[10:11]
                                        ; implicit-def: $vgpr0_vgpr1
                                        ; implicit-def: $vgpr6
.LBB48_26:
	s_andn2_saveexec_b64 s[2:3], s[8:9]
	s_cbranch_execz .LBB48_32
.LBB48_27:
	s_mov_b32 s0, 0x7ff00000
	v_cmp_ne_u32_e32 vcc, 0, v0
	v_cmp_ne_u32_e64 s[0:1], s0, v6
	s_or_b64 s[0:1], vcc, s[0:1]
	v_add_f64 v[2:3], v[2:3], -v[2:3]
	s_and_saveexec_b64 s[8:9], s[0:1]
	s_xor_b64 s[0:1], exec, s[8:9]
; %bb.28:
                                        ; implicit-def: $vgpr0_vgpr1
; %bb.29:
	s_or_saveexec_b64 s[0:1], s[0:1]
	v_mov_b64_e32 v[4:5], v[2:3]
	s_xor_b64 exec, exec, s[0:1]
; %bb.30:
	v_cmp_lt_i64_e32 vcc, -1, v[0:1]
	s_nop 1
	v_cndmask_b32_e32 v5, 0, v1, vcc
	v_cndmask_b32_e32 v4, 0, v0, vcc
	;; [unrolled: 1-line block ×4, first 2 shown]
; %bb.31:
	s_or_b64 exec, exec, s[0:1]
.LBB48_32:
	s_or_b64 exec, exec, s[2:3]
.LBB48_33:
	s_andn2_saveexec_b64 s[2:3], s[6:7]
	s_cbranch_execz .LBB48_43
; %bb.34:
	s_mov_b32 s0, 0
	s_mov_b32 s1, 0x41d00000
	v_cmp_nlt_f64_e64 s[6:7], |v[2:3]|, s[0:1]
	v_trig_preop_f64 v[10:11], |v[2:3]|, 0
	v_trig_preop_f64 v[8:9], |v[2:3]|, 1
	;; [unrolled: 1-line block ×3, first 2 shown]
                                        ; implicit-def: $vgpr16
                                        ; implicit-def: $vgpr0_vgpr1
                                        ; implicit-def: $vgpr4_vgpr5
	s_and_saveexec_b64 s[0:1], s[6:7]
	s_xor_b64 s[8:9], exec, s[0:1]
	s_cbranch_execz .LBB48_36
; %bb.35:
	s_mov_b32 s0, 0
	s_mov_b32 s1, 0x7b000000
	s_movk_i32 s10, 0xff80
	v_and_b32_e32 v4, 0x7fffffff, v3
	v_ldexp_f64 v[0:1], |v[2:3]|, s10
	v_cmp_ge_f64_e64 vcc, |v[2:3]|, s[0:1]
	s_mov_b32 s0, 0
	s_mov_b32 s1, 0x7ff00000
	v_cndmask_b32_e32 v1, v4, v1, vcc
	v_cndmask_b32_e32 v0, v2, v0, vcc
	v_mul_f64 v[12:13], v[10:11], v[0:1]
	v_mul_f64 v[4:5], v[8:9], v[0:1]
	v_fma_f64 v[14:15], v[10:11], v[0:1], -v[12:13]
	v_add_f64 v[16:17], v[4:5], v[14:15]
	v_add_f64 v[24:25], v[16:17], -v[4:5]
	v_add_f64 v[14:15], v[14:15], -v[24:25]
	;; [unrolled: 1-line block ×4, first 2 shown]
	v_add_f64 v[14:15], v[14:15], v[24:25]
	v_fma_f64 v[4:5], v[8:9], v[0:1], -v[4:5]
	v_mul_f64 v[24:25], v[6:7], v[0:1]
	v_add_f64 v[26:27], v[24:25], v[4:5]
	v_add_f64 v[18:19], v[12:13], v[16:17]
	;; [unrolled: 1-line block ×3, first 2 shown]
	v_ldexp_f64 v[20:21], v[18:19], -2
	v_add_f64 v[12:13], v[18:19], -v[12:13]
	v_add_f64 v[18:19], v[28:29], -v[26:27]
	;; [unrolled: 1-line block ×5, first 2 shown]
	v_add_f64 v[14:15], v[14:15], v[18:19]
	v_add_f64 v[18:19], v[26:27], -v[24:25]
	v_add_f64 v[4:5], v[4:5], -v[18:19]
	;; [unrolled: 1-line block ×5, first 2 shown]
	v_add_f64 v[4:5], v[4:5], v[18:19]
	v_fract_f64_e32 v[22:23], v[20:21]
	v_add_f64 v[16:17], v[12:13], v[28:29]
	v_add_f64 v[4:5], v[4:5], v[14:15]
	v_fma_f64 v[0:1], v[6:7], v[0:1], -v[24:25]
	v_add_f64 v[12:13], v[16:17], -v[12:13]
	v_add_f64 v[0:1], v[0:1], v[4:5]
	v_ldexp_f64 v[4:5], v[22:23], 2
	v_cmp_neq_f64_e64 vcc, |v[20:21]|, s[0:1]
	v_add_f64 v[12:13], v[28:29], -v[12:13]
	v_add_f64 v[0:1], v[12:13], v[0:1]
	v_cndmask_b32_e32 v5, 0, v5, vcc
	v_cndmask_b32_e32 v4, 0, v4, vcc
	v_add_f64 v[12:13], v[16:17], v[4:5]
	v_mov_b32_e32 v14, 0x40100000
	v_cmp_gt_f64_e32 vcc, 0, v[12:13]
	v_mov_b32_e32 v12, 0
	s_mov_b32 s10, 0x33145c07
	v_cndmask_b32_e32 v13, 0, v14, vcc
	v_add_f64 v[4:5], v[4:5], v[12:13]
	v_add_f64 v[14:15], v[16:17], v[4:5]
	v_cvt_i32_f64_e32 v13, v[14:15]
	v_cvt_f64_i32_e32 v[14:15], v13
	v_add_f64 v[4:5], v[4:5], -v[14:15]
	v_add_f64 v[14:15], v[16:17], v[4:5]
	v_add_f64 v[4:5], v[14:15], -v[4:5]
	v_add_f64 v[4:5], v[16:17], -v[4:5]
	v_add_f64 v[0:1], v[0:1], v[4:5]
	v_cmp_le_f64_e32 vcc, 0.5, v[14:15]
	v_mov_b32_e32 v4, 0x3ff00000
	s_mov_b32 s11, 0x3c91a626
	v_addc_co_u32_e64 v16, s[0:1], 0, v13, vcc
	v_cndmask_b32_e32 v13, 0, v4, vcc
	v_add_f64 v[4:5], v[14:15], -v[12:13]
	v_add_f64 v[12:13], v[4:5], v[0:1]
	s_mov_b32 s0, 0x54442d18
	v_add_f64 v[4:5], v[12:13], -v[4:5]
	s_mov_b32 s1, 0x3ff921fb
	v_add_f64 v[0:1], v[0:1], -v[4:5]
	v_mul_f64 v[4:5], v[12:13], s[0:1]
	v_fma_f64 v[14:15], v[12:13], s[0:1], -v[4:5]
	v_fmac_f64_e32 v[14:15], s[10:11], v[12:13]
	v_fmac_f64_e32 v[14:15], s[0:1], v[0:1]
	v_add_f64 v[0:1], v[4:5], v[14:15]
	v_add_f64 v[4:5], v[0:1], -v[4:5]
	v_add_f64 v[4:5], v[14:15], -v[4:5]
	s_andn2_saveexec_b64 s[0:1], s[8:9]
	s_cbranch_execz .LBB48_38
	s_branch .LBB48_37
.LBB48_36:
	s_andn2_saveexec_b64 s[0:1], s[8:9]
	s_cbranch_execz .LBB48_38
.LBB48_37:
	s_mov_b32 s8, 0x6dc9c883
	s_mov_b32 s9, 0x3fe45f30
	v_mul_f64 v[0:1], |v[2:3]|, s[8:9]
	s_mov_b32 s8, 0x54442d18
	v_rndne_f64_e32 v[12:13], v[0:1]
	s_mov_b32 s9, 0xbff921fb
	v_fma_f64 v[0:1], v[12:13], s[8:9], |v[2:3]|
	s_mov_b32 s9, 0xbc91a626
	s_mov_b32 s8, 0x33145c00
	v_mul_f64 v[14:15], v[12:13], s[8:9]
	v_add_f64 v[18:19], v[0:1], v[14:15]
	v_fma_f64 v[4:5], s[8:9], v[12:13], v[0:1]
	s_mov_b32 s9, 0x3c91a626
	v_add_f64 v[0:1], v[0:1], -v[18:19]
	v_fma_f64 v[16:17], s[8:9], v[12:13], v[14:15]
	v_add_f64 v[0:1], v[0:1], v[14:15]
	v_add_f64 v[14:15], v[18:19], -v[4:5]
	v_add_f64 v[0:1], v[14:15], v[0:1]
	s_mov_b32 s8, 0x252049c0
	v_add_f64 v[14:15], v[0:1], -v[16:17]
	s_mov_b32 s9, 0xb97b839a
	v_fmac_f64_e32 v[14:15], s[8:9], v[12:13]
	v_add_f64 v[0:1], v[4:5], v[14:15]
	v_add_f64 v[4:5], v[0:1], -v[4:5]
	v_add_f64 v[4:5], v[14:15], -v[4:5]
	v_cvt_i32_f64_e32 v16, v[12:13]
.LBB48_38:
	s_or_b64 exec, exec, s[0:1]
                                        ; implicit-def: $vgpr17
                                        ; implicit-def: $vgpr12_vgpr13
                                        ; implicit-def: $vgpr14_vgpr15
	s_and_saveexec_b64 s[0:1], s[6:7]
	s_xor_b64 s[6:7], exec, s[0:1]
	s_cbranch_execz .LBB48_40
; %bb.39:
	s_mov_b32 s0, 0
	s_mov_b32 s1, 0x7b000000
	s_movk_i32 s8, 0xff80
	v_and_b32_e32 v14, 0x7fffffff, v3
	v_ldexp_f64 v[12:13], |v[2:3]|, s8
	v_cmp_ge_f64_e64 vcc, |v[2:3]|, s[0:1]
	s_mov_b32 s0, 0
	s_mov_b32 s1, 0x7ff00000
	v_cndmask_b32_e32 v13, v14, v13, vcc
	v_cndmask_b32_e32 v12, v2, v12, vcc
	v_mul_f64 v[18:19], v[10:11], v[12:13]
	v_mul_f64 v[14:15], v[8:9], v[12:13]
	v_fma_f64 v[10:11], v[10:11], v[12:13], -v[18:19]
	v_add_f64 v[20:21], v[14:15], v[10:11]
	v_add_f64 v[28:29], v[20:21], -v[14:15]
	v_add_f64 v[10:11], v[10:11], -v[28:29]
	;; [unrolled: 1-line block ×4, first 2 shown]
	v_fma_f64 v[8:9], v[8:9], v[12:13], -v[14:15]
	v_mul_f64 v[14:15], v[6:7], v[12:13]
	v_add_f64 v[10:11], v[10:11], v[28:29]
	v_add_f64 v[28:29], v[14:15], v[8:9]
	;; [unrolled: 1-line block ×4, first 2 shown]
	v_ldexp_f64 v[24:25], v[22:23], -2
	v_add_f64 v[18:19], v[22:23], -v[18:19]
	v_add_f64 v[22:23], v[30:31], -v[28:29]
	v_add_f64 v[10:11], v[10:11], -v[22:23]
	v_add_f64 v[22:23], v[30:31], -v[22:23]
	v_add_f64 v[22:23], v[28:29], -v[22:23]
	v_add_f64 v[10:11], v[10:11], v[22:23]
	v_add_f64 v[22:23], v[28:29], -v[14:15]
	v_add_f64 v[8:9], v[8:9], -v[22:23]
	;; [unrolled: 1-line block ×4, first 2 shown]
	v_add_f64 v[8:9], v[8:9], v[22:23]
	v_fract_f64_e32 v[26:27], v[24:25]
	v_add_f64 v[8:9], v[8:9], v[10:11]
	v_fma_f64 v[6:7], v[6:7], v[12:13], -v[14:15]
	v_add_f64 v[18:19], v[20:21], -v[18:19]
	v_add_f64 v[6:7], v[6:7], v[8:9]
	v_ldexp_f64 v[8:9], v[26:27], 2
	v_cmp_neq_f64_e64 vcc, |v[24:25]|, s[0:1]
	v_add_f64 v[20:21], v[18:19], v[30:31]
	v_mov_b32_e32 v12, 0x40100000
	v_cndmask_b32_e32 v9, 0, v9, vcc
	v_cndmask_b32_e32 v8, 0, v8, vcc
	v_add_f64 v[10:11], v[20:21], v[8:9]
	v_cmp_gt_f64_e32 vcc, 0, v[10:11]
	v_mov_b32_e32 v10, 0
	v_add_f64 v[18:19], v[20:21], -v[18:19]
	v_cndmask_b32_e32 v11, 0, v12, vcc
	v_add_f64 v[8:9], v[8:9], v[10:11]
	v_add_f64 v[12:13], v[20:21], v[8:9]
	v_cvt_i32_f64_e32 v11, v[12:13]
	v_cvt_f64_i32_e32 v[12:13], v11
	v_add_f64 v[8:9], v[8:9], -v[12:13]
	v_add_f64 v[12:13], v[20:21], v[8:9]
	v_add_f64 v[18:19], v[30:31], -v[18:19]
	v_add_f64 v[8:9], v[12:13], -v[8:9]
	v_add_f64 v[6:7], v[18:19], v[6:7]
	v_add_f64 v[8:9], v[20:21], -v[8:9]
	v_add_f64 v[6:7], v[6:7], v[8:9]
	v_cmp_le_f64_e32 vcc, 0.5, v[12:13]
	v_mov_b32_e32 v8, 0x3ff00000
	s_mov_b32 s8, 0x33145c07
	v_addc_co_u32_e64 v17, s[0:1], 0, v11, vcc
	v_cndmask_b32_e32 v11, 0, v8, vcc
	v_add_f64 v[8:9], v[12:13], -v[10:11]
	v_add_f64 v[10:11], v[8:9], v[6:7]
	s_mov_b32 s0, 0x54442d18
	v_add_f64 v[8:9], v[10:11], -v[8:9]
	s_mov_b32 s1, 0x3ff921fb
	v_add_f64 v[6:7], v[6:7], -v[8:9]
	v_mul_f64 v[8:9], v[10:11], s[0:1]
	v_fma_f64 v[14:15], v[10:11], s[0:1], -v[8:9]
	s_mov_b32 s9, 0x3c91a626
	v_fmac_f64_e32 v[14:15], s[8:9], v[10:11]
	v_fmac_f64_e32 v[14:15], s[0:1], v[6:7]
	v_add_f64 v[12:13], v[8:9], v[14:15]
	v_add_f64 v[6:7], v[12:13], -v[8:9]
	v_add_f64 v[14:15], v[14:15], -v[6:7]
	s_andn2_saveexec_b64 s[0:1], s[6:7]
	s_cbranch_execnz .LBB48_41
	s_branch .LBB48_42
.LBB48_40:
	s_andn2_saveexec_b64 s[0:1], s[6:7]
	s_cbranch_execz .LBB48_42
.LBB48_41:
	s_mov_b32 s6, 0x6dc9c883
	s_mov_b32 s7, 0x3fe45f30
	v_mul_f64 v[6:7], |v[2:3]|, s[6:7]
	s_mov_b32 s6, 0x54442d18
	v_rndne_f64_e32 v[6:7], v[6:7]
	s_mov_b32 s7, 0xbff921fb
	v_fma_f64 v[8:9], v[6:7], s[6:7], |v[2:3]|
	s_mov_b32 s7, 0xbc91a626
	s_mov_b32 s6, 0x33145c00
	v_mul_f64 v[12:13], v[6:7], s[6:7]
	v_add_f64 v[18:19], v[8:9], v[12:13]
	v_fma_f64 v[10:11], s[6:7], v[6:7], v[8:9]
	s_mov_b32 s7, 0x3c91a626
	v_add_f64 v[8:9], v[8:9], -v[18:19]
	v_fma_f64 v[14:15], s[6:7], v[6:7], v[12:13]
	v_add_f64 v[8:9], v[8:9], v[12:13]
	v_add_f64 v[12:13], v[18:19], -v[10:11]
	v_add_f64 v[8:9], v[12:13], v[8:9]
	s_mov_b32 s6, 0x252049c0
	v_add_f64 v[8:9], v[8:9], -v[14:15]
	s_mov_b32 s7, 0xb97b839a
	v_fmac_f64_e32 v[8:9], s[6:7], v[6:7]
	v_add_f64 v[12:13], v[10:11], v[8:9]
	v_add_f64 v[10:11], v[12:13], -v[10:11]
	v_add_f64 v[14:15], v[8:9], -v[10:11]
	v_cvt_i32_f64_e32 v17, v[6:7]
.LBB48_42:
	s_or_b64 exec, exec, s[0:1]
	s_mov_b32 s6, 0x9037ab78
	s_mov_b32 s7, 0x3e21eeb6
	;; [unrolled: 1-line block ×3, first 2 shown]
	v_mul_f64 v[6:7], v[0:1], v[0:1]
	s_mov_b32 s1, 0xbda907db
	v_mov_b64_e32 v[20:21], s[6:7]
	s_mov_b32 s6, 0xa17f65f6
	v_mul_f64 v[8:9], v[6:7], 0.5
	v_fma_f64 v[22:23], s[0:1], v[6:7], v[20:21]
	s_mov_b32 s7, 0xbe927e4f
	s_mov_b32 s8, 0x19f4ec90
	v_add_f64 v[10:11], -v[8:9], 1.0
	v_fma_f64 v[22:23], v[6:7], v[22:23], s[6:7]
	s_mov_b32 s9, 0x3efa01a0
	s_mov_b32 s10, 0x16c16967
	v_add_f64 v[18:19], -v[10:11], 1.0
	v_fma_f64 v[22:23], v[6:7], v[22:23], s[8:9]
	s_mov_b32 s11, 0xbf56c16c
	s_mov_b32 s12, 0x55555555
	v_add_f64 v[8:9], v[18:19], -v[8:9]
	v_fma_f64 v[22:23], v[6:7], v[22:23], s[10:11]
	s_mov_b32 s13, 0x3fa55555
	v_mul_f64 v[18:19], v[6:7], v[6:7]
	v_fma_f64 v[22:23], v[6:7], v[22:23], s[12:13]
	v_fma_f64 v[8:9], v[0:1], -v[4:5], v[8:9]
	s_mov_b32 s14, 0xb42fdfa7
	v_fmac_f64_e32 v[8:9], v[18:19], v[22:23]
	s_mov_b32 s15, 0xbe5ae600
	s_mov_b32 s16, 0xf9a43bb8
	v_add_f64 v[8:9], v[10:11], v[8:9]
	s_mov_b32 s17, 0x3de5e0b2
	v_mov_b64_e32 v[10:11], s[14:15]
	s_mov_b32 s14, 0x796cde01
	v_fma_f64 v[18:19], s[16:17], v[6:7], v[10:11]
	s_mov_b32 s15, 0x3ec71de3
	s_mov_b32 s18, 0x19e83e5c
	v_fma_f64 v[18:19], v[6:7], v[18:19], s[14:15]
	s_mov_b32 s19, 0xbf2a01a0
	;; [unrolled: 3-line block ×3, first 2 shown]
	v_fma_f64 v[18:19], v[6:7], v[18:19], s[20:21]
	v_mul_f64 v[22:23], v[0:1], -v[6:7]
	v_mul_f64 v[24:25], v[4:5], 0.5
	v_fmac_f64_e32 v[24:25], v[22:23], v[18:19]
	v_fma_f64 v[4:5], v[6:7], v[24:25], -v[4:5]
	s_mov_b32 s23, 0xbfc55555
	s_mov_b32 s22, s12
	v_fmac_f64_e32 v[4:5], s[22:23], v[22:23]
	v_add_f64 v[0:1], v[0:1], -v[4:5]
	v_and_b32_e32 v4, 1, v16
	v_xor_b32_e32 v1, 0x80000000, v1
	v_cmp_eq_u32_e32 vcc, 0, v4
	s_brev_b32 s24, 1
	v_lshlrev_b32_e32 v4, 30, v16
	v_cndmask_b32_e32 v1, v1, v9, vcc
	s_movk_i32 s25, 0x1f8
	v_cndmask_b32_e32 v0, v0, v8, vcc
	v_bitop3_b32 v1, v1, v4, s24 bitop3:0x78
	v_cmp_class_f64_e64 vcc, v[2:3], s25
	v_mov_b32_e32 v16, 0x7ff80000
	v_and_b32_e32 v2, 1, v17
	v_cndmask_b32_e32 v4, 0, v0, vcc
	v_cndmask_b32_e32 v5, v16, v1, vcc
	v_mul_f64 v[0:1], v[12:13], v[12:13]
	v_mul_f64 v[6:7], v[0:1], 0.5
	v_fmac_f64_e32 v[20:21], s[0:1], v[0:1]
	v_add_f64 v[8:9], -v[6:7], 1.0
	v_fma_f64 v[20:21], v[0:1], v[20:21], s[6:7]
	v_add_f64 v[18:19], -v[8:9], 1.0
	v_fma_f64 v[20:21], v[0:1], v[20:21], s[8:9]
	v_add_f64 v[6:7], v[18:19], -v[6:7]
	v_fma_f64 v[20:21], v[0:1], v[20:21], s[10:11]
	v_mul_f64 v[18:19], v[0:1], v[0:1]
	v_fma_f64 v[20:21], v[0:1], v[20:21], s[12:13]
	v_fma_f64 v[6:7], v[12:13], -v[14:15], v[6:7]
	v_fmac_f64_e32 v[6:7], v[18:19], v[20:21]
	v_fmac_f64_e32 v[10:11], s[16:17], v[0:1]
	v_add_f64 v[6:7], v[8:9], v[6:7]
	v_fma_f64 v[8:9], v[0:1], v[10:11], s[14:15]
	v_fma_f64 v[8:9], v[0:1], v[8:9], s[18:19]
	;; [unrolled: 1-line block ×3, first 2 shown]
	v_mul_f64 v[10:11], v[12:13], -v[0:1]
	v_mul_f64 v[18:19], v[14:15], 0.5
	v_fmac_f64_e32 v[18:19], v[10:11], v[8:9]
	v_fma_f64 v[0:1], v[0:1], v[18:19], -v[14:15]
	v_fmac_f64_e32 v[0:1], s[22:23], v[10:11]
	v_add_f64 v[0:1], v[12:13], -v[0:1]
	v_cmp_eq_u32_e64 s[0:1], 0, v2
	v_lshlrev_b32_e32 v2, 30, v17
	v_xor_b32_e32 v2, v2, v3
	v_cndmask_b32_e64 v1, v7, v1, s[0:1]
	v_cndmask_b32_e64 v0, v6, v0, s[0:1]
	v_bitop3_b32 v1, v1, v2, s24 bitop3:0x78
	v_cndmask_b32_e32 v2, 0, v0, vcc
	v_cndmask_b32_e32 v3, v16, v1, vcc
.LBB48_43:
	s_or_b64 exec, exec, s[2:3]
                                        ; implicit-def: $vgpr0_vgpr1
	s_andn2_saveexec_b64 s[2:3], s[4:5]
	s_cbranch_execnz .LBB48_7
.LBB48_44:
	s_or_b64 exec, exec, s[2:3]
	v_mov_b32_e32 v0, v4
	v_mov_b32_e32 v1, v5
	s_setpc_b64 s[30:31]
.Lfunc_end48:
	.size	_ZZZZN2at6native15exp_kernel_cudaERNS_18TensorIteratorBaseEENKUlvE_clEvENKUlvE_clEvENKUlN3c107complexIdEEE_clES7_, .Lfunc_end48-_ZZZZN2at6native15exp_kernel_cudaERNS_18TensorIteratorBaseEENKUlvE_clEvENKUlvE_clEvENKUlN3c107complexIdEEE_clES7_
                                        ; -- End function
	.set .L_ZZZZN2at6native15exp_kernel_cudaERNS_18TensorIteratorBaseEENKUlvE_clEvENKUlvE_clEvENKUlN3c107complexIdEEE_clES7_.num_vgpr, 34
	.set .L_ZZZZN2at6native15exp_kernel_cudaERNS_18TensorIteratorBaseEENKUlvE_clEvENKUlvE_clEvENKUlN3c107complexIdEEE_clES7_.num_agpr, 0
	.set .L_ZZZZN2at6native15exp_kernel_cudaERNS_18TensorIteratorBaseEENKUlvE_clEvENKUlvE_clEvENKUlN3c107complexIdEEE_clES7_.numbered_sgpr, 43
	.set .L_ZZZZN2at6native15exp_kernel_cudaERNS_18TensorIteratorBaseEENKUlvE_clEvENKUlvE_clEvENKUlN3c107complexIdEEE_clES7_.num_named_barrier, 0
	.set .L_ZZZZN2at6native15exp_kernel_cudaERNS_18TensorIteratorBaseEENKUlvE_clEvENKUlvE_clEvENKUlN3c107complexIdEEE_clES7_.private_seg_size, 0
	.set .L_ZZZZN2at6native15exp_kernel_cudaERNS_18TensorIteratorBaseEENKUlvE_clEvENKUlvE_clEvENKUlN3c107complexIdEEE_clES7_.uses_vcc, 1
	.set .L_ZZZZN2at6native15exp_kernel_cudaERNS_18TensorIteratorBaseEENKUlvE_clEvENKUlvE_clEvENKUlN3c107complexIdEEE_clES7_.uses_flat_scratch, 0
	.set .L_ZZZZN2at6native15exp_kernel_cudaERNS_18TensorIteratorBaseEENKUlvE_clEvENKUlvE_clEvENKUlN3c107complexIdEEE_clES7_.has_dyn_sized_stack, 0
	.set .L_ZZZZN2at6native15exp_kernel_cudaERNS_18TensorIteratorBaseEENKUlvE_clEvENKUlvE_clEvENKUlN3c107complexIdEEE_clES7_.has_recursion, 0
	.set .L_ZZZZN2at6native15exp_kernel_cudaERNS_18TensorIteratorBaseEENKUlvE_clEvENKUlvE_clEvENKUlN3c107complexIdEEE_clES7_.has_indirect_call, 0
	.section	.AMDGPU.csdata,"",@progbits
; Function info:
; codeLenInByte = 8652
; TotalNumSgprs: 49
; NumVgprs: 34
; NumAgprs: 0
; TotalNumVgprs: 34
; ScratchSize: 0
; MemoryBound: 0
	.section	.text._ZN2at6native29vectorized_elementwise_kernelILi16EZZZNS0_15exp_kernel_cudaERNS_18TensorIteratorBaseEENKUlvE_clEvENKUlvE_clEvEUlN3c107complexIdEEE_St5arrayIPcLm2EEEEviT0_T1_,"axG",@progbits,_ZN2at6native29vectorized_elementwise_kernelILi16EZZZNS0_15exp_kernel_cudaERNS_18TensorIteratorBaseEENKUlvE_clEvENKUlvE_clEvEUlN3c107complexIdEEE_St5arrayIPcLm2EEEEviT0_T1_,comdat
	.globl	_ZN2at6native29vectorized_elementwise_kernelILi16EZZZNS0_15exp_kernel_cudaERNS_18TensorIteratorBaseEENKUlvE_clEvENKUlvE_clEvEUlN3c107complexIdEEE_St5arrayIPcLm2EEEEviT0_T1_ ; -- Begin function _ZN2at6native29vectorized_elementwise_kernelILi16EZZZNS0_15exp_kernel_cudaERNS_18TensorIteratorBaseEENKUlvE_clEvENKUlvE_clEvEUlN3c107complexIdEEE_St5arrayIPcLm2EEEEviT0_T1_
	.p2align	8
	.type	_ZN2at6native29vectorized_elementwise_kernelILi16EZZZNS0_15exp_kernel_cudaERNS_18TensorIteratorBaseEENKUlvE_clEvENKUlvE_clEvEUlN3c107complexIdEEE_St5arrayIPcLm2EEEEviT0_T1_,@function
_ZN2at6native29vectorized_elementwise_kernelILi16EZZZNS0_15exp_kernel_cudaERNS_18TensorIteratorBaseEENKUlvE_clEvENKUlvE_clEvEUlN3c107complexIdEEE_St5arrayIPcLm2EEEEviT0_T1_: ; @_ZN2at6native29vectorized_elementwise_kernelILi16EZZZNS0_15exp_kernel_cudaERNS_18TensorIteratorBaseEENKUlvE_clEvENKUlvE_clEvEUlN3c107complexIdEEE_St5arrayIPcLm2EEEEviT0_T1_
; %bb.0:
	s_load_dword s3, s[0:1], 0x0
	s_load_dwordx4 s[36:39], s[0:1], 0x8
	s_lshl_b32 s44, s2, 10
	v_mov_b32_e32 v34, v0
	s_mov_b64 s[0:1], -1
	s_waitcnt lgkmcnt(0)
	s_sub_i32 s33, s3, s44
	s_cmpk_gt_i32 s33, 0x3ff
	s_mov_b32 s32, 0
	s_cbranch_scc0 .LBB49_2
; %bb.1:
	s_ashr_i32 s45, s44, 31
	s_lshl_b64 s[34:35], s[44:45], 4
	s_add_u32 s0, s38, s34
	s_addc_u32 s1, s39, s35
	v_lshlrev_b32_e32 v35, 6, v34
	global_load_dwordx4 v[0:3], v35, s[0:1]
	global_load_dwordx4 v[36:39], v35, s[0:1] offset:16
	global_load_dwordx4 v[40:43], v35, s[0:1] offset:48
	global_load_dwordx4 v[44:47], v35, s[0:1] offset:32
	s_getpc_b64 s[46:47]
	s_add_u32 s46, s46, _ZZZZN2at6native15exp_kernel_cudaERNS_18TensorIteratorBaseEENKUlvE_clEvENKUlvE_clEvENKUlN3c107complexIdEEE_clES7_@rel32@lo+4
	s_addc_u32 s47, s47, _ZZZZN2at6native15exp_kernel_cudaERNS_18TensorIteratorBaseEENKUlvE_clEvENKUlvE_clEvENKUlN3c107complexIdEEE_clES7_@rel32@hi+12
	s_swappc_b64 s[30:31], s[46:47]
	v_mov_b32_e32 v48, v0
	v_mov_b32_e32 v49, v1
	v_mov_b32_e32 v50, v2
	v_mov_b32_e32 v51, v3
	v_mov_b32_e32 v0, v36
	v_mov_b32_e32 v1, v37
	v_mov_b32_e32 v2, v38
	v_mov_b32_e32 v3, v39
	s_swappc_b64 s[30:31], s[46:47]
	v_mov_b32_e32 v36, v0
	v_mov_b32_e32 v37, v1
	v_mov_b32_e32 v38, v2
	v_mov_b32_e32 v39, v3
	v_mov_b32_e32 v0, v44
	v_mov_b32_e32 v1, v45
	v_mov_b32_e32 v2, v46
	v_mov_b32_e32 v3, v47
	;; [unrolled: 9-line block ×3, first 2 shown]
	s_swappc_b64 s[30:31], s[46:47]
	s_add_u32 s0, s36, s34
	s_addc_u32 s1, s37, s35
	global_store_dwordx4 v35, v[48:51], s[0:1]
	global_store_dwordx4 v35, v[36:39], s[0:1] offset:16
	global_store_dwordx4 v35, v[44:47], s[0:1] offset:32
	global_store_dwordx4 v35, v[0:3], s[0:1] offset:48
	s_mov_b64 s[0:1], 0
.LBB49_2:
	s_andn2_b64 vcc, exec, s[0:1]
	s_cbranch_vccnz .LBB49_23
; %bb.3:
	v_cmp_gt_i32_e64 s[34:35], s33, v34
	v_mov_b64_e32 v[44:45], 0
	v_or_b32_e32 v60, s44, v34
	v_mov_b64_e32 v[0:1], 0
	v_mov_b64_e32 v[2:3], 0
	v_mov_b32_e32 v4, v34
	s_and_saveexec_b64 s[0:1], s[34:35]
	s_cbranch_execz .LBB49_5
; %bb.4:
	v_mov_b32_e32 v61, 0
	v_lshl_add_u64 v[0:1], v[60:61], 4, s[38:39]
	global_load_dwordx4 v[0:3], v[0:1], off
	v_or_b32_e32 v4, 0x100, v34
.LBB49_5:
	s_or_b64 exec, exec, s[0:1]
	v_cmp_gt_i32_e32 vcc, s33, v4
	v_mov_b64_e32 v[46:47], 0
	s_and_saveexec_b64 s[0:1], vcc
	s_cbranch_execz .LBB49_7
; %bb.6:
	v_add_u32_e32 v6, s44, v4
	v_mov_b32_e32 v7, 0
	v_lshl_add_u64 v[6:7], v[6:7], 4, s[38:39]
	global_load_dwordx4 v[44:47], v[6:7], off
	v_add_u32_e32 v4, 0x100, v4
.LBB49_7:
	s_or_b64 exec, exec, s[0:1]
	v_cmp_gt_i32_e32 vcc, s33, v4
	v_mov_b64_e32 v[36:37], 0
	v_mov_b64_e32 v[52:53], 0
	;; [unrolled: 1-line block ×3, first 2 shown]
	s_and_saveexec_b64 s[0:1], vcc
	s_cbranch_execz .LBB49_9
; %bb.8:
	v_add_u32_e32 v6, s44, v4
	v_mov_b32_e32 v7, 0
	v_lshl_add_u64 v[6:7], v[6:7], 4, s[38:39]
	global_load_dwordx4 v[52:55], v[6:7], off
	v_add_u32_e32 v4, 0x100, v4
.LBB49_9:
	s_or_b64 exec, exec, s[0:1]
	v_cmp_gt_i32_e32 vcc, s33, v4
	v_mov_b64_e32 v[38:39], 0
	s_and_saveexec_b64 s[0:1], vcc
	s_cbranch_execz .LBB49_11
; %bb.10:
	v_add_u32_e32 v4, s44, v4
	v_mov_b32_e32 v5, 0
	v_lshl_add_u64 v[4:5], v[4:5], 4, s[38:39]
	global_load_dwordx4 v[36:39], v[4:5], off
.LBB49_11:
	s_or_b64 exec, exec, s[0:1]
	v_mov_b64_e32 v[42:43], 0
	v_mov_b64_e32 v[50:51], 0
	;; [unrolled: 1-line block ×3, first 2 shown]
	s_and_saveexec_b64 s[38:39], s[34:35]
	s_cbranch_execz .LBB49_13
; %bb.12:
	s_getpc_b64 s[0:1]
	s_add_u32 s0, s0, _ZZZZN2at6native15exp_kernel_cudaERNS_18TensorIteratorBaseEENKUlvE_clEvENKUlvE_clEvENKUlN3c107complexIdEEE_clES7_@rel32@lo+4
	s_addc_u32 s1, s1, _ZZZZN2at6native15exp_kernel_cudaERNS_18TensorIteratorBaseEENKUlvE_clEvENKUlvE_clEvENKUlN3c107complexIdEEE_clES7_@rel32@hi+12
	s_swappc_b64 s[30:31], s[0:1]
	v_mov_b32_e32 v48, v0
	v_mov_b32_e32 v49, v1
	;; [unrolled: 1-line block ×4, first 2 shown]
.LBB49_13:
	s_or_b64 exec, exec, s[38:39]
	v_or_b32_e32 v35, 0x100, v34
	v_cmp_gt_i32_e32 vcc, s33, v35
	v_mov_b64_e32 v[40:41], 0
	s_and_saveexec_b64 s[38:39], vcc
	s_cbranch_execz .LBB49_15
; %bb.14:
	s_getpc_b64 s[0:1]
	s_add_u32 s0, s0, _ZZZZN2at6native15exp_kernel_cudaERNS_18TensorIteratorBaseEENKUlvE_clEvENKUlvE_clEvENKUlN3c107complexIdEEE_clES7_@rel32@lo+4
	s_addc_u32 s1, s1, _ZZZZN2at6native15exp_kernel_cudaERNS_18TensorIteratorBaseEENKUlvE_clEvENKUlvE_clEvENKUlN3c107complexIdEEE_clES7_@rel32@hi+12
	s_waitcnt vmcnt(0)
	v_mov_b32_e32 v0, v44
	v_mov_b32_e32 v1, v45
	;; [unrolled: 1-line block ×4, first 2 shown]
	s_swappc_b64 s[30:31], s[0:1]
	v_mov_b32_e32 v40, v0
	v_mov_b32_e32 v41, v1
	;; [unrolled: 1-line block ×4, first 2 shown]
.LBB49_15:
	s_or_b64 exec, exec, s[38:39]
	s_waitcnt vmcnt(0)
	v_or_b32_e32 v0, 0x200, v34
	v_cmp_gt_i32_e32 vcc, s33, v0
	v_mov_b64_e32 v[46:47], 0
	v_mov_b64_e32 v[58:59], 0
	;; [unrolled: 1-line block ×3, first 2 shown]
	s_and_saveexec_b64 s[38:39], vcc
	s_cbranch_execz .LBB49_17
; %bb.16:
	s_getpc_b64 s[0:1]
	s_add_u32 s0, s0, _ZZZZN2at6native15exp_kernel_cudaERNS_18TensorIteratorBaseEENKUlvE_clEvENKUlvE_clEvENKUlN3c107complexIdEEE_clES7_@rel32@lo+4
	s_addc_u32 s1, s1, _ZZZZN2at6native15exp_kernel_cudaERNS_18TensorIteratorBaseEENKUlvE_clEvENKUlvE_clEvENKUlN3c107complexIdEEE_clES7_@rel32@hi+12
	v_mov_b32_e32 v0, v52
	v_mov_b32_e32 v1, v53
	;; [unrolled: 1-line block ×4, first 2 shown]
	s_swappc_b64 s[30:31], s[0:1]
	v_mov_b32_e32 v56, v0
	v_mov_b32_e32 v57, v1
	;; [unrolled: 1-line block ×4, first 2 shown]
.LBB49_17:
	s_or_b64 exec, exec, s[38:39]
	v_or_b32_e32 v0, 0x300, v34
	v_cmp_gt_i32_e32 vcc, s33, v0
	v_mov_b64_e32 v[44:45], 0
	s_and_saveexec_b64 s[38:39], vcc
	s_cbranch_execnz .LBB49_24
; %bb.18:
	s_or_b64 exec, exec, s[38:39]
	s_and_saveexec_b64 s[0:1], s[34:35]
	s_xor_b64 s[0:1], exec, s[0:1]
	s_cbranch_execnz .LBB49_25
.LBB49_19:
	s_or_b64 exec, exec, s[0:1]
	v_cmp_gt_i32_e32 vcc, s33, v34
	s_and_saveexec_b64 s[0:1], vcc
	s_cbranch_execnz .LBB49_26
.LBB49_20:
	s_or_b64 exec, exec, s[0:1]
	v_cmp_gt_i32_e32 vcc, s33, v34
	s_and_saveexec_b64 s[0:1], vcc
	s_cbranch_execnz .LBB49_27
.LBB49_21:
	s_or_b64 exec, exec, s[0:1]
	v_cmp_gt_i32_e32 vcc, s33, v34
	s_and_saveexec_b64 s[0:1], vcc
	s_cbranch_execz .LBB49_23
.LBB49_22:
	v_add_u32_e32 v0, s44, v34
	v_mov_b32_e32 v1, 0
	v_lshl_add_u64 v[0:1], v[0:1], 4, s[36:37]
	global_store_dwordx4 v[0:1], v[44:47], off
.LBB49_23:
	s_endpgm
.LBB49_24:
	s_getpc_b64 s[0:1]
	s_add_u32 s0, s0, _ZZZZN2at6native15exp_kernel_cudaERNS_18TensorIteratorBaseEENKUlvE_clEvENKUlvE_clEvENKUlN3c107complexIdEEE_clES7_@rel32@lo+4
	s_addc_u32 s1, s1, _ZZZZN2at6native15exp_kernel_cudaERNS_18TensorIteratorBaseEENKUlvE_clEvENKUlvE_clEvENKUlN3c107complexIdEEE_clES7_@rel32@hi+12
	v_mov_b32_e32 v0, v36
	v_mov_b32_e32 v1, v37
	;; [unrolled: 1-line block ×4, first 2 shown]
	s_swappc_b64 s[30:31], s[0:1]
	v_mov_b32_e32 v44, v0
	v_mov_b32_e32 v45, v1
	;; [unrolled: 1-line block ×4, first 2 shown]
	s_or_b64 exec, exec, s[38:39]
	s_and_saveexec_b64 s[0:1], s[34:35]
	s_xor_b64 s[0:1], exec, s[0:1]
	s_cbranch_execz .LBB49_19
.LBB49_25:
	v_mov_b32_e32 v61, 0
	v_lshl_add_u64 v[0:1], v[60:61], 4, s[36:37]
	v_mov_b32_e32 v34, v35
	global_store_dwordx4 v[0:1], v[48:51], off
	s_or_b64 exec, exec, s[0:1]
	v_cmp_gt_i32_e32 vcc, s33, v34
	s_and_saveexec_b64 s[0:1], vcc
	s_cbranch_execz .LBB49_20
.LBB49_26:
	v_add_u32_e32 v0, s44, v34
	v_mov_b32_e32 v1, 0
	v_lshl_add_u64 v[0:1], v[0:1], 4, s[36:37]
	v_add_u32_e32 v34, 0x100, v34
	global_store_dwordx4 v[0:1], v[40:43], off
	s_or_b64 exec, exec, s[0:1]
	v_cmp_gt_i32_e32 vcc, s33, v34
	s_and_saveexec_b64 s[0:1], vcc
	s_cbranch_execz .LBB49_21
.LBB49_27:
	v_add_u32_e32 v0, s44, v34
	v_mov_b32_e32 v1, 0
	v_lshl_add_u64 v[0:1], v[0:1], 4, s[36:37]
	v_add_u32_e32 v34, 0x100, v34
	global_store_dwordx4 v[0:1], v[56:59], off
	s_or_b64 exec, exec, s[0:1]
	v_cmp_gt_i32_e32 vcc, s33, v34
	s_and_saveexec_b64 s[0:1], vcc
	s_cbranch_execnz .LBB49_22
	s_branch .LBB49_23
	.section	.rodata,"a",@progbits
	.p2align	6, 0x0
	.amdhsa_kernel _ZN2at6native29vectorized_elementwise_kernelILi16EZZZNS0_15exp_kernel_cudaERNS_18TensorIteratorBaseEENKUlvE_clEvENKUlvE_clEvEUlN3c107complexIdEEE_St5arrayIPcLm2EEEEviT0_T1_
		.amdhsa_group_segment_fixed_size 0
		.amdhsa_private_segment_fixed_size 0
		.amdhsa_kernarg_size 24
		.amdhsa_user_sgpr_count 2
		.amdhsa_user_sgpr_dispatch_ptr 0
		.amdhsa_user_sgpr_queue_ptr 0
		.amdhsa_user_sgpr_kernarg_segment_ptr 1
		.amdhsa_user_sgpr_dispatch_id 0
		.amdhsa_user_sgpr_kernarg_preload_length 0
		.amdhsa_user_sgpr_kernarg_preload_offset 0
		.amdhsa_user_sgpr_private_segment_size 0
		.amdhsa_uses_dynamic_stack 0
		.amdhsa_enable_private_segment 0
		.amdhsa_system_sgpr_workgroup_id_x 1
		.amdhsa_system_sgpr_workgroup_id_y 0
		.amdhsa_system_sgpr_workgroup_id_z 0
		.amdhsa_system_sgpr_workgroup_info 0
		.amdhsa_system_vgpr_workitem_id 0
		.amdhsa_next_free_vgpr 62
		.amdhsa_next_free_sgpr 48
		.amdhsa_accum_offset 64
		.amdhsa_reserve_vcc 1
		.amdhsa_float_round_mode_32 0
		.amdhsa_float_round_mode_16_64 0
		.amdhsa_float_denorm_mode_32 3
		.amdhsa_float_denorm_mode_16_64 3
		.amdhsa_dx10_clamp 1
		.amdhsa_ieee_mode 1
		.amdhsa_fp16_overflow 0
		.amdhsa_tg_split 0
		.amdhsa_exception_fp_ieee_invalid_op 0
		.amdhsa_exception_fp_denorm_src 0
		.amdhsa_exception_fp_ieee_div_zero 0
		.amdhsa_exception_fp_ieee_overflow 0
		.amdhsa_exception_fp_ieee_underflow 0
		.amdhsa_exception_fp_ieee_inexact 0
		.amdhsa_exception_int_div_zero 0
	.end_amdhsa_kernel
	.section	.text._ZN2at6native29vectorized_elementwise_kernelILi16EZZZNS0_15exp_kernel_cudaERNS_18TensorIteratorBaseEENKUlvE_clEvENKUlvE_clEvEUlN3c107complexIdEEE_St5arrayIPcLm2EEEEviT0_T1_,"axG",@progbits,_ZN2at6native29vectorized_elementwise_kernelILi16EZZZNS0_15exp_kernel_cudaERNS_18TensorIteratorBaseEENKUlvE_clEvENKUlvE_clEvEUlN3c107complexIdEEE_St5arrayIPcLm2EEEEviT0_T1_,comdat
.Lfunc_end49:
	.size	_ZN2at6native29vectorized_elementwise_kernelILi16EZZZNS0_15exp_kernel_cudaERNS_18TensorIteratorBaseEENKUlvE_clEvENKUlvE_clEvEUlN3c107complexIdEEE_St5arrayIPcLm2EEEEviT0_T1_, .Lfunc_end49-_ZN2at6native29vectorized_elementwise_kernelILi16EZZZNS0_15exp_kernel_cudaERNS_18TensorIteratorBaseEENKUlvE_clEvENKUlvE_clEvEUlN3c107complexIdEEE_St5arrayIPcLm2EEEEviT0_T1_
                                        ; -- End function
	.set _ZN2at6native29vectorized_elementwise_kernelILi16EZZZNS0_15exp_kernel_cudaERNS_18TensorIteratorBaseEENKUlvE_clEvENKUlvE_clEvEUlN3c107complexIdEEE_St5arrayIPcLm2EEEEviT0_T1_.num_vgpr, max(62, .L_ZZZZN2at6native15exp_kernel_cudaERNS_18TensorIteratorBaseEENKUlvE_clEvENKUlvE_clEvENKUlN3c107complexIdEEE_clES7_.num_vgpr)
	.set _ZN2at6native29vectorized_elementwise_kernelILi16EZZZNS0_15exp_kernel_cudaERNS_18TensorIteratorBaseEENKUlvE_clEvENKUlvE_clEvEUlN3c107complexIdEEE_St5arrayIPcLm2EEEEviT0_T1_.num_agpr, max(0, .L_ZZZZN2at6native15exp_kernel_cudaERNS_18TensorIteratorBaseEENKUlvE_clEvENKUlvE_clEvENKUlN3c107complexIdEEE_clES7_.num_agpr)
	.set _ZN2at6native29vectorized_elementwise_kernelILi16EZZZNS0_15exp_kernel_cudaERNS_18TensorIteratorBaseEENKUlvE_clEvENKUlvE_clEvEUlN3c107complexIdEEE_St5arrayIPcLm2EEEEviT0_T1_.numbered_sgpr, max(48, .L_ZZZZN2at6native15exp_kernel_cudaERNS_18TensorIteratorBaseEENKUlvE_clEvENKUlvE_clEvENKUlN3c107complexIdEEE_clES7_.numbered_sgpr)
	.set _ZN2at6native29vectorized_elementwise_kernelILi16EZZZNS0_15exp_kernel_cudaERNS_18TensorIteratorBaseEENKUlvE_clEvENKUlvE_clEvEUlN3c107complexIdEEE_St5arrayIPcLm2EEEEviT0_T1_.num_named_barrier, max(0, .L_ZZZZN2at6native15exp_kernel_cudaERNS_18TensorIteratorBaseEENKUlvE_clEvENKUlvE_clEvENKUlN3c107complexIdEEE_clES7_.num_named_barrier)
	.set _ZN2at6native29vectorized_elementwise_kernelILi16EZZZNS0_15exp_kernel_cudaERNS_18TensorIteratorBaseEENKUlvE_clEvENKUlvE_clEvEUlN3c107complexIdEEE_St5arrayIPcLm2EEEEviT0_T1_.private_seg_size, 0+max(.L_ZZZZN2at6native15exp_kernel_cudaERNS_18TensorIteratorBaseEENKUlvE_clEvENKUlvE_clEvENKUlN3c107complexIdEEE_clES7_.private_seg_size)
	.set _ZN2at6native29vectorized_elementwise_kernelILi16EZZZNS0_15exp_kernel_cudaERNS_18TensorIteratorBaseEENKUlvE_clEvENKUlvE_clEvEUlN3c107complexIdEEE_St5arrayIPcLm2EEEEviT0_T1_.uses_vcc, or(1, .L_ZZZZN2at6native15exp_kernel_cudaERNS_18TensorIteratorBaseEENKUlvE_clEvENKUlvE_clEvENKUlN3c107complexIdEEE_clES7_.uses_vcc)
	.set _ZN2at6native29vectorized_elementwise_kernelILi16EZZZNS0_15exp_kernel_cudaERNS_18TensorIteratorBaseEENKUlvE_clEvENKUlvE_clEvEUlN3c107complexIdEEE_St5arrayIPcLm2EEEEviT0_T1_.uses_flat_scratch, or(0, .L_ZZZZN2at6native15exp_kernel_cudaERNS_18TensorIteratorBaseEENKUlvE_clEvENKUlvE_clEvENKUlN3c107complexIdEEE_clES7_.uses_flat_scratch)
	.set _ZN2at6native29vectorized_elementwise_kernelILi16EZZZNS0_15exp_kernel_cudaERNS_18TensorIteratorBaseEENKUlvE_clEvENKUlvE_clEvEUlN3c107complexIdEEE_St5arrayIPcLm2EEEEviT0_T1_.has_dyn_sized_stack, or(0, .L_ZZZZN2at6native15exp_kernel_cudaERNS_18TensorIteratorBaseEENKUlvE_clEvENKUlvE_clEvENKUlN3c107complexIdEEE_clES7_.has_dyn_sized_stack)
	.set _ZN2at6native29vectorized_elementwise_kernelILi16EZZZNS0_15exp_kernel_cudaERNS_18TensorIteratorBaseEENKUlvE_clEvENKUlvE_clEvEUlN3c107complexIdEEE_St5arrayIPcLm2EEEEviT0_T1_.has_recursion, or(0, .L_ZZZZN2at6native15exp_kernel_cudaERNS_18TensorIteratorBaseEENKUlvE_clEvENKUlvE_clEvENKUlN3c107complexIdEEE_clES7_.has_recursion)
	.set _ZN2at6native29vectorized_elementwise_kernelILi16EZZZNS0_15exp_kernel_cudaERNS_18TensorIteratorBaseEENKUlvE_clEvENKUlvE_clEvEUlN3c107complexIdEEE_St5arrayIPcLm2EEEEviT0_T1_.has_indirect_call, or(0, .L_ZZZZN2at6native15exp_kernel_cudaERNS_18TensorIteratorBaseEENKUlvE_clEvENKUlvE_clEvENKUlN3c107complexIdEEE_clES7_.has_indirect_call)
	.section	.AMDGPU.csdata,"",@progbits
; Kernel info:
; codeLenInByte = 1084
; TotalNumSgprs: 54
; NumVgprs: 62
; NumAgprs: 0
; TotalNumVgprs: 62
; ScratchSize: 0
; MemoryBound: 0
; FloatMode: 240
; IeeeMode: 1
; LDSByteSize: 0 bytes/workgroup (compile time only)
; SGPRBlocks: 6
; VGPRBlocks: 7
; NumSGPRsForWavesPerEU: 54
; NumVGPRsForWavesPerEU: 62
; AccumOffset: 64
; Occupancy: 8
; WaveLimiterHint : 0
; COMPUTE_PGM_RSRC2:SCRATCH_EN: 0
; COMPUTE_PGM_RSRC2:USER_SGPR: 2
; COMPUTE_PGM_RSRC2:TRAP_HANDLER: 0
; COMPUTE_PGM_RSRC2:TGID_X_EN: 1
; COMPUTE_PGM_RSRC2:TGID_Y_EN: 0
; COMPUTE_PGM_RSRC2:TGID_Z_EN: 0
; COMPUTE_PGM_RSRC2:TIDIG_COMP_CNT: 0
; COMPUTE_PGM_RSRC3_GFX90A:ACCUM_OFFSET: 15
; COMPUTE_PGM_RSRC3_GFX90A:TG_SPLIT: 0
	.section	.text._ZN2at6native29vectorized_elementwise_kernelILi8EZZZNS0_15exp_kernel_cudaERNS_18TensorIteratorBaseEENKUlvE_clEvENKUlvE_clEvEUlN3c107complexIdEEE_St5arrayIPcLm2EEEEviT0_T1_,"axG",@progbits,_ZN2at6native29vectorized_elementwise_kernelILi8EZZZNS0_15exp_kernel_cudaERNS_18TensorIteratorBaseEENKUlvE_clEvENKUlvE_clEvEUlN3c107complexIdEEE_St5arrayIPcLm2EEEEviT0_T1_,comdat
	.globl	_ZN2at6native29vectorized_elementwise_kernelILi8EZZZNS0_15exp_kernel_cudaERNS_18TensorIteratorBaseEENKUlvE_clEvENKUlvE_clEvEUlN3c107complexIdEEE_St5arrayIPcLm2EEEEviT0_T1_ ; -- Begin function _ZN2at6native29vectorized_elementwise_kernelILi8EZZZNS0_15exp_kernel_cudaERNS_18TensorIteratorBaseEENKUlvE_clEvENKUlvE_clEvEUlN3c107complexIdEEE_St5arrayIPcLm2EEEEviT0_T1_
	.p2align	8
	.type	_ZN2at6native29vectorized_elementwise_kernelILi8EZZZNS0_15exp_kernel_cudaERNS_18TensorIteratorBaseEENKUlvE_clEvENKUlvE_clEvEUlN3c107complexIdEEE_St5arrayIPcLm2EEEEviT0_T1_,@function
_ZN2at6native29vectorized_elementwise_kernelILi8EZZZNS0_15exp_kernel_cudaERNS_18TensorIteratorBaseEENKUlvE_clEvENKUlvE_clEvEUlN3c107complexIdEEE_St5arrayIPcLm2EEEEviT0_T1_: ; @_ZN2at6native29vectorized_elementwise_kernelILi8EZZZNS0_15exp_kernel_cudaERNS_18TensorIteratorBaseEENKUlvE_clEvENKUlvE_clEvEUlN3c107complexIdEEE_St5arrayIPcLm2EEEEviT0_T1_
; %bb.0:
	s_load_dword s3, s[0:1], 0x0
	s_load_dwordx4 s[36:39], s[0:1], 0x8
	s_lshl_b32 s44, s2, 10
	v_mov_b32_e32 v34, v0
	s_mov_b64 s[0:1], -1
	s_waitcnt lgkmcnt(0)
	s_sub_i32 s33, s3, s44
	s_cmpk_gt_i32 s33, 0x3ff
	s_mov_b32 s32, 0
	s_cbranch_scc0 .LBB50_2
; %bb.1:
	s_ashr_i32 s45, s44, 31
	s_lshl_b64 s[34:35], s[44:45], 4
	s_add_u32 s0, s38, s34
	s_addc_u32 s1, s39, s35
	v_lshlrev_b32_e32 v35, 6, v34
	global_load_dwordx4 v[0:3], v35, s[0:1]
	global_load_dwordx4 v[36:39], v35, s[0:1] offset:16
	global_load_dwordx4 v[40:43], v35, s[0:1] offset:48
	;; [unrolled: 1-line block ×3, first 2 shown]
	s_getpc_b64 s[46:47]
	s_add_u32 s46, s46, _ZZZZN2at6native15exp_kernel_cudaERNS_18TensorIteratorBaseEENKUlvE_clEvENKUlvE_clEvENKUlN3c107complexIdEEE_clES7_@rel32@lo+4
	s_addc_u32 s47, s47, _ZZZZN2at6native15exp_kernel_cudaERNS_18TensorIteratorBaseEENKUlvE_clEvENKUlvE_clEvENKUlN3c107complexIdEEE_clES7_@rel32@hi+12
	s_swappc_b64 s[30:31], s[46:47]
	v_mov_b32_e32 v48, v0
	v_mov_b32_e32 v49, v1
	v_mov_b32_e32 v50, v2
	v_mov_b32_e32 v51, v3
	v_mov_b32_e32 v0, v36
	v_mov_b32_e32 v1, v37
	v_mov_b32_e32 v2, v38
	v_mov_b32_e32 v3, v39
	s_swappc_b64 s[30:31], s[46:47]
	v_mov_b32_e32 v36, v0
	v_mov_b32_e32 v37, v1
	v_mov_b32_e32 v38, v2
	v_mov_b32_e32 v39, v3
	v_mov_b32_e32 v0, v44
	v_mov_b32_e32 v1, v45
	v_mov_b32_e32 v2, v46
	v_mov_b32_e32 v3, v47
	;; [unrolled: 9-line block ×3, first 2 shown]
	s_swappc_b64 s[30:31], s[46:47]
	s_add_u32 s0, s36, s34
	s_addc_u32 s1, s37, s35
	global_store_dwordx4 v35, v[48:51], s[0:1]
	global_store_dwordx4 v35, v[36:39], s[0:1] offset:16
	global_store_dwordx4 v35, v[44:47], s[0:1] offset:32
	global_store_dwordx4 v35, v[0:3], s[0:1] offset:48
	s_mov_b64 s[0:1], 0
.LBB50_2:
	s_andn2_b64 vcc, exec, s[0:1]
	s_cbranch_vccnz .LBB50_23
; %bb.3:
	v_cmp_gt_i32_e64 s[34:35], s33, v34
	v_mov_b64_e32 v[44:45], 0
	v_or_b32_e32 v60, s44, v34
	v_mov_b64_e32 v[0:1], 0
	v_mov_b64_e32 v[2:3], 0
	v_mov_b32_e32 v4, v34
	s_and_saveexec_b64 s[0:1], s[34:35]
	s_cbranch_execz .LBB50_5
; %bb.4:
	v_mov_b32_e32 v61, 0
	v_lshl_add_u64 v[0:1], v[60:61], 4, s[38:39]
	global_load_dwordx4 v[0:3], v[0:1], off
	v_or_b32_e32 v4, 0x100, v34
.LBB50_5:
	s_or_b64 exec, exec, s[0:1]
	v_cmp_gt_i32_e32 vcc, s33, v4
	v_mov_b64_e32 v[46:47], 0
	s_and_saveexec_b64 s[0:1], vcc
	s_cbranch_execz .LBB50_7
; %bb.6:
	v_add_u32_e32 v6, s44, v4
	v_mov_b32_e32 v7, 0
	v_lshl_add_u64 v[6:7], v[6:7], 4, s[38:39]
	global_load_dwordx4 v[44:47], v[6:7], off
	v_add_u32_e32 v4, 0x100, v4
.LBB50_7:
	s_or_b64 exec, exec, s[0:1]
	v_cmp_gt_i32_e32 vcc, s33, v4
	v_mov_b64_e32 v[36:37], 0
	v_mov_b64_e32 v[52:53], 0
	;; [unrolled: 1-line block ×3, first 2 shown]
	s_and_saveexec_b64 s[0:1], vcc
	s_cbranch_execz .LBB50_9
; %bb.8:
	v_add_u32_e32 v6, s44, v4
	v_mov_b32_e32 v7, 0
	v_lshl_add_u64 v[6:7], v[6:7], 4, s[38:39]
	global_load_dwordx4 v[52:55], v[6:7], off
	v_add_u32_e32 v4, 0x100, v4
.LBB50_9:
	s_or_b64 exec, exec, s[0:1]
	v_cmp_gt_i32_e32 vcc, s33, v4
	v_mov_b64_e32 v[38:39], 0
	s_and_saveexec_b64 s[0:1], vcc
	s_cbranch_execz .LBB50_11
; %bb.10:
	v_add_u32_e32 v4, s44, v4
	v_mov_b32_e32 v5, 0
	v_lshl_add_u64 v[4:5], v[4:5], 4, s[38:39]
	global_load_dwordx4 v[36:39], v[4:5], off
.LBB50_11:
	s_or_b64 exec, exec, s[0:1]
	v_mov_b64_e32 v[42:43], 0
	v_mov_b64_e32 v[50:51], 0
	;; [unrolled: 1-line block ×3, first 2 shown]
	s_and_saveexec_b64 s[38:39], s[34:35]
	s_cbranch_execz .LBB50_13
; %bb.12:
	s_getpc_b64 s[0:1]
	s_add_u32 s0, s0, _ZZZZN2at6native15exp_kernel_cudaERNS_18TensorIteratorBaseEENKUlvE_clEvENKUlvE_clEvENKUlN3c107complexIdEEE_clES7_@rel32@lo+4
	s_addc_u32 s1, s1, _ZZZZN2at6native15exp_kernel_cudaERNS_18TensorIteratorBaseEENKUlvE_clEvENKUlvE_clEvENKUlN3c107complexIdEEE_clES7_@rel32@hi+12
	s_swappc_b64 s[30:31], s[0:1]
	v_mov_b32_e32 v48, v0
	v_mov_b32_e32 v49, v1
	;; [unrolled: 1-line block ×4, first 2 shown]
.LBB50_13:
	s_or_b64 exec, exec, s[38:39]
	v_or_b32_e32 v35, 0x100, v34
	v_cmp_gt_i32_e32 vcc, s33, v35
	v_mov_b64_e32 v[40:41], 0
	s_and_saveexec_b64 s[38:39], vcc
	s_cbranch_execz .LBB50_15
; %bb.14:
	s_getpc_b64 s[0:1]
	s_add_u32 s0, s0, _ZZZZN2at6native15exp_kernel_cudaERNS_18TensorIteratorBaseEENKUlvE_clEvENKUlvE_clEvENKUlN3c107complexIdEEE_clES7_@rel32@lo+4
	s_addc_u32 s1, s1, _ZZZZN2at6native15exp_kernel_cudaERNS_18TensorIteratorBaseEENKUlvE_clEvENKUlvE_clEvENKUlN3c107complexIdEEE_clES7_@rel32@hi+12
	s_waitcnt vmcnt(0)
	v_mov_b32_e32 v0, v44
	v_mov_b32_e32 v1, v45
	;; [unrolled: 1-line block ×4, first 2 shown]
	s_swappc_b64 s[30:31], s[0:1]
	v_mov_b32_e32 v40, v0
	v_mov_b32_e32 v41, v1
	;; [unrolled: 1-line block ×4, first 2 shown]
.LBB50_15:
	s_or_b64 exec, exec, s[38:39]
	s_waitcnt vmcnt(0)
	v_or_b32_e32 v0, 0x200, v34
	v_cmp_gt_i32_e32 vcc, s33, v0
	v_mov_b64_e32 v[46:47], 0
	v_mov_b64_e32 v[58:59], 0
	v_mov_b64_e32 v[56:57], 0
	s_and_saveexec_b64 s[38:39], vcc
	s_cbranch_execz .LBB50_17
; %bb.16:
	s_getpc_b64 s[0:1]
	s_add_u32 s0, s0, _ZZZZN2at6native15exp_kernel_cudaERNS_18TensorIteratorBaseEENKUlvE_clEvENKUlvE_clEvENKUlN3c107complexIdEEE_clES7_@rel32@lo+4
	s_addc_u32 s1, s1, _ZZZZN2at6native15exp_kernel_cudaERNS_18TensorIteratorBaseEENKUlvE_clEvENKUlvE_clEvENKUlN3c107complexIdEEE_clES7_@rel32@hi+12
	v_mov_b32_e32 v0, v52
	v_mov_b32_e32 v1, v53
	;; [unrolled: 1-line block ×4, first 2 shown]
	s_swappc_b64 s[30:31], s[0:1]
	v_mov_b32_e32 v56, v0
	v_mov_b32_e32 v57, v1
	;; [unrolled: 1-line block ×4, first 2 shown]
.LBB50_17:
	s_or_b64 exec, exec, s[38:39]
	v_or_b32_e32 v0, 0x300, v34
	v_cmp_gt_i32_e32 vcc, s33, v0
	v_mov_b64_e32 v[44:45], 0
	s_and_saveexec_b64 s[38:39], vcc
	s_cbranch_execnz .LBB50_24
; %bb.18:
	s_or_b64 exec, exec, s[38:39]
	s_and_saveexec_b64 s[0:1], s[34:35]
	s_xor_b64 s[0:1], exec, s[0:1]
	s_cbranch_execnz .LBB50_25
.LBB50_19:
	s_or_b64 exec, exec, s[0:1]
	v_cmp_gt_i32_e32 vcc, s33, v34
	s_and_saveexec_b64 s[0:1], vcc
	s_cbranch_execnz .LBB50_26
.LBB50_20:
	s_or_b64 exec, exec, s[0:1]
	v_cmp_gt_i32_e32 vcc, s33, v34
	s_and_saveexec_b64 s[0:1], vcc
	s_cbranch_execnz .LBB50_27
.LBB50_21:
	s_or_b64 exec, exec, s[0:1]
	v_cmp_gt_i32_e32 vcc, s33, v34
	s_and_saveexec_b64 s[0:1], vcc
	s_cbranch_execz .LBB50_23
.LBB50_22:
	v_add_u32_e32 v0, s44, v34
	v_mov_b32_e32 v1, 0
	v_lshl_add_u64 v[0:1], v[0:1], 4, s[36:37]
	global_store_dwordx4 v[0:1], v[44:47], off
.LBB50_23:
	s_endpgm
.LBB50_24:
	s_getpc_b64 s[0:1]
	s_add_u32 s0, s0, _ZZZZN2at6native15exp_kernel_cudaERNS_18TensorIteratorBaseEENKUlvE_clEvENKUlvE_clEvENKUlN3c107complexIdEEE_clES7_@rel32@lo+4
	s_addc_u32 s1, s1, _ZZZZN2at6native15exp_kernel_cudaERNS_18TensorIteratorBaseEENKUlvE_clEvENKUlvE_clEvENKUlN3c107complexIdEEE_clES7_@rel32@hi+12
	v_mov_b32_e32 v0, v36
	v_mov_b32_e32 v1, v37
	;; [unrolled: 1-line block ×4, first 2 shown]
	s_swappc_b64 s[30:31], s[0:1]
	v_mov_b32_e32 v44, v0
	v_mov_b32_e32 v45, v1
	;; [unrolled: 1-line block ×4, first 2 shown]
	s_or_b64 exec, exec, s[38:39]
	s_and_saveexec_b64 s[0:1], s[34:35]
	s_xor_b64 s[0:1], exec, s[0:1]
	s_cbranch_execz .LBB50_19
.LBB50_25:
	v_mov_b32_e32 v61, 0
	v_lshl_add_u64 v[0:1], v[60:61], 4, s[36:37]
	v_mov_b32_e32 v34, v35
	global_store_dwordx4 v[0:1], v[48:51], off
	s_or_b64 exec, exec, s[0:1]
	v_cmp_gt_i32_e32 vcc, s33, v34
	s_and_saveexec_b64 s[0:1], vcc
	s_cbranch_execz .LBB50_20
.LBB50_26:
	v_add_u32_e32 v0, s44, v34
	v_mov_b32_e32 v1, 0
	v_lshl_add_u64 v[0:1], v[0:1], 4, s[36:37]
	v_add_u32_e32 v34, 0x100, v34
	global_store_dwordx4 v[0:1], v[40:43], off
	s_or_b64 exec, exec, s[0:1]
	v_cmp_gt_i32_e32 vcc, s33, v34
	s_and_saveexec_b64 s[0:1], vcc
	s_cbranch_execz .LBB50_21
.LBB50_27:
	v_add_u32_e32 v0, s44, v34
	v_mov_b32_e32 v1, 0
	v_lshl_add_u64 v[0:1], v[0:1], 4, s[36:37]
	v_add_u32_e32 v34, 0x100, v34
	global_store_dwordx4 v[0:1], v[56:59], off
	s_or_b64 exec, exec, s[0:1]
	v_cmp_gt_i32_e32 vcc, s33, v34
	s_and_saveexec_b64 s[0:1], vcc
	s_cbranch_execnz .LBB50_22
	s_branch .LBB50_23
	.section	.rodata,"a",@progbits
	.p2align	6, 0x0
	.amdhsa_kernel _ZN2at6native29vectorized_elementwise_kernelILi8EZZZNS0_15exp_kernel_cudaERNS_18TensorIteratorBaseEENKUlvE_clEvENKUlvE_clEvEUlN3c107complexIdEEE_St5arrayIPcLm2EEEEviT0_T1_
		.amdhsa_group_segment_fixed_size 0
		.amdhsa_private_segment_fixed_size 0
		.amdhsa_kernarg_size 24
		.amdhsa_user_sgpr_count 2
		.amdhsa_user_sgpr_dispatch_ptr 0
		.amdhsa_user_sgpr_queue_ptr 0
		.amdhsa_user_sgpr_kernarg_segment_ptr 1
		.amdhsa_user_sgpr_dispatch_id 0
		.amdhsa_user_sgpr_kernarg_preload_length 0
		.amdhsa_user_sgpr_kernarg_preload_offset 0
		.amdhsa_user_sgpr_private_segment_size 0
		.amdhsa_uses_dynamic_stack 0
		.amdhsa_enable_private_segment 0
		.amdhsa_system_sgpr_workgroup_id_x 1
		.amdhsa_system_sgpr_workgroup_id_y 0
		.amdhsa_system_sgpr_workgroup_id_z 0
		.amdhsa_system_sgpr_workgroup_info 0
		.amdhsa_system_vgpr_workitem_id 0
		.amdhsa_next_free_vgpr 62
		.amdhsa_next_free_sgpr 48
		.amdhsa_accum_offset 64
		.amdhsa_reserve_vcc 1
		.amdhsa_float_round_mode_32 0
		.amdhsa_float_round_mode_16_64 0
		.amdhsa_float_denorm_mode_32 3
		.amdhsa_float_denorm_mode_16_64 3
		.amdhsa_dx10_clamp 1
		.amdhsa_ieee_mode 1
		.amdhsa_fp16_overflow 0
		.amdhsa_tg_split 0
		.amdhsa_exception_fp_ieee_invalid_op 0
		.amdhsa_exception_fp_denorm_src 0
		.amdhsa_exception_fp_ieee_div_zero 0
		.amdhsa_exception_fp_ieee_overflow 0
		.amdhsa_exception_fp_ieee_underflow 0
		.amdhsa_exception_fp_ieee_inexact 0
		.amdhsa_exception_int_div_zero 0
	.end_amdhsa_kernel
	.section	.text._ZN2at6native29vectorized_elementwise_kernelILi8EZZZNS0_15exp_kernel_cudaERNS_18TensorIteratorBaseEENKUlvE_clEvENKUlvE_clEvEUlN3c107complexIdEEE_St5arrayIPcLm2EEEEviT0_T1_,"axG",@progbits,_ZN2at6native29vectorized_elementwise_kernelILi8EZZZNS0_15exp_kernel_cudaERNS_18TensorIteratorBaseEENKUlvE_clEvENKUlvE_clEvEUlN3c107complexIdEEE_St5arrayIPcLm2EEEEviT0_T1_,comdat
.Lfunc_end50:
	.size	_ZN2at6native29vectorized_elementwise_kernelILi8EZZZNS0_15exp_kernel_cudaERNS_18TensorIteratorBaseEENKUlvE_clEvENKUlvE_clEvEUlN3c107complexIdEEE_St5arrayIPcLm2EEEEviT0_T1_, .Lfunc_end50-_ZN2at6native29vectorized_elementwise_kernelILi8EZZZNS0_15exp_kernel_cudaERNS_18TensorIteratorBaseEENKUlvE_clEvENKUlvE_clEvEUlN3c107complexIdEEE_St5arrayIPcLm2EEEEviT0_T1_
                                        ; -- End function
	.set _ZN2at6native29vectorized_elementwise_kernelILi8EZZZNS0_15exp_kernel_cudaERNS_18TensorIteratorBaseEENKUlvE_clEvENKUlvE_clEvEUlN3c107complexIdEEE_St5arrayIPcLm2EEEEviT0_T1_.num_vgpr, max(62, .L_ZZZZN2at6native15exp_kernel_cudaERNS_18TensorIteratorBaseEENKUlvE_clEvENKUlvE_clEvENKUlN3c107complexIdEEE_clES7_.num_vgpr)
	.set _ZN2at6native29vectorized_elementwise_kernelILi8EZZZNS0_15exp_kernel_cudaERNS_18TensorIteratorBaseEENKUlvE_clEvENKUlvE_clEvEUlN3c107complexIdEEE_St5arrayIPcLm2EEEEviT0_T1_.num_agpr, max(0, .L_ZZZZN2at6native15exp_kernel_cudaERNS_18TensorIteratorBaseEENKUlvE_clEvENKUlvE_clEvENKUlN3c107complexIdEEE_clES7_.num_agpr)
	.set _ZN2at6native29vectorized_elementwise_kernelILi8EZZZNS0_15exp_kernel_cudaERNS_18TensorIteratorBaseEENKUlvE_clEvENKUlvE_clEvEUlN3c107complexIdEEE_St5arrayIPcLm2EEEEviT0_T1_.numbered_sgpr, max(48, .L_ZZZZN2at6native15exp_kernel_cudaERNS_18TensorIteratorBaseEENKUlvE_clEvENKUlvE_clEvENKUlN3c107complexIdEEE_clES7_.numbered_sgpr)
	.set _ZN2at6native29vectorized_elementwise_kernelILi8EZZZNS0_15exp_kernel_cudaERNS_18TensorIteratorBaseEENKUlvE_clEvENKUlvE_clEvEUlN3c107complexIdEEE_St5arrayIPcLm2EEEEviT0_T1_.num_named_barrier, max(0, .L_ZZZZN2at6native15exp_kernel_cudaERNS_18TensorIteratorBaseEENKUlvE_clEvENKUlvE_clEvENKUlN3c107complexIdEEE_clES7_.num_named_barrier)
	.set _ZN2at6native29vectorized_elementwise_kernelILi8EZZZNS0_15exp_kernel_cudaERNS_18TensorIteratorBaseEENKUlvE_clEvENKUlvE_clEvEUlN3c107complexIdEEE_St5arrayIPcLm2EEEEviT0_T1_.private_seg_size, 0+max(.L_ZZZZN2at6native15exp_kernel_cudaERNS_18TensorIteratorBaseEENKUlvE_clEvENKUlvE_clEvENKUlN3c107complexIdEEE_clES7_.private_seg_size)
	.set _ZN2at6native29vectorized_elementwise_kernelILi8EZZZNS0_15exp_kernel_cudaERNS_18TensorIteratorBaseEENKUlvE_clEvENKUlvE_clEvEUlN3c107complexIdEEE_St5arrayIPcLm2EEEEviT0_T1_.uses_vcc, or(1, .L_ZZZZN2at6native15exp_kernel_cudaERNS_18TensorIteratorBaseEENKUlvE_clEvENKUlvE_clEvENKUlN3c107complexIdEEE_clES7_.uses_vcc)
	.set _ZN2at6native29vectorized_elementwise_kernelILi8EZZZNS0_15exp_kernel_cudaERNS_18TensorIteratorBaseEENKUlvE_clEvENKUlvE_clEvEUlN3c107complexIdEEE_St5arrayIPcLm2EEEEviT0_T1_.uses_flat_scratch, or(0, .L_ZZZZN2at6native15exp_kernel_cudaERNS_18TensorIteratorBaseEENKUlvE_clEvENKUlvE_clEvENKUlN3c107complexIdEEE_clES7_.uses_flat_scratch)
	.set _ZN2at6native29vectorized_elementwise_kernelILi8EZZZNS0_15exp_kernel_cudaERNS_18TensorIteratorBaseEENKUlvE_clEvENKUlvE_clEvEUlN3c107complexIdEEE_St5arrayIPcLm2EEEEviT0_T1_.has_dyn_sized_stack, or(0, .L_ZZZZN2at6native15exp_kernel_cudaERNS_18TensorIteratorBaseEENKUlvE_clEvENKUlvE_clEvENKUlN3c107complexIdEEE_clES7_.has_dyn_sized_stack)
	.set _ZN2at6native29vectorized_elementwise_kernelILi8EZZZNS0_15exp_kernel_cudaERNS_18TensorIteratorBaseEENKUlvE_clEvENKUlvE_clEvEUlN3c107complexIdEEE_St5arrayIPcLm2EEEEviT0_T1_.has_recursion, or(0, .L_ZZZZN2at6native15exp_kernel_cudaERNS_18TensorIteratorBaseEENKUlvE_clEvENKUlvE_clEvENKUlN3c107complexIdEEE_clES7_.has_recursion)
	.set _ZN2at6native29vectorized_elementwise_kernelILi8EZZZNS0_15exp_kernel_cudaERNS_18TensorIteratorBaseEENKUlvE_clEvENKUlvE_clEvEUlN3c107complexIdEEE_St5arrayIPcLm2EEEEviT0_T1_.has_indirect_call, or(0, .L_ZZZZN2at6native15exp_kernel_cudaERNS_18TensorIteratorBaseEENKUlvE_clEvENKUlvE_clEvENKUlN3c107complexIdEEE_clES7_.has_indirect_call)
	.section	.AMDGPU.csdata,"",@progbits
; Kernel info:
; codeLenInByte = 1084
; TotalNumSgprs: 54
; NumVgprs: 62
; NumAgprs: 0
; TotalNumVgprs: 62
; ScratchSize: 0
; MemoryBound: 0
; FloatMode: 240
; IeeeMode: 1
; LDSByteSize: 0 bytes/workgroup (compile time only)
; SGPRBlocks: 6
; VGPRBlocks: 7
; NumSGPRsForWavesPerEU: 54
; NumVGPRsForWavesPerEU: 62
; AccumOffset: 64
; Occupancy: 8
; WaveLimiterHint : 0
; COMPUTE_PGM_RSRC2:SCRATCH_EN: 0
; COMPUTE_PGM_RSRC2:USER_SGPR: 2
; COMPUTE_PGM_RSRC2:TRAP_HANDLER: 0
; COMPUTE_PGM_RSRC2:TGID_X_EN: 1
; COMPUTE_PGM_RSRC2:TGID_Y_EN: 0
; COMPUTE_PGM_RSRC2:TGID_Z_EN: 0
; COMPUTE_PGM_RSRC2:TIDIG_COMP_CNT: 0
; COMPUTE_PGM_RSRC3_GFX90A:ACCUM_OFFSET: 15
; COMPUTE_PGM_RSRC3_GFX90A:TG_SPLIT: 0
	.section	.text._ZN2at6native29vectorized_elementwise_kernelILi4EZZZNS0_15exp_kernel_cudaERNS_18TensorIteratorBaseEENKUlvE_clEvENKUlvE_clEvEUlN3c107complexIdEEE_St5arrayIPcLm2EEEEviT0_T1_,"axG",@progbits,_ZN2at6native29vectorized_elementwise_kernelILi4EZZZNS0_15exp_kernel_cudaERNS_18TensorIteratorBaseEENKUlvE_clEvENKUlvE_clEvEUlN3c107complexIdEEE_St5arrayIPcLm2EEEEviT0_T1_,comdat
	.globl	_ZN2at6native29vectorized_elementwise_kernelILi4EZZZNS0_15exp_kernel_cudaERNS_18TensorIteratorBaseEENKUlvE_clEvENKUlvE_clEvEUlN3c107complexIdEEE_St5arrayIPcLm2EEEEviT0_T1_ ; -- Begin function _ZN2at6native29vectorized_elementwise_kernelILi4EZZZNS0_15exp_kernel_cudaERNS_18TensorIteratorBaseEENKUlvE_clEvENKUlvE_clEvEUlN3c107complexIdEEE_St5arrayIPcLm2EEEEviT0_T1_
	.p2align	8
	.type	_ZN2at6native29vectorized_elementwise_kernelILi4EZZZNS0_15exp_kernel_cudaERNS_18TensorIteratorBaseEENKUlvE_clEvENKUlvE_clEvEUlN3c107complexIdEEE_St5arrayIPcLm2EEEEviT0_T1_,@function
_ZN2at6native29vectorized_elementwise_kernelILi4EZZZNS0_15exp_kernel_cudaERNS_18TensorIteratorBaseEENKUlvE_clEvENKUlvE_clEvEUlN3c107complexIdEEE_St5arrayIPcLm2EEEEviT0_T1_: ; @_ZN2at6native29vectorized_elementwise_kernelILi4EZZZNS0_15exp_kernel_cudaERNS_18TensorIteratorBaseEENKUlvE_clEvENKUlvE_clEvEUlN3c107complexIdEEE_St5arrayIPcLm2EEEEviT0_T1_
; %bb.0:
	s_load_dword s3, s[0:1], 0x0
	s_load_dwordx4 s[36:39], s[0:1], 0x8
	s_lshl_b32 s44, s2, 10
	v_mov_b32_e32 v34, v0
	s_mov_b64 s[0:1], -1
	s_waitcnt lgkmcnt(0)
	s_sub_i32 s33, s3, s44
	s_cmpk_gt_i32 s33, 0x3ff
	s_mov_b32 s32, 0
	s_cbranch_scc0 .LBB51_2
; %bb.1:
	s_ashr_i32 s45, s44, 31
	s_lshl_b64 s[34:35], s[44:45], 4
	s_add_u32 s0, s38, s34
	s_addc_u32 s1, s39, s35
	v_lshlrev_b32_e32 v35, 6, v34
	global_load_dwordx4 v[0:3], v35, s[0:1]
	global_load_dwordx4 v[36:39], v35, s[0:1] offset:16
	global_load_dwordx4 v[40:43], v35, s[0:1] offset:48
	;; [unrolled: 1-line block ×3, first 2 shown]
	s_getpc_b64 s[46:47]
	s_add_u32 s46, s46, _ZZZZN2at6native15exp_kernel_cudaERNS_18TensorIteratorBaseEENKUlvE_clEvENKUlvE_clEvENKUlN3c107complexIdEEE_clES7_@rel32@lo+4
	s_addc_u32 s47, s47, _ZZZZN2at6native15exp_kernel_cudaERNS_18TensorIteratorBaseEENKUlvE_clEvENKUlvE_clEvENKUlN3c107complexIdEEE_clES7_@rel32@hi+12
	s_swappc_b64 s[30:31], s[46:47]
	v_mov_b32_e32 v48, v0
	v_mov_b32_e32 v49, v1
	v_mov_b32_e32 v50, v2
	v_mov_b32_e32 v51, v3
	v_mov_b32_e32 v0, v36
	v_mov_b32_e32 v1, v37
	v_mov_b32_e32 v2, v38
	v_mov_b32_e32 v3, v39
	s_swappc_b64 s[30:31], s[46:47]
	v_mov_b32_e32 v36, v0
	v_mov_b32_e32 v37, v1
	v_mov_b32_e32 v38, v2
	v_mov_b32_e32 v39, v3
	v_mov_b32_e32 v0, v44
	v_mov_b32_e32 v1, v45
	v_mov_b32_e32 v2, v46
	v_mov_b32_e32 v3, v47
	;; [unrolled: 9-line block ×3, first 2 shown]
	s_swappc_b64 s[30:31], s[46:47]
	s_add_u32 s0, s36, s34
	s_addc_u32 s1, s37, s35
	global_store_dwordx4 v35, v[48:51], s[0:1]
	global_store_dwordx4 v35, v[36:39], s[0:1] offset:16
	global_store_dwordx4 v35, v[44:47], s[0:1] offset:32
	;; [unrolled: 1-line block ×3, first 2 shown]
	s_mov_b64 s[0:1], 0
.LBB51_2:
	s_andn2_b64 vcc, exec, s[0:1]
	s_cbranch_vccnz .LBB51_23
; %bb.3:
	v_cmp_gt_i32_e64 s[34:35], s33, v34
	v_mov_b64_e32 v[44:45], 0
	v_or_b32_e32 v60, s44, v34
	v_mov_b64_e32 v[0:1], 0
	v_mov_b64_e32 v[2:3], 0
	v_mov_b32_e32 v4, v34
	s_and_saveexec_b64 s[0:1], s[34:35]
	s_cbranch_execz .LBB51_5
; %bb.4:
	v_mov_b32_e32 v61, 0
	v_lshl_add_u64 v[0:1], v[60:61], 4, s[38:39]
	global_load_dwordx4 v[0:3], v[0:1], off
	v_or_b32_e32 v4, 0x100, v34
.LBB51_5:
	s_or_b64 exec, exec, s[0:1]
	v_cmp_gt_i32_e32 vcc, s33, v4
	v_mov_b64_e32 v[46:47], 0
	s_and_saveexec_b64 s[0:1], vcc
	s_cbranch_execz .LBB51_7
; %bb.6:
	v_add_u32_e32 v6, s44, v4
	v_mov_b32_e32 v7, 0
	v_lshl_add_u64 v[6:7], v[6:7], 4, s[38:39]
	global_load_dwordx4 v[44:47], v[6:7], off
	v_add_u32_e32 v4, 0x100, v4
.LBB51_7:
	s_or_b64 exec, exec, s[0:1]
	v_cmp_gt_i32_e32 vcc, s33, v4
	v_mov_b64_e32 v[36:37], 0
	v_mov_b64_e32 v[52:53], 0
	;; [unrolled: 1-line block ×3, first 2 shown]
	s_and_saveexec_b64 s[0:1], vcc
	s_cbranch_execz .LBB51_9
; %bb.8:
	v_add_u32_e32 v6, s44, v4
	v_mov_b32_e32 v7, 0
	v_lshl_add_u64 v[6:7], v[6:7], 4, s[38:39]
	global_load_dwordx4 v[52:55], v[6:7], off
	v_add_u32_e32 v4, 0x100, v4
.LBB51_9:
	s_or_b64 exec, exec, s[0:1]
	v_cmp_gt_i32_e32 vcc, s33, v4
	v_mov_b64_e32 v[38:39], 0
	s_and_saveexec_b64 s[0:1], vcc
	s_cbranch_execz .LBB51_11
; %bb.10:
	v_add_u32_e32 v4, s44, v4
	v_mov_b32_e32 v5, 0
	v_lshl_add_u64 v[4:5], v[4:5], 4, s[38:39]
	global_load_dwordx4 v[36:39], v[4:5], off
.LBB51_11:
	s_or_b64 exec, exec, s[0:1]
	v_mov_b64_e32 v[42:43], 0
	v_mov_b64_e32 v[50:51], 0
	;; [unrolled: 1-line block ×3, first 2 shown]
	s_and_saveexec_b64 s[38:39], s[34:35]
	s_cbranch_execz .LBB51_13
; %bb.12:
	s_getpc_b64 s[0:1]
	s_add_u32 s0, s0, _ZZZZN2at6native15exp_kernel_cudaERNS_18TensorIteratorBaseEENKUlvE_clEvENKUlvE_clEvENKUlN3c107complexIdEEE_clES7_@rel32@lo+4
	s_addc_u32 s1, s1, _ZZZZN2at6native15exp_kernel_cudaERNS_18TensorIteratorBaseEENKUlvE_clEvENKUlvE_clEvENKUlN3c107complexIdEEE_clES7_@rel32@hi+12
	s_swappc_b64 s[30:31], s[0:1]
	v_mov_b32_e32 v48, v0
	v_mov_b32_e32 v49, v1
	;; [unrolled: 1-line block ×4, first 2 shown]
.LBB51_13:
	s_or_b64 exec, exec, s[38:39]
	v_or_b32_e32 v35, 0x100, v34
	v_cmp_gt_i32_e32 vcc, s33, v35
	v_mov_b64_e32 v[40:41], 0
	s_and_saveexec_b64 s[38:39], vcc
	s_cbranch_execz .LBB51_15
; %bb.14:
	s_getpc_b64 s[0:1]
	s_add_u32 s0, s0, _ZZZZN2at6native15exp_kernel_cudaERNS_18TensorIteratorBaseEENKUlvE_clEvENKUlvE_clEvENKUlN3c107complexIdEEE_clES7_@rel32@lo+4
	s_addc_u32 s1, s1, _ZZZZN2at6native15exp_kernel_cudaERNS_18TensorIteratorBaseEENKUlvE_clEvENKUlvE_clEvENKUlN3c107complexIdEEE_clES7_@rel32@hi+12
	s_waitcnt vmcnt(0)
	v_mov_b32_e32 v0, v44
	v_mov_b32_e32 v1, v45
	;; [unrolled: 1-line block ×4, first 2 shown]
	s_swappc_b64 s[30:31], s[0:1]
	v_mov_b32_e32 v40, v0
	v_mov_b32_e32 v41, v1
	;; [unrolled: 1-line block ×4, first 2 shown]
.LBB51_15:
	s_or_b64 exec, exec, s[38:39]
	s_waitcnt vmcnt(0)
	v_or_b32_e32 v0, 0x200, v34
	v_cmp_gt_i32_e32 vcc, s33, v0
	v_mov_b64_e32 v[46:47], 0
	v_mov_b64_e32 v[58:59], 0
	;; [unrolled: 1-line block ×3, first 2 shown]
	s_and_saveexec_b64 s[38:39], vcc
	s_cbranch_execz .LBB51_17
; %bb.16:
	s_getpc_b64 s[0:1]
	s_add_u32 s0, s0, _ZZZZN2at6native15exp_kernel_cudaERNS_18TensorIteratorBaseEENKUlvE_clEvENKUlvE_clEvENKUlN3c107complexIdEEE_clES7_@rel32@lo+4
	s_addc_u32 s1, s1, _ZZZZN2at6native15exp_kernel_cudaERNS_18TensorIteratorBaseEENKUlvE_clEvENKUlvE_clEvENKUlN3c107complexIdEEE_clES7_@rel32@hi+12
	v_mov_b32_e32 v0, v52
	v_mov_b32_e32 v1, v53
	;; [unrolled: 1-line block ×4, first 2 shown]
	s_swappc_b64 s[30:31], s[0:1]
	v_mov_b32_e32 v56, v0
	v_mov_b32_e32 v57, v1
	;; [unrolled: 1-line block ×4, first 2 shown]
.LBB51_17:
	s_or_b64 exec, exec, s[38:39]
	v_or_b32_e32 v0, 0x300, v34
	v_cmp_gt_i32_e32 vcc, s33, v0
	v_mov_b64_e32 v[44:45], 0
	s_and_saveexec_b64 s[38:39], vcc
	s_cbranch_execnz .LBB51_24
; %bb.18:
	s_or_b64 exec, exec, s[38:39]
	s_and_saveexec_b64 s[0:1], s[34:35]
	s_xor_b64 s[0:1], exec, s[0:1]
	s_cbranch_execnz .LBB51_25
.LBB51_19:
	s_or_b64 exec, exec, s[0:1]
	v_cmp_gt_i32_e32 vcc, s33, v34
	s_and_saveexec_b64 s[0:1], vcc
	s_cbranch_execnz .LBB51_26
.LBB51_20:
	s_or_b64 exec, exec, s[0:1]
	v_cmp_gt_i32_e32 vcc, s33, v34
	s_and_saveexec_b64 s[0:1], vcc
	s_cbranch_execnz .LBB51_27
.LBB51_21:
	s_or_b64 exec, exec, s[0:1]
	v_cmp_gt_i32_e32 vcc, s33, v34
	s_and_saveexec_b64 s[0:1], vcc
	s_cbranch_execz .LBB51_23
.LBB51_22:
	v_add_u32_e32 v0, s44, v34
	v_mov_b32_e32 v1, 0
	v_lshl_add_u64 v[0:1], v[0:1], 4, s[36:37]
	global_store_dwordx4 v[0:1], v[44:47], off
.LBB51_23:
	s_endpgm
.LBB51_24:
	s_getpc_b64 s[0:1]
	s_add_u32 s0, s0, _ZZZZN2at6native15exp_kernel_cudaERNS_18TensorIteratorBaseEENKUlvE_clEvENKUlvE_clEvENKUlN3c107complexIdEEE_clES7_@rel32@lo+4
	s_addc_u32 s1, s1, _ZZZZN2at6native15exp_kernel_cudaERNS_18TensorIteratorBaseEENKUlvE_clEvENKUlvE_clEvENKUlN3c107complexIdEEE_clES7_@rel32@hi+12
	v_mov_b32_e32 v0, v36
	v_mov_b32_e32 v1, v37
	;; [unrolled: 1-line block ×4, first 2 shown]
	s_swappc_b64 s[30:31], s[0:1]
	v_mov_b32_e32 v44, v0
	v_mov_b32_e32 v45, v1
	;; [unrolled: 1-line block ×4, first 2 shown]
	s_or_b64 exec, exec, s[38:39]
	s_and_saveexec_b64 s[0:1], s[34:35]
	s_xor_b64 s[0:1], exec, s[0:1]
	s_cbranch_execz .LBB51_19
.LBB51_25:
	v_mov_b32_e32 v61, 0
	v_lshl_add_u64 v[0:1], v[60:61], 4, s[36:37]
	v_mov_b32_e32 v34, v35
	global_store_dwordx4 v[0:1], v[48:51], off
	s_or_b64 exec, exec, s[0:1]
	v_cmp_gt_i32_e32 vcc, s33, v34
	s_and_saveexec_b64 s[0:1], vcc
	s_cbranch_execz .LBB51_20
.LBB51_26:
	v_add_u32_e32 v0, s44, v34
	v_mov_b32_e32 v1, 0
	v_lshl_add_u64 v[0:1], v[0:1], 4, s[36:37]
	v_add_u32_e32 v34, 0x100, v34
	global_store_dwordx4 v[0:1], v[40:43], off
	s_or_b64 exec, exec, s[0:1]
	v_cmp_gt_i32_e32 vcc, s33, v34
	s_and_saveexec_b64 s[0:1], vcc
	s_cbranch_execz .LBB51_21
.LBB51_27:
	v_add_u32_e32 v0, s44, v34
	v_mov_b32_e32 v1, 0
	v_lshl_add_u64 v[0:1], v[0:1], 4, s[36:37]
	v_add_u32_e32 v34, 0x100, v34
	global_store_dwordx4 v[0:1], v[56:59], off
	s_or_b64 exec, exec, s[0:1]
	v_cmp_gt_i32_e32 vcc, s33, v34
	s_and_saveexec_b64 s[0:1], vcc
	s_cbranch_execnz .LBB51_22
	s_branch .LBB51_23
	.section	.rodata,"a",@progbits
	.p2align	6, 0x0
	.amdhsa_kernel _ZN2at6native29vectorized_elementwise_kernelILi4EZZZNS0_15exp_kernel_cudaERNS_18TensorIteratorBaseEENKUlvE_clEvENKUlvE_clEvEUlN3c107complexIdEEE_St5arrayIPcLm2EEEEviT0_T1_
		.amdhsa_group_segment_fixed_size 0
		.amdhsa_private_segment_fixed_size 0
		.amdhsa_kernarg_size 24
		.amdhsa_user_sgpr_count 2
		.amdhsa_user_sgpr_dispatch_ptr 0
		.amdhsa_user_sgpr_queue_ptr 0
		.amdhsa_user_sgpr_kernarg_segment_ptr 1
		.amdhsa_user_sgpr_dispatch_id 0
		.amdhsa_user_sgpr_kernarg_preload_length 0
		.amdhsa_user_sgpr_kernarg_preload_offset 0
		.amdhsa_user_sgpr_private_segment_size 0
		.amdhsa_uses_dynamic_stack 0
		.amdhsa_enable_private_segment 0
		.amdhsa_system_sgpr_workgroup_id_x 1
		.amdhsa_system_sgpr_workgroup_id_y 0
		.amdhsa_system_sgpr_workgroup_id_z 0
		.amdhsa_system_sgpr_workgroup_info 0
		.amdhsa_system_vgpr_workitem_id 0
		.amdhsa_next_free_vgpr 62
		.amdhsa_next_free_sgpr 48
		.amdhsa_accum_offset 64
		.amdhsa_reserve_vcc 1
		.amdhsa_float_round_mode_32 0
		.amdhsa_float_round_mode_16_64 0
		.amdhsa_float_denorm_mode_32 3
		.amdhsa_float_denorm_mode_16_64 3
		.amdhsa_dx10_clamp 1
		.amdhsa_ieee_mode 1
		.amdhsa_fp16_overflow 0
		.amdhsa_tg_split 0
		.amdhsa_exception_fp_ieee_invalid_op 0
		.amdhsa_exception_fp_denorm_src 0
		.amdhsa_exception_fp_ieee_div_zero 0
		.amdhsa_exception_fp_ieee_overflow 0
		.amdhsa_exception_fp_ieee_underflow 0
		.amdhsa_exception_fp_ieee_inexact 0
		.amdhsa_exception_int_div_zero 0
	.end_amdhsa_kernel
	.section	.text._ZN2at6native29vectorized_elementwise_kernelILi4EZZZNS0_15exp_kernel_cudaERNS_18TensorIteratorBaseEENKUlvE_clEvENKUlvE_clEvEUlN3c107complexIdEEE_St5arrayIPcLm2EEEEviT0_T1_,"axG",@progbits,_ZN2at6native29vectorized_elementwise_kernelILi4EZZZNS0_15exp_kernel_cudaERNS_18TensorIteratorBaseEENKUlvE_clEvENKUlvE_clEvEUlN3c107complexIdEEE_St5arrayIPcLm2EEEEviT0_T1_,comdat
.Lfunc_end51:
	.size	_ZN2at6native29vectorized_elementwise_kernelILi4EZZZNS0_15exp_kernel_cudaERNS_18TensorIteratorBaseEENKUlvE_clEvENKUlvE_clEvEUlN3c107complexIdEEE_St5arrayIPcLm2EEEEviT0_T1_, .Lfunc_end51-_ZN2at6native29vectorized_elementwise_kernelILi4EZZZNS0_15exp_kernel_cudaERNS_18TensorIteratorBaseEENKUlvE_clEvENKUlvE_clEvEUlN3c107complexIdEEE_St5arrayIPcLm2EEEEviT0_T1_
                                        ; -- End function
	.set _ZN2at6native29vectorized_elementwise_kernelILi4EZZZNS0_15exp_kernel_cudaERNS_18TensorIteratorBaseEENKUlvE_clEvENKUlvE_clEvEUlN3c107complexIdEEE_St5arrayIPcLm2EEEEviT0_T1_.num_vgpr, max(62, .L_ZZZZN2at6native15exp_kernel_cudaERNS_18TensorIteratorBaseEENKUlvE_clEvENKUlvE_clEvENKUlN3c107complexIdEEE_clES7_.num_vgpr)
	.set _ZN2at6native29vectorized_elementwise_kernelILi4EZZZNS0_15exp_kernel_cudaERNS_18TensorIteratorBaseEENKUlvE_clEvENKUlvE_clEvEUlN3c107complexIdEEE_St5arrayIPcLm2EEEEviT0_T1_.num_agpr, max(0, .L_ZZZZN2at6native15exp_kernel_cudaERNS_18TensorIteratorBaseEENKUlvE_clEvENKUlvE_clEvENKUlN3c107complexIdEEE_clES7_.num_agpr)
	.set _ZN2at6native29vectorized_elementwise_kernelILi4EZZZNS0_15exp_kernel_cudaERNS_18TensorIteratorBaseEENKUlvE_clEvENKUlvE_clEvEUlN3c107complexIdEEE_St5arrayIPcLm2EEEEviT0_T1_.numbered_sgpr, max(48, .L_ZZZZN2at6native15exp_kernel_cudaERNS_18TensorIteratorBaseEENKUlvE_clEvENKUlvE_clEvENKUlN3c107complexIdEEE_clES7_.numbered_sgpr)
	.set _ZN2at6native29vectorized_elementwise_kernelILi4EZZZNS0_15exp_kernel_cudaERNS_18TensorIteratorBaseEENKUlvE_clEvENKUlvE_clEvEUlN3c107complexIdEEE_St5arrayIPcLm2EEEEviT0_T1_.num_named_barrier, max(0, .L_ZZZZN2at6native15exp_kernel_cudaERNS_18TensorIteratorBaseEENKUlvE_clEvENKUlvE_clEvENKUlN3c107complexIdEEE_clES7_.num_named_barrier)
	.set _ZN2at6native29vectorized_elementwise_kernelILi4EZZZNS0_15exp_kernel_cudaERNS_18TensorIteratorBaseEENKUlvE_clEvENKUlvE_clEvEUlN3c107complexIdEEE_St5arrayIPcLm2EEEEviT0_T1_.private_seg_size, 0+max(.L_ZZZZN2at6native15exp_kernel_cudaERNS_18TensorIteratorBaseEENKUlvE_clEvENKUlvE_clEvENKUlN3c107complexIdEEE_clES7_.private_seg_size)
	.set _ZN2at6native29vectorized_elementwise_kernelILi4EZZZNS0_15exp_kernel_cudaERNS_18TensorIteratorBaseEENKUlvE_clEvENKUlvE_clEvEUlN3c107complexIdEEE_St5arrayIPcLm2EEEEviT0_T1_.uses_vcc, or(1, .L_ZZZZN2at6native15exp_kernel_cudaERNS_18TensorIteratorBaseEENKUlvE_clEvENKUlvE_clEvENKUlN3c107complexIdEEE_clES7_.uses_vcc)
	.set _ZN2at6native29vectorized_elementwise_kernelILi4EZZZNS0_15exp_kernel_cudaERNS_18TensorIteratorBaseEENKUlvE_clEvENKUlvE_clEvEUlN3c107complexIdEEE_St5arrayIPcLm2EEEEviT0_T1_.uses_flat_scratch, or(0, .L_ZZZZN2at6native15exp_kernel_cudaERNS_18TensorIteratorBaseEENKUlvE_clEvENKUlvE_clEvENKUlN3c107complexIdEEE_clES7_.uses_flat_scratch)
	.set _ZN2at6native29vectorized_elementwise_kernelILi4EZZZNS0_15exp_kernel_cudaERNS_18TensorIteratorBaseEENKUlvE_clEvENKUlvE_clEvEUlN3c107complexIdEEE_St5arrayIPcLm2EEEEviT0_T1_.has_dyn_sized_stack, or(0, .L_ZZZZN2at6native15exp_kernel_cudaERNS_18TensorIteratorBaseEENKUlvE_clEvENKUlvE_clEvENKUlN3c107complexIdEEE_clES7_.has_dyn_sized_stack)
	.set _ZN2at6native29vectorized_elementwise_kernelILi4EZZZNS0_15exp_kernel_cudaERNS_18TensorIteratorBaseEENKUlvE_clEvENKUlvE_clEvEUlN3c107complexIdEEE_St5arrayIPcLm2EEEEviT0_T1_.has_recursion, or(0, .L_ZZZZN2at6native15exp_kernel_cudaERNS_18TensorIteratorBaseEENKUlvE_clEvENKUlvE_clEvENKUlN3c107complexIdEEE_clES7_.has_recursion)
	.set _ZN2at6native29vectorized_elementwise_kernelILi4EZZZNS0_15exp_kernel_cudaERNS_18TensorIteratorBaseEENKUlvE_clEvENKUlvE_clEvEUlN3c107complexIdEEE_St5arrayIPcLm2EEEEviT0_T1_.has_indirect_call, or(0, .L_ZZZZN2at6native15exp_kernel_cudaERNS_18TensorIteratorBaseEENKUlvE_clEvENKUlvE_clEvENKUlN3c107complexIdEEE_clES7_.has_indirect_call)
	.section	.AMDGPU.csdata,"",@progbits
; Kernel info:
; codeLenInByte = 1084
; TotalNumSgprs: 54
; NumVgprs: 62
; NumAgprs: 0
; TotalNumVgprs: 62
; ScratchSize: 0
; MemoryBound: 0
; FloatMode: 240
; IeeeMode: 1
; LDSByteSize: 0 bytes/workgroup (compile time only)
; SGPRBlocks: 6
; VGPRBlocks: 7
; NumSGPRsForWavesPerEU: 54
; NumVGPRsForWavesPerEU: 62
; AccumOffset: 64
; Occupancy: 8
; WaveLimiterHint : 0
; COMPUTE_PGM_RSRC2:SCRATCH_EN: 0
; COMPUTE_PGM_RSRC2:USER_SGPR: 2
; COMPUTE_PGM_RSRC2:TRAP_HANDLER: 0
; COMPUTE_PGM_RSRC2:TGID_X_EN: 1
; COMPUTE_PGM_RSRC2:TGID_Y_EN: 0
; COMPUTE_PGM_RSRC2:TGID_Z_EN: 0
; COMPUTE_PGM_RSRC2:TIDIG_COMP_CNT: 0
; COMPUTE_PGM_RSRC3_GFX90A:ACCUM_OFFSET: 15
; COMPUTE_PGM_RSRC3_GFX90A:TG_SPLIT: 0
	.section	.text._ZN2at6native29vectorized_elementwise_kernelILi2EZZZNS0_15exp_kernel_cudaERNS_18TensorIteratorBaseEENKUlvE_clEvENKUlvE_clEvEUlN3c107complexIdEEE_St5arrayIPcLm2EEEEviT0_T1_,"axG",@progbits,_ZN2at6native29vectorized_elementwise_kernelILi2EZZZNS0_15exp_kernel_cudaERNS_18TensorIteratorBaseEENKUlvE_clEvENKUlvE_clEvEUlN3c107complexIdEEE_St5arrayIPcLm2EEEEviT0_T1_,comdat
	.globl	_ZN2at6native29vectorized_elementwise_kernelILi2EZZZNS0_15exp_kernel_cudaERNS_18TensorIteratorBaseEENKUlvE_clEvENKUlvE_clEvEUlN3c107complexIdEEE_St5arrayIPcLm2EEEEviT0_T1_ ; -- Begin function _ZN2at6native29vectorized_elementwise_kernelILi2EZZZNS0_15exp_kernel_cudaERNS_18TensorIteratorBaseEENKUlvE_clEvENKUlvE_clEvEUlN3c107complexIdEEE_St5arrayIPcLm2EEEEviT0_T1_
	.p2align	8
	.type	_ZN2at6native29vectorized_elementwise_kernelILi2EZZZNS0_15exp_kernel_cudaERNS_18TensorIteratorBaseEENKUlvE_clEvENKUlvE_clEvEUlN3c107complexIdEEE_St5arrayIPcLm2EEEEviT0_T1_,@function
_ZN2at6native29vectorized_elementwise_kernelILi2EZZZNS0_15exp_kernel_cudaERNS_18TensorIteratorBaseEENKUlvE_clEvENKUlvE_clEvEUlN3c107complexIdEEE_St5arrayIPcLm2EEEEviT0_T1_: ; @_ZN2at6native29vectorized_elementwise_kernelILi2EZZZNS0_15exp_kernel_cudaERNS_18TensorIteratorBaseEENKUlvE_clEvENKUlvE_clEvEUlN3c107complexIdEEE_St5arrayIPcLm2EEEEviT0_T1_
; %bb.0:
	s_load_dword s3, s[0:1], 0x0
	s_load_dwordx4 s[36:39], s[0:1], 0x8
	s_lshl_b32 s44, s2, 10
	v_mov_b32_e32 v34, v0
	s_mov_b64 s[0:1], -1
	s_waitcnt lgkmcnt(0)
	s_sub_i32 s33, s3, s44
	s_cmpk_gt_i32 s33, 0x3ff
	s_mov_b32 s32, 0
	s_cbranch_scc0 .LBB52_2
; %bb.1:
	s_ashr_i32 s45, s44, 31
	s_lshl_b64 s[34:35], s[44:45], 4
	s_add_u32 s0, s38, s34
	s_addc_u32 s1, s39, s35
	v_lshlrev_b32_e32 v52, 5, v34
	v_mov_b32_e32 v53, 0
	v_lshl_add_u64 v[4:5], s[0:1], 0, v[52:53]
	global_load_dwordx4 v[36:39], v52, s[0:1] offset:16
	global_load_dwordx4 v[0:3], v52, s[0:1]
	s_mov_b64 s[0:1], 0x2000
	v_lshl_add_u64 v[6:7], v[4:5], 0, s[0:1]
	s_movk_i32 s0, 0x2000
	v_add_co_u32_e32 v4, vcc, s0, v4
	s_getpc_b64 s[46:47]
	s_add_u32 s46, s46, _ZZZZN2at6native15exp_kernel_cudaERNS_18TensorIteratorBaseEENKUlvE_clEvENKUlvE_clEvENKUlN3c107complexIdEEE_clES7_@rel32@lo+4
	s_addc_u32 s47, s47, _ZZZZN2at6native15exp_kernel_cudaERNS_18TensorIteratorBaseEENKUlvE_clEvENKUlvE_clEvENKUlN3c107complexIdEEE_clES7_@rel32@hi+12
	v_addc_co_u32_e32 v5, vcc, 0, v5, vcc
	global_load_dwordx4 v[40:43], v[4:5], off
	global_load_dwordx4 v[44:47], v[6:7], off offset:16
	s_swappc_b64 s[30:31], s[46:47]
	v_mov_b32_e32 v48, v0
	v_mov_b32_e32 v49, v1
	v_mov_b32_e32 v50, v2
	v_mov_b32_e32 v51, v3
	v_mov_b32_e32 v0, v36
	v_mov_b32_e32 v1, v37
	v_mov_b32_e32 v2, v38
	v_mov_b32_e32 v3, v39
	s_swappc_b64 s[30:31], s[46:47]
	v_mov_b32_e32 v36, v0
	v_mov_b32_e32 v37, v1
	v_mov_b32_e32 v38, v2
	v_mov_b32_e32 v39, v3
	v_mov_b32_e32 v0, v40
	v_mov_b32_e32 v1, v41
	v_mov_b32_e32 v2, v42
	v_mov_b32_e32 v3, v43
	;; [unrolled: 9-line block ×3, first 2 shown]
	s_swappc_b64 s[30:31], s[46:47]
	s_add_u32 s0, s36, s34
	s_addc_u32 s1, s37, s35
	v_lshl_add_u64 v[4:5], s[0:1], 0, v[52:53]
	v_add_co_u32_e32 v4, vcc, 0x2000, v4
	global_store_dwordx4 v52, v[48:51], s[0:1]
	global_store_dwordx4 v52, v[36:39], s[0:1] offset:16
	v_addc_co_u32_e32 v5, vcc, 0, v5, vcc
	global_store_dwordx4 v[4:5], v[40:43], off
	global_store_dwordx4 v[4:5], v[0:3], off offset:16
	s_mov_b64 s[0:1], 0
.LBB52_2:
	s_andn2_b64 vcc, exec, s[0:1]
	s_cbranch_vccnz .LBB52_23
; %bb.3:
	v_cmp_gt_i32_e64 s[34:35], s33, v34
	v_mov_b64_e32 v[44:45], 0
	v_or_b32_e32 v60, s44, v34
	v_mov_b64_e32 v[0:1], 0
	v_mov_b64_e32 v[2:3], 0
	v_mov_b32_e32 v4, v34
	s_and_saveexec_b64 s[0:1], s[34:35]
	s_cbranch_execz .LBB52_5
; %bb.4:
	v_mov_b32_e32 v61, 0
	v_lshl_add_u64 v[0:1], v[60:61], 4, s[38:39]
	global_load_dwordx4 v[0:3], v[0:1], off
	v_or_b32_e32 v4, 0x100, v34
.LBB52_5:
	s_or_b64 exec, exec, s[0:1]
	v_cmp_gt_i32_e32 vcc, s33, v4
	v_mov_b64_e32 v[46:47], 0
	s_and_saveexec_b64 s[0:1], vcc
	s_cbranch_execz .LBB52_7
; %bb.6:
	v_add_u32_e32 v6, s44, v4
	v_mov_b32_e32 v7, 0
	v_lshl_add_u64 v[6:7], v[6:7], 4, s[38:39]
	global_load_dwordx4 v[44:47], v[6:7], off
	v_add_u32_e32 v4, 0x100, v4
.LBB52_7:
	s_or_b64 exec, exec, s[0:1]
	v_cmp_gt_i32_e32 vcc, s33, v4
	v_mov_b64_e32 v[36:37], 0
	v_mov_b64_e32 v[52:53], 0
	;; [unrolled: 1-line block ×3, first 2 shown]
	s_and_saveexec_b64 s[0:1], vcc
	s_cbranch_execz .LBB52_9
; %bb.8:
	v_add_u32_e32 v6, s44, v4
	v_mov_b32_e32 v7, 0
	v_lshl_add_u64 v[6:7], v[6:7], 4, s[38:39]
	global_load_dwordx4 v[52:55], v[6:7], off
	v_add_u32_e32 v4, 0x100, v4
.LBB52_9:
	s_or_b64 exec, exec, s[0:1]
	v_cmp_gt_i32_e32 vcc, s33, v4
	v_mov_b64_e32 v[38:39], 0
	s_and_saveexec_b64 s[0:1], vcc
	s_cbranch_execz .LBB52_11
; %bb.10:
	v_add_u32_e32 v4, s44, v4
	v_mov_b32_e32 v5, 0
	v_lshl_add_u64 v[4:5], v[4:5], 4, s[38:39]
	global_load_dwordx4 v[36:39], v[4:5], off
.LBB52_11:
	s_or_b64 exec, exec, s[0:1]
	v_mov_b64_e32 v[42:43], 0
	v_mov_b64_e32 v[50:51], 0
	;; [unrolled: 1-line block ×3, first 2 shown]
	s_and_saveexec_b64 s[38:39], s[34:35]
	s_cbranch_execz .LBB52_13
; %bb.12:
	s_getpc_b64 s[0:1]
	s_add_u32 s0, s0, _ZZZZN2at6native15exp_kernel_cudaERNS_18TensorIteratorBaseEENKUlvE_clEvENKUlvE_clEvENKUlN3c107complexIdEEE_clES7_@rel32@lo+4
	s_addc_u32 s1, s1, _ZZZZN2at6native15exp_kernel_cudaERNS_18TensorIteratorBaseEENKUlvE_clEvENKUlvE_clEvENKUlN3c107complexIdEEE_clES7_@rel32@hi+12
	s_swappc_b64 s[30:31], s[0:1]
	v_mov_b32_e32 v48, v0
	v_mov_b32_e32 v49, v1
	;; [unrolled: 1-line block ×4, first 2 shown]
.LBB52_13:
	s_or_b64 exec, exec, s[38:39]
	v_or_b32_e32 v35, 0x100, v34
	v_cmp_gt_i32_e32 vcc, s33, v35
	v_mov_b64_e32 v[40:41], 0
	s_and_saveexec_b64 s[38:39], vcc
	s_cbranch_execz .LBB52_15
; %bb.14:
	s_getpc_b64 s[0:1]
	s_add_u32 s0, s0, _ZZZZN2at6native15exp_kernel_cudaERNS_18TensorIteratorBaseEENKUlvE_clEvENKUlvE_clEvENKUlN3c107complexIdEEE_clES7_@rel32@lo+4
	s_addc_u32 s1, s1, _ZZZZN2at6native15exp_kernel_cudaERNS_18TensorIteratorBaseEENKUlvE_clEvENKUlvE_clEvENKUlN3c107complexIdEEE_clES7_@rel32@hi+12
	s_waitcnt vmcnt(0)
	v_mov_b32_e32 v0, v44
	v_mov_b32_e32 v1, v45
	;; [unrolled: 1-line block ×4, first 2 shown]
	s_swappc_b64 s[30:31], s[0:1]
	v_mov_b32_e32 v40, v0
	v_mov_b32_e32 v41, v1
	;; [unrolled: 1-line block ×4, first 2 shown]
.LBB52_15:
	s_or_b64 exec, exec, s[38:39]
	s_waitcnt vmcnt(0)
	v_or_b32_e32 v0, 0x200, v34
	v_cmp_gt_i32_e32 vcc, s33, v0
	v_mov_b64_e32 v[46:47], 0
	v_mov_b64_e32 v[58:59], 0
	;; [unrolled: 1-line block ×3, first 2 shown]
	s_and_saveexec_b64 s[38:39], vcc
	s_cbranch_execz .LBB52_17
; %bb.16:
	s_getpc_b64 s[0:1]
	s_add_u32 s0, s0, _ZZZZN2at6native15exp_kernel_cudaERNS_18TensorIteratorBaseEENKUlvE_clEvENKUlvE_clEvENKUlN3c107complexIdEEE_clES7_@rel32@lo+4
	s_addc_u32 s1, s1, _ZZZZN2at6native15exp_kernel_cudaERNS_18TensorIteratorBaseEENKUlvE_clEvENKUlvE_clEvENKUlN3c107complexIdEEE_clES7_@rel32@hi+12
	v_mov_b32_e32 v0, v52
	v_mov_b32_e32 v1, v53
	v_mov_b32_e32 v2, v54
	v_mov_b32_e32 v3, v55
	s_swappc_b64 s[30:31], s[0:1]
	v_mov_b32_e32 v56, v0
	v_mov_b32_e32 v57, v1
	;; [unrolled: 1-line block ×4, first 2 shown]
.LBB52_17:
	s_or_b64 exec, exec, s[38:39]
	v_or_b32_e32 v0, 0x300, v34
	v_cmp_gt_i32_e32 vcc, s33, v0
	v_mov_b64_e32 v[44:45], 0
	s_and_saveexec_b64 s[38:39], vcc
	s_cbranch_execnz .LBB52_24
; %bb.18:
	s_or_b64 exec, exec, s[38:39]
	s_and_saveexec_b64 s[0:1], s[34:35]
	s_xor_b64 s[0:1], exec, s[0:1]
	s_cbranch_execnz .LBB52_25
.LBB52_19:
	s_or_b64 exec, exec, s[0:1]
	v_cmp_gt_i32_e32 vcc, s33, v34
	s_and_saveexec_b64 s[0:1], vcc
	s_cbranch_execnz .LBB52_26
.LBB52_20:
	s_or_b64 exec, exec, s[0:1]
	v_cmp_gt_i32_e32 vcc, s33, v34
	s_and_saveexec_b64 s[0:1], vcc
	s_cbranch_execnz .LBB52_27
.LBB52_21:
	s_or_b64 exec, exec, s[0:1]
	v_cmp_gt_i32_e32 vcc, s33, v34
	s_and_saveexec_b64 s[0:1], vcc
	s_cbranch_execz .LBB52_23
.LBB52_22:
	v_add_u32_e32 v0, s44, v34
	v_mov_b32_e32 v1, 0
	v_lshl_add_u64 v[0:1], v[0:1], 4, s[36:37]
	global_store_dwordx4 v[0:1], v[44:47], off
.LBB52_23:
	s_endpgm
.LBB52_24:
	s_getpc_b64 s[0:1]
	s_add_u32 s0, s0, _ZZZZN2at6native15exp_kernel_cudaERNS_18TensorIteratorBaseEENKUlvE_clEvENKUlvE_clEvENKUlN3c107complexIdEEE_clES7_@rel32@lo+4
	s_addc_u32 s1, s1, _ZZZZN2at6native15exp_kernel_cudaERNS_18TensorIteratorBaseEENKUlvE_clEvENKUlvE_clEvENKUlN3c107complexIdEEE_clES7_@rel32@hi+12
	v_mov_b32_e32 v0, v36
	v_mov_b32_e32 v1, v37
	;; [unrolled: 1-line block ×4, first 2 shown]
	s_swappc_b64 s[30:31], s[0:1]
	v_mov_b32_e32 v44, v0
	v_mov_b32_e32 v45, v1
	;; [unrolled: 1-line block ×4, first 2 shown]
	s_or_b64 exec, exec, s[38:39]
	s_and_saveexec_b64 s[0:1], s[34:35]
	s_xor_b64 s[0:1], exec, s[0:1]
	s_cbranch_execz .LBB52_19
.LBB52_25:
	v_mov_b32_e32 v61, 0
	v_lshl_add_u64 v[0:1], v[60:61], 4, s[36:37]
	v_mov_b32_e32 v34, v35
	global_store_dwordx4 v[0:1], v[48:51], off
	s_or_b64 exec, exec, s[0:1]
	v_cmp_gt_i32_e32 vcc, s33, v34
	s_and_saveexec_b64 s[0:1], vcc
	s_cbranch_execz .LBB52_20
.LBB52_26:
	v_add_u32_e32 v0, s44, v34
	v_mov_b32_e32 v1, 0
	v_lshl_add_u64 v[0:1], v[0:1], 4, s[36:37]
	v_add_u32_e32 v34, 0x100, v34
	global_store_dwordx4 v[0:1], v[40:43], off
	s_or_b64 exec, exec, s[0:1]
	v_cmp_gt_i32_e32 vcc, s33, v34
	s_and_saveexec_b64 s[0:1], vcc
	s_cbranch_execz .LBB52_21
.LBB52_27:
	v_add_u32_e32 v0, s44, v34
	v_mov_b32_e32 v1, 0
	v_lshl_add_u64 v[0:1], v[0:1], 4, s[36:37]
	v_add_u32_e32 v34, 0x100, v34
	global_store_dwordx4 v[0:1], v[56:59], off
	s_or_b64 exec, exec, s[0:1]
	v_cmp_gt_i32_e32 vcc, s33, v34
	s_and_saveexec_b64 s[0:1], vcc
	s_cbranch_execnz .LBB52_22
	s_branch .LBB52_23
	.section	.rodata,"a",@progbits
	.p2align	6, 0x0
	.amdhsa_kernel _ZN2at6native29vectorized_elementwise_kernelILi2EZZZNS0_15exp_kernel_cudaERNS_18TensorIteratorBaseEENKUlvE_clEvENKUlvE_clEvEUlN3c107complexIdEEE_St5arrayIPcLm2EEEEviT0_T1_
		.amdhsa_group_segment_fixed_size 0
		.amdhsa_private_segment_fixed_size 0
		.amdhsa_kernarg_size 24
		.amdhsa_user_sgpr_count 2
		.amdhsa_user_sgpr_dispatch_ptr 0
		.amdhsa_user_sgpr_queue_ptr 0
		.amdhsa_user_sgpr_kernarg_segment_ptr 1
		.amdhsa_user_sgpr_dispatch_id 0
		.amdhsa_user_sgpr_kernarg_preload_length 0
		.amdhsa_user_sgpr_kernarg_preload_offset 0
		.amdhsa_user_sgpr_private_segment_size 0
		.amdhsa_uses_dynamic_stack 0
		.amdhsa_enable_private_segment 0
		.amdhsa_system_sgpr_workgroup_id_x 1
		.amdhsa_system_sgpr_workgroup_id_y 0
		.amdhsa_system_sgpr_workgroup_id_z 0
		.amdhsa_system_sgpr_workgroup_info 0
		.amdhsa_system_vgpr_workitem_id 0
		.amdhsa_next_free_vgpr 62
		.amdhsa_next_free_sgpr 48
		.amdhsa_accum_offset 64
		.amdhsa_reserve_vcc 1
		.amdhsa_float_round_mode_32 0
		.amdhsa_float_round_mode_16_64 0
		.amdhsa_float_denorm_mode_32 3
		.amdhsa_float_denorm_mode_16_64 3
		.amdhsa_dx10_clamp 1
		.amdhsa_ieee_mode 1
		.amdhsa_fp16_overflow 0
		.amdhsa_tg_split 0
		.amdhsa_exception_fp_ieee_invalid_op 0
		.amdhsa_exception_fp_denorm_src 0
		.amdhsa_exception_fp_ieee_div_zero 0
		.amdhsa_exception_fp_ieee_overflow 0
		.amdhsa_exception_fp_ieee_underflow 0
		.amdhsa_exception_fp_ieee_inexact 0
		.amdhsa_exception_int_div_zero 0
	.end_amdhsa_kernel
	.section	.text._ZN2at6native29vectorized_elementwise_kernelILi2EZZZNS0_15exp_kernel_cudaERNS_18TensorIteratorBaseEENKUlvE_clEvENKUlvE_clEvEUlN3c107complexIdEEE_St5arrayIPcLm2EEEEviT0_T1_,"axG",@progbits,_ZN2at6native29vectorized_elementwise_kernelILi2EZZZNS0_15exp_kernel_cudaERNS_18TensorIteratorBaseEENKUlvE_clEvENKUlvE_clEvEUlN3c107complexIdEEE_St5arrayIPcLm2EEEEviT0_T1_,comdat
.Lfunc_end52:
	.size	_ZN2at6native29vectorized_elementwise_kernelILi2EZZZNS0_15exp_kernel_cudaERNS_18TensorIteratorBaseEENKUlvE_clEvENKUlvE_clEvEUlN3c107complexIdEEE_St5arrayIPcLm2EEEEviT0_T1_, .Lfunc_end52-_ZN2at6native29vectorized_elementwise_kernelILi2EZZZNS0_15exp_kernel_cudaERNS_18TensorIteratorBaseEENKUlvE_clEvENKUlvE_clEvEUlN3c107complexIdEEE_St5arrayIPcLm2EEEEviT0_T1_
                                        ; -- End function
	.set _ZN2at6native29vectorized_elementwise_kernelILi2EZZZNS0_15exp_kernel_cudaERNS_18TensorIteratorBaseEENKUlvE_clEvENKUlvE_clEvEUlN3c107complexIdEEE_St5arrayIPcLm2EEEEviT0_T1_.num_vgpr, max(62, .L_ZZZZN2at6native15exp_kernel_cudaERNS_18TensorIteratorBaseEENKUlvE_clEvENKUlvE_clEvENKUlN3c107complexIdEEE_clES7_.num_vgpr)
	.set _ZN2at6native29vectorized_elementwise_kernelILi2EZZZNS0_15exp_kernel_cudaERNS_18TensorIteratorBaseEENKUlvE_clEvENKUlvE_clEvEUlN3c107complexIdEEE_St5arrayIPcLm2EEEEviT0_T1_.num_agpr, max(0, .L_ZZZZN2at6native15exp_kernel_cudaERNS_18TensorIteratorBaseEENKUlvE_clEvENKUlvE_clEvENKUlN3c107complexIdEEE_clES7_.num_agpr)
	.set _ZN2at6native29vectorized_elementwise_kernelILi2EZZZNS0_15exp_kernel_cudaERNS_18TensorIteratorBaseEENKUlvE_clEvENKUlvE_clEvEUlN3c107complexIdEEE_St5arrayIPcLm2EEEEviT0_T1_.numbered_sgpr, max(48, .L_ZZZZN2at6native15exp_kernel_cudaERNS_18TensorIteratorBaseEENKUlvE_clEvENKUlvE_clEvENKUlN3c107complexIdEEE_clES7_.numbered_sgpr)
	.set _ZN2at6native29vectorized_elementwise_kernelILi2EZZZNS0_15exp_kernel_cudaERNS_18TensorIteratorBaseEENKUlvE_clEvENKUlvE_clEvEUlN3c107complexIdEEE_St5arrayIPcLm2EEEEviT0_T1_.num_named_barrier, max(0, .L_ZZZZN2at6native15exp_kernel_cudaERNS_18TensorIteratorBaseEENKUlvE_clEvENKUlvE_clEvENKUlN3c107complexIdEEE_clES7_.num_named_barrier)
	.set _ZN2at6native29vectorized_elementwise_kernelILi2EZZZNS0_15exp_kernel_cudaERNS_18TensorIteratorBaseEENKUlvE_clEvENKUlvE_clEvEUlN3c107complexIdEEE_St5arrayIPcLm2EEEEviT0_T1_.private_seg_size, 0+max(.L_ZZZZN2at6native15exp_kernel_cudaERNS_18TensorIteratorBaseEENKUlvE_clEvENKUlvE_clEvENKUlN3c107complexIdEEE_clES7_.private_seg_size)
	.set _ZN2at6native29vectorized_elementwise_kernelILi2EZZZNS0_15exp_kernel_cudaERNS_18TensorIteratorBaseEENKUlvE_clEvENKUlvE_clEvEUlN3c107complexIdEEE_St5arrayIPcLm2EEEEviT0_T1_.uses_vcc, or(1, .L_ZZZZN2at6native15exp_kernel_cudaERNS_18TensorIteratorBaseEENKUlvE_clEvENKUlvE_clEvENKUlN3c107complexIdEEE_clES7_.uses_vcc)
	.set _ZN2at6native29vectorized_elementwise_kernelILi2EZZZNS0_15exp_kernel_cudaERNS_18TensorIteratorBaseEENKUlvE_clEvENKUlvE_clEvEUlN3c107complexIdEEE_St5arrayIPcLm2EEEEviT0_T1_.uses_flat_scratch, or(0, .L_ZZZZN2at6native15exp_kernel_cudaERNS_18TensorIteratorBaseEENKUlvE_clEvENKUlvE_clEvENKUlN3c107complexIdEEE_clES7_.uses_flat_scratch)
	.set _ZN2at6native29vectorized_elementwise_kernelILi2EZZZNS0_15exp_kernel_cudaERNS_18TensorIteratorBaseEENKUlvE_clEvENKUlvE_clEvEUlN3c107complexIdEEE_St5arrayIPcLm2EEEEviT0_T1_.has_dyn_sized_stack, or(0, .L_ZZZZN2at6native15exp_kernel_cudaERNS_18TensorIteratorBaseEENKUlvE_clEvENKUlvE_clEvENKUlN3c107complexIdEEE_clES7_.has_dyn_sized_stack)
	.set _ZN2at6native29vectorized_elementwise_kernelILi2EZZZNS0_15exp_kernel_cudaERNS_18TensorIteratorBaseEENKUlvE_clEvENKUlvE_clEvEUlN3c107complexIdEEE_St5arrayIPcLm2EEEEviT0_T1_.has_recursion, or(0, .L_ZZZZN2at6native15exp_kernel_cudaERNS_18TensorIteratorBaseEENKUlvE_clEvENKUlvE_clEvENKUlN3c107complexIdEEE_clES7_.has_recursion)
	.set _ZN2at6native29vectorized_elementwise_kernelILi2EZZZNS0_15exp_kernel_cudaERNS_18TensorIteratorBaseEENKUlvE_clEvENKUlvE_clEvEUlN3c107complexIdEEE_St5arrayIPcLm2EEEEviT0_T1_.has_indirect_call, or(0, .L_ZZZZN2at6native15exp_kernel_cudaERNS_18TensorIteratorBaseEENKUlvE_clEvENKUlvE_clEvENKUlN3c107complexIdEEE_clES7_.has_indirect_call)
	.section	.AMDGPU.csdata,"",@progbits
; Kernel info:
; codeLenInByte = 1144
; TotalNumSgprs: 54
; NumVgprs: 62
; NumAgprs: 0
; TotalNumVgprs: 62
; ScratchSize: 0
; MemoryBound: 0
; FloatMode: 240
; IeeeMode: 1
; LDSByteSize: 0 bytes/workgroup (compile time only)
; SGPRBlocks: 6
; VGPRBlocks: 7
; NumSGPRsForWavesPerEU: 54
; NumVGPRsForWavesPerEU: 62
; AccumOffset: 64
; Occupancy: 8
; WaveLimiterHint : 1
; COMPUTE_PGM_RSRC2:SCRATCH_EN: 0
; COMPUTE_PGM_RSRC2:USER_SGPR: 2
; COMPUTE_PGM_RSRC2:TRAP_HANDLER: 0
; COMPUTE_PGM_RSRC2:TGID_X_EN: 1
; COMPUTE_PGM_RSRC2:TGID_Y_EN: 0
; COMPUTE_PGM_RSRC2:TGID_Z_EN: 0
; COMPUTE_PGM_RSRC2:TIDIG_COMP_CNT: 0
; COMPUTE_PGM_RSRC3_GFX90A:ACCUM_OFFSET: 15
; COMPUTE_PGM_RSRC3_GFX90A:TG_SPLIT: 0
	.section	.text._ZN2at6native27unrolled_elementwise_kernelIZZZNS0_15exp_kernel_cudaERNS_18TensorIteratorBaseEENKUlvE_clEvENKUlvE_clEvEUlN3c107complexIdEEE_St5arrayIPcLm2EELi4E23TrivialOffsetCalculatorILi1EjESE_NS0_6memory15LoadWithoutCastENSF_16StoreWithoutCastEEEviT_T0_T2_T3_T4_T5_,"axG",@progbits,_ZN2at6native27unrolled_elementwise_kernelIZZZNS0_15exp_kernel_cudaERNS_18TensorIteratorBaseEENKUlvE_clEvENKUlvE_clEvEUlN3c107complexIdEEE_St5arrayIPcLm2EELi4E23TrivialOffsetCalculatorILi1EjESE_NS0_6memory15LoadWithoutCastENSF_16StoreWithoutCastEEEviT_T0_T2_T3_T4_T5_,comdat
	.globl	_ZN2at6native27unrolled_elementwise_kernelIZZZNS0_15exp_kernel_cudaERNS_18TensorIteratorBaseEENKUlvE_clEvENKUlvE_clEvEUlN3c107complexIdEEE_St5arrayIPcLm2EELi4E23TrivialOffsetCalculatorILi1EjESE_NS0_6memory15LoadWithoutCastENSF_16StoreWithoutCastEEEviT_T0_T2_T3_T4_T5_ ; -- Begin function _ZN2at6native27unrolled_elementwise_kernelIZZZNS0_15exp_kernel_cudaERNS_18TensorIteratorBaseEENKUlvE_clEvENKUlvE_clEvEUlN3c107complexIdEEE_St5arrayIPcLm2EELi4E23TrivialOffsetCalculatorILi1EjESE_NS0_6memory15LoadWithoutCastENSF_16StoreWithoutCastEEEviT_T0_T2_T3_T4_T5_
	.p2align	8
	.type	_ZN2at6native27unrolled_elementwise_kernelIZZZNS0_15exp_kernel_cudaERNS_18TensorIteratorBaseEENKUlvE_clEvENKUlvE_clEvEUlN3c107complexIdEEE_St5arrayIPcLm2EELi4E23TrivialOffsetCalculatorILi1EjESE_NS0_6memory15LoadWithoutCastENSF_16StoreWithoutCastEEEviT_T0_T2_T3_T4_T5_,@function
_ZN2at6native27unrolled_elementwise_kernelIZZZNS0_15exp_kernel_cudaERNS_18TensorIteratorBaseEENKUlvE_clEvENKUlvE_clEvEUlN3c107complexIdEEE_St5arrayIPcLm2EELi4E23TrivialOffsetCalculatorILi1EjESE_NS0_6memory15LoadWithoutCastENSF_16StoreWithoutCastEEEviT_T0_T2_T3_T4_T5_: ; @_ZN2at6native27unrolled_elementwise_kernelIZZZNS0_15exp_kernel_cudaERNS_18TensorIteratorBaseEENKUlvE_clEvENKUlvE_clEvEUlN3c107complexIdEEE_St5arrayIPcLm2EELi4E23TrivialOffsetCalculatorILi1EjESE_NS0_6memory15LoadWithoutCastENSF_16StoreWithoutCastEEEviT_T0_T2_T3_T4_T5_
; %bb.0:
	s_load_dword s3, s[0:1], 0x0
	s_load_dwordx4 s[36:39], s[0:1], 0x8
	s_lshl_b32 s33, s2, 10
	v_mov_b32_e32 v34, v0
	v_mov_b64_e32 v[44:45], 0
	s_waitcnt lgkmcnt(0)
	s_sub_i32 s43, s3, s33
	v_cmp_gt_i32_e64 s[34:35], s43, v34
	v_or_b32_e32 v60, s33, v34
	v_mov_b64_e32 v[0:1], 0
	v_mov_b64_e32 v[2:3], 0
	v_mov_b32_e32 v4, v34
	s_mov_b32 s32, 0
	s_and_saveexec_b64 s[0:1], s[34:35]
	s_cbranch_execz .LBB53_2
; %bb.1:
	v_mov_b32_e32 v61, 0
	v_lshl_add_u64 v[0:1], v[60:61], 4, s[38:39]
	global_load_dwordx4 v[0:3], v[0:1], off
	v_or_b32_e32 v4, 0x100, v34
.LBB53_2:
	s_or_b64 exec, exec, s[0:1]
	v_cmp_gt_i32_e32 vcc, s43, v4
	v_mov_b64_e32 v[46:47], 0
	s_and_saveexec_b64 s[0:1], vcc
	s_cbranch_execz .LBB53_4
; %bb.3:
	v_add_u32_e32 v6, s33, v4
	v_mov_b32_e32 v7, 0
	v_lshl_add_u64 v[6:7], v[6:7], 4, s[38:39]
	global_load_dwordx4 v[44:47], v[6:7], off
	v_add_u32_e32 v4, 0x100, v4
.LBB53_4:
	s_or_b64 exec, exec, s[0:1]
	v_cmp_gt_i32_e32 vcc, s43, v4
	v_mov_b64_e32 v[36:37], 0
	v_mov_b64_e32 v[52:53], 0
	;; [unrolled: 1-line block ×3, first 2 shown]
	s_and_saveexec_b64 s[0:1], vcc
	s_cbranch_execz .LBB53_6
; %bb.5:
	v_add_u32_e32 v6, s33, v4
	v_mov_b32_e32 v7, 0
	v_lshl_add_u64 v[6:7], v[6:7], 4, s[38:39]
	global_load_dwordx4 v[52:55], v[6:7], off
	v_add_u32_e32 v4, 0x100, v4
.LBB53_6:
	s_or_b64 exec, exec, s[0:1]
	v_cmp_gt_i32_e32 vcc, s43, v4
	v_mov_b64_e32 v[38:39], 0
	s_and_saveexec_b64 s[0:1], vcc
	s_cbranch_execz .LBB53_8
; %bb.7:
	v_add_u32_e32 v4, s33, v4
	v_mov_b32_e32 v5, 0
	v_lshl_add_u64 v[4:5], v[4:5], 4, s[38:39]
	global_load_dwordx4 v[36:39], v[4:5], off
.LBB53_8:
	s_or_b64 exec, exec, s[0:1]
	v_mov_b64_e32 v[42:43], 0
	v_mov_b64_e32 v[50:51], 0
	;; [unrolled: 1-line block ×3, first 2 shown]
	s_and_saveexec_b64 s[38:39], s[34:35]
	s_cbranch_execz .LBB53_10
; %bb.9:
	s_getpc_b64 s[0:1]
	s_add_u32 s0, s0, _ZZZZN2at6native15exp_kernel_cudaERNS_18TensorIteratorBaseEENKUlvE_clEvENKUlvE_clEvENKUlN3c107complexIdEEE_clES7_@rel32@lo+4
	s_addc_u32 s1, s1, _ZZZZN2at6native15exp_kernel_cudaERNS_18TensorIteratorBaseEENKUlvE_clEvENKUlvE_clEvENKUlN3c107complexIdEEE_clES7_@rel32@hi+12
	s_swappc_b64 s[30:31], s[0:1]
	v_mov_b32_e32 v48, v0
	v_mov_b32_e32 v49, v1
	;; [unrolled: 1-line block ×4, first 2 shown]
.LBB53_10:
	s_or_b64 exec, exec, s[38:39]
	v_or_b32_e32 v35, 0x100, v34
	v_cmp_gt_i32_e32 vcc, s43, v35
	v_mov_b64_e32 v[40:41], 0
	s_and_saveexec_b64 s[38:39], vcc
	s_cbranch_execz .LBB53_12
; %bb.11:
	s_getpc_b64 s[0:1]
	s_add_u32 s0, s0, _ZZZZN2at6native15exp_kernel_cudaERNS_18TensorIteratorBaseEENKUlvE_clEvENKUlvE_clEvENKUlN3c107complexIdEEE_clES7_@rel32@lo+4
	s_addc_u32 s1, s1, _ZZZZN2at6native15exp_kernel_cudaERNS_18TensorIteratorBaseEENKUlvE_clEvENKUlvE_clEvENKUlN3c107complexIdEEE_clES7_@rel32@hi+12
	s_waitcnt vmcnt(0)
	v_mov_b32_e32 v0, v44
	v_mov_b32_e32 v1, v45
	;; [unrolled: 1-line block ×4, first 2 shown]
	s_swappc_b64 s[30:31], s[0:1]
	v_mov_b32_e32 v40, v0
	v_mov_b32_e32 v41, v1
	;; [unrolled: 1-line block ×4, first 2 shown]
.LBB53_12:
	s_or_b64 exec, exec, s[38:39]
	s_waitcnt vmcnt(0)
	v_or_b32_e32 v0, 0x200, v34
	v_cmp_gt_i32_e32 vcc, s43, v0
	v_mov_b64_e32 v[46:47], 0
	v_mov_b64_e32 v[58:59], 0
	v_mov_b64_e32 v[56:57], 0
	s_and_saveexec_b64 s[38:39], vcc
	s_cbranch_execz .LBB53_14
; %bb.13:
	s_getpc_b64 s[0:1]
	s_add_u32 s0, s0, _ZZZZN2at6native15exp_kernel_cudaERNS_18TensorIteratorBaseEENKUlvE_clEvENKUlvE_clEvENKUlN3c107complexIdEEE_clES7_@rel32@lo+4
	s_addc_u32 s1, s1, _ZZZZN2at6native15exp_kernel_cudaERNS_18TensorIteratorBaseEENKUlvE_clEvENKUlvE_clEvENKUlN3c107complexIdEEE_clES7_@rel32@hi+12
	v_mov_b32_e32 v0, v52
	v_mov_b32_e32 v1, v53
	;; [unrolled: 1-line block ×4, first 2 shown]
	s_swappc_b64 s[30:31], s[0:1]
	v_mov_b32_e32 v56, v0
	v_mov_b32_e32 v57, v1
	;; [unrolled: 1-line block ×4, first 2 shown]
.LBB53_14:
	s_or_b64 exec, exec, s[38:39]
	v_or_b32_e32 v0, 0x300, v34
	v_cmp_gt_i32_e32 vcc, s43, v0
	v_mov_b64_e32 v[44:45], 0
	s_and_saveexec_b64 s[38:39], vcc
	s_cbranch_execnz .LBB53_20
; %bb.15:
	s_or_b64 exec, exec, s[38:39]
	s_and_saveexec_b64 s[0:1], s[34:35]
	s_xor_b64 s[0:1], exec, s[0:1]
	s_cbranch_execnz .LBB53_21
.LBB53_16:
	s_or_b64 exec, exec, s[0:1]
	v_cmp_gt_i32_e32 vcc, s43, v34
	s_and_saveexec_b64 s[0:1], vcc
	s_cbranch_execnz .LBB53_22
.LBB53_17:
	s_or_b64 exec, exec, s[0:1]
	v_cmp_gt_i32_e32 vcc, s43, v34
	s_and_saveexec_b64 s[0:1], vcc
	s_cbranch_execnz .LBB53_23
.LBB53_18:
	s_or_b64 exec, exec, s[0:1]
	v_cmp_gt_i32_e32 vcc, s43, v34
	s_and_saveexec_b64 s[0:1], vcc
	s_cbranch_execnz .LBB53_24
.LBB53_19:
	s_endpgm
.LBB53_20:
	s_getpc_b64 s[0:1]
	s_add_u32 s0, s0, _ZZZZN2at6native15exp_kernel_cudaERNS_18TensorIteratorBaseEENKUlvE_clEvENKUlvE_clEvENKUlN3c107complexIdEEE_clES7_@rel32@lo+4
	s_addc_u32 s1, s1, _ZZZZN2at6native15exp_kernel_cudaERNS_18TensorIteratorBaseEENKUlvE_clEvENKUlvE_clEvENKUlN3c107complexIdEEE_clES7_@rel32@hi+12
	v_mov_b32_e32 v0, v36
	v_mov_b32_e32 v1, v37
	;; [unrolled: 1-line block ×4, first 2 shown]
	s_swappc_b64 s[30:31], s[0:1]
	v_mov_b32_e32 v44, v0
	v_mov_b32_e32 v45, v1
	;; [unrolled: 1-line block ×4, first 2 shown]
	s_or_b64 exec, exec, s[38:39]
	s_and_saveexec_b64 s[0:1], s[34:35]
	s_xor_b64 s[0:1], exec, s[0:1]
	s_cbranch_execz .LBB53_16
.LBB53_21:
	v_mov_b32_e32 v61, 0
	v_lshl_add_u64 v[0:1], v[60:61], 4, s[36:37]
	v_mov_b32_e32 v34, v35
	global_store_dwordx4 v[0:1], v[48:51], off
	s_or_b64 exec, exec, s[0:1]
	v_cmp_gt_i32_e32 vcc, s43, v34
	s_and_saveexec_b64 s[0:1], vcc
	s_cbranch_execz .LBB53_17
.LBB53_22:
	v_add_u32_e32 v2, 0x100, v34
	v_add_u32_e32 v0, s33, v34
	v_mov_b32_e32 v1, 0
	v_lshl_add_u64 v[0:1], v[0:1], 4, s[36:37]
	v_mov_b32_e32 v34, v2
	global_store_dwordx4 v[0:1], v[40:43], off
	s_or_b64 exec, exec, s[0:1]
	v_cmp_gt_i32_e32 vcc, s43, v34
	s_and_saveexec_b64 s[0:1], vcc
	s_cbranch_execz .LBB53_18
.LBB53_23:
	v_add_u32_e32 v2, 0x100, v34
	v_add_u32_e32 v0, s33, v34
	v_mov_b32_e32 v1, 0
	v_lshl_add_u64 v[0:1], v[0:1], 4, s[36:37]
	v_mov_b32_e32 v34, v2
	global_store_dwordx4 v[0:1], v[56:59], off
	s_or_b64 exec, exec, s[0:1]
	v_cmp_gt_i32_e32 vcc, s43, v34
	s_and_saveexec_b64 s[0:1], vcc
	s_cbranch_execz .LBB53_19
.LBB53_24:
	v_add_u32_e32 v0, s33, v34
	v_mov_b32_e32 v1, 0
	v_lshl_add_u64 v[0:1], v[0:1], 4, s[36:37]
	global_store_dwordx4 v[0:1], v[44:47], off
	s_endpgm
	.section	.rodata,"a",@progbits
	.p2align	6, 0x0
	.amdhsa_kernel _ZN2at6native27unrolled_elementwise_kernelIZZZNS0_15exp_kernel_cudaERNS_18TensorIteratorBaseEENKUlvE_clEvENKUlvE_clEvEUlN3c107complexIdEEE_St5arrayIPcLm2EELi4E23TrivialOffsetCalculatorILi1EjESE_NS0_6memory15LoadWithoutCastENSF_16StoreWithoutCastEEEviT_T0_T2_T3_T4_T5_
		.amdhsa_group_segment_fixed_size 0
		.amdhsa_private_segment_fixed_size 0
		.amdhsa_kernarg_size 28
		.amdhsa_user_sgpr_count 2
		.amdhsa_user_sgpr_dispatch_ptr 0
		.amdhsa_user_sgpr_queue_ptr 0
		.amdhsa_user_sgpr_kernarg_segment_ptr 1
		.amdhsa_user_sgpr_dispatch_id 0
		.amdhsa_user_sgpr_kernarg_preload_length 0
		.amdhsa_user_sgpr_kernarg_preload_offset 0
		.amdhsa_user_sgpr_private_segment_size 0
		.amdhsa_uses_dynamic_stack 0
		.amdhsa_enable_private_segment 0
		.amdhsa_system_sgpr_workgroup_id_x 1
		.amdhsa_system_sgpr_workgroup_id_y 0
		.amdhsa_system_sgpr_workgroup_id_z 0
		.amdhsa_system_sgpr_workgroup_info 0
		.amdhsa_system_vgpr_workitem_id 0
		.amdhsa_next_free_vgpr 62
		.amdhsa_next_free_sgpr 44
		.amdhsa_accum_offset 64
		.amdhsa_reserve_vcc 1
		.amdhsa_float_round_mode_32 0
		.amdhsa_float_round_mode_16_64 0
		.amdhsa_float_denorm_mode_32 3
		.amdhsa_float_denorm_mode_16_64 3
		.amdhsa_dx10_clamp 1
		.amdhsa_ieee_mode 1
		.amdhsa_fp16_overflow 0
		.amdhsa_tg_split 0
		.amdhsa_exception_fp_ieee_invalid_op 0
		.amdhsa_exception_fp_denorm_src 0
		.amdhsa_exception_fp_ieee_div_zero 0
		.amdhsa_exception_fp_ieee_overflow 0
		.amdhsa_exception_fp_ieee_underflow 0
		.amdhsa_exception_fp_ieee_inexact 0
		.amdhsa_exception_int_div_zero 0
	.end_amdhsa_kernel
	.section	.text._ZN2at6native27unrolled_elementwise_kernelIZZZNS0_15exp_kernel_cudaERNS_18TensorIteratorBaseEENKUlvE_clEvENKUlvE_clEvEUlN3c107complexIdEEE_St5arrayIPcLm2EELi4E23TrivialOffsetCalculatorILi1EjESE_NS0_6memory15LoadWithoutCastENSF_16StoreWithoutCastEEEviT_T0_T2_T3_T4_T5_,"axG",@progbits,_ZN2at6native27unrolled_elementwise_kernelIZZZNS0_15exp_kernel_cudaERNS_18TensorIteratorBaseEENKUlvE_clEvENKUlvE_clEvEUlN3c107complexIdEEE_St5arrayIPcLm2EELi4E23TrivialOffsetCalculatorILi1EjESE_NS0_6memory15LoadWithoutCastENSF_16StoreWithoutCastEEEviT_T0_T2_T3_T4_T5_,comdat
.Lfunc_end53:
	.size	_ZN2at6native27unrolled_elementwise_kernelIZZZNS0_15exp_kernel_cudaERNS_18TensorIteratorBaseEENKUlvE_clEvENKUlvE_clEvEUlN3c107complexIdEEE_St5arrayIPcLm2EELi4E23TrivialOffsetCalculatorILi1EjESE_NS0_6memory15LoadWithoutCastENSF_16StoreWithoutCastEEEviT_T0_T2_T3_T4_T5_, .Lfunc_end53-_ZN2at6native27unrolled_elementwise_kernelIZZZNS0_15exp_kernel_cudaERNS_18TensorIteratorBaseEENKUlvE_clEvENKUlvE_clEvEUlN3c107complexIdEEE_St5arrayIPcLm2EELi4E23TrivialOffsetCalculatorILi1EjESE_NS0_6memory15LoadWithoutCastENSF_16StoreWithoutCastEEEviT_T0_T2_T3_T4_T5_
                                        ; -- End function
	.set _ZN2at6native27unrolled_elementwise_kernelIZZZNS0_15exp_kernel_cudaERNS_18TensorIteratorBaseEENKUlvE_clEvENKUlvE_clEvEUlN3c107complexIdEEE_St5arrayIPcLm2EELi4E23TrivialOffsetCalculatorILi1EjESE_NS0_6memory15LoadWithoutCastENSF_16StoreWithoutCastEEEviT_T0_T2_T3_T4_T5_.num_vgpr, max(62, .L_ZZZZN2at6native15exp_kernel_cudaERNS_18TensorIteratorBaseEENKUlvE_clEvENKUlvE_clEvENKUlN3c107complexIdEEE_clES7_.num_vgpr)
	.set _ZN2at6native27unrolled_elementwise_kernelIZZZNS0_15exp_kernel_cudaERNS_18TensorIteratorBaseEENKUlvE_clEvENKUlvE_clEvEUlN3c107complexIdEEE_St5arrayIPcLm2EELi4E23TrivialOffsetCalculatorILi1EjESE_NS0_6memory15LoadWithoutCastENSF_16StoreWithoutCastEEEviT_T0_T2_T3_T4_T5_.num_agpr, max(0, .L_ZZZZN2at6native15exp_kernel_cudaERNS_18TensorIteratorBaseEENKUlvE_clEvENKUlvE_clEvENKUlN3c107complexIdEEE_clES7_.num_agpr)
	.set _ZN2at6native27unrolled_elementwise_kernelIZZZNS0_15exp_kernel_cudaERNS_18TensorIteratorBaseEENKUlvE_clEvENKUlvE_clEvEUlN3c107complexIdEEE_St5arrayIPcLm2EELi4E23TrivialOffsetCalculatorILi1EjESE_NS0_6memory15LoadWithoutCastENSF_16StoreWithoutCastEEEviT_T0_T2_T3_T4_T5_.numbered_sgpr, max(44, .L_ZZZZN2at6native15exp_kernel_cudaERNS_18TensorIteratorBaseEENKUlvE_clEvENKUlvE_clEvENKUlN3c107complexIdEEE_clES7_.numbered_sgpr)
	.set _ZN2at6native27unrolled_elementwise_kernelIZZZNS0_15exp_kernel_cudaERNS_18TensorIteratorBaseEENKUlvE_clEvENKUlvE_clEvEUlN3c107complexIdEEE_St5arrayIPcLm2EELi4E23TrivialOffsetCalculatorILi1EjESE_NS0_6memory15LoadWithoutCastENSF_16StoreWithoutCastEEEviT_T0_T2_T3_T4_T5_.num_named_barrier, max(0, .L_ZZZZN2at6native15exp_kernel_cudaERNS_18TensorIteratorBaseEENKUlvE_clEvENKUlvE_clEvENKUlN3c107complexIdEEE_clES7_.num_named_barrier)
	.set _ZN2at6native27unrolled_elementwise_kernelIZZZNS0_15exp_kernel_cudaERNS_18TensorIteratorBaseEENKUlvE_clEvENKUlvE_clEvEUlN3c107complexIdEEE_St5arrayIPcLm2EELi4E23TrivialOffsetCalculatorILi1EjESE_NS0_6memory15LoadWithoutCastENSF_16StoreWithoutCastEEEviT_T0_T2_T3_T4_T5_.private_seg_size, 0+max(.L_ZZZZN2at6native15exp_kernel_cudaERNS_18TensorIteratorBaseEENKUlvE_clEvENKUlvE_clEvENKUlN3c107complexIdEEE_clES7_.private_seg_size)
	.set _ZN2at6native27unrolled_elementwise_kernelIZZZNS0_15exp_kernel_cudaERNS_18TensorIteratorBaseEENKUlvE_clEvENKUlvE_clEvEUlN3c107complexIdEEE_St5arrayIPcLm2EELi4E23TrivialOffsetCalculatorILi1EjESE_NS0_6memory15LoadWithoutCastENSF_16StoreWithoutCastEEEviT_T0_T2_T3_T4_T5_.uses_vcc, or(1, .L_ZZZZN2at6native15exp_kernel_cudaERNS_18TensorIteratorBaseEENKUlvE_clEvENKUlvE_clEvENKUlN3c107complexIdEEE_clES7_.uses_vcc)
	.set _ZN2at6native27unrolled_elementwise_kernelIZZZNS0_15exp_kernel_cudaERNS_18TensorIteratorBaseEENKUlvE_clEvENKUlvE_clEvEUlN3c107complexIdEEE_St5arrayIPcLm2EELi4E23TrivialOffsetCalculatorILi1EjESE_NS0_6memory15LoadWithoutCastENSF_16StoreWithoutCastEEEviT_T0_T2_T3_T4_T5_.uses_flat_scratch, or(0, .L_ZZZZN2at6native15exp_kernel_cudaERNS_18TensorIteratorBaseEENKUlvE_clEvENKUlvE_clEvENKUlN3c107complexIdEEE_clES7_.uses_flat_scratch)
	.set _ZN2at6native27unrolled_elementwise_kernelIZZZNS0_15exp_kernel_cudaERNS_18TensorIteratorBaseEENKUlvE_clEvENKUlvE_clEvEUlN3c107complexIdEEE_St5arrayIPcLm2EELi4E23TrivialOffsetCalculatorILi1EjESE_NS0_6memory15LoadWithoutCastENSF_16StoreWithoutCastEEEviT_T0_T2_T3_T4_T5_.has_dyn_sized_stack, or(0, .L_ZZZZN2at6native15exp_kernel_cudaERNS_18TensorIteratorBaseEENKUlvE_clEvENKUlvE_clEvENKUlN3c107complexIdEEE_clES7_.has_dyn_sized_stack)
	.set _ZN2at6native27unrolled_elementwise_kernelIZZZNS0_15exp_kernel_cudaERNS_18TensorIteratorBaseEENKUlvE_clEvENKUlvE_clEvEUlN3c107complexIdEEE_St5arrayIPcLm2EELi4E23TrivialOffsetCalculatorILi1EjESE_NS0_6memory15LoadWithoutCastENSF_16StoreWithoutCastEEEviT_T0_T2_T3_T4_T5_.has_recursion, or(0, .L_ZZZZN2at6native15exp_kernel_cudaERNS_18TensorIteratorBaseEENKUlvE_clEvENKUlvE_clEvENKUlN3c107complexIdEEE_clES7_.has_recursion)
	.set _ZN2at6native27unrolled_elementwise_kernelIZZZNS0_15exp_kernel_cudaERNS_18TensorIteratorBaseEENKUlvE_clEvENKUlvE_clEvEUlN3c107complexIdEEE_St5arrayIPcLm2EELi4E23TrivialOffsetCalculatorILi1EjESE_NS0_6memory15LoadWithoutCastENSF_16StoreWithoutCastEEEviT_T0_T2_T3_T4_T5_.has_indirect_call, or(0, .L_ZZZZN2at6native15exp_kernel_cudaERNS_18TensorIteratorBaseEENKUlvE_clEvENKUlvE_clEvENKUlN3c107complexIdEEE_clES7_.has_indirect_call)
	.section	.AMDGPU.csdata,"",@progbits
; Kernel info:
; codeLenInByte = 844
; TotalNumSgprs: 50
; NumVgprs: 62
; NumAgprs: 0
; TotalNumVgprs: 62
; ScratchSize: 0
; MemoryBound: 0
; FloatMode: 240
; IeeeMode: 1
; LDSByteSize: 0 bytes/workgroup (compile time only)
; SGPRBlocks: 6
; VGPRBlocks: 7
; NumSGPRsForWavesPerEU: 50
; NumVGPRsForWavesPerEU: 62
; AccumOffset: 64
; Occupancy: 8
; WaveLimiterHint : 0
; COMPUTE_PGM_RSRC2:SCRATCH_EN: 0
; COMPUTE_PGM_RSRC2:USER_SGPR: 2
; COMPUTE_PGM_RSRC2:TRAP_HANDLER: 0
; COMPUTE_PGM_RSRC2:TGID_X_EN: 1
; COMPUTE_PGM_RSRC2:TGID_Y_EN: 0
; COMPUTE_PGM_RSRC2:TGID_Z_EN: 0
; COMPUTE_PGM_RSRC2:TIDIG_COMP_CNT: 0
; COMPUTE_PGM_RSRC3_GFX90A:ACCUM_OFFSET: 15
; COMPUTE_PGM_RSRC3_GFX90A:TG_SPLIT: 0
	.section	.text._ZN2at6native32elementwise_kernel_manual_unrollILi128ELi4EZNS0_22gpu_kernel_impl_nocastIZZZNS0_15exp_kernel_cudaERNS_18TensorIteratorBaseEENKUlvE_clEvENKUlvE_clEvEUlN3c107complexIdEEE_EEvS4_RKT_EUlibE_EEviT1_,"axG",@progbits,_ZN2at6native32elementwise_kernel_manual_unrollILi128ELi4EZNS0_22gpu_kernel_impl_nocastIZZZNS0_15exp_kernel_cudaERNS_18TensorIteratorBaseEENKUlvE_clEvENKUlvE_clEvEUlN3c107complexIdEEE_EEvS4_RKT_EUlibE_EEviT1_,comdat
	.globl	_ZN2at6native32elementwise_kernel_manual_unrollILi128ELi4EZNS0_22gpu_kernel_impl_nocastIZZZNS0_15exp_kernel_cudaERNS_18TensorIteratorBaseEENKUlvE_clEvENKUlvE_clEvEUlN3c107complexIdEEE_EEvS4_RKT_EUlibE_EEviT1_ ; -- Begin function _ZN2at6native32elementwise_kernel_manual_unrollILi128ELi4EZNS0_22gpu_kernel_impl_nocastIZZZNS0_15exp_kernel_cudaERNS_18TensorIteratorBaseEENKUlvE_clEvENKUlvE_clEvEUlN3c107complexIdEEE_EEvS4_RKT_EUlibE_EEviT1_
	.p2align	8
	.type	_ZN2at6native32elementwise_kernel_manual_unrollILi128ELi4EZNS0_22gpu_kernel_impl_nocastIZZZNS0_15exp_kernel_cudaERNS_18TensorIteratorBaseEENKUlvE_clEvENKUlvE_clEvEUlN3c107complexIdEEE_EEvS4_RKT_EUlibE_EEviT1_,@function
_ZN2at6native32elementwise_kernel_manual_unrollILi128ELi4EZNS0_22gpu_kernel_impl_nocastIZZZNS0_15exp_kernel_cudaERNS_18TensorIteratorBaseEENKUlvE_clEvENKUlvE_clEvEUlN3c107complexIdEEE_EEvS4_RKT_EUlibE_EEviT1_: ; @_ZN2at6native32elementwise_kernel_manual_unrollILi128ELi4EZNS0_22gpu_kernel_impl_nocastIZZZNS0_15exp_kernel_cudaERNS_18TensorIteratorBaseEENKUlvE_clEvENKUlvE_clEvEUlN3c107complexIdEEE_EEvS4_RKT_EUlibE_EEviT1_
; %bb.0:
	s_load_dword s66, s[0:1], 0x0
	s_load_dword s33, s[0:1], 0x8
	s_add_u32 s34, s0, 8
	s_addc_u32 s35, s1, 0
	v_lshl_or_b32 v36, s2, 9, v0
	v_or_b32_e32 v4, 0x180, v36
	s_waitcnt lgkmcnt(0)
	s_add_i32 s43, s33, -1
	s_cmp_gt_u32 s43, 1
	v_cmp_le_i32_e32 vcc, s66, v4
	s_cselect_b64 s[52:53], -1, 0
	s_mov_b64 s[44:45], 0
	s_mov_b32 s32, 0
                                        ; implicit-def: $vgpr56_vgpr57
                                        ; implicit-def: $vgpr2_vgpr3
	s_and_saveexec_b64 s[0:1], vcc
	s_xor_b64 s[54:55], exec, s[0:1]
	s_cbranch_execnz .LBB54_4
; %bb.1:
	s_andn2_saveexec_b64 s[46:47], s[54:55]
	s_cbranch_execnz .LBB54_73
.LBB54_2:
	s_or_b64 exec, exec, s[46:47]
	s_and_saveexec_b64 s[0:1], s[44:45]
	s_cbranch_execnz .LBB54_130
.LBB54_3:
	s_endpgm
.LBB54_4:
	s_load_dwordx4 s[48:51], s[34:35], 0x4
	s_load_dwordx2 s[56:57], s[34:35], 0x14
	s_load_dwordx4 s[44:47], s[34:35], 0xc4
	s_load_dwordx4 s[36:39], s[34:35], 0x148
	s_cmp_lg_u32 s33, 0
	s_cselect_b64 s[62:63], -1, 0
	s_add_u32 s60, s34, 0xc4
	s_addc_u32 s61, s35, 0
	s_min_u32 s67, s43, 15
	s_cmp_gt_u32 s33, 1
	s_cselect_b64 s[58:59], -1, 0
	v_cmp_gt_i32_e32 vcc, s66, v36
	s_and_saveexec_b64 s[64:65], vcc
	s_cbranch_execnz .LBB54_7
; %bb.5:
	s_or_b64 exec, exec, s[64:65]
	v_cmp_gt_i32_e32 vcc, s66, v36
	s_and_saveexec_b64 s[64:65], vcc
	s_cbranch_execnz .LBB54_23
.LBB54_6:
	s_or_b64 exec, exec, s[64:65]
	v_cmp_gt_i32_e32 vcc, s66, v36
	s_and_saveexec_b64 s[64:65], vcc
	s_cbranch_execnz .LBB54_39
	s_branch .LBB54_55
.LBB54_7:
	s_andn2_b64 vcc, exec, s[52:53]
	s_cbranch_vccnz .LBB54_13
; %bb.8:
	s_andn2_b64 vcc, exec, s[62:63]
	s_cbranch_vccnz .LBB54_14
; %bb.9:
	s_add_i32 s25, s67, 1
	s_cmp_eq_u32 s43, 2
	s_cbranch_scc1 .LBB54_15
; %bb.10:
	s_and_b32 s24, s25, 28
	s_mov_b32 s26, 0
	v_mov_b32_e32 v34, 0
	v_mov_b32_e32 v0, 0
	s_mov_b64 s[20:21], s[34:35]
	s_mov_b64 s[22:23], s[60:61]
	v_mov_b32_e32 v2, v36
.LBB54_11:                              ; =>This Inner Loop Header: Depth=1
	s_load_dwordx8 s[8:15], s[20:21], 0x4
	s_load_dwordx4 s[16:19], s[20:21], 0x24
	s_load_dwordx8 s[0:7], s[22:23], 0x0
	s_add_u32 s20, s20, 48
	s_addc_u32 s21, s21, 0
	s_waitcnt lgkmcnt(0)
	v_mul_hi_u32 v1, s9, v2
	v_add_u32_e32 v1, v2, v1
	v_lshrrev_b32_e32 v1, s10, v1
	v_mul_lo_u32 v3, v1, s8
	v_mul_hi_u32 v4, s12, v1
	v_sub_u32_e32 v2, v2, v3
	v_add_u32_e32 v3, v1, v4
	v_lshrrev_b32_e32 v3, s13, v3
	v_mul_lo_u32 v5, v3, s11
	v_mul_hi_u32 v6, s15, v3
	v_sub_u32_e32 v1, v1, v5
	v_add_u32_e32 v5, v3, v6
	v_mul_lo_u32 v4, v2, s1
	v_mul_lo_u32 v2, v2, s0
	v_mul_lo_u32 v6, v1, s3
	v_mul_lo_u32 v1, v1, s2
	v_lshrrev_b32_e32 v5, s16, v5
	v_add3_u32 v1, v2, v34, v1
	v_add3_u32 v0, v4, v0, v6
	v_mul_lo_u32 v2, v5, s14
	v_mul_hi_u32 v4, s18, v5
	v_sub_u32_e32 v2, v3, v2
	v_add_u32_e32 v3, v5, v4
	v_mul_lo_u32 v4, v2, s4
	v_mul_lo_u32 v6, v2, s5
	v_lshrrev_b32_e32 v2, s19, v3
	s_add_i32 s26, s26, 4
	v_mul_lo_u32 v3, v2, s17
	s_add_u32 s22, s22, 32
	v_sub_u32_e32 v3, v5, v3
	s_addc_u32 s23, s23, 0
	v_mul_lo_u32 v5, v3, s6
	v_mul_lo_u32 v3, v3, s7
	s_cmp_lg_u32 s24, s26
	v_add3_u32 v0, v6, v0, v3
	v_add3_u32 v34, v4, v1, v5
	s_cbranch_scc1 .LBB54_11
; %bb.12:
	v_mov_b32_e32 v1, v0
	s_branch .LBB54_16
.LBB54_13:
                                        ; implicit-def: $vgpr0
                                        ; implicit-def: $vgpr34
	s_branch .LBB54_20
.LBB54_14:
	v_mov_b32_e32 v0, 0
	v_mov_b32_e32 v34, 0
	s_branch .LBB54_19
.LBB54_15:
	v_mov_b32_e32 v34, 0
	s_mov_b32 s24, 0
	v_mov_b32_e32 v1, v34
                                        ; implicit-def: $vgpr0
	v_mov_b32_e32 v2, v36
.LBB54_16:
	s_and_b32 s4, s25, 3
	s_cmp_eq_u32 s4, 0
	s_cbranch_scc1 .LBB54_19
; %bb.17:
	s_lshl_b32 s0, s24, 3
	s_add_u32 s0, s34, s0
	s_addc_u32 s1, s35, 0
	s_add_u32 s0, s0, 0xc4
	s_addc_u32 s1, s1, 0
	s_mul_i32 s2, s24, 12
	s_add_u32 s2, s34, s2
	s_addc_u32 s3, s35, 0
.LBB54_18:                              ; =>This Inner Loop Header: Depth=1
	s_load_dwordx2 s[6:7], s[2:3], 0x4
	s_load_dword s5, s[2:3], 0xc
	s_load_dwordx2 s[8:9], s[0:1], 0x0
	v_mov_b32_e32 v0, v1
	s_add_u32 s2, s2, 12
	s_waitcnt lgkmcnt(0)
	v_mul_hi_u32 v1, s7, v2
	v_add_u32_e32 v1, v2, v1
	v_lshrrev_b32_e32 v1, s5, v1
	s_addc_u32 s3, s3, 0
	v_mul_lo_u32 v3, v1, s6
	s_add_u32 s0, s0, 8
	v_sub_u32_e32 v3, v2, v3
	s_addc_u32 s1, s1, 0
	s_add_i32 s4, s4, -1
	v_mov_b32_e32 v2, v1
	v_mad_u64_u32 v[0:1], s[6:7], v3, s9, v[0:1]
	s_cmp_lg_u32 s4, 0
	v_mad_u64_u32 v[34:35], s[6:7], v3, s8, v[34:35]
	v_mov_b32_e32 v1, v0
	s_cbranch_scc1 .LBB54_18
.LBB54_19:
	s_cbranch_execnz .LBB54_22
.LBB54_20:
	s_waitcnt lgkmcnt(0)
	v_mul_hi_u32 v0, s49, v36
	v_add_u32_e32 v0, v36, v0
	v_lshrrev_b32_e32 v1, s50, v0
	v_mul_lo_u32 v0, v1, s48
	v_sub_u32_e32 v2, v36, v0
	v_mul_lo_u32 v0, v2, s45
	s_andn2_b64 vcc, exec, s[58:59]
	v_mul_lo_u32 v34, v2, s44
	s_cbranch_vccnz .LBB54_22
; %bb.21:
	v_mul_hi_u32 v2, s56, v1
	v_add_u32_e32 v2, v1, v2
	v_lshrrev_b32_e32 v2, s57, v2
	v_mul_lo_u32 v2, v2, s51
	v_sub_u32_e32 v1, v1, v2
	v_mad_u64_u32 v[34:35], s[0:1], v1, s46, v[34:35]
	v_mad_u64_u32 v[0:1], s[0:1], v1, s47, v[0:1]
.LBB54_22:
	s_waitcnt lgkmcnt(0)
	global_load_dwordx4 v[0:3], v0, s[38:39]
	s_getpc_b64 s[0:1]
	s_add_u32 s0, s0, _ZZZZN2at6native15exp_kernel_cudaERNS_18TensorIteratorBaseEENKUlvE_clEvENKUlvE_clEvENKUlN3c107complexIdEEE_clES7_@rel32@lo+4
	s_addc_u32 s1, s1, _ZZZZN2at6native15exp_kernel_cudaERNS_18TensorIteratorBaseEENKUlvE_clEvENKUlvE_clEvENKUlN3c107complexIdEEE_clES7_@rel32@hi+12
	s_swappc_b64 s[30:31], s[0:1]
	v_add_u32_e32 v36, 0x80, v36
	global_store_dwordx4 v34, v[0:3], s[36:37]
	s_or_b64 exec, exec, s[64:65]
	v_cmp_gt_i32_e32 vcc, s66, v36
	s_and_saveexec_b64 s[64:65], vcc
	s_cbranch_execz .LBB54_6
.LBB54_23:
	s_andn2_b64 vcc, exec, s[52:53]
	s_cbranch_vccnz .LBB54_29
; %bb.24:
	s_andn2_b64 vcc, exec, s[62:63]
	s_cbranch_vccnz .LBB54_30
; %bb.25:
	s_add_i32 s25, s67, 1
	s_cmp_eq_u32 s43, 2
	s_cbranch_scc1 .LBB54_31
; %bb.26:
	s_and_b32 s24, s25, 28
	s_mov_b32 s26, 0
	v_mov_b32_e32 v34, 0
	v_mov_b32_e32 v0, 0
	s_mov_b64 s[20:21], s[34:35]
	s_mov_b64 s[22:23], s[60:61]
	v_mov_b32_e32 v2, v36
.LBB54_27:                              ; =>This Inner Loop Header: Depth=1
	s_load_dwordx8 s[8:15], s[20:21], 0x4
	s_load_dwordx4 s[16:19], s[20:21], 0x24
	s_load_dwordx8 s[0:7], s[22:23], 0x0
	s_add_u32 s20, s20, 48
	s_addc_u32 s21, s21, 0
	s_waitcnt lgkmcnt(0)
	v_mul_hi_u32 v1, s9, v2
	v_add_u32_e32 v1, v2, v1
	v_lshrrev_b32_e32 v1, s10, v1
	v_mul_lo_u32 v3, v1, s8
	v_mul_hi_u32 v4, s12, v1
	v_sub_u32_e32 v2, v2, v3
	v_add_u32_e32 v3, v1, v4
	v_lshrrev_b32_e32 v3, s13, v3
	v_mul_lo_u32 v5, v3, s11
	v_mul_hi_u32 v6, s15, v3
	v_sub_u32_e32 v1, v1, v5
	v_add_u32_e32 v5, v3, v6
	v_mul_lo_u32 v4, v2, s1
	v_mul_lo_u32 v2, v2, s0
	;; [unrolled: 1-line block ×4, first 2 shown]
	v_lshrrev_b32_e32 v5, s16, v5
	v_add3_u32 v1, v2, v34, v1
	v_add3_u32 v0, v4, v0, v6
	v_mul_lo_u32 v2, v5, s14
	v_mul_hi_u32 v4, s18, v5
	v_sub_u32_e32 v2, v3, v2
	v_add_u32_e32 v3, v5, v4
	v_mul_lo_u32 v4, v2, s4
	v_mul_lo_u32 v6, v2, s5
	v_lshrrev_b32_e32 v2, s19, v3
	s_add_i32 s26, s26, 4
	v_mul_lo_u32 v3, v2, s17
	s_add_u32 s22, s22, 32
	v_sub_u32_e32 v3, v5, v3
	s_addc_u32 s23, s23, 0
	v_mul_lo_u32 v5, v3, s6
	v_mul_lo_u32 v3, v3, s7
	s_cmp_eq_u32 s24, s26
	v_add3_u32 v0, v6, v0, v3
	v_add3_u32 v34, v4, v1, v5
	s_cbranch_scc0 .LBB54_27
; %bb.28:
	v_mov_b32_e32 v1, v0
	s_branch .LBB54_32
.LBB54_29:
                                        ; implicit-def: $vgpr0
                                        ; implicit-def: $vgpr34
	s_branch .LBB54_36
.LBB54_30:
	v_mov_b32_e32 v0, 0
	v_mov_b32_e32 v34, 0
	s_branch .LBB54_35
.LBB54_31:
	v_mov_b32_e32 v34, 0
	s_mov_b32 s24, 0
	v_mov_b32_e32 v1, v34
                                        ; implicit-def: $vgpr0
	v_mov_b32_e32 v2, v36
.LBB54_32:
	s_and_b32 s4, s25, 3
	s_cmp_eq_u32 s4, 0
	s_cbranch_scc1 .LBB54_35
; %bb.33:
	s_lshl_b32 s0, s24, 3
	s_add_u32 s0, s34, s0
	s_addc_u32 s1, s35, 0
	s_add_u32 s0, s0, 0xc4
	s_addc_u32 s1, s1, 0
	s_mul_i32 s2, s24, 12
	s_add_u32 s2, s34, s2
	s_addc_u32 s3, s35, 0
.LBB54_34:                              ; =>This Inner Loop Header: Depth=1
	s_load_dwordx2 s[6:7], s[2:3], 0x4
	s_load_dword s5, s[2:3], 0xc
	s_load_dwordx2 s[8:9], s[0:1], 0x0
	v_mov_b32_e32 v0, v1
	s_add_u32 s2, s2, 12
	s_waitcnt lgkmcnt(0)
	v_mul_hi_u32 v1, s7, v2
	v_add_u32_e32 v1, v2, v1
	v_lshrrev_b32_e32 v1, s5, v1
	s_addc_u32 s3, s3, 0
	v_mul_lo_u32 v3, v1, s6
	s_add_u32 s0, s0, 8
	v_sub_u32_e32 v3, v2, v3
	s_addc_u32 s1, s1, 0
	s_add_i32 s4, s4, -1
	v_mov_b32_e32 v2, v1
	v_mad_u64_u32 v[0:1], s[6:7], v3, s9, v[0:1]
	s_cmp_lg_u32 s4, 0
	v_mad_u64_u32 v[34:35], s[6:7], v3, s8, v[34:35]
	v_mov_b32_e32 v1, v0
	s_cbranch_scc1 .LBB54_34
.LBB54_35:
	s_cbranch_execnz .LBB54_38
.LBB54_36:
	s_waitcnt lgkmcnt(0)
	v_mul_hi_u32 v0, s49, v36
	v_add_u32_e32 v0, v36, v0
	v_lshrrev_b32_e32 v1, s50, v0
	v_mul_lo_u32 v0, v1, s48
	v_sub_u32_e32 v2, v36, v0
	v_mul_lo_u32 v0, v2, s45
	s_andn2_b64 vcc, exec, s[58:59]
	v_mul_lo_u32 v34, v2, s44
	s_cbranch_vccnz .LBB54_38
; %bb.37:
	v_mul_hi_u32 v2, s56, v1
	v_add_u32_e32 v2, v1, v2
	v_lshrrev_b32_e32 v2, s57, v2
	v_mul_lo_u32 v2, v2, s51
	v_sub_u32_e32 v1, v1, v2
	v_mad_u64_u32 v[34:35], s[0:1], v1, s46, v[34:35]
	v_mad_u64_u32 v[0:1], s[0:1], v1, s47, v[0:1]
.LBB54_38:
	s_waitcnt lgkmcnt(0)
	global_load_dwordx4 v[0:3], v0, s[38:39]
	s_getpc_b64 s[0:1]
	s_add_u32 s0, s0, _ZZZZN2at6native15exp_kernel_cudaERNS_18TensorIteratorBaseEENKUlvE_clEvENKUlvE_clEvENKUlN3c107complexIdEEE_clES7_@rel32@lo+4
	s_addc_u32 s1, s1, _ZZZZN2at6native15exp_kernel_cudaERNS_18TensorIteratorBaseEENKUlvE_clEvENKUlvE_clEvENKUlN3c107complexIdEEE_clES7_@rel32@hi+12
	s_swappc_b64 s[30:31], s[0:1]
	v_add_u32_e32 v36, 0x80, v36
	global_store_dwordx4 v34, v[0:3], s[36:37]
	s_or_b64 exec, exec, s[64:65]
	v_cmp_gt_i32_e32 vcc, s66, v36
	s_and_saveexec_b64 s[64:65], vcc
	s_cbranch_execz .LBB54_55
.LBB54_39:
	s_andn2_b64 vcc, exec, s[52:53]
	s_cbranch_vccnz .LBB54_45
; %bb.40:
	s_andn2_b64 vcc, exec, s[62:63]
	s_cbranch_vccnz .LBB54_46
; %bb.41:
	s_add_i32 s25, s67, 1
	s_cmp_eq_u32 s43, 2
	s_cbranch_scc1 .LBB54_47
; %bb.42:
	s_and_b32 s24, s25, 28
	s_mov_b32 s26, 0
	v_mov_b32_e32 v34, 0
	v_mov_b32_e32 v0, 0
	s_mov_b64 s[20:21], s[34:35]
	s_mov_b64 s[22:23], s[60:61]
	v_mov_b32_e32 v2, v36
.LBB54_43:                              ; =>This Inner Loop Header: Depth=1
	s_load_dwordx8 s[8:15], s[20:21], 0x4
	s_load_dwordx4 s[16:19], s[20:21], 0x24
	s_load_dwordx8 s[0:7], s[22:23], 0x0
	s_add_u32 s20, s20, 48
	s_addc_u32 s21, s21, 0
	s_waitcnt lgkmcnt(0)
	v_mul_hi_u32 v1, s9, v2
	v_add_u32_e32 v1, v2, v1
	v_lshrrev_b32_e32 v1, s10, v1
	v_mul_lo_u32 v3, v1, s8
	v_mul_hi_u32 v4, s12, v1
	v_sub_u32_e32 v2, v2, v3
	v_add_u32_e32 v3, v1, v4
	v_lshrrev_b32_e32 v3, s13, v3
	v_mul_lo_u32 v5, v3, s11
	v_mul_hi_u32 v6, s15, v3
	v_sub_u32_e32 v1, v1, v5
	v_add_u32_e32 v5, v3, v6
	v_mul_lo_u32 v4, v2, s1
	v_mul_lo_u32 v2, v2, s0
	;; [unrolled: 1-line block ×4, first 2 shown]
	v_lshrrev_b32_e32 v5, s16, v5
	v_add3_u32 v1, v2, v34, v1
	v_add3_u32 v0, v4, v0, v6
	v_mul_lo_u32 v2, v5, s14
	v_mul_hi_u32 v4, s18, v5
	v_sub_u32_e32 v2, v3, v2
	v_add_u32_e32 v3, v5, v4
	v_mul_lo_u32 v4, v2, s4
	v_mul_lo_u32 v6, v2, s5
	v_lshrrev_b32_e32 v2, s19, v3
	s_add_i32 s26, s26, 4
	v_mul_lo_u32 v3, v2, s17
	s_add_u32 s22, s22, 32
	v_sub_u32_e32 v3, v5, v3
	s_addc_u32 s23, s23, 0
	v_mul_lo_u32 v5, v3, s6
	v_mul_lo_u32 v3, v3, s7
	s_cmp_eq_u32 s24, s26
	v_add3_u32 v0, v6, v0, v3
	v_add3_u32 v34, v4, v1, v5
	s_cbranch_scc0 .LBB54_43
; %bb.44:
	v_mov_b32_e32 v1, v0
	s_branch .LBB54_48
.LBB54_45:
                                        ; implicit-def: $vgpr0
                                        ; implicit-def: $vgpr34
	s_branch .LBB54_52
.LBB54_46:
	v_mov_b32_e32 v0, 0
	v_mov_b32_e32 v34, 0
	s_branch .LBB54_51
.LBB54_47:
	v_mov_b32_e32 v34, 0
	s_mov_b32 s24, 0
	v_mov_b32_e32 v1, v34
                                        ; implicit-def: $vgpr0
	v_mov_b32_e32 v2, v36
.LBB54_48:
	s_and_b32 s4, s25, 3
	s_cmp_eq_u32 s4, 0
	s_cbranch_scc1 .LBB54_51
; %bb.49:
	s_lshl_b32 s0, s24, 3
	s_add_u32 s0, s34, s0
	s_addc_u32 s1, s35, 0
	s_add_u32 s0, s0, 0xc4
	s_addc_u32 s1, s1, 0
	s_mul_i32 s2, s24, 12
	s_add_u32 s2, s34, s2
	s_addc_u32 s3, s35, 0
.LBB54_50:                              ; =>This Inner Loop Header: Depth=1
	s_load_dwordx2 s[6:7], s[2:3], 0x4
	s_load_dword s5, s[2:3], 0xc
	s_load_dwordx2 s[8:9], s[0:1], 0x0
	v_mov_b32_e32 v0, v1
	s_add_u32 s2, s2, 12
	s_waitcnt lgkmcnt(0)
	v_mul_hi_u32 v1, s7, v2
	v_add_u32_e32 v1, v2, v1
	v_lshrrev_b32_e32 v1, s5, v1
	s_addc_u32 s3, s3, 0
	v_mul_lo_u32 v3, v1, s6
	s_add_u32 s0, s0, 8
	v_sub_u32_e32 v3, v2, v3
	s_addc_u32 s1, s1, 0
	s_add_i32 s4, s4, -1
	v_mov_b32_e32 v2, v1
	v_mad_u64_u32 v[0:1], s[6:7], v3, s9, v[0:1]
	s_cmp_lg_u32 s4, 0
	v_mad_u64_u32 v[34:35], s[6:7], v3, s8, v[34:35]
	v_mov_b32_e32 v1, v0
	s_cbranch_scc1 .LBB54_50
.LBB54_51:
	s_cbranch_execnz .LBB54_54
.LBB54_52:
	s_waitcnt lgkmcnt(0)
	v_mul_hi_u32 v0, s49, v36
	v_add_u32_e32 v0, v36, v0
	v_lshrrev_b32_e32 v1, s50, v0
	v_mul_lo_u32 v0, v1, s48
	v_sub_u32_e32 v2, v36, v0
	v_mul_lo_u32 v0, v2, s45
	s_andn2_b64 vcc, exec, s[58:59]
	v_mul_lo_u32 v34, v2, s44
	s_cbranch_vccnz .LBB54_54
; %bb.53:
	v_mul_hi_u32 v2, s56, v1
	v_add_u32_e32 v2, v1, v2
	v_lshrrev_b32_e32 v2, s57, v2
	v_mul_lo_u32 v2, v2, s51
	v_sub_u32_e32 v1, v1, v2
	v_mad_u64_u32 v[34:35], s[0:1], v1, s46, v[34:35]
	v_mad_u64_u32 v[0:1], s[0:1], v1, s47, v[0:1]
.LBB54_54:
	s_waitcnt lgkmcnt(0)
	global_load_dwordx4 v[0:3], v0, s[38:39]
	s_getpc_b64 s[0:1]
	s_add_u32 s0, s0, _ZZZZN2at6native15exp_kernel_cudaERNS_18TensorIteratorBaseEENKUlvE_clEvENKUlvE_clEvENKUlN3c107complexIdEEE_clES7_@rel32@lo+4
	s_addc_u32 s1, s1, _ZZZZN2at6native15exp_kernel_cudaERNS_18TensorIteratorBaseEENKUlvE_clEvENKUlvE_clEvENKUlN3c107complexIdEEE_clES7_@rel32@hi+12
	s_swappc_b64 s[30:31], s[0:1]
	v_add_u32_e32 v36, 0x80, v36
	global_store_dwordx4 v34, v[0:3], s[36:37]
.LBB54_55:
	s_or_b64 exec, exec, s[64:65]
	v_cmp_gt_i32_e32 vcc, s66, v36
	s_mov_b64 s[0:1], 0
                                        ; implicit-def: $vgpr56_vgpr57
                                        ; implicit-def: $vgpr2_vgpr3
	s_and_saveexec_b64 s[64:65], vcc
	s_cbranch_execz .LBB54_72
; %bb.56:
	s_andn2_b64 vcc, exec, s[52:53]
	s_cbranch_vccnz .LBB54_62
; %bb.57:
	s_andn2_b64 vcc, exec, s[62:63]
	s_cbranch_vccnz .LBB54_63
; %bb.58:
	s_add_i32 s67, s67, 1
	s_cmp_eq_u32 s43, 2
	s_cbranch_scc1 .LBB54_64
; %bb.59:
	s_and_b32 s22, s67, 28
	s_mov_b32 s23, 0
	v_mov_b32_e32 v34, 0
	v_mov_b32_e32 v0, 0
	s_mov_b64 s[20:21], s[34:35]
	v_mov_b32_e32 v2, v36
.LBB54_60:                              ; =>This Inner Loop Header: Depth=1
	s_load_dwordx8 s[8:15], s[20:21], 0x4
	s_load_dwordx4 s[16:19], s[20:21], 0x24
	s_load_dwordx8 s[0:7], s[60:61], 0x0
	s_add_u32 s20, s20, 48
	s_addc_u32 s21, s21, 0
	s_waitcnt lgkmcnt(0)
	v_mul_hi_u32 v1, s9, v2
	v_add_u32_e32 v1, v2, v1
	v_lshrrev_b32_e32 v1, s10, v1
	v_mul_lo_u32 v3, v1, s8
	v_mul_hi_u32 v4, s12, v1
	v_sub_u32_e32 v2, v2, v3
	v_add_u32_e32 v3, v1, v4
	v_lshrrev_b32_e32 v3, s13, v3
	v_mul_lo_u32 v5, v3, s11
	v_mul_hi_u32 v6, s15, v3
	v_sub_u32_e32 v1, v1, v5
	v_add_u32_e32 v5, v3, v6
	v_mul_lo_u32 v4, v2, s1
	v_mul_lo_u32 v2, v2, s0
	;; [unrolled: 1-line block ×4, first 2 shown]
	v_lshrrev_b32_e32 v5, s16, v5
	v_add3_u32 v1, v2, v34, v1
	v_add3_u32 v0, v4, v0, v6
	v_mul_lo_u32 v2, v5, s14
	v_mul_hi_u32 v4, s18, v5
	v_sub_u32_e32 v2, v3, v2
	v_add_u32_e32 v3, v5, v4
	v_mul_lo_u32 v4, v2, s4
	v_mul_lo_u32 v6, v2, s5
	v_lshrrev_b32_e32 v2, s19, v3
	s_add_i32 s23, s23, 4
	v_mul_lo_u32 v3, v2, s17
	s_add_u32 s60, s60, 32
	v_sub_u32_e32 v3, v5, v3
	s_addc_u32 s61, s61, 0
	v_mul_lo_u32 v5, v3, s6
	v_mul_lo_u32 v3, v3, s7
	s_cmp_eq_u32 s22, s23
	v_add3_u32 v0, v6, v0, v3
	v_add3_u32 v34, v4, v1, v5
	s_cbranch_scc0 .LBB54_60
; %bb.61:
	v_mov_b32_e32 v1, v0
	s_branch .LBB54_65
.LBB54_62:
                                        ; implicit-def: $vgpr0
                                        ; implicit-def: $vgpr34
	s_branch .LBB54_69
.LBB54_63:
	v_mov_b32_e32 v0, 0
	v_mov_b32_e32 v34, 0
	s_branch .LBB54_68
.LBB54_64:
	v_mov_b32_e32 v34, 0
	s_mov_b32 s22, 0
	v_mov_b32_e32 v1, v34
                                        ; implicit-def: $vgpr0
	v_mov_b32_e32 v2, v36
.LBB54_65:
	s_and_b32 s4, s67, 3
	s_cmp_eq_u32 s4, 0
	s_cbranch_scc1 .LBB54_68
; %bb.66:
	s_lshl_b32 s0, s22, 3
	s_add_u32 s0, s34, s0
	s_addc_u32 s1, s35, 0
	s_add_u32 s0, s0, 0xc4
	s_addc_u32 s1, s1, 0
	s_mul_i32 s2, s22, 12
	s_add_u32 s2, s34, s2
	s_addc_u32 s3, s35, 0
.LBB54_67:                              ; =>This Inner Loop Header: Depth=1
	s_load_dwordx2 s[6:7], s[2:3], 0x4
	s_load_dword s5, s[2:3], 0xc
	s_load_dwordx2 s[8:9], s[0:1], 0x0
	v_mov_b32_e32 v0, v1
	s_add_u32 s2, s2, 12
	s_waitcnt lgkmcnt(0)
	v_mul_hi_u32 v1, s7, v2
	v_add_u32_e32 v1, v2, v1
	v_lshrrev_b32_e32 v1, s5, v1
	s_addc_u32 s3, s3, 0
	v_mul_lo_u32 v3, v1, s6
	s_add_u32 s0, s0, 8
	v_sub_u32_e32 v3, v2, v3
	s_addc_u32 s1, s1, 0
	s_add_i32 s4, s4, -1
	v_mov_b32_e32 v2, v1
	v_mad_u64_u32 v[0:1], s[6:7], v3, s9, v[0:1]
	s_cmp_lg_u32 s4, 0
	v_mad_u64_u32 v[34:35], s[6:7], v3, s8, v[34:35]
	v_mov_b32_e32 v1, v0
	s_cbranch_scc1 .LBB54_67
.LBB54_68:
	s_cbranch_execnz .LBB54_71
.LBB54_69:
	s_waitcnt lgkmcnt(0)
	v_mul_hi_u32 v0, s49, v36
	v_add_u32_e32 v0, v36, v0
	v_lshrrev_b32_e32 v1, s50, v0
	v_mul_lo_u32 v0, v1, s48
	v_sub_u32_e32 v2, v36, v0
	v_mul_lo_u32 v0, v2, s45
	s_andn2_b64 vcc, exec, s[58:59]
	v_mul_lo_u32 v34, v2, s44
	s_cbranch_vccnz .LBB54_71
; %bb.70:
	v_mul_hi_u32 v2, s56, v1
	v_add_u32_e32 v2, v1, v2
	v_lshrrev_b32_e32 v2, s57, v2
	v_mul_lo_u32 v2, v2, s51
	v_sub_u32_e32 v1, v1, v2
	v_mad_u64_u32 v[34:35], s[0:1], v1, s46, v[34:35]
	v_mad_u64_u32 v[0:1], s[0:1], v1, s47, v[0:1]
.LBB54_71:
	s_waitcnt lgkmcnt(0)
	global_load_dwordx4 v[0:3], v0, s[38:39]
	v_mov_b32_e32 v35, 0
	s_getpc_b64 s[0:1]
	s_add_u32 s0, s0, _ZZZZN2at6native15exp_kernel_cudaERNS_18TensorIteratorBaseEENKUlvE_clEvENKUlvE_clEvENKUlN3c107complexIdEEE_clES7_@rel32@lo+4
	s_addc_u32 s1, s1, _ZZZZN2at6native15exp_kernel_cudaERNS_18TensorIteratorBaseEENKUlvE_clEvENKUlvE_clEvENKUlN3c107complexIdEEE_clES7_@rel32@hi+12
	v_lshl_add_u64 v[56:57], s[36:37], 0, v[34:35]
	s_swappc_b64 s[30:31], s[0:1]
	s_mov_b64 s[0:1], exec
	global_store_dwordx2 v34, v[0:1], s[36:37]
.LBB54_72:
	s_or_b64 exec, exec, s[64:65]
	s_waitcnt lgkmcnt(0)
	s_and_b64 s[44:45], s[0:1], exec
                                        ; implicit-def: $vgpr4
                                        ; implicit-def: $vgpr36
	s_andn2_saveexec_b64 s[46:47], s[54:55]
	s_cbranch_execz .LBB54_2
.LBB54_73:
	v_cndmask_b32_e64 v0, 0, 1, s[52:53]
	v_cmp_ne_u32_e64 s[0:1], 1, v0
	s_andn2_b64 vcc, exec, s[52:53]
	s_cbranch_vccnz .LBB54_79
; %bb.74:
	s_cmp_lg_u32 s33, 0
	s_mov_b32 s26, 0
	s_cbranch_scc0 .LBB54_80
; %bb.75:
	s_min_u32 s27, s43, 15
	s_add_i32 s27, s27, 1
	s_cmp_eq_u32 s43, 2
	s_cbranch_scc1 .LBB54_81
; %bb.76:
	s_and_b32 s26, s27, 28
	s_add_u32 s2, s34, 0xc4
	s_addc_u32 s3, s35, 0
	s_mov_b32 s28, 0
	v_mov_b32_e32 v46, 0
	v_mov_b32_e32 v0, 0
	s_mov_b64 s[24:25], s[34:35]
	v_mov_b32_e32 v2, v36
.LBB54_77:                              ; =>This Inner Loop Header: Depth=1
	s_load_dwordx8 s[12:19], s[24:25], 0x4
	s_load_dwordx4 s[20:23], s[24:25], 0x24
	s_load_dwordx8 s[4:11], s[2:3], 0x0
	s_add_u32 s24, s24, 48
	s_addc_u32 s25, s25, 0
	s_waitcnt lgkmcnt(0)
	v_mul_hi_u32 v1, s13, v2
	v_add_u32_e32 v1, v2, v1
	v_lshrrev_b32_e32 v1, s14, v1
	v_mul_lo_u32 v3, v1, s12
	v_mul_hi_u32 v5, s16, v1
	v_sub_u32_e32 v2, v2, v3
	v_add_u32_e32 v3, v1, v5
	v_lshrrev_b32_e32 v3, s17, v3
	v_mul_lo_u32 v6, v3, s15
	v_mul_hi_u32 v7, s19, v3
	v_sub_u32_e32 v1, v1, v6
	v_add_u32_e32 v6, v3, v7
	v_mul_lo_u32 v5, v2, s5
	v_mul_lo_u32 v2, v2, s4
	;; [unrolled: 1-line block ×4, first 2 shown]
	v_lshrrev_b32_e32 v6, s20, v6
	v_add3_u32 v1, v2, v46, v1
	v_add3_u32 v0, v5, v0, v7
	v_mul_lo_u32 v2, v6, s18
	v_mul_hi_u32 v5, s22, v6
	v_sub_u32_e32 v2, v3, v2
	v_add_u32_e32 v3, v6, v5
	v_mul_lo_u32 v5, v2, s8
	v_mul_lo_u32 v7, v2, s9
	v_lshrrev_b32_e32 v2, s23, v3
	s_add_i32 s28, s28, 4
	v_mul_lo_u32 v3, v2, s21
	s_add_u32 s2, s2, 32
	v_sub_u32_e32 v3, v6, v3
	s_addc_u32 s3, s3, 0
	v_mul_lo_u32 v6, v3, s10
	v_mul_lo_u32 v3, v3, s11
	s_cmp_lg_u32 s26, s28
	v_add3_u32 v0, v7, v0, v3
	v_add3_u32 v46, v5, v1, v6
	s_cbranch_scc1 .LBB54_77
; %bb.78:
	v_mov_b32_e32 v1, v0
	s_and_b32 s6, s27, 3
	s_cmp_eq_u32 s6, 0
	s_cbranch_scc0 .LBB54_82
	s_branch .LBB54_84
.LBB54_79:
                                        ; implicit-def: $vgpr0
                                        ; implicit-def: $vgpr46
	s_branch .LBB54_85
.LBB54_80:
	v_mov_b32_e32 v0, 0
	v_mov_b32_e32 v46, 0
	s_branch .LBB54_84
.LBB54_81:
	v_mov_b32_e32 v46, 0
                                        ; implicit-def: $vgpr0
	v_mov_b32_e32 v1, v46
	v_mov_b32_e32 v2, v36
	s_and_b32 s6, s27, 3
	s_cmp_eq_u32 s6, 0
	s_cbranch_scc1 .LBB54_84
.LBB54_82:
	s_lshl_b32 s2, s26, 3
	s_add_u32 s2, s34, s2
	s_addc_u32 s3, s35, 0
	s_add_u32 s2, s2, 0xc4
	s_addc_u32 s3, s3, 0
	s_mul_i32 s4, s26, 12
	s_add_u32 s4, s34, s4
	s_addc_u32 s5, s35, 0
.LBB54_83:                              ; =>This Inner Loop Header: Depth=1
	s_load_dwordx2 s[8:9], s[4:5], 0x4
	s_load_dword s7, s[4:5], 0xc
	s_load_dwordx2 s[10:11], s[2:3], 0x0
	v_mov_b32_e32 v0, v1
	s_add_u32 s4, s4, 12
	s_waitcnt lgkmcnt(0)
	v_mul_hi_u32 v1, s9, v2
	v_add_u32_e32 v1, v2, v1
	v_lshrrev_b32_e32 v1, s7, v1
	s_addc_u32 s5, s5, 0
	v_mul_lo_u32 v3, v1, s8
	s_add_u32 s2, s2, 8
	v_sub_u32_e32 v3, v2, v3
	s_addc_u32 s3, s3, 0
	s_add_i32 s6, s6, -1
	v_mov_b32_e32 v2, v1
	v_mad_u64_u32 v[0:1], s[8:9], v3, s11, v[0:1]
	s_cmp_lg_u32 s6, 0
	v_mad_u64_u32 v[46:47], s[8:9], v3, s10, v[46:47]
	v_mov_b32_e32 v1, v0
	s_cbranch_scc1 .LBB54_83
.LBB54_84:
	s_cbranch_execnz .LBB54_87
.LBB54_85:
	s_load_dwordx4 s[4:7], s[34:35], 0x4
	s_load_dwordx2 s[2:3], s[34:35], 0xc4
	s_cmp_lt_u32 s33, 2
	s_waitcnt lgkmcnt(0)
	v_mul_hi_u32 v0, s5, v36
	v_add_u32_e32 v0, v36, v0
	v_lshrrev_b32_e32 v1, s6, v0
	v_mul_lo_u32 v0, v1, s4
	v_sub_u32_e32 v2, v36, v0
	v_mul_lo_u32 v0, v2, s3
	v_mul_lo_u32 v46, v2, s2
	s_cbranch_scc1 .LBB54_87
; %bb.86:
	s_load_dwordx4 s[4:7], s[34:35], 0x10
	s_load_dwordx2 s[2:3], s[34:35], 0xcc
	s_waitcnt lgkmcnt(0)
	v_mul_hi_u32 v2, s5, v1
	v_add_u32_e32 v2, v1, v2
	v_lshrrev_b32_e32 v2, s6, v2
	v_mul_lo_u32 v2, v2, s4
	v_sub_u32_e32 v1, v1, v2
	v_mad_u64_u32 v[46:47], s[4:5], v1, s2, v[46:47]
	v_mad_u64_u32 v[0:1], s[2:3], v1, s3, v[0:1]
.LBB54_87:
	s_and_b64 vcc, exec, s[0:1]
	v_add_u32_e32 v2, 0x80, v36
	s_cbranch_vccnz .LBB54_93
; %bb.88:
	s_cmp_lg_u32 s33, 0
	s_mov_b32 s26, 0
	s_cbranch_scc0 .LBB54_94
; %bb.89:
	s_min_u32 s27, s43, 15
	s_add_i32 s27, s27, 1
	s_cmp_eq_u32 s43, 2
	s_cbranch_scc1 .LBB54_95
; %bb.90:
	s_and_b32 s26, s27, 28
	s_add_u32 s2, s34, 0xc4
	s_addc_u32 s3, s35, 0
	s_mov_b32 s28, 0
	v_mov_b32_e32 v48, 0
	v_mov_b32_e32 v38, 0
	s_mov_b64 s[24:25], s[34:35]
	v_mov_b32_e32 v3, v2
.LBB54_91:                              ; =>This Inner Loop Header: Depth=1
	s_load_dwordx8 s[12:19], s[24:25], 0x4
	s_load_dwordx4 s[20:23], s[24:25], 0x24
	s_load_dwordx8 s[4:11], s[2:3], 0x0
	s_add_u32 s24, s24, 48
	s_addc_u32 s25, s25, 0
	s_waitcnt lgkmcnt(0)
	v_mul_hi_u32 v1, s13, v3
	v_add_u32_e32 v1, v3, v1
	v_lshrrev_b32_e32 v1, s14, v1
	v_mul_lo_u32 v5, v1, s12
	v_mul_hi_u32 v6, s16, v1
	v_sub_u32_e32 v3, v3, v5
	v_add_u32_e32 v5, v1, v6
	v_lshrrev_b32_e32 v5, s17, v5
	v_mul_lo_u32 v7, v5, s15
	v_mul_hi_u32 v8, s19, v5
	v_sub_u32_e32 v1, v1, v7
	v_add_u32_e32 v7, v5, v8
	v_mul_lo_u32 v6, v3, s5
	v_mul_lo_u32 v3, v3, s4
	;; [unrolled: 1-line block ×4, first 2 shown]
	v_lshrrev_b32_e32 v7, s20, v7
	v_add3_u32 v1, v3, v48, v1
	v_add3_u32 v6, v6, v38, v8
	v_mul_lo_u32 v3, v7, s18
	v_mul_hi_u32 v8, s22, v7
	v_sub_u32_e32 v3, v5, v3
	v_add_u32_e32 v5, v7, v8
	v_mul_lo_u32 v8, v3, s8
	v_mul_lo_u32 v9, v3, s9
	v_lshrrev_b32_e32 v3, s23, v5
	s_add_i32 s28, s28, 4
	v_mul_lo_u32 v5, v3, s21
	s_add_u32 s2, s2, 32
	v_sub_u32_e32 v5, v7, v5
	s_addc_u32 s3, s3, 0
	v_mul_lo_u32 v7, v5, s10
	v_mul_lo_u32 v5, v5, s11
	s_cmp_lg_u32 s26, s28
	v_add3_u32 v38, v9, v6, v5
	v_add3_u32 v48, v8, v1, v7
	s_cbranch_scc1 .LBB54_91
; %bb.92:
	v_mov_b32_e32 v1, v38
	s_and_b32 s6, s27, 3
	s_cmp_eq_u32 s6, 0
	s_cbranch_scc0 .LBB54_96
	s_branch .LBB54_98
.LBB54_93:
                                        ; implicit-def: $vgpr38
                                        ; implicit-def: $vgpr48
	s_branch .LBB54_99
.LBB54_94:
	v_mov_b32_e32 v38, 0
	v_mov_b32_e32 v48, 0
	s_branch .LBB54_98
.LBB54_95:
	v_mov_b32_e32 v48, 0
                                        ; implicit-def: $vgpr38
	v_mov_b32_e32 v1, v48
	v_mov_b32_e32 v3, v2
	s_and_b32 s6, s27, 3
	s_cmp_eq_u32 s6, 0
	s_cbranch_scc1 .LBB54_98
.LBB54_96:
	s_lshl_b32 s2, s26, 3
	s_add_u32 s2, s34, s2
	s_addc_u32 s3, s35, 0
	s_add_u32 s2, s2, 0xc4
	s_addc_u32 s3, s3, 0
	s_mul_i32 s4, s26, 12
	s_add_u32 s4, s34, s4
	s_addc_u32 s5, s35, 0
.LBB54_97:                              ; =>This Inner Loop Header: Depth=1
	s_load_dwordx2 s[8:9], s[4:5], 0x4
	s_load_dword s7, s[4:5], 0xc
	s_load_dwordx2 s[10:11], s[2:3], 0x0
	v_mov_b32_e32 v6, v1
	s_add_u32 s4, s4, 12
	s_waitcnt lgkmcnt(0)
	v_mul_hi_u32 v1, s9, v3
	v_add_u32_e32 v1, v3, v1
	v_lshrrev_b32_e32 v1, s7, v1
	s_addc_u32 s5, s5, 0
	v_mul_lo_u32 v5, v1, s8
	s_add_u32 s2, s2, 8
	v_sub_u32_e32 v5, v3, v5
	s_addc_u32 s3, s3, 0
	s_add_i32 s6, s6, -1
	v_mad_u64_u32 v[38:39], s[8:9], v5, s11, v[6:7]
	s_cmp_lg_u32 s6, 0
	v_mov_b32_e32 v3, v1
	v_mad_u64_u32 v[48:49], s[8:9], v5, s10, v[48:49]
	v_mov_b32_e32 v1, v38
	s_cbranch_scc1 .LBB54_97
.LBB54_98:
	s_cbranch_execnz .LBB54_101
.LBB54_99:
	s_load_dwordx4 s[4:7], s[34:35], 0x4
	s_load_dwordx2 s[2:3], s[34:35], 0xc4
	s_cmp_lt_u32 s33, 2
	s_waitcnt lgkmcnt(0)
	v_mul_hi_u32 v1, s5, v2
	v_add_u32_e32 v1, v2, v1
	v_lshrrev_b32_e32 v1, s6, v1
	v_mul_lo_u32 v3, v1, s4
	v_sub_u32_e32 v2, v2, v3
	v_mul_lo_u32 v38, v2, s3
	v_mul_lo_u32 v48, v2, s2
	s_cbranch_scc1 .LBB54_101
; %bb.100:
	s_load_dwordx4 s[4:7], s[34:35], 0x10
	s_load_dwordx2 s[2:3], s[34:35], 0xcc
	s_waitcnt lgkmcnt(0)
	v_mul_hi_u32 v2, s5, v1
	v_add_u32_e32 v2, v1, v2
	v_lshrrev_b32_e32 v2, s6, v2
	v_mul_lo_u32 v2, v2, s4
	v_sub_u32_e32 v1, v1, v2
	v_mad_u64_u32 v[48:49], s[4:5], v1, s2, v[48:49]
	v_mad_u64_u32 v[38:39], s[2:3], v1, s3, v[38:39]
.LBB54_101:
	s_and_b64 vcc, exec, s[0:1]
	v_add_u32_e32 v2, 0x100, v36
	s_cbranch_vccnz .LBB54_107
; %bb.102:
	s_cmp_lg_u32 s33, 0
	s_mov_b32 s26, 0
	s_cbranch_scc0 .LBB54_108
; %bb.103:
	s_min_u32 s27, s43, 15
	s_add_i32 s27, s27, 1
	s_cmp_eq_u32 s43, 2
	s_cbranch_scc1 .LBB54_109
; %bb.104:
	s_and_b32 s26, s27, 28
	s_add_u32 s2, s34, 0xc4
	s_addc_u32 s3, s35, 0
	s_mov_b32 s28, 0
	v_mov_b32_e32 v50, 0
	v_mov_b32_e32 v42, 0
	s_mov_b64 s[24:25], s[34:35]
	v_mov_b32_e32 v3, v2
.LBB54_105:                             ; =>This Inner Loop Header: Depth=1
	s_load_dwordx8 s[12:19], s[24:25], 0x4
	s_load_dwordx4 s[20:23], s[24:25], 0x24
	s_load_dwordx8 s[4:11], s[2:3], 0x0
	s_add_u32 s24, s24, 48
	s_addc_u32 s25, s25, 0
	s_waitcnt lgkmcnt(0)
	v_mul_hi_u32 v1, s13, v3
	v_add_u32_e32 v1, v3, v1
	v_lshrrev_b32_e32 v1, s14, v1
	v_mul_lo_u32 v5, v1, s12
	v_mul_hi_u32 v6, s16, v1
	v_sub_u32_e32 v3, v3, v5
	v_add_u32_e32 v5, v1, v6
	v_lshrrev_b32_e32 v5, s17, v5
	v_mul_lo_u32 v7, v5, s15
	v_mul_hi_u32 v8, s19, v5
	v_sub_u32_e32 v1, v1, v7
	v_add_u32_e32 v7, v5, v8
	v_mul_lo_u32 v6, v3, s5
	v_mul_lo_u32 v3, v3, s4
	;; [unrolled: 1-line block ×4, first 2 shown]
	v_lshrrev_b32_e32 v7, s20, v7
	v_add3_u32 v1, v3, v50, v1
	v_add3_u32 v6, v6, v42, v8
	v_mul_lo_u32 v3, v7, s18
	v_mul_hi_u32 v8, s22, v7
	v_sub_u32_e32 v3, v5, v3
	v_add_u32_e32 v5, v7, v8
	v_mul_lo_u32 v8, v3, s8
	v_mul_lo_u32 v9, v3, s9
	v_lshrrev_b32_e32 v3, s23, v5
	s_add_i32 s28, s28, 4
	v_mul_lo_u32 v5, v3, s21
	s_add_u32 s2, s2, 32
	v_sub_u32_e32 v5, v7, v5
	s_addc_u32 s3, s3, 0
	v_mul_lo_u32 v7, v5, s10
	v_mul_lo_u32 v5, v5, s11
	s_cmp_lg_u32 s26, s28
	v_add3_u32 v42, v9, v6, v5
	v_add3_u32 v50, v8, v1, v7
	s_cbranch_scc1 .LBB54_105
; %bb.106:
	v_mov_b32_e32 v1, v42
	s_and_b32 s6, s27, 3
	s_cmp_eq_u32 s6, 0
	s_cbranch_scc0 .LBB54_110
	s_branch .LBB54_112
.LBB54_107:
                                        ; implicit-def: $vgpr42
                                        ; implicit-def: $vgpr50
	s_branch .LBB54_113
.LBB54_108:
	v_mov_b32_e32 v42, 0
	v_mov_b32_e32 v50, 0
	s_branch .LBB54_112
.LBB54_109:
	v_mov_b32_e32 v50, 0
                                        ; implicit-def: $vgpr42
	v_mov_b32_e32 v1, v50
	v_mov_b32_e32 v3, v2
	s_and_b32 s6, s27, 3
	s_cmp_eq_u32 s6, 0
	s_cbranch_scc1 .LBB54_112
.LBB54_110:
	s_lshl_b32 s2, s26, 3
	s_add_u32 s2, s34, s2
	s_addc_u32 s3, s35, 0
	s_add_u32 s2, s2, 0xc4
	s_addc_u32 s3, s3, 0
	s_mul_i32 s4, s26, 12
	s_add_u32 s4, s34, s4
	s_addc_u32 s5, s35, 0
.LBB54_111:                             ; =>This Inner Loop Header: Depth=1
	s_load_dwordx2 s[8:9], s[4:5], 0x4
	s_load_dword s7, s[4:5], 0xc
	s_load_dwordx2 s[10:11], s[2:3], 0x0
	v_mov_b32_e32 v6, v1
	s_add_u32 s4, s4, 12
	s_waitcnt lgkmcnt(0)
	v_mul_hi_u32 v1, s9, v3
	v_add_u32_e32 v1, v3, v1
	v_lshrrev_b32_e32 v1, s7, v1
	s_addc_u32 s5, s5, 0
	v_mul_lo_u32 v5, v1, s8
	s_add_u32 s2, s2, 8
	v_sub_u32_e32 v5, v3, v5
	s_addc_u32 s3, s3, 0
	s_add_i32 s6, s6, -1
	v_mad_u64_u32 v[42:43], s[8:9], v5, s11, v[6:7]
	s_cmp_lg_u32 s6, 0
	v_mov_b32_e32 v3, v1
	v_mad_u64_u32 v[50:51], s[8:9], v5, s10, v[50:51]
	v_mov_b32_e32 v1, v42
	s_cbranch_scc1 .LBB54_111
.LBB54_112:
	s_cbranch_execnz .LBB54_115
.LBB54_113:
	s_load_dwordx4 s[4:7], s[34:35], 0x4
	s_load_dwordx2 s[2:3], s[34:35], 0xc4
	s_cmp_lt_u32 s33, 2
	s_waitcnt lgkmcnt(0)
	v_mul_hi_u32 v1, s5, v2
	v_add_u32_e32 v1, v2, v1
	v_lshrrev_b32_e32 v1, s6, v1
	v_mul_lo_u32 v3, v1, s4
	v_sub_u32_e32 v2, v2, v3
	v_mul_lo_u32 v42, v2, s3
	v_mul_lo_u32 v50, v2, s2
	s_cbranch_scc1 .LBB54_115
; %bb.114:
	s_load_dwordx4 s[4:7], s[34:35], 0x10
	s_load_dwordx2 s[2:3], s[34:35], 0xcc
	s_waitcnt lgkmcnt(0)
	v_mul_hi_u32 v2, s5, v1
	v_add_u32_e32 v2, v1, v2
	v_lshrrev_b32_e32 v2, s6, v2
	v_mul_lo_u32 v2, v2, s4
	v_sub_u32_e32 v1, v1, v2
	v_mad_u64_u32 v[50:51], s[4:5], v1, s2, v[50:51]
	v_mad_u64_u32 v[42:43], s[2:3], v1, s3, v[42:43]
.LBB54_115:
	s_and_b64 vcc, exec, s[0:1]
	s_cbranch_vccnz .LBB54_121
; %bb.116:
	s_cmp_lg_u32 s33, 0
	s_mov_b32 s24, 0
	s_cbranch_scc0 .LBB54_122
; %bb.117:
	s_min_u32 s25, s43, 15
	s_add_i32 s25, s25, 1
	s_cmp_eq_u32 s43, 2
	s_cbranch_scc1 .LBB54_123
; %bb.118:
	s_and_b32 s24, s25, 28
	s_add_u32 s20, s34, 0xc4
	s_addc_u32 s21, s35, 0
	s_mov_b32 s26, 0
	v_mov_b32_e32 v52, 0
	v_mov_b32_e32 v54, 0
	s_mov_b64 s[22:23], s[34:35]
	v_mov_b32_e32 v2, v4
.LBB54_119:                             ; =>This Inner Loop Header: Depth=1
	s_load_dwordx8 s[8:15], s[22:23], 0x4
	s_load_dwordx4 s[16:19], s[22:23], 0x24
	s_load_dwordx8 s[0:7], s[20:21], 0x0
	s_add_u32 s22, s22, 48
	s_addc_u32 s23, s23, 0
	s_waitcnt lgkmcnt(0)
	v_mul_hi_u32 v1, s9, v2
	v_add_u32_e32 v1, v2, v1
	v_lshrrev_b32_e32 v1, s10, v1
	v_mul_lo_u32 v3, v1, s8
	v_mul_hi_u32 v5, s12, v1
	v_sub_u32_e32 v2, v2, v3
	v_add_u32_e32 v3, v1, v5
	v_lshrrev_b32_e32 v3, s13, v3
	v_mul_lo_u32 v6, v3, s11
	v_mul_hi_u32 v7, s15, v3
	v_sub_u32_e32 v1, v1, v6
	v_add_u32_e32 v6, v3, v7
	v_mul_lo_u32 v5, v2, s1
	v_mul_lo_u32 v2, v2, s0
	;; [unrolled: 1-line block ×4, first 2 shown]
	v_lshrrev_b32_e32 v6, s16, v6
	v_add3_u32 v1, v2, v52, v1
	v_add3_u32 v5, v5, v54, v7
	v_mul_lo_u32 v2, v6, s14
	v_mul_hi_u32 v7, s18, v6
	v_sub_u32_e32 v2, v3, v2
	v_add_u32_e32 v3, v6, v7
	v_mul_lo_u32 v7, v2, s4
	v_mul_lo_u32 v8, v2, s5
	v_lshrrev_b32_e32 v2, s19, v3
	s_add_i32 s26, s26, 4
	v_mul_lo_u32 v3, v2, s17
	s_add_u32 s20, s20, 32
	v_sub_u32_e32 v3, v6, v3
	s_addc_u32 s21, s21, 0
	v_mul_lo_u32 v6, v3, s6
	v_mul_lo_u32 v3, v3, s7
	s_cmp_lg_u32 s24, s26
	v_add3_u32 v54, v8, v5, v3
	v_add3_u32 v52, v7, v1, v6
	s_cbranch_scc1 .LBB54_119
; %bb.120:
	v_mov_b32_e32 v1, v54
	s_and_b32 s4, s25, 3
	s_cmp_eq_u32 s4, 0
	s_cbranch_scc0 .LBB54_124
	s_branch .LBB54_126
.LBB54_121:
                                        ; implicit-def: $vgpr54
                                        ; implicit-def: $vgpr52
	s_branch .LBB54_127
.LBB54_122:
	v_mov_b32_e32 v54, 0
	v_mov_b32_e32 v52, 0
	s_branch .LBB54_126
.LBB54_123:
	v_mov_b32_e32 v52, 0
                                        ; implicit-def: $vgpr54
	v_mov_b32_e32 v1, v52
	v_mov_b32_e32 v2, v4
	s_and_b32 s4, s25, 3
	s_cmp_eq_u32 s4, 0
	s_cbranch_scc1 .LBB54_126
.LBB54_124:
	s_lshl_b32 s0, s24, 3
	s_add_u32 s0, s34, s0
	s_addc_u32 s1, s35, 0
	s_add_u32 s0, s0, 0xc4
	s_addc_u32 s1, s1, 0
	s_mul_i32 s2, s24, 12
	s_add_u32 s2, s34, s2
	s_addc_u32 s3, s35, 0
.LBB54_125:                             ; =>This Inner Loop Header: Depth=1
	s_load_dwordx2 s[6:7], s[2:3], 0x4
	s_load_dword s5, s[2:3], 0xc
	s_load_dwordx2 s[8:9], s[0:1], 0x0
	v_mov_b32_e32 v6, v1
	s_add_u32 s2, s2, 12
	s_waitcnt lgkmcnt(0)
	v_mul_hi_u32 v1, s7, v2
	v_add_u32_e32 v1, v2, v1
	v_lshrrev_b32_e32 v1, s5, v1
	s_addc_u32 s3, s3, 0
	v_mul_lo_u32 v3, v1, s6
	s_add_u32 s0, s0, 8
	v_sub_u32_e32 v3, v2, v3
	s_addc_u32 s1, s1, 0
	s_add_i32 s4, s4, -1
	v_mad_u64_u32 v[54:55], s[6:7], v3, s9, v[6:7]
	s_cmp_lg_u32 s4, 0
	v_mov_b32_e32 v2, v1
	v_mad_u64_u32 v[52:53], s[6:7], v3, s8, v[52:53]
	v_mov_b32_e32 v1, v54
	s_cbranch_scc1 .LBB54_125
.LBB54_126:
	s_cbranch_execnz .LBB54_129
.LBB54_127:
	s_load_dwordx4 s[0:3], s[34:35], 0x4
	s_load_dwordx2 s[4:5], s[34:35], 0xc4
	s_cmp_lt_u32 s33, 2
	s_waitcnt lgkmcnt(0)
	v_mul_hi_u32 v1, s1, v4
	v_add_u32_e32 v1, v4, v1
	v_lshrrev_b32_e32 v1, s2, v1
	v_mul_lo_u32 v2, v1, s0
	v_sub_u32_e32 v2, v4, v2
	v_mul_lo_u32 v54, v2, s5
	v_mul_lo_u32 v52, v2, s4
	s_cbranch_scc1 .LBB54_129
; %bb.128:
	s_load_dwordx4 s[0:3], s[34:35], 0x10
	s_load_dwordx2 s[4:5], s[34:35], 0xcc
	s_waitcnt lgkmcnt(0)
	v_mul_hi_u32 v2, s1, v1
	v_add_u32_e32 v2, v1, v2
	v_lshrrev_b32_e32 v2, s2, v2
	v_mul_lo_u32 v2, v2, s0
	v_sub_u32_e32 v1, v1, v2
	v_mad_u64_u32 v[52:53], s[0:1], v1, s4, v[52:53]
	v_mad_u64_u32 v[54:55], s[0:1], v1, s5, v[54:55]
.LBB54_129:
	s_load_dwordx4 s[36:39], s[34:35], 0x148
	v_mov_b32_e32 v53, 0
	s_getpc_b64 s[34:35]
	s_add_u32 s34, s34, _ZZZZN2at6native15exp_kernel_cudaERNS_18TensorIteratorBaseEENKUlvE_clEvENKUlvE_clEvENKUlN3c107complexIdEEE_clES7_@rel32@lo+4
	s_addc_u32 s35, s35, _ZZZZN2at6native15exp_kernel_cudaERNS_18TensorIteratorBaseEENKUlvE_clEvENKUlvE_clEvENKUlN3c107complexIdEEE_clES7_@rel32@hi+12
	s_waitcnt lgkmcnt(0)
	global_load_dwordx4 v[0:3], v0, s[38:39]
	v_lshl_add_u64 v[56:57], s[36:37], 0, v[52:53]
	s_swappc_b64 s[30:31], s[34:35]
	v_mov_b32_e32 v34, v0
	v_mov_b32_e32 v35, v1
	v_mov_b32_e32 v36, v2
	v_mov_b32_e32 v37, v3
	global_load_dwordx4 v[0:3], v38, s[38:39]
	s_swappc_b64 s[30:31], s[34:35]
	v_mov_b32_e32 v38, v0
	v_mov_b32_e32 v39, v1
	v_mov_b32_e32 v40, v2
	v_mov_b32_e32 v41, v3
	global_load_dwordx4 v[0:3], v42, s[38:39]
	;; [unrolled: 6-line block ×3, first 2 shown]
	s_swappc_b64 s[30:31], s[34:35]
	s_or_b64 s[44:45], s[44:45], exec
	global_store_dwordx4 v46, v[34:37], s[36:37]
	global_store_dwordx4 v48, v[38:41], s[36:37]
	;; [unrolled: 1-line block ×3, first 2 shown]
	global_store_dwordx2 v52, v[0:1], s[36:37]
	s_or_b64 exec, exec, s[46:47]
	s_and_saveexec_b64 s[0:1], s[44:45]
	s_cbranch_execz .LBB54_3
.LBB54_130:
	global_store_dwordx2 v[56:57], v[2:3], off offset:8
	s_endpgm
	.section	.rodata,"a",@progbits
	.p2align	6, 0x0
	.amdhsa_kernel _ZN2at6native32elementwise_kernel_manual_unrollILi128ELi4EZNS0_22gpu_kernel_impl_nocastIZZZNS0_15exp_kernel_cudaERNS_18TensorIteratorBaseEENKUlvE_clEvENKUlvE_clEvEUlN3c107complexIdEEE_EEvS4_RKT_EUlibE_EEviT1_
		.amdhsa_group_segment_fixed_size 0
		.amdhsa_private_segment_fixed_size 0
		.amdhsa_kernarg_size 360
		.amdhsa_user_sgpr_count 2
		.amdhsa_user_sgpr_dispatch_ptr 0
		.amdhsa_user_sgpr_queue_ptr 0
		.amdhsa_user_sgpr_kernarg_segment_ptr 1
		.amdhsa_user_sgpr_dispatch_id 0
		.amdhsa_user_sgpr_kernarg_preload_length 0
		.amdhsa_user_sgpr_kernarg_preload_offset 0
		.amdhsa_user_sgpr_private_segment_size 0
		.amdhsa_uses_dynamic_stack 0
		.amdhsa_enable_private_segment 0
		.amdhsa_system_sgpr_workgroup_id_x 1
		.amdhsa_system_sgpr_workgroup_id_y 0
		.amdhsa_system_sgpr_workgroup_id_z 0
		.amdhsa_system_sgpr_workgroup_info 0
		.amdhsa_system_vgpr_workitem_id 0
		.amdhsa_next_free_vgpr 58
		.amdhsa_next_free_sgpr 68
		.amdhsa_accum_offset 60
		.amdhsa_reserve_vcc 1
		.amdhsa_float_round_mode_32 0
		.amdhsa_float_round_mode_16_64 0
		.amdhsa_float_denorm_mode_32 3
		.amdhsa_float_denorm_mode_16_64 3
		.amdhsa_dx10_clamp 1
		.amdhsa_ieee_mode 1
		.amdhsa_fp16_overflow 0
		.amdhsa_tg_split 0
		.amdhsa_exception_fp_ieee_invalid_op 0
		.amdhsa_exception_fp_denorm_src 0
		.amdhsa_exception_fp_ieee_div_zero 0
		.amdhsa_exception_fp_ieee_overflow 0
		.amdhsa_exception_fp_ieee_underflow 0
		.amdhsa_exception_fp_ieee_inexact 0
		.amdhsa_exception_int_div_zero 0
	.end_amdhsa_kernel
	.section	.text._ZN2at6native32elementwise_kernel_manual_unrollILi128ELi4EZNS0_22gpu_kernel_impl_nocastIZZZNS0_15exp_kernel_cudaERNS_18TensorIteratorBaseEENKUlvE_clEvENKUlvE_clEvEUlN3c107complexIdEEE_EEvS4_RKT_EUlibE_EEviT1_,"axG",@progbits,_ZN2at6native32elementwise_kernel_manual_unrollILi128ELi4EZNS0_22gpu_kernel_impl_nocastIZZZNS0_15exp_kernel_cudaERNS_18TensorIteratorBaseEENKUlvE_clEvENKUlvE_clEvEUlN3c107complexIdEEE_EEvS4_RKT_EUlibE_EEviT1_,comdat
.Lfunc_end54:
	.size	_ZN2at6native32elementwise_kernel_manual_unrollILi128ELi4EZNS0_22gpu_kernel_impl_nocastIZZZNS0_15exp_kernel_cudaERNS_18TensorIteratorBaseEENKUlvE_clEvENKUlvE_clEvEUlN3c107complexIdEEE_EEvS4_RKT_EUlibE_EEviT1_, .Lfunc_end54-_ZN2at6native32elementwise_kernel_manual_unrollILi128ELi4EZNS0_22gpu_kernel_impl_nocastIZZZNS0_15exp_kernel_cudaERNS_18TensorIteratorBaseEENKUlvE_clEvENKUlvE_clEvEUlN3c107complexIdEEE_EEvS4_RKT_EUlibE_EEviT1_
                                        ; -- End function
	.set _ZN2at6native32elementwise_kernel_manual_unrollILi128ELi4EZNS0_22gpu_kernel_impl_nocastIZZZNS0_15exp_kernel_cudaERNS_18TensorIteratorBaseEENKUlvE_clEvENKUlvE_clEvEUlN3c107complexIdEEE_EEvS4_RKT_EUlibE_EEviT1_.num_vgpr, max(58, .L_ZZZZN2at6native15exp_kernel_cudaERNS_18TensorIteratorBaseEENKUlvE_clEvENKUlvE_clEvENKUlN3c107complexIdEEE_clES7_.num_vgpr)
	.set _ZN2at6native32elementwise_kernel_manual_unrollILi128ELi4EZNS0_22gpu_kernel_impl_nocastIZZZNS0_15exp_kernel_cudaERNS_18TensorIteratorBaseEENKUlvE_clEvENKUlvE_clEvEUlN3c107complexIdEEE_EEvS4_RKT_EUlibE_EEviT1_.num_agpr, max(0, .L_ZZZZN2at6native15exp_kernel_cudaERNS_18TensorIteratorBaseEENKUlvE_clEvENKUlvE_clEvENKUlN3c107complexIdEEE_clES7_.num_agpr)
	.set _ZN2at6native32elementwise_kernel_manual_unrollILi128ELi4EZNS0_22gpu_kernel_impl_nocastIZZZNS0_15exp_kernel_cudaERNS_18TensorIteratorBaseEENKUlvE_clEvENKUlvE_clEvEUlN3c107complexIdEEE_EEvS4_RKT_EUlibE_EEviT1_.numbered_sgpr, max(68, .L_ZZZZN2at6native15exp_kernel_cudaERNS_18TensorIteratorBaseEENKUlvE_clEvENKUlvE_clEvENKUlN3c107complexIdEEE_clES7_.numbered_sgpr)
	.set _ZN2at6native32elementwise_kernel_manual_unrollILi128ELi4EZNS0_22gpu_kernel_impl_nocastIZZZNS0_15exp_kernel_cudaERNS_18TensorIteratorBaseEENKUlvE_clEvENKUlvE_clEvEUlN3c107complexIdEEE_EEvS4_RKT_EUlibE_EEviT1_.num_named_barrier, max(0, .L_ZZZZN2at6native15exp_kernel_cudaERNS_18TensorIteratorBaseEENKUlvE_clEvENKUlvE_clEvENKUlN3c107complexIdEEE_clES7_.num_named_barrier)
	.set _ZN2at6native32elementwise_kernel_manual_unrollILi128ELi4EZNS0_22gpu_kernel_impl_nocastIZZZNS0_15exp_kernel_cudaERNS_18TensorIteratorBaseEENKUlvE_clEvENKUlvE_clEvEUlN3c107complexIdEEE_EEvS4_RKT_EUlibE_EEviT1_.private_seg_size, 0+max(.L_ZZZZN2at6native15exp_kernel_cudaERNS_18TensorIteratorBaseEENKUlvE_clEvENKUlvE_clEvENKUlN3c107complexIdEEE_clES7_.private_seg_size)
	.set _ZN2at6native32elementwise_kernel_manual_unrollILi128ELi4EZNS0_22gpu_kernel_impl_nocastIZZZNS0_15exp_kernel_cudaERNS_18TensorIteratorBaseEENKUlvE_clEvENKUlvE_clEvEUlN3c107complexIdEEE_EEvS4_RKT_EUlibE_EEviT1_.uses_vcc, or(1, .L_ZZZZN2at6native15exp_kernel_cudaERNS_18TensorIteratorBaseEENKUlvE_clEvENKUlvE_clEvENKUlN3c107complexIdEEE_clES7_.uses_vcc)
	.set _ZN2at6native32elementwise_kernel_manual_unrollILi128ELi4EZNS0_22gpu_kernel_impl_nocastIZZZNS0_15exp_kernel_cudaERNS_18TensorIteratorBaseEENKUlvE_clEvENKUlvE_clEvEUlN3c107complexIdEEE_EEvS4_RKT_EUlibE_EEviT1_.uses_flat_scratch, or(0, .L_ZZZZN2at6native15exp_kernel_cudaERNS_18TensorIteratorBaseEENKUlvE_clEvENKUlvE_clEvENKUlN3c107complexIdEEE_clES7_.uses_flat_scratch)
	.set _ZN2at6native32elementwise_kernel_manual_unrollILi128ELi4EZNS0_22gpu_kernel_impl_nocastIZZZNS0_15exp_kernel_cudaERNS_18TensorIteratorBaseEENKUlvE_clEvENKUlvE_clEvEUlN3c107complexIdEEE_EEvS4_RKT_EUlibE_EEviT1_.has_dyn_sized_stack, or(0, .L_ZZZZN2at6native15exp_kernel_cudaERNS_18TensorIteratorBaseEENKUlvE_clEvENKUlvE_clEvENKUlN3c107complexIdEEE_clES7_.has_dyn_sized_stack)
	.set _ZN2at6native32elementwise_kernel_manual_unrollILi128ELi4EZNS0_22gpu_kernel_impl_nocastIZZZNS0_15exp_kernel_cudaERNS_18TensorIteratorBaseEENKUlvE_clEvENKUlvE_clEvEUlN3c107complexIdEEE_EEvS4_RKT_EUlibE_EEviT1_.has_recursion, or(0, .L_ZZZZN2at6native15exp_kernel_cudaERNS_18TensorIteratorBaseEENKUlvE_clEvENKUlvE_clEvENKUlN3c107complexIdEEE_clES7_.has_recursion)
	.set _ZN2at6native32elementwise_kernel_manual_unrollILi128ELi4EZNS0_22gpu_kernel_impl_nocastIZZZNS0_15exp_kernel_cudaERNS_18TensorIteratorBaseEENKUlvE_clEvENKUlvE_clEvEUlN3c107complexIdEEE_EEvS4_RKT_EUlibE_EEviT1_.has_indirect_call, or(0, .L_ZZZZN2at6native15exp_kernel_cudaERNS_18TensorIteratorBaseEENKUlvE_clEvENKUlvE_clEvENKUlN3c107complexIdEEE_clES7_.has_indirect_call)
	.section	.AMDGPU.csdata,"",@progbits
; Kernel info:
; codeLenInByte = 5964
; TotalNumSgprs: 74
; NumVgprs: 58
; NumAgprs: 0
; TotalNumVgprs: 58
; ScratchSize: 0
; MemoryBound: 0
; FloatMode: 240
; IeeeMode: 1
; LDSByteSize: 0 bytes/workgroup (compile time only)
; SGPRBlocks: 9
; VGPRBlocks: 7
; NumSGPRsForWavesPerEU: 74
; NumVGPRsForWavesPerEU: 58
; AccumOffset: 60
; Occupancy: 8
; WaveLimiterHint : 1
; COMPUTE_PGM_RSRC2:SCRATCH_EN: 0
; COMPUTE_PGM_RSRC2:USER_SGPR: 2
; COMPUTE_PGM_RSRC2:TRAP_HANDLER: 0
; COMPUTE_PGM_RSRC2:TGID_X_EN: 1
; COMPUTE_PGM_RSRC2:TGID_Y_EN: 0
; COMPUTE_PGM_RSRC2:TGID_Z_EN: 0
; COMPUTE_PGM_RSRC2:TIDIG_COMP_CNT: 0
; COMPUTE_PGM_RSRC3_GFX90A:ACCUM_OFFSET: 14
; COMPUTE_PGM_RSRC3_GFX90A:TG_SPLIT: 0
	.section	.text._ZN2at6native32elementwise_kernel_manual_unrollILi128ELi4EZNS0_15gpu_kernel_implIZZZNS0_15exp_kernel_cudaERNS_18TensorIteratorBaseEENKUlvE_clEvENKUlvE_clEvEUlN3c107complexIdEEE_EEvS4_RKT_EUlibE_EEviT1_,"axG",@progbits,_ZN2at6native32elementwise_kernel_manual_unrollILi128ELi4EZNS0_15gpu_kernel_implIZZZNS0_15exp_kernel_cudaERNS_18TensorIteratorBaseEENKUlvE_clEvENKUlvE_clEvEUlN3c107complexIdEEE_EEvS4_RKT_EUlibE_EEviT1_,comdat
	.globl	_ZN2at6native32elementwise_kernel_manual_unrollILi128ELi4EZNS0_15gpu_kernel_implIZZZNS0_15exp_kernel_cudaERNS_18TensorIteratorBaseEENKUlvE_clEvENKUlvE_clEvEUlN3c107complexIdEEE_EEvS4_RKT_EUlibE_EEviT1_ ; -- Begin function _ZN2at6native32elementwise_kernel_manual_unrollILi128ELi4EZNS0_15gpu_kernel_implIZZZNS0_15exp_kernel_cudaERNS_18TensorIteratorBaseEENKUlvE_clEvENKUlvE_clEvEUlN3c107complexIdEEE_EEvS4_RKT_EUlibE_EEviT1_
	.p2align	8
	.type	_ZN2at6native32elementwise_kernel_manual_unrollILi128ELi4EZNS0_15gpu_kernel_implIZZZNS0_15exp_kernel_cudaERNS_18TensorIteratorBaseEENKUlvE_clEvENKUlvE_clEvEUlN3c107complexIdEEE_EEvS4_RKT_EUlibE_EEviT1_,@function
_ZN2at6native32elementwise_kernel_manual_unrollILi128ELi4EZNS0_15gpu_kernel_implIZZZNS0_15exp_kernel_cudaERNS_18TensorIteratorBaseEENKUlvE_clEvENKUlvE_clEvEUlN3c107complexIdEEE_EEvS4_RKT_EUlibE_EEviT1_: ; @_ZN2at6native32elementwise_kernel_manual_unrollILi128ELi4EZNS0_15gpu_kernel_implIZZZNS0_15exp_kernel_cudaERNS_18TensorIteratorBaseEENKUlvE_clEvENKUlvE_clEvEUlN3c107complexIdEEE_EEvS4_RKT_EUlibE_EEviT1_
; %bb.0:
	v_mov_b32_e32 v1, 0
	global_load_ushort v1, v1, s[0:1] offset:33
	s_load_dwordx4 s[36:39], s[0:1], 0x8
	s_load_dwordx2 s[34:35], s[0:1], 0x18
	s_load_dword s64, s[0:1], 0x0
	v_lshl_or_b32 v46, s2, 9, v0
	v_or_b32_e32 v0, 0x180, v46
	s_mov_b64 s[44:45], 0
	s_mov_b64 s[48:49], 0
	s_waitcnt lgkmcnt(0)
	v_cmp_le_i32_e32 vcc, s64, v0
	s_mov_b32 s32, 0
	s_waitcnt vmcnt(0)
	v_readfirstlane_b32 s33, v1
	s_and_b32 s0, 0xffff, s33
	s_lshr_b32 s43, s0, 8
	s_and_saveexec_b64 s[0:1], vcc
	s_xor_b64 s[46:47], exec, s[0:1]
	s_cbranch_execz .LBB55_1045
; %bb.1:
	v_cmp_gt_i32_e32 vcc, s64, v46
	s_mov_b64 s[2:3], -1
	s_mov_b64 s[56:57], 0
	s_mov_b64 s[50:51], 0
	s_and_saveexec_b64 s[52:53], vcc
	s_cbranch_execz .LBB55_255
; %bb.2:
	v_mul_lo_u32 v0, v46, s35
	v_ashrrev_i32_e32 v1, 31, v0
	s_and_b32 s6, 0xffff, s43
	s_cmp_lt_i32 s6, 11
	v_lshl_add_u64 v[4:5], s[38:39], 0, v[0:1]
	s_cbranch_scc1 .LBB55_9
; %bb.3:
	s_cmp_gt_i32 s6, 25
	s_cbranch_scc0 .LBB55_18
; %bb.4:
	s_cmp_gt_i32 s6, 28
	s_cbranch_scc0 .LBB55_22
	;; [unrolled: 3-line block ×4, first 2 shown]
; %bb.7:
	s_cmp_eq_u32 s6, 46
	s_mov_b64 s[2:3], 0
	s_cbranch_scc0 .LBB55_27
; %bb.8:
	global_load_dword v0, v[4:5], off
	s_mov_b64 s[0:1], -1
	s_waitcnt vmcnt(0)
	v_and_b32_e32 v2, 0xffff0000, v0
	v_lshlrev_b32_e32 v0, 16, v0
	v_cvt_f64_f32_e32 v[0:1], v0
	v_cvt_f64_f32_e32 v[2:3], v2
	s_branch .LBB55_29
.LBB55_9:
                                        ; implicit-def: $vgpr2_vgpr3
	s_mov_b64 s[0:1], 0
	s_and_b64 vcc, exec, s[2:3]
	s_cbranch_vccnz .LBB55_204
.LBB55_10:
	s_andn2_b64 vcc, exec, s[0:1]
	s_cbranch_vccnz .LBB55_253
.LBB55_11:
	s_getpc_b64 s[0:1]
	s_add_u32 s0, s0, _ZZZZN2at6native15exp_kernel_cudaERNS_18TensorIteratorBaseEENKUlvE_clEvENKUlvE_clEvENKUlN3c107complexIdEEE_clES7_@rel32@lo+4
	s_addc_u32 s1, s1, _ZZZZN2at6native15exp_kernel_cudaERNS_18TensorIteratorBaseEENKUlvE_clEvENKUlvE_clEvENKUlN3c107complexIdEEE_clES7_@rel32@hi+12
	s_swappc_b64 s[30:31], s[0:1]
	v_mul_lo_u32 v4, v46, s34
	v_ashrrev_i32_e32 v5, 31, v4
	s_and_b32 s8, s33, 0xff
	s_cmp_lt_i32 s8, 11
	v_lshl_add_u64 v[4:5], s[36:37], 0, v[4:5]
	s_cbranch_scc1 .LBB55_19
; %bb.12:
	s_and_b32 s9, 0xffff, s8
	s_cmp_gt_i32 s9, 25
	s_cbranch_scc0 .LBB55_23
; %bb.13:
	s_cmp_gt_i32 s9, 28
	s_cbranch_scc0 .LBB55_25
; %bb.14:
	;; [unrolled: 3-line block ×4, first 2 shown]
	s_mov_b64 s[4:5], 0
	s_mov_b64 s[2:3], -1
	s_cmp_eq_u32 s9, 46
	s_mov_b64 s[0:1], 0
	s_cbranch_scc0 .LBB55_33
; %bb.17:
	v_cvt_f32_f64_e32 v7, v[2:3]
	s_movk_i32 s0, 0x7fff
	v_bfe_u32 v9, v7, 16, 1
	v_cvt_f32_f64_e32 v6, v[0:1]
	v_add3_u32 v9, v7, v9, s0
	v_bfe_u32 v8, v6, 16, 1
	v_and_b32_e32 v9, 0xffff0000, v9
	v_mov_b32_e32 v10, 0x7fc00000
	v_cmp_o_f32_e32 vcc, v7, v7
	v_add3_u32 v8, v6, v8, s0
	s_mov_b64 s[0:1], -1
	v_cndmask_b32_e32 v7, v10, v9, vcc
	v_cmp_o_f32_e32 vcc, v6, v6
	v_mov_b32_e32 v6, 0x7fc0
	s_mov_b64 s[2:3], 0
	v_cndmask_b32_sdwa v6, v6, v8, vcc dst_sel:DWORD dst_unused:UNUSED_PAD src0_sel:DWORD src1_sel:WORD_1
	v_or_b32_e32 v6, v7, v6
	global_store_dword v[4:5], v6, off
	s_branch .LBB55_33
.LBB55_18:
	s_mov_b64 s[0:1], 0
                                        ; implicit-def: $vgpr2_vgpr3
	s_and_b64 vcc, exec, s[2:3]
	s_cbranch_vccnz .LBB55_171
	s_branch .LBB55_203
.LBB55_19:
	s_mov_b64 s[2:3], 0
	s_mov_b64 s[0:1], 0
	s_cbranch_execnz .LBB55_102
.LBB55_20:
	s_andn2_b64 vcc, exec, s[0:1]
	s_cbranch_vccnz .LBB55_140
.LBB55_21:
	v_add_u32_e32 v46, 0x80, v46
	s_mov_b64 s[0:1], -1
	s_branch .LBB55_254
.LBB55_22:
	s_mov_b64 s[0:1], 0
                                        ; implicit-def: $vgpr2_vgpr3
	s_branch .LBB55_150
.LBB55_23:
	s_mov_b64 s[4:5], -1
	s_mov_b64 s[2:3], 0
	s_mov_b64 s[0:1], 0
	s_branch .LBB55_60
.LBB55_24:
	s_mov_b64 s[0:1], 0
                                        ; implicit-def: $vgpr2_vgpr3
	s_branch .LBB55_144
.LBB55_25:
	s_mov_b64 s[4:5], -1
	s_mov_b64 s[2:3], 0
	s_mov_b64 s[0:1], 0
	s_branch .LBB55_43
.LBB55_26:
	s_mov_b64 s[4:5], -1
	s_mov_b64 s[2:3], 0
	s_mov_b64 s[0:1], 0
	s_branch .LBB55_39
.LBB55_27:
	s_mov_b64 s[50:51], -1
.LBB55_28:
	s_mov_b64 s[0:1], 0
                                        ; implicit-def: $vgpr2_vgpr3
.LBB55_29:
	s_and_b64 vcc, exec, s[2:3]
	s_cbranch_vccz .LBB55_143
; %bb.30:
	s_cmp_eq_u32 s6, 44
	s_cbranch_scc0 .LBB55_141
; %bb.31:
	global_load_ubyte v2, v[4:5], off
	s_movk_i32 s2, 0xff
	v_bfrev_b32_e32 v3, 4
	v_mov_b32_e32 v6, 0x7ff80000
	v_bfrev_b32_e32 v7, 28
	s_mov_b64 s[0:1], -1
	s_mov_b64 s[50:51], 0
	s_waitcnt vmcnt(0)
	v_lshlrev_b32_e32 v0, 23, v2
	v_cvt_f64_f32_e32 v[0:1], v0
	v_cmp_ne_u32_e32 vcc, s2, v2
	s_nop 1
	v_cndmask_b32_e32 v0, v3, v0, vcc
	v_cndmask_b32_e32 v1, v6, v1, vcc
	v_cmp_ne_u32_e32 vcc, 0, v2
	s_nop 1
	v_cndmask_b32_e32 v1, v7, v1, vcc
	v_cndmask_b32_e32 v0, 0, v0, vcc
	s_branch .LBB55_142
.LBB55_32:
	s_mov_b64 s[4:5], -1
	s_mov_b64 s[2:3], 0
	s_mov_b64 s[0:1], 0
.LBB55_33:
	s_and_b64 vcc, exec, s[4:5]
	s_cbranch_vccz .LBB55_38
; %bb.34:
	s_cmp_eq_u32 s9, 44
	s_mov_b64 s[2:3], -1
	s_cbranch_scc0 .LBB55_38
; %bb.35:
	v_cvt_f32_f64_e32 v6, v[0:1]
	v_bfe_u32 v7, v6, 23, 8
	s_movk_i32 s0, 0xff
	v_cmp_ne_u32_e32 vcc, s0, v7
	v_mov_b32_e32 v8, 0xff
	s_and_saveexec_b64 s[2:3], vcc
; %bb.36:
	s_mov_b32 s0, 0x3fffff
	v_lshrrev_b32_e32 v8, 23, v6
	v_and_b32_e32 v9, 0x400000, v6
	v_and_or_b32 v6, v6, s0, v7
	v_cmp_ne_u32_e32 vcc, 0, v9
	v_cmp_ne_u32_e64 s[0:1], 0, v6
	s_and_b64 s[0:1], vcc, s[0:1]
	s_nop 0
	v_cndmask_b32_e64 v6, 0, 1, s[0:1]
	v_add_u32_e32 v8, v8, v6
; %bb.37:
	s_or_b64 exec, exec, s[2:3]
	s_mov_b64 s[0:1], -1
	s_mov_b64 s[2:3], 0
	global_store_byte v[4:5], v8, off
.LBB55_38:
	s_mov_b64 s[4:5], 0
.LBB55_39:
	s_and_b64 vcc, exec, s[4:5]
	s_cbranch_vccz .LBB55_42
; %bb.40:
	s_cmp_eq_u32 s9, 29
	s_mov_b64 s[2:3], -1
	s_cbranch_scc0 .LBB55_42
; %bb.41:
	v_trunc_f64_e32 v[6:7], v[0:1]
	s_movk_i32 s0, 0xffe0
	v_ldexp_f64 v[8:9], v[6:7], s0
	v_floor_f64_e32 v[8:9], v[8:9]
	v_fmac_f64_e32 v[6:7], 0xc1f00000, v[8:9]
	v_cvt_u32_f64_e32 v11, v[8:9]
	v_cvt_u32_f64_e32 v10, v[6:7]
	global_store_dwordx2 v[4:5], v[10:11], off
	s_mov_b64 s[0:1], -1
	s_mov_b64 s[2:3], 0
.LBB55_42:
	s_mov_b64 s[4:5], 0
.LBB55_43:
	s_and_b64 vcc, exec, s[4:5]
	s_cbranch_vccz .LBB55_59
; %bb.44:
	s_cmp_lt_i32 s9, 27
	s_mov_b64 s[0:1], -1
	s_cbranch_scc1 .LBB55_50
; %bb.45:
	s_cmp_gt_i32 s9, 27
	v_cvt_u32_f64_e32 v6, v[0:1]
	s_cbranch_scc0 .LBB55_47
; %bb.46:
	s_mov_b64 s[0:1], 0
	global_store_dword v[4:5], v6, off
.LBB55_47:
	s_andn2_b64 vcc, exec, s[0:1]
	s_cbranch_vccnz .LBB55_49
; %bb.48:
	global_store_short v[4:5], v6, off
.LBB55_49:
	s_mov_b64 s[0:1], 0
.LBB55_50:
	s_andn2_b64 vcc, exec, s[0:1]
	s_cbranch_vccnz .LBB55_58
; %bb.51:
	v_cvt_f32_f64_e32 v6, v[0:1]
	v_and_b32_e32 v7, 0x7fffffff, v6
	s_mov_b32 s0, 0x43800000
	v_cmp_gt_u32_e32 vcc, s0, v7
	v_mov_b32_e32 v8, 0x80
	s_and_saveexec_b64 s[0:1], vcc
	s_cbranch_execz .LBB55_57
; %bb.52:
	s_mov_b32 s4, 0x3bffffff
	v_cmp_lt_u32_e32 vcc, s4, v7
	s_mov_b64 s[4:5], 0
                                        ; implicit-def: $vgpr7
	s_and_saveexec_b64 s[6:7], vcc
	s_xor_b64 s[6:7], exec, s[6:7]
	s_cbranch_execz .LBB55_282
; %bb.53:
	v_bfe_u32 v7, v6, 20, 1
	s_mov_b32 s10, 0x487ffff
	v_add3_u32 v7, v6, v7, s10
	s_mov_b64 s[4:5], exec
	v_lshrrev_b32_e32 v7, 20, v7
	s_andn2_saveexec_b64 s[6:7], s[6:7]
	s_cbranch_execnz .LBB55_283
.LBB55_54:
	s_or_b64 exec, exec, s[6:7]
	v_mov_b32_e32 v8, 0
	s_and_saveexec_b64 s[6:7], s[4:5]
.LBB55_55:
	v_lshrrev_b32_e32 v6, 24, v6
	s_movk_i32 s4, 0x80
	v_and_or_b32 v8, v6, s4, v7
.LBB55_56:
	s_or_b64 exec, exec, s[6:7]
.LBB55_57:
	s_or_b64 exec, exec, s[0:1]
	global_store_byte v[4:5], v8, off
.LBB55_58:
	s_mov_b64 s[0:1], -1
.LBB55_59:
	s_mov_b64 s[4:5], 0
.LBB55_60:
	s_and_b64 vcc, exec, s[4:5]
	s_cbranch_vccz .LBB55_101
; %bb.61:
	s_cmp_gt_i32 s9, 22
	s_mov_b64 s[4:5], -1
	s_cbranch_scc0 .LBB55_93
; %bb.62:
	s_cmp_lt_i32 s9, 24
	s_mov_b64 s[0:1], -1
	s_cbranch_scc1 .LBB55_82
; %bb.63:
	s_cmp_gt_i32 s9, 24
	s_cbranch_scc0 .LBB55_71
; %bb.64:
	v_cvt_f32_f64_e32 v6, v[0:1]
	v_and_b32_e32 v7, 0x7fffffff, v6
	s_mov_b32 s0, 0x47800000
	v_cmp_gt_u32_e32 vcc, s0, v7
	v_mov_b32_e32 v8, 0x80
	s_and_saveexec_b64 s[0:1], vcc
	s_cbranch_execz .LBB55_70
; %bb.65:
	s_mov_b32 s4, 0x37ffffff
	v_cmp_lt_u32_e32 vcc, s4, v7
	s_mov_b64 s[4:5], 0
                                        ; implicit-def: $vgpr7
	s_and_saveexec_b64 s[6:7], vcc
	s_xor_b64 s[6:7], exec, s[6:7]
	s_cbranch_execz .LBB55_286
; %bb.66:
	v_bfe_u32 v7, v6, 21, 1
	s_mov_b32 s10, 0x88fffff
	v_add3_u32 v7, v6, v7, s10
	s_mov_b64 s[4:5], exec
	v_lshrrev_b32_e32 v7, 21, v7
	s_andn2_saveexec_b64 s[6:7], s[6:7]
	s_cbranch_execnz .LBB55_287
.LBB55_67:
	s_or_b64 exec, exec, s[6:7]
	v_mov_b32_e32 v8, 0
	s_and_saveexec_b64 s[6:7], s[4:5]
.LBB55_68:
	v_lshrrev_b32_e32 v6, 24, v6
	s_movk_i32 s4, 0x80
	v_and_or_b32 v8, v6, s4, v7
.LBB55_69:
	s_or_b64 exec, exec, s[6:7]
.LBB55_70:
	s_or_b64 exec, exec, s[0:1]
	s_mov_b64 s[0:1], 0
	global_store_byte v[4:5], v8, off
.LBB55_71:
	s_and_b64 vcc, exec, s[0:1]
	s_cbranch_vccz .LBB55_81
; %bb.72:
	v_cvt_f32_f64_e32 v6, v[0:1]
	v_and_b32_e32 v8, 0x7fffffff, v6
	s_mov_b32 s0, 0x43f00000
	v_cmp_gt_u32_e32 vcc, s0, v8
                                        ; implicit-def: $vgpr7
	s_and_saveexec_b64 s[0:1], vcc
	s_xor_b64 s[0:1], exec, s[0:1]
	s_cbranch_execz .LBB55_78
; %bb.73:
	s_mov_b32 s4, 0x3c7fffff
	v_cmp_lt_u32_e32 vcc, s4, v8
                                        ; implicit-def: $vgpr7
	s_and_saveexec_b64 s[4:5], vcc
	s_xor_b64 s[4:5], exec, s[4:5]
; %bb.74:
	v_bfe_u32 v7, v6, 20, 1
	s_mov_b32 s6, 0x407ffff
	v_add3_u32 v7, v6, v7, s6
	v_lshrrev_b32_e32 v8, 20, v7
	v_and_b32_e32 v7, 0xff00000, v7
	s_mov_b32 s6, 0x7f00000
	v_mov_b32_e32 v9, 0x7e
	v_cmp_ne_u32_e32 vcc, s6, v7
	s_nop 1
	v_cndmask_b32_e32 v7, v9, v8, vcc
; %bb.75:
	s_andn2_saveexec_b64 s[4:5], s[4:5]
; %bb.76:
	s_mov_b32 s6, 0x46800000
	v_add_f32_e64 v7, |v6|, s6
; %bb.77:
	s_or_b64 exec, exec, s[4:5]
                                        ; implicit-def: $vgpr8
.LBB55_78:
	s_andn2_saveexec_b64 s[0:1], s[0:1]
; %bb.79:
	s_mov_b32 s4, 0x7f800000
	v_mov_b32_e32 v7, 0x7e
	v_mov_b32_e32 v9, 0x7f
	v_cmp_lt_u32_e32 vcc, s4, v8
	s_nop 1
	v_cndmask_b32_e32 v7, v7, v9, vcc
; %bb.80:
	s_or_b64 exec, exec, s[0:1]
	v_lshrrev_b32_e32 v6, 24, v6
	s_movk_i32 s0, 0x80
	v_and_or_b32 v6, v6, s0, v7
	global_store_byte v[4:5], v6, off
.LBB55_81:
	s_mov_b64 s[0:1], 0
.LBB55_82:
	s_andn2_b64 vcc, exec, s[0:1]
	s_cbranch_vccnz .LBB55_92
; %bb.83:
	v_cvt_f32_f64_e32 v6, v[0:1]
	v_and_b32_e32 v8, 0x7fffffff, v6
	s_mov_b32 s0, 0x47800000
	v_cmp_gt_u32_e32 vcc, s0, v8
                                        ; implicit-def: $vgpr7
	s_and_saveexec_b64 s[0:1], vcc
	s_xor_b64 s[0:1], exec, s[0:1]
	s_cbranch_execz .LBB55_89
; %bb.84:
	s_mov_b32 s4, 0x387fffff
	v_cmp_lt_u32_e32 vcc, s4, v8
                                        ; implicit-def: $vgpr7
	s_and_saveexec_b64 s[4:5], vcc
	s_xor_b64 s[4:5], exec, s[4:5]
; %bb.85:
	v_bfe_u32 v7, v6, 21, 1
	s_mov_b32 s6, 0x80fffff
	v_add3_u32 v7, v6, v7, s6
	v_lshrrev_b32_e32 v7, 21, v7
; %bb.86:
	s_andn2_saveexec_b64 s[4:5], s[4:5]
; %bb.87:
	s_mov_b32 s6, 0x43000000
	v_add_f32_e64 v7, |v6|, s6
; %bb.88:
	s_or_b64 exec, exec, s[4:5]
                                        ; implicit-def: $vgpr8
.LBB55_89:
	s_andn2_saveexec_b64 s[0:1], s[0:1]
; %bb.90:
	s_mov_b32 s4, 0x7f800000
	v_mov_b32_e32 v7, 0x7c
	v_mov_b32_e32 v9, 0x7f
	v_cmp_lt_u32_e32 vcc, s4, v8
	s_nop 1
	v_cndmask_b32_e32 v7, v7, v9, vcc
; %bb.91:
	s_or_b64 exec, exec, s[0:1]
	v_lshrrev_b32_e32 v6, 24, v6
	s_movk_i32 s0, 0x80
	v_and_or_b32 v6, v6, s0, v7
	global_store_byte v[4:5], v6, off
.LBB55_92:
	s_mov_b64 s[4:5], 0
	s_mov_b64 s[0:1], -1
.LBB55_93:
	s_andn2_b64 vcc, exec, s[4:5]
	s_cbranch_vccnz .LBB55_101
; %bb.94:
	s_cmp_gt_i32 s9, 14
	s_mov_b64 s[4:5], -1
	s_cbranch_scc0 .LBB55_98
; %bb.95:
	s_cmp_eq_u32 s9, 15
	s_mov_b64 s[2:3], -1
	s_cbranch_scc0 .LBB55_97
; %bb.96:
	v_cvt_f32_f64_e32 v6, v[0:1]
	v_bfe_u32 v7, v6, 16, 1
	s_movk_i32 s0, 0x7fff
	v_add3_u32 v7, v6, v7, s0
	v_cmp_o_f32_e32 vcc, v6, v6
	v_mov_b32_e32 v6, 0x7fc0
	s_mov_b64 s[0:1], -1
	v_cndmask_b32_sdwa v6, v6, v7, vcc dst_sel:DWORD dst_unused:UNUSED_PAD src0_sel:DWORD src1_sel:WORD_1
	global_store_short v[4:5], v6, off
	s_mov_b64 s[2:3], 0
.LBB55_97:
	s_mov_b64 s[4:5], 0
.LBB55_98:
	s_and_b64 vcc, exec, s[4:5]
	s_cbranch_vccz .LBB55_101
; %bb.99:
	s_cmp_eq_u32 s9, 11
	s_mov_b64 s[2:3], -1
	s_cbranch_scc0 .LBB55_101
; %bb.100:
	v_cmp_neq_f64_e32 vcc, 0, v[0:1]
	v_cmp_neq_f64_e64 s[0:1], 0, v[2:3]
	s_or_b64 s[0:1], vcc, s[0:1]
	s_mov_b64 s[2:3], 0
	v_cndmask_b32_e64 v6, 0, 1, s[0:1]
	s_mov_b64 s[0:1], -1
	global_store_byte v[4:5], v6, off
.LBB55_101:
	s_branch .LBB55_20
.LBB55_102:
	s_and_b32 s4, 0xffff, s8
	s_cmp_lt_i32 s4, 5
	s_mov_b64 s[0:1], -1
	s_cbranch_scc1 .LBB55_123
; %bb.103:
	s_cmp_lt_i32 s4, 8
	s_cbranch_scc1 .LBB55_113
; %bb.104:
	s_cmp_lt_i32 s4, 9
	s_cbranch_scc1 .LBB55_110
; %bb.105:
	s_cmp_gt_i32 s4, 9
	s_cbranch_scc0 .LBB55_107
; %bb.106:
	global_store_dwordx4 v[4:5], v[0:3], off
	s_mov_b64 s[0:1], 0
.LBB55_107:
	s_andn2_b64 vcc, exec, s[0:1]
	s_cbranch_vccnz .LBB55_109
; %bb.108:
	v_cvt_f32_f64_e32 v7, v[2:3]
	v_cvt_f32_f64_e32 v6, v[0:1]
	global_store_dwordx2 v[4:5], v[6:7], off
.LBB55_109:
	s_mov_b64 s[0:1], 0
.LBB55_110:
	s_andn2_b64 vcc, exec, s[0:1]
	s_cbranch_vccnz .LBB55_112
; %bb.111:
	s_movk_i32 s0, 0x1ff
	v_and_or_b32 v6, v1, s0, v0
	v_cmp_ne_u32_e32 vcc, 0, v6
	v_lshrrev_b32_e32 v7, 8, v1
	s_movk_i32 s1, 0xffe
	v_cndmask_b32_e64 v6, 0, 1, vcc
	v_bfe_u32 v8, v1, 20, 11
	v_and_or_b32 v6, v7, s1, v6
	v_sub_u32_e32 v9, 0x3f1, v8
	v_or_b32_e32 v7, 0x1000, v6
	v_med3_i32 v9, v9, 0, 13
	v_lshrrev_b32_e32 v10, v9, v7
	v_lshlrev_b32_e32 v9, v9, v10
	v_cmp_ne_u32_e32 vcc, v9, v7
	v_add_u32_e32 v8, 0xfffffc10, v8
	v_lshl_or_b32 v9, v8, 12, v6
	v_cndmask_b32_e64 v7, 0, 1, vcc
	v_or_b32_e32 v7, v10, v7
	v_cmp_gt_i32_e32 vcc, 1, v8
	s_movk_i32 s5, 0x40f
	v_and_or_b32 v2, v3, s0, v2
	v_cndmask_b32_e32 v7, v9, v7, vcc
	v_and_b32_e32 v9, 7, v7
	v_cmp_lt_i32_e32 vcc, 5, v9
	v_lshrrev_b32_e32 v7, 2, v7
	v_bfe_u32 v11, v3, 20, 11
	v_cndmask_b32_e64 v10, 0, 1, vcc
	v_cmp_eq_u32_e32 vcc, 3, v9
	v_sub_u32_e32 v12, 0x3f1, v11
	v_med3_i32 v12, v12, 0, 13
	v_cndmask_b32_e64 v9, 0, 1, vcc
	v_or_b32_e32 v9, v9, v10
	v_add_u32_e32 v7, v7, v9
	v_mov_b32_e32 v9, 0x7c00
	v_cmp_gt_i32_e32 vcc, 31, v8
	v_mov_b32_e32 v10, 0x7e00
	v_add_u32_e32 v11, 0xfffffc10, v11
	v_cndmask_b32_e32 v7, v9, v7, vcc
	v_cmp_ne_u32_e32 vcc, 0, v6
	s_mov_b32 s6, 0x8000
	s_mov_b32 s0, 0xffff
	v_cndmask_b32_e32 v6, v9, v10, vcc
	v_cmp_eq_u32_e32 vcc, s5, v8
	v_lshrrev_b32_e32 v8, 8, v3
	v_lshrrev_b32_e32 v3, 16, v3
	v_cndmask_b32_e32 v6, v7, v6, vcc
	v_cmp_ne_u32_e32 vcc, 0, v2
	v_and_b32_sdwa v7, v1, s6 dst_sel:DWORD dst_unused:UNUSED_PAD src0_sel:WORD_1 src1_sel:DWORD
	s_nop 0
	v_cndmask_b32_e64 v2, 0, 1, vcc
	v_and_or_b32 v2, v8, s1, v2
	v_or_b32_e32 v8, 0x1000, v2
	v_lshrrev_b32_e32 v13, v12, v8
	v_lshlrev_b32_e32 v12, v12, v13
	v_cmp_ne_u32_e32 vcc, v12, v8
	v_lshl_or_b32 v12, v11, 12, v2
	s_nop 0
	v_cndmask_b32_e64 v8, 0, 1, vcc
	v_or_b32_e32 v8, v13, v8
	v_cmp_gt_i32_e32 vcc, 1, v11
	s_nop 1
	v_cndmask_b32_e32 v8, v12, v8, vcc
	v_and_b32_e32 v12, 7, v8
	v_cmp_lt_i32_e32 vcc, 5, v12
	v_lshrrev_b32_e32 v8, 2, v8
	s_nop 0
	v_cndmask_b32_e64 v13, 0, 1, vcc
	v_cmp_eq_u32_e32 vcc, 3, v12
	s_nop 1
	v_cndmask_b32_e64 v12, 0, 1, vcc
	v_or_b32_e32 v12, v12, v13
	v_add_u32_e32 v8, v8, v12
	v_cmp_gt_i32_e32 vcc, 31, v11
	s_nop 1
	v_cndmask_b32_e32 v8, v9, v8, vcc
	v_cmp_ne_u32_e32 vcc, 0, v2
	s_nop 1
	v_cndmask_b32_e32 v2, v9, v10, vcc
	v_cmp_eq_u32_e32 vcc, s5, v11
	s_nop 1
	v_cndmask_b32_e32 v2, v8, v2, vcc
	v_and_or_b32 v2, v3, s6, v2
	v_bitop3_b32 v3, v7, s0, v6 bitop3:0xc8
	v_lshl_or_b32 v2, v2, 16, v3
	global_store_dword v[4:5], v2, off
.LBB55_112:
	s_mov_b64 s[0:1], 0
.LBB55_113:
	s_andn2_b64 vcc, exec, s[0:1]
	s_cbranch_vccnz .LBB55_122
; %bb.114:
	s_cmp_lt_i32 s4, 6
	s_mov_b64 s[0:1], -1
	s_cbranch_scc1 .LBB55_120
; %bb.115:
	s_cmp_gt_i32 s4, 6
	s_cbranch_scc0 .LBB55_117
; %bb.116:
	global_store_dwordx2 v[4:5], v[0:1], off
	s_mov_b64 s[0:1], 0
.LBB55_117:
	s_andn2_b64 vcc, exec, s[0:1]
	s_cbranch_vccnz .LBB55_119
; %bb.118:
	v_cvt_f32_f64_e32 v2, v[0:1]
	global_store_dword v[4:5], v2, off
.LBB55_119:
	s_mov_b64 s[0:1], 0
.LBB55_120:
	s_andn2_b64 vcc, exec, s[0:1]
	s_cbranch_vccnz .LBB55_122
; %bb.121:
	s_movk_i32 s0, 0x1ff
	v_and_or_b32 v2, v1, s0, v0
	v_cmp_ne_u32_e32 vcc, 0, v2
	v_lshrrev_b32_e32 v3, 8, v1
	s_movk_i32 s0, 0xffe
	v_cndmask_b32_e64 v2, 0, 1, vcc
	v_bfe_u32 v6, v1, 20, 11
	v_and_or_b32 v2, v3, s0, v2
	v_sub_u32_e32 v7, 0x3f1, v6
	v_or_b32_e32 v3, 0x1000, v2
	v_med3_i32 v7, v7, 0, 13
	v_lshrrev_b32_e32 v8, v7, v3
	v_lshlrev_b32_e32 v7, v7, v8
	v_cmp_ne_u32_e32 vcc, v7, v3
	v_add_u32_e32 v6, 0xfffffc10, v6
	v_lshl_or_b32 v7, v6, 12, v2
	v_cndmask_b32_e64 v3, 0, 1, vcc
	v_or_b32_e32 v3, v8, v3
	v_cmp_gt_i32_e32 vcc, 1, v6
	s_movk_i32 s0, 0x40f
	s_nop 0
	v_cndmask_b32_e32 v3, v7, v3, vcc
	v_and_b32_e32 v7, 7, v3
	v_cmp_lt_i32_e32 vcc, 5, v7
	v_lshrrev_b32_e32 v3, 2, v3
	s_nop 0
	v_cndmask_b32_e64 v8, 0, 1, vcc
	v_cmp_eq_u32_e32 vcc, 3, v7
	s_nop 1
	v_cndmask_b32_e64 v7, 0, 1, vcc
	v_or_b32_e32 v7, v7, v8
	v_add_u32_e32 v3, v3, v7
	v_mov_b32_e32 v7, 0x7c00
	v_cmp_gt_i32_e32 vcc, 31, v6
	v_mov_b32_e32 v8, 0x7e00
	s_nop 0
	v_cndmask_b32_e32 v3, v7, v3, vcc
	v_cmp_ne_u32_e32 vcc, 0, v2
	s_nop 1
	v_cndmask_b32_e32 v2, v7, v8, vcc
	v_cmp_eq_u32_e32 vcc, s0, v6
	s_mov_b32 s0, 0x8000
	s_nop 0
	v_cndmask_b32_e32 v2, v3, v2, vcc
	v_lshrrev_b32_e32 v3, 16, v1
	v_and_or_b32 v2, v3, s0, v2
	global_store_short v[4:5], v2, off
.LBB55_122:
	s_mov_b64 s[0:1], 0
.LBB55_123:
	s_andn2_b64 vcc, exec, s[0:1]
	s_cbranch_vccnz .LBB55_139
; %bb.124:
	s_cmp_lt_i32 s4, 2
	s_mov_b64 s[0:1], -1
	s_cbranch_scc1 .LBB55_134
; %bb.125:
	s_cmp_lt_i32 s4, 3
	s_cbranch_scc1 .LBB55_131
; %bb.126:
	s_cmp_gt_i32 s4, 3
	s_cbranch_scc0 .LBB55_128
; %bb.127:
	v_trunc_f64_e32 v[2:3], v[0:1]
	s_movk_i32 s0, 0xffe0
	v_ldexp_f64 v[6:7], v[2:3], s0
	v_floor_f64_e32 v[6:7], v[6:7]
	v_fmac_f64_e32 v[2:3], 0xc1f00000, v[6:7]
	v_cvt_i32_f64_e32 v9, v[6:7]
	v_cvt_u32_f64_e32 v8, v[2:3]
	global_store_dwordx2 v[4:5], v[8:9], off
	s_mov_b64 s[0:1], 0
.LBB55_128:
	s_andn2_b64 vcc, exec, s[0:1]
	s_cbranch_vccnz .LBB55_130
; %bb.129:
	v_cvt_i32_f64_e32 v2, v[0:1]
	global_store_dword v[4:5], v2, off
.LBB55_130:
	s_mov_b64 s[0:1], 0
.LBB55_131:
	s_andn2_b64 vcc, exec, s[0:1]
	s_cbranch_vccnz .LBB55_133
; %bb.132:
	v_cvt_i32_f64_e32 v2, v[0:1]
	global_store_short v[4:5], v2, off
.LBB55_133:
	s_mov_b64 s[0:1], 0
.LBB55_134:
	s_andn2_b64 vcc, exec, s[0:1]
	s_cbranch_vccnz .LBB55_139
; %bb.135:
	s_cmp_gt_i32 s4, 0
	s_mov_b64 s[0:1], -1
	s_cbranch_scc0 .LBB55_137
; %bb.136:
	v_cvt_i32_f64_e32 v2, v[0:1]
	global_store_byte v[4:5], v2, off
	s_mov_b64 s[0:1], 0
.LBB55_137:
	s_andn2_b64 vcc, exec, s[0:1]
	s_cbranch_vccnz .LBB55_139
; %bb.138:
	v_trunc_f64_e32 v[0:1], v[0:1]
	s_movk_i32 s0, 0xffe0
	v_ldexp_f64 v[2:3], v[0:1], s0
	v_floor_f64_e32 v[2:3], v[2:3]
	v_fmac_f64_e32 v[0:1], 0xc1f00000, v[2:3]
	v_cvt_u32_f64_e32 v0, v[0:1]
	global_store_byte v[4:5], v0, off
.LBB55_139:
	s_branch .LBB55_21
.LBB55_140:
	s_mov_b64 s[0:1], 0
                                        ; implicit-def: $vgpr46
	s_branch .LBB55_254
.LBB55_141:
	s_mov_b64 s[50:51], -1
                                        ; implicit-def: $vgpr0_vgpr1
.LBB55_142:
	v_mov_b64_e32 v[2:3], 0
.LBB55_143:
	s_mov_b64 s[2:3], 0
.LBB55_144:
	s_and_b64 vcc, exec, s[2:3]
	s_cbranch_vccz .LBB55_149
; %bb.145:
	s_cmp_eq_u32 s6, 29
	s_cbranch_scc0 .LBB55_147
; %bb.146:
	global_load_dwordx2 v[0:1], v[4:5], off
	s_mov_b64 s[0:1], -1
	s_mov_b64 s[50:51], 0
	s_waitcnt vmcnt(0)
	v_cvt_f64_u32_e32 v[2:3], v1
	v_cvt_f64_u32_e32 v[0:1], v0
	v_ldexp_f64 v[2:3], v[2:3], 32
	v_add_f64 v[0:1], v[2:3], v[0:1]
	s_branch .LBB55_148
.LBB55_147:
	s_mov_b64 s[50:51], -1
                                        ; implicit-def: $vgpr0_vgpr1
.LBB55_148:
	v_mov_b64_e32 v[2:3], 0
.LBB55_149:
	s_mov_b64 s[2:3], 0
.LBB55_150:
	s_and_b64 vcc, exec, s[2:3]
	s_cbranch_vccz .LBB55_170
; %bb.151:
	s_cmp_lt_i32 s6, 27
	s_cbranch_scc1 .LBB55_154
; %bb.152:
	s_cmp_gt_i32 s6, 27
	s_cbranch_scc0 .LBB55_155
; %bb.153:
	global_load_dword v0, v[4:5], off
	s_mov_b64 s[0:1], 0
	s_waitcnt vmcnt(0)
	v_cvt_f64_u32_e32 v[0:1], v0
	s_branch .LBB55_156
.LBB55_154:
	s_mov_b64 s[0:1], -1
                                        ; implicit-def: $vgpr0_vgpr1
	s_branch .LBB55_159
.LBB55_155:
	s_mov_b64 s[0:1], -1
                                        ; implicit-def: $vgpr0_vgpr1
.LBB55_156:
	s_andn2_b64 vcc, exec, s[0:1]
	s_cbranch_vccnz .LBB55_158
; %bb.157:
	global_load_ushort v0, v[4:5], off
	s_waitcnt vmcnt(0)
	v_cvt_f64_u32_e32 v[0:1], v0
.LBB55_158:
	s_mov_b64 s[0:1], 0
.LBB55_159:
	s_andn2_b64 vcc, exec, s[0:1]
	s_cbranch_vccnz .LBB55_169
; %bb.160:
	global_load_ubyte v2, v[4:5], off
	s_movk_i32 s0, 0x7f
	s_waitcnt vmcnt(0)
	v_cmp_lt_i16_e32 vcc, s0, v2
	s_mov_b64 s[0:1], 0
	s_and_saveexec_b64 s[2:3], vcc
	s_xor_b64 s[2:3], exec, s[2:3]
	s_cbranch_execz .LBB55_164
; %bb.161:
	s_movk_i32 s0, 0x80
	v_cmp_eq_u16_e32 vcc, s0, v2
	s_mov_b64 s[0:1], -1
	s_and_saveexec_b64 s[4:5], vcc
; %bb.162:
	s_xor_b64 s[0:1], exec, -1
; %bb.163:
	s_or_b64 exec, exec, s[4:5]
	s_and_b64 s[0:1], s[0:1], exec
.LBB55_164:
	s_or_saveexec_b64 s[2:3], s[2:3]
	v_bfrev_b32_e32 v0, 4
	v_mov_b32_e32 v1, 0x7ff80000
	s_xor_b64 exec, exec, s[2:3]
; %bb.165:
	v_cmp_ne_u16_e32 vcc, 0, v2
	s_andn2_b64 s[0:1], s[0:1], exec
	s_and_b64 s[4:5], vcc, exec
	v_mov_b64_e32 v[0:1], 0
	s_or_b64 s[0:1], s[0:1], s[4:5]
; %bb.166:
	s_or_b64 exec, exec, s[2:3]
	s_and_saveexec_b64 s[2:3], s[0:1]
	s_cbranch_execz .LBB55_168
; %bb.167:
	v_and_b32_e32 v1, 0xffff, v2
	v_lshlrev_b32_e32 v0, 24, v2
	v_and_b32_e32 v2, 7, v1
	v_ffbh_u32_e32 v6, v2
	v_min_u32_e32 v6, 32, v6
	v_subrev_u32_e32 v7, 28, v6
	v_bfe_u32 v3, v1, 3, 4
	v_lshlrev_b32_e32 v1, v7, v1
	v_sub_u32_e32 v6, 29, v6
	v_and_b32_e32 v1, 7, v1
	v_cmp_eq_u32_e32 vcc, 0, v3
	v_and_b32_e32 v0, 0x80000000, v0
	s_nop 0
	v_cndmask_b32_e32 v3, v3, v6, vcc
	v_cndmask_b32_e32 v1, v2, v1, vcc
	v_mov_b32_e32 v2, 0x3b800000
	v_lshlrev_b32_e32 v1, 20, v1
	v_lshl_add_u32 v2, v3, 23, v2
	v_or3_b32 v0, v0, v2, v1
	v_cvt_f64_f32_e32 v[0:1], v0
.LBB55_168:
	s_or_b64 exec, exec, s[2:3]
.LBB55_169:
	s_mov_b64 s[0:1], -1
	v_mov_b64_e32 v[2:3], 0
.LBB55_170:
	s_branch .LBB55_203
.LBB55_171:
	s_cmp_gt_i32 s6, 22
	s_cbranch_scc0 .LBB55_183
; %bb.172:
	s_cmp_lt_i32 s6, 24
	s_cbranch_scc1 .LBB55_184
; %bb.173:
	s_cmp_gt_i32 s6, 24
	s_cbranch_scc0 .LBB55_185
; %bb.174:
	global_load_ubyte v2, v[4:5], off
	s_movk_i32 s0, 0x7f
	s_waitcnt vmcnt(0)
	v_cmp_lt_i16_e32 vcc, s0, v2
	s_mov_b64 s[0:1], 0
	s_and_saveexec_b64 s[2:3], vcc
	s_xor_b64 s[2:3], exec, s[2:3]
	s_cbranch_execz .LBB55_178
; %bb.175:
	s_movk_i32 s0, 0x80
	v_cmp_eq_u16_e32 vcc, s0, v2
	s_mov_b64 s[0:1], -1
	s_and_saveexec_b64 s[4:5], vcc
; %bb.176:
	s_xor_b64 s[0:1], exec, -1
; %bb.177:
	s_or_b64 exec, exec, s[4:5]
	s_and_b64 s[0:1], s[0:1], exec
.LBB55_178:
	s_or_saveexec_b64 s[2:3], s[2:3]
	v_bfrev_b32_e32 v0, 4
	v_mov_b32_e32 v1, 0x7ff80000
	s_xor_b64 exec, exec, s[2:3]
; %bb.179:
	v_cmp_ne_u16_e32 vcc, 0, v2
	s_andn2_b64 s[0:1], s[0:1], exec
	s_and_b64 s[4:5], vcc, exec
	v_mov_b64_e32 v[0:1], 0
	s_or_b64 s[0:1], s[0:1], s[4:5]
; %bb.180:
	s_or_b64 exec, exec, s[2:3]
	s_and_saveexec_b64 s[2:3], s[0:1]
	s_cbranch_execz .LBB55_182
; %bb.181:
	v_and_b32_e32 v1, 0xffff, v2
	v_lshlrev_b32_e32 v0, 24, v2
	v_and_b32_e32 v2, 3, v1
	v_ffbh_u32_e32 v6, v2
	v_min_u32_e32 v6, 32, v6
	v_subrev_u32_e32 v7, 29, v6
	v_bfe_u32 v3, v1, 2, 5
	v_lshlrev_b32_e32 v1, v7, v1
	v_sub_u32_e32 v6, 30, v6
	v_and_b32_e32 v1, 3, v1
	v_cmp_eq_u32_e32 vcc, 0, v3
	v_and_b32_e32 v0, 0x80000000, v0
	s_nop 0
	v_cndmask_b32_e32 v3, v3, v6, vcc
	v_cndmask_b32_e32 v1, v2, v1, vcc
	v_mov_b32_e32 v2, 0x37800000
	v_lshlrev_b32_e32 v1, 21, v1
	v_lshl_add_u32 v2, v3, 23, v2
	v_or3_b32 v0, v0, v2, v1
	v_cvt_f64_f32_e32 v[0:1], v0
.LBB55_182:
	s_or_b64 exec, exec, s[2:3]
	s_mov_b64 s[0:1], 0
	s_branch .LBB55_186
.LBB55_183:
                                        ; implicit-def: $vgpr0_vgpr1
	s_branch .LBB55_192
.LBB55_184:
	s_mov_b64 s[0:1], -1
                                        ; implicit-def: $vgpr0_vgpr1
	s_branch .LBB55_189
.LBB55_185:
	s_mov_b64 s[0:1], -1
                                        ; implicit-def: $vgpr0_vgpr1
.LBB55_186:
	s_and_b64 vcc, exec, s[0:1]
	s_cbranch_vccz .LBB55_188
; %bb.187:
	global_load_ubyte v0, v[4:5], off
	s_mov_b32 s0, 0x7f800000
	s_waitcnt vmcnt(0)
	v_lshlrev_b32_e32 v0, 24, v0
	v_and_b32_e32 v1, 0x7f000000, v0
	v_ffbh_u32_e32 v2, v1
	v_min_u32_e32 v2, 32, v2
	v_sub_u32_e64 v2, v2, 4 clamp
	v_lshlrev_b32_e32 v6, v2, v1
	v_lshlrev_b32_e32 v2, 23, v2
	v_lshrrev_b32_e32 v6, 4, v6
	v_add_u32_e32 v3, 0x1000000, v1
	v_sub_u32_e32 v2, v6, v2
	v_ashrrev_i32_e32 v3, 8, v3
	v_add_u32_e32 v2, 0x3c000000, v2
	v_and_or_b32 v2, v3, s0, v2
	v_cmp_ne_u32_e32 vcc, 0, v1
	s_brev_b32 s0, 1
	s_nop 0
	v_cndmask_b32_e32 v1, 0, v2, vcc
	v_and_or_b32 v0, v0, s0, v1
	v_cvt_f64_f32_e32 v[0:1], v0
.LBB55_188:
	s_mov_b64 s[0:1], 0
.LBB55_189:
	s_andn2_b64 vcc, exec, s[0:1]
	s_cbranch_vccnz .LBB55_191
; %bb.190:
	global_load_ubyte v0, v[4:5], off
	s_movk_i32 s0, 0x7f00
	s_brev_b32 s1, 16
	s_waitcnt vmcnt(0)
	v_lshlrev_b16_e32 v1, 8, v0
	v_lshlrev_b32_e32 v0, 25, v0
	v_lshrrev_b32_e32 v2, 4, v0
	v_and_or_b32 v3, v1, s0, 0.5
	v_or_b32_e32 v2, 0x70000000, v2
	v_add_f32_e32 v3, -0.5, v3
	v_mul_f32_e32 v2, 0x7800000, v2
	v_cmp_gt_u32_e32 vcc, s1, v0
	v_bfe_i32 v1, v1, 0, 16
	s_brev_b32 s0, 1
	v_cndmask_b32_e32 v0, v2, v3, vcc
	v_and_or_b32 v0, v1, s0, v0
	v_cvt_f64_f32_e32 v[0:1], v0
.LBB55_191:
	s_mov_b64 s[0:1], -1
	s_cbranch_execnz .LBB55_202
.LBB55_192:
	s_cmp_gt_i32 s6, 14
	s_cbranch_scc0 .LBB55_195
; %bb.193:
	s_cmp_eq_u32 s6, 15
	s_cbranch_scc0 .LBB55_196
; %bb.194:
	global_load_ushort v0, v[4:5], off
	s_mov_b64 s[0:1], -1
	s_mov_b64 s[50:51], 0
	s_waitcnt vmcnt(0)
	v_lshlrev_b32_e32 v0, 16, v0
	v_cvt_f64_f32_e32 v[0:1], v0
	s_branch .LBB55_197
.LBB55_195:
	s_mov_b64 s[2:3], -1
                                        ; implicit-def: $vgpr0_vgpr1
	s_branch .LBB55_198
.LBB55_196:
	s_mov_b64 s[50:51], -1
                                        ; implicit-def: $vgpr0_vgpr1
.LBB55_197:
	s_mov_b64 s[2:3], 0
.LBB55_198:
	s_and_b64 vcc, exec, s[2:3]
	s_cbranch_vccz .LBB55_202
; %bb.199:
	s_cmp_eq_u32 s6, 11
	s_cbranch_scc0 .LBB55_201
; %bb.200:
	global_load_ubyte v1, v[4:5], off
	v_mov_b32_e32 v2, 0x3ff00000
	v_mov_b32_e32 v0, 0
	s_mov_b64 s[0:1], -1
	s_mov_b64 s[50:51], 0
	s_waitcnt vmcnt(0)
	v_cmp_ne_u16_e32 vcc, 0, v1
	s_nop 1
	v_cndmask_b32_e32 v1, 0, v2, vcc
	s_branch .LBB55_202
.LBB55_201:
	s_mov_b64 s[50:51], -1
                                        ; implicit-def: $vgpr0_vgpr1
.LBB55_202:
	v_mov_b64_e32 v[2:3], 0
.LBB55_203:
	s_branch .LBB55_10
.LBB55_204:
	s_cmp_lt_i32 s6, 5
	s_cbranch_scc1 .LBB55_209
; %bb.205:
	s_cmp_lt_i32 s6, 8
	s_cbranch_scc1 .LBB55_210
; %bb.206:
	;; [unrolled: 3-line block ×3, first 2 shown]
	s_cmp_gt_i32 s6, 9
	s_cbranch_scc0 .LBB55_212
; %bb.208:
	global_load_dwordx4 v[0:3], v[4:5], off
	s_mov_b64 s[0:1], 0
	s_branch .LBB55_213
.LBB55_209:
                                        ; implicit-def: $vgpr2_vgpr3
	s_branch .LBB55_232
.LBB55_210:
	s_mov_b64 s[0:1], -1
                                        ; implicit-def: $vgpr2_vgpr3
	s_branch .LBB55_219
.LBB55_211:
	s_mov_b64 s[0:1], -1
                                        ; implicit-def: $vgpr2_vgpr3
	s_branch .LBB55_216
.LBB55_212:
	s_mov_b64 s[0:1], -1
                                        ; implicit-def: $vgpr2_vgpr3
.LBB55_213:
	s_andn2_b64 vcc, exec, s[0:1]
	s_cbranch_vccnz .LBB55_215
; %bb.214:
	global_load_dwordx2 v[2:3], v[4:5], off
	s_waitcnt vmcnt(0)
	v_cvt_f64_f32_e32 v[0:1], v2
	v_cvt_f64_f32_e32 v[2:3], v3
.LBB55_215:
	s_mov_b64 s[0:1], 0
.LBB55_216:
	s_andn2_b64 vcc, exec, s[0:1]
	s_cbranch_vccnz .LBB55_218
; %bb.217:
	global_load_dword v0, v[4:5], off
	s_waitcnt vmcnt(0)
	v_cvt_f32_f16_e32 v1, v0
	v_cvt_f32_f16_sdwa v2, v0 dst_sel:DWORD dst_unused:UNUSED_PAD src0_sel:WORD_1
	v_cvt_f64_f32_e32 v[0:1], v1
	v_cvt_f64_f32_e32 v[2:3], v2
.LBB55_218:
	s_mov_b64 s[0:1], 0
.LBB55_219:
	s_andn2_b64 vcc, exec, s[0:1]
	s_cbranch_vccnz .LBB55_231
; %bb.220:
	s_cmp_lt_i32 s6, 6
	s_cbranch_scc1 .LBB55_223
; %bb.221:
	s_cmp_gt_i32 s6, 6
	s_cbranch_scc0 .LBB55_224
; %bb.222:
	global_load_dwordx2 v[0:1], v[4:5], off
	s_mov_b64 s[0:1], 0
	s_branch .LBB55_225
.LBB55_223:
	s_mov_b64 s[0:1], -1
                                        ; implicit-def: $vgpr0_vgpr1
	s_branch .LBB55_228
.LBB55_224:
	s_mov_b64 s[0:1], -1
                                        ; implicit-def: $vgpr0_vgpr1
.LBB55_225:
	s_andn2_b64 vcc, exec, s[0:1]
	s_cbranch_vccnz .LBB55_227
; %bb.226:
	global_load_dword v0, v[4:5], off
	s_waitcnt vmcnt(0)
	v_cvt_f64_f32_e32 v[0:1], v0
.LBB55_227:
	s_mov_b64 s[0:1], 0
.LBB55_228:
	s_andn2_b64 vcc, exec, s[0:1]
	s_cbranch_vccnz .LBB55_230
; %bb.229:
	global_load_ushort v0, v[4:5], off
	s_waitcnt vmcnt(0)
	v_cvt_f32_f16_e32 v0, v0
	v_cvt_f64_f32_e32 v[0:1], v0
.LBB55_230:
	s_waitcnt vmcnt(0)
	v_mov_b64_e32 v[2:3], 0
.LBB55_231:
	s_cbranch_execnz .LBB55_252
.LBB55_232:
	s_cmp_lt_i32 s6, 2
	s_cbranch_scc1 .LBB55_236
; %bb.233:
	s_cmp_lt_i32 s6, 3
	s_cbranch_scc1 .LBB55_237
; %bb.234:
	s_cmp_gt_i32 s6, 3
	s_cbranch_scc0 .LBB55_238
; %bb.235:
	global_load_dwordx2 v[0:1], v[4:5], off
	s_mov_b64 s[0:1], 0
	s_waitcnt vmcnt(0)
	v_cvt_f64_i32_e32 v[2:3], v1
	v_cvt_f64_u32_e32 v[0:1], v0
	v_ldexp_f64 v[2:3], v[2:3], 32
	v_add_f64 v[0:1], v[2:3], v[0:1]
	s_branch .LBB55_239
.LBB55_236:
	s_mov_b64 s[0:1], -1
                                        ; implicit-def: $vgpr0_vgpr1
	s_branch .LBB55_245
.LBB55_237:
	s_mov_b64 s[0:1], -1
                                        ; implicit-def: $vgpr0_vgpr1
	s_branch .LBB55_242
.LBB55_238:
	s_mov_b64 s[0:1], -1
                                        ; implicit-def: $vgpr0_vgpr1
.LBB55_239:
	s_andn2_b64 vcc, exec, s[0:1]
	s_cbranch_vccnz .LBB55_241
; %bb.240:
	global_load_dword v0, v[4:5], off
	s_waitcnt vmcnt(0)
	v_cvt_f64_i32_e32 v[0:1], v0
.LBB55_241:
	s_mov_b64 s[0:1], 0
.LBB55_242:
	s_andn2_b64 vcc, exec, s[0:1]
	s_cbranch_vccnz .LBB55_244
; %bb.243:
	global_load_sshort v0, v[4:5], off
	s_waitcnt vmcnt(0)
	v_cvt_f64_i32_e32 v[0:1], v0
.LBB55_244:
	s_mov_b64 s[0:1], 0
.LBB55_245:
	s_andn2_b64 vcc, exec, s[0:1]
	s_cbranch_vccnz .LBB55_251
; %bb.246:
	s_cmp_gt_i32 s6, 0
	s_cbranch_scc0 .LBB55_248
; %bb.247:
	global_load_sbyte v0, v[4:5], off
	s_mov_b64 s[0:1], 0
	s_waitcnt vmcnt(0)
	v_cvt_f64_i32_e32 v[0:1], v0
	s_branch .LBB55_249
.LBB55_248:
	s_mov_b64 s[0:1], -1
                                        ; implicit-def: $vgpr0_vgpr1
.LBB55_249:
	s_andn2_b64 vcc, exec, s[0:1]
	s_cbranch_vccnz .LBB55_251
; %bb.250:
	global_load_ubyte v0, v[4:5], off
	s_waitcnt vmcnt(0)
	v_cvt_f64_u32_e32 v[0:1], v0
.LBB55_251:
	s_waitcnt vmcnt(0)
	v_mov_b64_e32 v[2:3], 0
.LBB55_252:
	s_branch .LBB55_11
.LBB55_253:
	s_mov_b64 s[2:3], 0
                                        ; implicit-def: $vgpr46
	s_mov_b64 s[0:1], 0
.LBB55_254:
	s_and_b64 s[48:49], s[2:3], exec
	s_and_b64 s[50:51], s[50:51], exec
	s_orn2_b64 s[2:3], s[0:1], exec
.LBB55_255:
	s_or_b64 exec, exec, s[52:53]
	s_mov_b64 s[4:5], 0
	s_mov_b64 s[0:1], 0
                                        ; implicit-def: $vgpr0_vgpr1
                                        ; implicit-def: $vgpr6_vgpr7
	s_and_saveexec_b64 s[52:53], s[2:3]
	s_cbranch_execz .LBB55_264
; %bb.256:
	v_cmp_gt_i32_e32 vcc, s64, v46
	s_mov_b64 s[0:1], -1
	s_mov_b64 s[54:55], s[50:51]
	s_mov_b64 s[56:57], s[48:49]
	s_and_saveexec_b64 s[58:59], vcc
	s_cbranch_execz .LBB55_521
; %bb.257:
	s_waitcnt vmcnt(0)
	v_mul_lo_u32 v0, v46, s35
	v_ashrrev_i32_e32 v1, 31, v0
	s_and_b32 s6, 0xffff, s43
	s_cmp_lt_i32 s6, 11
	v_lshl_add_u64 v[4:5], s[38:39], 0, v[0:1]
	s_cbranch_scc1 .LBB55_267
; %bb.258:
	s_cmp_gt_i32 s6, 25
	s_cbranch_scc0 .LBB55_276
; %bb.259:
	s_cmp_gt_i32 s6, 28
	s_cbranch_scc0 .LBB55_278
	;; [unrolled: 3-line block ×4, first 2 shown]
; %bb.262:
	s_cmp_eq_u32 s6, 46
	s_mov_b64 s[2:3], 0
	s_cbranch_scc0 .LBB55_288
; %bb.263:
	global_load_dword v0, v[4:5], off
	s_mov_b64 s[54:55], 0
	s_waitcnt vmcnt(0)
	v_and_b32_e32 v2, 0xffff0000, v0
	v_lshlrev_b32_e32 v0, 16, v0
	v_cvt_f64_f32_e32 v[0:1], v0
	v_cvt_f64_f32_e32 v[2:3], v2
	s_branch .LBB55_289
.LBB55_264:
	s_or_b64 exec, exec, s[52:53]
	s_mov_b64 s[52:53], 0
	s_and_saveexec_b64 s[2:3], s[50:51]
	s_cbranch_execnz .LBB55_875
.LBB55_265:
	s_or_b64 exec, exec, s[2:3]
	s_and_saveexec_b64 s[2:3], s[56:57]
	s_xor_b64 s[2:3], exec, s[2:3]
	s_cbranch_execz .LBB55_876
.LBB55_266:
	s_waitcnt vmcnt(0)
	global_load_ubyte v2, v[0:1], off
	v_mov_b32_e32 v3, 0x3ff00000
	v_mov_b32_e32 v4, 0
	v_mov_b64_e32 v[6:7], 0
	s_or_b64 s[0:1], s[0:1], exec
	s_waitcnt vmcnt(0)
	v_cmp_ne_u16_e32 vcc, 0, v2
	s_nop 1
	v_cndmask_b32_e32 v5, 0, v3, vcc
	s_or_b64 exec, exec, s[2:3]
	s_and_saveexec_b64 s[2:3], s[4:5]
	s_cbranch_execz .LBB55_924
	s_branch .LBB55_877
.LBB55_267:
	s_mov_b64 s[0:1], 0
                                        ; implicit-def: $vgpr2_vgpr3
	s_mov_b64 s[54:55], s[50:51]
	s_cbranch_execnz .LBB55_469
.LBB55_268:
	s_andn2_b64 vcc, exec, s[0:1]
	s_cbranch_vccnz .LBB55_519
.LBB55_269:
	s_getpc_b64 s[0:1]
	s_add_u32 s0, s0, _ZZZZN2at6native15exp_kernel_cudaERNS_18TensorIteratorBaseEENKUlvE_clEvENKUlvE_clEvENKUlN3c107complexIdEEE_clES7_@rel32@lo+4
	s_addc_u32 s1, s1, _ZZZZN2at6native15exp_kernel_cudaERNS_18TensorIteratorBaseEENKUlvE_clEvENKUlvE_clEvENKUlN3c107complexIdEEE_clES7_@rel32@hi+12
	s_swappc_b64 s[30:31], s[0:1]
	v_mul_lo_u32 v4, v46, s34
	v_ashrrev_i32_e32 v5, 31, v4
	s_and_b32 s8, s33, 0xff
	s_cmp_lt_i32 s8, 11
	v_lshl_add_u64 v[4:5], s[36:37], 0, v[4:5]
	s_cbranch_scc1 .LBB55_277
; %bb.270:
	s_and_b32 s9, 0xffff, s8
	s_cmp_gt_i32 s9, 25
	s_cbranch_scc0 .LBB55_279
; %bb.271:
	s_cmp_gt_i32 s9, 28
	s_cbranch_scc0 .LBB55_281
; %bb.272:
	;; [unrolled: 3-line block ×4, first 2 shown]
	s_mov_b64 s[4:5], 0
	s_mov_b64 s[2:3], -1
	s_cmp_eq_u32 s9, 46
	s_mov_b64 s[0:1], 0
	s_cbranch_scc0 .LBB55_293
; %bb.275:
	v_cvt_f32_f64_e32 v7, v[2:3]
	s_movk_i32 s0, 0x7fff
	v_bfe_u32 v9, v7, 16, 1
	v_cvt_f32_f64_e32 v6, v[0:1]
	v_add3_u32 v9, v7, v9, s0
	v_bfe_u32 v8, v6, 16, 1
	v_and_b32_e32 v9, 0xffff0000, v9
	v_mov_b32_e32 v10, 0x7fc00000
	v_cmp_o_f32_e32 vcc, v7, v7
	v_add3_u32 v8, v6, v8, s0
	s_mov_b64 s[0:1], -1
	v_cndmask_b32_e32 v7, v10, v9, vcc
	v_cmp_o_f32_e32 vcc, v6, v6
	v_mov_b32_e32 v6, 0x7fc0
	s_mov_b64 s[2:3], 0
	v_cndmask_b32_sdwa v6, v6, v8, vcc dst_sel:DWORD dst_unused:UNUSED_PAD src0_sel:DWORD src1_sel:WORD_1
	v_or_b32_e32 v6, v7, v6
	global_store_dword v[4:5], v6, off
	s_branch .LBB55_293
.LBB55_276:
	s_mov_b64 s[2:3], -1
	s_mov_b64 s[0:1], 0
	s_mov_b64 s[54:55], s[50:51]
                                        ; implicit-def: $vgpr2_vgpr3
	s_branch .LBB55_434
.LBB55_277:
	s_mov_b64 s[4:5], -1
	s_mov_b64 s[0:1], 0
	s_mov_b64 s[2:3], s[48:49]
	s_branch .LBB55_362
.LBB55_278:
	s_mov_b64 s[2:3], -1
	s_mov_b64 s[0:1], 0
	s_mov_b64 s[54:55], s[50:51]
                                        ; implicit-def: $vgpr2_vgpr3
	s_branch .LBB55_413
.LBB55_279:
	s_mov_b64 s[4:5], -1
	s_mov_b64 s[0:1], 0
	s_mov_b64 s[2:3], s[48:49]
	s_branch .LBB55_320
.LBB55_280:
	s_mov_b64 s[2:3], -1
	s_mov_b64 s[0:1], 0
	s_mov_b64 s[54:55], s[50:51]
                                        ; implicit-def: $vgpr2_vgpr3
	s_branch .LBB55_407
.LBB55_281:
	s_mov_b64 s[4:5], -1
	s_mov_b64 s[0:1], 0
	s_mov_b64 s[2:3], s[48:49]
	s_branch .LBB55_303
.LBB55_282:
	s_andn2_saveexec_b64 s[6:7], s[6:7]
	s_cbranch_execz .LBB55_54
.LBB55_283:
	s_mov_b32 s10, 0x46000000
	v_add_f32_e64 v7, |v6|, s10
	v_and_b32_e32 v7, 0xff, v7
	v_cmp_ne_u32_e32 vcc, 0, v7
	s_andn2_b64 s[4:5], s[4:5], exec
	s_and_b64 s[10:11], vcc, exec
	s_or_b64 s[4:5], s[4:5], s[10:11]
	s_or_b64 exec, exec, s[6:7]
	v_mov_b32_e32 v8, 0
	s_and_saveexec_b64 s[6:7], s[4:5]
	s_cbranch_execnz .LBB55_55
	s_branch .LBB55_56
.LBB55_284:
	s_mov_b64 s[2:3], -1
	s_mov_b64 s[0:1], 0
	s_mov_b64 s[54:55], s[50:51]
                                        ; implicit-def: $vgpr2_vgpr3
	s_branch .LBB55_289
.LBB55_285:
	s_mov_b64 s[4:5], -1
	s_mov_b64 s[0:1], 0
	s_mov_b64 s[2:3], s[48:49]
	s_branch .LBB55_299
.LBB55_286:
	s_andn2_saveexec_b64 s[6:7], s[6:7]
	s_cbranch_execz .LBB55_67
.LBB55_287:
	s_mov_b32 s10, 0x42800000
	v_add_f32_e64 v7, |v6|, s10
	v_and_b32_e32 v7, 0xff, v7
	v_cmp_ne_u32_e32 vcc, 0, v7
	s_andn2_b64 s[4:5], s[4:5], exec
	s_and_b64 s[10:11], vcc, exec
	s_or_b64 s[4:5], s[4:5], s[10:11]
	s_or_b64 exec, exec, s[6:7]
	v_mov_b32_e32 v8, 0
	s_and_saveexec_b64 s[6:7], s[4:5]
	s_cbranch_execnz .LBB55_68
	s_branch .LBB55_69
.LBB55_288:
	s_mov_b64 s[54:55], -1
                                        ; implicit-def: $vgpr2_vgpr3
	s_mov_b64 s[0:1], 0
.LBB55_289:
	s_and_b64 vcc, exec, s[2:3]
	s_cbranch_vccz .LBB55_406
; %bb.290:
	s_cmp_eq_u32 s6, 44
	s_cbranch_scc0 .LBB55_404
; %bb.291:
	global_load_ubyte v2, v[4:5], off
	s_movk_i32 s2, 0xff
	v_bfrev_b32_e32 v3, 4
	v_mov_b32_e32 v6, 0x7ff80000
	v_bfrev_b32_e32 v7, 28
	s_mov_b64 s[0:1], -1
	s_mov_b64 s[54:55], 0
	s_waitcnt vmcnt(0)
	v_lshlrev_b32_e32 v0, 23, v2
	v_cvt_f64_f32_e32 v[0:1], v0
	v_cmp_ne_u32_e32 vcc, s2, v2
	s_nop 1
	v_cndmask_b32_e32 v0, v3, v0, vcc
	v_cndmask_b32_e32 v1, v6, v1, vcc
	v_cmp_ne_u32_e32 vcc, 0, v2
	s_nop 1
	v_cndmask_b32_e32 v1, v7, v1, vcc
	v_cndmask_b32_e32 v0, 0, v0, vcc
	s_branch .LBB55_405
.LBB55_292:
	s_mov_b64 s[4:5], -1
	s_mov_b64 s[0:1], 0
	s_mov_b64 s[2:3], s[48:49]
.LBB55_293:
	s_and_b64 vcc, exec, s[4:5]
	s_cbranch_vccz .LBB55_298
; %bb.294:
	s_cmp_eq_u32 s9, 44
	s_mov_b64 s[2:3], -1
	s_cbranch_scc0 .LBB55_298
; %bb.295:
	v_cvt_f32_f64_e32 v6, v[0:1]
	v_bfe_u32 v7, v6, 23, 8
	s_movk_i32 s0, 0xff
	v_cmp_ne_u32_e32 vcc, s0, v7
	v_mov_b32_e32 v8, 0xff
	s_and_saveexec_b64 s[2:3], vcc
; %bb.296:
	s_mov_b32 s0, 0x3fffff
	v_lshrrev_b32_e32 v8, 23, v6
	v_and_b32_e32 v9, 0x400000, v6
	v_and_or_b32 v6, v6, s0, v7
	v_cmp_ne_u32_e32 vcc, 0, v9
	v_cmp_ne_u32_e64 s[0:1], 0, v6
	s_and_b64 s[0:1], vcc, s[0:1]
	s_nop 0
	v_cndmask_b32_e64 v6, 0, 1, s[0:1]
	v_add_u32_e32 v8, v8, v6
; %bb.297:
	s_or_b64 exec, exec, s[2:3]
	s_mov_b64 s[0:1], -1
	s_mov_b64 s[2:3], 0
	global_store_byte v[4:5], v8, off
.LBB55_298:
	s_mov_b64 s[4:5], 0
.LBB55_299:
	s_and_b64 vcc, exec, s[4:5]
	s_cbranch_vccz .LBB55_302
; %bb.300:
	s_cmp_eq_u32 s9, 29
	s_mov_b64 s[2:3], -1
	s_cbranch_scc0 .LBB55_302
; %bb.301:
	v_trunc_f64_e32 v[6:7], v[0:1]
	s_movk_i32 s0, 0xffe0
	v_ldexp_f64 v[8:9], v[6:7], s0
	v_floor_f64_e32 v[8:9], v[8:9]
	v_fmac_f64_e32 v[6:7], 0xc1f00000, v[8:9]
	v_cvt_u32_f64_e32 v11, v[8:9]
	v_cvt_u32_f64_e32 v10, v[6:7]
	global_store_dwordx2 v[4:5], v[10:11], off
	s_mov_b64 s[0:1], -1
	s_mov_b64 s[2:3], 0
.LBB55_302:
	s_mov_b64 s[4:5], 0
.LBB55_303:
	s_and_b64 vcc, exec, s[4:5]
	s_cbranch_vccz .LBB55_319
; %bb.304:
	s_cmp_lt_i32 s9, 27
	s_mov_b64 s[0:1], -1
	s_cbranch_scc1 .LBB55_310
; %bb.305:
	s_cmp_gt_i32 s9, 27
	v_cvt_u32_f64_e32 v6, v[0:1]
	s_cbranch_scc0 .LBB55_307
; %bb.306:
	s_mov_b64 s[0:1], 0
	global_store_dword v[4:5], v6, off
.LBB55_307:
	s_andn2_b64 vcc, exec, s[0:1]
	s_cbranch_vccnz .LBB55_309
; %bb.308:
	global_store_short v[4:5], v6, off
.LBB55_309:
	s_mov_b64 s[0:1], 0
.LBB55_310:
	s_andn2_b64 vcc, exec, s[0:1]
	s_cbranch_vccnz .LBB55_318
; %bb.311:
	v_cvt_f32_f64_e32 v6, v[0:1]
	v_and_b32_e32 v7, 0x7fffffff, v6
	s_mov_b32 s0, 0x43800000
	v_cmp_gt_u32_e32 vcc, s0, v7
	v_mov_b32_e32 v8, 0x80
	s_and_saveexec_b64 s[0:1], vcc
	s_cbranch_execz .LBB55_317
; %bb.312:
	s_mov_b32 s4, 0x3bffffff
	v_cmp_lt_u32_e32 vcc, s4, v7
	s_mov_b64 s[4:5], 0
                                        ; implicit-def: $vgpr7
	s_and_saveexec_b64 s[6:7], vcc
	s_xor_b64 s[6:7], exec, s[6:7]
	s_cbranch_execz .LBB55_534
; %bb.313:
	v_bfe_u32 v7, v6, 20, 1
	s_mov_b32 s10, 0x487ffff
	v_add3_u32 v7, v6, v7, s10
	s_mov_b64 s[4:5], exec
	v_lshrrev_b32_e32 v7, 20, v7
	s_andn2_saveexec_b64 s[6:7], s[6:7]
	s_cbranch_execnz .LBB55_535
.LBB55_314:
	s_or_b64 exec, exec, s[6:7]
	v_mov_b32_e32 v8, 0
	s_and_saveexec_b64 s[6:7], s[4:5]
.LBB55_315:
	v_lshrrev_b32_e32 v6, 24, v6
	s_movk_i32 s4, 0x80
	v_and_or_b32 v8, v6, s4, v7
.LBB55_316:
	s_or_b64 exec, exec, s[6:7]
.LBB55_317:
	s_or_b64 exec, exec, s[0:1]
	global_store_byte v[4:5], v8, off
.LBB55_318:
	s_mov_b64 s[0:1], -1
.LBB55_319:
	s_mov_b64 s[4:5], 0
.LBB55_320:
	s_and_b64 vcc, exec, s[4:5]
	s_cbranch_vccz .LBB55_361
; %bb.321:
	s_cmp_gt_i32 s9, 22
	s_mov_b64 s[4:5], -1
	s_cbranch_scc0 .LBB55_353
; %bb.322:
	s_cmp_lt_i32 s9, 24
	s_mov_b64 s[0:1], -1
	s_cbranch_scc1 .LBB55_342
; %bb.323:
	s_cmp_gt_i32 s9, 24
	s_cbranch_scc0 .LBB55_331
; %bb.324:
	v_cvt_f32_f64_e32 v6, v[0:1]
	v_and_b32_e32 v7, 0x7fffffff, v6
	s_mov_b32 s0, 0x47800000
	v_cmp_gt_u32_e32 vcc, s0, v7
	v_mov_b32_e32 v8, 0x80
	s_and_saveexec_b64 s[0:1], vcc
	s_cbranch_execz .LBB55_330
; %bb.325:
	s_mov_b32 s4, 0x37ffffff
	v_cmp_lt_u32_e32 vcc, s4, v7
	s_mov_b64 s[4:5], 0
                                        ; implicit-def: $vgpr7
	s_and_saveexec_b64 s[6:7], vcc
	s_xor_b64 s[6:7], exec, s[6:7]
	s_cbranch_execz .LBB55_537
; %bb.326:
	v_bfe_u32 v7, v6, 21, 1
	s_mov_b32 s10, 0x88fffff
	v_add3_u32 v7, v6, v7, s10
	s_mov_b64 s[4:5], exec
	v_lshrrev_b32_e32 v7, 21, v7
	s_andn2_saveexec_b64 s[6:7], s[6:7]
	s_cbranch_execnz .LBB55_538
.LBB55_327:
	s_or_b64 exec, exec, s[6:7]
	v_mov_b32_e32 v8, 0
	s_and_saveexec_b64 s[6:7], s[4:5]
.LBB55_328:
	v_lshrrev_b32_e32 v6, 24, v6
	s_movk_i32 s4, 0x80
	v_and_or_b32 v8, v6, s4, v7
.LBB55_329:
	s_or_b64 exec, exec, s[6:7]
.LBB55_330:
	s_or_b64 exec, exec, s[0:1]
	s_mov_b64 s[0:1], 0
	global_store_byte v[4:5], v8, off
.LBB55_331:
	s_and_b64 vcc, exec, s[0:1]
	s_cbranch_vccz .LBB55_341
; %bb.332:
	v_cvt_f32_f64_e32 v6, v[0:1]
	v_and_b32_e32 v8, 0x7fffffff, v6
	s_mov_b32 s0, 0x43f00000
	v_cmp_gt_u32_e32 vcc, s0, v8
                                        ; implicit-def: $vgpr7
	s_and_saveexec_b64 s[0:1], vcc
	s_xor_b64 s[0:1], exec, s[0:1]
	s_cbranch_execz .LBB55_338
; %bb.333:
	s_mov_b32 s4, 0x3c7fffff
	v_cmp_lt_u32_e32 vcc, s4, v8
                                        ; implicit-def: $vgpr7
	s_and_saveexec_b64 s[4:5], vcc
	s_xor_b64 s[4:5], exec, s[4:5]
; %bb.334:
	v_bfe_u32 v7, v6, 20, 1
	s_mov_b32 s6, 0x407ffff
	v_add3_u32 v7, v6, v7, s6
	v_lshrrev_b32_e32 v8, 20, v7
	v_and_b32_e32 v7, 0xff00000, v7
	s_mov_b32 s6, 0x7f00000
	v_mov_b32_e32 v9, 0x7e
	v_cmp_ne_u32_e32 vcc, s6, v7
	s_nop 1
	v_cndmask_b32_e32 v7, v9, v8, vcc
; %bb.335:
	s_andn2_saveexec_b64 s[4:5], s[4:5]
; %bb.336:
	s_mov_b32 s6, 0x46800000
	v_add_f32_e64 v7, |v6|, s6
; %bb.337:
	s_or_b64 exec, exec, s[4:5]
                                        ; implicit-def: $vgpr8
.LBB55_338:
	s_andn2_saveexec_b64 s[0:1], s[0:1]
; %bb.339:
	s_mov_b32 s4, 0x7f800000
	v_mov_b32_e32 v7, 0x7e
	v_mov_b32_e32 v9, 0x7f
	v_cmp_lt_u32_e32 vcc, s4, v8
	s_nop 1
	v_cndmask_b32_e32 v7, v7, v9, vcc
; %bb.340:
	s_or_b64 exec, exec, s[0:1]
	v_lshrrev_b32_e32 v6, 24, v6
	s_movk_i32 s0, 0x80
	v_and_or_b32 v6, v6, s0, v7
	global_store_byte v[4:5], v6, off
.LBB55_341:
	s_mov_b64 s[0:1], 0
.LBB55_342:
	s_andn2_b64 vcc, exec, s[0:1]
	s_cbranch_vccnz .LBB55_352
; %bb.343:
	v_cvt_f32_f64_e32 v6, v[0:1]
	v_and_b32_e32 v8, 0x7fffffff, v6
	s_mov_b32 s0, 0x47800000
	v_cmp_gt_u32_e32 vcc, s0, v8
                                        ; implicit-def: $vgpr7
	s_and_saveexec_b64 s[0:1], vcc
	s_xor_b64 s[0:1], exec, s[0:1]
	s_cbranch_execz .LBB55_349
; %bb.344:
	s_mov_b32 s4, 0x387fffff
	v_cmp_lt_u32_e32 vcc, s4, v8
                                        ; implicit-def: $vgpr7
	s_and_saveexec_b64 s[4:5], vcc
	s_xor_b64 s[4:5], exec, s[4:5]
; %bb.345:
	v_bfe_u32 v7, v6, 21, 1
	s_mov_b32 s6, 0x80fffff
	v_add3_u32 v7, v6, v7, s6
	v_lshrrev_b32_e32 v7, 21, v7
; %bb.346:
	s_andn2_saveexec_b64 s[4:5], s[4:5]
; %bb.347:
	s_mov_b32 s6, 0x43000000
	v_add_f32_e64 v7, |v6|, s6
; %bb.348:
	s_or_b64 exec, exec, s[4:5]
                                        ; implicit-def: $vgpr8
.LBB55_349:
	s_andn2_saveexec_b64 s[0:1], s[0:1]
; %bb.350:
	s_mov_b32 s4, 0x7f800000
	v_mov_b32_e32 v7, 0x7c
	v_mov_b32_e32 v9, 0x7f
	v_cmp_lt_u32_e32 vcc, s4, v8
	s_nop 1
	v_cndmask_b32_e32 v7, v7, v9, vcc
; %bb.351:
	s_or_b64 exec, exec, s[0:1]
	v_lshrrev_b32_e32 v6, 24, v6
	s_movk_i32 s0, 0x80
	v_and_or_b32 v6, v6, s0, v7
	global_store_byte v[4:5], v6, off
.LBB55_352:
	s_mov_b64 s[4:5], 0
	s_mov_b64 s[0:1], -1
.LBB55_353:
	s_andn2_b64 vcc, exec, s[4:5]
	s_cbranch_vccnz .LBB55_361
; %bb.354:
	s_cmp_gt_i32 s9, 14
	s_mov_b64 s[4:5], -1
	s_cbranch_scc0 .LBB55_358
; %bb.355:
	s_cmp_eq_u32 s9, 15
	s_mov_b64 s[2:3], -1
	s_cbranch_scc0 .LBB55_357
; %bb.356:
	v_cvt_f32_f64_e32 v6, v[0:1]
	v_bfe_u32 v7, v6, 16, 1
	s_movk_i32 s0, 0x7fff
	v_add3_u32 v7, v6, v7, s0
	v_cmp_o_f32_e32 vcc, v6, v6
	v_mov_b32_e32 v6, 0x7fc0
	s_mov_b64 s[0:1], -1
	v_cndmask_b32_sdwa v6, v6, v7, vcc dst_sel:DWORD dst_unused:UNUSED_PAD src0_sel:DWORD src1_sel:WORD_1
	global_store_short v[4:5], v6, off
	s_mov_b64 s[2:3], 0
.LBB55_357:
	s_mov_b64 s[4:5], 0
.LBB55_358:
	s_and_b64 vcc, exec, s[4:5]
	s_cbranch_vccz .LBB55_361
; %bb.359:
	s_cmp_eq_u32 s9, 11
	s_mov_b64 s[2:3], -1
	s_cbranch_scc0 .LBB55_361
; %bb.360:
	v_cmp_neq_f64_e32 vcc, 0, v[0:1]
	v_cmp_neq_f64_e64 s[0:1], 0, v[2:3]
	s_or_b64 s[0:1], vcc, s[0:1]
	s_mov_b64 s[2:3], 0
	v_cndmask_b32_e64 v6, 0, 1, s[0:1]
	s_mov_b64 s[0:1], -1
	global_store_byte v[4:5], v6, off
.LBB55_361:
	s_mov_b64 s[4:5], 0
.LBB55_362:
	s_and_b64 vcc, exec, s[4:5]
	s_cbranch_vccz .LBB55_401
; %bb.363:
	s_and_b32 s4, 0xffff, s8
	s_cmp_lt_i32 s4, 5
	s_mov_b64 s[0:1], -1
	s_cbranch_scc1 .LBB55_384
; %bb.364:
	s_cmp_lt_i32 s4, 8
	s_cbranch_scc1 .LBB55_374
; %bb.365:
	s_cmp_lt_i32 s4, 9
	s_cbranch_scc1 .LBB55_371
; %bb.366:
	s_cmp_gt_i32 s4, 9
	s_cbranch_scc0 .LBB55_368
; %bb.367:
	s_mov_b64 s[0:1], 0
	global_store_dwordx4 v[4:5], v[0:3], off
.LBB55_368:
	s_andn2_b64 vcc, exec, s[0:1]
	s_cbranch_vccnz .LBB55_370
; %bb.369:
	v_cvt_f32_f64_e32 v7, v[2:3]
	v_cvt_f32_f64_e32 v6, v[0:1]
	global_store_dwordx2 v[4:5], v[6:7], off
.LBB55_370:
	s_mov_b64 s[0:1], 0
.LBB55_371:
	s_andn2_b64 vcc, exec, s[0:1]
	s_cbranch_vccnz .LBB55_373
; %bb.372:
	s_movk_i32 s0, 0x1ff
	v_and_or_b32 v6, v1, s0, v0
	v_cmp_ne_u32_e32 vcc, 0, v6
	v_lshrrev_b32_e32 v7, 8, v1
	s_movk_i32 s1, 0xffe
	v_cndmask_b32_e64 v6, 0, 1, vcc
	v_bfe_u32 v8, v1, 20, 11
	v_and_or_b32 v6, v7, s1, v6
	v_sub_u32_e32 v9, 0x3f1, v8
	v_or_b32_e32 v7, 0x1000, v6
	v_med3_i32 v9, v9, 0, 13
	v_lshrrev_b32_e32 v10, v9, v7
	v_lshlrev_b32_e32 v9, v9, v10
	v_cmp_ne_u32_e32 vcc, v9, v7
	v_add_u32_e32 v8, 0xfffffc10, v8
	v_lshl_or_b32 v9, v8, 12, v6
	v_cndmask_b32_e64 v7, 0, 1, vcc
	v_or_b32_e32 v7, v10, v7
	v_cmp_gt_i32_e32 vcc, 1, v8
	s_movk_i32 s5, 0x40f
	v_and_or_b32 v2, v3, s0, v2
	v_cndmask_b32_e32 v7, v9, v7, vcc
	v_and_b32_e32 v9, 7, v7
	v_cmp_lt_i32_e32 vcc, 5, v9
	v_lshrrev_b32_e32 v7, 2, v7
	v_bfe_u32 v11, v3, 20, 11
	v_cndmask_b32_e64 v10, 0, 1, vcc
	v_cmp_eq_u32_e32 vcc, 3, v9
	v_sub_u32_e32 v12, 0x3f1, v11
	v_med3_i32 v12, v12, 0, 13
	v_cndmask_b32_e64 v9, 0, 1, vcc
	v_or_b32_e32 v9, v9, v10
	v_add_u32_e32 v7, v7, v9
	v_mov_b32_e32 v9, 0x7c00
	v_cmp_gt_i32_e32 vcc, 31, v8
	v_mov_b32_e32 v10, 0x7e00
	v_add_u32_e32 v11, 0xfffffc10, v11
	v_cndmask_b32_e32 v7, v9, v7, vcc
	v_cmp_ne_u32_e32 vcc, 0, v6
	s_mov_b32 s6, 0x8000
	s_mov_b32 s0, 0xffff
	v_cndmask_b32_e32 v6, v9, v10, vcc
	v_cmp_eq_u32_e32 vcc, s5, v8
	v_lshrrev_b32_e32 v8, 8, v3
	v_lshrrev_b32_e32 v3, 16, v3
	v_cndmask_b32_e32 v6, v7, v6, vcc
	v_cmp_ne_u32_e32 vcc, 0, v2
	v_and_b32_sdwa v7, v1, s6 dst_sel:DWORD dst_unused:UNUSED_PAD src0_sel:WORD_1 src1_sel:DWORD
	s_nop 0
	v_cndmask_b32_e64 v2, 0, 1, vcc
	v_and_or_b32 v2, v8, s1, v2
	v_or_b32_e32 v8, 0x1000, v2
	v_lshrrev_b32_e32 v13, v12, v8
	v_lshlrev_b32_e32 v12, v12, v13
	v_cmp_ne_u32_e32 vcc, v12, v8
	v_lshl_or_b32 v12, v11, 12, v2
	s_nop 0
	v_cndmask_b32_e64 v8, 0, 1, vcc
	v_or_b32_e32 v8, v13, v8
	v_cmp_gt_i32_e32 vcc, 1, v11
	s_nop 1
	v_cndmask_b32_e32 v8, v12, v8, vcc
	v_and_b32_e32 v12, 7, v8
	v_cmp_lt_i32_e32 vcc, 5, v12
	v_lshrrev_b32_e32 v8, 2, v8
	s_nop 0
	v_cndmask_b32_e64 v13, 0, 1, vcc
	v_cmp_eq_u32_e32 vcc, 3, v12
	s_nop 1
	v_cndmask_b32_e64 v12, 0, 1, vcc
	v_or_b32_e32 v12, v12, v13
	v_add_u32_e32 v8, v8, v12
	v_cmp_gt_i32_e32 vcc, 31, v11
	s_nop 1
	v_cndmask_b32_e32 v8, v9, v8, vcc
	v_cmp_ne_u32_e32 vcc, 0, v2
	s_nop 1
	v_cndmask_b32_e32 v2, v9, v10, vcc
	v_cmp_eq_u32_e32 vcc, s5, v11
	s_nop 1
	v_cndmask_b32_e32 v2, v8, v2, vcc
	v_and_or_b32 v2, v3, s6, v2
	v_bitop3_b32 v3, v7, s0, v6 bitop3:0xc8
	v_lshl_or_b32 v2, v2, 16, v3
	global_store_dword v[4:5], v2, off
.LBB55_373:
	s_mov_b64 s[0:1], 0
.LBB55_374:
	s_andn2_b64 vcc, exec, s[0:1]
	s_cbranch_vccnz .LBB55_383
; %bb.375:
	s_cmp_lt_i32 s4, 6
	s_mov_b64 s[0:1], -1
	s_cbranch_scc1 .LBB55_381
; %bb.376:
	s_cmp_gt_i32 s4, 6
	s_cbranch_scc0 .LBB55_378
; %bb.377:
	s_mov_b64 s[0:1], 0
	global_store_dwordx2 v[4:5], v[0:1], off
.LBB55_378:
	s_andn2_b64 vcc, exec, s[0:1]
	s_cbranch_vccnz .LBB55_380
; %bb.379:
	v_cvt_f32_f64_e32 v2, v[0:1]
	global_store_dword v[4:5], v2, off
.LBB55_380:
	s_mov_b64 s[0:1], 0
.LBB55_381:
	s_andn2_b64 vcc, exec, s[0:1]
	s_cbranch_vccnz .LBB55_383
; %bb.382:
	s_movk_i32 s0, 0x1ff
	v_and_or_b32 v2, v1, s0, v0
	v_cmp_ne_u32_e32 vcc, 0, v2
	v_lshrrev_b32_e32 v3, 8, v1
	s_movk_i32 s0, 0xffe
	v_cndmask_b32_e64 v2, 0, 1, vcc
	v_bfe_u32 v6, v1, 20, 11
	v_and_or_b32 v2, v3, s0, v2
	v_sub_u32_e32 v7, 0x3f1, v6
	v_or_b32_e32 v3, 0x1000, v2
	v_med3_i32 v7, v7, 0, 13
	v_lshrrev_b32_e32 v8, v7, v3
	v_lshlrev_b32_e32 v7, v7, v8
	v_cmp_ne_u32_e32 vcc, v7, v3
	v_add_u32_e32 v6, 0xfffffc10, v6
	v_lshl_or_b32 v7, v6, 12, v2
	v_cndmask_b32_e64 v3, 0, 1, vcc
	v_or_b32_e32 v3, v8, v3
	v_cmp_gt_i32_e32 vcc, 1, v6
	s_movk_i32 s0, 0x40f
	s_nop 0
	v_cndmask_b32_e32 v3, v7, v3, vcc
	v_and_b32_e32 v7, 7, v3
	v_cmp_lt_i32_e32 vcc, 5, v7
	v_lshrrev_b32_e32 v3, 2, v3
	s_nop 0
	v_cndmask_b32_e64 v8, 0, 1, vcc
	v_cmp_eq_u32_e32 vcc, 3, v7
	s_nop 1
	v_cndmask_b32_e64 v7, 0, 1, vcc
	v_or_b32_e32 v7, v7, v8
	v_add_u32_e32 v3, v3, v7
	v_mov_b32_e32 v7, 0x7c00
	v_cmp_gt_i32_e32 vcc, 31, v6
	v_mov_b32_e32 v8, 0x7e00
	s_nop 0
	v_cndmask_b32_e32 v3, v7, v3, vcc
	v_cmp_ne_u32_e32 vcc, 0, v2
	s_nop 1
	v_cndmask_b32_e32 v2, v7, v8, vcc
	v_cmp_eq_u32_e32 vcc, s0, v6
	s_mov_b32 s0, 0x8000
	s_nop 0
	v_cndmask_b32_e32 v2, v3, v2, vcc
	v_lshrrev_b32_e32 v3, 16, v1
	v_and_or_b32 v2, v3, s0, v2
	global_store_short v[4:5], v2, off
.LBB55_383:
	s_mov_b64 s[0:1], 0
.LBB55_384:
	s_andn2_b64 vcc, exec, s[0:1]
	s_cbranch_vccnz .LBB55_400
; %bb.385:
	s_cmp_lt_i32 s4, 2
	s_mov_b64 s[0:1], -1
	s_cbranch_scc1 .LBB55_395
; %bb.386:
	s_cmp_lt_i32 s4, 3
	s_cbranch_scc1 .LBB55_392
; %bb.387:
	s_cmp_gt_i32 s4, 3
	s_cbranch_scc0 .LBB55_389
; %bb.388:
	v_trunc_f64_e32 v[2:3], v[0:1]
	s_movk_i32 s0, 0xffe0
	v_ldexp_f64 v[6:7], v[2:3], s0
	v_floor_f64_e32 v[6:7], v[6:7]
	v_fmac_f64_e32 v[2:3], 0xc1f00000, v[6:7]
	v_cvt_i32_f64_e32 v9, v[6:7]
	v_cvt_u32_f64_e32 v8, v[2:3]
	s_mov_b64 s[0:1], 0
	global_store_dwordx2 v[4:5], v[8:9], off
.LBB55_389:
	s_andn2_b64 vcc, exec, s[0:1]
	s_cbranch_vccnz .LBB55_391
; %bb.390:
	v_cvt_i32_f64_e32 v2, v[0:1]
	global_store_dword v[4:5], v2, off
.LBB55_391:
	s_mov_b64 s[0:1], 0
.LBB55_392:
	s_andn2_b64 vcc, exec, s[0:1]
	s_cbranch_vccnz .LBB55_394
; %bb.393:
	v_cvt_i32_f64_e32 v2, v[0:1]
	global_store_short v[4:5], v2, off
.LBB55_394:
	s_mov_b64 s[0:1], 0
.LBB55_395:
	s_andn2_b64 vcc, exec, s[0:1]
	s_cbranch_vccnz .LBB55_400
; %bb.396:
	s_cmp_gt_i32 s4, 0
	s_mov_b64 s[0:1], -1
	s_cbranch_scc0 .LBB55_398
; %bb.397:
	v_cvt_i32_f64_e32 v2, v[0:1]
	s_mov_b64 s[0:1], 0
	global_store_byte v[4:5], v2, off
.LBB55_398:
	s_andn2_b64 vcc, exec, s[0:1]
	s_cbranch_vccnz .LBB55_400
; %bb.399:
	v_trunc_f64_e32 v[0:1], v[0:1]
	s_movk_i32 s0, 0xffe0
	v_ldexp_f64 v[2:3], v[0:1], s0
	v_floor_f64_e32 v[2:3], v[2:3]
	v_fmac_f64_e32 v[0:1], 0xc1f00000, v[2:3]
	v_cvt_u32_f64_e32 v0, v[0:1]
	global_store_byte v[4:5], v0, off
.LBB55_400:
	s_mov_b64 s[0:1], -1
.LBB55_401:
	s_andn2_b64 vcc, exec, s[0:1]
	s_cbranch_vccnz .LBB55_403
; %bb.402:
	v_add_u32_e32 v46, 0x80, v46
	s_mov_b64 s[0:1], -1
	s_branch .LBB55_520
.LBB55_403:
	s_mov_b64 s[0:1], 0
                                        ; implicit-def: $vgpr46
	s_branch .LBB55_520
.LBB55_404:
	s_mov_b64 s[54:55], -1
                                        ; implicit-def: $vgpr0_vgpr1
.LBB55_405:
	v_mov_b64_e32 v[2:3], 0
.LBB55_406:
	s_mov_b64 s[2:3], 0
.LBB55_407:
	s_and_b64 vcc, exec, s[2:3]
	s_cbranch_vccz .LBB55_412
; %bb.408:
	s_cmp_eq_u32 s6, 29
	s_cbranch_scc0 .LBB55_410
; %bb.409:
	global_load_dwordx2 v[0:1], v[4:5], off
	s_mov_b64 s[0:1], -1
	s_mov_b64 s[54:55], 0
	s_waitcnt vmcnt(0)
	v_cvt_f64_u32_e32 v[2:3], v1
	v_cvt_f64_u32_e32 v[0:1], v0
	v_ldexp_f64 v[2:3], v[2:3], 32
	v_add_f64 v[0:1], v[2:3], v[0:1]
	s_branch .LBB55_411
.LBB55_410:
	s_mov_b64 s[54:55], -1
                                        ; implicit-def: $vgpr0_vgpr1
.LBB55_411:
	v_mov_b64_e32 v[2:3], 0
.LBB55_412:
	s_mov_b64 s[2:3], 0
.LBB55_413:
	s_and_b64 vcc, exec, s[2:3]
	s_cbranch_vccz .LBB55_433
; %bb.414:
	s_cmp_lt_i32 s6, 27
	s_cbranch_scc1 .LBB55_417
; %bb.415:
	s_cmp_gt_i32 s6, 27
	s_cbranch_scc0 .LBB55_418
; %bb.416:
	global_load_dword v0, v[4:5], off
	s_mov_b64 s[0:1], 0
	s_waitcnt vmcnt(0)
	v_cvt_f64_u32_e32 v[0:1], v0
	s_branch .LBB55_419
.LBB55_417:
	s_mov_b64 s[0:1], -1
                                        ; implicit-def: $vgpr0_vgpr1
	s_branch .LBB55_422
.LBB55_418:
	s_mov_b64 s[0:1], -1
                                        ; implicit-def: $vgpr0_vgpr1
.LBB55_419:
	s_andn2_b64 vcc, exec, s[0:1]
	s_cbranch_vccnz .LBB55_421
; %bb.420:
	global_load_ushort v0, v[4:5], off
	s_waitcnt vmcnt(0)
	v_cvt_f64_u32_e32 v[0:1], v0
.LBB55_421:
	s_mov_b64 s[0:1], 0
.LBB55_422:
	s_andn2_b64 vcc, exec, s[0:1]
	s_cbranch_vccnz .LBB55_432
; %bb.423:
	global_load_ubyte v2, v[4:5], off
	s_movk_i32 s0, 0x7f
	s_waitcnt vmcnt(0)
	v_cmp_lt_i16_e32 vcc, s0, v2
	s_mov_b64 s[0:1], 0
	s_and_saveexec_b64 s[2:3], vcc
	s_xor_b64 s[2:3], exec, s[2:3]
	s_cbranch_execz .LBB55_427
; %bb.424:
	s_movk_i32 s0, 0x80
	v_cmp_eq_u16_e32 vcc, s0, v2
	s_mov_b64 s[0:1], -1
	s_and_saveexec_b64 s[4:5], vcc
; %bb.425:
	s_xor_b64 s[0:1], exec, -1
; %bb.426:
	s_or_b64 exec, exec, s[4:5]
	s_and_b64 s[0:1], s[0:1], exec
.LBB55_427:
	s_or_saveexec_b64 s[2:3], s[2:3]
	v_bfrev_b32_e32 v0, 4
	v_mov_b32_e32 v1, 0x7ff80000
	s_xor_b64 exec, exec, s[2:3]
; %bb.428:
	v_cmp_ne_u16_e32 vcc, 0, v2
	s_andn2_b64 s[0:1], s[0:1], exec
	s_and_b64 s[4:5], vcc, exec
	v_mov_b64_e32 v[0:1], 0
	s_or_b64 s[0:1], s[0:1], s[4:5]
; %bb.429:
	s_or_b64 exec, exec, s[2:3]
	s_and_saveexec_b64 s[2:3], s[0:1]
	s_cbranch_execz .LBB55_431
; %bb.430:
	v_and_b32_e32 v1, 0xffff, v2
	v_lshlrev_b32_e32 v0, 24, v2
	v_and_b32_e32 v2, 7, v1
	v_ffbh_u32_e32 v6, v2
	v_min_u32_e32 v6, 32, v6
	v_subrev_u32_e32 v7, 28, v6
	v_bfe_u32 v3, v1, 3, 4
	v_lshlrev_b32_e32 v1, v7, v1
	v_sub_u32_e32 v6, 29, v6
	v_and_b32_e32 v1, 7, v1
	v_cmp_eq_u32_e32 vcc, 0, v3
	v_and_b32_e32 v0, 0x80000000, v0
	s_nop 0
	v_cndmask_b32_e32 v3, v3, v6, vcc
	v_cndmask_b32_e32 v1, v2, v1, vcc
	v_mov_b32_e32 v2, 0x3b800000
	v_lshlrev_b32_e32 v1, 20, v1
	v_lshl_add_u32 v2, v3, 23, v2
	v_or3_b32 v0, v0, v2, v1
	v_cvt_f64_f32_e32 v[0:1], v0
.LBB55_431:
	s_or_b64 exec, exec, s[2:3]
.LBB55_432:
	s_mov_b64 s[0:1], -1
	v_mov_b64_e32 v[2:3], 0
.LBB55_433:
	s_mov_b64 s[2:3], 0
.LBB55_434:
	s_and_b64 vcc, exec, s[2:3]
	s_cbranch_vccz .LBB55_468
; %bb.435:
	s_cmp_gt_i32 s6, 22
	s_cbranch_scc0 .LBB55_447
; %bb.436:
	s_cmp_lt_i32 s6, 24
	s_cbranch_scc1 .LBB55_448
; %bb.437:
	s_cmp_gt_i32 s6, 24
	s_cbranch_scc0 .LBB55_449
; %bb.438:
	global_load_ubyte v2, v[4:5], off
	s_movk_i32 s0, 0x7f
	s_waitcnt vmcnt(0)
	v_cmp_lt_i16_e32 vcc, s0, v2
	s_mov_b64 s[0:1], 0
	s_and_saveexec_b64 s[2:3], vcc
	s_xor_b64 s[2:3], exec, s[2:3]
	s_cbranch_execz .LBB55_442
; %bb.439:
	s_movk_i32 s0, 0x80
	v_cmp_eq_u16_e32 vcc, s0, v2
	s_mov_b64 s[0:1], -1
	s_and_saveexec_b64 s[4:5], vcc
; %bb.440:
	s_xor_b64 s[0:1], exec, -1
; %bb.441:
	s_or_b64 exec, exec, s[4:5]
	s_and_b64 s[0:1], s[0:1], exec
.LBB55_442:
	s_or_saveexec_b64 s[2:3], s[2:3]
	v_bfrev_b32_e32 v0, 4
	v_mov_b32_e32 v1, 0x7ff80000
	s_xor_b64 exec, exec, s[2:3]
; %bb.443:
	v_cmp_ne_u16_e32 vcc, 0, v2
	s_andn2_b64 s[0:1], s[0:1], exec
	s_and_b64 s[4:5], vcc, exec
	v_mov_b64_e32 v[0:1], 0
	s_or_b64 s[0:1], s[0:1], s[4:5]
; %bb.444:
	s_or_b64 exec, exec, s[2:3]
	s_and_saveexec_b64 s[2:3], s[0:1]
	s_cbranch_execz .LBB55_446
; %bb.445:
	v_and_b32_e32 v1, 0xffff, v2
	v_lshlrev_b32_e32 v0, 24, v2
	v_and_b32_e32 v2, 3, v1
	v_ffbh_u32_e32 v6, v2
	v_min_u32_e32 v6, 32, v6
	v_subrev_u32_e32 v7, 29, v6
	v_bfe_u32 v3, v1, 2, 5
	v_lshlrev_b32_e32 v1, v7, v1
	v_sub_u32_e32 v6, 30, v6
	v_and_b32_e32 v1, 3, v1
	v_cmp_eq_u32_e32 vcc, 0, v3
	v_and_b32_e32 v0, 0x80000000, v0
	s_nop 0
	v_cndmask_b32_e32 v3, v3, v6, vcc
	v_cndmask_b32_e32 v1, v2, v1, vcc
	v_mov_b32_e32 v2, 0x37800000
	v_lshlrev_b32_e32 v1, 21, v1
	v_lshl_add_u32 v2, v3, 23, v2
	v_or3_b32 v0, v0, v2, v1
	v_cvt_f64_f32_e32 v[0:1], v0
.LBB55_446:
	s_or_b64 exec, exec, s[2:3]
	s_mov_b64 s[0:1], 0
	s_branch .LBB55_450
.LBB55_447:
	s_mov_b64 s[2:3], -1
                                        ; implicit-def: $vgpr0_vgpr1
	s_branch .LBB55_456
.LBB55_448:
	s_mov_b64 s[0:1], -1
                                        ; implicit-def: $vgpr0_vgpr1
	s_branch .LBB55_453
.LBB55_449:
	s_mov_b64 s[0:1], -1
                                        ; implicit-def: $vgpr0_vgpr1
.LBB55_450:
	s_and_b64 vcc, exec, s[0:1]
	s_cbranch_vccz .LBB55_452
; %bb.451:
	global_load_ubyte v0, v[4:5], off
	s_mov_b32 s0, 0x7f800000
	s_waitcnt vmcnt(0)
	v_lshlrev_b32_e32 v0, 24, v0
	v_and_b32_e32 v1, 0x7f000000, v0
	v_ffbh_u32_e32 v2, v1
	v_min_u32_e32 v2, 32, v2
	v_sub_u32_e64 v2, v2, 4 clamp
	v_lshlrev_b32_e32 v6, v2, v1
	v_lshlrev_b32_e32 v2, 23, v2
	v_lshrrev_b32_e32 v6, 4, v6
	v_add_u32_e32 v3, 0x1000000, v1
	v_sub_u32_e32 v2, v6, v2
	v_ashrrev_i32_e32 v3, 8, v3
	v_add_u32_e32 v2, 0x3c000000, v2
	v_and_or_b32 v2, v3, s0, v2
	v_cmp_ne_u32_e32 vcc, 0, v1
	s_brev_b32 s0, 1
	s_nop 0
	v_cndmask_b32_e32 v1, 0, v2, vcc
	v_and_or_b32 v0, v0, s0, v1
	v_cvt_f64_f32_e32 v[0:1], v0
.LBB55_452:
	s_mov_b64 s[0:1], 0
.LBB55_453:
	s_andn2_b64 vcc, exec, s[0:1]
	s_cbranch_vccnz .LBB55_455
; %bb.454:
	global_load_ubyte v0, v[4:5], off
	s_movk_i32 s0, 0x7f00
	s_brev_b32 s1, 16
	s_waitcnt vmcnt(0)
	v_lshlrev_b16_e32 v1, 8, v0
	v_lshlrev_b32_e32 v0, 25, v0
	v_lshrrev_b32_e32 v2, 4, v0
	v_and_or_b32 v3, v1, s0, 0.5
	v_or_b32_e32 v2, 0x70000000, v2
	v_add_f32_e32 v3, -0.5, v3
	v_mul_f32_e32 v2, 0x7800000, v2
	v_cmp_gt_u32_e32 vcc, s1, v0
	v_bfe_i32 v1, v1, 0, 16
	s_brev_b32 s0, 1
	v_cndmask_b32_e32 v0, v2, v3, vcc
	v_and_or_b32 v0, v1, s0, v0
	v_cvt_f64_f32_e32 v[0:1], v0
.LBB55_455:
	s_mov_b64 s[2:3], 0
	s_mov_b64 s[0:1], -1
.LBB55_456:
	s_andn2_b64 vcc, exec, s[2:3]
	s_cbranch_vccnz .LBB55_467
; %bb.457:
	s_cmp_gt_i32 s6, 14
	s_cbranch_scc0 .LBB55_460
; %bb.458:
	s_cmp_eq_u32 s6, 15
	s_cbranch_scc0 .LBB55_461
; %bb.459:
	global_load_ushort v0, v[4:5], off
	s_mov_b64 s[0:1], -1
	s_mov_b64 s[54:55], 0
	s_waitcnt vmcnt(0)
	v_lshlrev_b32_e32 v0, 16, v0
	v_cvt_f64_f32_e32 v[0:1], v0
	s_branch .LBB55_462
.LBB55_460:
	s_mov_b64 s[2:3], -1
                                        ; implicit-def: $vgpr0_vgpr1
	s_branch .LBB55_463
.LBB55_461:
	s_mov_b64 s[54:55], -1
                                        ; implicit-def: $vgpr0_vgpr1
.LBB55_462:
	s_mov_b64 s[2:3], 0
.LBB55_463:
	s_and_b64 vcc, exec, s[2:3]
	s_cbranch_vccz .LBB55_467
; %bb.464:
	s_cmp_eq_u32 s6, 11
	s_cbranch_scc0 .LBB55_466
; %bb.465:
	global_load_ubyte v1, v[4:5], off
	v_mov_b32_e32 v2, 0x3ff00000
	v_mov_b32_e32 v0, 0
	s_mov_b64 s[0:1], -1
	s_mov_b64 s[54:55], 0
	s_waitcnt vmcnt(0)
	v_cmp_ne_u16_e32 vcc, 0, v1
	s_nop 1
	v_cndmask_b32_e32 v1, 0, v2, vcc
	s_branch .LBB55_467
.LBB55_466:
	s_mov_b64 s[54:55], -1
                                        ; implicit-def: $vgpr0_vgpr1
.LBB55_467:
	v_mov_b64_e32 v[2:3], 0
.LBB55_468:
	s_branch .LBB55_268
.LBB55_469:
	s_cmp_lt_i32 s6, 5
	s_cbranch_scc1 .LBB55_474
; %bb.470:
	s_cmp_lt_i32 s6, 8
	s_cbranch_scc1 .LBB55_475
; %bb.471:
	;; [unrolled: 3-line block ×3, first 2 shown]
	s_cmp_gt_i32 s6, 9
	s_cbranch_scc0 .LBB55_477
; %bb.473:
	global_load_dwordx4 v[0:3], v[4:5], off
	s_mov_b64 s[0:1], 0
	s_branch .LBB55_478
.LBB55_474:
	s_mov_b64 s[0:1], -1
                                        ; implicit-def: $vgpr2_vgpr3
	s_branch .LBB55_497
.LBB55_475:
	s_mov_b64 s[0:1], -1
                                        ; implicit-def: $vgpr2_vgpr3
	s_branch .LBB55_484
.LBB55_476:
	s_mov_b64 s[0:1], -1
                                        ; implicit-def: $vgpr2_vgpr3
	s_branch .LBB55_481
.LBB55_477:
	s_mov_b64 s[0:1], -1
                                        ; implicit-def: $vgpr2_vgpr3
.LBB55_478:
	s_andn2_b64 vcc, exec, s[0:1]
	s_cbranch_vccnz .LBB55_480
; %bb.479:
	global_load_dwordx2 v[2:3], v[4:5], off
	s_waitcnt vmcnt(0)
	v_cvt_f64_f32_e32 v[0:1], v2
	v_cvt_f64_f32_e32 v[2:3], v3
.LBB55_480:
	s_mov_b64 s[0:1], 0
.LBB55_481:
	s_andn2_b64 vcc, exec, s[0:1]
	s_cbranch_vccnz .LBB55_483
; %bb.482:
	global_load_dword v0, v[4:5], off
	s_waitcnt vmcnt(0)
	v_cvt_f32_f16_e32 v1, v0
	v_cvt_f32_f16_sdwa v2, v0 dst_sel:DWORD dst_unused:UNUSED_PAD src0_sel:WORD_1
	v_cvt_f64_f32_e32 v[0:1], v1
	v_cvt_f64_f32_e32 v[2:3], v2
.LBB55_483:
	s_mov_b64 s[0:1], 0
.LBB55_484:
	s_andn2_b64 vcc, exec, s[0:1]
	s_cbranch_vccnz .LBB55_496
; %bb.485:
	s_cmp_lt_i32 s6, 6
	s_cbranch_scc1 .LBB55_488
; %bb.486:
	s_cmp_gt_i32 s6, 6
	s_cbranch_scc0 .LBB55_489
; %bb.487:
	global_load_dwordx2 v[0:1], v[4:5], off
	s_mov_b64 s[0:1], 0
	s_branch .LBB55_490
.LBB55_488:
	s_mov_b64 s[0:1], -1
                                        ; implicit-def: $vgpr0_vgpr1
	s_branch .LBB55_493
.LBB55_489:
	s_mov_b64 s[0:1], -1
                                        ; implicit-def: $vgpr0_vgpr1
.LBB55_490:
	s_andn2_b64 vcc, exec, s[0:1]
	s_cbranch_vccnz .LBB55_492
; %bb.491:
	global_load_dword v0, v[4:5], off
	s_waitcnt vmcnt(0)
	v_cvt_f64_f32_e32 v[0:1], v0
.LBB55_492:
	s_mov_b64 s[0:1], 0
.LBB55_493:
	s_andn2_b64 vcc, exec, s[0:1]
	s_cbranch_vccnz .LBB55_495
; %bb.494:
	global_load_ushort v0, v[4:5], off
	s_waitcnt vmcnt(0)
	v_cvt_f32_f16_e32 v0, v0
	v_cvt_f64_f32_e32 v[0:1], v0
.LBB55_495:
	s_waitcnt vmcnt(0)
	v_mov_b64_e32 v[2:3], 0
.LBB55_496:
	s_mov_b64 s[0:1], 0
.LBB55_497:
	s_andn2_b64 vcc, exec, s[0:1]
	s_cbranch_vccnz .LBB55_518
; %bb.498:
	s_cmp_lt_i32 s6, 2
	s_cbranch_scc1 .LBB55_502
; %bb.499:
	s_cmp_lt_i32 s6, 3
	s_cbranch_scc1 .LBB55_503
; %bb.500:
	s_cmp_gt_i32 s6, 3
	s_cbranch_scc0 .LBB55_504
; %bb.501:
	global_load_dwordx2 v[0:1], v[4:5], off
	s_mov_b64 s[0:1], 0
	s_waitcnt vmcnt(0)
	v_cvt_f64_i32_e32 v[2:3], v1
	v_cvt_f64_u32_e32 v[0:1], v0
	v_ldexp_f64 v[2:3], v[2:3], 32
	v_add_f64 v[0:1], v[2:3], v[0:1]
	s_branch .LBB55_505
.LBB55_502:
	s_mov_b64 s[0:1], -1
                                        ; implicit-def: $vgpr0_vgpr1
	s_branch .LBB55_511
.LBB55_503:
	s_mov_b64 s[0:1], -1
                                        ; implicit-def: $vgpr0_vgpr1
	s_branch .LBB55_508
.LBB55_504:
	s_mov_b64 s[0:1], -1
                                        ; implicit-def: $vgpr0_vgpr1
.LBB55_505:
	s_andn2_b64 vcc, exec, s[0:1]
	s_cbranch_vccnz .LBB55_507
; %bb.506:
	global_load_dword v0, v[4:5], off
	s_waitcnt vmcnt(0)
	v_cvt_f64_i32_e32 v[0:1], v0
.LBB55_507:
	s_mov_b64 s[0:1], 0
.LBB55_508:
	s_andn2_b64 vcc, exec, s[0:1]
	s_cbranch_vccnz .LBB55_510
; %bb.509:
	global_load_sshort v0, v[4:5], off
	s_waitcnt vmcnt(0)
	v_cvt_f64_i32_e32 v[0:1], v0
.LBB55_510:
	s_mov_b64 s[0:1], 0
.LBB55_511:
	s_andn2_b64 vcc, exec, s[0:1]
	s_cbranch_vccnz .LBB55_517
; %bb.512:
	s_cmp_gt_i32 s6, 0
	s_cbranch_scc0 .LBB55_514
; %bb.513:
	global_load_sbyte v0, v[4:5], off
	s_mov_b64 s[0:1], 0
	s_waitcnt vmcnt(0)
	v_cvt_f64_i32_e32 v[0:1], v0
	s_branch .LBB55_515
.LBB55_514:
	s_mov_b64 s[0:1], -1
                                        ; implicit-def: $vgpr0_vgpr1
.LBB55_515:
	s_andn2_b64 vcc, exec, s[0:1]
	s_cbranch_vccnz .LBB55_517
; %bb.516:
	global_load_ubyte v0, v[4:5], off
	s_waitcnt vmcnt(0)
	v_cvt_f64_u32_e32 v[0:1], v0
.LBB55_517:
	s_waitcnt vmcnt(0)
	v_mov_b64_e32 v[2:3], 0
.LBB55_518:
	s_branch .LBB55_269
.LBB55_519:
	s_mov_b64 s[0:1], 0
                                        ; implicit-def: $vgpr46
	s_mov_b64 s[2:3], s[48:49]
.LBB55_520:
	s_andn2_b64 s[4:5], s[48:49], exec
	s_and_b64 s[2:3], s[2:3], exec
	s_or_b64 s[56:57], s[4:5], s[2:3]
	s_andn2_b64 s[2:3], s[50:51], exec
	s_and_b64 s[4:5], s[54:55], exec
	s_or_b64 s[54:55], s[2:3], s[4:5]
	s_orn2_b64 s[0:1], s[0:1], exec
.LBB55_521:
	s_or_b64 exec, exec, s[58:59]
	s_mov_b64 s[2:3], 0
	s_mov_b64 s[4:5], 0
	;; [unrolled: 1-line block ×3, first 2 shown]
                                        ; implicit-def: $vgpr0_vgpr1
                                        ; implicit-def: $vgpr6_vgpr7
	s_and_saveexec_b64 s[58:59], s[0:1]
	s_cbranch_execz .LBB55_874
; %bb.522:
	v_cmp_gt_i32_e32 vcc, s64, v46
	s_mov_b64 s[10:11], -1
	s_mov_b64 s[0:1], s[54:55]
	s_mov_b64 s[2:3], s[56:57]
	s_and_saveexec_b64 s[60:61], vcc
	s_cbranch_execz .LBB55_785
; %bb.523:
	s_waitcnt vmcnt(0)
	v_mul_lo_u32 v0, v46, s35
	v_ashrrev_i32_e32 v1, 31, v0
	s_and_b32 s6, 0xffff, s43
	s_cmp_lt_i32 s6, 11
	v_lshl_add_u64 v[4:5], s[38:39], 0, v[0:1]
	s_cbranch_scc1 .LBB55_530
; %bb.524:
	s_cmp_gt_i32 s6, 25
	s_cbranch_scc0 .LBB55_531
; %bb.525:
	s_cmp_gt_i32 s6, 28
	s_cbranch_scc0 .LBB55_532
	;; [unrolled: 3-line block ×4, first 2 shown]
; %bb.528:
	s_cmp_eq_u32 s6, 46
	s_mov_b64 s[2:3], 0
	s_cbranch_scc0 .LBB55_539
; %bb.529:
	global_load_dword v0, v[4:5], off
	s_mov_b64 s[0:1], -1
	s_mov_b64 s[62:63], 0
	s_waitcnt vmcnt(0)
	v_and_b32_e32 v2, 0xffff0000, v0
	v_lshlrev_b32_e32 v0, 16, v0
	v_cvt_f64_f32_e32 v[0:1], v0
	v_cvt_f64_f32_e32 v[2:3], v2
	s_branch .LBB55_540
.LBB55_530:
	s_mov_b64 s[2:3], -1
	s_mov_b64 s[0:1], 0
                                        ; implicit-def: $vgpr2_vgpr3
	s_mov_b64 s[62:63], s[54:55]
	s_branch .LBB55_608
.LBB55_531:
	s_mov_b64 s[2:3], -1
	s_mov_b64 s[0:1], 0
	s_mov_b64 s[62:63], s[54:55]
                                        ; implicit-def: $vgpr2_vgpr3
	s_branch .LBB55_573
.LBB55_532:
	s_mov_b64 s[2:3], -1
	s_mov_b64 s[0:1], 0
	s_mov_b64 s[62:63], s[54:55]
                                        ; implicit-def: $vgpr2_vgpr3
	s_branch .LBB55_552
.LBB55_533:
	s_mov_b64 s[2:3], -1
	s_mov_b64 s[0:1], 0
	s_mov_b64 s[62:63], s[54:55]
                                        ; implicit-def: $vgpr2_vgpr3
	s_branch .LBB55_546
.LBB55_534:
	s_andn2_saveexec_b64 s[6:7], s[6:7]
	s_cbranch_execz .LBB55_314
.LBB55_535:
	s_mov_b32 s10, 0x46000000
	v_add_f32_e64 v7, |v6|, s10
	v_and_b32_e32 v7, 0xff, v7
	v_cmp_ne_u32_e32 vcc, 0, v7
	s_andn2_b64 s[4:5], s[4:5], exec
	s_and_b64 s[10:11], vcc, exec
	s_or_b64 s[4:5], s[4:5], s[10:11]
	s_or_b64 exec, exec, s[6:7]
	v_mov_b32_e32 v8, 0
	s_and_saveexec_b64 s[6:7], s[4:5]
	s_cbranch_execnz .LBB55_315
	s_branch .LBB55_316
.LBB55_536:
	s_mov_b64 s[2:3], -1
	s_mov_b64 s[0:1], 0
	s_mov_b64 s[62:63], s[54:55]
                                        ; implicit-def: $vgpr2_vgpr3
	s_branch .LBB55_540
.LBB55_537:
	s_andn2_saveexec_b64 s[6:7], s[6:7]
	s_cbranch_execz .LBB55_327
.LBB55_538:
	s_mov_b32 s10, 0x42800000
	v_add_f32_e64 v7, |v6|, s10
	v_and_b32_e32 v7, 0xff, v7
	v_cmp_ne_u32_e32 vcc, 0, v7
	s_andn2_b64 s[4:5], s[4:5], exec
	s_and_b64 s[10:11], vcc, exec
	s_or_b64 s[4:5], s[4:5], s[10:11]
	s_or_b64 exec, exec, s[6:7]
	v_mov_b32_e32 v8, 0
	s_and_saveexec_b64 s[6:7], s[4:5]
	s_cbranch_execnz .LBB55_328
	s_branch .LBB55_329
.LBB55_539:
	s_mov_b64 s[62:63], -1
                                        ; implicit-def: $vgpr2_vgpr3
	s_mov_b64 s[0:1], 0
.LBB55_540:
	s_and_b64 vcc, exec, s[2:3]
	s_cbranch_vccz .LBB55_545
; %bb.541:
	s_cmp_eq_u32 s6, 44
	s_cbranch_scc0 .LBB55_543
; %bb.542:
	global_load_ubyte v2, v[4:5], off
	s_movk_i32 s2, 0xff
	v_bfrev_b32_e32 v3, 4
	v_mov_b32_e32 v6, 0x7ff80000
	v_bfrev_b32_e32 v7, 28
	s_mov_b64 s[0:1], -1
	s_mov_b64 s[62:63], 0
	s_waitcnt vmcnt(0)
	v_lshlrev_b32_e32 v0, 23, v2
	v_cvt_f64_f32_e32 v[0:1], v0
	v_cmp_ne_u32_e32 vcc, s2, v2
	s_nop 1
	v_cndmask_b32_e32 v0, v3, v0, vcc
	v_cndmask_b32_e32 v1, v6, v1, vcc
	v_cmp_ne_u32_e32 vcc, 0, v2
	s_nop 1
	v_cndmask_b32_e32 v1, v7, v1, vcc
	v_cndmask_b32_e32 v0, 0, v0, vcc
	s_branch .LBB55_544
.LBB55_543:
	s_mov_b64 s[62:63], -1
                                        ; implicit-def: $vgpr0_vgpr1
.LBB55_544:
	v_mov_b64_e32 v[2:3], 0
.LBB55_545:
	s_mov_b64 s[2:3], 0
.LBB55_546:
	s_and_b64 vcc, exec, s[2:3]
	s_cbranch_vccz .LBB55_551
; %bb.547:
	s_cmp_eq_u32 s6, 29
	s_cbranch_scc0 .LBB55_549
; %bb.548:
	global_load_dwordx2 v[0:1], v[4:5], off
	s_mov_b64 s[0:1], -1
	s_mov_b64 s[62:63], 0
	s_waitcnt vmcnt(0)
	v_cvt_f64_u32_e32 v[2:3], v1
	v_cvt_f64_u32_e32 v[0:1], v0
	v_ldexp_f64 v[2:3], v[2:3], 32
	v_add_f64 v[0:1], v[2:3], v[0:1]
	s_branch .LBB55_550
.LBB55_549:
	s_mov_b64 s[62:63], -1
                                        ; implicit-def: $vgpr0_vgpr1
.LBB55_550:
	v_mov_b64_e32 v[2:3], 0
.LBB55_551:
	s_mov_b64 s[2:3], 0
.LBB55_552:
	s_and_b64 vcc, exec, s[2:3]
	s_cbranch_vccz .LBB55_572
; %bb.553:
	s_cmp_lt_i32 s6, 27
	s_cbranch_scc1 .LBB55_556
; %bb.554:
	s_cmp_gt_i32 s6, 27
	s_cbranch_scc0 .LBB55_557
; %bb.555:
	global_load_dword v0, v[4:5], off
	s_mov_b64 s[0:1], 0
	s_waitcnt vmcnt(0)
	v_cvt_f64_u32_e32 v[0:1], v0
	s_branch .LBB55_558
.LBB55_556:
	s_mov_b64 s[0:1], -1
                                        ; implicit-def: $vgpr0_vgpr1
	s_branch .LBB55_561
.LBB55_557:
	s_mov_b64 s[0:1], -1
                                        ; implicit-def: $vgpr0_vgpr1
.LBB55_558:
	s_andn2_b64 vcc, exec, s[0:1]
	s_cbranch_vccnz .LBB55_560
; %bb.559:
	global_load_ushort v0, v[4:5], off
	s_waitcnt vmcnt(0)
	v_cvt_f64_u32_e32 v[0:1], v0
.LBB55_560:
	s_mov_b64 s[0:1], 0
.LBB55_561:
	s_andn2_b64 vcc, exec, s[0:1]
	s_cbranch_vccnz .LBB55_571
; %bb.562:
	global_load_ubyte v2, v[4:5], off
	s_movk_i32 s0, 0x7f
	s_waitcnt vmcnt(0)
	v_cmp_lt_i16_e32 vcc, s0, v2
	s_mov_b64 s[0:1], 0
	s_and_saveexec_b64 s[2:3], vcc
	s_xor_b64 s[2:3], exec, s[2:3]
	s_cbranch_execz .LBB55_566
; %bb.563:
	s_movk_i32 s0, 0x80
	v_cmp_eq_u16_e32 vcc, s0, v2
	s_mov_b64 s[0:1], -1
	s_and_saveexec_b64 s[4:5], vcc
; %bb.564:
	s_xor_b64 s[0:1], exec, -1
; %bb.565:
	s_or_b64 exec, exec, s[4:5]
	s_and_b64 s[0:1], s[0:1], exec
.LBB55_566:
	s_or_saveexec_b64 s[2:3], s[2:3]
	v_bfrev_b32_e32 v0, 4
	v_mov_b32_e32 v1, 0x7ff80000
	s_xor_b64 exec, exec, s[2:3]
; %bb.567:
	v_cmp_ne_u16_e32 vcc, 0, v2
	s_andn2_b64 s[0:1], s[0:1], exec
	s_and_b64 s[4:5], vcc, exec
	v_mov_b64_e32 v[0:1], 0
	s_or_b64 s[0:1], s[0:1], s[4:5]
; %bb.568:
	s_or_b64 exec, exec, s[2:3]
	s_and_saveexec_b64 s[2:3], s[0:1]
	s_cbranch_execz .LBB55_570
; %bb.569:
	v_and_b32_e32 v1, 0xffff, v2
	v_lshlrev_b32_e32 v0, 24, v2
	v_and_b32_e32 v2, 7, v1
	v_ffbh_u32_e32 v6, v2
	v_min_u32_e32 v6, 32, v6
	v_subrev_u32_e32 v7, 28, v6
	v_bfe_u32 v3, v1, 3, 4
	v_lshlrev_b32_e32 v1, v7, v1
	v_sub_u32_e32 v6, 29, v6
	v_and_b32_e32 v1, 7, v1
	v_cmp_eq_u32_e32 vcc, 0, v3
	v_and_b32_e32 v0, 0x80000000, v0
	s_nop 0
	v_cndmask_b32_e32 v3, v3, v6, vcc
	v_cndmask_b32_e32 v1, v2, v1, vcc
	v_mov_b32_e32 v2, 0x3b800000
	v_lshlrev_b32_e32 v1, 20, v1
	v_lshl_add_u32 v2, v3, 23, v2
	v_or3_b32 v0, v0, v2, v1
	v_cvt_f64_f32_e32 v[0:1], v0
.LBB55_570:
	s_or_b64 exec, exec, s[2:3]
.LBB55_571:
	s_mov_b64 s[0:1], -1
	v_mov_b64_e32 v[2:3], 0
.LBB55_572:
	s_mov_b64 s[2:3], 0
.LBB55_573:
	s_and_b64 vcc, exec, s[2:3]
	s_cbranch_vccz .LBB55_607
; %bb.574:
	s_cmp_gt_i32 s6, 22
	s_cbranch_scc0 .LBB55_586
; %bb.575:
	s_cmp_lt_i32 s6, 24
	s_cbranch_scc1 .LBB55_587
; %bb.576:
	s_cmp_gt_i32 s6, 24
	s_cbranch_scc0 .LBB55_588
; %bb.577:
	global_load_ubyte v2, v[4:5], off
	s_movk_i32 s0, 0x7f
	s_waitcnt vmcnt(0)
	v_cmp_lt_i16_e32 vcc, s0, v2
	s_mov_b64 s[0:1], 0
	s_and_saveexec_b64 s[2:3], vcc
	s_xor_b64 s[2:3], exec, s[2:3]
	s_cbranch_execz .LBB55_581
; %bb.578:
	s_movk_i32 s0, 0x80
	v_cmp_eq_u16_e32 vcc, s0, v2
	s_mov_b64 s[0:1], -1
	s_and_saveexec_b64 s[4:5], vcc
; %bb.579:
	s_xor_b64 s[0:1], exec, -1
; %bb.580:
	s_or_b64 exec, exec, s[4:5]
	s_and_b64 s[0:1], s[0:1], exec
.LBB55_581:
	s_or_saveexec_b64 s[2:3], s[2:3]
	v_bfrev_b32_e32 v0, 4
	v_mov_b32_e32 v1, 0x7ff80000
	s_xor_b64 exec, exec, s[2:3]
; %bb.582:
	v_cmp_ne_u16_e32 vcc, 0, v2
	s_andn2_b64 s[0:1], s[0:1], exec
	s_and_b64 s[4:5], vcc, exec
	v_mov_b64_e32 v[0:1], 0
	s_or_b64 s[0:1], s[0:1], s[4:5]
; %bb.583:
	s_or_b64 exec, exec, s[2:3]
	s_and_saveexec_b64 s[2:3], s[0:1]
	s_cbranch_execz .LBB55_585
; %bb.584:
	v_and_b32_e32 v1, 0xffff, v2
	v_lshlrev_b32_e32 v0, 24, v2
	v_and_b32_e32 v2, 3, v1
	v_ffbh_u32_e32 v6, v2
	v_min_u32_e32 v6, 32, v6
	v_subrev_u32_e32 v7, 29, v6
	v_bfe_u32 v3, v1, 2, 5
	v_lshlrev_b32_e32 v1, v7, v1
	v_sub_u32_e32 v6, 30, v6
	v_and_b32_e32 v1, 3, v1
	v_cmp_eq_u32_e32 vcc, 0, v3
	v_and_b32_e32 v0, 0x80000000, v0
	s_nop 0
	v_cndmask_b32_e32 v3, v3, v6, vcc
	v_cndmask_b32_e32 v1, v2, v1, vcc
	v_mov_b32_e32 v2, 0x37800000
	v_lshlrev_b32_e32 v1, 21, v1
	v_lshl_add_u32 v2, v3, 23, v2
	v_or3_b32 v0, v0, v2, v1
	v_cvt_f64_f32_e32 v[0:1], v0
.LBB55_585:
	s_or_b64 exec, exec, s[2:3]
	s_mov_b64 s[0:1], 0
	s_branch .LBB55_589
.LBB55_586:
	s_mov_b64 s[2:3], -1
                                        ; implicit-def: $vgpr0_vgpr1
	s_branch .LBB55_595
.LBB55_587:
	s_mov_b64 s[0:1], -1
                                        ; implicit-def: $vgpr0_vgpr1
	s_branch .LBB55_592
.LBB55_588:
	s_mov_b64 s[0:1], -1
                                        ; implicit-def: $vgpr0_vgpr1
.LBB55_589:
	s_and_b64 vcc, exec, s[0:1]
	s_cbranch_vccz .LBB55_591
; %bb.590:
	global_load_ubyte v0, v[4:5], off
	s_mov_b32 s0, 0x7f800000
	s_waitcnt vmcnt(0)
	v_lshlrev_b32_e32 v0, 24, v0
	v_and_b32_e32 v1, 0x7f000000, v0
	v_ffbh_u32_e32 v2, v1
	v_min_u32_e32 v2, 32, v2
	v_sub_u32_e64 v2, v2, 4 clamp
	v_lshlrev_b32_e32 v6, v2, v1
	v_lshlrev_b32_e32 v2, 23, v2
	v_lshrrev_b32_e32 v6, 4, v6
	v_add_u32_e32 v3, 0x1000000, v1
	v_sub_u32_e32 v2, v6, v2
	v_ashrrev_i32_e32 v3, 8, v3
	v_add_u32_e32 v2, 0x3c000000, v2
	v_and_or_b32 v2, v3, s0, v2
	v_cmp_ne_u32_e32 vcc, 0, v1
	s_brev_b32 s0, 1
	s_nop 0
	v_cndmask_b32_e32 v1, 0, v2, vcc
	v_and_or_b32 v0, v0, s0, v1
	v_cvt_f64_f32_e32 v[0:1], v0
.LBB55_591:
	s_mov_b64 s[0:1], 0
.LBB55_592:
	s_andn2_b64 vcc, exec, s[0:1]
	s_cbranch_vccnz .LBB55_594
; %bb.593:
	global_load_ubyte v0, v[4:5], off
	s_movk_i32 s0, 0x7f00
	s_brev_b32 s1, 16
	s_waitcnt vmcnt(0)
	v_lshlrev_b16_e32 v1, 8, v0
	v_lshlrev_b32_e32 v0, 25, v0
	v_lshrrev_b32_e32 v2, 4, v0
	v_and_or_b32 v3, v1, s0, 0.5
	v_or_b32_e32 v2, 0x70000000, v2
	v_add_f32_e32 v3, -0.5, v3
	v_mul_f32_e32 v2, 0x7800000, v2
	v_cmp_gt_u32_e32 vcc, s1, v0
	v_bfe_i32 v1, v1, 0, 16
	s_brev_b32 s0, 1
	v_cndmask_b32_e32 v0, v2, v3, vcc
	v_and_or_b32 v0, v1, s0, v0
	v_cvt_f64_f32_e32 v[0:1], v0
.LBB55_594:
	s_mov_b64 s[2:3], 0
	s_mov_b64 s[0:1], -1
.LBB55_595:
	s_andn2_b64 vcc, exec, s[2:3]
	s_cbranch_vccnz .LBB55_606
; %bb.596:
	s_cmp_gt_i32 s6, 14
	s_cbranch_scc0 .LBB55_599
; %bb.597:
	s_cmp_eq_u32 s6, 15
	s_cbranch_scc0 .LBB55_600
; %bb.598:
	global_load_ushort v0, v[4:5], off
	s_mov_b64 s[0:1], -1
	s_mov_b64 s[62:63], 0
	s_waitcnt vmcnt(0)
	v_lshlrev_b32_e32 v0, 16, v0
	v_cvt_f64_f32_e32 v[0:1], v0
	s_branch .LBB55_601
.LBB55_599:
	s_mov_b64 s[2:3], -1
                                        ; implicit-def: $vgpr0_vgpr1
	s_branch .LBB55_602
.LBB55_600:
	s_mov_b64 s[62:63], -1
                                        ; implicit-def: $vgpr0_vgpr1
.LBB55_601:
	s_mov_b64 s[2:3], 0
.LBB55_602:
	s_and_b64 vcc, exec, s[2:3]
	s_cbranch_vccz .LBB55_606
; %bb.603:
	s_cmp_eq_u32 s6, 11
	s_cbranch_scc0 .LBB55_605
; %bb.604:
	global_load_ubyte v1, v[4:5], off
	v_mov_b32_e32 v2, 0x3ff00000
	v_mov_b32_e32 v0, 0
	s_mov_b64 s[0:1], -1
	s_mov_b64 s[62:63], 0
	s_waitcnt vmcnt(0)
	v_cmp_ne_u16_e32 vcc, 0, v1
	s_nop 1
	v_cndmask_b32_e32 v1, 0, v2, vcc
	s_branch .LBB55_606
.LBB55_605:
	s_mov_b64 s[62:63], -1
                                        ; implicit-def: $vgpr0_vgpr1
.LBB55_606:
	v_mov_b64_e32 v[2:3], 0
.LBB55_607:
	s_mov_b64 s[2:3], 0
.LBB55_608:
	s_and_b64 vcc, exec, s[2:3]
	s_cbranch_vccz .LBB55_659
; %bb.609:
	s_cmp_lt_i32 s6, 5
	s_cbranch_scc1 .LBB55_614
; %bb.610:
	s_cmp_lt_i32 s6, 8
	s_cbranch_scc1 .LBB55_615
; %bb.611:
	s_cmp_lt_i32 s6, 9
	s_cbranch_scc1 .LBB55_616
; %bb.612:
	s_cmp_gt_i32 s6, 9
	s_cbranch_scc0 .LBB55_617
; %bb.613:
	global_load_dwordx4 v[0:3], v[4:5], off
	s_mov_b64 s[0:1], 0
	s_branch .LBB55_618
.LBB55_614:
	s_mov_b64 s[0:1], -1
                                        ; implicit-def: $vgpr2_vgpr3
	s_branch .LBB55_637
.LBB55_615:
	s_mov_b64 s[0:1], -1
                                        ; implicit-def: $vgpr2_vgpr3
	s_branch .LBB55_624
.LBB55_616:
	s_mov_b64 s[0:1], -1
                                        ; implicit-def: $vgpr2_vgpr3
	s_branch .LBB55_621
.LBB55_617:
	s_mov_b64 s[0:1], -1
                                        ; implicit-def: $vgpr2_vgpr3
.LBB55_618:
	s_andn2_b64 vcc, exec, s[0:1]
	s_cbranch_vccnz .LBB55_620
; %bb.619:
	global_load_dwordx2 v[2:3], v[4:5], off
	s_waitcnt vmcnt(0)
	v_cvt_f64_f32_e32 v[0:1], v2
	v_cvt_f64_f32_e32 v[2:3], v3
.LBB55_620:
	s_mov_b64 s[0:1], 0
.LBB55_621:
	s_andn2_b64 vcc, exec, s[0:1]
	s_cbranch_vccnz .LBB55_623
; %bb.622:
	global_load_dword v0, v[4:5], off
	s_waitcnt vmcnt(0)
	v_cvt_f32_f16_e32 v1, v0
	v_cvt_f32_f16_sdwa v2, v0 dst_sel:DWORD dst_unused:UNUSED_PAD src0_sel:WORD_1
	v_cvt_f64_f32_e32 v[0:1], v1
	v_cvt_f64_f32_e32 v[2:3], v2
.LBB55_623:
	s_mov_b64 s[0:1], 0
.LBB55_624:
	s_andn2_b64 vcc, exec, s[0:1]
	s_cbranch_vccnz .LBB55_636
; %bb.625:
	s_cmp_lt_i32 s6, 6
	s_cbranch_scc1 .LBB55_628
; %bb.626:
	s_cmp_gt_i32 s6, 6
	s_cbranch_scc0 .LBB55_629
; %bb.627:
	global_load_dwordx2 v[0:1], v[4:5], off
	s_mov_b64 s[0:1], 0
	s_branch .LBB55_630
.LBB55_628:
	s_mov_b64 s[0:1], -1
                                        ; implicit-def: $vgpr0_vgpr1
	s_branch .LBB55_633
.LBB55_629:
	s_mov_b64 s[0:1], -1
                                        ; implicit-def: $vgpr0_vgpr1
.LBB55_630:
	s_andn2_b64 vcc, exec, s[0:1]
	s_cbranch_vccnz .LBB55_632
; %bb.631:
	global_load_dword v0, v[4:5], off
	s_waitcnt vmcnt(0)
	v_cvt_f64_f32_e32 v[0:1], v0
.LBB55_632:
	s_mov_b64 s[0:1], 0
.LBB55_633:
	s_andn2_b64 vcc, exec, s[0:1]
	s_cbranch_vccnz .LBB55_635
; %bb.634:
	global_load_ushort v0, v[4:5], off
	s_waitcnt vmcnt(0)
	v_cvt_f32_f16_e32 v0, v0
	v_cvt_f64_f32_e32 v[0:1], v0
.LBB55_635:
	s_waitcnt vmcnt(0)
	v_mov_b64_e32 v[2:3], 0
.LBB55_636:
	s_mov_b64 s[0:1], 0
.LBB55_637:
	s_andn2_b64 vcc, exec, s[0:1]
	s_cbranch_vccnz .LBB55_658
; %bb.638:
	s_cmp_lt_i32 s6, 2
	s_cbranch_scc1 .LBB55_642
; %bb.639:
	s_cmp_lt_i32 s6, 3
	s_cbranch_scc1 .LBB55_643
; %bb.640:
	s_cmp_gt_i32 s6, 3
	s_cbranch_scc0 .LBB55_644
; %bb.641:
	global_load_dwordx2 v[0:1], v[4:5], off
	s_mov_b64 s[0:1], 0
	s_waitcnt vmcnt(0)
	v_cvt_f64_i32_e32 v[2:3], v1
	v_cvt_f64_u32_e32 v[0:1], v0
	v_ldexp_f64 v[2:3], v[2:3], 32
	v_add_f64 v[0:1], v[2:3], v[0:1]
	s_branch .LBB55_645
.LBB55_642:
	s_mov_b64 s[0:1], -1
                                        ; implicit-def: $vgpr0_vgpr1
	s_branch .LBB55_651
.LBB55_643:
	s_mov_b64 s[0:1], -1
                                        ; implicit-def: $vgpr0_vgpr1
	s_branch .LBB55_648
.LBB55_644:
	s_mov_b64 s[0:1], -1
                                        ; implicit-def: $vgpr0_vgpr1
.LBB55_645:
	s_andn2_b64 vcc, exec, s[0:1]
	s_cbranch_vccnz .LBB55_647
; %bb.646:
	global_load_dword v0, v[4:5], off
	s_waitcnt vmcnt(0)
	v_cvt_f64_i32_e32 v[0:1], v0
.LBB55_647:
	s_mov_b64 s[0:1], 0
.LBB55_648:
	s_andn2_b64 vcc, exec, s[0:1]
	s_cbranch_vccnz .LBB55_650
; %bb.649:
	global_load_sshort v0, v[4:5], off
	s_waitcnt vmcnt(0)
	v_cvt_f64_i32_e32 v[0:1], v0
.LBB55_650:
	s_mov_b64 s[0:1], 0
.LBB55_651:
	s_andn2_b64 vcc, exec, s[0:1]
	s_cbranch_vccnz .LBB55_657
; %bb.652:
	s_cmp_gt_i32 s6, 0
	s_cbranch_scc0 .LBB55_654
; %bb.653:
	global_load_sbyte v0, v[4:5], off
	s_mov_b64 s[0:1], 0
	s_waitcnt vmcnt(0)
	v_cvt_f64_i32_e32 v[0:1], v0
	s_branch .LBB55_655
.LBB55_654:
	s_mov_b64 s[0:1], -1
                                        ; implicit-def: $vgpr0_vgpr1
.LBB55_655:
	s_andn2_b64 vcc, exec, s[0:1]
	s_cbranch_vccnz .LBB55_657
; %bb.656:
	global_load_ubyte v0, v[4:5], off
	s_waitcnt vmcnt(0)
	v_cvt_f64_u32_e32 v[0:1], v0
.LBB55_657:
	s_waitcnt vmcnt(0)
	v_mov_b64_e32 v[2:3], 0
.LBB55_658:
	s_mov_b64 s[0:1], -1
.LBB55_659:
	s_andn2_b64 vcc, exec, s[0:1]
	s_cbranch_vccnz .LBB55_667
; %bb.660:
	s_getpc_b64 s[0:1]
	s_add_u32 s0, s0, _ZZZZN2at6native15exp_kernel_cudaERNS_18TensorIteratorBaseEENKUlvE_clEvENKUlvE_clEvENKUlN3c107complexIdEEE_clES7_@rel32@lo+4
	s_addc_u32 s1, s1, _ZZZZN2at6native15exp_kernel_cudaERNS_18TensorIteratorBaseEENKUlvE_clEvENKUlvE_clEvENKUlN3c107complexIdEEE_clES7_@rel32@hi+12
	s_swappc_b64 s[30:31], s[0:1]
	v_mul_lo_u32 v4, v46, s34
	v_ashrrev_i32_e32 v5, 31, v4
	s_and_b32 s8, s33, 0xff
	s_cmp_lt_i32 s8, 11
	v_lshl_add_u64 v[4:5], s[36:37], 0, v[4:5]
	s_cbranch_scc1 .LBB55_668
; %bb.661:
	s_and_b32 s9, 0xffff, s8
	s_cmp_gt_i32 s9, 25
	s_cbranch_scc0 .LBB55_669
; %bb.662:
	s_cmp_gt_i32 s9, 28
	s_cbranch_scc0 .LBB55_670
; %bb.663:
	;; [unrolled: 3-line block ×4, first 2 shown]
	s_mov_b64 s[4:5], 0
	s_mov_b64 s[2:3], -1
	s_cmp_eq_u32 s9, 46
	s_mov_b64 s[0:1], 0
	s_cbranch_scc0 .LBB55_673
; %bb.666:
	v_cvt_f32_f64_e32 v7, v[2:3]
	s_movk_i32 s0, 0x7fff
	v_bfe_u32 v9, v7, 16, 1
	v_cvt_f32_f64_e32 v6, v[0:1]
	v_add3_u32 v9, v7, v9, s0
	v_bfe_u32 v8, v6, 16, 1
	v_and_b32_e32 v9, 0xffff0000, v9
	v_mov_b32_e32 v10, 0x7fc00000
	v_cmp_o_f32_e32 vcc, v7, v7
	v_add3_u32 v8, v6, v8, s0
	s_mov_b64 s[0:1], -1
	v_cndmask_b32_e32 v7, v10, v9, vcc
	v_cmp_o_f32_e32 vcc, v6, v6
	v_mov_b32_e32 v6, 0x7fc0
	s_mov_b64 s[2:3], 0
	v_cndmask_b32_sdwa v6, v6, v8, vcc dst_sel:DWORD dst_unused:UNUSED_PAD src0_sel:DWORD src1_sel:WORD_1
	v_or_b32_e32 v6, v7, v6
	global_store_dword v[4:5], v6, off
	s_branch .LBB55_673
.LBB55_667:
	s_mov_b64 s[4:5], 0
                                        ; implicit-def: $vgpr46
	s_mov_b64 s[2:3], s[56:57]
	s_branch .LBB55_784
.LBB55_668:
	s_mov_b64 s[4:5], -1
	s_mov_b64 s[0:1], 0
	s_mov_b64 s[2:3], s[56:57]
	s_branch .LBB55_742
.LBB55_669:
	s_mov_b64 s[4:5], -1
	s_mov_b64 s[0:1], 0
	s_mov_b64 s[2:3], s[56:57]
	s_branch .LBB55_700
.LBB55_670:
	s_mov_b64 s[4:5], -1
	s_mov_b64 s[0:1], 0
	s_mov_b64 s[2:3], s[56:57]
	s_branch .LBB55_683
.LBB55_671:
	s_mov_b64 s[4:5], -1
	s_mov_b64 s[0:1], 0
	s_mov_b64 s[2:3], s[56:57]
	s_branch .LBB55_679
.LBB55_672:
	s_mov_b64 s[4:5], -1
	s_mov_b64 s[0:1], 0
	s_mov_b64 s[2:3], s[56:57]
.LBB55_673:
	s_and_b64 vcc, exec, s[4:5]
	s_cbranch_vccz .LBB55_678
; %bb.674:
	s_cmp_eq_u32 s9, 44
	s_mov_b64 s[2:3], -1
	s_cbranch_scc0 .LBB55_678
; %bb.675:
	v_cvt_f32_f64_e32 v6, v[0:1]
	v_bfe_u32 v7, v6, 23, 8
	s_movk_i32 s0, 0xff
	v_cmp_ne_u32_e32 vcc, s0, v7
	v_mov_b32_e32 v8, 0xff
	s_and_saveexec_b64 s[2:3], vcc
; %bb.676:
	s_mov_b32 s0, 0x3fffff
	v_lshrrev_b32_e32 v8, 23, v6
	v_and_b32_e32 v9, 0x400000, v6
	v_and_or_b32 v6, v6, s0, v7
	v_cmp_ne_u32_e32 vcc, 0, v9
	v_cmp_ne_u32_e64 s[0:1], 0, v6
	s_and_b64 s[0:1], vcc, s[0:1]
	s_nop 0
	v_cndmask_b32_e64 v6, 0, 1, s[0:1]
	v_add_u32_e32 v8, v8, v6
; %bb.677:
	s_or_b64 exec, exec, s[2:3]
	s_mov_b64 s[0:1], -1
	s_mov_b64 s[2:3], 0
	global_store_byte v[4:5], v8, off
.LBB55_678:
	s_mov_b64 s[4:5], 0
.LBB55_679:
	s_and_b64 vcc, exec, s[4:5]
	s_cbranch_vccz .LBB55_682
; %bb.680:
	s_cmp_eq_u32 s9, 29
	s_mov_b64 s[2:3], -1
	s_cbranch_scc0 .LBB55_682
; %bb.681:
	v_trunc_f64_e32 v[6:7], v[0:1]
	s_movk_i32 s0, 0xffe0
	v_ldexp_f64 v[8:9], v[6:7], s0
	v_floor_f64_e32 v[8:9], v[8:9]
	v_fmac_f64_e32 v[6:7], 0xc1f00000, v[8:9]
	v_cvt_u32_f64_e32 v11, v[8:9]
	v_cvt_u32_f64_e32 v10, v[6:7]
	global_store_dwordx2 v[4:5], v[10:11], off
	s_mov_b64 s[0:1], -1
	s_mov_b64 s[2:3], 0
.LBB55_682:
	s_mov_b64 s[4:5], 0
.LBB55_683:
	s_and_b64 vcc, exec, s[4:5]
	s_cbranch_vccz .LBB55_699
; %bb.684:
	s_cmp_lt_i32 s9, 27
	s_mov_b64 s[0:1], -1
	s_cbranch_scc1 .LBB55_690
; %bb.685:
	s_cmp_gt_i32 s9, 27
	v_cvt_u32_f64_e32 v6, v[0:1]
	s_cbranch_scc0 .LBB55_687
; %bb.686:
	s_mov_b64 s[0:1], 0
	global_store_dword v[4:5], v6, off
.LBB55_687:
	s_andn2_b64 vcc, exec, s[0:1]
	s_cbranch_vccnz .LBB55_689
; %bb.688:
	global_store_short v[4:5], v6, off
.LBB55_689:
	s_mov_b64 s[0:1], 0
.LBB55_690:
	s_andn2_b64 vcc, exec, s[0:1]
	s_cbranch_vccnz .LBB55_698
; %bb.691:
	v_cvt_f32_f64_e32 v6, v[0:1]
	v_and_b32_e32 v7, 0x7fffffff, v6
	s_mov_b32 s0, 0x43800000
	v_cmp_gt_u32_e32 vcc, s0, v7
	v_mov_b32_e32 v8, 0x80
	s_and_saveexec_b64 s[0:1], vcc
	s_cbranch_execz .LBB55_697
; %bb.692:
	s_mov_b32 s4, 0x3bffffff
	v_cmp_lt_u32_e32 vcc, s4, v7
	s_mov_b64 s[4:5], 0
                                        ; implicit-def: $vgpr7
	s_and_saveexec_b64 s[6:7], vcc
	s_xor_b64 s[6:7], exec, s[6:7]
	s_cbranch_execz .LBB55_798
; %bb.693:
	v_bfe_u32 v7, v6, 20, 1
	s_mov_b32 s10, 0x487ffff
	v_add3_u32 v7, v6, v7, s10
	s_mov_b64 s[4:5], exec
	v_lshrrev_b32_e32 v7, 20, v7
	s_andn2_saveexec_b64 s[6:7], s[6:7]
	s_cbranch_execnz .LBB55_799
.LBB55_694:
	s_or_b64 exec, exec, s[6:7]
	v_mov_b32_e32 v8, 0
	s_and_saveexec_b64 s[6:7], s[4:5]
.LBB55_695:
	v_lshrrev_b32_e32 v6, 24, v6
	s_movk_i32 s4, 0x80
	v_and_or_b32 v8, v6, s4, v7
.LBB55_696:
	s_or_b64 exec, exec, s[6:7]
.LBB55_697:
	s_or_b64 exec, exec, s[0:1]
	global_store_byte v[4:5], v8, off
.LBB55_698:
	s_mov_b64 s[0:1], -1
.LBB55_699:
	s_mov_b64 s[4:5], 0
.LBB55_700:
	s_and_b64 vcc, exec, s[4:5]
	s_cbranch_vccz .LBB55_741
; %bb.701:
	s_cmp_gt_i32 s9, 22
	s_mov_b64 s[4:5], -1
	s_cbranch_scc0 .LBB55_733
; %bb.702:
	s_cmp_lt_i32 s9, 24
	s_mov_b64 s[0:1], -1
	s_cbranch_scc1 .LBB55_722
; %bb.703:
	s_cmp_gt_i32 s9, 24
	s_cbranch_scc0 .LBB55_711
; %bb.704:
	v_cvt_f32_f64_e32 v6, v[0:1]
	v_and_b32_e32 v7, 0x7fffffff, v6
	s_mov_b32 s0, 0x47800000
	v_cmp_gt_u32_e32 vcc, s0, v7
	v_mov_b32_e32 v8, 0x80
	s_and_saveexec_b64 s[0:1], vcc
	s_cbranch_execz .LBB55_710
; %bb.705:
	s_mov_b32 s4, 0x37ffffff
	v_cmp_lt_u32_e32 vcc, s4, v7
	s_mov_b64 s[4:5], 0
                                        ; implicit-def: $vgpr7
	s_and_saveexec_b64 s[6:7], vcc
	s_xor_b64 s[6:7], exec, s[6:7]
	s_cbranch_execz .LBB55_801
; %bb.706:
	v_bfe_u32 v7, v6, 21, 1
	s_mov_b32 s10, 0x88fffff
	v_add3_u32 v7, v6, v7, s10
	s_mov_b64 s[4:5], exec
	v_lshrrev_b32_e32 v7, 21, v7
	s_andn2_saveexec_b64 s[6:7], s[6:7]
	s_cbranch_execnz .LBB55_802
.LBB55_707:
	s_or_b64 exec, exec, s[6:7]
	v_mov_b32_e32 v8, 0
	s_and_saveexec_b64 s[6:7], s[4:5]
.LBB55_708:
	v_lshrrev_b32_e32 v6, 24, v6
	s_movk_i32 s4, 0x80
	v_and_or_b32 v8, v6, s4, v7
.LBB55_709:
	s_or_b64 exec, exec, s[6:7]
.LBB55_710:
	s_or_b64 exec, exec, s[0:1]
	s_mov_b64 s[0:1], 0
	global_store_byte v[4:5], v8, off
.LBB55_711:
	s_and_b64 vcc, exec, s[0:1]
	s_cbranch_vccz .LBB55_721
; %bb.712:
	v_cvt_f32_f64_e32 v6, v[0:1]
	v_and_b32_e32 v8, 0x7fffffff, v6
	s_mov_b32 s0, 0x43f00000
	v_cmp_gt_u32_e32 vcc, s0, v8
                                        ; implicit-def: $vgpr7
	s_and_saveexec_b64 s[0:1], vcc
	s_xor_b64 s[0:1], exec, s[0:1]
	s_cbranch_execz .LBB55_718
; %bb.713:
	s_mov_b32 s4, 0x3c7fffff
	v_cmp_lt_u32_e32 vcc, s4, v8
                                        ; implicit-def: $vgpr7
	s_and_saveexec_b64 s[4:5], vcc
	s_xor_b64 s[4:5], exec, s[4:5]
; %bb.714:
	v_bfe_u32 v7, v6, 20, 1
	s_mov_b32 s6, 0x407ffff
	v_add3_u32 v7, v6, v7, s6
	v_lshrrev_b32_e32 v8, 20, v7
	v_and_b32_e32 v7, 0xff00000, v7
	s_mov_b32 s6, 0x7f00000
	v_mov_b32_e32 v9, 0x7e
	v_cmp_ne_u32_e32 vcc, s6, v7
	s_nop 1
	v_cndmask_b32_e32 v7, v9, v8, vcc
; %bb.715:
	s_andn2_saveexec_b64 s[4:5], s[4:5]
; %bb.716:
	s_mov_b32 s6, 0x46800000
	v_add_f32_e64 v7, |v6|, s6
; %bb.717:
	s_or_b64 exec, exec, s[4:5]
                                        ; implicit-def: $vgpr8
.LBB55_718:
	s_andn2_saveexec_b64 s[0:1], s[0:1]
; %bb.719:
	s_mov_b32 s4, 0x7f800000
	v_mov_b32_e32 v7, 0x7e
	v_mov_b32_e32 v9, 0x7f
	v_cmp_lt_u32_e32 vcc, s4, v8
	s_nop 1
	v_cndmask_b32_e32 v7, v7, v9, vcc
; %bb.720:
	s_or_b64 exec, exec, s[0:1]
	v_lshrrev_b32_e32 v6, 24, v6
	s_movk_i32 s0, 0x80
	v_and_or_b32 v6, v6, s0, v7
	global_store_byte v[4:5], v6, off
.LBB55_721:
	s_mov_b64 s[0:1], 0
.LBB55_722:
	s_andn2_b64 vcc, exec, s[0:1]
	s_cbranch_vccnz .LBB55_732
; %bb.723:
	v_cvt_f32_f64_e32 v6, v[0:1]
	v_and_b32_e32 v8, 0x7fffffff, v6
	s_mov_b32 s0, 0x47800000
	v_cmp_gt_u32_e32 vcc, s0, v8
                                        ; implicit-def: $vgpr7
	s_and_saveexec_b64 s[0:1], vcc
	s_xor_b64 s[0:1], exec, s[0:1]
	s_cbranch_execz .LBB55_729
; %bb.724:
	s_mov_b32 s4, 0x387fffff
	v_cmp_lt_u32_e32 vcc, s4, v8
                                        ; implicit-def: $vgpr7
	s_and_saveexec_b64 s[4:5], vcc
	s_xor_b64 s[4:5], exec, s[4:5]
; %bb.725:
	v_bfe_u32 v7, v6, 21, 1
	s_mov_b32 s6, 0x80fffff
	v_add3_u32 v7, v6, v7, s6
	v_lshrrev_b32_e32 v7, 21, v7
; %bb.726:
	s_andn2_saveexec_b64 s[4:5], s[4:5]
; %bb.727:
	s_mov_b32 s6, 0x43000000
	v_add_f32_e64 v7, |v6|, s6
; %bb.728:
	s_or_b64 exec, exec, s[4:5]
                                        ; implicit-def: $vgpr8
.LBB55_729:
	s_andn2_saveexec_b64 s[0:1], s[0:1]
; %bb.730:
	s_mov_b32 s4, 0x7f800000
	v_mov_b32_e32 v7, 0x7c
	v_mov_b32_e32 v9, 0x7f
	v_cmp_lt_u32_e32 vcc, s4, v8
	s_nop 1
	v_cndmask_b32_e32 v7, v7, v9, vcc
; %bb.731:
	s_or_b64 exec, exec, s[0:1]
	v_lshrrev_b32_e32 v6, 24, v6
	s_movk_i32 s0, 0x80
	v_and_or_b32 v6, v6, s0, v7
	global_store_byte v[4:5], v6, off
.LBB55_732:
	s_mov_b64 s[4:5], 0
	s_mov_b64 s[0:1], -1
.LBB55_733:
	s_andn2_b64 vcc, exec, s[4:5]
	s_cbranch_vccnz .LBB55_741
; %bb.734:
	s_cmp_gt_i32 s9, 14
	s_mov_b64 s[4:5], -1
	s_cbranch_scc0 .LBB55_738
; %bb.735:
	s_cmp_eq_u32 s9, 15
	s_mov_b64 s[2:3], -1
	s_cbranch_scc0 .LBB55_737
; %bb.736:
	v_cvt_f32_f64_e32 v6, v[0:1]
	v_bfe_u32 v7, v6, 16, 1
	s_movk_i32 s0, 0x7fff
	v_add3_u32 v7, v6, v7, s0
	v_cmp_o_f32_e32 vcc, v6, v6
	v_mov_b32_e32 v6, 0x7fc0
	s_mov_b64 s[0:1], -1
	v_cndmask_b32_sdwa v6, v6, v7, vcc dst_sel:DWORD dst_unused:UNUSED_PAD src0_sel:DWORD src1_sel:WORD_1
	global_store_short v[4:5], v6, off
	s_mov_b64 s[2:3], 0
.LBB55_737:
	s_mov_b64 s[4:5], 0
.LBB55_738:
	s_and_b64 vcc, exec, s[4:5]
	s_cbranch_vccz .LBB55_741
; %bb.739:
	s_cmp_eq_u32 s9, 11
	s_mov_b64 s[2:3], -1
	s_cbranch_scc0 .LBB55_741
; %bb.740:
	v_cmp_neq_f64_e32 vcc, 0, v[0:1]
	v_cmp_neq_f64_e64 s[0:1], 0, v[2:3]
	s_or_b64 s[0:1], vcc, s[0:1]
	s_mov_b64 s[2:3], 0
	v_cndmask_b32_e64 v6, 0, 1, s[0:1]
	s_mov_b64 s[0:1], -1
	global_store_byte v[4:5], v6, off
.LBB55_741:
	s_mov_b64 s[4:5], 0
.LBB55_742:
	s_and_b64 vcc, exec, s[4:5]
	s_cbranch_vccz .LBB55_781
; %bb.743:
	s_and_b32 s4, 0xffff, s8
	s_cmp_lt_i32 s4, 5
	s_mov_b64 s[0:1], -1
	s_cbranch_scc1 .LBB55_764
; %bb.744:
	s_cmp_lt_i32 s4, 8
	s_cbranch_scc1 .LBB55_754
; %bb.745:
	s_cmp_lt_i32 s4, 9
	s_cbranch_scc1 .LBB55_751
; %bb.746:
	s_cmp_gt_i32 s4, 9
	s_cbranch_scc0 .LBB55_748
; %bb.747:
	s_mov_b64 s[0:1], 0
	global_store_dwordx4 v[4:5], v[0:3], off
.LBB55_748:
	s_andn2_b64 vcc, exec, s[0:1]
	s_cbranch_vccnz .LBB55_750
; %bb.749:
	v_cvt_f32_f64_e32 v7, v[2:3]
	v_cvt_f32_f64_e32 v6, v[0:1]
	global_store_dwordx2 v[4:5], v[6:7], off
.LBB55_750:
	s_mov_b64 s[0:1], 0
.LBB55_751:
	s_andn2_b64 vcc, exec, s[0:1]
	s_cbranch_vccnz .LBB55_753
; %bb.752:
	s_movk_i32 s0, 0x1ff
	v_and_or_b32 v6, v1, s0, v0
	v_cmp_ne_u32_e32 vcc, 0, v6
	v_lshrrev_b32_e32 v7, 8, v1
	s_movk_i32 s1, 0xffe
	v_cndmask_b32_e64 v6, 0, 1, vcc
	v_bfe_u32 v8, v1, 20, 11
	v_and_or_b32 v6, v7, s1, v6
	v_sub_u32_e32 v9, 0x3f1, v8
	v_or_b32_e32 v7, 0x1000, v6
	v_med3_i32 v9, v9, 0, 13
	v_lshrrev_b32_e32 v10, v9, v7
	v_lshlrev_b32_e32 v9, v9, v10
	v_cmp_ne_u32_e32 vcc, v9, v7
	v_add_u32_e32 v8, 0xfffffc10, v8
	v_lshl_or_b32 v9, v8, 12, v6
	v_cndmask_b32_e64 v7, 0, 1, vcc
	v_or_b32_e32 v7, v10, v7
	v_cmp_gt_i32_e32 vcc, 1, v8
	s_movk_i32 s5, 0x40f
	v_and_or_b32 v2, v3, s0, v2
	v_cndmask_b32_e32 v7, v9, v7, vcc
	v_and_b32_e32 v9, 7, v7
	v_cmp_lt_i32_e32 vcc, 5, v9
	v_lshrrev_b32_e32 v7, 2, v7
	v_bfe_u32 v11, v3, 20, 11
	v_cndmask_b32_e64 v10, 0, 1, vcc
	v_cmp_eq_u32_e32 vcc, 3, v9
	v_sub_u32_e32 v12, 0x3f1, v11
	v_med3_i32 v12, v12, 0, 13
	v_cndmask_b32_e64 v9, 0, 1, vcc
	v_or_b32_e32 v9, v9, v10
	v_add_u32_e32 v7, v7, v9
	v_mov_b32_e32 v9, 0x7c00
	v_cmp_gt_i32_e32 vcc, 31, v8
	v_mov_b32_e32 v10, 0x7e00
	v_add_u32_e32 v11, 0xfffffc10, v11
	v_cndmask_b32_e32 v7, v9, v7, vcc
	v_cmp_ne_u32_e32 vcc, 0, v6
	s_mov_b32 s6, 0x8000
	s_mov_b32 s0, 0xffff
	v_cndmask_b32_e32 v6, v9, v10, vcc
	v_cmp_eq_u32_e32 vcc, s5, v8
	v_lshrrev_b32_e32 v8, 8, v3
	v_lshrrev_b32_e32 v3, 16, v3
	v_cndmask_b32_e32 v6, v7, v6, vcc
	v_cmp_ne_u32_e32 vcc, 0, v2
	v_and_b32_sdwa v7, v1, s6 dst_sel:DWORD dst_unused:UNUSED_PAD src0_sel:WORD_1 src1_sel:DWORD
	s_nop 0
	v_cndmask_b32_e64 v2, 0, 1, vcc
	v_and_or_b32 v2, v8, s1, v2
	v_or_b32_e32 v8, 0x1000, v2
	v_lshrrev_b32_e32 v13, v12, v8
	v_lshlrev_b32_e32 v12, v12, v13
	v_cmp_ne_u32_e32 vcc, v12, v8
	v_lshl_or_b32 v12, v11, 12, v2
	s_nop 0
	v_cndmask_b32_e64 v8, 0, 1, vcc
	v_or_b32_e32 v8, v13, v8
	v_cmp_gt_i32_e32 vcc, 1, v11
	s_nop 1
	v_cndmask_b32_e32 v8, v12, v8, vcc
	v_and_b32_e32 v12, 7, v8
	v_cmp_lt_i32_e32 vcc, 5, v12
	v_lshrrev_b32_e32 v8, 2, v8
	s_nop 0
	v_cndmask_b32_e64 v13, 0, 1, vcc
	v_cmp_eq_u32_e32 vcc, 3, v12
	s_nop 1
	v_cndmask_b32_e64 v12, 0, 1, vcc
	v_or_b32_e32 v12, v12, v13
	v_add_u32_e32 v8, v8, v12
	v_cmp_gt_i32_e32 vcc, 31, v11
	s_nop 1
	v_cndmask_b32_e32 v8, v9, v8, vcc
	v_cmp_ne_u32_e32 vcc, 0, v2
	s_nop 1
	v_cndmask_b32_e32 v2, v9, v10, vcc
	v_cmp_eq_u32_e32 vcc, s5, v11
	s_nop 1
	v_cndmask_b32_e32 v2, v8, v2, vcc
	v_and_or_b32 v2, v3, s6, v2
	v_bitop3_b32 v3, v7, s0, v6 bitop3:0xc8
	v_lshl_or_b32 v2, v2, 16, v3
	global_store_dword v[4:5], v2, off
.LBB55_753:
	s_mov_b64 s[0:1], 0
.LBB55_754:
	s_andn2_b64 vcc, exec, s[0:1]
	s_cbranch_vccnz .LBB55_763
; %bb.755:
	s_cmp_lt_i32 s4, 6
	s_mov_b64 s[0:1], -1
	s_cbranch_scc1 .LBB55_761
; %bb.756:
	s_cmp_gt_i32 s4, 6
	s_cbranch_scc0 .LBB55_758
; %bb.757:
	s_mov_b64 s[0:1], 0
	global_store_dwordx2 v[4:5], v[0:1], off
.LBB55_758:
	s_andn2_b64 vcc, exec, s[0:1]
	s_cbranch_vccnz .LBB55_760
; %bb.759:
	v_cvt_f32_f64_e32 v2, v[0:1]
	global_store_dword v[4:5], v2, off
.LBB55_760:
	s_mov_b64 s[0:1], 0
.LBB55_761:
	s_andn2_b64 vcc, exec, s[0:1]
	s_cbranch_vccnz .LBB55_763
; %bb.762:
	s_movk_i32 s0, 0x1ff
	v_and_or_b32 v2, v1, s0, v0
	v_cmp_ne_u32_e32 vcc, 0, v2
	v_lshrrev_b32_e32 v3, 8, v1
	s_movk_i32 s0, 0xffe
	v_cndmask_b32_e64 v2, 0, 1, vcc
	v_bfe_u32 v6, v1, 20, 11
	v_and_or_b32 v2, v3, s0, v2
	v_sub_u32_e32 v7, 0x3f1, v6
	v_or_b32_e32 v3, 0x1000, v2
	v_med3_i32 v7, v7, 0, 13
	v_lshrrev_b32_e32 v8, v7, v3
	v_lshlrev_b32_e32 v7, v7, v8
	v_cmp_ne_u32_e32 vcc, v7, v3
	v_add_u32_e32 v6, 0xfffffc10, v6
	v_lshl_or_b32 v7, v6, 12, v2
	v_cndmask_b32_e64 v3, 0, 1, vcc
	v_or_b32_e32 v3, v8, v3
	v_cmp_gt_i32_e32 vcc, 1, v6
	s_movk_i32 s0, 0x40f
	s_nop 0
	v_cndmask_b32_e32 v3, v7, v3, vcc
	v_and_b32_e32 v7, 7, v3
	v_cmp_lt_i32_e32 vcc, 5, v7
	v_lshrrev_b32_e32 v3, 2, v3
	s_nop 0
	v_cndmask_b32_e64 v8, 0, 1, vcc
	v_cmp_eq_u32_e32 vcc, 3, v7
	s_nop 1
	v_cndmask_b32_e64 v7, 0, 1, vcc
	v_or_b32_e32 v7, v7, v8
	v_add_u32_e32 v3, v3, v7
	v_mov_b32_e32 v7, 0x7c00
	v_cmp_gt_i32_e32 vcc, 31, v6
	v_mov_b32_e32 v8, 0x7e00
	s_nop 0
	v_cndmask_b32_e32 v3, v7, v3, vcc
	v_cmp_ne_u32_e32 vcc, 0, v2
	s_nop 1
	v_cndmask_b32_e32 v2, v7, v8, vcc
	v_cmp_eq_u32_e32 vcc, s0, v6
	s_mov_b32 s0, 0x8000
	s_nop 0
	v_cndmask_b32_e32 v2, v3, v2, vcc
	v_lshrrev_b32_e32 v3, 16, v1
	v_and_or_b32 v2, v3, s0, v2
	global_store_short v[4:5], v2, off
.LBB55_763:
	s_mov_b64 s[0:1], 0
.LBB55_764:
	s_andn2_b64 vcc, exec, s[0:1]
	s_cbranch_vccnz .LBB55_780
; %bb.765:
	s_cmp_lt_i32 s4, 2
	s_mov_b64 s[0:1], -1
	s_cbranch_scc1 .LBB55_775
; %bb.766:
	s_cmp_lt_i32 s4, 3
	s_cbranch_scc1 .LBB55_772
; %bb.767:
	s_cmp_gt_i32 s4, 3
	s_cbranch_scc0 .LBB55_769
; %bb.768:
	v_trunc_f64_e32 v[2:3], v[0:1]
	s_movk_i32 s0, 0xffe0
	v_ldexp_f64 v[6:7], v[2:3], s0
	v_floor_f64_e32 v[6:7], v[6:7]
	v_fmac_f64_e32 v[2:3], 0xc1f00000, v[6:7]
	v_cvt_i32_f64_e32 v9, v[6:7]
	v_cvt_u32_f64_e32 v8, v[2:3]
	s_mov_b64 s[0:1], 0
	global_store_dwordx2 v[4:5], v[8:9], off
.LBB55_769:
	s_andn2_b64 vcc, exec, s[0:1]
	s_cbranch_vccnz .LBB55_771
; %bb.770:
	v_cvt_i32_f64_e32 v2, v[0:1]
	global_store_dword v[4:5], v2, off
.LBB55_771:
	s_mov_b64 s[0:1], 0
.LBB55_772:
	s_andn2_b64 vcc, exec, s[0:1]
	s_cbranch_vccnz .LBB55_774
; %bb.773:
	v_cvt_i32_f64_e32 v2, v[0:1]
	global_store_short v[4:5], v2, off
.LBB55_774:
	s_mov_b64 s[0:1], 0
.LBB55_775:
	s_andn2_b64 vcc, exec, s[0:1]
	s_cbranch_vccnz .LBB55_780
; %bb.776:
	s_cmp_gt_i32 s4, 0
	s_mov_b64 s[0:1], -1
	s_cbranch_scc0 .LBB55_778
; %bb.777:
	v_cvt_i32_f64_e32 v2, v[0:1]
	s_mov_b64 s[0:1], 0
	global_store_byte v[4:5], v2, off
.LBB55_778:
	s_andn2_b64 vcc, exec, s[0:1]
	s_cbranch_vccnz .LBB55_780
; %bb.779:
	v_trunc_f64_e32 v[0:1], v[0:1]
	s_movk_i32 s0, 0xffe0
	v_ldexp_f64 v[2:3], v[0:1], s0
	v_floor_f64_e32 v[2:3], v[2:3]
	v_fmac_f64_e32 v[0:1], 0xc1f00000, v[2:3]
	v_cvt_u32_f64_e32 v0, v[0:1]
	global_store_byte v[4:5], v0, off
.LBB55_780:
	s_mov_b64 s[0:1], -1
.LBB55_781:
	s_andn2_b64 vcc, exec, s[0:1]
	s_cbranch_vccnz .LBB55_783
; %bb.782:
	v_add_u32_e32 v46, 0x80, v46
	s_mov_b64 s[4:5], -1
	s_branch .LBB55_784
.LBB55_783:
	s_mov_b64 s[4:5], 0
                                        ; implicit-def: $vgpr46
.LBB55_784:
	s_andn2_b64 s[0:1], s[56:57], exec
	s_and_b64 s[2:3], s[2:3], exec
	s_or_b64 s[2:3], s[0:1], s[2:3]
	s_andn2_b64 s[0:1], s[54:55], exec
	s_and_b64 s[6:7], s[62:63], exec
	s_or_b64 s[0:1], s[0:1], s[6:7]
	s_orn2_b64 s[10:11], s[4:5], exec
.LBB55_785:
	s_or_b64 exec, exec, s[60:61]
	s_mov_b64 s[8:9], 0
	s_mov_b64 s[12:13], 0
	;; [unrolled: 1-line block ×3, first 2 shown]
                                        ; implicit-def: $vgpr0_vgpr1
                                        ; implicit-def: $vgpr6_vgpr7
	s_and_saveexec_b64 s[4:5], s[10:11]
	s_cbranch_execz .LBB55_873
; %bb.786:
	v_cmp_gt_i32_e32 vcc, s64, v46
	s_mov_b64 s[10:11], 0
	s_mov_b64 s[14:15], s[0:1]
	;; [unrolled: 1-line block ×3, first 2 shown]
                                        ; implicit-def: $vgpr0_vgpr1
                                        ; implicit-def: $vgpr6_vgpr7
	s_and_saveexec_b64 s[6:7], vcc
	s_cbranch_execz .LBB55_872
; %bb.787:
	s_waitcnt vmcnt(0)
	v_mul_lo_u32 v0, v46, s35
	v_ashrrev_i32_e32 v1, 31, v0
	s_and_b32 s18, 0xffff, s43
	s_cmp_lt_i32 s18, 11
	v_lshl_add_u64 v[0:1], s[38:39], 0, v[0:1]
	s_cbranch_scc1 .LBB55_794
; %bb.788:
	s_cmp_gt_i32 s18, 25
	s_cbranch_scc0 .LBB55_795
; %bb.789:
	s_cmp_gt_i32 s18, 28
	s_cbranch_scc0 .LBB55_796
	;; [unrolled: 3-line block ×4, first 2 shown]
; %bb.792:
	s_cmp_eq_u32 s18, 46
	s_mov_b64 s[14:15], 0
	s_cbranch_scc0 .LBB55_803
; %bb.793:
	global_load_dword v2, v[0:1], off
	s_mov_b64 s[12:13], -1
	s_waitcnt vmcnt(0)
	v_and_b32_e32 v3, 0xffff0000, v2
	v_lshlrev_b32_e32 v2, 16, v2
	v_cvt_f64_f32_e32 v[4:5], v2
	v_cvt_f64_f32_e32 v[6:7], v3
	s_branch .LBB55_805
.LBB55_794:
	s_mov_b64 s[14:15], -1
                                        ; implicit-def: $vgpr6_vgpr7
	s_mov_b64 s[8:9], s[0:1]
	s_branch .LBB55_871
.LBB55_795:
	s_mov_b64 s[14:15], -1
	s_mov_b64 s[8:9], s[0:1]
                                        ; implicit-def: $vgpr6_vgpr7
	s_branch .LBB55_838
.LBB55_796:
	s_mov_b64 s[14:15], -1
	s_mov_b64 s[8:9], s[0:1]
                                        ; implicit-def: $vgpr6_vgpr7
	s_branch .LBB55_817
.LBB55_797:
	s_mov_b64 s[14:15], -1
	s_mov_b64 s[8:9], s[0:1]
                                        ; implicit-def: $vgpr6_vgpr7
	s_branch .LBB55_811
.LBB55_798:
	s_andn2_saveexec_b64 s[6:7], s[6:7]
	s_cbranch_execz .LBB55_694
.LBB55_799:
	s_mov_b32 s10, 0x46000000
	v_add_f32_e64 v7, |v6|, s10
	v_and_b32_e32 v7, 0xff, v7
	v_cmp_ne_u32_e32 vcc, 0, v7
	s_andn2_b64 s[4:5], s[4:5], exec
	s_and_b64 s[10:11], vcc, exec
	s_or_b64 s[4:5], s[4:5], s[10:11]
	s_or_b64 exec, exec, s[6:7]
	v_mov_b32_e32 v8, 0
	s_and_saveexec_b64 s[6:7], s[4:5]
	s_cbranch_execnz .LBB55_695
	s_branch .LBB55_696
.LBB55_800:
	s_mov_b64 s[14:15], -1
	s_mov_b64 s[8:9], s[0:1]
	s_branch .LBB55_804
.LBB55_801:
	s_andn2_saveexec_b64 s[6:7], s[6:7]
	s_cbranch_execz .LBB55_707
.LBB55_802:
	s_mov_b32 s10, 0x42800000
	v_add_f32_e64 v7, |v6|, s10
	v_and_b32_e32 v7, 0xff, v7
	v_cmp_ne_u32_e32 vcc, 0, v7
	s_andn2_b64 s[4:5], s[4:5], exec
	s_and_b64 s[10:11], vcc, exec
	s_or_b64 s[4:5], s[4:5], s[10:11]
	s_or_b64 exec, exec, s[6:7]
	v_mov_b32_e32 v8, 0
	s_and_saveexec_b64 s[6:7], s[4:5]
	s_cbranch_execnz .LBB55_708
	s_branch .LBB55_709
.LBB55_803:
	s_mov_b64 s[8:9], -1
.LBB55_804:
                                        ; implicit-def: $vgpr6_vgpr7
.LBB55_805:
	s_and_b64 vcc, exec, s[14:15]
	s_cbranch_vccz .LBB55_810
; %bb.806:
	s_cmp_eq_u32 s18, 44
	s_cbranch_scc0 .LBB55_808
; %bb.807:
	global_load_ubyte v4, v[0:1], off
	s_movk_i32 s12, 0xff
	v_bfrev_b32_e32 v5, 4
	v_mov_b32_e32 v6, 0x7ff80000
	v_bfrev_b32_e32 v7, 28
	s_mov_b64 s[8:9], 0
	s_waitcnt vmcnt(0)
	v_lshlrev_b32_e32 v2, 23, v4
	v_cvt_f64_f32_e32 v[2:3], v2
	v_cmp_ne_u32_e32 vcc, s12, v4
	s_mov_b64 s[12:13], -1
	s_nop 0
	v_cndmask_b32_e32 v2, v5, v2, vcc
	v_cndmask_b32_e32 v3, v6, v3, vcc
	v_cmp_ne_u32_e32 vcc, 0, v4
	s_nop 1
	v_cndmask_b32_e32 v5, v7, v3, vcc
	v_cndmask_b32_e32 v4, 0, v2, vcc
	s_branch .LBB55_809
.LBB55_808:
	s_mov_b64 s[8:9], -1
                                        ; implicit-def: $vgpr4_vgpr5
.LBB55_809:
	v_mov_b64_e32 v[6:7], 0
.LBB55_810:
	s_mov_b64 s[14:15], 0
.LBB55_811:
	s_and_b64 vcc, exec, s[14:15]
	s_cbranch_vccz .LBB55_816
; %bb.812:
	s_cmp_eq_u32 s18, 29
	s_cbranch_scc0 .LBB55_814
; %bb.813:
	global_load_dwordx2 v[2:3], v[0:1], off
	s_mov_b64 s[8:9], 0
	s_mov_b64 s[12:13], -1
	s_waitcnt vmcnt(0)
	v_cvt_f64_u32_e32 v[4:5], v3
	v_cvt_f64_u32_e32 v[2:3], v2
	v_ldexp_f64 v[4:5], v[4:5], 32
	v_add_f64 v[4:5], v[4:5], v[2:3]
	s_branch .LBB55_815
.LBB55_814:
	s_mov_b64 s[8:9], -1
                                        ; implicit-def: $vgpr4_vgpr5
.LBB55_815:
	v_mov_b64_e32 v[6:7], 0
.LBB55_816:
	s_mov_b64 s[14:15], 0
.LBB55_817:
	s_and_b64 vcc, exec, s[14:15]
	s_cbranch_vccz .LBB55_837
; %bb.818:
	s_cmp_lt_i32 s18, 27
	s_cbranch_scc1 .LBB55_821
; %bb.819:
	s_cmp_gt_i32 s18, 27
	s_cbranch_scc0 .LBB55_822
; %bb.820:
	global_load_dword v2, v[0:1], off
	s_mov_b64 s[12:13], 0
	s_waitcnt vmcnt(0)
	v_cvt_f64_u32_e32 v[4:5], v2
	s_branch .LBB55_823
.LBB55_821:
	s_mov_b64 s[12:13], -1
                                        ; implicit-def: $vgpr4_vgpr5
	s_branch .LBB55_826
.LBB55_822:
	s_mov_b64 s[12:13], -1
                                        ; implicit-def: $vgpr4_vgpr5
.LBB55_823:
	s_andn2_b64 vcc, exec, s[12:13]
	s_cbranch_vccnz .LBB55_825
; %bb.824:
	global_load_ushort v2, v[0:1], off
	s_waitcnt vmcnt(0)
	v_cvt_f64_u32_e32 v[4:5], v2
.LBB55_825:
	s_mov_b64 s[12:13], 0
.LBB55_826:
	s_andn2_b64 vcc, exec, s[12:13]
	s_cbranch_vccnz .LBB55_836
; %bb.827:
	global_load_ubyte v2, v[0:1], off
	s_movk_i32 s12, 0x7f
	s_waitcnt vmcnt(0)
	v_cmp_lt_i16_e32 vcc, s12, v2
	s_mov_b64 s[12:13], 0
	s_and_saveexec_b64 s[14:15], vcc
	s_xor_b64 s[14:15], exec, s[14:15]
	s_cbranch_execz .LBB55_831
; %bb.828:
	s_movk_i32 s12, 0x80
	v_cmp_eq_u16_e32 vcc, s12, v2
	s_mov_b64 s[12:13], -1
	s_and_saveexec_b64 s[16:17], vcc
; %bb.829:
	s_xor_b64 s[12:13], exec, -1
; %bb.830:
	s_or_b64 exec, exec, s[16:17]
	s_and_b64 s[12:13], s[12:13], exec
.LBB55_831:
	s_or_saveexec_b64 s[14:15], s[14:15]
	v_bfrev_b32_e32 v4, 4
	v_mov_b32_e32 v5, 0x7ff80000
	s_xor_b64 exec, exec, s[14:15]
; %bb.832:
	v_cmp_ne_u16_e32 vcc, 0, v2
	s_andn2_b64 s[12:13], s[12:13], exec
	s_and_b64 s[16:17], vcc, exec
	v_mov_b64_e32 v[4:5], 0
	s_or_b64 s[12:13], s[12:13], s[16:17]
; %bb.833:
	s_or_b64 exec, exec, s[14:15]
	s_and_saveexec_b64 s[14:15], s[12:13]
	s_cbranch_execz .LBB55_835
; %bb.834:
	v_lshlrev_b32_e32 v3, 24, v2
	v_and_b32_e32 v2, 0xffff, v2
	v_and_b32_e32 v4, 7, v2
	v_ffbh_u32_e32 v6, v4
	v_min_u32_e32 v6, 32, v6
	v_subrev_u32_e32 v7, 28, v6
	v_bfe_u32 v5, v2, 3, 4
	v_lshlrev_b32_e32 v2, v7, v2
	v_sub_u32_e32 v6, 29, v6
	v_and_b32_e32 v2, 7, v2
	v_cmp_eq_u32_e32 vcc, 0, v5
	v_and_b32_e32 v3, 0x80000000, v3
	s_nop 0
	v_cndmask_b32_e32 v5, v5, v6, vcc
	v_cndmask_b32_e32 v2, v4, v2, vcc
	v_mov_b32_e32 v4, 0x3b800000
	v_lshlrev_b32_e32 v2, 20, v2
	v_lshl_add_u32 v4, v5, 23, v4
	v_or3_b32 v2, v3, v4, v2
	v_cvt_f64_f32_e32 v[4:5], v2
.LBB55_835:
	s_or_b64 exec, exec, s[14:15]
.LBB55_836:
	s_mov_b64 s[12:13], -1
	v_mov_b64_e32 v[6:7], 0
.LBB55_837:
	s_mov_b64 s[14:15], 0
.LBB55_838:
	s_and_b64 vcc, exec, s[14:15]
	s_cbranch_vccz .LBB55_870
; %bb.839:
	s_cmp_gt_i32 s18, 22
	s_cbranch_scc0 .LBB55_851
; %bb.840:
	s_cmp_lt_i32 s18, 24
	s_cbranch_scc1 .LBB55_852
; %bb.841:
	s_cmp_gt_i32 s18, 24
	s_cbranch_scc0 .LBB55_853
; %bb.842:
	global_load_ubyte v2, v[0:1], off
	s_movk_i32 s10, 0x7f
	s_waitcnt vmcnt(0)
	v_cmp_lt_i16_e32 vcc, s10, v2
	s_mov_b64 s[10:11], 0
	s_and_saveexec_b64 s[12:13], vcc
	s_xor_b64 s[12:13], exec, s[12:13]
	s_cbranch_execz .LBB55_846
; %bb.843:
	s_movk_i32 s10, 0x80
	v_cmp_eq_u16_e32 vcc, s10, v2
	s_mov_b64 s[10:11], -1
	s_and_saveexec_b64 s[14:15], vcc
; %bb.844:
	s_xor_b64 s[10:11], exec, -1
; %bb.845:
	s_or_b64 exec, exec, s[14:15]
	s_and_b64 s[10:11], s[10:11], exec
.LBB55_846:
	s_or_saveexec_b64 s[12:13], s[12:13]
	v_bfrev_b32_e32 v4, 4
	v_mov_b32_e32 v5, 0x7ff80000
	s_xor_b64 exec, exec, s[12:13]
; %bb.847:
	v_cmp_ne_u16_e32 vcc, 0, v2
	s_andn2_b64 s[10:11], s[10:11], exec
	s_and_b64 s[14:15], vcc, exec
	v_mov_b64_e32 v[4:5], 0
	s_or_b64 s[10:11], s[10:11], s[14:15]
; %bb.848:
	s_or_b64 exec, exec, s[12:13]
	s_and_saveexec_b64 s[12:13], s[10:11]
	s_cbranch_execz .LBB55_850
; %bb.849:
	v_lshlrev_b32_e32 v3, 24, v2
	v_and_b32_e32 v2, 0xffff, v2
	v_and_b32_e32 v4, 3, v2
	v_ffbh_u32_e32 v6, v4
	v_min_u32_e32 v6, 32, v6
	v_subrev_u32_e32 v7, 29, v6
	v_bfe_u32 v5, v2, 2, 5
	v_lshlrev_b32_e32 v2, v7, v2
	v_sub_u32_e32 v6, 30, v6
	v_and_b32_e32 v2, 3, v2
	v_cmp_eq_u32_e32 vcc, 0, v5
	v_and_b32_e32 v3, 0x80000000, v3
	s_nop 0
	v_cndmask_b32_e32 v5, v5, v6, vcc
	v_cndmask_b32_e32 v2, v4, v2, vcc
	v_mov_b32_e32 v4, 0x37800000
	v_lshlrev_b32_e32 v2, 21, v2
	v_lshl_add_u32 v4, v5, 23, v4
	v_or3_b32 v2, v3, v4, v2
	v_cvt_f64_f32_e32 v[4:5], v2
.LBB55_850:
	s_or_b64 exec, exec, s[12:13]
	s_mov_b64 s[10:11], 0
	s_branch .LBB55_854
.LBB55_851:
	s_mov_b64 s[10:11], -1
                                        ; implicit-def: $vgpr4_vgpr5
	s_branch .LBB55_860
.LBB55_852:
	s_mov_b64 s[10:11], -1
                                        ; implicit-def: $vgpr4_vgpr5
	s_branch .LBB55_857
.LBB55_853:
	s_mov_b64 s[10:11], -1
                                        ; implicit-def: $vgpr4_vgpr5
.LBB55_854:
	s_and_b64 vcc, exec, s[10:11]
	s_cbranch_vccz .LBB55_856
; %bb.855:
	global_load_ubyte v2, v[0:1], off
	s_mov_b32 s10, 0x7f800000
	s_waitcnt vmcnt(0)
	v_lshlrev_b32_e32 v2, 24, v2
	v_and_b32_e32 v3, 0x7f000000, v2
	v_ffbh_u32_e32 v4, v3
	v_min_u32_e32 v4, 32, v4
	v_sub_u32_e64 v4, v4, 4 clamp
	v_lshlrev_b32_e32 v6, v4, v3
	v_lshlrev_b32_e32 v4, 23, v4
	v_lshrrev_b32_e32 v6, 4, v6
	v_add_u32_e32 v5, 0x1000000, v3
	v_sub_u32_e32 v4, v6, v4
	v_ashrrev_i32_e32 v5, 8, v5
	v_add_u32_e32 v4, 0x3c000000, v4
	v_and_or_b32 v4, v5, s10, v4
	v_cmp_ne_u32_e32 vcc, 0, v3
	s_brev_b32 s10, 1
	s_nop 0
	v_cndmask_b32_e32 v3, 0, v4, vcc
	v_and_or_b32 v2, v2, s10, v3
	v_cvt_f64_f32_e32 v[4:5], v2
.LBB55_856:
	s_mov_b64 s[10:11], 0
.LBB55_857:
	s_andn2_b64 vcc, exec, s[10:11]
	s_cbranch_vccnz .LBB55_859
; %bb.858:
	global_load_ubyte v2, v[0:1], off
	s_movk_i32 s10, 0x7f00
	s_brev_b32 s11, 16
	s_waitcnt vmcnt(0)
	v_lshlrev_b16_e32 v3, 8, v2
	v_lshlrev_b32_e32 v2, 25, v2
	v_lshrrev_b32_e32 v4, 4, v2
	v_and_or_b32 v5, v3, s10, 0.5
	v_or_b32_e32 v4, 0x70000000, v4
	v_add_f32_e32 v5, -0.5, v5
	v_mul_f32_e32 v4, 0x7800000, v4
	v_cmp_gt_u32_e32 vcc, s11, v2
	v_bfe_i32 v3, v3, 0, 16
	s_brev_b32 s10, 1
	v_cndmask_b32_e32 v2, v4, v5, vcc
	v_and_or_b32 v2, v3, s10, v2
	v_cvt_f64_f32_e32 v[4:5], v2
.LBB55_859:
	s_mov_b64 s[10:11], 0
	s_mov_b64 s[12:13], -1
.LBB55_860:
	s_andn2_b64 vcc, exec, s[10:11]
	s_mov_b64 s[10:11], 0
	s_cbranch_vccnz .LBB55_869
; %bb.861:
	s_cmp_gt_i32 s18, 14
	s_cbranch_scc0 .LBB55_864
; %bb.862:
	s_cmp_eq_u32 s18, 15
	s_cbranch_scc0 .LBB55_865
; %bb.863:
	global_load_ushort v2, v[0:1], off
	s_mov_b64 s[8:9], 0
	s_mov_b64 s[12:13], -1
	s_waitcnt vmcnt(0)
	v_lshlrev_b32_e32 v2, 16, v2
	v_cvt_f64_f32_e32 v[4:5], v2
	s_branch .LBB55_866
.LBB55_864:
	s_mov_b64 s[14:15], -1
                                        ; implicit-def: $vgpr4_vgpr5
	s_branch .LBB55_867
.LBB55_865:
	s_mov_b64 s[8:9], -1
                                        ; implicit-def: $vgpr4_vgpr5
.LBB55_866:
	s_mov_b64 s[14:15], 0
.LBB55_867:
	s_and_b64 vcc, exec, s[14:15]
	s_cbranch_vccz .LBB55_869
; %bb.868:
	s_cmp_lg_u32 s18, 11
	s_cselect_b64 s[14:15], -1, 0
	s_andn2_b64 s[8:9], s[8:9], exec
	s_and_b64 s[14:15], s[14:15], exec
	s_mov_b64 s[10:11], -1
	s_or_b64 s[8:9], s[8:9], s[14:15]
.LBB55_869:
	v_mov_b64_e32 v[6:7], 0
.LBB55_870:
	s_mov_b64 s[14:15], 0
.LBB55_871:
	s_and_b64 s[16:17], s[12:13], exec
	s_and_b64 s[12:13], s[14:15], exec
	s_andn2_b64 s[14:15], s[0:1], exec
	s_and_b64 s[8:9], s[8:9], exec
	s_and_b64 s[10:11], s[10:11], exec
	s_or_b64 s[14:15], s[14:15], s[8:9]
.LBB55_872:
	s_or_b64 exec, exec, s[6:7]
	s_and_b64 s[8:9], s[10:11], exec
	s_andn2_b64 s[0:1], s[0:1], exec
	s_and_b64 s[10:11], s[14:15], exec
	s_and_b64 s[6:7], s[16:17], exec
	;; [unrolled: 1-line block ×3, first 2 shown]
	s_or_b64 s[0:1], s[0:1], s[10:11]
.LBB55_873:
	s_or_b64 exec, exec, s[4:5]
	s_andn2_b64 s[4:5], s[56:57], exec
	s_and_b64 s[2:3], s[2:3], exec
	s_or_b64 s[56:57], s[4:5], s[2:3]
	s_and_b64 s[2:3], s[8:9], exec
	s_andn2_b64 s[8:9], s[54:55], exec
	s_and_b64 s[0:1], s[0:1], exec
	s_and_b64 s[6:7], s[6:7], exec
	;; [unrolled: 1-line block ×3, first 2 shown]
	s_or_b64 s[54:55], s[8:9], s[0:1]
.LBB55_874:
	s_or_b64 exec, exec, s[58:59]
	s_andn2_b64 s[0:1], s[48:49], exec
	s_and_b64 s[8:9], s[56:57], exec
	s_or_b64 s[48:49], s[0:1], s[8:9]
	s_and_b64 s[0:1], s[6:7], exec
	s_and_b64 s[56:57], s[2:3], exec
	s_andn2_b64 s[2:3], s[50:51], exec
	s_and_b64 s[6:7], s[54:55], exec
	s_and_b64 s[4:5], s[4:5], exec
	s_or_b64 s[50:51], s[2:3], s[6:7]
	s_or_b64 exec, exec, s[52:53]
	s_mov_b64 s[52:53], 0
	s_and_saveexec_b64 s[2:3], s[50:51]
	s_cbranch_execz .LBB55_265
.LBB55_875:
	s_mov_b64 s[52:53], exec
	s_andn2_b64 s[56:57], s[56:57], exec
	s_trap 2
	s_or_b64 exec, exec, s[2:3]
	s_and_saveexec_b64 s[2:3], s[56:57]
	s_xor_b64 s[2:3], exec, s[2:3]
	s_cbranch_execnz .LBB55_266
.LBB55_876:
	s_or_b64 exec, exec, s[2:3]
	s_and_saveexec_b64 s[2:3], s[4:5]
	s_cbranch_execz .LBB55_924
.LBB55_877:
	s_sext_i32_i16 s4, s43
	s_cmp_lt_i32 s4, 5
	s_cbranch_scc1 .LBB55_882
; %bb.878:
	s_cmp_lt_i32 s4, 8
	s_cbranch_scc1 .LBB55_883
; %bb.879:
	;; [unrolled: 3-line block ×3, first 2 shown]
	s_cmp_gt_i32 s4, 9
	s_cbranch_scc0 .LBB55_885
; %bb.881:
	s_waitcnt vmcnt(0)
	global_load_dwordx4 v[4:7], v[0:1], off
	s_mov_b64 s[4:5], 0
	s_branch .LBB55_886
.LBB55_882:
                                        ; implicit-def: $vgpr6_vgpr7
	s_branch .LBB55_904
.LBB55_883:
                                        ; implicit-def: $vgpr6_vgpr7
	s_branch .LBB55_892
.LBB55_884:
	s_mov_b64 s[4:5], -1
                                        ; implicit-def: $vgpr6_vgpr7
	s_branch .LBB55_889
.LBB55_885:
	s_mov_b64 s[4:5], -1
                                        ; implicit-def: $vgpr6_vgpr7
.LBB55_886:
	s_andn2_b64 vcc, exec, s[4:5]
	s_cbranch_vccnz .LBB55_888
; %bb.887:
	s_waitcnt vmcnt(0)
	global_load_dwordx2 v[2:3], v[0:1], off
	s_waitcnt vmcnt(0)
	v_cvt_f64_f32_e32 v[4:5], v2
	v_cvt_f64_f32_e32 v[6:7], v3
.LBB55_888:
	s_mov_b64 s[4:5], 0
.LBB55_889:
	s_andn2_b64 vcc, exec, s[4:5]
	s_cbranch_vccnz .LBB55_891
; %bb.890:
	s_waitcnt vmcnt(0)
	global_load_dword v2, v[0:1], off
	s_waitcnt vmcnt(0)
	v_cvt_f32_f16_e32 v3, v2
	v_cvt_f32_f16_sdwa v2, v2 dst_sel:DWORD dst_unused:UNUSED_PAD src0_sel:WORD_1
	v_cvt_f64_f32_e32 v[4:5], v3
	v_cvt_f64_f32_e32 v[6:7], v2
.LBB55_891:
	s_cbranch_execnz .LBB55_903
.LBB55_892:
	s_sext_i32_i16 s4, s43
	s_cmp_lt_i32 s4, 6
	s_cbranch_scc1 .LBB55_895
; %bb.893:
	s_cmp_gt_i32 s4, 6
	s_cbranch_scc0 .LBB55_896
; %bb.894:
	s_waitcnt vmcnt(0)
	global_load_dwordx2 v[4:5], v[0:1], off
	s_mov_b64 s[4:5], 0
	s_branch .LBB55_897
.LBB55_895:
	s_mov_b64 s[4:5], -1
                                        ; implicit-def: $vgpr4_vgpr5
	s_branch .LBB55_900
.LBB55_896:
	s_mov_b64 s[4:5], -1
                                        ; implicit-def: $vgpr4_vgpr5
.LBB55_897:
	s_andn2_b64 vcc, exec, s[4:5]
	s_cbranch_vccnz .LBB55_899
; %bb.898:
	s_waitcnt vmcnt(0)
	global_load_dword v2, v[0:1], off
	s_waitcnt vmcnt(0)
	v_cvt_f64_f32_e32 v[4:5], v2
.LBB55_899:
	s_mov_b64 s[4:5], 0
.LBB55_900:
	s_andn2_b64 vcc, exec, s[4:5]
	s_cbranch_vccnz .LBB55_902
; %bb.901:
	s_waitcnt vmcnt(0)
	global_load_ushort v2, v[0:1], off
	s_waitcnt vmcnt(0)
	v_cvt_f32_f16_e32 v2, v2
	v_cvt_f64_f32_e32 v[4:5], v2
.LBB55_902:
	s_waitcnt vmcnt(0)
	v_mov_b64_e32 v[6:7], 0
.LBB55_903:
	s_cbranch_execnz .LBB55_923
.LBB55_904:
	s_sext_i32_i16 s4, s43
	s_cmp_lt_i32 s4, 2
	s_cbranch_scc1 .LBB55_908
; %bb.905:
	s_cmp_lt_i32 s4, 3
	s_cbranch_scc1 .LBB55_909
; %bb.906:
	s_cmp_gt_i32 s4, 3
	s_cbranch_scc0 .LBB55_910
; %bb.907:
	s_waitcnt vmcnt(0)
	global_load_dwordx2 v[2:3], v[0:1], off
	s_mov_b64 s[4:5], 0
	s_waitcnt vmcnt(0)
	v_cvt_f64_i32_e32 v[4:5], v3
	v_cvt_f64_u32_e32 v[2:3], v2
	v_ldexp_f64 v[4:5], v[4:5], 32
	v_add_f64 v[4:5], v[4:5], v[2:3]
	s_branch .LBB55_911
.LBB55_908:
                                        ; implicit-def: $vgpr4_vgpr5
	s_branch .LBB55_917
.LBB55_909:
	s_mov_b64 s[4:5], -1
                                        ; implicit-def: $vgpr4_vgpr5
	s_branch .LBB55_914
.LBB55_910:
	s_mov_b64 s[4:5], -1
                                        ; implicit-def: $vgpr4_vgpr5
.LBB55_911:
	s_andn2_b64 vcc, exec, s[4:5]
	s_cbranch_vccnz .LBB55_913
; %bb.912:
	s_waitcnt vmcnt(0)
	global_load_dword v2, v[0:1], off
	s_waitcnt vmcnt(0)
	v_cvt_f64_i32_e32 v[4:5], v2
.LBB55_913:
	s_mov_b64 s[4:5], 0
.LBB55_914:
	s_andn2_b64 vcc, exec, s[4:5]
	s_cbranch_vccnz .LBB55_916
; %bb.915:
	s_waitcnt vmcnt(0)
	global_load_sshort v2, v[0:1], off
	s_waitcnt vmcnt(0)
	v_cvt_f64_i32_e32 v[4:5], v2
.LBB55_916:
	s_cbranch_execnz .LBB55_922
.LBB55_917:
	s_sext_i32_i16 s4, s43
	s_cmp_gt_i32 s4, 0
	s_cbranch_scc0 .LBB55_919
; %bb.918:
	s_waitcnt vmcnt(0)
	global_load_sbyte v2, v[0:1], off
	s_mov_b64 s[4:5], 0
	s_waitcnt vmcnt(0)
	v_cvt_f64_i32_e32 v[4:5], v2
	s_branch .LBB55_920
.LBB55_919:
	s_mov_b64 s[4:5], -1
                                        ; implicit-def: $vgpr4_vgpr5
.LBB55_920:
	s_andn2_b64 vcc, exec, s[4:5]
	s_cbranch_vccnz .LBB55_922
; %bb.921:
	s_waitcnt vmcnt(0)
	global_load_ubyte v0, v[0:1], off
	s_waitcnt vmcnt(0)
	v_cvt_f64_u32_e32 v[4:5], v0
.LBB55_922:
	s_waitcnt vmcnt(0)
	v_mov_b64_e32 v[6:7], 0
.LBB55_923:
	s_or_b64 s[0:1], s[0:1], exec
.LBB55_924:
	s_or_b64 exec, exec, s[2:3]
	s_mov_b64 s[4:5], 0
	s_mov_b64 s[2:3], 0
                                        ; implicit-def: $sgpr10
                                        ; implicit-def: $vgpr8_vgpr9
                                        ; implicit-def: $vgpr2_vgpr3
	s_and_saveexec_b64 s[50:51], s[0:1]
	s_cbranch_execz .LBB55_932
; %bb.925:
	s_getpc_b64 s[0:1]
	s_add_u32 s0, s0, _ZZZZN2at6native15exp_kernel_cudaERNS_18TensorIteratorBaseEENKUlvE_clEvENKUlvE_clEvENKUlN3c107complexIdEEE_clES7_@rel32@lo+4
	s_addc_u32 s1, s1, _ZZZZN2at6native15exp_kernel_cudaERNS_18TensorIteratorBaseEENKUlvE_clEvENKUlvE_clEvENKUlN3c107complexIdEEE_clES7_@rel32@hi+12
	s_waitcnt vmcnt(0)
	v_mov_b32_e32 v0, v4
	v_mov_b32_e32 v1, v5
	;; [unrolled: 1-line block ×4, first 2 shown]
	s_swappc_b64 s[30:31], s[0:1]
	v_mul_lo_u32 v4, v46, s34
	v_ashrrev_i32_e32 v5, 31, v4
	s_and_b32 s10, s33, 0xff
	s_cmp_lt_i32 s10, 11
	v_lshl_add_u64 v[8:9], s[36:37], 0, v[4:5]
	s_cbranch_scc1 .LBB55_935
; %bb.926:
	s_and_b32 s11, 0xffff, s10
	s_mov_b64 s[4:5], -1
	s_cmp_gt_i32 s11, 25
	s_mov_b64 s[0:1], s[48:49]
	s_cbranch_scc0 .LBB55_963
; %bb.927:
	s_mov_b64 s[2:3], -1
	s_cmp_gt_i32 s11, 28
	s_mov_b64 s[0:1], s[48:49]
	s_cbranch_scc0 .LBB55_947
; %bb.928:
	s_cmp_gt_i32 s11, 43
	s_mov_b64 s[0:1], s[48:49]
	s_cbranch_scc0 .LBB55_943
; %bb.929:
	;; [unrolled: 4-line block ×3, first 2 shown]
	s_cmp_eq_u32 s11, 46
	s_mov_b64 s[0:1], -1
	s_cbranch_scc0 .LBB55_936
; %bb.931:
	v_cvt_f32_f64_e32 v5, v[2:3]
	s_movk_i32 s0, 0x7fff
	v_bfe_u32 v7, v5, 16, 1
	v_cvt_f32_f64_e32 v4, v[0:1]
	v_add3_u32 v7, v5, v7, s0
	v_bfe_u32 v6, v4, 16, 1
	v_and_b32_e32 v7, 0xffff0000, v7
	v_mov_b32_e32 v10, 0x7fc00000
	v_cmp_o_f32_e32 vcc, v5, v5
	v_add3_u32 v6, v4, v6, s0
	s_mov_b64 s[0:1], 0
	v_cndmask_b32_e32 v5, v10, v7, vcc
	v_cmp_o_f32_e32 vcc, v4, v4
	v_mov_b32_e32 v4, 0x7fc0
	s_mov_b64 s[2:3], 0
	v_cndmask_b32_sdwa v4, v4, v6, vcc dst_sel:DWORD dst_unused:UNUSED_PAD src0_sel:DWORD src1_sel:WORD_1
	v_or_b32_e32 v4, v5, v4
	global_store_dword v[8:9], v4, off
	s_branch .LBB55_937
.LBB55_932:
	s_or_b64 exec, exec, s[50:51]
	s_and_saveexec_b64 s[0:1], s[48:49]
	s_cbranch_execnz .LBB55_1005
.LBB55_933:
	s_or_b64 exec, exec, s[0:1]
	s_and_saveexec_b64 s[0:1], s[4:5]
	s_xor_b64 s[4:5], exec, s[0:1]
	s_cbranch_execz .LBB55_1006
.LBB55_934:
	s_waitcnt vmcnt(0)
	v_cmp_neq_f64_e32 vcc, 0, v[0:1]
	v_cmp_neq_f64_e64 s[0:1], 0, v[2:3]
	s_or_b64 s[0:1], vcc, s[0:1]
	s_nop 0
	v_cndmask_b32_e64 v4, 0, 1, s[0:1]
	global_store_byte v[8:9], v4, off
	s_or_b64 exec, exec, s[4:5]
	s_and_saveexec_b64 s[0:1], s[2:3]
	s_xor_b64 s[0:1], exec, s[0:1]
	s_cbranch_execz .LBB55_1044
	s_branch .LBB55_1007
.LBB55_935:
	s_mov_b64 s[4:5], 0
	s_mov_b64 s[2:3], -1
	s_mov_b64 s[0:1], s[48:49]
	s_branch .LBB55_1004
.LBB55_936:
	s_mov_b64 s[2:3], 0
.LBB55_937:
	s_and_b64 vcc, exec, s[2:3]
	s_cbranch_vccz .LBB55_942
; %bb.938:
	s_cmp_eq_u32 s11, 44
	s_mov_b64 s[0:1], -1
	s_cbranch_scc0 .LBB55_942
; %bb.939:
	v_cvt_f32_f64_e32 v4, v[0:1]
	v_bfe_u32 v5, v4, 23, 8
	s_movk_i32 s0, 0xff
	v_cmp_ne_u32_e32 vcc, s0, v5
	v_mov_b32_e32 v6, 0xff
	s_and_saveexec_b64 s[2:3], vcc
; %bb.940:
	s_mov_b32 s0, 0x3fffff
	v_lshrrev_b32_e32 v6, 23, v4
	v_and_b32_e32 v7, 0x400000, v4
	v_and_or_b32 v4, v4, s0, v5
	v_cmp_ne_u32_e32 vcc, 0, v7
	v_cmp_ne_u32_e64 s[0:1], 0, v4
	s_and_b64 s[0:1], vcc, s[0:1]
	s_nop 0
	v_cndmask_b32_e64 v4, 0, 1, s[0:1]
	v_add_u32_e32 v6, v6, v4
; %bb.941:
	s_or_b64 exec, exec, s[2:3]
	s_mov_b64 s[0:1], 0
	global_store_byte v[8:9], v6, off
.LBB55_942:
	s_mov_b64 s[2:3], 0
.LBB55_943:
	s_and_b64 vcc, exec, s[2:3]
	s_cbranch_vccz .LBB55_946
; %bb.944:
	s_cmp_eq_u32 s11, 29
	s_mov_b64 s[0:1], -1
	s_cbranch_scc0 .LBB55_946
; %bb.945:
	v_trunc_f64_e32 v[4:5], v[0:1]
	s_movk_i32 s0, 0xffe0
	v_ldexp_f64 v[6:7], v[4:5], s0
	v_floor_f64_e32 v[6:7], v[6:7]
	v_fmac_f64_e32 v[4:5], 0xc1f00000, v[6:7]
	v_cvt_u32_f64_e32 v11, v[6:7]
	v_cvt_u32_f64_e32 v10, v[4:5]
	global_store_dwordx2 v[8:9], v[10:11], off
	s_mov_b64 s[0:1], 0
.LBB55_946:
	s_mov_b64 s[2:3], 0
.LBB55_947:
	s_and_b64 vcc, exec, s[2:3]
	s_cbranch_vccz .LBB55_962
; %bb.948:
	s_cmp_lt_i32 s11, 27
	s_mov_b64 s[2:3], -1
	s_cbranch_scc1 .LBB55_954
; %bb.949:
	s_cmp_gt_i32 s11, 27
	v_cvt_u32_f64_e32 v4, v[0:1]
	s_cbranch_scc0 .LBB55_951
; %bb.950:
	s_mov_b64 s[2:3], 0
	global_store_dword v[8:9], v4, off
.LBB55_951:
	s_andn2_b64 vcc, exec, s[2:3]
	s_cbranch_vccnz .LBB55_953
; %bb.952:
	global_store_short v[8:9], v4, off
.LBB55_953:
	s_mov_b64 s[2:3], 0
.LBB55_954:
	s_andn2_b64 vcc, exec, s[2:3]
	s_cbranch_vccnz .LBB55_962
; %bb.955:
	v_cvt_f32_f64_e32 v4, v[0:1]
	v_and_b32_e32 v5, 0x7fffffff, v4
	s_mov_b32 s2, 0x43800000
	v_cmp_gt_u32_e32 vcc, s2, v5
	v_mov_b32_e32 v6, 0x80
	s_and_saveexec_b64 s[2:3], vcc
	s_cbranch_execz .LBB55_961
; %bb.956:
	s_mov_b32 s4, 0x3bffffff
	v_cmp_lt_u32_e32 vcc, s4, v5
	s_mov_b64 s[4:5], 0
                                        ; implicit-def: $vgpr5
	s_and_saveexec_b64 s[6:7], vcc
	s_xor_b64 s[6:7], exec, s[6:7]
	s_cbranch_execz .LBB55_1059
; %bb.957:
	v_bfe_u32 v5, v4, 20, 1
	s_mov_b32 s8, 0x487ffff
	v_add3_u32 v5, v4, v5, s8
	s_mov_b64 s[4:5], exec
	v_lshrrev_b32_e32 v5, 20, v5
	s_andn2_saveexec_b64 s[6:7], s[6:7]
	s_cbranch_execnz .LBB55_1060
.LBB55_958:
	s_or_b64 exec, exec, s[6:7]
	v_mov_b32_e32 v6, 0
	s_and_saveexec_b64 s[6:7], s[4:5]
.LBB55_959:
	v_lshrrev_b32_e32 v4, 24, v4
	s_movk_i32 s4, 0x80
	v_and_or_b32 v6, v4, s4, v5
.LBB55_960:
	s_or_b64 exec, exec, s[6:7]
.LBB55_961:
	s_or_b64 exec, exec, s[2:3]
	global_store_byte v[8:9], v6, off
.LBB55_962:
	s_mov_b64 s[4:5], 0
.LBB55_963:
	s_mov_b64 s[2:3], 0
	s_and_b64 vcc, exec, s[4:5]
	s_cbranch_vccz .LBB55_1003
; %bb.964:
	s_cmp_gt_i32 s11, 22
	s_mov_b64 s[4:5], -1
	s_cbranch_scc0 .LBB55_996
; %bb.965:
	s_cmp_lt_i32 s11, 24
	s_cbranch_scc1 .LBB55_985
; %bb.966:
	s_cmp_gt_i32 s11, 24
	s_cbranch_scc0 .LBB55_974
; %bb.967:
	v_cvt_f32_f64_e32 v4, v[0:1]
	v_and_b32_e32 v5, 0x7fffffff, v4
	s_mov_b32 s4, 0x47800000
	v_cmp_gt_u32_e32 vcc, s4, v5
	v_mov_b32_e32 v6, 0x80
	s_and_saveexec_b64 s[4:5], vcc
	s_cbranch_execz .LBB55_973
; %bb.968:
	s_mov_b32 s6, 0x37ffffff
	v_cmp_lt_u32_e32 vcc, s6, v5
	s_mov_b64 s[6:7], 0
                                        ; implicit-def: $vgpr5
	s_and_saveexec_b64 s[8:9], vcc
	s_xor_b64 s[8:9], exec, s[8:9]
	s_cbranch_execz .LBB55_1190
; %bb.969:
	v_bfe_u32 v5, v4, 21, 1
	s_mov_b32 s12, 0x88fffff
	v_add3_u32 v5, v4, v5, s12
	s_mov_b64 s[6:7], exec
	v_lshrrev_b32_e32 v5, 21, v5
	s_andn2_saveexec_b64 s[8:9], s[8:9]
	s_cbranch_execnz .LBB55_1191
.LBB55_970:
	s_or_b64 exec, exec, s[8:9]
	v_mov_b32_e32 v6, 0
	s_and_saveexec_b64 s[8:9], s[6:7]
.LBB55_971:
	v_lshrrev_b32_e32 v4, 24, v4
	s_movk_i32 s6, 0x80
	v_and_or_b32 v6, v4, s6, v5
.LBB55_972:
	s_or_b64 exec, exec, s[8:9]
.LBB55_973:
	s_or_b64 exec, exec, s[4:5]
	s_mov_b64 s[4:5], 0
	global_store_byte v[8:9], v6, off
.LBB55_974:
	s_and_b64 vcc, exec, s[4:5]
	s_cbranch_vccz .LBB55_984
; %bb.975:
	v_cvt_f32_f64_e32 v4, v[0:1]
	v_and_b32_e32 v6, 0x7fffffff, v4
	s_mov_b32 s4, 0x43f00000
	v_cmp_gt_u32_e32 vcc, s4, v6
                                        ; implicit-def: $vgpr5
	s_and_saveexec_b64 s[4:5], vcc
	s_xor_b64 s[4:5], exec, s[4:5]
	s_cbranch_execz .LBB55_981
; %bb.976:
	s_mov_b32 s6, 0x3c7fffff
	v_cmp_lt_u32_e32 vcc, s6, v6
                                        ; implicit-def: $vgpr5
	s_and_saveexec_b64 s[6:7], vcc
	s_xor_b64 s[6:7], exec, s[6:7]
; %bb.977:
	v_bfe_u32 v5, v4, 20, 1
	s_mov_b32 s8, 0x407ffff
	v_add3_u32 v5, v4, v5, s8
	v_lshrrev_b32_e32 v6, 20, v5
	v_and_b32_e32 v5, 0xff00000, v5
	s_mov_b32 s8, 0x7f00000
	v_mov_b32_e32 v7, 0x7e
	v_cmp_ne_u32_e32 vcc, s8, v5
	s_nop 1
	v_cndmask_b32_e32 v5, v7, v6, vcc
; %bb.978:
	s_andn2_saveexec_b64 s[6:7], s[6:7]
; %bb.979:
	s_mov_b32 s8, 0x46800000
	v_add_f32_e64 v5, |v4|, s8
; %bb.980:
	s_or_b64 exec, exec, s[6:7]
                                        ; implicit-def: $vgpr6
.LBB55_981:
	s_andn2_saveexec_b64 s[4:5], s[4:5]
; %bb.982:
	s_mov_b32 s6, 0x7f800000
	v_mov_b32_e32 v5, 0x7e
	v_mov_b32_e32 v7, 0x7f
	v_cmp_lt_u32_e32 vcc, s6, v6
	s_nop 1
	v_cndmask_b32_e32 v5, v5, v7, vcc
; %bb.983:
	s_or_b64 exec, exec, s[4:5]
	v_lshrrev_b32_e32 v4, 24, v4
	s_movk_i32 s4, 0x80
	v_and_or_b32 v4, v4, s4, v5
	global_store_byte v[8:9], v4, off
.LBB55_984:
	s_mov_b64 s[4:5], 0
.LBB55_985:
	s_andn2_b64 vcc, exec, s[4:5]
	s_cbranch_vccnz .LBB55_995
; %bb.986:
	v_cvt_f32_f64_e32 v4, v[0:1]
	v_and_b32_e32 v6, 0x7fffffff, v4
	s_mov_b32 s4, 0x47800000
	v_cmp_gt_u32_e32 vcc, s4, v6
                                        ; implicit-def: $vgpr5
	s_and_saveexec_b64 s[4:5], vcc
	s_xor_b64 s[4:5], exec, s[4:5]
	s_cbranch_execz .LBB55_992
; %bb.987:
	s_mov_b32 s6, 0x387fffff
	v_cmp_lt_u32_e32 vcc, s6, v6
                                        ; implicit-def: $vgpr5
	s_and_saveexec_b64 s[6:7], vcc
	s_xor_b64 s[6:7], exec, s[6:7]
; %bb.988:
	v_bfe_u32 v5, v4, 21, 1
	s_mov_b32 s8, 0x80fffff
	v_add3_u32 v5, v4, v5, s8
	v_lshrrev_b32_e32 v5, 21, v5
; %bb.989:
	s_andn2_saveexec_b64 s[6:7], s[6:7]
; %bb.990:
	s_mov_b32 s8, 0x43000000
	v_add_f32_e64 v5, |v4|, s8
; %bb.991:
	s_or_b64 exec, exec, s[6:7]
                                        ; implicit-def: $vgpr6
.LBB55_992:
	s_andn2_saveexec_b64 s[4:5], s[4:5]
; %bb.993:
	s_mov_b32 s6, 0x7f800000
	v_mov_b32_e32 v5, 0x7c
	v_mov_b32_e32 v7, 0x7f
	v_cmp_lt_u32_e32 vcc, s6, v6
	s_nop 1
	v_cndmask_b32_e32 v5, v5, v7, vcc
; %bb.994:
	s_or_b64 exec, exec, s[4:5]
	v_lshrrev_b32_e32 v4, 24, v4
	s_movk_i32 s4, 0x80
	v_and_or_b32 v4, v4, s4, v5
	global_store_byte v[8:9], v4, off
.LBB55_995:
	s_mov_b64 s[4:5], 0
.LBB55_996:
	s_andn2_b64 vcc, exec, s[4:5]
	s_mov_b64 s[4:5], 0
	s_cbranch_vccnz .LBB55_1004
; %bb.997:
	s_cmp_gt_i32 s11, 14
	s_mov_b64 s[6:7], -1
	s_cbranch_scc0 .LBB55_1001
; %bb.998:
	s_cmp_eq_u32 s11, 15
	s_mov_b64 s[0:1], -1
	s_cbranch_scc0 .LBB55_1000
; %bb.999:
	v_cvt_f32_f64_e32 v4, v[0:1]
	v_bfe_u32 v5, v4, 16, 1
	s_movk_i32 s0, 0x7fff
	v_add3_u32 v5, v4, v5, s0
	v_cmp_o_f32_e32 vcc, v4, v4
	v_mov_b32_e32 v4, 0x7fc0
	s_mov_b64 s[0:1], 0
	v_cndmask_b32_sdwa v4, v4, v5, vcc dst_sel:DWORD dst_unused:UNUSED_PAD src0_sel:DWORD src1_sel:WORD_1
	global_store_short v[8:9], v4, off
.LBB55_1000:
	s_mov_b64 s[6:7], 0
.LBB55_1001:
	s_and_b64 vcc, exec, s[6:7]
	s_cbranch_vccz .LBB55_1004
; %bb.1002:
	s_cmp_lg_u32 s11, 11
	s_cselect_b64 s[6:7], -1, 0
	s_andn2_b64 s[0:1], s[0:1], exec
	s_and_b64 s[6:7], s[6:7], exec
	s_mov_b64 s[4:5], -1
	s_or_b64 s[0:1], s[0:1], s[6:7]
	s_branch .LBB55_1004
.LBB55_1003:
	s_mov_b64 s[4:5], 0
.LBB55_1004:
	s_andn2_b64 s[6:7], s[48:49], exec
	s_and_b64 s[0:1], s[0:1], exec
	s_and_b64 s[2:3], s[2:3], exec
	;; [unrolled: 1-line block ×3, first 2 shown]
	s_or_b64 s[48:49], s[6:7], s[0:1]
	s_or_b64 exec, exec, s[50:51]
	s_and_saveexec_b64 s[0:1], s[48:49]
	s_cbranch_execz .LBB55_933
.LBB55_1005:
	s_or_b64 s[52:53], s[52:53], exec
	s_andn2_b64 s[4:5], s[4:5], exec
	s_trap 2
	s_or_b64 exec, exec, s[0:1]
	s_and_saveexec_b64 s[0:1], s[4:5]
	s_xor_b64 s[4:5], exec, s[0:1]
	s_cbranch_execnz .LBB55_934
.LBB55_1006:
	s_or_b64 exec, exec, s[4:5]
	s_and_saveexec_b64 s[0:1], s[2:3]
	s_xor_b64 s[0:1], exec, s[0:1]
	s_cbranch_execz .LBB55_1044
.LBB55_1007:
	s_sext_i32_i16 s4, s10
	s_cmp_lt_i32 s4, 5
	s_mov_b64 s[2:3], -1
	s_cbranch_scc1 .LBB55_1028
; %bb.1008:
	s_cmp_lt_i32 s4, 8
	s_cbranch_scc1 .LBB55_1018
; %bb.1009:
	s_cmp_lt_i32 s4, 9
	s_cbranch_scc1 .LBB55_1015
; %bb.1010:
	s_cmp_gt_i32 s4, 9
	s_cbranch_scc0 .LBB55_1012
; %bb.1011:
	s_mov_b64 s[2:3], 0
	s_waitcnt vmcnt(0)
	global_store_dwordx4 v[8:9], v[0:3], off
.LBB55_1012:
	s_andn2_b64 vcc, exec, s[2:3]
	s_cbranch_vccnz .LBB55_1014
; %bb.1013:
	s_waitcnt vmcnt(0)
	v_cvt_f32_f64_e32 v5, v[2:3]
	v_cvt_f32_f64_e32 v4, v[0:1]
	global_store_dwordx2 v[8:9], v[4:5], off
.LBB55_1014:
	s_mov_b64 s[2:3], 0
.LBB55_1015:
	s_andn2_b64 vcc, exec, s[2:3]
	s_cbranch_vccnz .LBB55_1017
; %bb.1016:
	s_movk_i32 s2, 0x1ff
	s_waitcnt vmcnt(0)
	v_and_or_b32 v4, v1, s2, v0
	v_cmp_ne_u32_e32 vcc, 0, v4
	v_lshrrev_b32_e32 v5, 8, v1
	s_movk_i32 s3, 0xffe
	v_cndmask_b32_e64 v4, 0, 1, vcc
	v_bfe_u32 v6, v1, 20, 11
	v_and_or_b32 v4, v5, s3, v4
	v_sub_u32_e32 v7, 0x3f1, v6
	v_or_b32_e32 v5, 0x1000, v4
	v_med3_i32 v7, v7, 0, 13
	v_lshrrev_b32_e32 v10, v7, v5
	v_lshlrev_b32_e32 v7, v7, v10
	v_cmp_ne_u32_e32 vcc, v7, v5
	v_add_u32_e32 v6, 0xfffffc10, v6
	v_lshl_or_b32 v7, v6, 12, v4
	v_cndmask_b32_e64 v5, 0, 1, vcc
	v_or_b32_e32 v5, v10, v5
	v_cmp_gt_i32_e32 vcc, 1, v6
	s_movk_i32 s4, 0x40f
	v_and_or_b32 v2, v3, s2, v2
	v_cndmask_b32_e32 v5, v7, v5, vcc
	v_and_b32_e32 v7, 7, v5
	v_cmp_lt_i32_e32 vcc, 5, v7
	v_lshrrev_b32_e32 v5, 2, v5
	v_bfe_u32 v11, v3, 20, 11
	v_cndmask_b32_e64 v10, 0, 1, vcc
	v_cmp_eq_u32_e32 vcc, 3, v7
	v_sub_u32_e32 v12, 0x3f1, v11
	v_med3_i32 v12, v12, 0, 13
	v_cndmask_b32_e64 v7, 0, 1, vcc
	v_or_b32_e32 v7, v7, v10
	v_add_u32_e32 v5, v5, v7
	v_mov_b32_e32 v7, 0x7c00
	v_cmp_gt_i32_e32 vcc, 31, v6
	v_mov_b32_e32 v10, 0x7e00
	v_add_u32_e32 v11, 0xfffffc10, v11
	v_cndmask_b32_e32 v5, v7, v5, vcc
	v_cmp_ne_u32_e32 vcc, 0, v4
	s_mov_b32 s5, 0x8000
	s_mov_b32 s2, 0xffff
	v_cndmask_b32_e32 v4, v7, v10, vcc
	v_cmp_eq_u32_e32 vcc, s4, v6
	v_lshrrev_b32_e32 v6, 8, v3
	v_lshrrev_b32_e32 v3, 16, v3
	v_cndmask_b32_e32 v4, v5, v4, vcc
	v_cmp_ne_u32_e32 vcc, 0, v2
	v_and_b32_sdwa v5, v1, s5 dst_sel:DWORD dst_unused:UNUSED_PAD src0_sel:WORD_1 src1_sel:DWORD
	s_nop 0
	v_cndmask_b32_e64 v2, 0, 1, vcc
	v_and_or_b32 v2, v6, s3, v2
	v_or_b32_e32 v6, 0x1000, v2
	v_lshrrev_b32_e32 v13, v12, v6
	v_lshlrev_b32_e32 v12, v12, v13
	v_cmp_ne_u32_e32 vcc, v12, v6
	v_lshl_or_b32 v12, v11, 12, v2
	s_nop 0
	v_cndmask_b32_e64 v6, 0, 1, vcc
	v_or_b32_e32 v6, v13, v6
	v_cmp_gt_i32_e32 vcc, 1, v11
	s_nop 1
	v_cndmask_b32_e32 v6, v12, v6, vcc
	v_and_b32_e32 v12, 7, v6
	v_cmp_lt_i32_e32 vcc, 5, v12
	v_lshrrev_b32_e32 v6, 2, v6
	s_nop 0
	v_cndmask_b32_e64 v13, 0, 1, vcc
	v_cmp_eq_u32_e32 vcc, 3, v12
	s_nop 1
	v_cndmask_b32_e64 v12, 0, 1, vcc
	v_or_b32_e32 v12, v12, v13
	v_add_u32_e32 v6, v6, v12
	v_cmp_gt_i32_e32 vcc, 31, v11
	s_nop 1
	v_cndmask_b32_e32 v6, v7, v6, vcc
	v_cmp_ne_u32_e32 vcc, 0, v2
	s_nop 1
	v_cndmask_b32_e32 v2, v7, v10, vcc
	v_cmp_eq_u32_e32 vcc, s4, v11
	s_nop 1
	v_cndmask_b32_e32 v2, v6, v2, vcc
	v_and_or_b32 v2, v3, s5, v2
	v_bitop3_b32 v3, v5, s2, v4 bitop3:0xc8
	v_lshl_or_b32 v2, v2, 16, v3
	global_store_dword v[8:9], v2, off
.LBB55_1017:
	s_mov_b64 s[2:3], 0
.LBB55_1018:
	s_andn2_b64 vcc, exec, s[2:3]
	s_cbranch_vccnz .LBB55_1027
; %bb.1019:
	s_sext_i32_i16 s4, s10
	s_cmp_lt_i32 s4, 6
	s_mov_b64 s[2:3], -1
	s_cbranch_scc1 .LBB55_1025
; %bb.1020:
	s_cmp_gt_i32 s4, 6
	s_cbranch_scc0 .LBB55_1022
; %bb.1021:
	s_mov_b64 s[2:3], 0
	s_waitcnt vmcnt(0)
	global_store_dwordx2 v[8:9], v[0:1], off
.LBB55_1022:
	s_andn2_b64 vcc, exec, s[2:3]
	s_cbranch_vccnz .LBB55_1024
; %bb.1023:
	s_waitcnt vmcnt(0)
	v_cvt_f32_f64_e32 v2, v[0:1]
	global_store_dword v[8:9], v2, off
.LBB55_1024:
	s_mov_b64 s[2:3], 0
.LBB55_1025:
	s_andn2_b64 vcc, exec, s[2:3]
	s_cbranch_vccnz .LBB55_1027
; %bb.1026:
	s_movk_i32 s2, 0x1ff
	s_waitcnt vmcnt(0)
	v_and_or_b32 v2, v1, s2, v0
	v_cmp_ne_u32_e32 vcc, 0, v2
	v_lshrrev_b32_e32 v3, 8, v1
	s_movk_i32 s2, 0xffe
	v_cndmask_b32_e64 v2, 0, 1, vcc
	v_bfe_u32 v4, v1, 20, 11
	v_and_or_b32 v2, v3, s2, v2
	v_sub_u32_e32 v5, 0x3f1, v4
	v_or_b32_e32 v3, 0x1000, v2
	v_med3_i32 v5, v5, 0, 13
	v_lshrrev_b32_e32 v6, v5, v3
	v_lshlrev_b32_e32 v5, v5, v6
	v_cmp_ne_u32_e32 vcc, v5, v3
	v_add_u32_e32 v4, 0xfffffc10, v4
	v_lshl_or_b32 v5, v4, 12, v2
	v_cndmask_b32_e64 v3, 0, 1, vcc
	v_or_b32_e32 v3, v6, v3
	v_cmp_gt_i32_e32 vcc, 1, v4
	s_movk_i32 s2, 0x40f
	s_nop 0
	v_cndmask_b32_e32 v3, v5, v3, vcc
	v_and_b32_e32 v5, 7, v3
	v_cmp_lt_i32_e32 vcc, 5, v5
	v_lshrrev_b32_e32 v3, 2, v3
	s_nop 0
	v_cndmask_b32_e64 v6, 0, 1, vcc
	v_cmp_eq_u32_e32 vcc, 3, v5
	s_nop 1
	v_cndmask_b32_e64 v5, 0, 1, vcc
	v_or_b32_e32 v5, v5, v6
	v_add_u32_e32 v3, v3, v5
	v_mov_b32_e32 v5, 0x7c00
	v_cmp_gt_i32_e32 vcc, 31, v4
	v_mov_b32_e32 v6, 0x7e00
	s_nop 0
	v_cndmask_b32_e32 v3, v5, v3, vcc
	v_cmp_ne_u32_e32 vcc, 0, v2
	s_nop 1
	v_cndmask_b32_e32 v2, v5, v6, vcc
	v_cmp_eq_u32_e32 vcc, s2, v4
	s_mov_b32 s2, 0x8000
	s_nop 0
	v_cndmask_b32_e32 v2, v3, v2, vcc
	v_lshrrev_b32_e32 v3, 16, v1
	v_and_or_b32 v2, v3, s2, v2
	global_store_short v[8:9], v2, off
.LBB55_1027:
	s_mov_b64 s[2:3], 0
.LBB55_1028:
	s_andn2_b64 vcc, exec, s[2:3]
	s_cbranch_vccnz .LBB55_1044
; %bb.1029:
	s_sext_i32_i16 s4, s10
	s_cmp_lt_i32 s4, 2
	s_mov_b64 s[2:3], -1
	s_cbranch_scc1 .LBB55_1039
; %bb.1030:
	s_cmp_lt_i32 s4, 3
	s_cbranch_scc1 .LBB55_1036
; %bb.1031:
	s_cmp_gt_i32 s4, 3
	s_cbranch_scc0 .LBB55_1033
; %bb.1032:
	s_waitcnt vmcnt(0)
	v_trunc_f64_e32 v[2:3], v[0:1]
	s_movk_i32 s2, 0xffe0
	v_ldexp_f64 v[4:5], v[2:3], s2
	v_floor_f64_e32 v[4:5], v[4:5]
	v_fmac_f64_e32 v[2:3], 0xc1f00000, v[4:5]
	v_cvt_i32_f64_e32 v7, v[4:5]
	v_cvt_u32_f64_e32 v6, v[2:3]
	s_mov_b64 s[2:3], 0
	global_store_dwordx2 v[8:9], v[6:7], off
.LBB55_1033:
	s_andn2_b64 vcc, exec, s[2:3]
	s_cbranch_vccnz .LBB55_1035
; %bb.1034:
	s_waitcnt vmcnt(0)
	v_cvt_i32_f64_e32 v2, v[0:1]
	global_store_dword v[8:9], v2, off
.LBB55_1035:
	s_mov_b64 s[2:3], 0
.LBB55_1036:
	s_andn2_b64 vcc, exec, s[2:3]
	s_cbranch_vccnz .LBB55_1038
; %bb.1037:
	s_waitcnt vmcnt(0)
	v_cvt_i32_f64_e32 v2, v[0:1]
	global_store_short v[8:9], v2, off
.LBB55_1038:
	s_mov_b64 s[2:3], 0
.LBB55_1039:
	s_andn2_b64 vcc, exec, s[2:3]
	s_cbranch_vccnz .LBB55_1044
; %bb.1040:
	s_sext_i32_i16 s2, s10
	s_cmp_gt_i32 s2, 0
	s_mov_b64 s[2:3], -1
	s_cbranch_scc0 .LBB55_1042
; %bb.1041:
	s_waitcnt vmcnt(0)
	v_cvt_i32_f64_e32 v2, v[0:1]
	s_mov_b64 s[2:3], 0
	global_store_byte v[8:9], v2, off
.LBB55_1042:
	s_andn2_b64 vcc, exec, s[2:3]
	s_cbranch_vccnz .LBB55_1044
; %bb.1043:
	s_waitcnt vmcnt(0)
	v_trunc_f64_e32 v[0:1], v[0:1]
	s_movk_i32 s2, 0xffe0
	v_ldexp_f64 v[2:3], v[0:1], s2
	v_floor_f64_e32 v[2:3], v[2:3]
	v_fmac_f64_e32 v[0:1], 0xc1f00000, v[2:3]
	v_cvt_u32_f64_e32 v0, v[0:1]
	global_store_byte v[8:9], v0, off
.LBB55_1044:
	s_or_b64 exec, exec, s[0:1]
	s_and_b64 s[48:49], s[52:53], exec
                                        ; implicit-def: $vgpr46
.LBB55_1045:
	s_or_saveexec_b64 s[46:47], s[46:47]
	s_mov_b64 s[4:5], 0
                                        ; implicit-def: $sgpr52
                                        ; implicit-def: $vgpr4_vgpr5
                                        ; implicit-def: $vgpr2_vgpr3
	s_xor_b64 exec, exec, s[46:47]
	s_cbranch_execz .LBB55_2014
; %bb.1046:
	s_waitcnt vmcnt(0)
	v_mul_lo_u32 v4, s35, v46
	v_ashrrev_i32_e32 v5, 31, v4
	s_and_b32 s10, 0xffff, s43
	s_cmp_lt_i32 s10, 11
	v_lshl_add_u64 v[6:7], s[38:39], 0, v[4:5]
	s_cbranch_scc1 .LBB55_1053
; %bb.1047:
	s_cmp_gt_i32 s10, 25
	s_mov_b64 s[2:3], 0
	s_cbranch_scc0 .LBB55_1055
; %bb.1048:
	s_cmp_gt_i32 s10, 28
	s_cbranch_scc0 .LBB55_1056
; %bb.1049:
	s_cmp_gt_i32 s10, 43
	;; [unrolled: 3-line block ×3, first 2 shown]
	s_cbranch_scc0 .LBB55_1058
; %bb.1051:
	s_cmp_eq_u32 s10, 46
	s_mov_b64 s[6:7], 0
	s_cbranch_scc0 .LBB55_1061
; %bb.1052:
	global_load_dword v0, v[6:7], off
	s_mov_b64 s[0:1], 0
	s_mov_b64 s[4:5], -1
	s_waitcnt vmcnt(0)
	v_and_b32_e32 v2, 0xffff0000, v0
	v_lshlrev_b32_e32 v0, 16, v0
	v_cvt_f64_f32_e32 v[0:1], v0
	v_cvt_f64_f32_e32 v[2:3], v2
	s_branch .LBB55_1063
.LBB55_1053:
                                        ; implicit-def: $vgpr2_vgpr3
	s_mov_b64 s[50:51], s[48:49]
	s_cbranch_execnz .LBB55_1129
.LBB55_1054:
	s_andn2_b64 vcc, exec, s[4:5]
	s_cbranch_vccz .LBB55_1176
	s_branch .LBB55_2012
.LBB55_1055:
	s_mov_b64 s[0:1], 0
                                        ; implicit-def: $vgpr2_vgpr3
	s_cbranch_execnz .LBB55_1095
	s_branch .LBB55_1125
.LBB55_1056:
	s_mov_b64 s[0:1], 0
                                        ; implicit-def: $vgpr2_vgpr3
	s_cbranch_execnz .LBB55_1075
	s_branch .LBB55_1094
.LBB55_1057:
	s_mov_b64 s[6:7], -1
	s_mov_b64 s[0:1], 0
                                        ; implicit-def: $vgpr2_vgpr3
	s_branch .LBB55_1069
.LBB55_1058:
	s_mov_b64 s[6:7], -1
	s_mov_b64 s[0:1], 0
	s_branch .LBB55_1062
.LBB55_1059:
	s_andn2_saveexec_b64 s[6:7], s[6:7]
	s_cbranch_execz .LBB55_958
.LBB55_1060:
	s_mov_b32 s8, 0x46000000
	v_add_f32_e64 v5, |v4|, s8
	v_and_b32_e32 v5, 0xff, v5
	v_cmp_ne_u32_e32 vcc, 0, v5
	s_andn2_b64 s[4:5], s[4:5], exec
	s_and_b64 s[8:9], vcc, exec
	s_or_b64 s[4:5], s[4:5], s[8:9]
	s_or_b64 exec, exec, s[6:7]
	v_mov_b32_e32 v6, 0
	s_and_saveexec_b64 s[6:7], s[4:5]
	s_cbranch_execnz .LBB55_959
	s_branch .LBB55_960
.LBB55_1061:
	s_mov_b64 s[0:1], -1
.LBB55_1062:
                                        ; implicit-def: $vgpr2_vgpr3
.LBB55_1063:
	s_and_b64 vcc, exec, s[6:7]
	s_cbranch_vccz .LBB55_1068
; %bb.1064:
	s_cmp_eq_u32 s10, 44
	s_cbranch_scc0 .LBB55_1066
; %bb.1065:
	global_load_ubyte v2, v[6:7], off
	s_movk_i32 s4, 0xff
	v_bfrev_b32_e32 v3, 4
	v_mov_b32_e32 v5, 0x7ff80000
	v_bfrev_b32_e32 v8, 28
	s_mov_b64 s[0:1], 0
	s_waitcnt vmcnt(0)
	v_lshlrev_b32_e32 v0, 23, v2
	v_cvt_f64_f32_e32 v[0:1], v0
	v_cmp_ne_u32_e32 vcc, s4, v2
	s_mov_b64 s[4:5], -1
	s_nop 0
	v_cndmask_b32_e32 v0, v3, v0, vcc
	v_cndmask_b32_e32 v1, v5, v1, vcc
	v_cmp_ne_u32_e32 vcc, 0, v2
	s_nop 1
	v_cndmask_b32_e32 v1, v8, v1, vcc
	v_cndmask_b32_e32 v0, 0, v0, vcc
	s_branch .LBB55_1067
.LBB55_1066:
	s_mov_b64 s[0:1], -1
                                        ; implicit-def: $vgpr0_vgpr1
.LBB55_1067:
	v_mov_b64_e32 v[2:3], 0
.LBB55_1068:
	s_mov_b64 s[6:7], 0
.LBB55_1069:
	s_and_b64 vcc, exec, s[6:7]
	s_cbranch_vccz .LBB55_1074
; %bb.1070:
	s_cmp_eq_u32 s10, 29
	s_cbranch_scc0 .LBB55_1072
; %bb.1071:
	global_load_dwordx2 v[0:1], v[6:7], off
	s_mov_b64 s[0:1], 0
	s_mov_b64 s[4:5], -1
	s_waitcnt vmcnt(0)
	v_cvt_f64_u32_e32 v[2:3], v1
	v_cvt_f64_u32_e32 v[0:1], v0
	v_ldexp_f64 v[2:3], v[2:3], 32
	v_add_f64 v[0:1], v[2:3], v[0:1]
	s_branch .LBB55_1073
.LBB55_1072:
	s_mov_b64 s[0:1], -1
                                        ; implicit-def: $vgpr0_vgpr1
.LBB55_1073:
	v_mov_b64_e32 v[2:3], 0
.LBB55_1074:
	s_branch .LBB55_1094
.LBB55_1075:
	s_cmp_lt_i32 s10, 27
	s_cbranch_scc1 .LBB55_1078
; %bb.1076:
	s_cmp_gt_i32 s10, 27
	s_cbranch_scc0 .LBB55_1079
; %bb.1077:
	global_load_dword v0, v[6:7], off
	s_mov_b64 s[4:5], 0
	s_waitcnt vmcnt(0)
	v_cvt_f64_u32_e32 v[0:1], v0
	s_branch .LBB55_1080
.LBB55_1078:
	s_mov_b64 s[4:5], -1
                                        ; implicit-def: $vgpr0_vgpr1
	s_branch .LBB55_1083
.LBB55_1079:
	s_mov_b64 s[4:5], -1
                                        ; implicit-def: $vgpr0_vgpr1
.LBB55_1080:
	s_andn2_b64 vcc, exec, s[4:5]
	s_cbranch_vccnz .LBB55_1082
; %bb.1081:
	global_load_ushort v0, v[6:7], off
	s_waitcnt vmcnt(0)
	v_cvt_f64_u32_e32 v[0:1], v0
.LBB55_1082:
	s_mov_b64 s[4:5], 0
.LBB55_1083:
	s_andn2_b64 vcc, exec, s[4:5]
	s_cbranch_vccnz .LBB55_1093
; %bb.1084:
	global_load_ubyte v2, v[6:7], off
	s_movk_i32 s4, 0x7f
	s_waitcnt vmcnt(0)
	v_cmp_lt_i16_e32 vcc, s4, v2
	s_mov_b64 s[4:5], 0
	s_and_saveexec_b64 s[6:7], vcc
	s_xor_b64 s[6:7], exec, s[6:7]
	s_cbranch_execz .LBB55_1088
; %bb.1085:
	s_movk_i32 s4, 0x80
	v_cmp_eq_u16_e32 vcc, s4, v2
	s_mov_b64 s[4:5], -1
	s_and_saveexec_b64 s[8:9], vcc
; %bb.1086:
	s_xor_b64 s[4:5], exec, -1
; %bb.1087:
	s_or_b64 exec, exec, s[8:9]
	s_and_b64 s[4:5], s[4:5], exec
.LBB55_1088:
	s_or_saveexec_b64 s[6:7], s[6:7]
	v_bfrev_b32_e32 v0, 4
	v_mov_b32_e32 v1, 0x7ff80000
	s_xor_b64 exec, exec, s[6:7]
; %bb.1089:
	v_cmp_ne_u16_e32 vcc, 0, v2
	s_andn2_b64 s[4:5], s[4:5], exec
	s_and_b64 s[8:9], vcc, exec
	v_mov_b64_e32 v[0:1], 0
	s_or_b64 s[4:5], s[4:5], s[8:9]
; %bb.1090:
	s_or_b64 exec, exec, s[6:7]
	s_and_saveexec_b64 s[6:7], s[4:5]
	s_cbranch_execz .LBB55_1092
; %bb.1091:
	v_and_b32_e32 v1, 0xffff, v2
	v_lshlrev_b32_e32 v0, 24, v2
	v_and_b32_e32 v2, 7, v1
	v_ffbh_u32_e32 v5, v2
	v_min_u32_e32 v5, 32, v5
	v_subrev_u32_e32 v8, 28, v5
	v_bfe_u32 v3, v1, 3, 4
	v_lshlrev_b32_e32 v1, v8, v1
	v_sub_u32_e32 v5, 29, v5
	v_and_b32_e32 v1, 7, v1
	v_cmp_eq_u32_e32 vcc, 0, v3
	v_and_b32_e32 v0, 0x80000000, v0
	s_nop 0
	v_cndmask_b32_e32 v3, v3, v5, vcc
	v_cndmask_b32_e32 v1, v2, v1, vcc
	v_mov_b32_e32 v2, 0x3b800000
	v_lshlrev_b32_e32 v1, 20, v1
	v_lshl_add_u32 v2, v3, 23, v2
	v_or3_b32 v0, v0, v2, v1
	v_cvt_f64_f32_e32 v[0:1], v0
.LBB55_1092:
	s_or_b64 exec, exec, s[6:7]
.LBB55_1093:
	s_mov_b64 s[4:5], -1
	v_mov_b64_e32 v[2:3], 0
.LBB55_1094:
	s_branch .LBB55_1125
.LBB55_1095:
	s_cmp_gt_i32 s10, 22
	s_cbranch_scc0 .LBB55_1107
; %bb.1096:
	s_cmp_lt_i32 s10, 24
	s_cbranch_scc1 .LBB55_1108
; %bb.1097:
	s_cmp_gt_i32 s10, 24
	s_cbranch_scc0 .LBB55_1109
; %bb.1098:
	global_load_ubyte v2, v[6:7], off
	s_movk_i32 s2, 0x7f
	s_waitcnt vmcnt(0)
	v_cmp_lt_i16_e32 vcc, s2, v2
	s_mov_b64 s[2:3], 0
	s_and_saveexec_b64 s[4:5], vcc
	s_xor_b64 s[4:5], exec, s[4:5]
	s_cbranch_execz .LBB55_1102
; %bb.1099:
	s_movk_i32 s2, 0x80
	v_cmp_eq_u16_e32 vcc, s2, v2
	s_mov_b64 s[2:3], -1
	s_and_saveexec_b64 s[6:7], vcc
; %bb.1100:
	s_xor_b64 s[2:3], exec, -1
; %bb.1101:
	s_or_b64 exec, exec, s[6:7]
	s_and_b64 s[2:3], s[2:3], exec
.LBB55_1102:
	s_or_saveexec_b64 s[4:5], s[4:5]
	v_bfrev_b32_e32 v0, 4
	v_mov_b32_e32 v1, 0x7ff80000
	s_xor_b64 exec, exec, s[4:5]
; %bb.1103:
	v_cmp_ne_u16_e32 vcc, 0, v2
	s_andn2_b64 s[2:3], s[2:3], exec
	s_and_b64 s[6:7], vcc, exec
	v_mov_b64_e32 v[0:1], 0
	s_or_b64 s[2:3], s[2:3], s[6:7]
; %bb.1104:
	s_or_b64 exec, exec, s[4:5]
	s_and_saveexec_b64 s[4:5], s[2:3]
	s_cbranch_execz .LBB55_1106
; %bb.1105:
	v_and_b32_e32 v1, 0xffff, v2
	v_lshlrev_b32_e32 v0, 24, v2
	v_and_b32_e32 v2, 3, v1
	v_ffbh_u32_e32 v5, v2
	v_min_u32_e32 v5, 32, v5
	v_subrev_u32_e32 v8, 29, v5
	v_bfe_u32 v3, v1, 2, 5
	v_lshlrev_b32_e32 v1, v8, v1
	v_sub_u32_e32 v5, 30, v5
	v_and_b32_e32 v1, 3, v1
	v_cmp_eq_u32_e32 vcc, 0, v3
	v_and_b32_e32 v0, 0x80000000, v0
	s_nop 0
	v_cndmask_b32_e32 v3, v3, v5, vcc
	v_cndmask_b32_e32 v1, v2, v1, vcc
	v_mov_b32_e32 v2, 0x37800000
	v_lshlrev_b32_e32 v1, 21, v1
	v_lshl_add_u32 v2, v3, 23, v2
	v_or3_b32 v0, v0, v2, v1
	v_cvt_f64_f32_e32 v[0:1], v0
.LBB55_1106:
	s_or_b64 exec, exec, s[4:5]
	s_mov_b64 s[2:3], 0
	s_branch .LBB55_1110
.LBB55_1107:
                                        ; implicit-def: $vgpr0_vgpr1
	s_mov_b64 s[2:3], 0
	s_branch .LBB55_1116
.LBB55_1108:
	s_mov_b64 s[2:3], -1
                                        ; implicit-def: $vgpr0_vgpr1
	s_branch .LBB55_1113
.LBB55_1109:
	s_mov_b64 s[2:3], -1
                                        ; implicit-def: $vgpr0_vgpr1
.LBB55_1110:
	s_and_b64 vcc, exec, s[2:3]
	s_cbranch_vccz .LBB55_1112
; %bb.1111:
	global_load_ubyte v0, v[6:7], off
	s_mov_b32 s2, 0x7f800000
	s_waitcnt vmcnt(0)
	v_lshlrev_b32_e32 v0, 24, v0
	v_and_b32_e32 v1, 0x7f000000, v0
	v_ffbh_u32_e32 v2, v1
	v_min_u32_e32 v2, 32, v2
	v_sub_u32_e64 v2, v2, 4 clamp
	v_lshlrev_b32_e32 v5, v2, v1
	v_lshlrev_b32_e32 v2, 23, v2
	v_lshrrev_b32_e32 v5, 4, v5
	v_add_u32_e32 v3, 0x1000000, v1
	v_sub_u32_e32 v2, v5, v2
	v_ashrrev_i32_e32 v3, 8, v3
	v_add_u32_e32 v2, 0x3c000000, v2
	v_and_or_b32 v2, v3, s2, v2
	v_cmp_ne_u32_e32 vcc, 0, v1
	s_brev_b32 s2, 1
	s_nop 0
	v_cndmask_b32_e32 v1, 0, v2, vcc
	v_and_or_b32 v0, v0, s2, v1
	v_cvt_f64_f32_e32 v[0:1], v0
.LBB55_1112:
	s_mov_b64 s[2:3], 0
.LBB55_1113:
	s_andn2_b64 vcc, exec, s[2:3]
	s_cbranch_vccnz .LBB55_1115
; %bb.1114:
	global_load_ubyte v0, v[6:7], off
	s_movk_i32 s2, 0x7f00
	s_brev_b32 s3, 16
	s_waitcnt vmcnt(0)
	v_lshlrev_b16_e32 v1, 8, v0
	v_lshlrev_b32_e32 v0, 25, v0
	v_lshrrev_b32_e32 v2, 4, v0
	v_and_or_b32 v3, v1, s2, 0.5
	v_or_b32_e32 v2, 0x70000000, v2
	v_add_f32_e32 v3, -0.5, v3
	v_mul_f32_e32 v2, 0x7800000, v2
	v_cmp_gt_u32_e32 vcc, s3, v0
	v_bfe_i32 v1, v1, 0, 16
	s_brev_b32 s2, 1
	v_cndmask_b32_e32 v0, v2, v3, vcc
	v_and_or_b32 v0, v1, s2, v0
	v_cvt_f64_f32_e32 v[0:1], v0
.LBB55_1115:
	s_mov_b64 s[4:5], -1
	s_mov_b64 s[2:3], 0
	s_cbranch_execnz .LBB55_1124
.LBB55_1116:
	s_cmp_gt_i32 s10, 14
	s_cbranch_scc0 .LBB55_1119
; %bb.1117:
	s_cmp_eq_u32 s10, 15
	s_cbranch_scc0 .LBB55_1120
; %bb.1118:
	global_load_ushort v0, v[6:7], off
	s_mov_b64 s[0:1], 0
	s_mov_b64 s[4:5], -1
	s_waitcnt vmcnt(0)
	v_lshlrev_b32_e32 v0, 16, v0
	v_cvt_f64_f32_e32 v[0:1], v0
	s_branch .LBB55_1121
.LBB55_1119:
	s_mov_b64 s[6:7], -1
                                        ; implicit-def: $vgpr0_vgpr1
	s_branch .LBB55_1122
.LBB55_1120:
	s_mov_b64 s[0:1], -1
                                        ; implicit-def: $vgpr0_vgpr1
.LBB55_1121:
	s_mov_b64 s[6:7], 0
.LBB55_1122:
	s_and_b64 vcc, exec, s[6:7]
	s_cbranch_vccz .LBB55_1124
; %bb.1123:
	s_cmp_lg_u32 s10, 11
	s_mov_b64 s[2:3], -1
	s_cselect_b64 s[0:1], -1, 0
.LBB55_1124:
	v_mov_b64_e32 v[2:3], 0
.LBB55_1125:
	s_and_b64 vcc, exec, s[0:1]
	s_mov_b64 s[50:51], s[48:49]
	s_cbranch_vccnz .LBB55_1188
; %bb.1126:
	s_andn2_b64 vcc, exec, s[2:3]
	s_cbranch_vccnz .LBB55_1128
.LBB55_1127:
	global_load_ubyte v1, v[6:7], off
	v_mov_b32_e32 v2, 0x3ff00000
	v_mov_b32_e32 v0, 0
	s_mov_b64 s[4:5], -1
	s_waitcnt vmcnt(0)
	v_cmp_ne_u16_e32 vcc, 0, v1
	s_nop 1
	v_cndmask_b32_e32 v1, 0, v2, vcc
	v_mov_b64_e32 v[2:3], 0
.LBB55_1128:
	s_branch .LBB55_1054
.LBB55_1129:
	s_cmp_lt_i32 s10, 5
	s_cbranch_scc1 .LBB55_1134
; %bb.1130:
	s_cmp_lt_i32 s10, 8
	s_cbranch_scc1 .LBB55_1136
; %bb.1131:
	;; [unrolled: 3-line block ×3, first 2 shown]
	s_cmp_gt_i32 s10, 9
	s_cbranch_scc0 .LBB55_1138
; %bb.1133:
	global_load_dwordx4 v[0:3], v[6:7], off
	s_mov_b64 s[0:1], 0
	s_branch .LBB55_1139
.LBB55_1134:
                                        ; implicit-def: $vgpr2_vgpr3
	s_branch .LBB55_1157
.LBB55_1135:
	s_branch .LBB55_1176
.LBB55_1136:
                                        ; implicit-def: $vgpr2_vgpr3
	s_branch .LBB55_1145
.LBB55_1137:
	s_mov_b64 s[0:1], -1
                                        ; implicit-def: $vgpr2_vgpr3
	s_branch .LBB55_1142
.LBB55_1138:
	s_mov_b64 s[0:1], -1
                                        ; implicit-def: $vgpr2_vgpr3
.LBB55_1139:
	s_andn2_b64 vcc, exec, s[0:1]
	s_cbranch_vccnz .LBB55_1141
; %bb.1140:
	global_load_dwordx2 v[2:3], v[6:7], off
	s_waitcnt vmcnt(0)
	v_cvt_f64_f32_e32 v[0:1], v2
	v_cvt_f64_f32_e32 v[2:3], v3
.LBB55_1141:
	s_mov_b64 s[0:1], 0
.LBB55_1142:
	s_andn2_b64 vcc, exec, s[0:1]
	s_cbranch_vccnz .LBB55_1144
; %bb.1143:
	global_load_dword v0, v[6:7], off
	s_waitcnt vmcnt(0)
	v_cvt_f32_f16_e32 v1, v0
	v_cvt_f32_f16_sdwa v2, v0 dst_sel:DWORD dst_unused:UNUSED_PAD src0_sel:WORD_1
	v_cvt_f64_f32_e32 v[0:1], v1
	v_cvt_f64_f32_e32 v[2:3], v2
.LBB55_1144:
	s_cbranch_execnz .LBB55_1156
.LBB55_1145:
	s_cmp_lt_i32 s10, 6
	s_cbranch_scc1 .LBB55_1148
; %bb.1146:
	s_cmp_gt_i32 s10, 6
	s_cbranch_scc0 .LBB55_1149
; %bb.1147:
	global_load_dwordx2 v[0:1], v[6:7], off
	s_mov_b64 s[0:1], 0
	s_branch .LBB55_1150
.LBB55_1148:
	s_mov_b64 s[0:1], -1
                                        ; implicit-def: $vgpr0_vgpr1
	s_branch .LBB55_1153
.LBB55_1149:
	s_mov_b64 s[0:1], -1
                                        ; implicit-def: $vgpr0_vgpr1
.LBB55_1150:
	s_andn2_b64 vcc, exec, s[0:1]
	s_cbranch_vccnz .LBB55_1152
; %bb.1151:
	global_load_dword v0, v[6:7], off
	s_waitcnt vmcnt(0)
	v_cvt_f64_f32_e32 v[0:1], v0
.LBB55_1152:
	s_mov_b64 s[0:1], 0
.LBB55_1153:
	s_andn2_b64 vcc, exec, s[0:1]
	s_cbranch_vccnz .LBB55_1155
; %bb.1154:
	global_load_ushort v0, v[6:7], off
	s_waitcnt vmcnt(0)
	v_cvt_f32_f16_e32 v0, v0
	v_cvt_f64_f32_e32 v[0:1], v0
.LBB55_1155:
	s_waitcnt vmcnt(0)
	v_mov_b64_e32 v[2:3], 0
.LBB55_1156:
	s_cbranch_execnz .LBB55_1135
.LBB55_1157:
	s_cmp_lt_i32 s10, 2
	s_cbranch_scc1 .LBB55_1161
; %bb.1158:
	s_cmp_lt_i32 s10, 3
	s_cbranch_scc1 .LBB55_1162
; %bb.1159:
	s_cmp_gt_i32 s10, 3
	s_cbranch_scc0 .LBB55_1163
; %bb.1160:
	global_load_dwordx2 v[0:1], v[6:7], off
	s_mov_b64 s[0:1], 0
	s_waitcnt vmcnt(0)
	v_cvt_f64_i32_e32 v[2:3], v1
	v_cvt_f64_u32_e32 v[0:1], v0
	v_ldexp_f64 v[2:3], v[2:3], 32
	v_add_f64 v[0:1], v[2:3], v[0:1]
	s_branch .LBB55_1164
.LBB55_1161:
                                        ; implicit-def: $vgpr0_vgpr1
	s_branch .LBB55_1170
.LBB55_1162:
	s_mov_b64 s[0:1], -1
                                        ; implicit-def: $vgpr0_vgpr1
	s_branch .LBB55_1167
.LBB55_1163:
	s_mov_b64 s[0:1], -1
                                        ; implicit-def: $vgpr0_vgpr1
.LBB55_1164:
	s_andn2_b64 vcc, exec, s[0:1]
	s_cbranch_vccnz .LBB55_1166
; %bb.1165:
	global_load_dword v0, v[6:7], off
	s_waitcnt vmcnt(0)
	v_cvt_f64_i32_e32 v[0:1], v0
.LBB55_1166:
	s_mov_b64 s[0:1], 0
.LBB55_1167:
	s_andn2_b64 vcc, exec, s[0:1]
	s_cbranch_vccnz .LBB55_1169
; %bb.1168:
	global_load_sshort v0, v[6:7], off
	s_waitcnt vmcnt(0)
	v_cvt_f64_i32_e32 v[0:1], v0
.LBB55_1169:
	s_cbranch_execnz .LBB55_1175
.LBB55_1170:
	s_cmp_gt_i32 s10, 0
	s_cbranch_scc0 .LBB55_1172
; %bb.1171:
	global_load_sbyte v0, v[6:7], off
	s_mov_b64 s[0:1], 0
	s_waitcnt vmcnt(0)
	v_cvt_f64_i32_e32 v[0:1], v0
	s_branch .LBB55_1173
.LBB55_1172:
	s_mov_b64 s[0:1], -1
                                        ; implicit-def: $vgpr0_vgpr1
.LBB55_1173:
	s_andn2_b64 vcc, exec, s[0:1]
	s_cbranch_vccnz .LBB55_1175
; %bb.1174:
	global_load_ubyte v0, v[6:7], off
	s_waitcnt vmcnt(0)
	v_cvt_f64_u32_e32 v[0:1], v0
.LBB55_1175:
	s_waitcnt vmcnt(0)
	v_mov_b64_e32 v[2:3], 0
.LBB55_1176:
	s_lshl_b32 s11, s35, 7
	v_add_u32_e32 v4, s11, v4
	v_ashrrev_i32_e32 v5, 31, v4
	s_cmp_lt_i32 s10, 11
	v_lshl_add_u64 v[6:7], s[38:39], 0, v[4:5]
	s_cbranch_scc1 .LBB55_1183
; %bb.1177:
	s_cmp_gt_i32 s10, 25
	s_mov_b64 s[2:3], 0
	s_cbranch_scc0 .LBB55_1185
; %bb.1178:
	s_cmp_gt_i32 s10, 28
	s_cbranch_scc0 .LBB55_1186
; %bb.1179:
	s_cmp_gt_i32 s10, 43
	;; [unrolled: 3-line block ×3, first 2 shown]
	s_cbranch_scc0 .LBB55_1189
; %bb.1181:
	s_cmp_eq_u32 s10, 46
	s_mov_b64 s[6:7], 0
	s_cbranch_scc0 .LBB55_1192
; %bb.1182:
	global_load_dword v5, v[6:7], off
	s_mov_b64 s[0:1], 0
	s_mov_b64 s[4:5], -1
	s_waitcnt vmcnt(0)
	v_and_b32_e32 v8, 0xffff0000, v5
	v_lshlrev_b32_e32 v5, 16, v5
	v_cvt_f64_f32_e32 v[42:43], v5
	v_cvt_f64_f32_e32 v[44:45], v8
	s_branch .LBB55_1193
.LBB55_1183:
	s_mov_b64 s[4:5], 0
                                        ; implicit-def: $vgpr44_vgpr45
	s_cbranch_execnz .LBB55_1261
.LBB55_1184:
	s_andn2_b64 vcc, exec, s[4:5]
	s_cbranch_vccnz .LBB55_2012
	s_branch .LBB55_1310
.LBB55_1185:
	s_mov_b64 s[4:5], 0
	s_mov_b64 s[0:1], 0
                                        ; implicit-def: $vgpr44_vgpr45
	s_cbranch_execnz .LBB55_1226
	s_branch .LBB55_1257
.LBB55_1186:
	s_mov_b64 s[6:7], -1
	s_mov_b64 s[4:5], 0
	s_mov_b64 s[0:1], 0
                                        ; implicit-def: $vgpr44_vgpr45
	s_branch .LBB55_1205
.LBB55_1187:
	s_mov_b64 s[6:7], -1
	s_mov_b64 s[4:5], 0
	s_mov_b64 s[0:1], 0
                                        ; implicit-def: $vgpr44_vgpr45
	s_branch .LBB55_1199
.LBB55_1188:
	s_trap 2
	s_or_b64 s[50:51], s[48:49], exec
	s_cbranch_execz .LBB55_1127
	s_branch .LBB55_1128
.LBB55_1189:
	s_mov_b64 s[6:7], -1
	s_mov_b64 s[4:5], 0
	s_mov_b64 s[0:1], 0
                                        ; implicit-def: $vgpr44_vgpr45
	s_branch .LBB55_1193
.LBB55_1190:
	s_andn2_saveexec_b64 s[8:9], s[8:9]
	s_cbranch_execz .LBB55_970
.LBB55_1191:
	s_mov_b32 s12, 0x42800000
	v_add_f32_e64 v5, |v4|, s12
	v_and_b32_e32 v5, 0xff, v5
	v_cmp_ne_u32_e32 vcc, 0, v5
	s_andn2_b64 s[6:7], s[6:7], exec
	s_and_b64 s[12:13], vcc, exec
	s_or_b64 s[6:7], s[6:7], s[12:13]
	s_or_b64 exec, exec, s[8:9]
	v_mov_b32_e32 v6, 0
	s_and_saveexec_b64 s[8:9], s[6:7]
	s_cbranch_execnz .LBB55_971
	s_branch .LBB55_972
.LBB55_1192:
	s_mov_b64 s[0:1], -1
                                        ; implicit-def: $vgpr44_vgpr45
	s_mov_b64 s[4:5], 0
.LBB55_1193:
	s_and_b64 vcc, exec, s[6:7]
	s_cbranch_vccz .LBB55_1198
; %bb.1194:
	s_cmp_eq_u32 s10, 44
	s_cbranch_scc0 .LBB55_1196
; %bb.1195:
	global_load_ubyte v5, v[6:7], off
	s_movk_i32 s4, 0xff
	v_bfrev_b32_e32 v10, 4
	v_mov_b32_e32 v11, 0x7ff80000
	v_bfrev_b32_e32 v12, 28
	s_mov_b64 s[0:1], 0
	s_waitcnt vmcnt(0)
	v_lshlrev_b32_e32 v8, 23, v5
	v_cvt_f64_f32_e32 v[8:9], v8
	v_cmp_ne_u32_e32 vcc, s4, v5
	s_mov_b64 s[4:5], -1
	s_nop 0
	v_cndmask_b32_e32 v8, v10, v8, vcc
	v_cndmask_b32_e32 v9, v11, v9, vcc
	v_cmp_ne_u32_e32 vcc, 0, v5
	s_nop 1
	v_cndmask_b32_e32 v43, v12, v9, vcc
	v_cndmask_b32_e32 v42, 0, v8, vcc
	s_branch .LBB55_1197
.LBB55_1196:
	s_mov_b64 s[0:1], -1
                                        ; implicit-def: $vgpr42_vgpr43
.LBB55_1197:
	v_mov_b64_e32 v[44:45], 0
.LBB55_1198:
	s_mov_b64 s[6:7], 0
.LBB55_1199:
	s_and_b64 vcc, exec, s[6:7]
	s_cbranch_vccz .LBB55_1204
; %bb.1200:
	s_cmp_eq_u32 s10, 29
	s_cbranch_scc0 .LBB55_1202
; %bb.1201:
	global_load_dwordx2 v[8:9], v[6:7], off
	s_mov_b64 s[0:1], 0
	s_mov_b64 s[4:5], -1
	s_waitcnt vmcnt(0)
	v_cvt_f64_u32_e32 v[10:11], v9
	v_cvt_f64_u32_e32 v[8:9], v8
	v_ldexp_f64 v[10:11], v[10:11], 32
	v_add_f64 v[42:43], v[10:11], v[8:9]
	s_branch .LBB55_1203
.LBB55_1202:
	s_mov_b64 s[0:1], -1
                                        ; implicit-def: $vgpr42_vgpr43
.LBB55_1203:
	v_mov_b64_e32 v[44:45], 0
.LBB55_1204:
	s_mov_b64 s[6:7], 0
.LBB55_1205:
	s_and_b64 vcc, exec, s[6:7]
	s_cbranch_vccz .LBB55_1225
; %bb.1206:
	s_cmp_lt_i32 s10, 27
	s_cbranch_scc1 .LBB55_1209
; %bb.1207:
	s_cmp_gt_i32 s10, 27
	s_cbranch_scc0 .LBB55_1210
; %bb.1208:
	global_load_dword v5, v[6:7], off
	s_mov_b64 s[4:5], 0
	s_waitcnt vmcnt(0)
	v_cvt_f64_u32_e32 v[42:43], v5
	s_branch .LBB55_1211
.LBB55_1209:
	s_mov_b64 s[4:5], -1
                                        ; implicit-def: $vgpr42_vgpr43
	s_branch .LBB55_1214
.LBB55_1210:
	s_mov_b64 s[4:5], -1
                                        ; implicit-def: $vgpr42_vgpr43
.LBB55_1211:
	s_andn2_b64 vcc, exec, s[4:5]
	s_cbranch_vccnz .LBB55_1213
; %bb.1212:
	global_load_ushort v5, v[6:7], off
	s_waitcnt vmcnt(0)
	v_cvt_f64_u32_e32 v[42:43], v5
.LBB55_1213:
	s_mov_b64 s[4:5], 0
.LBB55_1214:
	s_andn2_b64 vcc, exec, s[4:5]
	s_cbranch_vccnz .LBB55_1224
; %bb.1215:
	global_load_ubyte v5, v[6:7], off
	s_movk_i32 s4, 0x7f
	s_waitcnt vmcnt(0)
	v_cmp_lt_i16_e32 vcc, s4, v5
	s_mov_b64 s[4:5], 0
	s_and_saveexec_b64 s[6:7], vcc
	s_xor_b64 s[6:7], exec, s[6:7]
	s_cbranch_execz .LBB55_1219
; %bb.1216:
	s_movk_i32 s4, 0x80
	v_cmp_eq_u16_e32 vcc, s4, v5
	s_mov_b64 s[4:5], -1
	s_and_saveexec_b64 s[8:9], vcc
; %bb.1217:
	s_xor_b64 s[4:5], exec, -1
; %bb.1218:
	s_or_b64 exec, exec, s[8:9]
	s_and_b64 s[4:5], s[4:5], exec
.LBB55_1219:
	s_or_saveexec_b64 s[6:7], s[6:7]
	v_bfrev_b32_e32 v42, 4
	v_mov_b32_e32 v43, 0x7ff80000
	s_xor_b64 exec, exec, s[6:7]
; %bb.1220:
	v_cmp_ne_u16_e32 vcc, 0, v5
	s_andn2_b64 s[4:5], s[4:5], exec
	s_and_b64 s[8:9], vcc, exec
	v_mov_b64_e32 v[42:43], 0
	s_or_b64 s[4:5], s[4:5], s[8:9]
; %bb.1221:
	s_or_b64 exec, exec, s[6:7]
	s_and_saveexec_b64 s[6:7], s[4:5]
	s_cbranch_execz .LBB55_1223
; %bb.1222:
	v_lshlrev_b32_e32 v8, 24, v5
	v_and_b32_e32 v5, 0xffff, v5
	v_and_b32_e32 v9, 7, v5
	v_ffbh_u32_e32 v11, v9
	v_min_u32_e32 v11, 32, v11
	v_subrev_u32_e32 v12, 28, v11
	v_bfe_u32 v10, v5, 3, 4
	v_lshlrev_b32_e32 v5, v12, v5
	v_sub_u32_e32 v11, 29, v11
	v_and_b32_e32 v5, 7, v5
	v_cmp_eq_u32_e32 vcc, 0, v10
	v_and_b32_e32 v8, 0x80000000, v8
	s_nop 0
	v_cndmask_b32_e32 v10, v10, v11, vcc
	v_cndmask_b32_e32 v5, v9, v5, vcc
	v_mov_b32_e32 v9, 0x3b800000
	v_lshlrev_b32_e32 v5, 20, v5
	v_lshl_add_u32 v9, v10, 23, v9
	v_or3_b32 v5, v8, v9, v5
	v_cvt_f64_f32_e32 v[42:43], v5
.LBB55_1223:
	s_or_b64 exec, exec, s[6:7]
.LBB55_1224:
	s_mov_b64 s[4:5], -1
	v_mov_b64_e32 v[44:45], 0
.LBB55_1225:
	s_branch .LBB55_1257
.LBB55_1226:
	s_cmp_gt_i32 s10, 22
	s_cbranch_scc0 .LBB55_1238
; %bb.1227:
	s_cmp_lt_i32 s10, 24
	s_cbranch_scc1 .LBB55_1239
; %bb.1228:
	s_cmp_gt_i32 s10, 24
	s_cbranch_scc0 .LBB55_1240
; %bb.1229:
	global_load_ubyte v5, v[6:7], off
	s_movk_i32 s2, 0x7f
	s_waitcnt vmcnt(0)
	v_cmp_lt_i16_e32 vcc, s2, v5
	s_mov_b64 s[2:3], 0
	s_and_saveexec_b64 s[4:5], vcc
	s_xor_b64 s[4:5], exec, s[4:5]
	s_cbranch_execz .LBB55_1233
; %bb.1230:
	s_movk_i32 s2, 0x80
	v_cmp_eq_u16_e32 vcc, s2, v5
	s_mov_b64 s[2:3], -1
	s_and_saveexec_b64 s[6:7], vcc
; %bb.1231:
	s_xor_b64 s[2:3], exec, -1
; %bb.1232:
	s_or_b64 exec, exec, s[6:7]
	s_and_b64 s[2:3], s[2:3], exec
.LBB55_1233:
	s_or_saveexec_b64 s[4:5], s[4:5]
	v_bfrev_b32_e32 v42, 4
	v_mov_b32_e32 v43, 0x7ff80000
	s_xor_b64 exec, exec, s[4:5]
; %bb.1234:
	v_cmp_ne_u16_e32 vcc, 0, v5
	s_andn2_b64 s[2:3], s[2:3], exec
	s_and_b64 s[6:7], vcc, exec
	v_mov_b64_e32 v[42:43], 0
	s_or_b64 s[2:3], s[2:3], s[6:7]
; %bb.1235:
	s_or_b64 exec, exec, s[4:5]
	s_and_saveexec_b64 s[4:5], s[2:3]
	s_cbranch_execz .LBB55_1237
; %bb.1236:
	v_lshlrev_b32_e32 v8, 24, v5
	v_and_b32_e32 v5, 0xffff, v5
	v_and_b32_e32 v9, 3, v5
	v_ffbh_u32_e32 v11, v9
	v_min_u32_e32 v11, 32, v11
	v_subrev_u32_e32 v12, 29, v11
	v_bfe_u32 v10, v5, 2, 5
	v_lshlrev_b32_e32 v5, v12, v5
	v_sub_u32_e32 v11, 30, v11
	v_and_b32_e32 v5, 3, v5
	v_cmp_eq_u32_e32 vcc, 0, v10
	v_and_b32_e32 v8, 0x80000000, v8
	s_nop 0
	v_cndmask_b32_e32 v10, v10, v11, vcc
	v_cndmask_b32_e32 v5, v9, v5, vcc
	v_mov_b32_e32 v9, 0x37800000
	v_lshlrev_b32_e32 v5, 21, v5
	v_lshl_add_u32 v9, v10, 23, v9
	v_or3_b32 v5, v8, v9, v5
	v_cvt_f64_f32_e32 v[42:43], v5
.LBB55_1237:
	s_or_b64 exec, exec, s[4:5]
	s_mov_b64 s[2:3], 0
	s_branch .LBB55_1241
.LBB55_1238:
	s_mov_b64 s[2:3], -1
                                        ; implicit-def: $vgpr42_vgpr43
	s_branch .LBB55_1247
.LBB55_1239:
	s_mov_b64 s[2:3], -1
                                        ; implicit-def: $vgpr42_vgpr43
	s_branch .LBB55_1244
.LBB55_1240:
	s_mov_b64 s[2:3], -1
                                        ; implicit-def: $vgpr42_vgpr43
.LBB55_1241:
	s_and_b64 vcc, exec, s[2:3]
	s_cbranch_vccz .LBB55_1243
; %bb.1242:
	global_load_ubyte v5, v[6:7], off
	s_mov_b32 s2, 0x7f800000
	s_waitcnt vmcnt(0)
	v_lshlrev_b32_e32 v5, 24, v5
	v_and_b32_e32 v8, 0x7f000000, v5
	v_ffbh_u32_e32 v9, v8
	v_min_u32_e32 v9, 32, v9
	v_sub_u32_e64 v9, v9, 4 clamp
	v_lshlrev_b32_e32 v11, v9, v8
	v_lshlrev_b32_e32 v9, 23, v9
	v_lshrrev_b32_e32 v11, 4, v11
	v_add_u32_e32 v10, 0x1000000, v8
	v_sub_u32_e32 v9, v11, v9
	v_ashrrev_i32_e32 v10, 8, v10
	v_add_u32_e32 v9, 0x3c000000, v9
	v_and_or_b32 v9, v10, s2, v9
	v_cmp_ne_u32_e32 vcc, 0, v8
	s_brev_b32 s2, 1
	s_nop 0
	v_cndmask_b32_e32 v8, 0, v9, vcc
	v_and_or_b32 v5, v5, s2, v8
	v_cvt_f64_f32_e32 v[42:43], v5
.LBB55_1243:
	s_mov_b64 s[2:3], 0
.LBB55_1244:
	s_andn2_b64 vcc, exec, s[2:3]
	s_cbranch_vccnz .LBB55_1246
; %bb.1245:
	global_load_ubyte v5, v[6:7], off
	s_movk_i32 s2, 0x7f00
	s_brev_b32 s3, 16
	s_waitcnt vmcnt(0)
	v_lshlrev_b16_e32 v8, 8, v5
	v_lshlrev_b32_e32 v5, 25, v5
	v_lshrrev_b32_e32 v9, 4, v5
	v_and_or_b32 v10, v8, s2, 0.5
	v_or_b32_e32 v9, 0x70000000, v9
	v_add_f32_e32 v10, -0.5, v10
	v_mul_f32_e32 v9, 0x7800000, v9
	v_cmp_gt_u32_e32 vcc, s3, v5
	v_bfe_i32 v8, v8, 0, 16
	s_brev_b32 s2, 1
	v_cndmask_b32_e32 v5, v9, v10, vcc
	v_and_or_b32 v5, v8, s2, v5
	v_cvt_f64_f32_e32 v[42:43], v5
.LBB55_1246:
	s_mov_b64 s[2:3], 0
	s_mov_b64 s[4:5], -1
.LBB55_1247:
	s_andn2_b64 vcc, exec, s[2:3]
	s_mov_b64 s[2:3], 0
	s_cbranch_vccnz .LBB55_1256
; %bb.1248:
	s_cmp_gt_i32 s10, 14
	s_cbranch_scc0 .LBB55_1251
; %bb.1249:
	s_cmp_eq_u32 s10, 15
	s_cbranch_scc0 .LBB55_1252
; %bb.1250:
	global_load_ushort v5, v[6:7], off
	s_mov_b64 s[0:1], 0
	s_mov_b64 s[4:5], -1
	s_waitcnt vmcnt(0)
	v_lshlrev_b32_e32 v5, 16, v5
	v_cvt_f64_f32_e32 v[42:43], v5
	s_branch .LBB55_1253
.LBB55_1251:
	s_mov_b64 s[6:7], -1
                                        ; implicit-def: $vgpr42_vgpr43
	s_branch .LBB55_1254
.LBB55_1252:
	s_mov_b64 s[0:1], -1
                                        ; implicit-def: $vgpr42_vgpr43
.LBB55_1253:
	s_mov_b64 s[6:7], 0
.LBB55_1254:
	s_and_b64 vcc, exec, s[6:7]
	s_cbranch_vccz .LBB55_1256
; %bb.1255:
	s_cmp_lg_u32 s10, 11
	s_mov_b64 s[2:3], -1
	s_cselect_b64 s[0:1], -1, 0
.LBB55_1256:
	v_mov_b64_e32 v[44:45], 0
.LBB55_1257:
	s_and_b64 vcc, exec, s[0:1]
	s_cbranch_vccnz .LBB55_1334
; %bb.1258:
	s_andn2_b64 vcc, exec, s[2:3]
	s_cbranch_vccnz .LBB55_1260
.LBB55_1259:
	global_load_ubyte v5, v[6:7], off
	v_mov_b32_e32 v8, 0x3ff00000
	v_mov_b32_e32 v42, 0
	s_mov_b64 s[4:5], -1
	v_mov_b64_e32 v[44:45], 0
	s_waitcnt vmcnt(0)
	v_cmp_ne_u16_e32 vcc, 0, v5
	s_nop 1
	v_cndmask_b32_e32 v43, 0, v8, vcc
.LBB55_1260:
	s_branch .LBB55_1184
.LBB55_1261:
	s_cmp_lt_i32 s10, 5
	s_cbranch_scc1 .LBB55_1266
; %bb.1262:
	s_cmp_lt_i32 s10, 8
	s_cbranch_scc1 .LBB55_1268
; %bb.1263:
	;; [unrolled: 3-line block ×3, first 2 shown]
	s_cmp_gt_i32 s10, 9
	s_cbranch_scc0 .LBB55_1270
; %bb.1265:
	global_load_dwordx4 v[42:45], v[6:7], off
	s_mov_b64 s[0:1], 0
	s_branch .LBB55_1271
.LBB55_1266:
                                        ; implicit-def: $vgpr44_vgpr45
	s_branch .LBB55_1290
.LBB55_1267:
	s_branch .LBB55_1310
.LBB55_1268:
	s_mov_b64 s[0:1], -1
                                        ; implicit-def: $vgpr44_vgpr45
	s_branch .LBB55_1277
.LBB55_1269:
	s_mov_b64 s[0:1], -1
                                        ; implicit-def: $vgpr44_vgpr45
	s_branch .LBB55_1274
.LBB55_1270:
	s_mov_b64 s[0:1], -1
                                        ; implicit-def: $vgpr44_vgpr45
.LBB55_1271:
	s_andn2_b64 vcc, exec, s[0:1]
	s_cbranch_vccnz .LBB55_1273
; %bb.1272:
	global_load_dwordx2 v[8:9], v[6:7], off
	s_waitcnt vmcnt(0)
	v_cvt_f64_f32_e32 v[42:43], v8
	v_cvt_f64_f32_e32 v[44:45], v9
.LBB55_1273:
	s_mov_b64 s[0:1], 0
.LBB55_1274:
	s_andn2_b64 vcc, exec, s[0:1]
	s_cbranch_vccnz .LBB55_1276
; %bb.1275:
	global_load_dword v5, v[6:7], off
	s_waitcnt vmcnt(0)
	v_cvt_f32_f16_e32 v8, v5
	v_cvt_f32_f16_sdwa v5, v5 dst_sel:DWORD dst_unused:UNUSED_PAD src0_sel:WORD_1
	v_cvt_f64_f32_e32 v[42:43], v8
	v_cvt_f64_f32_e32 v[44:45], v5
.LBB55_1276:
	s_mov_b64 s[0:1], 0
.LBB55_1277:
	s_andn2_b64 vcc, exec, s[0:1]
	s_cbranch_vccnz .LBB55_1289
; %bb.1278:
	s_cmp_lt_i32 s10, 6
	s_cbranch_scc1 .LBB55_1281
; %bb.1279:
	s_cmp_gt_i32 s10, 6
	s_cbranch_scc0 .LBB55_1282
; %bb.1280:
	global_load_dwordx2 v[42:43], v[6:7], off
	s_mov_b64 s[0:1], 0
	s_branch .LBB55_1283
.LBB55_1281:
	s_mov_b64 s[0:1], -1
                                        ; implicit-def: $vgpr42_vgpr43
	s_branch .LBB55_1286
.LBB55_1282:
	s_mov_b64 s[0:1], -1
                                        ; implicit-def: $vgpr42_vgpr43
.LBB55_1283:
	s_andn2_b64 vcc, exec, s[0:1]
	s_cbranch_vccnz .LBB55_1285
; %bb.1284:
	global_load_dword v5, v[6:7], off
	s_waitcnt vmcnt(0)
	v_cvt_f64_f32_e32 v[42:43], v5
.LBB55_1285:
	s_mov_b64 s[0:1], 0
.LBB55_1286:
	s_andn2_b64 vcc, exec, s[0:1]
	s_cbranch_vccnz .LBB55_1288
; %bb.1287:
	global_load_ushort v5, v[6:7], off
	s_waitcnt vmcnt(0)
	v_cvt_f32_f16_e32 v5, v5
	v_cvt_f64_f32_e32 v[42:43], v5
.LBB55_1288:
	s_waitcnt vmcnt(0)
	v_mov_b64_e32 v[44:45], 0
.LBB55_1289:
	s_cbranch_execnz .LBB55_1267
.LBB55_1290:
	s_cmp_lt_i32 s10, 2
	s_cbranch_scc1 .LBB55_1294
; %bb.1291:
	s_cmp_lt_i32 s10, 3
	s_cbranch_scc1 .LBB55_1295
; %bb.1292:
	s_cmp_gt_i32 s10, 3
	s_cbranch_scc0 .LBB55_1296
; %bb.1293:
	global_load_dwordx2 v[8:9], v[6:7], off
	s_mov_b64 s[0:1], 0
	s_waitcnt vmcnt(0)
	v_cvt_f64_i32_e32 v[10:11], v9
	v_cvt_f64_u32_e32 v[8:9], v8
	v_ldexp_f64 v[10:11], v[10:11], 32
	v_add_f64 v[42:43], v[10:11], v[8:9]
	s_branch .LBB55_1297
.LBB55_1294:
	s_mov_b64 s[0:1], -1
                                        ; implicit-def: $vgpr42_vgpr43
	s_branch .LBB55_1303
.LBB55_1295:
	s_mov_b64 s[0:1], -1
                                        ; implicit-def: $vgpr42_vgpr43
	s_branch .LBB55_1300
.LBB55_1296:
	s_mov_b64 s[0:1], -1
                                        ; implicit-def: $vgpr42_vgpr43
.LBB55_1297:
	s_andn2_b64 vcc, exec, s[0:1]
	s_cbranch_vccnz .LBB55_1299
; %bb.1298:
	global_load_dword v5, v[6:7], off
	s_waitcnt vmcnt(0)
	v_cvt_f64_i32_e32 v[42:43], v5
.LBB55_1299:
	s_mov_b64 s[0:1], 0
.LBB55_1300:
	s_andn2_b64 vcc, exec, s[0:1]
	s_cbranch_vccnz .LBB55_1302
; %bb.1301:
	global_load_sshort v5, v[6:7], off
	s_waitcnt vmcnt(0)
	v_cvt_f64_i32_e32 v[42:43], v5
.LBB55_1302:
	s_mov_b64 s[0:1], 0
.LBB55_1303:
	s_andn2_b64 vcc, exec, s[0:1]
	s_cbranch_vccnz .LBB55_1309
; %bb.1304:
	s_cmp_gt_i32 s10, 0
	s_cbranch_scc0 .LBB55_1306
; %bb.1305:
	global_load_sbyte v5, v[6:7], off
	s_mov_b64 s[0:1], 0
	s_waitcnt vmcnt(0)
	v_cvt_f64_i32_e32 v[42:43], v5
	s_branch .LBB55_1307
.LBB55_1306:
	s_mov_b64 s[0:1], -1
                                        ; implicit-def: $vgpr42_vgpr43
.LBB55_1307:
	s_andn2_b64 vcc, exec, s[0:1]
	s_cbranch_vccnz .LBB55_1309
; %bb.1308:
	global_load_ubyte v5, v[6:7], off
	s_waitcnt vmcnt(0)
	v_cvt_f64_u32_e32 v[42:43], v5
.LBB55_1309:
	s_waitcnt vmcnt(0)
	v_mov_b64_e32 v[44:45], 0
.LBB55_1310:
	v_add_u32_e32 v4, s11, v4
	v_ashrrev_i32_e32 v5, 31, v4
	s_cmp_lt_i32 s10, 11
	v_lshl_add_u64 v[6:7], s[38:39], 0, v[4:5]
	s_cbranch_scc1 .LBB55_1317
; %bb.1311:
	s_cmp_gt_i32 s10, 25
	s_mov_b64 s[2:3], 0
	s_cbranch_scc0 .LBB55_1319
; %bb.1312:
	s_cmp_gt_i32 s10, 28
	s_cbranch_scc0 .LBB55_1330
; %bb.1313:
	s_cmp_gt_i32 s10, 43
	;; [unrolled: 3-line block ×3, first 2 shown]
	s_cbranch_scc0 .LBB55_1335
; %bb.1315:
	s_cmp_eq_u32 s10, 46
	s_mov_b64 s[6:7], 0
	s_cbranch_scc0 .LBB55_1389
; %bb.1316:
	global_load_dword v5, v[6:7], off
	s_mov_b64 s[0:1], 0
	s_mov_b64 s[4:5], -1
	s_waitcnt vmcnt(0)
	v_and_b32_e32 v8, 0xffff0000, v5
	v_lshlrev_b32_e32 v5, 16, v5
	v_cvt_f64_f32_e32 v[38:39], v5
	v_cvt_f64_f32_e32 v[40:41], v8
	s_branch .LBB55_1390
.LBB55_1317:
	s_mov_b64 s[4:5], 0
                                        ; implicit-def: $vgpr40_vgpr41
	s_cbranch_execnz .LBB55_1324
.LBB55_1318:
	s_andn2_b64 vcc, exec, s[4:5]
	s_cbranch_vccnz .LBB55_2012
	s_branch .LBB55_1378
.LBB55_1319:
	s_mov_b64 s[4:5], 0
	s_mov_b64 s[0:1], 0
                                        ; implicit-def: $vgpr40_vgpr41
	s_cbranch_execnz .LBB55_1424
.LBB55_1320:
	s_and_b64 vcc, exec, s[0:1]
	s_cbranch_vccnz .LBB55_1455
.LBB55_1321:
	s_andn2_b64 vcc, exec, s[2:3]
	s_cbranch_vccnz .LBB55_1323
.LBB55_1322:
	global_load_ubyte v5, v[6:7], off
	v_mov_b32_e32 v8, 0x3ff00000
	v_mov_b32_e32 v38, 0
	s_mov_b64 s[4:5], -1
	v_mov_b64_e32 v[40:41], 0
	s_waitcnt vmcnt(0)
	v_cmp_ne_u16_e32 vcc, 0, v5
	s_nop 1
	v_cndmask_b32_e32 v39, 0, v8, vcc
.LBB55_1323:
	s_branch .LBB55_1318
.LBB55_1324:
	s_cmp_lt_i32 s10, 5
	s_cbranch_scc1 .LBB55_1329
; %bb.1325:
	s_cmp_lt_i32 s10, 8
	s_cbranch_scc1 .LBB55_1331
; %bb.1326:
	;; [unrolled: 3-line block ×3, first 2 shown]
	s_cmp_gt_i32 s10, 9
	s_cbranch_scc0 .LBB55_1336
; %bb.1328:
	global_load_dwordx4 v[38:41], v[6:7], off
	s_mov_b64 s[0:1], 0
	s_branch .LBB55_1337
.LBB55_1329:
	s_mov_b64 s[0:1], -1
                                        ; implicit-def: $vgpr40_vgpr41
	s_branch .LBB55_1356
.LBB55_1330:
	s_mov_b64 s[6:7], -1
	s_mov_b64 s[4:5], 0
	s_mov_b64 s[0:1], 0
                                        ; implicit-def: $vgpr40_vgpr41
	s_branch .LBB55_1403
.LBB55_1331:
	s_mov_b64 s[0:1], -1
                                        ; implicit-def: $vgpr40_vgpr41
	s_branch .LBB55_1343
.LBB55_1332:
	s_mov_b64 s[6:7], -1
	s_mov_b64 s[4:5], 0
	s_mov_b64 s[0:1], 0
                                        ; implicit-def: $vgpr40_vgpr41
	s_branch .LBB55_1397
.LBB55_1333:
	s_mov_b64 s[0:1], -1
                                        ; implicit-def: $vgpr40_vgpr41
	s_branch .LBB55_1340
.LBB55_1334:
	s_trap 2
	s_or_b64 s[50:51], s[50:51], exec
	s_cbranch_execz .LBB55_1259
	s_branch .LBB55_1260
.LBB55_1335:
	s_mov_b64 s[6:7], -1
	s_mov_b64 s[4:5], 0
	s_mov_b64 s[0:1], 0
                                        ; implicit-def: $vgpr40_vgpr41
	s_branch .LBB55_1390
.LBB55_1336:
	s_mov_b64 s[0:1], -1
                                        ; implicit-def: $vgpr40_vgpr41
.LBB55_1337:
	s_andn2_b64 vcc, exec, s[0:1]
	s_cbranch_vccnz .LBB55_1339
; %bb.1338:
	global_load_dwordx2 v[8:9], v[6:7], off
	s_waitcnt vmcnt(0)
	v_cvt_f64_f32_e32 v[38:39], v8
	v_cvt_f64_f32_e32 v[40:41], v9
.LBB55_1339:
	s_mov_b64 s[0:1], 0
.LBB55_1340:
	s_andn2_b64 vcc, exec, s[0:1]
	s_cbranch_vccnz .LBB55_1342
; %bb.1341:
	global_load_dword v5, v[6:7], off
	s_waitcnt vmcnt(0)
	v_cvt_f32_f16_e32 v8, v5
	v_cvt_f32_f16_sdwa v5, v5 dst_sel:DWORD dst_unused:UNUSED_PAD src0_sel:WORD_1
	v_cvt_f64_f32_e32 v[38:39], v8
	v_cvt_f64_f32_e32 v[40:41], v5
.LBB55_1342:
	s_mov_b64 s[0:1], 0
.LBB55_1343:
	s_andn2_b64 vcc, exec, s[0:1]
	s_cbranch_vccnz .LBB55_1355
; %bb.1344:
	s_cmp_lt_i32 s10, 6
	s_cbranch_scc1 .LBB55_1347
; %bb.1345:
	s_cmp_gt_i32 s10, 6
	s_cbranch_scc0 .LBB55_1348
; %bb.1346:
	global_load_dwordx2 v[38:39], v[6:7], off
	s_mov_b64 s[0:1], 0
	s_branch .LBB55_1349
.LBB55_1347:
	s_mov_b64 s[0:1], -1
                                        ; implicit-def: $vgpr38_vgpr39
	s_branch .LBB55_1352
.LBB55_1348:
	s_mov_b64 s[0:1], -1
                                        ; implicit-def: $vgpr38_vgpr39
.LBB55_1349:
	s_andn2_b64 vcc, exec, s[0:1]
	s_cbranch_vccnz .LBB55_1351
; %bb.1350:
	global_load_dword v5, v[6:7], off
	s_waitcnt vmcnt(0)
	v_cvt_f64_f32_e32 v[38:39], v5
.LBB55_1351:
	s_mov_b64 s[0:1], 0
.LBB55_1352:
	s_andn2_b64 vcc, exec, s[0:1]
	s_cbranch_vccnz .LBB55_1354
; %bb.1353:
	global_load_ushort v5, v[6:7], off
	s_waitcnt vmcnt(0)
	v_cvt_f32_f16_e32 v5, v5
	v_cvt_f64_f32_e32 v[38:39], v5
.LBB55_1354:
	s_waitcnt vmcnt(0)
	v_mov_b64_e32 v[40:41], 0
.LBB55_1355:
	s_mov_b64 s[0:1], 0
.LBB55_1356:
	s_andn2_b64 vcc, exec, s[0:1]
	s_cbranch_vccnz .LBB55_1377
; %bb.1357:
	s_cmp_lt_i32 s10, 2
	s_cbranch_scc1 .LBB55_1361
; %bb.1358:
	s_cmp_lt_i32 s10, 3
	s_cbranch_scc1 .LBB55_1362
; %bb.1359:
	s_cmp_gt_i32 s10, 3
	s_cbranch_scc0 .LBB55_1363
; %bb.1360:
	global_load_dwordx2 v[8:9], v[6:7], off
	s_mov_b64 s[0:1], 0
	s_waitcnt vmcnt(0)
	v_cvt_f64_i32_e32 v[10:11], v9
	v_cvt_f64_u32_e32 v[8:9], v8
	v_ldexp_f64 v[10:11], v[10:11], 32
	v_add_f64 v[38:39], v[10:11], v[8:9]
	s_branch .LBB55_1364
.LBB55_1361:
	s_mov_b64 s[0:1], -1
                                        ; implicit-def: $vgpr38_vgpr39
	s_branch .LBB55_1370
.LBB55_1362:
	s_mov_b64 s[0:1], -1
                                        ; implicit-def: $vgpr38_vgpr39
	s_branch .LBB55_1367
.LBB55_1363:
	s_mov_b64 s[0:1], -1
                                        ; implicit-def: $vgpr38_vgpr39
.LBB55_1364:
	s_andn2_b64 vcc, exec, s[0:1]
	s_cbranch_vccnz .LBB55_1366
; %bb.1365:
	global_load_dword v5, v[6:7], off
	s_waitcnt vmcnt(0)
	v_cvt_f64_i32_e32 v[38:39], v5
.LBB55_1366:
	s_mov_b64 s[0:1], 0
.LBB55_1367:
	s_andn2_b64 vcc, exec, s[0:1]
	s_cbranch_vccnz .LBB55_1369
; %bb.1368:
	global_load_sshort v5, v[6:7], off
	s_waitcnt vmcnt(0)
	v_cvt_f64_i32_e32 v[38:39], v5
.LBB55_1369:
	s_mov_b64 s[0:1], 0
.LBB55_1370:
	s_andn2_b64 vcc, exec, s[0:1]
	s_cbranch_vccnz .LBB55_1376
; %bb.1371:
	s_cmp_gt_i32 s10, 0
	s_cbranch_scc0 .LBB55_1373
; %bb.1372:
	global_load_sbyte v5, v[6:7], off
	s_mov_b64 s[0:1], 0
	s_waitcnt vmcnt(0)
	v_cvt_f64_i32_e32 v[38:39], v5
	s_branch .LBB55_1374
.LBB55_1373:
	s_mov_b64 s[0:1], -1
                                        ; implicit-def: $vgpr38_vgpr39
.LBB55_1374:
	s_andn2_b64 vcc, exec, s[0:1]
	s_cbranch_vccnz .LBB55_1376
; %bb.1375:
	global_load_ubyte v5, v[6:7], off
	s_waitcnt vmcnt(0)
	v_cvt_f64_u32_e32 v[38:39], v5
.LBB55_1376:
	s_waitcnt vmcnt(0)
	v_mov_b64_e32 v[40:41], 0
.LBB55_1377:
.LBB55_1378:
	v_add_u32_e32 v4, s11, v4
	v_ashrrev_i32_e32 v5, 31, v4
	s_cmp_lt_i32 s10, 11
	v_lshl_add_u64 v[4:5], s[38:39], 0, v[4:5]
	s_cbranch_scc1 .LBB55_1385
; %bb.1379:
	s_cmp_gt_i32 s10, 25
	s_mov_b64 s[2:3], 0
	s_cbranch_scc0 .LBB55_1386
; %bb.1380:
	s_cmp_gt_i32 s10, 28
	s_cbranch_scc0 .LBB55_1387
; %bb.1381:
	s_cmp_gt_i32 s10, 43
	;; [unrolled: 3-line block ×3, first 2 shown]
	s_cbranch_scc0 .LBB55_1393
; %bb.1383:
	s_cmp_eq_u32 s10, 46
	s_mov_b64 s[6:7], 0
	s_cbranch_scc0 .LBB55_1456
; %bb.1384:
	global_load_dword v6, v[4:5], off
	s_mov_b64 s[0:1], 0
	s_mov_b64 s[4:5], -1
	s_waitcnt vmcnt(0)
	v_and_b32_e32 v7, 0xffff0000, v6
	v_lshlrev_b32_e32 v6, 16, v6
	v_cvt_f64_f32_e32 v[34:35], v6
	v_cvt_f64_f32_e32 v[36:37], v7
	s_branch .LBB55_1457
.LBB55_1385:
	s_mov_b64 s[0:1], -1
	s_mov_b64 s[4:5], 0
                                        ; implicit-def: $vgpr36_vgpr37
	s_branch .LBB55_1507
.LBB55_1386:
	s_mov_b64 s[6:7], -1
	s_mov_b64 s[4:5], 0
	s_mov_b64 s[0:1], 0
                                        ; implicit-def: $vgpr36_vgpr37
	s_branch .LBB55_1490
.LBB55_1387:
	s_mov_b64 s[6:7], -1
	s_mov_b64 s[4:5], 0
	s_mov_b64 s[0:1], 0
                                        ; implicit-def: $vgpr36_vgpr37
	s_branch .LBB55_1469
.LBB55_1388:
	s_mov_b64 s[6:7], -1
	s_mov_b64 s[4:5], 0
	s_mov_b64 s[0:1], 0
                                        ; implicit-def: $vgpr36_vgpr37
	s_branch .LBB55_1463
.LBB55_1389:
	s_mov_b64 s[0:1], -1
                                        ; implicit-def: $vgpr40_vgpr41
	s_mov_b64 s[4:5], 0
.LBB55_1390:
	s_and_b64 vcc, exec, s[6:7]
	s_cbranch_vccz .LBB55_1396
; %bb.1391:
	s_cmp_eq_u32 s10, 44
	s_cbranch_scc0 .LBB55_1394
; %bb.1392:
	global_load_ubyte v5, v[6:7], off
	s_movk_i32 s4, 0xff
	v_bfrev_b32_e32 v10, 4
	v_mov_b32_e32 v11, 0x7ff80000
	v_bfrev_b32_e32 v12, 28
	s_mov_b64 s[0:1], 0
	s_waitcnt vmcnt(0)
	v_lshlrev_b32_e32 v8, 23, v5
	v_cvt_f64_f32_e32 v[8:9], v8
	v_cmp_ne_u32_e32 vcc, s4, v5
	s_mov_b64 s[4:5], -1
	s_nop 0
	v_cndmask_b32_e32 v8, v10, v8, vcc
	v_cndmask_b32_e32 v9, v11, v9, vcc
	v_cmp_ne_u32_e32 vcc, 0, v5
	s_nop 1
	v_cndmask_b32_e32 v39, v12, v9, vcc
	v_cndmask_b32_e32 v38, 0, v8, vcc
	s_branch .LBB55_1395
.LBB55_1393:
	s_mov_b64 s[6:7], -1
	s_mov_b64 s[4:5], 0
	s_mov_b64 s[0:1], 0
                                        ; implicit-def: $vgpr36_vgpr37
	s_branch .LBB55_1457
.LBB55_1394:
	s_mov_b64 s[0:1], -1
                                        ; implicit-def: $vgpr38_vgpr39
.LBB55_1395:
	v_mov_b64_e32 v[40:41], 0
.LBB55_1396:
	s_mov_b64 s[6:7], 0
.LBB55_1397:
	s_and_b64 vcc, exec, s[6:7]
	s_cbranch_vccz .LBB55_1402
; %bb.1398:
	s_cmp_eq_u32 s10, 29
	s_cbranch_scc0 .LBB55_1400
; %bb.1399:
	global_load_dwordx2 v[8:9], v[6:7], off
	s_mov_b64 s[0:1], 0
	s_mov_b64 s[4:5], -1
	s_waitcnt vmcnt(0)
	v_cvt_f64_u32_e32 v[10:11], v9
	v_cvt_f64_u32_e32 v[8:9], v8
	v_ldexp_f64 v[10:11], v[10:11], 32
	v_add_f64 v[38:39], v[10:11], v[8:9]
	s_branch .LBB55_1401
.LBB55_1400:
	s_mov_b64 s[0:1], -1
                                        ; implicit-def: $vgpr38_vgpr39
.LBB55_1401:
	v_mov_b64_e32 v[40:41], 0
.LBB55_1402:
	s_mov_b64 s[6:7], 0
.LBB55_1403:
	s_and_b64 vcc, exec, s[6:7]
	s_cbranch_vccz .LBB55_1423
; %bb.1404:
	s_cmp_lt_i32 s10, 27
	s_cbranch_scc1 .LBB55_1407
; %bb.1405:
	s_cmp_gt_i32 s10, 27
	s_cbranch_scc0 .LBB55_1408
; %bb.1406:
	global_load_dword v5, v[6:7], off
	s_mov_b64 s[4:5], 0
	s_waitcnt vmcnt(0)
	v_cvt_f64_u32_e32 v[38:39], v5
	s_branch .LBB55_1409
.LBB55_1407:
	s_mov_b64 s[4:5], -1
                                        ; implicit-def: $vgpr38_vgpr39
	s_branch .LBB55_1412
.LBB55_1408:
	s_mov_b64 s[4:5], -1
                                        ; implicit-def: $vgpr38_vgpr39
.LBB55_1409:
	s_andn2_b64 vcc, exec, s[4:5]
	s_cbranch_vccnz .LBB55_1411
; %bb.1410:
	global_load_ushort v5, v[6:7], off
	s_waitcnt vmcnt(0)
	v_cvt_f64_u32_e32 v[38:39], v5
.LBB55_1411:
	s_mov_b64 s[4:5], 0
.LBB55_1412:
	s_andn2_b64 vcc, exec, s[4:5]
	s_cbranch_vccnz .LBB55_1422
; %bb.1413:
	global_load_ubyte v5, v[6:7], off
	s_movk_i32 s4, 0x7f
	s_waitcnt vmcnt(0)
	v_cmp_lt_i16_e32 vcc, s4, v5
	s_mov_b64 s[4:5], 0
	s_and_saveexec_b64 s[6:7], vcc
	s_xor_b64 s[6:7], exec, s[6:7]
	s_cbranch_execz .LBB55_1417
; %bb.1414:
	s_movk_i32 s4, 0x80
	v_cmp_eq_u16_e32 vcc, s4, v5
	s_mov_b64 s[4:5], -1
	s_and_saveexec_b64 s[8:9], vcc
; %bb.1415:
	s_xor_b64 s[4:5], exec, -1
; %bb.1416:
	s_or_b64 exec, exec, s[8:9]
	s_and_b64 s[4:5], s[4:5], exec
.LBB55_1417:
	s_or_saveexec_b64 s[6:7], s[6:7]
	v_bfrev_b32_e32 v38, 4
	v_mov_b32_e32 v39, 0x7ff80000
	s_xor_b64 exec, exec, s[6:7]
; %bb.1418:
	v_cmp_ne_u16_e32 vcc, 0, v5
	s_andn2_b64 s[4:5], s[4:5], exec
	s_and_b64 s[8:9], vcc, exec
	v_mov_b64_e32 v[38:39], 0
	s_or_b64 s[4:5], s[4:5], s[8:9]
; %bb.1419:
	s_or_b64 exec, exec, s[6:7]
	s_and_saveexec_b64 s[6:7], s[4:5]
	s_cbranch_execz .LBB55_1421
; %bb.1420:
	v_lshlrev_b32_e32 v8, 24, v5
	v_and_b32_e32 v5, 0xffff, v5
	v_and_b32_e32 v9, 7, v5
	v_ffbh_u32_e32 v11, v9
	v_min_u32_e32 v11, 32, v11
	v_subrev_u32_e32 v12, 28, v11
	v_bfe_u32 v10, v5, 3, 4
	v_lshlrev_b32_e32 v5, v12, v5
	v_sub_u32_e32 v11, 29, v11
	v_and_b32_e32 v5, 7, v5
	v_cmp_eq_u32_e32 vcc, 0, v10
	v_and_b32_e32 v8, 0x80000000, v8
	s_nop 0
	v_cndmask_b32_e32 v10, v10, v11, vcc
	v_cndmask_b32_e32 v5, v9, v5, vcc
	v_mov_b32_e32 v9, 0x3b800000
	v_lshlrev_b32_e32 v5, 20, v5
	v_lshl_add_u32 v9, v10, 23, v9
	v_or3_b32 v5, v8, v9, v5
	v_cvt_f64_f32_e32 v[38:39], v5
.LBB55_1421:
	s_or_b64 exec, exec, s[6:7]
.LBB55_1422:
	s_mov_b64 s[4:5], -1
	v_mov_b64_e32 v[40:41], 0
.LBB55_1423:
	s_branch .LBB55_1320
.LBB55_1424:
	s_cmp_gt_i32 s10, 22
	s_cbranch_scc0 .LBB55_1436
; %bb.1425:
	s_cmp_lt_i32 s10, 24
	s_cbranch_scc1 .LBB55_1437
; %bb.1426:
	s_cmp_gt_i32 s10, 24
	s_cbranch_scc0 .LBB55_1438
; %bb.1427:
	global_load_ubyte v5, v[6:7], off
	s_movk_i32 s2, 0x7f
	s_waitcnt vmcnt(0)
	v_cmp_lt_i16_e32 vcc, s2, v5
	s_mov_b64 s[2:3], 0
	s_and_saveexec_b64 s[4:5], vcc
	s_xor_b64 s[4:5], exec, s[4:5]
	s_cbranch_execz .LBB55_1431
; %bb.1428:
	s_movk_i32 s2, 0x80
	v_cmp_eq_u16_e32 vcc, s2, v5
	s_mov_b64 s[2:3], -1
	s_and_saveexec_b64 s[6:7], vcc
; %bb.1429:
	s_xor_b64 s[2:3], exec, -1
; %bb.1430:
	s_or_b64 exec, exec, s[6:7]
	s_and_b64 s[2:3], s[2:3], exec
.LBB55_1431:
	s_or_saveexec_b64 s[4:5], s[4:5]
	v_bfrev_b32_e32 v38, 4
	v_mov_b32_e32 v39, 0x7ff80000
	s_xor_b64 exec, exec, s[4:5]
; %bb.1432:
	v_cmp_ne_u16_e32 vcc, 0, v5
	s_andn2_b64 s[2:3], s[2:3], exec
	s_and_b64 s[6:7], vcc, exec
	v_mov_b64_e32 v[38:39], 0
	s_or_b64 s[2:3], s[2:3], s[6:7]
; %bb.1433:
	s_or_b64 exec, exec, s[4:5]
	s_and_saveexec_b64 s[4:5], s[2:3]
	s_cbranch_execz .LBB55_1435
; %bb.1434:
	v_lshlrev_b32_e32 v8, 24, v5
	v_and_b32_e32 v5, 0xffff, v5
	v_and_b32_e32 v9, 3, v5
	v_ffbh_u32_e32 v11, v9
	v_min_u32_e32 v11, 32, v11
	v_subrev_u32_e32 v12, 29, v11
	v_bfe_u32 v10, v5, 2, 5
	v_lshlrev_b32_e32 v5, v12, v5
	v_sub_u32_e32 v11, 30, v11
	v_and_b32_e32 v5, 3, v5
	v_cmp_eq_u32_e32 vcc, 0, v10
	v_and_b32_e32 v8, 0x80000000, v8
	s_nop 0
	v_cndmask_b32_e32 v10, v10, v11, vcc
	v_cndmask_b32_e32 v5, v9, v5, vcc
	v_mov_b32_e32 v9, 0x37800000
	v_lshlrev_b32_e32 v5, 21, v5
	v_lshl_add_u32 v9, v10, 23, v9
	v_or3_b32 v5, v8, v9, v5
	v_cvt_f64_f32_e32 v[38:39], v5
.LBB55_1435:
	s_or_b64 exec, exec, s[4:5]
	s_mov_b64 s[2:3], 0
	s_branch .LBB55_1439
.LBB55_1436:
	s_mov_b64 s[2:3], -1
                                        ; implicit-def: $vgpr38_vgpr39
	s_branch .LBB55_1445
.LBB55_1437:
	s_mov_b64 s[2:3], -1
                                        ; implicit-def: $vgpr38_vgpr39
	s_branch .LBB55_1442
.LBB55_1438:
	s_mov_b64 s[2:3], -1
                                        ; implicit-def: $vgpr38_vgpr39
.LBB55_1439:
	s_and_b64 vcc, exec, s[2:3]
	s_cbranch_vccz .LBB55_1441
; %bb.1440:
	global_load_ubyte v5, v[6:7], off
	s_mov_b32 s2, 0x7f800000
	s_waitcnt vmcnt(0)
	v_lshlrev_b32_e32 v5, 24, v5
	v_and_b32_e32 v8, 0x7f000000, v5
	v_ffbh_u32_e32 v9, v8
	v_min_u32_e32 v9, 32, v9
	v_sub_u32_e64 v9, v9, 4 clamp
	v_lshlrev_b32_e32 v11, v9, v8
	v_lshlrev_b32_e32 v9, 23, v9
	v_lshrrev_b32_e32 v11, 4, v11
	v_add_u32_e32 v10, 0x1000000, v8
	v_sub_u32_e32 v9, v11, v9
	v_ashrrev_i32_e32 v10, 8, v10
	v_add_u32_e32 v9, 0x3c000000, v9
	v_and_or_b32 v9, v10, s2, v9
	v_cmp_ne_u32_e32 vcc, 0, v8
	s_brev_b32 s2, 1
	s_nop 0
	v_cndmask_b32_e32 v8, 0, v9, vcc
	v_and_or_b32 v5, v5, s2, v8
	v_cvt_f64_f32_e32 v[38:39], v5
.LBB55_1441:
	s_mov_b64 s[2:3], 0
.LBB55_1442:
	s_andn2_b64 vcc, exec, s[2:3]
	s_cbranch_vccnz .LBB55_1444
; %bb.1443:
	global_load_ubyte v5, v[6:7], off
	s_movk_i32 s2, 0x7f00
	s_brev_b32 s3, 16
	s_waitcnt vmcnt(0)
	v_lshlrev_b16_e32 v8, 8, v5
	v_lshlrev_b32_e32 v5, 25, v5
	v_lshrrev_b32_e32 v9, 4, v5
	v_and_or_b32 v10, v8, s2, 0.5
	v_or_b32_e32 v9, 0x70000000, v9
	v_add_f32_e32 v10, -0.5, v10
	v_mul_f32_e32 v9, 0x7800000, v9
	v_cmp_gt_u32_e32 vcc, s3, v5
	v_bfe_i32 v8, v8, 0, 16
	s_brev_b32 s2, 1
	v_cndmask_b32_e32 v5, v9, v10, vcc
	v_and_or_b32 v5, v8, s2, v5
	v_cvt_f64_f32_e32 v[38:39], v5
.LBB55_1444:
	s_mov_b64 s[2:3], 0
	s_mov_b64 s[4:5], -1
.LBB55_1445:
	s_andn2_b64 vcc, exec, s[2:3]
	s_mov_b64 s[2:3], 0
	s_cbranch_vccnz .LBB55_1454
; %bb.1446:
	s_cmp_gt_i32 s10, 14
	s_cbranch_scc0 .LBB55_1449
; %bb.1447:
	s_cmp_eq_u32 s10, 15
	s_cbranch_scc0 .LBB55_1450
; %bb.1448:
	global_load_ushort v5, v[6:7], off
	s_mov_b64 s[0:1], 0
	s_mov_b64 s[4:5], -1
	s_waitcnt vmcnt(0)
	v_lshlrev_b32_e32 v5, 16, v5
	v_cvt_f64_f32_e32 v[38:39], v5
	s_branch .LBB55_1451
.LBB55_1449:
	s_mov_b64 s[6:7], -1
                                        ; implicit-def: $vgpr38_vgpr39
	s_branch .LBB55_1452
.LBB55_1450:
	s_mov_b64 s[0:1], -1
                                        ; implicit-def: $vgpr38_vgpr39
.LBB55_1451:
	s_mov_b64 s[6:7], 0
.LBB55_1452:
	s_and_b64 vcc, exec, s[6:7]
	s_cbranch_vccz .LBB55_1454
; %bb.1453:
	s_cmp_lg_u32 s10, 11
	s_mov_b64 s[2:3], -1
	s_cselect_b64 s[0:1], -1, 0
.LBB55_1454:
	v_mov_b64_e32 v[40:41], 0
	s_and_b64 vcc, exec, s[0:1]
	s_cbranch_vccz .LBB55_1321
.LBB55_1455:
	s_trap 2
	s_or_b64 s[50:51], s[50:51], exec
	s_cbranch_execz .LBB55_1322
	s_branch .LBB55_1323
.LBB55_1456:
	s_mov_b64 s[0:1], -1
                                        ; implicit-def: $vgpr36_vgpr37
	s_mov_b64 s[4:5], 0
.LBB55_1457:
	s_and_b64 vcc, exec, s[6:7]
	s_cbranch_vccz .LBB55_1462
; %bb.1458:
	s_cmp_eq_u32 s10, 44
	s_cbranch_scc0 .LBB55_1460
; %bb.1459:
	global_load_ubyte v8, v[4:5], off
	s_movk_i32 s4, 0xff
	v_bfrev_b32_e32 v9, 4
	v_mov_b32_e32 v10, 0x7ff80000
	v_bfrev_b32_e32 v11, 28
	s_mov_b64 s[0:1], 0
	s_waitcnt vmcnt(0)
	v_lshlrev_b32_e32 v6, 23, v8
	v_cvt_f64_f32_e32 v[6:7], v6
	v_cmp_ne_u32_e32 vcc, s4, v8
	s_mov_b64 s[4:5], -1
	s_nop 0
	v_cndmask_b32_e32 v6, v9, v6, vcc
	v_cndmask_b32_e32 v7, v10, v7, vcc
	v_cmp_ne_u32_e32 vcc, 0, v8
	s_nop 1
	v_cndmask_b32_e32 v35, v11, v7, vcc
	v_cndmask_b32_e32 v34, 0, v6, vcc
	s_branch .LBB55_1461
.LBB55_1460:
	s_mov_b64 s[0:1], -1
                                        ; implicit-def: $vgpr34_vgpr35
.LBB55_1461:
	v_mov_b64_e32 v[36:37], 0
.LBB55_1462:
	s_mov_b64 s[6:7], 0
.LBB55_1463:
	s_and_b64 vcc, exec, s[6:7]
	s_cbranch_vccz .LBB55_1468
; %bb.1464:
	s_cmp_eq_u32 s10, 29
	s_cbranch_scc0 .LBB55_1466
; %bb.1465:
	global_load_dwordx2 v[6:7], v[4:5], off
	s_mov_b64 s[0:1], 0
	s_mov_b64 s[4:5], -1
	s_waitcnt vmcnt(0)
	v_cvt_f64_u32_e32 v[8:9], v7
	v_cvt_f64_u32_e32 v[6:7], v6
	v_ldexp_f64 v[8:9], v[8:9], 32
	v_add_f64 v[34:35], v[8:9], v[6:7]
	s_branch .LBB55_1467
.LBB55_1466:
	s_mov_b64 s[0:1], -1
                                        ; implicit-def: $vgpr34_vgpr35
.LBB55_1467:
	v_mov_b64_e32 v[36:37], 0
.LBB55_1468:
	s_mov_b64 s[6:7], 0
.LBB55_1469:
	s_and_b64 vcc, exec, s[6:7]
	s_cbranch_vccz .LBB55_1489
; %bb.1470:
	s_cmp_lt_i32 s10, 27
	s_cbranch_scc1 .LBB55_1473
; %bb.1471:
	s_cmp_gt_i32 s10, 27
	s_cbranch_scc0 .LBB55_1474
; %bb.1472:
	global_load_dword v6, v[4:5], off
	s_mov_b64 s[4:5], 0
	s_waitcnt vmcnt(0)
	v_cvt_f64_u32_e32 v[34:35], v6
	s_branch .LBB55_1475
.LBB55_1473:
	s_mov_b64 s[4:5], -1
                                        ; implicit-def: $vgpr34_vgpr35
	s_branch .LBB55_1478
.LBB55_1474:
	s_mov_b64 s[4:5], -1
                                        ; implicit-def: $vgpr34_vgpr35
.LBB55_1475:
	s_andn2_b64 vcc, exec, s[4:5]
	s_cbranch_vccnz .LBB55_1477
; %bb.1476:
	global_load_ushort v6, v[4:5], off
	s_waitcnt vmcnt(0)
	v_cvt_f64_u32_e32 v[34:35], v6
.LBB55_1477:
	s_mov_b64 s[4:5], 0
.LBB55_1478:
	s_andn2_b64 vcc, exec, s[4:5]
	s_cbranch_vccnz .LBB55_1488
; %bb.1479:
	global_load_ubyte v6, v[4:5], off
	s_movk_i32 s4, 0x7f
	s_waitcnt vmcnt(0)
	v_cmp_lt_i16_e32 vcc, s4, v6
	s_mov_b64 s[4:5], 0
	s_and_saveexec_b64 s[6:7], vcc
	s_xor_b64 s[6:7], exec, s[6:7]
	s_cbranch_execz .LBB55_1483
; %bb.1480:
	s_movk_i32 s4, 0x80
	v_cmp_eq_u16_e32 vcc, s4, v6
	s_mov_b64 s[4:5], -1
	s_and_saveexec_b64 s[8:9], vcc
; %bb.1481:
	s_xor_b64 s[4:5], exec, -1
; %bb.1482:
	s_or_b64 exec, exec, s[8:9]
	s_and_b64 s[4:5], s[4:5], exec
.LBB55_1483:
	s_or_saveexec_b64 s[6:7], s[6:7]
	v_bfrev_b32_e32 v34, 4
	v_mov_b32_e32 v35, 0x7ff80000
	s_xor_b64 exec, exec, s[6:7]
; %bb.1484:
	v_cmp_ne_u16_e32 vcc, 0, v6
	s_andn2_b64 s[4:5], s[4:5], exec
	s_and_b64 s[8:9], vcc, exec
	v_mov_b64_e32 v[34:35], 0
	s_or_b64 s[4:5], s[4:5], s[8:9]
; %bb.1485:
	s_or_b64 exec, exec, s[6:7]
	s_and_saveexec_b64 s[6:7], s[4:5]
	s_cbranch_execz .LBB55_1487
; %bb.1486:
	v_lshlrev_b32_e32 v7, 24, v6
	v_and_b32_e32 v6, 0xffff, v6
	v_and_b32_e32 v8, 7, v6
	v_ffbh_u32_e32 v10, v8
	v_min_u32_e32 v10, 32, v10
	v_subrev_u32_e32 v11, 28, v10
	v_bfe_u32 v9, v6, 3, 4
	v_lshlrev_b32_e32 v6, v11, v6
	v_sub_u32_e32 v10, 29, v10
	v_and_b32_e32 v6, 7, v6
	v_cmp_eq_u32_e32 vcc, 0, v9
	v_and_b32_e32 v7, 0x80000000, v7
	s_nop 0
	v_cndmask_b32_e32 v9, v9, v10, vcc
	v_cndmask_b32_e32 v6, v8, v6, vcc
	v_mov_b32_e32 v8, 0x3b800000
	v_lshlrev_b32_e32 v6, 20, v6
	v_lshl_add_u32 v8, v9, 23, v8
	v_or3_b32 v6, v7, v8, v6
	v_cvt_f64_f32_e32 v[34:35], v6
.LBB55_1487:
	s_or_b64 exec, exec, s[6:7]
.LBB55_1488:
	s_mov_b64 s[4:5], -1
	v_mov_b64_e32 v[36:37], 0
.LBB55_1489:
	s_mov_b64 s[6:7], 0
.LBB55_1490:
	s_and_b64 vcc, exec, s[6:7]
	s_cbranch_vccz .LBB55_1503
; %bb.1491:
	s_cmp_gt_i32 s10, 22
	s_cbranch_scc0 .LBB55_1514
; %bb.1492:
	s_cmp_lt_i32 s10, 24
	s_cbranch_scc1 .LBB55_1516
; %bb.1493:
	s_cmp_gt_i32 s10, 24
	s_cbranch_scc0 .LBB55_1518
; %bb.1494:
	global_load_ubyte v6, v[4:5], off
	s_movk_i32 s2, 0x7f
	s_waitcnt vmcnt(0)
	v_cmp_lt_i16_e32 vcc, s2, v6
	s_mov_b64 s[2:3], 0
	s_and_saveexec_b64 s[4:5], vcc
	s_xor_b64 s[4:5], exec, s[4:5]
	s_cbranch_execz .LBB55_1498
; %bb.1495:
	s_movk_i32 s2, 0x80
	v_cmp_eq_u16_e32 vcc, s2, v6
	s_mov_b64 s[2:3], -1
	s_and_saveexec_b64 s[6:7], vcc
; %bb.1496:
	s_xor_b64 s[2:3], exec, -1
; %bb.1497:
	s_or_b64 exec, exec, s[6:7]
	s_and_b64 s[2:3], s[2:3], exec
.LBB55_1498:
	s_or_saveexec_b64 s[4:5], s[4:5]
	v_bfrev_b32_e32 v34, 4
	v_mov_b32_e32 v35, 0x7ff80000
	s_xor_b64 exec, exec, s[4:5]
; %bb.1499:
	v_cmp_ne_u16_e32 vcc, 0, v6
	s_andn2_b64 s[2:3], s[2:3], exec
	s_and_b64 s[6:7], vcc, exec
	v_mov_b64_e32 v[34:35], 0
	s_or_b64 s[2:3], s[2:3], s[6:7]
; %bb.1500:
	s_or_b64 exec, exec, s[4:5]
	s_and_saveexec_b64 s[4:5], s[2:3]
	s_cbranch_execz .LBB55_1502
; %bb.1501:
	v_lshlrev_b32_e32 v7, 24, v6
	v_and_b32_e32 v6, 0xffff, v6
	v_and_b32_e32 v8, 3, v6
	v_ffbh_u32_e32 v10, v8
	v_min_u32_e32 v10, 32, v10
	v_subrev_u32_e32 v11, 29, v10
	v_bfe_u32 v9, v6, 2, 5
	v_lshlrev_b32_e32 v6, v11, v6
	v_sub_u32_e32 v10, 30, v10
	v_and_b32_e32 v6, 3, v6
	v_cmp_eq_u32_e32 vcc, 0, v9
	v_and_b32_e32 v7, 0x80000000, v7
	s_nop 0
	v_cndmask_b32_e32 v9, v9, v10, vcc
	v_cndmask_b32_e32 v6, v8, v6, vcc
	v_mov_b32_e32 v8, 0x37800000
	v_lshlrev_b32_e32 v6, 21, v6
	v_lshl_add_u32 v8, v9, 23, v8
	v_or3_b32 v6, v7, v8, v6
	v_cvt_f64_f32_e32 v[34:35], v6
.LBB55_1502:
	s_or_b64 exec, exec, s[4:5]
	s_mov_b64 s[2:3], 0
	s_branch .LBB55_1519
.LBB55_1503:
	s_and_b64 vcc, exec, s[0:1]
	s_cbranch_vccnz .LBB55_1547
.LBB55_1504:
	s_andn2_b64 vcc, exec, s[2:3]
	s_cbranch_vccnz .LBB55_1506
.LBB55_1505:
	global_load_ubyte v6, v[4:5], off
	v_mov_b32_e32 v7, 0x3ff00000
	v_mov_b32_e32 v34, 0
	s_mov_b64 s[4:5], -1
	v_mov_b64_e32 v[36:37], 0
	s_waitcnt vmcnt(0)
	v_cmp_ne_u16_e32 vcc, 0, v6
	s_nop 1
	v_cndmask_b32_e32 v35, 0, v7, vcc
.LBB55_1506:
	s_mov_b64 s[0:1], 0
.LBB55_1507:
	s_and_b64 vcc, exec, s[0:1]
	s_cbranch_vccz .LBB55_1578
; %bb.1508:
	s_cmp_lt_i32 s10, 5
	s_cbranch_scc1 .LBB55_1513
; %bb.1509:
	s_cmp_lt_i32 s10, 8
	s_cbranch_scc1 .LBB55_1515
	;; [unrolled: 3-line block ×3, first 2 shown]
; %bb.1511:
	s_cmp_gt_i32 s10, 9
	s_cbranch_scc0 .LBB55_1530
; %bb.1512:
	global_load_dwordx4 v[34:37], v[4:5], off
	s_mov_b64 s[0:1], 0
	s_branch .LBB55_1531
.LBB55_1513:
	s_mov_b64 s[0:1], -1
                                        ; implicit-def: $vgpr36_vgpr37
	s_branch .LBB55_1556
.LBB55_1514:
	s_mov_b64 s[2:3], -1
                                        ; implicit-def: $vgpr34_vgpr35
	s_branch .LBB55_1525
.LBB55_1515:
	s_mov_b64 s[0:1], -1
                                        ; implicit-def: $vgpr36_vgpr37
	s_branch .LBB55_1537
.LBB55_1516:
	s_mov_b64 s[2:3], -1
                                        ; implicit-def: $vgpr34_vgpr35
	s_branch .LBB55_1522
.LBB55_1517:
	s_mov_b64 s[0:1], -1
                                        ; implicit-def: $vgpr36_vgpr37
	s_branch .LBB55_1534
.LBB55_1518:
	s_mov_b64 s[2:3], -1
                                        ; implicit-def: $vgpr34_vgpr35
.LBB55_1519:
	s_and_b64 vcc, exec, s[2:3]
	s_cbranch_vccz .LBB55_1521
; %bb.1520:
	global_load_ubyte v6, v[4:5], off
	s_mov_b32 s2, 0x7f800000
	s_waitcnt vmcnt(0)
	v_lshlrev_b32_e32 v6, 24, v6
	v_and_b32_e32 v7, 0x7f000000, v6
	v_ffbh_u32_e32 v8, v7
	v_min_u32_e32 v8, 32, v8
	v_sub_u32_e64 v8, v8, 4 clamp
	v_lshlrev_b32_e32 v10, v8, v7
	v_lshlrev_b32_e32 v8, 23, v8
	v_lshrrev_b32_e32 v10, 4, v10
	v_add_u32_e32 v9, 0x1000000, v7
	v_sub_u32_e32 v8, v10, v8
	v_ashrrev_i32_e32 v9, 8, v9
	v_add_u32_e32 v8, 0x3c000000, v8
	v_and_or_b32 v8, v9, s2, v8
	v_cmp_ne_u32_e32 vcc, 0, v7
	s_brev_b32 s2, 1
	s_nop 0
	v_cndmask_b32_e32 v7, 0, v8, vcc
	v_and_or_b32 v6, v6, s2, v7
	v_cvt_f64_f32_e32 v[34:35], v6
.LBB55_1521:
	s_mov_b64 s[2:3], 0
.LBB55_1522:
	s_andn2_b64 vcc, exec, s[2:3]
	s_cbranch_vccnz .LBB55_1524
; %bb.1523:
	global_load_ubyte v6, v[4:5], off
	s_movk_i32 s2, 0x7f00
	s_brev_b32 s3, 16
	s_waitcnt vmcnt(0)
	v_lshlrev_b16_e32 v7, 8, v6
	v_lshlrev_b32_e32 v6, 25, v6
	v_lshrrev_b32_e32 v8, 4, v6
	v_and_or_b32 v9, v7, s2, 0.5
	v_or_b32_e32 v8, 0x70000000, v8
	v_add_f32_e32 v9, -0.5, v9
	v_mul_f32_e32 v8, 0x7800000, v8
	v_cmp_gt_u32_e32 vcc, s3, v6
	v_bfe_i32 v7, v7, 0, 16
	s_brev_b32 s2, 1
	v_cndmask_b32_e32 v6, v8, v9, vcc
	v_and_or_b32 v6, v7, s2, v6
	v_cvt_f64_f32_e32 v[34:35], v6
.LBB55_1524:
	s_mov_b64 s[2:3], 0
	s_mov_b64 s[4:5], -1
.LBB55_1525:
	s_andn2_b64 vcc, exec, s[2:3]
	s_mov_b64 s[2:3], 0
	s_cbranch_vccnz .LBB55_1546
; %bb.1526:
	s_cmp_gt_i32 s10, 14
	s_cbranch_scc0 .LBB55_1529
; %bb.1527:
	s_cmp_eq_u32 s10, 15
	s_cbranch_scc0 .LBB55_1542
; %bb.1528:
	global_load_ushort v6, v[4:5], off
	s_mov_b64 s[0:1], 0
	s_mov_b64 s[4:5], -1
	s_waitcnt vmcnt(0)
	v_lshlrev_b32_e32 v6, 16, v6
	v_cvt_f64_f32_e32 v[34:35], v6
	s_branch .LBB55_1543
.LBB55_1529:
	s_mov_b64 s[6:7], -1
                                        ; implicit-def: $vgpr34_vgpr35
	s_branch .LBB55_1544
.LBB55_1530:
	s_mov_b64 s[0:1], -1
                                        ; implicit-def: $vgpr36_vgpr37
.LBB55_1531:
	s_andn2_b64 vcc, exec, s[0:1]
	s_cbranch_vccnz .LBB55_1533
; %bb.1532:
	global_load_dwordx2 v[6:7], v[4:5], off
	s_waitcnt vmcnt(0)
	v_cvt_f64_f32_e32 v[34:35], v6
	v_cvt_f64_f32_e32 v[36:37], v7
.LBB55_1533:
	s_mov_b64 s[0:1], 0
.LBB55_1534:
	s_andn2_b64 vcc, exec, s[0:1]
	s_cbranch_vccnz .LBB55_1536
; %bb.1535:
	global_load_dword v6, v[4:5], off
	s_waitcnt vmcnt(0)
	v_cvt_f32_f16_e32 v7, v6
	v_cvt_f32_f16_sdwa v6, v6 dst_sel:DWORD dst_unused:UNUSED_PAD src0_sel:WORD_1
	v_cvt_f64_f32_e32 v[34:35], v7
	v_cvt_f64_f32_e32 v[36:37], v6
.LBB55_1536:
	s_mov_b64 s[0:1], 0
.LBB55_1537:
	s_andn2_b64 vcc, exec, s[0:1]
	s_cbranch_vccnz .LBB55_1555
; %bb.1538:
	s_cmp_lt_i32 s10, 6
	s_cbranch_scc1 .LBB55_1541
; %bb.1539:
	s_cmp_gt_i32 s10, 6
	s_cbranch_scc0 .LBB55_1548
; %bb.1540:
	global_load_dwordx2 v[34:35], v[4:5], off
	s_mov_b64 s[0:1], 0
	s_branch .LBB55_1549
.LBB55_1541:
	s_mov_b64 s[0:1], -1
                                        ; implicit-def: $vgpr34_vgpr35
	s_branch .LBB55_1552
.LBB55_1542:
	s_mov_b64 s[0:1], -1
                                        ; implicit-def: $vgpr34_vgpr35
.LBB55_1543:
	s_mov_b64 s[6:7], 0
.LBB55_1544:
	s_and_b64 vcc, exec, s[6:7]
	s_cbranch_vccz .LBB55_1546
; %bb.1545:
	s_cmp_lg_u32 s10, 11
	s_mov_b64 s[2:3], -1
	s_cselect_b64 s[0:1], -1, 0
.LBB55_1546:
	v_mov_b64_e32 v[36:37], 0
	s_and_b64 vcc, exec, s[0:1]
	s_cbranch_vccz .LBB55_1504
.LBB55_1547:
	s_trap 2
	s_or_b64 s[50:51], s[50:51], exec
	s_cbranch_execz .LBB55_1505
	s_branch .LBB55_1506
.LBB55_1548:
	s_mov_b64 s[0:1], -1
                                        ; implicit-def: $vgpr34_vgpr35
.LBB55_1549:
	s_andn2_b64 vcc, exec, s[0:1]
	s_cbranch_vccnz .LBB55_1551
; %bb.1550:
	global_load_dword v6, v[4:5], off
	s_waitcnt vmcnt(0)
	v_cvt_f64_f32_e32 v[34:35], v6
.LBB55_1551:
	s_mov_b64 s[0:1], 0
.LBB55_1552:
	s_andn2_b64 vcc, exec, s[0:1]
	s_cbranch_vccnz .LBB55_1554
; %bb.1553:
	global_load_ushort v6, v[4:5], off
	s_waitcnt vmcnt(0)
	v_cvt_f32_f16_e32 v6, v6
	v_cvt_f64_f32_e32 v[34:35], v6
.LBB55_1554:
	s_waitcnt vmcnt(0)
	v_mov_b64_e32 v[36:37], 0
.LBB55_1555:
	s_mov_b64 s[0:1], 0
.LBB55_1556:
	s_andn2_b64 vcc, exec, s[0:1]
	s_cbranch_vccnz .LBB55_1577
; %bb.1557:
	s_cmp_lt_i32 s10, 2
	s_cbranch_scc1 .LBB55_1561
; %bb.1558:
	s_cmp_lt_i32 s10, 3
	s_cbranch_scc1 .LBB55_1562
; %bb.1559:
	s_cmp_gt_i32 s10, 3
	s_cbranch_scc0 .LBB55_1563
; %bb.1560:
	global_load_dwordx2 v[6:7], v[4:5], off
	s_mov_b64 s[0:1], 0
	s_waitcnt vmcnt(0)
	v_cvt_f64_i32_e32 v[8:9], v7
	v_cvt_f64_u32_e32 v[6:7], v6
	v_ldexp_f64 v[8:9], v[8:9], 32
	v_add_f64 v[34:35], v[8:9], v[6:7]
	s_branch .LBB55_1564
.LBB55_1561:
	s_mov_b64 s[0:1], -1
                                        ; implicit-def: $vgpr34_vgpr35
	s_branch .LBB55_1570
.LBB55_1562:
	s_mov_b64 s[0:1], -1
                                        ; implicit-def: $vgpr34_vgpr35
	s_branch .LBB55_1567
.LBB55_1563:
	s_mov_b64 s[0:1], -1
                                        ; implicit-def: $vgpr34_vgpr35
.LBB55_1564:
	s_andn2_b64 vcc, exec, s[0:1]
	s_cbranch_vccnz .LBB55_1566
; %bb.1565:
	global_load_dword v6, v[4:5], off
	s_waitcnt vmcnt(0)
	v_cvt_f64_i32_e32 v[34:35], v6
.LBB55_1566:
	s_mov_b64 s[0:1], 0
.LBB55_1567:
	s_andn2_b64 vcc, exec, s[0:1]
	s_cbranch_vccnz .LBB55_1569
; %bb.1568:
	global_load_sshort v6, v[4:5], off
	s_waitcnt vmcnt(0)
	v_cvt_f64_i32_e32 v[34:35], v6
.LBB55_1569:
	s_mov_b64 s[0:1], 0
.LBB55_1570:
	s_andn2_b64 vcc, exec, s[0:1]
	s_cbranch_vccnz .LBB55_1576
; %bb.1571:
	s_cmp_gt_i32 s10, 0
	s_cbranch_scc0 .LBB55_1573
; %bb.1572:
	global_load_sbyte v6, v[4:5], off
	s_mov_b64 s[0:1], 0
	s_waitcnt vmcnt(0)
	v_cvt_f64_i32_e32 v[34:35], v6
	s_branch .LBB55_1574
.LBB55_1573:
	s_mov_b64 s[0:1], -1
                                        ; implicit-def: $vgpr34_vgpr35
.LBB55_1574:
	s_andn2_b64 vcc, exec, s[0:1]
	s_cbranch_vccnz .LBB55_1576
; %bb.1575:
	global_load_ubyte v4, v[4:5], off
	s_waitcnt vmcnt(0)
	v_cvt_f64_u32_e32 v[34:35], v4
.LBB55_1576:
	s_waitcnt vmcnt(0)
	v_mov_b64_e32 v[36:37], 0
.LBB55_1577:
	s_mov_b64 s[4:5], -1
.LBB55_1578:
	s_andn2_b64 vcc, exec, s[4:5]
	s_cbranch_vccnz .LBB55_2012
; %bb.1579:
	s_getpc_b64 s[0:1]
	s_add_u32 s0, s0, _ZZZZN2at6native15exp_kernel_cudaERNS_18TensorIteratorBaseEENKUlvE_clEvENKUlvE_clEvENKUlN3c107complexIdEEE_clES7_@rel32@lo+4
	s_addc_u32 s1, s1, _ZZZZN2at6native15exp_kernel_cudaERNS_18TensorIteratorBaseEENKUlvE_clEvENKUlvE_clEvENKUlN3c107complexIdEEE_clES7_@rel32@hi+12
	s_swappc_b64 s[30:31], s[0:1]
	v_mul_lo_u32 v46, s34, v46
	v_ashrrev_i32_e32 v47, 31, v46
	s_and_b32 s52, s33, 0xff
	s_cmp_lt_i32 s52, 11
	v_lshl_add_u64 v[4:5], s[36:37], 0, v[46:47]
	s_cbranch_scc1 .LBB55_1657
; %bb.1580:
	s_and_b32 s10, 0xffff, s52
	s_mov_b64 s[6:7], -1
	s_mov_b64 s[2:3], 0
	s_cmp_gt_i32 s10, 25
	s_mov_b64 s[4:5], 0
	s_mov_b64 s[0:1], 0
	s_cbranch_scc0 .LBB55_1613
; %bb.1581:
	s_cmp_gt_i32 s10, 28
	s_cbranch_scc0 .LBB55_1596
; %bb.1582:
	s_cmp_gt_i32 s10, 43
	;; [unrolled: 3-line block ×3, first 2 shown]
	s_cbranch_scc0 .LBB55_1586
; %bb.1584:
	s_mov_b64 s[0:1], -1
	s_mov_b64 s[6:7], 0
	s_cmp_eq_u32 s10, 46
	s_cbranch_scc0 .LBB55_1586
; %bb.1585:
	v_cvt_f32_f64_e32 v7, v[2:3]
	s_movk_i32 s0, 0x7fff
	v_bfe_u32 v9, v7, 16, 1
	v_cvt_f32_f64_e32 v6, v[0:1]
	v_add3_u32 v9, v7, v9, s0
	v_bfe_u32 v8, v6, 16, 1
	v_and_b32_e32 v9, 0xffff0000, v9
	v_mov_b32_e32 v10, 0x7fc00000
	v_cmp_o_f32_e32 vcc, v7, v7
	v_add3_u32 v8, v6, v8, s0
	s_mov_b64 s[0:1], 0
	v_cndmask_b32_e32 v7, v10, v9, vcc
	v_cmp_o_f32_e32 vcc, v6, v6
	v_mov_b32_e32 v6, 0x7fc0
	s_mov_b64 s[4:5], -1
	v_cndmask_b32_sdwa v6, v6, v8, vcc dst_sel:DWORD dst_unused:UNUSED_PAD src0_sel:DWORD src1_sel:WORD_1
	v_or_b32_e32 v6, v7, v6
	global_store_dword v[4:5], v6, off
.LBB55_1586:
	s_and_b64 vcc, exec, s[6:7]
	s_cbranch_vccz .LBB55_1591
; %bb.1587:
	s_cmp_eq_u32 s10, 44
	s_mov_b64 s[0:1], -1
	s_cbranch_scc0 .LBB55_1591
; %bb.1588:
	v_cvt_f32_f64_e32 v6, v[0:1]
	v_bfe_u32 v7, v6, 23, 8
	s_movk_i32 s0, 0xff
	v_cmp_ne_u32_e32 vcc, s0, v7
	v_mov_b32_e32 v8, 0xff
	s_and_saveexec_b64 s[4:5], vcc
; %bb.1589:
	s_mov_b32 s0, 0x3fffff
	v_lshrrev_b32_e32 v8, 23, v6
	v_and_b32_e32 v9, 0x400000, v6
	v_and_or_b32 v6, v6, s0, v7
	v_cmp_ne_u32_e32 vcc, 0, v9
	v_cmp_ne_u32_e64 s[0:1], 0, v6
	s_and_b64 s[0:1], vcc, s[0:1]
	s_nop 0
	v_cndmask_b32_e64 v6, 0, 1, s[0:1]
	v_add_u32_e32 v8, v8, v6
; %bb.1590:
	s_or_b64 exec, exec, s[4:5]
	s_mov_b64 s[0:1], 0
	s_mov_b64 s[4:5], -1
	global_store_byte v[4:5], v8, off
.LBB55_1591:
	s_mov_b64 s[6:7], 0
.LBB55_1592:
	s_and_b64 vcc, exec, s[6:7]
	s_cbranch_vccz .LBB55_1595
; %bb.1593:
	s_cmp_eq_u32 s10, 29
	s_mov_b64 s[0:1], -1
	s_cbranch_scc0 .LBB55_1595
; %bb.1594:
	v_trunc_f64_e32 v[6:7], v[0:1]
	s_movk_i32 s0, 0xffe0
	v_ldexp_f64 v[8:9], v[6:7], s0
	v_floor_f64_e32 v[8:9], v[8:9]
	v_fmac_f64_e32 v[6:7], 0xc1f00000, v[8:9]
	v_cvt_u32_f64_e32 v11, v[8:9]
	v_cvt_u32_f64_e32 v10, v[6:7]
	global_store_dwordx2 v[4:5], v[10:11], off
	s_mov_b64 s[0:1], 0
	s_mov_b64 s[4:5], -1
.LBB55_1595:
	s_mov_b64 s[6:7], 0
.LBB55_1596:
	s_and_b64 vcc, exec, s[6:7]
	s_cbranch_vccz .LBB55_1612
; %bb.1597:
	s_cmp_lt_i32 s10, 27
	s_mov_b64 s[4:5], -1
	s_cbranch_scc1 .LBB55_1603
; %bb.1598:
	s_cmp_gt_i32 s10, 27
	v_cvt_u32_f64_e32 v6, v[0:1]
	s_cbranch_scc0 .LBB55_1600
; %bb.1599:
	s_mov_b64 s[4:5], 0
	global_store_dword v[4:5], v6, off
.LBB55_1600:
	s_andn2_b64 vcc, exec, s[4:5]
	s_cbranch_vccnz .LBB55_1602
; %bb.1601:
	global_store_short v[4:5], v6, off
.LBB55_1602:
	s_mov_b64 s[4:5], 0
.LBB55_1603:
	s_andn2_b64 vcc, exec, s[4:5]
	s_cbranch_vccnz .LBB55_1611
; %bb.1604:
	v_cvt_f32_f64_e32 v6, v[0:1]
	v_and_b32_e32 v7, 0x7fffffff, v6
	s_mov_b32 s4, 0x43800000
	v_cmp_gt_u32_e32 vcc, s4, v7
	v_mov_b32_e32 v8, 0x80
	s_and_saveexec_b64 s[4:5], vcc
	s_cbranch_execz .LBB55_1610
; %bb.1605:
	s_mov_b32 s6, 0x3bffffff
	v_cmp_lt_u32_e32 vcc, s6, v7
	s_mov_b64 s[6:7], 0
                                        ; implicit-def: $vgpr7
	s_and_saveexec_b64 s[8:9], vcc
	s_xor_b64 s[8:9], exec, s[8:9]
	s_cbranch_execz .LBB55_2058
; %bb.1606:
	v_bfe_u32 v7, v6, 20, 1
	s_mov_b32 s11, 0x487ffff
	v_add3_u32 v7, v6, v7, s11
	s_mov_b64 s[6:7], exec
	v_lshrrev_b32_e32 v7, 20, v7
	s_andn2_saveexec_b64 s[8:9], s[8:9]
	s_cbranch_execnz .LBB55_2059
.LBB55_1607:
	s_or_b64 exec, exec, s[8:9]
	v_mov_b32_e32 v8, 0
	s_and_saveexec_b64 s[8:9], s[6:7]
.LBB55_1608:
	v_lshrrev_b32_e32 v6, 24, v6
	s_movk_i32 s6, 0x80
	v_and_or_b32 v8, v6, s6, v7
.LBB55_1609:
	s_or_b64 exec, exec, s[8:9]
.LBB55_1610:
	s_or_b64 exec, exec, s[4:5]
	global_store_byte v[4:5], v8, off
.LBB55_1611:
	s_mov_b64 s[4:5], -1
.LBB55_1612:
	s_mov_b64 s[6:7], 0
.LBB55_1613:
	s_and_b64 vcc, exec, s[6:7]
	s_cbranch_vccz .LBB55_1653
; %bb.1614:
	s_cmp_gt_i32 s10, 22
	s_mov_b64 s[2:3], -1
	s_cbranch_scc0 .LBB55_1646
; %bb.1615:
	s_cmp_lt_i32 s10, 24
	s_cbranch_scc1 .LBB55_1635
; %bb.1616:
	s_cmp_gt_i32 s10, 24
	s_cbranch_scc0 .LBB55_1624
; %bb.1617:
	v_cvt_f32_f64_e32 v6, v[0:1]
	v_and_b32_e32 v7, 0x7fffffff, v6
	s_mov_b32 s2, 0x47800000
	v_cmp_gt_u32_e32 vcc, s2, v7
	v_mov_b32_e32 v8, 0x80
	s_and_saveexec_b64 s[2:3], vcc
	s_cbranch_execz .LBB55_1623
; %bb.1618:
	s_mov_b32 s4, 0x37ffffff
	v_cmp_lt_u32_e32 vcc, s4, v7
	s_mov_b64 s[4:5], 0
                                        ; implicit-def: $vgpr7
	s_and_saveexec_b64 s[6:7], vcc
	s_xor_b64 s[6:7], exec, s[6:7]
	s_cbranch_execz .LBB55_2061
; %bb.1619:
	v_bfe_u32 v7, v6, 21, 1
	s_mov_b32 s8, 0x88fffff
	v_add3_u32 v7, v6, v7, s8
	s_mov_b64 s[4:5], exec
	v_lshrrev_b32_e32 v7, 21, v7
	s_andn2_saveexec_b64 s[6:7], s[6:7]
	s_cbranch_execnz .LBB55_2062
.LBB55_1620:
	s_or_b64 exec, exec, s[6:7]
	v_mov_b32_e32 v8, 0
	s_and_saveexec_b64 s[6:7], s[4:5]
.LBB55_1621:
	v_lshrrev_b32_e32 v6, 24, v6
	s_movk_i32 s4, 0x80
	v_and_or_b32 v8, v6, s4, v7
.LBB55_1622:
	s_or_b64 exec, exec, s[6:7]
.LBB55_1623:
	s_or_b64 exec, exec, s[2:3]
	s_mov_b64 s[2:3], 0
	global_store_byte v[4:5], v8, off
.LBB55_1624:
	s_and_b64 vcc, exec, s[2:3]
	s_cbranch_vccz .LBB55_1634
; %bb.1625:
	v_cvt_f32_f64_e32 v6, v[0:1]
	v_and_b32_e32 v8, 0x7fffffff, v6
	s_mov_b32 s2, 0x43f00000
	v_cmp_gt_u32_e32 vcc, s2, v8
                                        ; implicit-def: $vgpr7
	s_and_saveexec_b64 s[2:3], vcc
	s_xor_b64 s[2:3], exec, s[2:3]
	s_cbranch_execz .LBB55_1631
; %bb.1626:
	s_mov_b32 s4, 0x3c7fffff
	v_cmp_lt_u32_e32 vcc, s4, v8
                                        ; implicit-def: $vgpr7
	s_and_saveexec_b64 s[4:5], vcc
	s_xor_b64 s[4:5], exec, s[4:5]
; %bb.1627:
	v_bfe_u32 v7, v6, 20, 1
	s_mov_b32 s6, 0x407ffff
	v_add3_u32 v7, v6, v7, s6
	v_lshrrev_b32_e32 v8, 20, v7
	v_and_b32_e32 v7, 0xff00000, v7
	s_mov_b32 s6, 0x7f00000
	v_mov_b32_e32 v9, 0x7e
	v_cmp_ne_u32_e32 vcc, s6, v7
	s_nop 1
	v_cndmask_b32_e32 v7, v9, v8, vcc
; %bb.1628:
	s_andn2_saveexec_b64 s[4:5], s[4:5]
; %bb.1629:
	s_mov_b32 s6, 0x46800000
	v_add_f32_e64 v7, |v6|, s6
; %bb.1630:
	s_or_b64 exec, exec, s[4:5]
                                        ; implicit-def: $vgpr8
.LBB55_1631:
	s_andn2_saveexec_b64 s[2:3], s[2:3]
; %bb.1632:
	s_mov_b32 s4, 0x7f800000
	v_mov_b32_e32 v7, 0x7e
	v_mov_b32_e32 v9, 0x7f
	v_cmp_lt_u32_e32 vcc, s4, v8
	s_nop 1
	v_cndmask_b32_e32 v7, v7, v9, vcc
; %bb.1633:
	s_or_b64 exec, exec, s[2:3]
	v_lshrrev_b32_e32 v6, 24, v6
	s_movk_i32 s2, 0x80
	v_and_or_b32 v6, v6, s2, v7
	global_store_byte v[4:5], v6, off
.LBB55_1634:
	s_mov_b64 s[2:3], 0
.LBB55_1635:
	s_andn2_b64 vcc, exec, s[2:3]
	s_cbranch_vccnz .LBB55_1645
; %bb.1636:
	v_cvt_f32_f64_e32 v6, v[0:1]
	v_and_b32_e32 v8, 0x7fffffff, v6
	s_mov_b32 s2, 0x47800000
	v_cmp_gt_u32_e32 vcc, s2, v8
                                        ; implicit-def: $vgpr7
	s_and_saveexec_b64 s[2:3], vcc
	s_xor_b64 s[2:3], exec, s[2:3]
	s_cbranch_execz .LBB55_1642
; %bb.1637:
	s_mov_b32 s4, 0x387fffff
	v_cmp_lt_u32_e32 vcc, s4, v8
                                        ; implicit-def: $vgpr7
	s_and_saveexec_b64 s[4:5], vcc
	s_xor_b64 s[4:5], exec, s[4:5]
; %bb.1638:
	v_bfe_u32 v7, v6, 21, 1
	s_mov_b32 s6, 0x80fffff
	v_add3_u32 v7, v6, v7, s6
	v_lshrrev_b32_e32 v7, 21, v7
; %bb.1639:
	s_andn2_saveexec_b64 s[4:5], s[4:5]
; %bb.1640:
	s_mov_b32 s6, 0x43000000
	v_add_f32_e64 v7, |v6|, s6
; %bb.1641:
	s_or_b64 exec, exec, s[4:5]
                                        ; implicit-def: $vgpr8
.LBB55_1642:
	s_andn2_saveexec_b64 s[2:3], s[2:3]
; %bb.1643:
	s_mov_b32 s4, 0x7f800000
	v_mov_b32_e32 v7, 0x7c
	v_mov_b32_e32 v9, 0x7f
	v_cmp_lt_u32_e32 vcc, s4, v8
	s_nop 1
	v_cndmask_b32_e32 v7, v7, v9, vcc
; %bb.1644:
	s_or_b64 exec, exec, s[2:3]
	v_lshrrev_b32_e32 v6, 24, v6
	s_movk_i32 s2, 0x80
	v_and_or_b32 v6, v6, s2, v7
	global_store_byte v[4:5], v6, off
.LBB55_1645:
	s_mov_b64 s[2:3], 0
	s_mov_b64 s[4:5], -1
.LBB55_1646:
	s_andn2_b64 vcc, exec, s[2:3]
	s_mov_b64 s[2:3], 0
	s_cbranch_vccnz .LBB55_1653
; %bb.1647:
	s_cmp_gt_i32 s10, 14
	s_mov_b64 s[6:7], -1
	s_cbranch_scc0 .LBB55_1651
; %bb.1648:
	s_cmp_eq_u32 s10, 15
	s_mov_b64 s[0:1], -1
	s_cbranch_scc0 .LBB55_1650
; %bb.1649:
	v_cvt_f32_f64_e32 v6, v[0:1]
	v_bfe_u32 v7, v6, 16, 1
	s_movk_i32 s0, 0x7fff
	v_add3_u32 v7, v6, v7, s0
	v_cmp_o_f32_e32 vcc, v6, v6
	v_mov_b32_e32 v6, 0x7fc0
	s_mov_b64 s[0:1], 0
	v_cndmask_b32_sdwa v6, v6, v7, vcc dst_sel:DWORD dst_unused:UNUSED_PAD src0_sel:DWORD src1_sel:WORD_1
	global_store_short v[4:5], v6, off
	s_mov_b64 s[4:5], -1
.LBB55_1650:
	s_mov_b64 s[6:7], 0
.LBB55_1651:
	s_and_b64 vcc, exec, s[6:7]
	s_cbranch_vccz .LBB55_1653
; %bb.1652:
	s_cmp_lg_u32 s10, 11
	s_mov_b64 s[2:3], -1
	s_cselect_b64 s[0:1], -1, 0
.LBB55_1653:
	s_and_b64 vcc, exec, s[0:1]
	s_cbranch_vccnz .LBB55_2060
; %bb.1654:
	s_andn2_b64 vcc, exec, s[2:3]
	s_cbranch_vccnz .LBB55_1656
.LBB55_1655:
	v_cmp_neq_f64_e32 vcc, 0, v[0:1]
	v_cmp_neq_f64_e64 s[0:1], 0, v[2:3]
	s_or_b64 s[0:1], vcc, s[0:1]
	s_mov_b64 s[4:5], -1
	v_cndmask_b32_e64 v6, 0, 1, s[0:1]
	global_store_byte v[4:5], v6, off
.LBB55_1656:
	s_mov_b64 s[0:1], 0
	s_branch .LBB55_1658
.LBB55_1657:
	s_mov_b64 s[0:1], -1
	s_mov_b64 s[4:5], 0
.LBB55_1658:
	s_and_b64 vcc, exec, s[0:1]
	s_cbranch_vccz .LBB55_1697
; %bb.1659:
	s_and_b32 s2, 0xffff, s52
	s_cmp_lt_i32 s2, 5
	s_mov_b64 s[0:1], -1
	s_cbranch_scc1 .LBB55_1680
; %bb.1660:
	s_cmp_lt_i32 s2, 8
	s_cbranch_scc1 .LBB55_1670
; %bb.1661:
	s_cmp_lt_i32 s2, 9
	s_cbranch_scc1 .LBB55_1667
; %bb.1662:
	s_cmp_gt_i32 s2, 9
	s_cbranch_scc0 .LBB55_1664
; %bb.1663:
	global_store_dwordx4 v[4:5], v[0:3], off
	s_mov_b64 s[0:1], 0
.LBB55_1664:
	s_andn2_b64 vcc, exec, s[0:1]
	s_cbranch_vccnz .LBB55_1666
; %bb.1665:
	v_cvt_f32_f64_e32 v7, v[2:3]
	v_cvt_f32_f64_e32 v6, v[0:1]
	global_store_dwordx2 v[4:5], v[6:7], off
.LBB55_1666:
	s_mov_b64 s[0:1], 0
.LBB55_1667:
	s_andn2_b64 vcc, exec, s[0:1]
	s_cbranch_vccnz .LBB55_1669
; %bb.1668:
	s_movk_i32 s0, 0x1ff
	v_and_or_b32 v6, v1, s0, v0
	v_cmp_ne_u32_e32 vcc, 0, v6
	v_lshrrev_b32_e32 v7, 8, v1
	s_movk_i32 s1, 0xffe
	v_cndmask_b32_e64 v6, 0, 1, vcc
	v_bfe_u32 v8, v1, 20, 11
	v_and_or_b32 v6, v7, s1, v6
	v_sub_u32_e32 v9, 0x3f1, v8
	v_or_b32_e32 v7, 0x1000, v6
	v_med3_i32 v9, v9, 0, 13
	v_lshrrev_b32_e32 v10, v9, v7
	v_lshlrev_b32_e32 v9, v9, v10
	v_cmp_ne_u32_e32 vcc, v9, v7
	v_add_u32_e32 v8, 0xfffffc10, v8
	v_lshl_or_b32 v9, v8, 12, v6
	v_cndmask_b32_e64 v7, 0, 1, vcc
	v_or_b32_e32 v7, v10, v7
	v_cmp_gt_i32_e32 vcc, 1, v8
	s_movk_i32 s3, 0x40f
	v_and_or_b32 v2, v3, s0, v2
	v_cndmask_b32_e32 v7, v9, v7, vcc
	v_and_b32_e32 v9, 7, v7
	v_cmp_lt_i32_e32 vcc, 5, v9
	v_lshrrev_b32_e32 v7, 2, v7
	v_bfe_u32 v11, v3, 20, 11
	v_cndmask_b32_e64 v10, 0, 1, vcc
	v_cmp_eq_u32_e32 vcc, 3, v9
	v_sub_u32_e32 v12, 0x3f1, v11
	v_med3_i32 v12, v12, 0, 13
	v_cndmask_b32_e64 v9, 0, 1, vcc
	v_or_b32_e32 v9, v9, v10
	v_add_u32_e32 v7, v7, v9
	v_mov_b32_e32 v9, 0x7c00
	v_cmp_gt_i32_e32 vcc, 31, v8
	v_mov_b32_e32 v10, 0x7e00
	v_add_u32_e32 v11, 0xfffffc10, v11
	v_cndmask_b32_e32 v7, v9, v7, vcc
	v_cmp_ne_u32_e32 vcc, 0, v6
	s_mov_b32 s4, 0x8000
	s_mov_b32 s0, 0xffff
	v_cndmask_b32_e32 v6, v9, v10, vcc
	v_cmp_eq_u32_e32 vcc, s3, v8
	v_lshrrev_b32_e32 v8, 8, v3
	v_lshrrev_b32_e32 v3, 16, v3
	v_cndmask_b32_e32 v6, v7, v6, vcc
	v_cmp_ne_u32_e32 vcc, 0, v2
	v_and_b32_sdwa v7, v1, s4 dst_sel:DWORD dst_unused:UNUSED_PAD src0_sel:WORD_1 src1_sel:DWORD
	s_nop 0
	v_cndmask_b32_e64 v2, 0, 1, vcc
	v_and_or_b32 v2, v8, s1, v2
	v_or_b32_e32 v8, 0x1000, v2
	v_lshrrev_b32_e32 v13, v12, v8
	v_lshlrev_b32_e32 v12, v12, v13
	v_cmp_ne_u32_e32 vcc, v12, v8
	v_lshl_or_b32 v12, v11, 12, v2
	s_nop 0
	v_cndmask_b32_e64 v8, 0, 1, vcc
	v_or_b32_e32 v8, v13, v8
	v_cmp_gt_i32_e32 vcc, 1, v11
	s_nop 1
	v_cndmask_b32_e32 v8, v12, v8, vcc
	v_and_b32_e32 v12, 7, v8
	v_cmp_lt_i32_e32 vcc, 5, v12
	v_lshrrev_b32_e32 v8, 2, v8
	s_nop 0
	v_cndmask_b32_e64 v13, 0, 1, vcc
	v_cmp_eq_u32_e32 vcc, 3, v12
	s_nop 1
	v_cndmask_b32_e64 v12, 0, 1, vcc
	v_or_b32_e32 v12, v12, v13
	v_add_u32_e32 v8, v8, v12
	v_cmp_gt_i32_e32 vcc, 31, v11
	s_nop 1
	v_cndmask_b32_e32 v8, v9, v8, vcc
	v_cmp_ne_u32_e32 vcc, 0, v2
	s_nop 1
	v_cndmask_b32_e32 v2, v9, v10, vcc
	v_cmp_eq_u32_e32 vcc, s3, v11
	s_nop 1
	v_cndmask_b32_e32 v2, v8, v2, vcc
	v_and_or_b32 v2, v3, s4, v2
	v_bitop3_b32 v3, v7, s0, v6 bitop3:0xc8
	v_lshl_or_b32 v2, v2, 16, v3
	global_store_dword v[4:5], v2, off
.LBB55_1669:
	s_mov_b64 s[0:1], 0
.LBB55_1670:
	s_andn2_b64 vcc, exec, s[0:1]
	s_cbranch_vccnz .LBB55_1679
; %bb.1671:
	s_cmp_lt_i32 s2, 6
	s_mov_b64 s[0:1], -1
	s_cbranch_scc1 .LBB55_1677
; %bb.1672:
	s_cmp_gt_i32 s2, 6
	s_cbranch_scc0 .LBB55_1674
; %bb.1673:
	global_store_dwordx2 v[4:5], v[0:1], off
	s_mov_b64 s[0:1], 0
.LBB55_1674:
	s_andn2_b64 vcc, exec, s[0:1]
	s_cbranch_vccnz .LBB55_1676
; %bb.1675:
	v_cvt_f32_f64_e32 v2, v[0:1]
	global_store_dword v[4:5], v2, off
.LBB55_1676:
	s_mov_b64 s[0:1], 0
.LBB55_1677:
	s_andn2_b64 vcc, exec, s[0:1]
	s_cbranch_vccnz .LBB55_1679
; %bb.1678:
	s_movk_i32 s0, 0x1ff
	v_and_or_b32 v2, v1, s0, v0
	v_cmp_ne_u32_e32 vcc, 0, v2
	v_lshrrev_b32_e32 v3, 8, v1
	s_movk_i32 s0, 0xffe
	v_cndmask_b32_e64 v2, 0, 1, vcc
	v_bfe_u32 v6, v1, 20, 11
	v_and_or_b32 v2, v3, s0, v2
	v_sub_u32_e32 v7, 0x3f1, v6
	v_or_b32_e32 v3, 0x1000, v2
	v_med3_i32 v7, v7, 0, 13
	v_lshrrev_b32_e32 v8, v7, v3
	v_lshlrev_b32_e32 v7, v7, v8
	v_cmp_ne_u32_e32 vcc, v7, v3
	v_add_u32_e32 v6, 0xfffffc10, v6
	v_lshl_or_b32 v7, v6, 12, v2
	v_cndmask_b32_e64 v3, 0, 1, vcc
	v_or_b32_e32 v3, v8, v3
	v_cmp_gt_i32_e32 vcc, 1, v6
	s_movk_i32 s0, 0x40f
	s_nop 0
	v_cndmask_b32_e32 v3, v7, v3, vcc
	v_and_b32_e32 v7, 7, v3
	v_cmp_lt_i32_e32 vcc, 5, v7
	v_lshrrev_b32_e32 v3, 2, v3
	s_nop 0
	v_cndmask_b32_e64 v8, 0, 1, vcc
	v_cmp_eq_u32_e32 vcc, 3, v7
	s_nop 1
	v_cndmask_b32_e64 v7, 0, 1, vcc
	v_or_b32_e32 v7, v7, v8
	v_add_u32_e32 v3, v3, v7
	v_mov_b32_e32 v7, 0x7c00
	v_cmp_gt_i32_e32 vcc, 31, v6
	v_mov_b32_e32 v8, 0x7e00
	s_nop 0
	v_cndmask_b32_e32 v3, v7, v3, vcc
	v_cmp_ne_u32_e32 vcc, 0, v2
	s_nop 1
	v_cndmask_b32_e32 v2, v7, v8, vcc
	v_cmp_eq_u32_e32 vcc, s0, v6
	s_mov_b32 s0, 0x8000
	s_nop 0
	v_cndmask_b32_e32 v2, v3, v2, vcc
	v_lshrrev_b32_e32 v3, 16, v1
	v_and_or_b32 v2, v3, s0, v2
	global_store_short v[4:5], v2, off
.LBB55_1679:
	s_mov_b64 s[0:1], 0
.LBB55_1680:
	s_andn2_b64 vcc, exec, s[0:1]
	s_cbranch_vccnz .LBB55_1696
; %bb.1681:
	s_cmp_lt_i32 s2, 2
	s_mov_b64 s[0:1], -1
	s_cbranch_scc1 .LBB55_1691
; %bb.1682:
	s_cmp_lt_i32 s2, 3
	s_cbranch_scc1 .LBB55_1688
; %bb.1683:
	s_cmp_gt_i32 s2, 3
	s_cbranch_scc0 .LBB55_1685
; %bb.1684:
	v_trunc_f64_e32 v[2:3], v[0:1]
	s_movk_i32 s0, 0xffe0
	v_ldexp_f64 v[6:7], v[2:3], s0
	v_floor_f64_e32 v[6:7], v[6:7]
	v_fmac_f64_e32 v[2:3], 0xc1f00000, v[6:7]
	v_cvt_i32_f64_e32 v9, v[6:7]
	v_cvt_u32_f64_e32 v8, v[2:3]
	global_store_dwordx2 v[4:5], v[8:9], off
	s_mov_b64 s[0:1], 0
.LBB55_1685:
	s_andn2_b64 vcc, exec, s[0:1]
	s_cbranch_vccnz .LBB55_1687
; %bb.1686:
	v_cvt_i32_f64_e32 v2, v[0:1]
	global_store_dword v[4:5], v2, off
.LBB55_1687:
	s_mov_b64 s[0:1], 0
.LBB55_1688:
	s_andn2_b64 vcc, exec, s[0:1]
	s_cbranch_vccnz .LBB55_1690
; %bb.1689:
	v_cvt_i32_f64_e32 v2, v[0:1]
	global_store_short v[4:5], v2, off
.LBB55_1690:
	s_mov_b64 s[0:1], 0
.LBB55_1691:
	s_andn2_b64 vcc, exec, s[0:1]
	s_cbranch_vccnz .LBB55_1696
; %bb.1692:
	s_cmp_gt_i32 s2, 0
	s_mov_b64 s[0:1], -1
	s_cbranch_scc0 .LBB55_1694
; %bb.1693:
	v_cvt_i32_f64_e32 v2, v[0:1]
	global_store_byte v[4:5], v2, off
	s_mov_b64 s[0:1], 0
.LBB55_1694:
	s_andn2_b64 vcc, exec, s[0:1]
	s_cbranch_vccnz .LBB55_1696
; %bb.1695:
	v_trunc_f64_e32 v[0:1], v[0:1]
	s_movk_i32 s0, 0xffe0
	v_ldexp_f64 v[2:3], v[0:1], s0
	v_floor_f64_e32 v[2:3], v[2:3]
	v_fmac_f64_e32 v[0:1], 0xc1f00000, v[2:3]
	v_cvt_u32_f64_e32 v0, v[0:1]
	global_store_byte v[4:5], v0, off
.LBB55_1696:
	s_mov_b64 s[4:5], -1
.LBB55_1697:
	s_andn2_b64 vcc, exec, s[4:5]
	s_cbranch_vccnz .LBB55_2012
; %bb.1698:
	s_getpc_b64 s[0:1]
	s_add_u32 s0, s0, _ZZZZN2at6native15exp_kernel_cudaERNS_18TensorIteratorBaseEENKUlvE_clEvENKUlvE_clEvENKUlN3c107complexIdEEE_clES7_@rel32@lo+4
	s_addc_u32 s1, s1, _ZZZZN2at6native15exp_kernel_cudaERNS_18TensorIteratorBaseEENKUlvE_clEvENKUlvE_clEvENKUlN3c107complexIdEEE_clES7_@rel32@hi+12
	v_mov_b32_e32 v0, v42
	v_mov_b32_e32 v1, v43
	;; [unrolled: 1-line block ×4, first 2 shown]
	s_swappc_b64 s[30:31], s[0:1]
	s_lshl_b32 s33, s34, 7
	v_add_u32_e32 v42, s33, v46
	v_ashrrev_i32_e32 v43, 31, v42
	s_cmp_lt_i32 s52, 11
	v_lshl_add_u64 v[4:5], s[36:37], 0, v[42:43]
	s_cbranch_scc1 .LBB55_1776
; %bb.1699:
	s_and_b32 s10, 0xffff, s52
	s_mov_b64 s[6:7], -1
	s_mov_b64 s[2:3], 0
	s_cmp_gt_i32 s10, 25
	s_mov_b64 s[4:5], 0
	s_mov_b64 s[0:1], 0
	s_cbranch_scc0 .LBB55_1732
; %bb.1700:
	s_cmp_gt_i32 s10, 28
	s_cbranch_scc0 .LBB55_1715
; %bb.1701:
	s_cmp_gt_i32 s10, 43
	;; [unrolled: 3-line block ×3, first 2 shown]
	s_cbranch_scc0 .LBB55_1705
; %bb.1703:
	s_mov_b64 s[0:1], -1
	s_mov_b64 s[6:7], 0
	s_cmp_eq_u32 s10, 46
	s_cbranch_scc0 .LBB55_1705
; %bb.1704:
	v_cvt_f32_f64_e32 v7, v[2:3]
	s_movk_i32 s0, 0x7fff
	v_bfe_u32 v9, v7, 16, 1
	v_cvt_f32_f64_e32 v6, v[0:1]
	v_add3_u32 v9, v7, v9, s0
	v_bfe_u32 v8, v6, 16, 1
	v_and_b32_e32 v9, 0xffff0000, v9
	v_mov_b32_e32 v10, 0x7fc00000
	v_cmp_o_f32_e32 vcc, v7, v7
	v_add3_u32 v8, v6, v8, s0
	s_mov_b64 s[0:1], 0
	v_cndmask_b32_e32 v7, v10, v9, vcc
	v_cmp_o_f32_e32 vcc, v6, v6
	v_mov_b32_e32 v6, 0x7fc0
	s_mov_b64 s[4:5], -1
	v_cndmask_b32_sdwa v6, v6, v8, vcc dst_sel:DWORD dst_unused:UNUSED_PAD src0_sel:DWORD src1_sel:WORD_1
	v_or_b32_e32 v6, v7, v6
	global_store_dword v[4:5], v6, off
.LBB55_1705:
	s_and_b64 vcc, exec, s[6:7]
	s_cbranch_vccz .LBB55_1710
; %bb.1706:
	s_cmp_eq_u32 s10, 44
	s_mov_b64 s[0:1], -1
	s_cbranch_scc0 .LBB55_1710
; %bb.1707:
	v_cvt_f32_f64_e32 v6, v[0:1]
	v_bfe_u32 v7, v6, 23, 8
	s_movk_i32 s0, 0xff
	v_cmp_ne_u32_e32 vcc, s0, v7
	v_mov_b32_e32 v8, 0xff
	s_and_saveexec_b64 s[4:5], vcc
; %bb.1708:
	s_mov_b32 s0, 0x3fffff
	v_lshrrev_b32_e32 v8, 23, v6
	v_and_b32_e32 v9, 0x400000, v6
	v_and_or_b32 v6, v6, s0, v7
	v_cmp_ne_u32_e32 vcc, 0, v9
	v_cmp_ne_u32_e64 s[0:1], 0, v6
	s_and_b64 s[0:1], vcc, s[0:1]
	s_nop 0
	v_cndmask_b32_e64 v6, 0, 1, s[0:1]
	v_add_u32_e32 v8, v8, v6
; %bb.1709:
	s_or_b64 exec, exec, s[4:5]
	s_mov_b64 s[0:1], 0
	s_mov_b64 s[4:5], -1
	global_store_byte v[4:5], v8, off
.LBB55_1710:
	s_mov_b64 s[6:7], 0
.LBB55_1711:
	s_and_b64 vcc, exec, s[6:7]
	s_cbranch_vccz .LBB55_1714
; %bb.1712:
	s_cmp_eq_u32 s10, 29
	s_mov_b64 s[0:1], -1
	s_cbranch_scc0 .LBB55_1714
; %bb.1713:
	v_trunc_f64_e32 v[6:7], v[0:1]
	s_movk_i32 s0, 0xffe0
	v_ldexp_f64 v[8:9], v[6:7], s0
	v_floor_f64_e32 v[8:9], v[8:9]
	v_fmac_f64_e32 v[6:7], 0xc1f00000, v[8:9]
	v_cvt_u32_f64_e32 v11, v[8:9]
	v_cvt_u32_f64_e32 v10, v[6:7]
	global_store_dwordx2 v[4:5], v[10:11], off
	s_mov_b64 s[0:1], 0
	s_mov_b64 s[4:5], -1
.LBB55_1714:
	s_mov_b64 s[6:7], 0
.LBB55_1715:
	s_and_b64 vcc, exec, s[6:7]
	s_cbranch_vccz .LBB55_1731
; %bb.1716:
	s_cmp_lt_i32 s10, 27
	s_mov_b64 s[4:5], -1
	s_cbranch_scc1 .LBB55_1722
; %bb.1717:
	s_cmp_gt_i32 s10, 27
	v_cvt_u32_f64_e32 v6, v[0:1]
	s_cbranch_scc0 .LBB55_1719
; %bb.1718:
	s_mov_b64 s[4:5], 0
	global_store_dword v[4:5], v6, off
.LBB55_1719:
	s_andn2_b64 vcc, exec, s[4:5]
	s_cbranch_vccnz .LBB55_1721
; %bb.1720:
	global_store_short v[4:5], v6, off
.LBB55_1721:
	s_mov_b64 s[4:5], 0
.LBB55_1722:
	s_andn2_b64 vcc, exec, s[4:5]
	s_cbranch_vccnz .LBB55_1730
; %bb.1723:
	v_cvt_f32_f64_e32 v6, v[0:1]
	v_and_b32_e32 v7, 0x7fffffff, v6
	s_mov_b32 s4, 0x43800000
	v_cmp_gt_u32_e32 vcc, s4, v7
	v_mov_b32_e32 v8, 0x80
	s_and_saveexec_b64 s[4:5], vcc
	s_cbranch_execz .LBB55_1729
; %bb.1724:
	s_mov_b32 s6, 0x3bffffff
	v_cmp_lt_u32_e32 vcc, s6, v7
	s_mov_b64 s[6:7], 0
                                        ; implicit-def: $vgpr7
	s_and_saveexec_b64 s[8:9], vcc
	s_xor_b64 s[8:9], exec, s[8:9]
	s_cbranch_execz .LBB55_2063
; %bb.1725:
	v_bfe_u32 v7, v6, 20, 1
	s_mov_b32 s11, 0x487ffff
	v_add3_u32 v7, v6, v7, s11
	s_mov_b64 s[6:7], exec
	v_lshrrev_b32_e32 v7, 20, v7
	s_andn2_saveexec_b64 s[8:9], s[8:9]
	s_cbranch_execnz .LBB55_2064
.LBB55_1726:
	s_or_b64 exec, exec, s[8:9]
	v_mov_b32_e32 v8, 0
	s_and_saveexec_b64 s[8:9], s[6:7]
.LBB55_1727:
	v_lshrrev_b32_e32 v6, 24, v6
	s_movk_i32 s6, 0x80
	v_and_or_b32 v8, v6, s6, v7
.LBB55_1728:
	s_or_b64 exec, exec, s[8:9]
.LBB55_1729:
	s_or_b64 exec, exec, s[4:5]
	global_store_byte v[4:5], v8, off
.LBB55_1730:
	s_mov_b64 s[4:5], -1
.LBB55_1731:
	s_mov_b64 s[6:7], 0
.LBB55_1732:
	s_and_b64 vcc, exec, s[6:7]
	s_cbranch_vccz .LBB55_1772
; %bb.1733:
	s_cmp_gt_i32 s10, 22
	s_mov_b64 s[2:3], -1
	s_cbranch_scc0 .LBB55_1765
; %bb.1734:
	s_cmp_lt_i32 s10, 24
	s_cbranch_scc1 .LBB55_1754
; %bb.1735:
	s_cmp_gt_i32 s10, 24
	s_cbranch_scc0 .LBB55_1743
; %bb.1736:
	v_cvt_f32_f64_e32 v6, v[0:1]
	v_and_b32_e32 v7, 0x7fffffff, v6
	s_mov_b32 s2, 0x47800000
	v_cmp_gt_u32_e32 vcc, s2, v7
	v_mov_b32_e32 v8, 0x80
	s_and_saveexec_b64 s[2:3], vcc
	s_cbranch_execz .LBB55_1742
; %bb.1737:
	s_mov_b32 s4, 0x37ffffff
	v_cmp_lt_u32_e32 vcc, s4, v7
	s_mov_b64 s[4:5], 0
                                        ; implicit-def: $vgpr7
	s_and_saveexec_b64 s[6:7], vcc
	s_xor_b64 s[6:7], exec, s[6:7]
	s_cbranch_execz .LBB55_2066
; %bb.1738:
	v_bfe_u32 v7, v6, 21, 1
	s_mov_b32 s8, 0x88fffff
	v_add3_u32 v7, v6, v7, s8
	s_mov_b64 s[4:5], exec
	v_lshrrev_b32_e32 v7, 21, v7
	s_andn2_saveexec_b64 s[6:7], s[6:7]
	s_cbranch_execnz .LBB55_2067
.LBB55_1739:
	s_or_b64 exec, exec, s[6:7]
	v_mov_b32_e32 v8, 0
	s_and_saveexec_b64 s[6:7], s[4:5]
.LBB55_1740:
	v_lshrrev_b32_e32 v6, 24, v6
	s_movk_i32 s4, 0x80
	v_and_or_b32 v8, v6, s4, v7
.LBB55_1741:
	s_or_b64 exec, exec, s[6:7]
.LBB55_1742:
	s_or_b64 exec, exec, s[2:3]
	s_mov_b64 s[2:3], 0
	global_store_byte v[4:5], v8, off
.LBB55_1743:
	s_and_b64 vcc, exec, s[2:3]
	s_cbranch_vccz .LBB55_1753
; %bb.1744:
	v_cvt_f32_f64_e32 v6, v[0:1]
	v_and_b32_e32 v8, 0x7fffffff, v6
	s_mov_b32 s2, 0x43f00000
	v_cmp_gt_u32_e32 vcc, s2, v8
                                        ; implicit-def: $vgpr7
	s_and_saveexec_b64 s[2:3], vcc
	s_xor_b64 s[2:3], exec, s[2:3]
	s_cbranch_execz .LBB55_1750
; %bb.1745:
	s_mov_b32 s4, 0x3c7fffff
	v_cmp_lt_u32_e32 vcc, s4, v8
                                        ; implicit-def: $vgpr7
	s_and_saveexec_b64 s[4:5], vcc
	s_xor_b64 s[4:5], exec, s[4:5]
; %bb.1746:
	v_bfe_u32 v7, v6, 20, 1
	s_mov_b32 s6, 0x407ffff
	v_add3_u32 v7, v6, v7, s6
	v_lshrrev_b32_e32 v8, 20, v7
	v_and_b32_e32 v7, 0xff00000, v7
	s_mov_b32 s6, 0x7f00000
	v_mov_b32_e32 v9, 0x7e
	v_cmp_ne_u32_e32 vcc, s6, v7
	s_nop 1
	v_cndmask_b32_e32 v7, v9, v8, vcc
; %bb.1747:
	s_andn2_saveexec_b64 s[4:5], s[4:5]
; %bb.1748:
	s_mov_b32 s6, 0x46800000
	v_add_f32_e64 v7, |v6|, s6
; %bb.1749:
	s_or_b64 exec, exec, s[4:5]
                                        ; implicit-def: $vgpr8
.LBB55_1750:
	s_andn2_saveexec_b64 s[2:3], s[2:3]
; %bb.1751:
	s_mov_b32 s4, 0x7f800000
	v_mov_b32_e32 v7, 0x7e
	v_mov_b32_e32 v9, 0x7f
	v_cmp_lt_u32_e32 vcc, s4, v8
	s_nop 1
	v_cndmask_b32_e32 v7, v7, v9, vcc
; %bb.1752:
	s_or_b64 exec, exec, s[2:3]
	v_lshrrev_b32_e32 v6, 24, v6
	s_movk_i32 s2, 0x80
	v_and_or_b32 v6, v6, s2, v7
	global_store_byte v[4:5], v6, off
.LBB55_1753:
	s_mov_b64 s[2:3], 0
.LBB55_1754:
	s_andn2_b64 vcc, exec, s[2:3]
	s_cbranch_vccnz .LBB55_1764
; %bb.1755:
	v_cvt_f32_f64_e32 v6, v[0:1]
	v_and_b32_e32 v8, 0x7fffffff, v6
	s_mov_b32 s2, 0x47800000
	v_cmp_gt_u32_e32 vcc, s2, v8
                                        ; implicit-def: $vgpr7
	s_and_saveexec_b64 s[2:3], vcc
	s_xor_b64 s[2:3], exec, s[2:3]
	s_cbranch_execz .LBB55_1761
; %bb.1756:
	s_mov_b32 s4, 0x387fffff
	v_cmp_lt_u32_e32 vcc, s4, v8
                                        ; implicit-def: $vgpr7
	s_and_saveexec_b64 s[4:5], vcc
	s_xor_b64 s[4:5], exec, s[4:5]
; %bb.1757:
	v_bfe_u32 v7, v6, 21, 1
	s_mov_b32 s6, 0x80fffff
	v_add3_u32 v7, v6, v7, s6
	v_lshrrev_b32_e32 v7, 21, v7
; %bb.1758:
	s_andn2_saveexec_b64 s[4:5], s[4:5]
; %bb.1759:
	s_mov_b32 s6, 0x43000000
	v_add_f32_e64 v7, |v6|, s6
; %bb.1760:
	s_or_b64 exec, exec, s[4:5]
                                        ; implicit-def: $vgpr8
.LBB55_1761:
	s_andn2_saveexec_b64 s[2:3], s[2:3]
; %bb.1762:
	s_mov_b32 s4, 0x7f800000
	v_mov_b32_e32 v7, 0x7c
	v_mov_b32_e32 v9, 0x7f
	v_cmp_lt_u32_e32 vcc, s4, v8
	s_nop 1
	v_cndmask_b32_e32 v7, v7, v9, vcc
; %bb.1763:
	s_or_b64 exec, exec, s[2:3]
	v_lshrrev_b32_e32 v6, 24, v6
	s_movk_i32 s2, 0x80
	v_and_or_b32 v6, v6, s2, v7
	global_store_byte v[4:5], v6, off
.LBB55_1764:
	s_mov_b64 s[2:3], 0
	s_mov_b64 s[4:5], -1
.LBB55_1765:
	s_andn2_b64 vcc, exec, s[2:3]
	s_mov_b64 s[2:3], 0
	s_cbranch_vccnz .LBB55_1772
; %bb.1766:
	s_cmp_gt_i32 s10, 14
	s_mov_b64 s[6:7], -1
	s_cbranch_scc0 .LBB55_1770
; %bb.1767:
	s_cmp_eq_u32 s10, 15
	s_mov_b64 s[0:1], -1
	s_cbranch_scc0 .LBB55_1769
; %bb.1768:
	v_cvt_f32_f64_e32 v6, v[0:1]
	v_bfe_u32 v7, v6, 16, 1
	s_movk_i32 s0, 0x7fff
	v_add3_u32 v7, v6, v7, s0
	v_cmp_o_f32_e32 vcc, v6, v6
	v_mov_b32_e32 v6, 0x7fc0
	s_mov_b64 s[0:1], 0
	v_cndmask_b32_sdwa v6, v6, v7, vcc dst_sel:DWORD dst_unused:UNUSED_PAD src0_sel:DWORD src1_sel:WORD_1
	global_store_short v[4:5], v6, off
	s_mov_b64 s[4:5], -1
.LBB55_1769:
	s_mov_b64 s[6:7], 0
.LBB55_1770:
	s_and_b64 vcc, exec, s[6:7]
	s_cbranch_vccz .LBB55_1772
; %bb.1771:
	s_cmp_lg_u32 s10, 11
	s_mov_b64 s[2:3], -1
	s_cselect_b64 s[0:1], -1, 0
.LBB55_1772:
	s_and_b64 vcc, exec, s[0:1]
	s_cbranch_vccnz .LBB55_2065
; %bb.1773:
	s_andn2_b64 vcc, exec, s[2:3]
	s_cbranch_vccnz .LBB55_1775
.LBB55_1774:
	v_cmp_neq_f64_e32 vcc, 0, v[0:1]
	v_cmp_neq_f64_e64 s[0:1], 0, v[2:3]
	s_or_b64 s[0:1], vcc, s[0:1]
	s_mov_b64 s[4:5], -1
	v_cndmask_b32_e64 v6, 0, 1, s[0:1]
	global_store_byte v[4:5], v6, off
.LBB55_1775:
	s_mov_b64 s[0:1], 0
	s_branch .LBB55_1777
.LBB55_1776:
	s_mov_b64 s[0:1], -1
	s_mov_b64 s[4:5], 0
.LBB55_1777:
	s_and_b64 vcc, exec, s[0:1]
	s_cbranch_vccz .LBB55_1816
; %bb.1778:
	s_and_b32 s2, 0xffff, s52
	s_cmp_lt_i32 s2, 5
	s_mov_b64 s[0:1], -1
	s_cbranch_scc1 .LBB55_1799
; %bb.1779:
	s_cmp_lt_i32 s2, 8
	s_cbranch_scc1 .LBB55_1789
; %bb.1780:
	s_cmp_lt_i32 s2, 9
	s_cbranch_scc1 .LBB55_1786
; %bb.1781:
	s_cmp_gt_i32 s2, 9
	s_cbranch_scc0 .LBB55_1783
; %bb.1782:
	global_store_dwordx4 v[4:5], v[0:3], off
	s_mov_b64 s[0:1], 0
.LBB55_1783:
	s_andn2_b64 vcc, exec, s[0:1]
	s_cbranch_vccnz .LBB55_1785
; %bb.1784:
	v_cvt_f32_f64_e32 v7, v[2:3]
	v_cvt_f32_f64_e32 v6, v[0:1]
	global_store_dwordx2 v[4:5], v[6:7], off
.LBB55_1785:
	s_mov_b64 s[0:1], 0
.LBB55_1786:
	s_andn2_b64 vcc, exec, s[0:1]
	s_cbranch_vccnz .LBB55_1788
; %bb.1787:
	s_movk_i32 s0, 0x1ff
	v_and_or_b32 v6, v1, s0, v0
	v_cmp_ne_u32_e32 vcc, 0, v6
	v_lshrrev_b32_e32 v7, 8, v1
	s_movk_i32 s1, 0xffe
	v_cndmask_b32_e64 v6, 0, 1, vcc
	v_bfe_u32 v8, v1, 20, 11
	v_and_or_b32 v6, v7, s1, v6
	v_sub_u32_e32 v9, 0x3f1, v8
	v_or_b32_e32 v7, 0x1000, v6
	v_med3_i32 v9, v9, 0, 13
	v_lshrrev_b32_e32 v10, v9, v7
	v_lshlrev_b32_e32 v9, v9, v10
	v_cmp_ne_u32_e32 vcc, v9, v7
	v_add_u32_e32 v8, 0xfffffc10, v8
	v_lshl_or_b32 v9, v8, 12, v6
	v_cndmask_b32_e64 v7, 0, 1, vcc
	v_or_b32_e32 v7, v10, v7
	v_cmp_gt_i32_e32 vcc, 1, v8
	s_movk_i32 s3, 0x40f
	v_and_or_b32 v2, v3, s0, v2
	v_cndmask_b32_e32 v7, v9, v7, vcc
	v_and_b32_e32 v9, 7, v7
	v_cmp_lt_i32_e32 vcc, 5, v9
	v_lshrrev_b32_e32 v7, 2, v7
	v_bfe_u32 v11, v3, 20, 11
	v_cndmask_b32_e64 v10, 0, 1, vcc
	v_cmp_eq_u32_e32 vcc, 3, v9
	v_sub_u32_e32 v12, 0x3f1, v11
	v_med3_i32 v12, v12, 0, 13
	v_cndmask_b32_e64 v9, 0, 1, vcc
	v_or_b32_e32 v9, v9, v10
	v_add_u32_e32 v7, v7, v9
	v_mov_b32_e32 v9, 0x7c00
	v_cmp_gt_i32_e32 vcc, 31, v8
	v_mov_b32_e32 v10, 0x7e00
	v_add_u32_e32 v11, 0xfffffc10, v11
	v_cndmask_b32_e32 v7, v9, v7, vcc
	v_cmp_ne_u32_e32 vcc, 0, v6
	s_mov_b32 s4, 0x8000
	s_mov_b32 s0, 0xffff
	v_cndmask_b32_e32 v6, v9, v10, vcc
	v_cmp_eq_u32_e32 vcc, s3, v8
	v_lshrrev_b32_e32 v8, 8, v3
	v_lshrrev_b32_e32 v3, 16, v3
	v_cndmask_b32_e32 v6, v7, v6, vcc
	v_cmp_ne_u32_e32 vcc, 0, v2
	v_and_b32_sdwa v7, v1, s4 dst_sel:DWORD dst_unused:UNUSED_PAD src0_sel:WORD_1 src1_sel:DWORD
	s_nop 0
	v_cndmask_b32_e64 v2, 0, 1, vcc
	v_and_or_b32 v2, v8, s1, v2
	v_or_b32_e32 v8, 0x1000, v2
	v_lshrrev_b32_e32 v13, v12, v8
	v_lshlrev_b32_e32 v12, v12, v13
	v_cmp_ne_u32_e32 vcc, v12, v8
	v_lshl_or_b32 v12, v11, 12, v2
	s_nop 0
	v_cndmask_b32_e64 v8, 0, 1, vcc
	v_or_b32_e32 v8, v13, v8
	v_cmp_gt_i32_e32 vcc, 1, v11
	s_nop 1
	v_cndmask_b32_e32 v8, v12, v8, vcc
	v_and_b32_e32 v12, 7, v8
	v_cmp_lt_i32_e32 vcc, 5, v12
	v_lshrrev_b32_e32 v8, 2, v8
	s_nop 0
	v_cndmask_b32_e64 v13, 0, 1, vcc
	v_cmp_eq_u32_e32 vcc, 3, v12
	s_nop 1
	v_cndmask_b32_e64 v12, 0, 1, vcc
	v_or_b32_e32 v12, v12, v13
	v_add_u32_e32 v8, v8, v12
	v_cmp_gt_i32_e32 vcc, 31, v11
	s_nop 1
	v_cndmask_b32_e32 v8, v9, v8, vcc
	v_cmp_ne_u32_e32 vcc, 0, v2
	s_nop 1
	v_cndmask_b32_e32 v2, v9, v10, vcc
	v_cmp_eq_u32_e32 vcc, s3, v11
	s_nop 1
	v_cndmask_b32_e32 v2, v8, v2, vcc
	v_and_or_b32 v2, v3, s4, v2
	v_bitop3_b32 v3, v7, s0, v6 bitop3:0xc8
	v_lshl_or_b32 v2, v2, 16, v3
	global_store_dword v[4:5], v2, off
.LBB55_1788:
	s_mov_b64 s[0:1], 0
.LBB55_1789:
	s_andn2_b64 vcc, exec, s[0:1]
	s_cbranch_vccnz .LBB55_1798
; %bb.1790:
	s_cmp_lt_i32 s2, 6
	s_mov_b64 s[0:1], -1
	s_cbranch_scc1 .LBB55_1796
; %bb.1791:
	s_cmp_gt_i32 s2, 6
	s_cbranch_scc0 .LBB55_1793
; %bb.1792:
	global_store_dwordx2 v[4:5], v[0:1], off
	s_mov_b64 s[0:1], 0
.LBB55_1793:
	s_andn2_b64 vcc, exec, s[0:1]
	s_cbranch_vccnz .LBB55_1795
; %bb.1794:
	v_cvt_f32_f64_e32 v2, v[0:1]
	global_store_dword v[4:5], v2, off
.LBB55_1795:
	s_mov_b64 s[0:1], 0
.LBB55_1796:
	s_andn2_b64 vcc, exec, s[0:1]
	s_cbranch_vccnz .LBB55_1798
; %bb.1797:
	s_movk_i32 s0, 0x1ff
	v_and_or_b32 v2, v1, s0, v0
	v_cmp_ne_u32_e32 vcc, 0, v2
	v_lshrrev_b32_e32 v3, 8, v1
	s_movk_i32 s0, 0xffe
	v_cndmask_b32_e64 v2, 0, 1, vcc
	v_bfe_u32 v6, v1, 20, 11
	v_and_or_b32 v2, v3, s0, v2
	v_sub_u32_e32 v7, 0x3f1, v6
	v_or_b32_e32 v3, 0x1000, v2
	v_med3_i32 v7, v7, 0, 13
	v_lshrrev_b32_e32 v8, v7, v3
	v_lshlrev_b32_e32 v7, v7, v8
	v_cmp_ne_u32_e32 vcc, v7, v3
	v_add_u32_e32 v6, 0xfffffc10, v6
	v_lshl_or_b32 v7, v6, 12, v2
	v_cndmask_b32_e64 v3, 0, 1, vcc
	v_or_b32_e32 v3, v8, v3
	v_cmp_gt_i32_e32 vcc, 1, v6
	s_movk_i32 s0, 0x40f
	s_nop 0
	v_cndmask_b32_e32 v3, v7, v3, vcc
	v_and_b32_e32 v7, 7, v3
	v_cmp_lt_i32_e32 vcc, 5, v7
	v_lshrrev_b32_e32 v3, 2, v3
	s_nop 0
	v_cndmask_b32_e64 v8, 0, 1, vcc
	v_cmp_eq_u32_e32 vcc, 3, v7
	s_nop 1
	v_cndmask_b32_e64 v7, 0, 1, vcc
	v_or_b32_e32 v7, v7, v8
	v_add_u32_e32 v3, v3, v7
	v_mov_b32_e32 v7, 0x7c00
	v_cmp_gt_i32_e32 vcc, 31, v6
	v_mov_b32_e32 v8, 0x7e00
	s_nop 0
	v_cndmask_b32_e32 v3, v7, v3, vcc
	v_cmp_ne_u32_e32 vcc, 0, v2
	s_nop 1
	v_cndmask_b32_e32 v2, v7, v8, vcc
	v_cmp_eq_u32_e32 vcc, s0, v6
	s_mov_b32 s0, 0x8000
	s_nop 0
	v_cndmask_b32_e32 v2, v3, v2, vcc
	v_lshrrev_b32_e32 v3, 16, v1
	v_and_or_b32 v2, v3, s0, v2
	global_store_short v[4:5], v2, off
.LBB55_1798:
	s_mov_b64 s[0:1], 0
.LBB55_1799:
	s_andn2_b64 vcc, exec, s[0:1]
	s_cbranch_vccnz .LBB55_1815
; %bb.1800:
	s_cmp_lt_i32 s2, 2
	s_mov_b64 s[0:1], -1
	s_cbranch_scc1 .LBB55_1810
; %bb.1801:
	s_cmp_lt_i32 s2, 3
	s_cbranch_scc1 .LBB55_1807
; %bb.1802:
	s_cmp_gt_i32 s2, 3
	s_cbranch_scc0 .LBB55_1804
; %bb.1803:
	v_trunc_f64_e32 v[2:3], v[0:1]
	s_movk_i32 s0, 0xffe0
	v_ldexp_f64 v[6:7], v[2:3], s0
	v_floor_f64_e32 v[6:7], v[6:7]
	v_fmac_f64_e32 v[2:3], 0xc1f00000, v[6:7]
	v_cvt_i32_f64_e32 v9, v[6:7]
	v_cvt_u32_f64_e32 v8, v[2:3]
	global_store_dwordx2 v[4:5], v[8:9], off
	s_mov_b64 s[0:1], 0
.LBB55_1804:
	s_andn2_b64 vcc, exec, s[0:1]
	s_cbranch_vccnz .LBB55_1806
; %bb.1805:
	v_cvt_i32_f64_e32 v2, v[0:1]
	global_store_dword v[4:5], v2, off
.LBB55_1806:
	s_mov_b64 s[0:1], 0
.LBB55_1807:
	s_andn2_b64 vcc, exec, s[0:1]
	s_cbranch_vccnz .LBB55_1809
; %bb.1808:
	v_cvt_i32_f64_e32 v2, v[0:1]
	global_store_short v[4:5], v2, off
.LBB55_1809:
	s_mov_b64 s[0:1], 0
.LBB55_1810:
	s_andn2_b64 vcc, exec, s[0:1]
	s_cbranch_vccnz .LBB55_1815
; %bb.1811:
	s_cmp_gt_i32 s2, 0
	s_mov_b64 s[0:1], -1
	s_cbranch_scc0 .LBB55_1813
; %bb.1812:
	v_cvt_i32_f64_e32 v2, v[0:1]
	global_store_byte v[4:5], v2, off
	s_mov_b64 s[0:1], 0
.LBB55_1813:
	s_andn2_b64 vcc, exec, s[0:1]
	s_cbranch_vccnz .LBB55_1815
; %bb.1814:
	v_trunc_f64_e32 v[0:1], v[0:1]
	s_movk_i32 s0, 0xffe0
	v_ldexp_f64 v[2:3], v[0:1], s0
	v_floor_f64_e32 v[2:3], v[2:3]
	v_fmac_f64_e32 v[0:1], 0xc1f00000, v[2:3]
	v_cvt_u32_f64_e32 v0, v[0:1]
	global_store_byte v[4:5], v0, off
.LBB55_1815:
	s_mov_b64 s[4:5], -1
.LBB55_1816:
	s_andn2_b64 vcc, exec, s[4:5]
	s_cbranch_vccnz .LBB55_2012
; %bb.1817:
	s_getpc_b64 s[0:1]
	s_add_u32 s0, s0, _ZZZZN2at6native15exp_kernel_cudaERNS_18TensorIteratorBaseEENKUlvE_clEvENKUlvE_clEvENKUlN3c107complexIdEEE_clES7_@rel32@lo+4
	s_addc_u32 s1, s1, _ZZZZN2at6native15exp_kernel_cudaERNS_18TensorIteratorBaseEENKUlvE_clEvENKUlvE_clEvENKUlN3c107complexIdEEE_clES7_@rel32@hi+12
	v_mov_b32_e32 v0, v38
	v_mov_b32_e32 v1, v39
	;; [unrolled: 1-line block ×4, first 2 shown]
	s_swappc_b64 s[30:31], s[0:1]
	v_add_u32_e32 v38, s33, v42
	v_ashrrev_i32_e32 v39, 31, v38
	s_cmp_lt_i32 s52, 11
	v_lshl_add_u64 v[4:5], s[36:37], 0, v[38:39]
	s_cbranch_scc1 .LBB55_1895
; %bb.1818:
	s_and_b32 s10, 0xffff, s52
	s_mov_b64 s[6:7], -1
	s_mov_b64 s[2:3], 0
	s_cmp_gt_i32 s10, 25
	s_mov_b64 s[4:5], 0
	s_mov_b64 s[0:1], 0
	s_cbranch_scc0 .LBB55_1851
; %bb.1819:
	s_cmp_gt_i32 s10, 28
	s_cbranch_scc0 .LBB55_1834
; %bb.1820:
	s_cmp_gt_i32 s10, 43
	;; [unrolled: 3-line block ×3, first 2 shown]
	s_cbranch_scc0 .LBB55_1824
; %bb.1822:
	s_mov_b64 s[0:1], -1
	s_mov_b64 s[6:7], 0
	s_cmp_eq_u32 s10, 46
	s_cbranch_scc0 .LBB55_1824
; %bb.1823:
	v_cvt_f32_f64_e32 v7, v[2:3]
	s_movk_i32 s0, 0x7fff
	v_bfe_u32 v9, v7, 16, 1
	v_cvt_f32_f64_e32 v6, v[0:1]
	v_add3_u32 v9, v7, v9, s0
	v_bfe_u32 v8, v6, 16, 1
	v_and_b32_e32 v9, 0xffff0000, v9
	v_mov_b32_e32 v10, 0x7fc00000
	v_cmp_o_f32_e32 vcc, v7, v7
	v_add3_u32 v8, v6, v8, s0
	s_mov_b64 s[0:1], 0
	v_cndmask_b32_e32 v7, v10, v9, vcc
	v_cmp_o_f32_e32 vcc, v6, v6
	v_mov_b32_e32 v6, 0x7fc0
	s_mov_b64 s[4:5], -1
	v_cndmask_b32_sdwa v6, v6, v8, vcc dst_sel:DWORD dst_unused:UNUSED_PAD src0_sel:DWORD src1_sel:WORD_1
	v_or_b32_e32 v6, v7, v6
	global_store_dword v[4:5], v6, off
.LBB55_1824:
	s_and_b64 vcc, exec, s[6:7]
	s_cbranch_vccz .LBB55_1829
; %bb.1825:
	s_cmp_eq_u32 s10, 44
	s_mov_b64 s[0:1], -1
	s_cbranch_scc0 .LBB55_1829
; %bb.1826:
	v_cvt_f32_f64_e32 v6, v[0:1]
	v_bfe_u32 v7, v6, 23, 8
	s_movk_i32 s0, 0xff
	v_cmp_ne_u32_e32 vcc, s0, v7
	v_mov_b32_e32 v8, 0xff
	s_and_saveexec_b64 s[4:5], vcc
; %bb.1827:
	s_mov_b32 s0, 0x3fffff
	v_lshrrev_b32_e32 v8, 23, v6
	v_and_b32_e32 v9, 0x400000, v6
	v_and_or_b32 v6, v6, s0, v7
	v_cmp_ne_u32_e32 vcc, 0, v9
	v_cmp_ne_u32_e64 s[0:1], 0, v6
	s_and_b64 s[0:1], vcc, s[0:1]
	s_nop 0
	v_cndmask_b32_e64 v6, 0, 1, s[0:1]
	v_add_u32_e32 v8, v8, v6
; %bb.1828:
	s_or_b64 exec, exec, s[4:5]
	s_mov_b64 s[0:1], 0
	s_mov_b64 s[4:5], -1
	global_store_byte v[4:5], v8, off
.LBB55_1829:
	s_mov_b64 s[6:7], 0
.LBB55_1830:
	s_and_b64 vcc, exec, s[6:7]
	s_cbranch_vccz .LBB55_1833
; %bb.1831:
	s_cmp_eq_u32 s10, 29
	s_mov_b64 s[0:1], -1
	s_cbranch_scc0 .LBB55_1833
; %bb.1832:
	v_trunc_f64_e32 v[6:7], v[0:1]
	s_movk_i32 s0, 0xffe0
	v_ldexp_f64 v[8:9], v[6:7], s0
	v_floor_f64_e32 v[8:9], v[8:9]
	v_fmac_f64_e32 v[6:7], 0xc1f00000, v[8:9]
	v_cvt_u32_f64_e32 v11, v[8:9]
	v_cvt_u32_f64_e32 v10, v[6:7]
	global_store_dwordx2 v[4:5], v[10:11], off
	s_mov_b64 s[0:1], 0
	s_mov_b64 s[4:5], -1
.LBB55_1833:
	s_mov_b64 s[6:7], 0
.LBB55_1834:
	s_and_b64 vcc, exec, s[6:7]
	s_cbranch_vccz .LBB55_1850
; %bb.1835:
	s_cmp_lt_i32 s10, 27
	s_mov_b64 s[4:5], -1
	s_cbranch_scc1 .LBB55_1841
; %bb.1836:
	s_cmp_gt_i32 s10, 27
	v_cvt_u32_f64_e32 v6, v[0:1]
	s_cbranch_scc0 .LBB55_1838
; %bb.1837:
	s_mov_b64 s[4:5], 0
	global_store_dword v[4:5], v6, off
.LBB55_1838:
	s_andn2_b64 vcc, exec, s[4:5]
	s_cbranch_vccnz .LBB55_1840
; %bb.1839:
	global_store_short v[4:5], v6, off
.LBB55_1840:
	s_mov_b64 s[4:5], 0
.LBB55_1841:
	s_andn2_b64 vcc, exec, s[4:5]
	s_cbranch_vccnz .LBB55_1849
; %bb.1842:
	v_cvt_f32_f64_e32 v6, v[0:1]
	v_and_b32_e32 v7, 0x7fffffff, v6
	s_mov_b32 s4, 0x43800000
	v_cmp_gt_u32_e32 vcc, s4, v7
	v_mov_b32_e32 v8, 0x80
	s_and_saveexec_b64 s[4:5], vcc
	s_cbranch_execz .LBB55_1848
; %bb.1843:
	s_mov_b32 s6, 0x3bffffff
	v_cmp_lt_u32_e32 vcc, s6, v7
	s_mov_b64 s[6:7], 0
                                        ; implicit-def: $vgpr7
	s_and_saveexec_b64 s[8:9], vcc
	s_xor_b64 s[8:9], exec, s[8:9]
	s_cbranch_execz .LBB55_2068
; %bb.1844:
	v_bfe_u32 v7, v6, 20, 1
	s_mov_b32 s11, 0x487ffff
	v_add3_u32 v7, v6, v7, s11
	s_mov_b64 s[6:7], exec
	v_lshrrev_b32_e32 v7, 20, v7
	s_andn2_saveexec_b64 s[8:9], s[8:9]
	s_cbranch_execnz .LBB55_2069
.LBB55_1845:
	s_or_b64 exec, exec, s[8:9]
	v_mov_b32_e32 v8, 0
	s_and_saveexec_b64 s[8:9], s[6:7]
.LBB55_1846:
	v_lshrrev_b32_e32 v6, 24, v6
	s_movk_i32 s6, 0x80
	v_and_or_b32 v8, v6, s6, v7
.LBB55_1847:
	s_or_b64 exec, exec, s[8:9]
.LBB55_1848:
	s_or_b64 exec, exec, s[4:5]
	global_store_byte v[4:5], v8, off
.LBB55_1849:
	s_mov_b64 s[4:5], -1
.LBB55_1850:
	s_mov_b64 s[6:7], 0
.LBB55_1851:
	s_and_b64 vcc, exec, s[6:7]
	s_cbranch_vccz .LBB55_1891
; %bb.1852:
	s_cmp_gt_i32 s10, 22
	s_mov_b64 s[2:3], -1
	s_cbranch_scc0 .LBB55_1884
; %bb.1853:
	s_cmp_lt_i32 s10, 24
	s_cbranch_scc1 .LBB55_1873
; %bb.1854:
	s_cmp_gt_i32 s10, 24
	s_cbranch_scc0 .LBB55_1862
; %bb.1855:
	v_cvt_f32_f64_e32 v6, v[0:1]
	v_and_b32_e32 v7, 0x7fffffff, v6
	s_mov_b32 s2, 0x47800000
	v_cmp_gt_u32_e32 vcc, s2, v7
	v_mov_b32_e32 v8, 0x80
	s_and_saveexec_b64 s[2:3], vcc
	s_cbranch_execz .LBB55_1861
; %bb.1856:
	s_mov_b32 s4, 0x37ffffff
	v_cmp_lt_u32_e32 vcc, s4, v7
	s_mov_b64 s[4:5], 0
                                        ; implicit-def: $vgpr7
	s_and_saveexec_b64 s[6:7], vcc
	s_xor_b64 s[6:7], exec, s[6:7]
	s_cbranch_execz .LBB55_2071
; %bb.1857:
	v_bfe_u32 v7, v6, 21, 1
	s_mov_b32 s8, 0x88fffff
	v_add3_u32 v7, v6, v7, s8
	s_mov_b64 s[4:5], exec
	v_lshrrev_b32_e32 v7, 21, v7
	s_andn2_saveexec_b64 s[6:7], s[6:7]
	s_cbranch_execnz .LBB55_2072
.LBB55_1858:
	s_or_b64 exec, exec, s[6:7]
	v_mov_b32_e32 v8, 0
	s_and_saveexec_b64 s[6:7], s[4:5]
.LBB55_1859:
	v_lshrrev_b32_e32 v6, 24, v6
	s_movk_i32 s4, 0x80
	v_and_or_b32 v8, v6, s4, v7
.LBB55_1860:
	s_or_b64 exec, exec, s[6:7]
.LBB55_1861:
	s_or_b64 exec, exec, s[2:3]
	s_mov_b64 s[2:3], 0
	global_store_byte v[4:5], v8, off
.LBB55_1862:
	s_and_b64 vcc, exec, s[2:3]
	s_cbranch_vccz .LBB55_1872
; %bb.1863:
	v_cvt_f32_f64_e32 v6, v[0:1]
	v_and_b32_e32 v8, 0x7fffffff, v6
	s_mov_b32 s2, 0x43f00000
	v_cmp_gt_u32_e32 vcc, s2, v8
                                        ; implicit-def: $vgpr7
	s_and_saveexec_b64 s[2:3], vcc
	s_xor_b64 s[2:3], exec, s[2:3]
	s_cbranch_execz .LBB55_1869
; %bb.1864:
	s_mov_b32 s4, 0x3c7fffff
	v_cmp_lt_u32_e32 vcc, s4, v8
                                        ; implicit-def: $vgpr7
	s_and_saveexec_b64 s[4:5], vcc
	s_xor_b64 s[4:5], exec, s[4:5]
; %bb.1865:
	v_bfe_u32 v7, v6, 20, 1
	s_mov_b32 s6, 0x407ffff
	v_add3_u32 v7, v6, v7, s6
	v_lshrrev_b32_e32 v8, 20, v7
	v_and_b32_e32 v7, 0xff00000, v7
	s_mov_b32 s6, 0x7f00000
	v_mov_b32_e32 v9, 0x7e
	v_cmp_ne_u32_e32 vcc, s6, v7
	s_nop 1
	v_cndmask_b32_e32 v7, v9, v8, vcc
; %bb.1866:
	s_andn2_saveexec_b64 s[4:5], s[4:5]
; %bb.1867:
	s_mov_b32 s6, 0x46800000
	v_add_f32_e64 v7, |v6|, s6
; %bb.1868:
	s_or_b64 exec, exec, s[4:5]
                                        ; implicit-def: $vgpr8
.LBB55_1869:
	s_andn2_saveexec_b64 s[2:3], s[2:3]
; %bb.1870:
	s_mov_b32 s4, 0x7f800000
	v_mov_b32_e32 v7, 0x7e
	v_mov_b32_e32 v9, 0x7f
	v_cmp_lt_u32_e32 vcc, s4, v8
	s_nop 1
	v_cndmask_b32_e32 v7, v7, v9, vcc
; %bb.1871:
	s_or_b64 exec, exec, s[2:3]
	v_lshrrev_b32_e32 v6, 24, v6
	s_movk_i32 s2, 0x80
	v_and_or_b32 v6, v6, s2, v7
	global_store_byte v[4:5], v6, off
.LBB55_1872:
	s_mov_b64 s[2:3], 0
.LBB55_1873:
	s_andn2_b64 vcc, exec, s[2:3]
	s_cbranch_vccnz .LBB55_1883
; %bb.1874:
	v_cvt_f32_f64_e32 v6, v[0:1]
	v_and_b32_e32 v8, 0x7fffffff, v6
	s_mov_b32 s2, 0x47800000
	v_cmp_gt_u32_e32 vcc, s2, v8
                                        ; implicit-def: $vgpr7
	s_and_saveexec_b64 s[2:3], vcc
	s_xor_b64 s[2:3], exec, s[2:3]
	s_cbranch_execz .LBB55_1880
; %bb.1875:
	s_mov_b32 s4, 0x387fffff
	v_cmp_lt_u32_e32 vcc, s4, v8
                                        ; implicit-def: $vgpr7
	s_and_saveexec_b64 s[4:5], vcc
	s_xor_b64 s[4:5], exec, s[4:5]
; %bb.1876:
	v_bfe_u32 v7, v6, 21, 1
	s_mov_b32 s6, 0x80fffff
	v_add3_u32 v7, v6, v7, s6
	v_lshrrev_b32_e32 v7, 21, v7
; %bb.1877:
	s_andn2_saveexec_b64 s[4:5], s[4:5]
; %bb.1878:
	s_mov_b32 s6, 0x43000000
	v_add_f32_e64 v7, |v6|, s6
; %bb.1879:
	s_or_b64 exec, exec, s[4:5]
                                        ; implicit-def: $vgpr8
.LBB55_1880:
	s_andn2_saveexec_b64 s[2:3], s[2:3]
; %bb.1881:
	s_mov_b32 s4, 0x7f800000
	v_mov_b32_e32 v7, 0x7c
	v_mov_b32_e32 v9, 0x7f
	v_cmp_lt_u32_e32 vcc, s4, v8
	s_nop 1
	v_cndmask_b32_e32 v7, v7, v9, vcc
; %bb.1882:
	s_or_b64 exec, exec, s[2:3]
	v_lshrrev_b32_e32 v6, 24, v6
	s_movk_i32 s2, 0x80
	v_and_or_b32 v6, v6, s2, v7
	global_store_byte v[4:5], v6, off
.LBB55_1883:
	s_mov_b64 s[2:3], 0
	s_mov_b64 s[4:5], -1
.LBB55_1884:
	s_andn2_b64 vcc, exec, s[2:3]
	s_mov_b64 s[2:3], 0
	s_cbranch_vccnz .LBB55_1891
; %bb.1885:
	s_cmp_gt_i32 s10, 14
	s_mov_b64 s[6:7], -1
	s_cbranch_scc0 .LBB55_1889
; %bb.1886:
	s_cmp_eq_u32 s10, 15
	s_mov_b64 s[0:1], -1
	s_cbranch_scc0 .LBB55_1888
; %bb.1887:
	v_cvt_f32_f64_e32 v6, v[0:1]
	v_bfe_u32 v7, v6, 16, 1
	s_movk_i32 s0, 0x7fff
	v_add3_u32 v7, v6, v7, s0
	v_cmp_o_f32_e32 vcc, v6, v6
	v_mov_b32_e32 v6, 0x7fc0
	s_mov_b64 s[0:1], 0
	v_cndmask_b32_sdwa v6, v6, v7, vcc dst_sel:DWORD dst_unused:UNUSED_PAD src0_sel:DWORD src1_sel:WORD_1
	global_store_short v[4:5], v6, off
	s_mov_b64 s[4:5], -1
.LBB55_1888:
	s_mov_b64 s[6:7], 0
.LBB55_1889:
	s_and_b64 vcc, exec, s[6:7]
	s_cbranch_vccz .LBB55_1891
; %bb.1890:
	s_cmp_lg_u32 s10, 11
	s_mov_b64 s[2:3], -1
	s_cselect_b64 s[0:1], -1, 0
.LBB55_1891:
	s_and_b64 vcc, exec, s[0:1]
	s_cbranch_vccnz .LBB55_2070
; %bb.1892:
	s_andn2_b64 vcc, exec, s[2:3]
	s_cbranch_vccnz .LBB55_1894
.LBB55_1893:
	v_cmp_neq_f64_e32 vcc, 0, v[0:1]
	v_cmp_neq_f64_e64 s[0:1], 0, v[2:3]
	s_or_b64 s[0:1], vcc, s[0:1]
	s_mov_b64 s[4:5], -1
	v_cndmask_b32_e64 v6, 0, 1, s[0:1]
	global_store_byte v[4:5], v6, off
.LBB55_1894:
	s_mov_b64 s[0:1], 0
	s_branch .LBB55_1896
.LBB55_1895:
	s_mov_b64 s[0:1], -1
	s_mov_b64 s[4:5], 0
.LBB55_1896:
	s_and_b64 vcc, exec, s[0:1]
	s_cbranch_vccz .LBB55_1935
; %bb.1897:
	s_and_b32 s2, 0xffff, s52
	s_cmp_lt_i32 s2, 5
	s_mov_b64 s[0:1], -1
	s_cbranch_scc1 .LBB55_1918
; %bb.1898:
	s_cmp_lt_i32 s2, 8
	s_cbranch_scc1 .LBB55_1908
; %bb.1899:
	s_cmp_lt_i32 s2, 9
	s_cbranch_scc1 .LBB55_1905
; %bb.1900:
	s_cmp_gt_i32 s2, 9
	s_cbranch_scc0 .LBB55_1902
; %bb.1901:
	global_store_dwordx4 v[4:5], v[0:3], off
	s_mov_b64 s[0:1], 0
.LBB55_1902:
	s_andn2_b64 vcc, exec, s[0:1]
	s_cbranch_vccnz .LBB55_1904
; %bb.1903:
	v_cvt_f32_f64_e32 v7, v[2:3]
	v_cvt_f32_f64_e32 v6, v[0:1]
	global_store_dwordx2 v[4:5], v[6:7], off
.LBB55_1904:
	s_mov_b64 s[0:1], 0
.LBB55_1905:
	s_andn2_b64 vcc, exec, s[0:1]
	s_cbranch_vccnz .LBB55_1907
; %bb.1906:
	s_movk_i32 s0, 0x1ff
	v_and_or_b32 v6, v1, s0, v0
	v_cmp_ne_u32_e32 vcc, 0, v6
	v_lshrrev_b32_e32 v7, 8, v1
	s_movk_i32 s1, 0xffe
	v_cndmask_b32_e64 v6, 0, 1, vcc
	v_bfe_u32 v8, v1, 20, 11
	v_and_or_b32 v6, v7, s1, v6
	v_sub_u32_e32 v9, 0x3f1, v8
	v_or_b32_e32 v7, 0x1000, v6
	v_med3_i32 v9, v9, 0, 13
	v_lshrrev_b32_e32 v10, v9, v7
	v_lshlrev_b32_e32 v9, v9, v10
	v_cmp_ne_u32_e32 vcc, v9, v7
	v_add_u32_e32 v8, 0xfffffc10, v8
	v_lshl_or_b32 v9, v8, 12, v6
	v_cndmask_b32_e64 v7, 0, 1, vcc
	v_or_b32_e32 v7, v10, v7
	v_cmp_gt_i32_e32 vcc, 1, v8
	s_movk_i32 s3, 0x40f
	v_and_or_b32 v2, v3, s0, v2
	v_cndmask_b32_e32 v7, v9, v7, vcc
	v_and_b32_e32 v9, 7, v7
	v_cmp_lt_i32_e32 vcc, 5, v9
	v_lshrrev_b32_e32 v7, 2, v7
	v_bfe_u32 v11, v3, 20, 11
	v_cndmask_b32_e64 v10, 0, 1, vcc
	v_cmp_eq_u32_e32 vcc, 3, v9
	v_sub_u32_e32 v12, 0x3f1, v11
	v_med3_i32 v12, v12, 0, 13
	v_cndmask_b32_e64 v9, 0, 1, vcc
	v_or_b32_e32 v9, v9, v10
	v_add_u32_e32 v7, v7, v9
	v_mov_b32_e32 v9, 0x7c00
	v_cmp_gt_i32_e32 vcc, 31, v8
	v_mov_b32_e32 v10, 0x7e00
	v_add_u32_e32 v11, 0xfffffc10, v11
	v_cndmask_b32_e32 v7, v9, v7, vcc
	v_cmp_ne_u32_e32 vcc, 0, v6
	s_mov_b32 s4, 0x8000
	s_mov_b32 s0, 0xffff
	v_cndmask_b32_e32 v6, v9, v10, vcc
	v_cmp_eq_u32_e32 vcc, s3, v8
	v_lshrrev_b32_e32 v8, 8, v3
	v_lshrrev_b32_e32 v3, 16, v3
	v_cndmask_b32_e32 v6, v7, v6, vcc
	v_cmp_ne_u32_e32 vcc, 0, v2
	v_and_b32_sdwa v7, v1, s4 dst_sel:DWORD dst_unused:UNUSED_PAD src0_sel:WORD_1 src1_sel:DWORD
	s_nop 0
	v_cndmask_b32_e64 v2, 0, 1, vcc
	v_and_or_b32 v2, v8, s1, v2
	v_or_b32_e32 v8, 0x1000, v2
	v_lshrrev_b32_e32 v13, v12, v8
	v_lshlrev_b32_e32 v12, v12, v13
	v_cmp_ne_u32_e32 vcc, v12, v8
	v_lshl_or_b32 v12, v11, 12, v2
	s_nop 0
	v_cndmask_b32_e64 v8, 0, 1, vcc
	v_or_b32_e32 v8, v13, v8
	v_cmp_gt_i32_e32 vcc, 1, v11
	s_nop 1
	v_cndmask_b32_e32 v8, v12, v8, vcc
	v_and_b32_e32 v12, 7, v8
	v_cmp_lt_i32_e32 vcc, 5, v12
	v_lshrrev_b32_e32 v8, 2, v8
	s_nop 0
	v_cndmask_b32_e64 v13, 0, 1, vcc
	v_cmp_eq_u32_e32 vcc, 3, v12
	s_nop 1
	v_cndmask_b32_e64 v12, 0, 1, vcc
	v_or_b32_e32 v12, v12, v13
	v_add_u32_e32 v8, v8, v12
	v_cmp_gt_i32_e32 vcc, 31, v11
	s_nop 1
	v_cndmask_b32_e32 v8, v9, v8, vcc
	v_cmp_ne_u32_e32 vcc, 0, v2
	s_nop 1
	v_cndmask_b32_e32 v2, v9, v10, vcc
	v_cmp_eq_u32_e32 vcc, s3, v11
	s_nop 1
	v_cndmask_b32_e32 v2, v8, v2, vcc
	v_and_or_b32 v2, v3, s4, v2
	v_bitop3_b32 v3, v7, s0, v6 bitop3:0xc8
	v_lshl_or_b32 v2, v2, 16, v3
	global_store_dword v[4:5], v2, off
.LBB55_1907:
	s_mov_b64 s[0:1], 0
.LBB55_1908:
	s_andn2_b64 vcc, exec, s[0:1]
	s_cbranch_vccnz .LBB55_1917
; %bb.1909:
	s_cmp_lt_i32 s2, 6
	s_mov_b64 s[0:1], -1
	s_cbranch_scc1 .LBB55_1915
; %bb.1910:
	s_cmp_gt_i32 s2, 6
	s_cbranch_scc0 .LBB55_1912
; %bb.1911:
	global_store_dwordx2 v[4:5], v[0:1], off
	s_mov_b64 s[0:1], 0
.LBB55_1912:
	s_andn2_b64 vcc, exec, s[0:1]
	s_cbranch_vccnz .LBB55_1914
; %bb.1913:
	v_cvt_f32_f64_e32 v2, v[0:1]
	global_store_dword v[4:5], v2, off
.LBB55_1914:
	s_mov_b64 s[0:1], 0
.LBB55_1915:
	s_andn2_b64 vcc, exec, s[0:1]
	s_cbranch_vccnz .LBB55_1917
; %bb.1916:
	s_movk_i32 s0, 0x1ff
	v_and_or_b32 v2, v1, s0, v0
	v_cmp_ne_u32_e32 vcc, 0, v2
	v_lshrrev_b32_e32 v3, 8, v1
	s_movk_i32 s0, 0xffe
	v_cndmask_b32_e64 v2, 0, 1, vcc
	v_bfe_u32 v6, v1, 20, 11
	v_and_or_b32 v2, v3, s0, v2
	v_sub_u32_e32 v7, 0x3f1, v6
	v_or_b32_e32 v3, 0x1000, v2
	v_med3_i32 v7, v7, 0, 13
	v_lshrrev_b32_e32 v8, v7, v3
	v_lshlrev_b32_e32 v7, v7, v8
	v_cmp_ne_u32_e32 vcc, v7, v3
	v_add_u32_e32 v6, 0xfffffc10, v6
	v_lshl_or_b32 v7, v6, 12, v2
	v_cndmask_b32_e64 v3, 0, 1, vcc
	v_or_b32_e32 v3, v8, v3
	v_cmp_gt_i32_e32 vcc, 1, v6
	s_movk_i32 s0, 0x40f
	s_nop 0
	v_cndmask_b32_e32 v3, v7, v3, vcc
	v_and_b32_e32 v7, 7, v3
	v_cmp_lt_i32_e32 vcc, 5, v7
	v_lshrrev_b32_e32 v3, 2, v3
	s_nop 0
	v_cndmask_b32_e64 v8, 0, 1, vcc
	v_cmp_eq_u32_e32 vcc, 3, v7
	s_nop 1
	v_cndmask_b32_e64 v7, 0, 1, vcc
	v_or_b32_e32 v7, v7, v8
	v_add_u32_e32 v3, v3, v7
	v_mov_b32_e32 v7, 0x7c00
	v_cmp_gt_i32_e32 vcc, 31, v6
	v_mov_b32_e32 v8, 0x7e00
	s_nop 0
	v_cndmask_b32_e32 v3, v7, v3, vcc
	v_cmp_ne_u32_e32 vcc, 0, v2
	s_nop 1
	v_cndmask_b32_e32 v2, v7, v8, vcc
	v_cmp_eq_u32_e32 vcc, s0, v6
	s_mov_b32 s0, 0x8000
	s_nop 0
	v_cndmask_b32_e32 v2, v3, v2, vcc
	v_lshrrev_b32_e32 v3, 16, v1
	v_and_or_b32 v2, v3, s0, v2
	global_store_short v[4:5], v2, off
.LBB55_1917:
	s_mov_b64 s[0:1], 0
.LBB55_1918:
	s_andn2_b64 vcc, exec, s[0:1]
	s_cbranch_vccnz .LBB55_1934
; %bb.1919:
	s_cmp_lt_i32 s2, 2
	s_mov_b64 s[0:1], -1
	s_cbranch_scc1 .LBB55_1929
; %bb.1920:
	s_cmp_lt_i32 s2, 3
	s_cbranch_scc1 .LBB55_1926
; %bb.1921:
	s_cmp_gt_i32 s2, 3
	s_cbranch_scc0 .LBB55_1923
; %bb.1922:
	v_trunc_f64_e32 v[2:3], v[0:1]
	s_movk_i32 s0, 0xffe0
	v_ldexp_f64 v[6:7], v[2:3], s0
	v_floor_f64_e32 v[6:7], v[6:7]
	v_fmac_f64_e32 v[2:3], 0xc1f00000, v[6:7]
	v_cvt_i32_f64_e32 v9, v[6:7]
	v_cvt_u32_f64_e32 v8, v[2:3]
	global_store_dwordx2 v[4:5], v[8:9], off
	s_mov_b64 s[0:1], 0
.LBB55_1923:
	s_andn2_b64 vcc, exec, s[0:1]
	s_cbranch_vccnz .LBB55_1925
; %bb.1924:
	v_cvt_i32_f64_e32 v2, v[0:1]
	global_store_dword v[4:5], v2, off
.LBB55_1925:
	s_mov_b64 s[0:1], 0
.LBB55_1926:
	s_andn2_b64 vcc, exec, s[0:1]
	s_cbranch_vccnz .LBB55_1928
; %bb.1927:
	v_cvt_i32_f64_e32 v2, v[0:1]
	global_store_short v[4:5], v2, off
.LBB55_1928:
	s_mov_b64 s[0:1], 0
.LBB55_1929:
	s_andn2_b64 vcc, exec, s[0:1]
	s_cbranch_vccnz .LBB55_1934
; %bb.1930:
	s_cmp_gt_i32 s2, 0
	s_mov_b64 s[0:1], -1
	s_cbranch_scc0 .LBB55_1932
; %bb.1931:
	v_cvt_i32_f64_e32 v2, v[0:1]
	global_store_byte v[4:5], v2, off
	s_mov_b64 s[0:1], 0
.LBB55_1932:
	s_andn2_b64 vcc, exec, s[0:1]
	s_cbranch_vccnz .LBB55_1934
; %bb.1933:
	v_trunc_f64_e32 v[0:1], v[0:1]
	s_movk_i32 s0, 0xffe0
	v_ldexp_f64 v[2:3], v[0:1], s0
	v_floor_f64_e32 v[2:3], v[2:3]
	v_fmac_f64_e32 v[0:1], 0xc1f00000, v[2:3]
	v_cvt_u32_f64_e32 v0, v[0:1]
	global_store_byte v[4:5], v0, off
.LBB55_1934:
	s_mov_b64 s[4:5], -1
.LBB55_1935:
	s_andn2_b64 vcc, exec, s[4:5]
	s_cbranch_vccnz .LBB55_2012
; %bb.1936:
	s_getpc_b64 s[0:1]
	s_add_u32 s0, s0, _ZZZZN2at6native15exp_kernel_cudaERNS_18TensorIteratorBaseEENKUlvE_clEvENKUlvE_clEvENKUlN3c107complexIdEEE_clES7_@rel32@lo+4
	s_addc_u32 s1, s1, _ZZZZN2at6native15exp_kernel_cudaERNS_18TensorIteratorBaseEENKUlvE_clEvENKUlvE_clEvENKUlN3c107complexIdEEE_clES7_@rel32@hi+12
	v_mov_b32_e32 v0, v34
	v_mov_b32_e32 v1, v35
	;; [unrolled: 1-line block ×4, first 2 shown]
	s_swappc_b64 s[30:31], s[0:1]
	v_add_u32_e32 v4, s33, v38
	v_ashrrev_i32_e32 v5, 31, v4
	s_cmp_lt_i32 s52, 11
	v_lshl_add_u64 v[4:5], s[36:37], 0, v[4:5]
	s_cbranch_scc1 .LBB55_2057
; %bb.1937:
	s_and_b32 s10, 0xffff, s52
	s_mov_b64 s[4:5], -1
	s_mov_b64 s[2:3], 0
	s_cmp_gt_i32 s10, 25
	s_mov_b64 s[0:1], 0
	s_cbranch_scc0 .LBB55_1970
; %bb.1938:
	s_cmp_gt_i32 s10, 28
	s_cbranch_scc0 .LBB55_1954
; %bb.1939:
	s_cmp_gt_i32 s10, 43
	;; [unrolled: 3-line block ×3, first 2 shown]
	s_cbranch_scc0 .LBB55_1944
; %bb.1941:
	s_cmp_eq_u32 s10, 46
	s_mov_b64 s[0:1], -1
	s_cbranch_scc0 .LBB55_1943
; %bb.1942:
	v_cvt_f32_f64_e32 v7, v[2:3]
	s_movk_i32 s0, 0x7fff
	v_bfe_u32 v9, v7, 16, 1
	v_cvt_f32_f64_e32 v6, v[0:1]
	v_add3_u32 v9, v7, v9, s0
	v_bfe_u32 v8, v6, 16, 1
	v_and_b32_e32 v9, 0xffff0000, v9
	v_mov_b32_e32 v10, 0x7fc00000
	v_cmp_o_f32_e32 vcc, v7, v7
	v_add3_u32 v8, v6, v8, s0
	s_mov_b64 s[0:1], 0
	v_cndmask_b32_e32 v7, v10, v9, vcc
	v_cmp_o_f32_e32 vcc, v6, v6
	v_mov_b32_e32 v6, 0x7fc0
	s_nop 0
	v_cndmask_b32_sdwa v6, v6, v8, vcc dst_sel:DWORD dst_unused:UNUSED_PAD src0_sel:DWORD src1_sel:WORD_1
	v_or_b32_e32 v6, v7, v6
	global_store_dword v[4:5], v6, off
.LBB55_1943:
	s_mov_b64 s[4:5], 0
.LBB55_1944:
	s_and_b64 vcc, exec, s[4:5]
	s_cbranch_vccz .LBB55_1949
; %bb.1945:
	s_cmp_eq_u32 s10, 44
	s_mov_b64 s[0:1], -1
	s_cbranch_scc0 .LBB55_1949
; %bb.1946:
	v_cvt_f32_f64_e32 v6, v[0:1]
	v_bfe_u32 v7, v6, 23, 8
	s_movk_i32 s0, 0xff
	v_cmp_ne_u32_e32 vcc, s0, v7
	v_mov_b32_e32 v8, 0xff
	s_and_saveexec_b64 s[4:5], vcc
; %bb.1947:
	s_mov_b32 s0, 0x3fffff
	v_lshrrev_b32_e32 v8, 23, v6
	v_and_b32_e32 v9, 0x400000, v6
	v_and_or_b32 v6, v6, s0, v7
	v_cmp_ne_u32_e32 vcc, 0, v9
	v_cmp_ne_u32_e64 s[0:1], 0, v6
	s_and_b64 s[0:1], vcc, s[0:1]
	s_nop 0
	v_cndmask_b32_e64 v6, 0, 1, s[0:1]
	v_add_u32_e32 v8, v8, v6
; %bb.1948:
	s_or_b64 exec, exec, s[4:5]
	s_mov_b64 s[0:1], 0
	global_store_byte v[4:5], v8, off
.LBB55_1949:
	s_mov_b64 s[4:5], 0
.LBB55_1950:
	s_and_b64 vcc, exec, s[4:5]
	s_cbranch_vccz .LBB55_1953
; %bb.1951:
	s_cmp_eq_u32 s10, 29
	s_mov_b64 s[0:1], -1
	s_cbranch_scc0 .LBB55_1953
; %bb.1952:
	v_trunc_f64_e32 v[6:7], v[0:1]
	s_movk_i32 s0, 0xffe0
	v_ldexp_f64 v[8:9], v[6:7], s0
	v_floor_f64_e32 v[8:9], v[8:9]
	v_fmac_f64_e32 v[6:7], 0xc1f00000, v[8:9]
	v_cvt_u32_f64_e32 v11, v[8:9]
	v_cvt_u32_f64_e32 v10, v[6:7]
	global_store_dwordx2 v[4:5], v[10:11], off
	s_mov_b64 s[0:1], 0
.LBB55_1953:
	s_mov_b64 s[4:5], 0
.LBB55_1954:
	s_and_b64 vcc, exec, s[4:5]
	s_cbranch_vccz .LBB55_1969
; %bb.1955:
	s_cmp_lt_i32 s10, 27
	s_mov_b64 s[4:5], -1
	s_cbranch_scc1 .LBB55_1961
; %bb.1956:
	s_cmp_gt_i32 s10, 27
	v_cvt_u32_f64_e32 v6, v[0:1]
	s_cbranch_scc0 .LBB55_1958
; %bb.1957:
	global_store_dword v[4:5], v6, off
	s_mov_b64 s[4:5], 0
.LBB55_1958:
	s_andn2_b64 vcc, exec, s[4:5]
	s_cbranch_vccnz .LBB55_1960
; %bb.1959:
	global_store_short v[4:5], v6, off
.LBB55_1960:
	s_mov_b64 s[4:5], 0
.LBB55_1961:
	s_andn2_b64 vcc, exec, s[4:5]
	s_cbranch_vccnz .LBB55_1969
; %bb.1962:
	v_cvt_f32_f64_e32 v6, v[0:1]
	v_and_b32_e32 v7, 0x7fffffff, v6
	s_mov_b32 s4, 0x43800000
	v_cmp_gt_u32_e32 vcc, s4, v7
	v_mov_b32_e32 v8, 0x80
	s_and_saveexec_b64 s[4:5], vcc
	s_cbranch_execz .LBB55_1968
; %bb.1963:
	s_mov_b32 s6, 0x3bffffff
	v_cmp_lt_u32_e32 vcc, s6, v7
	s_mov_b64 s[6:7], 0
                                        ; implicit-def: $vgpr7
	s_and_saveexec_b64 s[8:9], vcc
	s_xor_b64 s[8:9], exec, s[8:9]
	s_cbranch_execz .LBB55_2073
; %bb.1964:
	v_bfe_u32 v7, v6, 20, 1
	s_mov_b32 s11, 0x487ffff
	v_add3_u32 v7, v6, v7, s11
	s_mov_b64 s[6:7], exec
	v_lshrrev_b32_e32 v7, 20, v7
	s_andn2_saveexec_b64 s[8:9], s[8:9]
	s_cbranch_execnz .LBB55_2074
.LBB55_1965:
	s_or_b64 exec, exec, s[8:9]
	v_mov_b32_e32 v8, 0
	s_and_saveexec_b64 s[8:9], s[6:7]
.LBB55_1966:
	v_lshrrev_b32_e32 v6, 24, v6
	s_movk_i32 s6, 0x80
	v_and_or_b32 v8, v6, s6, v7
.LBB55_1967:
	s_or_b64 exec, exec, s[8:9]
.LBB55_1968:
	s_or_b64 exec, exec, s[4:5]
	global_store_byte v[4:5], v8, off
.LBB55_1969:
	s_mov_b64 s[4:5], 0
.LBB55_1970:
	s_and_b64 vcc, exec, s[4:5]
	s_cbranch_vccz .LBB55_2010
; %bb.1971:
	s_cmp_gt_i32 s10, 22
	s_mov_b64 s[2:3], -1
	s_cbranch_scc0 .LBB55_2003
; %bb.1972:
	s_cmp_lt_i32 s10, 24
	s_cbranch_scc1 .LBB55_1992
; %bb.1973:
	s_cmp_gt_i32 s10, 24
	s_cbranch_scc0 .LBB55_1981
; %bb.1974:
	v_cvt_f32_f64_e32 v6, v[0:1]
	v_and_b32_e32 v7, 0x7fffffff, v6
	s_mov_b32 s2, 0x47800000
	v_cmp_gt_u32_e32 vcc, s2, v7
	v_mov_b32_e32 v8, 0x80
	s_and_saveexec_b64 s[2:3], vcc
	s_cbranch_execz .LBB55_1980
; %bb.1975:
	s_mov_b32 s4, 0x37ffffff
	v_cmp_lt_u32_e32 vcc, s4, v7
	s_mov_b64 s[4:5], 0
                                        ; implicit-def: $vgpr7
	s_and_saveexec_b64 s[6:7], vcc
	s_xor_b64 s[6:7], exec, s[6:7]
	s_cbranch_execz .LBB55_2076
; %bb.1976:
	v_bfe_u32 v7, v6, 21, 1
	s_mov_b32 s8, 0x88fffff
	v_add3_u32 v7, v6, v7, s8
	s_mov_b64 s[4:5], exec
	v_lshrrev_b32_e32 v7, 21, v7
	s_andn2_saveexec_b64 s[6:7], s[6:7]
	s_cbranch_execnz .LBB55_2077
.LBB55_1977:
	s_or_b64 exec, exec, s[6:7]
	v_mov_b32_e32 v8, 0
	s_and_saveexec_b64 s[6:7], s[4:5]
.LBB55_1978:
	v_lshrrev_b32_e32 v6, 24, v6
	s_movk_i32 s4, 0x80
	v_and_or_b32 v8, v6, s4, v7
.LBB55_1979:
	s_or_b64 exec, exec, s[6:7]
.LBB55_1980:
	s_or_b64 exec, exec, s[2:3]
	s_mov_b64 s[2:3], 0
	global_store_byte v[4:5], v8, off
.LBB55_1981:
	s_and_b64 vcc, exec, s[2:3]
	s_cbranch_vccz .LBB55_1991
; %bb.1982:
	v_cvt_f32_f64_e32 v6, v[0:1]
	v_and_b32_e32 v8, 0x7fffffff, v6
	s_mov_b32 s2, 0x43f00000
	v_cmp_gt_u32_e32 vcc, s2, v8
                                        ; implicit-def: $vgpr7
	s_and_saveexec_b64 s[2:3], vcc
	s_xor_b64 s[2:3], exec, s[2:3]
	s_cbranch_execz .LBB55_1988
; %bb.1983:
	s_mov_b32 s4, 0x3c7fffff
	v_cmp_lt_u32_e32 vcc, s4, v8
                                        ; implicit-def: $vgpr7
	s_and_saveexec_b64 s[4:5], vcc
	s_xor_b64 s[4:5], exec, s[4:5]
; %bb.1984:
	v_bfe_u32 v7, v6, 20, 1
	s_mov_b32 s6, 0x407ffff
	v_add3_u32 v7, v6, v7, s6
	v_lshrrev_b32_e32 v8, 20, v7
	v_and_b32_e32 v7, 0xff00000, v7
	s_mov_b32 s6, 0x7f00000
	v_mov_b32_e32 v9, 0x7e
	v_cmp_ne_u32_e32 vcc, s6, v7
	s_nop 1
	v_cndmask_b32_e32 v7, v9, v8, vcc
; %bb.1985:
	s_andn2_saveexec_b64 s[4:5], s[4:5]
; %bb.1986:
	s_mov_b32 s6, 0x46800000
	v_add_f32_e64 v7, |v6|, s6
; %bb.1987:
	s_or_b64 exec, exec, s[4:5]
                                        ; implicit-def: $vgpr8
.LBB55_1988:
	s_andn2_saveexec_b64 s[2:3], s[2:3]
; %bb.1989:
	s_mov_b32 s4, 0x7f800000
	v_mov_b32_e32 v7, 0x7e
	v_mov_b32_e32 v9, 0x7f
	v_cmp_lt_u32_e32 vcc, s4, v8
	s_nop 1
	v_cndmask_b32_e32 v7, v7, v9, vcc
; %bb.1990:
	s_or_b64 exec, exec, s[2:3]
	v_lshrrev_b32_e32 v6, 24, v6
	s_movk_i32 s2, 0x80
	v_and_or_b32 v6, v6, s2, v7
	global_store_byte v[4:5], v6, off
.LBB55_1991:
	s_mov_b64 s[2:3], 0
.LBB55_1992:
	s_andn2_b64 vcc, exec, s[2:3]
	s_cbranch_vccnz .LBB55_2002
; %bb.1993:
	v_cvt_f32_f64_e32 v6, v[0:1]
	v_and_b32_e32 v8, 0x7fffffff, v6
	s_mov_b32 s2, 0x47800000
	v_cmp_gt_u32_e32 vcc, s2, v8
                                        ; implicit-def: $vgpr7
	s_and_saveexec_b64 s[2:3], vcc
	s_xor_b64 s[2:3], exec, s[2:3]
	s_cbranch_execz .LBB55_1999
; %bb.1994:
	s_mov_b32 s4, 0x387fffff
	v_cmp_lt_u32_e32 vcc, s4, v8
                                        ; implicit-def: $vgpr7
	s_and_saveexec_b64 s[4:5], vcc
	s_xor_b64 s[4:5], exec, s[4:5]
; %bb.1995:
	v_bfe_u32 v7, v6, 21, 1
	s_mov_b32 s6, 0x80fffff
	v_add3_u32 v7, v6, v7, s6
	v_lshrrev_b32_e32 v7, 21, v7
; %bb.1996:
	s_andn2_saveexec_b64 s[4:5], s[4:5]
; %bb.1997:
	s_mov_b32 s6, 0x43000000
	v_add_f32_e64 v7, |v6|, s6
; %bb.1998:
	s_or_b64 exec, exec, s[4:5]
                                        ; implicit-def: $vgpr8
.LBB55_1999:
	s_andn2_saveexec_b64 s[2:3], s[2:3]
; %bb.2000:
	s_mov_b32 s4, 0x7f800000
	v_mov_b32_e32 v7, 0x7c
	v_mov_b32_e32 v9, 0x7f
	v_cmp_lt_u32_e32 vcc, s4, v8
	s_nop 1
	v_cndmask_b32_e32 v7, v7, v9, vcc
; %bb.2001:
	s_or_b64 exec, exec, s[2:3]
	v_lshrrev_b32_e32 v6, 24, v6
	s_movk_i32 s2, 0x80
	v_and_or_b32 v6, v6, s2, v7
	global_store_byte v[4:5], v6, off
.LBB55_2002:
	s_mov_b64 s[2:3], 0
.LBB55_2003:
	s_andn2_b64 vcc, exec, s[2:3]
	s_mov_b64 s[2:3], 0
	s_cbranch_vccnz .LBB55_2010
; %bb.2004:
	s_cmp_gt_i32 s10, 14
	s_mov_b64 s[4:5], -1
	s_cbranch_scc0 .LBB55_2008
; %bb.2005:
	s_cmp_eq_u32 s10, 15
	s_mov_b64 s[0:1], -1
	s_cbranch_scc0 .LBB55_2007
; %bb.2006:
	v_cvt_f32_f64_e32 v6, v[0:1]
	v_bfe_u32 v7, v6, 16, 1
	s_movk_i32 s0, 0x7fff
	v_add3_u32 v7, v6, v7, s0
	v_cmp_o_f32_e32 vcc, v6, v6
	v_mov_b32_e32 v6, 0x7fc0
	s_mov_b64 s[0:1], 0
	v_cndmask_b32_sdwa v6, v6, v7, vcc dst_sel:DWORD dst_unused:UNUSED_PAD src0_sel:DWORD src1_sel:WORD_1
	global_store_short v[4:5], v6, off
.LBB55_2007:
	s_mov_b64 s[4:5], 0
.LBB55_2008:
	s_and_b64 vcc, exec, s[4:5]
	s_cbranch_vccz .LBB55_2010
; %bb.2009:
	s_cmp_lg_u32 s10, 11
	s_mov_b64 s[2:3], -1
	s_cselect_b64 s[0:1], -1, 0
.LBB55_2010:
	s_and_b64 vcc, exec, s[0:1]
	s_cbranch_vccnz .LBB55_2075
.LBB55_2011:
	s_mov_b64 s[0:1], 0
	s_branch .LBB55_2013
.LBB55_2012:
	s_mov_b64 s[0:1], 0
	s_mov_b64 s[2:3], 0
                                        ; implicit-def: $sgpr52
                                        ; implicit-def: $vgpr4_vgpr5
                                        ; implicit-def: $vgpr2_vgpr3
.LBB55_2013:
	s_and_b64 s[4:5], s[0:1], exec
	s_and_b64 s[44:45], s[2:3], exec
	s_andn2_b64 s[0:1], s[48:49], exec
	s_and_b64 s[2:3], s[50:51], exec
	s_or_b64 s[48:49], s[0:1], s[2:3]
.LBB55_2014:
	s_or_b64 exec, exec, s[46:47]
	s_and_saveexec_b64 s[0:1], s[48:49]
	s_cbranch_execz .LBB55_2017
; %bb.2015:
	; divergent unreachable
	s_or_b64 exec, exec, s[0:1]
	s_and_saveexec_b64 s[0:1], s[44:45]
	s_xor_b64 s[2:3], exec, s[0:1]
	s_cbranch_execnz .LBB55_2018
.LBB55_2016:
	s_or_b64 exec, exec, s[2:3]
	s_and_saveexec_b64 s[0:1], s[4:5]
	s_cbranch_execnz .LBB55_2019
	s_branch .LBB55_2056
.LBB55_2017:
	s_or_b64 exec, exec, s[0:1]
	s_and_saveexec_b64 s[0:1], s[44:45]
	s_xor_b64 s[2:3], exec, s[0:1]
	s_cbranch_execz .LBB55_2016
.LBB55_2018:
	s_waitcnt vmcnt(0)
	v_cmp_neq_f64_e32 vcc, 0, v[0:1]
	v_cmp_neq_f64_e64 s[0:1], 0, v[2:3]
	s_or_b64 s[0:1], vcc, s[0:1]
	s_nop 0
	v_cndmask_b32_e64 v6, 0, 1, s[0:1]
	global_store_byte v[4:5], v6, off
	s_or_b64 exec, exec, s[2:3]
	s_and_saveexec_b64 s[0:1], s[4:5]
	s_cbranch_execz .LBB55_2056
.LBB55_2019:
	s_sext_i32_i16 s2, s52
	s_cmp_lt_i32 s2, 5
	s_mov_b64 s[0:1], -1
	s_cbranch_scc1 .LBB55_2040
; %bb.2020:
	s_cmp_lt_i32 s2, 8
	s_cbranch_scc1 .LBB55_2030
; %bb.2021:
	s_cmp_lt_i32 s2, 9
	s_cbranch_scc1 .LBB55_2027
; %bb.2022:
	s_cmp_gt_i32 s2, 9
	s_cbranch_scc0 .LBB55_2024
; %bb.2023:
	s_waitcnt vmcnt(0)
	global_store_dwordx4 v[4:5], v[0:3], off
	s_mov_b64 s[0:1], 0
.LBB55_2024:
	s_andn2_b64 vcc, exec, s[0:1]
	s_cbranch_vccnz .LBB55_2026
; %bb.2025:
	s_waitcnt vmcnt(0)
	v_cvt_f32_f64_e32 v7, v[2:3]
	v_cvt_f32_f64_e32 v6, v[0:1]
	global_store_dwordx2 v[4:5], v[6:7], off
.LBB55_2026:
	s_mov_b64 s[0:1], 0
.LBB55_2027:
	s_andn2_b64 vcc, exec, s[0:1]
	s_cbranch_vccnz .LBB55_2029
; %bb.2028:
	s_movk_i32 s0, 0x1ff
	s_waitcnt vmcnt(0)
	v_and_or_b32 v6, v1, s0, v0
	v_cmp_ne_u32_e32 vcc, 0, v6
	v_lshrrev_b32_e32 v7, 8, v1
	s_movk_i32 s1, 0xffe
	v_cndmask_b32_e64 v6, 0, 1, vcc
	v_bfe_u32 v8, v1, 20, 11
	v_and_or_b32 v6, v7, s1, v6
	v_sub_u32_e32 v9, 0x3f1, v8
	v_or_b32_e32 v7, 0x1000, v6
	v_med3_i32 v9, v9, 0, 13
	v_lshrrev_b32_e32 v10, v9, v7
	v_lshlrev_b32_e32 v9, v9, v10
	v_cmp_ne_u32_e32 vcc, v9, v7
	v_add_u32_e32 v8, 0xfffffc10, v8
	v_lshl_or_b32 v9, v8, 12, v6
	v_cndmask_b32_e64 v7, 0, 1, vcc
	v_or_b32_e32 v7, v10, v7
	v_cmp_gt_i32_e32 vcc, 1, v8
	s_movk_i32 s2, 0x40f
	v_and_or_b32 v2, v3, s0, v2
	v_cndmask_b32_e32 v7, v9, v7, vcc
	v_and_b32_e32 v9, 7, v7
	v_cmp_lt_i32_e32 vcc, 5, v9
	v_lshrrev_b32_e32 v7, 2, v7
	v_bfe_u32 v11, v3, 20, 11
	v_cndmask_b32_e64 v10, 0, 1, vcc
	v_cmp_eq_u32_e32 vcc, 3, v9
	v_sub_u32_e32 v12, 0x3f1, v11
	v_med3_i32 v12, v12, 0, 13
	v_cndmask_b32_e64 v9, 0, 1, vcc
	v_or_b32_e32 v9, v9, v10
	v_add_u32_e32 v7, v7, v9
	v_mov_b32_e32 v9, 0x7c00
	v_cmp_gt_i32_e32 vcc, 31, v8
	v_mov_b32_e32 v10, 0x7e00
	v_add_u32_e32 v11, 0xfffffc10, v11
	v_cndmask_b32_e32 v7, v9, v7, vcc
	v_cmp_ne_u32_e32 vcc, 0, v6
	s_mov_b32 s3, 0x8000
	s_mov_b32 s0, 0xffff
	v_cndmask_b32_e32 v6, v9, v10, vcc
	v_cmp_eq_u32_e32 vcc, s2, v8
	v_lshrrev_b32_e32 v8, 8, v3
	v_lshrrev_b32_e32 v3, 16, v3
	v_cndmask_b32_e32 v6, v7, v6, vcc
	v_cmp_ne_u32_e32 vcc, 0, v2
	v_and_b32_sdwa v7, v1, s3 dst_sel:DWORD dst_unused:UNUSED_PAD src0_sel:WORD_1 src1_sel:DWORD
	s_nop 0
	v_cndmask_b32_e64 v2, 0, 1, vcc
	v_and_or_b32 v2, v8, s1, v2
	v_or_b32_e32 v8, 0x1000, v2
	v_lshrrev_b32_e32 v13, v12, v8
	v_lshlrev_b32_e32 v12, v12, v13
	v_cmp_ne_u32_e32 vcc, v12, v8
	v_lshl_or_b32 v12, v11, 12, v2
	s_nop 0
	v_cndmask_b32_e64 v8, 0, 1, vcc
	v_or_b32_e32 v8, v13, v8
	v_cmp_gt_i32_e32 vcc, 1, v11
	s_nop 1
	v_cndmask_b32_e32 v8, v12, v8, vcc
	v_and_b32_e32 v12, 7, v8
	v_cmp_lt_i32_e32 vcc, 5, v12
	v_lshrrev_b32_e32 v8, 2, v8
	s_nop 0
	v_cndmask_b32_e64 v13, 0, 1, vcc
	v_cmp_eq_u32_e32 vcc, 3, v12
	s_nop 1
	v_cndmask_b32_e64 v12, 0, 1, vcc
	v_or_b32_e32 v12, v12, v13
	v_add_u32_e32 v8, v8, v12
	v_cmp_gt_i32_e32 vcc, 31, v11
	s_nop 1
	v_cndmask_b32_e32 v8, v9, v8, vcc
	v_cmp_ne_u32_e32 vcc, 0, v2
	s_nop 1
	v_cndmask_b32_e32 v2, v9, v10, vcc
	v_cmp_eq_u32_e32 vcc, s2, v11
	s_nop 1
	v_cndmask_b32_e32 v2, v8, v2, vcc
	v_and_or_b32 v2, v3, s3, v2
	v_bitop3_b32 v3, v7, s0, v6 bitop3:0xc8
	v_lshl_or_b32 v2, v2, 16, v3
	global_store_dword v[4:5], v2, off
.LBB55_2029:
	s_mov_b64 s[0:1], 0
.LBB55_2030:
	s_andn2_b64 vcc, exec, s[0:1]
	s_cbranch_vccnz .LBB55_2039
; %bb.2031:
	s_sext_i32_i16 s2, s52
	s_cmp_lt_i32 s2, 6
	s_mov_b64 s[0:1], -1
	s_cbranch_scc1 .LBB55_2037
; %bb.2032:
	s_cmp_gt_i32 s2, 6
	s_cbranch_scc0 .LBB55_2034
; %bb.2033:
	s_waitcnt vmcnt(0)
	global_store_dwordx2 v[4:5], v[0:1], off
	s_mov_b64 s[0:1], 0
.LBB55_2034:
	s_andn2_b64 vcc, exec, s[0:1]
	s_cbranch_vccnz .LBB55_2036
; %bb.2035:
	s_waitcnt vmcnt(0)
	v_cvt_f32_f64_e32 v2, v[0:1]
	global_store_dword v[4:5], v2, off
.LBB55_2036:
	s_mov_b64 s[0:1], 0
.LBB55_2037:
	s_andn2_b64 vcc, exec, s[0:1]
	s_cbranch_vccnz .LBB55_2039
; %bb.2038:
	s_movk_i32 s0, 0x1ff
	s_waitcnt vmcnt(0)
	v_and_or_b32 v2, v1, s0, v0
	v_cmp_ne_u32_e32 vcc, 0, v2
	v_lshrrev_b32_e32 v3, 8, v1
	s_movk_i32 s0, 0xffe
	v_cndmask_b32_e64 v2, 0, 1, vcc
	v_bfe_u32 v6, v1, 20, 11
	v_and_or_b32 v2, v3, s0, v2
	v_sub_u32_e32 v7, 0x3f1, v6
	v_or_b32_e32 v3, 0x1000, v2
	v_med3_i32 v7, v7, 0, 13
	v_lshrrev_b32_e32 v8, v7, v3
	v_lshlrev_b32_e32 v7, v7, v8
	v_cmp_ne_u32_e32 vcc, v7, v3
	v_add_u32_e32 v6, 0xfffffc10, v6
	v_lshl_or_b32 v7, v6, 12, v2
	v_cndmask_b32_e64 v3, 0, 1, vcc
	v_or_b32_e32 v3, v8, v3
	v_cmp_gt_i32_e32 vcc, 1, v6
	s_movk_i32 s0, 0x40f
	s_nop 0
	v_cndmask_b32_e32 v3, v7, v3, vcc
	v_and_b32_e32 v7, 7, v3
	v_cmp_lt_i32_e32 vcc, 5, v7
	v_lshrrev_b32_e32 v3, 2, v3
	s_nop 0
	v_cndmask_b32_e64 v8, 0, 1, vcc
	v_cmp_eq_u32_e32 vcc, 3, v7
	s_nop 1
	v_cndmask_b32_e64 v7, 0, 1, vcc
	v_or_b32_e32 v7, v7, v8
	v_add_u32_e32 v3, v3, v7
	v_mov_b32_e32 v7, 0x7c00
	v_cmp_gt_i32_e32 vcc, 31, v6
	v_mov_b32_e32 v8, 0x7e00
	s_nop 0
	v_cndmask_b32_e32 v3, v7, v3, vcc
	v_cmp_ne_u32_e32 vcc, 0, v2
	s_nop 1
	v_cndmask_b32_e32 v2, v7, v8, vcc
	v_cmp_eq_u32_e32 vcc, s0, v6
	s_mov_b32 s0, 0x8000
	s_nop 0
	v_cndmask_b32_e32 v2, v3, v2, vcc
	v_lshrrev_b32_e32 v3, 16, v1
	v_and_or_b32 v2, v3, s0, v2
	global_store_short v[4:5], v2, off
.LBB55_2039:
	s_mov_b64 s[0:1], 0
.LBB55_2040:
	s_andn2_b64 vcc, exec, s[0:1]
	s_cbranch_vccnz .LBB55_2056
; %bb.2041:
	s_sext_i32_i16 s2, s52
	s_cmp_lt_i32 s2, 2
	s_mov_b64 s[0:1], -1
	s_cbranch_scc1 .LBB55_2051
; %bb.2042:
	s_cmp_lt_i32 s2, 3
	s_cbranch_scc1 .LBB55_2048
; %bb.2043:
	s_cmp_gt_i32 s2, 3
	s_cbranch_scc0 .LBB55_2045
; %bb.2044:
	s_waitcnt vmcnt(0)
	v_trunc_f64_e32 v[2:3], v[0:1]
	s_movk_i32 s0, 0xffe0
	v_ldexp_f64 v[6:7], v[2:3], s0
	v_floor_f64_e32 v[6:7], v[6:7]
	v_fmac_f64_e32 v[2:3], 0xc1f00000, v[6:7]
	v_cvt_i32_f64_e32 v9, v[6:7]
	v_cvt_u32_f64_e32 v8, v[2:3]
	global_store_dwordx2 v[4:5], v[8:9], off
	s_mov_b64 s[0:1], 0
.LBB55_2045:
	s_andn2_b64 vcc, exec, s[0:1]
	s_cbranch_vccnz .LBB55_2047
; %bb.2046:
	s_waitcnt vmcnt(0)
	v_cvt_i32_f64_e32 v2, v[0:1]
	global_store_dword v[4:5], v2, off
.LBB55_2047:
	s_mov_b64 s[0:1], 0
.LBB55_2048:
	s_andn2_b64 vcc, exec, s[0:1]
	s_cbranch_vccnz .LBB55_2050
; %bb.2049:
	s_waitcnt vmcnt(0)
	v_cvt_i32_f64_e32 v2, v[0:1]
	global_store_short v[4:5], v2, off
.LBB55_2050:
	s_mov_b64 s[0:1], 0
.LBB55_2051:
	s_andn2_b64 vcc, exec, s[0:1]
	s_cbranch_vccnz .LBB55_2056
; %bb.2052:
	s_sext_i32_i16 s0, s52
	s_cmp_gt_i32 s0, 0
	s_mov_b64 s[0:1], -1
	s_cbranch_scc0 .LBB55_2054
; %bb.2053:
	s_waitcnt vmcnt(0)
	v_cvt_i32_f64_e32 v2, v[0:1]
	global_store_byte v[4:5], v2, off
	s_mov_b64 s[0:1], 0
.LBB55_2054:
	s_andn2_b64 vcc, exec, s[0:1]
	s_cbranch_vccnz .LBB55_2056
; %bb.2055:
	s_waitcnt vmcnt(0)
	v_trunc_f64_e32 v[0:1], v[0:1]
	s_movk_i32 s0, 0xffe0
	v_ldexp_f64 v[2:3], v[0:1], s0
	v_floor_f64_e32 v[2:3], v[2:3]
	v_fmac_f64_e32 v[0:1], 0xc1f00000, v[2:3]
	v_cvt_u32_f64_e32 v0, v[0:1]
	global_store_byte v[4:5], v0, off
	s_endpgm
.LBB55_2056:
	s_endpgm
.LBB55_2057:
	s_mov_b64 s[2:3], 0
	s_mov_b64 s[0:1], -1
	s_branch .LBB55_2013
.LBB55_2058:
	s_andn2_saveexec_b64 s[8:9], s[8:9]
	s_cbranch_execz .LBB55_1607
.LBB55_2059:
	s_mov_b32 s11, 0x46000000
	v_add_f32_e64 v7, |v6|, s11
	v_and_b32_e32 v7, 0xff, v7
	v_cmp_ne_u32_e32 vcc, 0, v7
	s_andn2_b64 s[6:7], s[6:7], exec
	s_and_b64 s[12:13], vcc, exec
	s_or_b64 s[6:7], s[6:7], s[12:13]
	s_or_b64 exec, exec, s[8:9]
	v_mov_b32_e32 v8, 0
	s_and_saveexec_b64 s[8:9], s[6:7]
	s_cbranch_execnz .LBB55_1608
	s_branch .LBB55_1609
.LBB55_2060:
	s_trap 2
	s_or_b64 s[50:51], s[50:51], exec
	s_cbranch_execz .LBB55_1655
	s_branch .LBB55_1656
.LBB55_2061:
	s_andn2_saveexec_b64 s[6:7], s[6:7]
	s_cbranch_execz .LBB55_1620
.LBB55_2062:
	s_mov_b32 s8, 0x42800000
	v_add_f32_e64 v7, |v6|, s8
	v_and_b32_e32 v7, 0xff, v7
	v_cmp_ne_u32_e32 vcc, 0, v7
	s_andn2_b64 s[4:5], s[4:5], exec
	s_and_b64 s[8:9], vcc, exec
	s_or_b64 s[4:5], s[4:5], s[8:9]
	s_or_b64 exec, exec, s[6:7]
	v_mov_b32_e32 v8, 0
	s_and_saveexec_b64 s[6:7], s[4:5]
	s_cbranch_execnz .LBB55_1621
	s_branch .LBB55_1622
.LBB55_2063:
	s_andn2_saveexec_b64 s[8:9], s[8:9]
	s_cbranch_execz .LBB55_1726
.LBB55_2064:
	s_mov_b32 s11, 0x46000000
	v_add_f32_e64 v7, |v6|, s11
	v_and_b32_e32 v7, 0xff, v7
	v_cmp_ne_u32_e32 vcc, 0, v7
	s_andn2_b64 s[6:7], s[6:7], exec
	s_and_b64 s[12:13], vcc, exec
	s_or_b64 s[6:7], s[6:7], s[12:13]
	s_or_b64 exec, exec, s[8:9]
	v_mov_b32_e32 v8, 0
	s_and_saveexec_b64 s[8:9], s[6:7]
	s_cbranch_execnz .LBB55_1727
	s_branch .LBB55_1728
.LBB55_2065:
	s_trap 2
	s_or_b64 s[50:51], s[50:51], exec
	s_cbranch_execz .LBB55_1774
	s_branch .LBB55_1775
.LBB55_2066:
	s_andn2_saveexec_b64 s[6:7], s[6:7]
	s_cbranch_execz .LBB55_1739
.LBB55_2067:
	s_mov_b32 s8, 0x42800000
	v_add_f32_e64 v7, |v6|, s8
	v_and_b32_e32 v7, 0xff, v7
	v_cmp_ne_u32_e32 vcc, 0, v7
	s_andn2_b64 s[4:5], s[4:5], exec
	s_and_b64 s[8:9], vcc, exec
	s_or_b64 s[4:5], s[4:5], s[8:9]
	s_or_b64 exec, exec, s[6:7]
	v_mov_b32_e32 v8, 0
	s_and_saveexec_b64 s[6:7], s[4:5]
	s_cbranch_execnz .LBB55_1740
	s_branch .LBB55_1741
.LBB55_2068:
	s_andn2_saveexec_b64 s[8:9], s[8:9]
	s_cbranch_execz .LBB55_1845
.LBB55_2069:
	s_mov_b32 s11, 0x46000000
	v_add_f32_e64 v7, |v6|, s11
	v_and_b32_e32 v7, 0xff, v7
	v_cmp_ne_u32_e32 vcc, 0, v7
	s_andn2_b64 s[6:7], s[6:7], exec
	s_and_b64 s[12:13], vcc, exec
	s_or_b64 s[6:7], s[6:7], s[12:13]
	s_or_b64 exec, exec, s[8:9]
	v_mov_b32_e32 v8, 0
	s_and_saveexec_b64 s[8:9], s[6:7]
	s_cbranch_execnz .LBB55_1846
	s_branch .LBB55_1847
.LBB55_2070:
	s_trap 2
	s_or_b64 s[50:51], s[50:51], exec
	s_cbranch_execz .LBB55_1893
	s_branch .LBB55_1894
.LBB55_2071:
	s_andn2_saveexec_b64 s[6:7], s[6:7]
	s_cbranch_execz .LBB55_1858
.LBB55_2072:
	s_mov_b32 s8, 0x42800000
	v_add_f32_e64 v7, |v6|, s8
	v_and_b32_e32 v7, 0xff, v7
	v_cmp_ne_u32_e32 vcc, 0, v7
	s_andn2_b64 s[4:5], s[4:5], exec
	s_and_b64 s[8:9], vcc, exec
	s_or_b64 s[4:5], s[4:5], s[8:9]
	s_or_b64 exec, exec, s[6:7]
	v_mov_b32_e32 v8, 0
	s_and_saveexec_b64 s[6:7], s[4:5]
	s_cbranch_execnz .LBB55_1859
	s_branch .LBB55_1860
.LBB55_2073:
	s_andn2_saveexec_b64 s[8:9], s[8:9]
	s_cbranch_execz .LBB55_1965
.LBB55_2074:
	s_mov_b32 s11, 0x46000000
	v_add_f32_e64 v7, |v6|, s11
	v_and_b32_e32 v7, 0xff, v7
	v_cmp_ne_u32_e32 vcc, 0, v7
	s_andn2_b64 s[6:7], s[6:7], exec
	s_and_b64 s[12:13], vcc, exec
	s_or_b64 s[6:7], s[6:7], s[12:13]
	s_or_b64 exec, exec, s[8:9]
	v_mov_b32_e32 v8, 0
	s_and_saveexec_b64 s[8:9], s[6:7]
	s_cbranch_execnz .LBB55_1966
	s_branch .LBB55_1967
.LBB55_2075:
	s_mov_b64 s[2:3], 0
	s_or_b64 s[50:51], s[50:51], exec
	s_trap 2
	s_branch .LBB55_2011
.LBB55_2076:
	s_andn2_saveexec_b64 s[6:7], s[6:7]
	s_cbranch_execz .LBB55_1977
.LBB55_2077:
	s_mov_b32 s8, 0x42800000
	v_add_f32_e64 v7, |v6|, s8
	v_and_b32_e32 v7, 0xff, v7
	v_cmp_ne_u32_e32 vcc, 0, v7
	s_andn2_b64 s[4:5], s[4:5], exec
	s_and_b64 s[8:9], vcc, exec
	s_or_b64 s[4:5], s[4:5], s[8:9]
	s_or_b64 exec, exec, s[6:7]
	v_mov_b32_e32 v8, 0
	s_and_saveexec_b64 s[6:7], s[4:5]
	s_cbranch_execnz .LBB55_1978
	s_branch .LBB55_1979
	.section	.rodata,"a",@progbits
	.p2align	6, 0x0
	.amdhsa_kernel _ZN2at6native32elementwise_kernel_manual_unrollILi128ELi4EZNS0_15gpu_kernel_implIZZZNS0_15exp_kernel_cudaERNS_18TensorIteratorBaseEENKUlvE_clEvENKUlvE_clEvEUlN3c107complexIdEEE_EEvS4_RKT_EUlibE_EEviT1_
		.amdhsa_group_segment_fixed_size 0
		.amdhsa_private_segment_fixed_size 0
		.amdhsa_kernarg_size 40
		.amdhsa_user_sgpr_count 2
		.amdhsa_user_sgpr_dispatch_ptr 0
		.amdhsa_user_sgpr_queue_ptr 0
		.amdhsa_user_sgpr_kernarg_segment_ptr 1
		.amdhsa_user_sgpr_dispatch_id 0
		.amdhsa_user_sgpr_kernarg_preload_length 0
		.amdhsa_user_sgpr_kernarg_preload_offset 0
		.amdhsa_user_sgpr_private_segment_size 0
		.amdhsa_uses_dynamic_stack 0
		.amdhsa_enable_private_segment 0
		.amdhsa_system_sgpr_workgroup_id_x 1
		.amdhsa_system_sgpr_workgroup_id_y 0
		.amdhsa_system_sgpr_workgroup_id_z 0
		.amdhsa_system_sgpr_workgroup_info 0
		.amdhsa_system_vgpr_workitem_id 0
		.amdhsa_next_free_vgpr 48
		.amdhsa_next_free_sgpr 65
		.amdhsa_accum_offset 48
		.amdhsa_reserve_vcc 1
		.amdhsa_float_round_mode_32 0
		.amdhsa_float_round_mode_16_64 0
		.amdhsa_float_denorm_mode_32 3
		.amdhsa_float_denorm_mode_16_64 3
		.amdhsa_dx10_clamp 1
		.amdhsa_ieee_mode 1
		.amdhsa_fp16_overflow 0
		.amdhsa_tg_split 0
		.amdhsa_exception_fp_ieee_invalid_op 0
		.amdhsa_exception_fp_denorm_src 0
		.amdhsa_exception_fp_ieee_div_zero 0
		.amdhsa_exception_fp_ieee_overflow 0
		.amdhsa_exception_fp_ieee_underflow 0
		.amdhsa_exception_fp_ieee_inexact 0
		.amdhsa_exception_int_div_zero 0
	.end_amdhsa_kernel
	.section	.text._ZN2at6native32elementwise_kernel_manual_unrollILi128ELi4EZNS0_15gpu_kernel_implIZZZNS0_15exp_kernel_cudaERNS_18TensorIteratorBaseEENKUlvE_clEvENKUlvE_clEvEUlN3c107complexIdEEE_EEvS4_RKT_EUlibE_EEviT1_,"axG",@progbits,_ZN2at6native32elementwise_kernel_manual_unrollILi128ELi4EZNS0_15gpu_kernel_implIZZZNS0_15exp_kernel_cudaERNS_18TensorIteratorBaseEENKUlvE_clEvENKUlvE_clEvEUlN3c107complexIdEEE_EEvS4_RKT_EUlibE_EEviT1_,comdat
.Lfunc_end55:
	.size	_ZN2at6native32elementwise_kernel_manual_unrollILi128ELi4EZNS0_15gpu_kernel_implIZZZNS0_15exp_kernel_cudaERNS_18TensorIteratorBaseEENKUlvE_clEvENKUlvE_clEvEUlN3c107complexIdEEE_EEvS4_RKT_EUlibE_EEviT1_, .Lfunc_end55-_ZN2at6native32elementwise_kernel_manual_unrollILi128ELi4EZNS0_15gpu_kernel_implIZZZNS0_15exp_kernel_cudaERNS_18TensorIteratorBaseEENKUlvE_clEvENKUlvE_clEvEUlN3c107complexIdEEE_EEvS4_RKT_EUlibE_EEviT1_
                                        ; -- End function
	.set _ZN2at6native32elementwise_kernel_manual_unrollILi128ELi4EZNS0_15gpu_kernel_implIZZZNS0_15exp_kernel_cudaERNS_18TensorIteratorBaseEENKUlvE_clEvENKUlvE_clEvEUlN3c107complexIdEEE_EEvS4_RKT_EUlibE_EEviT1_.num_vgpr, max(48, .L_ZZZZN2at6native15exp_kernel_cudaERNS_18TensorIteratorBaseEENKUlvE_clEvENKUlvE_clEvENKUlN3c107complexIdEEE_clES7_.num_vgpr)
	.set _ZN2at6native32elementwise_kernel_manual_unrollILi128ELi4EZNS0_15gpu_kernel_implIZZZNS0_15exp_kernel_cudaERNS_18TensorIteratorBaseEENKUlvE_clEvENKUlvE_clEvEUlN3c107complexIdEEE_EEvS4_RKT_EUlibE_EEviT1_.num_agpr, max(0, .L_ZZZZN2at6native15exp_kernel_cudaERNS_18TensorIteratorBaseEENKUlvE_clEvENKUlvE_clEvENKUlN3c107complexIdEEE_clES7_.num_agpr)
	.set _ZN2at6native32elementwise_kernel_manual_unrollILi128ELi4EZNS0_15gpu_kernel_implIZZZNS0_15exp_kernel_cudaERNS_18TensorIteratorBaseEENKUlvE_clEvENKUlvE_clEvEUlN3c107complexIdEEE_EEvS4_RKT_EUlibE_EEviT1_.numbered_sgpr, max(65, .L_ZZZZN2at6native15exp_kernel_cudaERNS_18TensorIteratorBaseEENKUlvE_clEvENKUlvE_clEvENKUlN3c107complexIdEEE_clES7_.numbered_sgpr)
	.set _ZN2at6native32elementwise_kernel_manual_unrollILi128ELi4EZNS0_15gpu_kernel_implIZZZNS0_15exp_kernel_cudaERNS_18TensorIteratorBaseEENKUlvE_clEvENKUlvE_clEvEUlN3c107complexIdEEE_EEvS4_RKT_EUlibE_EEviT1_.num_named_barrier, max(0, .L_ZZZZN2at6native15exp_kernel_cudaERNS_18TensorIteratorBaseEENKUlvE_clEvENKUlvE_clEvENKUlN3c107complexIdEEE_clES7_.num_named_barrier)
	.set _ZN2at6native32elementwise_kernel_manual_unrollILi128ELi4EZNS0_15gpu_kernel_implIZZZNS0_15exp_kernel_cudaERNS_18TensorIteratorBaseEENKUlvE_clEvENKUlvE_clEvEUlN3c107complexIdEEE_EEvS4_RKT_EUlibE_EEviT1_.private_seg_size, 0+max(.L_ZZZZN2at6native15exp_kernel_cudaERNS_18TensorIteratorBaseEENKUlvE_clEvENKUlvE_clEvENKUlN3c107complexIdEEE_clES7_.private_seg_size)
	.set _ZN2at6native32elementwise_kernel_manual_unrollILi128ELi4EZNS0_15gpu_kernel_implIZZZNS0_15exp_kernel_cudaERNS_18TensorIteratorBaseEENKUlvE_clEvENKUlvE_clEvEUlN3c107complexIdEEE_EEvS4_RKT_EUlibE_EEviT1_.uses_vcc, or(1, .L_ZZZZN2at6native15exp_kernel_cudaERNS_18TensorIteratorBaseEENKUlvE_clEvENKUlvE_clEvENKUlN3c107complexIdEEE_clES7_.uses_vcc)
	.set _ZN2at6native32elementwise_kernel_manual_unrollILi128ELi4EZNS0_15gpu_kernel_implIZZZNS0_15exp_kernel_cudaERNS_18TensorIteratorBaseEENKUlvE_clEvENKUlvE_clEvEUlN3c107complexIdEEE_EEvS4_RKT_EUlibE_EEviT1_.uses_flat_scratch, or(0, .L_ZZZZN2at6native15exp_kernel_cudaERNS_18TensorIteratorBaseEENKUlvE_clEvENKUlvE_clEvENKUlN3c107complexIdEEE_clES7_.uses_flat_scratch)
	.set _ZN2at6native32elementwise_kernel_manual_unrollILi128ELi4EZNS0_15gpu_kernel_implIZZZNS0_15exp_kernel_cudaERNS_18TensorIteratorBaseEENKUlvE_clEvENKUlvE_clEvEUlN3c107complexIdEEE_EEvS4_RKT_EUlibE_EEviT1_.has_dyn_sized_stack, or(0, .L_ZZZZN2at6native15exp_kernel_cudaERNS_18TensorIteratorBaseEENKUlvE_clEvENKUlvE_clEvENKUlN3c107complexIdEEE_clES7_.has_dyn_sized_stack)
	.set _ZN2at6native32elementwise_kernel_manual_unrollILi128ELi4EZNS0_15gpu_kernel_implIZZZNS0_15exp_kernel_cudaERNS_18TensorIteratorBaseEENKUlvE_clEvENKUlvE_clEvEUlN3c107complexIdEEE_EEvS4_RKT_EUlibE_EEviT1_.has_recursion, or(0, .L_ZZZZN2at6native15exp_kernel_cudaERNS_18TensorIteratorBaseEENKUlvE_clEvENKUlvE_clEvENKUlN3c107complexIdEEE_clES7_.has_recursion)
	.set _ZN2at6native32elementwise_kernel_manual_unrollILi128ELi4EZNS0_15gpu_kernel_implIZZZNS0_15exp_kernel_cudaERNS_18TensorIteratorBaseEENKUlvE_clEvENKUlvE_clEvEUlN3c107complexIdEEE_EEvS4_RKT_EUlibE_EEviT1_.has_indirect_call, or(0, .L_ZZZZN2at6native15exp_kernel_cudaERNS_18TensorIteratorBaseEENKUlvE_clEvENKUlvE_clEvENKUlN3c107complexIdEEE_clES7_.has_indirect_call)
	.section	.AMDGPU.csdata,"",@progbits
; Kernel info:
; codeLenInByte = 38508
; TotalNumSgprs: 71
; NumVgprs: 48
; NumAgprs: 0
; TotalNumVgprs: 48
; ScratchSize: 0
; MemoryBound: 1
; FloatMode: 240
; IeeeMode: 1
; LDSByteSize: 0 bytes/workgroup (compile time only)
; SGPRBlocks: 8
; VGPRBlocks: 5
; NumSGPRsForWavesPerEU: 71
; NumVGPRsForWavesPerEU: 48
; AccumOffset: 48
; Occupancy: 8
; WaveLimiterHint : 0
; COMPUTE_PGM_RSRC2:SCRATCH_EN: 0
; COMPUTE_PGM_RSRC2:USER_SGPR: 2
; COMPUTE_PGM_RSRC2:TRAP_HANDLER: 0
; COMPUTE_PGM_RSRC2:TGID_X_EN: 1
; COMPUTE_PGM_RSRC2:TGID_Y_EN: 0
; COMPUTE_PGM_RSRC2:TGID_Z_EN: 0
; COMPUTE_PGM_RSRC2:TIDIG_COMP_CNT: 0
; COMPUTE_PGM_RSRC3_GFX90A:ACCUM_OFFSET: 11
; COMPUTE_PGM_RSRC3_GFX90A:TG_SPLIT: 0
	.section	.text._ZN2at6native32elementwise_kernel_manual_unrollILi128ELi4EZNS0_15gpu_kernel_implIZZZNS0_15exp_kernel_cudaERNS_18TensorIteratorBaseEENKUlvE_clEvENKUlvE_clEvEUlN3c107complexIdEEE_EEvS4_RKT_EUlibE0_EEviT1_,"axG",@progbits,_ZN2at6native32elementwise_kernel_manual_unrollILi128ELi4EZNS0_15gpu_kernel_implIZZZNS0_15exp_kernel_cudaERNS_18TensorIteratorBaseEENKUlvE_clEvENKUlvE_clEvEUlN3c107complexIdEEE_EEvS4_RKT_EUlibE0_EEviT1_,comdat
	.globl	_ZN2at6native32elementwise_kernel_manual_unrollILi128ELi4EZNS0_15gpu_kernel_implIZZZNS0_15exp_kernel_cudaERNS_18TensorIteratorBaseEENKUlvE_clEvENKUlvE_clEvEUlN3c107complexIdEEE_EEvS4_RKT_EUlibE0_EEviT1_ ; -- Begin function _ZN2at6native32elementwise_kernel_manual_unrollILi128ELi4EZNS0_15gpu_kernel_implIZZZNS0_15exp_kernel_cudaERNS_18TensorIteratorBaseEENKUlvE_clEvENKUlvE_clEvEUlN3c107complexIdEEE_EEvS4_RKT_EUlibE0_EEviT1_
	.p2align	8
	.type	_ZN2at6native32elementwise_kernel_manual_unrollILi128ELi4EZNS0_15gpu_kernel_implIZZZNS0_15exp_kernel_cudaERNS_18TensorIteratorBaseEENKUlvE_clEvENKUlvE_clEvEUlN3c107complexIdEEE_EEvS4_RKT_EUlibE0_EEviT1_,@function
_ZN2at6native32elementwise_kernel_manual_unrollILi128ELi4EZNS0_15gpu_kernel_implIZZZNS0_15exp_kernel_cudaERNS_18TensorIteratorBaseEENKUlvE_clEvENKUlvE_clEvEUlN3c107complexIdEEE_EEvS4_RKT_EUlibE0_EEviT1_: ; @_ZN2at6native32elementwise_kernel_manual_unrollILi128ELi4EZNS0_15gpu_kernel_implIZZZNS0_15exp_kernel_cudaERNS_18TensorIteratorBaseEENKUlvE_clEvENKUlvE_clEvEUlN3c107complexIdEEE_EEvS4_RKT_EUlibE0_EEviT1_
; %bb.0:
	s_load_dword s86, s[0:1], 0x0
	s_load_dword s33, s[0:1], 0x8
	s_mov_b64 s[34:35], s[0:1]
	s_add_u32 s52, s34, 8
	s_addc_u32 s53, s35, 0
	v_lshl_or_b32 v36, s2, 9, v0
	s_waitcnt lgkmcnt(0)
	s_add_i32 s43, s33, -1
	v_or_b32_e32 v10, 0x180, v36
	s_cmp_gt_u32 s43, 1
	v_cmp_le_i32_e32 vcc, s86, v10
	s_cselect_b64 s[56:57], -1, 0
	s_mov_b64 s[54:55], 0
	s_mov_b64 s[44:45], 0
	s_mov_b32 s32, 0
	s_and_saveexec_b64 s[0:1], vcc
	s_xor_b64 s[58:59], exec, s[0:1]
	s_cbranch_execz .LBB56_1109
; %bb.1:
	v_mov_b32_e32 v0, 0
	global_load_ushort v0, v0, s[52:53] offset:345
	s_load_dwordx4 s[48:51], s[52:53], 0x4
	s_load_dwordx2 s[60:61], s[52:53], 0x14
	s_load_dwordx4 s[44:47], s[52:53], 0xc4
	s_load_dwordx4 s[36:39], s[52:53], 0x148
	s_cmp_lg_u32 s33, 0
	s_cselect_b64 s[66:67], -1, 0
	s_add_u32 s64, s52, 0xc4
	s_addc_u32 s65, s53, 0
	s_min_u32 s87, s43, 15
	s_cmp_gt_u32 s33, 1
	s_cselect_b64 s[62:63], -1, 0
	v_cmp_gt_i32_e32 vcc, s86, v36
	s_mov_b64 s[2:3], -1
	s_mov_b64 s[76:77], 0
	s_mov_b64 s[70:71], 0
	;; [unrolled: 1-line block ×3, first 2 shown]
	s_waitcnt vmcnt(0)
	v_readfirstlane_b32 s84, v0
	s_and_b32 s0, 0xffff, s84
	s_lshr_b32 s85, s0, 8
	s_and_saveexec_b64 s[72:73], vcc
	s_cbranch_execz .LBB56_271
; %bb.2:
	s_andn2_b64 vcc, exec, s[56:57]
	s_cbranch_vccnz .LBB56_8
; %bb.3:
	s_andn2_b64 vcc, exec, s[66:67]
	s_cbranch_vccnz .LBB56_9
; %bb.4:
	s_add_i32 s25, s87, 1
	s_cmp_eq_u32 s43, 2
	s_cbranch_scc1 .LBB56_10
; %bb.5:
	s_and_b32 s24, s25, 28
	s_mov_b32 s26, 0
	v_mov_b32_e32 v34, 0
	v_mov_b32_e32 v0, 0
	s_mov_b64 s[20:21], s[52:53]
	s_mov_b64 s[22:23], s[64:65]
	v_mov_b32_e32 v2, v36
.LBB56_6:                               ; =>This Inner Loop Header: Depth=1
	s_load_dwordx8 s[8:15], s[20:21], 0x4
	s_load_dwordx4 s[16:19], s[20:21], 0x24
	s_load_dwordx8 s[0:7], s[22:23], 0x0
	s_add_u32 s20, s20, 48
	s_addc_u32 s21, s21, 0
	s_waitcnt lgkmcnt(0)
	v_mul_hi_u32 v1, s9, v2
	v_add_u32_e32 v1, v2, v1
	v_lshrrev_b32_e32 v1, s10, v1
	v_mul_lo_u32 v3, v1, s8
	v_mul_hi_u32 v4, s12, v1
	v_sub_u32_e32 v2, v2, v3
	v_add_u32_e32 v3, v1, v4
	v_lshrrev_b32_e32 v3, s13, v3
	v_mul_lo_u32 v5, v3, s11
	v_mul_hi_u32 v6, s15, v3
	v_sub_u32_e32 v1, v1, v5
	v_add_u32_e32 v5, v3, v6
	v_mul_lo_u32 v4, v2, s1
	v_mul_lo_u32 v2, v2, s0
	;; [unrolled: 1-line block ×4, first 2 shown]
	v_lshrrev_b32_e32 v5, s16, v5
	v_add3_u32 v1, v2, v34, v1
	v_add3_u32 v0, v4, v0, v6
	v_mul_lo_u32 v2, v5, s14
	v_mul_hi_u32 v4, s18, v5
	v_sub_u32_e32 v2, v3, v2
	v_add_u32_e32 v3, v5, v4
	v_mul_lo_u32 v4, v2, s4
	v_mul_lo_u32 v6, v2, s5
	v_lshrrev_b32_e32 v2, s19, v3
	s_add_i32 s26, s26, 4
	v_mul_lo_u32 v3, v2, s17
	s_add_u32 s22, s22, 32
	v_sub_u32_e32 v3, v5, v3
	s_addc_u32 s23, s23, 0
	v_mul_lo_u32 v5, v3, s6
	v_mul_lo_u32 v3, v3, s7
	s_cmp_lg_u32 s24, s26
	v_add3_u32 v0, v6, v0, v3
	v_add3_u32 v34, v4, v1, v5
	s_cbranch_scc1 .LBB56_6
; %bb.7:
	v_mov_b32_e32 v1, v0
	s_branch .LBB56_11
.LBB56_8:
                                        ; implicit-def: $vgpr0
                                        ; implicit-def: $vgpr34
	s_branch .LBB56_15
.LBB56_9:
	v_mov_b32_e32 v0, 0
	v_mov_b32_e32 v34, 0
	s_branch .LBB56_14
.LBB56_10:
	v_mov_b32_e32 v34, 0
	s_mov_b32 s24, 0
	v_mov_b32_e32 v1, v34
                                        ; implicit-def: $vgpr0
	v_mov_b32_e32 v2, v36
.LBB56_11:
	s_and_b32 s4, s25, 3
	s_cmp_eq_u32 s4, 0
	s_cbranch_scc1 .LBB56_14
; %bb.12:
	s_lshl_b32 s0, s24, 3
	s_add_u32 s0, s52, s0
	s_addc_u32 s1, s53, 0
	s_add_u32 s0, s0, 0xc4
	s_addc_u32 s1, s1, 0
	s_mul_i32 s2, s24, 12
	s_add_u32 s2, s52, s2
	s_addc_u32 s3, s53, 0
.LBB56_13:                              ; =>This Inner Loop Header: Depth=1
	s_load_dwordx2 s[6:7], s[2:3], 0x4
	s_load_dword s5, s[2:3], 0xc
	s_load_dwordx2 s[8:9], s[0:1], 0x0
	v_mov_b32_e32 v0, v1
	s_add_u32 s2, s2, 12
	s_waitcnt lgkmcnt(0)
	v_mul_hi_u32 v1, s7, v2
	v_add_u32_e32 v1, v2, v1
	v_lshrrev_b32_e32 v1, s5, v1
	s_addc_u32 s3, s3, 0
	v_mul_lo_u32 v3, v1, s6
	s_add_u32 s0, s0, 8
	v_sub_u32_e32 v3, v2, v3
	s_addc_u32 s1, s1, 0
	s_add_i32 s4, s4, -1
	v_mov_b32_e32 v2, v1
	v_mad_u64_u32 v[0:1], s[6:7], v3, s9, v[0:1]
	s_cmp_lg_u32 s4, 0
	v_mad_u64_u32 v[34:35], s[6:7], v3, s8, v[34:35]
	v_mov_b32_e32 v1, v0
	s_cbranch_scc1 .LBB56_13
.LBB56_14:
	s_cbranch_execnz .LBB56_17
.LBB56_15:
	s_waitcnt lgkmcnt(0)
	v_mul_hi_u32 v0, s49, v36
	v_add_u32_e32 v0, v36, v0
	v_lshrrev_b32_e32 v1, s50, v0
	v_mul_lo_u32 v0, v1, s48
	v_sub_u32_e32 v2, v36, v0
	v_mul_lo_u32 v0, v2, s45
	s_andn2_b64 vcc, exec, s[62:63]
	v_mul_lo_u32 v34, v2, s44
	s_cbranch_vccnz .LBB56_17
; %bb.16:
	v_mul_hi_u32 v2, s60, v1
	v_add_u32_e32 v2, v1, v2
	v_lshrrev_b32_e32 v2, s61, v2
	v_mul_lo_u32 v2, v2, s51
	v_sub_u32_e32 v1, v1, v2
	v_mad_u64_u32 v[34:35], s[0:1], v1, s46, v[34:35]
	v_mad_u64_u32 v[0:1], s[0:1], v1, s47, v[0:1]
.LBB56_17:
	v_mov_b32_e32 v1, 0
	s_and_b32 s6, 0xffff, s85
	s_cmp_lt_i32 s6, 11
	s_waitcnt lgkmcnt(0)
	v_lshl_add_u64 v[4:5], s[38:39], 0, v[0:1]
	s_cbranch_scc1 .LBB56_24
; %bb.18:
	s_cmp_gt_i32 s6, 25
	s_cbranch_scc0 .LBB56_33
; %bb.19:
	s_cmp_gt_i32 s6, 28
	s_cbranch_scc0 .LBB56_36
	;; [unrolled: 3-line block ×4, first 2 shown]
; %bb.22:
	s_cmp_eq_u32 s6, 46
	s_mov_b64 s[2:3], 0
	s_cbranch_scc0 .LBB56_42
; %bb.23:
	global_load_dword v0, v[4:5], off
	s_mov_b64 s[0:1], -1
	s_mov_b64 s[70:71], 0
	s_waitcnt vmcnt(0)
	v_and_b32_e32 v2, 0xffff0000, v0
	v_lshlrev_b32_e32 v0, 16, v0
	v_cvt_f64_f32_e32 v[0:1], v0
	v_cvt_f64_f32_e32 v[2:3], v2
	s_branch .LBB56_44
.LBB56_24:
	s_mov_b64 s[70:71], 0
                                        ; implicit-def: $vgpr2_vgpr3
	s_mov_b64 s[0:1], 0
	s_cbranch_execnz .LBB56_219
.LBB56_25:
	s_andn2_b64 vcc, exec, s[0:1]
	s_cbranch_vccnz .LBB56_268
.LBB56_26:
	s_getpc_b64 s[0:1]
	s_add_u32 s0, s0, _ZZZZN2at6native15exp_kernel_cudaERNS_18TensorIteratorBaseEENKUlvE_clEvENKUlvE_clEvENKUlN3c107complexIdEEE_clES7_@rel32@lo+4
	s_addc_u32 s1, s1, _ZZZZN2at6native15exp_kernel_cudaERNS_18TensorIteratorBaseEENKUlvE_clEvENKUlvE_clEvENKUlN3c107complexIdEEE_clES7_@rel32@hi+12
	s_swappc_b64 s[30:31], s[0:1]
	v_mov_b32_e32 v35, 0
	s_and_b32 s8, s84, 0xff
	s_cmp_lt_i32 s8, 11
	v_lshl_add_u64 v[4:5], s[36:37], 0, v[34:35]
	s_cbranch_scc1 .LBB56_34
; %bb.27:
	s_and_b32 s9, 0xffff, s8
	s_cmp_gt_i32 s9, 25
	s_cbranch_scc0 .LBB56_37
; %bb.28:
	s_cmp_gt_i32 s9, 28
	s_cbranch_scc0 .LBB56_39
; %bb.29:
	;; [unrolled: 3-line block ×4, first 2 shown]
	s_mov_b64 s[4:5], 0
	s_mov_b64 s[2:3], -1
	s_cmp_eq_u32 s9, 46
	s_mov_b64 s[0:1], 0
	s_cbranch_scc0 .LBB56_48
; %bb.32:
	v_cvt_f32_f64_e32 v7, v[2:3]
	s_movk_i32 s0, 0x7fff
	v_bfe_u32 v9, v7, 16, 1
	v_cvt_f32_f64_e32 v6, v[0:1]
	v_add3_u32 v9, v7, v9, s0
	v_bfe_u32 v8, v6, 16, 1
	v_and_b32_e32 v9, 0xffff0000, v9
	v_mov_b32_e32 v10, 0x7fc00000
	v_cmp_o_f32_e32 vcc, v7, v7
	v_add3_u32 v8, v6, v8, s0
	s_mov_b64 s[0:1], -1
	v_cndmask_b32_e32 v7, v10, v9, vcc
	v_cmp_o_f32_e32 vcc, v6, v6
	v_mov_b32_e32 v6, 0x7fc0
	s_mov_b64 s[2:3], 0
	v_cndmask_b32_sdwa v6, v6, v8, vcc dst_sel:DWORD dst_unused:UNUSED_PAD src0_sel:DWORD src1_sel:WORD_1
	v_or_b32_e32 v6, v7, v6
	global_store_dword v[4:5], v6, off
	s_branch .LBB56_48
.LBB56_33:
	s_mov_b64 s[70:71], 0
	s_mov_b64 s[0:1], 0
                                        ; implicit-def: $vgpr2_vgpr3
	s_cbranch_execnz .LBB56_186
	s_branch .LBB56_218
.LBB56_34:
	s_mov_b64 s[2:3], 0
	s_mov_b64 s[0:1], 0
	s_cbranch_execnz .LBB56_117
.LBB56_35:
	s_andn2_b64 vcc, exec, s[0:1]
	s_cbranch_vccnz .LBB56_269
	s_branch .LBB56_155
.LBB56_36:
	s_mov_b64 s[2:3], -1
	s_mov_b64 s[70:71], 0
	s_mov_b64 s[0:1], 0
                                        ; implicit-def: $vgpr2_vgpr3
	s_branch .LBB56_165
.LBB56_37:
	s_mov_b64 s[4:5], -1
	s_mov_b64 s[2:3], 0
	s_mov_b64 s[0:1], 0
	s_branch .LBB56_75
.LBB56_38:
	s_mov_b64 s[2:3], -1
	s_mov_b64 s[70:71], 0
	s_mov_b64 s[0:1], 0
                                        ; implicit-def: $vgpr2_vgpr3
	s_branch .LBB56_159
.LBB56_39:
	s_mov_b64 s[4:5], -1
	s_mov_b64 s[2:3], 0
	s_mov_b64 s[0:1], 0
	s_branch .LBB56_58
.LBB56_40:
	s_mov_b64 s[2:3], -1
	s_mov_b64 s[70:71], 0
	s_branch .LBB56_43
.LBB56_41:
	s_mov_b64 s[4:5], -1
	s_mov_b64 s[2:3], 0
	s_mov_b64 s[0:1], 0
	s_branch .LBB56_54
.LBB56_42:
	s_mov_b64 s[70:71], -1
.LBB56_43:
	s_mov_b64 s[0:1], 0
                                        ; implicit-def: $vgpr2_vgpr3
.LBB56_44:
	s_and_b64 vcc, exec, s[2:3]
	s_cbranch_vccz .LBB56_158
; %bb.45:
	s_cmp_eq_u32 s6, 44
	s_cbranch_scc0 .LBB56_156
; %bb.46:
	global_load_ubyte v2, v[4:5], off
	s_movk_i32 s2, 0xff
	v_bfrev_b32_e32 v3, 4
	v_mov_b32_e32 v6, 0x7ff80000
	v_bfrev_b32_e32 v7, 28
	s_mov_b64 s[0:1], -1
	s_mov_b64 s[70:71], 0
	s_waitcnt vmcnt(0)
	v_lshlrev_b32_e32 v0, 23, v2
	v_cvt_f64_f32_e32 v[0:1], v0
	v_cmp_ne_u32_e32 vcc, s2, v2
	s_nop 1
	v_cndmask_b32_e32 v0, v3, v0, vcc
	v_cndmask_b32_e32 v1, v6, v1, vcc
	v_cmp_ne_u32_e32 vcc, 0, v2
	s_nop 1
	v_cndmask_b32_e32 v1, v7, v1, vcc
	v_cndmask_b32_e32 v0, 0, v0, vcc
	s_branch .LBB56_157
.LBB56_47:
	s_mov_b64 s[4:5], -1
	s_mov_b64 s[2:3], 0
	s_mov_b64 s[0:1], 0
.LBB56_48:
	s_and_b64 vcc, exec, s[4:5]
	s_cbranch_vccz .LBB56_53
; %bb.49:
	s_cmp_eq_u32 s9, 44
	s_mov_b64 s[2:3], -1
	s_cbranch_scc0 .LBB56_53
; %bb.50:
	v_cvt_f32_f64_e32 v6, v[0:1]
	v_bfe_u32 v7, v6, 23, 8
	s_movk_i32 s0, 0xff
	v_cmp_ne_u32_e32 vcc, s0, v7
	v_mov_b32_e32 v8, 0xff
	s_and_saveexec_b64 s[2:3], vcc
; %bb.51:
	s_mov_b32 s0, 0x3fffff
	v_lshrrev_b32_e32 v8, 23, v6
	v_and_b32_e32 v9, 0x400000, v6
	v_and_or_b32 v6, v6, s0, v7
	v_cmp_ne_u32_e32 vcc, 0, v9
	v_cmp_ne_u32_e64 s[0:1], 0, v6
	s_and_b64 s[0:1], vcc, s[0:1]
	s_nop 0
	v_cndmask_b32_e64 v6, 0, 1, s[0:1]
	v_add_u32_e32 v8, v8, v6
; %bb.52:
	s_or_b64 exec, exec, s[2:3]
	s_mov_b64 s[0:1], -1
	s_mov_b64 s[2:3], 0
	global_store_byte v[4:5], v8, off
.LBB56_53:
	s_mov_b64 s[4:5], 0
.LBB56_54:
	s_and_b64 vcc, exec, s[4:5]
	s_cbranch_vccz .LBB56_57
; %bb.55:
	s_cmp_eq_u32 s9, 29
	s_mov_b64 s[2:3], -1
	s_cbranch_scc0 .LBB56_57
; %bb.56:
	v_trunc_f64_e32 v[6:7], v[0:1]
	s_movk_i32 s0, 0xffe0
	v_ldexp_f64 v[8:9], v[6:7], s0
	v_floor_f64_e32 v[8:9], v[8:9]
	v_fmac_f64_e32 v[6:7], 0xc1f00000, v[8:9]
	v_cvt_u32_f64_e32 v11, v[8:9]
	v_cvt_u32_f64_e32 v10, v[6:7]
	global_store_dwordx2 v[4:5], v[10:11], off
	s_mov_b64 s[0:1], -1
	s_mov_b64 s[2:3], 0
.LBB56_57:
	s_mov_b64 s[4:5], 0
.LBB56_58:
	s_and_b64 vcc, exec, s[4:5]
	s_cbranch_vccz .LBB56_74
; %bb.59:
	s_cmp_lt_i32 s9, 27
	s_mov_b64 s[0:1], -1
	s_cbranch_scc1 .LBB56_65
; %bb.60:
	s_cmp_gt_i32 s9, 27
	v_cvt_u32_f64_e32 v6, v[0:1]
	s_cbranch_scc0 .LBB56_62
; %bb.61:
	s_mov_b64 s[0:1], 0
	global_store_dword v[4:5], v6, off
.LBB56_62:
	s_andn2_b64 vcc, exec, s[0:1]
	s_cbranch_vccnz .LBB56_64
; %bb.63:
	global_store_short v[4:5], v6, off
.LBB56_64:
	s_mov_b64 s[0:1], 0
.LBB56_65:
	s_andn2_b64 vcc, exec, s[0:1]
	s_cbranch_vccnz .LBB56_73
; %bb.66:
	v_cvt_f32_f64_e32 v6, v[0:1]
	v_and_b32_e32 v7, 0x7fffffff, v6
	s_mov_b32 s0, 0x43800000
	v_cmp_gt_u32_e32 vcc, s0, v7
	v_mov_b32_e32 v8, 0x80
	s_and_saveexec_b64 s[0:1], vcc
	s_cbranch_execz .LBB56_72
; %bb.67:
	s_mov_b32 s4, 0x3bffffff
	v_cmp_lt_u32_e32 vcc, s4, v7
	s_mov_b64 s[4:5], 0
                                        ; implicit-def: $vgpr7
	s_and_saveexec_b64 s[6:7], vcc
	s_xor_b64 s[6:7], exec, s[6:7]
	s_cbranch_execz .LBB56_313
; %bb.68:
	v_bfe_u32 v7, v6, 20, 1
	s_mov_b32 s10, 0x487ffff
	v_add3_u32 v7, v6, v7, s10
	s_mov_b64 s[4:5], exec
	v_lshrrev_b32_e32 v7, 20, v7
	s_andn2_saveexec_b64 s[6:7], s[6:7]
	s_cbranch_execnz .LBB56_314
.LBB56_69:
	s_or_b64 exec, exec, s[6:7]
	v_mov_b32_e32 v8, 0
	s_and_saveexec_b64 s[6:7], s[4:5]
.LBB56_70:
	v_lshrrev_b32_e32 v6, 24, v6
	s_movk_i32 s4, 0x80
	v_and_or_b32 v8, v6, s4, v7
.LBB56_71:
	s_or_b64 exec, exec, s[6:7]
.LBB56_72:
	s_or_b64 exec, exec, s[0:1]
	global_store_byte v[4:5], v8, off
.LBB56_73:
	s_mov_b64 s[0:1], -1
.LBB56_74:
	s_mov_b64 s[4:5], 0
.LBB56_75:
	s_and_b64 vcc, exec, s[4:5]
	s_cbranch_vccz .LBB56_116
; %bb.76:
	s_cmp_gt_i32 s9, 22
	s_mov_b64 s[4:5], -1
	s_cbranch_scc0 .LBB56_108
; %bb.77:
	s_cmp_lt_i32 s9, 24
	s_mov_b64 s[0:1], -1
	s_cbranch_scc1 .LBB56_97
; %bb.78:
	s_cmp_gt_i32 s9, 24
	s_cbranch_scc0 .LBB56_86
; %bb.79:
	v_cvt_f32_f64_e32 v6, v[0:1]
	v_and_b32_e32 v7, 0x7fffffff, v6
	s_mov_b32 s0, 0x47800000
	v_cmp_gt_u32_e32 vcc, s0, v7
	v_mov_b32_e32 v8, 0x80
	s_and_saveexec_b64 s[0:1], vcc
	s_cbranch_execz .LBB56_85
; %bb.80:
	s_mov_b32 s4, 0x37ffffff
	v_cmp_lt_u32_e32 vcc, s4, v7
	s_mov_b64 s[4:5], 0
                                        ; implicit-def: $vgpr7
	s_and_saveexec_b64 s[6:7], vcc
	s_xor_b64 s[6:7], exec, s[6:7]
	s_cbranch_execz .LBB56_317
; %bb.81:
	v_bfe_u32 v7, v6, 21, 1
	s_mov_b32 s10, 0x88fffff
	v_add3_u32 v7, v6, v7, s10
	s_mov_b64 s[4:5], exec
	v_lshrrev_b32_e32 v7, 21, v7
	s_andn2_saveexec_b64 s[6:7], s[6:7]
	s_cbranch_execnz .LBB56_318
.LBB56_82:
	s_or_b64 exec, exec, s[6:7]
	v_mov_b32_e32 v8, 0
	s_and_saveexec_b64 s[6:7], s[4:5]
.LBB56_83:
	v_lshrrev_b32_e32 v6, 24, v6
	s_movk_i32 s4, 0x80
	v_and_or_b32 v8, v6, s4, v7
.LBB56_84:
	s_or_b64 exec, exec, s[6:7]
.LBB56_85:
	s_or_b64 exec, exec, s[0:1]
	s_mov_b64 s[0:1], 0
	global_store_byte v[4:5], v8, off
.LBB56_86:
	s_and_b64 vcc, exec, s[0:1]
	s_cbranch_vccz .LBB56_96
; %bb.87:
	v_cvt_f32_f64_e32 v6, v[0:1]
	v_and_b32_e32 v8, 0x7fffffff, v6
	s_mov_b32 s0, 0x43f00000
	v_cmp_gt_u32_e32 vcc, s0, v8
                                        ; implicit-def: $vgpr7
	s_and_saveexec_b64 s[0:1], vcc
	s_xor_b64 s[0:1], exec, s[0:1]
	s_cbranch_execz .LBB56_93
; %bb.88:
	s_mov_b32 s4, 0x3c7fffff
	v_cmp_lt_u32_e32 vcc, s4, v8
                                        ; implicit-def: $vgpr7
	s_and_saveexec_b64 s[4:5], vcc
	s_xor_b64 s[4:5], exec, s[4:5]
; %bb.89:
	v_bfe_u32 v7, v6, 20, 1
	s_mov_b32 s6, 0x407ffff
	v_add3_u32 v7, v6, v7, s6
	v_lshrrev_b32_e32 v8, 20, v7
	v_and_b32_e32 v7, 0xff00000, v7
	s_mov_b32 s6, 0x7f00000
	v_mov_b32_e32 v9, 0x7e
	v_cmp_ne_u32_e32 vcc, s6, v7
	s_nop 1
	v_cndmask_b32_e32 v7, v9, v8, vcc
; %bb.90:
	s_andn2_saveexec_b64 s[4:5], s[4:5]
; %bb.91:
	s_mov_b32 s6, 0x46800000
	v_add_f32_e64 v7, |v6|, s6
; %bb.92:
	s_or_b64 exec, exec, s[4:5]
                                        ; implicit-def: $vgpr8
.LBB56_93:
	s_andn2_saveexec_b64 s[0:1], s[0:1]
; %bb.94:
	s_mov_b32 s4, 0x7f800000
	v_mov_b32_e32 v7, 0x7e
	v_mov_b32_e32 v9, 0x7f
	v_cmp_lt_u32_e32 vcc, s4, v8
	s_nop 1
	v_cndmask_b32_e32 v7, v7, v9, vcc
; %bb.95:
	s_or_b64 exec, exec, s[0:1]
	v_lshrrev_b32_e32 v6, 24, v6
	s_movk_i32 s0, 0x80
	v_and_or_b32 v6, v6, s0, v7
	global_store_byte v[4:5], v6, off
.LBB56_96:
	s_mov_b64 s[0:1], 0
.LBB56_97:
	s_andn2_b64 vcc, exec, s[0:1]
	s_cbranch_vccnz .LBB56_107
; %bb.98:
	v_cvt_f32_f64_e32 v6, v[0:1]
	v_and_b32_e32 v8, 0x7fffffff, v6
	s_mov_b32 s0, 0x47800000
	v_cmp_gt_u32_e32 vcc, s0, v8
                                        ; implicit-def: $vgpr7
	s_and_saveexec_b64 s[0:1], vcc
	s_xor_b64 s[0:1], exec, s[0:1]
	s_cbranch_execz .LBB56_104
; %bb.99:
	s_mov_b32 s4, 0x387fffff
	v_cmp_lt_u32_e32 vcc, s4, v8
                                        ; implicit-def: $vgpr7
	s_and_saveexec_b64 s[4:5], vcc
	s_xor_b64 s[4:5], exec, s[4:5]
; %bb.100:
	v_bfe_u32 v7, v6, 21, 1
	s_mov_b32 s6, 0x80fffff
	v_add3_u32 v7, v6, v7, s6
	v_lshrrev_b32_e32 v7, 21, v7
; %bb.101:
	s_andn2_saveexec_b64 s[4:5], s[4:5]
; %bb.102:
	s_mov_b32 s6, 0x43000000
	v_add_f32_e64 v7, |v6|, s6
; %bb.103:
	s_or_b64 exec, exec, s[4:5]
                                        ; implicit-def: $vgpr8
.LBB56_104:
	s_andn2_saveexec_b64 s[0:1], s[0:1]
; %bb.105:
	s_mov_b32 s4, 0x7f800000
	v_mov_b32_e32 v7, 0x7c
	v_mov_b32_e32 v9, 0x7f
	v_cmp_lt_u32_e32 vcc, s4, v8
	s_nop 1
	v_cndmask_b32_e32 v7, v7, v9, vcc
; %bb.106:
	s_or_b64 exec, exec, s[0:1]
	v_lshrrev_b32_e32 v6, 24, v6
	s_movk_i32 s0, 0x80
	v_and_or_b32 v6, v6, s0, v7
	global_store_byte v[4:5], v6, off
.LBB56_107:
	s_mov_b64 s[4:5], 0
	s_mov_b64 s[0:1], -1
.LBB56_108:
	s_andn2_b64 vcc, exec, s[4:5]
	s_cbranch_vccnz .LBB56_116
; %bb.109:
	s_cmp_gt_i32 s9, 14
	s_mov_b64 s[4:5], -1
	s_cbranch_scc0 .LBB56_113
; %bb.110:
	s_cmp_eq_u32 s9, 15
	s_mov_b64 s[2:3], -1
	s_cbranch_scc0 .LBB56_112
; %bb.111:
	v_cvt_f32_f64_e32 v6, v[0:1]
	v_bfe_u32 v7, v6, 16, 1
	s_movk_i32 s0, 0x7fff
	v_add3_u32 v7, v6, v7, s0
	v_cmp_o_f32_e32 vcc, v6, v6
	v_mov_b32_e32 v6, 0x7fc0
	s_mov_b64 s[0:1], -1
	v_cndmask_b32_sdwa v6, v6, v7, vcc dst_sel:DWORD dst_unused:UNUSED_PAD src0_sel:DWORD src1_sel:WORD_1
	global_store_short v[4:5], v6, off
	s_mov_b64 s[2:3], 0
.LBB56_112:
	s_mov_b64 s[4:5], 0
.LBB56_113:
	s_and_b64 vcc, exec, s[4:5]
	s_cbranch_vccz .LBB56_116
; %bb.114:
	s_cmp_eq_u32 s9, 11
	s_mov_b64 s[2:3], -1
	s_cbranch_scc0 .LBB56_116
; %bb.115:
	v_cmp_neq_f64_e32 vcc, 0, v[0:1]
	v_cmp_neq_f64_e64 s[0:1], 0, v[2:3]
	s_or_b64 s[0:1], vcc, s[0:1]
	s_mov_b64 s[2:3], 0
	v_cndmask_b32_e64 v6, 0, 1, s[0:1]
	s_mov_b64 s[0:1], -1
	global_store_byte v[4:5], v6, off
.LBB56_116:
	s_branch .LBB56_35
.LBB56_117:
	s_and_b32 s4, 0xffff, s8
	s_cmp_lt_i32 s4, 5
	s_mov_b64 s[0:1], -1
	s_cbranch_scc1 .LBB56_138
; %bb.118:
	s_cmp_lt_i32 s4, 8
	s_cbranch_scc1 .LBB56_128
; %bb.119:
	s_cmp_lt_i32 s4, 9
	s_cbranch_scc1 .LBB56_125
; %bb.120:
	s_cmp_gt_i32 s4, 9
	s_cbranch_scc0 .LBB56_122
; %bb.121:
	global_store_dwordx4 v[4:5], v[0:3], off
	s_mov_b64 s[0:1], 0
.LBB56_122:
	s_andn2_b64 vcc, exec, s[0:1]
	s_cbranch_vccnz .LBB56_124
; %bb.123:
	v_cvt_f32_f64_e32 v7, v[2:3]
	v_cvt_f32_f64_e32 v6, v[0:1]
	global_store_dwordx2 v[4:5], v[6:7], off
.LBB56_124:
	s_mov_b64 s[0:1], 0
.LBB56_125:
	s_andn2_b64 vcc, exec, s[0:1]
	s_cbranch_vccnz .LBB56_127
; %bb.126:
	s_movk_i32 s0, 0x1ff
	v_and_or_b32 v6, v1, s0, v0
	v_cmp_ne_u32_e32 vcc, 0, v6
	v_lshrrev_b32_e32 v7, 8, v1
	s_movk_i32 s1, 0xffe
	v_cndmask_b32_e64 v6, 0, 1, vcc
	v_bfe_u32 v8, v1, 20, 11
	v_and_or_b32 v6, v7, s1, v6
	v_sub_u32_e32 v9, 0x3f1, v8
	v_or_b32_e32 v7, 0x1000, v6
	v_med3_i32 v9, v9, 0, 13
	v_lshrrev_b32_e32 v10, v9, v7
	v_lshlrev_b32_e32 v9, v9, v10
	v_cmp_ne_u32_e32 vcc, v9, v7
	v_add_u32_e32 v8, 0xfffffc10, v8
	v_lshl_or_b32 v9, v8, 12, v6
	v_cndmask_b32_e64 v7, 0, 1, vcc
	v_or_b32_e32 v7, v10, v7
	v_cmp_gt_i32_e32 vcc, 1, v8
	s_movk_i32 s5, 0x40f
	v_and_or_b32 v2, v3, s0, v2
	v_cndmask_b32_e32 v7, v9, v7, vcc
	v_and_b32_e32 v9, 7, v7
	v_cmp_lt_i32_e32 vcc, 5, v9
	v_lshrrev_b32_e32 v7, 2, v7
	v_bfe_u32 v11, v3, 20, 11
	v_cndmask_b32_e64 v10, 0, 1, vcc
	v_cmp_eq_u32_e32 vcc, 3, v9
	v_sub_u32_e32 v12, 0x3f1, v11
	v_med3_i32 v12, v12, 0, 13
	v_cndmask_b32_e64 v9, 0, 1, vcc
	v_or_b32_e32 v9, v9, v10
	v_add_u32_e32 v7, v7, v9
	v_mov_b32_e32 v9, 0x7c00
	v_cmp_gt_i32_e32 vcc, 31, v8
	v_mov_b32_e32 v10, 0x7e00
	v_add_u32_e32 v11, 0xfffffc10, v11
	v_cndmask_b32_e32 v7, v9, v7, vcc
	v_cmp_ne_u32_e32 vcc, 0, v6
	s_mov_b32 s6, 0x8000
	s_mov_b32 s0, 0xffff
	v_cndmask_b32_e32 v6, v9, v10, vcc
	v_cmp_eq_u32_e32 vcc, s5, v8
	v_lshrrev_b32_e32 v8, 8, v3
	v_lshrrev_b32_e32 v3, 16, v3
	v_cndmask_b32_e32 v6, v7, v6, vcc
	v_cmp_ne_u32_e32 vcc, 0, v2
	v_and_b32_sdwa v7, v1, s6 dst_sel:DWORD dst_unused:UNUSED_PAD src0_sel:WORD_1 src1_sel:DWORD
	s_nop 0
	v_cndmask_b32_e64 v2, 0, 1, vcc
	v_and_or_b32 v2, v8, s1, v2
	v_or_b32_e32 v8, 0x1000, v2
	v_lshrrev_b32_e32 v13, v12, v8
	v_lshlrev_b32_e32 v12, v12, v13
	v_cmp_ne_u32_e32 vcc, v12, v8
	v_lshl_or_b32 v12, v11, 12, v2
	s_nop 0
	v_cndmask_b32_e64 v8, 0, 1, vcc
	v_or_b32_e32 v8, v13, v8
	v_cmp_gt_i32_e32 vcc, 1, v11
	s_nop 1
	v_cndmask_b32_e32 v8, v12, v8, vcc
	v_and_b32_e32 v12, 7, v8
	v_cmp_lt_i32_e32 vcc, 5, v12
	v_lshrrev_b32_e32 v8, 2, v8
	s_nop 0
	v_cndmask_b32_e64 v13, 0, 1, vcc
	v_cmp_eq_u32_e32 vcc, 3, v12
	s_nop 1
	v_cndmask_b32_e64 v12, 0, 1, vcc
	v_or_b32_e32 v12, v12, v13
	v_add_u32_e32 v8, v8, v12
	v_cmp_gt_i32_e32 vcc, 31, v11
	s_nop 1
	v_cndmask_b32_e32 v8, v9, v8, vcc
	v_cmp_ne_u32_e32 vcc, 0, v2
	s_nop 1
	v_cndmask_b32_e32 v2, v9, v10, vcc
	v_cmp_eq_u32_e32 vcc, s5, v11
	s_nop 1
	v_cndmask_b32_e32 v2, v8, v2, vcc
	v_and_or_b32 v2, v3, s6, v2
	v_bitop3_b32 v3, v7, s0, v6 bitop3:0xc8
	v_lshl_or_b32 v2, v2, 16, v3
	global_store_dword v[4:5], v2, off
.LBB56_127:
	s_mov_b64 s[0:1], 0
.LBB56_128:
	s_andn2_b64 vcc, exec, s[0:1]
	s_cbranch_vccnz .LBB56_137
; %bb.129:
	s_cmp_lt_i32 s4, 6
	s_mov_b64 s[0:1], -1
	s_cbranch_scc1 .LBB56_135
; %bb.130:
	s_cmp_gt_i32 s4, 6
	s_cbranch_scc0 .LBB56_132
; %bb.131:
	global_store_dwordx2 v[4:5], v[0:1], off
	s_mov_b64 s[0:1], 0
.LBB56_132:
	s_andn2_b64 vcc, exec, s[0:1]
	s_cbranch_vccnz .LBB56_134
; %bb.133:
	v_cvt_f32_f64_e32 v2, v[0:1]
	global_store_dword v[4:5], v2, off
.LBB56_134:
	s_mov_b64 s[0:1], 0
.LBB56_135:
	s_andn2_b64 vcc, exec, s[0:1]
	s_cbranch_vccnz .LBB56_137
; %bb.136:
	s_movk_i32 s0, 0x1ff
	v_and_or_b32 v2, v1, s0, v0
	v_cmp_ne_u32_e32 vcc, 0, v2
	v_lshrrev_b32_e32 v3, 8, v1
	s_movk_i32 s0, 0xffe
	v_cndmask_b32_e64 v2, 0, 1, vcc
	v_bfe_u32 v6, v1, 20, 11
	v_and_or_b32 v2, v3, s0, v2
	v_sub_u32_e32 v7, 0x3f1, v6
	v_or_b32_e32 v3, 0x1000, v2
	v_med3_i32 v7, v7, 0, 13
	v_lshrrev_b32_e32 v8, v7, v3
	v_lshlrev_b32_e32 v7, v7, v8
	v_cmp_ne_u32_e32 vcc, v7, v3
	v_add_u32_e32 v6, 0xfffffc10, v6
	v_lshl_or_b32 v7, v6, 12, v2
	v_cndmask_b32_e64 v3, 0, 1, vcc
	v_or_b32_e32 v3, v8, v3
	v_cmp_gt_i32_e32 vcc, 1, v6
	s_movk_i32 s0, 0x40f
	s_nop 0
	v_cndmask_b32_e32 v3, v7, v3, vcc
	v_and_b32_e32 v7, 7, v3
	v_cmp_lt_i32_e32 vcc, 5, v7
	v_lshrrev_b32_e32 v3, 2, v3
	s_nop 0
	v_cndmask_b32_e64 v8, 0, 1, vcc
	v_cmp_eq_u32_e32 vcc, 3, v7
	s_nop 1
	v_cndmask_b32_e64 v7, 0, 1, vcc
	v_or_b32_e32 v7, v7, v8
	v_add_u32_e32 v3, v3, v7
	v_mov_b32_e32 v7, 0x7c00
	v_cmp_gt_i32_e32 vcc, 31, v6
	v_mov_b32_e32 v8, 0x7e00
	s_nop 0
	v_cndmask_b32_e32 v3, v7, v3, vcc
	v_cmp_ne_u32_e32 vcc, 0, v2
	s_nop 1
	v_cndmask_b32_e32 v2, v7, v8, vcc
	v_cmp_eq_u32_e32 vcc, s0, v6
	s_mov_b32 s0, 0x8000
	s_nop 0
	v_cndmask_b32_e32 v2, v3, v2, vcc
	v_lshrrev_b32_e32 v3, 16, v1
	v_and_or_b32 v2, v3, s0, v2
	global_store_short v[4:5], v2, off
.LBB56_137:
	s_mov_b64 s[0:1], 0
.LBB56_138:
	s_andn2_b64 vcc, exec, s[0:1]
	s_cbranch_vccnz .LBB56_154
; %bb.139:
	s_cmp_lt_i32 s4, 2
	s_mov_b64 s[0:1], -1
	s_cbranch_scc1 .LBB56_149
; %bb.140:
	s_cmp_lt_i32 s4, 3
	s_cbranch_scc1 .LBB56_146
; %bb.141:
	s_cmp_gt_i32 s4, 3
	s_cbranch_scc0 .LBB56_143
; %bb.142:
	v_trunc_f64_e32 v[2:3], v[0:1]
	s_movk_i32 s0, 0xffe0
	v_ldexp_f64 v[6:7], v[2:3], s0
	v_floor_f64_e32 v[6:7], v[6:7]
	v_fmac_f64_e32 v[2:3], 0xc1f00000, v[6:7]
	v_cvt_i32_f64_e32 v9, v[6:7]
	v_cvt_u32_f64_e32 v8, v[2:3]
	global_store_dwordx2 v[4:5], v[8:9], off
	s_mov_b64 s[0:1], 0
.LBB56_143:
	s_andn2_b64 vcc, exec, s[0:1]
	s_cbranch_vccnz .LBB56_145
; %bb.144:
	v_cvt_i32_f64_e32 v2, v[0:1]
	global_store_dword v[4:5], v2, off
.LBB56_145:
	s_mov_b64 s[0:1], 0
.LBB56_146:
	s_andn2_b64 vcc, exec, s[0:1]
	s_cbranch_vccnz .LBB56_148
; %bb.147:
	v_cvt_i32_f64_e32 v2, v[0:1]
	global_store_short v[4:5], v2, off
.LBB56_148:
	s_mov_b64 s[0:1], 0
.LBB56_149:
	s_andn2_b64 vcc, exec, s[0:1]
	s_cbranch_vccnz .LBB56_154
; %bb.150:
	s_cmp_gt_i32 s4, 0
	s_mov_b64 s[0:1], -1
	s_cbranch_scc0 .LBB56_152
; %bb.151:
	v_cvt_i32_f64_e32 v2, v[0:1]
	global_store_byte v[4:5], v2, off
	s_mov_b64 s[0:1], 0
.LBB56_152:
	s_andn2_b64 vcc, exec, s[0:1]
	s_cbranch_vccnz .LBB56_154
; %bb.153:
	v_trunc_f64_e32 v[0:1], v[0:1]
	s_movk_i32 s0, 0xffe0
	v_ldexp_f64 v[2:3], v[0:1], s0
	v_floor_f64_e32 v[2:3], v[2:3]
	v_fmac_f64_e32 v[0:1], 0xc1f00000, v[2:3]
	v_cvt_u32_f64_e32 v0, v[0:1]
	global_store_byte v[4:5], v0, off
.LBB56_154:
.LBB56_155:
	v_add_u32_e32 v36, 0x80, v36
	s_mov_b64 s[0:1], -1
	s_branch .LBB56_270
.LBB56_156:
	s_mov_b64 s[70:71], -1
                                        ; implicit-def: $vgpr0_vgpr1
.LBB56_157:
	v_mov_b64_e32 v[2:3], 0
.LBB56_158:
	s_mov_b64 s[2:3], 0
.LBB56_159:
	s_and_b64 vcc, exec, s[2:3]
	s_cbranch_vccz .LBB56_164
; %bb.160:
	s_cmp_eq_u32 s6, 29
	s_cbranch_scc0 .LBB56_162
; %bb.161:
	global_load_dwordx2 v[0:1], v[4:5], off
	s_mov_b64 s[0:1], -1
	s_mov_b64 s[70:71], 0
	s_waitcnt vmcnt(0)
	v_cvt_f64_u32_e32 v[2:3], v1
	v_cvt_f64_u32_e32 v[0:1], v0
	v_ldexp_f64 v[2:3], v[2:3], 32
	v_add_f64 v[0:1], v[2:3], v[0:1]
	s_branch .LBB56_163
.LBB56_162:
	s_mov_b64 s[70:71], -1
                                        ; implicit-def: $vgpr0_vgpr1
.LBB56_163:
	v_mov_b64_e32 v[2:3], 0
.LBB56_164:
	s_mov_b64 s[2:3], 0
.LBB56_165:
	s_and_b64 vcc, exec, s[2:3]
	s_cbranch_vccz .LBB56_185
; %bb.166:
	s_cmp_lt_i32 s6, 27
	s_cbranch_scc1 .LBB56_169
; %bb.167:
	s_cmp_gt_i32 s6, 27
	s_cbranch_scc0 .LBB56_170
; %bb.168:
	global_load_dword v0, v[4:5], off
	s_mov_b64 s[0:1], 0
	s_waitcnt vmcnt(0)
	v_cvt_f64_u32_e32 v[0:1], v0
	s_branch .LBB56_171
.LBB56_169:
	s_mov_b64 s[0:1], -1
                                        ; implicit-def: $vgpr0_vgpr1
	s_branch .LBB56_174
.LBB56_170:
	s_mov_b64 s[0:1], -1
                                        ; implicit-def: $vgpr0_vgpr1
.LBB56_171:
	s_andn2_b64 vcc, exec, s[0:1]
	s_cbranch_vccnz .LBB56_173
; %bb.172:
	global_load_ushort v0, v[4:5], off
	s_waitcnt vmcnt(0)
	v_cvt_f64_u32_e32 v[0:1], v0
.LBB56_173:
	s_mov_b64 s[0:1], 0
.LBB56_174:
	s_andn2_b64 vcc, exec, s[0:1]
	s_cbranch_vccnz .LBB56_184
; %bb.175:
	global_load_ubyte v2, v[4:5], off
	s_movk_i32 s0, 0x7f
	s_waitcnt vmcnt(0)
	v_cmp_lt_i16_e32 vcc, s0, v2
	s_mov_b64 s[0:1], 0
	s_and_saveexec_b64 s[2:3], vcc
	s_xor_b64 s[2:3], exec, s[2:3]
	s_cbranch_execz .LBB56_179
; %bb.176:
	s_movk_i32 s0, 0x80
	v_cmp_eq_u16_e32 vcc, s0, v2
	s_mov_b64 s[0:1], -1
	s_and_saveexec_b64 s[4:5], vcc
; %bb.177:
	s_xor_b64 s[0:1], exec, -1
; %bb.178:
	s_or_b64 exec, exec, s[4:5]
	s_and_b64 s[0:1], s[0:1], exec
.LBB56_179:
	s_or_saveexec_b64 s[2:3], s[2:3]
	v_bfrev_b32_e32 v0, 4
	v_mov_b32_e32 v1, 0x7ff80000
	s_xor_b64 exec, exec, s[2:3]
; %bb.180:
	v_cmp_ne_u16_e32 vcc, 0, v2
	s_andn2_b64 s[0:1], s[0:1], exec
	s_and_b64 s[4:5], vcc, exec
	v_mov_b64_e32 v[0:1], 0
	s_or_b64 s[0:1], s[0:1], s[4:5]
; %bb.181:
	s_or_b64 exec, exec, s[2:3]
	s_and_saveexec_b64 s[2:3], s[0:1]
	s_cbranch_execz .LBB56_183
; %bb.182:
	v_and_b32_e32 v1, 0xffff, v2
	v_lshlrev_b32_e32 v0, 24, v2
	v_and_b32_e32 v2, 7, v1
	v_ffbh_u32_e32 v6, v2
	v_min_u32_e32 v6, 32, v6
	v_subrev_u32_e32 v7, 28, v6
	v_bfe_u32 v3, v1, 3, 4
	v_lshlrev_b32_e32 v1, v7, v1
	v_sub_u32_e32 v6, 29, v6
	v_and_b32_e32 v1, 7, v1
	v_cmp_eq_u32_e32 vcc, 0, v3
	v_and_b32_e32 v0, 0x80000000, v0
	s_nop 0
	v_cndmask_b32_e32 v3, v3, v6, vcc
	v_cndmask_b32_e32 v1, v2, v1, vcc
	v_mov_b32_e32 v2, 0x3b800000
	v_lshlrev_b32_e32 v1, 20, v1
	v_lshl_add_u32 v2, v3, 23, v2
	v_or3_b32 v0, v0, v2, v1
	v_cvt_f64_f32_e32 v[0:1], v0
.LBB56_183:
	s_or_b64 exec, exec, s[2:3]
.LBB56_184:
	s_mov_b64 s[0:1], -1
	v_mov_b64_e32 v[2:3], 0
.LBB56_185:
	s_branch .LBB56_218
.LBB56_186:
	s_cmp_gt_i32 s6, 22
	s_cbranch_scc0 .LBB56_198
; %bb.187:
	s_cmp_lt_i32 s6, 24
	s_cbranch_scc1 .LBB56_199
; %bb.188:
	s_cmp_gt_i32 s6, 24
	s_cbranch_scc0 .LBB56_200
; %bb.189:
	global_load_ubyte v2, v[4:5], off
	s_movk_i32 s0, 0x7f
	s_waitcnt vmcnt(0)
	v_cmp_lt_i16_e32 vcc, s0, v2
	s_mov_b64 s[0:1], 0
	s_and_saveexec_b64 s[2:3], vcc
	s_xor_b64 s[2:3], exec, s[2:3]
	s_cbranch_execz .LBB56_193
; %bb.190:
	s_movk_i32 s0, 0x80
	v_cmp_eq_u16_e32 vcc, s0, v2
	s_mov_b64 s[0:1], -1
	s_and_saveexec_b64 s[4:5], vcc
; %bb.191:
	s_xor_b64 s[0:1], exec, -1
; %bb.192:
	s_or_b64 exec, exec, s[4:5]
	s_and_b64 s[0:1], s[0:1], exec
.LBB56_193:
	s_or_saveexec_b64 s[2:3], s[2:3]
	v_bfrev_b32_e32 v0, 4
	v_mov_b32_e32 v1, 0x7ff80000
	s_xor_b64 exec, exec, s[2:3]
; %bb.194:
	v_cmp_ne_u16_e32 vcc, 0, v2
	s_andn2_b64 s[0:1], s[0:1], exec
	s_and_b64 s[4:5], vcc, exec
	v_mov_b64_e32 v[0:1], 0
	s_or_b64 s[0:1], s[0:1], s[4:5]
; %bb.195:
	s_or_b64 exec, exec, s[2:3]
	s_and_saveexec_b64 s[2:3], s[0:1]
	s_cbranch_execz .LBB56_197
; %bb.196:
	v_and_b32_e32 v1, 0xffff, v2
	v_lshlrev_b32_e32 v0, 24, v2
	v_and_b32_e32 v2, 3, v1
	v_ffbh_u32_e32 v6, v2
	v_min_u32_e32 v6, 32, v6
	v_subrev_u32_e32 v7, 29, v6
	v_bfe_u32 v3, v1, 2, 5
	v_lshlrev_b32_e32 v1, v7, v1
	v_sub_u32_e32 v6, 30, v6
	v_and_b32_e32 v1, 3, v1
	v_cmp_eq_u32_e32 vcc, 0, v3
	v_and_b32_e32 v0, 0x80000000, v0
	s_nop 0
	v_cndmask_b32_e32 v3, v3, v6, vcc
	v_cndmask_b32_e32 v1, v2, v1, vcc
	v_mov_b32_e32 v2, 0x37800000
	v_lshlrev_b32_e32 v1, 21, v1
	v_lshl_add_u32 v2, v3, 23, v2
	v_or3_b32 v0, v0, v2, v1
	v_cvt_f64_f32_e32 v[0:1], v0
.LBB56_197:
	s_or_b64 exec, exec, s[2:3]
	s_mov_b64 s[0:1], 0
	s_branch .LBB56_201
.LBB56_198:
                                        ; implicit-def: $vgpr0_vgpr1
	s_branch .LBB56_207
.LBB56_199:
	s_mov_b64 s[0:1], -1
                                        ; implicit-def: $vgpr0_vgpr1
	s_branch .LBB56_204
.LBB56_200:
	s_mov_b64 s[0:1], -1
                                        ; implicit-def: $vgpr0_vgpr1
.LBB56_201:
	s_and_b64 vcc, exec, s[0:1]
	s_cbranch_vccz .LBB56_203
; %bb.202:
	global_load_ubyte v0, v[4:5], off
	s_mov_b32 s0, 0x7f800000
	s_waitcnt vmcnt(0)
	v_lshlrev_b32_e32 v0, 24, v0
	v_and_b32_e32 v1, 0x7f000000, v0
	v_ffbh_u32_e32 v2, v1
	v_min_u32_e32 v2, 32, v2
	v_sub_u32_e64 v2, v2, 4 clamp
	v_lshlrev_b32_e32 v6, v2, v1
	v_lshlrev_b32_e32 v2, 23, v2
	v_lshrrev_b32_e32 v6, 4, v6
	v_add_u32_e32 v3, 0x1000000, v1
	v_sub_u32_e32 v2, v6, v2
	v_ashrrev_i32_e32 v3, 8, v3
	v_add_u32_e32 v2, 0x3c000000, v2
	v_and_or_b32 v2, v3, s0, v2
	v_cmp_ne_u32_e32 vcc, 0, v1
	s_brev_b32 s0, 1
	s_nop 0
	v_cndmask_b32_e32 v1, 0, v2, vcc
	v_and_or_b32 v0, v0, s0, v1
	v_cvt_f64_f32_e32 v[0:1], v0
.LBB56_203:
	s_mov_b64 s[0:1], 0
.LBB56_204:
	s_andn2_b64 vcc, exec, s[0:1]
	s_cbranch_vccnz .LBB56_206
; %bb.205:
	global_load_ubyte v0, v[4:5], off
	s_movk_i32 s0, 0x7f00
	s_brev_b32 s1, 16
	s_waitcnt vmcnt(0)
	v_lshlrev_b16_e32 v1, 8, v0
	v_lshlrev_b32_e32 v0, 25, v0
	v_lshrrev_b32_e32 v2, 4, v0
	v_and_or_b32 v3, v1, s0, 0.5
	v_or_b32_e32 v2, 0x70000000, v2
	v_add_f32_e32 v3, -0.5, v3
	v_mul_f32_e32 v2, 0x7800000, v2
	v_cmp_gt_u32_e32 vcc, s1, v0
	v_bfe_i32 v1, v1, 0, 16
	s_brev_b32 s0, 1
	v_cndmask_b32_e32 v0, v2, v3, vcc
	v_and_or_b32 v0, v1, s0, v0
	v_cvt_f64_f32_e32 v[0:1], v0
.LBB56_206:
	s_mov_b64 s[0:1], -1
	s_cbranch_execnz .LBB56_217
.LBB56_207:
	s_cmp_gt_i32 s6, 14
	s_cbranch_scc0 .LBB56_210
; %bb.208:
	s_cmp_eq_u32 s6, 15
	s_cbranch_scc0 .LBB56_211
; %bb.209:
	global_load_ushort v0, v[4:5], off
	s_mov_b64 s[0:1], -1
	s_mov_b64 s[70:71], 0
	s_waitcnt vmcnt(0)
	v_lshlrev_b32_e32 v0, 16, v0
	v_cvt_f64_f32_e32 v[0:1], v0
	s_branch .LBB56_212
.LBB56_210:
	s_mov_b64 s[2:3], -1
                                        ; implicit-def: $vgpr0_vgpr1
	s_branch .LBB56_213
.LBB56_211:
	s_mov_b64 s[70:71], -1
                                        ; implicit-def: $vgpr0_vgpr1
.LBB56_212:
	s_mov_b64 s[2:3], 0
.LBB56_213:
	s_and_b64 vcc, exec, s[2:3]
	s_cbranch_vccz .LBB56_217
; %bb.214:
	s_cmp_eq_u32 s6, 11
	s_cbranch_scc0 .LBB56_216
; %bb.215:
	global_load_ubyte v1, v[4:5], off
	v_mov_b32_e32 v2, 0x3ff00000
	v_mov_b32_e32 v0, 0
	s_mov_b64 s[0:1], -1
	s_mov_b64 s[70:71], 0
	s_waitcnt vmcnt(0)
	v_cmp_ne_u16_e32 vcc, 0, v1
	s_nop 1
	v_cndmask_b32_e32 v1, 0, v2, vcc
	s_branch .LBB56_217
.LBB56_216:
	s_mov_b64 s[70:71], -1
                                        ; implicit-def: $vgpr0_vgpr1
.LBB56_217:
	v_mov_b64_e32 v[2:3], 0
.LBB56_218:
	s_branch .LBB56_25
.LBB56_219:
	s_cmp_lt_i32 s6, 5
	s_cbranch_scc1 .LBB56_224
; %bb.220:
	s_cmp_lt_i32 s6, 8
	s_cbranch_scc1 .LBB56_225
; %bb.221:
	;; [unrolled: 3-line block ×3, first 2 shown]
	s_cmp_gt_i32 s6, 9
	s_cbranch_scc0 .LBB56_227
; %bb.223:
	global_load_dwordx4 v[0:3], v[4:5], off
	s_mov_b64 s[0:1], 0
	s_branch .LBB56_228
.LBB56_224:
                                        ; implicit-def: $vgpr2_vgpr3
	s_branch .LBB56_247
.LBB56_225:
	s_mov_b64 s[0:1], -1
                                        ; implicit-def: $vgpr2_vgpr3
	s_branch .LBB56_234
.LBB56_226:
	s_mov_b64 s[0:1], -1
                                        ; implicit-def: $vgpr2_vgpr3
	s_branch .LBB56_231
.LBB56_227:
	s_mov_b64 s[0:1], -1
                                        ; implicit-def: $vgpr2_vgpr3
.LBB56_228:
	s_andn2_b64 vcc, exec, s[0:1]
	s_cbranch_vccnz .LBB56_230
; %bb.229:
	global_load_dwordx2 v[2:3], v[4:5], off
	s_waitcnt vmcnt(0)
	v_cvt_f64_f32_e32 v[0:1], v2
	v_cvt_f64_f32_e32 v[2:3], v3
.LBB56_230:
	s_mov_b64 s[0:1], 0
.LBB56_231:
	s_andn2_b64 vcc, exec, s[0:1]
	s_cbranch_vccnz .LBB56_233
; %bb.232:
	global_load_dword v0, v[4:5], off
	s_waitcnt vmcnt(0)
	v_cvt_f32_f16_e32 v1, v0
	v_cvt_f32_f16_sdwa v2, v0 dst_sel:DWORD dst_unused:UNUSED_PAD src0_sel:WORD_1
	v_cvt_f64_f32_e32 v[0:1], v1
	v_cvt_f64_f32_e32 v[2:3], v2
.LBB56_233:
	s_mov_b64 s[0:1], 0
.LBB56_234:
	s_andn2_b64 vcc, exec, s[0:1]
	s_cbranch_vccnz .LBB56_246
; %bb.235:
	s_cmp_lt_i32 s6, 6
	s_cbranch_scc1 .LBB56_238
; %bb.236:
	s_cmp_gt_i32 s6, 6
	s_cbranch_scc0 .LBB56_239
; %bb.237:
	global_load_dwordx2 v[0:1], v[4:5], off
	s_mov_b64 s[0:1], 0
	s_branch .LBB56_240
.LBB56_238:
	s_mov_b64 s[0:1], -1
                                        ; implicit-def: $vgpr0_vgpr1
	s_branch .LBB56_243
.LBB56_239:
	s_mov_b64 s[0:1], -1
                                        ; implicit-def: $vgpr0_vgpr1
.LBB56_240:
	s_andn2_b64 vcc, exec, s[0:1]
	s_cbranch_vccnz .LBB56_242
; %bb.241:
	global_load_dword v0, v[4:5], off
	s_waitcnt vmcnt(0)
	v_cvt_f64_f32_e32 v[0:1], v0
.LBB56_242:
	s_mov_b64 s[0:1], 0
.LBB56_243:
	s_andn2_b64 vcc, exec, s[0:1]
	s_cbranch_vccnz .LBB56_245
; %bb.244:
	global_load_ushort v0, v[4:5], off
	s_waitcnt vmcnt(0)
	v_cvt_f32_f16_e32 v0, v0
	v_cvt_f64_f32_e32 v[0:1], v0
.LBB56_245:
	s_waitcnt vmcnt(0)
	v_mov_b64_e32 v[2:3], 0
.LBB56_246:
	s_cbranch_execnz .LBB56_267
.LBB56_247:
	s_cmp_lt_i32 s6, 2
	s_cbranch_scc1 .LBB56_251
; %bb.248:
	s_cmp_lt_i32 s6, 3
	s_cbranch_scc1 .LBB56_252
; %bb.249:
	s_cmp_gt_i32 s6, 3
	s_cbranch_scc0 .LBB56_253
; %bb.250:
	global_load_dwordx2 v[0:1], v[4:5], off
	s_mov_b64 s[0:1], 0
	s_waitcnt vmcnt(0)
	v_cvt_f64_i32_e32 v[2:3], v1
	v_cvt_f64_u32_e32 v[0:1], v0
	v_ldexp_f64 v[2:3], v[2:3], 32
	v_add_f64 v[0:1], v[2:3], v[0:1]
	s_branch .LBB56_254
.LBB56_251:
	s_mov_b64 s[0:1], -1
                                        ; implicit-def: $vgpr0_vgpr1
	s_branch .LBB56_260
.LBB56_252:
	s_mov_b64 s[0:1], -1
                                        ; implicit-def: $vgpr0_vgpr1
	s_branch .LBB56_257
.LBB56_253:
	s_mov_b64 s[0:1], -1
                                        ; implicit-def: $vgpr0_vgpr1
.LBB56_254:
	s_andn2_b64 vcc, exec, s[0:1]
	s_cbranch_vccnz .LBB56_256
; %bb.255:
	global_load_dword v0, v[4:5], off
	s_waitcnt vmcnt(0)
	v_cvt_f64_i32_e32 v[0:1], v0
.LBB56_256:
	s_mov_b64 s[0:1], 0
.LBB56_257:
	s_andn2_b64 vcc, exec, s[0:1]
	s_cbranch_vccnz .LBB56_259
; %bb.258:
	global_load_sshort v0, v[4:5], off
	s_waitcnt vmcnt(0)
	v_cvt_f64_i32_e32 v[0:1], v0
.LBB56_259:
	s_mov_b64 s[0:1], 0
.LBB56_260:
	s_andn2_b64 vcc, exec, s[0:1]
	s_cbranch_vccnz .LBB56_266
; %bb.261:
	s_cmp_gt_i32 s6, 0
	s_cbranch_scc0 .LBB56_263
; %bb.262:
	global_load_sbyte v0, v[4:5], off
	s_mov_b64 s[0:1], 0
	s_waitcnt vmcnt(0)
	v_cvt_f64_i32_e32 v[0:1], v0
	s_branch .LBB56_264
.LBB56_263:
	s_mov_b64 s[0:1], -1
                                        ; implicit-def: $vgpr0_vgpr1
.LBB56_264:
	s_andn2_b64 vcc, exec, s[0:1]
	s_cbranch_vccnz .LBB56_266
; %bb.265:
	global_load_ubyte v0, v[4:5], off
	s_waitcnt vmcnt(0)
	v_cvt_f64_u32_e32 v[0:1], v0
.LBB56_266:
	s_waitcnt vmcnt(0)
	v_mov_b64_e32 v[2:3], 0
.LBB56_267:
	s_branch .LBB56_26
.LBB56_268:
	s_mov_b64 s[2:3], 0
.LBB56_269:
	s_mov_b64 s[0:1], 0
                                        ; implicit-def: $vgpr36
.LBB56_270:
	s_and_b64 s[68:69], s[2:3], exec
	s_and_b64 s[70:71], s[70:71], exec
	s_orn2_b64 s[2:3], s[0:1], exec
.LBB56_271:
	s_or_b64 exec, exec, s[72:73]
	s_mov_b64 s[4:5], 0
	s_mov_b64 s[0:1], 0
                                        ; implicit-def: $vgpr0_vgpr1
                                        ; implicit-def: $vgpr34
                                        ; implicit-def: $vgpr6_vgpr7
	s_and_saveexec_b64 s[72:73], s[2:3]
	s_cbranch_execz .LBB56_279
; %bb.272:
	v_cmp_gt_i32_e32 vcc, s86, v36
	s_mov_b64 s[0:1], -1
	s_mov_b64 s[74:75], s[70:71]
	s_mov_b64 s[76:77], s[68:69]
	s_and_saveexec_b64 s[78:79], vcc
	s_cbranch_execz .LBB56_553
; %bb.273:
	s_andn2_b64 vcc, exec, s[56:57]
	s_cbranch_vccnz .LBB56_282
; %bb.274:
	s_andn2_b64 vcc, exec, s[66:67]
	s_cbranch_vccnz .LBB56_283
; %bb.275:
	s_add_i32 s25, s87, 1
	s_cmp_eq_u32 s43, 2
	s_cbranch_scc1 .LBB56_284
; %bb.276:
	s_and_b32 s24, s25, 28
	s_mov_b32 s26, 0
	v_mov_b32_e32 v34, 0
	s_waitcnt vmcnt(0)
	v_mov_b32_e32 v0, 0
	s_mov_b64 s[20:21], s[52:53]
	s_mov_b64 s[22:23], s[64:65]
	v_mov_b32_e32 v2, v36
.LBB56_277:                             ; =>This Inner Loop Header: Depth=1
	s_load_dwordx8 s[8:15], s[20:21], 0x4
	s_load_dwordx4 s[16:19], s[20:21], 0x24
	s_load_dwordx8 s[0:7], s[22:23], 0x0
	s_add_u32 s20, s20, 48
	s_addc_u32 s21, s21, 0
	s_waitcnt lgkmcnt(0)
	v_mul_hi_u32 v1, s9, v2
	v_add_u32_e32 v1, v2, v1
	v_lshrrev_b32_e32 v1, s10, v1
	v_mul_lo_u32 v3, v1, s8
	v_mul_hi_u32 v4, s12, v1
	v_sub_u32_e32 v2, v2, v3
	v_add_u32_e32 v3, v1, v4
	v_lshrrev_b32_e32 v3, s13, v3
	v_mul_lo_u32 v5, v3, s11
	v_mul_hi_u32 v6, s15, v3
	v_sub_u32_e32 v1, v1, v5
	v_add_u32_e32 v5, v3, v6
	v_mul_lo_u32 v4, v2, s1
	v_mul_lo_u32 v2, v2, s0
	;; [unrolled: 1-line block ×4, first 2 shown]
	v_lshrrev_b32_e32 v5, s16, v5
	v_add3_u32 v1, v2, v34, v1
	v_add3_u32 v0, v4, v0, v6
	v_mul_lo_u32 v2, v5, s14
	v_mul_hi_u32 v4, s18, v5
	v_sub_u32_e32 v2, v3, v2
	v_add_u32_e32 v3, v5, v4
	v_mul_lo_u32 v4, v2, s4
	v_mul_lo_u32 v6, v2, s5
	v_lshrrev_b32_e32 v2, s19, v3
	s_add_i32 s26, s26, 4
	v_mul_lo_u32 v3, v2, s17
	s_add_u32 s22, s22, 32
	v_sub_u32_e32 v3, v5, v3
	s_addc_u32 s23, s23, 0
	v_mul_lo_u32 v5, v3, s6
	v_mul_lo_u32 v3, v3, s7
	s_cmp_eq_u32 s24, s26
	v_add3_u32 v0, v6, v0, v3
	v_add3_u32 v34, v4, v1, v5
	s_cbranch_scc0 .LBB56_277
; %bb.278:
	v_mov_b32_e32 v1, v0
	s_branch .LBB56_285
.LBB56_279:
	s_or_b64 exec, exec, s[72:73]
	s_waitcnt lgkmcnt(0)
	s_mov_b64 s[38:39], 0
	s_and_saveexec_b64 s[2:3], s[70:71]
	s_cbranch_execnz .LBB56_939
.LBB56_280:
	s_or_b64 exec, exec, s[2:3]
	s_and_saveexec_b64 s[2:3], s[76:77]
	s_xor_b64 s[2:3], exec, s[2:3]
	s_cbranch_execz .LBB56_940
.LBB56_281:
	s_waitcnt vmcnt(0)
	global_load_ubyte v2, v[0:1], off
	v_mov_b32_e32 v3, 0x3ff00000
	v_mov_b32_e32 v4, 0
	v_mov_b64_e32 v[6:7], 0
	s_or_b64 s[0:1], s[0:1], exec
	s_waitcnt vmcnt(0)
	v_cmp_ne_u16_e32 vcc, 0, v2
	s_nop 1
	v_cndmask_b32_e32 v5, 0, v3, vcc
	s_or_b64 exec, exec, s[2:3]
	s_and_saveexec_b64 s[2:3], s[4:5]
	s_cbranch_execz .LBB56_988
	s_branch .LBB56_941
.LBB56_282:
                                        ; implicit-def: $vgpr0
                                        ; implicit-def: $vgpr34
	s_andn2_b64 vcc, exec, s[0:1]
	s_cbranch_vccz .LBB56_289
	s_branch .LBB56_291
.LBB56_283:
	s_waitcnt vmcnt(0)
	v_mov_b32_e32 v0, 0
	v_mov_b32_e32 v34, 0
	s_branch .LBB56_288
.LBB56_284:
	v_mov_b32_e32 v34, 0
	s_mov_b32 s24, 0
	s_waitcnt vmcnt(0)
	v_mov_b32_e32 v1, v34
                                        ; implicit-def: $vgpr0
	v_mov_b32_e32 v2, v36
.LBB56_285:
	s_and_b32 s4, s25, 3
	s_cmp_eq_u32 s4, 0
	s_cbranch_scc1 .LBB56_288
; %bb.286:
	s_lshl_b32 s0, s24, 3
	s_add_u32 s0, s52, s0
	s_addc_u32 s1, s53, 0
	s_add_u32 s0, s0, 0xc4
	s_addc_u32 s1, s1, 0
	s_mul_i32 s2, s24, 12
	s_add_u32 s2, s52, s2
	s_addc_u32 s3, s53, 0
.LBB56_287:                             ; =>This Inner Loop Header: Depth=1
	s_load_dwordx2 s[6:7], s[2:3], 0x4
	s_load_dword s5, s[2:3], 0xc
	s_load_dwordx2 s[8:9], s[0:1], 0x0
	v_mov_b32_e32 v0, v1
	s_add_u32 s2, s2, 12
	s_waitcnt lgkmcnt(0)
	v_mul_hi_u32 v1, s7, v2
	v_add_u32_e32 v1, v2, v1
	v_lshrrev_b32_e32 v1, s5, v1
	s_addc_u32 s3, s3, 0
	v_mul_lo_u32 v3, v1, s6
	s_add_u32 s0, s0, 8
	v_sub_u32_e32 v3, v2, v3
	s_addc_u32 s1, s1, 0
	s_add_i32 s4, s4, -1
	v_mov_b32_e32 v2, v1
	v_mad_u64_u32 v[0:1], s[6:7], v3, s9, v[0:1]
	s_cmp_lg_u32 s4, 0
	v_mad_u64_u32 v[34:35], s[6:7], v3, s8, v[34:35]
	v_mov_b32_e32 v1, v0
	s_cbranch_scc1 .LBB56_287
.LBB56_288:
	s_cbranch_execnz .LBB56_291
.LBB56_289:
	s_waitcnt vmcnt(0) lgkmcnt(0)
	v_mul_hi_u32 v0, s49, v36
	v_add_u32_e32 v0, v36, v0
	v_lshrrev_b32_e32 v1, s50, v0
	v_mul_lo_u32 v0, v1, s48
	v_sub_u32_e32 v2, v36, v0
	v_mul_lo_u32 v0, v2, s45
	s_andn2_b64 vcc, exec, s[62:63]
	v_mul_lo_u32 v34, v2, s44
	s_cbranch_vccnz .LBB56_291
; %bb.290:
	v_mul_hi_u32 v2, s60, v1
	v_add_u32_e32 v2, v1, v2
	v_lshrrev_b32_e32 v2, s61, v2
	v_mul_lo_u32 v2, v2, s51
	v_sub_u32_e32 v1, v1, v2
	v_mad_u64_u32 v[34:35], s[0:1], v1, s46, v[34:35]
	v_mad_u64_u32 v[0:1], s[0:1], v1, s47, v[0:1]
.LBB56_291:
	s_waitcnt vmcnt(0)
	v_mov_b32_e32 v1, 0
	s_and_b32 s6, 0xffff, s85
	s_cmp_lt_i32 s6, 11
	s_waitcnt lgkmcnt(0)
	v_lshl_add_u64 v[4:5], s[38:39], 0, v[0:1]
	s_cbranch_scc1 .LBB56_298
; %bb.292:
	s_cmp_gt_i32 s6, 25
	s_cbranch_scc0 .LBB56_307
; %bb.293:
	s_cmp_gt_i32 s6, 28
	s_cbranch_scc0 .LBB56_309
	;; [unrolled: 3-line block ×4, first 2 shown]
; %bb.296:
	s_cmp_eq_u32 s6, 46
	s_mov_b64 s[2:3], 0
	s_cbranch_scc0 .LBB56_319
; %bb.297:
	global_load_dword v0, v[4:5], off
	s_mov_b64 s[0:1], -1
	s_mov_b64 s[74:75], 0
	s_waitcnt vmcnt(0)
	v_and_b32_e32 v2, 0xffff0000, v0
	v_lshlrev_b32_e32 v0, 16, v0
	v_cvt_f64_f32_e32 v[0:1], v0
	v_cvt_f64_f32_e32 v[2:3], v2
	s_branch .LBB56_320
.LBB56_298:
	s_mov_b64 s[0:1], 0
                                        ; implicit-def: $vgpr2_vgpr3
	s_mov_b64 s[74:75], s[70:71]
	s_cbranch_execnz .LBB56_500
.LBB56_299:
	s_andn2_b64 vcc, exec, s[0:1]
	s_cbranch_vccnz .LBB56_550
.LBB56_300:
	s_getpc_b64 s[0:1]
	s_add_u32 s0, s0, _ZZZZN2at6native15exp_kernel_cudaERNS_18TensorIteratorBaseEENKUlvE_clEvENKUlvE_clEvENKUlN3c107complexIdEEE_clES7_@rel32@lo+4
	s_addc_u32 s1, s1, _ZZZZN2at6native15exp_kernel_cudaERNS_18TensorIteratorBaseEENKUlvE_clEvENKUlvE_clEvENKUlN3c107complexIdEEE_clES7_@rel32@hi+12
	s_swappc_b64 s[30:31], s[0:1]
	v_mov_b32_e32 v35, 0
	s_and_b32 s8, s84, 0xff
	s_cmp_lt_i32 s8, 11
	v_lshl_add_u64 v[4:5], s[36:37], 0, v[34:35]
	s_cbranch_scc1 .LBB56_308
; %bb.301:
	s_and_b32 s9, 0xffff, s8
	s_cmp_gt_i32 s9, 25
	s_cbranch_scc0 .LBB56_310
; %bb.302:
	s_cmp_gt_i32 s9, 28
	s_cbranch_scc0 .LBB56_312
; %bb.303:
	;; [unrolled: 3-line block ×4, first 2 shown]
	s_mov_b64 s[4:5], 0
	s_mov_b64 s[2:3], -1
	s_cmp_eq_u32 s9, 46
	s_mov_b64 s[0:1], 0
	s_cbranch_scc0 .LBB56_324
; %bb.306:
	v_cvt_f32_f64_e32 v7, v[2:3]
	s_movk_i32 s0, 0x7fff
	v_bfe_u32 v9, v7, 16, 1
	v_cvt_f32_f64_e32 v6, v[0:1]
	v_add3_u32 v9, v7, v9, s0
	v_bfe_u32 v8, v6, 16, 1
	v_and_b32_e32 v9, 0xffff0000, v9
	v_mov_b32_e32 v10, 0x7fc00000
	v_cmp_o_f32_e32 vcc, v7, v7
	v_add3_u32 v8, v6, v8, s0
	s_mov_b64 s[0:1], -1
	v_cndmask_b32_e32 v7, v10, v9, vcc
	v_cmp_o_f32_e32 vcc, v6, v6
	v_mov_b32_e32 v6, 0x7fc0
	s_mov_b64 s[2:3], 0
	v_cndmask_b32_sdwa v6, v6, v8, vcc dst_sel:DWORD dst_unused:UNUSED_PAD src0_sel:DWORD src1_sel:WORD_1
	v_or_b32_e32 v6, v7, v6
	global_store_dword v[4:5], v6, off
	s_branch .LBB56_324
.LBB56_307:
	s_mov_b64 s[2:3], -1
	s_mov_b64 s[0:1], 0
	s_mov_b64 s[74:75], s[70:71]
                                        ; implicit-def: $vgpr2_vgpr3
	s_branch .LBB56_465
.LBB56_308:
	s_mov_b64 s[4:5], -1
	s_mov_b64 s[0:1], 0
	s_mov_b64 s[2:3], s[68:69]
	s_branch .LBB56_393
.LBB56_309:
	s_mov_b64 s[2:3], -1
	s_mov_b64 s[0:1], 0
	s_mov_b64 s[74:75], s[70:71]
                                        ; implicit-def: $vgpr2_vgpr3
	s_branch .LBB56_444
.LBB56_310:
	s_mov_b64 s[4:5], -1
	s_mov_b64 s[0:1], 0
	s_mov_b64 s[2:3], s[68:69]
	s_branch .LBB56_351
.LBB56_311:
	s_mov_b64 s[2:3], -1
	s_mov_b64 s[0:1], 0
	s_mov_b64 s[74:75], s[70:71]
                                        ; implicit-def: $vgpr2_vgpr3
	s_branch .LBB56_438
.LBB56_312:
	s_mov_b64 s[4:5], -1
	s_mov_b64 s[0:1], 0
	s_mov_b64 s[2:3], s[68:69]
	s_branch .LBB56_334
.LBB56_313:
	s_andn2_saveexec_b64 s[6:7], s[6:7]
	s_cbranch_execz .LBB56_69
.LBB56_314:
	s_mov_b32 s10, 0x46000000
	v_add_f32_e64 v7, |v6|, s10
	v_and_b32_e32 v7, 0xff, v7
	v_cmp_ne_u32_e32 vcc, 0, v7
	s_andn2_b64 s[4:5], s[4:5], exec
	s_and_b64 s[10:11], vcc, exec
	s_or_b64 s[4:5], s[4:5], s[10:11]
	s_or_b64 exec, exec, s[6:7]
	v_mov_b32_e32 v8, 0
	s_and_saveexec_b64 s[6:7], s[4:5]
	s_cbranch_execnz .LBB56_70
	s_branch .LBB56_71
.LBB56_315:
	s_mov_b64 s[2:3], -1
	s_mov_b64 s[0:1], 0
	s_mov_b64 s[74:75], s[70:71]
                                        ; implicit-def: $vgpr2_vgpr3
	s_branch .LBB56_320
.LBB56_316:
	s_mov_b64 s[4:5], -1
	s_mov_b64 s[0:1], 0
	s_mov_b64 s[2:3], s[68:69]
	s_branch .LBB56_330
.LBB56_317:
	s_andn2_saveexec_b64 s[6:7], s[6:7]
	s_cbranch_execz .LBB56_82
.LBB56_318:
	s_mov_b32 s10, 0x42800000
	v_add_f32_e64 v7, |v6|, s10
	v_and_b32_e32 v7, 0xff, v7
	v_cmp_ne_u32_e32 vcc, 0, v7
	s_andn2_b64 s[4:5], s[4:5], exec
	s_and_b64 s[10:11], vcc, exec
	s_or_b64 s[4:5], s[4:5], s[10:11]
	s_or_b64 exec, exec, s[6:7]
	v_mov_b32_e32 v8, 0
	s_and_saveexec_b64 s[6:7], s[4:5]
	s_cbranch_execnz .LBB56_83
	s_branch .LBB56_84
.LBB56_319:
	s_mov_b64 s[74:75], -1
                                        ; implicit-def: $vgpr2_vgpr3
	s_mov_b64 s[0:1], 0
.LBB56_320:
	s_and_b64 vcc, exec, s[2:3]
	s_cbranch_vccz .LBB56_437
; %bb.321:
	s_cmp_eq_u32 s6, 44
	s_cbranch_scc0 .LBB56_435
; %bb.322:
	global_load_ubyte v2, v[4:5], off
	s_movk_i32 s2, 0xff
	v_bfrev_b32_e32 v3, 4
	v_mov_b32_e32 v6, 0x7ff80000
	v_bfrev_b32_e32 v7, 28
	s_mov_b64 s[0:1], -1
	s_mov_b64 s[74:75], 0
	s_waitcnt vmcnt(0)
	v_lshlrev_b32_e32 v0, 23, v2
	v_cvt_f64_f32_e32 v[0:1], v0
	v_cmp_ne_u32_e32 vcc, s2, v2
	s_nop 1
	v_cndmask_b32_e32 v0, v3, v0, vcc
	v_cndmask_b32_e32 v1, v6, v1, vcc
	v_cmp_ne_u32_e32 vcc, 0, v2
	s_nop 1
	v_cndmask_b32_e32 v1, v7, v1, vcc
	v_cndmask_b32_e32 v0, 0, v0, vcc
	s_branch .LBB56_436
.LBB56_323:
	s_mov_b64 s[4:5], -1
	s_mov_b64 s[0:1], 0
	s_mov_b64 s[2:3], s[68:69]
.LBB56_324:
	s_and_b64 vcc, exec, s[4:5]
	s_cbranch_vccz .LBB56_329
; %bb.325:
	s_cmp_eq_u32 s9, 44
	s_mov_b64 s[2:3], -1
	s_cbranch_scc0 .LBB56_329
; %bb.326:
	v_cvt_f32_f64_e32 v6, v[0:1]
	v_bfe_u32 v7, v6, 23, 8
	s_movk_i32 s0, 0xff
	v_cmp_ne_u32_e32 vcc, s0, v7
	v_mov_b32_e32 v8, 0xff
	s_and_saveexec_b64 s[2:3], vcc
; %bb.327:
	s_mov_b32 s0, 0x3fffff
	v_lshrrev_b32_e32 v8, 23, v6
	v_and_b32_e32 v9, 0x400000, v6
	v_and_or_b32 v6, v6, s0, v7
	v_cmp_ne_u32_e32 vcc, 0, v9
	v_cmp_ne_u32_e64 s[0:1], 0, v6
	s_and_b64 s[0:1], vcc, s[0:1]
	s_nop 0
	v_cndmask_b32_e64 v6, 0, 1, s[0:1]
	v_add_u32_e32 v8, v8, v6
; %bb.328:
	s_or_b64 exec, exec, s[2:3]
	s_mov_b64 s[0:1], -1
	s_mov_b64 s[2:3], 0
	global_store_byte v[4:5], v8, off
.LBB56_329:
	s_mov_b64 s[4:5], 0
.LBB56_330:
	s_and_b64 vcc, exec, s[4:5]
	s_cbranch_vccz .LBB56_333
; %bb.331:
	s_cmp_eq_u32 s9, 29
	s_mov_b64 s[2:3], -1
	s_cbranch_scc0 .LBB56_333
; %bb.332:
	v_trunc_f64_e32 v[6:7], v[0:1]
	s_movk_i32 s0, 0xffe0
	v_ldexp_f64 v[8:9], v[6:7], s0
	v_floor_f64_e32 v[8:9], v[8:9]
	v_fmac_f64_e32 v[6:7], 0xc1f00000, v[8:9]
	v_cvt_u32_f64_e32 v11, v[8:9]
	v_cvt_u32_f64_e32 v10, v[6:7]
	global_store_dwordx2 v[4:5], v[10:11], off
	s_mov_b64 s[0:1], -1
	s_mov_b64 s[2:3], 0
.LBB56_333:
	s_mov_b64 s[4:5], 0
.LBB56_334:
	s_and_b64 vcc, exec, s[4:5]
	s_cbranch_vccz .LBB56_350
; %bb.335:
	s_cmp_lt_i32 s9, 27
	s_mov_b64 s[0:1], -1
	s_cbranch_scc1 .LBB56_341
; %bb.336:
	s_cmp_gt_i32 s9, 27
	v_cvt_u32_f64_e32 v6, v[0:1]
	s_cbranch_scc0 .LBB56_338
; %bb.337:
	s_mov_b64 s[0:1], 0
	global_store_dword v[4:5], v6, off
.LBB56_338:
	s_andn2_b64 vcc, exec, s[0:1]
	s_cbranch_vccnz .LBB56_340
; %bb.339:
	global_store_short v[4:5], v6, off
.LBB56_340:
	s_mov_b64 s[0:1], 0
.LBB56_341:
	s_andn2_b64 vcc, exec, s[0:1]
	s_cbranch_vccnz .LBB56_349
; %bb.342:
	v_cvt_f32_f64_e32 v6, v[0:1]
	v_and_b32_e32 v7, 0x7fffffff, v6
	s_mov_b32 s0, 0x43800000
	v_cmp_gt_u32_e32 vcc, s0, v7
	v_mov_b32_e32 v8, 0x80
	s_and_saveexec_b64 s[0:1], vcc
	s_cbranch_execz .LBB56_348
; %bb.343:
	s_mov_b32 s4, 0x3bffffff
	v_cmp_lt_u32_e32 vcc, s4, v7
	s_mov_b64 s[4:5], 0
                                        ; implicit-def: $vgpr7
	s_and_saveexec_b64 s[6:7], vcc
	s_xor_b64 s[6:7], exec, s[6:7]
	s_cbranch_execz .LBB56_582
; %bb.344:
	v_bfe_u32 v7, v6, 20, 1
	s_mov_b32 s10, 0x487ffff
	v_add3_u32 v7, v6, v7, s10
	s_mov_b64 s[4:5], exec
	v_lshrrev_b32_e32 v7, 20, v7
	s_andn2_saveexec_b64 s[6:7], s[6:7]
	s_cbranch_execnz .LBB56_583
.LBB56_345:
	s_or_b64 exec, exec, s[6:7]
	v_mov_b32_e32 v8, 0
	s_and_saveexec_b64 s[6:7], s[4:5]
.LBB56_346:
	v_lshrrev_b32_e32 v6, 24, v6
	s_movk_i32 s4, 0x80
	v_and_or_b32 v8, v6, s4, v7
.LBB56_347:
	s_or_b64 exec, exec, s[6:7]
.LBB56_348:
	s_or_b64 exec, exec, s[0:1]
	global_store_byte v[4:5], v8, off
.LBB56_349:
	s_mov_b64 s[0:1], -1
.LBB56_350:
	s_mov_b64 s[4:5], 0
.LBB56_351:
	s_and_b64 vcc, exec, s[4:5]
	s_cbranch_vccz .LBB56_392
; %bb.352:
	s_cmp_gt_i32 s9, 22
	s_mov_b64 s[4:5], -1
	s_cbranch_scc0 .LBB56_384
; %bb.353:
	s_cmp_lt_i32 s9, 24
	s_mov_b64 s[0:1], -1
	s_cbranch_scc1 .LBB56_373
; %bb.354:
	s_cmp_gt_i32 s9, 24
	s_cbranch_scc0 .LBB56_362
; %bb.355:
	v_cvt_f32_f64_e32 v6, v[0:1]
	v_and_b32_e32 v7, 0x7fffffff, v6
	s_mov_b32 s0, 0x47800000
	v_cmp_gt_u32_e32 vcc, s0, v7
	v_mov_b32_e32 v8, 0x80
	s_and_saveexec_b64 s[0:1], vcc
	s_cbranch_execz .LBB56_361
; %bb.356:
	s_mov_b32 s4, 0x37ffffff
	v_cmp_lt_u32_e32 vcc, s4, v7
	s_mov_b64 s[4:5], 0
                                        ; implicit-def: $vgpr7
	s_and_saveexec_b64 s[6:7], vcc
	s_xor_b64 s[6:7], exec, s[6:7]
	s_cbranch_execz .LBB56_585
; %bb.357:
	v_bfe_u32 v7, v6, 21, 1
	s_mov_b32 s10, 0x88fffff
	v_add3_u32 v7, v6, v7, s10
	s_mov_b64 s[4:5], exec
	v_lshrrev_b32_e32 v7, 21, v7
	s_andn2_saveexec_b64 s[6:7], s[6:7]
	s_cbranch_execnz .LBB56_586
.LBB56_358:
	s_or_b64 exec, exec, s[6:7]
	v_mov_b32_e32 v8, 0
	s_and_saveexec_b64 s[6:7], s[4:5]
.LBB56_359:
	v_lshrrev_b32_e32 v6, 24, v6
	s_movk_i32 s4, 0x80
	v_and_or_b32 v8, v6, s4, v7
.LBB56_360:
	s_or_b64 exec, exec, s[6:7]
.LBB56_361:
	s_or_b64 exec, exec, s[0:1]
	s_mov_b64 s[0:1], 0
	global_store_byte v[4:5], v8, off
.LBB56_362:
	s_and_b64 vcc, exec, s[0:1]
	s_cbranch_vccz .LBB56_372
; %bb.363:
	v_cvt_f32_f64_e32 v6, v[0:1]
	v_and_b32_e32 v8, 0x7fffffff, v6
	s_mov_b32 s0, 0x43f00000
	v_cmp_gt_u32_e32 vcc, s0, v8
                                        ; implicit-def: $vgpr7
	s_and_saveexec_b64 s[0:1], vcc
	s_xor_b64 s[0:1], exec, s[0:1]
	s_cbranch_execz .LBB56_369
; %bb.364:
	s_mov_b32 s4, 0x3c7fffff
	v_cmp_lt_u32_e32 vcc, s4, v8
                                        ; implicit-def: $vgpr7
	s_and_saveexec_b64 s[4:5], vcc
	s_xor_b64 s[4:5], exec, s[4:5]
; %bb.365:
	v_bfe_u32 v7, v6, 20, 1
	s_mov_b32 s6, 0x407ffff
	v_add3_u32 v7, v6, v7, s6
	v_lshrrev_b32_e32 v8, 20, v7
	v_and_b32_e32 v7, 0xff00000, v7
	s_mov_b32 s6, 0x7f00000
	v_mov_b32_e32 v9, 0x7e
	v_cmp_ne_u32_e32 vcc, s6, v7
	s_nop 1
	v_cndmask_b32_e32 v7, v9, v8, vcc
; %bb.366:
	s_andn2_saveexec_b64 s[4:5], s[4:5]
; %bb.367:
	s_mov_b32 s6, 0x46800000
	v_add_f32_e64 v7, |v6|, s6
; %bb.368:
	s_or_b64 exec, exec, s[4:5]
                                        ; implicit-def: $vgpr8
.LBB56_369:
	s_andn2_saveexec_b64 s[0:1], s[0:1]
; %bb.370:
	s_mov_b32 s4, 0x7f800000
	v_mov_b32_e32 v7, 0x7e
	v_mov_b32_e32 v9, 0x7f
	v_cmp_lt_u32_e32 vcc, s4, v8
	s_nop 1
	v_cndmask_b32_e32 v7, v7, v9, vcc
; %bb.371:
	s_or_b64 exec, exec, s[0:1]
	v_lshrrev_b32_e32 v6, 24, v6
	s_movk_i32 s0, 0x80
	v_and_or_b32 v6, v6, s0, v7
	global_store_byte v[4:5], v6, off
.LBB56_372:
	s_mov_b64 s[0:1], 0
.LBB56_373:
	s_andn2_b64 vcc, exec, s[0:1]
	s_cbranch_vccnz .LBB56_383
; %bb.374:
	v_cvt_f32_f64_e32 v6, v[0:1]
	v_and_b32_e32 v8, 0x7fffffff, v6
	s_mov_b32 s0, 0x47800000
	v_cmp_gt_u32_e32 vcc, s0, v8
                                        ; implicit-def: $vgpr7
	s_and_saveexec_b64 s[0:1], vcc
	s_xor_b64 s[0:1], exec, s[0:1]
	s_cbranch_execz .LBB56_380
; %bb.375:
	s_mov_b32 s4, 0x387fffff
	v_cmp_lt_u32_e32 vcc, s4, v8
                                        ; implicit-def: $vgpr7
	s_and_saveexec_b64 s[4:5], vcc
	s_xor_b64 s[4:5], exec, s[4:5]
; %bb.376:
	v_bfe_u32 v7, v6, 21, 1
	s_mov_b32 s6, 0x80fffff
	v_add3_u32 v7, v6, v7, s6
	v_lshrrev_b32_e32 v7, 21, v7
; %bb.377:
	s_andn2_saveexec_b64 s[4:5], s[4:5]
; %bb.378:
	s_mov_b32 s6, 0x43000000
	v_add_f32_e64 v7, |v6|, s6
; %bb.379:
	s_or_b64 exec, exec, s[4:5]
                                        ; implicit-def: $vgpr8
.LBB56_380:
	s_andn2_saveexec_b64 s[0:1], s[0:1]
; %bb.381:
	s_mov_b32 s4, 0x7f800000
	v_mov_b32_e32 v7, 0x7c
	v_mov_b32_e32 v9, 0x7f
	v_cmp_lt_u32_e32 vcc, s4, v8
	s_nop 1
	v_cndmask_b32_e32 v7, v7, v9, vcc
; %bb.382:
	s_or_b64 exec, exec, s[0:1]
	v_lshrrev_b32_e32 v6, 24, v6
	s_movk_i32 s0, 0x80
	v_and_or_b32 v6, v6, s0, v7
	global_store_byte v[4:5], v6, off
.LBB56_383:
	s_mov_b64 s[4:5], 0
	s_mov_b64 s[0:1], -1
.LBB56_384:
	s_andn2_b64 vcc, exec, s[4:5]
	s_cbranch_vccnz .LBB56_392
; %bb.385:
	s_cmp_gt_i32 s9, 14
	s_mov_b64 s[4:5], -1
	s_cbranch_scc0 .LBB56_389
; %bb.386:
	s_cmp_eq_u32 s9, 15
	s_mov_b64 s[2:3], -1
	s_cbranch_scc0 .LBB56_388
; %bb.387:
	v_cvt_f32_f64_e32 v6, v[0:1]
	v_bfe_u32 v7, v6, 16, 1
	s_movk_i32 s0, 0x7fff
	v_add3_u32 v7, v6, v7, s0
	v_cmp_o_f32_e32 vcc, v6, v6
	v_mov_b32_e32 v6, 0x7fc0
	s_mov_b64 s[0:1], -1
	v_cndmask_b32_sdwa v6, v6, v7, vcc dst_sel:DWORD dst_unused:UNUSED_PAD src0_sel:DWORD src1_sel:WORD_1
	global_store_short v[4:5], v6, off
	s_mov_b64 s[2:3], 0
.LBB56_388:
	s_mov_b64 s[4:5], 0
.LBB56_389:
	s_and_b64 vcc, exec, s[4:5]
	s_cbranch_vccz .LBB56_392
; %bb.390:
	s_cmp_eq_u32 s9, 11
	s_mov_b64 s[2:3], -1
	s_cbranch_scc0 .LBB56_392
; %bb.391:
	v_cmp_neq_f64_e32 vcc, 0, v[0:1]
	v_cmp_neq_f64_e64 s[0:1], 0, v[2:3]
	s_or_b64 s[0:1], vcc, s[0:1]
	s_mov_b64 s[2:3], 0
	v_cndmask_b32_e64 v6, 0, 1, s[0:1]
	s_mov_b64 s[0:1], -1
	global_store_byte v[4:5], v6, off
.LBB56_392:
	s_mov_b64 s[4:5], 0
.LBB56_393:
	s_and_b64 vcc, exec, s[4:5]
	s_cbranch_vccz .LBB56_432
; %bb.394:
	s_and_b32 s4, 0xffff, s8
	s_cmp_lt_i32 s4, 5
	s_mov_b64 s[0:1], -1
	s_cbranch_scc1 .LBB56_415
; %bb.395:
	s_cmp_lt_i32 s4, 8
	s_cbranch_scc1 .LBB56_405
; %bb.396:
	s_cmp_lt_i32 s4, 9
	s_cbranch_scc1 .LBB56_402
; %bb.397:
	s_cmp_gt_i32 s4, 9
	s_cbranch_scc0 .LBB56_399
; %bb.398:
	s_mov_b64 s[0:1], 0
	global_store_dwordx4 v[4:5], v[0:3], off
.LBB56_399:
	s_andn2_b64 vcc, exec, s[0:1]
	s_cbranch_vccnz .LBB56_401
; %bb.400:
	v_cvt_f32_f64_e32 v7, v[2:3]
	v_cvt_f32_f64_e32 v6, v[0:1]
	global_store_dwordx2 v[4:5], v[6:7], off
.LBB56_401:
	s_mov_b64 s[0:1], 0
.LBB56_402:
	s_andn2_b64 vcc, exec, s[0:1]
	s_cbranch_vccnz .LBB56_404
; %bb.403:
	s_movk_i32 s0, 0x1ff
	v_and_or_b32 v6, v1, s0, v0
	v_cmp_ne_u32_e32 vcc, 0, v6
	v_lshrrev_b32_e32 v7, 8, v1
	s_movk_i32 s1, 0xffe
	v_cndmask_b32_e64 v6, 0, 1, vcc
	v_bfe_u32 v8, v1, 20, 11
	v_and_or_b32 v6, v7, s1, v6
	v_sub_u32_e32 v9, 0x3f1, v8
	v_or_b32_e32 v7, 0x1000, v6
	v_med3_i32 v9, v9, 0, 13
	v_lshrrev_b32_e32 v10, v9, v7
	v_lshlrev_b32_e32 v9, v9, v10
	v_cmp_ne_u32_e32 vcc, v9, v7
	v_add_u32_e32 v8, 0xfffffc10, v8
	v_lshl_or_b32 v9, v8, 12, v6
	v_cndmask_b32_e64 v7, 0, 1, vcc
	v_or_b32_e32 v7, v10, v7
	v_cmp_gt_i32_e32 vcc, 1, v8
	s_movk_i32 s5, 0x40f
	v_and_or_b32 v2, v3, s0, v2
	v_cndmask_b32_e32 v7, v9, v7, vcc
	v_and_b32_e32 v9, 7, v7
	v_cmp_lt_i32_e32 vcc, 5, v9
	v_lshrrev_b32_e32 v7, 2, v7
	v_bfe_u32 v11, v3, 20, 11
	v_cndmask_b32_e64 v10, 0, 1, vcc
	v_cmp_eq_u32_e32 vcc, 3, v9
	v_sub_u32_e32 v12, 0x3f1, v11
	v_med3_i32 v12, v12, 0, 13
	v_cndmask_b32_e64 v9, 0, 1, vcc
	v_or_b32_e32 v9, v9, v10
	v_add_u32_e32 v7, v7, v9
	v_mov_b32_e32 v9, 0x7c00
	v_cmp_gt_i32_e32 vcc, 31, v8
	v_mov_b32_e32 v10, 0x7e00
	v_add_u32_e32 v11, 0xfffffc10, v11
	v_cndmask_b32_e32 v7, v9, v7, vcc
	v_cmp_ne_u32_e32 vcc, 0, v6
	s_mov_b32 s6, 0x8000
	s_mov_b32 s0, 0xffff
	v_cndmask_b32_e32 v6, v9, v10, vcc
	v_cmp_eq_u32_e32 vcc, s5, v8
	v_lshrrev_b32_e32 v8, 8, v3
	v_lshrrev_b32_e32 v3, 16, v3
	v_cndmask_b32_e32 v6, v7, v6, vcc
	v_cmp_ne_u32_e32 vcc, 0, v2
	v_and_b32_sdwa v7, v1, s6 dst_sel:DWORD dst_unused:UNUSED_PAD src0_sel:WORD_1 src1_sel:DWORD
	s_nop 0
	v_cndmask_b32_e64 v2, 0, 1, vcc
	v_and_or_b32 v2, v8, s1, v2
	v_or_b32_e32 v8, 0x1000, v2
	v_lshrrev_b32_e32 v13, v12, v8
	v_lshlrev_b32_e32 v12, v12, v13
	v_cmp_ne_u32_e32 vcc, v12, v8
	v_lshl_or_b32 v12, v11, 12, v2
	s_nop 0
	v_cndmask_b32_e64 v8, 0, 1, vcc
	v_or_b32_e32 v8, v13, v8
	v_cmp_gt_i32_e32 vcc, 1, v11
	s_nop 1
	v_cndmask_b32_e32 v8, v12, v8, vcc
	v_and_b32_e32 v12, 7, v8
	v_cmp_lt_i32_e32 vcc, 5, v12
	v_lshrrev_b32_e32 v8, 2, v8
	s_nop 0
	v_cndmask_b32_e64 v13, 0, 1, vcc
	v_cmp_eq_u32_e32 vcc, 3, v12
	s_nop 1
	v_cndmask_b32_e64 v12, 0, 1, vcc
	v_or_b32_e32 v12, v12, v13
	v_add_u32_e32 v8, v8, v12
	v_cmp_gt_i32_e32 vcc, 31, v11
	s_nop 1
	v_cndmask_b32_e32 v8, v9, v8, vcc
	v_cmp_ne_u32_e32 vcc, 0, v2
	s_nop 1
	v_cndmask_b32_e32 v2, v9, v10, vcc
	v_cmp_eq_u32_e32 vcc, s5, v11
	s_nop 1
	v_cndmask_b32_e32 v2, v8, v2, vcc
	v_and_or_b32 v2, v3, s6, v2
	v_bitop3_b32 v3, v7, s0, v6 bitop3:0xc8
	v_lshl_or_b32 v2, v2, 16, v3
	global_store_dword v[4:5], v2, off
.LBB56_404:
	s_mov_b64 s[0:1], 0
.LBB56_405:
	s_andn2_b64 vcc, exec, s[0:1]
	s_cbranch_vccnz .LBB56_414
; %bb.406:
	s_cmp_lt_i32 s4, 6
	s_mov_b64 s[0:1], -1
	s_cbranch_scc1 .LBB56_412
; %bb.407:
	s_cmp_gt_i32 s4, 6
	s_cbranch_scc0 .LBB56_409
; %bb.408:
	s_mov_b64 s[0:1], 0
	global_store_dwordx2 v[4:5], v[0:1], off
.LBB56_409:
	s_andn2_b64 vcc, exec, s[0:1]
	s_cbranch_vccnz .LBB56_411
; %bb.410:
	v_cvt_f32_f64_e32 v2, v[0:1]
	global_store_dword v[4:5], v2, off
.LBB56_411:
	s_mov_b64 s[0:1], 0
.LBB56_412:
	s_andn2_b64 vcc, exec, s[0:1]
	s_cbranch_vccnz .LBB56_414
; %bb.413:
	s_movk_i32 s0, 0x1ff
	v_and_or_b32 v2, v1, s0, v0
	v_cmp_ne_u32_e32 vcc, 0, v2
	v_lshrrev_b32_e32 v3, 8, v1
	s_movk_i32 s0, 0xffe
	v_cndmask_b32_e64 v2, 0, 1, vcc
	v_bfe_u32 v6, v1, 20, 11
	v_and_or_b32 v2, v3, s0, v2
	v_sub_u32_e32 v7, 0x3f1, v6
	v_or_b32_e32 v3, 0x1000, v2
	v_med3_i32 v7, v7, 0, 13
	v_lshrrev_b32_e32 v8, v7, v3
	v_lshlrev_b32_e32 v7, v7, v8
	v_cmp_ne_u32_e32 vcc, v7, v3
	v_add_u32_e32 v6, 0xfffffc10, v6
	v_lshl_or_b32 v7, v6, 12, v2
	v_cndmask_b32_e64 v3, 0, 1, vcc
	v_or_b32_e32 v3, v8, v3
	v_cmp_gt_i32_e32 vcc, 1, v6
	s_movk_i32 s0, 0x40f
	s_nop 0
	v_cndmask_b32_e32 v3, v7, v3, vcc
	v_and_b32_e32 v7, 7, v3
	v_cmp_lt_i32_e32 vcc, 5, v7
	v_lshrrev_b32_e32 v3, 2, v3
	s_nop 0
	v_cndmask_b32_e64 v8, 0, 1, vcc
	v_cmp_eq_u32_e32 vcc, 3, v7
	s_nop 1
	v_cndmask_b32_e64 v7, 0, 1, vcc
	v_or_b32_e32 v7, v7, v8
	v_add_u32_e32 v3, v3, v7
	v_mov_b32_e32 v7, 0x7c00
	v_cmp_gt_i32_e32 vcc, 31, v6
	v_mov_b32_e32 v8, 0x7e00
	s_nop 0
	v_cndmask_b32_e32 v3, v7, v3, vcc
	v_cmp_ne_u32_e32 vcc, 0, v2
	s_nop 1
	v_cndmask_b32_e32 v2, v7, v8, vcc
	v_cmp_eq_u32_e32 vcc, s0, v6
	s_mov_b32 s0, 0x8000
	s_nop 0
	v_cndmask_b32_e32 v2, v3, v2, vcc
	v_lshrrev_b32_e32 v3, 16, v1
	v_and_or_b32 v2, v3, s0, v2
	global_store_short v[4:5], v2, off
.LBB56_414:
	s_mov_b64 s[0:1], 0
.LBB56_415:
	s_andn2_b64 vcc, exec, s[0:1]
	s_cbranch_vccnz .LBB56_431
; %bb.416:
	s_cmp_lt_i32 s4, 2
	s_mov_b64 s[0:1], -1
	s_cbranch_scc1 .LBB56_426
; %bb.417:
	s_cmp_lt_i32 s4, 3
	s_cbranch_scc1 .LBB56_423
; %bb.418:
	s_cmp_gt_i32 s4, 3
	s_cbranch_scc0 .LBB56_420
; %bb.419:
	v_trunc_f64_e32 v[2:3], v[0:1]
	s_movk_i32 s0, 0xffe0
	v_ldexp_f64 v[6:7], v[2:3], s0
	v_floor_f64_e32 v[6:7], v[6:7]
	v_fmac_f64_e32 v[2:3], 0xc1f00000, v[6:7]
	v_cvt_i32_f64_e32 v9, v[6:7]
	v_cvt_u32_f64_e32 v8, v[2:3]
	s_mov_b64 s[0:1], 0
	global_store_dwordx2 v[4:5], v[8:9], off
.LBB56_420:
	s_andn2_b64 vcc, exec, s[0:1]
	s_cbranch_vccnz .LBB56_422
; %bb.421:
	v_cvt_i32_f64_e32 v2, v[0:1]
	global_store_dword v[4:5], v2, off
.LBB56_422:
	s_mov_b64 s[0:1], 0
.LBB56_423:
	s_andn2_b64 vcc, exec, s[0:1]
	s_cbranch_vccnz .LBB56_425
; %bb.424:
	v_cvt_i32_f64_e32 v2, v[0:1]
	global_store_short v[4:5], v2, off
.LBB56_425:
	s_mov_b64 s[0:1], 0
.LBB56_426:
	s_andn2_b64 vcc, exec, s[0:1]
	s_cbranch_vccnz .LBB56_431
; %bb.427:
	s_cmp_gt_i32 s4, 0
	s_mov_b64 s[0:1], -1
	s_cbranch_scc0 .LBB56_429
; %bb.428:
	v_cvt_i32_f64_e32 v2, v[0:1]
	s_mov_b64 s[0:1], 0
	global_store_byte v[4:5], v2, off
.LBB56_429:
	s_andn2_b64 vcc, exec, s[0:1]
	s_cbranch_vccnz .LBB56_431
; %bb.430:
	v_trunc_f64_e32 v[0:1], v[0:1]
	s_movk_i32 s0, 0xffe0
	v_ldexp_f64 v[2:3], v[0:1], s0
	v_floor_f64_e32 v[2:3], v[2:3]
	v_fmac_f64_e32 v[0:1], 0xc1f00000, v[2:3]
	v_cvt_u32_f64_e32 v0, v[0:1]
	global_store_byte v[4:5], v0, off
.LBB56_431:
	s_mov_b64 s[0:1], -1
.LBB56_432:
	s_andn2_b64 vcc, exec, s[0:1]
	s_cbranch_vccnz .LBB56_434
; %bb.433:
	v_add_u32_e32 v36, 0x80, v36
	s_mov_b64 s[0:1], -1
	s_branch .LBB56_552
.LBB56_434:
	s_mov_b64 s[0:1], 0
	s_branch .LBB56_551
.LBB56_435:
	s_mov_b64 s[74:75], -1
                                        ; implicit-def: $vgpr0_vgpr1
.LBB56_436:
	v_mov_b64_e32 v[2:3], 0
.LBB56_437:
	s_mov_b64 s[2:3], 0
.LBB56_438:
	s_and_b64 vcc, exec, s[2:3]
	s_cbranch_vccz .LBB56_443
; %bb.439:
	s_cmp_eq_u32 s6, 29
	s_cbranch_scc0 .LBB56_441
; %bb.440:
	global_load_dwordx2 v[0:1], v[4:5], off
	s_mov_b64 s[0:1], -1
	s_mov_b64 s[74:75], 0
	s_waitcnt vmcnt(0)
	v_cvt_f64_u32_e32 v[2:3], v1
	v_cvt_f64_u32_e32 v[0:1], v0
	v_ldexp_f64 v[2:3], v[2:3], 32
	v_add_f64 v[0:1], v[2:3], v[0:1]
	s_branch .LBB56_442
.LBB56_441:
	s_mov_b64 s[74:75], -1
                                        ; implicit-def: $vgpr0_vgpr1
.LBB56_442:
	v_mov_b64_e32 v[2:3], 0
.LBB56_443:
	s_mov_b64 s[2:3], 0
.LBB56_444:
	s_and_b64 vcc, exec, s[2:3]
	s_cbranch_vccz .LBB56_464
; %bb.445:
	s_cmp_lt_i32 s6, 27
	s_cbranch_scc1 .LBB56_448
; %bb.446:
	s_cmp_gt_i32 s6, 27
	s_cbranch_scc0 .LBB56_449
; %bb.447:
	global_load_dword v0, v[4:5], off
	s_mov_b64 s[0:1], 0
	s_waitcnt vmcnt(0)
	v_cvt_f64_u32_e32 v[0:1], v0
	s_branch .LBB56_450
.LBB56_448:
	s_mov_b64 s[0:1], -1
                                        ; implicit-def: $vgpr0_vgpr1
	s_branch .LBB56_453
.LBB56_449:
	s_mov_b64 s[0:1], -1
                                        ; implicit-def: $vgpr0_vgpr1
.LBB56_450:
	s_andn2_b64 vcc, exec, s[0:1]
	s_cbranch_vccnz .LBB56_452
; %bb.451:
	global_load_ushort v0, v[4:5], off
	s_waitcnt vmcnt(0)
	v_cvt_f64_u32_e32 v[0:1], v0
.LBB56_452:
	s_mov_b64 s[0:1], 0
.LBB56_453:
	s_andn2_b64 vcc, exec, s[0:1]
	s_cbranch_vccnz .LBB56_463
; %bb.454:
	global_load_ubyte v2, v[4:5], off
	s_movk_i32 s0, 0x7f
	s_waitcnt vmcnt(0)
	v_cmp_lt_i16_e32 vcc, s0, v2
	s_mov_b64 s[0:1], 0
	s_and_saveexec_b64 s[2:3], vcc
	s_xor_b64 s[2:3], exec, s[2:3]
	s_cbranch_execz .LBB56_458
; %bb.455:
	s_movk_i32 s0, 0x80
	v_cmp_eq_u16_e32 vcc, s0, v2
	s_mov_b64 s[0:1], -1
	s_and_saveexec_b64 s[4:5], vcc
; %bb.456:
	s_xor_b64 s[0:1], exec, -1
; %bb.457:
	s_or_b64 exec, exec, s[4:5]
	s_and_b64 s[0:1], s[0:1], exec
.LBB56_458:
	s_or_saveexec_b64 s[2:3], s[2:3]
	v_bfrev_b32_e32 v0, 4
	v_mov_b32_e32 v1, 0x7ff80000
	s_xor_b64 exec, exec, s[2:3]
; %bb.459:
	v_cmp_ne_u16_e32 vcc, 0, v2
	s_andn2_b64 s[0:1], s[0:1], exec
	s_and_b64 s[4:5], vcc, exec
	v_mov_b64_e32 v[0:1], 0
	s_or_b64 s[0:1], s[0:1], s[4:5]
; %bb.460:
	s_or_b64 exec, exec, s[2:3]
	s_and_saveexec_b64 s[2:3], s[0:1]
	s_cbranch_execz .LBB56_462
; %bb.461:
	v_and_b32_e32 v1, 0xffff, v2
	v_lshlrev_b32_e32 v0, 24, v2
	v_and_b32_e32 v2, 7, v1
	v_ffbh_u32_e32 v6, v2
	v_min_u32_e32 v6, 32, v6
	v_subrev_u32_e32 v7, 28, v6
	v_bfe_u32 v3, v1, 3, 4
	v_lshlrev_b32_e32 v1, v7, v1
	v_sub_u32_e32 v6, 29, v6
	v_and_b32_e32 v1, 7, v1
	v_cmp_eq_u32_e32 vcc, 0, v3
	v_and_b32_e32 v0, 0x80000000, v0
	s_nop 0
	v_cndmask_b32_e32 v3, v3, v6, vcc
	v_cndmask_b32_e32 v1, v2, v1, vcc
	v_mov_b32_e32 v2, 0x3b800000
	v_lshlrev_b32_e32 v1, 20, v1
	v_lshl_add_u32 v2, v3, 23, v2
	v_or3_b32 v0, v0, v2, v1
	v_cvt_f64_f32_e32 v[0:1], v0
.LBB56_462:
	s_or_b64 exec, exec, s[2:3]
.LBB56_463:
	s_mov_b64 s[0:1], -1
	v_mov_b64_e32 v[2:3], 0
.LBB56_464:
	s_mov_b64 s[2:3], 0
.LBB56_465:
	s_and_b64 vcc, exec, s[2:3]
	s_cbranch_vccz .LBB56_499
; %bb.466:
	s_cmp_gt_i32 s6, 22
	s_cbranch_scc0 .LBB56_478
; %bb.467:
	s_cmp_lt_i32 s6, 24
	s_cbranch_scc1 .LBB56_479
; %bb.468:
	s_cmp_gt_i32 s6, 24
	s_cbranch_scc0 .LBB56_480
; %bb.469:
	global_load_ubyte v2, v[4:5], off
	s_movk_i32 s0, 0x7f
	s_waitcnt vmcnt(0)
	v_cmp_lt_i16_e32 vcc, s0, v2
	s_mov_b64 s[0:1], 0
	s_and_saveexec_b64 s[2:3], vcc
	s_xor_b64 s[2:3], exec, s[2:3]
	s_cbranch_execz .LBB56_473
; %bb.470:
	s_movk_i32 s0, 0x80
	v_cmp_eq_u16_e32 vcc, s0, v2
	s_mov_b64 s[0:1], -1
	s_and_saveexec_b64 s[4:5], vcc
; %bb.471:
	s_xor_b64 s[0:1], exec, -1
; %bb.472:
	s_or_b64 exec, exec, s[4:5]
	s_and_b64 s[0:1], s[0:1], exec
.LBB56_473:
	s_or_saveexec_b64 s[2:3], s[2:3]
	v_bfrev_b32_e32 v0, 4
	v_mov_b32_e32 v1, 0x7ff80000
	s_xor_b64 exec, exec, s[2:3]
; %bb.474:
	v_cmp_ne_u16_e32 vcc, 0, v2
	s_andn2_b64 s[0:1], s[0:1], exec
	s_and_b64 s[4:5], vcc, exec
	v_mov_b64_e32 v[0:1], 0
	s_or_b64 s[0:1], s[0:1], s[4:5]
; %bb.475:
	s_or_b64 exec, exec, s[2:3]
	s_and_saveexec_b64 s[2:3], s[0:1]
	s_cbranch_execz .LBB56_477
; %bb.476:
	v_and_b32_e32 v1, 0xffff, v2
	v_lshlrev_b32_e32 v0, 24, v2
	v_and_b32_e32 v2, 3, v1
	v_ffbh_u32_e32 v6, v2
	v_min_u32_e32 v6, 32, v6
	v_subrev_u32_e32 v7, 29, v6
	v_bfe_u32 v3, v1, 2, 5
	v_lshlrev_b32_e32 v1, v7, v1
	v_sub_u32_e32 v6, 30, v6
	v_and_b32_e32 v1, 3, v1
	v_cmp_eq_u32_e32 vcc, 0, v3
	v_and_b32_e32 v0, 0x80000000, v0
	s_nop 0
	v_cndmask_b32_e32 v3, v3, v6, vcc
	v_cndmask_b32_e32 v1, v2, v1, vcc
	v_mov_b32_e32 v2, 0x37800000
	v_lshlrev_b32_e32 v1, 21, v1
	v_lshl_add_u32 v2, v3, 23, v2
	v_or3_b32 v0, v0, v2, v1
	v_cvt_f64_f32_e32 v[0:1], v0
.LBB56_477:
	s_or_b64 exec, exec, s[2:3]
	s_mov_b64 s[0:1], 0
	s_branch .LBB56_481
.LBB56_478:
	s_mov_b64 s[2:3], -1
                                        ; implicit-def: $vgpr0_vgpr1
	s_branch .LBB56_487
.LBB56_479:
	s_mov_b64 s[0:1], -1
                                        ; implicit-def: $vgpr0_vgpr1
	s_branch .LBB56_484
.LBB56_480:
	s_mov_b64 s[0:1], -1
                                        ; implicit-def: $vgpr0_vgpr1
.LBB56_481:
	s_and_b64 vcc, exec, s[0:1]
	s_cbranch_vccz .LBB56_483
; %bb.482:
	global_load_ubyte v0, v[4:5], off
	s_mov_b32 s0, 0x7f800000
	s_waitcnt vmcnt(0)
	v_lshlrev_b32_e32 v0, 24, v0
	v_and_b32_e32 v1, 0x7f000000, v0
	v_ffbh_u32_e32 v2, v1
	v_min_u32_e32 v2, 32, v2
	v_sub_u32_e64 v2, v2, 4 clamp
	v_lshlrev_b32_e32 v6, v2, v1
	v_lshlrev_b32_e32 v2, 23, v2
	v_lshrrev_b32_e32 v6, 4, v6
	v_add_u32_e32 v3, 0x1000000, v1
	v_sub_u32_e32 v2, v6, v2
	v_ashrrev_i32_e32 v3, 8, v3
	v_add_u32_e32 v2, 0x3c000000, v2
	v_and_or_b32 v2, v3, s0, v2
	v_cmp_ne_u32_e32 vcc, 0, v1
	s_brev_b32 s0, 1
	s_nop 0
	v_cndmask_b32_e32 v1, 0, v2, vcc
	v_and_or_b32 v0, v0, s0, v1
	v_cvt_f64_f32_e32 v[0:1], v0
.LBB56_483:
	s_mov_b64 s[0:1], 0
.LBB56_484:
	s_andn2_b64 vcc, exec, s[0:1]
	s_cbranch_vccnz .LBB56_486
; %bb.485:
	global_load_ubyte v0, v[4:5], off
	s_movk_i32 s0, 0x7f00
	s_brev_b32 s1, 16
	s_waitcnt vmcnt(0)
	v_lshlrev_b16_e32 v1, 8, v0
	v_lshlrev_b32_e32 v0, 25, v0
	v_lshrrev_b32_e32 v2, 4, v0
	v_and_or_b32 v3, v1, s0, 0.5
	v_or_b32_e32 v2, 0x70000000, v2
	v_add_f32_e32 v3, -0.5, v3
	v_mul_f32_e32 v2, 0x7800000, v2
	v_cmp_gt_u32_e32 vcc, s1, v0
	v_bfe_i32 v1, v1, 0, 16
	s_brev_b32 s0, 1
	v_cndmask_b32_e32 v0, v2, v3, vcc
	v_and_or_b32 v0, v1, s0, v0
	v_cvt_f64_f32_e32 v[0:1], v0
.LBB56_486:
	s_mov_b64 s[2:3], 0
	s_mov_b64 s[0:1], -1
.LBB56_487:
	s_andn2_b64 vcc, exec, s[2:3]
	s_cbranch_vccnz .LBB56_498
; %bb.488:
	s_cmp_gt_i32 s6, 14
	s_cbranch_scc0 .LBB56_491
; %bb.489:
	s_cmp_eq_u32 s6, 15
	s_cbranch_scc0 .LBB56_492
; %bb.490:
	global_load_ushort v0, v[4:5], off
	s_mov_b64 s[0:1], -1
	s_mov_b64 s[74:75], 0
	s_waitcnt vmcnt(0)
	v_lshlrev_b32_e32 v0, 16, v0
	v_cvt_f64_f32_e32 v[0:1], v0
	s_branch .LBB56_493
.LBB56_491:
	s_mov_b64 s[2:3], -1
                                        ; implicit-def: $vgpr0_vgpr1
	s_branch .LBB56_494
.LBB56_492:
	s_mov_b64 s[74:75], -1
                                        ; implicit-def: $vgpr0_vgpr1
.LBB56_493:
	s_mov_b64 s[2:3], 0
.LBB56_494:
	s_and_b64 vcc, exec, s[2:3]
	s_cbranch_vccz .LBB56_498
; %bb.495:
	s_cmp_eq_u32 s6, 11
	s_cbranch_scc0 .LBB56_497
; %bb.496:
	global_load_ubyte v1, v[4:5], off
	v_mov_b32_e32 v2, 0x3ff00000
	v_mov_b32_e32 v0, 0
	s_mov_b64 s[0:1], -1
	s_mov_b64 s[74:75], 0
	s_waitcnt vmcnt(0)
	v_cmp_ne_u16_e32 vcc, 0, v1
	s_nop 1
	v_cndmask_b32_e32 v1, 0, v2, vcc
	s_branch .LBB56_498
.LBB56_497:
	s_mov_b64 s[74:75], -1
                                        ; implicit-def: $vgpr0_vgpr1
.LBB56_498:
	v_mov_b64_e32 v[2:3], 0
.LBB56_499:
	s_branch .LBB56_299
.LBB56_500:
	s_cmp_lt_i32 s6, 5
	s_cbranch_scc1 .LBB56_505
; %bb.501:
	s_cmp_lt_i32 s6, 8
	s_cbranch_scc1 .LBB56_506
; %bb.502:
	;; [unrolled: 3-line block ×3, first 2 shown]
	s_cmp_gt_i32 s6, 9
	s_cbranch_scc0 .LBB56_508
; %bb.504:
	global_load_dwordx4 v[0:3], v[4:5], off
	s_mov_b64 s[0:1], 0
	s_branch .LBB56_509
.LBB56_505:
	s_mov_b64 s[0:1], -1
                                        ; implicit-def: $vgpr2_vgpr3
	s_branch .LBB56_528
.LBB56_506:
	s_mov_b64 s[0:1], -1
                                        ; implicit-def: $vgpr2_vgpr3
	s_branch .LBB56_515
.LBB56_507:
	s_mov_b64 s[0:1], -1
                                        ; implicit-def: $vgpr2_vgpr3
	s_branch .LBB56_512
.LBB56_508:
	s_mov_b64 s[0:1], -1
                                        ; implicit-def: $vgpr2_vgpr3
.LBB56_509:
	s_andn2_b64 vcc, exec, s[0:1]
	s_cbranch_vccnz .LBB56_511
; %bb.510:
	global_load_dwordx2 v[2:3], v[4:5], off
	s_waitcnt vmcnt(0)
	v_cvt_f64_f32_e32 v[0:1], v2
	v_cvt_f64_f32_e32 v[2:3], v3
.LBB56_511:
	s_mov_b64 s[0:1], 0
.LBB56_512:
	s_andn2_b64 vcc, exec, s[0:1]
	s_cbranch_vccnz .LBB56_514
; %bb.513:
	global_load_dword v0, v[4:5], off
	s_waitcnt vmcnt(0)
	v_cvt_f32_f16_e32 v1, v0
	v_cvt_f32_f16_sdwa v2, v0 dst_sel:DWORD dst_unused:UNUSED_PAD src0_sel:WORD_1
	v_cvt_f64_f32_e32 v[0:1], v1
	v_cvt_f64_f32_e32 v[2:3], v2
.LBB56_514:
	s_mov_b64 s[0:1], 0
.LBB56_515:
	s_andn2_b64 vcc, exec, s[0:1]
	s_cbranch_vccnz .LBB56_527
; %bb.516:
	s_cmp_lt_i32 s6, 6
	s_cbranch_scc1 .LBB56_519
; %bb.517:
	s_cmp_gt_i32 s6, 6
	s_cbranch_scc0 .LBB56_520
; %bb.518:
	global_load_dwordx2 v[0:1], v[4:5], off
	s_mov_b64 s[0:1], 0
	s_branch .LBB56_521
.LBB56_519:
	s_mov_b64 s[0:1], -1
                                        ; implicit-def: $vgpr0_vgpr1
	s_branch .LBB56_524
.LBB56_520:
	s_mov_b64 s[0:1], -1
                                        ; implicit-def: $vgpr0_vgpr1
.LBB56_521:
	s_andn2_b64 vcc, exec, s[0:1]
	s_cbranch_vccnz .LBB56_523
; %bb.522:
	global_load_dword v0, v[4:5], off
	s_waitcnt vmcnt(0)
	v_cvt_f64_f32_e32 v[0:1], v0
.LBB56_523:
	s_mov_b64 s[0:1], 0
.LBB56_524:
	s_andn2_b64 vcc, exec, s[0:1]
	s_cbranch_vccnz .LBB56_526
; %bb.525:
	global_load_ushort v0, v[4:5], off
	s_waitcnt vmcnt(0)
	v_cvt_f32_f16_e32 v0, v0
	v_cvt_f64_f32_e32 v[0:1], v0
.LBB56_526:
	s_waitcnt vmcnt(0)
	v_mov_b64_e32 v[2:3], 0
.LBB56_527:
	s_mov_b64 s[0:1], 0
.LBB56_528:
	s_andn2_b64 vcc, exec, s[0:1]
	s_cbranch_vccnz .LBB56_549
; %bb.529:
	s_cmp_lt_i32 s6, 2
	s_cbranch_scc1 .LBB56_533
; %bb.530:
	s_cmp_lt_i32 s6, 3
	s_cbranch_scc1 .LBB56_534
; %bb.531:
	s_cmp_gt_i32 s6, 3
	s_cbranch_scc0 .LBB56_535
; %bb.532:
	global_load_dwordx2 v[0:1], v[4:5], off
	s_mov_b64 s[0:1], 0
	s_waitcnt vmcnt(0)
	v_cvt_f64_i32_e32 v[2:3], v1
	v_cvt_f64_u32_e32 v[0:1], v0
	v_ldexp_f64 v[2:3], v[2:3], 32
	v_add_f64 v[0:1], v[2:3], v[0:1]
	s_branch .LBB56_536
.LBB56_533:
	s_mov_b64 s[0:1], -1
                                        ; implicit-def: $vgpr0_vgpr1
	s_branch .LBB56_542
.LBB56_534:
	s_mov_b64 s[0:1], -1
                                        ; implicit-def: $vgpr0_vgpr1
	s_branch .LBB56_539
.LBB56_535:
	s_mov_b64 s[0:1], -1
                                        ; implicit-def: $vgpr0_vgpr1
.LBB56_536:
	s_andn2_b64 vcc, exec, s[0:1]
	s_cbranch_vccnz .LBB56_538
; %bb.537:
	global_load_dword v0, v[4:5], off
	s_waitcnt vmcnt(0)
	v_cvt_f64_i32_e32 v[0:1], v0
.LBB56_538:
	s_mov_b64 s[0:1], 0
.LBB56_539:
	s_andn2_b64 vcc, exec, s[0:1]
	s_cbranch_vccnz .LBB56_541
; %bb.540:
	global_load_sshort v0, v[4:5], off
	s_waitcnt vmcnt(0)
	v_cvt_f64_i32_e32 v[0:1], v0
.LBB56_541:
	s_mov_b64 s[0:1], 0
.LBB56_542:
	s_andn2_b64 vcc, exec, s[0:1]
	s_cbranch_vccnz .LBB56_548
; %bb.543:
	s_cmp_gt_i32 s6, 0
	s_cbranch_scc0 .LBB56_545
; %bb.544:
	global_load_sbyte v0, v[4:5], off
	s_mov_b64 s[0:1], 0
	s_waitcnt vmcnt(0)
	v_cvt_f64_i32_e32 v[0:1], v0
	s_branch .LBB56_546
.LBB56_545:
	s_mov_b64 s[0:1], -1
                                        ; implicit-def: $vgpr0_vgpr1
.LBB56_546:
	s_andn2_b64 vcc, exec, s[0:1]
	s_cbranch_vccnz .LBB56_548
; %bb.547:
	global_load_ubyte v0, v[4:5], off
	s_waitcnt vmcnt(0)
	v_cvt_f64_u32_e32 v[0:1], v0
.LBB56_548:
	s_waitcnt vmcnt(0)
	v_mov_b64_e32 v[2:3], 0
.LBB56_549:
	s_branch .LBB56_300
.LBB56_550:
	s_mov_b64 s[0:1], 0
	s_mov_b64 s[2:3], s[68:69]
.LBB56_551:
                                        ; implicit-def: $vgpr36
.LBB56_552:
	s_andn2_b64 s[4:5], s[68:69], exec
	s_and_b64 s[2:3], s[2:3], exec
	s_or_b64 s[76:77], s[4:5], s[2:3]
	s_andn2_b64 s[2:3], s[70:71], exec
	s_and_b64 s[4:5], s[74:75], exec
	s_or_b64 s[74:75], s[2:3], s[4:5]
	s_orn2_b64 s[0:1], s[0:1], exec
.LBB56_553:
	s_or_b64 exec, exec, s[78:79]
	s_mov_b64 s[2:3], 0
	s_mov_b64 s[4:5], 0
	;; [unrolled: 1-line block ×3, first 2 shown]
                                        ; implicit-def: $vgpr0_vgpr1
                                        ; implicit-def: $vgpr34
                                        ; implicit-def: $vgpr6_vgpr7
	s_and_saveexec_b64 s[78:79], s[0:1]
	s_cbranch_execz .LBB56_938
; %bb.554:
	v_cmp_gt_i32_e32 vcc, s86, v36
	s_mov_b64 s[2:3], -1
	s_mov_b64 s[20:21], s[74:75]
	s_mov_b64 s[22:23], s[76:77]
	s_and_saveexec_b64 s[80:81], vcc
	s_cbranch_execz .LBB56_834
; %bb.555:
	s_andn2_b64 vcc, exec, s[56:57]
	s_cbranch_vccnz .LBB56_561
; %bb.556:
	s_andn2_b64 vcc, exec, s[66:67]
	s_cbranch_vccnz .LBB56_562
; %bb.557:
	s_add_i32 s25, s87, 1
	s_cmp_eq_u32 s43, 2
	s_cbranch_scc1 .LBB56_563
; %bb.558:
	s_and_b32 s24, s25, 28
	s_mov_b32 s26, 0
	v_mov_b32_e32 v34, 0
	s_waitcnt vmcnt(0)
	v_mov_b32_e32 v0, 0
	s_mov_b64 s[20:21], s[52:53]
	s_mov_b64 s[22:23], s[64:65]
	v_mov_b32_e32 v2, v36
.LBB56_559:                             ; =>This Inner Loop Header: Depth=1
	s_load_dwordx8 s[8:15], s[20:21], 0x4
	s_load_dwordx4 s[16:19], s[20:21], 0x24
	s_load_dwordx8 s[0:7], s[22:23], 0x0
	s_add_u32 s20, s20, 48
	s_addc_u32 s21, s21, 0
	s_waitcnt lgkmcnt(0)
	v_mul_hi_u32 v1, s9, v2
	v_add_u32_e32 v1, v2, v1
	v_lshrrev_b32_e32 v1, s10, v1
	v_mul_lo_u32 v3, v1, s8
	v_mul_hi_u32 v4, s12, v1
	v_sub_u32_e32 v2, v2, v3
	v_add_u32_e32 v3, v1, v4
	v_lshrrev_b32_e32 v3, s13, v3
	v_mul_lo_u32 v5, v3, s11
	v_mul_hi_u32 v6, s15, v3
	v_sub_u32_e32 v1, v1, v5
	v_add_u32_e32 v5, v3, v6
	v_mul_lo_u32 v4, v2, s1
	v_mul_lo_u32 v2, v2, s0
	;; [unrolled: 1-line block ×4, first 2 shown]
	v_lshrrev_b32_e32 v5, s16, v5
	v_add3_u32 v1, v2, v34, v1
	v_add3_u32 v0, v4, v0, v6
	v_mul_lo_u32 v2, v5, s14
	v_mul_hi_u32 v4, s18, v5
	v_sub_u32_e32 v2, v3, v2
	v_add_u32_e32 v3, v5, v4
	v_mul_lo_u32 v4, v2, s4
	v_mul_lo_u32 v6, v2, s5
	v_lshrrev_b32_e32 v2, s19, v3
	s_add_i32 s26, s26, 4
	v_mul_lo_u32 v3, v2, s17
	s_add_u32 s22, s22, 32
	v_sub_u32_e32 v3, v5, v3
	s_addc_u32 s23, s23, 0
	v_mul_lo_u32 v5, v3, s6
	v_mul_lo_u32 v3, v3, s7
	s_cmp_eq_u32 s24, s26
	v_add3_u32 v0, v6, v0, v3
	v_add3_u32 v34, v4, v1, v5
	s_cbranch_scc0 .LBB56_559
; %bb.560:
	v_mov_b32_e32 v1, v0
	s_branch .LBB56_564
.LBB56_561:
	s_mov_b64 s[0:1], -1
                                        ; implicit-def: $vgpr0
                                        ; implicit-def: $vgpr34
	s_branch .LBB56_568
.LBB56_562:
	s_waitcnt vmcnt(0)
	v_mov_b32_e32 v0, 0
	v_mov_b32_e32 v34, 0
	s_branch .LBB56_567
.LBB56_563:
	v_mov_b32_e32 v34, 0
	s_mov_b32 s24, 0
	s_waitcnt vmcnt(0)
	v_mov_b32_e32 v1, v34
                                        ; implicit-def: $vgpr0
	v_mov_b32_e32 v2, v36
.LBB56_564:
	s_and_b32 s4, s25, 3
	s_cmp_eq_u32 s4, 0
	s_cbranch_scc1 .LBB56_567
; %bb.565:
	s_lshl_b32 s0, s24, 3
	s_add_u32 s0, s52, s0
	s_addc_u32 s1, s53, 0
	s_add_u32 s0, s0, 0xc4
	s_addc_u32 s1, s1, 0
	s_mul_i32 s2, s24, 12
	s_add_u32 s2, s52, s2
	s_addc_u32 s3, s53, 0
.LBB56_566:                             ; =>This Inner Loop Header: Depth=1
	s_load_dwordx2 s[6:7], s[2:3], 0x4
	s_load_dword s5, s[2:3], 0xc
	s_load_dwordx2 s[8:9], s[0:1], 0x0
	v_mov_b32_e32 v0, v1
	s_add_u32 s2, s2, 12
	s_waitcnt lgkmcnt(0)
	v_mul_hi_u32 v1, s7, v2
	v_add_u32_e32 v1, v2, v1
	v_lshrrev_b32_e32 v1, s5, v1
	s_addc_u32 s3, s3, 0
	v_mul_lo_u32 v3, v1, s6
	s_add_u32 s0, s0, 8
	v_sub_u32_e32 v3, v2, v3
	s_addc_u32 s1, s1, 0
	s_add_i32 s4, s4, -1
	v_mov_b32_e32 v2, v1
	v_mad_u64_u32 v[0:1], s[6:7], v3, s9, v[0:1]
	s_cmp_lg_u32 s4, 0
	v_mad_u64_u32 v[34:35], s[6:7], v3, s8, v[34:35]
	v_mov_b32_e32 v1, v0
	s_cbranch_scc1 .LBB56_566
.LBB56_567:
	s_mov_b64 s[0:1], 0
.LBB56_568:
	s_andn2_b64 vcc, exec, s[0:1]
	s_cbranch_vccnz .LBB56_571
; %bb.569:
	s_waitcnt vmcnt(0) lgkmcnt(0)
	v_mul_hi_u32 v0, s49, v36
	v_add_u32_e32 v0, v36, v0
	v_lshrrev_b32_e32 v1, s50, v0
	v_mul_lo_u32 v0, v1, s48
	v_sub_u32_e32 v2, v36, v0
	v_mul_lo_u32 v0, v2, s45
	s_andn2_b64 vcc, exec, s[62:63]
	v_mul_lo_u32 v34, v2, s44
	s_cbranch_vccnz .LBB56_571
; %bb.570:
	v_mul_hi_u32 v2, s60, v1
	v_add_u32_e32 v2, v1, v2
	v_lshrrev_b32_e32 v2, s61, v2
	v_mul_lo_u32 v2, v2, s51
	v_sub_u32_e32 v1, v1, v2
	v_mad_u64_u32 v[34:35], s[0:1], v1, s46, v[34:35]
	v_mad_u64_u32 v[0:1], s[0:1], v1, s47, v[0:1]
.LBB56_571:
	s_waitcnt vmcnt(0)
	v_mov_b32_e32 v1, 0
	s_and_b32 s6, 0xffff, s85
	s_cmp_lt_i32 s6, 11
	s_waitcnt lgkmcnt(0)
	v_lshl_add_u64 v[4:5], s[38:39], 0, v[0:1]
	s_cbranch_scc1 .LBB56_578
; %bb.572:
	s_cmp_gt_i32 s6, 25
	s_cbranch_scc0 .LBB56_579
; %bb.573:
	s_cmp_gt_i32 s6, 28
	s_cbranch_scc0 .LBB56_580
	;; [unrolled: 3-line block ×4, first 2 shown]
; %bb.576:
	s_cmp_eq_u32 s6, 46
	s_mov_b64 s[2:3], 0
	s_cbranch_scc0 .LBB56_587
; %bb.577:
	global_load_dword v0, v[4:5], off
	s_mov_b64 s[0:1], -1
	s_mov_b64 s[82:83], 0
	s_waitcnt vmcnt(0)
	v_and_b32_e32 v2, 0xffff0000, v0
	v_lshlrev_b32_e32 v0, 16, v0
	v_cvt_f64_f32_e32 v[0:1], v0
	v_cvt_f64_f32_e32 v[2:3], v2
	s_branch .LBB56_588
.LBB56_578:
	s_mov_b64 s[2:3], -1
	s_mov_b64 s[0:1], 0
                                        ; implicit-def: $vgpr2_vgpr3
	s_mov_b64 s[82:83], s[74:75]
	s_branch .LBB56_656
.LBB56_579:
	s_mov_b64 s[2:3], -1
	s_mov_b64 s[0:1], 0
	s_mov_b64 s[82:83], s[74:75]
                                        ; implicit-def: $vgpr2_vgpr3
	s_branch .LBB56_621
.LBB56_580:
	s_mov_b64 s[2:3], -1
	s_mov_b64 s[0:1], 0
	s_mov_b64 s[82:83], s[74:75]
                                        ; implicit-def: $vgpr2_vgpr3
	s_branch .LBB56_600
.LBB56_581:
	s_mov_b64 s[2:3], -1
	s_mov_b64 s[0:1], 0
	s_mov_b64 s[82:83], s[74:75]
                                        ; implicit-def: $vgpr2_vgpr3
	s_branch .LBB56_594
.LBB56_582:
	s_andn2_saveexec_b64 s[6:7], s[6:7]
	s_cbranch_execz .LBB56_345
.LBB56_583:
	s_mov_b32 s10, 0x46000000
	v_add_f32_e64 v7, |v6|, s10
	v_and_b32_e32 v7, 0xff, v7
	v_cmp_ne_u32_e32 vcc, 0, v7
	s_andn2_b64 s[4:5], s[4:5], exec
	s_and_b64 s[10:11], vcc, exec
	s_or_b64 s[4:5], s[4:5], s[10:11]
	s_or_b64 exec, exec, s[6:7]
	v_mov_b32_e32 v8, 0
	s_and_saveexec_b64 s[6:7], s[4:5]
	s_cbranch_execnz .LBB56_346
	s_branch .LBB56_347
.LBB56_584:
	s_mov_b64 s[2:3], -1
	s_mov_b64 s[0:1], 0
	s_mov_b64 s[82:83], s[74:75]
                                        ; implicit-def: $vgpr2_vgpr3
	s_branch .LBB56_588
.LBB56_585:
	s_andn2_saveexec_b64 s[6:7], s[6:7]
	s_cbranch_execz .LBB56_358
.LBB56_586:
	s_mov_b32 s10, 0x42800000
	v_add_f32_e64 v7, |v6|, s10
	v_and_b32_e32 v7, 0xff, v7
	v_cmp_ne_u32_e32 vcc, 0, v7
	s_andn2_b64 s[4:5], s[4:5], exec
	s_and_b64 s[10:11], vcc, exec
	s_or_b64 s[4:5], s[4:5], s[10:11]
	s_or_b64 exec, exec, s[6:7]
	v_mov_b32_e32 v8, 0
	s_and_saveexec_b64 s[6:7], s[4:5]
	s_cbranch_execnz .LBB56_359
	s_branch .LBB56_360
.LBB56_587:
	s_mov_b64 s[82:83], -1
                                        ; implicit-def: $vgpr2_vgpr3
	s_mov_b64 s[0:1], 0
.LBB56_588:
	s_and_b64 vcc, exec, s[2:3]
	s_cbranch_vccz .LBB56_593
; %bb.589:
	s_cmp_eq_u32 s6, 44
	s_cbranch_scc0 .LBB56_591
; %bb.590:
	global_load_ubyte v2, v[4:5], off
	s_movk_i32 s2, 0xff
	v_bfrev_b32_e32 v3, 4
	v_mov_b32_e32 v6, 0x7ff80000
	v_bfrev_b32_e32 v7, 28
	s_mov_b64 s[0:1], -1
	s_mov_b64 s[82:83], 0
	s_waitcnt vmcnt(0)
	v_lshlrev_b32_e32 v0, 23, v2
	v_cvt_f64_f32_e32 v[0:1], v0
	v_cmp_ne_u32_e32 vcc, s2, v2
	s_nop 1
	v_cndmask_b32_e32 v0, v3, v0, vcc
	v_cndmask_b32_e32 v1, v6, v1, vcc
	v_cmp_ne_u32_e32 vcc, 0, v2
	s_nop 1
	v_cndmask_b32_e32 v1, v7, v1, vcc
	v_cndmask_b32_e32 v0, 0, v0, vcc
	s_branch .LBB56_592
.LBB56_591:
	s_mov_b64 s[82:83], -1
                                        ; implicit-def: $vgpr0_vgpr1
.LBB56_592:
	v_mov_b64_e32 v[2:3], 0
.LBB56_593:
	s_mov_b64 s[2:3], 0
.LBB56_594:
	s_and_b64 vcc, exec, s[2:3]
	s_cbranch_vccz .LBB56_599
; %bb.595:
	s_cmp_eq_u32 s6, 29
	s_cbranch_scc0 .LBB56_597
; %bb.596:
	global_load_dwordx2 v[0:1], v[4:5], off
	s_mov_b64 s[0:1], -1
	s_mov_b64 s[82:83], 0
	s_waitcnt vmcnt(0)
	v_cvt_f64_u32_e32 v[2:3], v1
	v_cvt_f64_u32_e32 v[0:1], v0
	v_ldexp_f64 v[2:3], v[2:3], 32
	v_add_f64 v[0:1], v[2:3], v[0:1]
	s_branch .LBB56_598
.LBB56_597:
	s_mov_b64 s[82:83], -1
                                        ; implicit-def: $vgpr0_vgpr1
.LBB56_598:
	v_mov_b64_e32 v[2:3], 0
.LBB56_599:
	s_mov_b64 s[2:3], 0
.LBB56_600:
	s_and_b64 vcc, exec, s[2:3]
	s_cbranch_vccz .LBB56_620
; %bb.601:
	s_cmp_lt_i32 s6, 27
	s_cbranch_scc1 .LBB56_604
; %bb.602:
	s_cmp_gt_i32 s6, 27
	s_cbranch_scc0 .LBB56_605
; %bb.603:
	global_load_dword v0, v[4:5], off
	s_mov_b64 s[0:1], 0
	s_waitcnt vmcnt(0)
	v_cvt_f64_u32_e32 v[0:1], v0
	s_branch .LBB56_606
.LBB56_604:
	s_mov_b64 s[0:1], -1
                                        ; implicit-def: $vgpr0_vgpr1
	s_branch .LBB56_609
.LBB56_605:
	s_mov_b64 s[0:1], -1
                                        ; implicit-def: $vgpr0_vgpr1
.LBB56_606:
	s_andn2_b64 vcc, exec, s[0:1]
	s_cbranch_vccnz .LBB56_608
; %bb.607:
	global_load_ushort v0, v[4:5], off
	s_waitcnt vmcnt(0)
	v_cvt_f64_u32_e32 v[0:1], v0
.LBB56_608:
	s_mov_b64 s[0:1], 0
.LBB56_609:
	s_andn2_b64 vcc, exec, s[0:1]
	s_cbranch_vccnz .LBB56_619
; %bb.610:
	global_load_ubyte v2, v[4:5], off
	s_movk_i32 s0, 0x7f
	s_waitcnt vmcnt(0)
	v_cmp_lt_i16_e32 vcc, s0, v2
	s_mov_b64 s[0:1], 0
	s_and_saveexec_b64 s[2:3], vcc
	s_xor_b64 s[2:3], exec, s[2:3]
	s_cbranch_execz .LBB56_614
; %bb.611:
	s_movk_i32 s0, 0x80
	v_cmp_eq_u16_e32 vcc, s0, v2
	s_mov_b64 s[0:1], -1
	s_and_saveexec_b64 s[4:5], vcc
; %bb.612:
	s_xor_b64 s[0:1], exec, -1
; %bb.613:
	s_or_b64 exec, exec, s[4:5]
	s_and_b64 s[0:1], s[0:1], exec
.LBB56_614:
	s_or_saveexec_b64 s[2:3], s[2:3]
	v_bfrev_b32_e32 v0, 4
	v_mov_b32_e32 v1, 0x7ff80000
	s_xor_b64 exec, exec, s[2:3]
; %bb.615:
	v_cmp_ne_u16_e32 vcc, 0, v2
	s_andn2_b64 s[0:1], s[0:1], exec
	s_and_b64 s[4:5], vcc, exec
	v_mov_b64_e32 v[0:1], 0
	s_or_b64 s[0:1], s[0:1], s[4:5]
; %bb.616:
	s_or_b64 exec, exec, s[2:3]
	s_and_saveexec_b64 s[2:3], s[0:1]
	s_cbranch_execz .LBB56_618
; %bb.617:
	v_and_b32_e32 v1, 0xffff, v2
	v_lshlrev_b32_e32 v0, 24, v2
	v_and_b32_e32 v2, 7, v1
	v_ffbh_u32_e32 v6, v2
	v_min_u32_e32 v6, 32, v6
	v_subrev_u32_e32 v7, 28, v6
	v_bfe_u32 v3, v1, 3, 4
	v_lshlrev_b32_e32 v1, v7, v1
	v_sub_u32_e32 v6, 29, v6
	v_and_b32_e32 v1, 7, v1
	v_cmp_eq_u32_e32 vcc, 0, v3
	v_and_b32_e32 v0, 0x80000000, v0
	s_nop 0
	v_cndmask_b32_e32 v3, v3, v6, vcc
	v_cndmask_b32_e32 v1, v2, v1, vcc
	v_mov_b32_e32 v2, 0x3b800000
	v_lshlrev_b32_e32 v1, 20, v1
	v_lshl_add_u32 v2, v3, 23, v2
	v_or3_b32 v0, v0, v2, v1
	v_cvt_f64_f32_e32 v[0:1], v0
.LBB56_618:
	s_or_b64 exec, exec, s[2:3]
.LBB56_619:
	s_mov_b64 s[0:1], -1
	v_mov_b64_e32 v[2:3], 0
.LBB56_620:
	s_mov_b64 s[2:3], 0
.LBB56_621:
	s_and_b64 vcc, exec, s[2:3]
	s_cbranch_vccz .LBB56_655
; %bb.622:
	s_cmp_gt_i32 s6, 22
	s_cbranch_scc0 .LBB56_634
; %bb.623:
	s_cmp_lt_i32 s6, 24
	s_cbranch_scc1 .LBB56_635
; %bb.624:
	s_cmp_gt_i32 s6, 24
	s_cbranch_scc0 .LBB56_636
; %bb.625:
	global_load_ubyte v2, v[4:5], off
	s_movk_i32 s0, 0x7f
	s_waitcnt vmcnt(0)
	v_cmp_lt_i16_e32 vcc, s0, v2
	s_mov_b64 s[0:1], 0
	s_and_saveexec_b64 s[2:3], vcc
	s_xor_b64 s[2:3], exec, s[2:3]
	s_cbranch_execz .LBB56_629
; %bb.626:
	s_movk_i32 s0, 0x80
	v_cmp_eq_u16_e32 vcc, s0, v2
	s_mov_b64 s[0:1], -1
	s_and_saveexec_b64 s[4:5], vcc
; %bb.627:
	s_xor_b64 s[0:1], exec, -1
; %bb.628:
	s_or_b64 exec, exec, s[4:5]
	s_and_b64 s[0:1], s[0:1], exec
.LBB56_629:
	s_or_saveexec_b64 s[2:3], s[2:3]
	v_bfrev_b32_e32 v0, 4
	v_mov_b32_e32 v1, 0x7ff80000
	s_xor_b64 exec, exec, s[2:3]
; %bb.630:
	v_cmp_ne_u16_e32 vcc, 0, v2
	s_andn2_b64 s[0:1], s[0:1], exec
	s_and_b64 s[4:5], vcc, exec
	v_mov_b64_e32 v[0:1], 0
	s_or_b64 s[0:1], s[0:1], s[4:5]
; %bb.631:
	s_or_b64 exec, exec, s[2:3]
	s_and_saveexec_b64 s[2:3], s[0:1]
	s_cbranch_execz .LBB56_633
; %bb.632:
	v_and_b32_e32 v1, 0xffff, v2
	v_lshlrev_b32_e32 v0, 24, v2
	v_and_b32_e32 v2, 3, v1
	v_ffbh_u32_e32 v6, v2
	v_min_u32_e32 v6, 32, v6
	v_subrev_u32_e32 v7, 29, v6
	v_bfe_u32 v3, v1, 2, 5
	v_lshlrev_b32_e32 v1, v7, v1
	v_sub_u32_e32 v6, 30, v6
	v_and_b32_e32 v1, 3, v1
	v_cmp_eq_u32_e32 vcc, 0, v3
	v_and_b32_e32 v0, 0x80000000, v0
	s_nop 0
	v_cndmask_b32_e32 v3, v3, v6, vcc
	v_cndmask_b32_e32 v1, v2, v1, vcc
	v_mov_b32_e32 v2, 0x37800000
	v_lshlrev_b32_e32 v1, 21, v1
	v_lshl_add_u32 v2, v3, 23, v2
	v_or3_b32 v0, v0, v2, v1
	v_cvt_f64_f32_e32 v[0:1], v0
.LBB56_633:
	s_or_b64 exec, exec, s[2:3]
	s_mov_b64 s[0:1], 0
	s_branch .LBB56_637
.LBB56_634:
	s_mov_b64 s[2:3], -1
                                        ; implicit-def: $vgpr0_vgpr1
	s_branch .LBB56_643
.LBB56_635:
	s_mov_b64 s[0:1], -1
                                        ; implicit-def: $vgpr0_vgpr1
	s_branch .LBB56_640
.LBB56_636:
	s_mov_b64 s[0:1], -1
                                        ; implicit-def: $vgpr0_vgpr1
.LBB56_637:
	s_and_b64 vcc, exec, s[0:1]
	s_cbranch_vccz .LBB56_639
; %bb.638:
	global_load_ubyte v0, v[4:5], off
	s_mov_b32 s0, 0x7f800000
	s_waitcnt vmcnt(0)
	v_lshlrev_b32_e32 v0, 24, v0
	v_and_b32_e32 v1, 0x7f000000, v0
	v_ffbh_u32_e32 v2, v1
	v_min_u32_e32 v2, 32, v2
	v_sub_u32_e64 v2, v2, 4 clamp
	v_lshlrev_b32_e32 v6, v2, v1
	v_lshlrev_b32_e32 v2, 23, v2
	v_lshrrev_b32_e32 v6, 4, v6
	v_add_u32_e32 v3, 0x1000000, v1
	v_sub_u32_e32 v2, v6, v2
	v_ashrrev_i32_e32 v3, 8, v3
	v_add_u32_e32 v2, 0x3c000000, v2
	v_and_or_b32 v2, v3, s0, v2
	v_cmp_ne_u32_e32 vcc, 0, v1
	s_brev_b32 s0, 1
	s_nop 0
	v_cndmask_b32_e32 v1, 0, v2, vcc
	v_and_or_b32 v0, v0, s0, v1
	v_cvt_f64_f32_e32 v[0:1], v0
.LBB56_639:
	s_mov_b64 s[0:1], 0
.LBB56_640:
	s_andn2_b64 vcc, exec, s[0:1]
	s_cbranch_vccnz .LBB56_642
; %bb.641:
	global_load_ubyte v0, v[4:5], off
	s_movk_i32 s0, 0x7f00
	s_brev_b32 s1, 16
	s_waitcnt vmcnt(0)
	v_lshlrev_b16_e32 v1, 8, v0
	v_lshlrev_b32_e32 v0, 25, v0
	v_lshrrev_b32_e32 v2, 4, v0
	v_and_or_b32 v3, v1, s0, 0.5
	v_or_b32_e32 v2, 0x70000000, v2
	v_add_f32_e32 v3, -0.5, v3
	v_mul_f32_e32 v2, 0x7800000, v2
	v_cmp_gt_u32_e32 vcc, s1, v0
	v_bfe_i32 v1, v1, 0, 16
	s_brev_b32 s0, 1
	v_cndmask_b32_e32 v0, v2, v3, vcc
	v_and_or_b32 v0, v1, s0, v0
	v_cvt_f64_f32_e32 v[0:1], v0
.LBB56_642:
	s_mov_b64 s[2:3], 0
	s_mov_b64 s[0:1], -1
.LBB56_643:
	s_andn2_b64 vcc, exec, s[2:3]
	s_cbranch_vccnz .LBB56_654
; %bb.644:
	s_cmp_gt_i32 s6, 14
	s_cbranch_scc0 .LBB56_647
; %bb.645:
	s_cmp_eq_u32 s6, 15
	s_cbranch_scc0 .LBB56_648
; %bb.646:
	global_load_ushort v0, v[4:5], off
	s_mov_b64 s[0:1], -1
	s_mov_b64 s[82:83], 0
	s_waitcnt vmcnt(0)
	v_lshlrev_b32_e32 v0, 16, v0
	v_cvt_f64_f32_e32 v[0:1], v0
	s_branch .LBB56_649
.LBB56_647:
	s_mov_b64 s[2:3], -1
                                        ; implicit-def: $vgpr0_vgpr1
	s_branch .LBB56_650
.LBB56_648:
	s_mov_b64 s[82:83], -1
                                        ; implicit-def: $vgpr0_vgpr1
.LBB56_649:
	s_mov_b64 s[2:3], 0
.LBB56_650:
	s_and_b64 vcc, exec, s[2:3]
	s_cbranch_vccz .LBB56_654
; %bb.651:
	s_cmp_eq_u32 s6, 11
	s_cbranch_scc0 .LBB56_653
; %bb.652:
	global_load_ubyte v1, v[4:5], off
	v_mov_b32_e32 v2, 0x3ff00000
	v_mov_b32_e32 v0, 0
	s_mov_b64 s[0:1], -1
	s_mov_b64 s[82:83], 0
	s_waitcnt vmcnt(0)
	v_cmp_ne_u16_e32 vcc, 0, v1
	s_nop 1
	v_cndmask_b32_e32 v1, 0, v2, vcc
	s_branch .LBB56_654
.LBB56_653:
	s_mov_b64 s[82:83], -1
                                        ; implicit-def: $vgpr0_vgpr1
.LBB56_654:
	v_mov_b64_e32 v[2:3], 0
.LBB56_655:
	s_mov_b64 s[2:3], 0
.LBB56_656:
	s_and_b64 vcc, exec, s[2:3]
	s_cbranch_vccz .LBB56_707
; %bb.657:
	s_cmp_lt_i32 s6, 5
	s_cbranch_scc1 .LBB56_662
; %bb.658:
	s_cmp_lt_i32 s6, 8
	s_cbranch_scc1 .LBB56_663
	;; [unrolled: 3-line block ×3, first 2 shown]
; %bb.660:
	s_cmp_gt_i32 s6, 9
	s_cbranch_scc0 .LBB56_665
; %bb.661:
	global_load_dwordx4 v[0:3], v[4:5], off
	s_mov_b64 s[0:1], 0
	s_branch .LBB56_666
.LBB56_662:
	s_mov_b64 s[0:1], -1
                                        ; implicit-def: $vgpr2_vgpr3
	s_branch .LBB56_685
.LBB56_663:
	s_mov_b64 s[0:1], -1
                                        ; implicit-def: $vgpr2_vgpr3
	s_branch .LBB56_672
.LBB56_664:
	s_mov_b64 s[0:1], -1
                                        ; implicit-def: $vgpr2_vgpr3
	s_branch .LBB56_669
.LBB56_665:
	s_mov_b64 s[0:1], -1
                                        ; implicit-def: $vgpr2_vgpr3
.LBB56_666:
	s_andn2_b64 vcc, exec, s[0:1]
	s_cbranch_vccnz .LBB56_668
; %bb.667:
	global_load_dwordx2 v[2:3], v[4:5], off
	s_waitcnt vmcnt(0)
	v_cvt_f64_f32_e32 v[0:1], v2
	v_cvt_f64_f32_e32 v[2:3], v3
.LBB56_668:
	s_mov_b64 s[0:1], 0
.LBB56_669:
	s_andn2_b64 vcc, exec, s[0:1]
	s_cbranch_vccnz .LBB56_671
; %bb.670:
	global_load_dword v0, v[4:5], off
	s_waitcnt vmcnt(0)
	v_cvt_f32_f16_e32 v1, v0
	v_cvt_f32_f16_sdwa v2, v0 dst_sel:DWORD dst_unused:UNUSED_PAD src0_sel:WORD_1
	v_cvt_f64_f32_e32 v[0:1], v1
	v_cvt_f64_f32_e32 v[2:3], v2
.LBB56_671:
	s_mov_b64 s[0:1], 0
.LBB56_672:
	s_andn2_b64 vcc, exec, s[0:1]
	s_cbranch_vccnz .LBB56_684
; %bb.673:
	s_cmp_lt_i32 s6, 6
	s_cbranch_scc1 .LBB56_676
; %bb.674:
	s_cmp_gt_i32 s6, 6
	s_cbranch_scc0 .LBB56_677
; %bb.675:
	global_load_dwordx2 v[0:1], v[4:5], off
	s_mov_b64 s[0:1], 0
	s_branch .LBB56_678
.LBB56_676:
	s_mov_b64 s[0:1], -1
                                        ; implicit-def: $vgpr0_vgpr1
	s_branch .LBB56_681
.LBB56_677:
	s_mov_b64 s[0:1], -1
                                        ; implicit-def: $vgpr0_vgpr1
.LBB56_678:
	s_andn2_b64 vcc, exec, s[0:1]
	s_cbranch_vccnz .LBB56_680
; %bb.679:
	global_load_dword v0, v[4:5], off
	s_waitcnt vmcnt(0)
	v_cvt_f64_f32_e32 v[0:1], v0
.LBB56_680:
	s_mov_b64 s[0:1], 0
.LBB56_681:
	s_andn2_b64 vcc, exec, s[0:1]
	s_cbranch_vccnz .LBB56_683
; %bb.682:
	global_load_ushort v0, v[4:5], off
	s_waitcnt vmcnt(0)
	v_cvt_f32_f16_e32 v0, v0
	v_cvt_f64_f32_e32 v[0:1], v0
.LBB56_683:
	s_waitcnt vmcnt(0)
	v_mov_b64_e32 v[2:3], 0
.LBB56_684:
	s_mov_b64 s[0:1], 0
.LBB56_685:
	s_andn2_b64 vcc, exec, s[0:1]
	s_cbranch_vccnz .LBB56_706
; %bb.686:
	s_cmp_lt_i32 s6, 2
	s_cbranch_scc1 .LBB56_690
; %bb.687:
	s_cmp_lt_i32 s6, 3
	s_cbranch_scc1 .LBB56_691
; %bb.688:
	s_cmp_gt_i32 s6, 3
	s_cbranch_scc0 .LBB56_692
; %bb.689:
	global_load_dwordx2 v[0:1], v[4:5], off
	s_mov_b64 s[0:1], 0
	s_waitcnt vmcnt(0)
	v_cvt_f64_i32_e32 v[2:3], v1
	v_cvt_f64_u32_e32 v[0:1], v0
	v_ldexp_f64 v[2:3], v[2:3], 32
	v_add_f64 v[0:1], v[2:3], v[0:1]
	s_branch .LBB56_693
.LBB56_690:
	s_mov_b64 s[0:1], -1
                                        ; implicit-def: $vgpr0_vgpr1
	s_branch .LBB56_699
.LBB56_691:
	s_mov_b64 s[0:1], -1
                                        ; implicit-def: $vgpr0_vgpr1
	s_branch .LBB56_696
.LBB56_692:
	s_mov_b64 s[0:1], -1
                                        ; implicit-def: $vgpr0_vgpr1
.LBB56_693:
	s_andn2_b64 vcc, exec, s[0:1]
	s_cbranch_vccnz .LBB56_695
; %bb.694:
	global_load_dword v0, v[4:5], off
	s_waitcnt vmcnt(0)
	v_cvt_f64_i32_e32 v[0:1], v0
.LBB56_695:
	s_mov_b64 s[0:1], 0
.LBB56_696:
	s_andn2_b64 vcc, exec, s[0:1]
	s_cbranch_vccnz .LBB56_698
; %bb.697:
	global_load_sshort v0, v[4:5], off
	s_waitcnt vmcnt(0)
	v_cvt_f64_i32_e32 v[0:1], v0
.LBB56_698:
	s_mov_b64 s[0:1], 0
.LBB56_699:
	s_andn2_b64 vcc, exec, s[0:1]
	s_cbranch_vccnz .LBB56_705
; %bb.700:
	s_cmp_gt_i32 s6, 0
	s_cbranch_scc0 .LBB56_702
; %bb.701:
	global_load_sbyte v0, v[4:5], off
	s_mov_b64 s[0:1], 0
	s_waitcnt vmcnt(0)
	v_cvt_f64_i32_e32 v[0:1], v0
	s_branch .LBB56_703
.LBB56_702:
	s_mov_b64 s[0:1], -1
                                        ; implicit-def: $vgpr0_vgpr1
.LBB56_703:
	s_andn2_b64 vcc, exec, s[0:1]
	s_cbranch_vccnz .LBB56_705
; %bb.704:
	global_load_ubyte v0, v[4:5], off
	s_waitcnt vmcnt(0)
	v_cvt_f64_u32_e32 v[0:1], v0
.LBB56_705:
	s_waitcnt vmcnt(0)
	v_mov_b64_e32 v[2:3], 0
.LBB56_706:
	s_mov_b64 s[0:1], -1
.LBB56_707:
	s_andn2_b64 vcc, exec, s[0:1]
	s_cbranch_vccnz .LBB56_715
; %bb.708:
	s_getpc_b64 s[0:1]
	s_add_u32 s0, s0, _ZZZZN2at6native15exp_kernel_cudaERNS_18TensorIteratorBaseEENKUlvE_clEvENKUlvE_clEvENKUlN3c107complexIdEEE_clES7_@rel32@lo+4
	s_addc_u32 s1, s1, _ZZZZN2at6native15exp_kernel_cudaERNS_18TensorIteratorBaseEENKUlvE_clEvENKUlvE_clEvENKUlN3c107complexIdEEE_clES7_@rel32@hi+12
	s_swappc_b64 s[30:31], s[0:1]
	v_mov_b32_e32 v35, 0
	s_and_b32 s8, s84, 0xff
	s_cmp_lt_i32 s8, 11
	v_lshl_add_u64 v[4:5], s[36:37], 0, v[34:35]
	s_cbranch_scc1 .LBB56_716
; %bb.709:
	s_and_b32 s9, 0xffff, s8
	s_cmp_gt_i32 s9, 25
	s_cbranch_scc0 .LBB56_717
; %bb.710:
	s_cmp_gt_i32 s9, 28
	s_cbranch_scc0 .LBB56_718
; %bb.711:
	;; [unrolled: 3-line block ×4, first 2 shown]
	s_mov_b64 s[4:5], 0
	s_mov_b64 s[2:3], -1
	s_cmp_eq_u32 s9, 46
	s_mov_b64 s[0:1], 0
	s_cbranch_scc0 .LBB56_721
; %bb.714:
	v_cvt_f32_f64_e32 v7, v[2:3]
	s_movk_i32 s0, 0x7fff
	v_bfe_u32 v9, v7, 16, 1
	v_cvt_f32_f64_e32 v6, v[0:1]
	v_add3_u32 v9, v7, v9, s0
	v_bfe_u32 v8, v6, 16, 1
	v_and_b32_e32 v9, 0xffff0000, v9
	v_mov_b32_e32 v10, 0x7fc00000
	v_cmp_o_f32_e32 vcc, v7, v7
	v_add3_u32 v8, v6, v8, s0
	s_mov_b64 s[0:1], -1
	v_cndmask_b32_e32 v7, v10, v9, vcc
	v_cmp_o_f32_e32 vcc, v6, v6
	v_mov_b32_e32 v6, 0x7fc0
	s_mov_b64 s[2:3], 0
	v_cndmask_b32_sdwa v6, v6, v8, vcc dst_sel:DWORD dst_unused:UNUSED_PAD src0_sel:DWORD src1_sel:WORD_1
	v_or_b32_e32 v6, v7, v6
	global_store_dword v[4:5], v6, off
	s_branch .LBB56_721
.LBB56_715:
	s_mov_b64 s[0:1], 0
	s_mov_b64 s[2:3], s[76:77]
	s_branch .LBB56_832
.LBB56_716:
	s_mov_b64 s[4:5], -1
	s_mov_b64 s[0:1], 0
	s_mov_b64 s[2:3], s[76:77]
	s_branch .LBB56_790
.LBB56_717:
	s_mov_b64 s[4:5], -1
	s_mov_b64 s[0:1], 0
	s_mov_b64 s[2:3], s[76:77]
	s_branch .LBB56_748
.LBB56_718:
	s_mov_b64 s[4:5], -1
	s_mov_b64 s[0:1], 0
	s_mov_b64 s[2:3], s[76:77]
	s_branch .LBB56_731
.LBB56_719:
	s_mov_b64 s[4:5], -1
	s_mov_b64 s[0:1], 0
	s_mov_b64 s[2:3], s[76:77]
	s_branch .LBB56_727
.LBB56_720:
	s_mov_b64 s[4:5], -1
	s_mov_b64 s[0:1], 0
	s_mov_b64 s[2:3], s[76:77]
.LBB56_721:
	s_and_b64 vcc, exec, s[4:5]
	s_cbranch_vccz .LBB56_726
; %bb.722:
	s_cmp_eq_u32 s9, 44
	s_mov_b64 s[2:3], -1
	s_cbranch_scc0 .LBB56_726
; %bb.723:
	v_cvt_f32_f64_e32 v6, v[0:1]
	v_bfe_u32 v7, v6, 23, 8
	s_movk_i32 s0, 0xff
	v_cmp_ne_u32_e32 vcc, s0, v7
	v_mov_b32_e32 v8, 0xff
	s_and_saveexec_b64 s[2:3], vcc
; %bb.724:
	s_mov_b32 s0, 0x3fffff
	v_lshrrev_b32_e32 v8, 23, v6
	v_and_b32_e32 v9, 0x400000, v6
	v_and_or_b32 v6, v6, s0, v7
	v_cmp_ne_u32_e32 vcc, 0, v9
	v_cmp_ne_u32_e64 s[0:1], 0, v6
	s_and_b64 s[0:1], vcc, s[0:1]
	s_nop 0
	v_cndmask_b32_e64 v6, 0, 1, s[0:1]
	v_add_u32_e32 v8, v8, v6
; %bb.725:
	s_or_b64 exec, exec, s[2:3]
	s_mov_b64 s[0:1], -1
	s_mov_b64 s[2:3], 0
	global_store_byte v[4:5], v8, off
.LBB56_726:
	s_mov_b64 s[4:5], 0
.LBB56_727:
	s_and_b64 vcc, exec, s[4:5]
	s_cbranch_vccz .LBB56_730
; %bb.728:
	s_cmp_eq_u32 s9, 29
	s_mov_b64 s[2:3], -1
	s_cbranch_scc0 .LBB56_730
; %bb.729:
	v_trunc_f64_e32 v[6:7], v[0:1]
	s_movk_i32 s0, 0xffe0
	v_ldexp_f64 v[8:9], v[6:7], s0
	v_floor_f64_e32 v[8:9], v[8:9]
	v_fmac_f64_e32 v[6:7], 0xc1f00000, v[8:9]
	v_cvt_u32_f64_e32 v11, v[8:9]
	v_cvt_u32_f64_e32 v10, v[6:7]
	global_store_dwordx2 v[4:5], v[10:11], off
	s_mov_b64 s[0:1], -1
	s_mov_b64 s[2:3], 0
.LBB56_730:
	s_mov_b64 s[4:5], 0
.LBB56_731:
	s_and_b64 vcc, exec, s[4:5]
	s_cbranch_vccz .LBB56_747
; %bb.732:
	s_cmp_lt_i32 s9, 27
	s_mov_b64 s[0:1], -1
	s_cbranch_scc1 .LBB56_738
; %bb.733:
	s_cmp_gt_i32 s9, 27
	v_cvt_u32_f64_e32 v6, v[0:1]
	s_cbranch_scc0 .LBB56_735
; %bb.734:
	s_mov_b64 s[0:1], 0
	global_store_dword v[4:5], v6, off
.LBB56_735:
	s_andn2_b64 vcc, exec, s[0:1]
	s_cbranch_vccnz .LBB56_737
; %bb.736:
	global_store_short v[4:5], v6, off
.LBB56_737:
	s_mov_b64 s[0:1], 0
.LBB56_738:
	s_andn2_b64 vcc, exec, s[0:1]
	s_cbranch_vccnz .LBB56_746
; %bb.739:
	v_cvt_f32_f64_e32 v6, v[0:1]
	v_and_b32_e32 v7, 0x7fffffff, v6
	s_mov_b32 s0, 0x43800000
	v_cmp_gt_u32_e32 vcc, s0, v7
	v_mov_b32_e32 v8, 0x80
	s_and_saveexec_b64 s[0:1], vcc
	s_cbranch_execz .LBB56_745
; %bb.740:
	s_mov_b32 s4, 0x3bffffff
	v_cmp_lt_u32_e32 vcc, s4, v7
	s_mov_b64 s[4:5], 0
                                        ; implicit-def: $vgpr7
	s_and_saveexec_b64 s[6:7], vcc
	s_xor_b64 s[6:7], exec, s[6:7]
	s_cbranch_execz .LBB56_863
; %bb.741:
	v_bfe_u32 v7, v6, 20, 1
	s_mov_b32 s10, 0x487ffff
	v_add3_u32 v7, v6, v7, s10
	s_mov_b64 s[4:5], exec
	v_lshrrev_b32_e32 v7, 20, v7
	s_andn2_saveexec_b64 s[6:7], s[6:7]
	s_cbranch_execnz .LBB56_864
.LBB56_742:
	s_or_b64 exec, exec, s[6:7]
	v_mov_b32_e32 v8, 0
	s_and_saveexec_b64 s[6:7], s[4:5]
.LBB56_743:
	v_lshrrev_b32_e32 v6, 24, v6
	s_movk_i32 s4, 0x80
	v_and_or_b32 v8, v6, s4, v7
.LBB56_744:
	s_or_b64 exec, exec, s[6:7]
.LBB56_745:
	s_or_b64 exec, exec, s[0:1]
	global_store_byte v[4:5], v8, off
.LBB56_746:
	s_mov_b64 s[0:1], -1
.LBB56_747:
	s_mov_b64 s[4:5], 0
.LBB56_748:
	s_and_b64 vcc, exec, s[4:5]
	s_cbranch_vccz .LBB56_789
; %bb.749:
	s_cmp_gt_i32 s9, 22
	s_mov_b64 s[4:5], -1
	s_cbranch_scc0 .LBB56_781
; %bb.750:
	s_cmp_lt_i32 s9, 24
	s_mov_b64 s[0:1], -1
	s_cbranch_scc1 .LBB56_770
; %bb.751:
	s_cmp_gt_i32 s9, 24
	s_cbranch_scc0 .LBB56_759
; %bb.752:
	v_cvt_f32_f64_e32 v6, v[0:1]
	v_and_b32_e32 v7, 0x7fffffff, v6
	s_mov_b32 s0, 0x47800000
	v_cmp_gt_u32_e32 vcc, s0, v7
	v_mov_b32_e32 v8, 0x80
	s_and_saveexec_b64 s[0:1], vcc
	s_cbranch_execz .LBB56_758
; %bb.753:
	s_mov_b32 s4, 0x37ffffff
	v_cmp_lt_u32_e32 vcc, s4, v7
	s_mov_b64 s[4:5], 0
                                        ; implicit-def: $vgpr7
	s_and_saveexec_b64 s[6:7], vcc
	s_xor_b64 s[6:7], exec, s[6:7]
	s_cbranch_execz .LBB56_866
; %bb.754:
	v_bfe_u32 v7, v6, 21, 1
	s_mov_b32 s10, 0x88fffff
	v_add3_u32 v7, v6, v7, s10
	s_mov_b64 s[4:5], exec
	v_lshrrev_b32_e32 v7, 21, v7
	s_andn2_saveexec_b64 s[6:7], s[6:7]
	s_cbranch_execnz .LBB56_867
.LBB56_755:
	s_or_b64 exec, exec, s[6:7]
	v_mov_b32_e32 v8, 0
	s_and_saveexec_b64 s[6:7], s[4:5]
.LBB56_756:
	v_lshrrev_b32_e32 v6, 24, v6
	s_movk_i32 s4, 0x80
	v_and_or_b32 v8, v6, s4, v7
.LBB56_757:
	s_or_b64 exec, exec, s[6:7]
.LBB56_758:
	s_or_b64 exec, exec, s[0:1]
	s_mov_b64 s[0:1], 0
	global_store_byte v[4:5], v8, off
.LBB56_759:
	s_and_b64 vcc, exec, s[0:1]
	s_cbranch_vccz .LBB56_769
; %bb.760:
	v_cvt_f32_f64_e32 v6, v[0:1]
	v_and_b32_e32 v8, 0x7fffffff, v6
	s_mov_b32 s0, 0x43f00000
	v_cmp_gt_u32_e32 vcc, s0, v8
                                        ; implicit-def: $vgpr7
	s_and_saveexec_b64 s[0:1], vcc
	s_xor_b64 s[0:1], exec, s[0:1]
	s_cbranch_execz .LBB56_766
; %bb.761:
	s_mov_b32 s4, 0x3c7fffff
	v_cmp_lt_u32_e32 vcc, s4, v8
                                        ; implicit-def: $vgpr7
	s_and_saveexec_b64 s[4:5], vcc
	s_xor_b64 s[4:5], exec, s[4:5]
; %bb.762:
	v_bfe_u32 v7, v6, 20, 1
	s_mov_b32 s6, 0x407ffff
	v_add3_u32 v7, v6, v7, s6
	v_lshrrev_b32_e32 v8, 20, v7
	v_and_b32_e32 v7, 0xff00000, v7
	s_mov_b32 s6, 0x7f00000
	v_mov_b32_e32 v9, 0x7e
	v_cmp_ne_u32_e32 vcc, s6, v7
	s_nop 1
	v_cndmask_b32_e32 v7, v9, v8, vcc
; %bb.763:
	s_andn2_saveexec_b64 s[4:5], s[4:5]
; %bb.764:
	s_mov_b32 s6, 0x46800000
	v_add_f32_e64 v7, |v6|, s6
; %bb.765:
	s_or_b64 exec, exec, s[4:5]
                                        ; implicit-def: $vgpr8
.LBB56_766:
	s_andn2_saveexec_b64 s[0:1], s[0:1]
; %bb.767:
	s_mov_b32 s4, 0x7f800000
	v_mov_b32_e32 v7, 0x7e
	v_mov_b32_e32 v9, 0x7f
	v_cmp_lt_u32_e32 vcc, s4, v8
	s_nop 1
	v_cndmask_b32_e32 v7, v7, v9, vcc
; %bb.768:
	s_or_b64 exec, exec, s[0:1]
	v_lshrrev_b32_e32 v6, 24, v6
	s_movk_i32 s0, 0x80
	v_and_or_b32 v6, v6, s0, v7
	global_store_byte v[4:5], v6, off
.LBB56_769:
	s_mov_b64 s[0:1], 0
.LBB56_770:
	s_andn2_b64 vcc, exec, s[0:1]
	s_cbranch_vccnz .LBB56_780
; %bb.771:
	v_cvt_f32_f64_e32 v6, v[0:1]
	v_and_b32_e32 v8, 0x7fffffff, v6
	s_mov_b32 s0, 0x47800000
	v_cmp_gt_u32_e32 vcc, s0, v8
                                        ; implicit-def: $vgpr7
	s_and_saveexec_b64 s[0:1], vcc
	s_xor_b64 s[0:1], exec, s[0:1]
	s_cbranch_execz .LBB56_777
; %bb.772:
	s_mov_b32 s4, 0x387fffff
	v_cmp_lt_u32_e32 vcc, s4, v8
                                        ; implicit-def: $vgpr7
	s_and_saveexec_b64 s[4:5], vcc
	s_xor_b64 s[4:5], exec, s[4:5]
; %bb.773:
	v_bfe_u32 v7, v6, 21, 1
	s_mov_b32 s6, 0x80fffff
	v_add3_u32 v7, v6, v7, s6
	v_lshrrev_b32_e32 v7, 21, v7
; %bb.774:
	s_andn2_saveexec_b64 s[4:5], s[4:5]
; %bb.775:
	s_mov_b32 s6, 0x43000000
	v_add_f32_e64 v7, |v6|, s6
; %bb.776:
	s_or_b64 exec, exec, s[4:5]
                                        ; implicit-def: $vgpr8
.LBB56_777:
	s_andn2_saveexec_b64 s[0:1], s[0:1]
; %bb.778:
	s_mov_b32 s4, 0x7f800000
	v_mov_b32_e32 v7, 0x7c
	v_mov_b32_e32 v9, 0x7f
	v_cmp_lt_u32_e32 vcc, s4, v8
	s_nop 1
	v_cndmask_b32_e32 v7, v7, v9, vcc
; %bb.779:
	s_or_b64 exec, exec, s[0:1]
	v_lshrrev_b32_e32 v6, 24, v6
	s_movk_i32 s0, 0x80
	v_and_or_b32 v6, v6, s0, v7
	global_store_byte v[4:5], v6, off
.LBB56_780:
	s_mov_b64 s[4:5], 0
	s_mov_b64 s[0:1], -1
.LBB56_781:
	s_andn2_b64 vcc, exec, s[4:5]
	s_cbranch_vccnz .LBB56_789
; %bb.782:
	s_cmp_gt_i32 s9, 14
	s_mov_b64 s[4:5], -1
	s_cbranch_scc0 .LBB56_786
; %bb.783:
	s_cmp_eq_u32 s9, 15
	s_mov_b64 s[2:3], -1
	s_cbranch_scc0 .LBB56_785
; %bb.784:
	v_cvt_f32_f64_e32 v6, v[0:1]
	v_bfe_u32 v7, v6, 16, 1
	s_movk_i32 s0, 0x7fff
	v_add3_u32 v7, v6, v7, s0
	v_cmp_o_f32_e32 vcc, v6, v6
	v_mov_b32_e32 v6, 0x7fc0
	s_mov_b64 s[0:1], -1
	v_cndmask_b32_sdwa v6, v6, v7, vcc dst_sel:DWORD dst_unused:UNUSED_PAD src0_sel:DWORD src1_sel:WORD_1
	global_store_short v[4:5], v6, off
	s_mov_b64 s[2:3], 0
.LBB56_785:
	s_mov_b64 s[4:5], 0
.LBB56_786:
	s_and_b64 vcc, exec, s[4:5]
	s_cbranch_vccz .LBB56_789
; %bb.787:
	s_cmp_eq_u32 s9, 11
	s_mov_b64 s[2:3], -1
	s_cbranch_scc0 .LBB56_789
; %bb.788:
	v_cmp_neq_f64_e32 vcc, 0, v[0:1]
	v_cmp_neq_f64_e64 s[0:1], 0, v[2:3]
	s_or_b64 s[0:1], vcc, s[0:1]
	s_mov_b64 s[2:3], 0
	v_cndmask_b32_e64 v6, 0, 1, s[0:1]
	s_mov_b64 s[0:1], -1
	global_store_byte v[4:5], v6, off
.LBB56_789:
	s_mov_b64 s[4:5], 0
.LBB56_790:
	s_and_b64 vcc, exec, s[4:5]
	s_cbranch_vccz .LBB56_829
; %bb.791:
	s_and_b32 s4, 0xffff, s8
	s_cmp_lt_i32 s4, 5
	s_mov_b64 s[0:1], -1
	s_cbranch_scc1 .LBB56_812
; %bb.792:
	s_cmp_lt_i32 s4, 8
	s_cbranch_scc1 .LBB56_802
; %bb.793:
	s_cmp_lt_i32 s4, 9
	s_cbranch_scc1 .LBB56_799
; %bb.794:
	s_cmp_gt_i32 s4, 9
	s_cbranch_scc0 .LBB56_796
; %bb.795:
	s_mov_b64 s[0:1], 0
	global_store_dwordx4 v[4:5], v[0:3], off
.LBB56_796:
	s_andn2_b64 vcc, exec, s[0:1]
	s_cbranch_vccnz .LBB56_798
; %bb.797:
	v_cvt_f32_f64_e32 v7, v[2:3]
	v_cvt_f32_f64_e32 v6, v[0:1]
	global_store_dwordx2 v[4:5], v[6:7], off
.LBB56_798:
	s_mov_b64 s[0:1], 0
.LBB56_799:
	s_andn2_b64 vcc, exec, s[0:1]
	s_cbranch_vccnz .LBB56_801
; %bb.800:
	s_movk_i32 s0, 0x1ff
	v_and_or_b32 v6, v1, s0, v0
	v_cmp_ne_u32_e32 vcc, 0, v6
	v_lshrrev_b32_e32 v7, 8, v1
	s_movk_i32 s1, 0xffe
	v_cndmask_b32_e64 v6, 0, 1, vcc
	v_bfe_u32 v8, v1, 20, 11
	v_and_or_b32 v6, v7, s1, v6
	v_sub_u32_e32 v9, 0x3f1, v8
	v_or_b32_e32 v7, 0x1000, v6
	v_med3_i32 v9, v9, 0, 13
	v_lshrrev_b32_e32 v10, v9, v7
	v_lshlrev_b32_e32 v9, v9, v10
	v_cmp_ne_u32_e32 vcc, v9, v7
	v_add_u32_e32 v8, 0xfffffc10, v8
	v_lshl_or_b32 v9, v8, 12, v6
	v_cndmask_b32_e64 v7, 0, 1, vcc
	v_or_b32_e32 v7, v10, v7
	v_cmp_gt_i32_e32 vcc, 1, v8
	s_movk_i32 s5, 0x40f
	v_and_or_b32 v2, v3, s0, v2
	v_cndmask_b32_e32 v7, v9, v7, vcc
	v_and_b32_e32 v9, 7, v7
	v_cmp_lt_i32_e32 vcc, 5, v9
	v_lshrrev_b32_e32 v7, 2, v7
	v_bfe_u32 v11, v3, 20, 11
	v_cndmask_b32_e64 v10, 0, 1, vcc
	v_cmp_eq_u32_e32 vcc, 3, v9
	v_sub_u32_e32 v12, 0x3f1, v11
	v_med3_i32 v12, v12, 0, 13
	v_cndmask_b32_e64 v9, 0, 1, vcc
	v_or_b32_e32 v9, v9, v10
	v_add_u32_e32 v7, v7, v9
	v_mov_b32_e32 v9, 0x7c00
	v_cmp_gt_i32_e32 vcc, 31, v8
	v_mov_b32_e32 v10, 0x7e00
	v_add_u32_e32 v11, 0xfffffc10, v11
	v_cndmask_b32_e32 v7, v9, v7, vcc
	v_cmp_ne_u32_e32 vcc, 0, v6
	s_mov_b32 s6, 0x8000
	s_mov_b32 s0, 0xffff
	v_cndmask_b32_e32 v6, v9, v10, vcc
	v_cmp_eq_u32_e32 vcc, s5, v8
	v_lshrrev_b32_e32 v8, 8, v3
	v_lshrrev_b32_e32 v3, 16, v3
	v_cndmask_b32_e32 v6, v7, v6, vcc
	v_cmp_ne_u32_e32 vcc, 0, v2
	v_and_b32_sdwa v7, v1, s6 dst_sel:DWORD dst_unused:UNUSED_PAD src0_sel:WORD_1 src1_sel:DWORD
	s_nop 0
	v_cndmask_b32_e64 v2, 0, 1, vcc
	v_and_or_b32 v2, v8, s1, v2
	v_or_b32_e32 v8, 0x1000, v2
	v_lshrrev_b32_e32 v13, v12, v8
	v_lshlrev_b32_e32 v12, v12, v13
	v_cmp_ne_u32_e32 vcc, v12, v8
	v_lshl_or_b32 v12, v11, 12, v2
	s_nop 0
	v_cndmask_b32_e64 v8, 0, 1, vcc
	v_or_b32_e32 v8, v13, v8
	v_cmp_gt_i32_e32 vcc, 1, v11
	s_nop 1
	v_cndmask_b32_e32 v8, v12, v8, vcc
	v_and_b32_e32 v12, 7, v8
	v_cmp_lt_i32_e32 vcc, 5, v12
	v_lshrrev_b32_e32 v8, 2, v8
	s_nop 0
	v_cndmask_b32_e64 v13, 0, 1, vcc
	v_cmp_eq_u32_e32 vcc, 3, v12
	s_nop 1
	v_cndmask_b32_e64 v12, 0, 1, vcc
	v_or_b32_e32 v12, v12, v13
	v_add_u32_e32 v8, v8, v12
	v_cmp_gt_i32_e32 vcc, 31, v11
	s_nop 1
	v_cndmask_b32_e32 v8, v9, v8, vcc
	v_cmp_ne_u32_e32 vcc, 0, v2
	s_nop 1
	v_cndmask_b32_e32 v2, v9, v10, vcc
	v_cmp_eq_u32_e32 vcc, s5, v11
	s_nop 1
	v_cndmask_b32_e32 v2, v8, v2, vcc
	v_and_or_b32 v2, v3, s6, v2
	v_bitop3_b32 v3, v7, s0, v6 bitop3:0xc8
	v_lshl_or_b32 v2, v2, 16, v3
	global_store_dword v[4:5], v2, off
.LBB56_801:
	s_mov_b64 s[0:1], 0
.LBB56_802:
	s_andn2_b64 vcc, exec, s[0:1]
	s_cbranch_vccnz .LBB56_811
; %bb.803:
	s_cmp_lt_i32 s4, 6
	s_mov_b64 s[0:1], -1
	s_cbranch_scc1 .LBB56_809
; %bb.804:
	s_cmp_gt_i32 s4, 6
	s_cbranch_scc0 .LBB56_806
; %bb.805:
	s_mov_b64 s[0:1], 0
	global_store_dwordx2 v[4:5], v[0:1], off
.LBB56_806:
	s_andn2_b64 vcc, exec, s[0:1]
	s_cbranch_vccnz .LBB56_808
; %bb.807:
	v_cvt_f32_f64_e32 v2, v[0:1]
	global_store_dword v[4:5], v2, off
.LBB56_808:
	s_mov_b64 s[0:1], 0
.LBB56_809:
	s_andn2_b64 vcc, exec, s[0:1]
	s_cbranch_vccnz .LBB56_811
; %bb.810:
	s_movk_i32 s0, 0x1ff
	v_and_or_b32 v2, v1, s0, v0
	v_cmp_ne_u32_e32 vcc, 0, v2
	v_lshrrev_b32_e32 v3, 8, v1
	s_movk_i32 s0, 0xffe
	v_cndmask_b32_e64 v2, 0, 1, vcc
	v_bfe_u32 v6, v1, 20, 11
	v_and_or_b32 v2, v3, s0, v2
	v_sub_u32_e32 v7, 0x3f1, v6
	v_or_b32_e32 v3, 0x1000, v2
	v_med3_i32 v7, v7, 0, 13
	v_lshrrev_b32_e32 v8, v7, v3
	v_lshlrev_b32_e32 v7, v7, v8
	v_cmp_ne_u32_e32 vcc, v7, v3
	v_add_u32_e32 v6, 0xfffffc10, v6
	v_lshl_or_b32 v7, v6, 12, v2
	v_cndmask_b32_e64 v3, 0, 1, vcc
	v_or_b32_e32 v3, v8, v3
	v_cmp_gt_i32_e32 vcc, 1, v6
	s_movk_i32 s0, 0x40f
	s_nop 0
	v_cndmask_b32_e32 v3, v7, v3, vcc
	v_and_b32_e32 v7, 7, v3
	v_cmp_lt_i32_e32 vcc, 5, v7
	v_lshrrev_b32_e32 v3, 2, v3
	s_nop 0
	v_cndmask_b32_e64 v8, 0, 1, vcc
	v_cmp_eq_u32_e32 vcc, 3, v7
	s_nop 1
	v_cndmask_b32_e64 v7, 0, 1, vcc
	v_or_b32_e32 v7, v7, v8
	v_add_u32_e32 v3, v3, v7
	v_mov_b32_e32 v7, 0x7c00
	v_cmp_gt_i32_e32 vcc, 31, v6
	v_mov_b32_e32 v8, 0x7e00
	s_nop 0
	v_cndmask_b32_e32 v3, v7, v3, vcc
	v_cmp_ne_u32_e32 vcc, 0, v2
	s_nop 1
	v_cndmask_b32_e32 v2, v7, v8, vcc
	v_cmp_eq_u32_e32 vcc, s0, v6
	s_mov_b32 s0, 0x8000
	s_nop 0
	v_cndmask_b32_e32 v2, v3, v2, vcc
	v_lshrrev_b32_e32 v3, 16, v1
	v_and_or_b32 v2, v3, s0, v2
	global_store_short v[4:5], v2, off
.LBB56_811:
	s_mov_b64 s[0:1], 0
.LBB56_812:
	s_andn2_b64 vcc, exec, s[0:1]
	s_cbranch_vccnz .LBB56_828
; %bb.813:
	s_cmp_lt_i32 s4, 2
	s_mov_b64 s[0:1], -1
	s_cbranch_scc1 .LBB56_823
; %bb.814:
	s_cmp_lt_i32 s4, 3
	s_cbranch_scc1 .LBB56_820
; %bb.815:
	s_cmp_gt_i32 s4, 3
	s_cbranch_scc0 .LBB56_817
; %bb.816:
	v_trunc_f64_e32 v[2:3], v[0:1]
	s_movk_i32 s0, 0xffe0
	v_ldexp_f64 v[6:7], v[2:3], s0
	v_floor_f64_e32 v[6:7], v[6:7]
	v_fmac_f64_e32 v[2:3], 0xc1f00000, v[6:7]
	v_cvt_i32_f64_e32 v9, v[6:7]
	v_cvt_u32_f64_e32 v8, v[2:3]
	s_mov_b64 s[0:1], 0
	global_store_dwordx2 v[4:5], v[8:9], off
.LBB56_817:
	s_andn2_b64 vcc, exec, s[0:1]
	s_cbranch_vccnz .LBB56_819
; %bb.818:
	v_cvt_i32_f64_e32 v2, v[0:1]
	global_store_dword v[4:5], v2, off
.LBB56_819:
	s_mov_b64 s[0:1], 0
.LBB56_820:
	s_andn2_b64 vcc, exec, s[0:1]
	s_cbranch_vccnz .LBB56_822
; %bb.821:
	v_cvt_i32_f64_e32 v2, v[0:1]
	global_store_short v[4:5], v2, off
.LBB56_822:
	s_mov_b64 s[0:1], 0
.LBB56_823:
	s_andn2_b64 vcc, exec, s[0:1]
	s_cbranch_vccnz .LBB56_828
; %bb.824:
	s_cmp_gt_i32 s4, 0
	s_mov_b64 s[0:1], -1
	s_cbranch_scc0 .LBB56_826
; %bb.825:
	v_cvt_i32_f64_e32 v2, v[0:1]
	s_mov_b64 s[0:1], 0
	global_store_byte v[4:5], v2, off
.LBB56_826:
	s_andn2_b64 vcc, exec, s[0:1]
	s_cbranch_vccnz .LBB56_828
; %bb.827:
	v_trunc_f64_e32 v[0:1], v[0:1]
	s_movk_i32 s0, 0xffe0
	v_ldexp_f64 v[2:3], v[0:1], s0
	v_floor_f64_e32 v[2:3], v[2:3]
	v_fmac_f64_e32 v[0:1], 0xc1f00000, v[2:3]
	v_cvt_u32_f64_e32 v0, v[0:1]
	global_store_byte v[4:5], v0, off
.LBB56_828:
	s_mov_b64 s[0:1], -1
.LBB56_829:
	s_andn2_b64 vcc, exec, s[0:1]
	s_cbranch_vccnz .LBB56_831
; %bb.830:
	v_add_u32_e32 v36, 0x80, v36
	s_mov_b64 s[0:1], -1
	s_branch .LBB56_833
.LBB56_831:
	s_mov_b64 s[0:1], 0
.LBB56_832:
                                        ; implicit-def: $vgpr36
.LBB56_833:
	s_andn2_b64 s[4:5], s[76:77], exec
	s_and_b64 s[2:3], s[2:3], exec
	s_or_b64 s[22:23], s[4:5], s[2:3]
	s_andn2_b64 s[2:3], s[74:75], exec
	s_and_b64 s[4:5], s[82:83], exec
	s_or_b64 s[20:21], s[2:3], s[4:5]
	s_orn2_b64 s[2:3], s[0:1], exec
.LBB56_834:
	s_or_b64 exec, exec, s[80:81]
	s_mov_b64 s[0:1], 0
	s_mov_b64 s[4:5], 0
	;; [unrolled: 1-line block ×3, first 2 shown]
                                        ; implicit-def: $vgpr0_vgpr1
                                        ; implicit-def: $vgpr34
                                        ; implicit-def: $vgpr6_vgpr7
	s_and_saveexec_b64 s[24:25], s[2:3]
	s_cbranch_execz .LBB56_937
; %bb.835:
	v_cmp_gt_i32_e32 vcc, s86, v36
	s_mov_b64 s[2:3], 0
	s_mov_b64 s[8:9], s[20:21]
                                        ; implicit-def: $vgpr0_vgpr1
                                        ; implicit-def: $vgpr34
                                        ; implicit-def: $vgpr6_vgpr7
	s_and_saveexec_b64 s[26:27], vcc
	s_cbranch_execz .LBB56_936
; %bb.836:
	s_andn2_b64 vcc, exec, s[56:57]
	s_cbranch_vccnz .LBB56_842
; %bb.837:
	s_andn2_b64 vcc, exec, s[66:67]
	s_cbranch_vccnz .LBB56_843
; %bb.838:
	s_add_i32 s87, s87, 1
	s_cmp_eq_u32 s43, 2
	s_cbranch_scc1 .LBB56_844
; %bb.839:
	s_and_b32 s30, s87, 28
	s_mov_b32 s31, 0
	v_mov_b32_e32 v34, 0
	s_waitcnt vmcnt(0)
	v_mov_b32_e32 v0, 0
	s_mov_b64 s[28:29], s[52:53]
	v_mov_b32_e32 v2, v36
.LBB56_840:                             ; =>This Inner Loop Header: Depth=1
	s_load_dwordx8 s[8:15], s[28:29], 0x4
	s_load_dwordx4 s[16:19], s[28:29], 0x24
	s_load_dwordx8 s[0:7], s[64:65], 0x0
	s_add_u32 s28, s28, 48
	s_addc_u32 s29, s29, 0
	s_waitcnt lgkmcnt(0)
	v_mul_hi_u32 v1, s9, v2
	v_add_u32_e32 v1, v2, v1
	v_lshrrev_b32_e32 v1, s10, v1
	v_mul_lo_u32 v3, v1, s8
	v_mul_hi_u32 v4, s12, v1
	v_sub_u32_e32 v2, v2, v3
	v_add_u32_e32 v3, v1, v4
	v_lshrrev_b32_e32 v3, s13, v3
	v_mul_lo_u32 v5, v3, s11
	v_mul_hi_u32 v6, s15, v3
	v_sub_u32_e32 v1, v1, v5
	v_add_u32_e32 v5, v3, v6
	v_mul_lo_u32 v4, v2, s1
	v_mul_lo_u32 v2, v2, s0
	;; [unrolled: 1-line block ×4, first 2 shown]
	v_lshrrev_b32_e32 v5, s16, v5
	v_add3_u32 v1, v2, v34, v1
	v_add3_u32 v0, v4, v0, v6
	v_mul_lo_u32 v2, v5, s14
	v_mul_hi_u32 v4, s18, v5
	v_sub_u32_e32 v2, v3, v2
	v_add_u32_e32 v3, v5, v4
	v_mul_lo_u32 v4, v2, s4
	v_mul_lo_u32 v6, v2, s5
	v_lshrrev_b32_e32 v2, s19, v3
	s_add_i32 s31, s31, 4
	v_mul_lo_u32 v3, v2, s17
	s_add_u32 s64, s64, 32
	v_sub_u32_e32 v3, v5, v3
	s_addc_u32 s65, s65, 0
	v_mul_lo_u32 v5, v3, s6
	v_mul_lo_u32 v3, v3, s7
	s_cmp_eq_u32 s30, s31
	v_add3_u32 v0, v6, v0, v3
	v_add3_u32 v34, v4, v1, v5
	s_cbranch_scc0 .LBB56_840
; %bb.841:
	v_mov_b32_e32 v1, v0
	s_branch .LBB56_845
.LBB56_842:
	s_mov_b64 s[0:1], -1
                                        ; implicit-def: $vgpr0
                                        ; implicit-def: $vgpr34
	s_branch .LBB56_849
.LBB56_843:
	s_waitcnt vmcnt(0)
	v_mov_b32_e32 v0, 0
	v_mov_b32_e32 v34, 0
	s_branch .LBB56_848
.LBB56_844:
	v_mov_b32_e32 v34, 0
	s_mov_b32 s30, 0
	s_waitcnt vmcnt(0)
	v_mov_b32_e32 v1, v34
                                        ; implicit-def: $vgpr0
	v_mov_b32_e32 v2, v36
.LBB56_845:
	s_and_b32 s4, s87, 3
	s_cmp_eq_u32 s4, 0
	s_cbranch_scc1 .LBB56_848
; %bb.846:
	s_lshl_b32 s0, s30, 3
	s_add_u32 s0, s52, s0
	s_addc_u32 s1, s53, 0
	s_add_u32 s0, s0, 0xc4
	s_addc_u32 s1, s1, 0
	s_mul_i32 s2, s30, 12
	s_add_u32 s2, s52, s2
	s_addc_u32 s3, s53, 0
.LBB56_847:                             ; =>This Inner Loop Header: Depth=1
	s_load_dwordx2 s[6:7], s[2:3], 0x4
	s_load_dword s5, s[2:3], 0xc
	s_load_dwordx2 s[8:9], s[0:1], 0x0
	v_mov_b32_e32 v0, v1
	s_add_u32 s2, s2, 12
	s_waitcnt lgkmcnt(0)
	v_mul_hi_u32 v1, s7, v2
	v_add_u32_e32 v1, v2, v1
	v_lshrrev_b32_e32 v1, s5, v1
	s_addc_u32 s3, s3, 0
	v_mul_lo_u32 v3, v1, s6
	s_add_u32 s0, s0, 8
	v_sub_u32_e32 v3, v2, v3
	s_addc_u32 s1, s1, 0
	s_add_i32 s4, s4, -1
	v_mov_b32_e32 v2, v1
	v_mad_u64_u32 v[0:1], s[6:7], v3, s9, v[0:1]
	s_cmp_lg_u32 s4, 0
	v_mad_u64_u32 v[34:35], s[6:7], v3, s8, v[34:35]
	v_mov_b32_e32 v1, v0
	s_cbranch_scc1 .LBB56_847
.LBB56_848:
	s_mov_b64 s[0:1], 0
.LBB56_849:
	s_andn2_b64 vcc, exec, s[0:1]
	s_cbranch_vccnz .LBB56_852
; %bb.850:
	s_waitcnt vmcnt(0) lgkmcnt(0)
	v_mul_hi_u32 v0, s49, v36
	v_add_u32_e32 v0, v36, v0
	v_lshrrev_b32_e32 v1, s50, v0
	v_mul_lo_u32 v0, v1, s48
	v_sub_u32_e32 v2, v36, v0
	v_mul_lo_u32 v0, v2, s45
	s_andn2_b64 vcc, exec, s[62:63]
	v_mul_lo_u32 v34, v2, s44
	s_cbranch_vccnz .LBB56_852
; %bb.851:
	v_mul_hi_u32 v2, s60, v1
	v_add_u32_e32 v2, v1, v2
	v_lshrrev_b32_e32 v2, s61, v2
	v_mul_lo_u32 v2, v2, s51
	v_sub_u32_e32 v1, v1, v2
	v_mad_u64_u32 v[34:35], s[0:1], v1, s46, v[34:35]
	v_mad_u64_u32 v[0:1], s[0:1], v1, s47, v[0:1]
.LBB56_852:
	s_waitcnt vmcnt(0)
	v_mov_b32_e32 v1, 0
	s_and_b32 s10, 0xffff, s85
	s_cmp_lt_i32 s10, 11
	s_waitcnt lgkmcnt(0)
	v_lshl_add_u64 v[0:1], s[38:39], 0, v[0:1]
	s_cbranch_scc1 .LBB56_859
; %bb.853:
	s_cmp_gt_i32 s10, 25
	s_mov_b64 s[2:3], 0
	s_cbranch_scc0 .LBB56_860
; %bb.854:
	s_cmp_gt_i32 s10, 28
	s_cbranch_scc0 .LBB56_861
; %bb.855:
	s_cmp_gt_i32 s10, 43
	;; [unrolled: 3-line block ×3, first 2 shown]
	s_cbranch_scc0 .LBB56_865
; %bb.857:
	s_cmp_eq_u32 s10, 46
	s_mov_b64 s[6:7], 0
	s_cbranch_scc0 .LBB56_868
; %bb.858:
	global_load_dword v2, v[0:1], off
	s_mov_b64 s[0:1], 0
	s_mov_b64 s[4:5], -1
	s_waitcnt vmcnt(0)
	v_and_b32_e32 v3, 0xffff0000, v2
	v_lshlrev_b32_e32 v2, 16, v2
	v_cvt_f64_f32_e32 v[4:5], v2
	v_cvt_f64_f32_e32 v[6:7], v3
	s_branch .LBB56_869
.LBB56_859:
	s_mov_b64 s[8:9], -1
	s_mov_b64 s[4:5], 0
	s_mov_b64 s[2:3], 0
	;; [unrolled: 1-line block ×3, first 2 shown]
                                        ; implicit-def: $vgpr6_vgpr7
	s_branch .LBB56_935
.LBB56_860:
	s_mov_b64 s[6:7], -1
	s_mov_b64 s[4:5], 0
	s_mov_b64 s[0:1], s[20:21]
                                        ; implicit-def: $vgpr6_vgpr7
	s_branch .LBB56_902
.LBB56_861:
	s_mov_b64 s[6:7], -1
	s_mov_b64 s[4:5], 0
	s_mov_b64 s[0:1], s[20:21]
                                        ; implicit-def: $vgpr6_vgpr7
	s_branch .LBB56_881
.LBB56_862:
	s_mov_b64 s[6:7], -1
	s_mov_b64 s[4:5], 0
	s_mov_b64 s[0:1], s[20:21]
                                        ; implicit-def: $vgpr6_vgpr7
	s_branch .LBB56_875
.LBB56_863:
	s_andn2_saveexec_b64 s[6:7], s[6:7]
	s_cbranch_execz .LBB56_742
.LBB56_864:
	s_mov_b32 s10, 0x46000000
	v_add_f32_e64 v7, |v6|, s10
	v_and_b32_e32 v7, 0xff, v7
	v_cmp_ne_u32_e32 vcc, 0, v7
	s_andn2_b64 s[4:5], s[4:5], exec
	s_and_b64 s[10:11], vcc, exec
	s_or_b64 s[4:5], s[4:5], s[10:11]
	s_or_b64 exec, exec, s[6:7]
	v_mov_b32_e32 v8, 0
	s_and_saveexec_b64 s[6:7], s[4:5]
	s_cbranch_execnz .LBB56_743
	s_branch .LBB56_744
.LBB56_865:
	s_mov_b64 s[6:7], -1
	s_mov_b64 s[4:5], 0
	s_mov_b64 s[0:1], s[20:21]
                                        ; implicit-def: $vgpr6_vgpr7
	s_branch .LBB56_869
.LBB56_866:
	s_andn2_saveexec_b64 s[6:7], s[6:7]
	s_cbranch_execz .LBB56_755
.LBB56_867:
	s_mov_b32 s10, 0x42800000
	v_add_f32_e64 v7, |v6|, s10
	v_and_b32_e32 v7, 0xff, v7
	v_cmp_ne_u32_e32 vcc, 0, v7
	s_andn2_b64 s[4:5], s[4:5], exec
	s_and_b64 s[10:11], vcc, exec
	s_or_b64 s[4:5], s[4:5], s[10:11]
	s_or_b64 exec, exec, s[6:7]
	v_mov_b32_e32 v8, 0
	s_and_saveexec_b64 s[6:7], s[4:5]
	s_cbranch_execnz .LBB56_756
	s_branch .LBB56_757
.LBB56_868:
	s_mov_b64 s[0:1], -1
                                        ; implicit-def: $vgpr6_vgpr7
	s_mov_b64 s[4:5], 0
.LBB56_869:
	s_and_b64 vcc, exec, s[6:7]
	s_cbranch_vccz .LBB56_874
; %bb.870:
	s_cmp_eq_u32 s10, 44
	s_cbranch_scc0 .LBB56_872
; %bb.871:
	global_load_ubyte v4, v[0:1], off
	s_movk_i32 s4, 0xff
	v_bfrev_b32_e32 v5, 4
	v_mov_b32_e32 v6, 0x7ff80000
	v_bfrev_b32_e32 v7, 28
	s_mov_b64 s[0:1], 0
	s_waitcnt vmcnt(0)
	v_lshlrev_b32_e32 v2, 23, v4
	v_cvt_f64_f32_e32 v[2:3], v2
	v_cmp_ne_u32_e32 vcc, s4, v4
	s_mov_b64 s[4:5], -1
	s_nop 0
	v_cndmask_b32_e32 v2, v5, v2, vcc
	v_cndmask_b32_e32 v3, v6, v3, vcc
	v_cmp_ne_u32_e32 vcc, 0, v4
	s_nop 1
	v_cndmask_b32_e32 v5, v7, v3, vcc
	v_cndmask_b32_e32 v4, 0, v2, vcc
	s_branch .LBB56_873
.LBB56_872:
	s_mov_b64 s[0:1], -1
                                        ; implicit-def: $vgpr4_vgpr5
.LBB56_873:
	v_mov_b64_e32 v[6:7], 0
.LBB56_874:
	s_mov_b64 s[6:7], 0
.LBB56_875:
	s_and_b64 vcc, exec, s[6:7]
	s_cbranch_vccz .LBB56_880
; %bb.876:
	s_cmp_eq_u32 s10, 29
	s_cbranch_scc0 .LBB56_878
; %bb.877:
	global_load_dwordx2 v[2:3], v[0:1], off
	s_mov_b64 s[0:1], 0
	s_mov_b64 s[4:5], -1
	s_waitcnt vmcnt(0)
	v_cvt_f64_u32_e32 v[4:5], v3
	v_cvt_f64_u32_e32 v[2:3], v2
	v_ldexp_f64 v[4:5], v[4:5], 32
	v_add_f64 v[4:5], v[4:5], v[2:3]
	s_branch .LBB56_879
.LBB56_878:
	s_mov_b64 s[0:1], -1
                                        ; implicit-def: $vgpr4_vgpr5
.LBB56_879:
	v_mov_b64_e32 v[6:7], 0
.LBB56_880:
	s_mov_b64 s[6:7], 0
.LBB56_881:
	s_and_b64 vcc, exec, s[6:7]
	s_cbranch_vccz .LBB56_901
; %bb.882:
	s_cmp_lt_i32 s10, 27
	s_cbranch_scc1 .LBB56_885
; %bb.883:
	s_cmp_gt_i32 s10, 27
	s_cbranch_scc0 .LBB56_886
; %bb.884:
	global_load_dword v2, v[0:1], off
	s_mov_b64 s[4:5], 0
	s_waitcnt vmcnt(0)
	v_cvt_f64_u32_e32 v[4:5], v2
	s_branch .LBB56_887
.LBB56_885:
	s_mov_b64 s[4:5], -1
                                        ; implicit-def: $vgpr4_vgpr5
	s_branch .LBB56_890
.LBB56_886:
	s_mov_b64 s[4:5], -1
                                        ; implicit-def: $vgpr4_vgpr5
.LBB56_887:
	s_andn2_b64 vcc, exec, s[4:5]
	s_cbranch_vccnz .LBB56_889
; %bb.888:
	global_load_ushort v2, v[0:1], off
	s_waitcnt vmcnt(0)
	v_cvt_f64_u32_e32 v[4:5], v2
.LBB56_889:
	s_mov_b64 s[4:5], 0
.LBB56_890:
	s_andn2_b64 vcc, exec, s[4:5]
	s_cbranch_vccnz .LBB56_900
; %bb.891:
	global_load_ubyte v2, v[0:1], off
	s_movk_i32 s4, 0x7f
	s_waitcnt vmcnt(0)
	v_cmp_lt_i16_e32 vcc, s4, v2
	s_mov_b64 s[4:5], 0
	s_and_saveexec_b64 s[6:7], vcc
	s_xor_b64 s[6:7], exec, s[6:7]
	s_cbranch_execz .LBB56_895
; %bb.892:
	s_movk_i32 s4, 0x80
	v_cmp_eq_u16_e32 vcc, s4, v2
	s_mov_b64 s[4:5], -1
	s_and_saveexec_b64 s[8:9], vcc
; %bb.893:
	s_xor_b64 s[4:5], exec, -1
; %bb.894:
	s_or_b64 exec, exec, s[8:9]
	s_and_b64 s[4:5], s[4:5], exec
.LBB56_895:
	s_or_saveexec_b64 s[6:7], s[6:7]
	v_bfrev_b32_e32 v4, 4
	v_mov_b32_e32 v5, 0x7ff80000
	s_xor_b64 exec, exec, s[6:7]
; %bb.896:
	v_cmp_ne_u16_e32 vcc, 0, v2
	s_andn2_b64 s[4:5], s[4:5], exec
	s_and_b64 s[8:9], vcc, exec
	v_mov_b64_e32 v[4:5], 0
	s_or_b64 s[4:5], s[4:5], s[8:9]
; %bb.897:
	s_or_b64 exec, exec, s[6:7]
	s_and_saveexec_b64 s[6:7], s[4:5]
	s_cbranch_execz .LBB56_899
; %bb.898:
	v_lshlrev_b32_e32 v3, 24, v2
	v_and_b32_e32 v2, 0xffff, v2
	v_and_b32_e32 v4, 7, v2
	v_ffbh_u32_e32 v6, v4
	v_min_u32_e32 v6, 32, v6
	v_subrev_u32_e32 v7, 28, v6
	v_bfe_u32 v5, v2, 3, 4
	v_lshlrev_b32_e32 v2, v7, v2
	v_sub_u32_e32 v6, 29, v6
	v_and_b32_e32 v2, 7, v2
	v_cmp_eq_u32_e32 vcc, 0, v5
	v_and_b32_e32 v3, 0x80000000, v3
	s_nop 0
	v_cndmask_b32_e32 v5, v5, v6, vcc
	v_cndmask_b32_e32 v2, v4, v2, vcc
	v_mov_b32_e32 v4, 0x3b800000
	v_lshlrev_b32_e32 v2, 20, v2
	v_lshl_add_u32 v4, v5, 23, v4
	v_or3_b32 v2, v3, v4, v2
	v_cvt_f64_f32_e32 v[4:5], v2
.LBB56_899:
	s_or_b64 exec, exec, s[6:7]
.LBB56_900:
	s_mov_b64 s[4:5], -1
	v_mov_b64_e32 v[6:7], 0
.LBB56_901:
	s_mov_b64 s[6:7], 0
.LBB56_902:
	s_and_b64 vcc, exec, s[6:7]
	s_cbranch_vccz .LBB56_934
; %bb.903:
	s_cmp_gt_i32 s10, 22
	s_cbranch_scc0 .LBB56_915
; %bb.904:
	s_cmp_lt_i32 s10, 24
	s_cbranch_scc1 .LBB56_916
; %bb.905:
	s_cmp_gt_i32 s10, 24
	s_cbranch_scc0 .LBB56_917
; %bb.906:
	global_load_ubyte v2, v[0:1], off
	s_movk_i32 s2, 0x7f
	s_waitcnt vmcnt(0)
	v_cmp_lt_i16_e32 vcc, s2, v2
	s_mov_b64 s[2:3], 0
	s_and_saveexec_b64 s[4:5], vcc
	s_xor_b64 s[4:5], exec, s[4:5]
	s_cbranch_execz .LBB56_910
; %bb.907:
	s_movk_i32 s2, 0x80
	v_cmp_eq_u16_e32 vcc, s2, v2
	s_mov_b64 s[2:3], -1
	s_and_saveexec_b64 s[6:7], vcc
; %bb.908:
	s_xor_b64 s[2:3], exec, -1
; %bb.909:
	s_or_b64 exec, exec, s[6:7]
	s_and_b64 s[2:3], s[2:3], exec
.LBB56_910:
	s_or_saveexec_b64 s[4:5], s[4:5]
	v_bfrev_b32_e32 v4, 4
	v_mov_b32_e32 v5, 0x7ff80000
	s_xor_b64 exec, exec, s[4:5]
; %bb.911:
	v_cmp_ne_u16_e32 vcc, 0, v2
	s_andn2_b64 s[2:3], s[2:3], exec
	s_and_b64 s[6:7], vcc, exec
	v_mov_b64_e32 v[4:5], 0
	s_or_b64 s[2:3], s[2:3], s[6:7]
; %bb.912:
	s_or_b64 exec, exec, s[4:5]
	s_and_saveexec_b64 s[4:5], s[2:3]
	s_cbranch_execz .LBB56_914
; %bb.913:
	v_lshlrev_b32_e32 v3, 24, v2
	v_and_b32_e32 v2, 0xffff, v2
	v_and_b32_e32 v4, 3, v2
	v_ffbh_u32_e32 v6, v4
	v_min_u32_e32 v6, 32, v6
	v_subrev_u32_e32 v7, 29, v6
	v_bfe_u32 v5, v2, 2, 5
	v_lshlrev_b32_e32 v2, v7, v2
	v_sub_u32_e32 v6, 30, v6
	v_and_b32_e32 v2, 3, v2
	v_cmp_eq_u32_e32 vcc, 0, v5
	v_and_b32_e32 v3, 0x80000000, v3
	s_nop 0
	v_cndmask_b32_e32 v5, v5, v6, vcc
	v_cndmask_b32_e32 v2, v4, v2, vcc
	v_mov_b32_e32 v4, 0x37800000
	v_lshlrev_b32_e32 v2, 21, v2
	v_lshl_add_u32 v4, v5, 23, v4
	v_or3_b32 v2, v3, v4, v2
	v_cvt_f64_f32_e32 v[4:5], v2
.LBB56_914:
	s_or_b64 exec, exec, s[4:5]
	s_mov_b64 s[2:3], 0
	s_branch .LBB56_918
.LBB56_915:
	s_mov_b64 s[2:3], -1
                                        ; implicit-def: $vgpr4_vgpr5
	s_branch .LBB56_924
.LBB56_916:
	s_mov_b64 s[2:3], -1
                                        ; implicit-def: $vgpr4_vgpr5
	s_branch .LBB56_921
.LBB56_917:
	s_mov_b64 s[2:3], -1
                                        ; implicit-def: $vgpr4_vgpr5
.LBB56_918:
	s_and_b64 vcc, exec, s[2:3]
	s_cbranch_vccz .LBB56_920
; %bb.919:
	global_load_ubyte v2, v[0:1], off
	s_mov_b32 s2, 0x7f800000
	s_waitcnt vmcnt(0)
	v_lshlrev_b32_e32 v2, 24, v2
	v_and_b32_e32 v3, 0x7f000000, v2
	v_ffbh_u32_e32 v4, v3
	v_min_u32_e32 v4, 32, v4
	v_sub_u32_e64 v4, v4, 4 clamp
	v_lshlrev_b32_e32 v6, v4, v3
	v_lshlrev_b32_e32 v4, 23, v4
	v_lshrrev_b32_e32 v6, 4, v6
	v_add_u32_e32 v5, 0x1000000, v3
	v_sub_u32_e32 v4, v6, v4
	v_ashrrev_i32_e32 v5, 8, v5
	v_add_u32_e32 v4, 0x3c000000, v4
	v_and_or_b32 v4, v5, s2, v4
	v_cmp_ne_u32_e32 vcc, 0, v3
	s_brev_b32 s2, 1
	s_nop 0
	v_cndmask_b32_e32 v3, 0, v4, vcc
	v_and_or_b32 v2, v2, s2, v3
	v_cvt_f64_f32_e32 v[4:5], v2
.LBB56_920:
	s_mov_b64 s[2:3], 0
.LBB56_921:
	s_andn2_b64 vcc, exec, s[2:3]
	s_cbranch_vccnz .LBB56_923
; %bb.922:
	global_load_ubyte v2, v[0:1], off
	s_movk_i32 s2, 0x7f00
	s_brev_b32 s3, 16
	s_waitcnt vmcnt(0)
	v_lshlrev_b16_e32 v3, 8, v2
	v_lshlrev_b32_e32 v2, 25, v2
	v_lshrrev_b32_e32 v4, 4, v2
	v_and_or_b32 v5, v3, s2, 0.5
	v_or_b32_e32 v4, 0x70000000, v4
	v_add_f32_e32 v5, -0.5, v5
	v_mul_f32_e32 v4, 0x7800000, v4
	v_cmp_gt_u32_e32 vcc, s3, v2
	v_bfe_i32 v3, v3, 0, 16
	s_brev_b32 s2, 1
	v_cndmask_b32_e32 v2, v4, v5, vcc
	v_and_or_b32 v2, v3, s2, v2
	v_cvt_f64_f32_e32 v[4:5], v2
.LBB56_923:
	s_mov_b64 s[2:3], 0
	s_mov_b64 s[4:5], -1
.LBB56_924:
	s_andn2_b64 vcc, exec, s[2:3]
	s_mov_b64 s[2:3], 0
	s_cbranch_vccnz .LBB56_933
; %bb.925:
	s_cmp_gt_i32 s10, 14
	s_cbranch_scc0 .LBB56_928
; %bb.926:
	s_cmp_eq_u32 s10, 15
	s_cbranch_scc0 .LBB56_929
; %bb.927:
	global_load_ushort v2, v[0:1], off
	s_mov_b64 s[0:1], 0
	s_mov_b64 s[4:5], -1
	s_waitcnt vmcnt(0)
	v_lshlrev_b32_e32 v2, 16, v2
	v_cvt_f64_f32_e32 v[4:5], v2
	s_branch .LBB56_930
.LBB56_928:
	s_mov_b64 s[6:7], -1
                                        ; implicit-def: $vgpr4_vgpr5
	s_branch .LBB56_931
.LBB56_929:
	s_mov_b64 s[0:1], -1
                                        ; implicit-def: $vgpr4_vgpr5
.LBB56_930:
	s_mov_b64 s[6:7], 0
.LBB56_931:
	s_and_b64 vcc, exec, s[6:7]
	s_cbranch_vccz .LBB56_933
; %bb.932:
	s_cmp_lg_u32 s10, 11
	s_cselect_b64 s[6:7], -1, 0
	s_andn2_b64 s[0:1], s[0:1], exec
	s_and_b64 s[6:7], s[6:7], exec
	s_mov_b64 s[2:3], -1
	s_or_b64 s[0:1], s[0:1], s[6:7]
.LBB56_933:
	v_mov_b64_e32 v[6:7], 0
.LBB56_934:
	s_mov_b64 s[8:9], 0
.LBB56_935:
	s_and_b64 s[6:7], s[4:5], exec
	s_and_b64 s[4:5], s[8:9], exec
	s_andn2_b64 s[8:9], s[20:21], exec
	s_and_b64 s[0:1], s[0:1], exec
	s_and_b64 s[2:3], s[2:3], exec
	s_or_b64 s[8:9], s[8:9], s[0:1]
.LBB56_936:
	s_or_b64 exec, exec, s[26:27]
	s_and_b64 s[0:1], s[2:3], exec
	s_andn2_b64 s[2:3], s[20:21], exec
	s_and_b64 s[8:9], s[8:9], exec
	s_and_b64 s[6:7], s[6:7], exec
	;; [unrolled: 1-line block ×3, first 2 shown]
	s_or_b64 s[20:21], s[2:3], s[8:9]
.LBB56_937:
	s_or_b64 exec, exec, s[24:25]
	s_andn2_b64 s[2:3], s[76:77], exec
	s_and_b64 s[8:9], s[22:23], exec
	s_or_b64 s[76:77], s[2:3], s[8:9]
	s_and_b64 s[2:3], s[0:1], exec
	s_andn2_b64 s[0:1], s[74:75], exec
	s_and_b64 s[8:9], s[20:21], exec
	s_and_b64 s[6:7], s[6:7], exec
	;; [unrolled: 1-line block ×3, first 2 shown]
	s_or_b64 s[74:75], s[0:1], s[8:9]
.LBB56_938:
	s_or_b64 exec, exec, s[78:79]
	s_andn2_b64 s[0:1], s[68:69], exec
	s_and_b64 s[8:9], s[76:77], exec
	s_or_b64 s[68:69], s[0:1], s[8:9]
	s_and_b64 s[0:1], s[6:7], exec
	s_and_b64 s[76:77], s[2:3], exec
	s_andn2_b64 s[2:3], s[70:71], exec
	s_and_b64 s[6:7], s[74:75], exec
	s_and_b64 s[4:5], s[4:5], exec
	s_or_b64 s[70:71], s[2:3], s[6:7]
	s_or_b64 exec, exec, s[72:73]
	s_waitcnt lgkmcnt(0)
	s_mov_b64 s[38:39], 0
	s_and_saveexec_b64 s[2:3], s[70:71]
	s_cbranch_execz .LBB56_280
.LBB56_939:
	s_mov_b64 s[38:39], exec
	s_andn2_b64 s[76:77], s[76:77], exec
	s_trap 2
	s_or_b64 exec, exec, s[2:3]
	s_and_saveexec_b64 s[2:3], s[76:77]
	s_xor_b64 s[2:3], exec, s[2:3]
	s_cbranch_execnz .LBB56_281
.LBB56_940:
	s_or_b64 exec, exec, s[2:3]
	s_and_saveexec_b64 s[2:3], s[4:5]
	s_cbranch_execz .LBB56_988
.LBB56_941:
	s_sext_i32_i16 s4, s85
	s_cmp_lt_i32 s4, 5
	s_cbranch_scc1 .LBB56_946
; %bb.942:
	s_cmp_lt_i32 s4, 8
	s_cbranch_scc1 .LBB56_947
; %bb.943:
	;; [unrolled: 3-line block ×3, first 2 shown]
	s_cmp_gt_i32 s4, 9
	s_cbranch_scc0 .LBB56_949
; %bb.945:
	s_waitcnt vmcnt(0)
	global_load_dwordx4 v[4:7], v[0:1], off
	s_mov_b64 s[4:5], 0
	s_branch .LBB56_950
.LBB56_946:
                                        ; implicit-def: $vgpr6_vgpr7
	s_branch .LBB56_968
.LBB56_947:
                                        ; implicit-def: $vgpr6_vgpr7
	s_branch .LBB56_956
.LBB56_948:
	s_mov_b64 s[4:5], -1
                                        ; implicit-def: $vgpr6_vgpr7
	s_branch .LBB56_953
.LBB56_949:
	s_mov_b64 s[4:5], -1
                                        ; implicit-def: $vgpr6_vgpr7
.LBB56_950:
	s_andn2_b64 vcc, exec, s[4:5]
	s_cbranch_vccnz .LBB56_952
; %bb.951:
	s_waitcnt vmcnt(0)
	global_load_dwordx2 v[2:3], v[0:1], off
	s_waitcnt vmcnt(0)
	v_cvt_f64_f32_e32 v[4:5], v2
	v_cvt_f64_f32_e32 v[6:7], v3
.LBB56_952:
	s_mov_b64 s[4:5], 0
.LBB56_953:
	s_andn2_b64 vcc, exec, s[4:5]
	s_cbranch_vccnz .LBB56_955
; %bb.954:
	s_waitcnt vmcnt(0)
	global_load_dword v2, v[0:1], off
	s_waitcnt vmcnt(0)
	v_cvt_f32_f16_e32 v3, v2
	v_cvt_f32_f16_sdwa v2, v2 dst_sel:DWORD dst_unused:UNUSED_PAD src0_sel:WORD_1
	v_cvt_f64_f32_e32 v[4:5], v3
	v_cvt_f64_f32_e32 v[6:7], v2
.LBB56_955:
	s_cbranch_execnz .LBB56_967
.LBB56_956:
	s_sext_i32_i16 s4, s85
	s_cmp_lt_i32 s4, 6
	s_cbranch_scc1 .LBB56_959
; %bb.957:
	s_cmp_gt_i32 s4, 6
	s_cbranch_scc0 .LBB56_960
; %bb.958:
	s_waitcnt vmcnt(0)
	global_load_dwordx2 v[4:5], v[0:1], off
	s_mov_b64 s[4:5], 0
	s_branch .LBB56_961
.LBB56_959:
	s_mov_b64 s[4:5], -1
                                        ; implicit-def: $vgpr4_vgpr5
	s_branch .LBB56_964
.LBB56_960:
	s_mov_b64 s[4:5], -1
                                        ; implicit-def: $vgpr4_vgpr5
.LBB56_961:
	s_andn2_b64 vcc, exec, s[4:5]
	s_cbranch_vccnz .LBB56_963
; %bb.962:
	s_waitcnt vmcnt(0)
	global_load_dword v2, v[0:1], off
	s_waitcnt vmcnt(0)
	v_cvt_f64_f32_e32 v[4:5], v2
.LBB56_963:
	s_mov_b64 s[4:5], 0
.LBB56_964:
	s_andn2_b64 vcc, exec, s[4:5]
	s_cbranch_vccnz .LBB56_966
; %bb.965:
	s_waitcnt vmcnt(0)
	global_load_ushort v2, v[0:1], off
	s_waitcnt vmcnt(0)
	v_cvt_f32_f16_e32 v2, v2
	v_cvt_f64_f32_e32 v[4:5], v2
.LBB56_966:
	s_waitcnt vmcnt(0)
	v_mov_b64_e32 v[6:7], 0
.LBB56_967:
	s_cbranch_execnz .LBB56_987
.LBB56_968:
	s_sext_i32_i16 s4, s85
	s_cmp_lt_i32 s4, 2
	s_cbranch_scc1 .LBB56_972
; %bb.969:
	s_cmp_lt_i32 s4, 3
	s_cbranch_scc1 .LBB56_973
; %bb.970:
	s_cmp_gt_i32 s4, 3
	s_cbranch_scc0 .LBB56_974
; %bb.971:
	s_waitcnt vmcnt(0)
	global_load_dwordx2 v[2:3], v[0:1], off
	s_mov_b64 s[4:5], 0
	s_waitcnt vmcnt(0)
	v_cvt_f64_i32_e32 v[4:5], v3
	v_cvt_f64_u32_e32 v[2:3], v2
	v_ldexp_f64 v[4:5], v[4:5], 32
	v_add_f64 v[4:5], v[4:5], v[2:3]
	s_branch .LBB56_975
.LBB56_972:
                                        ; implicit-def: $vgpr4_vgpr5
	s_branch .LBB56_981
.LBB56_973:
	s_mov_b64 s[4:5], -1
                                        ; implicit-def: $vgpr4_vgpr5
	s_branch .LBB56_978
.LBB56_974:
	s_mov_b64 s[4:5], -1
                                        ; implicit-def: $vgpr4_vgpr5
.LBB56_975:
	s_andn2_b64 vcc, exec, s[4:5]
	s_cbranch_vccnz .LBB56_977
; %bb.976:
	s_waitcnt vmcnt(0)
	global_load_dword v2, v[0:1], off
	s_waitcnt vmcnt(0)
	v_cvt_f64_i32_e32 v[4:5], v2
.LBB56_977:
	s_mov_b64 s[4:5], 0
.LBB56_978:
	s_andn2_b64 vcc, exec, s[4:5]
	s_cbranch_vccnz .LBB56_980
; %bb.979:
	s_waitcnt vmcnt(0)
	global_load_sshort v2, v[0:1], off
	s_waitcnt vmcnt(0)
	v_cvt_f64_i32_e32 v[4:5], v2
.LBB56_980:
	s_cbranch_execnz .LBB56_986
.LBB56_981:
	s_sext_i32_i16 s4, s85
	s_cmp_gt_i32 s4, 0
	s_cbranch_scc0 .LBB56_983
; %bb.982:
	s_waitcnt vmcnt(0)
	global_load_sbyte v2, v[0:1], off
	s_mov_b64 s[4:5], 0
	s_waitcnt vmcnt(0)
	v_cvt_f64_i32_e32 v[4:5], v2
	s_branch .LBB56_984
.LBB56_983:
	s_mov_b64 s[4:5], -1
                                        ; implicit-def: $vgpr4_vgpr5
.LBB56_984:
	s_andn2_b64 vcc, exec, s[4:5]
	s_cbranch_vccnz .LBB56_986
; %bb.985:
	s_waitcnt vmcnt(0)
	global_load_ubyte v0, v[0:1], off
	s_waitcnt vmcnt(0)
	v_cvt_f64_u32_e32 v[4:5], v0
.LBB56_986:
	s_waitcnt vmcnt(0)
	v_mov_b64_e32 v[6:7], 0
.LBB56_987:
	s_or_b64 s[0:1], s[0:1], exec
.LBB56_988:
	s_or_b64 exec, exec, s[2:3]
	s_mov_b64 s[4:5], 0
	s_mov_b64 s[2:3], 0
                                        ; implicit-def: $sgpr10
                                        ; implicit-def: $vgpr8_vgpr9
                                        ; implicit-def: $vgpr2_vgpr3
	s_and_saveexec_b64 s[44:45], s[0:1]
	s_cbranch_execz .LBB56_996
; %bb.989:
	s_getpc_b64 s[0:1]
	s_add_u32 s0, s0, _ZZZZN2at6native15exp_kernel_cudaERNS_18TensorIteratorBaseEENKUlvE_clEvENKUlvE_clEvENKUlN3c107complexIdEEE_clES7_@rel32@lo+4
	s_addc_u32 s1, s1, _ZZZZN2at6native15exp_kernel_cudaERNS_18TensorIteratorBaseEENKUlvE_clEvENKUlvE_clEvENKUlN3c107complexIdEEE_clES7_@rel32@hi+12
	s_waitcnt vmcnt(0)
	v_mov_b32_e32 v0, v4
	v_mov_b32_e32 v1, v5
	;; [unrolled: 1-line block ×4, first 2 shown]
	s_swappc_b64 s[30:31], s[0:1]
	v_mov_b32_e32 v35, 0
	s_and_b32 s10, s84, 0xff
	s_cmp_lt_i32 s10, 11
	v_lshl_add_u64 v[8:9], s[36:37], 0, v[34:35]
	s_cbranch_scc1 .LBB56_999
; %bb.990:
	s_and_b32 s11, 0xffff, s10
	s_mov_b64 s[4:5], -1
	s_cmp_gt_i32 s11, 25
	s_mov_b64 s[0:1], s[68:69]
	s_cbranch_scc0 .LBB56_1027
; %bb.991:
	s_mov_b64 s[2:3], -1
	s_cmp_gt_i32 s11, 28
	s_mov_b64 s[0:1], s[68:69]
	s_cbranch_scc0 .LBB56_1011
; %bb.992:
	s_cmp_gt_i32 s11, 43
	s_mov_b64 s[0:1], s[68:69]
	s_cbranch_scc0 .LBB56_1007
; %bb.993:
	s_cmp_gt_i32 s11, 45
	s_mov_b64 s[0:1], s[68:69]
	s_cbranch_scc0 .LBB56_1001
; %bb.994:
	s_cmp_eq_u32 s11, 46
	s_mov_b64 s[0:1], -1
	s_cbranch_scc0 .LBB56_1000
; %bb.995:
	v_cvt_f32_f64_e32 v5, v[2:3]
	s_movk_i32 s0, 0x7fff
	v_bfe_u32 v7, v5, 16, 1
	v_cvt_f32_f64_e32 v4, v[0:1]
	v_add3_u32 v7, v5, v7, s0
	v_bfe_u32 v6, v4, 16, 1
	v_and_b32_e32 v7, 0xffff0000, v7
	v_mov_b32_e32 v10, 0x7fc00000
	v_cmp_o_f32_e32 vcc, v5, v5
	v_add3_u32 v6, v4, v6, s0
	s_mov_b64 s[0:1], 0
	v_cndmask_b32_e32 v5, v10, v7, vcc
	v_cmp_o_f32_e32 vcc, v4, v4
	v_mov_b32_e32 v4, 0x7fc0
	s_mov_b64 s[2:3], 0
	v_cndmask_b32_sdwa v4, v4, v6, vcc dst_sel:DWORD dst_unused:UNUSED_PAD src0_sel:DWORD src1_sel:WORD_1
	v_or_b32_e32 v4, v5, v4
	global_store_dword v[8:9], v4, off
	s_branch .LBB56_1001
.LBB56_996:
	s_or_b64 exec, exec, s[44:45]
	s_and_saveexec_b64 s[0:1], s[68:69]
	s_cbranch_execnz .LBB56_1069
.LBB56_997:
	s_or_b64 exec, exec, s[0:1]
	s_and_saveexec_b64 s[0:1], s[4:5]
	s_xor_b64 s[4:5], exec, s[0:1]
	s_cbranch_execz .LBB56_1070
.LBB56_998:
	s_waitcnt vmcnt(0)
	v_cmp_neq_f64_e32 vcc, 0, v[0:1]
	v_cmp_neq_f64_e64 s[0:1], 0, v[2:3]
	s_or_b64 s[0:1], vcc, s[0:1]
	s_nop 0
	v_cndmask_b32_e64 v4, 0, 1, s[0:1]
	global_store_byte v[8:9], v4, off
	s_or_b64 exec, exec, s[4:5]
	s_and_saveexec_b64 s[0:1], s[2:3]
	s_xor_b64 s[0:1], exec, s[0:1]
	s_cbranch_execz .LBB56_1108
	s_branch .LBB56_1071
.LBB56_999:
	s_mov_b64 s[4:5], 0
	s_mov_b64 s[2:3], -1
	s_mov_b64 s[0:1], s[68:69]
	s_branch .LBB56_1068
.LBB56_1000:
	s_mov_b64 s[2:3], 0
.LBB56_1001:
	s_and_b64 vcc, exec, s[2:3]
	s_cbranch_vccz .LBB56_1006
; %bb.1002:
	s_cmp_eq_u32 s11, 44
	s_mov_b64 s[0:1], -1
	s_cbranch_scc0 .LBB56_1006
; %bb.1003:
	v_cvt_f32_f64_e32 v4, v[0:1]
	v_bfe_u32 v5, v4, 23, 8
	s_movk_i32 s0, 0xff
	v_cmp_ne_u32_e32 vcc, s0, v5
	v_mov_b32_e32 v6, 0xff
	s_and_saveexec_b64 s[2:3], vcc
; %bb.1004:
	s_mov_b32 s0, 0x3fffff
	v_lshrrev_b32_e32 v6, 23, v4
	v_and_b32_e32 v7, 0x400000, v4
	v_and_or_b32 v4, v4, s0, v5
	v_cmp_ne_u32_e32 vcc, 0, v7
	v_cmp_ne_u32_e64 s[0:1], 0, v4
	s_and_b64 s[0:1], vcc, s[0:1]
	s_nop 0
	v_cndmask_b32_e64 v4, 0, 1, s[0:1]
	v_add_u32_e32 v6, v6, v4
; %bb.1005:
	s_or_b64 exec, exec, s[2:3]
	s_mov_b64 s[0:1], 0
	global_store_byte v[8:9], v6, off
.LBB56_1006:
	s_mov_b64 s[2:3], 0
.LBB56_1007:
	s_and_b64 vcc, exec, s[2:3]
	s_cbranch_vccz .LBB56_1010
; %bb.1008:
	s_cmp_eq_u32 s11, 29
	s_mov_b64 s[0:1], -1
	s_cbranch_scc0 .LBB56_1010
; %bb.1009:
	v_trunc_f64_e32 v[4:5], v[0:1]
	s_movk_i32 s0, 0xffe0
	v_ldexp_f64 v[6:7], v[4:5], s0
	v_floor_f64_e32 v[6:7], v[6:7]
	v_fmac_f64_e32 v[4:5], 0xc1f00000, v[6:7]
	v_cvt_u32_f64_e32 v11, v[6:7]
	v_cvt_u32_f64_e32 v10, v[4:5]
	global_store_dwordx2 v[8:9], v[10:11], off
	s_mov_b64 s[0:1], 0
.LBB56_1010:
	s_mov_b64 s[2:3], 0
.LBB56_1011:
	s_and_b64 vcc, exec, s[2:3]
	s_cbranch_vccz .LBB56_1026
; %bb.1012:
	s_cmp_lt_i32 s11, 27
	s_mov_b64 s[2:3], -1
	s_cbranch_scc1 .LBB56_1018
; %bb.1013:
	s_cmp_gt_i32 s11, 27
	s_cbranch_scc0 .LBB56_1015
; %bb.1014:
	v_cvt_u32_f64_e32 v4, v[0:1]
	s_mov_b64 s[2:3], 0
	global_store_dword v[8:9], v4, off
.LBB56_1015:
	s_andn2_b64 vcc, exec, s[2:3]
	s_cbranch_vccnz .LBB56_1017
; %bb.1016:
	v_cvt_u32_f64_e32 v4, v[0:1]
	global_store_short v[8:9], v4, off
.LBB56_1017:
	s_mov_b64 s[2:3], 0
.LBB56_1018:
	s_andn2_b64 vcc, exec, s[2:3]
	s_cbranch_vccnz .LBB56_1026
; %bb.1019:
	v_cvt_f32_f64_e32 v4, v[0:1]
	v_and_b32_e32 v5, 0x7fffffff, v4
	s_mov_b32 s2, 0x43800000
	v_cmp_gt_u32_e32 vcc, s2, v5
	v_mov_b32_e32 v6, 0x80
	s_and_saveexec_b64 s[2:3], vcc
	s_cbranch_execz .LBB56_1025
; %bb.1020:
	s_mov_b32 s4, 0x3bffffff
	v_cmp_lt_u32_e32 vcc, s4, v5
	s_mov_b64 s[4:5], 0
                                        ; implicit-def: $vgpr5
	s_and_saveexec_b64 s[6:7], vcc
	s_xor_b64 s[6:7], exec, s[6:7]
	s_cbranch_execz .LBB56_1179
; %bb.1021:
	v_bfe_u32 v5, v4, 20, 1
	s_mov_b32 s8, 0x487ffff
	v_add3_u32 v5, v4, v5, s8
	s_mov_b64 s[4:5], exec
	v_lshrrev_b32_e32 v5, 20, v5
	s_andn2_saveexec_b64 s[6:7], s[6:7]
	s_cbranch_execnz .LBB56_1180
.LBB56_1022:
	s_or_b64 exec, exec, s[6:7]
	v_mov_b32_e32 v6, 0
	s_and_saveexec_b64 s[6:7], s[4:5]
.LBB56_1023:
	v_lshrrev_b32_e32 v4, 24, v4
	s_movk_i32 s4, 0x80
	v_and_or_b32 v6, v4, s4, v5
.LBB56_1024:
	s_or_b64 exec, exec, s[6:7]
.LBB56_1025:
	s_or_b64 exec, exec, s[2:3]
	global_store_byte v[8:9], v6, off
.LBB56_1026:
	s_mov_b64 s[4:5], 0
.LBB56_1027:
	s_mov_b64 s[2:3], 0
	s_and_b64 vcc, exec, s[4:5]
	s_cbranch_vccz .LBB56_1067
; %bb.1028:
	s_cmp_gt_i32 s11, 22
	s_mov_b64 s[4:5], -1
	s_cbranch_scc0 .LBB56_1060
; %bb.1029:
	s_cmp_lt_i32 s11, 24
	s_cbranch_scc1 .LBB56_1049
; %bb.1030:
	s_cmp_gt_i32 s11, 24
	s_cbranch_scc0 .LBB56_1038
; %bb.1031:
	v_cvt_f32_f64_e32 v4, v[0:1]
	v_and_b32_e32 v5, 0x7fffffff, v4
	s_mov_b32 s4, 0x47800000
	v_cmp_gt_u32_e32 vcc, s4, v5
	v_mov_b32_e32 v6, 0x80
	s_and_saveexec_b64 s[4:5], vcc
	s_cbranch_execz .LBB56_1037
; %bb.1032:
	s_mov_b32 s6, 0x37ffffff
	v_cmp_lt_u32_e32 vcc, s6, v5
	s_mov_b64 s[6:7], 0
                                        ; implicit-def: $vgpr5
	s_and_saveexec_b64 s[8:9], vcc
	s_xor_b64 s[8:9], exec, s[8:9]
	s_cbranch_execz .LBB56_1309
; %bb.1033:
	v_bfe_u32 v5, v4, 21, 1
	s_mov_b32 s12, 0x88fffff
	v_add3_u32 v5, v4, v5, s12
	s_mov_b64 s[6:7], exec
	v_lshrrev_b32_e32 v5, 21, v5
	s_andn2_saveexec_b64 s[8:9], s[8:9]
	s_cbranch_execnz .LBB56_1310
.LBB56_1034:
	s_or_b64 exec, exec, s[8:9]
	v_mov_b32_e32 v6, 0
	s_and_saveexec_b64 s[8:9], s[6:7]
.LBB56_1035:
	v_lshrrev_b32_e32 v4, 24, v4
	s_movk_i32 s6, 0x80
	v_and_or_b32 v6, v4, s6, v5
.LBB56_1036:
	s_or_b64 exec, exec, s[8:9]
.LBB56_1037:
	s_or_b64 exec, exec, s[4:5]
	s_mov_b64 s[4:5], 0
	global_store_byte v[8:9], v6, off
.LBB56_1038:
	s_and_b64 vcc, exec, s[4:5]
	s_cbranch_vccz .LBB56_1048
; %bb.1039:
	v_cvt_f32_f64_e32 v4, v[0:1]
	v_and_b32_e32 v6, 0x7fffffff, v4
	s_mov_b32 s4, 0x43f00000
	v_cmp_gt_u32_e32 vcc, s4, v6
                                        ; implicit-def: $vgpr5
	s_and_saveexec_b64 s[4:5], vcc
	s_xor_b64 s[4:5], exec, s[4:5]
	s_cbranch_execz .LBB56_1045
; %bb.1040:
	s_mov_b32 s6, 0x3c7fffff
	v_cmp_lt_u32_e32 vcc, s6, v6
                                        ; implicit-def: $vgpr5
	s_and_saveexec_b64 s[6:7], vcc
	s_xor_b64 s[6:7], exec, s[6:7]
; %bb.1041:
	v_bfe_u32 v5, v4, 20, 1
	s_mov_b32 s8, 0x407ffff
	v_add3_u32 v5, v4, v5, s8
	v_lshrrev_b32_e32 v6, 20, v5
	v_and_b32_e32 v5, 0xff00000, v5
	s_mov_b32 s8, 0x7f00000
	v_mov_b32_e32 v7, 0x7e
	v_cmp_ne_u32_e32 vcc, s8, v5
	s_nop 1
	v_cndmask_b32_e32 v5, v7, v6, vcc
; %bb.1042:
	s_andn2_saveexec_b64 s[6:7], s[6:7]
; %bb.1043:
	s_mov_b32 s8, 0x46800000
	v_add_f32_e64 v5, |v4|, s8
; %bb.1044:
	s_or_b64 exec, exec, s[6:7]
                                        ; implicit-def: $vgpr6
.LBB56_1045:
	s_andn2_saveexec_b64 s[4:5], s[4:5]
; %bb.1046:
	s_mov_b32 s6, 0x7f800000
	v_mov_b32_e32 v5, 0x7e
	v_mov_b32_e32 v7, 0x7f
	v_cmp_lt_u32_e32 vcc, s6, v6
	s_nop 1
	v_cndmask_b32_e32 v5, v5, v7, vcc
; %bb.1047:
	s_or_b64 exec, exec, s[4:5]
	v_lshrrev_b32_e32 v4, 24, v4
	s_movk_i32 s4, 0x80
	v_and_or_b32 v4, v4, s4, v5
	global_store_byte v[8:9], v4, off
.LBB56_1048:
	s_mov_b64 s[4:5], 0
.LBB56_1049:
	s_andn2_b64 vcc, exec, s[4:5]
	s_cbranch_vccnz .LBB56_1059
; %bb.1050:
	v_cvt_f32_f64_e32 v4, v[0:1]
	v_and_b32_e32 v6, 0x7fffffff, v4
	s_mov_b32 s4, 0x47800000
	v_cmp_gt_u32_e32 vcc, s4, v6
                                        ; implicit-def: $vgpr5
	s_and_saveexec_b64 s[4:5], vcc
	s_xor_b64 s[4:5], exec, s[4:5]
	s_cbranch_execz .LBB56_1056
; %bb.1051:
	s_mov_b32 s6, 0x387fffff
	v_cmp_lt_u32_e32 vcc, s6, v6
                                        ; implicit-def: $vgpr5
	s_and_saveexec_b64 s[6:7], vcc
	s_xor_b64 s[6:7], exec, s[6:7]
; %bb.1052:
	v_bfe_u32 v5, v4, 21, 1
	s_mov_b32 s8, 0x80fffff
	v_add3_u32 v5, v4, v5, s8
	v_lshrrev_b32_e32 v5, 21, v5
; %bb.1053:
	s_andn2_saveexec_b64 s[6:7], s[6:7]
; %bb.1054:
	s_mov_b32 s8, 0x43000000
	v_add_f32_e64 v5, |v4|, s8
; %bb.1055:
	s_or_b64 exec, exec, s[6:7]
                                        ; implicit-def: $vgpr6
.LBB56_1056:
	s_andn2_saveexec_b64 s[4:5], s[4:5]
; %bb.1057:
	s_mov_b32 s6, 0x7f800000
	v_mov_b32_e32 v5, 0x7c
	v_mov_b32_e32 v7, 0x7f
	v_cmp_lt_u32_e32 vcc, s6, v6
	s_nop 1
	v_cndmask_b32_e32 v5, v5, v7, vcc
; %bb.1058:
	s_or_b64 exec, exec, s[4:5]
	v_lshrrev_b32_e32 v4, 24, v4
	s_movk_i32 s4, 0x80
	v_and_or_b32 v4, v4, s4, v5
	global_store_byte v[8:9], v4, off
.LBB56_1059:
	s_mov_b64 s[4:5], 0
.LBB56_1060:
	s_andn2_b64 vcc, exec, s[4:5]
	s_mov_b64 s[4:5], 0
	s_cbranch_vccnz .LBB56_1068
; %bb.1061:
	s_cmp_gt_i32 s11, 14
	s_mov_b64 s[6:7], -1
	s_cbranch_scc0 .LBB56_1065
; %bb.1062:
	s_cmp_eq_u32 s11, 15
	s_mov_b64 s[0:1], -1
	s_cbranch_scc0 .LBB56_1064
; %bb.1063:
	v_cvt_f32_f64_e32 v4, v[0:1]
	v_bfe_u32 v5, v4, 16, 1
	s_movk_i32 s0, 0x7fff
	v_add3_u32 v5, v4, v5, s0
	v_cmp_o_f32_e32 vcc, v4, v4
	v_mov_b32_e32 v4, 0x7fc0
	s_mov_b64 s[0:1], 0
	v_cndmask_b32_sdwa v4, v4, v5, vcc dst_sel:DWORD dst_unused:UNUSED_PAD src0_sel:DWORD src1_sel:WORD_1
	global_store_short v[8:9], v4, off
.LBB56_1064:
	s_mov_b64 s[6:7], 0
.LBB56_1065:
	s_and_b64 vcc, exec, s[6:7]
	s_cbranch_vccz .LBB56_1068
; %bb.1066:
	s_cmp_lg_u32 s11, 11
	s_cselect_b64 s[6:7], -1, 0
	s_andn2_b64 s[0:1], s[0:1], exec
	s_and_b64 s[6:7], s[6:7], exec
	s_mov_b64 s[4:5], -1
	s_or_b64 s[0:1], s[0:1], s[6:7]
	s_branch .LBB56_1068
.LBB56_1067:
	s_mov_b64 s[4:5], 0
.LBB56_1068:
	s_andn2_b64 s[6:7], s[68:69], exec
	s_and_b64 s[0:1], s[0:1], exec
	s_and_b64 s[2:3], s[2:3], exec
	;; [unrolled: 1-line block ×3, first 2 shown]
	s_or_b64 s[68:69], s[6:7], s[0:1]
	s_or_b64 exec, exec, s[44:45]
	s_and_saveexec_b64 s[0:1], s[68:69]
	s_cbranch_execz .LBB56_997
.LBB56_1069:
	s_or_b64 s[38:39], s[38:39], exec
	s_andn2_b64 s[4:5], s[4:5], exec
	s_trap 2
	s_or_b64 exec, exec, s[0:1]
	s_and_saveexec_b64 s[0:1], s[4:5]
	s_xor_b64 s[4:5], exec, s[0:1]
	s_cbranch_execnz .LBB56_998
.LBB56_1070:
	s_or_b64 exec, exec, s[4:5]
	s_and_saveexec_b64 s[0:1], s[2:3]
	s_xor_b64 s[0:1], exec, s[0:1]
	s_cbranch_execz .LBB56_1108
.LBB56_1071:
	s_sext_i32_i16 s4, s10
	s_cmp_lt_i32 s4, 5
	s_mov_b64 s[2:3], -1
	s_cbranch_scc1 .LBB56_1092
; %bb.1072:
	s_cmp_lt_i32 s4, 8
	s_cbranch_scc1 .LBB56_1082
; %bb.1073:
	s_cmp_lt_i32 s4, 9
	s_cbranch_scc1 .LBB56_1079
; %bb.1074:
	s_cmp_gt_i32 s4, 9
	s_cbranch_scc0 .LBB56_1076
; %bb.1075:
	s_mov_b64 s[2:3], 0
	s_waitcnt vmcnt(0)
	global_store_dwordx4 v[8:9], v[0:3], off
.LBB56_1076:
	s_andn2_b64 vcc, exec, s[2:3]
	s_cbranch_vccnz .LBB56_1078
; %bb.1077:
	s_waitcnt vmcnt(0)
	v_cvt_f32_f64_e32 v5, v[2:3]
	v_cvt_f32_f64_e32 v4, v[0:1]
	global_store_dwordx2 v[8:9], v[4:5], off
.LBB56_1078:
	s_mov_b64 s[2:3], 0
.LBB56_1079:
	s_andn2_b64 vcc, exec, s[2:3]
	s_cbranch_vccnz .LBB56_1081
; %bb.1080:
	s_movk_i32 s2, 0x1ff
	s_waitcnt vmcnt(0)
	v_and_or_b32 v4, v1, s2, v0
	v_cmp_ne_u32_e32 vcc, 0, v4
	v_lshrrev_b32_e32 v5, 8, v1
	s_movk_i32 s3, 0xffe
	v_cndmask_b32_e64 v4, 0, 1, vcc
	v_bfe_u32 v6, v1, 20, 11
	v_and_or_b32 v4, v5, s3, v4
	v_sub_u32_e32 v7, 0x3f1, v6
	v_or_b32_e32 v5, 0x1000, v4
	v_med3_i32 v7, v7, 0, 13
	v_lshrrev_b32_e32 v10, v7, v5
	v_lshlrev_b32_e32 v7, v7, v10
	v_cmp_ne_u32_e32 vcc, v7, v5
	v_add_u32_e32 v6, 0xfffffc10, v6
	v_lshl_or_b32 v7, v6, 12, v4
	v_cndmask_b32_e64 v5, 0, 1, vcc
	v_or_b32_e32 v5, v10, v5
	v_cmp_gt_i32_e32 vcc, 1, v6
	s_movk_i32 s4, 0x40f
	v_and_or_b32 v2, v3, s2, v2
	v_cndmask_b32_e32 v5, v7, v5, vcc
	v_and_b32_e32 v7, 7, v5
	v_cmp_lt_i32_e32 vcc, 5, v7
	v_lshrrev_b32_e32 v5, 2, v5
	v_bfe_u32 v11, v3, 20, 11
	v_cndmask_b32_e64 v10, 0, 1, vcc
	v_cmp_eq_u32_e32 vcc, 3, v7
	v_sub_u32_e32 v12, 0x3f1, v11
	v_med3_i32 v12, v12, 0, 13
	v_cndmask_b32_e64 v7, 0, 1, vcc
	v_or_b32_e32 v7, v7, v10
	v_add_u32_e32 v5, v5, v7
	v_mov_b32_e32 v7, 0x7c00
	v_cmp_gt_i32_e32 vcc, 31, v6
	v_mov_b32_e32 v10, 0x7e00
	v_add_u32_e32 v11, 0xfffffc10, v11
	v_cndmask_b32_e32 v5, v7, v5, vcc
	v_cmp_ne_u32_e32 vcc, 0, v4
	s_mov_b32 s5, 0x8000
	s_mov_b32 s2, 0xffff
	v_cndmask_b32_e32 v4, v7, v10, vcc
	v_cmp_eq_u32_e32 vcc, s4, v6
	v_lshrrev_b32_e32 v6, 8, v3
	v_lshrrev_b32_e32 v3, 16, v3
	v_cndmask_b32_e32 v4, v5, v4, vcc
	v_cmp_ne_u32_e32 vcc, 0, v2
	v_and_b32_sdwa v5, v1, s5 dst_sel:DWORD dst_unused:UNUSED_PAD src0_sel:WORD_1 src1_sel:DWORD
	s_nop 0
	v_cndmask_b32_e64 v2, 0, 1, vcc
	v_and_or_b32 v2, v6, s3, v2
	v_or_b32_e32 v6, 0x1000, v2
	v_lshrrev_b32_e32 v13, v12, v6
	v_lshlrev_b32_e32 v12, v12, v13
	v_cmp_ne_u32_e32 vcc, v12, v6
	v_lshl_or_b32 v12, v11, 12, v2
	s_nop 0
	v_cndmask_b32_e64 v6, 0, 1, vcc
	v_or_b32_e32 v6, v13, v6
	v_cmp_gt_i32_e32 vcc, 1, v11
	s_nop 1
	v_cndmask_b32_e32 v6, v12, v6, vcc
	v_and_b32_e32 v12, 7, v6
	v_cmp_lt_i32_e32 vcc, 5, v12
	v_lshrrev_b32_e32 v6, 2, v6
	s_nop 0
	v_cndmask_b32_e64 v13, 0, 1, vcc
	v_cmp_eq_u32_e32 vcc, 3, v12
	s_nop 1
	v_cndmask_b32_e64 v12, 0, 1, vcc
	v_or_b32_e32 v12, v12, v13
	v_add_u32_e32 v6, v6, v12
	v_cmp_gt_i32_e32 vcc, 31, v11
	s_nop 1
	v_cndmask_b32_e32 v6, v7, v6, vcc
	v_cmp_ne_u32_e32 vcc, 0, v2
	s_nop 1
	v_cndmask_b32_e32 v2, v7, v10, vcc
	v_cmp_eq_u32_e32 vcc, s4, v11
	s_nop 1
	v_cndmask_b32_e32 v2, v6, v2, vcc
	v_and_or_b32 v2, v3, s5, v2
	v_bitop3_b32 v3, v5, s2, v4 bitop3:0xc8
	v_lshl_or_b32 v2, v2, 16, v3
	global_store_dword v[8:9], v2, off
.LBB56_1081:
	s_mov_b64 s[2:3], 0
.LBB56_1082:
	s_andn2_b64 vcc, exec, s[2:3]
	s_cbranch_vccnz .LBB56_1091
; %bb.1083:
	s_sext_i32_i16 s4, s10
	s_cmp_lt_i32 s4, 6
	s_mov_b64 s[2:3], -1
	s_cbranch_scc1 .LBB56_1089
; %bb.1084:
	s_cmp_gt_i32 s4, 6
	s_cbranch_scc0 .LBB56_1086
; %bb.1085:
	s_mov_b64 s[2:3], 0
	s_waitcnt vmcnt(0)
	global_store_dwordx2 v[8:9], v[0:1], off
.LBB56_1086:
	s_andn2_b64 vcc, exec, s[2:3]
	s_cbranch_vccnz .LBB56_1088
; %bb.1087:
	s_waitcnt vmcnt(0)
	v_cvt_f32_f64_e32 v2, v[0:1]
	global_store_dword v[8:9], v2, off
.LBB56_1088:
	s_mov_b64 s[2:3], 0
.LBB56_1089:
	s_andn2_b64 vcc, exec, s[2:3]
	s_cbranch_vccnz .LBB56_1091
; %bb.1090:
	s_movk_i32 s2, 0x1ff
	s_waitcnt vmcnt(0)
	v_and_or_b32 v2, v1, s2, v0
	v_cmp_ne_u32_e32 vcc, 0, v2
	v_lshrrev_b32_e32 v3, 8, v1
	s_movk_i32 s2, 0xffe
	v_cndmask_b32_e64 v2, 0, 1, vcc
	v_bfe_u32 v4, v1, 20, 11
	v_and_or_b32 v2, v3, s2, v2
	v_sub_u32_e32 v5, 0x3f1, v4
	v_or_b32_e32 v3, 0x1000, v2
	v_med3_i32 v5, v5, 0, 13
	v_lshrrev_b32_e32 v6, v5, v3
	v_lshlrev_b32_e32 v5, v5, v6
	v_cmp_ne_u32_e32 vcc, v5, v3
	v_add_u32_e32 v4, 0xfffffc10, v4
	v_lshl_or_b32 v5, v4, 12, v2
	v_cndmask_b32_e64 v3, 0, 1, vcc
	v_or_b32_e32 v3, v6, v3
	v_cmp_gt_i32_e32 vcc, 1, v4
	s_movk_i32 s2, 0x40f
	s_nop 0
	v_cndmask_b32_e32 v3, v5, v3, vcc
	v_and_b32_e32 v5, 7, v3
	v_cmp_lt_i32_e32 vcc, 5, v5
	v_lshrrev_b32_e32 v3, 2, v3
	s_nop 0
	v_cndmask_b32_e64 v6, 0, 1, vcc
	v_cmp_eq_u32_e32 vcc, 3, v5
	s_nop 1
	v_cndmask_b32_e64 v5, 0, 1, vcc
	v_or_b32_e32 v5, v5, v6
	v_add_u32_e32 v3, v3, v5
	v_mov_b32_e32 v5, 0x7c00
	v_cmp_gt_i32_e32 vcc, 31, v4
	v_mov_b32_e32 v6, 0x7e00
	s_nop 0
	v_cndmask_b32_e32 v3, v5, v3, vcc
	v_cmp_ne_u32_e32 vcc, 0, v2
	s_nop 1
	v_cndmask_b32_e32 v2, v5, v6, vcc
	v_cmp_eq_u32_e32 vcc, s2, v4
	s_mov_b32 s2, 0x8000
	s_nop 0
	v_cndmask_b32_e32 v2, v3, v2, vcc
	v_lshrrev_b32_e32 v3, 16, v1
	v_and_or_b32 v2, v3, s2, v2
	global_store_short v[8:9], v2, off
.LBB56_1091:
	s_mov_b64 s[2:3], 0
.LBB56_1092:
	s_andn2_b64 vcc, exec, s[2:3]
	s_cbranch_vccnz .LBB56_1108
; %bb.1093:
	s_sext_i32_i16 s4, s10
	s_cmp_lt_i32 s4, 2
	s_mov_b64 s[2:3], -1
	s_cbranch_scc1 .LBB56_1103
; %bb.1094:
	s_cmp_lt_i32 s4, 3
	s_cbranch_scc1 .LBB56_1100
; %bb.1095:
	s_cmp_gt_i32 s4, 3
	s_cbranch_scc0 .LBB56_1097
; %bb.1096:
	s_waitcnt vmcnt(0)
	v_trunc_f64_e32 v[2:3], v[0:1]
	s_movk_i32 s2, 0xffe0
	v_ldexp_f64 v[4:5], v[2:3], s2
	v_floor_f64_e32 v[4:5], v[4:5]
	v_fmac_f64_e32 v[2:3], 0xc1f00000, v[4:5]
	v_cvt_i32_f64_e32 v7, v[4:5]
	v_cvt_u32_f64_e32 v6, v[2:3]
	s_mov_b64 s[2:3], 0
	global_store_dwordx2 v[8:9], v[6:7], off
.LBB56_1097:
	s_andn2_b64 vcc, exec, s[2:3]
	s_cbranch_vccnz .LBB56_1099
; %bb.1098:
	s_waitcnt vmcnt(0)
	v_cvt_i32_f64_e32 v2, v[0:1]
	global_store_dword v[8:9], v2, off
.LBB56_1099:
	s_mov_b64 s[2:3], 0
.LBB56_1100:
	s_andn2_b64 vcc, exec, s[2:3]
	s_cbranch_vccnz .LBB56_1102
; %bb.1101:
	s_waitcnt vmcnt(0)
	v_cvt_i32_f64_e32 v2, v[0:1]
	global_store_short v[8:9], v2, off
.LBB56_1102:
	s_mov_b64 s[2:3], 0
.LBB56_1103:
	s_andn2_b64 vcc, exec, s[2:3]
	s_cbranch_vccnz .LBB56_1108
; %bb.1104:
	s_sext_i32_i16 s2, s10
	s_cmp_gt_i32 s2, 0
	s_mov_b64 s[2:3], -1
	s_cbranch_scc0 .LBB56_1106
; %bb.1105:
	s_waitcnt vmcnt(0)
	v_cvt_i32_f64_e32 v2, v[0:1]
	s_mov_b64 s[2:3], 0
	global_store_byte v[8:9], v2, off
.LBB56_1106:
	s_andn2_b64 vcc, exec, s[2:3]
	s_cbranch_vccnz .LBB56_1108
; %bb.1107:
	s_waitcnt vmcnt(0)
	v_trunc_f64_e32 v[0:1], v[0:1]
	s_movk_i32 s2, 0xffe0
	v_ldexp_f64 v[2:3], v[0:1], s2
	v_floor_f64_e32 v[2:3], v[2:3]
	v_fmac_f64_e32 v[0:1], 0xc1f00000, v[2:3]
	v_cvt_u32_f64_e32 v0, v[0:1]
	global_store_byte v[8:9], v0, off
.LBB56_1108:
	s_or_b64 exec, exec, s[0:1]
	s_and_b64 s[44:45], s[38:39], exec
                                        ; implicit-def: $vgpr10
                                        ; implicit-def: $vgpr36
.LBB56_1109:
	s_or_saveexec_b64 s[46:47], s[58:59]
	s_mov_b64 s[4:5], 0
                                        ; implicit-def: $vgpr4_vgpr5
                                        ; implicit-def: $sgpr38
                                        ; implicit-def: $vgpr2_vgpr3
	s_xor_b64 exec, exec, s[46:47]
	s_cbranch_execz .LBB56_2133
; %bb.1110:
	s_waitcnt vmcnt(0)
	v_cndmask_b32_e64 v0, 0, 1, s[56:57]
	v_cmp_ne_u32_e64 s[0:1], 1, v0
	s_andn2_b64 vcc, exec, s[56:57]
	s_cbranch_vccnz .LBB56_1116
; %bb.1111:
	s_cmp_lg_u32 s33, 0
	s_mov_b32 s26, 0
	s_cbranch_scc0 .LBB56_1117
; %bb.1112:
	s_min_u32 s27, s43, 15
	s_add_i32 s27, s27, 1
	s_cmp_eq_u32 s43, 2
	s_cbranch_scc1 .LBB56_1118
; %bb.1113:
	s_and_b32 s26, s27, 28
	s_add_u32 s2, s52, 0xc4
	s_addc_u32 s3, s53, 0
	s_mov_b32 s28, 0
	v_mov_b32_e32 v52, 0
	v_mov_b32_e32 v0, 0
	s_mov_b64 s[24:25], s[52:53]
	v_mov_b32_e32 v2, v36
.LBB56_1114:                            ; =>This Inner Loop Header: Depth=1
	s_load_dwordx8 s[12:19], s[24:25], 0x4
	s_load_dwordx4 s[20:23], s[24:25], 0x24
	s_load_dwordx8 s[4:11], s[2:3], 0x0
	s_add_u32 s24, s24, 48
	s_addc_u32 s25, s25, 0
	s_waitcnt lgkmcnt(0)
	v_mul_hi_u32 v1, s13, v2
	v_add_u32_e32 v1, v2, v1
	v_lshrrev_b32_e32 v1, s14, v1
	v_mul_lo_u32 v3, v1, s12
	v_mul_hi_u32 v4, s16, v1
	v_sub_u32_e32 v2, v2, v3
	v_add_u32_e32 v3, v1, v4
	v_lshrrev_b32_e32 v3, s17, v3
	v_mul_lo_u32 v5, v3, s15
	v_mul_hi_u32 v6, s19, v3
	v_sub_u32_e32 v1, v1, v5
	v_add_u32_e32 v5, v3, v6
	v_mul_lo_u32 v4, v2, s5
	v_mul_lo_u32 v2, v2, s4
	;; [unrolled: 1-line block ×4, first 2 shown]
	v_lshrrev_b32_e32 v5, s20, v5
	v_add3_u32 v1, v2, v52, v1
	v_add3_u32 v0, v4, v0, v6
	v_mul_lo_u32 v2, v5, s18
	v_mul_hi_u32 v4, s22, v5
	v_sub_u32_e32 v2, v3, v2
	v_add_u32_e32 v3, v5, v4
	v_mul_lo_u32 v4, v2, s8
	v_mul_lo_u32 v6, v2, s9
	v_lshrrev_b32_e32 v2, s23, v3
	s_add_i32 s28, s28, 4
	v_mul_lo_u32 v3, v2, s21
	s_add_u32 s2, s2, 32
	v_sub_u32_e32 v3, v5, v3
	s_addc_u32 s3, s3, 0
	v_mul_lo_u32 v5, v3, s10
	v_mul_lo_u32 v3, v3, s11
	s_cmp_lg_u32 s26, s28
	v_add3_u32 v0, v6, v0, v3
	v_add3_u32 v52, v4, v1, v5
	s_cbranch_scc1 .LBB56_1114
; %bb.1115:
	v_mov_b32_e32 v1, v0
	s_and_b32 s6, s27, 3
	s_cmp_eq_u32 s6, 0
	s_cbranch_scc0 .LBB56_1119
	s_branch .LBB56_1121
.LBB56_1116:
                                        ; implicit-def: $vgpr0
                                        ; implicit-def: $vgpr52
	s_branch .LBB56_1122
.LBB56_1117:
	v_mov_b32_e32 v0, 0
	v_mov_b32_e32 v52, 0
	s_branch .LBB56_1121
.LBB56_1118:
	v_mov_b32_e32 v52, 0
                                        ; implicit-def: $vgpr0
	v_mov_b32_e32 v1, v52
	v_mov_b32_e32 v2, v36
	s_and_b32 s6, s27, 3
	s_cmp_eq_u32 s6, 0
	s_cbranch_scc1 .LBB56_1121
.LBB56_1119:
	s_lshl_b32 s2, s26, 3
	s_add_u32 s2, s52, s2
	s_addc_u32 s3, s53, 0
	s_add_u32 s2, s2, 0xc4
	s_addc_u32 s3, s3, 0
	s_mul_i32 s4, s26, 12
	s_add_u32 s4, s52, s4
	s_addc_u32 s5, s53, 0
.LBB56_1120:                            ; =>This Inner Loop Header: Depth=1
	s_load_dwordx2 s[8:9], s[4:5], 0x4
	s_load_dword s7, s[4:5], 0xc
	s_load_dwordx2 s[10:11], s[2:3], 0x0
	v_mov_b32_e32 v0, v1
	s_add_u32 s4, s4, 12
	s_waitcnt lgkmcnt(0)
	v_mul_hi_u32 v1, s9, v2
	v_add_u32_e32 v1, v2, v1
	v_lshrrev_b32_e32 v1, s7, v1
	s_addc_u32 s5, s5, 0
	v_mul_lo_u32 v3, v1, s8
	s_add_u32 s2, s2, 8
	v_sub_u32_e32 v3, v2, v3
	s_addc_u32 s3, s3, 0
	s_add_i32 s6, s6, -1
	v_mov_b32_e32 v2, v1
	v_mad_u64_u32 v[0:1], s[8:9], v3, s11, v[0:1]
	s_cmp_lg_u32 s6, 0
	v_mad_u64_u32 v[52:53], s[8:9], v3, s10, v[52:53]
	v_mov_b32_e32 v1, v0
	s_cbranch_scc1 .LBB56_1120
.LBB56_1121:
	s_cbranch_execnz .LBB56_1124
.LBB56_1122:
	s_load_dwordx4 s[4:7], s[52:53], 0x4
	s_load_dwordx2 s[2:3], s[52:53], 0xc4
	s_cmp_lt_u32 s33, 2
	s_waitcnt lgkmcnt(0)
	v_mul_hi_u32 v0, s5, v36
	v_add_u32_e32 v0, v36, v0
	v_lshrrev_b32_e32 v1, s6, v0
	v_mul_lo_u32 v0, v1, s4
	v_sub_u32_e32 v2, v36, v0
	v_mul_lo_u32 v0, v2, s3
	v_mul_lo_u32 v52, v2, s2
	s_cbranch_scc1 .LBB56_1124
; %bb.1123:
	s_load_dwordx4 s[4:7], s[52:53], 0x10
	s_load_dwordx2 s[2:3], s[52:53], 0xcc
	s_waitcnt lgkmcnt(0)
	v_mul_hi_u32 v2, s5, v1
	v_add_u32_e32 v2, v1, v2
	v_lshrrev_b32_e32 v2, s6, v2
	v_mul_lo_u32 v2, v2, s4
	v_sub_u32_e32 v1, v1, v2
	v_mad_u64_u32 v[52:53], s[4:5], v1, s2, v[52:53]
	v_mad_u64_u32 v[0:1], s[2:3], v1, s3, v[0:1]
.LBB56_1124:
	s_and_b64 vcc, exec, s[0:1]
	v_add_u32_e32 v2, 0x80, v36
	s_cbranch_vccnz .LBB56_1130
; %bb.1125:
	s_cmp_lg_u32 s33, 0
	s_mov_b32 s26, 0
	s_cbranch_scc0 .LBB56_1131
; %bb.1126:
	s_min_u32 s27, s43, 15
	s_add_i32 s27, s27, 1
	s_cmp_eq_u32 s43, 2
	s_cbranch_scc1 .LBB56_1132
; %bb.1127:
	s_and_b32 s26, s27, 28
	s_add_u32 s2, s52, 0xc4
	s_addc_u32 s3, s53, 0
	s_mov_b32 s28, 0
	v_mov_b32_e32 v50, 0
	v_mov_b32_e32 v8, 0
	s_mov_b64 s[24:25], s[52:53]
	v_mov_b32_e32 v3, v2
.LBB56_1128:                            ; =>This Inner Loop Header: Depth=1
	s_load_dwordx8 s[12:19], s[24:25], 0x4
	s_load_dwordx4 s[20:23], s[24:25], 0x24
	s_load_dwordx8 s[4:11], s[2:3], 0x0
	s_add_u32 s24, s24, 48
	s_addc_u32 s25, s25, 0
	s_waitcnt lgkmcnt(0)
	v_mul_hi_u32 v1, s13, v3
	v_add_u32_e32 v1, v3, v1
	v_lshrrev_b32_e32 v1, s14, v1
	v_mul_lo_u32 v4, v1, s12
	v_mul_hi_u32 v5, s16, v1
	v_sub_u32_e32 v3, v3, v4
	v_add_u32_e32 v4, v1, v5
	v_lshrrev_b32_e32 v4, s17, v4
	v_mul_lo_u32 v6, v4, s15
	v_mul_hi_u32 v7, s19, v4
	v_sub_u32_e32 v1, v1, v6
	v_add_u32_e32 v6, v4, v7
	v_mul_lo_u32 v5, v3, s5
	v_mul_lo_u32 v3, v3, s4
	;; [unrolled: 1-line block ×4, first 2 shown]
	v_lshrrev_b32_e32 v6, s20, v6
	v_add3_u32 v1, v3, v50, v1
	v_add3_u32 v5, v5, v8, v7
	v_mul_lo_u32 v3, v6, s18
	v_mul_hi_u32 v7, s22, v6
	v_sub_u32_e32 v3, v4, v3
	v_add_u32_e32 v4, v6, v7
	v_mul_lo_u32 v7, v3, s8
	v_mul_lo_u32 v8, v3, s9
	v_lshrrev_b32_e32 v3, s23, v4
	s_add_i32 s28, s28, 4
	v_mul_lo_u32 v4, v3, s21
	s_add_u32 s2, s2, 32
	v_sub_u32_e32 v4, v6, v4
	s_addc_u32 s3, s3, 0
	v_mul_lo_u32 v6, v4, s10
	v_mul_lo_u32 v4, v4, s11
	s_cmp_lg_u32 s26, s28
	v_add3_u32 v8, v8, v5, v4
	v_add3_u32 v50, v7, v1, v6
	s_cbranch_scc1 .LBB56_1128
; %bb.1129:
	v_mov_b32_e32 v1, v8
	s_and_b32 s6, s27, 3
	s_cmp_eq_u32 s6, 0
	s_cbranch_scc0 .LBB56_1133
	s_branch .LBB56_1135
.LBB56_1130:
                                        ; implicit-def: $vgpr8
                                        ; implicit-def: $vgpr50
	s_branch .LBB56_1136
.LBB56_1131:
	v_mov_b32_e32 v8, 0
	v_mov_b32_e32 v50, 0
	s_branch .LBB56_1135
.LBB56_1132:
	v_mov_b32_e32 v50, 0
                                        ; implicit-def: $vgpr8
	v_mov_b32_e32 v1, v50
	v_mov_b32_e32 v3, v2
	s_and_b32 s6, s27, 3
	s_cmp_eq_u32 s6, 0
	s_cbranch_scc1 .LBB56_1135
.LBB56_1133:
	s_lshl_b32 s2, s26, 3
	s_add_u32 s2, s52, s2
	s_addc_u32 s3, s53, 0
	s_add_u32 s2, s2, 0xc4
	s_addc_u32 s3, s3, 0
	s_mul_i32 s4, s26, 12
	s_add_u32 s4, s52, s4
	s_addc_u32 s5, s53, 0
.LBB56_1134:                            ; =>This Inner Loop Header: Depth=1
	s_load_dwordx2 s[8:9], s[4:5], 0x4
	s_load_dword s7, s[4:5], 0xc
	s_load_dwordx2 s[10:11], s[2:3], 0x0
	v_mov_b32_e32 v4, v1
	s_add_u32 s4, s4, 12
	s_waitcnt lgkmcnt(0)
	v_mul_hi_u32 v1, s9, v3
	v_add_u32_e32 v1, v3, v1
	v_lshrrev_b32_e32 v1, s7, v1
	s_addc_u32 s5, s5, 0
	v_mul_lo_u32 v5, v1, s8
	s_add_u32 s2, s2, 8
	v_sub_u32_e32 v5, v3, v5
	s_addc_u32 s3, s3, 0
	s_add_i32 s6, s6, -1
	v_mad_u64_u32 v[8:9], s[8:9], v5, s11, v[4:5]
	s_cmp_lg_u32 s6, 0
	v_mov_b32_e32 v3, v1
	v_mad_u64_u32 v[50:51], s[8:9], v5, s10, v[50:51]
	v_mov_b32_e32 v1, v8
	s_cbranch_scc1 .LBB56_1134
.LBB56_1135:
	s_cbranch_execnz .LBB56_1138
.LBB56_1136:
	s_load_dwordx4 s[4:7], s[52:53], 0x4
	s_load_dwordx2 s[2:3], s[52:53], 0xc4
	s_cmp_lt_u32 s33, 2
	s_waitcnt lgkmcnt(0)
	v_mul_hi_u32 v1, s5, v2
	v_add_u32_e32 v1, v2, v1
	v_lshrrev_b32_e32 v1, s6, v1
	v_mul_lo_u32 v3, v1, s4
	v_sub_u32_e32 v2, v2, v3
	v_mul_lo_u32 v8, v2, s3
	v_mul_lo_u32 v50, v2, s2
	s_cbranch_scc1 .LBB56_1138
; %bb.1137:
	s_load_dwordx4 s[4:7], s[52:53], 0x10
	s_load_dwordx2 s[2:3], s[52:53], 0xcc
	s_waitcnt lgkmcnt(0)
	v_mul_hi_u32 v2, s5, v1
	v_add_u32_e32 v2, v1, v2
	v_lshrrev_b32_e32 v2, s6, v2
	v_mul_lo_u32 v2, v2, s4
	v_sub_u32_e32 v1, v1, v2
	v_mad_u64_u32 v[50:51], s[4:5], v1, s2, v[50:51]
	v_mad_u64_u32 v[8:9], s[2:3], v1, s3, v[8:9]
.LBB56_1138:
	s_and_b64 vcc, exec, s[0:1]
	v_add_u32_e32 v2, 0x100, v36
	s_cbranch_vccnz .LBB56_1144
; %bb.1139:
	s_cmp_lg_u32 s33, 0
	s_mov_b32 s26, 0
	s_cbranch_scc0 .LBB56_1145
; %bb.1140:
	s_min_u32 s27, s43, 15
	s_add_i32 s27, s27, 1
	s_cmp_eq_u32 s43, 2
	s_cbranch_scc1 .LBB56_1146
; %bb.1141:
	s_and_b32 s26, s27, 28
	s_add_u32 s2, s52, 0xc4
	s_addc_u32 s3, s53, 0
	s_mov_b32 s28, 0
	v_mov_b32_e32 v48, 0
	v_mov_b32_e32 v6, 0
	s_mov_b64 s[24:25], s[52:53]
	v_mov_b32_e32 v3, v2
.LBB56_1142:                            ; =>This Inner Loop Header: Depth=1
	s_load_dwordx8 s[12:19], s[24:25], 0x4
	s_load_dwordx4 s[20:23], s[24:25], 0x24
	s_load_dwordx8 s[4:11], s[2:3], 0x0
	s_add_u32 s24, s24, 48
	s_addc_u32 s25, s25, 0
	s_waitcnt lgkmcnt(0)
	v_mul_hi_u32 v1, s13, v3
	v_add_u32_e32 v1, v3, v1
	v_lshrrev_b32_e32 v1, s14, v1
	v_mul_lo_u32 v4, v1, s12
	v_mul_hi_u32 v5, s16, v1
	v_sub_u32_e32 v3, v3, v4
	v_add_u32_e32 v4, v1, v5
	v_lshrrev_b32_e32 v4, s17, v4
	v_mul_lo_u32 v7, v4, s15
	v_mul_hi_u32 v9, s19, v4
	v_sub_u32_e32 v1, v1, v7
	v_add_u32_e32 v7, v4, v9
	v_mul_lo_u32 v5, v3, s5
	v_mul_lo_u32 v3, v3, s4
	;; [unrolled: 1-line block ×4, first 2 shown]
	v_lshrrev_b32_e32 v7, s20, v7
	v_add3_u32 v1, v3, v48, v1
	v_add3_u32 v5, v5, v6, v9
	v_mul_lo_u32 v3, v7, s18
	v_mul_hi_u32 v6, s22, v7
	v_sub_u32_e32 v3, v4, v3
	v_add_u32_e32 v4, v7, v6
	v_mul_lo_u32 v9, v3, s8
	v_mul_lo_u32 v6, v3, s9
	v_lshrrev_b32_e32 v3, s23, v4
	s_add_i32 s28, s28, 4
	v_mul_lo_u32 v4, v3, s21
	s_add_u32 s2, s2, 32
	v_sub_u32_e32 v4, v7, v4
	s_addc_u32 s3, s3, 0
	v_mul_lo_u32 v7, v4, s10
	v_mul_lo_u32 v4, v4, s11
	s_cmp_lg_u32 s26, s28
	v_add3_u32 v6, v6, v5, v4
	v_add3_u32 v48, v9, v1, v7
	s_cbranch_scc1 .LBB56_1142
; %bb.1143:
	v_mov_b32_e32 v1, v6
	s_and_b32 s6, s27, 3
	s_cmp_eq_u32 s6, 0
	s_cbranch_scc0 .LBB56_1147
	s_branch .LBB56_1149
.LBB56_1144:
                                        ; implicit-def: $vgpr6
                                        ; implicit-def: $vgpr48
	s_branch .LBB56_1150
.LBB56_1145:
	v_mov_b32_e32 v6, 0
	v_mov_b32_e32 v48, 0
	s_branch .LBB56_1149
.LBB56_1146:
	v_mov_b32_e32 v48, 0
                                        ; implicit-def: $vgpr6
	v_mov_b32_e32 v1, v48
	v_mov_b32_e32 v3, v2
	s_and_b32 s6, s27, 3
	s_cmp_eq_u32 s6, 0
	s_cbranch_scc1 .LBB56_1149
.LBB56_1147:
	s_lshl_b32 s2, s26, 3
	s_add_u32 s2, s52, s2
	s_addc_u32 s3, s53, 0
	s_add_u32 s2, s2, 0xc4
	s_addc_u32 s3, s3, 0
	s_mul_i32 s4, s26, 12
	s_add_u32 s4, s52, s4
	s_addc_u32 s5, s53, 0
.LBB56_1148:                            ; =>This Inner Loop Header: Depth=1
	s_load_dwordx2 s[8:9], s[4:5], 0x4
	s_load_dword s7, s[4:5], 0xc
	s_load_dwordx2 s[10:11], s[2:3], 0x0
	v_mov_b32_e32 v4, v1
	s_add_u32 s4, s4, 12
	s_waitcnt lgkmcnt(0)
	v_mul_hi_u32 v1, s9, v3
	v_add_u32_e32 v1, v3, v1
	v_lshrrev_b32_e32 v1, s7, v1
	s_addc_u32 s5, s5, 0
	v_mul_lo_u32 v5, v1, s8
	s_add_u32 s2, s2, 8
	v_sub_u32_e32 v5, v3, v5
	s_addc_u32 s3, s3, 0
	s_add_i32 s6, s6, -1
	v_mad_u64_u32 v[6:7], s[8:9], v5, s11, v[4:5]
	s_cmp_lg_u32 s6, 0
	v_mov_b32_e32 v3, v1
	v_mad_u64_u32 v[48:49], s[8:9], v5, s10, v[48:49]
	v_mov_b32_e32 v1, v6
	s_cbranch_scc1 .LBB56_1148
.LBB56_1149:
	s_cbranch_execnz .LBB56_1152
.LBB56_1150:
	s_load_dwordx4 s[4:7], s[52:53], 0x4
	s_load_dwordx2 s[2:3], s[52:53], 0xc4
	s_cmp_lt_u32 s33, 2
	s_waitcnt lgkmcnt(0)
	v_mul_hi_u32 v1, s5, v2
	v_add_u32_e32 v1, v2, v1
	v_lshrrev_b32_e32 v1, s6, v1
	v_mul_lo_u32 v3, v1, s4
	v_sub_u32_e32 v2, v2, v3
	v_mul_lo_u32 v6, v2, s3
	v_mul_lo_u32 v48, v2, s2
	s_cbranch_scc1 .LBB56_1152
; %bb.1151:
	s_load_dwordx4 s[4:7], s[52:53], 0x10
	s_load_dwordx2 s[2:3], s[52:53], 0xcc
	s_waitcnt lgkmcnt(0)
	v_mul_hi_u32 v2, s5, v1
	v_add_u32_e32 v2, v1, v2
	v_lshrrev_b32_e32 v2, s6, v2
	v_mul_lo_u32 v2, v2, s4
	v_sub_u32_e32 v1, v1, v2
	v_mad_u64_u32 v[48:49], s[4:5], v1, s2, v[48:49]
	v_mad_u64_u32 v[6:7], s[2:3], v1, s3, v[6:7]
.LBB56_1152:
	s_and_b64 vcc, exec, s[0:1]
	s_cbranch_vccnz .LBB56_1158
; %bb.1153:
	s_cmp_lg_u32 s33, 0
	s_mov_b32 s24, 0
	s_cbranch_scc0 .LBB56_1159
; %bb.1154:
	s_min_u32 s25, s43, 15
	s_add_i32 s25, s25, 1
	s_cmp_eq_u32 s43, 2
	s_cbranch_scc1 .LBB56_1160
; %bb.1155:
	s_and_b32 s24, s25, 28
	s_add_u32 s20, s52, 0xc4
	s_addc_u32 s21, s53, 0
	s_mov_b32 s26, 0
	v_mov_b32_e32 v46, 0
	v_mov_b32_e32 v4, 0
	s_mov_b64 s[22:23], s[52:53]
	v_mov_b32_e32 v2, v10
.LBB56_1156:                            ; =>This Inner Loop Header: Depth=1
	s_load_dwordx8 s[8:15], s[22:23], 0x4
	s_load_dwordx4 s[16:19], s[22:23], 0x24
	s_load_dwordx8 s[0:7], s[20:21], 0x0
	s_add_u32 s22, s22, 48
	s_addc_u32 s23, s23, 0
	s_waitcnt lgkmcnt(0)
	v_mul_hi_u32 v1, s9, v2
	v_add_u32_e32 v1, v2, v1
	v_lshrrev_b32_e32 v1, s10, v1
	v_mul_lo_u32 v3, v1, s8
	v_mul_hi_u32 v5, s12, v1
	v_sub_u32_e32 v2, v2, v3
	v_add_u32_e32 v3, v1, v5
	v_lshrrev_b32_e32 v3, s13, v3
	v_mul_lo_u32 v7, v3, s11
	v_mul_hi_u32 v9, s15, v3
	v_sub_u32_e32 v1, v1, v7
	v_add_u32_e32 v7, v3, v9
	v_mul_lo_u32 v5, v2, s1
	v_mul_lo_u32 v2, v2, s0
	;; [unrolled: 1-line block ×4, first 2 shown]
	v_lshrrev_b32_e32 v7, s16, v7
	v_add3_u32 v1, v2, v46, v1
	v_add3_u32 v4, v5, v4, v9
	v_mul_lo_u32 v2, v7, s14
	v_mul_hi_u32 v5, s18, v7
	v_sub_u32_e32 v2, v3, v2
	v_add_u32_e32 v3, v7, v5
	v_mul_lo_u32 v5, v2, s4
	v_mul_lo_u32 v9, v2, s5
	v_lshrrev_b32_e32 v2, s19, v3
	s_add_i32 s26, s26, 4
	v_mul_lo_u32 v3, v2, s17
	s_add_u32 s20, s20, 32
	v_sub_u32_e32 v3, v7, v3
	s_addc_u32 s21, s21, 0
	v_mul_lo_u32 v7, v3, s6
	v_mul_lo_u32 v3, v3, s7
	s_cmp_lg_u32 s24, s26
	v_add3_u32 v4, v9, v4, v3
	v_add3_u32 v46, v5, v1, v7
	s_cbranch_scc1 .LBB56_1156
; %bb.1157:
	v_mov_b32_e32 v1, v4
	s_and_b32 s4, s25, 3
	s_cmp_eq_u32 s4, 0
	s_cbranch_scc0 .LBB56_1161
	s_branch .LBB56_1163
.LBB56_1158:
                                        ; implicit-def: $vgpr4
                                        ; implicit-def: $vgpr46
	s_branch .LBB56_1164
.LBB56_1159:
	v_mov_b32_e32 v4, 0
	v_mov_b32_e32 v46, 0
	s_branch .LBB56_1163
.LBB56_1160:
	v_mov_b32_e32 v46, 0
                                        ; implicit-def: $vgpr4
	v_mov_b32_e32 v1, v46
	v_mov_b32_e32 v2, v10
	s_and_b32 s4, s25, 3
	s_cmp_eq_u32 s4, 0
	s_cbranch_scc1 .LBB56_1163
.LBB56_1161:
	s_lshl_b32 s0, s24, 3
	s_add_u32 s0, s52, s0
	s_addc_u32 s1, s53, 0
	s_add_u32 s0, s0, 0xc4
	s_addc_u32 s1, s1, 0
	s_mul_i32 s2, s24, 12
	s_add_u32 s2, s52, s2
	s_addc_u32 s3, s53, 0
.LBB56_1162:                            ; =>This Inner Loop Header: Depth=1
	s_load_dwordx2 s[6:7], s[2:3], 0x4
	s_load_dword s5, s[2:3], 0xc
	s_load_dwordx2 s[8:9], s[0:1], 0x0
	v_mov_b32_e32 v4, v1
	s_add_u32 s2, s2, 12
	s_waitcnt lgkmcnt(0)
	v_mul_hi_u32 v1, s7, v2
	v_add_u32_e32 v1, v2, v1
	v_lshrrev_b32_e32 v1, s5, v1
	s_addc_u32 s3, s3, 0
	v_mul_lo_u32 v3, v1, s6
	s_add_u32 s0, s0, 8
	v_sub_u32_e32 v3, v2, v3
	s_addc_u32 s1, s1, 0
	s_add_i32 s4, s4, -1
	v_mad_u64_u32 v[4:5], s[6:7], v3, s9, v[4:5]
	s_cmp_lg_u32 s4, 0
	v_mov_b32_e32 v2, v1
	v_mad_u64_u32 v[46:47], s[6:7], v3, s8, v[46:47]
	v_mov_b32_e32 v1, v4
	s_cbranch_scc1 .LBB56_1162
.LBB56_1163:
	s_cbranch_execnz .LBB56_1166
.LBB56_1164:
	s_load_dwordx4 s[0:3], s[52:53], 0x4
	s_load_dwordx2 s[4:5], s[52:53], 0xc4
	s_cmp_lt_u32 s33, 2
	s_waitcnt lgkmcnt(0)
	v_mul_hi_u32 v1, s1, v10
	v_add_u32_e32 v1, v10, v1
	v_lshrrev_b32_e32 v1, s2, v1
	v_mul_lo_u32 v2, v1, s0
	v_sub_u32_e32 v2, v10, v2
	v_mul_lo_u32 v4, v2, s5
	v_mul_lo_u32 v46, v2, s4
	s_cbranch_scc1 .LBB56_1166
; %bb.1165:
	s_load_dwordx4 s[0:3], s[52:53], 0x10
	s_load_dwordx2 s[4:5], s[52:53], 0xcc
	s_waitcnt lgkmcnt(0)
	v_mul_hi_u32 v2, s1, v1
	v_add_u32_e32 v2, v1, v2
	v_lshrrev_b32_e32 v2, s2, v2
	v_mul_lo_u32 v2, v2, s0
	v_sub_u32_e32 v1, v1, v2
	v_mad_u64_u32 v[46:47], s[0:1], v1, s4, v[46:47]
	v_mad_u64_u32 v[4:5], s[0:1], v1, s5, v[4:5]
.LBB56_1166:
	s_load_dword s33, s[34:35], 0x160
	s_load_dwordx4 s[36:39], s[52:53], 0x148
	v_mov_b32_e32 v1, 0
	s_waitcnt lgkmcnt(0)
	s_bfe_u32 s10, s33, 0x80010
	s_cmp_lt_i32 s10, 11
	v_lshl_add_u64 v[10:11], s[38:39], 0, v[0:1]
	s_cbranch_scc1 .LBB56_1173
; %bb.1167:
	s_and_b32 s11, 0xffff, s10
	s_cmp_gt_i32 s11, 25
	s_mov_b64 s[2:3], 0
	s_cbranch_scc0 .LBB56_1175
; %bb.1168:
	s_cmp_gt_i32 s11, 28
	s_cbranch_scc0 .LBB56_1176
; %bb.1169:
	s_cmp_gt_i32 s11, 43
	;; [unrolled: 3-line block ×3, first 2 shown]
	s_cbranch_scc0 .LBB56_1178
; %bb.1171:
	s_cmp_eq_u32 s11, 46
	s_mov_b64 s[6:7], 0
	s_cbranch_scc0 .LBB56_1181
; %bb.1172:
	global_load_dword v0, v[10:11], off
	s_mov_b64 s[0:1], 0
	s_mov_b64 s[4:5], -1
	s_waitcnt vmcnt(0)
	v_and_b32_e32 v2, 0xffff0000, v0
	v_lshlrev_b32_e32 v0, 16, v0
	v_cvt_f64_f32_e32 v[0:1], v0
	v_cvt_f64_f32_e32 v[2:3], v2
	s_branch .LBB56_1182
.LBB56_1173:
	s_mov_b64 s[4:5], 0
                                        ; implicit-def: $vgpr2_vgpr3
	s_mov_b64 s[34:35], s[44:45]
	s_cbranch_execnz .LBB56_1248
.LBB56_1174:
	s_andn2_b64 vcc, exec, s[4:5]
	s_cbranch_vccz .LBB56_1295
	s_branch .LBB56_2131
.LBB56_1175:
	s_mov_b64 s[4:5], 0
	s_mov_b64 s[0:1], 0
                                        ; implicit-def: $vgpr2_vgpr3
	s_cbranch_execnz .LBB56_1214
	s_branch .LBB56_1244
.LBB56_1176:
	s_mov_b64 s[4:5], 0
	s_mov_b64 s[0:1], 0
                                        ; implicit-def: $vgpr2_vgpr3
	s_cbranch_execnz .LBB56_1194
	s_branch .LBB56_1213
.LBB56_1177:
	s_mov_b64 s[6:7], -1
	s_mov_b64 s[4:5], 0
	s_mov_b64 s[0:1], 0
                                        ; implicit-def: $vgpr2_vgpr3
	s_branch .LBB56_1188
.LBB56_1178:
	s_mov_b64 s[6:7], -1
	s_mov_b64 s[4:5], 0
	s_mov_b64 s[0:1], 0
                                        ; implicit-def: $vgpr2_vgpr3
	s_branch .LBB56_1182
.LBB56_1179:
	s_andn2_saveexec_b64 s[6:7], s[6:7]
	s_cbranch_execz .LBB56_1022
.LBB56_1180:
	s_mov_b32 s8, 0x46000000
	v_add_f32_e64 v5, |v4|, s8
	v_and_b32_e32 v5, 0xff, v5
	v_cmp_ne_u32_e32 vcc, 0, v5
	s_andn2_b64 s[4:5], s[4:5], exec
	s_and_b64 s[8:9], vcc, exec
	s_or_b64 s[4:5], s[4:5], s[8:9]
	s_or_b64 exec, exec, s[6:7]
	v_mov_b32_e32 v6, 0
	s_and_saveexec_b64 s[6:7], s[4:5]
	s_cbranch_execnz .LBB56_1023
	s_branch .LBB56_1024
.LBB56_1181:
	s_mov_b64 s[0:1], -1
                                        ; implicit-def: $vgpr2_vgpr3
	s_mov_b64 s[4:5], 0
.LBB56_1182:
	s_and_b64 vcc, exec, s[6:7]
	s_cbranch_vccz .LBB56_1187
; %bb.1183:
	s_cmp_eq_u32 s11, 44
	s_cbranch_scc0 .LBB56_1185
; %bb.1184:
	global_load_ubyte v2, v[10:11], off
	s_movk_i32 s4, 0xff
	v_bfrev_b32_e32 v3, 4
	v_mov_b32_e32 v5, 0x7ff80000
	v_bfrev_b32_e32 v7, 28
	s_mov_b64 s[0:1], 0
	s_waitcnt vmcnt(0)
	v_lshlrev_b32_e32 v0, 23, v2
	v_cvt_f64_f32_e32 v[0:1], v0
	v_cmp_ne_u32_e32 vcc, s4, v2
	s_mov_b64 s[4:5], -1
	s_nop 0
	v_cndmask_b32_e32 v0, v3, v0, vcc
	v_cndmask_b32_e32 v1, v5, v1, vcc
	v_cmp_ne_u32_e32 vcc, 0, v2
	s_nop 1
	v_cndmask_b32_e32 v1, v7, v1, vcc
	v_cndmask_b32_e32 v0, 0, v0, vcc
	s_branch .LBB56_1186
.LBB56_1185:
	s_mov_b64 s[0:1], -1
                                        ; implicit-def: $vgpr0_vgpr1
.LBB56_1186:
	v_mov_b64_e32 v[2:3], 0
.LBB56_1187:
	s_mov_b64 s[6:7], 0
.LBB56_1188:
	s_and_b64 vcc, exec, s[6:7]
	s_cbranch_vccz .LBB56_1193
; %bb.1189:
	s_cmp_eq_u32 s11, 29
	s_cbranch_scc0 .LBB56_1191
; %bb.1190:
	global_load_dwordx2 v[0:1], v[10:11], off
	s_mov_b64 s[0:1], 0
	s_mov_b64 s[4:5], -1
	s_waitcnt vmcnt(0)
	v_cvt_f64_u32_e32 v[2:3], v1
	v_cvt_f64_u32_e32 v[0:1], v0
	v_ldexp_f64 v[2:3], v[2:3], 32
	v_add_f64 v[0:1], v[2:3], v[0:1]
	s_branch .LBB56_1192
.LBB56_1191:
	s_mov_b64 s[0:1], -1
                                        ; implicit-def: $vgpr0_vgpr1
.LBB56_1192:
	v_mov_b64_e32 v[2:3], 0
.LBB56_1193:
	s_branch .LBB56_1213
.LBB56_1194:
	s_cmp_lt_i32 s11, 27
	s_cbranch_scc1 .LBB56_1197
; %bb.1195:
	s_cmp_gt_i32 s11, 27
	s_cbranch_scc0 .LBB56_1198
; %bb.1196:
	global_load_dword v0, v[10:11], off
	s_mov_b64 s[4:5], 0
	s_waitcnt vmcnt(0)
	v_cvt_f64_u32_e32 v[0:1], v0
	s_branch .LBB56_1199
.LBB56_1197:
	s_mov_b64 s[4:5], -1
                                        ; implicit-def: $vgpr0_vgpr1
	s_branch .LBB56_1202
.LBB56_1198:
	s_mov_b64 s[4:5], -1
                                        ; implicit-def: $vgpr0_vgpr1
.LBB56_1199:
	s_andn2_b64 vcc, exec, s[4:5]
	s_cbranch_vccnz .LBB56_1201
; %bb.1200:
	global_load_ushort v0, v[10:11], off
	s_waitcnt vmcnt(0)
	v_cvt_f64_u32_e32 v[0:1], v0
.LBB56_1201:
	s_mov_b64 s[4:5], 0
.LBB56_1202:
	s_andn2_b64 vcc, exec, s[4:5]
	s_cbranch_vccnz .LBB56_1212
; %bb.1203:
	global_load_ubyte v2, v[10:11], off
	s_movk_i32 s4, 0x7f
	s_waitcnt vmcnt(0)
	v_cmp_lt_i16_e32 vcc, s4, v2
	s_mov_b64 s[4:5], 0
	s_and_saveexec_b64 s[6:7], vcc
	s_xor_b64 s[6:7], exec, s[6:7]
	s_cbranch_execz .LBB56_1207
; %bb.1204:
	s_movk_i32 s4, 0x80
	v_cmp_eq_u16_e32 vcc, s4, v2
	s_mov_b64 s[4:5], -1
	s_and_saveexec_b64 s[8:9], vcc
; %bb.1205:
	s_xor_b64 s[4:5], exec, -1
; %bb.1206:
	s_or_b64 exec, exec, s[8:9]
	s_and_b64 s[4:5], s[4:5], exec
.LBB56_1207:
	s_or_saveexec_b64 s[6:7], s[6:7]
	v_bfrev_b32_e32 v0, 4
	v_mov_b32_e32 v1, 0x7ff80000
	s_xor_b64 exec, exec, s[6:7]
; %bb.1208:
	v_cmp_ne_u16_e32 vcc, 0, v2
	s_andn2_b64 s[4:5], s[4:5], exec
	s_and_b64 s[8:9], vcc, exec
	v_mov_b64_e32 v[0:1], 0
	s_or_b64 s[4:5], s[4:5], s[8:9]
; %bb.1209:
	s_or_b64 exec, exec, s[6:7]
	s_and_saveexec_b64 s[6:7], s[4:5]
	s_cbranch_execz .LBB56_1211
; %bb.1210:
	v_and_b32_e32 v1, 0xffff, v2
	v_lshlrev_b32_e32 v0, 24, v2
	v_and_b32_e32 v2, 7, v1
	v_ffbh_u32_e32 v5, v2
	v_min_u32_e32 v5, 32, v5
	v_subrev_u32_e32 v7, 28, v5
	v_bfe_u32 v3, v1, 3, 4
	v_lshlrev_b32_e32 v1, v7, v1
	v_sub_u32_e32 v5, 29, v5
	v_and_b32_e32 v1, 7, v1
	v_cmp_eq_u32_e32 vcc, 0, v3
	v_and_b32_e32 v0, 0x80000000, v0
	s_nop 0
	v_cndmask_b32_e32 v3, v3, v5, vcc
	v_cndmask_b32_e32 v1, v2, v1, vcc
	v_mov_b32_e32 v2, 0x3b800000
	v_lshlrev_b32_e32 v1, 20, v1
	v_lshl_add_u32 v2, v3, 23, v2
	v_or3_b32 v0, v0, v2, v1
	v_cvt_f64_f32_e32 v[0:1], v0
.LBB56_1211:
	s_or_b64 exec, exec, s[6:7]
.LBB56_1212:
	s_mov_b64 s[4:5], -1
	v_mov_b64_e32 v[2:3], 0
.LBB56_1213:
	s_branch .LBB56_1244
.LBB56_1214:
	s_cmp_gt_i32 s11, 22
	s_cbranch_scc0 .LBB56_1226
; %bb.1215:
	s_cmp_lt_i32 s11, 24
	s_cbranch_scc1 .LBB56_1227
; %bb.1216:
	s_cmp_gt_i32 s11, 24
	s_cbranch_scc0 .LBB56_1228
; %bb.1217:
	global_load_ubyte v2, v[10:11], off
	s_movk_i32 s2, 0x7f
	s_waitcnt vmcnt(0)
	v_cmp_lt_i16_e32 vcc, s2, v2
	s_mov_b64 s[2:3], 0
	s_and_saveexec_b64 s[4:5], vcc
	s_xor_b64 s[4:5], exec, s[4:5]
	s_cbranch_execz .LBB56_1221
; %bb.1218:
	s_movk_i32 s2, 0x80
	v_cmp_eq_u16_e32 vcc, s2, v2
	s_mov_b64 s[2:3], -1
	s_and_saveexec_b64 s[6:7], vcc
; %bb.1219:
	s_xor_b64 s[2:3], exec, -1
; %bb.1220:
	s_or_b64 exec, exec, s[6:7]
	s_and_b64 s[2:3], s[2:3], exec
.LBB56_1221:
	s_or_saveexec_b64 s[4:5], s[4:5]
	v_bfrev_b32_e32 v0, 4
	v_mov_b32_e32 v1, 0x7ff80000
	s_xor_b64 exec, exec, s[4:5]
; %bb.1222:
	v_cmp_ne_u16_e32 vcc, 0, v2
	s_andn2_b64 s[2:3], s[2:3], exec
	s_and_b64 s[6:7], vcc, exec
	v_mov_b64_e32 v[0:1], 0
	s_or_b64 s[2:3], s[2:3], s[6:7]
; %bb.1223:
	s_or_b64 exec, exec, s[4:5]
	s_and_saveexec_b64 s[4:5], s[2:3]
	s_cbranch_execz .LBB56_1225
; %bb.1224:
	v_and_b32_e32 v1, 0xffff, v2
	v_lshlrev_b32_e32 v0, 24, v2
	v_and_b32_e32 v2, 3, v1
	v_ffbh_u32_e32 v5, v2
	v_min_u32_e32 v5, 32, v5
	v_subrev_u32_e32 v7, 29, v5
	v_bfe_u32 v3, v1, 2, 5
	v_lshlrev_b32_e32 v1, v7, v1
	v_sub_u32_e32 v5, 30, v5
	v_and_b32_e32 v1, 3, v1
	v_cmp_eq_u32_e32 vcc, 0, v3
	v_and_b32_e32 v0, 0x80000000, v0
	s_nop 0
	v_cndmask_b32_e32 v3, v3, v5, vcc
	v_cndmask_b32_e32 v1, v2, v1, vcc
	v_mov_b32_e32 v2, 0x37800000
	v_lshlrev_b32_e32 v1, 21, v1
	v_lshl_add_u32 v2, v3, 23, v2
	v_or3_b32 v0, v0, v2, v1
	v_cvt_f64_f32_e32 v[0:1], v0
.LBB56_1225:
	s_or_b64 exec, exec, s[4:5]
	s_mov_b64 s[2:3], 0
	s_branch .LBB56_1229
.LBB56_1226:
                                        ; implicit-def: $vgpr0_vgpr1
	s_mov_b64 s[2:3], 0
	s_branch .LBB56_1235
.LBB56_1227:
	s_mov_b64 s[2:3], -1
                                        ; implicit-def: $vgpr0_vgpr1
	s_branch .LBB56_1232
.LBB56_1228:
	s_mov_b64 s[2:3], -1
                                        ; implicit-def: $vgpr0_vgpr1
.LBB56_1229:
	s_and_b64 vcc, exec, s[2:3]
	s_cbranch_vccz .LBB56_1231
; %bb.1230:
	global_load_ubyte v0, v[10:11], off
	s_mov_b32 s2, 0x7f800000
	s_waitcnt vmcnt(0)
	v_lshlrev_b32_e32 v0, 24, v0
	v_and_b32_e32 v1, 0x7f000000, v0
	v_ffbh_u32_e32 v2, v1
	v_min_u32_e32 v2, 32, v2
	v_sub_u32_e64 v2, v2, 4 clamp
	v_lshlrev_b32_e32 v5, v2, v1
	v_lshlrev_b32_e32 v2, 23, v2
	v_lshrrev_b32_e32 v5, 4, v5
	v_add_u32_e32 v3, 0x1000000, v1
	v_sub_u32_e32 v2, v5, v2
	v_ashrrev_i32_e32 v3, 8, v3
	v_add_u32_e32 v2, 0x3c000000, v2
	v_and_or_b32 v2, v3, s2, v2
	v_cmp_ne_u32_e32 vcc, 0, v1
	s_brev_b32 s2, 1
	s_nop 0
	v_cndmask_b32_e32 v1, 0, v2, vcc
	v_and_or_b32 v0, v0, s2, v1
	v_cvt_f64_f32_e32 v[0:1], v0
.LBB56_1231:
	s_mov_b64 s[2:3], 0
.LBB56_1232:
	s_andn2_b64 vcc, exec, s[2:3]
	s_cbranch_vccnz .LBB56_1234
; %bb.1233:
	global_load_ubyte v0, v[10:11], off
	s_movk_i32 s2, 0x7f00
	s_brev_b32 s3, 16
	s_waitcnt vmcnt(0)
	v_lshlrev_b16_e32 v1, 8, v0
	v_lshlrev_b32_e32 v0, 25, v0
	v_lshrrev_b32_e32 v2, 4, v0
	v_and_or_b32 v3, v1, s2, 0.5
	v_or_b32_e32 v2, 0x70000000, v2
	v_add_f32_e32 v3, -0.5, v3
	v_mul_f32_e32 v2, 0x7800000, v2
	v_cmp_gt_u32_e32 vcc, s3, v0
	v_bfe_i32 v1, v1, 0, 16
	s_brev_b32 s2, 1
	v_cndmask_b32_e32 v0, v2, v3, vcc
	v_and_or_b32 v0, v1, s2, v0
	v_cvt_f64_f32_e32 v[0:1], v0
.LBB56_1234:
	s_mov_b64 s[4:5], -1
	s_mov_b64 s[2:3], 0
	s_cbranch_execnz .LBB56_1243
.LBB56_1235:
	s_cmp_gt_i32 s11, 14
	s_cbranch_scc0 .LBB56_1238
; %bb.1236:
	s_cmp_eq_u32 s11, 15
	s_cbranch_scc0 .LBB56_1239
; %bb.1237:
	global_load_ushort v0, v[10:11], off
	s_mov_b64 s[0:1], 0
	s_mov_b64 s[4:5], -1
	s_waitcnt vmcnt(0)
	v_lshlrev_b32_e32 v0, 16, v0
	v_cvt_f64_f32_e32 v[0:1], v0
	s_branch .LBB56_1240
.LBB56_1238:
	s_mov_b64 s[6:7], -1
                                        ; implicit-def: $vgpr0_vgpr1
	s_branch .LBB56_1241
.LBB56_1239:
	s_mov_b64 s[0:1], -1
                                        ; implicit-def: $vgpr0_vgpr1
.LBB56_1240:
	s_mov_b64 s[6:7], 0
.LBB56_1241:
	s_and_b64 vcc, exec, s[6:7]
	s_cbranch_vccz .LBB56_1243
; %bb.1242:
	s_cmp_lg_u32 s11, 11
	s_mov_b64 s[2:3], -1
	s_cselect_b64 s[0:1], -1, 0
.LBB56_1243:
	v_mov_b64_e32 v[2:3], 0
.LBB56_1244:
	s_and_b64 vcc, exec, s[0:1]
	s_mov_b64 s[34:35], s[44:45]
	s_cbranch_vccnz .LBB56_1307
; %bb.1245:
	s_andn2_b64 vcc, exec, s[2:3]
	s_cbranch_vccnz .LBB56_1247
.LBB56_1246:
	global_load_ubyte v1, v[10:11], off
	v_mov_b32_e32 v2, 0x3ff00000
	v_mov_b32_e32 v0, 0
	s_mov_b64 s[4:5], -1
	s_waitcnt vmcnt(0)
	v_cmp_ne_u16_e32 vcc, 0, v1
	s_nop 1
	v_cndmask_b32_e32 v1, 0, v2, vcc
	v_mov_b64_e32 v[2:3], 0
.LBB56_1247:
	s_branch .LBB56_1174
.LBB56_1248:
	s_and_b32 s2, 0xffff, s10
	s_cmp_lt_i32 s2, 5
	s_cbranch_scc1 .LBB56_1253
; %bb.1249:
	s_cmp_lt_i32 s2, 8
	s_cbranch_scc1 .LBB56_1255
; %bb.1250:
	s_cmp_lt_i32 s2, 9
	s_cbranch_scc1 .LBB56_1256
; %bb.1251:
	s_cmp_gt_i32 s2, 9
	s_cbranch_scc0 .LBB56_1257
; %bb.1252:
	global_load_dwordx4 v[0:3], v[10:11], off
	s_mov_b64 s[0:1], 0
	s_branch .LBB56_1258
.LBB56_1253:
                                        ; implicit-def: $vgpr2_vgpr3
	s_branch .LBB56_1276
.LBB56_1254:
	s_branch .LBB56_1295
.LBB56_1255:
                                        ; implicit-def: $vgpr2_vgpr3
	s_branch .LBB56_1264
.LBB56_1256:
	s_mov_b64 s[0:1], -1
                                        ; implicit-def: $vgpr2_vgpr3
	s_branch .LBB56_1261
.LBB56_1257:
	s_mov_b64 s[0:1], -1
                                        ; implicit-def: $vgpr2_vgpr3
.LBB56_1258:
	s_andn2_b64 vcc, exec, s[0:1]
	s_cbranch_vccnz .LBB56_1260
; %bb.1259:
	global_load_dwordx2 v[2:3], v[10:11], off
	s_waitcnt vmcnt(0)
	v_cvt_f64_f32_e32 v[0:1], v2
	v_cvt_f64_f32_e32 v[2:3], v3
.LBB56_1260:
	s_mov_b64 s[0:1], 0
.LBB56_1261:
	s_andn2_b64 vcc, exec, s[0:1]
	s_cbranch_vccnz .LBB56_1263
; %bb.1262:
	global_load_dword v0, v[10:11], off
	s_waitcnt vmcnt(0)
	v_cvt_f32_f16_e32 v1, v0
	v_cvt_f32_f16_sdwa v2, v0 dst_sel:DWORD dst_unused:UNUSED_PAD src0_sel:WORD_1
	v_cvt_f64_f32_e32 v[0:1], v1
	v_cvt_f64_f32_e32 v[2:3], v2
.LBB56_1263:
	s_cbranch_execnz .LBB56_1275
.LBB56_1264:
	s_cmp_lt_i32 s2, 6
	s_cbranch_scc1 .LBB56_1267
; %bb.1265:
	s_cmp_gt_i32 s2, 6
	s_cbranch_scc0 .LBB56_1268
; %bb.1266:
	global_load_dwordx2 v[0:1], v[10:11], off
	s_mov_b64 s[0:1], 0
	s_branch .LBB56_1269
.LBB56_1267:
	s_mov_b64 s[0:1], -1
                                        ; implicit-def: $vgpr0_vgpr1
	s_branch .LBB56_1272
.LBB56_1268:
	s_mov_b64 s[0:1], -1
                                        ; implicit-def: $vgpr0_vgpr1
.LBB56_1269:
	s_andn2_b64 vcc, exec, s[0:1]
	s_cbranch_vccnz .LBB56_1271
; %bb.1270:
	global_load_dword v0, v[10:11], off
	s_waitcnt vmcnt(0)
	v_cvt_f64_f32_e32 v[0:1], v0
.LBB56_1271:
	s_mov_b64 s[0:1], 0
.LBB56_1272:
	s_andn2_b64 vcc, exec, s[0:1]
	s_cbranch_vccnz .LBB56_1274
; %bb.1273:
	global_load_ushort v0, v[10:11], off
	s_waitcnt vmcnt(0)
	v_cvt_f32_f16_e32 v0, v0
	v_cvt_f64_f32_e32 v[0:1], v0
.LBB56_1274:
	s_waitcnt vmcnt(0)
	v_mov_b64_e32 v[2:3], 0
.LBB56_1275:
	s_cbranch_execnz .LBB56_1254
.LBB56_1276:
	s_cmp_lt_i32 s2, 2
	s_cbranch_scc1 .LBB56_1280
; %bb.1277:
	s_cmp_lt_i32 s2, 3
	s_cbranch_scc1 .LBB56_1281
; %bb.1278:
	s_cmp_gt_i32 s2, 3
	s_cbranch_scc0 .LBB56_1282
; %bb.1279:
	global_load_dwordx2 v[0:1], v[10:11], off
	s_mov_b64 s[0:1], 0
	s_waitcnt vmcnt(0)
	v_cvt_f64_i32_e32 v[2:3], v1
	v_cvt_f64_u32_e32 v[0:1], v0
	v_ldexp_f64 v[2:3], v[2:3], 32
	v_add_f64 v[0:1], v[2:3], v[0:1]
	s_branch .LBB56_1283
.LBB56_1280:
                                        ; implicit-def: $vgpr0_vgpr1
	s_branch .LBB56_1289
.LBB56_1281:
	s_mov_b64 s[0:1], -1
                                        ; implicit-def: $vgpr0_vgpr1
	s_branch .LBB56_1286
.LBB56_1282:
	s_mov_b64 s[0:1], -1
                                        ; implicit-def: $vgpr0_vgpr1
.LBB56_1283:
	s_andn2_b64 vcc, exec, s[0:1]
	s_cbranch_vccnz .LBB56_1285
; %bb.1284:
	global_load_dword v0, v[10:11], off
	s_waitcnt vmcnt(0)
	v_cvt_f64_i32_e32 v[0:1], v0
.LBB56_1285:
	s_mov_b64 s[0:1], 0
.LBB56_1286:
	s_andn2_b64 vcc, exec, s[0:1]
	s_cbranch_vccnz .LBB56_1288
; %bb.1287:
	global_load_sshort v0, v[10:11], off
	s_waitcnt vmcnt(0)
	v_cvt_f64_i32_e32 v[0:1], v0
.LBB56_1288:
	s_cbranch_execnz .LBB56_1294
.LBB56_1289:
	s_cmp_gt_i32 s2, 0
	s_cbranch_scc0 .LBB56_1291
; %bb.1290:
	global_load_sbyte v0, v[10:11], off
	s_mov_b64 s[0:1], 0
	s_waitcnt vmcnt(0)
	v_cvt_f64_i32_e32 v[0:1], v0
	s_branch .LBB56_1292
.LBB56_1291:
	s_mov_b64 s[0:1], -1
                                        ; implicit-def: $vgpr0_vgpr1
.LBB56_1292:
	s_andn2_b64 vcc, exec, s[0:1]
	s_cbranch_vccnz .LBB56_1294
; %bb.1293:
	global_load_ubyte v0, v[10:11], off
	s_waitcnt vmcnt(0)
	v_cvt_f64_u32_e32 v[0:1], v0
.LBB56_1294:
	s_waitcnt vmcnt(0)
	v_mov_b64_e32 v[2:3], 0
.LBB56_1295:
	s_lshr_b32 s0, s33, 16
	v_mov_b32_e32 v9, 0
	s_and_b32 s10, s0, 0xff
	s_cmp_lt_i32 s10, 11
	v_lshl_add_u64 v[8:9], s[38:39], 0, v[8:9]
	s_cbranch_scc1 .LBB56_1302
; %bb.1296:
	s_and_b32 s11, 0xffff, s10
	s_cmp_gt_i32 s11, 25
	s_mov_b64 s[2:3], 0
	s_cbranch_scc0 .LBB56_1304
; %bb.1297:
	s_cmp_gt_i32 s11, 28
	s_cbranch_scc0 .LBB56_1305
; %bb.1298:
	s_cmp_gt_i32 s11, 43
	;; [unrolled: 3-line block ×3, first 2 shown]
	s_cbranch_scc0 .LBB56_1308
; %bb.1300:
	s_cmp_eq_u32 s11, 46
	s_mov_b64 s[6:7], 0
	s_cbranch_scc0 .LBB56_1311
; %bb.1301:
	global_load_dword v5, v[8:9], off
	s_mov_b64 s[0:1], 0
	s_mov_b64 s[4:5], -1
	s_waitcnt vmcnt(0)
	v_and_b32_e32 v7, 0xffff0000, v5
	v_lshlrev_b32_e32 v5, 16, v5
	v_cvt_f64_f32_e32 v[42:43], v5
	v_cvt_f64_f32_e32 v[44:45], v7
	s_branch .LBB56_1312
.LBB56_1302:
	s_mov_b64 s[4:5], 0
                                        ; implicit-def: $vgpr44_vgpr45
	s_cbranch_execnz .LBB56_1380
.LBB56_1303:
	s_andn2_b64 vcc, exec, s[4:5]
	s_cbranch_vccnz .LBB56_2131
	s_branch .LBB56_1429
.LBB56_1304:
	s_mov_b64 s[4:5], 0
	s_mov_b64 s[0:1], 0
                                        ; implicit-def: $vgpr44_vgpr45
	s_cbranch_execnz .LBB56_1345
	s_branch .LBB56_1376
.LBB56_1305:
	s_mov_b64 s[6:7], -1
	s_mov_b64 s[4:5], 0
	s_mov_b64 s[0:1], 0
                                        ; implicit-def: $vgpr44_vgpr45
	s_branch .LBB56_1324
.LBB56_1306:
	s_mov_b64 s[6:7], -1
	s_mov_b64 s[4:5], 0
	s_mov_b64 s[0:1], 0
                                        ; implicit-def: $vgpr44_vgpr45
	s_branch .LBB56_1318
.LBB56_1307:
	s_trap 2
	s_or_b64 s[34:35], s[44:45], exec
	s_cbranch_execz .LBB56_1246
	s_branch .LBB56_1247
.LBB56_1308:
	s_mov_b64 s[6:7], -1
	s_mov_b64 s[4:5], 0
	s_mov_b64 s[0:1], 0
                                        ; implicit-def: $vgpr44_vgpr45
	s_branch .LBB56_1312
.LBB56_1309:
	s_andn2_saveexec_b64 s[8:9], s[8:9]
	s_cbranch_execz .LBB56_1034
.LBB56_1310:
	s_mov_b32 s12, 0x42800000
	v_add_f32_e64 v5, |v4|, s12
	v_and_b32_e32 v5, 0xff, v5
	v_cmp_ne_u32_e32 vcc, 0, v5
	s_andn2_b64 s[6:7], s[6:7], exec
	s_and_b64 s[12:13], vcc, exec
	s_or_b64 s[6:7], s[6:7], s[12:13]
	s_or_b64 exec, exec, s[8:9]
	v_mov_b32_e32 v6, 0
	s_and_saveexec_b64 s[8:9], s[6:7]
	s_cbranch_execnz .LBB56_1035
	s_branch .LBB56_1036
.LBB56_1311:
	s_mov_b64 s[0:1], -1
                                        ; implicit-def: $vgpr44_vgpr45
	s_mov_b64 s[4:5], 0
.LBB56_1312:
	s_and_b64 vcc, exec, s[6:7]
	s_cbranch_vccz .LBB56_1317
; %bb.1313:
	s_cmp_eq_u32 s11, 44
	s_cbranch_scc0 .LBB56_1315
; %bb.1314:
	global_load_ubyte v5, v[8:9], off
	s_movk_i32 s4, 0xff
	v_bfrev_b32_e32 v7, 4
	v_mov_b32_e32 v12, 0x7ff80000
	v_bfrev_b32_e32 v13, 28
	s_mov_b64 s[0:1], 0
	s_waitcnt vmcnt(0)
	v_lshlrev_b32_e32 v10, 23, v5
	v_cvt_f64_f32_e32 v[10:11], v10
	v_cmp_ne_u32_e32 vcc, s4, v5
	s_mov_b64 s[4:5], -1
	s_nop 0
	v_cndmask_b32_e32 v7, v7, v10, vcc
	v_cndmask_b32_e32 v10, v12, v11, vcc
	v_cmp_ne_u32_e32 vcc, 0, v5
	s_nop 1
	v_cndmask_b32_e32 v43, v13, v10, vcc
	v_cndmask_b32_e32 v42, 0, v7, vcc
	s_branch .LBB56_1316
.LBB56_1315:
	s_mov_b64 s[0:1], -1
                                        ; implicit-def: $vgpr42_vgpr43
.LBB56_1316:
	v_mov_b64_e32 v[44:45], 0
.LBB56_1317:
	s_mov_b64 s[6:7], 0
.LBB56_1318:
	s_and_b64 vcc, exec, s[6:7]
	s_cbranch_vccz .LBB56_1323
; %bb.1319:
	s_cmp_eq_u32 s11, 29
	s_cbranch_scc0 .LBB56_1321
; %bb.1320:
	global_load_dwordx2 v[10:11], v[8:9], off
	s_mov_b64 s[0:1], 0
	s_mov_b64 s[4:5], -1
	s_waitcnt vmcnt(0)
	v_cvt_f64_u32_e32 v[12:13], v11
	v_cvt_f64_u32_e32 v[10:11], v10
	v_ldexp_f64 v[12:13], v[12:13], 32
	v_add_f64 v[42:43], v[12:13], v[10:11]
	s_branch .LBB56_1322
.LBB56_1321:
	s_mov_b64 s[0:1], -1
                                        ; implicit-def: $vgpr42_vgpr43
.LBB56_1322:
	v_mov_b64_e32 v[44:45], 0
.LBB56_1323:
	s_mov_b64 s[6:7], 0
.LBB56_1324:
	s_and_b64 vcc, exec, s[6:7]
	s_cbranch_vccz .LBB56_1344
; %bb.1325:
	s_cmp_lt_i32 s11, 27
	s_cbranch_scc1 .LBB56_1328
; %bb.1326:
	s_cmp_gt_i32 s11, 27
	s_cbranch_scc0 .LBB56_1329
; %bb.1327:
	global_load_dword v5, v[8:9], off
	s_mov_b64 s[4:5], 0
	s_waitcnt vmcnt(0)
	v_cvt_f64_u32_e32 v[42:43], v5
	s_branch .LBB56_1330
.LBB56_1328:
	s_mov_b64 s[4:5], -1
                                        ; implicit-def: $vgpr42_vgpr43
	s_branch .LBB56_1333
.LBB56_1329:
	s_mov_b64 s[4:5], -1
                                        ; implicit-def: $vgpr42_vgpr43
.LBB56_1330:
	s_andn2_b64 vcc, exec, s[4:5]
	s_cbranch_vccnz .LBB56_1332
; %bb.1331:
	global_load_ushort v5, v[8:9], off
	s_waitcnt vmcnt(0)
	v_cvt_f64_u32_e32 v[42:43], v5
.LBB56_1332:
	s_mov_b64 s[4:5], 0
.LBB56_1333:
	s_andn2_b64 vcc, exec, s[4:5]
	s_cbranch_vccnz .LBB56_1343
; %bb.1334:
	global_load_ubyte v5, v[8:9], off
	s_movk_i32 s4, 0x7f
	s_waitcnt vmcnt(0)
	v_cmp_lt_i16_e32 vcc, s4, v5
	s_mov_b64 s[4:5], 0
	s_and_saveexec_b64 s[6:7], vcc
	s_xor_b64 s[6:7], exec, s[6:7]
	s_cbranch_execz .LBB56_1338
; %bb.1335:
	s_movk_i32 s4, 0x80
	v_cmp_eq_u16_e32 vcc, s4, v5
	s_mov_b64 s[4:5], -1
	s_and_saveexec_b64 s[8:9], vcc
; %bb.1336:
	s_xor_b64 s[4:5], exec, -1
; %bb.1337:
	s_or_b64 exec, exec, s[8:9]
	s_and_b64 s[4:5], s[4:5], exec
.LBB56_1338:
	s_or_saveexec_b64 s[6:7], s[6:7]
	v_bfrev_b32_e32 v42, 4
	v_mov_b32_e32 v43, 0x7ff80000
	s_xor_b64 exec, exec, s[6:7]
; %bb.1339:
	v_cmp_ne_u16_e32 vcc, 0, v5
	s_andn2_b64 s[4:5], s[4:5], exec
	s_and_b64 s[8:9], vcc, exec
	v_mov_b64_e32 v[42:43], 0
	s_or_b64 s[4:5], s[4:5], s[8:9]
; %bb.1340:
	s_or_b64 exec, exec, s[6:7]
	s_and_saveexec_b64 s[6:7], s[4:5]
	s_cbranch_execz .LBB56_1342
; %bb.1341:
	v_lshlrev_b32_e32 v7, 24, v5
	v_and_b32_e32 v5, 0xffff, v5
	v_and_b32_e32 v10, 7, v5
	v_ffbh_u32_e32 v12, v10
	v_min_u32_e32 v12, 32, v12
	v_subrev_u32_e32 v13, 28, v12
	v_bfe_u32 v11, v5, 3, 4
	v_lshlrev_b32_e32 v5, v13, v5
	v_sub_u32_e32 v12, 29, v12
	v_and_b32_e32 v5, 7, v5
	v_cmp_eq_u32_e32 vcc, 0, v11
	v_and_b32_e32 v7, 0x80000000, v7
	s_nop 0
	v_cndmask_b32_e32 v11, v11, v12, vcc
	v_cndmask_b32_e32 v5, v10, v5, vcc
	v_mov_b32_e32 v10, 0x3b800000
	v_lshlrev_b32_e32 v5, 20, v5
	v_lshl_add_u32 v10, v11, 23, v10
	v_or3_b32 v5, v7, v10, v5
	v_cvt_f64_f32_e32 v[42:43], v5
.LBB56_1342:
	s_or_b64 exec, exec, s[6:7]
.LBB56_1343:
	s_mov_b64 s[4:5], -1
	v_mov_b64_e32 v[44:45], 0
.LBB56_1344:
	s_branch .LBB56_1376
.LBB56_1345:
	s_cmp_gt_i32 s11, 22
	s_cbranch_scc0 .LBB56_1357
; %bb.1346:
	s_cmp_lt_i32 s11, 24
	s_cbranch_scc1 .LBB56_1358
; %bb.1347:
	s_cmp_gt_i32 s11, 24
	s_cbranch_scc0 .LBB56_1359
; %bb.1348:
	global_load_ubyte v5, v[8:9], off
	s_movk_i32 s2, 0x7f
	s_waitcnt vmcnt(0)
	v_cmp_lt_i16_e32 vcc, s2, v5
	s_mov_b64 s[2:3], 0
	s_and_saveexec_b64 s[4:5], vcc
	s_xor_b64 s[4:5], exec, s[4:5]
	s_cbranch_execz .LBB56_1352
; %bb.1349:
	s_movk_i32 s2, 0x80
	v_cmp_eq_u16_e32 vcc, s2, v5
	s_mov_b64 s[2:3], -1
	s_and_saveexec_b64 s[6:7], vcc
; %bb.1350:
	s_xor_b64 s[2:3], exec, -1
; %bb.1351:
	s_or_b64 exec, exec, s[6:7]
	s_and_b64 s[2:3], s[2:3], exec
.LBB56_1352:
	s_or_saveexec_b64 s[4:5], s[4:5]
	v_bfrev_b32_e32 v42, 4
	v_mov_b32_e32 v43, 0x7ff80000
	s_xor_b64 exec, exec, s[4:5]
; %bb.1353:
	v_cmp_ne_u16_e32 vcc, 0, v5
	s_andn2_b64 s[2:3], s[2:3], exec
	s_and_b64 s[6:7], vcc, exec
	v_mov_b64_e32 v[42:43], 0
	s_or_b64 s[2:3], s[2:3], s[6:7]
; %bb.1354:
	s_or_b64 exec, exec, s[4:5]
	s_and_saveexec_b64 s[4:5], s[2:3]
	s_cbranch_execz .LBB56_1356
; %bb.1355:
	v_lshlrev_b32_e32 v7, 24, v5
	v_and_b32_e32 v5, 0xffff, v5
	v_and_b32_e32 v10, 3, v5
	v_ffbh_u32_e32 v12, v10
	v_min_u32_e32 v12, 32, v12
	v_subrev_u32_e32 v13, 29, v12
	v_bfe_u32 v11, v5, 2, 5
	v_lshlrev_b32_e32 v5, v13, v5
	v_sub_u32_e32 v12, 30, v12
	v_and_b32_e32 v5, 3, v5
	v_cmp_eq_u32_e32 vcc, 0, v11
	v_and_b32_e32 v7, 0x80000000, v7
	s_nop 0
	v_cndmask_b32_e32 v11, v11, v12, vcc
	v_cndmask_b32_e32 v5, v10, v5, vcc
	v_mov_b32_e32 v10, 0x37800000
	v_lshlrev_b32_e32 v5, 21, v5
	v_lshl_add_u32 v10, v11, 23, v10
	v_or3_b32 v5, v7, v10, v5
	v_cvt_f64_f32_e32 v[42:43], v5
.LBB56_1356:
	s_or_b64 exec, exec, s[4:5]
	s_mov_b64 s[2:3], 0
	s_branch .LBB56_1360
.LBB56_1357:
	s_mov_b64 s[2:3], -1
                                        ; implicit-def: $vgpr42_vgpr43
	s_branch .LBB56_1366
.LBB56_1358:
	s_mov_b64 s[2:3], -1
                                        ; implicit-def: $vgpr42_vgpr43
	s_branch .LBB56_1363
.LBB56_1359:
	s_mov_b64 s[2:3], -1
                                        ; implicit-def: $vgpr42_vgpr43
.LBB56_1360:
	s_and_b64 vcc, exec, s[2:3]
	s_cbranch_vccz .LBB56_1362
; %bb.1361:
	global_load_ubyte v5, v[8:9], off
	s_mov_b32 s2, 0x7f800000
	s_waitcnt vmcnt(0)
	v_lshlrev_b32_e32 v5, 24, v5
	v_and_b32_e32 v7, 0x7f000000, v5
	v_ffbh_u32_e32 v10, v7
	v_min_u32_e32 v10, 32, v10
	v_sub_u32_e64 v10, v10, 4 clamp
	v_lshlrev_b32_e32 v12, v10, v7
	v_lshlrev_b32_e32 v10, 23, v10
	v_lshrrev_b32_e32 v12, 4, v12
	v_add_u32_e32 v11, 0x1000000, v7
	v_sub_u32_e32 v10, v12, v10
	v_ashrrev_i32_e32 v11, 8, v11
	v_add_u32_e32 v10, 0x3c000000, v10
	v_and_or_b32 v10, v11, s2, v10
	v_cmp_ne_u32_e32 vcc, 0, v7
	s_brev_b32 s2, 1
	s_nop 0
	v_cndmask_b32_e32 v7, 0, v10, vcc
	v_and_or_b32 v5, v5, s2, v7
	v_cvt_f64_f32_e32 v[42:43], v5
.LBB56_1362:
	s_mov_b64 s[2:3], 0
.LBB56_1363:
	s_andn2_b64 vcc, exec, s[2:3]
	s_cbranch_vccnz .LBB56_1365
; %bb.1364:
	global_load_ubyte v5, v[8:9], off
	s_movk_i32 s2, 0x7f00
	s_brev_b32 s3, 16
	s_waitcnt vmcnt(0)
	v_lshlrev_b16_e32 v7, 8, v5
	v_lshlrev_b32_e32 v5, 25, v5
	v_lshrrev_b32_e32 v10, 4, v5
	v_and_or_b32 v11, v7, s2, 0.5
	v_or_b32_e32 v10, 0x70000000, v10
	v_add_f32_e32 v11, -0.5, v11
	v_mul_f32_e32 v10, 0x7800000, v10
	v_cmp_gt_u32_e32 vcc, s3, v5
	v_bfe_i32 v7, v7, 0, 16
	s_brev_b32 s2, 1
	v_cndmask_b32_e32 v5, v10, v11, vcc
	v_and_or_b32 v5, v7, s2, v5
	v_cvt_f64_f32_e32 v[42:43], v5
.LBB56_1365:
	s_mov_b64 s[2:3], 0
	s_mov_b64 s[4:5], -1
.LBB56_1366:
	s_andn2_b64 vcc, exec, s[2:3]
	s_mov_b64 s[2:3], 0
	s_cbranch_vccnz .LBB56_1375
; %bb.1367:
	s_cmp_gt_i32 s11, 14
	s_cbranch_scc0 .LBB56_1370
; %bb.1368:
	s_cmp_eq_u32 s11, 15
	s_cbranch_scc0 .LBB56_1371
; %bb.1369:
	global_load_ushort v5, v[8:9], off
	s_mov_b64 s[0:1], 0
	s_mov_b64 s[4:5], -1
	s_waitcnt vmcnt(0)
	v_lshlrev_b32_e32 v5, 16, v5
	v_cvt_f64_f32_e32 v[42:43], v5
	s_branch .LBB56_1372
.LBB56_1370:
	s_mov_b64 s[6:7], -1
                                        ; implicit-def: $vgpr42_vgpr43
	s_branch .LBB56_1373
.LBB56_1371:
	s_mov_b64 s[0:1], -1
                                        ; implicit-def: $vgpr42_vgpr43
.LBB56_1372:
	s_mov_b64 s[6:7], 0
.LBB56_1373:
	s_and_b64 vcc, exec, s[6:7]
	s_cbranch_vccz .LBB56_1375
; %bb.1374:
	s_cmp_lg_u32 s11, 11
	s_mov_b64 s[2:3], -1
	s_cselect_b64 s[0:1], -1, 0
.LBB56_1375:
	v_mov_b64_e32 v[44:45], 0
.LBB56_1376:
	s_and_b64 vcc, exec, s[0:1]
	s_cbranch_vccnz .LBB56_1453
; %bb.1377:
	s_andn2_b64 vcc, exec, s[2:3]
	s_cbranch_vccnz .LBB56_1379
.LBB56_1378:
	global_load_ubyte v5, v[8:9], off
	v_mov_b32_e32 v7, 0x3ff00000
	v_mov_b32_e32 v42, 0
	s_mov_b64 s[4:5], -1
	v_mov_b64_e32 v[44:45], 0
	s_waitcnt vmcnt(0)
	v_cmp_ne_u16_e32 vcc, 0, v5
	s_nop 1
	v_cndmask_b32_e32 v43, 0, v7, vcc
.LBB56_1379:
	s_branch .LBB56_1303
.LBB56_1380:
	s_and_b32 s2, 0xffff, s10
	s_cmp_lt_i32 s2, 5
	s_cbranch_scc1 .LBB56_1385
; %bb.1381:
	s_cmp_lt_i32 s2, 8
	s_cbranch_scc1 .LBB56_1387
; %bb.1382:
	s_cmp_lt_i32 s2, 9
	s_cbranch_scc1 .LBB56_1388
; %bb.1383:
	s_cmp_gt_i32 s2, 9
	s_cbranch_scc0 .LBB56_1389
; %bb.1384:
	global_load_dwordx4 v[42:45], v[8:9], off
	s_mov_b64 s[0:1], 0
	s_branch .LBB56_1390
.LBB56_1385:
                                        ; implicit-def: $vgpr44_vgpr45
	s_branch .LBB56_1409
.LBB56_1386:
	s_branch .LBB56_1429
.LBB56_1387:
	s_mov_b64 s[0:1], -1
                                        ; implicit-def: $vgpr44_vgpr45
	s_branch .LBB56_1396
.LBB56_1388:
	s_mov_b64 s[0:1], -1
                                        ; implicit-def: $vgpr44_vgpr45
	s_branch .LBB56_1393
.LBB56_1389:
	s_mov_b64 s[0:1], -1
                                        ; implicit-def: $vgpr44_vgpr45
.LBB56_1390:
	s_andn2_b64 vcc, exec, s[0:1]
	s_cbranch_vccnz .LBB56_1392
; %bb.1391:
	global_load_dwordx2 v[10:11], v[8:9], off
	s_waitcnt vmcnt(0)
	v_cvt_f64_f32_e32 v[42:43], v10
	v_cvt_f64_f32_e32 v[44:45], v11
.LBB56_1392:
	s_mov_b64 s[0:1], 0
.LBB56_1393:
	s_andn2_b64 vcc, exec, s[0:1]
	s_cbranch_vccnz .LBB56_1395
; %bb.1394:
	global_load_dword v5, v[8:9], off
	s_waitcnt vmcnt(0)
	v_cvt_f32_f16_e32 v7, v5
	v_cvt_f32_f16_sdwa v5, v5 dst_sel:DWORD dst_unused:UNUSED_PAD src0_sel:WORD_1
	v_cvt_f64_f32_e32 v[42:43], v7
	v_cvt_f64_f32_e32 v[44:45], v5
.LBB56_1395:
	s_mov_b64 s[0:1], 0
.LBB56_1396:
	s_andn2_b64 vcc, exec, s[0:1]
	s_cbranch_vccnz .LBB56_1408
; %bb.1397:
	s_cmp_lt_i32 s2, 6
	s_cbranch_scc1 .LBB56_1400
; %bb.1398:
	s_cmp_gt_i32 s2, 6
	s_cbranch_scc0 .LBB56_1401
; %bb.1399:
	global_load_dwordx2 v[42:43], v[8:9], off
	s_mov_b64 s[0:1], 0
	s_branch .LBB56_1402
.LBB56_1400:
	s_mov_b64 s[0:1], -1
                                        ; implicit-def: $vgpr42_vgpr43
	s_branch .LBB56_1405
.LBB56_1401:
	s_mov_b64 s[0:1], -1
                                        ; implicit-def: $vgpr42_vgpr43
.LBB56_1402:
	s_andn2_b64 vcc, exec, s[0:1]
	s_cbranch_vccnz .LBB56_1404
; %bb.1403:
	global_load_dword v5, v[8:9], off
	s_waitcnt vmcnt(0)
	v_cvt_f64_f32_e32 v[42:43], v5
.LBB56_1404:
	s_mov_b64 s[0:1], 0
.LBB56_1405:
	s_andn2_b64 vcc, exec, s[0:1]
	s_cbranch_vccnz .LBB56_1407
; %bb.1406:
	global_load_ushort v5, v[8:9], off
	s_waitcnt vmcnt(0)
	v_cvt_f32_f16_e32 v5, v5
	v_cvt_f64_f32_e32 v[42:43], v5
.LBB56_1407:
	s_waitcnt vmcnt(0)
	v_mov_b64_e32 v[44:45], 0
.LBB56_1408:
	s_cbranch_execnz .LBB56_1386
.LBB56_1409:
	s_cmp_lt_i32 s2, 2
	s_cbranch_scc1 .LBB56_1413
; %bb.1410:
	s_cmp_lt_i32 s2, 3
	s_cbranch_scc1 .LBB56_1414
; %bb.1411:
	s_cmp_gt_i32 s2, 3
	s_cbranch_scc0 .LBB56_1415
; %bb.1412:
	global_load_dwordx2 v[10:11], v[8:9], off
	s_mov_b64 s[0:1], 0
	s_waitcnt vmcnt(0)
	v_cvt_f64_i32_e32 v[12:13], v11
	v_cvt_f64_u32_e32 v[10:11], v10
	v_ldexp_f64 v[12:13], v[12:13], 32
	v_add_f64 v[42:43], v[12:13], v[10:11]
	s_branch .LBB56_1416
.LBB56_1413:
	s_mov_b64 s[0:1], -1
                                        ; implicit-def: $vgpr42_vgpr43
	s_branch .LBB56_1422
.LBB56_1414:
	s_mov_b64 s[0:1], -1
                                        ; implicit-def: $vgpr42_vgpr43
	s_branch .LBB56_1419
.LBB56_1415:
	s_mov_b64 s[0:1], -1
                                        ; implicit-def: $vgpr42_vgpr43
.LBB56_1416:
	s_andn2_b64 vcc, exec, s[0:1]
	s_cbranch_vccnz .LBB56_1418
; %bb.1417:
	global_load_dword v5, v[8:9], off
	s_waitcnt vmcnt(0)
	v_cvt_f64_i32_e32 v[42:43], v5
.LBB56_1418:
	s_mov_b64 s[0:1], 0
.LBB56_1419:
	s_andn2_b64 vcc, exec, s[0:1]
	s_cbranch_vccnz .LBB56_1421
; %bb.1420:
	global_load_sshort v5, v[8:9], off
	s_waitcnt vmcnt(0)
	v_cvt_f64_i32_e32 v[42:43], v5
.LBB56_1421:
	s_mov_b64 s[0:1], 0
.LBB56_1422:
	s_andn2_b64 vcc, exec, s[0:1]
	s_cbranch_vccnz .LBB56_1428
; %bb.1423:
	s_cmp_gt_i32 s2, 0
	s_cbranch_scc0 .LBB56_1425
; %bb.1424:
	global_load_sbyte v5, v[8:9], off
	s_mov_b64 s[0:1], 0
	s_waitcnt vmcnt(0)
	v_cvt_f64_i32_e32 v[42:43], v5
	s_branch .LBB56_1426
.LBB56_1425:
	s_mov_b64 s[0:1], -1
                                        ; implicit-def: $vgpr42_vgpr43
.LBB56_1426:
	s_andn2_b64 vcc, exec, s[0:1]
	s_cbranch_vccnz .LBB56_1428
; %bb.1427:
	global_load_ubyte v5, v[8:9], off
	s_waitcnt vmcnt(0)
	v_cvt_f64_u32_e32 v[42:43], v5
.LBB56_1428:
	s_waitcnt vmcnt(0)
	v_mov_b64_e32 v[44:45], 0
.LBB56_1429:
	v_mov_b32_e32 v7, 0
	s_cmp_lt_i32 s10, 11
	v_lshl_add_u64 v[6:7], s[38:39], 0, v[6:7]
	s_cbranch_scc1 .LBB56_1436
; %bb.1430:
	s_and_b32 s11, 0xffff, s10
	s_cmp_gt_i32 s11, 25
	s_mov_b64 s[2:3], 0
	s_cbranch_scc0 .LBB56_1438
; %bb.1431:
	s_cmp_gt_i32 s11, 28
	s_cbranch_scc0 .LBB56_1449
; %bb.1432:
	s_cmp_gt_i32 s11, 43
	;; [unrolled: 3-line block ×3, first 2 shown]
	s_cbranch_scc0 .LBB56_1454
; %bb.1434:
	s_cmp_eq_u32 s11, 46
	s_mov_b64 s[6:7], 0
	s_cbranch_scc0 .LBB56_1508
; %bb.1435:
	global_load_dword v5, v[6:7], off
	s_mov_b64 s[0:1], 0
	s_mov_b64 s[4:5], -1
	s_waitcnt vmcnt(0)
	v_and_b32_e32 v8, 0xffff0000, v5
	v_lshlrev_b32_e32 v5, 16, v5
	v_cvt_f64_f32_e32 v[38:39], v5
	v_cvt_f64_f32_e32 v[40:41], v8
	s_branch .LBB56_1509
.LBB56_1436:
	s_mov_b64 s[4:5], 0
                                        ; implicit-def: $vgpr40_vgpr41
	s_cbranch_execnz .LBB56_1443
.LBB56_1437:
	s_andn2_b64 vcc, exec, s[4:5]
	s_cbranch_vccnz .LBB56_2131
	s_branch .LBB56_1497
.LBB56_1438:
	s_mov_b64 s[4:5], 0
	s_mov_b64 s[0:1], 0
                                        ; implicit-def: $vgpr40_vgpr41
	s_cbranch_execnz .LBB56_1543
.LBB56_1439:
	s_and_b64 vcc, exec, s[0:1]
	s_cbranch_vccnz .LBB56_1574
.LBB56_1440:
	s_andn2_b64 vcc, exec, s[2:3]
	s_cbranch_vccnz .LBB56_1442
.LBB56_1441:
	global_load_ubyte v5, v[6:7], off
	v_mov_b32_e32 v8, 0x3ff00000
	v_mov_b32_e32 v38, 0
	s_mov_b64 s[4:5], -1
	v_mov_b64_e32 v[40:41], 0
	s_waitcnt vmcnt(0)
	v_cmp_ne_u16_e32 vcc, 0, v5
	s_nop 1
	v_cndmask_b32_e32 v39, 0, v8, vcc
.LBB56_1442:
	s_branch .LBB56_1437
.LBB56_1443:
	s_and_b32 s2, 0xffff, s10
	s_cmp_lt_i32 s2, 5
	s_cbranch_scc1 .LBB56_1448
; %bb.1444:
	s_cmp_lt_i32 s2, 8
	s_cbranch_scc1 .LBB56_1450
; %bb.1445:
	;; [unrolled: 3-line block ×3, first 2 shown]
	s_cmp_gt_i32 s2, 9
	s_cbranch_scc0 .LBB56_1455
; %bb.1447:
	global_load_dwordx4 v[38:41], v[6:7], off
	s_mov_b64 s[0:1], 0
	s_branch .LBB56_1456
.LBB56_1448:
	s_mov_b64 s[0:1], -1
                                        ; implicit-def: $vgpr40_vgpr41
	s_branch .LBB56_1475
.LBB56_1449:
	s_mov_b64 s[6:7], -1
	s_mov_b64 s[4:5], 0
	s_mov_b64 s[0:1], 0
                                        ; implicit-def: $vgpr40_vgpr41
	s_branch .LBB56_1522
.LBB56_1450:
	s_mov_b64 s[0:1], -1
                                        ; implicit-def: $vgpr40_vgpr41
	s_branch .LBB56_1462
.LBB56_1451:
	s_mov_b64 s[6:7], -1
	s_mov_b64 s[4:5], 0
	s_mov_b64 s[0:1], 0
                                        ; implicit-def: $vgpr40_vgpr41
	s_branch .LBB56_1516
.LBB56_1452:
	s_mov_b64 s[0:1], -1
                                        ; implicit-def: $vgpr40_vgpr41
	s_branch .LBB56_1459
.LBB56_1453:
	s_trap 2
	s_or_b64 s[34:35], s[34:35], exec
	s_cbranch_execz .LBB56_1378
	s_branch .LBB56_1379
.LBB56_1454:
	s_mov_b64 s[6:7], -1
	s_mov_b64 s[4:5], 0
	s_mov_b64 s[0:1], 0
                                        ; implicit-def: $vgpr40_vgpr41
	s_branch .LBB56_1509
.LBB56_1455:
	s_mov_b64 s[0:1], -1
                                        ; implicit-def: $vgpr40_vgpr41
.LBB56_1456:
	s_andn2_b64 vcc, exec, s[0:1]
	s_cbranch_vccnz .LBB56_1458
; %bb.1457:
	global_load_dwordx2 v[8:9], v[6:7], off
	s_waitcnt vmcnt(0)
	v_cvt_f64_f32_e32 v[38:39], v8
	v_cvt_f64_f32_e32 v[40:41], v9
.LBB56_1458:
	s_mov_b64 s[0:1], 0
.LBB56_1459:
	s_andn2_b64 vcc, exec, s[0:1]
	s_cbranch_vccnz .LBB56_1461
; %bb.1460:
	global_load_dword v5, v[6:7], off
	s_waitcnt vmcnt(0)
	v_cvt_f32_f16_e32 v8, v5
	v_cvt_f32_f16_sdwa v5, v5 dst_sel:DWORD dst_unused:UNUSED_PAD src0_sel:WORD_1
	v_cvt_f64_f32_e32 v[38:39], v8
	v_cvt_f64_f32_e32 v[40:41], v5
.LBB56_1461:
	s_mov_b64 s[0:1], 0
.LBB56_1462:
	s_andn2_b64 vcc, exec, s[0:1]
	s_cbranch_vccnz .LBB56_1474
; %bb.1463:
	s_cmp_lt_i32 s2, 6
	s_cbranch_scc1 .LBB56_1466
; %bb.1464:
	s_cmp_gt_i32 s2, 6
	s_cbranch_scc0 .LBB56_1467
; %bb.1465:
	global_load_dwordx2 v[38:39], v[6:7], off
	s_mov_b64 s[0:1], 0
	s_branch .LBB56_1468
.LBB56_1466:
	s_mov_b64 s[0:1], -1
                                        ; implicit-def: $vgpr38_vgpr39
	s_branch .LBB56_1471
.LBB56_1467:
	s_mov_b64 s[0:1], -1
                                        ; implicit-def: $vgpr38_vgpr39
.LBB56_1468:
	s_andn2_b64 vcc, exec, s[0:1]
	s_cbranch_vccnz .LBB56_1470
; %bb.1469:
	global_load_dword v5, v[6:7], off
	s_waitcnt vmcnt(0)
	v_cvt_f64_f32_e32 v[38:39], v5
.LBB56_1470:
	s_mov_b64 s[0:1], 0
.LBB56_1471:
	s_andn2_b64 vcc, exec, s[0:1]
	s_cbranch_vccnz .LBB56_1473
; %bb.1472:
	global_load_ushort v5, v[6:7], off
	s_waitcnt vmcnt(0)
	v_cvt_f32_f16_e32 v5, v5
	v_cvt_f64_f32_e32 v[38:39], v5
.LBB56_1473:
	s_waitcnt vmcnt(0)
	v_mov_b64_e32 v[40:41], 0
.LBB56_1474:
	s_mov_b64 s[0:1], 0
.LBB56_1475:
	s_andn2_b64 vcc, exec, s[0:1]
	s_cbranch_vccnz .LBB56_1496
; %bb.1476:
	s_cmp_lt_i32 s2, 2
	s_cbranch_scc1 .LBB56_1480
; %bb.1477:
	s_cmp_lt_i32 s2, 3
	s_cbranch_scc1 .LBB56_1481
; %bb.1478:
	s_cmp_gt_i32 s2, 3
	s_cbranch_scc0 .LBB56_1482
; %bb.1479:
	global_load_dwordx2 v[8:9], v[6:7], off
	s_mov_b64 s[0:1], 0
	s_waitcnt vmcnt(0)
	v_cvt_f64_i32_e32 v[10:11], v9
	v_cvt_f64_u32_e32 v[8:9], v8
	v_ldexp_f64 v[10:11], v[10:11], 32
	v_add_f64 v[38:39], v[10:11], v[8:9]
	s_branch .LBB56_1483
.LBB56_1480:
	s_mov_b64 s[0:1], -1
                                        ; implicit-def: $vgpr38_vgpr39
	s_branch .LBB56_1489
.LBB56_1481:
	s_mov_b64 s[0:1], -1
                                        ; implicit-def: $vgpr38_vgpr39
	s_branch .LBB56_1486
.LBB56_1482:
	s_mov_b64 s[0:1], -1
                                        ; implicit-def: $vgpr38_vgpr39
.LBB56_1483:
	s_andn2_b64 vcc, exec, s[0:1]
	s_cbranch_vccnz .LBB56_1485
; %bb.1484:
	global_load_dword v5, v[6:7], off
	s_waitcnt vmcnt(0)
	v_cvt_f64_i32_e32 v[38:39], v5
.LBB56_1485:
	s_mov_b64 s[0:1], 0
.LBB56_1486:
	s_andn2_b64 vcc, exec, s[0:1]
	s_cbranch_vccnz .LBB56_1488
; %bb.1487:
	global_load_sshort v5, v[6:7], off
	s_waitcnt vmcnt(0)
	v_cvt_f64_i32_e32 v[38:39], v5
.LBB56_1488:
	s_mov_b64 s[0:1], 0
.LBB56_1489:
	s_andn2_b64 vcc, exec, s[0:1]
	s_cbranch_vccnz .LBB56_1495
; %bb.1490:
	s_cmp_gt_i32 s2, 0
	s_cbranch_scc0 .LBB56_1492
; %bb.1491:
	global_load_sbyte v5, v[6:7], off
	s_mov_b64 s[0:1], 0
	s_waitcnt vmcnt(0)
	v_cvt_f64_i32_e32 v[38:39], v5
	s_branch .LBB56_1493
.LBB56_1492:
	s_mov_b64 s[0:1], -1
                                        ; implicit-def: $vgpr38_vgpr39
.LBB56_1493:
	s_andn2_b64 vcc, exec, s[0:1]
	s_cbranch_vccnz .LBB56_1495
; %bb.1494:
	global_load_ubyte v5, v[6:7], off
	s_waitcnt vmcnt(0)
	v_cvt_f64_u32_e32 v[38:39], v5
.LBB56_1495:
	s_waitcnt vmcnt(0)
	v_mov_b64_e32 v[40:41], 0
.LBB56_1496:
.LBB56_1497:
	v_mov_b32_e32 v5, 0
	s_cmp_lt_i32 s10, 11
	v_lshl_add_u64 v[4:5], s[38:39], 0, v[4:5]
	s_cbranch_scc1 .LBB56_1504
; %bb.1498:
	s_and_b32 s11, 0xffff, s10
	s_cmp_gt_i32 s11, 25
	s_mov_b64 s[2:3], 0
	s_cbranch_scc0 .LBB56_1505
; %bb.1499:
	s_cmp_gt_i32 s11, 28
	s_cbranch_scc0 .LBB56_1506
; %bb.1500:
	s_cmp_gt_i32 s11, 43
	s_cbranch_scc0 .LBB56_1507
; %bb.1501:
	s_cmp_gt_i32 s11, 45
	s_cbranch_scc0 .LBB56_1512
; %bb.1502:
	s_cmp_eq_u32 s11, 46
	s_mov_b64 s[6:7], 0
	s_cbranch_scc0 .LBB56_1575
; %bb.1503:
	global_load_dword v6, v[4:5], off
	s_mov_b64 s[0:1], 0
	s_mov_b64 s[4:5], -1
	s_waitcnt vmcnt(0)
	v_and_b32_e32 v7, 0xffff0000, v6
	v_lshlrev_b32_e32 v6, 16, v6
	v_cvt_f64_f32_e32 v[34:35], v6
	v_cvt_f64_f32_e32 v[36:37], v7
	s_branch .LBB56_1576
.LBB56_1504:
	s_mov_b64 s[0:1], -1
	s_mov_b64 s[4:5], 0
                                        ; implicit-def: $vgpr36_vgpr37
	s_branch .LBB56_1626
.LBB56_1505:
	s_mov_b64 s[6:7], -1
	s_mov_b64 s[4:5], 0
	s_mov_b64 s[0:1], 0
                                        ; implicit-def: $vgpr36_vgpr37
	s_branch .LBB56_1609
.LBB56_1506:
	s_mov_b64 s[6:7], -1
	s_mov_b64 s[4:5], 0
	s_mov_b64 s[0:1], 0
                                        ; implicit-def: $vgpr36_vgpr37
	s_branch .LBB56_1588
.LBB56_1507:
	s_mov_b64 s[6:7], -1
	s_mov_b64 s[4:5], 0
	s_mov_b64 s[0:1], 0
                                        ; implicit-def: $vgpr36_vgpr37
	s_branch .LBB56_1582
.LBB56_1508:
	s_mov_b64 s[0:1], -1
                                        ; implicit-def: $vgpr40_vgpr41
	s_mov_b64 s[4:5], 0
.LBB56_1509:
	s_and_b64 vcc, exec, s[6:7]
	s_cbranch_vccz .LBB56_1515
; %bb.1510:
	s_cmp_eq_u32 s11, 44
	s_cbranch_scc0 .LBB56_1513
; %bb.1511:
	global_load_ubyte v5, v[6:7], off
	s_movk_i32 s4, 0xff
	v_bfrev_b32_e32 v10, 4
	v_mov_b32_e32 v11, 0x7ff80000
	v_bfrev_b32_e32 v12, 28
	s_mov_b64 s[0:1], 0
	s_waitcnt vmcnt(0)
	v_lshlrev_b32_e32 v8, 23, v5
	v_cvt_f64_f32_e32 v[8:9], v8
	v_cmp_ne_u32_e32 vcc, s4, v5
	s_mov_b64 s[4:5], -1
	s_nop 0
	v_cndmask_b32_e32 v8, v10, v8, vcc
	v_cndmask_b32_e32 v9, v11, v9, vcc
	v_cmp_ne_u32_e32 vcc, 0, v5
	s_nop 1
	v_cndmask_b32_e32 v39, v12, v9, vcc
	v_cndmask_b32_e32 v38, 0, v8, vcc
	s_branch .LBB56_1514
.LBB56_1512:
	s_mov_b64 s[6:7], -1
	s_mov_b64 s[4:5], 0
	s_mov_b64 s[0:1], 0
                                        ; implicit-def: $vgpr36_vgpr37
	s_branch .LBB56_1576
.LBB56_1513:
	s_mov_b64 s[0:1], -1
                                        ; implicit-def: $vgpr38_vgpr39
.LBB56_1514:
	v_mov_b64_e32 v[40:41], 0
.LBB56_1515:
	s_mov_b64 s[6:7], 0
.LBB56_1516:
	s_and_b64 vcc, exec, s[6:7]
	s_cbranch_vccz .LBB56_1521
; %bb.1517:
	s_cmp_eq_u32 s11, 29
	s_cbranch_scc0 .LBB56_1519
; %bb.1518:
	global_load_dwordx2 v[8:9], v[6:7], off
	s_mov_b64 s[0:1], 0
	s_mov_b64 s[4:5], -1
	s_waitcnt vmcnt(0)
	v_cvt_f64_u32_e32 v[10:11], v9
	v_cvt_f64_u32_e32 v[8:9], v8
	v_ldexp_f64 v[10:11], v[10:11], 32
	v_add_f64 v[38:39], v[10:11], v[8:9]
	s_branch .LBB56_1520
.LBB56_1519:
	s_mov_b64 s[0:1], -1
                                        ; implicit-def: $vgpr38_vgpr39
.LBB56_1520:
	v_mov_b64_e32 v[40:41], 0
.LBB56_1521:
	s_mov_b64 s[6:7], 0
.LBB56_1522:
	s_and_b64 vcc, exec, s[6:7]
	s_cbranch_vccz .LBB56_1542
; %bb.1523:
	s_cmp_lt_i32 s11, 27
	s_cbranch_scc1 .LBB56_1526
; %bb.1524:
	s_cmp_gt_i32 s11, 27
	s_cbranch_scc0 .LBB56_1527
; %bb.1525:
	global_load_dword v5, v[6:7], off
	s_mov_b64 s[4:5], 0
	s_waitcnt vmcnt(0)
	v_cvt_f64_u32_e32 v[38:39], v5
	s_branch .LBB56_1528
.LBB56_1526:
	s_mov_b64 s[4:5], -1
                                        ; implicit-def: $vgpr38_vgpr39
	s_branch .LBB56_1531
.LBB56_1527:
	s_mov_b64 s[4:5], -1
                                        ; implicit-def: $vgpr38_vgpr39
.LBB56_1528:
	s_andn2_b64 vcc, exec, s[4:5]
	s_cbranch_vccnz .LBB56_1530
; %bb.1529:
	global_load_ushort v5, v[6:7], off
	s_waitcnt vmcnt(0)
	v_cvt_f64_u32_e32 v[38:39], v5
.LBB56_1530:
	s_mov_b64 s[4:5], 0
.LBB56_1531:
	s_andn2_b64 vcc, exec, s[4:5]
	s_cbranch_vccnz .LBB56_1541
; %bb.1532:
	global_load_ubyte v5, v[6:7], off
	s_movk_i32 s4, 0x7f
	s_waitcnt vmcnt(0)
	v_cmp_lt_i16_e32 vcc, s4, v5
	s_mov_b64 s[4:5], 0
	s_and_saveexec_b64 s[6:7], vcc
	s_xor_b64 s[6:7], exec, s[6:7]
	s_cbranch_execz .LBB56_1536
; %bb.1533:
	s_movk_i32 s4, 0x80
	v_cmp_eq_u16_e32 vcc, s4, v5
	s_mov_b64 s[4:5], -1
	s_and_saveexec_b64 s[8:9], vcc
; %bb.1534:
	s_xor_b64 s[4:5], exec, -1
; %bb.1535:
	s_or_b64 exec, exec, s[8:9]
	s_and_b64 s[4:5], s[4:5], exec
.LBB56_1536:
	s_or_saveexec_b64 s[6:7], s[6:7]
	v_bfrev_b32_e32 v38, 4
	v_mov_b32_e32 v39, 0x7ff80000
	s_xor_b64 exec, exec, s[6:7]
; %bb.1537:
	v_cmp_ne_u16_e32 vcc, 0, v5
	s_andn2_b64 s[4:5], s[4:5], exec
	s_and_b64 s[8:9], vcc, exec
	v_mov_b64_e32 v[38:39], 0
	s_or_b64 s[4:5], s[4:5], s[8:9]
; %bb.1538:
	s_or_b64 exec, exec, s[6:7]
	s_and_saveexec_b64 s[6:7], s[4:5]
	s_cbranch_execz .LBB56_1540
; %bb.1539:
	v_lshlrev_b32_e32 v8, 24, v5
	v_and_b32_e32 v5, 0xffff, v5
	v_and_b32_e32 v9, 7, v5
	v_ffbh_u32_e32 v11, v9
	v_min_u32_e32 v11, 32, v11
	v_subrev_u32_e32 v12, 28, v11
	v_bfe_u32 v10, v5, 3, 4
	v_lshlrev_b32_e32 v5, v12, v5
	v_sub_u32_e32 v11, 29, v11
	v_and_b32_e32 v5, 7, v5
	v_cmp_eq_u32_e32 vcc, 0, v10
	v_and_b32_e32 v8, 0x80000000, v8
	s_nop 0
	v_cndmask_b32_e32 v10, v10, v11, vcc
	v_cndmask_b32_e32 v5, v9, v5, vcc
	v_mov_b32_e32 v9, 0x3b800000
	v_lshlrev_b32_e32 v5, 20, v5
	v_lshl_add_u32 v9, v10, 23, v9
	v_or3_b32 v5, v8, v9, v5
	v_cvt_f64_f32_e32 v[38:39], v5
.LBB56_1540:
	s_or_b64 exec, exec, s[6:7]
.LBB56_1541:
	s_mov_b64 s[4:5], -1
	v_mov_b64_e32 v[40:41], 0
.LBB56_1542:
	s_branch .LBB56_1439
.LBB56_1543:
	s_cmp_gt_i32 s11, 22
	s_cbranch_scc0 .LBB56_1555
; %bb.1544:
	s_cmp_lt_i32 s11, 24
	s_cbranch_scc1 .LBB56_1556
; %bb.1545:
	s_cmp_gt_i32 s11, 24
	s_cbranch_scc0 .LBB56_1557
; %bb.1546:
	global_load_ubyte v5, v[6:7], off
	s_movk_i32 s2, 0x7f
	s_waitcnt vmcnt(0)
	v_cmp_lt_i16_e32 vcc, s2, v5
	s_mov_b64 s[2:3], 0
	s_and_saveexec_b64 s[4:5], vcc
	s_xor_b64 s[4:5], exec, s[4:5]
	s_cbranch_execz .LBB56_1550
; %bb.1547:
	s_movk_i32 s2, 0x80
	v_cmp_eq_u16_e32 vcc, s2, v5
	s_mov_b64 s[2:3], -1
	s_and_saveexec_b64 s[6:7], vcc
; %bb.1548:
	s_xor_b64 s[2:3], exec, -1
; %bb.1549:
	s_or_b64 exec, exec, s[6:7]
	s_and_b64 s[2:3], s[2:3], exec
.LBB56_1550:
	s_or_saveexec_b64 s[4:5], s[4:5]
	v_bfrev_b32_e32 v38, 4
	v_mov_b32_e32 v39, 0x7ff80000
	s_xor_b64 exec, exec, s[4:5]
; %bb.1551:
	v_cmp_ne_u16_e32 vcc, 0, v5
	s_andn2_b64 s[2:3], s[2:3], exec
	s_and_b64 s[6:7], vcc, exec
	v_mov_b64_e32 v[38:39], 0
	s_or_b64 s[2:3], s[2:3], s[6:7]
; %bb.1552:
	s_or_b64 exec, exec, s[4:5]
	s_and_saveexec_b64 s[4:5], s[2:3]
	s_cbranch_execz .LBB56_1554
; %bb.1553:
	v_lshlrev_b32_e32 v8, 24, v5
	v_and_b32_e32 v5, 0xffff, v5
	v_and_b32_e32 v9, 3, v5
	v_ffbh_u32_e32 v11, v9
	v_min_u32_e32 v11, 32, v11
	v_subrev_u32_e32 v12, 29, v11
	v_bfe_u32 v10, v5, 2, 5
	v_lshlrev_b32_e32 v5, v12, v5
	v_sub_u32_e32 v11, 30, v11
	v_and_b32_e32 v5, 3, v5
	v_cmp_eq_u32_e32 vcc, 0, v10
	v_and_b32_e32 v8, 0x80000000, v8
	s_nop 0
	v_cndmask_b32_e32 v10, v10, v11, vcc
	v_cndmask_b32_e32 v5, v9, v5, vcc
	v_mov_b32_e32 v9, 0x37800000
	v_lshlrev_b32_e32 v5, 21, v5
	v_lshl_add_u32 v9, v10, 23, v9
	v_or3_b32 v5, v8, v9, v5
	v_cvt_f64_f32_e32 v[38:39], v5
.LBB56_1554:
	s_or_b64 exec, exec, s[4:5]
	s_mov_b64 s[2:3], 0
	s_branch .LBB56_1558
.LBB56_1555:
	s_mov_b64 s[2:3], -1
                                        ; implicit-def: $vgpr38_vgpr39
	s_branch .LBB56_1564
.LBB56_1556:
	s_mov_b64 s[2:3], -1
                                        ; implicit-def: $vgpr38_vgpr39
	s_branch .LBB56_1561
.LBB56_1557:
	s_mov_b64 s[2:3], -1
                                        ; implicit-def: $vgpr38_vgpr39
.LBB56_1558:
	s_and_b64 vcc, exec, s[2:3]
	s_cbranch_vccz .LBB56_1560
; %bb.1559:
	global_load_ubyte v5, v[6:7], off
	s_mov_b32 s2, 0x7f800000
	s_waitcnt vmcnt(0)
	v_lshlrev_b32_e32 v5, 24, v5
	v_and_b32_e32 v8, 0x7f000000, v5
	v_ffbh_u32_e32 v9, v8
	v_min_u32_e32 v9, 32, v9
	v_sub_u32_e64 v9, v9, 4 clamp
	v_lshlrev_b32_e32 v11, v9, v8
	v_lshlrev_b32_e32 v9, 23, v9
	v_lshrrev_b32_e32 v11, 4, v11
	v_add_u32_e32 v10, 0x1000000, v8
	v_sub_u32_e32 v9, v11, v9
	v_ashrrev_i32_e32 v10, 8, v10
	v_add_u32_e32 v9, 0x3c000000, v9
	v_and_or_b32 v9, v10, s2, v9
	v_cmp_ne_u32_e32 vcc, 0, v8
	s_brev_b32 s2, 1
	s_nop 0
	v_cndmask_b32_e32 v8, 0, v9, vcc
	v_and_or_b32 v5, v5, s2, v8
	v_cvt_f64_f32_e32 v[38:39], v5
.LBB56_1560:
	s_mov_b64 s[2:3], 0
.LBB56_1561:
	s_andn2_b64 vcc, exec, s[2:3]
	s_cbranch_vccnz .LBB56_1563
; %bb.1562:
	global_load_ubyte v5, v[6:7], off
	s_movk_i32 s2, 0x7f00
	s_brev_b32 s3, 16
	s_waitcnt vmcnt(0)
	v_lshlrev_b16_e32 v8, 8, v5
	v_lshlrev_b32_e32 v5, 25, v5
	v_lshrrev_b32_e32 v9, 4, v5
	v_and_or_b32 v10, v8, s2, 0.5
	v_or_b32_e32 v9, 0x70000000, v9
	v_add_f32_e32 v10, -0.5, v10
	v_mul_f32_e32 v9, 0x7800000, v9
	v_cmp_gt_u32_e32 vcc, s3, v5
	v_bfe_i32 v8, v8, 0, 16
	s_brev_b32 s2, 1
	v_cndmask_b32_e32 v5, v9, v10, vcc
	v_and_or_b32 v5, v8, s2, v5
	v_cvt_f64_f32_e32 v[38:39], v5
.LBB56_1563:
	s_mov_b64 s[2:3], 0
	s_mov_b64 s[4:5], -1
.LBB56_1564:
	s_andn2_b64 vcc, exec, s[2:3]
	s_mov_b64 s[2:3], 0
	s_cbranch_vccnz .LBB56_1573
; %bb.1565:
	s_cmp_gt_i32 s11, 14
	s_cbranch_scc0 .LBB56_1568
; %bb.1566:
	s_cmp_eq_u32 s11, 15
	s_cbranch_scc0 .LBB56_1569
; %bb.1567:
	global_load_ushort v5, v[6:7], off
	s_mov_b64 s[0:1], 0
	s_mov_b64 s[4:5], -1
	s_waitcnt vmcnt(0)
	v_lshlrev_b32_e32 v5, 16, v5
	v_cvt_f64_f32_e32 v[38:39], v5
	s_branch .LBB56_1570
.LBB56_1568:
	s_mov_b64 s[6:7], -1
                                        ; implicit-def: $vgpr38_vgpr39
	s_branch .LBB56_1571
.LBB56_1569:
	s_mov_b64 s[0:1], -1
                                        ; implicit-def: $vgpr38_vgpr39
.LBB56_1570:
	s_mov_b64 s[6:7], 0
.LBB56_1571:
	s_and_b64 vcc, exec, s[6:7]
	s_cbranch_vccz .LBB56_1573
; %bb.1572:
	s_cmp_lg_u32 s11, 11
	s_mov_b64 s[2:3], -1
	s_cselect_b64 s[0:1], -1, 0
.LBB56_1573:
	v_mov_b64_e32 v[40:41], 0
	s_and_b64 vcc, exec, s[0:1]
	s_cbranch_vccz .LBB56_1440
.LBB56_1574:
	s_trap 2
	s_or_b64 s[34:35], s[34:35], exec
	s_cbranch_execz .LBB56_1441
	s_branch .LBB56_1442
.LBB56_1575:
	s_mov_b64 s[0:1], -1
                                        ; implicit-def: $vgpr36_vgpr37
	s_mov_b64 s[4:5], 0
.LBB56_1576:
	s_and_b64 vcc, exec, s[6:7]
	s_cbranch_vccz .LBB56_1581
; %bb.1577:
	s_cmp_eq_u32 s11, 44
	s_cbranch_scc0 .LBB56_1579
; %bb.1578:
	global_load_ubyte v8, v[4:5], off
	s_movk_i32 s4, 0xff
	v_bfrev_b32_e32 v9, 4
	v_mov_b32_e32 v10, 0x7ff80000
	v_bfrev_b32_e32 v11, 28
	s_mov_b64 s[0:1], 0
	s_waitcnt vmcnt(0)
	v_lshlrev_b32_e32 v6, 23, v8
	v_cvt_f64_f32_e32 v[6:7], v6
	v_cmp_ne_u32_e32 vcc, s4, v8
	s_mov_b64 s[4:5], -1
	s_nop 0
	v_cndmask_b32_e32 v6, v9, v6, vcc
	v_cndmask_b32_e32 v7, v10, v7, vcc
	v_cmp_ne_u32_e32 vcc, 0, v8
	s_nop 1
	v_cndmask_b32_e32 v35, v11, v7, vcc
	v_cndmask_b32_e32 v34, 0, v6, vcc
	s_branch .LBB56_1580
.LBB56_1579:
	s_mov_b64 s[0:1], -1
                                        ; implicit-def: $vgpr34_vgpr35
.LBB56_1580:
	v_mov_b64_e32 v[36:37], 0
.LBB56_1581:
	s_mov_b64 s[6:7], 0
.LBB56_1582:
	s_and_b64 vcc, exec, s[6:7]
	s_cbranch_vccz .LBB56_1587
; %bb.1583:
	s_cmp_eq_u32 s11, 29
	s_cbranch_scc0 .LBB56_1585
; %bb.1584:
	global_load_dwordx2 v[6:7], v[4:5], off
	s_mov_b64 s[0:1], 0
	s_mov_b64 s[4:5], -1
	s_waitcnt vmcnt(0)
	v_cvt_f64_u32_e32 v[8:9], v7
	v_cvt_f64_u32_e32 v[6:7], v6
	v_ldexp_f64 v[8:9], v[8:9], 32
	v_add_f64 v[34:35], v[8:9], v[6:7]
	s_branch .LBB56_1586
.LBB56_1585:
	s_mov_b64 s[0:1], -1
                                        ; implicit-def: $vgpr34_vgpr35
.LBB56_1586:
	v_mov_b64_e32 v[36:37], 0
.LBB56_1587:
	s_mov_b64 s[6:7], 0
.LBB56_1588:
	s_and_b64 vcc, exec, s[6:7]
	s_cbranch_vccz .LBB56_1608
; %bb.1589:
	s_cmp_lt_i32 s11, 27
	s_cbranch_scc1 .LBB56_1592
; %bb.1590:
	s_cmp_gt_i32 s11, 27
	s_cbranch_scc0 .LBB56_1593
; %bb.1591:
	global_load_dword v6, v[4:5], off
	s_mov_b64 s[4:5], 0
	s_waitcnt vmcnt(0)
	v_cvt_f64_u32_e32 v[34:35], v6
	s_branch .LBB56_1594
.LBB56_1592:
	s_mov_b64 s[4:5], -1
                                        ; implicit-def: $vgpr34_vgpr35
	s_branch .LBB56_1597
.LBB56_1593:
	s_mov_b64 s[4:5], -1
                                        ; implicit-def: $vgpr34_vgpr35
.LBB56_1594:
	s_andn2_b64 vcc, exec, s[4:5]
	s_cbranch_vccnz .LBB56_1596
; %bb.1595:
	global_load_ushort v6, v[4:5], off
	s_waitcnt vmcnt(0)
	v_cvt_f64_u32_e32 v[34:35], v6
.LBB56_1596:
	s_mov_b64 s[4:5], 0
.LBB56_1597:
	s_andn2_b64 vcc, exec, s[4:5]
	s_cbranch_vccnz .LBB56_1607
; %bb.1598:
	global_load_ubyte v6, v[4:5], off
	s_movk_i32 s4, 0x7f
	s_waitcnt vmcnt(0)
	v_cmp_lt_i16_e32 vcc, s4, v6
	s_mov_b64 s[4:5], 0
	s_and_saveexec_b64 s[6:7], vcc
	s_xor_b64 s[6:7], exec, s[6:7]
	s_cbranch_execz .LBB56_1602
; %bb.1599:
	s_movk_i32 s4, 0x80
	v_cmp_eq_u16_e32 vcc, s4, v6
	s_mov_b64 s[4:5], -1
	s_and_saveexec_b64 s[8:9], vcc
; %bb.1600:
	s_xor_b64 s[4:5], exec, -1
; %bb.1601:
	s_or_b64 exec, exec, s[8:9]
	s_and_b64 s[4:5], s[4:5], exec
.LBB56_1602:
	s_or_saveexec_b64 s[6:7], s[6:7]
	v_bfrev_b32_e32 v34, 4
	v_mov_b32_e32 v35, 0x7ff80000
	s_xor_b64 exec, exec, s[6:7]
; %bb.1603:
	v_cmp_ne_u16_e32 vcc, 0, v6
	s_andn2_b64 s[4:5], s[4:5], exec
	s_and_b64 s[8:9], vcc, exec
	v_mov_b64_e32 v[34:35], 0
	s_or_b64 s[4:5], s[4:5], s[8:9]
; %bb.1604:
	s_or_b64 exec, exec, s[6:7]
	s_and_saveexec_b64 s[6:7], s[4:5]
	s_cbranch_execz .LBB56_1606
; %bb.1605:
	v_lshlrev_b32_e32 v7, 24, v6
	v_and_b32_e32 v6, 0xffff, v6
	v_and_b32_e32 v8, 7, v6
	v_ffbh_u32_e32 v10, v8
	v_min_u32_e32 v10, 32, v10
	v_subrev_u32_e32 v11, 28, v10
	v_bfe_u32 v9, v6, 3, 4
	v_lshlrev_b32_e32 v6, v11, v6
	v_sub_u32_e32 v10, 29, v10
	v_and_b32_e32 v6, 7, v6
	v_cmp_eq_u32_e32 vcc, 0, v9
	v_and_b32_e32 v7, 0x80000000, v7
	s_nop 0
	v_cndmask_b32_e32 v9, v9, v10, vcc
	v_cndmask_b32_e32 v6, v8, v6, vcc
	v_mov_b32_e32 v8, 0x3b800000
	v_lshlrev_b32_e32 v6, 20, v6
	v_lshl_add_u32 v8, v9, 23, v8
	v_or3_b32 v6, v7, v8, v6
	v_cvt_f64_f32_e32 v[34:35], v6
.LBB56_1606:
	s_or_b64 exec, exec, s[6:7]
.LBB56_1607:
	s_mov_b64 s[4:5], -1
	v_mov_b64_e32 v[36:37], 0
.LBB56_1608:
	s_mov_b64 s[6:7], 0
.LBB56_1609:
	s_and_b64 vcc, exec, s[6:7]
	s_cbranch_vccz .LBB56_1622
; %bb.1610:
	s_cmp_gt_i32 s11, 22
	s_cbranch_scc0 .LBB56_1633
; %bb.1611:
	s_cmp_lt_i32 s11, 24
	s_cbranch_scc1 .LBB56_1635
; %bb.1612:
	s_cmp_gt_i32 s11, 24
	s_cbranch_scc0 .LBB56_1637
; %bb.1613:
	global_load_ubyte v6, v[4:5], off
	s_movk_i32 s2, 0x7f
	s_waitcnt vmcnt(0)
	v_cmp_lt_i16_e32 vcc, s2, v6
	s_mov_b64 s[2:3], 0
	s_and_saveexec_b64 s[4:5], vcc
	s_xor_b64 s[4:5], exec, s[4:5]
	s_cbranch_execz .LBB56_1617
; %bb.1614:
	s_movk_i32 s2, 0x80
	v_cmp_eq_u16_e32 vcc, s2, v6
	s_mov_b64 s[2:3], -1
	s_and_saveexec_b64 s[6:7], vcc
; %bb.1615:
	s_xor_b64 s[2:3], exec, -1
; %bb.1616:
	s_or_b64 exec, exec, s[6:7]
	s_and_b64 s[2:3], s[2:3], exec
.LBB56_1617:
	s_or_saveexec_b64 s[4:5], s[4:5]
	v_bfrev_b32_e32 v34, 4
	v_mov_b32_e32 v35, 0x7ff80000
	s_xor_b64 exec, exec, s[4:5]
; %bb.1618:
	v_cmp_ne_u16_e32 vcc, 0, v6
	s_andn2_b64 s[2:3], s[2:3], exec
	s_and_b64 s[6:7], vcc, exec
	v_mov_b64_e32 v[34:35], 0
	s_or_b64 s[2:3], s[2:3], s[6:7]
; %bb.1619:
	s_or_b64 exec, exec, s[4:5]
	s_and_saveexec_b64 s[4:5], s[2:3]
	s_cbranch_execz .LBB56_1621
; %bb.1620:
	v_lshlrev_b32_e32 v7, 24, v6
	v_and_b32_e32 v6, 0xffff, v6
	v_and_b32_e32 v8, 3, v6
	v_ffbh_u32_e32 v10, v8
	v_min_u32_e32 v10, 32, v10
	v_subrev_u32_e32 v11, 29, v10
	v_bfe_u32 v9, v6, 2, 5
	v_lshlrev_b32_e32 v6, v11, v6
	v_sub_u32_e32 v10, 30, v10
	v_and_b32_e32 v6, 3, v6
	v_cmp_eq_u32_e32 vcc, 0, v9
	v_and_b32_e32 v7, 0x80000000, v7
	s_nop 0
	v_cndmask_b32_e32 v9, v9, v10, vcc
	v_cndmask_b32_e32 v6, v8, v6, vcc
	v_mov_b32_e32 v8, 0x37800000
	v_lshlrev_b32_e32 v6, 21, v6
	v_lshl_add_u32 v8, v9, 23, v8
	v_or3_b32 v6, v7, v8, v6
	v_cvt_f64_f32_e32 v[34:35], v6
.LBB56_1621:
	s_or_b64 exec, exec, s[4:5]
	s_mov_b64 s[2:3], 0
	s_branch .LBB56_1638
.LBB56_1622:
	s_and_b64 vcc, exec, s[0:1]
	s_cbranch_vccnz .LBB56_1666
.LBB56_1623:
	s_andn2_b64 vcc, exec, s[2:3]
	s_cbranch_vccnz .LBB56_1625
.LBB56_1624:
	global_load_ubyte v6, v[4:5], off
	v_mov_b32_e32 v7, 0x3ff00000
	v_mov_b32_e32 v34, 0
	s_mov_b64 s[4:5], -1
	v_mov_b64_e32 v[36:37], 0
	s_waitcnt vmcnt(0)
	v_cmp_ne_u16_e32 vcc, 0, v6
	s_nop 1
	v_cndmask_b32_e32 v35, 0, v7, vcc
.LBB56_1625:
	s_mov_b64 s[0:1], 0
.LBB56_1626:
	s_and_b64 vcc, exec, s[0:1]
	s_cbranch_vccz .LBB56_1697
; %bb.1627:
	s_and_b32 s2, 0xffff, s10
	s_cmp_lt_i32 s2, 5
	s_cbranch_scc1 .LBB56_1632
; %bb.1628:
	s_cmp_lt_i32 s2, 8
	s_cbranch_scc1 .LBB56_1634
; %bb.1629:
	;; [unrolled: 3-line block ×3, first 2 shown]
	s_cmp_gt_i32 s2, 9
	s_cbranch_scc0 .LBB56_1649
; %bb.1631:
	global_load_dwordx4 v[34:37], v[4:5], off
	s_mov_b64 s[0:1], 0
	s_branch .LBB56_1650
.LBB56_1632:
	s_mov_b64 s[0:1], -1
                                        ; implicit-def: $vgpr36_vgpr37
	s_branch .LBB56_1675
.LBB56_1633:
	s_mov_b64 s[2:3], -1
                                        ; implicit-def: $vgpr34_vgpr35
	s_branch .LBB56_1644
.LBB56_1634:
	s_mov_b64 s[0:1], -1
                                        ; implicit-def: $vgpr36_vgpr37
	s_branch .LBB56_1656
.LBB56_1635:
	s_mov_b64 s[2:3], -1
                                        ; implicit-def: $vgpr34_vgpr35
	s_branch .LBB56_1641
.LBB56_1636:
	s_mov_b64 s[0:1], -1
                                        ; implicit-def: $vgpr36_vgpr37
	s_branch .LBB56_1653
.LBB56_1637:
	s_mov_b64 s[2:3], -1
                                        ; implicit-def: $vgpr34_vgpr35
.LBB56_1638:
	s_and_b64 vcc, exec, s[2:3]
	s_cbranch_vccz .LBB56_1640
; %bb.1639:
	global_load_ubyte v6, v[4:5], off
	s_mov_b32 s2, 0x7f800000
	s_waitcnt vmcnt(0)
	v_lshlrev_b32_e32 v6, 24, v6
	v_and_b32_e32 v7, 0x7f000000, v6
	v_ffbh_u32_e32 v8, v7
	v_min_u32_e32 v8, 32, v8
	v_sub_u32_e64 v8, v8, 4 clamp
	v_lshlrev_b32_e32 v10, v8, v7
	v_lshlrev_b32_e32 v8, 23, v8
	v_lshrrev_b32_e32 v10, 4, v10
	v_add_u32_e32 v9, 0x1000000, v7
	v_sub_u32_e32 v8, v10, v8
	v_ashrrev_i32_e32 v9, 8, v9
	v_add_u32_e32 v8, 0x3c000000, v8
	v_and_or_b32 v8, v9, s2, v8
	v_cmp_ne_u32_e32 vcc, 0, v7
	s_brev_b32 s2, 1
	s_nop 0
	v_cndmask_b32_e32 v7, 0, v8, vcc
	v_and_or_b32 v6, v6, s2, v7
	v_cvt_f64_f32_e32 v[34:35], v6
.LBB56_1640:
	s_mov_b64 s[2:3], 0
.LBB56_1641:
	s_andn2_b64 vcc, exec, s[2:3]
	s_cbranch_vccnz .LBB56_1643
; %bb.1642:
	global_load_ubyte v6, v[4:5], off
	s_movk_i32 s2, 0x7f00
	s_brev_b32 s3, 16
	s_waitcnt vmcnt(0)
	v_lshlrev_b16_e32 v7, 8, v6
	v_lshlrev_b32_e32 v6, 25, v6
	v_lshrrev_b32_e32 v8, 4, v6
	v_and_or_b32 v9, v7, s2, 0.5
	v_or_b32_e32 v8, 0x70000000, v8
	v_add_f32_e32 v9, -0.5, v9
	v_mul_f32_e32 v8, 0x7800000, v8
	v_cmp_gt_u32_e32 vcc, s3, v6
	v_bfe_i32 v7, v7, 0, 16
	s_brev_b32 s2, 1
	v_cndmask_b32_e32 v6, v8, v9, vcc
	v_and_or_b32 v6, v7, s2, v6
	v_cvt_f64_f32_e32 v[34:35], v6
.LBB56_1643:
	s_mov_b64 s[2:3], 0
	s_mov_b64 s[4:5], -1
.LBB56_1644:
	s_andn2_b64 vcc, exec, s[2:3]
	s_mov_b64 s[2:3], 0
	s_cbranch_vccnz .LBB56_1665
; %bb.1645:
	s_cmp_gt_i32 s11, 14
	s_cbranch_scc0 .LBB56_1648
; %bb.1646:
	s_cmp_eq_u32 s11, 15
	s_cbranch_scc0 .LBB56_1661
; %bb.1647:
	global_load_ushort v6, v[4:5], off
	s_mov_b64 s[0:1], 0
	s_mov_b64 s[4:5], -1
	s_waitcnt vmcnt(0)
	v_lshlrev_b32_e32 v6, 16, v6
	v_cvt_f64_f32_e32 v[34:35], v6
	s_branch .LBB56_1662
.LBB56_1648:
	s_mov_b64 s[6:7], -1
                                        ; implicit-def: $vgpr34_vgpr35
	s_branch .LBB56_1663
.LBB56_1649:
	s_mov_b64 s[0:1], -1
                                        ; implicit-def: $vgpr36_vgpr37
.LBB56_1650:
	s_andn2_b64 vcc, exec, s[0:1]
	s_cbranch_vccnz .LBB56_1652
; %bb.1651:
	global_load_dwordx2 v[6:7], v[4:5], off
	s_waitcnt vmcnt(0)
	v_cvt_f64_f32_e32 v[34:35], v6
	v_cvt_f64_f32_e32 v[36:37], v7
.LBB56_1652:
	s_mov_b64 s[0:1], 0
.LBB56_1653:
	s_andn2_b64 vcc, exec, s[0:1]
	s_cbranch_vccnz .LBB56_1655
; %bb.1654:
	global_load_dword v6, v[4:5], off
	s_waitcnt vmcnt(0)
	v_cvt_f32_f16_e32 v7, v6
	v_cvt_f32_f16_sdwa v6, v6 dst_sel:DWORD dst_unused:UNUSED_PAD src0_sel:WORD_1
	v_cvt_f64_f32_e32 v[34:35], v7
	v_cvt_f64_f32_e32 v[36:37], v6
.LBB56_1655:
	s_mov_b64 s[0:1], 0
.LBB56_1656:
	s_andn2_b64 vcc, exec, s[0:1]
	s_cbranch_vccnz .LBB56_1674
; %bb.1657:
	s_cmp_lt_i32 s2, 6
	s_cbranch_scc1 .LBB56_1660
; %bb.1658:
	s_cmp_gt_i32 s2, 6
	s_cbranch_scc0 .LBB56_1667
; %bb.1659:
	global_load_dwordx2 v[34:35], v[4:5], off
	s_mov_b64 s[0:1], 0
	s_branch .LBB56_1668
.LBB56_1660:
	s_mov_b64 s[0:1], -1
                                        ; implicit-def: $vgpr34_vgpr35
	s_branch .LBB56_1671
.LBB56_1661:
	s_mov_b64 s[0:1], -1
                                        ; implicit-def: $vgpr34_vgpr35
.LBB56_1662:
	s_mov_b64 s[6:7], 0
.LBB56_1663:
	s_and_b64 vcc, exec, s[6:7]
	s_cbranch_vccz .LBB56_1665
; %bb.1664:
	s_cmp_lg_u32 s11, 11
	s_mov_b64 s[2:3], -1
	s_cselect_b64 s[0:1], -1, 0
.LBB56_1665:
	v_mov_b64_e32 v[36:37], 0
	s_and_b64 vcc, exec, s[0:1]
	s_cbranch_vccz .LBB56_1623
.LBB56_1666:
	s_trap 2
	s_or_b64 s[34:35], s[34:35], exec
	s_cbranch_execz .LBB56_1624
	s_branch .LBB56_1625
.LBB56_1667:
	s_mov_b64 s[0:1], -1
                                        ; implicit-def: $vgpr34_vgpr35
.LBB56_1668:
	s_andn2_b64 vcc, exec, s[0:1]
	s_cbranch_vccnz .LBB56_1670
; %bb.1669:
	global_load_dword v6, v[4:5], off
	s_waitcnt vmcnt(0)
	v_cvt_f64_f32_e32 v[34:35], v6
.LBB56_1670:
	s_mov_b64 s[0:1], 0
.LBB56_1671:
	s_andn2_b64 vcc, exec, s[0:1]
	s_cbranch_vccnz .LBB56_1673
; %bb.1672:
	global_load_ushort v6, v[4:5], off
	s_waitcnt vmcnt(0)
	v_cvt_f32_f16_e32 v6, v6
	v_cvt_f64_f32_e32 v[34:35], v6
.LBB56_1673:
	s_waitcnt vmcnt(0)
	v_mov_b64_e32 v[36:37], 0
.LBB56_1674:
	s_mov_b64 s[0:1], 0
.LBB56_1675:
	s_andn2_b64 vcc, exec, s[0:1]
	s_cbranch_vccnz .LBB56_1696
; %bb.1676:
	s_cmp_lt_i32 s2, 2
	s_cbranch_scc1 .LBB56_1680
; %bb.1677:
	s_cmp_lt_i32 s2, 3
	s_cbranch_scc1 .LBB56_1681
; %bb.1678:
	s_cmp_gt_i32 s2, 3
	s_cbranch_scc0 .LBB56_1682
; %bb.1679:
	global_load_dwordx2 v[6:7], v[4:5], off
	s_mov_b64 s[0:1], 0
	s_waitcnt vmcnt(0)
	v_cvt_f64_i32_e32 v[8:9], v7
	v_cvt_f64_u32_e32 v[6:7], v6
	v_ldexp_f64 v[8:9], v[8:9], 32
	v_add_f64 v[34:35], v[8:9], v[6:7]
	s_branch .LBB56_1683
.LBB56_1680:
	s_mov_b64 s[0:1], -1
                                        ; implicit-def: $vgpr34_vgpr35
	s_branch .LBB56_1689
.LBB56_1681:
	s_mov_b64 s[0:1], -1
                                        ; implicit-def: $vgpr34_vgpr35
	s_branch .LBB56_1686
.LBB56_1682:
	s_mov_b64 s[0:1], -1
                                        ; implicit-def: $vgpr34_vgpr35
.LBB56_1683:
	s_andn2_b64 vcc, exec, s[0:1]
	s_cbranch_vccnz .LBB56_1685
; %bb.1684:
	global_load_dword v6, v[4:5], off
	s_waitcnt vmcnt(0)
	v_cvt_f64_i32_e32 v[34:35], v6
.LBB56_1685:
	s_mov_b64 s[0:1], 0
.LBB56_1686:
	s_andn2_b64 vcc, exec, s[0:1]
	s_cbranch_vccnz .LBB56_1688
; %bb.1687:
	global_load_sshort v6, v[4:5], off
	s_waitcnt vmcnt(0)
	v_cvt_f64_i32_e32 v[34:35], v6
.LBB56_1688:
	s_mov_b64 s[0:1], 0
.LBB56_1689:
	s_andn2_b64 vcc, exec, s[0:1]
	s_cbranch_vccnz .LBB56_1695
; %bb.1690:
	s_cmp_gt_i32 s2, 0
	s_cbranch_scc0 .LBB56_1692
; %bb.1691:
	global_load_sbyte v6, v[4:5], off
	s_mov_b64 s[0:1], 0
	s_waitcnt vmcnt(0)
	v_cvt_f64_i32_e32 v[34:35], v6
	s_branch .LBB56_1693
.LBB56_1692:
	s_mov_b64 s[0:1], -1
                                        ; implicit-def: $vgpr34_vgpr35
.LBB56_1693:
	s_andn2_b64 vcc, exec, s[0:1]
	s_cbranch_vccnz .LBB56_1695
; %bb.1694:
	global_load_ubyte v4, v[4:5], off
	s_waitcnt vmcnt(0)
	v_cvt_f64_u32_e32 v[34:35], v4
.LBB56_1695:
	s_waitcnt vmcnt(0)
	v_mov_b64_e32 v[36:37], 0
.LBB56_1696:
	s_mov_b64 s[4:5], -1
.LBB56_1697:
	s_andn2_b64 vcc, exec, s[4:5]
	s_cbranch_vccnz .LBB56_2131
; %bb.1698:
	s_bfe_u32 s38, s33, 0x80008
	s_getpc_b64 s[0:1]
	s_add_u32 s0, s0, _ZZZZN2at6native15exp_kernel_cudaERNS_18TensorIteratorBaseEENKUlvE_clEvENKUlvE_clEvENKUlN3c107complexIdEEE_clES7_@rel32@lo+4
	s_addc_u32 s1, s1, _ZZZZN2at6native15exp_kernel_cudaERNS_18TensorIteratorBaseEENKUlvE_clEvENKUlvE_clEvENKUlN3c107complexIdEEE_clES7_@rel32@hi+12
	s_swappc_b64 s[30:31], s[0:1]
	v_mov_b32_e32 v53, 0
	s_cmp_lt_i32 s38, 11
	v_lshl_add_u64 v[4:5], s[36:37], 0, v[52:53]
	s_cbranch_scc1 .LBB56_1776
; %bb.1699:
	s_and_b32 s10, 0xffff, s38
	s_mov_b64 s[6:7], -1
	s_mov_b64 s[2:3], 0
	s_cmp_gt_i32 s10, 25
	s_mov_b64 s[4:5], 0
	s_mov_b64 s[0:1], 0
	s_cbranch_scc0 .LBB56_1732
; %bb.1700:
	s_cmp_gt_i32 s10, 28
	s_cbranch_scc0 .LBB56_1715
; %bb.1701:
	s_cmp_gt_i32 s10, 43
	;; [unrolled: 3-line block ×3, first 2 shown]
	s_cbranch_scc0 .LBB56_1705
; %bb.1703:
	s_mov_b64 s[0:1], -1
	s_mov_b64 s[6:7], 0
	s_cmp_eq_u32 s10, 46
	s_cbranch_scc0 .LBB56_1705
; %bb.1704:
	v_cvt_f32_f64_e32 v7, v[2:3]
	s_movk_i32 s0, 0x7fff
	v_bfe_u32 v9, v7, 16, 1
	v_cvt_f32_f64_e32 v6, v[0:1]
	v_add3_u32 v9, v7, v9, s0
	v_bfe_u32 v8, v6, 16, 1
	v_and_b32_e32 v9, 0xffff0000, v9
	v_mov_b32_e32 v10, 0x7fc00000
	v_cmp_o_f32_e32 vcc, v7, v7
	v_add3_u32 v8, v6, v8, s0
	s_mov_b64 s[0:1], 0
	v_cndmask_b32_e32 v7, v10, v9, vcc
	v_cmp_o_f32_e32 vcc, v6, v6
	v_mov_b32_e32 v6, 0x7fc0
	s_mov_b64 s[4:5], -1
	v_cndmask_b32_sdwa v6, v6, v8, vcc dst_sel:DWORD dst_unused:UNUSED_PAD src0_sel:DWORD src1_sel:WORD_1
	v_or_b32_e32 v6, v7, v6
	global_store_dword v[4:5], v6, off
.LBB56_1705:
	s_and_b64 vcc, exec, s[6:7]
	s_cbranch_vccz .LBB56_1710
; %bb.1706:
	s_cmp_eq_u32 s10, 44
	s_mov_b64 s[0:1], -1
	s_cbranch_scc0 .LBB56_1710
; %bb.1707:
	v_cvt_f32_f64_e32 v6, v[0:1]
	v_bfe_u32 v7, v6, 23, 8
	s_movk_i32 s0, 0xff
	v_cmp_ne_u32_e32 vcc, s0, v7
	v_mov_b32_e32 v8, 0xff
	s_and_saveexec_b64 s[4:5], vcc
; %bb.1708:
	s_mov_b32 s0, 0x3fffff
	v_lshrrev_b32_e32 v8, 23, v6
	v_and_b32_e32 v9, 0x400000, v6
	v_and_or_b32 v6, v6, s0, v7
	v_cmp_ne_u32_e32 vcc, 0, v9
	v_cmp_ne_u32_e64 s[0:1], 0, v6
	s_and_b64 s[0:1], vcc, s[0:1]
	s_nop 0
	v_cndmask_b32_e64 v6, 0, 1, s[0:1]
	v_add_u32_e32 v8, v8, v6
; %bb.1709:
	s_or_b64 exec, exec, s[4:5]
	s_mov_b64 s[0:1], 0
	s_mov_b64 s[4:5], -1
	global_store_byte v[4:5], v8, off
.LBB56_1710:
	s_mov_b64 s[6:7], 0
.LBB56_1711:
	s_and_b64 vcc, exec, s[6:7]
	s_cbranch_vccz .LBB56_1714
; %bb.1712:
	s_cmp_eq_u32 s10, 29
	s_mov_b64 s[0:1], -1
	s_cbranch_scc0 .LBB56_1714
; %bb.1713:
	v_trunc_f64_e32 v[6:7], v[0:1]
	s_movk_i32 s0, 0xffe0
	v_ldexp_f64 v[8:9], v[6:7], s0
	v_floor_f64_e32 v[8:9], v[8:9]
	v_fmac_f64_e32 v[6:7], 0xc1f00000, v[8:9]
	v_cvt_u32_f64_e32 v11, v[8:9]
	v_cvt_u32_f64_e32 v10, v[6:7]
	global_store_dwordx2 v[4:5], v[10:11], off
	s_mov_b64 s[0:1], 0
	s_mov_b64 s[4:5], -1
.LBB56_1714:
	s_mov_b64 s[6:7], 0
.LBB56_1715:
	s_and_b64 vcc, exec, s[6:7]
	s_cbranch_vccz .LBB56_1731
; %bb.1716:
	s_cmp_lt_i32 s10, 27
	s_mov_b64 s[4:5], -1
	s_cbranch_scc1 .LBB56_1722
; %bb.1717:
	s_cmp_gt_i32 s10, 27
	v_cvt_u32_f64_e32 v6, v[0:1]
	s_cbranch_scc0 .LBB56_1719
; %bb.1718:
	s_mov_b64 s[4:5], 0
	global_store_dword v[4:5], v6, off
.LBB56_1719:
	s_andn2_b64 vcc, exec, s[4:5]
	s_cbranch_vccnz .LBB56_1721
; %bb.1720:
	global_store_short v[4:5], v6, off
.LBB56_1721:
	s_mov_b64 s[4:5], 0
.LBB56_1722:
	s_andn2_b64 vcc, exec, s[4:5]
	s_cbranch_vccnz .LBB56_1730
; %bb.1723:
	v_cvt_f32_f64_e32 v6, v[0:1]
	v_and_b32_e32 v7, 0x7fffffff, v6
	s_mov_b32 s4, 0x43800000
	v_cmp_gt_u32_e32 vcc, s4, v7
	v_mov_b32_e32 v8, 0x80
	s_and_saveexec_b64 s[4:5], vcc
	s_cbranch_execz .LBB56_1729
; %bb.1724:
	s_mov_b32 s6, 0x3bffffff
	v_cmp_lt_u32_e32 vcc, s6, v7
	s_mov_b64 s[6:7], 0
                                        ; implicit-def: $vgpr7
	s_and_saveexec_b64 s[8:9], vcc
	s_xor_b64 s[8:9], exec, s[8:9]
	s_cbranch_execz .LBB56_2177
; %bb.1725:
	v_bfe_u32 v7, v6, 20, 1
	s_mov_b32 s11, 0x487ffff
	v_add3_u32 v7, v6, v7, s11
	s_mov_b64 s[6:7], exec
	v_lshrrev_b32_e32 v7, 20, v7
	s_andn2_saveexec_b64 s[8:9], s[8:9]
	s_cbranch_execnz .LBB56_2178
.LBB56_1726:
	s_or_b64 exec, exec, s[8:9]
	v_mov_b32_e32 v8, 0
	s_and_saveexec_b64 s[8:9], s[6:7]
.LBB56_1727:
	v_lshrrev_b32_e32 v6, 24, v6
	s_movk_i32 s6, 0x80
	v_and_or_b32 v8, v6, s6, v7
.LBB56_1728:
	s_or_b64 exec, exec, s[8:9]
.LBB56_1729:
	s_or_b64 exec, exec, s[4:5]
	global_store_byte v[4:5], v8, off
.LBB56_1730:
	s_mov_b64 s[4:5], -1
.LBB56_1731:
	s_mov_b64 s[6:7], 0
.LBB56_1732:
	s_and_b64 vcc, exec, s[6:7]
	s_cbranch_vccz .LBB56_1772
; %bb.1733:
	s_cmp_gt_i32 s10, 22
	s_mov_b64 s[2:3], -1
	s_cbranch_scc0 .LBB56_1765
; %bb.1734:
	s_cmp_lt_i32 s10, 24
	s_cbranch_scc1 .LBB56_1754
; %bb.1735:
	s_cmp_gt_i32 s10, 24
	s_cbranch_scc0 .LBB56_1743
; %bb.1736:
	v_cvt_f32_f64_e32 v6, v[0:1]
	v_and_b32_e32 v7, 0x7fffffff, v6
	s_mov_b32 s2, 0x47800000
	v_cmp_gt_u32_e32 vcc, s2, v7
	v_mov_b32_e32 v8, 0x80
	s_and_saveexec_b64 s[2:3], vcc
	s_cbranch_execz .LBB56_1742
; %bb.1737:
	s_mov_b32 s4, 0x37ffffff
	v_cmp_lt_u32_e32 vcc, s4, v7
	s_mov_b64 s[4:5], 0
                                        ; implicit-def: $vgpr7
	s_and_saveexec_b64 s[6:7], vcc
	s_xor_b64 s[6:7], exec, s[6:7]
	s_cbranch_execz .LBB56_2180
; %bb.1738:
	v_bfe_u32 v7, v6, 21, 1
	s_mov_b32 s8, 0x88fffff
	v_add3_u32 v7, v6, v7, s8
	s_mov_b64 s[4:5], exec
	v_lshrrev_b32_e32 v7, 21, v7
	s_andn2_saveexec_b64 s[6:7], s[6:7]
	s_cbranch_execnz .LBB56_2181
.LBB56_1739:
	s_or_b64 exec, exec, s[6:7]
	v_mov_b32_e32 v8, 0
	s_and_saveexec_b64 s[6:7], s[4:5]
.LBB56_1740:
	v_lshrrev_b32_e32 v6, 24, v6
	s_movk_i32 s4, 0x80
	v_and_or_b32 v8, v6, s4, v7
.LBB56_1741:
	s_or_b64 exec, exec, s[6:7]
.LBB56_1742:
	s_or_b64 exec, exec, s[2:3]
	s_mov_b64 s[2:3], 0
	global_store_byte v[4:5], v8, off
.LBB56_1743:
	s_and_b64 vcc, exec, s[2:3]
	s_cbranch_vccz .LBB56_1753
; %bb.1744:
	v_cvt_f32_f64_e32 v6, v[0:1]
	v_and_b32_e32 v8, 0x7fffffff, v6
	s_mov_b32 s2, 0x43f00000
	v_cmp_gt_u32_e32 vcc, s2, v8
                                        ; implicit-def: $vgpr7
	s_and_saveexec_b64 s[2:3], vcc
	s_xor_b64 s[2:3], exec, s[2:3]
	s_cbranch_execz .LBB56_1750
; %bb.1745:
	s_mov_b32 s4, 0x3c7fffff
	v_cmp_lt_u32_e32 vcc, s4, v8
                                        ; implicit-def: $vgpr7
	s_and_saveexec_b64 s[4:5], vcc
	s_xor_b64 s[4:5], exec, s[4:5]
; %bb.1746:
	v_bfe_u32 v7, v6, 20, 1
	s_mov_b32 s6, 0x407ffff
	v_add3_u32 v7, v6, v7, s6
	v_lshrrev_b32_e32 v8, 20, v7
	v_and_b32_e32 v7, 0xff00000, v7
	s_mov_b32 s6, 0x7f00000
	v_mov_b32_e32 v9, 0x7e
	v_cmp_ne_u32_e32 vcc, s6, v7
	s_nop 1
	v_cndmask_b32_e32 v7, v9, v8, vcc
; %bb.1747:
	s_andn2_saveexec_b64 s[4:5], s[4:5]
; %bb.1748:
	s_mov_b32 s6, 0x46800000
	v_add_f32_e64 v7, |v6|, s6
; %bb.1749:
	s_or_b64 exec, exec, s[4:5]
                                        ; implicit-def: $vgpr8
.LBB56_1750:
	s_andn2_saveexec_b64 s[2:3], s[2:3]
; %bb.1751:
	s_mov_b32 s4, 0x7f800000
	v_mov_b32_e32 v7, 0x7e
	v_mov_b32_e32 v9, 0x7f
	v_cmp_lt_u32_e32 vcc, s4, v8
	s_nop 1
	v_cndmask_b32_e32 v7, v7, v9, vcc
; %bb.1752:
	s_or_b64 exec, exec, s[2:3]
	v_lshrrev_b32_e32 v6, 24, v6
	s_movk_i32 s2, 0x80
	v_and_or_b32 v6, v6, s2, v7
	global_store_byte v[4:5], v6, off
.LBB56_1753:
	s_mov_b64 s[2:3], 0
.LBB56_1754:
	s_andn2_b64 vcc, exec, s[2:3]
	s_cbranch_vccnz .LBB56_1764
; %bb.1755:
	v_cvt_f32_f64_e32 v6, v[0:1]
	v_and_b32_e32 v8, 0x7fffffff, v6
	s_mov_b32 s2, 0x47800000
	v_cmp_gt_u32_e32 vcc, s2, v8
                                        ; implicit-def: $vgpr7
	s_and_saveexec_b64 s[2:3], vcc
	s_xor_b64 s[2:3], exec, s[2:3]
	s_cbranch_execz .LBB56_1761
; %bb.1756:
	s_mov_b32 s4, 0x387fffff
	v_cmp_lt_u32_e32 vcc, s4, v8
                                        ; implicit-def: $vgpr7
	s_and_saveexec_b64 s[4:5], vcc
	s_xor_b64 s[4:5], exec, s[4:5]
; %bb.1757:
	v_bfe_u32 v7, v6, 21, 1
	s_mov_b32 s6, 0x80fffff
	v_add3_u32 v7, v6, v7, s6
	v_lshrrev_b32_e32 v7, 21, v7
; %bb.1758:
	s_andn2_saveexec_b64 s[4:5], s[4:5]
; %bb.1759:
	s_mov_b32 s6, 0x43000000
	v_add_f32_e64 v7, |v6|, s6
; %bb.1760:
	s_or_b64 exec, exec, s[4:5]
                                        ; implicit-def: $vgpr8
.LBB56_1761:
	s_andn2_saveexec_b64 s[2:3], s[2:3]
; %bb.1762:
	s_mov_b32 s4, 0x7f800000
	v_mov_b32_e32 v7, 0x7c
	v_mov_b32_e32 v9, 0x7f
	v_cmp_lt_u32_e32 vcc, s4, v8
	s_nop 1
	v_cndmask_b32_e32 v7, v7, v9, vcc
; %bb.1763:
	s_or_b64 exec, exec, s[2:3]
	v_lshrrev_b32_e32 v6, 24, v6
	s_movk_i32 s2, 0x80
	v_and_or_b32 v6, v6, s2, v7
	global_store_byte v[4:5], v6, off
.LBB56_1764:
	s_mov_b64 s[2:3], 0
	s_mov_b64 s[4:5], -1
.LBB56_1765:
	s_andn2_b64 vcc, exec, s[2:3]
	s_mov_b64 s[2:3], 0
	s_cbranch_vccnz .LBB56_1772
; %bb.1766:
	s_cmp_gt_i32 s10, 14
	s_mov_b64 s[6:7], -1
	s_cbranch_scc0 .LBB56_1770
; %bb.1767:
	s_cmp_eq_u32 s10, 15
	s_mov_b64 s[0:1], -1
	s_cbranch_scc0 .LBB56_1769
; %bb.1768:
	v_cvt_f32_f64_e32 v6, v[0:1]
	v_bfe_u32 v7, v6, 16, 1
	s_movk_i32 s0, 0x7fff
	v_add3_u32 v7, v6, v7, s0
	v_cmp_o_f32_e32 vcc, v6, v6
	v_mov_b32_e32 v6, 0x7fc0
	s_mov_b64 s[0:1], 0
	v_cndmask_b32_sdwa v6, v6, v7, vcc dst_sel:DWORD dst_unused:UNUSED_PAD src0_sel:DWORD src1_sel:WORD_1
	global_store_short v[4:5], v6, off
	s_mov_b64 s[4:5], -1
.LBB56_1769:
	s_mov_b64 s[6:7], 0
.LBB56_1770:
	s_and_b64 vcc, exec, s[6:7]
	s_cbranch_vccz .LBB56_1772
; %bb.1771:
	s_cmp_lg_u32 s10, 11
	s_mov_b64 s[2:3], -1
	s_cselect_b64 s[0:1], -1, 0
.LBB56_1772:
	s_and_b64 vcc, exec, s[0:1]
	s_cbranch_vccnz .LBB56_2179
; %bb.1773:
	s_andn2_b64 vcc, exec, s[2:3]
	s_cbranch_vccnz .LBB56_1775
.LBB56_1774:
	v_cmp_neq_f64_e32 vcc, 0, v[0:1]
	v_cmp_neq_f64_e64 s[0:1], 0, v[2:3]
	s_or_b64 s[0:1], vcc, s[0:1]
	s_mov_b64 s[4:5], -1
	v_cndmask_b32_e64 v6, 0, 1, s[0:1]
	global_store_byte v[4:5], v6, off
.LBB56_1775:
	s_mov_b64 s[0:1], 0
	s_branch .LBB56_1777
.LBB56_1776:
	s_mov_b64 s[0:1], -1
	s_mov_b64 s[4:5], 0
.LBB56_1777:
	s_and_b64 vcc, exec, s[0:1]
	s_cbranch_vccz .LBB56_1816
; %bb.1778:
	s_and_b32 s2, 0xffff, s38
	s_cmp_lt_i32 s2, 5
	s_mov_b64 s[0:1], -1
	s_cbranch_scc1 .LBB56_1799
; %bb.1779:
	s_cmp_lt_i32 s2, 8
	s_cbranch_scc1 .LBB56_1789
; %bb.1780:
	s_cmp_lt_i32 s2, 9
	s_cbranch_scc1 .LBB56_1786
; %bb.1781:
	s_cmp_gt_i32 s2, 9
	s_cbranch_scc0 .LBB56_1783
; %bb.1782:
	global_store_dwordx4 v[4:5], v[0:3], off
	s_mov_b64 s[0:1], 0
.LBB56_1783:
	s_andn2_b64 vcc, exec, s[0:1]
	s_cbranch_vccnz .LBB56_1785
; %bb.1784:
	v_cvt_f32_f64_e32 v7, v[2:3]
	v_cvt_f32_f64_e32 v6, v[0:1]
	global_store_dwordx2 v[4:5], v[6:7], off
.LBB56_1785:
	s_mov_b64 s[0:1], 0
.LBB56_1786:
	s_andn2_b64 vcc, exec, s[0:1]
	s_cbranch_vccnz .LBB56_1788
; %bb.1787:
	s_movk_i32 s0, 0x1ff
	v_and_or_b32 v6, v1, s0, v0
	v_cmp_ne_u32_e32 vcc, 0, v6
	v_lshrrev_b32_e32 v7, 8, v1
	s_movk_i32 s1, 0xffe
	v_cndmask_b32_e64 v6, 0, 1, vcc
	v_bfe_u32 v8, v1, 20, 11
	v_and_or_b32 v6, v7, s1, v6
	v_sub_u32_e32 v9, 0x3f1, v8
	v_or_b32_e32 v7, 0x1000, v6
	v_med3_i32 v9, v9, 0, 13
	v_lshrrev_b32_e32 v10, v9, v7
	v_lshlrev_b32_e32 v9, v9, v10
	v_cmp_ne_u32_e32 vcc, v9, v7
	v_add_u32_e32 v8, 0xfffffc10, v8
	v_lshl_or_b32 v9, v8, 12, v6
	v_cndmask_b32_e64 v7, 0, 1, vcc
	v_or_b32_e32 v7, v10, v7
	v_cmp_gt_i32_e32 vcc, 1, v8
	s_movk_i32 s3, 0x40f
	v_and_or_b32 v2, v3, s0, v2
	v_cndmask_b32_e32 v7, v9, v7, vcc
	v_and_b32_e32 v9, 7, v7
	v_cmp_lt_i32_e32 vcc, 5, v9
	v_lshrrev_b32_e32 v7, 2, v7
	v_bfe_u32 v11, v3, 20, 11
	v_cndmask_b32_e64 v10, 0, 1, vcc
	v_cmp_eq_u32_e32 vcc, 3, v9
	v_sub_u32_e32 v12, 0x3f1, v11
	v_med3_i32 v12, v12, 0, 13
	v_cndmask_b32_e64 v9, 0, 1, vcc
	v_or_b32_e32 v9, v9, v10
	v_add_u32_e32 v7, v7, v9
	v_mov_b32_e32 v9, 0x7c00
	v_cmp_gt_i32_e32 vcc, 31, v8
	v_mov_b32_e32 v10, 0x7e00
	v_add_u32_e32 v11, 0xfffffc10, v11
	v_cndmask_b32_e32 v7, v9, v7, vcc
	v_cmp_ne_u32_e32 vcc, 0, v6
	s_mov_b32 s4, 0x8000
	s_mov_b32 s0, 0xffff
	v_cndmask_b32_e32 v6, v9, v10, vcc
	v_cmp_eq_u32_e32 vcc, s3, v8
	v_lshrrev_b32_e32 v8, 8, v3
	v_lshrrev_b32_e32 v3, 16, v3
	v_cndmask_b32_e32 v6, v7, v6, vcc
	v_cmp_ne_u32_e32 vcc, 0, v2
	v_and_b32_sdwa v7, v1, s4 dst_sel:DWORD dst_unused:UNUSED_PAD src0_sel:WORD_1 src1_sel:DWORD
	s_nop 0
	v_cndmask_b32_e64 v2, 0, 1, vcc
	v_and_or_b32 v2, v8, s1, v2
	v_or_b32_e32 v8, 0x1000, v2
	v_lshrrev_b32_e32 v13, v12, v8
	v_lshlrev_b32_e32 v12, v12, v13
	v_cmp_ne_u32_e32 vcc, v12, v8
	v_lshl_or_b32 v12, v11, 12, v2
	s_nop 0
	v_cndmask_b32_e64 v8, 0, 1, vcc
	v_or_b32_e32 v8, v13, v8
	v_cmp_gt_i32_e32 vcc, 1, v11
	s_nop 1
	v_cndmask_b32_e32 v8, v12, v8, vcc
	v_and_b32_e32 v12, 7, v8
	v_cmp_lt_i32_e32 vcc, 5, v12
	v_lshrrev_b32_e32 v8, 2, v8
	s_nop 0
	v_cndmask_b32_e64 v13, 0, 1, vcc
	v_cmp_eq_u32_e32 vcc, 3, v12
	s_nop 1
	v_cndmask_b32_e64 v12, 0, 1, vcc
	v_or_b32_e32 v12, v12, v13
	v_add_u32_e32 v8, v8, v12
	v_cmp_gt_i32_e32 vcc, 31, v11
	s_nop 1
	v_cndmask_b32_e32 v8, v9, v8, vcc
	v_cmp_ne_u32_e32 vcc, 0, v2
	s_nop 1
	v_cndmask_b32_e32 v2, v9, v10, vcc
	v_cmp_eq_u32_e32 vcc, s3, v11
	s_nop 1
	v_cndmask_b32_e32 v2, v8, v2, vcc
	v_and_or_b32 v2, v3, s4, v2
	v_bitop3_b32 v3, v7, s0, v6 bitop3:0xc8
	v_lshl_or_b32 v2, v2, 16, v3
	global_store_dword v[4:5], v2, off
.LBB56_1788:
	s_mov_b64 s[0:1], 0
.LBB56_1789:
	s_andn2_b64 vcc, exec, s[0:1]
	s_cbranch_vccnz .LBB56_1798
; %bb.1790:
	s_cmp_lt_i32 s2, 6
	s_mov_b64 s[0:1], -1
	s_cbranch_scc1 .LBB56_1796
; %bb.1791:
	s_cmp_gt_i32 s2, 6
	s_cbranch_scc0 .LBB56_1793
; %bb.1792:
	global_store_dwordx2 v[4:5], v[0:1], off
	s_mov_b64 s[0:1], 0
.LBB56_1793:
	s_andn2_b64 vcc, exec, s[0:1]
	s_cbranch_vccnz .LBB56_1795
; %bb.1794:
	v_cvt_f32_f64_e32 v2, v[0:1]
	global_store_dword v[4:5], v2, off
.LBB56_1795:
	s_mov_b64 s[0:1], 0
.LBB56_1796:
	s_andn2_b64 vcc, exec, s[0:1]
	s_cbranch_vccnz .LBB56_1798
; %bb.1797:
	s_movk_i32 s0, 0x1ff
	v_and_or_b32 v2, v1, s0, v0
	v_cmp_ne_u32_e32 vcc, 0, v2
	v_lshrrev_b32_e32 v3, 8, v1
	s_movk_i32 s0, 0xffe
	v_cndmask_b32_e64 v2, 0, 1, vcc
	v_bfe_u32 v6, v1, 20, 11
	v_and_or_b32 v2, v3, s0, v2
	v_sub_u32_e32 v7, 0x3f1, v6
	v_or_b32_e32 v3, 0x1000, v2
	v_med3_i32 v7, v7, 0, 13
	v_lshrrev_b32_e32 v8, v7, v3
	v_lshlrev_b32_e32 v7, v7, v8
	v_cmp_ne_u32_e32 vcc, v7, v3
	v_add_u32_e32 v6, 0xfffffc10, v6
	v_lshl_or_b32 v7, v6, 12, v2
	v_cndmask_b32_e64 v3, 0, 1, vcc
	v_or_b32_e32 v3, v8, v3
	v_cmp_gt_i32_e32 vcc, 1, v6
	s_movk_i32 s0, 0x40f
	s_nop 0
	v_cndmask_b32_e32 v3, v7, v3, vcc
	v_and_b32_e32 v7, 7, v3
	v_cmp_lt_i32_e32 vcc, 5, v7
	v_lshrrev_b32_e32 v3, 2, v3
	s_nop 0
	v_cndmask_b32_e64 v8, 0, 1, vcc
	v_cmp_eq_u32_e32 vcc, 3, v7
	s_nop 1
	v_cndmask_b32_e64 v7, 0, 1, vcc
	v_or_b32_e32 v7, v7, v8
	v_add_u32_e32 v3, v3, v7
	v_mov_b32_e32 v7, 0x7c00
	v_cmp_gt_i32_e32 vcc, 31, v6
	v_mov_b32_e32 v8, 0x7e00
	s_nop 0
	v_cndmask_b32_e32 v3, v7, v3, vcc
	v_cmp_ne_u32_e32 vcc, 0, v2
	s_nop 1
	v_cndmask_b32_e32 v2, v7, v8, vcc
	v_cmp_eq_u32_e32 vcc, s0, v6
	s_mov_b32 s0, 0x8000
	s_nop 0
	v_cndmask_b32_e32 v2, v3, v2, vcc
	v_lshrrev_b32_e32 v3, 16, v1
	v_and_or_b32 v2, v3, s0, v2
	global_store_short v[4:5], v2, off
.LBB56_1798:
	s_mov_b64 s[0:1], 0
.LBB56_1799:
	s_andn2_b64 vcc, exec, s[0:1]
	s_cbranch_vccnz .LBB56_1815
; %bb.1800:
	s_cmp_lt_i32 s2, 2
	s_mov_b64 s[0:1], -1
	s_cbranch_scc1 .LBB56_1810
; %bb.1801:
	s_cmp_lt_i32 s2, 3
	s_cbranch_scc1 .LBB56_1807
; %bb.1802:
	s_cmp_gt_i32 s2, 3
	s_cbranch_scc0 .LBB56_1804
; %bb.1803:
	v_trunc_f64_e32 v[2:3], v[0:1]
	s_movk_i32 s0, 0xffe0
	v_ldexp_f64 v[6:7], v[2:3], s0
	v_floor_f64_e32 v[6:7], v[6:7]
	v_fmac_f64_e32 v[2:3], 0xc1f00000, v[6:7]
	v_cvt_i32_f64_e32 v9, v[6:7]
	v_cvt_u32_f64_e32 v8, v[2:3]
	global_store_dwordx2 v[4:5], v[8:9], off
	s_mov_b64 s[0:1], 0
.LBB56_1804:
	s_andn2_b64 vcc, exec, s[0:1]
	s_cbranch_vccnz .LBB56_1806
; %bb.1805:
	v_cvt_i32_f64_e32 v2, v[0:1]
	global_store_dword v[4:5], v2, off
.LBB56_1806:
	s_mov_b64 s[0:1], 0
.LBB56_1807:
	s_andn2_b64 vcc, exec, s[0:1]
	s_cbranch_vccnz .LBB56_1809
; %bb.1808:
	v_cvt_i32_f64_e32 v2, v[0:1]
	global_store_short v[4:5], v2, off
.LBB56_1809:
	s_mov_b64 s[0:1], 0
.LBB56_1810:
	s_andn2_b64 vcc, exec, s[0:1]
	s_cbranch_vccnz .LBB56_1815
; %bb.1811:
	s_cmp_gt_i32 s2, 0
	s_mov_b64 s[0:1], -1
	s_cbranch_scc0 .LBB56_1813
; %bb.1812:
	v_cvt_i32_f64_e32 v2, v[0:1]
	global_store_byte v[4:5], v2, off
	s_mov_b64 s[0:1], 0
.LBB56_1813:
	s_andn2_b64 vcc, exec, s[0:1]
	s_cbranch_vccnz .LBB56_1815
; %bb.1814:
	v_trunc_f64_e32 v[0:1], v[0:1]
	s_movk_i32 s0, 0xffe0
	v_ldexp_f64 v[2:3], v[0:1], s0
	v_floor_f64_e32 v[2:3], v[2:3]
	v_fmac_f64_e32 v[0:1], 0xc1f00000, v[2:3]
	v_cvt_u32_f64_e32 v0, v[0:1]
	global_store_byte v[4:5], v0, off
.LBB56_1815:
	s_mov_b64 s[4:5], -1
.LBB56_1816:
	s_andn2_b64 vcc, exec, s[4:5]
	s_cbranch_vccnz .LBB56_2131
; %bb.1817:
	s_lshr_b32 s0, s33, 8
	s_and_b32 s38, s0, 0xff
	s_getpc_b64 s[0:1]
	s_add_u32 s0, s0, _ZZZZN2at6native15exp_kernel_cudaERNS_18TensorIteratorBaseEENKUlvE_clEvENKUlvE_clEvENKUlN3c107complexIdEEE_clES7_@rel32@lo+4
	s_addc_u32 s1, s1, _ZZZZN2at6native15exp_kernel_cudaERNS_18TensorIteratorBaseEENKUlvE_clEvENKUlvE_clEvENKUlN3c107complexIdEEE_clES7_@rel32@hi+12
	v_mov_b32_e32 v0, v42
	v_mov_b32_e32 v1, v43
	;; [unrolled: 1-line block ×4, first 2 shown]
	s_swappc_b64 s[30:31], s[0:1]
	v_mov_b32_e32 v51, 0
	s_cmp_lt_i32 s38, 11
	v_lshl_add_u64 v[4:5], s[36:37], 0, v[50:51]
	s_cbranch_scc1 .LBB56_1895
; %bb.1818:
	s_and_b32 s10, 0xffff, s38
	s_mov_b64 s[6:7], -1
	s_mov_b64 s[2:3], 0
	s_cmp_gt_i32 s10, 25
	s_mov_b64 s[4:5], 0
	s_mov_b64 s[0:1], 0
	s_cbranch_scc0 .LBB56_1851
; %bb.1819:
	s_cmp_gt_i32 s10, 28
	s_cbranch_scc0 .LBB56_1834
; %bb.1820:
	s_cmp_gt_i32 s10, 43
	;; [unrolled: 3-line block ×3, first 2 shown]
	s_cbranch_scc0 .LBB56_1824
; %bb.1822:
	s_mov_b64 s[0:1], -1
	s_mov_b64 s[6:7], 0
	s_cmp_eq_u32 s10, 46
	s_cbranch_scc0 .LBB56_1824
; %bb.1823:
	v_cvt_f32_f64_e32 v7, v[2:3]
	s_movk_i32 s0, 0x7fff
	v_bfe_u32 v9, v7, 16, 1
	v_cvt_f32_f64_e32 v6, v[0:1]
	v_add3_u32 v9, v7, v9, s0
	v_bfe_u32 v8, v6, 16, 1
	v_and_b32_e32 v9, 0xffff0000, v9
	v_mov_b32_e32 v10, 0x7fc00000
	v_cmp_o_f32_e32 vcc, v7, v7
	v_add3_u32 v8, v6, v8, s0
	s_mov_b64 s[0:1], 0
	v_cndmask_b32_e32 v7, v10, v9, vcc
	v_cmp_o_f32_e32 vcc, v6, v6
	v_mov_b32_e32 v6, 0x7fc0
	s_mov_b64 s[4:5], -1
	v_cndmask_b32_sdwa v6, v6, v8, vcc dst_sel:DWORD dst_unused:UNUSED_PAD src0_sel:DWORD src1_sel:WORD_1
	v_or_b32_e32 v6, v7, v6
	global_store_dword v[4:5], v6, off
.LBB56_1824:
	s_and_b64 vcc, exec, s[6:7]
	s_cbranch_vccz .LBB56_1829
; %bb.1825:
	s_cmp_eq_u32 s10, 44
	s_mov_b64 s[0:1], -1
	s_cbranch_scc0 .LBB56_1829
; %bb.1826:
	v_cvt_f32_f64_e32 v6, v[0:1]
	v_bfe_u32 v7, v6, 23, 8
	s_movk_i32 s0, 0xff
	v_cmp_ne_u32_e32 vcc, s0, v7
	v_mov_b32_e32 v8, 0xff
	s_and_saveexec_b64 s[4:5], vcc
; %bb.1827:
	s_mov_b32 s0, 0x3fffff
	v_lshrrev_b32_e32 v8, 23, v6
	v_and_b32_e32 v9, 0x400000, v6
	v_and_or_b32 v6, v6, s0, v7
	v_cmp_ne_u32_e32 vcc, 0, v9
	v_cmp_ne_u32_e64 s[0:1], 0, v6
	s_and_b64 s[0:1], vcc, s[0:1]
	s_nop 0
	v_cndmask_b32_e64 v6, 0, 1, s[0:1]
	v_add_u32_e32 v8, v8, v6
; %bb.1828:
	s_or_b64 exec, exec, s[4:5]
	s_mov_b64 s[0:1], 0
	s_mov_b64 s[4:5], -1
	global_store_byte v[4:5], v8, off
.LBB56_1829:
	s_mov_b64 s[6:7], 0
.LBB56_1830:
	s_and_b64 vcc, exec, s[6:7]
	s_cbranch_vccz .LBB56_1833
; %bb.1831:
	s_cmp_eq_u32 s10, 29
	s_mov_b64 s[0:1], -1
	s_cbranch_scc0 .LBB56_1833
; %bb.1832:
	v_trunc_f64_e32 v[6:7], v[0:1]
	s_movk_i32 s0, 0xffe0
	v_ldexp_f64 v[8:9], v[6:7], s0
	v_floor_f64_e32 v[8:9], v[8:9]
	v_fmac_f64_e32 v[6:7], 0xc1f00000, v[8:9]
	v_cvt_u32_f64_e32 v11, v[8:9]
	v_cvt_u32_f64_e32 v10, v[6:7]
	global_store_dwordx2 v[4:5], v[10:11], off
	s_mov_b64 s[0:1], 0
	s_mov_b64 s[4:5], -1
.LBB56_1833:
	s_mov_b64 s[6:7], 0
.LBB56_1834:
	s_and_b64 vcc, exec, s[6:7]
	s_cbranch_vccz .LBB56_1850
; %bb.1835:
	s_cmp_lt_i32 s10, 27
	s_mov_b64 s[4:5], -1
	s_cbranch_scc1 .LBB56_1841
; %bb.1836:
	s_cmp_gt_i32 s10, 27
	s_cbranch_scc0 .LBB56_1838
; %bb.1837:
	v_cvt_u32_f64_e32 v6, v[0:1]
	s_mov_b64 s[4:5], 0
	global_store_dword v[4:5], v6, off
.LBB56_1838:
	s_andn2_b64 vcc, exec, s[4:5]
	s_cbranch_vccnz .LBB56_1840
; %bb.1839:
	v_cvt_u32_f64_e32 v6, v[0:1]
	global_store_short v[4:5], v6, off
.LBB56_1840:
	s_mov_b64 s[4:5], 0
.LBB56_1841:
	s_andn2_b64 vcc, exec, s[4:5]
	s_cbranch_vccnz .LBB56_1849
; %bb.1842:
	v_cvt_f32_f64_e32 v6, v[0:1]
	v_and_b32_e32 v7, 0x7fffffff, v6
	s_mov_b32 s4, 0x43800000
	v_cmp_gt_u32_e32 vcc, s4, v7
	v_mov_b32_e32 v8, 0x80
	s_and_saveexec_b64 s[4:5], vcc
	s_cbranch_execz .LBB56_1848
; %bb.1843:
	s_mov_b32 s6, 0x3bffffff
	v_cmp_lt_u32_e32 vcc, s6, v7
	s_mov_b64 s[6:7], 0
                                        ; implicit-def: $vgpr7
	s_and_saveexec_b64 s[8:9], vcc
	s_xor_b64 s[8:9], exec, s[8:9]
	s_cbranch_execz .LBB56_2182
; %bb.1844:
	v_bfe_u32 v7, v6, 20, 1
	s_mov_b32 s11, 0x487ffff
	v_add3_u32 v7, v6, v7, s11
	s_mov_b64 s[6:7], exec
	v_lshrrev_b32_e32 v7, 20, v7
	s_andn2_saveexec_b64 s[8:9], s[8:9]
	s_cbranch_execnz .LBB56_2183
.LBB56_1845:
	s_or_b64 exec, exec, s[8:9]
	v_mov_b32_e32 v8, 0
	s_and_saveexec_b64 s[8:9], s[6:7]
.LBB56_1846:
	v_lshrrev_b32_e32 v6, 24, v6
	s_movk_i32 s6, 0x80
	v_and_or_b32 v8, v6, s6, v7
.LBB56_1847:
	s_or_b64 exec, exec, s[8:9]
.LBB56_1848:
	s_or_b64 exec, exec, s[4:5]
	global_store_byte v[4:5], v8, off
.LBB56_1849:
	s_mov_b64 s[4:5], -1
.LBB56_1850:
	s_mov_b64 s[6:7], 0
.LBB56_1851:
	s_and_b64 vcc, exec, s[6:7]
	s_cbranch_vccz .LBB56_1891
; %bb.1852:
	s_cmp_gt_i32 s10, 22
	s_mov_b64 s[2:3], -1
	s_cbranch_scc0 .LBB56_1884
; %bb.1853:
	s_cmp_lt_i32 s10, 24
	s_cbranch_scc1 .LBB56_1873
; %bb.1854:
	s_cmp_gt_i32 s10, 24
	s_cbranch_scc0 .LBB56_1862
; %bb.1855:
	v_cvt_f32_f64_e32 v6, v[0:1]
	v_and_b32_e32 v7, 0x7fffffff, v6
	s_mov_b32 s2, 0x47800000
	v_cmp_gt_u32_e32 vcc, s2, v7
	v_mov_b32_e32 v8, 0x80
	s_and_saveexec_b64 s[2:3], vcc
	s_cbranch_execz .LBB56_1861
; %bb.1856:
	s_mov_b32 s4, 0x37ffffff
	v_cmp_lt_u32_e32 vcc, s4, v7
	s_mov_b64 s[4:5], 0
                                        ; implicit-def: $vgpr7
	s_and_saveexec_b64 s[6:7], vcc
	s_xor_b64 s[6:7], exec, s[6:7]
	s_cbranch_execz .LBB56_2185
; %bb.1857:
	v_bfe_u32 v7, v6, 21, 1
	s_mov_b32 s8, 0x88fffff
	v_add3_u32 v7, v6, v7, s8
	s_mov_b64 s[4:5], exec
	v_lshrrev_b32_e32 v7, 21, v7
	s_andn2_saveexec_b64 s[6:7], s[6:7]
	s_cbranch_execnz .LBB56_2186
.LBB56_1858:
	s_or_b64 exec, exec, s[6:7]
	v_mov_b32_e32 v8, 0
	s_and_saveexec_b64 s[6:7], s[4:5]
.LBB56_1859:
	v_lshrrev_b32_e32 v6, 24, v6
	s_movk_i32 s4, 0x80
	v_and_or_b32 v8, v6, s4, v7
.LBB56_1860:
	s_or_b64 exec, exec, s[6:7]
.LBB56_1861:
	s_or_b64 exec, exec, s[2:3]
	s_mov_b64 s[2:3], 0
	global_store_byte v[4:5], v8, off
.LBB56_1862:
	s_and_b64 vcc, exec, s[2:3]
	s_cbranch_vccz .LBB56_1872
; %bb.1863:
	v_cvt_f32_f64_e32 v6, v[0:1]
	v_and_b32_e32 v8, 0x7fffffff, v6
	s_mov_b32 s2, 0x43f00000
	v_cmp_gt_u32_e32 vcc, s2, v8
                                        ; implicit-def: $vgpr7
	s_and_saveexec_b64 s[2:3], vcc
	s_xor_b64 s[2:3], exec, s[2:3]
	s_cbranch_execz .LBB56_1869
; %bb.1864:
	s_mov_b32 s4, 0x3c7fffff
	v_cmp_lt_u32_e32 vcc, s4, v8
                                        ; implicit-def: $vgpr7
	s_and_saveexec_b64 s[4:5], vcc
	s_xor_b64 s[4:5], exec, s[4:5]
; %bb.1865:
	v_bfe_u32 v7, v6, 20, 1
	s_mov_b32 s6, 0x407ffff
	v_add3_u32 v7, v6, v7, s6
	v_lshrrev_b32_e32 v8, 20, v7
	v_and_b32_e32 v7, 0xff00000, v7
	s_mov_b32 s6, 0x7f00000
	v_mov_b32_e32 v9, 0x7e
	v_cmp_ne_u32_e32 vcc, s6, v7
	s_nop 1
	v_cndmask_b32_e32 v7, v9, v8, vcc
; %bb.1866:
	s_andn2_saveexec_b64 s[4:5], s[4:5]
; %bb.1867:
	s_mov_b32 s6, 0x46800000
	v_add_f32_e64 v7, |v6|, s6
; %bb.1868:
	s_or_b64 exec, exec, s[4:5]
                                        ; implicit-def: $vgpr8
.LBB56_1869:
	s_andn2_saveexec_b64 s[2:3], s[2:3]
; %bb.1870:
	s_mov_b32 s4, 0x7f800000
	v_mov_b32_e32 v7, 0x7e
	v_mov_b32_e32 v9, 0x7f
	v_cmp_lt_u32_e32 vcc, s4, v8
	s_nop 1
	v_cndmask_b32_e32 v7, v7, v9, vcc
; %bb.1871:
	s_or_b64 exec, exec, s[2:3]
	v_lshrrev_b32_e32 v6, 24, v6
	s_movk_i32 s2, 0x80
	v_and_or_b32 v6, v6, s2, v7
	global_store_byte v[4:5], v6, off
.LBB56_1872:
	s_mov_b64 s[2:3], 0
.LBB56_1873:
	s_andn2_b64 vcc, exec, s[2:3]
	s_cbranch_vccnz .LBB56_1883
; %bb.1874:
	v_cvt_f32_f64_e32 v6, v[0:1]
	v_and_b32_e32 v8, 0x7fffffff, v6
	s_mov_b32 s2, 0x47800000
	v_cmp_gt_u32_e32 vcc, s2, v8
                                        ; implicit-def: $vgpr7
	s_and_saveexec_b64 s[2:3], vcc
	s_xor_b64 s[2:3], exec, s[2:3]
	s_cbranch_execz .LBB56_1880
; %bb.1875:
	s_mov_b32 s4, 0x387fffff
	v_cmp_lt_u32_e32 vcc, s4, v8
                                        ; implicit-def: $vgpr7
	s_and_saveexec_b64 s[4:5], vcc
	s_xor_b64 s[4:5], exec, s[4:5]
; %bb.1876:
	v_bfe_u32 v7, v6, 21, 1
	s_mov_b32 s6, 0x80fffff
	v_add3_u32 v7, v6, v7, s6
	v_lshrrev_b32_e32 v7, 21, v7
; %bb.1877:
	s_andn2_saveexec_b64 s[4:5], s[4:5]
; %bb.1878:
	s_mov_b32 s6, 0x43000000
	v_add_f32_e64 v7, |v6|, s6
; %bb.1879:
	s_or_b64 exec, exec, s[4:5]
                                        ; implicit-def: $vgpr8
.LBB56_1880:
	s_andn2_saveexec_b64 s[2:3], s[2:3]
; %bb.1881:
	s_mov_b32 s4, 0x7f800000
	v_mov_b32_e32 v7, 0x7c
	v_mov_b32_e32 v9, 0x7f
	v_cmp_lt_u32_e32 vcc, s4, v8
	s_nop 1
	v_cndmask_b32_e32 v7, v7, v9, vcc
; %bb.1882:
	s_or_b64 exec, exec, s[2:3]
	v_lshrrev_b32_e32 v6, 24, v6
	s_movk_i32 s2, 0x80
	v_and_or_b32 v6, v6, s2, v7
	global_store_byte v[4:5], v6, off
.LBB56_1883:
	s_mov_b64 s[2:3], 0
	s_mov_b64 s[4:5], -1
.LBB56_1884:
	s_andn2_b64 vcc, exec, s[2:3]
	s_mov_b64 s[2:3], 0
	s_cbranch_vccnz .LBB56_1891
; %bb.1885:
	s_cmp_gt_i32 s10, 14
	s_mov_b64 s[6:7], -1
	s_cbranch_scc0 .LBB56_1889
; %bb.1886:
	s_cmp_eq_u32 s10, 15
	s_mov_b64 s[0:1], -1
	s_cbranch_scc0 .LBB56_1888
; %bb.1887:
	v_cvt_f32_f64_e32 v6, v[0:1]
	v_bfe_u32 v7, v6, 16, 1
	s_movk_i32 s0, 0x7fff
	v_add3_u32 v7, v6, v7, s0
	v_cmp_o_f32_e32 vcc, v6, v6
	v_mov_b32_e32 v6, 0x7fc0
	s_mov_b64 s[0:1], 0
	v_cndmask_b32_sdwa v6, v6, v7, vcc dst_sel:DWORD dst_unused:UNUSED_PAD src0_sel:DWORD src1_sel:WORD_1
	global_store_short v[4:5], v6, off
	s_mov_b64 s[4:5], -1
.LBB56_1888:
	s_mov_b64 s[6:7], 0
.LBB56_1889:
	s_and_b64 vcc, exec, s[6:7]
	s_cbranch_vccz .LBB56_1891
; %bb.1890:
	s_cmp_lg_u32 s10, 11
	s_mov_b64 s[2:3], -1
	s_cselect_b64 s[0:1], -1, 0
.LBB56_1891:
	s_and_b64 vcc, exec, s[0:1]
	s_cbranch_vccnz .LBB56_2184
; %bb.1892:
	s_andn2_b64 vcc, exec, s[2:3]
	s_cbranch_vccnz .LBB56_1894
.LBB56_1893:
	v_cmp_neq_f64_e32 vcc, 0, v[0:1]
	v_cmp_neq_f64_e64 s[0:1], 0, v[2:3]
	s_or_b64 s[0:1], vcc, s[0:1]
	s_mov_b64 s[4:5], -1
	v_cndmask_b32_e64 v6, 0, 1, s[0:1]
	global_store_byte v[4:5], v6, off
.LBB56_1894:
	s_mov_b64 s[0:1], 0
	s_branch .LBB56_1896
.LBB56_1895:
	s_mov_b64 s[0:1], -1
	s_mov_b64 s[4:5], 0
.LBB56_1896:
	s_and_b64 vcc, exec, s[0:1]
	s_cbranch_vccz .LBB56_1935
; %bb.1897:
	s_and_b32 s2, 0xffff, s38
	s_cmp_lt_i32 s2, 5
	s_mov_b64 s[0:1], -1
	s_cbranch_scc1 .LBB56_1918
; %bb.1898:
	s_cmp_lt_i32 s2, 8
	s_cbranch_scc1 .LBB56_1908
; %bb.1899:
	s_cmp_lt_i32 s2, 9
	s_cbranch_scc1 .LBB56_1905
; %bb.1900:
	s_cmp_gt_i32 s2, 9
	s_cbranch_scc0 .LBB56_1902
; %bb.1901:
	global_store_dwordx4 v[4:5], v[0:3], off
	s_mov_b64 s[0:1], 0
.LBB56_1902:
	s_andn2_b64 vcc, exec, s[0:1]
	s_cbranch_vccnz .LBB56_1904
; %bb.1903:
	v_cvt_f32_f64_e32 v7, v[2:3]
	v_cvt_f32_f64_e32 v6, v[0:1]
	global_store_dwordx2 v[4:5], v[6:7], off
.LBB56_1904:
	s_mov_b64 s[0:1], 0
.LBB56_1905:
	s_andn2_b64 vcc, exec, s[0:1]
	s_cbranch_vccnz .LBB56_1907
; %bb.1906:
	s_movk_i32 s0, 0x1ff
	v_and_or_b32 v6, v1, s0, v0
	v_cmp_ne_u32_e32 vcc, 0, v6
	v_lshrrev_b32_e32 v7, 8, v1
	s_movk_i32 s1, 0xffe
	v_cndmask_b32_e64 v6, 0, 1, vcc
	v_bfe_u32 v8, v1, 20, 11
	v_and_or_b32 v6, v7, s1, v6
	v_sub_u32_e32 v9, 0x3f1, v8
	v_or_b32_e32 v7, 0x1000, v6
	v_med3_i32 v9, v9, 0, 13
	v_lshrrev_b32_e32 v10, v9, v7
	v_lshlrev_b32_e32 v9, v9, v10
	v_cmp_ne_u32_e32 vcc, v9, v7
	v_add_u32_e32 v8, 0xfffffc10, v8
	v_lshl_or_b32 v9, v8, 12, v6
	v_cndmask_b32_e64 v7, 0, 1, vcc
	v_or_b32_e32 v7, v10, v7
	v_cmp_gt_i32_e32 vcc, 1, v8
	s_movk_i32 s3, 0x40f
	v_and_or_b32 v2, v3, s0, v2
	v_cndmask_b32_e32 v7, v9, v7, vcc
	v_and_b32_e32 v9, 7, v7
	v_cmp_lt_i32_e32 vcc, 5, v9
	v_lshrrev_b32_e32 v7, 2, v7
	v_bfe_u32 v11, v3, 20, 11
	v_cndmask_b32_e64 v10, 0, 1, vcc
	v_cmp_eq_u32_e32 vcc, 3, v9
	v_sub_u32_e32 v12, 0x3f1, v11
	v_med3_i32 v12, v12, 0, 13
	v_cndmask_b32_e64 v9, 0, 1, vcc
	v_or_b32_e32 v9, v9, v10
	v_add_u32_e32 v7, v7, v9
	v_mov_b32_e32 v9, 0x7c00
	v_cmp_gt_i32_e32 vcc, 31, v8
	v_mov_b32_e32 v10, 0x7e00
	v_add_u32_e32 v11, 0xfffffc10, v11
	v_cndmask_b32_e32 v7, v9, v7, vcc
	v_cmp_ne_u32_e32 vcc, 0, v6
	s_mov_b32 s4, 0x8000
	s_mov_b32 s0, 0xffff
	v_cndmask_b32_e32 v6, v9, v10, vcc
	v_cmp_eq_u32_e32 vcc, s3, v8
	v_lshrrev_b32_e32 v8, 8, v3
	v_lshrrev_b32_e32 v3, 16, v3
	v_cndmask_b32_e32 v6, v7, v6, vcc
	v_cmp_ne_u32_e32 vcc, 0, v2
	v_and_b32_sdwa v7, v1, s4 dst_sel:DWORD dst_unused:UNUSED_PAD src0_sel:WORD_1 src1_sel:DWORD
	s_nop 0
	v_cndmask_b32_e64 v2, 0, 1, vcc
	v_and_or_b32 v2, v8, s1, v2
	v_or_b32_e32 v8, 0x1000, v2
	v_lshrrev_b32_e32 v13, v12, v8
	v_lshlrev_b32_e32 v12, v12, v13
	v_cmp_ne_u32_e32 vcc, v12, v8
	v_lshl_or_b32 v12, v11, 12, v2
	s_nop 0
	v_cndmask_b32_e64 v8, 0, 1, vcc
	v_or_b32_e32 v8, v13, v8
	v_cmp_gt_i32_e32 vcc, 1, v11
	s_nop 1
	v_cndmask_b32_e32 v8, v12, v8, vcc
	v_and_b32_e32 v12, 7, v8
	v_cmp_lt_i32_e32 vcc, 5, v12
	v_lshrrev_b32_e32 v8, 2, v8
	s_nop 0
	v_cndmask_b32_e64 v13, 0, 1, vcc
	v_cmp_eq_u32_e32 vcc, 3, v12
	s_nop 1
	v_cndmask_b32_e64 v12, 0, 1, vcc
	v_or_b32_e32 v12, v12, v13
	v_add_u32_e32 v8, v8, v12
	v_cmp_gt_i32_e32 vcc, 31, v11
	s_nop 1
	v_cndmask_b32_e32 v8, v9, v8, vcc
	v_cmp_ne_u32_e32 vcc, 0, v2
	s_nop 1
	v_cndmask_b32_e32 v2, v9, v10, vcc
	v_cmp_eq_u32_e32 vcc, s3, v11
	s_nop 1
	v_cndmask_b32_e32 v2, v8, v2, vcc
	v_and_or_b32 v2, v3, s4, v2
	v_bitop3_b32 v3, v7, s0, v6 bitop3:0xc8
	v_lshl_or_b32 v2, v2, 16, v3
	global_store_dword v[4:5], v2, off
.LBB56_1907:
	s_mov_b64 s[0:1], 0
.LBB56_1908:
	s_andn2_b64 vcc, exec, s[0:1]
	s_cbranch_vccnz .LBB56_1917
; %bb.1909:
	s_cmp_lt_i32 s2, 6
	s_mov_b64 s[0:1], -1
	s_cbranch_scc1 .LBB56_1915
; %bb.1910:
	s_cmp_gt_i32 s2, 6
	s_cbranch_scc0 .LBB56_1912
; %bb.1911:
	global_store_dwordx2 v[4:5], v[0:1], off
	s_mov_b64 s[0:1], 0
.LBB56_1912:
	s_andn2_b64 vcc, exec, s[0:1]
	s_cbranch_vccnz .LBB56_1914
; %bb.1913:
	v_cvt_f32_f64_e32 v2, v[0:1]
	global_store_dword v[4:5], v2, off
.LBB56_1914:
	s_mov_b64 s[0:1], 0
.LBB56_1915:
	s_andn2_b64 vcc, exec, s[0:1]
	s_cbranch_vccnz .LBB56_1917
; %bb.1916:
	s_movk_i32 s0, 0x1ff
	v_and_or_b32 v2, v1, s0, v0
	v_cmp_ne_u32_e32 vcc, 0, v2
	v_lshrrev_b32_e32 v3, 8, v1
	s_movk_i32 s0, 0xffe
	v_cndmask_b32_e64 v2, 0, 1, vcc
	v_bfe_u32 v6, v1, 20, 11
	v_and_or_b32 v2, v3, s0, v2
	v_sub_u32_e32 v7, 0x3f1, v6
	v_or_b32_e32 v3, 0x1000, v2
	v_med3_i32 v7, v7, 0, 13
	v_lshrrev_b32_e32 v8, v7, v3
	v_lshlrev_b32_e32 v7, v7, v8
	v_cmp_ne_u32_e32 vcc, v7, v3
	v_add_u32_e32 v6, 0xfffffc10, v6
	v_lshl_or_b32 v7, v6, 12, v2
	v_cndmask_b32_e64 v3, 0, 1, vcc
	v_or_b32_e32 v3, v8, v3
	v_cmp_gt_i32_e32 vcc, 1, v6
	s_movk_i32 s0, 0x40f
	s_nop 0
	v_cndmask_b32_e32 v3, v7, v3, vcc
	v_and_b32_e32 v7, 7, v3
	v_cmp_lt_i32_e32 vcc, 5, v7
	v_lshrrev_b32_e32 v3, 2, v3
	s_nop 0
	v_cndmask_b32_e64 v8, 0, 1, vcc
	v_cmp_eq_u32_e32 vcc, 3, v7
	s_nop 1
	v_cndmask_b32_e64 v7, 0, 1, vcc
	v_or_b32_e32 v7, v7, v8
	v_add_u32_e32 v3, v3, v7
	v_mov_b32_e32 v7, 0x7c00
	v_cmp_gt_i32_e32 vcc, 31, v6
	v_mov_b32_e32 v8, 0x7e00
	s_nop 0
	v_cndmask_b32_e32 v3, v7, v3, vcc
	v_cmp_ne_u32_e32 vcc, 0, v2
	s_nop 1
	v_cndmask_b32_e32 v2, v7, v8, vcc
	v_cmp_eq_u32_e32 vcc, s0, v6
	s_mov_b32 s0, 0x8000
	s_nop 0
	v_cndmask_b32_e32 v2, v3, v2, vcc
	v_lshrrev_b32_e32 v3, 16, v1
	v_and_or_b32 v2, v3, s0, v2
	global_store_short v[4:5], v2, off
.LBB56_1917:
	s_mov_b64 s[0:1], 0
.LBB56_1918:
	s_andn2_b64 vcc, exec, s[0:1]
	s_cbranch_vccnz .LBB56_1934
; %bb.1919:
	s_cmp_lt_i32 s2, 2
	s_mov_b64 s[0:1], -1
	s_cbranch_scc1 .LBB56_1929
; %bb.1920:
	s_cmp_lt_i32 s2, 3
	s_cbranch_scc1 .LBB56_1926
; %bb.1921:
	s_cmp_gt_i32 s2, 3
	s_cbranch_scc0 .LBB56_1923
; %bb.1922:
	v_trunc_f64_e32 v[2:3], v[0:1]
	s_movk_i32 s0, 0xffe0
	v_ldexp_f64 v[6:7], v[2:3], s0
	v_floor_f64_e32 v[6:7], v[6:7]
	v_fmac_f64_e32 v[2:3], 0xc1f00000, v[6:7]
	v_cvt_i32_f64_e32 v9, v[6:7]
	v_cvt_u32_f64_e32 v8, v[2:3]
	global_store_dwordx2 v[4:5], v[8:9], off
	s_mov_b64 s[0:1], 0
.LBB56_1923:
	s_andn2_b64 vcc, exec, s[0:1]
	s_cbranch_vccnz .LBB56_1925
; %bb.1924:
	v_cvt_i32_f64_e32 v2, v[0:1]
	global_store_dword v[4:5], v2, off
.LBB56_1925:
	s_mov_b64 s[0:1], 0
.LBB56_1926:
	s_andn2_b64 vcc, exec, s[0:1]
	s_cbranch_vccnz .LBB56_1928
; %bb.1927:
	v_cvt_i32_f64_e32 v2, v[0:1]
	global_store_short v[4:5], v2, off
.LBB56_1928:
	s_mov_b64 s[0:1], 0
.LBB56_1929:
	s_andn2_b64 vcc, exec, s[0:1]
	s_cbranch_vccnz .LBB56_1934
; %bb.1930:
	s_cmp_gt_i32 s2, 0
	s_mov_b64 s[0:1], -1
	s_cbranch_scc0 .LBB56_1932
; %bb.1931:
	v_cvt_i32_f64_e32 v2, v[0:1]
	global_store_byte v[4:5], v2, off
	s_mov_b64 s[0:1], 0
.LBB56_1932:
	s_andn2_b64 vcc, exec, s[0:1]
	s_cbranch_vccnz .LBB56_1934
; %bb.1933:
	v_trunc_f64_e32 v[0:1], v[0:1]
	s_movk_i32 s0, 0xffe0
	v_ldexp_f64 v[2:3], v[0:1], s0
	v_floor_f64_e32 v[2:3], v[2:3]
	v_fmac_f64_e32 v[0:1], 0xc1f00000, v[2:3]
	v_cvt_u32_f64_e32 v0, v[0:1]
	global_store_byte v[4:5], v0, off
.LBB56_1934:
	s_mov_b64 s[4:5], -1
.LBB56_1935:
	s_andn2_b64 vcc, exec, s[4:5]
	s_cbranch_vccnz .LBB56_2131
; %bb.1936:
	s_getpc_b64 s[0:1]
	s_add_u32 s0, s0, _ZZZZN2at6native15exp_kernel_cudaERNS_18TensorIteratorBaseEENKUlvE_clEvENKUlvE_clEvENKUlN3c107complexIdEEE_clES7_@rel32@lo+4
	s_addc_u32 s1, s1, _ZZZZN2at6native15exp_kernel_cudaERNS_18TensorIteratorBaseEENKUlvE_clEvENKUlvE_clEvENKUlN3c107complexIdEEE_clES7_@rel32@hi+12
	v_mov_b32_e32 v0, v38
	v_mov_b32_e32 v1, v39
	;; [unrolled: 1-line block ×4, first 2 shown]
	s_swappc_b64 s[30:31], s[0:1]
	v_mov_b32_e32 v49, 0
	s_cmp_lt_i32 s38, 11
	v_lshl_add_u64 v[4:5], s[36:37], 0, v[48:49]
	s_cbranch_scc1 .LBB56_2014
; %bb.1937:
	s_and_b32 s10, 0xffff, s38
	s_mov_b64 s[6:7], -1
	s_mov_b64 s[2:3], 0
	s_cmp_gt_i32 s10, 25
	s_mov_b64 s[4:5], 0
	s_mov_b64 s[0:1], 0
	s_cbranch_scc0 .LBB56_1970
; %bb.1938:
	s_cmp_gt_i32 s10, 28
	s_cbranch_scc0 .LBB56_1953
; %bb.1939:
	s_cmp_gt_i32 s10, 43
	;; [unrolled: 3-line block ×3, first 2 shown]
	s_cbranch_scc0 .LBB56_1943
; %bb.1941:
	s_mov_b64 s[0:1], -1
	s_mov_b64 s[6:7], 0
	s_cmp_eq_u32 s10, 46
	s_cbranch_scc0 .LBB56_1943
; %bb.1942:
	v_cvt_f32_f64_e32 v7, v[2:3]
	s_movk_i32 s0, 0x7fff
	v_bfe_u32 v9, v7, 16, 1
	v_cvt_f32_f64_e32 v6, v[0:1]
	v_add3_u32 v9, v7, v9, s0
	v_bfe_u32 v8, v6, 16, 1
	v_and_b32_e32 v9, 0xffff0000, v9
	v_mov_b32_e32 v10, 0x7fc00000
	v_cmp_o_f32_e32 vcc, v7, v7
	v_add3_u32 v8, v6, v8, s0
	s_mov_b64 s[0:1], 0
	v_cndmask_b32_e32 v7, v10, v9, vcc
	v_cmp_o_f32_e32 vcc, v6, v6
	v_mov_b32_e32 v6, 0x7fc0
	s_mov_b64 s[4:5], -1
	v_cndmask_b32_sdwa v6, v6, v8, vcc dst_sel:DWORD dst_unused:UNUSED_PAD src0_sel:DWORD src1_sel:WORD_1
	v_or_b32_e32 v6, v7, v6
	global_store_dword v[4:5], v6, off
.LBB56_1943:
	s_and_b64 vcc, exec, s[6:7]
	s_cbranch_vccz .LBB56_1948
; %bb.1944:
	s_cmp_eq_u32 s10, 44
	s_mov_b64 s[0:1], -1
	s_cbranch_scc0 .LBB56_1948
; %bb.1945:
	v_cvt_f32_f64_e32 v6, v[0:1]
	v_bfe_u32 v7, v6, 23, 8
	s_movk_i32 s0, 0xff
	v_cmp_ne_u32_e32 vcc, s0, v7
	v_mov_b32_e32 v8, 0xff
	s_and_saveexec_b64 s[4:5], vcc
; %bb.1946:
	s_mov_b32 s0, 0x3fffff
	v_lshrrev_b32_e32 v8, 23, v6
	v_and_b32_e32 v9, 0x400000, v6
	v_and_or_b32 v6, v6, s0, v7
	v_cmp_ne_u32_e32 vcc, 0, v9
	v_cmp_ne_u32_e64 s[0:1], 0, v6
	s_and_b64 s[0:1], vcc, s[0:1]
	s_nop 0
	v_cndmask_b32_e64 v6, 0, 1, s[0:1]
	v_add_u32_e32 v8, v8, v6
; %bb.1947:
	s_or_b64 exec, exec, s[4:5]
	s_mov_b64 s[0:1], 0
	s_mov_b64 s[4:5], -1
	global_store_byte v[4:5], v8, off
.LBB56_1948:
	s_mov_b64 s[6:7], 0
.LBB56_1949:
	s_and_b64 vcc, exec, s[6:7]
	s_cbranch_vccz .LBB56_1952
; %bb.1950:
	s_cmp_eq_u32 s10, 29
	s_mov_b64 s[0:1], -1
	s_cbranch_scc0 .LBB56_1952
; %bb.1951:
	v_trunc_f64_e32 v[6:7], v[0:1]
	s_movk_i32 s0, 0xffe0
	v_ldexp_f64 v[8:9], v[6:7], s0
	v_floor_f64_e32 v[8:9], v[8:9]
	v_fmac_f64_e32 v[6:7], 0xc1f00000, v[8:9]
	v_cvt_u32_f64_e32 v11, v[8:9]
	v_cvt_u32_f64_e32 v10, v[6:7]
	global_store_dwordx2 v[4:5], v[10:11], off
	s_mov_b64 s[0:1], 0
	s_mov_b64 s[4:5], -1
.LBB56_1952:
	s_mov_b64 s[6:7], 0
.LBB56_1953:
	s_and_b64 vcc, exec, s[6:7]
	s_cbranch_vccz .LBB56_1969
; %bb.1954:
	s_cmp_lt_i32 s10, 27
	s_mov_b64 s[4:5], -1
	s_cbranch_scc1 .LBB56_1960
; %bb.1955:
	s_cmp_gt_i32 s10, 27
	v_cvt_u32_f64_e32 v6, v[0:1]
	s_cbranch_scc0 .LBB56_1957
; %bb.1956:
	s_mov_b64 s[4:5], 0
	global_store_dword v[4:5], v6, off
.LBB56_1957:
	s_andn2_b64 vcc, exec, s[4:5]
	s_cbranch_vccnz .LBB56_1959
; %bb.1958:
	global_store_short v[4:5], v6, off
.LBB56_1959:
	s_mov_b64 s[4:5], 0
.LBB56_1960:
	s_andn2_b64 vcc, exec, s[4:5]
	s_cbranch_vccnz .LBB56_1968
; %bb.1961:
	v_cvt_f32_f64_e32 v6, v[0:1]
	v_and_b32_e32 v7, 0x7fffffff, v6
	s_mov_b32 s4, 0x43800000
	v_cmp_gt_u32_e32 vcc, s4, v7
	v_mov_b32_e32 v8, 0x80
	s_and_saveexec_b64 s[4:5], vcc
	s_cbranch_execz .LBB56_1967
; %bb.1962:
	s_mov_b32 s6, 0x3bffffff
	v_cmp_lt_u32_e32 vcc, s6, v7
	s_mov_b64 s[6:7], 0
                                        ; implicit-def: $vgpr7
	s_and_saveexec_b64 s[8:9], vcc
	s_xor_b64 s[8:9], exec, s[8:9]
	s_cbranch_execz .LBB56_2187
; %bb.1963:
	v_bfe_u32 v7, v6, 20, 1
	s_mov_b32 s11, 0x487ffff
	v_add3_u32 v7, v6, v7, s11
	s_mov_b64 s[6:7], exec
	v_lshrrev_b32_e32 v7, 20, v7
	s_andn2_saveexec_b64 s[8:9], s[8:9]
	s_cbranch_execnz .LBB56_2188
.LBB56_1964:
	s_or_b64 exec, exec, s[8:9]
	v_mov_b32_e32 v8, 0
	s_and_saveexec_b64 s[8:9], s[6:7]
.LBB56_1965:
	v_lshrrev_b32_e32 v6, 24, v6
	s_movk_i32 s6, 0x80
	v_and_or_b32 v8, v6, s6, v7
.LBB56_1966:
	s_or_b64 exec, exec, s[8:9]
.LBB56_1967:
	s_or_b64 exec, exec, s[4:5]
	global_store_byte v[4:5], v8, off
.LBB56_1968:
	s_mov_b64 s[4:5], -1
.LBB56_1969:
	s_mov_b64 s[6:7], 0
.LBB56_1970:
	s_and_b64 vcc, exec, s[6:7]
	s_cbranch_vccz .LBB56_2010
; %bb.1971:
	s_cmp_gt_i32 s10, 22
	s_mov_b64 s[2:3], -1
	s_cbranch_scc0 .LBB56_2003
; %bb.1972:
	s_cmp_lt_i32 s10, 24
	s_cbranch_scc1 .LBB56_1992
; %bb.1973:
	s_cmp_gt_i32 s10, 24
	s_cbranch_scc0 .LBB56_1981
; %bb.1974:
	v_cvt_f32_f64_e32 v6, v[0:1]
	v_and_b32_e32 v7, 0x7fffffff, v6
	s_mov_b32 s2, 0x47800000
	v_cmp_gt_u32_e32 vcc, s2, v7
	v_mov_b32_e32 v8, 0x80
	s_and_saveexec_b64 s[2:3], vcc
	s_cbranch_execz .LBB56_1980
; %bb.1975:
	s_mov_b32 s4, 0x37ffffff
	v_cmp_lt_u32_e32 vcc, s4, v7
	s_mov_b64 s[4:5], 0
                                        ; implicit-def: $vgpr7
	s_and_saveexec_b64 s[6:7], vcc
	s_xor_b64 s[6:7], exec, s[6:7]
	s_cbranch_execz .LBB56_2190
; %bb.1976:
	v_bfe_u32 v7, v6, 21, 1
	s_mov_b32 s8, 0x88fffff
	v_add3_u32 v7, v6, v7, s8
	s_mov_b64 s[4:5], exec
	v_lshrrev_b32_e32 v7, 21, v7
	s_andn2_saveexec_b64 s[6:7], s[6:7]
	s_cbranch_execnz .LBB56_2191
.LBB56_1977:
	s_or_b64 exec, exec, s[6:7]
	v_mov_b32_e32 v8, 0
	s_and_saveexec_b64 s[6:7], s[4:5]
.LBB56_1978:
	v_lshrrev_b32_e32 v6, 24, v6
	s_movk_i32 s4, 0x80
	v_and_or_b32 v8, v6, s4, v7
.LBB56_1979:
	s_or_b64 exec, exec, s[6:7]
.LBB56_1980:
	s_or_b64 exec, exec, s[2:3]
	s_mov_b64 s[2:3], 0
	global_store_byte v[4:5], v8, off
.LBB56_1981:
	s_and_b64 vcc, exec, s[2:3]
	s_cbranch_vccz .LBB56_1991
; %bb.1982:
	v_cvt_f32_f64_e32 v6, v[0:1]
	v_and_b32_e32 v8, 0x7fffffff, v6
	s_mov_b32 s2, 0x43f00000
	v_cmp_gt_u32_e32 vcc, s2, v8
                                        ; implicit-def: $vgpr7
	s_and_saveexec_b64 s[2:3], vcc
	s_xor_b64 s[2:3], exec, s[2:3]
	s_cbranch_execz .LBB56_1988
; %bb.1983:
	s_mov_b32 s4, 0x3c7fffff
	v_cmp_lt_u32_e32 vcc, s4, v8
                                        ; implicit-def: $vgpr7
	s_and_saveexec_b64 s[4:5], vcc
	s_xor_b64 s[4:5], exec, s[4:5]
; %bb.1984:
	v_bfe_u32 v7, v6, 20, 1
	s_mov_b32 s6, 0x407ffff
	v_add3_u32 v7, v6, v7, s6
	v_lshrrev_b32_e32 v8, 20, v7
	v_and_b32_e32 v7, 0xff00000, v7
	s_mov_b32 s6, 0x7f00000
	v_mov_b32_e32 v9, 0x7e
	v_cmp_ne_u32_e32 vcc, s6, v7
	s_nop 1
	v_cndmask_b32_e32 v7, v9, v8, vcc
; %bb.1985:
	s_andn2_saveexec_b64 s[4:5], s[4:5]
; %bb.1986:
	s_mov_b32 s6, 0x46800000
	v_add_f32_e64 v7, |v6|, s6
; %bb.1987:
	s_or_b64 exec, exec, s[4:5]
                                        ; implicit-def: $vgpr8
.LBB56_1988:
	s_andn2_saveexec_b64 s[2:3], s[2:3]
; %bb.1989:
	s_mov_b32 s4, 0x7f800000
	v_mov_b32_e32 v7, 0x7e
	v_mov_b32_e32 v9, 0x7f
	v_cmp_lt_u32_e32 vcc, s4, v8
	s_nop 1
	v_cndmask_b32_e32 v7, v7, v9, vcc
; %bb.1990:
	s_or_b64 exec, exec, s[2:3]
	v_lshrrev_b32_e32 v6, 24, v6
	s_movk_i32 s2, 0x80
	v_and_or_b32 v6, v6, s2, v7
	global_store_byte v[4:5], v6, off
.LBB56_1991:
	s_mov_b64 s[2:3], 0
.LBB56_1992:
	s_andn2_b64 vcc, exec, s[2:3]
	s_cbranch_vccnz .LBB56_2002
; %bb.1993:
	v_cvt_f32_f64_e32 v6, v[0:1]
	v_and_b32_e32 v8, 0x7fffffff, v6
	s_mov_b32 s2, 0x47800000
	v_cmp_gt_u32_e32 vcc, s2, v8
                                        ; implicit-def: $vgpr7
	s_and_saveexec_b64 s[2:3], vcc
	s_xor_b64 s[2:3], exec, s[2:3]
	s_cbranch_execz .LBB56_1999
; %bb.1994:
	s_mov_b32 s4, 0x387fffff
	v_cmp_lt_u32_e32 vcc, s4, v8
                                        ; implicit-def: $vgpr7
	s_and_saveexec_b64 s[4:5], vcc
	s_xor_b64 s[4:5], exec, s[4:5]
; %bb.1995:
	v_bfe_u32 v7, v6, 21, 1
	s_mov_b32 s6, 0x80fffff
	v_add3_u32 v7, v6, v7, s6
	v_lshrrev_b32_e32 v7, 21, v7
; %bb.1996:
	s_andn2_saveexec_b64 s[4:5], s[4:5]
; %bb.1997:
	s_mov_b32 s6, 0x43000000
	v_add_f32_e64 v7, |v6|, s6
; %bb.1998:
	s_or_b64 exec, exec, s[4:5]
                                        ; implicit-def: $vgpr8
.LBB56_1999:
	s_andn2_saveexec_b64 s[2:3], s[2:3]
; %bb.2000:
	s_mov_b32 s4, 0x7f800000
	v_mov_b32_e32 v7, 0x7c
	v_mov_b32_e32 v9, 0x7f
	v_cmp_lt_u32_e32 vcc, s4, v8
	s_nop 1
	v_cndmask_b32_e32 v7, v7, v9, vcc
; %bb.2001:
	s_or_b64 exec, exec, s[2:3]
	v_lshrrev_b32_e32 v6, 24, v6
	s_movk_i32 s2, 0x80
	v_and_or_b32 v6, v6, s2, v7
	global_store_byte v[4:5], v6, off
.LBB56_2002:
	s_mov_b64 s[2:3], 0
	s_mov_b64 s[4:5], -1
.LBB56_2003:
	s_andn2_b64 vcc, exec, s[2:3]
	s_mov_b64 s[2:3], 0
	s_cbranch_vccnz .LBB56_2010
; %bb.2004:
	s_cmp_gt_i32 s10, 14
	s_mov_b64 s[6:7], -1
	s_cbranch_scc0 .LBB56_2008
; %bb.2005:
	s_cmp_eq_u32 s10, 15
	s_mov_b64 s[0:1], -1
	s_cbranch_scc0 .LBB56_2007
; %bb.2006:
	v_cvt_f32_f64_e32 v6, v[0:1]
	v_bfe_u32 v7, v6, 16, 1
	s_movk_i32 s0, 0x7fff
	v_add3_u32 v7, v6, v7, s0
	v_cmp_o_f32_e32 vcc, v6, v6
	v_mov_b32_e32 v6, 0x7fc0
	s_mov_b64 s[0:1], 0
	v_cndmask_b32_sdwa v6, v6, v7, vcc dst_sel:DWORD dst_unused:UNUSED_PAD src0_sel:DWORD src1_sel:WORD_1
	global_store_short v[4:5], v6, off
	s_mov_b64 s[4:5], -1
.LBB56_2007:
	s_mov_b64 s[6:7], 0
.LBB56_2008:
	s_and_b64 vcc, exec, s[6:7]
	s_cbranch_vccz .LBB56_2010
; %bb.2009:
	s_cmp_lg_u32 s10, 11
	s_mov_b64 s[2:3], -1
	s_cselect_b64 s[0:1], -1, 0
.LBB56_2010:
	s_and_b64 vcc, exec, s[0:1]
	s_cbranch_vccnz .LBB56_2189
; %bb.2011:
	s_andn2_b64 vcc, exec, s[2:3]
	s_cbranch_vccnz .LBB56_2013
.LBB56_2012:
	v_cmp_neq_f64_e32 vcc, 0, v[0:1]
	v_cmp_neq_f64_e64 s[0:1], 0, v[2:3]
	s_or_b64 s[0:1], vcc, s[0:1]
	s_mov_b64 s[4:5], -1
	v_cndmask_b32_e64 v6, 0, 1, s[0:1]
	global_store_byte v[4:5], v6, off
.LBB56_2013:
	s_mov_b64 s[0:1], 0
	s_branch .LBB56_2015
.LBB56_2014:
	s_mov_b64 s[0:1], -1
	s_mov_b64 s[4:5], 0
.LBB56_2015:
	s_and_b64 vcc, exec, s[0:1]
	s_cbranch_vccz .LBB56_2054
; %bb.2016:
	s_and_b32 s2, 0xffff, s38
	s_cmp_lt_i32 s2, 5
	s_mov_b64 s[0:1], -1
	s_cbranch_scc1 .LBB56_2037
; %bb.2017:
	s_cmp_lt_i32 s2, 8
	s_cbranch_scc1 .LBB56_2027
; %bb.2018:
	s_cmp_lt_i32 s2, 9
	s_cbranch_scc1 .LBB56_2024
; %bb.2019:
	s_cmp_gt_i32 s2, 9
	s_cbranch_scc0 .LBB56_2021
; %bb.2020:
	global_store_dwordx4 v[4:5], v[0:3], off
	s_mov_b64 s[0:1], 0
.LBB56_2021:
	s_andn2_b64 vcc, exec, s[0:1]
	s_cbranch_vccnz .LBB56_2023
; %bb.2022:
	v_cvt_f32_f64_e32 v7, v[2:3]
	v_cvt_f32_f64_e32 v6, v[0:1]
	global_store_dwordx2 v[4:5], v[6:7], off
.LBB56_2023:
	s_mov_b64 s[0:1], 0
.LBB56_2024:
	s_andn2_b64 vcc, exec, s[0:1]
	s_cbranch_vccnz .LBB56_2026
; %bb.2025:
	s_movk_i32 s0, 0x1ff
	v_and_or_b32 v6, v1, s0, v0
	v_cmp_ne_u32_e32 vcc, 0, v6
	v_lshrrev_b32_e32 v7, 8, v1
	s_movk_i32 s1, 0xffe
	v_cndmask_b32_e64 v6, 0, 1, vcc
	v_bfe_u32 v8, v1, 20, 11
	v_and_or_b32 v6, v7, s1, v6
	v_sub_u32_e32 v9, 0x3f1, v8
	v_or_b32_e32 v7, 0x1000, v6
	v_med3_i32 v9, v9, 0, 13
	v_lshrrev_b32_e32 v10, v9, v7
	v_lshlrev_b32_e32 v9, v9, v10
	v_cmp_ne_u32_e32 vcc, v9, v7
	v_add_u32_e32 v8, 0xfffffc10, v8
	v_lshl_or_b32 v9, v8, 12, v6
	v_cndmask_b32_e64 v7, 0, 1, vcc
	v_or_b32_e32 v7, v10, v7
	v_cmp_gt_i32_e32 vcc, 1, v8
	s_movk_i32 s3, 0x40f
	v_and_or_b32 v2, v3, s0, v2
	v_cndmask_b32_e32 v7, v9, v7, vcc
	v_and_b32_e32 v9, 7, v7
	v_cmp_lt_i32_e32 vcc, 5, v9
	v_lshrrev_b32_e32 v7, 2, v7
	v_bfe_u32 v11, v3, 20, 11
	v_cndmask_b32_e64 v10, 0, 1, vcc
	v_cmp_eq_u32_e32 vcc, 3, v9
	v_sub_u32_e32 v12, 0x3f1, v11
	v_med3_i32 v12, v12, 0, 13
	v_cndmask_b32_e64 v9, 0, 1, vcc
	v_or_b32_e32 v9, v9, v10
	v_add_u32_e32 v7, v7, v9
	v_mov_b32_e32 v9, 0x7c00
	v_cmp_gt_i32_e32 vcc, 31, v8
	v_mov_b32_e32 v10, 0x7e00
	v_add_u32_e32 v11, 0xfffffc10, v11
	v_cndmask_b32_e32 v7, v9, v7, vcc
	v_cmp_ne_u32_e32 vcc, 0, v6
	s_mov_b32 s4, 0x8000
	s_mov_b32 s0, 0xffff
	v_cndmask_b32_e32 v6, v9, v10, vcc
	v_cmp_eq_u32_e32 vcc, s3, v8
	v_lshrrev_b32_e32 v8, 8, v3
	v_lshrrev_b32_e32 v3, 16, v3
	v_cndmask_b32_e32 v6, v7, v6, vcc
	v_cmp_ne_u32_e32 vcc, 0, v2
	v_and_b32_sdwa v7, v1, s4 dst_sel:DWORD dst_unused:UNUSED_PAD src0_sel:WORD_1 src1_sel:DWORD
	s_nop 0
	v_cndmask_b32_e64 v2, 0, 1, vcc
	v_and_or_b32 v2, v8, s1, v2
	v_or_b32_e32 v8, 0x1000, v2
	v_lshrrev_b32_e32 v13, v12, v8
	v_lshlrev_b32_e32 v12, v12, v13
	v_cmp_ne_u32_e32 vcc, v12, v8
	v_lshl_or_b32 v12, v11, 12, v2
	s_nop 0
	v_cndmask_b32_e64 v8, 0, 1, vcc
	v_or_b32_e32 v8, v13, v8
	v_cmp_gt_i32_e32 vcc, 1, v11
	s_nop 1
	v_cndmask_b32_e32 v8, v12, v8, vcc
	v_and_b32_e32 v12, 7, v8
	v_cmp_lt_i32_e32 vcc, 5, v12
	v_lshrrev_b32_e32 v8, 2, v8
	s_nop 0
	v_cndmask_b32_e64 v13, 0, 1, vcc
	v_cmp_eq_u32_e32 vcc, 3, v12
	s_nop 1
	v_cndmask_b32_e64 v12, 0, 1, vcc
	v_or_b32_e32 v12, v12, v13
	v_add_u32_e32 v8, v8, v12
	v_cmp_gt_i32_e32 vcc, 31, v11
	s_nop 1
	v_cndmask_b32_e32 v8, v9, v8, vcc
	v_cmp_ne_u32_e32 vcc, 0, v2
	s_nop 1
	v_cndmask_b32_e32 v2, v9, v10, vcc
	v_cmp_eq_u32_e32 vcc, s3, v11
	s_nop 1
	v_cndmask_b32_e32 v2, v8, v2, vcc
	v_and_or_b32 v2, v3, s4, v2
	v_bitop3_b32 v3, v7, s0, v6 bitop3:0xc8
	v_lshl_or_b32 v2, v2, 16, v3
	global_store_dword v[4:5], v2, off
.LBB56_2026:
	s_mov_b64 s[0:1], 0
.LBB56_2027:
	s_andn2_b64 vcc, exec, s[0:1]
	s_cbranch_vccnz .LBB56_2036
; %bb.2028:
	s_cmp_lt_i32 s2, 6
	s_mov_b64 s[0:1], -1
	s_cbranch_scc1 .LBB56_2034
; %bb.2029:
	s_cmp_gt_i32 s2, 6
	s_cbranch_scc0 .LBB56_2031
; %bb.2030:
	global_store_dwordx2 v[4:5], v[0:1], off
	s_mov_b64 s[0:1], 0
.LBB56_2031:
	s_andn2_b64 vcc, exec, s[0:1]
	s_cbranch_vccnz .LBB56_2033
; %bb.2032:
	v_cvt_f32_f64_e32 v2, v[0:1]
	global_store_dword v[4:5], v2, off
.LBB56_2033:
	s_mov_b64 s[0:1], 0
.LBB56_2034:
	s_andn2_b64 vcc, exec, s[0:1]
	s_cbranch_vccnz .LBB56_2036
; %bb.2035:
	s_movk_i32 s0, 0x1ff
	v_and_or_b32 v2, v1, s0, v0
	v_cmp_ne_u32_e32 vcc, 0, v2
	v_lshrrev_b32_e32 v3, 8, v1
	s_movk_i32 s0, 0xffe
	v_cndmask_b32_e64 v2, 0, 1, vcc
	v_bfe_u32 v6, v1, 20, 11
	v_and_or_b32 v2, v3, s0, v2
	v_sub_u32_e32 v7, 0x3f1, v6
	v_or_b32_e32 v3, 0x1000, v2
	v_med3_i32 v7, v7, 0, 13
	v_lshrrev_b32_e32 v8, v7, v3
	v_lshlrev_b32_e32 v7, v7, v8
	v_cmp_ne_u32_e32 vcc, v7, v3
	v_add_u32_e32 v6, 0xfffffc10, v6
	v_lshl_or_b32 v7, v6, 12, v2
	v_cndmask_b32_e64 v3, 0, 1, vcc
	v_or_b32_e32 v3, v8, v3
	v_cmp_gt_i32_e32 vcc, 1, v6
	s_movk_i32 s0, 0x40f
	s_nop 0
	v_cndmask_b32_e32 v3, v7, v3, vcc
	v_and_b32_e32 v7, 7, v3
	v_cmp_lt_i32_e32 vcc, 5, v7
	v_lshrrev_b32_e32 v3, 2, v3
	s_nop 0
	v_cndmask_b32_e64 v8, 0, 1, vcc
	v_cmp_eq_u32_e32 vcc, 3, v7
	s_nop 1
	v_cndmask_b32_e64 v7, 0, 1, vcc
	v_or_b32_e32 v7, v7, v8
	v_add_u32_e32 v3, v3, v7
	v_mov_b32_e32 v7, 0x7c00
	v_cmp_gt_i32_e32 vcc, 31, v6
	v_mov_b32_e32 v8, 0x7e00
	s_nop 0
	v_cndmask_b32_e32 v3, v7, v3, vcc
	v_cmp_ne_u32_e32 vcc, 0, v2
	s_nop 1
	v_cndmask_b32_e32 v2, v7, v8, vcc
	v_cmp_eq_u32_e32 vcc, s0, v6
	s_mov_b32 s0, 0x8000
	s_nop 0
	v_cndmask_b32_e32 v2, v3, v2, vcc
	v_lshrrev_b32_e32 v3, 16, v1
	v_and_or_b32 v2, v3, s0, v2
	global_store_short v[4:5], v2, off
.LBB56_2036:
	s_mov_b64 s[0:1], 0
.LBB56_2037:
	s_andn2_b64 vcc, exec, s[0:1]
	s_cbranch_vccnz .LBB56_2053
; %bb.2038:
	s_cmp_lt_i32 s2, 2
	s_mov_b64 s[0:1], -1
	s_cbranch_scc1 .LBB56_2048
; %bb.2039:
	s_cmp_lt_i32 s2, 3
	s_cbranch_scc1 .LBB56_2045
; %bb.2040:
	s_cmp_gt_i32 s2, 3
	s_cbranch_scc0 .LBB56_2042
; %bb.2041:
	v_trunc_f64_e32 v[2:3], v[0:1]
	s_movk_i32 s0, 0xffe0
	v_ldexp_f64 v[6:7], v[2:3], s0
	v_floor_f64_e32 v[6:7], v[6:7]
	v_fmac_f64_e32 v[2:3], 0xc1f00000, v[6:7]
	v_cvt_i32_f64_e32 v9, v[6:7]
	v_cvt_u32_f64_e32 v8, v[2:3]
	global_store_dwordx2 v[4:5], v[8:9], off
	s_mov_b64 s[0:1], 0
.LBB56_2042:
	s_andn2_b64 vcc, exec, s[0:1]
	s_cbranch_vccnz .LBB56_2044
; %bb.2043:
	v_cvt_i32_f64_e32 v2, v[0:1]
	global_store_dword v[4:5], v2, off
.LBB56_2044:
	s_mov_b64 s[0:1], 0
.LBB56_2045:
	s_andn2_b64 vcc, exec, s[0:1]
	s_cbranch_vccnz .LBB56_2047
; %bb.2046:
	v_cvt_i32_f64_e32 v2, v[0:1]
	global_store_short v[4:5], v2, off
.LBB56_2047:
	s_mov_b64 s[0:1], 0
.LBB56_2048:
	s_andn2_b64 vcc, exec, s[0:1]
	s_cbranch_vccnz .LBB56_2053
; %bb.2049:
	s_cmp_gt_i32 s2, 0
	s_mov_b64 s[0:1], -1
	s_cbranch_scc0 .LBB56_2051
; %bb.2050:
	v_cvt_i32_f64_e32 v2, v[0:1]
	global_store_byte v[4:5], v2, off
	s_mov_b64 s[0:1], 0
.LBB56_2051:
	s_andn2_b64 vcc, exec, s[0:1]
	s_cbranch_vccnz .LBB56_2053
; %bb.2052:
	v_trunc_f64_e32 v[0:1], v[0:1]
	s_movk_i32 s0, 0xffe0
	v_ldexp_f64 v[2:3], v[0:1], s0
	v_floor_f64_e32 v[2:3], v[2:3]
	v_fmac_f64_e32 v[0:1], 0xc1f00000, v[2:3]
	v_cvt_u32_f64_e32 v0, v[0:1]
	global_store_byte v[4:5], v0, off
.LBB56_2053:
	s_mov_b64 s[4:5], -1
.LBB56_2054:
	s_andn2_b64 vcc, exec, s[4:5]
	s_cbranch_vccnz .LBB56_2131
; %bb.2055:
	s_getpc_b64 s[0:1]
	s_add_u32 s0, s0, _ZZZZN2at6native15exp_kernel_cudaERNS_18TensorIteratorBaseEENKUlvE_clEvENKUlvE_clEvENKUlN3c107complexIdEEE_clES7_@rel32@lo+4
	s_addc_u32 s1, s1, _ZZZZN2at6native15exp_kernel_cudaERNS_18TensorIteratorBaseEENKUlvE_clEvENKUlvE_clEvENKUlN3c107complexIdEEE_clES7_@rel32@hi+12
	v_mov_b32_e32 v0, v34
	v_mov_b32_e32 v1, v35
	;; [unrolled: 1-line block ×4, first 2 shown]
	s_swappc_b64 s[30:31], s[0:1]
	v_mov_b32_e32 v47, 0
	s_cmp_lt_i32 s38, 11
	v_lshl_add_u64 v[4:5], s[36:37], 0, v[46:47]
	s_cbranch_scc1 .LBB56_2176
; %bb.2056:
	s_and_b32 s10, 0xffff, s38
	s_mov_b64 s[4:5], -1
	s_mov_b64 s[2:3], 0
	s_cmp_gt_i32 s10, 25
	s_mov_b64 s[0:1], 0
	s_cbranch_scc0 .LBB56_2089
; %bb.2057:
	s_cmp_gt_i32 s10, 28
	s_cbranch_scc0 .LBB56_2073
; %bb.2058:
	s_cmp_gt_i32 s10, 43
	;; [unrolled: 3-line block ×3, first 2 shown]
	s_cbranch_scc0 .LBB56_2063
; %bb.2060:
	s_cmp_eq_u32 s10, 46
	s_mov_b64 s[0:1], -1
	s_cbranch_scc0 .LBB56_2062
; %bb.2061:
	v_cvt_f32_f64_e32 v7, v[2:3]
	s_movk_i32 s0, 0x7fff
	v_bfe_u32 v9, v7, 16, 1
	v_cvt_f32_f64_e32 v6, v[0:1]
	v_add3_u32 v9, v7, v9, s0
	v_bfe_u32 v8, v6, 16, 1
	v_and_b32_e32 v9, 0xffff0000, v9
	v_mov_b32_e32 v10, 0x7fc00000
	v_cmp_o_f32_e32 vcc, v7, v7
	v_add3_u32 v8, v6, v8, s0
	s_mov_b64 s[0:1], 0
	v_cndmask_b32_e32 v7, v10, v9, vcc
	v_cmp_o_f32_e32 vcc, v6, v6
	v_mov_b32_e32 v6, 0x7fc0
	s_nop 0
	v_cndmask_b32_sdwa v6, v6, v8, vcc dst_sel:DWORD dst_unused:UNUSED_PAD src0_sel:DWORD src1_sel:WORD_1
	v_or_b32_e32 v6, v7, v6
	global_store_dword v[4:5], v6, off
.LBB56_2062:
	s_mov_b64 s[4:5], 0
.LBB56_2063:
	s_and_b64 vcc, exec, s[4:5]
	s_cbranch_vccz .LBB56_2068
; %bb.2064:
	s_cmp_eq_u32 s10, 44
	s_mov_b64 s[0:1], -1
	s_cbranch_scc0 .LBB56_2068
; %bb.2065:
	v_cvt_f32_f64_e32 v6, v[0:1]
	v_bfe_u32 v7, v6, 23, 8
	s_movk_i32 s0, 0xff
	v_cmp_ne_u32_e32 vcc, s0, v7
	v_mov_b32_e32 v8, 0xff
	s_and_saveexec_b64 s[4:5], vcc
; %bb.2066:
	s_mov_b32 s0, 0x3fffff
	v_lshrrev_b32_e32 v8, 23, v6
	v_and_b32_e32 v9, 0x400000, v6
	v_and_or_b32 v6, v6, s0, v7
	v_cmp_ne_u32_e32 vcc, 0, v9
	v_cmp_ne_u32_e64 s[0:1], 0, v6
	s_and_b64 s[0:1], vcc, s[0:1]
	s_nop 0
	v_cndmask_b32_e64 v6, 0, 1, s[0:1]
	v_add_u32_e32 v8, v8, v6
; %bb.2067:
	s_or_b64 exec, exec, s[4:5]
	s_mov_b64 s[0:1], 0
	global_store_byte v[4:5], v8, off
.LBB56_2068:
	s_mov_b64 s[4:5], 0
.LBB56_2069:
	s_and_b64 vcc, exec, s[4:5]
	s_cbranch_vccz .LBB56_2072
; %bb.2070:
	s_cmp_eq_u32 s10, 29
	s_mov_b64 s[0:1], -1
	s_cbranch_scc0 .LBB56_2072
; %bb.2071:
	v_trunc_f64_e32 v[6:7], v[0:1]
	s_movk_i32 s0, 0xffe0
	v_ldexp_f64 v[8:9], v[6:7], s0
	v_floor_f64_e32 v[8:9], v[8:9]
	v_fmac_f64_e32 v[6:7], 0xc1f00000, v[8:9]
	v_cvt_u32_f64_e32 v11, v[8:9]
	v_cvt_u32_f64_e32 v10, v[6:7]
	global_store_dwordx2 v[4:5], v[10:11], off
	s_mov_b64 s[0:1], 0
.LBB56_2072:
	s_mov_b64 s[4:5], 0
.LBB56_2073:
	s_and_b64 vcc, exec, s[4:5]
	s_cbranch_vccz .LBB56_2088
; %bb.2074:
	s_cmp_lt_i32 s10, 27
	s_mov_b64 s[4:5], -1
	s_cbranch_scc1 .LBB56_2080
; %bb.2075:
	s_cmp_gt_i32 s10, 27
	s_cbranch_scc0 .LBB56_2077
; %bb.2076:
	v_cvt_u32_f64_e32 v6, v[0:1]
	global_store_dword v[4:5], v6, off
	s_mov_b64 s[4:5], 0
.LBB56_2077:
	s_andn2_b64 vcc, exec, s[4:5]
	s_cbranch_vccnz .LBB56_2079
; %bb.2078:
	v_cvt_u32_f64_e32 v6, v[0:1]
	global_store_short v[4:5], v6, off
.LBB56_2079:
	s_mov_b64 s[4:5], 0
.LBB56_2080:
	s_andn2_b64 vcc, exec, s[4:5]
	s_cbranch_vccnz .LBB56_2088
; %bb.2081:
	v_cvt_f32_f64_e32 v6, v[0:1]
	v_and_b32_e32 v7, 0x7fffffff, v6
	s_mov_b32 s4, 0x43800000
	v_cmp_gt_u32_e32 vcc, s4, v7
	v_mov_b32_e32 v8, 0x80
	s_and_saveexec_b64 s[4:5], vcc
	s_cbranch_execz .LBB56_2087
; %bb.2082:
	s_mov_b32 s6, 0x3bffffff
	v_cmp_lt_u32_e32 vcc, s6, v7
	s_mov_b64 s[6:7], 0
                                        ; implicit-def: $vgpr7
	s_and_saveexec_b64 s[8:9], vcc
	s_xor_b64 s[8:9], exec, s[8:9]
	s_cbranch_execz .LBB56_2192
; %bb.2083:
	v_bfe_u32 v7, v6, 20, 1
	s_mov_b32 s11, 0x487ffff
	v_add3_u32 v7, v6, v7, s11
	s_mov_b64 s[6:7], exec
	v_lshrrev_b32_e32 v7, 20, v7
	s_andn2_saveexec_b64 s[8:9], s[8:9]
	s_cbranch_execnz .LBB56_2193
.LBB56_2084:
	s_or_b64 exec, exec, s[8:9]
	v_mov_b32_e32 v8, 0
	s_and_saveexec_b64 s[8:9], s[6:7]
.LBB56_2085:
	v_lshrrev_b32_e32 v6, 24, v6
	s_movk_i32 s6, 0x80
	v_and_or_b32 v8, v6, s6, v7
.LBB56_2086:
	s_or_b64 exec, exec, s[8:9]
.LBB56_2087:
	s_or_b64 exec, exec, s[4:5]
	global_store_byte v[4:5], v8, off
.LBB56_2088:
	s_mov_b64 s[4:5], 0
.LBB56_2089:
	s_and_b64 vcc, exec, s[4:5]
	s_cbranch_vccz .LBB56_2129
; %bb.2090:
	s_cmp_gt_i32 s10, 22
	s_mov_b64 s[2:3], -1
	s_cbranch_scc0 .LBB56_2122
; %bb.2091:
	s_cmp_lt_i32 s10, 24
	s_cbranch_scc1 .LBB56_2111
; %bb.2092:
	s_cmp_gt_i32 s10, 24
	s_cbranch_scc0 .LBB56_2100
; %bb.2093:
	v_cvt_f32_f64_e32 v6, v[0:1]
	v_and_b32_e32 v7, 0x7fffffff, v6
	s_mov_b32 s2, 0x47800000
	v_cmp_gt_u32_e32 vcc, s2, v7
	v_mov_b32_e32 v8, 0x80
	s_and_saveexec_b64 s[2:3], vcc
	s_cbranch_execz .LBB56_2099
; %bb.2094:
	s_mov_b32 s4, 0x37ffffff
	v_cmp_lt_u32_e32 vcc, s4, v7
	s_mov_b64 s[4:5], 0
                                        ; implicit-def: $vgpr7
	s_and_saveexec_b64 s[6:7], vcc
	s_xor_b64 s[6:7], exec, s[6:7]
	s_cbranch_execz .LBB56_2195
; %bb.2095:
	v_bfe_u32 v7, v6, 21, 1
	s_mov_b32 s8, 0x88fffff
	v_add3_u32 v7, v6, v7, s8
	s_mov_b64 s[4:5], exec
	v_lshrrev_b32_e32 v7, 21, v7
	s_andn2_saveexec_b64 s[6:7], s[6:7]
	s_cbranch_execnz .LBB56_2196
.LBB56_2096:
	s_or_b64 exec, exec, s[6:7]
	v_mov_b32_e32 v8, 0
	s_and_saveexec_b64 s[6:7], s[4:5]
.LBB56_2097:
	v_lshrrev_b32_e32 v6, 24, v6
	s_movk_i32 s4, 0x80
	v_and_or_b32 v8, v6, s4, v7
.LBB56_2098:
	s_or_b64 exec, exec, s[6:7]
.LBB56_2099:
	s_or_b64 exec, exec, s[2:3]
	s_mov_b64 s[2:3], 0
	global_store_byte v[4:5], v8, off
.LBB56_2100:
	s_and_b64 vcc, exec, s[2:3]
	s_cbranch_vccz .LBB56_2110
; %bb.2101:
	v_cvt_f32_f64_e32 v6, v[0:1]
	v_and_b32_e32 v8, 0x7fffffff, v6
	s_mov_b32 s2, 0x43f00000
	v_cmp_gt_u32_e32 vcc, s2, v8
                                        ; implicit-def: $vgpr7
	s_and_saveexec_b64 s[2:3], vcc
	s_xor_b64 s[2:3], exec, s[2:3]
	s_cbranch_execz .LBB56_2107
; %bb.2102:
	s_mov_b32 s4, 0x3c7fffff
	v_cmp_lt_u32_e32 vcc, s4, v8
                                        ; implicit-def: $vgpr7
	s_and_saveexec_b64 s[4:5], vcc
	s_xor_b64 s[4:5], exec, s[4:5]
; %bb.2103:
	v_bfe_u32 v7, v6, 20, 1
	s_mov_b32 s6, 0x407ffff
	v_add3_u32 v7, v6, v7, s6
	v_lshrrev_b32_e32 v8, 20, v7
	v_and_b32_e32 v7, 0xff00000, v7
	s_mov_b32 s6, 0x7f00000
	v_mov_b32_e32 v9, 0x7e
	v_cmp_ne_u32_e32 vcc, s6, v7
	s_nop 1
	v_cndmask_b32_e32 v7, v9, v8, vcc
; %bb.2104:
	s_andn2_saveexec_b64 s[4:5], s[4:5]
; %bb.2105:
	s_mov_b32 s6, 0x46800000
	v_add_f32_e64 v7, |v6|, s6
; %bb.2106:
	s_or_b64 exec, exec, s[4:5]
                                        ; implicit-def: $vgpr8
.LBB56_2107:
	s_andn2_saveexec_b64 s[2:3], s[2:3]
; %bb.2108:
	s_mov_b32 s4, 0x7f800000
	v_mov_b32_e32 v7, 0x7e
	v_mov_b32_e32 v9, 0x7f
	v_cmp_lt_u32_e32 vcc, s4, v8
	s_nop 1
	v_cndmask_b32_e32 v7, v7, v9, vcc
; %bb.2109:
	s_or_b64 exec, exec, s[2:3]
	v_lshrrev_b32_e32 v6, 24, v6
	s_movk_i32 s2, 0x80
	v_and_or_b32 v6, v6, s2, v7
	global_store_byte v[4:5], v6, off
.LBB56_2110:
	s_mov_b64 s[2:3], 0
.LBB56_2111:
	s_andn2_b64 vcc, exec, s[2:3]
	s_cbranch_vccnz .LBB56_2121
; %bb.2112:
	v_cvt_f32_f64_e32 v6, v[0:1]
	v_and_b32_e32 v8, 0x7fffffff, v6
	s_mov_b32 s2, 0x47800000
	v_cmp_gt_u32_e32 vcc, s2, v8
                                        ; implicit-def: $vgpr7
	s_and_saveexec_b64 s[2:3], vcc
	s_xor_b64 s[2:3], exec, s[2:3]
	s_cbranch_execz .LBB56_2118
; %bb.2113:
	s_mov_b32 s4, 0x387fffff
	v_cmp_lt_u32_e32 vcc, s4, v8
                                        ; implicit-def: $vgpr7
	s_and_saveexec_b64 s[4:5], vcc
	s_xor_b64 s[4:5], exec, s[4:5]
; %bb.2114:
	v_bfe_u32 v7, v6, 21, 1
	s_mov_b32 s6, 0x80fffff
	v_add3_u32 v7, v6, v7, s6
	v_lshrrev_b32_e32 v7, 21, v7
; %bb.2115:
	s_andn2_saveexec_b64 s[4:5], s[4:5]
; %bb.2116:
	s_mov_b32 s6, 0x43000000
	v_add_f32_e64 v7, |v6|, s6
; %bb.2117:
	s_or_b64 exec, exec, s[4:5]
                                        ; implicit-def: $vgpr8
.LBB56_2118:
	s_andn2_saveexec_b64 s[2:3], s[2:3]
; %bb.2119:
	s_mov_b32 s4, 0x7f800000
	v_mov_b32_e32 v7, 0x7c
	v_mov_b32_e32 v9, 0x7f
	v_cmp_lt_u32_e32 vcc, s4, v8
	s_nop 1
	v_cndmask_b32_e32 v7, v7, v9, vcc
; %bb.2120:
	s_or_b64 exec, exec, s[2:3]
	v_lshrrev_b32_e32 v6, 24, v6
	s_movk_i32 s2, 0x80
	v_and_or_b32 v6, v6, s2, v7
	global_store_byte v[4:5], v6, off
.LBB56_2121:
	s_mov_b64 s[2:3], 0
.LBB56_2122:
	s_andn2_b64 vcc, exec, s[2:3]
	s_mov_b64 s[2:3], 0
	s_cbranch_vccnz .LBB56_2129
; %bb.2123:
	s_cmp_gt_i32 s10, 14
	s_mov_b64 s[4:5], -1
	s_cbranch_scc0 .LBB56_2127
; %bb.2124:
	s_cmp_eq_u32 s10, 15
	s_mov_b64 s[0:1], -1
	s_cbranch_scc0 .LBB56_2126
; %bb.2125:
	v_cvt_f32_f64_e32 v6, v[0:1]
	v_bfe_u32 v7, v6, 16, 1
	s_movk_i32 s0, 0x7fff
	v_add3_u32 v7, v6, v7, s0
	v_cmp_o_f32_e32 vcc, v6, v6
	v_mov_b32_e32 v6, 0x7fc0
	s_mov_b64 s[0:1], 0
	v_cndmask_b32_sdwa v6, v6, v7, vcc dst_sel:DWORD dst_unused:UNUSED_PAD src0_sel:DWORD src1_sel:WORD_1
	global_store_short v[4:5], v6, off
.LBB56_2126:
	s_mov_b64 s[4:5], 0
.LBB56_2127:
	s_and_b64 vcc, exec, s[4:5]
	s_cbranch_vccz .LBB56_2129
; %bb.2128:
	s_cmp_lg_u32 s10, 11
	s_mov_b64 s[2:3], -1
	s_cselect_b64 s[0:1], -1, 0
.LBB56_2129:
	s_and_b64 vcc, exec, s[0:1]
	s_cbranch_vccnz .LBB56_2194
.LBB56_2130:
	s_mov_b64 s[0:1], 0
	s_branch .LBB56_2132
.LBB56_2131:
	s_mov_b64 s[0:1], 0
	s_mov_b64 s[2:3], 0
                                        ; implicit-def: $vgpr4_vgpr5
                                        ; implicit-def: $sgpr38
                                        ; implicit-def: $vgpr2_vgpr3
.LBB56_2132:
	s_and_b64 s[4:5], s[0:1], exec
	s_and_b64 s[54:55], s[2:3], exec
	s_andn2_b64 s[0:1], s[44:45], exec
	s_and_b64 s[2:3], s[34:35], exec
	s_or_b64 s[44:45], s[0:1], s[2:3]
.LBB56_2133:
	s_or_b64 exec, exec, s[46:47]
	s_and_saveexec_b64 s[0:1], s[44:45]
	s_cbranch_execz .LBB56_2136
; %bb.2134:
	; divergent unreachable
	s_or_b64 exec, exec, s[0:1]
	s_and_saveexec_b64 s[0:1], s[54:55]
	s_xor_b64 s[2:3], exec, s[0:1]
	s_cbranch_execnz .LBB56_2137
.LBB56_2135:
	s_or_b64 exec, exec, s[2:3]
	s_and_saveexec_b64 s[0:1], s[4:5]
	s_cbranch_execnz .LBB56_2138
	s_branch .LBB56_2175
.LBB56_2136:
	s_or_b64 exec, exec, s[0:1]
	s_and_saveexec_b64 s[0:1], s[54:55]
	s_xor_b64 s[2:3], exec, s[0:1]
	s_cbranch_execz .LBB56_2135
.LBB56_2137:
	s_waitcnt vmcnt(0)
	v_cmp_neq_f64_e32 vcc, 0, v[0:1]
	v_cmp_neq_f64_e64 s[0:1], 0, v[2:3]
	s_or_b64 s[0:1], vcc, s[0:1]
	s_nop 0
	v_cndmask_b32_e64 v6, 0, 1, s[0:1]
	global_store_byte v[4:5], v6, off
	s_or_b64 exec, exec, s[2:3]
	s_and_saveexec_b64 s[0:1], s[4:5]
	s_cbranch_execz .LBB56_2175
.LBB56_2138:
	s_sext_i32_i16 s2, s38
	s_cmp_lt_i32 s2, 5
	s_mov_b64 s[0:1], -1
	s_cbranch_scc1 .LBB56_2159
; %bb.2139:
	s_cmp_lt_i32 s2, 8
	s_cbranch_scc1 .LBB56_2149
; %bb.2140:
	s_cmp_lt_i32 s2, 9
	s_cbranch_scc1 .LBB56_2146
; %bb.2141:
	s_cmp_gt_i32 s2, 9
	s_cbranch_scc0 .LBB56_2143
; %bb.2142:
	s_waitcnt vmcnt(0)
	global_store_dwordx4 v[4:5], v[0:3], off
	s_mov_b64 s[0:1], 0
.LBB56_2143:
	s_andn2_b64 vcc, exec, s[0:1]
	s_cbranch_vccnz .LBB56_2145
; %bb.2144:
	s_waitcnt vmcnt(0)
	v_cvt_f32_f64_e32 v7, v[2:3]
	v_cvt_f32_f64_e32 v6, v[0:1]
	global_store_dwordx2 v[4:5], v[6:7], off
.LBB56_2145:
	s_mov_b64 s[0:1], 0
.LBB56_2146:
	s_andn2_b64 vcc, exec, s[0:1]
	s_cbranch_vccnz .LBB56_2148
; %bb.2147:
	s_movk_i32 s0, 0x1ff
	s_waitcnt vmcnt(0)
	v_and_or_b32 v6, v1, s0, v0
	v_cmp_ne_u32_e32 vcc, 0, v6
	v_lshrrev_b32_e32 v7, 8, v1
	s_movk_i32 s1, 0xffe
	v_cndmask_b32_e64 v6, 0, 1, vcc
	v_bfe_u32 v8, v1, 20, 11
	v_and_or_b32 v6, v7, s1, v6
	v_sub_u32_e32 v9, 0x3f1, v8
	v_or_b32_e32 v7, 0x1000, v6
	v_med3_i32 v9, v9, 0, 13
	v_lshrrev_b32_e32 v10, v9, v7
	v_lshlrev_b32_e32 v9, v9, v10
	v_cmp_ne_u32_e32 vcc, v9, v7
	v_add_u32_e32 v8, 0xfffffc10, v8
	v_lshl_or_b32 v9, v8, 12, v6
	v_cndmask_b32_e64 v7, 0, 1, vcc
	v_or_b32_e32 v7, v10, v7
	v_cmp_gt_i32_e32 vcc, 1, v8
	s_movk_i32 s2, 0x40f
	v_and_or_b32 v2, v3, s0, v2
	v_cndmask_b32_e32 v7, v9, v7, vcc
	v_and_b32_e32 v9, 7, v7
	v_cmp_lt_i32_e32 vcc, 5, v9
	v_lshrrev_b32_e32 v7, 2, v7
	v_bfe_u32 v11, v3, 20, 11
	v_cndmask_b32_e64 v10, 0, 1, vcc
	v_cmp_eq_u32_e32 vcc, 3, v9
	v_sub_u32_e32 v12, 0x3f1, v11
	v_med3_i32 v12, v12, 0, 13
	v_cndmask_b32_e64 v9, 0, 1, vcc
	v_or_b32_e32 v9, v9, v10
	v_add_u32_e32 v7, v7, v9
	v_mov_b32_e32 v9, 0x7c00
	v_cmp_gt_i32_e32 vcc, 31, v8
	v_mov_b32_e32 v10, 0x7e00
	v_add_u32_e32 v11, 0xfffffc10, v11
	v_cndmask_b32_e32 v7, v9, v7, vcc
	v_cmp_ne_u32_e32 vcc, 0, v6
	s_mov_b32 s3, 0x8000
	s_mov_b32 s0, 0xffff
	v_cndmask_b32_e32 v6, v9, v10, vcc
	v_cmp_eq_u32_e32 vcc, s2, v8
	v_lshrrev_b32_e32 v8, 8, v3
	v_lshrrev_b32_e32 v3, 16, v3
	v_cndmask_b32_e32 v6, v7, v6, vcc
	v_cmp_ne_u32_e32 vcc, 0, v2
	v_and_b32_sdwa v7, v1, s3 dst_sel:DWORD dst_unused:UNUSED_PAD src0_sel:WORD_1 src1_sel:DWORD
	s_nop 0
	v_cndmask_b32_e64 v2, 0, 1, vcc
	v_and_or_b32 v2, v8, s1, v2
	v_or_b32_e32 v8, 0x1000, v2
	v_lshrrev_b32_e32 v13, v12, v8
	v_lshlrev_b32_e32 v12, v12, v13
	v_cmp_ne_u32_e32 vcc, v12, v8
	v_lshl_or_b32 v12, v11, 12, v2
	s_nop 0
	v_cndmask_b32_e64 v8, 0, 1, vcc
	v_or_b32_e32 v8, v13, v8
	v_cmp_gt_i32_e32 vcc, 1, v11
	s_nop 1
	v_cndmask_b32_e32 v8, v12, v8, vcc
	v_and_b32_e32 v12, 7, v8
	v_cmp_lt_i32_e32 vcc, 5, v12
	v_lshrrev_b32_e32 v8, 2, v8
	s_nop 0
	v_cndmask_b32_e64 v13, 0, 1, vcc
	v_cmp_eq_u32_e32 vcc, 3, v12
	s_nop 1
	v_cndmask_b32_e64 v12, 0, 1, vcc
	v_or_b32_e32 v12, v12, v13
	v_add_u32_e32 v8, v8, v12
	v_cmp_gt_i32_e32 vcc, 31, v11
	s_nop 1
	v_cndmask_b32_e32 v8, v9, v8, vcc
	v_cmp_ne_u32_e32 vcc, 0, v2
	s_nop 1
	v_cndmask_b32_e32 v2, v9, v10, vcc
	v_cmp_eq_u32_e32 vcc, s2, v11
	s_nop 1
	v_cndmask_b32_e32 v2, v8, v2, vcc
	v_and_or_b32 v2, v3, s3, v2
	v_bitop3_b32 v3, v7, s0, v6 bitop3:0xc8
	v_lshl_or_b32 v2, v2, 16, v3
	global_store_dword v[4:5], v2, off
.LBB56_2148:
	s_mov_b64 s[0:1], 0
.LBB56_2149:
	s_andn2_b64 vcc, exec, s[0:1]
	s_cbranch_vccnz .LBB56_2158
; %bb.2150:
	s_sext_i32_i16 s2, s38
	s_cmp_lt_i32 s2, 6
	s_mov_b64 s[0:1], -1
	s_cbranch_scc1 .LBB56_2156
; %bb.2151:
	s_cmp_gt_i32 s2, 6
	s_cbranch_scc0 .LBB56_2153
; %bb.2152:
	s_waitcnt vmcnt(0)
	global_store_dwordx2 v[4:5], v[0:1], off
	s_mov_b64 s[0:1], 0
.LBB56_2153:
	s_andn2_b64 vcc, exec, s[0:1]
	s_cbranch_vccnz .LBB56_2155
; %bb.2154:
	s_waitcnt vmcnt(0)
	v_cvt_f32_f64_e32 v2, v[0:1]
	global_store_dword v[4:5], v2, off
.LBB56_2155:
	s_mov_b64 s[0:1], 0
.LBB56_2156:
	s_andn2_b64 vcc, exec, s[0:1]
	s_cbranch_vccnz .LBB56_2158
; %bb.2157:
	s_movk_i32 s0, 0x1ff
	s_waitcnt vmcnt(0)
	v_and_or_b32 v2, v1, s0, v0
	v_cmp_ne_u32_e32 vcc, 0, v2
	v_lshrrev_b32_e32 v3, 8, v1
	s_movk_i32 s0, 0xffe
	v_cndmask_b32_e64 v2, 0, 1, vcc
	v_bfe_u32 v6, v1, 20, 11
	v_and_or_b32 v2, v3, s0, v2
	v_sub_u32_e32 v7, 0x3f1, v6
	v_or_b32_e32 v3, 0x1000, v2
	v_med3_i32 v7, v7, 0, 13
	v_lshrrev_b32_e32 v8, v7, v3
	v_lshlrev_b32_e32 v7, v7, v8
	v_cmp_ne_u32_e32 vcc, v7, v3
	v_add_u32_e32 v6, 0xfffffc10, v6
	v_lshl_or_b32 v7, v6, 12, v2
	v_cndmask_b32_e64 v3, 0, 1, vcc
	v_or_b32_e32 v3, v8, v3
	v_cmp_gt_i32_e32 vcc, 1, v6
	s_movk_i32 s0, 0x40f
	s_nop 0
	v_cndmask_b32_e32 v3, v7, v3, vcc
	v_and_b32_e32 v7, 7, v3
	v_cmp_lt_i32_e32 vcc, 5, v7
	v_lshrrev_b32_e32 v3, 2, v3
	s_nop 0
	v_cndmask_b32_e64 v8, 0, 1, vcc
	v_cmp_eq_u32_e32 vcc, 3, v7
	s_nop 1
	v_cndmask_b32_e64 v7, 0, 1, vcc
	v_or_b32_e32 v7, v7, v8
	v_add_u32_e32 v3, v3, v7
	v_mov_b32_e32 v7, 0x7c00
	v_cmp_gt_i32_e32 vcc, 31, v6
	v_mov_b32_e32 v8, 0x7e00
	s_nop 0
	v_cndmask_b32_e32 v3, v7, v3, vcc
	v_cmp_ne_u32_e32 vcc, 0, v2
	s_nop 1
	v_cndmask_b32_e32 v2, v7, v8, vcc
	v_cmp_eq_u32_e32 vcc, s0, v6
	s_mov_b32 s0, 0x8000
	s_nop 0
	v_cndmask_b32_e32 v2, v3, v2, vcc
	v_lshrrev_b32_e32 v3, 16, v1
	v_and_or_b32 v2, v3, s0, v2
	global_store_short v[4:5], v2, off
.LBB56_2158:
	s_mov_b64 s[0:1], 0
.LBB56_2159:
	s_andn2_b64 vcc, exec, s[0:1]
	s_cbranch_vccnz .LBB56_2175
; %bb.2160:
	s_sext_i32_i16 s2, s38
	s_cmp_lt_i32 s2, 2
	s_mov_b64 s[0:1], -1
	s_cbranch_scc1 .LBB56_2170
; %bb.2161:
	s_cmp_lt_i32 s2, 3
	s_cbranch_scc1 .LBB56_2167
; %bb.2162:
	s_cmp_gt_i32 s2, 3
	s_cbranch_scc0 .LBB56_2164
; %bb.2163:
	s_waitcnt vmcnt(0)
	v_trunc_f64_e32 v[2:3], v[0:1]
	s_movk_i32 s0, 0xffe0
	v_ldexp_f64 v[6:7], v[2:3], s0
	v_floor_f64_e32 v[6:7], v[6:7]
	v_fmac_f64_e32 v[2:3], 0xc1f00000, v[6:7]
	v_cvt_i32_f64_e32 v9, v[6:7]
	v_cvt_u32_f64_e32 v8, v[2:3]
	global_store_dwordx2 v[4:5], v[8:9], off
	s_mov_b64 s[0:1], 0
.LBB56_2164:
	s_andn2_b64 vcc, exec, s[0:1]
	s_cbranch_vccnz .LBB56_2166
; %bb.2165:
	s_waitcnt vmcnt(0)
	v_cvt_i32_f64_e32 v2, v[0:1]
	global_store_dword v[4:5], v2, off
.LBB56_2166:
	s_mov_b64 s[0:1], 0
.LBB56_2167:
	s_andn2_b64 vcc, exec, s[0:1]
	s_cbranch_vccnz .LBB56_2169
; %bb.2168:
	s_waitcnt vmcnt(0)
	v_cvt_i32_f64_e32 v2, v[0:1]
	global_store_short v[4:5], v2, off
.LBB56_2169:
	s_mov_b64 s[0:1], 0
.LBB56_2170:
	s_andn2_b64 vcc, exec, s[0:1]
	s_cbranch_vccnz .LBB56_2175
; %bb.2171:
	s_sext_i32_i16 s0, s38
	s_cmp_gt_i32 s0, 0
	s_mov_b64 s[0:1], -1
	s_cbranch_scc0 .LBB56_2173
; %bb.2172:
	s_waitcnt vmcnt(0)
	v_cvt_i32_f64_e32 v2, v[0:1]
	global_store_byte v[4:5], v2, off
	s_mov_b64 s[0:1], 0
.LBB56_2173:
	s_andn2_b64 vcc, exec, s[0:1]
	s_cbranch_vccnz .LBB56_2175
; %bb.2174:
	s_waitcnt vmcnt(0)
	v_trunc_f64_e32 v[0:1], v[0:1]
	s_movk_i32 s0, 0xffe0
	v_ldexp_f64 v[2:3], v[0:1], s0
	v_floor_f64_e32 v[2:3], v[2:3]
	v_fmac_f64_e32 v[0:1], 0xc1f00000, v[2:3]
	v_cvt_u32_f64_e32 v0, v[0:1]
	global_store_byte v[4:5], v0, off
	s_endpgm
.LBB56_2175:
	s_endpgm
.LBB56_2176:
	s_mov_b64 s[2:3], 0
	s_mov_b64 s[0:1], -1
	s_branch .LBB56_2132
.LBB56_2177:
	s_andn2_saveexec_b64 s[8:9], s[8:9]
	s_cbranch_execz .LBB56_1726
.LBB56_2178:
	s_mov_b32 s11, 0x46000000
	v_add_f32_e64 v7, |v6|, s11
	v_and_b32_e32 v7, 0xff, v7
	v_cmp_ne_u32_e32 vcc, 0, v7
	s_andn2_b64 s[6:7], s[6:7], exec
	s_and_b64 s[12:13], vcc, exec
	s_or_b64 s[6:7], s[6:7], s[12:13]
	s_or_b64 exec, exec, s[8:9]
	v_mov_b32_e32 v8, 0
	s_and_saveexec_b64 s[8:9], s[6:7]
	s_cbranch_execnz .LBB56_1727
	s_branch .LBB56_1728
.LBB56_2179:
	s_trap 2
	s_or_b64 s[34:35], s[34:35], exec
	s_cbranch_execz .LBB56_1774
	s_branch .LBB56_1775
.LBB56_2180:
	s_andn2_saveexec_b64 s[6:7], s[6:7]
	s_cbranch_execz .LBB56_1739
.LBB56_2181:
	s_mov_b32 s8, 0x42800000
	v_add_f32_e64 v7, |v6|, s8
	v_and_b32_e32 v7, 0xff, v7
	v_cmp_ne_u32_e32 vcc, 0, v7
	s_andn2_b64 s[4:5], s[4:5], exec
	s_and_b64 s[8:9], vcc, exec
	s_or_b64 s[4:5], s[4:5], s[8:9]
	s_or_b64 exec, exec, s[6:7]
	v_mov_b32_e32 v8, 0
	s_and_saveexec_b64 s[6:7], s[4:5]
	s_cbranch_execnz .LBB56_1740
	s_branch .LBB56_1741
.LBB56_2182:
	s_andn2_saveexec_b64 s[8:9], s[8:9]
	s_cbranch_execz .LBB56_1845
.LBB56_2183:
	s_mov_b32 s11, 0x46000000
	v_add_f32_e64 v7, |v6|, s11
	v_and_b32_e32 v7, 0xff, v7
	v_cmp_ne_u32_e32 vcc, 0, v7
	s_andn2_b64 s[6:7], s[6:7], exec
	s_and_b64 s[12:13], vcc, exec
	s_or_b64 s[6:7], s[6:7], s[12:13]
	s_or_b64 exec, exec, s[8:9]
	v_mov_b32_e32 v8, 0
	s_and_saveexec_b64 s[8:9], s[6:7]
	s_cbranch_execnz .LBB56_1846
	s_branch .LBB56_1847
.LBB56_2184:
	s_trap 2
	s_or_b64 s[34:35], s[34:35], exec
	s_cbranch_execz .LBB56_1893
	s_branch .LBB56_1894
.LBB56_2185:
	s_andn2_saveexec_b64 s[6:7], s[6:7]
	s_cbranch_execz .LBB56_1858
.LBB56_2186:
	s_mov_b32 s8, 0x42800000
	v_add_f32_e64 v7, |v6|, s8
	v_and_b32_e32 v7, 0xff, v7
	v_cmp_ne_u32_e32 vcc, 0, v7
	s_andn2_b64 s[4:5], s[4:5], exec
	s_and_b64 s[8:9], vcc, exec
	s_or_b64 s[4:5], s[4:5], s[8:9]
	s_or_b64 exec, exec, s[6:7]
	v_mov_b32_e32 v8, 0
	s_and_saveexec_b64 s[6:7], s[4:5]
	s_cbranch_execnz .LBB56_1859
	s_branch .LBB56_1860
.LBB56_2187:
	s_andn2_saveexec_b64 s[8:9], s[8:9]
	s_cbranch_execz .LBB56_1964
.LBB56_2188:
	s_mov_b32 s11, 0x46000000
	v_add_f32_e64 v7, |v6|, s11
	v_and_b32_e32 v7, 0xff, v7
	v_cmp_ne_u32_e32 vcc, 0, v7
	s_andn2_b64 s[6:7], s[6:7], exec
	s_and_b64 s[12:13], vcc, exec
	s_or_b64 s[6:7], s[6:7], s[12:13]
	s_or_b64 exec, exec, s[8:9]
	v_mov_b32_e32 v8, 0
	s_and_saveexec_b64 s[8:9], s[6:7]
	s_cbranch_execnz .LBB56_1965
	s_branch .LBB56_1966
.LBB56_2189:
	s_trap 2
	s_or_b64 s[34:35], s[34:35], exec
	s_cbranch_execz .LBB56_2012
	s_branch .LBB56_2013
.LBB56_2190:
	s_andn2_saveexec_b64 s[6:7], s[6:7]
	s_cbranch_execz .LBB56_1977
.LBB56_2191:
	s_mov_b32 s8, 0x42800000
	v_add_f32_e64 v7, |v6|, s8
	v_and_b32_e32 v7, 0xff, v7
	v_cmp_ne_u32_e32 vcc, 0, v7
	s_andn2_b64 s[4:5], s[4:5], exec
	s_and_b64 s[8:9], vcc, exec
	s_or_b64 s[4:5], s[4:5], s[8:9]
	s_or_b64 exec, exec, s[6:7]
	v_mov_b32_e32 v8, 0
	s_and_saveexec_b64 s[6:7], s[4:5]
	s_cbranch_execnz .LBB56_1978
	s_branch .LBB56_1979
.LBB56_2192:
	s_andn2_saveexec_b64 s[8:9], s[8:9]
	s_cbranch_execz .LBB56_2084
.LBB56_2193:
	s_mov_b32 s11, 0x46000000
	v_add_f32_e64 v7, |v6|, s11
	v_and_b32_e32 v7, 0xff, v7
	v_cmp_ne_u32_e32 vcc, 0, v7
	s_andn2_b64 s[6:7], s[6:7], exec
	s_and_b64 s[12:13], vcc, exec
	s_or_b64 s[6:7], s[6:7], s[12:13]
	s_or_b64 exec, exec, s[8:9]
	v_mov_b32_e32 v8, 0
	s_and_saveexec_b64 s[8:9], s[6:7]
	s_cbranch_execnz .LBB56_2085
	s_branch .LBB56_2086
.LBB56_2194:
	s_mov_b64 s[2:3], 0
	s_or_b64 s[34:35], s[34:35], exec
	s_trap 2
	s_branch .LBB56_2130
.LBB56_2195:
	s_andn2_saveexec_b64 s[6:7], s[6:7]
	s_cbranch_execz .LBB56_2096
.LBB56_2196:
	s_mov_b32 s8, 0x42800000
	v_add_f32_e64 v7, |v6|, s8
	v_and_b32_e32 v7, 0xff, v7
	v_cmp_ne_u32_e32 vcc, 0, v7
	s_andn2_b64 s[4:5], s[4:5], exec
	s_and_b64 s[8:9], vcc, exec
	s_or_b64 s[4:5], s[4:5], s[8:9]
	s_or_b64 exec, exec, s[6:7]
	v_mov_b32_e32 v8, 0
	s_and_saveexec_b64 s[6:7], s[4:5]
	s_cbranch_execnz .LBB56_2097
	s_branch .LBB56_2098
	.section	.rodata,"a",@progbits
	.p2align	6, 0x0
	.amdhsa_kernel _ZN2at6native32elementwise_kernel_manual_unrollILi128ELi4EZNS0_15gpu_kernel_implIZZZNS0_15exp_kernel_cudaERNS_18TensorIteratorBaseEENKUlvE_clEvENKUlvE_clEvEUlN3c107complexIdEEE_EEvS4_RKT_EUlibE0_EEviT1_
		.amdhsa_group_segment_fixed_size 0
		.amdhsa_private_segment_fixed_size 0
		.amdhsa_kernarg_size 360
		.amdhsa_user_sgpr_count 2
		.amdhsa_user_sgpr_dispatch_ptr 0
		.amdhsa_user_sgpr_queue_ptr 0
		.amdhsa_user_sgpr_kernarg_segment_ptr 1
		.amdhsa_user_sgpr_dispatch_id 0
		.amdhsa_user_sgpr_kernarg_preload_length 0
		.amdhsa_user_sgpr_kernarg_preload_offset 0
		.amdhsa_user_sgpr_private_segment_size 0
		.amdhsa_uses_dynamic_stack 0
		.amdhsa_enable_private_segment 0
		.amdhsa_system_sgpr_workgroup_id_x 1
		.amdhsa_system_sgpr_workgroup_id_y 0
		.amdhsa_system_sgpr_workgroup_id_z 0
		.amdhsa_system_sgpr_workgroup_info 0
		.amdhsa_system_vgpr_workitem_id 0
		.amdhsa_next_free_vgpr 54
		.amdhsa_next_free_sgpr 88
		.amdhsa_accum_offset 56
		.amdhsa_reserve_vcc 1
		.amdhsa_float_round_mode_32 0
		.amdhsa_float_round_mode_16_64 0
		.amdhsa_float_denorm_mode_32 3
		.amdhsa_float_denorm_mode_16_64 3
		.amdhsa_dx10_clamp 1
		.amdhsa_ieee_mode 1
		.amdhsa_fp16_overflow 0
		.amdhsa_tg_split 0
		.amdhsa_exception_fp_ieee_invalid_op 0
		.amdhsa_exception_fp_denorm_src 0
		.amdhsa_exception_fp_ieee_div_zero 0
		.amdhsa_exception_fp_ieee_overflow 0
		.amdhsa_exception_fp_ieee_underflow 0
		.amdhsa_exception_fp_ieee_inexact 0
		.amdhsa_exception_int_div_zero 0
	.end_amdhsa_kernel
	.section	.text._ZN2at6native32elementwise_kernel_manual_unrollILi128ELi4EZNS0_15gpu_kernel_implIZZZNS0_15exp_kernel_cudaERNS_18TensorIteratorBaseEENKUlvE_clEvENKUlvE_clEvEUlN3c107complexIdEEE_EEvS4_RKT_EUlibE0_EEviT1_,"axG",@progbits,_ZN2at6native32elementwise_kernel_manual_unrollILi128ELi4EZNS0_15gpu_kernel_implIZZZNS0_15exp_kernel_cudaERNS_18TensorIteratorBaseEENKUlvE_clEvENKUlvE_clEvEUlN3c107complexIdEEE_EEvS4_RKT_EUlibE0_EEviT1_,comdat
.Lfunc_end56:
	.size	_ZN2at6native32elementwise_kernel_manual_unrollILi128ELi4EZNS0_15gpu_kernel_implIZZZNS0_15exp_kernel_cudaERNS_18TensorIteratorBaseEENKUlvE_clEvENKUlvE_clEvEUlN3c107complexIdEEE_EEvS4_RKT_EUlibE0_EEviT1_, .Lfunc_end56-_ZN2at6native32elementwise_kernel_manual_unrollILi128ELi4EZNS0_15gpu_kernel_implIZZZNS0_15exp_kernel_cudaERNS_18TensorIteratorBaseEENKUlvE_clEvENKUlvE_clEvEUlN3c107complexIdEEE_EEvS4_RKT_EUlibE0_EEviT1_
                                        ; -- End function
	.set _ZN2at6native32elementwise_kernel_manual_unrollILi128ELi4EZNS0_15gpu_kernel_implIZZZNS0_15exp_kernel_cudaERNS_18TensorIteratorBaseEENKUlvE_clEvENKUlvE_clEvEUlN3c107complexIdEEE_EEvS4_RKT_EUlibE0_EEviT1_.num_vgpr, max(54, .L_ZZZZN2at6native15exp_kernel_cudaERNS_18TensorIteratorBaseEENKUlvE_clEvENKUlvE_clEvENKUlN3c107complexIdEEE_clES7_.num_vgpr)
	.set _ZN2at6native32elementwise_kernel_manual_unrollILi128ELi4EZNS0_15gpu_kernel_implIZZZNS0_15exp_kernel_cudaERNS_18TensorIteratorBaseEENKUlvE_clEvENKUlvE_clEvEUlN3c107complexIdEEE_EEvS4_RKT_EUlibE0_EEviT1_.num_agpr, max(0, .L_ZZZZN2at6native15exp_kernel_cudaERNS_18TensorIteratorBaseEENKUlvE_clEvENKUlvE_clEvENKUlN3c107complexIdEEE_clES7_.num_agpr)
	.set _ZN2at6native32elementwise_kernel_manual_unrollILi128ELi4EZNS0_15gpu_kernel_implIZZZNS0_15exp_kernel_cudaERNS_18TensorIteratorBaseEENKUlvE_clEvENKUlvE_clEvEUlN3c107complexIdEEE_EEvS4_RKT_EUlibE0_EEviT1_.numbered_sgpr, max(88, .L_ZZZZN2at6native15exp_kernel_cudaERNS_18TensorIteratorBaseEENKUlvE_clEvENKUlvE_clEvENKUlN3c107complexIdEEE_clES7_.numbered_sgpr)
	.set _ZN2at6native32elementwise_kernel_manual_unrollILi128ELi4EZNS0_15gpu_kernel_implIZZZNS0_15exp_kernel_cudaERNS_18TensorIteratorBaseEENKUlvE_clEvENKUlvE_clEvEUlN3c107complexIdEEE_EEvS4_RKT_EUlibE0_EEviT1_.num_named_barrier, max(0, .L_ZZZZN2at6native15exp_kernel_cudaERNS_18TensorIteratorBaseEENKUlvE_clEvENKUlvE_clEvENKUlN3c107complexIdEEE_clES7_.num_named_barrier)
	.set _ZN2at6native32elementwise_kernel_manual_unrollILi128ELi4EZNS0_15gpu_kernel_implIZZZNS0_15exp_kernel_cudaERNS_18TensorIteratorBaseEENKUlvE_clEvENKUlvE_clEvEUlN3c107complexIdEEE_EEvS4_RKT_EUlibE0_EEviT1_.private_seg_size, 0+max(.L_ZZZZN2at6native15exp_kernel_cudaERNS_18TensorIteratorBaseEENKUlvE_clEvENKUlvE_clEvENKUlN3c107complexIdEEE_clES7_.private_seg_size)
	.set _ZN2at6native32elementwise_kernel_manual_unrollILi128ELi4EZNS0_15gpu_kernel_implIZZZNS0_15exp_kernel_cudaERNS_18TensorIteratorBaseEENKUlvE_clEvENKUlvE_clEvEUlN3c107complexIdEEE_EEvS4_RKT_EUlibE0_EEviT1_.uses_vcc, or(1, .L_ZZZZN2at6native15exp_kernel_cudaERNS_18TensorIteratorBaseEENKUlvE_clEvENKUlvE_clEvENKUlN3c107complexIdEEE_clES7_.uses_vcc)
	.set _ZN2at6native32elementwise_kernel_manual_unrollILi128ELi4EZNS0_15gpu_kernel_implIZZZNS0_15exp_kernel_cudaERNS_18TensorIteratorBaseEENKUlvE_clEvENKUlvE_clEvEUlN3c107complexIdEEE_EEvS4_RKT_EUlibE0_EEviT1_.uses_flat_scratch, or(0, .L_ZZZZN2at6native15exp_kernel_cudaERNS_18TensorIteratorBaseEENKUlvE_clEvENKUlvE_clEvENKUlN3c107complexIdEEE_clES7_.uses_flat_scratch)
	.set _ZN2at6native32elementwise_kernel_manual_unrollILi128ELi4EZNS0_15gpu_kernel_implIZZZNS0_15exp_kernel_cudaERNS_18TensorIteratorBaseEENKUlvE_clEvENKUlvE_clEvEUlN3c107complexIdEEE_EEvS4_RKT_EUlibE0_EEviT1_.has_dyn_sized_stack, or(0, .L_ZZZZN2at6native15exp_kernel_cudaERNS_18TensorIteratorBaseEENKUlvE_clEvENKUlvE_clEvENKUlN3c107complexIdEEE_clES7_.has_dyn_sized_stack)
	.set _ZN2at6native32elementwise_kernel_manual_unrollILi128ELi4EZNS0_15gpu_kernel_implIZZZNS0_15exp_kernel_cudaERNS_18TensorIteratorBaseEENKUlvE_clEvENKUlvE_clEvEUlN3c107complexIdEEE_EEvS4_RKT_EUlibE0_EEviT1_.has_recursion, or(0, .L_ZZZZN2at6native15exp_kernel_cudaERNS_18TensorIteratorBaseEENKUlvE_clEvENKUlvE_clEvENKUlN3c107complexIdEEE_clES7_.has_recursion)
	.set _ZN2at6native32elementwise_kernel_manual_unrollILi128ELi4EZNS0_15gpu_kernel_implIZZZNS0_15exp_kernel_cudaERNS_18TensorIteratorBaseEENKUlvE_clEvENKUlvE_clEvEUlN3c107complexIdEEE_EEvS4_RKT_EUlibE0_EEviT1_.has_indirect_call, or(0, .L_ZZZZN2at6native15exp_kernel_cudaERNS_18TensorIteratorBaseEENKUlvE_clEvENKUlvE_clEvENKUlN3c107complexIdEEE_clES7_.has_indirect_call)
	.section	.AMDGPU.csdata,"",@progbits
; Kernel info:
; codeLenInByte = 44036
; TotalNumSgprs: 94
; NumVgprs: 54
; NumAgprs: 0
; TotalNumVgprs: 54
; ScratchSize: 0
; MemoryBound: 1
; FloatMode: 240
; IeeeMode: 1
; LDSByteSize: 0 bytes/workgroup (compile time only)
; SGPRBlocks: 11
; VGPRBlocks: 6
; NumSGPRsForWavesPerEU: 94
; NumVGPRsForWavesPerEU: 54
; AccumOffset: 56
; Occupancy: 8
; WaveLimiterHint : 1
; COMPUTE_PGM_RSRC2:SCRATCH_EN: 0
; COMPUTE_PGM_RSRC2:USER_SGPR: 2
; COMPUTE_PGM_RSRC2:TRAP_HANDLER: 0
; COMPUTE_PGM_RSRC2:TGID_X_EN: 1
; COMPUTE_PGM_RSRC2:TGID_Y_EN: 0
; COMPUTE_PGM_RSRC2:TGID_Z_EN: 0
; COMPUTE_PGM_RSRC2:TIDIG_COMP_CNT: 0
; COMPUTE_PGM_RSRC3_GFX90A:ACCUM_OFFSET: 13
; COMPUTE_PGM_RSRC3_GFX90A:TG_SPLIT: 0
	.text
	.p2align	2                               ; -- Begin function _ZN16c10_complex_math3expIfEEN3c107complexIT_EERKS4_
	.type	_ZN16c10_complex_math3expIfEEN3c107complexIT_EERKS4_,@function
_ZN16c10_complex_math3expIfEEN3c107complexIT_EERKS4_: ; @_ZN16c10_complex_math3expIfEEN3c107complexIT_EERKS4_
; %bb.0:
	s_waitcnt vmcnt(0) expcnt(0) lgkmcnt(0)
	v_and_b32_e32 v3, 0x7fffffff, v1
	v_cmp_ne_u32_e32 vcc, 0, v3
                                        ; implicit-def: $vgpr2
	s_and_saveexec_b64 s[0:1], vcc
	s_xor_b64 s[6:7], exec, s[0:1]
	s_cbranch_execz .LBB57_6
; %bb.1:
	v_and_b32_e32 v4, 0x7fffffff, v0
	v_cmp_ne_u32_e32 vcc, 0, v4
                                        ; implicit-def: $vgpr2
	s_and_saveexec_b64 s[0:1], vcc
	s_xor_b64 s[8:9], exec, s[0:1]
	s_cbranch_execz .LBB57_33
; %bb.2:
	s_mov_b32 s0, 0x7f800000
	v_cmp_gt_u32_e32 vcc, s0, v3
                                        ; implicit-def: $vgpr2
	s_and_saveexec_b64 s[0:1], vcc
	s_xor_b64 s[10:11], exec, s[0:1]
	s_cbranch_execz .LBB57_26
; %bb.3:
	v_add_u32_e32 v2, 0xbd4e8de8, v0
	s_mov_b32 s0, 0x8e8e5c
	v_cmp_lt_u32_e32 vcc, s0, v2
                                        ; implicit-def: $vgpr2
	s_and_saveexec_b64 s[0:1], vcc
	s_xor_b64 s[12:13], exec, s[0:1]
	s_cbranch_execz .LBB57_15
; %bb.4:
	s_brev_b32 s0, 18
	v_cmp_nlt_f32_e64 s[14:15], |v1|, s0
                                        ; implicit-def: $vgpr2
                                        ; implicit-def: $vgpr4
	s_and_saveexec_b64 s[0:1], s[14:15]
	s_xor_b64 s[16:17], exec, s[0:1]
	s_cbranch_execz .LBB57_8
; %bb.5:
	v_lshrrev_b32_e32 v2, 23, v3
	v_add_u32_e32 v2, 0xffffff88, v2
	v_not_b32_e32 v4, 63
	v_cmp_lt_u32_e32 vcc, 63, v2
	s_mov_b32 s4, 0xfe5163ab
	v_mov_b32_e32 v7, 0
	v_cndmask_b32_e32 v4, 0, v4, vcc
	v_add_u32_e32 v2, v4, v2
	v_not_b32_e32 v4, 31
	v_cmp_lt_u32_e64 s[0:1], 31, v2
	s_nop 1
	v_cndmask_b32_e64 v5, 0, v4, s[0:1]
	v_add_u32_e32 v2, v5, v2
	v_cmp_lt_u32_e64 s[2:3], 31, v2
	s_nop 1
	v_cndmask_b32_e64 v4, 0, v4, s[2:3]
	v_add_u32_e32 v2, v4, v2
	v_and_b32_e32 v4, 0x7fffff, v3
	v_or_b32_e32 v18, 0x800000, v4
	v_mad_u64_u32 v[4:5], s[4:5], v18, s4, 0
	v_mov_b32_e32 v6, v5
	s_mov_b32 s4, 0x3c439041
	v_mad_u64_u32 v[8:9], s[4:5], v18, s4, v[6:7]
	v_mov_b32_e32 v6, v9
	s_mov_b32 s4, 0xdb629599
	;; [unrolled: 3-line block ×6, first 2 shown]
	v_mad_u64_u32 v[6:7], s[4:5], v18, s4, v[6:7]
	v_cndmask_b32_e32 v5, v16, v12, vcc
	v_cndmask_b32_e32 v6, v6, v14, vcc
	;; [unrolled: 1-line block ×3, first 2 shown]
	v_cndmask_b32_e64 v9, v6, v5, s[0:1]
	v_cndmask_b32_e64 v6, v7, v6, s[0:1]
	v_cndmask_b32_e32 v7, v14, v10, vcc
	v_cndmask_b32_e64 v5, v5, v7, s[0:1]
	v_cndmask_b32_e64 v6, v6, v9, s[2:3]
	;; [unrolled: 1-line block ×3, first 2 shown]
	v_sub_u32_e32 v11, 32, v2
	v_alignbit_b32 v13, v6, v9, v11
	v_cmp_eq_u32_e64 s[4:5], 0, v2
	v_cndmask_b32_e32 v4, v10, v4, vcc
	s_nop 0
	v_cndmask_b32_e64 v2, v13, v6, s[4:5]
	v_cndmask_b32_e32 v6, v12, v8, vcc
	v_cndmask_b32_e64 v7, v7, v6, s[0:1]
	v_cndmask_b32_e64 v5, v5, v7, s[2:3]
	v_alignbit_b32 v8, v9, v5, v11
	v_cndmask_b32_e64 v8, v8, v9, s[4:5]
	v_bfe_u32 v13, v2, 29, 1
	v_cndmask_b32_e64 v4, v6, v4, s[0:1]
	v_alignbit_b32 v9, v2, v8, 30
	v_sub_u32_e32 v14, 0, v13
	v_cndmask_b32_e64 v4, v7, v4, s[2:3]
	v_xor_b32_e32 v9, v9, v14
	v_alignbit_b32 v6, v5, v4, v11
	v_cndmask_b32_e64 v5, v6, v5, s[4:5]
	v_ffbh_u32_e32 v7, v9
	v_alignbit_b32 v6, v8, v5, 30
	v_min_u32_e32 v7, 32, v7
	v_alignbit_b32 v4, v5, v4, 30
	v_xor_b32_e32 v6, v6, v14
	v_sub_u32_e32 v8, 31, v7
	v_xor_b32_e32 v4, v4, v14
	v_alignbit_b32 v9, v9, v6, v8
	v_alignbit_b32 v4, v6, v4, v8
	;; [unrolled: 1-line block ×3, first 2 shown]
	v_ffbh_u32_e32 v6, v5
	v_min_u32_e32 v6, 32, v6
	v_lshrrev_b32_e32 v12, 29, v2
	v_not_b32_e32 v8, v6
	v_alignbit_b32 v4, v5, v4, v8
	v_lshlrev_b32_e32 v5, 31, v12
	v_or_b32_e32 v8, 0x33000000, v5
	v_add_lshl_u32 v6, v6, v7, 23
	v_lshrrev_b32_e32 v4, 9, v4
	v_sub_u32_e32 v6, v8, v6
	v_or_b32_e32 v5, 0.5, v5
	v_lshlrev_b32_e32 v7, 23, v7
	v_or_b32_e32 v4, v6, v4
	v_lshrrev_b32_e32 v6, 9, v9
	v_sub_u32_e32 v5, v5, v7
	v_or_b32_e32 v5, v6, v5
	s_mov_b32 s0, 0x3fc90fda
	v_mul_f32_e32 v6, 0x3fc90fda, v5
	v_fma_f32 v7, v5, s0, -v6
	v_fmamk_f32 v5, v5, 0x33a22168, v7
	v_fmac_f32_e32 v5, 0x3fc90fda, v4
	v_lshrrev_b32_e32 v2, 30, v2
	v_add_f32_e32 v4, v6, v5
	v_add_u32_e32 v2, v13, v2
	s_andn2_saveexec_b64 s[0:1], s[16:17]
	s_cbranch_execz .LBB57_10
	s_branch .LBB57_9
.LBB57_6:
	s_andn2_saveexec_b64 s[0:1], s[6:7]
	s_cbranch_execz .LBB57_44
.LBB57_7:
	v_mul_f32_e32 v2, 0x3fb8aa3b, v0
	s_mov_b32 s2, 0x3fb8aa3b
	v_rndne_f32_e32 v3, v2
	v_sub_f32_e32 v4, v2, v3
	v_fma_f32 v2, v0, s2, -v2
	v_fmamk_f32 v2, v0, 0x32a5705f, v2
	v_add_f32_e32 v2, v4, v2
	v_exp_f32_e32 v2, v2
	v_cvt_i32_f32_e32 v3, v3
	s_mov_b32 s2, 0xc2ce8ed0
	v_cmp_ngt_f32_e32 vcc, s2, v0
	s_mov_b32 s2, 0x42b17218
	v_ldexp_f32 v2, v2, v3
	v_cndmask_b32_e32 v2, 0, v2, vcc
	v_mov_b32_e32 v3, 0x7f800000
	v_cmp_nlt_f32_e32 vcc, s2, v0
	s_nop 1
	v_cndmask_b32_e32 v2, v3, v2, vcc
	s_or_b64 exec, exec, s[0:1]
	v_mov_b32_e32 v0, v2
	s_setpc_b64 s[30:31]
.LBB57_8:
	s_andn2_saveexec_b64 s[0:1], s[16:17]
	s_cbranch_execz .LBB57_10
.LBB57_9:
	s_mov_b32 s2, 0x3f22f983
	v_mul_f32_e64 v2, |v1|, s2
	v_rndne_f32_e32 v4, v2
	s_mov_b32 s2, 0xbfc90fda
	v_cvt_i32_f32_e32 v2, v4
	v_fma_f32 v5, v4, s2, |v1|
	v_fmamk_f32 v5, v4, 0xb3a22168, v5
	v_fmamk_f32 v4, v4, 0xa7c234c4, v5
.LBB57_10:
	s_or_b64 exec, exec, s[0:1]
                                        ; implicit-def: $vgpr5
                                        ; implicit-def: $vgpr6
	s_and_saveexec_b64 s[0:1], s[14:15]
	s_xor_b64 s[14:15], exec, s[0:1]
	s_cbranch_execz .LBB57_12
; %bb.11:
	v_lshrrev_b32_e32 v5, 23, v3
	v_add_u32_e32 v5, 0xffffff88, v5
	v_not_b32_e32 v6, 63
	v_cmp_lt_u32_e32 vcc, 63, v5
	s_mov_b32 s4, 0xfe5163ab
	v_mov_b32_e32 v9, 0
	v_cndmask_b32_e32 v6, 0, v6, vcc
	v_add_u32_e32 v5, v6, v5
	v_not_b32_e32 v6, 31
	v_cmp_lt_u32_e64 s[0:1], 31, v5
	s_nop 1
	v_cndmask_b32_e64 v7, 0, v6, s[0:1]
	v_add_u32_e32 v5, v7, v5
	v_cmp_lt_u32_e64 s[2:3], 31, v5
	s_nop 1
	v_cndmask_b32_e64 v6, 0, v6, s[2:3]
	v_add_u32_e32 v5, v6, v5
	v_and_b32_e32 v6, 0x7fffff, v3
	v_or_b32_e32 v20, 0x800000, v6
	v_mad_u64_u32 v[6:7], s[4:5], v20, s4, 0
	v_mov_b32_e32 v8, v7
	s_mov_b32 s4, 0x3c439041
	v_mad_u64_u32 v[10:11], s[4:5], v20, s4, v[8:9]
	v_mov_b32_e32 v8, v11
	s_mov_b32 s4, 0xdb629599
	;; [unrolled: 3-line block ×6, first 2 shown]
	v_mad_u64_u32 v[8:9], s[4:5], v20, s4, v[8:9]
	v_cndmask_b32_e32 v7, v18, v14, vcc
	v_cndmask_b32_e32 v8, v8, v16, vcc
	v_cndmask_b32_e32 v9, v9, v18, vcc
	v_cndmask_b32_e64 v11, v8, v7, s[0:1]
	v_cndmask_b32_e64 v8, v9, v8, s[0:1]
	v_cndmask_b32_e32 v9, v16, v12, vcc
	v_cndmask_b32_e64 v7, v7, v9, s[0:1]
	v_cndmask_b32_e64 v8, v8, v11, s[2:3]
	v_cndmask_b32_e64 v11, v11, v7, s[2:3]
	v_sub_u32_e32 v13, 32, v5
	v_alignbit_b32 v15, v8, v11, v13
	v_cmp_eq_u32_e64 s[4:5], 0, v5
	v_cndmask_b32_e32 v6, v12, v6, vcc
	s_nop 0
	v_cndmask_b32_e64 v5, v15, v8, s[4:5]
	v_cndmask_b32_e32 v8, v14, v10, vcc
	v_cndmask_b32_e64 v9, v9, v8, s[0:1]
	v_cndmask_b32_e64 v7, v7, v9, s[2:3]
	v_alignbit_b32 v10, v11, v7, v13
	v_cndmask_b32_e64 v10, v10, v11, s[4:5]
	v_bfe_u32 v15, v5, 29, 1
	v_cndmask_b32_e64 v6, v8, v6, s[0:1]
	v_alignbit_b32 v11, v5, v10, 30
	v_sub_u32_e32 v16, 0, v15
	v_cndmask_b32_e64 v6, v9, v6, s[2:3]
	v_xor_b32_e32 v11, v11, v16
	v_alignbit_b32 v8, v7, v6, v13
	v_cndmask_b32_e64 v7, v8, v7, s[4:5]
	v_ffbh_u32_e32 v9, v11
	v_alignbit_b32 v8, v10, v7, 30
	v_min_u32_e32 v9, 32, v9
	v_alignbit_b32 v6, v7, v6, 30
	v_xor_b32_e32 v8, v8, v16
	v_sub_u32_e32 v10, 31, v9
	v_xor_b32_e32 v6, v6, v16
	v_alignbit_b32 v11, v11, v8, v10
	v_alignbit_b32 v6, v8, v6, v10
	;; [unrolled: 1-line block ×3, first 2 shown]
	v_ffbh_u32_e32 v8, v7
	v_min_u32_e32 v8, 32, v8
	v_lshrrev_b32_e32 v14, 29, v5
	v_not_b32_e32 v10, v8
	v_alignbit_b32 v6, v7, v6, v10
	v_lshlrev_b32_e32 v7, 31, v14
	v_or_b32_e32 v10, 0x33000000, v7
	v_add_lshl_u32 v8, v8, v9, 23
	v_lshrrev_b32_e32 v6, 9, v6
	v_sub_u32_e32 v8, v10, v8
	v_or_b32_e32 v7, 0.5, v7
	v_lshlrev_b32_e32 v9, 23, v9
	v_or_b32_e32 v6, v8, v6
	v_lshrrev_b32_e32 v8, 9, v11
	v_sub_u32_e32 v7, v7, v9
	v_or_b32_e32 v7, v8, v7
	s_mov_b32 s0, 0x3fc90fda
	v_mul_f32_e32 v8, 0x3fc90fda, v7
	v_fma_f32 v9, v7, s0, -v8
	v_fmamk_f32 v7, v7, 0x33a22168, v9
	v_fmac_f32_e32 v7, 0x3fc90fda, v6
	v_lshrrev_b32_e32 v5, 30, v5
	v_add_f32_e32 v6, v8, v7
	v_add_u32_e32 v5, v15, v5
	s_andn2_saveexec_b64 s[0:1], s[14:15]
	s_cbranch_execnz .LBB57_13
	s_branch .LBB57_14
.LBB57_12:
	s_andn2_saveexec_b64 s[0:1], s[14:15]
	s_cbranch_execz .LBB57_14
.LBB57_13:
	s_mov_b32 s2, 0x3f22f983
	v_mul_f32_e64 v5, |v1|, s2
	v_rndne_f32_e32 v6, v5
	s_mov_b32 s2, 0xbfc90fda
	v_cvt_i32_f32_e32 v5, v6
	v_fma_f32 v7, v6, s2, |v1|
	v_fmamk_f32 v7, v6, 0xb3a22168, v7
	v_fmamk_f32 v6, v6, 0xa7c234c4, v7
.LBB57_14:
	s_or_b64 exec, exec, s[0:1]
	v_mul_f32_e32 v7, 0x3fb8aa3b, v0
	s_mov_b32 s0, 0x3fb8aa3b
	v_rndne_f32_e32 v8, v7
	v_sub_f32_e32 v9, v7, v8
	v_fma_f32 v7, v0, s0, -v7
	v_fmamk_f32 v7, v0, 0x32a5705f, v7
	v_add_f32_e32 v7, v9, v7
	v_exp_f32_e32 v7, v7
	v_cvt_i32_f32_e32 v8, v8
	s_mov_b32 s0, 0xc2ce8ed0
	v_cmp_ngt_f32_e32 vcc, s0, v0
	s_mov_b32 s0, 0x42b17218
	v_ldexp_f32 v7, v7, v8
	v_cndmask_b32_e32 v7, 0, v7, vcc
	v_mov_b32_e32 v8, 0x7f800000
	v_cmp_nlt_f32_e32 vcc, s0, v0
	v_mov_b32_e32 v10, 0xbe2aaa9d
	v_mov_b32_e32 v12, 0x3d2aabf7
	v_cndmask_b32_e32 v0, v8, v7, vcc
	v_mul_f32_e32 v7, v4, v4
	v_mov_b32_e32 v8, 0x3c0881c4
	v_fmamk_f32 v9, v7, 0xb94c1982, v8
	v_fmaak_f32 v9, v7, v9, 0xbe2aaa9d
	v_mul_f32_e32 v9, v7, v9
	v_fmac_f32_e32 v4, v4, v9
	v_mov_b32_e32 v9, 0xbab64f3b
	v_fmamk_f32 v11, v7, 0x37d75334, v9
	v_fmaak_f32 v11, v7, v11, 0x3d2aabf7
	v_fmaak_f32 v11, v7, v11, 0xbf000004
	v_fma_f32 v7, v7, v11, 1.0
	v_and_b32_e32 v11, 1, v2
	v_cmp_eq_u32_e32 vcc, 0, v11
	v_mov_b32_e32 v13, 0xbf000004
	v_lshlrev_b32_e32 v2, 30, v2
	v_cndmask_b32_e64 v4, -v4, v7, vcc
	v_mul_f32_e32 v7, v6, v6
	v_fmac_f32_e32 v8, 0xb94c1982, v7
	v_fmac_f32_e32 v10, v7, v8
	;; [unrolled: 1-line block ×3, first 2 shown]
	s_brev_b32 s0, 1
	v_mul_f32_e32 v8, v7, v10
	v_fmac_f32_e32 v12, v7, v9
	v_bitop3_b32 v2, v2, v4, s0 bitop3:0x6c
	s_movk_i32 s0, 0x1f8
	v_fmac_f32_e32 v6, v6, v8
	v_fmac_f32_e32 v13, v7, v12
	v_and_b32_e32 v8, 1, v5
	v_cmp_class_f32_e64 vcc, v1, s0
	v_fma_f32 v7, v7, v13, 1.0
	v_cmp_eq_u32_e64 s[0:1], 0, v8
	v_lshlrev_b32_e32 v5, 30, v5
	v_and_b32_e32 v5, 0x80000000, v5
	v_cndmask_b32_e64 v6, v7, v6, s[0:1]
	v_bitop3_b32 v3, v5, v6, v3 bitop3:0x36
	v_mov_b32_e32 v4, 0x7fc00000
	v_xor_b32_e32 v1, v3, v1
	v_cndmask_b32_e32 v2, v4, v2, vcc
	v_cndmask_b32_e32 v1, v4, v1, vcc
	v_mul_f32_e32 v2, v0, v2
	v_mul_f32_e32 v1, v0, v1
                                        ; implicit-def: $vgpr0
                                        ; implicit-def: $vgpr3
.LBB57_15:
	s_andn2_saveexec_b64 s[12:13], s[12:13]
	s_cbranch_execz .LBB57_18
; %bb.16:
	s_brev_b32 s0, 18
	v_cmp_nlt_f32_e64 s[14:15], |v1|, s0
                                        ; implicit-def: $vgpr4
                                        ; implicit-def: $vgpr2
	s_and_saveexec_b64 s[0:1], s[14:15]
	s_xor_b64 s[16:17], exec, s[0:1]
	s_cbranch_execz .LBB57_19
; %bb.17:
	v_lshrrev_b32_e32 v2, 23, v3
	v_add_u32_e32 v2, 0xffffff88, v2
	v_not_b32_e32 v4, 63
	v_cmp_lt_u32_e32 vcc, 63, v2
	s_mov_b32 s4, 0xfe5163ab
	v_mov_b32_e32 v7, 0
	v_cndmask_b32_e32 v4, 0, v4, vcc
	v_add_u32_e32 v2, v4, v2
	v_not_b32_e32 v4, 31
	v_cmp_lt_u32_e64 s[0:1], 31, v2
	s_nop 1
	v_cndmask_b32_e64 v5, 0, v4, s[0:1]
	v_add_u32_e32 v2, v5, v2
	v_cmp_lt_u32_e64 s[2:3], 31, v2
	s_nop 1
	v_cndmask_b32_e64 v4, 0, v4, s[2:3]
	v_add_u32_e32 v2, v4, v2
	v_and_b32_e32 v4, 0x7fffff, v3
	v_or_b32_e32 v18, 0x800000, v4
	v_mad_u64_u32 v[4:5], s[4:5], v18, s4, 0
	v_mov_b32_e32 v6, v5
	s_mov_b32 s4, 0x3c439041
	v_mad_u64_u32 v[8:9], s[4:5], v18, s4, v[6:7]
	v_mov_b32_e32 v6, v9
	s_mov_b32 s4, 0xdb629599
	v_mad_u64_u32 v[10:11], s[4:5], v18, s4, v[6:7]
	v_mov_b32_e32 v6, v11
	s_mov_b32 s4, 0xf534ddc0
	v_mad_u64_u32 v[12:13], s[4:5], v18, s4, v[6:7]
	v_mov_b32_e32 v6, v13
	s_mov_b32 s4, 0xfc2757d1
	v_mad_u64_u32 v[14:15], s[4:5], v18, s4, v[6:7]
	v_mov_b32_e32 v6, v15
	s_mov_b32 s4, 0x4e441529
	v_mad_u64_u32 v[16:17], s[4:5], v18, s4, v[6:7]
	v_mov_b32_e32 v6, v17
	s_mov_b32 s4, 0xa2f9836e
	v_mad_u64_u32 v[6:7], s[4:5], v18, s4, v[6:7]
	v_cndmask_b32_e32 v5, v16, v12, vcc
	v_cndmask_b32_e32 v6, v6, v14, vcc
	;; [unrolled: 1-line block ×3, first 2 shown]
	v_cndmask_b32_e64 v9, v6, v5, s[0:1]
	v_cndmask_b32_e64 v6, v7, v6, s[0:1]
	v_cndmask_b32_e32 v7, v14, v10, vcc
	v_cndmask_b32_e64 v5, v5, v7, s[0:1]
	v_sub_u32_e32 v11, 32, v2
	v_cmp_eq_u32_e64 s[4:5], 0, v2
	v_cndmask_b32_e32 v2, v12, v8, vcc
	v_cndmask_b32_e64 v6, v6, v9, s[2:3]
	v_cndmask_b32_e64 v9, v9, v5, s[2:3]
	;; [unrolled: 1-line block ×3, first 2 shown]
	v_alignbit_b32 v13, v6, v9, v11
	v_cndmask_b32_e64 v5, v5, v7, s[2:3]
	v_cndmask_b32_e64 v6, v13, v6, s[4:5]
	v_alignbit_b32 v8, v9, v5, v11
	v_cndmask_b32_e32 v4, v10, v4, vcc
	v_cndmask_b32_e64 v8, v8, v9, s[4:5]
	v_bfe_u32 v13, v6, 29, 1
	v_cndmask_b32_e64 v2, v2, v4, s[0:1]
	v_alignbit_b32 v9, v6, v8, 30
	v_sub_u32_e32 v14, 0, v13
	v_cndmask_b32_e64 v2, v7, v2, s[2:3]
	v_xor_b32_e32 v9, v9, v14
	v_alignbit_b32 v4, v5, v2, v11
	v_cndmask_b32_e64 v4, v4, v5, s[4:5]
	v_ffbh_u32_e32 v7, v9
	v_alignbit_b32 v5, v8, v4, 30
	v_min_u32_e32 v7, 32, v7
	v_alignbit_b32 v2, v4, v2, 30
	v_xor_b32_e32 v5, v5, v14
	v_sub_u32_e32 v8, 31, v7
	v_xor_b32_e32 v2, v2, v14
	v_alignbit_b32 v9, v9, v5, v8
	v_alignbit_b32 v2, v5, v2, v8
	;; [unrolled: 1-line block ×3, first 2 shown]
	v_ffbh_u32_e32 v5, v4
	v_min_u32_e32 v5, 32, v5
	v_lshrrev_b32_e32 v12, 29, v6
	v_not_b32_e32 v8, v5
	v_alignbit_b32 v2, v4, v2, v8
	v_lshlrev_b32_e32 v4, 31, v12
	v_or_b32_e32 v8, 0x33000000, v4
	v_add_lshl_u32 v5, v5, v7, 23
	v_lshrrev_b32_e32 v2, 9, v2
	v_sub_u32_e32 v5, v8, v5
	v_or_b32_e32 v4, 0.5, v4
	v_lshlrev_b32_e32 v7, 23, v7
	v_or_b32_e32 v2, v5, v2
	v_lshrrev_b32_e32 v5, 9, v9
	v_sub_u32_e32 v4, v4, v7
	v_or_b32_e32 v4, v5, v4
	s_mov_b32 s0, 0x3fc90fda
	v_mul_f32_e32 v5, 0x3fc90fda, v4
	v_fma_f32 v7, v4, s0, -v5
	v_fmamk_f32 v4, v4, 0x33a22168, v7
	v_fmac_f32_e32 v4, 0x3fc90fda, v2
	v_add_f32_e32 v2, v5, v4
	v_lshrrev_b32_e32 v4, 30, v6
	v_add_u32_e32 v4, v13, v4
	s_andn2_saveexec_b64 s[0:1], s[16:17]
	s_cbranch_execz .LBB57_21
	s_branch .LBB57_20
.LBB57_18:
	s_or_b64 exec, exec, s[12:13]
                                        ; implicit-def: $vgpr0
                                        ; implicit-def: $vgpr4
	s_andn2_saveexec_b64 s[0:1], s[10:11]
	s_cbranch_execnz .LBB57_27
	s_branch .LBB57_32
.LBB57_19:
	s_andn2_saveexec_b64 s[0:1], s[16:17]
	s_cbranch_execz .LBB57_21
.LBB57_20:
	s_mov_b32 s2, 0x3f22f983
	v_mul_f32_e64 v2, |v1|, s2
	v_rndne_f32_e32 v2, v2
	s_mov_b32 s2, 0xbfc90fda
	v_cvt_i32_f32_e32 v4, v2
	v_fma_f32 v5, v2, s2, |v1|
	v_fmamk_f32 v5, v2, 0xb3a22168, v5
	v_fmamk_f32 v2, v2, 0xa7c234c4, v5
.LBB57_21:
	s_or_b64 exec, exec, s[0:1]
                                        ; implicit-def: $vgpr5
                                        ; implicit-def: $vgpr6
	s_and_saveexec_b64 s[0:1], s[14:15]
	s_xor_b64 s[14:15], exec, s[0:1]
	s_cbranch_execz .LBB57_23
; %bb.22:
	v_lshrrev_b32_e32 v5, 23, v3
	v_add_u32_e32 v5, 0xffffff88, v5
	v_not_b32_e32 v6, 63
	v_cmp_lt_u32_e32 vcc, 63, v5
	s_mov_b32 s4, 0xfe5163ab
	v_mov_b32_e32 v9, 0
	v_cndmask_b32_e32 v6, 0, v6, vcc
	v_add_u32_e32 v5, v6, v5
	v_not_b32_e32 v6, 31
	v_cmp_lt_u32_e64 s[0:1], 31, v5
	s_nop 1
	v_cndmask_b32_e64 v7, 0, v6, s[0:1]
	v_add_u32_e32 v5, v7, v5
	v_cmp_lt_u32_e64 s[2:3], 31, v5
	s_nop 1
	v_cndmask_b32_e64 v6, 0, v6, s[2:3]
	v_add_u32_e32 v5, v6, v5
	v_and_b32_e32 v6, 0x7fffff, v3
	v_or_b32_e32 v20, 0x800000, v6
	v_mad_u64_u32 v[6:7], s[4:5], v20, s4, 0
	v_mov_b32_e32 v8, v7
	s_mov_b32 s4, 0x3c439041
	v_mad_u64_u32 v[10:11], s[4:5], v20, s4, v[8:9]
	v_mov_b32_e32 v8, v11
	s_mov_b32 s4, 0xdb629599
	;; [unrolled: 3-line block ×6, first 2 shown]
	v_mad_u64_u32 v[8:9], s[4:5], v20, s4, v[8:9]
	v_cndmask_b32_e32 v7, v18, v14, vcc
	v_cndmask_b32_e32 v8, v8, v16, vcc
	;; [unrolled: 1-line block ×3, first 2 shown]
	v_cndmask_b32_e64 v11, v8, v7, s[0:1]
	v_cndmask_b32_e64 v8, v9, v8, s[0:1]
	v_cndmask_b32_e32 v9, v16, v12, vcc
	v_cndmask_b32_e64 v7, v7, v9, s[0:1]
	v_cndmask_b32_e64 v8, v8, v11, s[2:3]
	;; [unrolled: 1-line block ×3, first 2 shown]
	v_sub_u32_e32 v13, 32, v5
	v_alignbit_b32 v15, v8, v11, v13
	v_cmp_eq_u32_e64 s[4:5], 0, v5
	v_cndmask_b32_e32 v6, v12, v6, vcc
	s_nop 0
	v_cndmask_b32_e64 v5, v15, v8, s[4:5]
	v_cndmask_b32_e32 v8, v14, v10, vcc
	v_cndmask_b32_e64 v9, v9, v8, s[0:1]
	v_cndmask_b32_e64 v7, v7, v9, s[2:3]
	v_alignbit_b32 v10, v11, v7, v13
	v_cndmask_b32_e64 v10, v10, v11, s[4:5]
	v_bfe_u32 v15, v5, 29, 1
	v_cndmask_b32_e64 v6, v8, v6, s[0:1]
	v_alignbit_b32 v11, v5, v10, 30
	v_sub_u32_e32 v16, 0, v15
	v_cndmask_b32_e64 v6, v9, v6, s[2:3]
	v_xor_b32_e32 v11, v11, v16
	v_alignbit_b32 v8, v7, v6, v13
	v_cndmask_b32_e64 v7, v8, v7, s[4:5]
	v_ffbh_u32_e32 v9, v11
	v_alignbit_b32 v8, v10, v7, 30
	v_min_u32_e32 v9, 32, v9
	v_alignbit_b32 v6, v7, v6, 30
	v_xor_b32_e32 v8, v8, v16
	v_sub_u32_e32 v10, 31, v9
	v_xor_b32_e32 v6, v6, v16
	v_alignbit_b32 v11, v11, v8, v10
	v_alignbit_b32 v6, v8, v6, v10
	;; [unrolled: 1-line block ×3, first 2 shown]
	v_ffbh_u32_e32 v8, v7
	v_min_u32_e32 v8, 32, v8
	v_lshrrev_b32_e32 v14, 29, v5
	v_not_b32_e32 v10, v8
	v_alignbit_b32 v6, v7, v6, v10
	v_lshlrev_b32_e32 v7, 31, v14
	v_or_b32_e32 v10, 0x33000000, v7
	v_add_lshl_u32 v8, v8, v9, 23
	v_lshrrev_b32_e32 v6, 9, v6
	v_sub_u32_e32 v8, v10, v8
	v_or_b32_e32 v7, 0.5, v7
	v_lshlrev_b32_e32 v9, 23, v9
	v_or_b32_e32 v6, v8, v6
	v_lshrrev_b32_e32 v8, 9, v11
	v_sub_u32_e32 v7, v7, v9
	v_or_b32_e32 v7, v8, v7
	s_mov_b32 s0, 0x3fc90fda
	v_mul_f32_e32 v8, 0x3fc90fda, v7
	v_fma_f32 v9, v7, s0, -v8
	v_fmamk_f32 v7, v7, 0x33a22168, v9
	v_fmac_f32_e32 v7, 0x3fc90fda, v6
	v_lshrrev_b32_e32 v5, 30, v5
	v_add_f32_e32 v6, v8, v7
	v_add_u32_e32 v5, v15, v5
	s_andn2_saveexec_b64 s[0:1], s[14:15]
	s_cbranch_execnz .LBB57_24
	s_branch .LBB57_25
.LBB57_23:
	s_andn2_saveexec_b64 s[0:1], s[14:15]
	s_cbranch_execz .LBB57_25
.LBB57_24:
	s_mov_b32 s2, 0x3f22f983
	v_mul_f32_e64 v5, |v1|, s2
	v_rndne_f32_e32 v6, v5
	s_mov_b32 s2, 0xbfc90fda
	v_cvt_i32_f32_e32 v5, v6
	v_fma_f32 v7, v6, s2, |v1|
	v_fmamk_f32 v7, v6, 0xb3a22168, v7
	v_fmamk_f32 v6, v6, 0xa7c234c4, v7
.LBB57_25:
	s_or_b64 exec, exec, s[0:1]
	v_mul_f32_e32 v8, v2, v2
	v_mov_b32_e32 v9, 0xbab64f3b
	v_fmamk_f32 v10, v8, 0x37d75334, v9
	v_mov_b32_e32 v13, 0x3c0881c4
	v_fmaak_f32 v10, v8, v10, 0x3d2aabf7
	v_fmamk_f32 v14, v8, 0xb94c1982, v13
	v_fmaak_f32 v10, v8, v10, 0xbf000004
	v_fmaak_f32 v14, v8, v14, 0xbe2aaa9d
	v_lshlrev_b32_e32 v7, 30, v4
	v_and_b32_e32 v4, 1, v4
	v_fma_f32 v10, v8, v10, 1.0
	v_mul_f32_e32 v8, v8, v14
	v_fmac_f32_e32 v2, v2, v8
	v_cmp_eq_u32_e32 vcc, 0, v4
	s_brev_b32 s1, 1
	v_add_f32_e32 v0, 0xc322e3bc, v0
	v_cndmask_b32_e64 v2, -v2, v10, vcc
	v_bitop3_b32 v2, v7, v2, s1 bitop3:0x6c
	s_mov_b32 s1, 0x3fb8aa3b
	v_mul_f32_e32 v4, 0x3fb8aa3b, v0
	v_fma_f32 v7, v0, s1, -v4
	v_rndne_f32_e32 v8, v4
	v_fmamk_f32 v7, v0, 0x32a5705f, v7
	v_sub_f32_e32 v4, v4, v8
	v_add_f32_e32 v4, v4, v7
	v_exp_f32_e32 v4, v4
	v_cvt_i32_f32_e32 v7, v8
	s_movk_i32 s0, 0x1f8
	v_cmp_class_f32_e64 vcc, v1, s0
	s_mov_b32 s0, 0xc2ce8ed0
	v_ldexp_f32 v4, v4, v7
	v_cmp_ngt_f32_e64 s[0:1], s0, v0
	v_mov_b32_e32 v7, 0x7f800000
	v_mov_b32_e32 v11, 0x3d2aabf7
	v_cndmask_b32_e64 v4, 0, v4, s[0:1]
	s_mov_b32 s0, 0x42b17218
	v_cmp_nlt_f32_e64 s[0:1], s0, v0
	v_mov_b32_e32 v15, 0xbe2aaa9d
	v_mov_b32_e32 v12, 0xbf000004
	v_cndmask_b32_e64 v0, v7, v4, s[0:1]
	v_and_b32_e32 v4, 0x7fffff, v0
	v_lshrrev_b32_e32 v0, 23, v0
	v_subrev_u32_e32 v0, 19, v0
	v_lshrrev_b16_e32 v7, 15, v0
	v_add_u16_e32 v7, v0, v7
	v_ashrrev_i16_e32 v7, 1, v7
	v_bfe_i32 v7, v7, 0, 16
	v_lshl_add_u32 v10, v7, 23, 1.0
	v_sub_u32_e32 v0, v0, v7
	v_mul_f32_e32 v7, v6, v6
	v_fmac_f32_e32 v13, 0xb94c1982, v7
	v_fmac_f32_e32 v9, 0x37d75334, v7
	;; [unrolled: 1-line block ×4, first 2 shown]
	v_mul_f32_e32 v13, v7, v15
	v_fmac_f32_e32 v12, v7, v11
	v_and_b32_e32 v9, 1, v5
	v_fmac_f32_e32 v6, v6, v13
	v_fma_f32 v7, v7, v12, 1.0
	v_cmp_eq_u32_e64 s[0:1], 0, v9
	v_lshlrev_b32_e32 v5, 30, v5
	v_and_b32_e32 v5, 0x80000000, v5
	v_cndmask_b32_e64 v6, v7, v6, s[0:1]
	v_bitop3_b32 v3, v5, v6, v3 bitop3:0x36
	v_mov_b32_e32 v8, 0x7fc00000
	v_xor_b32_e32 v1, v3, v1
	v_cndmask_b32_e32 v2, v8, v2, vcc
	v_or_b32_e32 v4, 0x7f000000, v4
	v_cndmask_b32_e32 v1, v8, v1, vcc
	v_mul_f32_e32 v2, v2, v4
	v_mul_f32_e32 v1, v1, v4
	v_mul_f32_e32 v2, v2, v10
	v_lshl_add_u32 v0, v0, 23, 1.0
	v_mul_f32_e32 v1, v1, v10
	v_mul_f32_e32 v2, v2, v0
	;; [unrolled: 1-line block ×3, first 2 shown]
	s_or_b64 exec, exec, s[12:13]
                                        ; implicit-def: $vgpr0
                                        ; implicit-def: $vgpr4
.LBB57_26:
	s_andn2_saveexec_b64 s[0:1], s[10:11]
	s_cbranch_execz .LBB57_32
.LBB57_27:
	s_mov_b32 s2, 0x7f800000
	v_cmp_ne_u32_e32 vcc, s2, v4
	v_sub_f32_e32 v1, v1, v1
	s_and_saveexec_b64 s[2:3], vcc
	s_xor_b64 s[2:3], exec, s[2:3]
; %bb.28:
                                        ; implicit-def: $vgpr0
; %bb.29:
	s_or_saveexec_b64 s[2:3], s[2:3]
	v_mov_b32_e32 v2, v1
	s_xor_b64 exec, exec, s[2:3]
; %bb.30:
	v_cmp_lt_i32_e32 vcc, -1, v0
	s_nop 1
	v_cndmask_b32_e32 v2, 0, v0, vcc
	v_cndmask_b32_e32 v1, 0, v1, vcc
; %bb.31:
	s_or_b64 exec, exec, s[2:3]
.LBB57_32:
	s_or_b64 exec, exec, s[0:1]
                                        ; implicit-def: $vgpr3
.LBB57_33:
	s_andn2_saveexec_b64 s[8:9], s[8:9]
	s_cbranch_execz .LBB57_43
; %bb.34:
	s_brev_b32 s0, 18
	v_cmp_nlt_f32_e64 s[10:11], |v1|, s0
	v_lshrrev_b32_e32 v4, 23, v3
                                        ; implicit-def: $vgpr0
                                        ; implicit-def: $vgpr2
	s_and_saveexec_b64 s[0:1], s[10:11]
	s_xor_b64 s[12:13], exec, s[0:1]
	s_cbranch_execz .LBB57_36
; %bb.35:
	v_add_u32_e32 v0, 0xffffff88, v4
	v_not_b32_e32 v2, 63
	v_cmp_lt_u32_e32 vcc, 63, v0
	s_mov_b32 s4, 0xfe5163ab
	v_mov_b32_e32 v9, 0
	v_cndmask_b32_e32 v2, 0, v2, vcc
	v_add_u32_e32 v0, v2, v0
	v_not_b32_e32 v2, 31
	v_cmp_lt_u32_e64 s[0:1], 31, v0
	s_nop 1
	v_cndmask_b32_e64 v5, 0, v2, s[0:1]
	v_add_u32_e32 v0, v5, v0
	v_cmp_lt_u32_e64 s[2:3], 31, v0
	s_nop 1
	v_cndmask_b32_e64 v2, 0, v2, s[2:3]
	v_add_u32_e32 v0, v2, v0
	v_and_b32_e32 v2, 0x7fffff, v3
	v_or_b32_e32 v2, 0x800000, v2
	v_mad_u64_u32 v[6:7], s[4:5], v2, s4, 0
	v_mov_b32_e32 v8, v7
	s_mov_b32 s4, 0x3c439041
	v_mad_u64_u32 v[10:11], s[4:5], v2, s4, v[8:9]
	v_mov_b32_e32 v8, v11
	s_mov_b32 s4, 0xdb629599
	;; [unrolled: 3-line block ×6, first 2 shown]
	v_mad_u64_u32 v[8:9], s[4:5], v2, s4, v[8:9]
	v_cndmask_b32_e32 v5, v18, v14, vcc
	v_cndmask_b32_e32 v2, v8, v16, vcc
	;; [unrolled: 1-line block ×3, first 2 shown]
	v_cndmask_b32_e64 v7, v2, v5, s[0:1]
	v_cndmask_b32_e64 v2, v8, v2, s[0:1]
	v_cndmask_b32_e32 v8, v16, v12, vcc
	v_cndmask_b32_e64 v5, v5, v8, s[0:1]
	v_cndmask_b32_e64 v2, v2, v7, s[2:3]
	;; [unrolled: 1-line block ×3, first 2 shown]
	v_sub_u32_e32 v9, 32, v0
	v_alignbit_b32 v11, v2, v7, v9
	v_cmp_eq_u32_e64 s[4:5], 0, v0
	v_cndmask_b32_e32 v6, v12, v6, vcc
	s_nop 0
	v_cndmask_b32_e64 v0, v11, v2, s[4:5]
	v_cndmask_b32_e32 v2, v14, v10, vcc
	v_cndmask_b32_e64 v8, v8, v2, s[0:1]
	v_cndmask_b32_e64 v5, v5, v8, s[2:3]
	v_alignbit_b32 v10, v7, v5, v9
	v_cndmask_b32_e64 v2, v2, v6, s[0:1]
	v_cndmask_b32_e64 v7, v10, v7, s[4:5]
	v_bfe_u32 v13, v0, 29, 1
	v_cndmask_b32_e64 v2, v8, v2, s[2:3]
	v_alignbit_b32 v10, v0, v7, 30
	v_sub_u32_e32 v14, 0, v13
	v_alignbit_b32 v6, v5, v2, v9
	v_xor_b32_e32 v10, v10, v14
	v_cndmask_b32_e64 v5, v6, v5, s[4:5]
	v_alignbit_b32 v6, v7, v5, 30
	v_ffbh_u32_e32 v7, v10
	v_min_u32_e32 v7, 32, v7
	v_alignbit_b32 v2, v5, v2, 30
	v_xor_b32_e32 v6, v6, v14
	v_sub_u32_e32 v8, 31, v7
	v_xor_b32_e32 v2, v2, v14
	v_alignbit_b32 v9, v10, v6, v8
	v_alignbit_b32 v2, v6, v2, v8
	;; [unrolled: 1-line block ×3, first 2 shown]
	v_ffbh_u32_e32 v6, v5
	v_min_u32_e32 v6, 32, v6
	v_lshrrev_b32_e32 v11, 29, v0
	v_not_b32_e32 v8, v6
	v_alignbit_b32 v2, v5, v2, v8
	v_lshlrev_b32_e32 v5, 31, v11
	v_or_b32_e32 v8, 0x33000000, v5
	v_add_lshl_u32 v6, v6, v7, 23
	v_lshrrev_b32_e32 v2, 9, v2
	v_sub_u32_e32 v6, v8, v6
	v_or_b32_e32 v5, 0.5, v5
	v_lshlrev_b32_e32 v7, 23, v7
	v_or_b32_e32 v2, v6, v2
	v_lshrrev_b32_e32 v6, 9, v9
	v_sub_u32_e32 v5, v5, v7
	v_or_b32_e32 v5, v6, v5
	s_mov_b32 s0, 0x3fc90fda
	v_mul_f32_e32 v6, 0x3fc90fda, v5
	v_fma_f32 v7, v5, s0, -v6
	v_fmamk_f32 v5, v5, 0x33a22168, v7
	v_fmac_f32_e32 v5, 0x3fc90fda, v2
	v_lshrrev_b32_e32 v0, 30, v0
	v_add_f32_e32 v2, v6, v5
	v_add_u32_e32 v0, v13, v0
	s_andn2_saveexec_b64 s[0:1], s[12:13]
	s_cbranch_execz .LBB57_38
	s_branch .LBB57_37
.LBB57_36:
	s_andn2_saveexec_b64 s[0:1], s[12:13]
	s_cbranch_execz .LBB57_38
.LBB57_37:
	s_mov_b32 s2, 0x3f22f983
	v_mul_f32_e64 v0, |v1|, s2
	v_rndne_f32_e32 v2, v0
	s_mov_b32 s2, 0xbfc90fda
	v_cvt_i32_f32_e32 v0, v2
	v_fma_f32 v5, v2, s2, |v1|
	v_fmamk_f32 v5, v2, 0xb3a22168, v5
	v_fmamk_f32 v2, v2, 0xa7c234c4, v5
.LBB57_38:
	s_or_b64 exec, exec, s[0:1]
                                        ; implicit-def: $vgpr5
                                        ; implicit-def: $vgpr6
	s_and_saveexec_b64 s[0:1], s[10:11]
	s_xor_b64 s[10:11], exec, s[0:1]
	s_cbranch_execz .LBB57_40
; %bb.39:
	v_add_u32_e32 v4, 0xffffff88, v4
	v_not_b32_e32 v5, 63
	v_cmp_lt_u32_e32 vcc, 63, v4
	s_mov_b32 s4, 0xfe5163ab
	v_mov_b32_e32 v7, 0
	v_cndmask_b32_e32 v5, 0, v5, vcc
	v_add_u32_e32 v4, v5, v4
	v_not_b32_e32 v5, 31
	v_cmp_lt_u32_e64 s[0:1], 31, v4
	s_nop 1
	v_cndmask_b32_e64 v6, 0, v5, s[0:1]
	v_add_u32_e32 v4, v6, v4
	v_cmp_lt_u32_e64 s[2:3], 31, v4
	s_nop 1
	v_cndmask_b32_e64 v5, 0, v5, s[2:3]
	v_add_u32_e32 v18, v5, v4
	v_and_b32_e32 v4, 0x7fffff, v3
	v_or_b32_e32 v19, 0x800000, v4
	v_mad_u64_u32 v[4:5], s[4:5], v19, s4, 0
	v_mov_b32_e32 v6, v5
	s_mov_b32 s4, 0x3c439041
	v_mad_u64_u32 v[8:9], s[4:5], v19, s4, v[6:7]
	v_mov_b32_e32 v6, v9
	s_mov_b32 s4, 0xdb629599
	;; [unrolled: 3-line block ×6, first 2 shown]
	v_mad_u64_u32 v[6:7], s[4:5], v19, s4, v[6:7]
	v_cndmask_b32_e32 v5, v16, v12, vcc
	v_cndmask_b32_e32 v6, v6, v14, vcc
	;; [unrolled: 1-line block ×3, first 2 shown]
	v_cndmask_b32_e64 v9, v6, v5, s[0:1]
	v_cndmask_b32_e64 v6, v7, v6, s[0:1]
	v_cndmask_b32_e32 v7, v14, v10, vcc
	v_cndmask_b32_e64 v5, v5, v7, s[0:1]
	v_cndmask_b32_e64 v6, v6, v9, s[2:3]
	;; [unrolled: 1-line block ×3, first 2 shown]
	v_sub_u32_e32 v11, 32, v18
	v_alignbit_b32 v13, v6, v9, v11
	v_cmp_eq_u32_e64 s[4:5], 0, v18
	v_cndmask_b32_e32 v4, v10, v4, vcc
	s_nop 0
	v_cndmask_b32_e64 v13, v13, v6, s[4:5]
	v_cndmask_b32_e32 v6, v12, v8, vcc
	v_cndmask_b32_e64 v7, v7, v6, s[0:1]
	v_cndmask_b32_e64 v5, v5, v7, s[2:3]
	v_alignbit_b32 v8, v9, v5, v11
	v_cndmask_b32_e64 v8, v8, v9, s[4:5]
	v_bfe_u32 v14, v13, 29, 1
	v_cndmask_b32_e64 v4, v6, v4, s[0:1]
	v_alignbit_b32 v9, v13, v8, 30
	v_sub_u32_e32 v15, 0, v14
	v_cndmask_b32_e64 v4, v7, v4, s[2:3]
	v_xor_b32_e32 v9, v9, v15
	v_alignbit_b32 v6, v5, v4, v11
	v_cndmask_b32_e64 v5, v6, v5, s[4:5]
	v_ffbh_u32_e32 v7, v9
	v_alignbit_b32 v6, v8, v5, 30
	v_min_u32_e32 v7, 32, v7
	v_alignbit_b32 v4, v5, v4, 30
	v_xor_b32_e32 v6, v6, v15
	v_sub_u32_e32 v8, 31, v7
	v_xor_b32_e32 v4, v4, v15
	v_alignbit_b32 v9, v9, v6, v8
	v_alignbit_b32 v4, v6, v4, v8
	;; [unrolled: 1-line block ×3, first 2 shown]
	v_ffbh_u32_e32 v6, v5
	v_min_u32_e32 v6, 32, v6
	v_lshrrev_b32_e32 v12, 29, v13
	v_not_b32_e32 v8, v6
	v_alignbit_b32 v4, v5, v4, v8
	v_lshlrev_b32_e32 v5, 31, v12
	v_or_b32_e32 v8, 0x33000000, v5
	v_add_lshl_u32 v6, v6, v7, 23
	v_lshrrev_b32_e32 v4, 9, v4
	v_sub_u32_e32 v6, v8, v6
	v_or_b32_e32 v5, 0.5, v5
	v_lshlrev_b32_e32 v7, 23, v7
	v_or_b32_e32 v4, v6, v4
	v_lshrrev_b32_e32 v6, 9, v9
	v_sub_u32_e32 v5, v5, v7
	v_or_b32_e32 v5, v6, v5
	s_mov_b32 s0, 0x3fc90fda
	v_mul_f32_e32 v6, 0x3fc90fda, v5
	v_fma_f32 v7, v5, s0, -v6
	v_fmamk_f32 v5, v5, 0x33a22168, v7
	v_fmac_f32_e32 v5, 0x3fc90fda, v4
	v_lshrrev_b32_e32 v4, 30, v13
	v_add_f32_e32 v6, v6, v5
	v_add_u32_e32 v5, v14, v4
	s_andn2_saveexec_b64 s[0:1], s[10:11]
	s_cbranch_execnz .LBB57_41
	s_branch .LBB57_42
.LBB57_40:
	s_andn2_saveexec_b64 s[0:1], s[10:11]
	s_cbranch_execz .LBB57_42
.LBB57_41:
	s_mov_b32 s2, 0x3f22f983
	v_mul_f32_e64 v4, |v1|, s2
	v_rndne_f32_e32 v4, v4
	s_mov_b32 s2, 0xbfc90fda
	v_cvt_i32_f32_e32 v5, v4
	v_fma_f32 v6, v4, s2, |v1|
	v_fmamk_f32 v6, v4, 0xb3a22168, v6
	v_fmamk_f32 v6, v4, 0xa7c234c4, v6
.LBB57_42:
	s_or_b64 exec, exec, s[0:1]
	v_mul_f32_e32 v4, v2, v2
	v_mov_b32_e32 v7, 0x3c0881c4
	v_fmamk_f32 v8, v4, 0xb94c1982, v7
	v_fmaak_f32 v8, v4, v8, 0xbe2aaa9d
	v_mul_f32_e32 v8, v4, v8
	v_fmac_f32_e32 v2, v2, v8
	v_mov_b32_e32 v8, 0xbab64f3b
	v_fmamk_f32 v10, v4, 0x37d75334, v8
	v_fmaak_f32 v10, v4, v10, 0x3d2aabf7
	v_fmaak_f32 v10, v4, v10, 0xbf000004
	v_fma_f32 v4, v4, v10, 1.0
	v_and_b32_e32 v10, 1, v0
	v_cmp_eq_u32_e32 vcc, 0, v10
	v_lshlrev_b32_e32 v0, 30, v0
	s_brev_b32 s0, 1
	v_cndmask_b32_e64 v2, -v2, v4, vcc
	v_bitop3_b32 v0, v0, v2, s0 bitop3:0x6c
	s_movk_i32 s0, 0x1f8
	v_mov_b32_e32 v4, 0x7fc00000
	v_cmp_class_f32_e64 vcc, v1, s0
	v_mov_b32_e32 v9, 0xbe2aaa9d
	v_mov_b32_e32 v11, 0x3d2aabf7
	v_cndmask_b32_e32 v2, v4, v0, vcc
	v_mul_f32_e32 v0, v6, v6
	v_fmac_f32_e32 v7, 0xb94c1982, v0
	v_fmac_f32_e32 v9, v0, v7
	;; [unrolled: 1-line block ×3, first 2 shown]
	v_mov_b32_e32 v12, 0xbf000004
	v_mul_f32_e32 v7, v0, v9
	v_fmac_f32_e32 v11, v0, v8
	v_fmac_f32_e32 v6, v6, v7
	;; [unrolled: 1-line block ×3, first 2 shown]
	v_and_b32_e32 v7, 1, v5
	v_fma_f32 v0, v0, v12, 1.0
	v_cmp_eq_u32_e64 s[0:1], 0, v7
	v_lshlrev_b32_e32 v5, 30, v5
	v_and_b32_e32 v5, 0x80000000, v5
	v_cndmask_b32_e64 v0, v0, v6, s[0:1]
	v_bitop3_b32 v0, v5, v0, v3 bitop3:0x36
	v_xor_b32_e32 v0, v0, v1
	v_cndmask_b32_e32 v1, v4, v0, vcc
.LBB57_43:
	s_or_b64 exec, exec, s[8:9]
                                        ; implicit-def: $vgpr0
	s_andn2_saveexec_b64 s[0:1], s[6:7]
	s_cbranch_execnz .LBB57_7
.LBB57_44:
	s_or_b64 exec, exec, s[0:1]
	v_mov_b32_e32 v0, v2
	s_setpc_b64 s[30:31]
.Lfunc_end57:
	.size	_ZN16c10_complex_math3expIfEEN3c107complexIT_EERKS4_, .Lfunc_end57-_ZN16c10_complex_math3expIfEEN3c107complexIT_EERKS4_
                                        ; -- End function
	.set .L_ZN16c10_complex_math3expIfEEN3c107complexIT_EERKS4_.num_vgpr, 21
	.set .L_ZN16c10_complex_math3expIfEEN3c107complexIT_EERKS4_.num_agpr, 0
	.set .L_ZN16c10_complex_math3expIfEEN3c107complexIT_EERKS4_.numbered_sgpr, 32
	.set .L_ZN16c10_complex_math3expIfEEN3c107complexIT_EERKS4_.num_named_barrier, 0
	.set .L_ZN16c10_complex_math3expIfEEN3c107complexIT_EERKS4_.private_seg_size, 0
	.set .L_ZN16c10_complex_math3expIfEEN3c107complexIT_EERKS4_.uses_vcc, 1
	.set .L_ZN16c10_complex_math3expIfEEN3c107complexIT_EERKS4_.uses_flat_scratch, 0
	.set .L_ZN16c10_complex_math3expIfEEN3c107complexIT_EERKS4_.has_dyn_sized_stack, 0
	.set .L_ZN16c10_complex_math3expIfEEN3c107complexIT_EERKS4_.has_recursion, 0
	.set .L_ZN16c10_complex_math3expIfEEN3c107complexIT_EERKS4_.has_indirect_call, 0
	.section	.AMDGPU.csdata,"",@progbits
; Function info:
; codeLenInByte = 5664
; TotalNumSgprs: 38
; NumVgprs: 21
; NumAgprs: 0
; TotalNumVgprs: 21
; ScratchSize: 0
; MemoryBound: 0
	.section	.text._ZN2at6native29vectorized_elementwise_kernelILi16EZZZNS0_15exp_kernel_cudaERNS_18TensorIteratorBaseEENKUlvE_clEvENKUlvE0_clEvEUlN3c107complexIfEEE_St5arrayIPcLm2EEEEviT0_T1_,"axG",@progbits,_ZN2at6native29vectorized_elementwise_kernelILi16EZZZNS0_15exp_kernel_cudaERNS_18TensorIteratorBaseEENKUlvE_clEvENKUlvE0_clEvEUlN3c107complexIfEEE_St5arrayIPcLm2EEEEviT0_T1_,comdat
	.globl	_ZN2at6native29vectorized_elementwise_kernelILi16EZZZNS0_15exp_kernel_cudaERNS_18TensorIteratorBaseEENKUlvE_clEvENKUlvE0_clEvEUlN3c107complexIfEEE_St5arrayIPcLm2EEEEviT0_T1_ ; -- Begin function _ZN2at6native29vectorized_elementwise_kernelILi16EZZZNS0_15exp_kernel_cudaERNS_18TensorIteratorBaseEENKUlvE_clEvENKUlvE0_clEvEUlN3c107complexIfEEE_St5arrayIPcLm2EEEEviT0_T1_
	.p2align	8
	.type	_ZN2at6native29vectorized_elementwise_kernelILi16EZZZNS0_15exp_kernel_cudaERNS_18TensorIteratorBaseEENKUlvE_clEvENKUlvE0_clEvEUlN3c107complexIfEEE_St5arrayIPcLm2EEEEviT0_T1_,@function
_ZN2at6native29vectorized_elementwise_kernelILi16EZZZNS0_15exp_kernel_cudaERNS_18TensorIteratorBaseEENKUlvE_clEvENKUlvE0_clEvEUlN3c107complexIfEEE_St5arrayIPcLm2EEEEviT0_T1_: ; @_ZN2at6native29vectorized_elementwise_kernelILi16EZZZNS0_15exp_kernel_cudaERNS_18TensorIteratorBaseEENKUlvE_clEvENKUlvE0_clEvEUlN3c107complexIfEEE_St5arrayIPcLm2EEEEviT0_T1_
; %bb.0:
	s_load_dword s3, s[0:1], 0x0
	s_load_dwordx4 s[20:23], s[0:1], 0x8
	s_lshl_b32 s24, s2, 10
	v_mov_b32_e32 v21, v0
	s_mov_b64 s[0:1], -1
	s_waitcnt lgkmcnt(0)
	s_sub_i32 s26, s3, s24
	s_cmpk_gt_i32 s26, 0x3ff
	s_mov_b32 s32, 0
	s_cbranch_scc0 .LBB58_2
; %bb.1:
	s_ashr_i32 s25, s24, 31
	s_lshl_b64 s[18:19], s[24:25], 3
	s_add_u32 s0, s22, s18
	s_addc_u32 s1, s23, s19
	v_lshlrev_b32_e32 v30, 5, v21
	global_load_dwordx4 v[22:25], v30, s[0:1]
	global_load_dwordx4 v[26:29], v30, s[0:1] offset:16
	s_getpc_b64 s[28:29]
	s_add_u32 s28, s28, _ZN16c10_complex_math3expIfEEN3c107complexIT_EERKS4_@rel32@lo+4
	s_addc_u32 s29, s29, _ZN16c10_complex_math3expIfEEN3c107complexIT_EERKS4_@rel32@hi+12
	s_waitcnt vmcnt(1)
	v_mov_b32_e32 v0, v22
	v_mov_b32_e32 v1, v23
	s_swappc_b64 s[30:31], s[28:29]
	v_mov_b32_e32 v22, v0
	v_mov_b32_e32 v23, v1
	v_mov_b32_e32 v0, v24
	v_mov_b32_e32 v1, v25
	s_swappc_b64 s[30:31], s[28:29]
	v_mov_b32_e32 v24, v0
	v_mov_b32_e32 v25, v1
	;; [unrolled: 5-line block ×3, first 2 shown]
	v_mov_b32_e32 v0, v28
	v_mov_b32_e32 v1, v29
	s_swappc_b64 s[30:31], s[28:29]
	s_add_u32 s0, s20, s18
	s_addc_u32 s1, s21, s19
	v_mov_b32_e32 v28, v0
	v_mov_b32_e32 v29, v1
	global_store_dwordx4 v30, v[22:25], s[0:1]
	global_store_dwordx4 v30, v[26:29], s[0:1] offset:16
	s_mov_b64 s[0:1], 0
.LBB58_2:
	s_andn2_b64 vcc, exec, s[0:1]
	s_cbranch_vccnz .LBB58_23
; %bb.3:
	v_cmp_gt_i32_e64 s[18:19], s26, v21
	v_mov_b32_e32 v22, 0
	v_or_b32_e32 v34, s24, v21
	v_mov_b32_e32 v2, v21
	v_mov_b32_e32 v0, 0
	;; [unrolled: 1-line block ×3, first 2 shown]
	s_and_saveexec_b64 s[0:1], s[18:19]
	s_cbranch_execz .LBB58_5
; %bb.4:
	v_mov_b32_e32 v35, 0
	v_lshl_add_u64 v[0:1], v[34:35], 3, s[22:23]
	global_load_dwordx2 v[0:1], v[0:1], off
	v_or_b32_e32 v2, 0x100, v21
.LBB58_5:
	s_or_b64 exec, exec, s[0:1]
	v_cmp_gt_i32_e32 vcc, s26, v2
	v_mov_b32_e32 v23, 0
	s_and_saveexec_b64 s[0:1], vcc
	s_cbranch_execz .LBB58_7
; %bb.6:
	v_add_u32_e32 v4, s24, v2
	v_mov_b32_e32 v5, 0
	v_lshl_add_u64 v[4:5], v[4:5], 3, s[22:23]
	global_load_dwordx2 v[22:23], v[4:5], off
	v_add_u32_e32 v2, 0x100, v2
.LBB58_7:
	s_or_b64 exec, exec, s[0:1]
	v_cmp_gt_i32_e32 vcc, s26, v2
	v_mov_b32_e32 v24, 0
	v_mov_b32_e32 v30, 0
	;; [unrolled: 1-line block ×3, first 2 shown]
	s_and_saveexec_b64 s[0:1], vcc
	s_cbranch_execz .LBB58_9
; %bb.8:
	v_add_u32_e32 v4, s24, v2
	v_mov_b32_e32 v5, 0
	v_lshl_add_u64 v[4:5], v[4:5], 3, s[22:23]
	global_load_dwordx2 v[30:31], v[4:5], off
	v_add_u32_e32 v2, 0x100, v2
.LBB58_9:
	s_or_b64 exec, exec, s[0:1]
	v_cmp_gt_i32_e32 vcc, s26, v2
	v_mov_b32_e32 v25, 0
	s_and_saveexec_b64 s[0:1], vcc
	s_cbranch_execz .LBB58_11
; %bb.10:
	v_add_u32_e32 v2, s24, v2
	v_mov_b32_e32 v3, 0
	v_lshl_add_u64 v[2:3], v[2:3], 3, s[22:23]
	global_load_dwordx2 v[24:25], v[2:3], off
.LBB58_11:
	s_or_b64 exec, exec, s[0:1]
	v_mov_b32_e32 v26, 0
	v_mov_b32_e32 v28, 0
	;; [unrolled: 1-line block ×3, first 2 shown]
	s_and_saveexec_b64 s[22:23], s[18:19]
	s_cbranch_execz .LBB58_13
; %bb.12:
	s_getpc_b64 s[0:1]
	s_add_u32 s0, s0, _ZN16c10_complex_math3expIfEEN3c107complexIT_EERKS4_@rel32@lo+4
	s_addc_u32 s1, s1, _ZN16c10_complex_math3expIfEEN3c107complexIT_EERKS4_@rel32@hi+12
	s_swappc_b64 s[30:31], s[0:1]
	v_mov_b32_e32 v28, v0
	v_mov_b32_e32 v29, v1
.LBB58_13:
	s_or_b64 exec, exec, s[22:23]
	v_or_b32_e32 v36, 0x100, v21
	v_cmp_gt_i32_e32 vcc, s26, v36
	v_mov_b32_e32 v27, 0
	s_and_saveexec_b64 s[22:23], vcc
	s_cbranch_execz .LBB58_15
; %bb.14:
	s_getpc_b64 s[0:1]
	s_add_u32 s0, s0, _ZN16c10_complex_math3expIfEEN3c107complexIT_EERKS4_@rel32@lo+4
	s_addc_u32 s1, s1, _ZN16c10_complex_math3expIfEEN3c107complexIT_EERKS4_@rel32@hi+12
	s_waitcnt vmcnt(0)
	v_mov_b32_e32 v0, v22
	v_mov_b32_e32 v1, v23
	s_swappc_b64 s[30:31], s[0:1]
	v_mov_b32_e32 v26, v0
	v_mov_b32_e32 v27, v1
.LBB58_15:
	s_or_b64 exec, exec, s[22:23]
	s_waitcnt vmcnt(0)
	v_or_b32_e32 v0, 0x200, v21
	v_cmp_gt_i32_e32 vcc, s26, v0
	v_mov_b32_e32 v22, 0
	v_mov_b32_e32 v32, 0
	;; [unrolled: 1-line block ×3, first 2 shown]
	s_and_saveexec_b64 s[22:23], vcc
	s_cbranch_execz .LBB58_17
; %bb.16:
	s_getpc_b64 s[0:1]
	s_add_u32 s0, s0, _ZN16c10_complex_math3expIfEEN3c107complexIT_EERKS4_@rel32@lo+4
	s_addc_u32 s1, s1, _ZN16c10_complex_math3expIfEEN3c107complexIT_EERKS4_@rel32@hi+12
	v_mov_b32_e32 v0, v30
	v_mov_b32_e32 v1, v31
	s_swappc_b64 s[30:31], s[0:1]
	v_mov_b32_e32 v32, v0
	v_mov_b32_e32 v33, v1
.LBB58_17:
	s_or_b64 exec, exec, s[22:23]
	v_or_b32_e32 v0, 0x300, v21
	v_cmp_gt_i32_e32 vcc, s26, v0
	v_mov_b32_e32 v23, 0
	s_and_saveexec_b64 s[22:23], vcc
	s_cbranch_execnz .LBB58_24
; %bb.18:
	s_or_b64 exec, exec, s[22:23]
	s_and_saveexec_b64 s[0:1], s[18:19]
	s_xor_b64 s[0:1], exec, s[0:1]
	s_cbranch_execnz .LBB58_25
.LBB58_19:
	s_or_b64 exec, exec, s[0:1]
	v_cmp_gt_i32_e32 vcc, s26, v21
	s_and_saveexec_b64 s[0:1], vcc
	s_cbranch_execnz .LBB58_26
.LBB58_20:
	s_or_b64 exec, exec, s[0:1]
	v_cmp_gt_i32_e32 vcc, s26, v21
	s_and_saveexec_b64 s[0:1], vcc
	s_cbranch_execnz .LBB58_27
.LBB58_21:
	s_or_b64 exec, exec, s[0:1]
	v_cmp_gt_i32_e32 vcc, s26, v21
	s_and_saveexec_b64 s[0:1], vcc
	s_cbranch_execz .LBB58_23
.LBB58_22:
	v_add_u32_e32 v0, s24, v21
	v_mov_b32_e32 v1, 0
	v_lshl_add_u64 v[0:1], v[0:1], 3, s[20:21]
	global_store_dwordx2 v[0:1], v[22:23], off
.LBB58_23:
	s_endpgm
.LBB58_24:
	s_getpc_b64 s[0:1]
	s_add_u32 s0, s0, _ZN16c10_complex_math3expIfEEN3c107complexIT_EERKS4_@rel32@lo+4
	s_addc_u32 s1, s1, _ZN16c10_complex_math3expIfEEN3c107complexIT_EERKS4_@rel32@hi+12
	v_mov_b32_e32 v0, v24
	v_mov_b32_e32 v1, v25
	s_swappc_b64 s[30:31], s[0:1]
	v_mov_b32_e32 v22, v0
	v_mov_b32_e32 v23, v1
	s_or_b64 exec, exec, s[22:23]
	s_and_saveexec_b64 s[0:1], s[18:19]
	s_xor_b64 s[0:1], exec, s[0:1]
	s_cbranch_execz .LBB58_19
.LBB58_25:
	v_mov_b32_e32 v35, 0
	v_lshl_add_u64 v[0:1], v[34:35], 3, s[20:21]
	v_mov_b32_e32 v21, v36
	global_store_dwordx2 v[0:1], v[28:29], off
	s_or_b64 exec, exec, s[0:1]
	v_cmp_gt_i32_e32 vcc, s26, v21
	s_and_saveexec_b64 s[0:1], vcc
	s_cbranch_execz .LBB58_20
.LBB58_26:
	v_add_u32_e32 v2, 0x100, v21
	v_add_u32_e32 v0, s24, v21
	v_mov_b32_e32 v1, 0
	v_lshl_add_u64 v[0:1], v[0:1], 3, s[20:21]
	v_mov_b32_e32 v21, v2
	global_store_dwordx2 v[0:1], v[26:27], off
	s_or_b64 exec, exec, s[0:1]
	v_cmp_gt_i32_e32 vcc, s26, v21
	s_and_saveexec_b64 s[0:1], vcc
	s_cbranch_execz .LBB58_21
.LBB58_27:
	v_add_u32_e32 v2, 0x100, v21
	v_add_u32_e32 v0, s24, v21
	v_mov_b32_e32 v1, 0
	v_lshl_add_u64 v[0:1], v[0:1], 3, s[20:21]
	v_mov_b32_e32 v21, v2
	global_store_dwordx2 v[0:1], v[32:33], off
	s_or_b64 exec, exec, s[0:1]
	v_cmp_gt_i32_e32 vcc, s26, v21
	s_and_saveexec_b64 s[0:1], vcc
	s_cbranch_execnz .LBB58_22
	s_branch .LBB58_23
	.section	.rodata,"a",@progbits
	.p2align	6, 0x0
	.amdhsa_kernel _ZN2at6native29vectorized_elementwise_kernelILi16EZZZNS0_15exp_kernel_cudaERNS_18TensorIteratorBaseEENKUlvE_clEvENKUlvE0_clEvEUlN3c107complexIfEEE_St5arrayIPcLm2EEEEviT0_T1_
		.amdhsa_group_segment_fixed_size 0
		.amdhsa_private_segment_fixed_size 0
		.amdhsa_kernarg_size 24
		.amdhsa_user_sgpr_count 2
		.amdhsa_user_sgpr_dispatch_ptr 0
		.amdhsa_user_sgpr_queue_ptr 0
		.amdhsa_user_sgpr_kernarg_segment_ptr 1
		.amdhsa_user_sgpr_dispatch_id 0
		.amdhsa_user_sgpr_kernarg_preload_length 0
		.amdhsa_user_sgpr_kernarg_preload_offset 0
		.amdhsa_user_sgpr_private_segment_size 0
		.amdhsa_uses_dynamic_stack 0
		.amdhsa_enable_private_segment 0
		.amdhsa_system_sgpr_workgroup_id_x 1
		.amdhsa_system_sgpr_workgroup_id_y 0
		.amdhsa_system_sgpr_workgroup_id_z 0
		.amdhsa_system_sgpr_workgroup_info 0
		.amdhsa_system_vgpr_workitem_id 0
		.amdhsa_next_free_vgpr 37
		.amdhsa_next_free_sgpr 33
		.amdhsa_accum_offset 40
		.amdhsa_reserve_vcc 1
		.amdhsa_float_round_mode_32 0
		.amdhsa_float_round_mode_16_64 0
		.amdhsa_float_denorm_mode_32 3
		.amdhsa_float_denorm_mode_16_64 3
		.amdhsa_dx10_clamp 1
		.amdhsa_ieee_mode 1
		.amdhsa_fp16_overflow 0
		.amdhsa_tg_split 0
		.amdhsa_exception_fp_ieee_invalid_op 0
		.amdhsa_exception_fp_denorm_src 0
		.amdhsa_exception_fp_ieee_div_zero 0
		.amdhsa_exception_fp_ieee_overflow 0
		.amdhsa_exception_fp_ieee_underflow 0
		.amdhsa_exception_fp_ieee_inexact 0
		.amdhsa_exception_int_div_zero 0
	.end_amdhsa_kernel
	.section	.text._ZN2at6native29vectorized_elementwise_kernelILi16EZZZNS0_15exp_kernel_cudaERNS_18TensorIteratorBaseEENKUlvE_clEvENKUlvE0_clEvEUlN3c107complexIfEEE_St5arrayIPcLm2EEEEviT0_T1_,"axG",@progbits,_ZN2at6native29vectorized_elementwise_kernelILi16EZZZNS0_15exp_kernel_cudaERNS_18TensorIteratorBaseEENKUlvE_clEvENKUlvE0_clEvEUlN3c107complexIfEEE_St5arrayIPcLm2EEEEviT0_T1_,comdat
.Lfunc_end58:
	.size	_ZN2at6native29vectorized_elementwise_kernelILi16EZZZNS0_15exp_kernel_cudaERNS_18TensorIteratorBaseEENKUlvE_clEvENKUlvE0_clEvEUlN3c107complexIfEEE_St5arrayIPcLm2EEEEviT0_T1_, .Lfunc_end58-_ZN2at6native29vectorized_elementwise_kernelILi16EZZZNS0_15exp_kernel_cudaERNS_18TensorIteratorBaseEENKUlvE_clEvENKUlvE0_clEvEUlN3c107complexIfEEE_St5arrayIPcLm2EEEEviT0_T1_
                                        ; -- End function
	.set _ZN2at6native29vectorized_elementwise_kernelILi16EZZZNS0_15exp_kernel_cudaERNS_18TensorIteratorBaseEENKUlvE_clEvENKUlvE0_clEvEUlN3c107complexIfEEE_St5arrayIPcLm2EEEEviT0_T1_.num_vgpr, max(37, .L_ZN16c10_complex_math3expIfEEN3c107complexIT_EERKS4_.num_vgpr)
	.set _ZN2at6native29vectorized_elementwise_kernelILi16EZZZNS0_15exp_kernel_cudaERNS_18TensorIteratorBaseEENKUlvE_clEvENKUlvE0_clEvEUlN3c107complexIfEEE_St5arrayIPcLm2EEEEviT0_T1_.num_agpr, max(0, .L_ZN16c10_complex_math3expIfEEN3c107complexIT_EERKS4_.num_agpr)
	.set _ZN2at6native29vectorized_elementwise_kernelILi16EZZZNS0_15exp_kernel_cudaERNS_18TensorIteratorBaseEENKUlvE_clEvENKUlvE0_clEvEUlN3c107complexIfEEE_St5arrayIPcLm2EEEEviT0_T1_.numbered_sgpr, max(33, .L_ZN16c10_complex_math3expIfEEN3c107complexIT_EERKS4_.numbered_sgpr)
	.set _ZN2at6native29vectorized_elementwise_kernelILi16EZZZNS0_15exp_kernel_cudaERNS_18TensorIteratorBaseEENKUlvE_clEvENKUlvE0_clEvEUlN3c107complexIfEEE_St5arrayIPcLm2EEEEviT0_T1_.num_named_barrier, max(0, .L_ZN16c10_complex_math3expIfEEN3c107complexIT_EERKS4_.num_named_barrier)
	.set _ZN2at6native29vectorized_elementwise_kernelILi16EZZZNS0_15exp_kernel_cudaERNS_18TensorIteratorBaseEENKUlvE_clEvENKUlvE0_clEvEUlN3c107complexIfEEE_St5arrayIPcLm2EEEEviT0_T1_.private_seg_size, 0+max(.L_ZN16c10_complex_math3expIfEEN3c107complexIT_EERKS4_.private_seg_size)
	.set _ZN2at6native29vectorized_elementwise_kernelILi16EZZZNS0_15exp_kernel_cudaERNS_18TensorIteratorBaseEENKUlvE_clEvENKUlvE0_clEvEUlN3c107complexIfEEE_St5arrayIPcLm2EEEEviT0_T1_.uses_vcc, or(1, .L_ZN16c10_complex_math3expIfEEN3c107complexIT_EERKS4_.uses_vcc)
	.set _ZN2at6native29vectorized_elementwise_kernelILi16EZZZNS0_15exp_kernel_cudaERNS_18TensorIteratorBaseEENKUlvE_clEvENKUlvE0_clEvEUlN3c107complexIfEEE_St5arrayIPcLm2EEEEviT0_T1_.uses_flat_scratch, or(0, .L_ZN16c10_complex_math3expIfEEN3c107complexIT_EERKS4_.uses_flat_scratch)
	.set _ZN2at6native29vectorized_elementwise_kernelILi16EZZZNS0_15exp_kernel_cudaERNS_18TensorIteratorBaseEENKUlvE_clEvENKUlvE0_clEvEUlN3c107complexIfEEE_St5arrayIPcLm2EEEEviT0_T1_.has_dyn_sized_stack, or(0, .L_ZN16c10_complex_math3expIfEEN3c107complexIT_EERKS4_.has_dyn_sized_stack)
	.set _ZN2at6native29vectorized_elementwise_kernelILi16EZZZNS0_15exp_kernel_cudaERNS_18TensorIteratorBaseEENKUlvE_clEvENKUlvE0_clEvEUlN3c107complexIfEEE_St5arrayIPcLm2EEEEviT0_T1_.has_recursion, or(0, .L_ZN16c10_complex_math3expIfEEN3c107complexIT_EERKS4_.has_recursion)
	.set _ZN2at6native29vectorized_elementwise_kernelILi16EZZZNS0_15exp_kernel_cudaERNS_18TensorIteratorBaseEENKUlvE_clEvENKUlvE0_clEvEUlN3c107complexIfEEE_St5arrayIPcLm2EEEEviT0_T1_.has_indirect_call, or(0, .L_ZN16c10_complex_math3expIfEEN3c107complexIT_EERKS4_.has_indirect_call)
	.section	.AMDGPU.csdata,"",@progbits
; Kernel info:
; codeLenInByte = 976
; TotalNumSgprs: 39
; NumVgprs: 37
; NumAgprs: 0
; TotalNumVgprs: 37
; ScratchSize: 0
; MemoryBound: 0
; FloatMode: 240
; IeeeMode: 1
; LDSByteSize: 0 bytes/workgroup (compile time only)
; SGPRBlocks: 4
; VGPRBlocks: 4
; NumSGPRsForWavesPerEU: 39
; NumVGPRsForWavesPerEU: 37
; AccumOffset: 40
; Occupancy: 8
; WaveLimiterHint : 0
; COMPUTE_PGM_RSRC2:SCRATCH_EN: 0
; COMPUTE_PGM_RSRC2:USER_SGPR: 2
; COMPUTE_PGM_RSRC2:TRAP_HANDLER: 0
; COMPUTE_PGM_RSRC2:TGID_X_EN: 1
; COMPUTE_PGM_RSRC2:TGID_Y_EN: 0
; COMPUTE_PGM_RSRC2:TGID_Z_EN: 0
; COMPUTE_PGM_RSRC2:TIDIG_COMP_CNT: 0
; COMPUTE_PGM_RSRC3_GFX90A:ACCUM_OFFSET: 9
; COMPUTE_PGM_RSRC3_GFX90A:TG_SPLIT: 0
	.section	.text._ZN2at6native29vectorized_elementwise_kernelILi8EZZZNS0_15exp_kernel_cudaERNS_18TensorIteratorBaseEENKUlvE_clEvENKUlvE0_clEvEUlN3c107complexIfEEE_St5arrayIPcLm2EEEEviT0_T1_,"axG",@progbits,_ZN2at6native29vectorized_elementwise_kernelILi8EZZZNS0_15exp_kernel_cudaERNS_18TensorIteratorBaseEENKUlvE_clEvENKUlvE0_clEvEUlN3c107complexIfEEE_St5arrayIPcLm2EEEEviT0_T1_,comdat
	.globl	_ZN2at6native29vectorized_elementwise_kernelILi8EZZZNS0_15exp_kernel_cudaERNS_18TensorIteratorBaseEENKUlvE_clEvENKUlvE0_clEvEUlN3c107complexIfEEE_St5arrayIPcLm2EEEEviT0_T1_ ; -- Begin function _ZN2at6native29vectorized_elementwise_kernelILi8EZZZNS0_15exp_kernel_cudaERNS_18TensorIteratorBaseEENKUlvE_clEvENKUlvE0_clEvEUlN3c107complexIfEEE_St5arrayIPcLm2EEEEviT0_T1_
	.p2align	8
	.type	_ZN2at6native29vectorized_elementwise_kernelILi8EZZZNS0_15exp_kernel_cudaERNS_18TensorIteratorBaseEENKUlvE_clEvENKUlvE0_clEvEUlN3c107complexIfEEE_St5arrayIPcLm2EEEEviT0_T1_,@function
_ZN2at6native29vectorized_elementwise_kernelILi8EZZZNS0_15exp_kernel_cudaERNS_18TensorIteratorBaseEENKUlvE_clEvENKUlvE0_clEvEUlN3c107complexIfEEE_St5arrayIPcLm2EEEEviT0_T1_: ; @_ZN2at6native29vectorized_elementwise_kernelILi8EZZZNS0_15exp_kernel_cudaERNS_18TensorIteratorBaseEENKUlvE_clEvENKUlvE0_clEvEUlN3c107complexIfEEE_St5arrayIPcLm2EEEEviT0_T1_
; %bb.0:
	s_load_dword s3, s[0:1], 0x0
	s_load_dwordx4 s[20:23], s[0:1], 0x8
	s_lshl_b32 s24, s2, 10
	v_mov_b32_e32 v21, v0
	s_mov_b64 s[0:1], -1
	s_waitcnt lgkmcnt(0)
	s_sub_i32 s26, s3, s24
	s_cmpk_gt_i32 s26, 0x3ff
	s_mov_b32 s32, 0
	s_cbranch_scc0 .LBB59_2
; %bb.1:
	s_ashr_i32 s25, s24, 31
	s_lshl_b64 s[18:19], s[24:25], 3
	s_add_u32 s0, s22, s18
	s_addc_u32 s1, s23, s19
	v_lshlrev_b32_e32 v30, 5, v21
	global_load_dwordx4 v[22:25], v30, s[0:1]
	global_load_dwordx4 v[26:29], v30, s[0:1] offset:16
	s_getpc_b64 s[28:29]
	s_add_u32 s28, s28, _ZN16c10_complex_math3expIfEEN3c107complexIT_EERKS4_@rel32@lo+4
	s_addc_u32 s29, s29, _ZN16c10_complex_math3expIfEEN3c107complexIT_EERKS4_@rel32@hi+12
	s_waitcnt vmcnt(1)
	v_mov_b32_e32 v0, v22
	v_mov_b32_e32 v1, v23
	s_swappc_b64 s[30:31], s[28:29]
	v_mov_b32_e32 v22, v0
	v_mov_b32_e32 v23, v1
	v_mov_b32_e32 v0, v24
	v_mov_b32_e32 v1, v25
	s_swappc_b64 s[30:31], s[28:29]
	v_mov_b32_e32 v24, v0
	v_mov_b32_e32 v25, v1
	;; [unrolled: 5-line block ×3, first 2 shown]
	v_mov_b32_e32 v0, v28
	v_mov_b32_e32 v1, v29
	s_swappc_b64 s[30:31], s[28:29]
	s_add_u32 s0, s20, s18
	s_addc_u32 s1, s21, s19
	v_mov_b32_e32 v28, v0
	v_mov_b32_e32 v29, v1
	global_store_dwordx4 v30, v[22:25], s[0:1]
	global_store_dwordx4 v30, v[26:29], s[0:1] offset:16
	s_mov_b64 s[0:1], 0
.LBB59_2:
	s_andn2_b64 vcc, exec, s[0:1]
	s_cbranch_vccnz .LBB59_23
; %bb.3:
	v_cmp_gt_i32_e64 s[18:19], s26, v21
	v_mov_b32_e32 v22, 0
	v_or_b32_e32 v34, s24, v21
	v_mov_b32_e32 v2, v21
	v_mov_b32_e32 v0, 0
	;; [unrolled: 1-line block ×3, first 2 shown]
	s_and_saveexec_b64 s[0:1], s[18:19]
	s_cbranch_execz .LBB59_5
; %bb.4:
	v_mov_b32_e32 v35, 0
	v_lshl_add_u64 v[0:1], v[34:35], 3, s[22:23]
	global_load_dwordx2 v[0:1], v[0:1], off
	v_or_b32_e32 v2, 0x100, v21
.LBB59_5:
	s_or_b64 exec, exec, s[0:1]
	v_cmp_gt_i32_e32 vcc, s26, v2
	v_mov_b32_e32 v23, 0
	s_and_saveexec_b64 s[0:1], vcc
	s_cbranch_execz .LBB59_7
; %bb.6:
	v_add_u32_e32 v4, s24, v2
	v_mov_b32_e32 v5, 0
	v_lshl_add_u64 v[4:5], v[4:5], 3, s[22:23]
	global_load_dwordx2 v[22:23], v[4:5], off
	v_add_u32_e32 v2, 0x100, v2
.LBB59_7:
	s_or_b64 exec, exec, s[0:1]
	v_cmp_gt_i32_e32 vcc, s26, v2
	v_mov_b32_e32 v24, 0
	v_mov_b32_e32 v30, 0
	;; [unrolled: 1-line block ×3, first 2 shown]
	s_and_saveexec_b64 s[0:1], vcc
	s_cbranch_execz .LBB59_9
; %bb.8:
	v_add_u32_e32 v4, s24, v2
	v_mov_b32_e32 v5, 0
	v_lshl_add_u64 v[4:5], v[4:5], 3, s[22:23]
	global_load_dwordx2 v[30:31], v[4:5], off
	v_add_u32_e32 v2, 0x100, v2
.LBB59_9:
	s_or_b64 exec, exec, s[0:1]
	v_cmp_gt_i32_e32 vcc, s26, v2
	v_mov_b32_e32 v25, 0
	s_and_saveexec_b64 s[0:1], vcc
	s_cbranch_execz .LBB59_11
; %bb.10:
	v_add_u32_e32 v2, s24, v2
	v_mov_b32_e32 v3, 0
	v_lshl_add_u64 v[2:3], v[2:3], 3, s[22:23]
	global_load_dwordx2 v[24:25], v[2:3], off
.LBB59_11:
	s_or_b64 exec, exec, s[0:1]
	v_mov_b32_e32 v26, 0
	v_mov_b32_e32 v28, 0
	;; [unrolled: 1-line block ×3, first 2 shown]
	s_and_saveexec_b64 s[22:23], s[18:19]
	s_cbranch_execz .LBB59_13
; %bb.12:
	s_getpc_b64 s[0:1]
	s_add_u32 s0, s0, _ZN16c10_complex_math3expIfEEN3c107complexIT_EERKS4_@rel32@lo+4
	s_addc_u32 s1, s1, _ZN16c10_complex_math3expIfEEN3c107complexIT_EERKS4_@rel32@hi+12
	s_swappc_b64 s[30:31], s[0:1]
	v_mov_b32_e32 v28, v0
	v_mov_b32_e32 v29, v1
.LBB59_13:
	s_or_b64 exec, exec, s[22:23]
	v_or_b32_e32 v36, 0x100, v21
	v_cmp_gt_i32_e32 vcc, s26, v36
	v_mov_b32_e32 v27, 0
	s_and_saveexec_b64 s[22:23], vcc
	s_cbranch_execz .LBB59_15
; %bb.14:
	s_getpc_b64 s[0:1]
	s_add_u32 s0, s0, _ZN16c10_complex_math3expIfEEN3c107complexIT_EERKS4_@rel32@lo+4
	s_addc_u32 s1, s1, _ZN16c10_complex_math3expIfEEN3c107complexIT_EERKS4_@rel32@hi+12
	s_waitcnt vmcnt(0)
	v_mov_b32_e32 v0, v22
	v_mov_b32_e32 v1, v23
	s_swappc_b64 s[30:31], s[0:1]
	v_mov_b32_e32 v26, v0
	v_mov_b32_e32 v27, v1
.LBB59_15:
	s_or_b64 exec, exec, s[22:23]
	s_waitcnt vmcnt(0)
	v_or_b32_e32 v0, 0x200, v21
	v_cmp_gt_i32_e32 vcc, s26, v0
	v_mov_b32_e32 v22, 0
	v_mov_b32_e32 v32, 0
	;; [unrolled: 1-line block ×3, first 2 shown]
	s_and_saveexec_b64 s[22:23], vcc
	s_cbranch_execz .LBB59_17
; %bb.16:
	s_getpc_b64 s[0:1]
	s_add_u32 s0, s0, _ZN16c10_complex_math3expIfEEN3c107complexIT_EERKS4_@rel32@lo+4
	s_addc_u32 s1, s1, _ZN16c10_complex_math3expIfEEN3c107complexIT_EERKS4_@rel32@hi+12
	v_mov_b32_e32 v0, v30
	v_mov_b32_e32 v1, v31
	s_swappc_b64 s[30:31], s[0:1]
	v_mov_b32_e32 v32, v0
	v_mov_b32_e32 v33, v1
.LBB59_17:
	s_or_b64 exec, exec, s[22:23]
	v_or_b32_e32 v0, 0x300, v21
	v_cmp_gt_i32_e32 vcc, s26, v0
	v_mov_b32_e32 v23, 0
	s_and_saveexec_b64 s[22:23], vcc
	s_cbranch_execnz .LBB59_24
; %bb.18:
	s_or_b64 exec, exec, s[22:23]
	s_and_saveexec_b64 s[0:1], s[18:19]
	s_xor_b64 s[0:1], exec, s[0:1]
	s_cbranch_execnz .LBB59_25
.LBB59_19:
	s_or_b64 exec, exec, s[0:1]
	v_cmp_gt_i32_e32 vcc, s26, v21
	s_and_saveexec_b64 s[0:1], vcc
	s_cbranch_execnz .LBB59_26
.LBB59_20:
	s_or_b64 exec, exec, s[0:1]
	v_cmp_gt_i32_e32 vcc, s26, v21
	s_and_saveexec_b64 s[0:1], vcc
	s_cbranch_execnz .LBB59_27
.LBB59_21:
	s_or_b64 exec, exec, s[0:1]
	v_cmp_gt_i32_e32 vcc, s26, v21
	s_and_saveexec_b64 s[0:1], vcc
	s_cbranch_execz .LBB59_23
.LBB59_22:
	v_add_u32_e32 v0, s24, v21
	v_mov_b32_e32 v1, 0
	v_lshl_add_u64 v[0:1], v[0:1], 3, s[20:21]
	global_store_dwordx2 v[0:1], v[22:23], off
.LBB59_23:
	s_endpgm
.LBB59_24:
	s_getpc_b64 s[0:1]
	s_add_u32 s0, s0, _ZN16c10_complex_math3expIfEEN3c107complexIT_EERKS4_@rel32@lo+4
	s_addc_u32 s1, s1, _ZN16c10_complex_math3expIfEEN3c107complexIT_EERKS4_@rel32@hi+12
	v_mov_b32_e32 v0, v24
	v_mov_b32_e32 v1, v25
	s_swappc_b64 s[30:31], s[0:1]
	v_mov_b32_e32 v22, v0
	v_mov_b32_e32 v23, v1
	s_or_b64 exec, exec, s[22:23]
	s_and_saveexec_b64 s[0:1], s[18:19]
	s_xor_b64 s[0:1], exec, s[0:1]
	s_cbranch_execz .LBB59_19
.LBB59_25:
	v_mov_b32_e32 v35, 0
	v_lshl_add_u64 v[0:1], v[34:35], 3, s[20:21]
	v_mov_b32_e32 v21, v36
	global_store_dwordx2 v[0:1], v[28:29], off
	s_or_b64 exec, exec, s[0:1]
	v_cmp_gt_i32_e32 vcc, s26, v21
	s_and_saveexec_b64 s[0:1], vcc
	s_cbranch_execz .LBB59_20
.LBB59_26:
	v_add_u32_e32 v2, 0x100, v21
	v_add_u32_e32 v0, s24, v21
	v_mov_b32_e32 v1, 0
	v_lshl_add_u64 v[0:1], v[0:1], 3, s[20:21]
	v_mov_b32_e32 v21, v2
	global_store_dwordx2 v[0:1], v[26:27], off
	s_or_b64 exec, exec, s[0:1]
	v_cmp_gt_i32_e32 vcc, s26, v21
	s_and_saveexec_b64 s[0:1], vcc
	s_cbranch_execz .LBB59_21
.LBB59_27:
	v_add_u32_e32 v2, 0x100, v21
	v_add_u32_e32 v0, s24, v21
	v_mov_b32_e32 v1, 0
	v_lshl_add_u64 v[0:1], v[0:1], 3, s[20:21]
	v_mov_b32_e32 v21, v2
	global_store_dwordx2 v[0:1], v[32:33], off
	s_or_b64 exec, exec, s[0:1]
	v_cmp_gt_i32_e32 vcc, s26, v21
	s_and_saveexec_b64 s[0:1], vcc
	s_cbranch_execnz .LBB59_22
	s_branch .LBB59_23
	.section	.rodata,"a",@progbits
	.p2align	6, 0x0
	.amdhsa_kernel _ZN2at6native29vectorized_elementwise_kernelILi8EZZZNS0_15exp_kernel_cudaERNS_18TensorIteratorBaseEENKUlvE_clEvENKUlvE0_clEvEUlN3c107complexIfEEE_St5arrayIPcLm2EEEEviT0_T1_
		.amdhsa_group_segment_fixed_size 0
		.amdhsa_private_segment_fixed_size 0
		.amdhsa_kernarg_size 24
		.amdhsa_user_sgpr_count 2
		.amdhsa_user_sgpr_dispatch_ptr 0
		.amdhsa_user_sgpr_queue_ptr 0
		.amdhsa_user_sgpr_kernarg_segment_ptr 1
		.amdhsa_user_sgpr_dispatch_id 0
		.amdhsa_user_sgpr_kernarg_preload_length 0
		.amdhsa_user_sgpr_kernarg_preload_offset 0
		.amdhsa_user_sgpr_private_segment_size 0
		.amdhsa_uses_dynamic_stack 0
		.amdhsa_enable_private_segment 0
		.amdhsa_system_sgpr_workgroup_id_x 1
		.amdhsa_system_sgpr_workgroup_id_y 0
		.amdhsa_system_sgpr_workgroup_id_z 0
		.amdhsa_system_sgpr_workgroup_info 0
		.amdhsa_system_vgpr_workitem_id 0
		.amdhsa_next_free_vgpr 37
		.amdhsa_next_free_sgpr 33
		.amdhsa_accum_offset 40
		.amdhsa_reserve_vcc 1
		.amdhsa_float_round_mode_32 0
		.amdhsa_float_round_mode_16_64 0
		.amdhsa_float_denorm_mode_32 3
		.amdhsa_float_denorm_mode_16_64 3
		.amdhsa_dx10_clamp 1
		.amdhsa_ieee_mode 1
		.amdhsa_fp16_overflow 0
		.amdhsa_tg_split 0
		.amdhsa_exception_fp_ieee_invalid_op 0
		.amdhsa_exception_fp_denorm_src 0
		.amdhsa_exception_fp_ieee_div_zero 0
		.amdhsa_exception_fp_ieee_overflow 0
		.amdhsa_exception_fp_ieee_underflow 0
		.amdhsa_exception_fp_ieee_inexact 0
		.amdhsa_exception_int_div_zero 0
	.end_amdhsa_kernel
	.section	.text._ZN2at6native29vectorized_elementwise_kernelILi8EZZZNS0_15exp_kernel_cudaERNS_18TensorIteratorBaseEENKUlvE_clEvENKUlvE0_clEvEUlN3c107complexIfEEE_St5arrayIPcLm2EEEEviT0_T1_,"axG",@progbits,_ZN2at6native29vectorized_elementwise_kernelILi8EZZZNS0_15exp_kernel_cudaERNS_18TensorIteratorBaseEENKUlvE_clEvENKUlvE0_clEvEUlN3c107complexIfEEE_St5arrayIPcLm2EEEEviT0_T1_,comdat
.Lfunc_end59:
	.size	_ZN2at6native29vectorized_elementwise_kernelILi8EZZZNS0_15exp_kernel_cudaERNS_18TensorIteratorBaseEENKUlvE_clEvENKUlvE0_clEvEUlN3c107complexIfEEE_St5arrayIPcLm2EEEEviT0_T1_, .Lfunc_end59-_ZN2at6native29vectorized_elementwise_kernelILi8EZZZNS0_15exp_kernel_cudaERNS_18TensorIteratorBaseEENKUlvE_clEvENKUlvE0_clEvEUlN3c107complexIfEEE_St5arrayIPcLm2EEEEviT0_T1_
                                        ; -- End function
	.set _ZN2at6native29vectorized_elementwise_kernelILi8EZZZNS0_15exp_kernel_cudaERNS_18TensorIteratorBaseEENKUlvE_clEvENKUlvE0_clEvEUlN3c107complexIfEEE_St5arrayIPcLm2EEEEviT0_T1_.num_vgpr, max(37, .L_ZN16c10_complex_math3expIfEEN3c107complexIT_EERKS4_.num_vgpr)
	.set _ZN2at6native29vectorized_elementwise_kernelILi8EZZZNS0_15exp_kernel_cudaERNS_18TensorIteratorBaseEENKUlvE_clEvENKUlvE0_clEvEUlN3c107complexIfEEE_St5arrayIPcLm2EEEEviT0_T1_.num_agpr, max(0, .L_ZN16c10_complex_math3expIfEEN3c107complexIT_EERKS4_.num_agpr)
	.set _ZN2at6native29vectorized_elementwise_kernelILi8EZZZNS0_15exp_kernel_cudaERNS_18TensorIteratorBaseEENKUlvE_clEvENKUlvE0_clEvEUlN3c107complexIfEEE_St5arrayIPcLm2EEEEviT0_T1_.numbered_sgpr, max(33, .L_ZN16c10_complex_math3expIfEEN3c107complexIT_EERKS4_.numbered_sgpr)
	.set _ZN2at6native29vectorized_elementwise_kernelILi8EZZZNS0_15exp_kernel_cudaERNS_18TensorIteratorBaseEENKUlvE_clEvENKUlvE0_clEvEUlN3c107complexIfEEE_St5arrayIPcLm2EEEEviT0_T1_.num_named_barrier, max(0, .L_ZN16c10_complex_math3expIfEEN3c107complexIT_EERKS4_.num_named_barrier)
	.set _ZN2at6native29vectorized_elementwise_kernelILi8EZZZNS0_15exp_kernel_cudaERNS_18TensorIteratorBaseEENKUlvE_clEvENKUlvE0_clEvEUlN3c107complexIfEEE_St5arrayIPcLm2EEEEviT0_T1_.private_seg_size, 0+max(.L_ZN16c10_complex_math3expIfEEN3c107complexIT_EERKS4_.private_seg_size)
	.set _ZN2at6native29vectorized_elementwise_kernelILi8EZZZNS0_15exp_kernel_cudaERNS_18TensorIteratorBaseEENKUlvE_clEvENKUlvE0_clEvEUlN3c107complexIfEEE_St5arrayIPcLm2EEEEviT0_T1_.uses_vcc, or(1, .L_ZN16c10_complex_math3expIfEEN3c107complexIT_EERKS4_.uses_vcc)
	.set _ZN2at6native29vectorized_elementwise_kernelILi8EZZZNS0_15exp_kernel_cudaERNS_18TensorIteratorBaseEENKUlvE_clEvENKUlvE0_clEvEUlN3c107complexIfEEE_St5arrayIPcLm2EEEEviT0_T1_.uses_flat_scratch, or(0, .L_ZN16c10_complex_math3expIfEEN3c107complexIT_EERKS4_.uses_flat_scratch)
	.set _ZN2at6native29vectorized_elementwise_kernelILi8EZZZNS0_15exp_kernel_cudaERNS_18TensorIteratorBaseEENKUlvE_clEvENKUlvE0_clEvEUlN3c107complexIfEEE_St5arrayIPcLm2EEEEviT0_T1_.has_dyn_sized_stack, or(0, .L_ZN16c10_complex_math3expIfEEN3c107complexIT_EERKS4_.has_dyn_sized_stack)
	.set _ZN2at6native29vectorized_elementwise_kernelILi8EZZZNS0_15exp_kernel_cudaERNS_18TensorIteratorBaseEENKUlvE_clEvENKUlvE0_clEvEUlN3c107complexIfEEE_St5arrayIPcLm2EEEEviT0_T1_.has_recursion, or(0, .L_ZN16c10_complex_math3expIfEEN3c107complexIT_EERKS4_.has_recursion)
	.set _ZN2at6native29vectorized_elementwise_kernelILi8EZZZNS0_15exp_kernel_cudaERNS_18TensorIteratorBaseEENKUlvE_clEvENKUlvE0_clEvEUlN3c107complexIfEEE_St5arrayIPcLm2EEEEviT0_T1_.has_indirect_call, or(0, .L_ZN16c10_complex_math3expIfEEN3c107complexIT_EERKS4_.has_indirect_call)
	.section	.AMDGPU.csdata,"",@progbits
; Kernel info:
; codeLenInByte = 976
; TotalNumSgprs: 39
; NumVgprs: 37
; NumAgprs: 0
; TotalNumVgprs: 37
; ScratchSize: 0
; MemoryBound: 0
; FloatMode: 240
; IeeeMode: 1
; LDSByteSize: 0 bytes/workgroup (compile time only)
; SGPRBlocks: 4
; VGPRBlocks: 4
; NumSGPRsForWavesPerEU: 39
; NumVGPRsForWavesPerEU: 37
; AccumOffset: 40
; Occupancy: 8
; WaveLimiterHint : 0
; COMPUTE_PGM_RSRC2:SCRATCH_EN: 0
; COMPUTE_PGM_RSRC2:USER_SGPR: 2
; COMPUTE_PGM_RSRC2:TRAP_HANDLER: 0
; COMPUTE_PGM_RSRC2:TGID_X_EN: 1
; COMPUTE_PGM_RSRC2:TGID_Y_EN: 0
; COMPUTE_PGM_RSRC2:TGID_Z_EN: 0
; COMPUTE_PGM_RSRC2:TIDIG_COMP_CNT: 0
; COMPUTE_PGM_RSRC3_GFX90A:ACCUM_OFFSET: 9
; COMPUTE_PGM_RSRC3_GFX90A:TG_SPLIT: 0
	.section	.text._ZN2at6native29vectorized_elementwise_kernelILi4EZZZNS0_15exp_kernel_cudaERNS_18TensorIteratorBaseEENKUlvE_clEvENKUlvE0_clEvEUlN3c107complexIfEEE_St5arrayIPcLm2EEEEviT0_T1_,"axG",@progbits,_ZN2at6native29vectorized_elementwise_kernelILi4EZZZNS0_15exp_kernel_cudaERNS_18TensorIteratorBaseEENKUlvE_clEvENKUlvE0_clEvEUlN3c107complexIfEEE_St5arrayIPcLm2EEEEviT0_T1_,comdat
	.globl	_ZN2at6native29vectorized_elementwise_kernelILi4EZZZNS0_15exp_kernel_cudaERNS_18TensorIteratorBaseEENKUlvE_clEvENKUlvE0_clEvEUlN3c107complexIfEEE_St5arrayIPcLm2EEEEviT0_T1_ ; -- Begin function _ZN2at6native29vectorized_elementwise_kernelILi4EZZZNS0_15exp_kernel_cudaERNS_18TensorIteratorBaseEENKUlvE_clEvENKUlvE0_clEvEUlN3c107complexIfEEE_St5arrayIPcLm2EEEEviT0_T1_
	.p2align	8
	.type	_ZN2at6native29vectorized_elementwise_kernelILi4EZZZNS0_15exp_kernel_cudaERNS_18TensorIteratorBaseEENKUlvE_clEvENKUlvE0_clEvEUlN3c107complexIfEEE_St5arrayIPcLm2EEEEviT0_T1_,@function
_ZN2at6native29vectorized_elementwise_kernelILi4EZZZNS0_15exp_kernel_cudaERNS_18TensorIteratorBaseEENKUlvE_clEvENKUlvE0_clEvEUlN3c107complexIfEEE_St5arrayIPcLm2EEEEviT0_T1_: ; @_ZN2at6native29vectorized_elementwise_kernelILi4EZZZNS0_15exp_kernel_cudaERNS_18TensorIteratorBaseEENKUlvE_clEvENKUlvE0_clEvEUlN3c107complexIfEEE_St5arrayIPcLm2EEEEviT0_T1_
; %bb.0:
	s_load_dword s3, s[0:1], 0x0
	s_load_dwordx4 s[20:23], s[0:1], 0x8
	s_lshl_b32 s24, s2, 10
	v_mov_b32_e32 v21, v0
	s_mov_b64 s[0:1], -1
	s_waitcnt lgkmcnt(0)
	s_sub_i32 s26, s3, s24
	s_cmpk_gt_i32 s26, 0x3ff
	s_mov_b32 s32, 0
	s_cbranch_scc0 .LBB60_2
; %bb.1:
	s_ashr_i32 s25, s24, 31
	s_lshl_b64 s[18:19], s[24:25], 3
	s_add_u32 s0, s22, s18
	s_addc_u32 s1, s23, s19
	v_lshlrev_b32_e32 v30, 5, v21
	global_load_dwordx4 v[22:25], v30, s[0:1]
	global_load_dwordx4 v[26:29], v30, s[0:1] offset:16
	s_getpc_b64 s[28:29]
	s_add_u32 s28, s28, _ZN16c10_complex_math3expIfEEN3c107complexIT_EERKS4_@rel32@lo+4
	s_addc_u32 s29, s29, _ZN16c10_complex_math3expIfEEN3c107complexIT_EERKS4_@rel32@hi+12
	s_waitcnt vmcnt(1)
	v_mov_b32_e32 v0, v22
	v_mov_b32_e32 v1, v23
	s_swappc_b64 s[30:31], s[28:29]
	v_mov_b32_e32 v22, v0
	v_mov_b32_e32 v23, v1
	v_mov_b32_e32 v0, v24
	v_mov_b32_e32 v1, v25
	s_swappc_b64 s[30:31], s[28:29]
	v_mov_b32_e32 v24, v0
	v_mov_b32_e32 v25, v1
	;; [unrolled: 5-line block ×3, first 2 shown]
	v_mov_b32_e32 v0, v28
	v_mov_b32_e32 v1, v29
	s_swappc_b64 s[30:31], s[28:29]
	s_add_u32 s0, s20, s18
	s_addc_u32 s1, s21, s19
	v_mov_b32_e32 v28, v0
	v_mov_b32_e32 v29, v1
	global_store_dwordx4 v30, v[22:25], s[0:1]
	global_store_dwordx4 v30, v[26:29], s[0:1] offset:16
	s_mov_b64 s[0:1], 0
.LBB60_2:
	s_andn2_b64 vcc, exec, s[0:1]
	s_cbranch_vccnz .LBB60_23
; %bb.3:
	v_cmp_gt_i32_e64 s[18:19], s26, v21
	v_mov_b32_e32 v22, 0
	v_or_b32_e32 v34, s24, v21
	v_mov_b32_e32 v2, v21
	v_mov_b32_e32 v0, 0
	;; [unrolled: 1-line block ×3, first 2 shown]
	s_and_saveexec_b64 s[0:1], s[18:19]
	s_cbranch_execz .LBB60_5
; %bb.4:
	v_mov_b32_e32 v35, 0
	v_lshl_add_u64 v[0:1], v[34:35], 3, s[22:23]
	global_load_dwordx2 v[0:1], v[0:1], off
	v_or_b32_e32 v2, 0x100, v21
.LBB60_5:
	s_or_b64 exec, exec, s[0:1]
	v_cmp_gt_i32_e32 vcc, s26, v2
	v_mov_b32_e32 v23, 0
	s_and_saveexec_b64 s[0:1], vcc
	s_cbranch_execz .LBB60_7
; %bb.6:
	v_add_u32_e32 v4, s24, v2
	v_mov_b32_e32 v5, 0
	v_lshl_add_u64 v[4:5], v[4:5], 3, s[22:23]
	global_load_dwordx2 v[22:23], v[4:5], off
	v_add_u32_e32 v2, 0x100, v2
.LBB60_7:
	s_or_b64 exec, exec, s[0:1]
	v_cmp_gt_i32_e32 vcc, s26, v2
	v_mov_b32_e32 v24, 0
	v_mov_b32_e32 v30, 0
	;; [unrolled: 1-line block ×3, first 2 shown]
	s_and_saveexec_b64 s[0:1], vcc
	s_cbranch_execz .LBB60_9
; %bb.8:
	v_add_u32_e32 v4, s24, v2
	v_mov_b32_e32 v5, 0
	v_lshl_add_u64 v[4:5], v[4:5], 3, s[22:23]
	global_load_dwordx2 v[30:31], v[4:5], off
	v_add_u32_e32 v2, 0x100, v2
.LBB60_9:
	s_or_b64 exec, exec, s[0:1]
	v_cmp_gt_i32_e32 vcc, s26, v2
	v_mov_b32_e32 v25, 0
	s_and_saveexec_b64 s[0:1], vcc
	s_cbranch_execz .LBB60_11
; %bb.10:
	v_add_u32_e32 v2, s24, v2
	v_mov_b32_e32 v3, 0
	v_lshl_add_u64 v[2:3], v[2:3], 3, s[22:23]
	global_load_dwordx2 v[24:25], v[2:3], off
.LBB60_11:
	s_or_b64 exec, exec, s[0:1]
	v_mov_b32_e32 v26, 0
	v_mov_b32_e32 v28, 0
	;; [unrolled: 1-line block ×3, first 2 shown]
	s_and_saveexec_b64 s[22:23], s[18:19]
	s_cbranch_execz .LBB60_13
; %bb.12:
	s_getpc_b64 s[0:1]
	s_add_u32 s0, s0, _ZN16c10_complex_math3expIfEEN3c107complexIT_EERKS4_@rel32@lo+4
	s_addc_u32 s1, s1, _ZN16c10_complex_math3expIfEEN3c107complexIT_EERKS4_@rel32@hi+12
	s_swappc_b64 s[30:31], s[0:1]
	v_mov_b32_e32 v28, v0
	v_mov_b32_e32 v29, v1
.LBB60_13:
	s_or_b64 exec, exec, s[22:23]
	v_or_b32_e32 v36, 0x100, v21
	v_cmp_gt_i32_e32 vcc, s26, v36
	v_mov_b32_e32 v27, 0
	s_and_saveexec_b64 s[22:23], vcc
	s_cbranch_execz .LBB60_15
; %bb.14:
	s_getpc_b64 s[0:1]
	s_add_u32 s0, s0, _ZN16c10_complex_math3expIfEEN3c107complexIT_EERKS4_@rel32@lo+4
	s_addc_u32 s1, s1, _ZN16c10_complex_math3expIfEEN3c107complexIT_EERKS4_@rel32@hi+12
	s_waitcnt vmcnt(0)
	v_mov_b32_e32 v0, v22
	v_mov_b32_e32 v1, v23
	s_swappc_b64 s[30:31], s[0:1]
	v_mov_b32_e32 v26, v0
	v_mov_b32_e32 v27, v1
.LBB60_15:
	s_or_b64 exec, exec, s[22:23]
	s_waitcnt vmcnt(0)
	v_or_b32_e32 v0, 0x200, v21
	v_cmp_gt_i32_e32 vcc, s26, v0
	v_mov_b32_e32 v22, 0
	v_mov_b32_e32 v32, 0
	;; [unrolled: 1-line block ×3, first 2 shown]
	s_and_saveexec_b64 s[22:23], vcc
	s_cbranch_execz .LBB60_17
; %bb.16:
	s_getpc_b64 s[0:1]
	s_add_u32 s0, s0, _ZN16c10_complex_math3expIfEEN3c107complexIT_EERKS4_@rel32@lo+4
	s_addc_u32 s1, s1, _ZN16c10_complex_math3expIfEEN3c107complexIT_EERKS4_@rel32@hi+12
	v_mov_b32_e32 v0, v30
	v_mov_b32_e32 v1, v31
	s_swappc_b64 s[30:31], s[0:1]
	v_mov_b32_e32 v32, v0
	v_mov_b32_e32 v33, v1
.LBB60_17:
	s_or_b64 exec, exec, s[22:23]
	v_or_b32_e32 v0, 0x300, v21
	v_cmp_gt_i32_e32 vcc, s26, v0
	v_mov_b32_e32 v23, 0
	s_and_saveexec_b64 s[22:23], vcc
	s_cbranch_execnz .LBB60_24
; %bb.18:
	s_or_b64 exec, exec, s[22:23]
	s_and_saveexec_b64 s[0:1], s[18:19]
	s_xor_b64 s[0:1], exec, s[0:1]
	s_cbranch_execnz .LBB60_25
.LBB60_19:
	s_or_b64 exec, exec, s[0:1]
	v_cmp_gt_i32_e32 vcc, s26, v21
	s_and_saveexec_b64 s[0:1], vcc
	s_cbranch_execnz .LBB60_26
.LBB60_20:
	s_or_b64 exec, exec, s[0:1]
	v_cmp_gt_i32_e32 vcc, s26, v21
	s_and_saveexec_b64 s[0:1], vcc
	s_cbranch_execnz .LBB60_27
.LBB60_21:
	s_or_b64 exec, exec, s[0:1]
	v_cmp_gt_i32_e32 vcc, s26, v21
	s_and_saveexec_b64 s[0:1], vcc
	s_cbranch_execz .LBB60_23
.LBB60_22:
	v_add_u32_e32 v0, s24, v21
	v_mov_b32_e32 v1, 0
	v_lshl_add_u64 v[0:1], v[0:1], 3, s[20:21]
	global_store_dwordx2 v[0:1], v[22:23], off
.LBB60_23:
	s_endpgm
.LBB60_24:
	s_getpc_b64 s[0:1]
	s_add_u32 s0, s0, _ZN16c10_complex_math3expIfEEN3c107complexIT_EERKS4_@rel32@lo+4
	s_addc_u32 s1, s1, _ZN16c10_complex_math3expIfEEN3c107complexIT_EERKS4_@rel32@hi+12
	v_mov_b32_e32 v0, v24
	v_mov_b32_e32 v1, v25
	s_swappc_b64 s[30:31], s[0:1]
	v_mov_b32_e32 v22, v0
	v_mov_b32_e32 v23, v1
	s_or_b64 exec, exec, s[22:23]
	s_and_saveexec_b64 s[0:1], s[18:19]
	s_xor_b64 s[0:1], exec, s[0:1]
	s_cbranch_execz .LBB60_19
.LBB60_25:
	v_mov_b32_e32 v35, 0
	v_lshl_add_u64 v[0:1], v[34:35], 3, s[20:21]
	v_mov_b32_e32 v21, v36
	global_store_dwordx2 v[0:1], v[28:29], off
	s_or_b64 exec, exec, s[0:1]
	v_cmp_gt_i32_e32 vcc, s26, v21
	s_and_saveexec_b64 s[0:1], vcc
	s_cbranch_execz .LBB60_20
.LBB60_26:
	v_add_u32_e32 v2, 0x100, v21
	v_add_u32_e32 v0, s24, v21
	v_mov_b32_e32 v1, 0
	v_lshl_add_u64 v[0:1], v[0:1], 3, s[20:21]
	v_mov_b32_e32 v21, v2
	global_store_dwordx2 v[0:1], v[26:27], off
	s_or_b64 exec, exec, s[0:1]
	v_cmp_gt_i32_e32 vcc, s26, v21
	s_and_saveexec_b64 s[0:1], vcc
	s_cbranch_execz .LBB60_21
.LBB60_27:
	v_add_u32_e32 v2, 0x100, v21
	v_add_u32_e32 v0, s24, v21
	v_mov_b32_e32 v1, 0
	v_lshl_add_u64 v[0:1], v[0:1], 3, s[20:21]
	v_mov_b32_e32 v21, v2
	global_store_dwordx2 v[0:1], v[32:33], off
	s_or_b64 exec, exec, s[0:1]
	v_cmp_gt_i32_e32 vcc, s26, v21
	s_and_saveexec_b64 s[0:1], vcc
	s_cbranch_execnz .LBB60_22
	s_branch .LBB60_23
	.section	.rodata,"a",@progbits
	.p2align	6, 0x0
	.amdhsa_kernel _ZN2at6native29vectorized_elementwise_kernelILi4EZZZNS0_15exp_kernel_cudaERNS_18TensorIteratorBaseEENKUlvE_clEvENKUlvE0_clEvEUlN3c107complexIfEEE_St5arrayIPcLm2EEEEviT0_T1_
		.amdhsa_group_segment_fixed_size 0
		.amdhsa_private_segment_fixed_size 0
		.amdhsa_kernarg_size 24
		.amdhsa_user_sgpr_count 2
		.amdhsa_user_sgpr_dispatch_ptr 0
		.amdhsa_user_sgpr_queue_ptr 0
		.amdhsa_user_sgpr_kernarg_segment_ptr 1
		.amdhsa_user_sgpr_dispatch_id 0
		.amdhsa_user_sgpr_kernarg_preload_length 0
		.amdhsa_user_sgpr_kernarg_preload_offset 0
		.amdhsa_user_sgpr_private_segment_size 0
		.amdhsa_uses_dynamic_stack 0
		.amdhsa_enable_private_segment 0
		.amdhsa_system_sgpr_workgroup_id_x 1
		.amdhsa_system_sgpr_workgroup_id_y 0
		.amdhsa_system_sgpr_workgroup_id_z 0
		.amdhsa_system_sgpr_workgroup_info 0
		.amdhsa_system_vgpr_workitem_id 0
		.amdhsa_next_free_vgpr 37
		.amdhsa_next_free_sgpr 33
		.amdhsa_accum_offset 40
		.amdhsa_reserve_vcc 1
		.amdhsa_float_round_mode_32 0
		.amdhsa_float_round_mode_16_64 0
		.amdhsa_float_denorm_mode_32 3
		.amdhsa_float_denorm_mode_16_64 3
		.amdhsa_dx10_clamp 1
		.amdhsa_ieee_mode 1
		.amdhsa_fp16_overflow 0
		.amdhsa_tg_split 0
		.amdhsa_exception_fp_ieee_invalid_op 0
		.amdhsa_exception_fp_denorm_src 0
		.amdhsa_exception_fp_ieee_div_zero 0
		.amdhsa_exception_fp_ieee_overflow 0
		.amdhsa_exception_fp_ieee_underflow 0
		.amdhsa_exception_fp_ieee_inexact 0
		.amdhsa_exception_int_div_zero 0
	.end_amdhsa_kernel
	.section	.text._ZN2at6native29vectorized_elementwise_kernelILi4EZZZNS0_15exp_kernel_cudaERNS_18TensorIteratorBaseEENKUlvE_clEvENKUlvE0_clEvEUlN3c107complexIfEEE_St5arrayIPcLm2EEEEviT0_T1_,"axG",@progbits,_ZN2at6native29vectorized_elementwise_kernelILi4EZZZNS0_15exp_kernel_cudaERNS_18TensorIteratorBaseEENKUlvE_clEvENKUlvE0_clEvEUlN3c107complexIfEEE_St5arrayIPcLm2EEEEviT0_T1_,comdat
.Lfunc_end60:
	.size	_ZN2at6native29vectorized_elementwise_kernelILi4EZZZNS0_15exp_kernel_cudaERNS_18TensorIteratorBaseEENKUlvE_clEvENKUlvE0_clEvEUlN3c107complexIfEEE_St5arrayIPcLm2EEEEviT0_T1_, .Lfunc_end60-_ZN2at6native29vectorized_elementwise_kernelILi4EZZZNS0_15exp_kernel_cudaERNS_18TensorIteratorBaseEENKUlvE_clEvENKUlvE0_clEvEUlN3c107complexIfEEE_St5arrayIPcLm2EEEEviT0_T1_
                                        ; -- End function
	.set _ZN2at6native29vectorized_elementwise_kernelILi4EZZZNS0_15exp_kernel_cudaERNS_18TensorIteratorBaseEENKUlvE_clEvENKUlvE0_clEvEUlN3c107complexIfEEE_St5arrayIPcLm2EEEEviT0_T1_.num_vgpr, max(37, .L_ZN16c10_complex_math3expIfEEN3c107complexIT_EERKS4_.num_vgpr)
	.set _ZN2at6native29vectorized_elementwise_kernelILi4EZZZNS0_15exp_kernel_cudaERNS_18TensorIteratorBaseEENKUlvE_clEvENKUlvE0_clEvEUlN3c107complexIfEEE_St5arrayIPcLm2EEEEviT0_T1_.num_agpr, max(0, .L_ZN16c10_complex_math3expIfEEN3c107complexIT_EERKS4_.num_agpr)
	.set _ZN2at6native29vectorized_elementwise_kernelILi4EZZZNS0_15exp_kernel_cudaERNS_18TensorIteratorBaseEENKUlvE_clEvENKUlvE0_clEvEUlN3c107complexIfEEE_St5arrayIPcLm2EEEEviT0_T1_.numbered_sgpr, max(33, .L_ZN16c10_complex_math3expIfEEN3c107complexIT_EERKS4_.numbered_sgpr)
	.set _ZN2at6native29vectorized_elementwise_kernelILi4EZZZNS0_15exp_kernel_cudaERNS_18TensorIteratorBaseEENKUlvE_clEvENKUlvE0_clEvEUlN3c107complexIfEEE_St5arrayIPcLm2EEEEviT0_T1_.num_named_barrier, max(0, .L_ZN16c10_complex_math3expIfEEN3c107complexIT_EERKS4_.num_named_barrier)
	.set _ZN2at6native29vectorized_elementwise_kernelILi4EZZZNS0_15exp_kernel_cudaERNS_18TensorIteratorBaseEENKUlvE_clEvENKUlvE0_clEvEUlN3c107complexIfEEE_St5arrayIPcLm2EEEEviT0_T1_.private_seg_size, 0+max(.L_ZN16c10_complex_math3expIfEEN3c107complexIT_EERKS4_.private_seg_size)
	.set _ZN2at6native29vectorized_elementwise_kernelILi4EZZZNS0_15exp_kernel_cudaERNS_18TensorIteratorBaseEENKUlvE_clEvENKUlvE0_clEvEUlN3c107complexIfEEE_St5arrayIPcLm2EEEEviT0_T1_.uses_vcc, or(1, .L_ZN16c10_complex_math3expIfEEN3c107complexIT_EERKS4_.uses_vcc)
	.set _ZN2at6native29vectorized_elementwise_kernelILi4EZZZNS0_15exp_kernel_cudaERNS_18TensorIteratorBaseEENKUlvE_clEvENKUlvE0_clEvEUlN3c107complexIfEEE_St5arrayIPcLm2EEEEviT0_T1_.uses_flat_scratch, or(0, .L_ZN16c10_complex_math3expIfEEN3c107complexIT_EERKS4_.uses_flat_scratch)
	.set _ZN2at6native29vectorized_elementwise_kernelILi4EZZZNS0_15exp_kernel_cudaERNS_18TensorIteratorBaseEENKUlvE_clEvENKUlvE0_clEvEUlN3c107complexIfEEE_St5arrayIPcLm2EEEEviT0_T1_.has_dyn_sized_stack, or(0, .L_ZN16c10_complex_math3expIfEEN3c107complexIT_EERKS4_.has_dyn_sized_stack)
	.set _ZN2at6native29vectorized_elementwise_kernelILi4EZZZNS0_15exp_kernel_cudaERNS_18TensorIteratorBaseEENKUlvE_clEvENKUlvE0_clEvEUlN3c107complexIfEEE_St5arrayIPcLm2EEEEviT0_T1_.has_recursion, or(0, .L_ZN16c10_complex_math3expIfEEN3c107complexIT_EERKS4_.has_recursion)
	.set _ZN2at6native29vectorized_elementwise_kernelILi4EZZZNS0_15exp_kernel_cudaERNS_18TensorIteratorBaseEENKUlvE_clEvENKUlvE0_clEvEUlN3c107complexIfEEE_St5arrayIPcLm2EEEEviT0_T1_.has_indirect_call, or(0, .L_ZN16c10_complex_math3expIfEEN3c107complexIT_EERKS4_.has_indirect_call)
	.section	.AMDGPU.csdata,"",@progbits
; Kernel info:
; codeLenInByte = 976
; TotalNumSgprs: 39
; NumVgprs: 37
; NumAgprs: 0
; TotalNumVgprs: 37
; ScratchSize: 0
; MemoryBound: 0
; FloatMode: 240
; IeeeMode: 1
; LDSByteSize: 0 bytes/workgroup (compile time only)
; SGPRBlocks: 4
; VGPRBlocks: 4
; NumSGPRsForWavesPerEU: 39
; NumVGPRsForWavesPerEU: 37
; AccumOffset: 40
; Occupancy: 8
; WaveLimiterHint : 0
; COMPUTE_PGM_RSRC2:SCRATCH_EN: 0
; COMPUTE_PGM_RSRC2:USER_SGPR: 2
; COMPUTE_PGM_RSRC2:TRAP_HANDLER: 0
; COMPUTE_PGM_RSRC2:TGID_X_EN: 1
; COMPUTE_PGM_RSRC2:TGID_Y_EN: 0
; COMPUTE_PGM_RSRC2:TGID_Z_EN: 0
; COMPUTE_PGM_RSRC2:TIDIG_COMP_CNT: 0
; COMPUTE_PGM_RSRC3_GFX90A:ACCUM_OFFSET: 9
; COMPUTE_PGM_RSRC3_GFX90A:TG_SPLIT: 0
	.section	.text._ZN2at6native29vectorized_elementwise_kernelILi2EZZZNS0_15exp_kernel_cudaERNS_18TensorIteratorBaseEENKUlvE_clEvENKUlvE0_clEvEUlN3c107complexIfEEE_St5arrayIPcLm2EEEEviT0_T1_,"axG",@progbits,_ZN2at6native29vectorized_elementwise_kernelILi2EZZZNS0_15exp_kernel_cudaERNS_18TensorIteratorBaseEENKUlvE_clEvENKUlvE0_clEvEUlN3c107complexIfEEE_St5arrayIPcLm2EEEEviT0_T1_,comdat
	.globl	_ZN2at6native29vectorized_elementwise_kernelILi2EZZZNS0_15exp_kernel_cudaERNS_18TensorIteratorBaseEENKUlvE_clEvENKUlvE0_clEvEUlN3c107complexIfEEE_St5arrayIPcLm2EEEEviT0_T1_ ; -- Begin function _ZN2at6native29vectorized_elementwise_kernelILi2EZZZNS0_15exp_kernel_cudaERNS_18TensorIteratorBaseEENKUlvE_clEvENKUlvE0_clEvEUlN3c107complexIfEEE_St5arrayIPcLm2EEEEviT0_T1_
	.p2align	8
	.type	_ZN2at6native29vectorized_elementwise_kernelILi2EZZZNS0_15exp_kernel_cudaERNS_18TensorIteratorBaseEENKUlvE_clEvENKUlvE0_clEvEUlN3c107complexIfEEE_St5arrayIPcLm2EEEEviT0_T1_,@function
_ZN2at6native29vectorized_elementwise_kernelILi2EZZZNS0_15exp_kernel_cudaERNS_18TensorIteratorBaseEENKUlvE_clEvENKUlvE0_clEvEUlN3c107complexIfEEE_St5arrayIPcLm2EEEEviT0_T1_: ; @_ZN2at6native29vectorized_elementwise_kernelILi2EZZZNS0_15exp_kernel_cudaERNS_18TensorIteratorBaseEENKUlvE_clEvENKUlvE0_clEvEUlN3c107complexIfEEE_St5arrayIPcLm2EEEEviT0_T1_
; %bb.0:
	s_load_dword s3, s[0:1], 0x0
	s_load_dwordx4 s[20:23], s[0:1], 0x8
	s_lshl_b32 s24, s2, 10
	v_mov_b32_e32 v21, v0
	s_mov_b64 s[0:1], -1
	s_waitcnt lgkmcnt(0)
	s_sub_i32 s26, s3, s24
	s_cmpk_gt_i32 s26, 0x3ff
	s_mov_b32 s32, 0
	s_cbranch_scc0 .LBB61_2
; %bb.1:
	s_ashr_i32 s25, s24, 31
	s_lshl_b64 s[18:19], s[24:25], 3
	s_add_u32 s0, s22, s18
	s_addc_u32 s1, s23, s19
	v_lshlrev_b32_e32 v30, 4, v21
	v_mov_b32_e32 v31, 0
	v_lshl_add_u64 v[0:1], s[0:1], 0, v[30:31]
	global_load_dwordx4 v[22:25], v30, s[0:1]
	v_add_co_u32_e32 v0, vcc, 0x1000, v0
	s_getpc_b64 s[28:29]
	s_add_u32 s28, s28, _ZN16c10_complex_math3expIfEEN3c107complexIT_EERKS4_@rel32@lo+4
	s_addc_u32 s29, s29, _ZN16c10_complex_math3expIfEEN3c107complexIT_EERKS4_@rel32@hi+12
	v_addc_co_u32_e32 v1, vcc, 0, v1, vcc
	global_load_dwordx4 v[26:29], v[0:1], off
	s_waitcnt vmcnt(1)
	v_mov_b32_e32 v0, v22
	v_mov_b32_e32 v1, v23
	s_swappc_b64 s[30:31], s[28:29]
	v_mov_b32_e32 v22, v0
	v_mov_b32_e32 v23, v1
	v_mov_b32_e32 v0, v24
	v_mov_b32_e32 v1, v25
	s_swappc_b64 s[30:31], s[28:29]
	v_mov_b32_e32 v24, v0
	v_mov_b32_e32 v25, v1
	;; [unrolled: 5-line block ×3, first 2 shown]
	v_mov_b32_e32 v0, v28
	v_mov_b32_e32 v1, v29
	s_swappc_b64 s[30:31], s[28:29]
	s_add_u32 s0, s20, s18
	s_addc_u32 s1, s21, s19
	v_mov_b32_e32 v28, v0
	v_mov_b32_e32 v29, v1
	v_lshl_add_u64 v[0:1], s[0:1], 0, v[30:31]
	v_add_co_u32_e32 v0, vcc, 0x1000, v0
	global_store_dwordx4 v30, v[22:25], s[0:1]
	s_nop 0
	v_addc_co_u32_e32 v1, vcc, 0, v1, vcc
	global_store_dwordx4 v[0:1], v[26:29], off
	s_mov_b64 s[0:1], 0
.LBB61_2:
	s_andn2_b64 vcc, exec, s[0:1]
	s_cbranch_vccnz .LBB61_23
; %bb.3:
	v_cmp_gt_i32_e64 s[18:19], s26, v21
	v_mov_b32_e32 v22, 0
	v_or_b32_e32 v34, s24, v21
	v_mov_b32_e32 v2, v21
	v_mov_b32_e32 v0, 0
	;; [unrolled: 1-line block ×3, first 2 shown]
	s_and_saveexec_b64 s[0:1], s[18:19]
	s_cbranch_execz .LBB61_5
; %bb.4:
	v_mov_b32_e32 v35, 0
	v_lshl_add_u64 v[0:1], v[34:35], 3, s[22:23]
	global_load_dwordx2 v[0:1], v[0:1], off
	v_or_b32_e32 v2, 0x100, v21
.LBB61_5:
	s_or_b64 exec, exec, s[0:1]
	v_cmp_gt_i32_e32 vcc, s26, v2
	v_mov_b32_e32 v23, 0
	s_and_saveexec_b64 s[0:1], vcc
	s_cbranch_execz .LBB61_7
; %bb.6:
	v_add_u32_e32 v4, s24, v2
	v_mov_b32_e32 v5, 0
	v_lshl_add_u64 v[4:5], v[4:5], 3, s[22:23]
	global_load_dwordx2 v[22:23], v[4:5], off
	v_add_u32_e32 v2, 0x100, v2
.LBB61_7:
	s_or_b64 exec, exec, s[0:1]
	v_cmp_gt_i32_e32 vcc, s26, v2
	v_mov_b32_e32 v24, 0
	v_mov_b32_e32 v30, 0
	v_mov_b32_e32 v31, 0
	s_and_saveexec_b64 s[0:1], vcc
	s_cbranch_execz .LBB61_9
; %bb.8:
	v_add_u32_e32 v4, s24, v2
	v_mov_b32_e32 v5, 0
	v_lshl_add_u64 v[4:5], v[4:5], 3, s[22:23]
	global_load_dwordx2 v[30:31], v[4:5], off
	v_add_u32_e32 v2, 0x100, v2
.LBB61_9:
	s_or_b64 exec, exec, s[0:1]
	v_cmp_gt_i32_e32 vcc, s26, v2
	v_mov_b32_e32 v25, 0
	s_and_saveexec_b64 s[0:1], vcc
	s_cbranch_execz .LBB61_11
; %bb.10:
	v_add_u32_e32 v2, s24, v2
	v_mov_b32_e32 v3, 0
	v_lshl_add_u64 v[2:3], v[2:3], 3, s[22:23]
	global_load_dwordx2 v[24:25], v[2:3], off
.LBB61_11:
	s_or_b64 exec, exec, s[0:1]
	v_mov_b32_e32 v26, 0
	v_mov_b32_e32 v28, 0
	;; [unrolled: 1-line block ×3, first 2 shown]
	s_and_saveexec_b64 s[22:23], s[18:19]
	s_cbranch_execz .LBB61_13
; %bb.12:
	s_getpc_b64 s[0:1]
	s_add_u32 s0, s0, _ZN16c10_complex_math3expIfEEN3c107complexIT_EERKS4_@rel32@lo+4
	s_addc_u32 s1, s1, _ZN16c10_complex_math3expIfEEN3c107complexIT_EERKS4_@rel32@hi+12
	s_swappc_b64 s[30:31], s[0:1]
	v_mov_b32_e32 v28, v0
	v_mov_b32_e32 v29, v1
.LBB61_13:
	s_or_b64 exec, exec, s[22:23]
	v_or_b32_e32 v36, 0x100, v21
	v_cmp_gt_i32_e32 vcc, s26, v36
	v_mov_b32_e32 v27, 0
	s_and_saveexec_b64 s[22:23], vcc
	s_cbranch_execz .LBB61_15
; %bb.14:
	s_getpc_b64 s[0:1]
	s_add_u32 s0, s0, _ZN16c10_complex_math3expIfEEN3c107complexIT_EERKS4_@rel32@lo+4
	s_addc_u32 s1, s1, _ZN16c10_complex_math3expIfEEN3c107complexIT_EERKS4_@rel32@hi+12
	s_waitcnt vmcnt(0)
	v_mov_b32_e32 v0, v22
	v_mov_b32_e32 v1, v23
	s_swappc_b64 s[30:31], s[0:1]
	v_mov_b32_e32 v26, v0
	v_mov_b32_e32 v27, v1
.LBB61_15:
	s_or_b64 exec, exec, s[22:23]
	s_waitcnt vmcnt(0)
	v_or_b32_e32 v0, 0x200, v21
	v_cmp_gt_i32_e32 vcc, s26, v0
	v_mov_b32_e32 v22, 0
	v_mov_b32_e32 v32, 0
	;; [unrolled: 1-line block ×3, first 2 shown]
	s_and_saveexec_b64 s[22:23], vcc
	s_cbranch_execz .LBB61_17
; %bb.16:
	s_getpc_b64 s[0:1]
	s_add_u32 s0, s0, _ZN16c10_complex_math3expIfEEN3c107complexIT_EERKS4_@rel32@lo+4
	s_addc_u32 s1, s1, _ZN16c10_complex_math3expIfEEN3c107complexIT_EERKS4_@rel32@hi+12
	v_mov_b32_e32 v0, v30
	v_mov_b32_e32 v1, v31
	s_swappc_b64 s[30:31], s[0:1]
	v_mov_b32_e32 v32, v0
	v_mov_b32_e32 v33, v1
.LBB61_17:
	s_or_b64 exec, exec, s[22:23]
	v_or_b32_e32 v0, 0x300, v21
	v_cmp_gt_i32_e32 vcc, s26, v0
	v_mov_b32_e32 v23, 0
	s_and_saveexec_b64 s[22:23], vcc
	s_cbranch_execnz .LBB61_24
; %bb.18:
	s_or_b64 exec, exec, s[22:23]
	s_and_saveexec_b64 s[0:1], s[18:19]
	s_xor_b64 s[0:1], exec, s[0:1]
	s_cbranch_execnz .LBB61_25
.LBB61_19:
	s_or_b64 exec, exec, s[0:1]
	v_cmp_gt_i32_e32 vcc, s26, v21
	s_and_saveexec_b64 s[0:1], vcc
	s_cbranch_execnz .LBB61_26
.LBB61_20:
	s_or_b64 exec, exec, s[0:1]
	v_cmp_gt_i32_e32 vcc, s26, v21
	s_and_saveexec_b64 s[0:1], vcc
	s_cbranch_execnz .LBB61_27
.LBB61_21:
	s_or_b64 exec, exec, s[0:1]
	v_cmp_gt_i32_e32 vcc, s26, v21
	s_and_saveexec_b64 s[0:1], vcc
	s_cbranch_execz .LBB61_23
.LBB61_22:
	v_add_u32_e32 v0, s24, v21
	v_mov_b32_e32 v1, 0
	v_lshl_add_u64 v[0:1], v[0:1], 3, s[20:21]
	global_store_dwordx2 v[0:1], v[22:23], off
.LBB61_23:
	s_endpgm
.LBB61_24:
	s_getpc_b64 s[0:1]
	s_add_u32 s0, s0, _ZN16c10_complex_math3expIfEEN3c107complexIT_EERKS4_@rel32@lo+4
	s_addc_u32 s1, s1, _ZN16c10_complex_math3expIfEEN3c107complexIT_EERKS4_@rel32@hi+12
	v_mov_b32_e32 v0, v24
	v_mov_b32_e32 v1, v25
	s_swappc_b64 s[30:31], s[0:1]
	v_mov_b32_e32 v22, v0
	v_mov_b32_e32 v23, v1
	s_or_b64 exec, exec, s[22:23]
	s_and_saveexec_b64 s[0:1], s[18:19]
	s_xor_b64 s[0:1], exec, s[0:1]
	s_cbranch_execz .LBB61_19
.LBB61_25:
	v_mov_b32_e32 v35, 0
	v_lshl_add_u64 v[0:1], v[34:35], 3, s[20:21]
	v_mov_b32_e32 v21, v36
	global_store_dwordx2 v[0:1], v[28:29], off
	s_or_b64 exec, exec, s[0:1]
	v_cmp_gt_i32_e32 vcc, s26, v21
	s_and_saveexec_b64 s[0:1], vcc
	s_cbranch_execz .LBB61_20
.LBB61_26:
	v_add_u32_e32 v2, 0x100, v21
	v_add_u32_e32 v0, s24, v21
	v_mov_b32_e32 v1, 0
	v_lshl_add_u64 v[0:1], v[0:1], 3, s[20:21]
	v_mov_b32_e32 v21, v2
	global_store_dwordx2 v[0:1], v[26:27], off
	s_or_b64 exec, exec, s[0:1]
	v_cmp_gt_i32_e32 vcc, s26, v21
	s_and_saveexec_b64 s[0:1], vcc
	s_cbranch_execz .LBB61_21
.LBB61_27:
	v_add_u32_e32 v2, 0x100, v21
	v_add_u32_e32 v0, s24, v21
	v_mov_b32_e32 v1, 0
	v_lshl_add_u64 v[0:1], v[0:1], 3, s[20:21]
	v_mov_b32_e32 v21, v2
	global_store_dwordx2 v[0:1], v[32:33], off
	s_or_b64 exec, exec, s[0:1]
	v_cmp_gt_i32_e32 vcc, s26, v21
	s_and_saveexec_b64 s[0:1], vcc
	s_cbranch_execnz .LBB61_22
	s_branch .LBB61_23
	.section	.rodata,"a",@progbits
	.p2align	6, 0x0
	.amdhsa_kernel _ZN2at6native29vectorized_elementwise_kernelILi2EZZZNS0_15exp_kernel_cudaERNS_18TensorIteratorBaseEENKUlvE_clEvENKUlvE0_clEvEUlN3c107complexIfEEE_St5arrayIPcLm2EEEEviT0_T1_
		.amdhsa_group_segment_fixed_size 0
		.amdhsa_private_segment_fixed_size 0
		.amdhsa_kernarg_size 24
		.amdhsa_user_sgpr_count 2
		.amdhsa_user_sgpr_dispatch_ptr 0
		.amdhsa_user_sgpr_queue_ptr 0
		.amdhsa_user_sgpr_kernarg_segment_ptr 1
		.amdhsa_user_sgpr_dispatch_id 0
		.amdhsa_user_sgpr_kernarg_preload_length 0
		.amdhsa_user_sgpr_kernarg_preload_offset 0
		.amdhsa_user_sgpr_private_segment_size 0
		.amdhsa_uses_dynamic_stack 0
		.amdhsa_enable_private_segment 0
		.amdhsa_system_sgpr_workgroup_id_x 1
		.amdhsa_system_sgpr_workgroup_id_y 0
		.amdhsa_system_sgpr_workgroup_id_z 0
		.amdhsa_system_sgpr_workgroup_info 0
		.amdhsa_system_vgpr_workitem_id 0
		.amdhsa_next_free_vgpr 37
		.amdhsa_next_free_sgpr 33
		.amdhsa_accum_offset 40
		.amdhsa_reserve_vcc 1
		.amdhsa_float_round_mode_32 0
		.amdhsa_float_round_mode_16_64 0
		.amdhsa_float_denorm_mode_32 3
		.amdhsa_float_denorm_mode_16_64 3
		.amdhsa_dx10_clamp 1
		.amdhsa_ieee_mode 1
		.amdhsa_fp16_overflow 0
		.amdhsa_tg_split 0
		.amdhsa_exception_fp_ieee_invalid_op 0
		.amdhsa_exception_fp_denorm_src 0
		.amdhsa_exception_fp_ieee_div_zero 0
		.amdhsa_exception_fp_ieee_overflow 0
		.amdhsa_exception_fp_ieee_underflow 0
		.amdhsa_exception_fp_ieee_inexact 0
		.amdhsa_exception_int_div_zero 0
	.end_amdhsa_kernel
	.section	.text._ZN2at6native29vectorized_elementwise_kernelILi2EZZZNS0_15exp_kernel_cudaERNS_18TensorIteratorBaseEENKUlvE_clEvENKUlvE0_clEvEUlN3c107complexIfEEE_St5arrayIPcLm2EEEEviT0_T1_,"axG",@progbits,_ZN2at6native29vectorized_elementwise_kernelILi2EZZZNS0_15exp_kernel_cudaERNS_18TensorIteratorBaseEENKUlvE_clEvENKUlvE0_clEvEUlN3c107complexIfEEE_St5arrayIPcLm2EEEEviT0_T1_,comdat
.Lfunc_end61:
	.size	_ZN2at6native29vectorized_elementwise_kernelILi2EZZZNS0_15exp_kernel_cudaERNS_18TensorIteratorBaseEENKUlvE_clEvENKUlvE0_clEvEUlN3c107complexIfEEE_St5arrayIPcLm2EEEEviT0_T1_, .Lfunc_end61-_ZN2at6native29vectorized_elementwise_kernelILi2EZZZNS0_15exp_kernel_cudaERNS_18TensorIteratorBaseEENKUlvE_clEvENKUlvE0_clEvEUlN3c107complexIfEEE_St5arrayIPcLm2EEEEviT0_T1_
                                        ; -- End function
	.set _ZN2at6native29vectorized_elementwise_kernelILi2EZZZNS0_15exp_kernel_cudaERNS_18TensorIteratorBaseEENKUlvE_clEvENKUlvE0_clEvEUlN3c107complexIfEEE_St5arrayIPcLm2EEEEviT0_T1_.num_vgpr, max(37, .L_ZN16c10_complex_math3expIfEEN3c107complexIT_EERKS4_.num_vgpr)
	.set _ZN2at6native29vectorized_elementwise_kernelILi2EZZZNS0_15exp_kernel_cudaERNS_18TensorIteratorBaseEENKUlvE_clEvENKUlvE0_clEvEUlN3c107complexIfEEE_St5arrayIPcLm2EEEEviT0_T1_.num_agpr, max(0, .L_ZN16c10_complex_math3expIfEEN3c107complexIT_EERKS4_.num_agpr)
	.set _ZN2at6native29vectorized_elementwise_kernelILi2EZZZNS0_15exp_kernel_cudaERNS_18TensorIteratorBaseEENKUlvE_clEvENKUlvE0_clEvEUlN3c107complexIfEEE_St5arrayIPcLm2EEEEviT0_T1_.numbered_sgpr, max(33, .L_ZN16c10_complex_math3expIfEEN3c107complexIT_EERKS4_.numbered_sgpr)
	.set _ZN2at6native29vectorized_elementwise_kernelILi2EZZZNS0_15exp_kernel_cudaERNS_18TensorIteratorBaseEENKUlvE_clEvENKUlvE0_clEvEUlN3c107complexIfEEE_St5arrayIPcLm2EEEEviT0_T1_.num_named_barrier, max(0, .L_ZN16c10_complex_math3expIfEEN3c107complexIT_EERKS4_.num_named_barrier)
	.set _ZN2at6native29vectorized_elementwise_kernelILi2EZZZNS0_15exp_kernel_cudaERNS_18TensorIteratorBaseEENKUlvE_clEvENKUlvE0_clEvEUlN3c107complexIfEEE_St5arrayIPcLm2EEEEviT0_T1_.private_seg_size, 0+max(.L_ZN16c10_complex_math3expIfEEN3c107complexIT_EERKS4_.private_seg_size)
	.set _ZN2at6native29vectorized_elementwise_kernelILi2EZZZNS0_15exp_kernel_cudaERNS_18TensorIteratorBaseEENKUlvE_clEvENKUlvE0_clEvEUlN3c107complexIfEEE_St5arrayIPcLm2EEEEviT0_T1_.uses_vcc, or(1, .L_ZN16c10_complex_math3expIfEEN3c107complexIT_EERKS4_.uses_vcc)
	.set _ZN2at6native29vectorized_elementwise_kernelILi2EZZZNS0_15exp_kernel_cudaERNS_18TensorIteratorBaseEENKUlvE_clEvENKUlvE0_clEvEUlN3c107complexIfEEE_St5arrayIPcLm2EEEEviT0_T1_.uses_flat_scratch, or(0, .L_ZN16c10_complex_math3expIfEEN3c107complexIT_EERKS4_.uses_flat_scratch)
	.set _ZN2at6native29vectorized_elementwise_kernelILi2EZZZNS0_15exp_kernel_cudaERNS_18TensorIteratorBaseEENKUlvE_clEvENKUlvE0_clEvEUlN3c107complexIfEEE_St5arrayIPcLm2EEEEviT0_T1_.has_dyn_sized_stack, or(0, .L_ZN16c10_complex_math3expIfEEN3c107complexIT_EERKS4_.has_dyn_sized_stack)
	.set _ZN2at6native29vectorized_elementwise_kernelILi2EZZZNS0_15exp_kernel_cudaERNS_18TensorIteratorBaseEENKUlvE_clEvENKUlvE0_clEvEUlN3c107complexIfEEE_St5arrayIPcLm2EEEEviT0_T1_.has_recursion, or(0, .L_ZN16c10_complex_math3expIfEEN3c107complexIT_EERKS4_.has_recursion)
	.set _ZN2at6native29vectorized_elementwise_kernelILi2EZZZNS0_15exp_kernel_cudaERNS_18TensorIteratorBaseEENKUlvE_clEvENKUlvE0_clEvEUlN3c107complexIfEEE_St5arrayIPcLm2EEEEviT0_T1_.has_indirect_call, or(0, .L_ZN16c10_complex_math3expIfEEN3c107complexIT_EERKS4_.has_indirect_call)
	.section	.AMDGPU.csdata,"",@progbits
; Kernel info:
; codeLenInByte = 1024
; TotalNumSgprs: 39
; NumVgprs: 37
; NumAgprs: 0
; TotalNumVgprs: 37
; ScratchSize: 0
; MemoryBound: 0
; FloatMode: 240
; IeeeMode: 1
; LDSByteSize: 0 bytes/workgroup (compile time only)
; SGPRBlocks: 4
; VGPRBlocks: 4
; NumSGPRsForWavesPerEU: 39
; NumVGPRsForWavesPerEU: 37
; AccumOffset: 40
; Occupancy: 8
; WaveLimiterHint : 1
; COMPUTE_PGM_RSRC2:SCRATCH_EN: 0
; COMPUTE_PGM_RSRC2:USER_SGPR: 2
; COMPUTE_PGM_RSRC2:TRAP_HANDLER: 0
; COMPUTE_PGM_RSRC2:TGID_X_EN: 1
; COMPUTE_PGM_RSRC2:TGID_Y_EN: 0
; COMPUTE_PGM_RSRC2:TGID_Z_EN: 0
; COMPUTE_PGM_RSRC2:TIDIG_COMP_CNT: 0
; COMPUTE_PGM_RSRC3_GFX90A:ACCUM_OFFSET: 9
; COMPUTE_PGM_RSRC3_GFX90A:TG_SPLIT: 0
	.section	.text._ZN2at6native27unrolled_elementwise_kernelIZZZNS0_15exp_kernel_cudaERNS_18TensorIteratorBaseEENKUlvE_clEvENKUlvE0_clEvEUlN3c107complexIfEEE_St5arrayIPcLm2EELi4E23TrivialOffsetCalculatorILi1EjESE_NS0_6memory15LoadWithoutCastENSF_16StoreWithoutCastEEEviT_T0_T2_T3_T4_T5_,"axG",@progbits,_ZN2at6native27unrolled_elementwise_kernelIZZZNS0_15exp_kernel_cudaERNS_18TensorIteratorBaseEENKUlvE_clEvENKUlvE0_clEvEUlN3c107complexIfEEE_St5arrayIPcLm2EELi4E23TrivialOffsetCalculatorILi1EjESE_NS0_6memory15LoadWithoutCastENSF_16StoreWithoutCastEEEviT_T0_T2_T3_T4_T5_,comdat
	.globl	_ZN2at6native27unrolled_elementwise_kernelIZZZNS0_15exp_kernel_cudaERNS_18TensorIteratorBaseEENKUlvE_clEvENKUlvE0_clEvEUlN3c107complexIfEEE_St5arrayIPcLm2EELi4E23TrivialOffsetCalculatorILi1EjESE_NS0_6memory15LoadWithoutCastENSF_16StoreWithoutCastEEEviT_T0_T2_T3_T4_T5_ ; -- Begin function _ZN2at6native27unrolled_elementwise_kernelIZZZNS0_15exp_kernel_cudaERNS_18TensorIteratorBaseEENKUlvE_clEvENKUlvE0_clEvEUlN3c107complexIfEEE_St5arrayIPcLm2EELi4E23TrivialOffsetCalculatorILi1EjESE_NS0_6memory15LoadWithoutCastENSF_16StoreWithoutCastEEEviT_T0_T2_T3_T4_T5_
	.p2align	8
	.type	_ZN2at6native27unrolled_elementwise_kernelIZZZNS0_15exp_kernel_cudaERNS_18TensorIteratorBaseEENKUlvE_clEvENKUlvE0_clEvEUlN3c107complexIfEEE_St5arrayIPcLm2EELi4E23TrivialOffsetCalculatorILi1EjESE_NS0_6memory15LoadWithoutCastENSF_16StoreWithoutCastEEEviT_T0_T2_T3_T4_T5_,@function
_ZN2at6native27unrolled_elementwise_kernelIZZZNS0_15exp_kernel_cudaERNS_18TensorIteratorBaseEENKUlvE_clEvENKUlvE0_clEvEUlN3c107complexIfEEE_St5arrayIPcLm2EELi4E23TrivialOffsetCalculatorILi1EjESE_NS0_6memory15LoadWithoutCastENSF_16StoreWithoutCastEEEviT_T0_T2_T3_T4_T5_: ; @_ZN2at6native27unrolled_elementwise_kernelIZZZNS0_15exp_kernel_cudaERNS_18TensorIteratorBaseEENKUlvE_clEvENKUlvE0_clEvEUlN3c107complexIfEEE_St5arrayIPcLm2EELi4E23TrivialOffsetCalculatorILi1EjESE_NS0_6memory15LoadWithoutCastENSF_16StoreWithoutCastEEEviT_T0_T2_T3_T4_T5_
; %bb.0:
	s_load_dword s3, s[0:1], 0x0
	s_load_dwordx4 s[20:23], s[0:1], 0x8
	s_lshl_b32 s24, s2, 10
	v_mov_b32_e32 v21, v0
	v_mov_b32_e32 v26, 0
	s_waitcnt lgkmcnt(0)
	s_sub_i32 s25, s3, s24
	v_cmp_gt_i32_e64 s[18:19], s25, v21
	v_or_b32_e32 v34, s24, v21
	v_mov_b32_e32 v2, v0
	v_mov_b32_e32 v0, 0
	;; [unrolled: 1-line block ×3, first 2 shown]
	s_mov_b32 s32, 0
	s_and_saveexec_b64 s[0:1], s[18:19]
	s_cbranch_execz .LBB62_2
; %bb.1:
	v_mov_b32_e32 v35, 0
	v_lshl_add_u64 v[0:1], v[34:35], 3, s[22:23]
	global_load_dwordx2 v[0:1], v[0:1], off
	v_or_b32_e32 v2, 0x100, v21
.LBB62_2:
	s_or_b64 exec, exec, s[0:1]
	v_cmp_gt_i32_e32 vcc, s25, v2
	v_mov_b32_e32 v27, 0
	s_and_saveexec_b64 s[0:1], vcc
	s_cbranch_execz .LBB62_4
; %bb.3:
	v_add_u32_e32 v4, s24, v2
	v_mov_b32_e32 v5, 0
	v_lshl_add_u64 v[4:5], v[4:5], 3, s[22:23]
	global_load_dwordx2 v[26:27], v[4:5], off
	v_add_u32_e32 v2, 0x100, v2
.LBB62_4:
	s_or_b64 exec, exec, s[0:1]
	v_cmp_gt_i32_e32 vcc, s25, v2
	v_mov_b32_e32 v24, 0
	v_mov_b32_e32 v30, 0
	;; [unrolled: 1-line block ×3, first 2 shown]
	s_and_saveexec_b64 s[0:1], vcc
	s_cbranch_execz .LBB62_6
; %bb.5:
	v_add_u32_e32 v4, s24, v2
	v_mov_b32_e32 v5, 0
	v_lshl_add_u64 v[4:5], v[4:5], 3, s[22:23]
	global_load_dwordx2 v[30:31], v[4:5], off
	v_add_u32_e32 v2, 0x100, v2
.LBB62_6:
	s_or_b64 exec, exec, s[0:1]
	v_cmp_gt_i32_e32 vcc, s25, v2
	v_mov_b32_e32 v25, 0
	s_and_saveexec_b64 s[0:1], vcc
	s_cbranch_execz .LBB62_8
; %bb.7:
	v_add_u32_e32 v2, s24, v2
	v_mov_b32_e32 v3, 0
	v_lshl_add_u64 v[2:3], v[2:3], 3, s[22:23]
	global_load_dwordx2 v[24:25], v[2:3], off
.LBB62_8:
	s_or_b64 exec, exec, s[0:1]
	v_mov_b32_e32 v22, 0
	v_mov_b32_e32 v28, 0
	;; [unrolled: 1-line block ×3, first 2 shown]
	s_and_saveexec_b64 s[22:23], s[18:19]
	s_cbranch_execz .LBB62_10
; %bb.9:
	s_getpc_b64 s[0:1]
	s_add_u32 s0, s0, _ZN16c10_complex_math3expIfEEN3c107complexIT_EERKS4_@rel32@lo+4
	s_addc_u32 s1, s1, _ZN16c10_complex_math3expIfEEN3c107complexIT_EERKS4_@rel32@hi+12
	s_swappc_b64 s[30:31], s[0:1]
	v_mov_b32_e32 v28, v0
	v_mov_b32_e32 v29, v1
.LBB62_10:
	s_or_b64 exec, exec, s[22:23]
	v_or_b32_e32 v36, 0x100, v21
	v_cmp_gt_i32_e32 vcc, s25, v36
	v_mov_b32_e32 v23, 0
	s_and_saveexec_b64 s[22:23], vcc
	s_cbranch_execz .LBB62_12
; %bb.11:
	s_getpc_b64 s[0:1]
	s_add_u32 s0, s0, _ZN16c10_complex_math3expIfEEN3c107complexIT_EERKS4_@rel32@lo+4
	s_addc_u32 s1, s1, _ZN16c10_complex_math3expIfEEN3c107complexIT_EERKS4_@rel32@hi+12
	s_waitcnt vmcnt(0)
	v_mov_b32_e32 v0, v26
	v_mov_b32_e32 v1, v27
	s_swappc_b64 s[30:31], s[0:1]
	v_mov_b32_e32 v22, v0
	v_mov_b32_e32 v23, v1
.LBB62_12:
	s_or_b64 exec, exec, s[22:23]
	s_waitcnt vmcnt(0)
	v_or_b32_e32 v0, 0x200, v21
	v_cmp_gt_i32_e32 vcc, s25, v0
	v_mov_b32_e32 v26, 0
	v_mov_b32_e32 v32, 0
	;; [unrolled: 1-line block ×3, first 2 shown]
	s_and_saveexec_b64 s[22:23], vcc
	s_cbranch_execz .LBB62_14
; %bb.13:
	s_getpc_b64 s[0:1]
	s_add_u32 s0, s0, _ZN16c10_complex_math3expIfEEN3c107complexIT_EERKS4_@rel32@lo+4
	s_addc_u32 s1, s1, _ZN16c10_complex_math3expIfEEN3c107complexIT_EERKS4_@rel32@hi+12
	v_mov_b32_e32 v0, v30
	v_mov_b32_e32 v1, v31
	s_swappc_b64 s[30:31], s[0:1]
	v_mov_b32_e32 v32, v0
	v_mov_b32_e32 v33, v1
.LBB62_14:
	s_or_b64 exec, exec, s[22:23]
	v_or_b32_e32 v0, 0x300, v21
	v_cmp_gt_i32_e32 vcc, s25, v0
	v_mov_b32_e32 v27, 0
	s_and_saveexec_b64 s[22:23], vcc
	s_cbranch_execnz .LBB62_20
; %bb.15:
	s_or_b64 exec, exec, s[22:23]
	s_and_saveexec_b64 s[0:1], s[18:19]
	s_xor_b64 s[0:1], exec, s[0:1]
	s_cbranch_execnz .LBB62_21
.LBB62_16:
	s_or_b64 exec, exec, s[0:1]
	v_cmp_gt_i32_e32 vcc, s25, v21
	s_and_saveexec_b64 s[0:1], vcc
	s_cbranch_execnz .LBB62_22
.LBB62_17:
	s_or_b64 exec, exec, s[0:1]
	v_cmp_gt_i32_e32 vcc, s25, v21
	s_and_saveexec_b64 s[0:1], vcc
	s_cbranch_execnz .LBB62_23
.LBB62_18:
	s_or_b64 exec, exec, s[0:1]
	v_cmp_gt_i32_e32 vcc, s25, v21
	s_and_saveexec_b64 s[0:1], vcc
	s_cbranch_execnz .LBB62_24
.LBB62_19:
	s_endpgm
.LBB62_20:
	s_getpc_b64 s[0:1]
	s_add_u32 s0, s0, _ZN16c10_complex_math3expIfEEN3c107complexIT_EERKS4_@rel32@lo+4
	s_addc_u32 s1, s1, _ZN16c10_complex_math3expIfEEN3c107complexIT_EERKS4_@rel32@hi+12
	v_mov_b32_e32 v0, v24
	v_mov_b32_e32 v1, v25
	s_swappc_b64 s[30:31], s[0:1]
	v_mov_b32_e32 v26, v0
	v_mov_b32_e32 v27, v1
	s_or_b64 exec, exec, s[22:23]
	s_and_saveexec_b64 s[0:1], s[18:19]
	s_xor_b64 s[0:1], exec, s[0:1]
	s_cbranch_execz .LBB62_16
.LBB62_21:
	v_mov_b32_e32 v35, 0
	v_lshl_add_u64 v[0:1], v[34:35], 3, s[20:21]
	v_mov_b32_e32 v21, v36
	global_store_dwordx2 v[0:1], v[28:29], off
	s_or_b64 exec, exec, s[0:1]
	v_cmp_gt_i32_e32 vcc, s25, v21
	s_and_saveexec_b64 s[0:1], vcc
	s_cbranch_execz .LBB62_17
.LBB62_22:
	v_add_u32_e32 v0, s24, v21
	v_mov_b32_e32 v1, 0
	v_lshl_add_u64 v[0:1], v[0:1], 3, s[20:21]
	v_add_u32_e32 v21, 0x100, v21
	global_store_dwordx2 v[0:1], v[22:23], off
	s_or_b64 exec, exec, s[0:1]
	v_cmp_gt_i32_e32 vcc, s25, v21
	s_and_saveexec_b64 s[0:1], vcc
	s_cbranch_execz .LBB62_18
.LBB62_23:
	v_add_u32_e32 v0, s24, v21
	v_mov_b32_e32 v1, 0
	v_lshl_add_u64 v[0:1], v[0:1], 3, s[20:21]
	v_add_u32_e32 v21, 0x100, v21
	global_store_dwordx2 v[0:1], v[32:33], off
	s_or_b64 exec, exec, s[0:1]
	v_cmp_gt_i32_e32 vcc, s25, v21
	s_and_saveexec_b64 s[0:1], vcc
	s_cbranch_execz .LBB62_19
.LBB62_24:
	v_add_u32_e32 v0, s24, v21
	v_mov_b32_e32 v1, 0
	v_lshl_add_u64 v[0:1], v[0:1], 3, s[20:21]
	global_store_dwordx2 v[0:1], v[26:27], off
	s_endpgm
	.section	.rodata,"a",@progbits
	.p2align	6, 0x0
	.amdhsa_kernel _ZN2at6native27unrolled_elementwise_kernelIZZZNS0_15exp_kernel_cudaERNS_18TensorIteratorBaseEENKUlvE_clEvENKUlvE0_clEvEUlN3c107complexIfEEE_St5arrayIPcLm2EELi4E23TrivialOffsetCalculatorILi1EjESE_NS0_6memory15LoadWithoutCastENSF_16StoreWithoutCastEEEviT_T0_T2_T3_T4_T5_
		.amdhsa_group_segment_fixed_size 0
		.amdhsa_private_segment_fixed_size 0
		.amdhsa_kernarg_size 28
		.amdhsa_user_sgpr_count 2
		.amdhsa_user_sgpr_dispatch_ptr 0
		.amdhsa_user_sgpr_queue_ptr 0
		.amdhsa_user_sgpr_kernarg_segment_ptr 1
		.amdhsa_user_sgpr_dispatch_id 0
		.amdhsa_user_sgpr_kernarg_preload_length 0
		.amdhsa_user_sgpr_kernarg_preload_offset 0
		.amdhsa_user_sgpr_private_segment_size 0
		.amdhsa_uses_dynamic_stack 0
		.amdhsa_enable_private_segment 0
		.amdhsa_system_sgpr_workgroup_id_x 1
		.amdhsa_system_sgpr_workgroup_id_y 0
		.amdhsa_system_sgpr_workgroup_id_z 0
		.amdhsa_system_sgpr_workgroup_info 0
		.amdhsa_system_vgpr_workitem_id 0
		.amdhsa_next_free_vgpr 37
		.amdhsa_next_free_sgpr 33
		.amdhsa_accum_offset 40
		.amdhsa_reserve_vcc 1
		.amdhsa_float_round_mode_32 0
		.amdhsa_float_round_mode_16_64 0
		.amdhsa_float_denorm_mode_32 3
		.amdhsa_float_denorm_mode_16_64 3
		.amdhsa_dx10_clamp 1
		.amdhsa_ieee_mode 1
		.amdhsa_fp16_overflow 0
		.amdhsa_tg_split 0
		.amdhsa_exception_fp_ieee_invalid_op 0
		.amdhsa_exception_fp_denorm_src 0
		.amdhsa_exception_fp_ieee_div_zero 0
		.amdhsa_exception_fp_ieee_overflow 0
		.amdhsa_exception_fp_ieee_underflow 0
		.amdhsa_exception_fp_ieee_inexact 0
		.amdhsa_exception_int_div_zero 0
	.end_amdhsa_kernel
	.section	.text._ZN2at6native27unrolled_elementwise_kernelIZZZNS0_15exp_kernel_cudaERNS_18TensorIteratorBaseEENKUlvE_clEvENKUlvE0_clEvEUlN3c107complexIfEEE_St5arrayIPcLm2EELi4E23TrivialOffsetCalculatorILi1EjESE_NS0_6memory15LoadWithoutCastENSF_16StoreWithoutCastEEEviT_T0_T2_T3_T4_T5_,"axG",@progbits,_ZN2at6native27unrolled_elementwise_kernelIZZZNS0_15exp_kernel_cudaERNS_18TensorIteratorBaseEENKUlvE_clEvENKUlvE0_clEvEUlN3c107complexIfEEE_St5arrayIPcLm2EELi4E23TrivialOffsetCalculatorILi1EjESE_NS0_6memory15LoadWithoutCastENSF_16StoreWithoutCastEEEviT_T0_T2_T3_T4_T5_,comdat
.Lfunc_end62:
	.size	_ZN2at6native27unrolled_elementwise_kernelIZZZNS0_15exp_kernel_cudaERNS_18TensorIteratorBaseEENKUlvE_clEvENKUlvE0_clEvEUlN3c107complexIfEEE_St5arrayIPcLm2EELi4E23TrivialOffsetCalculatorILi1EjESE_NS0_6memory15LoadWithoutCastENSF_16StoreWithoutCastEEEviT_T0_T2_T3_T4_T5_, .Lfunc_end62-_ZN2at6native27unrolled_elementwise_kernelIZZZNS0_15exp_kernel_cudaERNS_18TensorIteratorBaseEENKUlvE_clEvENKUlvE0_clEvEUlN3c107complexIfEEE_St5arrayIPcLm2EELi4E23TrivialOffsetCalculatorILi1EjESE_NS0_6memory15LoadWithoutCastENSF_16StoreWithoutCastEEEviT_T0_T2_T3_T4_T5_
                                        ; -- End function
	.set _ZN2at6native27unrolled_elementwise_kernelIZZZNS0_15exp_kernel_cudaERNS_18TensorIteratorBaseEENKUlvE_clEvENKUlvE0_clEvEUlN3c107complexIfEEE_St5arrayIPcLm2EELi4E23TrivialOffsetCalculatorILi1EjESE_NS0_6memory15LoadWithoutCastENSF_16StoreWithoutCastEEEviT_T0_T2_T3_T4_T5_.num_vgpr, max(37, .L_ZN16c10_complex_math3expIfEEN3c107complexIT_EERKS4_.num_vgpr)
	.set _ZN2at6native27unrolled_elementwise_kernelIZZZNS0_15exp_kernel_cudaERNS_18TensorIteratorBaseEENKUlvE_clEvENKUlvE0_clEvEUlN3c107complexIfEEE_St5arrayIPcLm2EELi4E23TrivialOffsetCalculatorILi1EjESE_NS0_6memory15LoadWithoutCastENSF_16StoreWithoutCastEEEviT_T0_T2_T3_T4_T5_.num_agpr, max(0, .L_ZN16c10_complex_math3expIfEEN3c107complexIT_EERKS4_.num_agpr)
	.set _ZN2at6native27unrolled_elementwise_kernelIZZZNS0_15exp_kernel_cudaERNS_18TensorIteratorBaseEENKUlvE_clEvENKUlvE0_clEvEUlN3c107complexIfEEE_St5arrayIPcLm2EELi4E23TrivialOffsetCalculatorILi1EjESE_NS0_6memory15LoadWithoutCastENSF_16StoreWithoutCastEEEviT_T0_T2_T3_T4_T5_.numbered_sgpr, max(33, .L_ZN16c10_complex_math3expIfEEN3c107complexIT_EERKS4_.numbered_sgpr)
	.set _ZN2at6native27unrolled_elementwise_kernelIZZZNS0_15exp_kernel_cudaERNS_18TensorIteratorBaseEENKUlvE_clEvENKUlvE0_clEvEUlN3c107complexIfEEE_St5arrayIPcLm2EELi4E23TrivialOffsetCalculatorILi1EjESE_NS0_6memory15LoadWithoutCastENSF_16StoreWithoutCastEEEviT_T0_T2_T3_T4_T5_.num_named_barrier, max(0, .L_ZN16c10_complex_math3expIfEEN3c107complexIT_EERKS4_.num_named_barrier)
	.set _ZN2at6native27unrolled_elementwise_kernelIZZZNS0_15exp_kernel_cudaERNS_18TensorIteratorBaseEENKUlvE_clEvENKUlvE0_clEvEUlN3c107complexIfEEE_St5arrayIPcLm2EELi4E23TrivialOffsetCalculatorILi1EjESE_NS0_6memory15LoadWithoutCastENSF_16StoreWithoutCastEEEviT_T0_T2_T3_T4_T5_.private_seg_size, 0+max(.L_ZN16c10_complex_math3expIfEEN3c107complexIT_EERKS4_.private_seg_size)
	.set _ZN2at6native27unrolled_elementwise_kernelIZZZNS0_15exp_kernel_cudaERNS_18TensorIteratorBaseEENKUlvE_clEvENKUlvE0_clEvEUlN3c107complexIfEEE_St5arrayIPcLm2EELi4E23TrivialOffsetCalculatorILi1EjESE_NS0_6memory15LoadWithoutCastENSF_16StoreWithoutCastEEEviT_T0_T2_T3_T4_T5_.uses_vcc, or(1, .L_ZN16c10_complex_math3expIfEEN3c107complexIT_EERKS4_.uses_vcc)
	.set _ZN2at6native27unrolled_elementwise_kernelIZZZNS0_15exp_kernel_cudaERNS_18TensorIteratorBaseEENKUlvE_clEvENKUlvE0_clEvEUlN3c107complexIfEEE_St5arrayIPcLm2EELi4E23TrivialOffsetCalculatorILi1EjESE_NS0_6memory15LoadWithoutCastENSF_16StoreWithoutCastEEEviT_T0_T2_T3_T4_T5_.uses_flat_scratch, or(0, .L_ZN16c10_complex_math3expIfEEN3c107complexIT_EERKS4_.uses_flat_scratch)
	.set _ZN2at6native27unrolled_elementwise_kernelIZZZNS0_15exp_kernel_cudaERNS_18TensorIteratorBaseEENKUlvE_clEvENKUlvE0_clEvEUlN3c107complexIfEEE_St5arrayIPcLm2EELi4E23TrivialOffsetCalculatorILi1EjESE_NS0_6memory15LoadWithoutCastENSF_16StoreWithoutCastEEEviT_T0_T2_T3_T4_T5_.has_dyn_sized_stack, or(0, .L_ZN16c10_complex_math3expIfEEN3c107complexIT_EERKS4_.has_dyn_sized_stack)
	.set _ZN2at6native27unrolled_elementwise_kernelIZZZNS0_15exp_kernel_cudaERNS_18TensorIteratorBaseEENKUlvE_clEvENKUlvE0_clEvEUlN3c107complexIfEEE_St5arrayIPcLm2EELi4E23TrivialOffsetCalculatorILi1EjESE_NS0_6memory15LoadWithoutCastENSF_16StoreWithoutCastEEEviT_T0_T2_T3_T4_T5_.has_recursion, or(0, .L_ZN16c10_complex_math3expIfEEN3c107complexIT_EERKS4_.has_recursion)
	.set _ZN2at6native27unrolled_elementwise_kernelIZZZNS0_15exp_kernel_cudaERNS_18TensorIteratorBaseEENKUlvE_clEvENKUlvE0_clEvEUlN3c107complexIfEEE_St5arrayIPcLm2EELi4E23TrivialOffsetCalculatorILi1EjESE_NS0_6memory15LoadWithoutCastENSF_16StoreWithoutCastEEEviT_T0_T2_T3_T4_T5_.has_indirect_call, or(0, .L_ZN16c10_complex_math3expIfEEN3c107complexIT_EERKS4_.has_indirect_call)
	.section	.AMDGPU.csdata,"",@progbits
; Kernel info:
; codeLenInByte = 780
; TotalNumSgprs: 39
; NumVgprs: 37
; NumAgprs: 0
; TotalNumVgprs: 37
; ScratchSize: 0
; MemoryBound: 0
; FloatMode: 240
; IeeeMode: 1
; LDSByteSize: 0 bytes/workgroup (compile time only)
; SGPRBlocks: 4
; VGPRBlocks: 4
; NumSGPRsForWavesPerEU: 39
; NumVGPRsForWavesPerEU: 37
; AccumOffset: 40
; Occupancy: 8
; WaveLimiterHint : 0
; COMPUTE_PGM_RSRC2:SCRATCH_EN: 0
; COMPUTE_PGM_RSRC2:USER_SGPR: 2
; COMPUTE_PGM_RSRC2:TRAP_HANDLER: 0
; COMPUTE_PGM_RSRC2:TGID_X_EN: 1
; COMPUTE_PGM_RSRC2:TGID_Y_EN: 0
; COMPUTE_PGM_RSRC2:TGID_Z_EN: 0
; COMPUTE_PGM_RSRC2:TIDIG_COMP_CNT: 0
; COMPUTE_PGM_RSRC3_GFX90A:ACCUM_OFFSET: 9
; COMPUTE_PGM_RSRC3_GFX90A:TG_SPLIT: 0
	.section	.text._ZN2at6native32elementwise_kernel_manual_unrollILi128ELi4EZNS0_22gpu_kernel_impl_nocastIZZZNS0_15exp_kernel_cudaERNS_18TensorIteratorBaseEENKUlvE_clEvENKUlvE0_clEvEUlN3c107complexIfEEE_EEvS4_RKT_EUlibE_EEviT1_,"axG",@progbits,_ZN2at6native32elementwise_kernel_manual_unrollILi128ELi4EZNS0_22gpu_kernel_impl_nocastIZZZNS0_15exp_kernel_cudaERNS_18TensorIteratorBaseEENKUlvE_clEvENKUlvE0_clEvEUlN3c107complexIfEEE_EEvS4_RKT_EUlibE_EEviT1_,comdat
	.globl	_ZN2at6native32elementwise_kernel_manual_unrollILi128ELi4EZNS0_22gpu_kernel_impl_nocastIZZZNS0_15exp_kernel_cudaERNS_18TensorIteratorBaseEENKUlvE_clEvENKUlvE0_clEvEUlN3c107complexIfEEE_EEvS4_RKT_EUlibE_EEviT1_ ; -- Begin function _ZN2at6native32elementwise_kernel_manual_unrollILi128ELi4EZNS0_22gpu_kernel_impl_nocastIZZZNS0_15exp_kernel_cudaERNS_18TensorIteratorBaseEENKUlvE_clEvENKUlvE0_clEvEUlN3c107complexIfEEE_EEvS4_RKT_EUlibE_EEviT1_
	.p2align	8
	.type	_ZN2at6native32elementwise_kernel_manual_unrollILi128ELi4EZNS0_22gpu_kernel_impl_nocastIZZZNS0_15exp_kernel_cudaERNS_18TensorIteratorBaseEENKUlvE_clEvENKUlvE0_clEvEUlN3c107complexIfEEE_EEvS4_RKT_EUlibE_EEviT1_,@function
_ZN2at6native32elementwise_kernel_manual_unrollILi128ELi4EZNS0_22gpu_kernel_impl_nocastIZZZNS0_15exp_kernel_cudaERNS_18TensorIteratorBaseEENKUlvE_clEvENKUlvE0_clEvEUlN3c107complexIfEEE_EEvS4_RKT_EUlibE_EEviT1_: ; @_ZN2at6native32elementwise_kernel_manual_unrollILi128ELi4EZNS0_22gpu_kernel_impl_nocastIZZZNS0_15exp_kernel_cudaERNS_18TensorIteratorBaseEENKUlvE_clEvENKUlvE0_clEvEUlN3c107complexIfEEE_EEvS4_RKT_EUlibE_EEviT1_
; %bb.0:
	s_load_dword s55, s[0:1], 0x0
	s_load_dword s33, s[0:1], 0x8
	s_add_u32 s28, s0, 8
	s_addc_u32 s29, s1, 0
	v_lshl_or_b32 v21, s2, 9, v0
	v_or_b32_e32 v2, 0x180, v21
	s_waitcnt lgkmcnt(0)
	s_add_i32 s54, s33, -1
	s_cmp_gt_u32 s54, 1
	v_cmp_le_i32_e32 vcc, s55, v2
	s_cselect_b64 s[34:35], -1, 0
	s_mov_b64 s[24:25], 0
	s_mov_b32 s32, 0
                                        ; implicit-def: $vgpr38_vgpr39
                                        ; implicit-def: $vgpr1
	s_and_saveexec_b64 s[0:1], vcc
	s_xor_b64 s[40:41], exec, s[0:1]
	s_cbranch_execnz .LBB63_4
; %bb.1:
	s_andn2_saveexec_b64 s[26:27], s[40:41]
	s_cbranch_execnz .LBB63_73
.LBB63_2:
	s_or_b64 exec, exec, s[26:27]
	s_and_saveexec_b64 s[0:1], s[24:25]
	s_cbranch_execnz .LBB63_130
.LBB63_3:
	s_endpgm
.LBB63_4:
	s_load_dwordx4 s[36:39], s[28:29], 0x4
	s_load_dwordx2 s[42:43], s[28:29], 0x14
	s_load_dwordx4 s[24:27], s[28:29], 0xc4
	s_load_dwordx4 s[20:23], s[28:29], 0x148
	s_cmp_lg_u32 s33, 0
	s_cselect_b64 s[48:49], -1, 0
	s_add_u32 s46, s28, 0xc4
	s_addc_u32 s47, s29, 0
	s_min_u32 s56, s54, 15
	s_cmp_gt_u32 s33, 1
	s_cselect_b64 s[44:45], -1, 0
	v_cmp_gt_i32_e32 vcc, s55, v21
	s_and_saveexec_b64 s[50:51], vcc
	s_cbranch_execnz .LBB63_7
; %bb.5:
	s_or_b64 exec, exec, s[50:51]
	v_cmp_gt_i32_e32 vcc, s55, v21
	s_and_saveexec_b64 s[50:51], vcc
	s_cbranch_execnz .LBB63_23
.LBB63_6:
	s_or_b64 exec, exec, s[50:51]
	v_cmp_gt_i32_e32 vcc, s55, v21
	s_and_saveexec_b64 s[50:51], vcc
	s_cbranch_execnz .LBB63_39
	s_branch .LBB63_55
.LBB63_7:
	s_andn2_b64 vcc, exec, s[34:35]
	s_cbranch_vccnz .LBB63_13
; %bb.8:
	s_andn2_b64 vcc, exec, s[48:49]
	s_cbranch_vccnz .LBB63_14
; %bb.9:
	s_add_i32 s58, s56, 1
	s_cmp_eq_u32 s54, 2
	s_cbranch_scc1 .LBB63_15
; %bb.10:
	s_and_b32 s57, s58, 28
	s_mov_b32 s59, 0
	v_mov_b32_e32 v22, 0
	v_mov_b32_e32 v0, 0
	s_mov_b64 s[30:31], s[28:29]
	s_mov_b64 s[52:53], s[46:47]
	v_mov_b32_e32 v2, v21
.LBB63_11:                              ; =>This Inner Loop Header: Depth=1
	s_load_dwordx8 s[8:15], s[30:31], 0x4
	s_load_dwordx4 s[16:19], s[30:31], 0x24
	s_load_dwordx8 s[0:7], s[52:53], 0x0
	s_add_u32 s30, s30, 48
	s_addc_u32 s31, s31, 0
	s_waitcnt lgkmcnt(0)
	v_mul_hi_u32 v1, s9, v2
	v_add_u32_e32 v1, v2, v1
	v_lshrrev_b32_e32 v1, s10, v1
	v_mul_lo_u32 v3, v1, s8
	v_mul_hi_u32 v4, s12, v1
	v_sub_u32_e32 v2, v2, v3
	v_add_u32_e32 v3, v1, v4
	v_lshrrev_b32_e32 v3, s13, v3
	v_mul_lo_u32 v5, v3, s11
	v_mul_hi_u32 v6, s15, v3
	v_sub_u32_e32 v1, v1, v5
	v_add_u32_e32 v5, v3, v6
	v_mul_lo_u32 v4, v2, s1
	v_mul_lo_u32 v2, v2, s0
	;; [unrolled: 1-line block ×4, first 2 shown]
	v_lshrrev_b32_e32 v5, s16, v5
	v_add3_u32 v1, v2, v22, v1
	v_add3_u32 v0, v4, v0, v6
	v_mul_lo_u32 v2, v5, s14
	v_mul_hi_u32 v4, s18, v5
	v_sub_u32_e32 v2, v3, v2
	v_add_u32_e32 v3, v5, v4
	v_mul_lo_u32 v4, v2, s4
	v_mul_lo_u32 v6, v2, s5
	v_lshrrev_b32_e32 v2, s19, v3
	s_add_i32 s59, s59, 4
	v_mul_lo_u32 v3, v2, s17
	s_add_u32 s52, s52, 32
	v_sub_u32_e32 v3, v5, v3
	s_addc_u32 s53, s53, 0
	v_mul_lo_u32 v5, v3, s6
	v_mul_lo_u32 v3, v3, s7
	s_cmp_lg_u32 s57, s59
	v_add3_u32 v0, v6, v0, v3
	v_add3_u32 v22, v4, v1, v5
	s_cbranch_scc1 .LBB63_11
; %bb.12:
	v_mov_b32_e32 v1, v0
	s_branch .LBB63_16
.LBB63_13:
                                        ; implicit-def: $vgpr0
                                        ; implicit-def: $vgpr22
	s_branch .LBB63_20
.LBB63_14:
	v_mov_b32_e32 v0, 0
	v_mov_b32_e32 v22, 0
	s_branch .LBB63_19
.LBB63_15:
	v_mov_b32_e32 v22, 0
	s_mov_b32 s57, 0
	v_mov_b32_e32 v1, v22
                                        ; implicit-def: $vgpr0
	v_mov_b32_e32 v2, v21
.LBB63_16:
	s_and_b32 s4, s58, 3
	s_cmp_eq_u32 s4, 0
	s_cbranch_scc1 .LBB63_19
; %bb.17:
	s_lshl_b32 s0, s57, 3
	s_add_u32 s0, s28, s0
	s_addc_u32 s1, s29, 0
	s_add_u32 s0, s0, 0xc4
	s_addc_u32 s1, s1, 0
	s_mul_i32 s2, s57, 12
	s_add_u32 s2, s28, s2
	s_addc_u32 s3, s29, 0
.LBB63_18:                              ; =>This Inner Loop Header: Depth=1
	s_load_dwordx2 s[6:7], s[2:3], 0x4
	s_load_dword s5, s[2:3], 0xc
	s_load_dwordx2 s[8:9], s[0:1], 0x0
	v_mov_b32_e32 v0, v1
	s_add_u32 s2, s2, 12
	s_waitcnt lgkmcnt(0)
	v_mul_hi_u32 v1, s7, v2
	v_add_u32_e32 v1, v2, v1
	v_lshrrev_b32_e32 v1, s5, v1
	s_addc_u32 s3, s3, 0
	v_mul_lo_u32 v3, v1, s6
	s_add_u32 s0, s0, 8
	v_sub_u32_e32 v3, v2, v3
	s_addc_u32 s1, s1, 0
	s_add_i32 s4, s4, -1
	v_mov_b32_e32 v2, v1
	v_mad_u64_u32 v[0:1], s[6:7], v3, s9, v[0:1]
	s_cmp_lg_u32 s4, 0
	v_mad_u64_u32 v[22:23], s[6:7], v3, s8, v[22:23]
	v_mov_b32_e32 v1, v0
	s_cbranch_scc1 .LBB63_18
.LBB63_19:
	s_cbranch_execnz .LBB63_22
.LBB63_20:
	s_waitcnt lgkmcnt(0)
	v_mul_hi_u32 v0, s37, v21
	v_add_u32_e32 v0, v21, v0
	v_lshrrev_b32_e32 v1, s38, v0
	v_mul_lo_u32 v0, v1, s36
	v_sub_u32_e32 v2, v21, v0
	v_mul_lo_u32 v0, v2, s25
	s_andn2_b64 vcc, exec, s[44:45]
	v_mul_lo_u32 v22, v2, s24
	s_cbranch_vccnz .LBB63_22
; %bb.21:
	v_mul_hi_u32 v2, s42, v1
	v_add_u32_e32 v2, v1, v2
	v_lshrrev_b32_e32 v2, s43, v2
	v_mul_lo_u32 v2, v2, s39
	v_sub_u32_e32 v1, v1, v2
	v_mad_u64_u32 v[22:23], s[0:1], v1, s26, v[22:23]
	v_mad_u64_u32 v[0:1], s[0:1], v1, s27, v[0:1]
.LBB63_22:
	s_waitcnt lgkmcnt(0)
	global_load_dwordx2 v[0:1], v0, s[22:23]
	s_getpc_b64 s[0:1]
	s_add_u32 s0, s0, _ZN16c10_complex_math3expIfEEN3c107complexIT_EERKS4_@rel32@lo+4
	s_addc_u32 s1, s1, _ZN16c10_complex_math3expIfEEN3c107complexIT_EERKS4_@rel32@hi+12
	s_swappc_b64 s[30:31], s[0:1]
	v_add_u32_e32 v21, 0x80, v21
	global_store_dwordx2 v22, v[0:1], s[20:21]
	s_or_b64 exec, exec, s[50:51]
	v_cmp_gt_i32_e32 vcc, s55, v21
	s_and_saveexec_b64 s[50:51], vcc
	s_cbranch_execz .LBB63_6
.LBB63_23:
	s_andn2_b64 vcc, exec, s[34:35]
	s_cbranch_vccnz .LBB63_29
; %bb.24:
	s_andn2_b64 vcc, exec, s[48:49]
	s_cbranch_vccnz .LBB63_30
; %bb.25:
	s_add_i32 s58, s56, 1
	s_cmp_eq_u32 s54, 2
	s_cbranch_scc1 .LBB63_31
; %bb.26:
	s_and_b32 s57, s58, 28
	s_mov_b32 s59, 0
	v_mov_b32_e32 v22, 0
	v_mov_b32_e32 v0, 0
	s_mov_b64 s[30:31], s[28:29]
	s_mov_b64 s[52:53], s[46:47]
	v_mov_b32_e32 v2, v21
.LBB63_27:                              ; =>This Inner Loop Header: Depth=1
	s_load_dwordx8 s[8:15], s[30:31], 0x4
	s_load_dwordx4 s[16:19], s[30:31], 0x24
	s_load_dwordx8 s[0:7], s[52:53], 0x0
	s_add_u32 s30, s30, 48
	s_addc_u32 s31, s31, 0
	s_waitcnt lgkmcnt(0)
	v_mul_hi_u32 v1, s9, v2
	v_add_u32_e32 v1, v2, v1
	v_lshrrev_b32_e32 v1, s10, v1
	v_mul_lo_u32 v3, v1, s8
	v_mul_hi_u32 v4, s12, v1
	v_sub_u32_e32 v2, v2, v3
	v_add_u32_e32 v3, v1, v4
	v_lshrrev_b32_e32 v3, s13, v3
	v_mul_lo_u32 v5, v3, s11
	v_mul_hi_u32 v6, s15, v3
	v_sub_u32_e32 v1, v1, v5
	v_add_u32_e32 v5, v3, v6
	v_mul_lo_u32 v4, v2, s1
	v_mul_lo_u32 v2, v2, s0
	;; [unrolled: 1-line block ×4, first 2 shown]
	v_lshrrev_b32_e32 v5, s16, v5
	v_add3_u32 v1, v2, v22, v1
	v_add3_u32 v0, v4, v0, v6
	v_mul_lo_u32 v2, v5, s14
	v_mul_hi_u32 v4, s18, v5
	v_sub_u32_e32 v2, v3, v2
	v_add_u32_e32 v3, v5, v4
	v_mul_lo_u32 v4, v2, s4
	v_mul_lo_u32 v6, v2, s5
	v_lshrrev_b32_e32 v2, s19, v3
	s_add_i32 s59, s59, 4
	v_mul_lo_u32 v3, v2, s17
	s_add_u32 s52, s52, 32
	v_sub_u32_e32 v3, v5, v3
	s_addc_u32 s53, s53, 0
	v_mul_lo_u32 v5, v3, s6
	v_mul_lo_u32 v3, v3, s7
	s_cmp_eq_u32 s57, s59
	v_add3_u32 v0, v6, v0, v3
	v_add3_u32 v22, v4, v1, v5
	s_cbranch_scc0 .LBB63_27
; %bb.28:
	v_mov_b32_e32 v1, v0
	s_branch .LBB63_32
.LBB63_29:
                                        ; implicit-def: $vgpr0
                                        ; implicit-def: $vgpr22
	s_branch .LBB63_36
.LBB63_30:
	v_mov_b32_e32 v0, 0
	v_mov_b32_e32 v22, 0
	s_branch .LBB63_35
.LBB63_31:
	v_mov_b32_e32 v22, 0
	s_mov_b32 s57, 0
	v_mov_b32_e32 v1, v22
                                        ; implicit-def: $vgpr0
	v_mov_b32_e32 v2, v21
.LBB63_32:
	s_and_b32 s4, s58, 3
	s_cmp_eq_u32 s4, 0
	s_cbranch_scc1 .LBB63_35
; %bb.33:
	s_lshl_b32 s0, s57, 3
	s_add_u32 s0, s28, s0
	s_addc_u32 s1, s29, 0
	s_add_u32 s0, s0, 0xc4
	s_addc_u32 s1, s1, 0
	s_mul_i32 s2, s57, 12
	s_add_u32 s2, s28, s2
	s_addc_u32 s3, s29, 0
.LBB63_34:                              ; =>This Inner Loop Header: Depth=1
	s_load_dwordx2 s[6:7], s[2:3], 0x4
	s_load_dword s5, s[2:3], 0xc
	s_load_dwordx2 s[8:9], s[0:1], 0x0
	v_mov_b32_e32 v0, v1
	s_add_u32 s2, s2, 12
	s_waitcnt lgkmcnt(0)
	v_mul_hi_u32 v1, s7, v2
	v_add_u32_e32 v1, v2, v1
	v_lshrrev_b32_e32 v1, s5, v1
	s_addc_u32 s3, s3, 0
	v_mul_lo_u32 v3, v1, s6
	s_add_u32 s0, s0, 8
	v_sub_u32_e32 v3, v2, v3
	s_addc_u32 s1, s1, 0
	s_add_i32 s4, s4, -1
	v_mov_b32_e32 v2, v1
	v_mad_u64_u32 v[0:1], s[6:7], v3, s9, v[0:1]
	s_cmp_lg_u32 s4, 0
	v_mad_u64_u32 v[22:23], s[6:7], v3, s8, v[22:23]
	v_mov_b32_e32 v1, v0
	s_cbranch_scc1 .LBB63_34
.LBB63_35:
	s_cbranch_execnz .LBB63_38
.LBB63_36:
	s_waitcnt lgkmcnt(0)
	v_mul_hi_u32 v0, s37, v21
	v_add_u32_e32 v0, v21, v0
	v_lshrrev_b32_e32 v1, s38, v0
	v_mul_lo_u32 v0, v1, s36
	v_sub_u32_e32 v2, v21, v0
	v_mul_lo_u32 v0, v2, s25
	s_andn2_b64 vcc, exec, s[44:45]
	v_mul_lo_u32 v22, v2, s24
	s_cbranch_vccnz .LBB63_38
; %bb.37:
	v_mul_hi_u32 v2, s42, v1
	v_add_u32_e32 v2, v1, v2
	v_lshrrev_b32_e32 v2, s43, v2
	v_mul_lo_u32 v2, v2, s39
	v_sub_u32_e32 v1, v1, v2
	v_mad_u64_u32 v[22:23], s[0:1], v1, s26, v[22:23]
	v_mad_u64_u32 v[0:1], s[0:1], v1, s27, v[0:1]
.LBB63_38:
	s_waitcnt lgkmcnt(0)
	global_load_dwordx2 v[0:1], v0, s[22:23]
	s_getpc_b64 s[0:1]
	s_add_u32 s0, s0, _ZN16c10_complex_math3expIfEEN3c107complexIT_EERKS4_@rel32@lo+4
	s_addc_u32 s1, s1, _ZN16c10_complex_math3expIfEEN3c107complexIT_EERKS4_@rel32@hi+12
	s_swappc_b64 s[30:31], s[0:1]
	v_add_u32_e32 v21, 0x80, v21
	global_store_dwordx2 v22, v[0:1], s[20:21]
	s_or_b64 exec, exec, s[50:51]
	v_cmp_gt_i32_e32 vcc, s55, v21
	s_and_saveexec_b64 s[50:51], vcc
	s_cbranch_execz .LBB63_55
.LBB63_39:
	s_andn2_b64 vcc, exec, s[34:35]
	s_cbranch_vccnz .LBB63_45
; %bb.40:
	s_andn2_b64 vcc, exec, s[48:49]
	s_cbranch_vccnz .LBB63_46
; %bb.41:
	s_add_i32 s58, s56, 1
	s_cmp_eq_u32 s54, 2
	s_cbranch_scc1 .LBB63_47
; %bb.42:
	s_and_b32 s57, s58, 28
	s_mov_b32 s59, 0
	v_mov_b32_e32 v22, 0
	v_mov_b32_e32 v0, 0
	s_mov_b64 s[30:31], s[28:29]
	s_mov_b64 s[52:53], s[46:47]
	v_mov_b32_e32 v2, v21
.LBB63_43:                              ; =>This Inner Loop Header: Depth=1
	s_load_dwordx8 s[8:15], s[30:31], 0x4
	s_load_dwordx4 s[16:19], s[30:31], 0x24
	s_load_dwordx8 s[0:7], s[52:53], 0x0
	s_add_u32 s30, s30, 48
	s_addc_u32 s31, s31, 0
	s_waitcnt lgkmcnt(0)
	v_mul_hi_u32 v1, s9, v2
	v_add_u32_e32 v1, v2, v1
	v_lshrrev_b32_e32 v1, s10, v1
	v_mul_lo_u32 v3, v1, s8
	v_mul_hi_u32 v4, s12, v1
	v_sub_u32_e32 v2, v2, v3
	v_add_u32_e32 v3, v1, v4
	v_lshrrev_b32_e32 v3, s13, v3
	v_mul_lo_u32 v5, v3, s11
	v_mul_hi_u32 v6, s15, v3
	v_sub_u32_e32 v1, v1, v5
	v_add_u32_e32 v5, v3, v6
	v_mul_lo_u32 v4, v2, s1
	v_mul_lo_u32 v2, v2, s0
	;; [unrolled: 1-line block ×4, first 2 shown]
	v_lshrrev_b32_e32 v5, s16, v5
	v_add3_u32 v1, v2, v22, v1
	v_add3_u32 v0, v4, v0, v6
	v_mul_lo_u32 v2, v5, s14
	v_mul_hi_u32 v4, s18, v5
	v_sub_u32_e32 v2, v3, v2
	v_add_u32_e32 v3, v5, v4
	v_mul_lo_u32 v4, v2, s4
	v_mul_lo_u32 v6, v2, s5
	v_lshrrev_b32_e32 v2, s19, v3
	s_add_i32 s59, s59, 4
	v_mul_lo_u32 v3, v2, s17
	s_add_u32 s52, s52, 32
	v_sub_u32_e32 v3, v5, v3
	s_addc_u32 s53, s53, 0
	v_mul_lo_u32 v5, v3, s6
	v_mul_lo_u32 v3, v3, s7
	s_cmp_eq_u32 s57, s59
	v_add3_u32 v0, v6, v0, v3
	v_add3_u32 v22, v4, v1, v5
	s_cbranch_scc0 .LBB63_43
; %bb.44:
	v_mov_b32_e32 v1, v0
	s_branch .LBB63_48
.LBB63_45:
                                        ; implicit-def: $vgpr0
                                        ; implicit-def: $vgpr22
	s_branch .LBB63_52
.LBB63_46:
	v_mov_b32_e32 v0, 0
	v_mov_b32_e32 v22, 0
	s_branch .LBB63_51
.LBB63_47:
	v_mov_b32_e32 v22, 0
	s_mov_b32 s57, 0
	v_mov_b32_e32 v1, v22
                                        ; implicit-def: $vgpr0
	v_mov_b32_e32 v2, v21
.LBB63_48:
	s_and_b32 s4, s58, 3
	s_cmp_eq_u32 s4, 0
	s_cbranch_scc1 .LBB63_51
; %bb.49:
	s_lshl_b32 s0, s57, 3
	s_add_u32 s0, s28, s0
	s_addc_u32 s1, s29, 0
	s_add_u32 s0, s0, 0xc4
	s_addc_u32 s1, s1, 0
	s_mul_i32 s2, s57, 12
	s_add_u32 s2, s28, s2
	s_addc_u32 s3, s29, 0
.LBB63_50:                              ; =>This Inner Loop Header: Depth=1
	s_load_dwordx2 s[6:7], s[2:3], 0x4
	s_load_dword s5, s[2:3], 0xc
	s_load_dwordx2 s[8:9], s[0:1], 0x0
	v_mov_b32_e32 v0, v1
	s_add_u32 s2, s2, 12
	s_waitcnt lgkmcnt(0)
	v_mul_hi_u32 v1, s7, v2
	v_add_u32_e32 v1, v2, v1
	v_lshrrev_b32_e32 v1, s5, v1
	s_addc_u32 s3, s3, 0
	v_mul_lo_u32 v3, v1, s6
	s_add_u32 s0, s0, 8
	v_sub_u32_e32 v3, v2, v3
	s_addc_u32 s1, s1, 0
	s_add_i32 s4, s4, -1
	v_mov_b32_e32 v2, v1
	v_mad_u64_u32 v[0:1], s[6:7], v3, s9, v[0:1]
	s_cmp_lg_u32 s4, 0
	v_mad_u64_u32 v[22:23], s[6:7], v3, s8, v[22:23]
	v_mov_b32_e32 v1, v0
	s_cbranch_scc1 .LBB63_50
.LBB63_51:
	s_cbranch_execnz .LBB63_54
.LBB63_52:
	s_waitcnt lgkmcnt(0)
	v_mul_hi_u32 v0, s37, v21
	v_add_u32_e32 v0, v21, v0
	v_lshrrev_b32_e32 v1, s38, v0
	v_mul_lo_u32 v0, v1, s36
	v_sub_u32_e32 v2, v21, v0
	v_mul_lo_u32 v0, v2, s25
	s_andn2_b64 vcc, exec, s[44:45]
	v_mul_lo_u32 v22, v2, s24
	s_cbranch_vccnz .LBB63_54
; %bb.53:
	v_mul_hi_u32 v2, s42, v1
	v_add_u32_e32 v2, v1, v2
	v_lshrrev_b32_e32 v2, s43, v2
	v_mul_lo_u32 v2, v2, s39
	v_sub_u32_e32 v1, v1, v2
	v_mad_u64_u32 v[22:23], s[0:1], v1, s26, v[22:23]
	v_mad_u64_u32 v[0:1], s[0:1], v1, s27, v[0:1]
.LBB63_54:
	s_waitcnt lgkmcnt(0)
	global_load_dwordx2 v[0:1], v0, s[22:23]
	s_getpc_b64 s[0:1]
	s_add_u32 s0, s0, _ZN16c10_complex_math3expIfEEN3c107complexIT_EERKS4_@rel32@lo+4
	s_addc_u32 s1, s1, _ZN16c10_complex_math3expIfEEN3c107complexIT_EERKS4_@rel32@hi+12
	s_swappc_b64 s[30:31], s[0:1]
	v_add_u32_e32 v21, 0x80, v21
	global_store_dwordx2 v22, v[0:1], s[20:21]
.LBB63_55:
	s_or_b64 exec, exec, s[50:51]
	v_cmp_gt_i32_e32 vcc, s55, v21
	s_mov_b64 s[0:1], 0
                                        ; implicit-def: $vgpr38_vgpr39
                                        ; implicit-def: $vgpr1
	s_and_saveexec_b64 s[50:51], vcc
	s_cbranch_execz .LBB63_72
; %bb.56:
	s_andn2_b64 vcc, exec, s[34:35]
	s_cbranch_vccnz .LBB63_62
; %bb.57:
	s_andn2_b64 vcc, exec, s[48:49]
	s_cbranch_vccnz .LBB63_63
; %bb.58:
	s_add_i32 s56, s56, 1
	s_cmp_eq_u32 s54, 2
	s_cbranch_scc1 .LBB63_64
; %bb.59:
	s_and_b32 s48, s56, 28
	s_mov_b32 s49, 0
	v_mov_b32_e32 v22, 0
	v_mov_b32_e32 v0, 0
	s_mov_b64 s[30:31], s[28:29]
	v_mov_b32_e32 v2, v21
.LBB63_60:                              ; =>This Inner Loop Header: Depth=1
	s_load_dwordx8 s[8:15], s[30:31], 0x4
	s_load_dwordx4 s[16:19], s[30:31], 0x24
	s_load_dwordx8 s[0:7], s[46:47], 0x0
	s_add_u32 s30, s30, 48
	s_addc_u32 s31, s31, 0
	s_waitcnt lgkmcnt(0)
	v_mul_hi_u32 v1, s9, v2
	v_add_u32_e32 v1, v2, v1
	v_lshrrev_b32_e32 v1, s10, v1
	v_mul_lo_u32 v3, v1, s8
	v_mul_hi_u32 v4, s12, v1
	v_sub_u32_e32 v2, v2, v3
	v_add_u32_e32 v3, v1, v4
	v_lshrrev_b32_e32 v3, s13, v3
	v_mul_lo_u32 v5, v3, s11
	v_mul_hi_u32 v6, s15, v3
	v_sub_u32_e32 v1, v1, v5
	v_add_u32_e32 v5, v3, v6
	v_mul_lo_u32 v4, v2, s1
	v_mul_lo_u32 v2, v2, s0
	;; [unrolled: 1-line block ×4, first 2 shown]
	v_lshrrev_b32_e32 v5, s16, v5
	v_add3_u32 v1, v2, v22, v1
	v_add3_u32 v0, v4, v0, v6
	v_mul_lo_u32 v2, v5, s14
	v_mul_hi_u32 v4, s18, v5
	v_sub_u32_e32 v2, v3, v2
	v_add_u32_e32 v3, v5, v4
	v_mul_lo_u32 v4, v2, s4
	v_mul_lo_u32 v6, v2, s5
	v_lshrrev_b32_e32 v2, s19, v3
	s_add_i32 s49, s49, 4
	v_mul_lo_u32 v3, v2, s17
	s_add_u32 s46, s46, 32
	v_sub_u32_e32 v3, v5, v3
	s_addc_u32 s47, s47, 0
	v_mul_lo_u32 v5, v3, s6
	v_mul_lo_u32 v3, v3, s7
	s_cmp_eq_u32 s48, s49
	v_add3_u32 v0, v6, v0, v3
	v_add3_u32 v22, v4, v1, v5
	s_cbranch_scc0 .LBB63_60
; %bb.61:
	v_mov_b32_e32 v1, v0
	s_branch .LBB63_65
.LBB63_62:
                                        ; implicit-def: $vgpr0
                                        ; implicit-def: $vgpr22
	s_branch .LBB63_69
.LBB63_63:
	v_mov_b32_e32 v0, 0
	v_mov_b32_e32 v22, 0
	s_branch .LBB63_68
.LBB63_64:
	v_mov_b32_e32 v22, 0
	s_mov_b32 s48, 0
	v_mov_b32_e32 v1, v22
                                        ; implicit-def: $vgpr0
	v_mov_b32_e32 v2, v21
.LBB63_65:
	s_and_b32 s4, s56, 3
	s_cmp_eq_u32 s4, 0
	s_cbranch_scc1 .LBB63_68
; %bb.66:
	s_lshl_b32 s0, s48, 3
	s_add_u32 s0, s28, s0
	s_addc_u32 s1, s29, 0
	s_add_u32 s0, s0, 0xc4
	s_addc_u32 s1, s1, 0
	s_mul_i32 s2, s48, 12
	s_add_u32 s2, s28, s2
	s_addc_u32 s3, s29, 0
.LBB63_67:                              ; =>This Inner Loop Header: Depth=1
	s_load_dwordx2 s[6:7], s[2:3], 0x4
	s_load_dword s5, s[2:3], 0xc
	s_load_dwordx2 s[8:9], s[0:1], 0x0
	v_mov_b32_e32 v0, v1
	s_add_u32 s2, s2, 12
	s_waitcnt lgkmcnt(0)
	v_mul_hi_u32 v1, s7, v2
	v_add_u32_e32 v1, v2, v1
	v_lshrrev_b32_e32 v1, s5, v1
	s_addc_u32 s3, s3, 0
	v_mul_lo_u32 v3, v1, s6
	s_add_u32 s0, s0, 8
	v_sub_u32_e32 v3, v2, v3
	s_addc_u32 s1, s1, 0
	s_add_i32 s4, s4, -1
	v_mov_b32_e32 v2, v1
	v_mad_u64_u32 v[0:1], s[6:7], v3, s9, v[0:1]
	s_cmp_lg_u32 s4, 0
	v_mad_u64_u32 v[22:23], s[6:7], v3, s8, v[22:23]
	v_mov_b32_e32 v1, v0
	s_cbranch_scc1 .LBB63_67
.LBB63_68:
	s_cbranch_execnz .LBB63_71
.LBB63_69:
	s_waitcnt lgkmcnt(0)
	v_mul_hi_u32 v0, s37, v21
	v_add_u32_e32 v0, v21, v0
	v_lshrrev_b32_e32 v1, s38, v0
	v_mul_lo_u32 v0, v1, s36
	v_sub_u32_e32 v2, v21, v0
	v_mul_lo_u32 v0, v2, s25
	s_andn2_b64 vcc, exec, s[44:45]
	v_mul_lo_u32 v22, v2, s24
	s_cbranch_vccnz .LBB63_71
; %bb.70:
	v_mul_hi_u32 v2, s42, v1
	v_add_u32_e32 v2, v1, v2
	v_lshrrev_b32_e32 v2, s43, v2
	v_mul_lo_u32 v2, v2, s39
	v_sub_u32_e32 v1, v1, v2
	v_mad_u64_u32 v[22:23], s[0:1], v1, s26, v[22:23]
	v_mad_u64_u32 v[0:1], s[0:1], v1, s27, v[0:1]
.LBB63_71:
	s_waitcnt lgkmcnt(0)
	global_load_dwordx2 v[0:1], v0, s[22:23]
	v_mov_b32_e32 v23, 0
	s_getpc_b64 s[0:1]
	s_add_u32 s0, s0, _ZN16c10_complex_math3expIfEEN3c107complexIT_EERKS4_@rel32@lo+4
	s_addc_u32 s1, s1, _ZN16c10_complex_math3expIfEEN3c107complexIT_EERKS4_@rel32@hi+12
	v_lshl_add_u64 v[38:39], s[20:21], 0, v[22:23]
	s_swappc_b64 s[30:31], s[0:1]
	s_mov_b64 s[0:1], exec
	global_store_dword v22, v0, s[20:21]
.LBB63_72:
	s_or_b64 exec, exec, s[50:51]
	s_waitcnt lgkmcnt(0)
	s_and_b64 s[24:25], s[0:1], exec
                                        ; implicit-def: $vgpr2
                                        ; implicit-def: $vgpr21
	s_andn2_saveexec_b64 s[26:27], s[40:41]
	s_cbranch_execz .LBB63_2
.LBB63_73:
	v_cndmask_b32_e64 v0, 0, 1, s[34:35]
	v_cmp_ne_u32_e64 s[0:1], 1, v0
	s_andn2_b64 vcc, exec, s[34:35]
	s_cbranch_vccnz .LBB63_79
; %bb.74:
	s_cmp_lg_u32 s33, 0
	s_mov_b32 s34, 0
	s_cbranch_scc0 .LBB63_80
; %bb.75:
	s_min_u32 s35, s54, 15
	s_add_i32 s35, s35, 1
	s_cmp_eq_u32 s54, 2
	s_cbranch_scc1 .LBB63_81
; %bb.76:
	s_and_b32 s34, s35, 28
	s_add_u32 s2, s28, 0xc4
	s_addc_u32 s3, s29, 0
	s_mov_b32 s36, 0
	v_mov_b32_e32 v28, 0
	v_mov_b32_e32 v0, 0
	s_mov_b64 s[30:31], s[28:29]
	v_mov_b32_e32 v3, v21
.LBB63_77:                              ; =>This Inner Loop Header: Depth=1
	s_load_dwordx8 s[12:19], s[30:31], 0x4
	s_load_dwordx4 s[20:23], s[30:31], 0x24
	s_load_dwordx8 s[4:11], s[2:3], 0x0
	s_add_u32 s30, s30, 48
	s_addc_u32 s31, s31, 0
	s_waitcnt lgkmcnt(0)
	v_mul_hi_u32 v1, s13, v3
	v_add_u32_e32 v1, v3, v1
	v_lshrrev_b32_e32 v1, s14, v1
	v_mul_lo_u32 v4, v1, s12
	v_mul_hi_u32 v5, s16, v1
	v_sub_u32_e32 v3, v3, v4
	v_add_u32_e32 v4, v1, v5
	v_lshrrev_b32_e32 v4, s17, v4
	v_mul_lo_u32 v6, v4, s15
	v_mul_hi_u32 v7, s19, v4
	v_sub_u32_e32 v1, v1, v6
	v_add_u32_e32 v6, v4, v7
	v_mul_lo_u32 v5, v3, s5
	v_mul_lo_u32 v3, v3, s4
	;; [unrolled: 1-line block ×4, first 2 shown]
	v_lshrrev_b32_e32 v6, s20, v6
	v_add3_u32 v1, v3, v28, v1
	v_add3_u32 v0, v5, v0, v7
	v_mul_lo_u32 v3, v6, s18
	v_mul_hi_u32 v5, s22, v6
	v_sub_u32_e32 v3, v4, v3
	v_add_u32_e32 v4, v6, v5
	v_mul_lo_u32 v5, v3, s8
	v_mul_lo_u32 v7, v3, s9
	v_lshrrev_b32_e32 v3, s23, v4
	s_add_i32 s36, s36, 4
	v_mul_lo_u32 v4, v3, s21
	s_add_u32 s2, s2, 32
	v_sub_u32_e32 v4, v6, v4
	s_addc_u32 s3, s3, 0
	v_mul_lo_u32 v6, v4, s10
	v_mul_lo_u32 v4, v4, s11
	s_cmp_lg_u32 s34, s36
	v_add3_u32 v0, v7, v0, v4
	v_add3_u32 v28, v5, v1, v6
	s_cbranch_scc1 .LBB63_77
; %bb.78:
	v_mov_b32_e32 v1, v0
	s_and_b32 s6, s35, 3
	s_cmp_eq_u32 s6, 0
	s_cbranch_scc0 .LBB63_82
	s_branch .LBB63_84
.LBB63_79:
                                        ; implicit-def: $vgpr0
                                        ; implicit-def: $vgpr28
	s_branch .LBB63_85
.LBB63_80:
	v_mov_b32_e32 v0, 0
	v_mov_b32_e32 v28, 0
	s_branch .LBB63_84
.LBB63_81:
	v_mov_b32_e32 v28, 0
                                        ; implicit-def: $vgpr0
	v_mov_b32_e32 v1, v28
	v_mov_b32_e32 v3, v21
	s_and_b32 s6, s35, 3
	s_cmp_eq_u32 s6, 0
	s_cbranch_scc1 .LBB63_84
.LBB63_82:
	s_lshl_b32 s2, s34, 3
	s_add_u32 s2, s28, s2
	s_addc_u32 s3, s29, 0
	s_add_u32 s2, s2, 0xc4
	s_addc_u32 s3, s3, 0
	s_mul_i32 s4, s34, 12
	s_add_u32 s4, s28, s4
	s_addc_u32 s5, s29, 0
.LBB63_83:                              ; =>This Inner Loop Header: Depth=1
	s_load_dwordx2 s[8:9], s[4:5], 0x4
	s_load_dword s7, s[4:5], 0xc
	s_load_dwordx2 s[10:11], s[2:3], 0x0
	v_mov_b32_e32 v0, v1
	s_add_u32 s4, s4, 12
	s_waitcnt lgkmcnt(0)
	v_mul_hi_u32 v1, s9, v3
	v_add_u32_e32 v1, v3, v1
	v_lshrrev_b32_e32 v1, s7, v1
	s_addc_u32 s5, s5, 0
	v_mul_lo_u32 v4, v1, s8
	s_add_u32 s2, s2, 8
	v_sub_u32_e32 v4, v3, v4
	s_addc_u32 s3, s3, 0
	s_add_i32 s6, s6, -1
	v_mov_b32_e32 v3, v1
	v_mad_u64_u32 v[0:1], s[8:9], v4, s11, v[0:1]
	s_cmp_lg_u32 s6, 0
	v_mad_u64_u32 v[28:29], s[8:9], v4, s10, v[28:29]
	v_mov_b32_e32 v1, v0
	s_cbranch_scc1 .LBB63_83
.LBB63_84:
	s_cbranch_execnz .LBB63_87
.LBB63_85:
	s_load_dwordx4 s[4:7], s[28:29], 0x4
	s_load_dwordx2 s[2:3], s[28:29], 0xc4
	s_cmp_lt_u32 s33, 2
	s_waitcnt lgkmcnt(0)
	v_mul_hi_u32 v0, s5, v21
	v_add_u32_e32 v0, v21, v0
	v_lshrrev_b32_e32 v1, s6, v0
	v_mul_lo_u32 v0, v1, s4
	v_sub_u32_e32 v3, v21, v0
	v_mul_lo_u32 v0, v3, s3
	v_mul_lo_u32 v28, v3, s2
	s_cbranch_scc1 .LBB63_87
; %bb.86:
	s_load_dwordx4 s[4:7], s[28:29], 0x10
	s_load_dwordx2 s[2:3], s[28:29], 0xcc
	s_waitcnt lgkmcnt(0)
	v_mul_hi_u32 v3, s5, v1
	v_add_u32_e32 v3, v1, v3
	v_lshrrev_b32_e32 v3, s6, v3
	v_mul_lo_u32 v3, v3, s4
	v_sub_u32_e32 v1, v1, v3
	v_mad_u64_u32 v[28:29], s[4:5], v1, s2, v[28:29]
	v_mad_u64_u32 v[0:1], s[2:3], v1, s3, v[0:1]
.LBB63_87:
	s_and_b64 vcc, exec, s[0:1]
	v_add_u32_e32 v3, 0x80, v21
	s_cbranch_vccnz .LBB63_93
; %bb.88:
	s_cmp_lg_u32 s33, 0
	s_mov_b32 s34, 0
	s_cbranch_scc0 .LBB63_94
; %bb.89:
	s_min_u32 s35, s54, 15
	s_add_i32 s35, s35, 1
	s_cmp_eq_u32 s54, 2
	s_cbranch_scc1 .LBB63_95
; %bb.90:
	s_and_b32 s34, s35, 28
	s_add_u32 s2, s28, 0xc4
	s_addc_u32 s3, s29, 0
	s_mov_b32 s36, 0
	v_mov_b32_e32 v30, 0
	v_mov_b32_e32 v24, 0
	s_mov_b64 s[30:31], s[28:29]
	v_mov_b32_e32 v4, v3
.LBB63_91:                              ; =>This Inner Loop Header: Depth=1
	s_load_dwordx8 s[12:19], s[30:31], 0x4
	s_load_dwordx4 s[20:23], s[30:31], 0x24
	s_load_dwordx8 s[4:11], s[2:3], 0x0
	s_add_u32 s30, s30, 48
	s_addc_u32 s31, s31, 0
	s_waitcnt lgkmcnt(0)
	v_mul_hi_u32 v1, s13, v4
	v_add_u32_e32 v1, v4, v1
	v_lshrrev_b32_e32 v1, s14, v1
	v_mul_lo_u32 v5, v1, s12
	v_mul_hi_u32 v6, s16, v1
	v_sub_u32_e32 v4, v4, v5
	v_add_u32_e32 v5, v1, v6
	v_lshrrev_b32_e32 v5, s17, v5
	v_mul_lo_u32 v7, v5, s15
	v_mul_hi_u32 v8, s19, v5
	v_sub_u32_e32 v1, v1, v7
	v_add_u32_e32 v7, v5, v8
	v_mul_lo_u32 v6, v4, s5
	v_mul_lo_u32 v4, v4, s4
	;; [unrolled: 1-line block ×4, first 2 shown]
	v_lshrrev_b32_e32 v7, s20, v7
	v_add3_u32 v1, v4, v30, v1
	v_add3_u32 v6, v6, v24, v8
	v_mul_lo_u32 v4, v7, s18
	v_mul_hi_u32 v8, s22, v7
	v_sub_u32_e32 v4, v5, v4
	v_add_u32_e32 v5, v7, v8
	v_mul_lo_u32 v8, v4, s8
	v_mul_lo_u32 v9, v4, s9
	v_lshrrev_b32_e32 v4, s23, v5
	s_add_i32 s36, s36, 4
	v_mul_lo_u32 v5, v4, s21
	s_add_u32 s2, s2, 32
	v_sub_u32_e32 v5, v7, v5
	s_addc_u32 s3, s3, 0
	v_mul_lo_u32 v7, v5, s10
	v_mul_lo_u32 v5, v5, s11
	s_cmp_lg_u32 s34, s36
	v_add3_u32 v24, v9, v6, v5
	v_add3_u32 v30, v8, v1, v7
	s_cbranch_scc1 .LBB63_91
; %bb.92:
	v_mov_b32_e32 v1, v24
	s_and_b32 s6, s35, 3
	s_cmp_eq_u32 s6, 0
	s_cbranch_scc0 .LBB63_96
	s_branch .LBB63_98
.LBB63_93:
                                        ; implicit-def: $vgpr24
                                        ; implicit-def: $vgpr30
	s_branch .LBB63_99
.LBB63_94:
	v_mov_b32_e32 v24, 0
	v_mov_b32_e32 v30, 0
	s_branch .LBB63_98
.LBB63_95:
	v_mov_b32_e32 v30, 0
                                        ; implicit-def: $vgpr24
	v_mov_b32_e32 v1, v30
	v_mov_b32_e32 v4, v3
	s_and_b32 s6, s35, 3
	s_cmp_eq_u32 s6, 0
	s_cbranch_scc1 .LBB63_98
.LBB63_96:
	s_lshl_b32 s2, s34, 3
	s_add_u32 s2, s28, s2
	s_addc_u32 s3, s29, 0
	s_add_u32 s2, s2, 0xc4
	s_addc_u32 s3, s3, 0
	s_mul_i32 s4, s34, 12
	s_add_u32 s4, s28, s4
	s_addc_u32 s5, s29, 0
.LBB63_97:                              ; =>This Inner Loop Header: Depth=1
	s_load_dwordx2 s[8:9], s[4:5], 0x4
	s_load_dword s7, s[4:5], 0xc
	s_load_dwordx2 s[10:11], s[2:3], 0x0
	v_mov_b32_e32 v6, v1
	s_add_u32 s4, s4, 12
	s_waitcnt lgkmcnt(0)
	v_mul_hi_u32 v1, s9, v4
	v_add_u32_e32 v1, v4, v1
	v_lshrrev_b32_e32 v1, s7, v1
	s_addc_u32 s5, s5, 0
	v_mul_lo_u32 v5, v1, s8
	s_add_u32 s2, s2, 8
	v_sub_u32_e32 v5, v4, v5
	s_addc_u32 s3, s3, 0
	s_add_i32 s6, s6, -1
	v_mad_u64_u32 v[24:25], s[8:9], v5, s11, v[6:7]
	s_cmp_lg_u32 s6, 0
	v_mov_b32_e32 v4, v1
	v_mad_u64_u32 v[30:31], s[8:9], v5, s10, v[30:31]
	v_mov_b32_e32 v1, v24
	s_cbranch_scc1 .LBB63_97
.LBB63_98:
	s_cbranch_execnz .LBB63_101
.LBB63_99:
	s_load_dwordx4 s[4:7], s[28:29], 0x4
	s_load_dwordx2 s[2:3], s[28:29], 0xc4
	s_cmp_lt_u32 s33, 2
	s_waitcnt lgkmcnt(0)
	v_mul_hi_u32 v1, s5, v3
	v_add_u32_e32 v1, v3, v1
	v_lshrrev_b32_e32 v1, s6, v1
	v_mul_lo_u32 v4, v1, s4
	v_sub_u32_e32 v3, v3, v4
	v_mul_lo_u32 v24, v3, s3
	v_mul_lo_u32 v30, v3, s2
	s_cbranch_scc1 .LBB63_101
; %bb.100:
	s_load_dwordx4 s[4:7], s[28:29], 0x10
	s_load_dwordx2 s[2:3], s[28:29], 0xcc
	s_waitcnt lgkmcnt(0)
	v_mul_hi_u32 v3, s5, v1
	v_add_u32_e32 v3, v1, v3
	v_lshrrev_b32_e32 v3, s6, v3
	v_mul_lo_u32 v3, v3, s4
	v_sub_u32_e32 v1, v1, v3
	v_mad_u64_u32 v[30:31], s[4:5], v1, s2, v[30:31]
	v_mad_u64_u32 v[24:25], s[2:3], v1, s3, v[24:25]
.LBB63_101:
	s_and_b64 vcc, exec, s[0:1]
	v_add_u32_e32 v3, 0x100, v21
	s_cbranch_vccnz .LBB63_107
; %bb.102:
	s_cmp_lg_u32 s33, 0
	s_mov_b32 s34, 0
	s_cbranch_scc0 .LBB63_108
; %bb.103:
	s_min_u32 s35, s54, 15
	s_add_i32 s35, s35, 1
	s_cmp_eq_u32 s54, 2
	s_cbranch_scc1 .LBB63_109
; %bb.104:
	s_and_b32 s34, s35, 28
	s_add_u32 s2, s28, 0xc4
	s_addc_u32 s3, s29, 0
	s_mov_b32 s36, 0
	v_mov_b32_e32 v32, 0
	v_mov_b32_e32 v26, 0
	s_mov_b64 s[30:31], s[28:29]
	v_mov_b32_e32 v4, v3
.LBB63_105:                             ; =>This Inner Loop Header: Depth=1
	s_load_dwordx8 s[12:19], s[30:31], 0x4
	s_load_dwordx4 s[20:23], s[30:31], 0x24
	s_load_dwordx8 s[4:11], s[2:3], 0x0
	s_add_u32 s30, s30, 48
	s_addc_u32 s31, s31, 0
	s_waitcnt lgkmcnt(0)
	v_mul_hi_u32 v1, s13, v4
	v_add_u32_e32 v1, v4, v1
	v_lshrrev_b32_e32 v1, s14, v1
	v_mul_lo_u32 v5, v1, s12
	v_mul_hi_u32 v6, s16, v1
	v_sub_u32_e32 v4, v4, v5
	v_add_u32_e32 v5, v1, v6
	v_lshrrev_b32_e32 v5, s17, v5
	v_mul_lo_u32 v7, v5, s15
	v_mul_hi_u32 v8, s19, v5
	v_sub_u32_e32 v1, v1, v7
	v_add_u32_e32 v7, v5, v8
	v_mul_lo_u32 v6, v4, s5
	v_mul_lo_u32 v4, v4, s4
	;; [unrolled: 1-line block ×4, first 2 shown]
	v_lshrrev_b32_e32 v7, s20, v7
	v_add3_u32 v1, v4, v32, v1
	v_add3_u32 v6, v6, v26, v8
	v_mul_lo_u32 v4, v7, s18
	v_mul_hi_u32 v8, s22, v7
	v_sub_u32_e32 v4, v5, v4
	v_add_u32_e32 v5, v7, v8
	v_mul_lo_u32 v8, v4, s8
	v_mul_lo_u32 v9, v4, s9
	v_lshrrev_b32_e32 v4, s23, v5
	s_add_i32 s36, s36, 4
	v_mul_lo_u32 v5, v4, s21
	s_add_u32 s2, s2, 32
	v_sub_u32_e32 v5, v7, v5
	s_addc_u32 s3, s3, 0
	v_mul_lo_u32 v7, v5, s10
	v_mul_lo_u32 v5, v5, s11
	s_cmp_lg_u32 s34, s36
	v_add3_u32 v26, v9, v6, v5
	v_add3_u32 v32, v8, v1, v7
	s_cbranch_scc1 .LBB63_105
; %bb.106:
	v_mov_b32_e32 v1, v26
	s_and_b32 s6, s35, 3
	s_cmp_eq_u32 s6, 0
	s_cbranch_scc0 .LBB63_110
	s_branch .LBB63_112
.LBB63_107:
                                        ; implicit-def: $vgpr26
                                        ; implicit-def: $vgpr32
	s_branch .LBB63_113
.LBB63_108:
	v_mov_b32_e32 v26, 0
	v_mov_b32_e32 v32, 0
	s_branch .LBB63_112
.LBB63_109:
	v_mov_b32_e32 v32, 0
                                        ; implicit-def: $vgpr26
	v_mov_b32_e32 v1, v32
	v_mov_b32_e32 v4, v3
	s_and_b32 s6, s35, 3
	s_cmp_eq_u32 s6, 0
	s_cbranch_scc1 .LBB63_112
.LBB63_110:
	s_lshl_b32 s2, s34, 3
	s_add_u32 s2, s28, s2
	s_addc_u32 s3, s29, 0
	s_add_u32 s2, s2, 0xc4
	s_addc_u32 s3, s3, 0
	s_mul_i32 s4, s34, 12
	s_add_u32 s4, s28, s4
	s_addc_u32 s5, s29, 0
.LBB63_111:                             ; =>This Inner Loop Header: Depth=1
	s_load_dwordx2 s[8:9], s[4:5], 0x4
	s_load_dword s7, s[4:5], 0xc
	s_load_dwordx2 s[10:11], s[2:3], 0x0
	v_mov_b32_e32 v6, v1
	s_add_u32 s4, s4, 12
	s_waitcnt lgkmcnt(0)
	v_mul_hi_u32 v1, s9, v4
	v_add_u32_e32 v1, v4, v1
	v_lshrrev_b32_e32 v1, s7, v1
	s_addc_u32 s5, s5, 0
	v_mul_lo_u32 v5, v1, s8
	s_add_u32 s2, s2, 8
	v_sub_u32_e32 v5, v4, v5
	s_addc_u32 s3, s3, 0
	s_add_i32 s6, s6, -1
	v_mad_u64_u32 v[26:27], s[8:9], v5, s11, v[6:7]
	s_cmp_lg_u32 s6, 0
	v_mov_b32_e32 v4, v1
	v_mad_u64_u32 v[32:33], s[8:9], v5, s10, v[32:33]
	v_mov_b32_e32 v1, v26
	s_cbranch_scc1 .LBB63_111
.LBB63_112:
	s_cbranch_execnz .LBB63_115
.LBB63_113:
	s_load_dwordx4 s[4:7], s[28:29], 0x4
	s_load_dwordx2 s[2:3], s[28:29], 0xc4
	s_cmp_lt_u32 s33, 2
	s_waitcnt lgkmcnt(0)
	v_mul_hi_u32 v1, s5, v3
	v_add_u32_e32 v1, v3, v1
	v_lshrrev_b32_e32 v1, s6, v1
	v_mul_lo_u32 v4, v1, s4
	v_sub_u32_e32 v3, v3, v4
	v_mul_lo_u32 v26, v3, s3
	v_mul_lo_u32 v32, v3, s2
	s_cbranch_scc1 .LBB63_115
; %bb.114:
	s_load_dwordx4 s[4:7], s[28:29], 0x10
	s_load_dwordx2 s[2:3], s[28:29], 0xcc
	s_waitcnt lgkmcnt(0)
	v_mul_hi_u32 v3, s5, v1
	v_add_u32_e32 v3, v1, v3
	v_lshrrev_b32_e32 v3, s6, v3
	v_mul_lo_u32 v3, v3, s4
	v_sub_u32_e32 v1, v1, v3
	v_mad_u64_u32 v[32:33], s[4:5], v1, s2, v[32:33]
	v_mad_u64_u32 v[26:27], s[2:3], v1, s3, v[26:27]
.LBB63_115:
	s_and_b64 vcc, exec, s[0:1]
	s_cbranch_vccnz .LBB63_121
; %bb.116:
	s_cmp_lg_u32 s33, 0
	s_mov_b32 s30, 0
	s_cbranch_scc0 .LBB63_122
; %bb.117:
	s_min_u32 s31, s54, 15
	s_add_i32 s31, s31, 1
	s_cmp_eq_u32 s54, 2
	s_cbranch_scc1 .LBB63_123
; %bb.118:
	s_and_b32 s30, s31, 28
	s_add_u32 s20, s28, 0xc4
	s_addc_u32 s21, s29, 0
	s_mov_b32 s34, 0
	v_mov_b32_e32 v34, 0
	v_mov_b32_e32 v36, 0
	s_mov_b64 s[22:23], s[28:29]
	v_mov_b32_e32 v3, v2
.LBB63_119:                             ; =>This Inner Loop Header: Depth=1
	s_load_dwordx8 s[8:15], s[22:23], 0x4
	s_load_dwordx4 s[16:19], s[22:23], 0x24
	s_load_dwordx8 s[0:7], s[20:21], 0x0
	s_add_u32 s22, s22, 48
	s_addc_u32 s23, s23, 0
	s_waitcnt lgkmcnt(0)
	v_mul_hi_u32 v1, s9, v3
	v_add_u32_e32 v1, v3, v1
	v_lshrrev_b32_e32 v1, s10, v1
	v_mul_lo_u32 v4, v1, s8
	v_mul_hi_u32 v5, s12, v1
	v_sub_u32_e32 v3, v3, v4
	v_add_u32_e32 v4, v1, v5
	v_lshrrev_b32_e32 v4, s13, v4
	v_mul_lo_u32 v6, v4, s11
	v_mul_hi_u32 v7, s15, v4
	v_sub_u32_e32 v1, v1, v6
	v_add_u32_e32 v6, v4, v7
	v_mul_lo_u32 v5, v3, s1
	v_mul_lo_u32 v3, v3, s0
	;; [unrolled: 1-line block ×4, first 2 shown]
	v_lshrrev_b32_e32 v6, s16, v6
	v_add3_u32 v1, v3, v34, v1
	v_add3_u32 v5, v5, v36, v7
	v_mul_lo_u32 v3, v6, s14
	v_mul_hi_u32 v7, s18, v6
	v_sub_u32_e32 v3, v4, v3
	v_add_u32_e32 v4, v6, v7
	v_mul_lo_u32 v7, v3, s4
	v_mul_lo_u32 v8, v3, s5
	v_lshrrev_b32_e32 v3, s19, v4
	s_add_i32 s34, s34, 4
	v_mul_lo_u32 v4, v3, s17
	s_add_u32 s20, s20, 32
	v_sub_u32_e32 v4, v6, v4
	s_addc_u32 s21, s21, 0
	v_mul_lo_u32 v6, v4, s6
	v_mul_lo_u32 v4, v4, s7
	s_cmp_lg_u32 s30, s34
	v_add3_u32 v36, v8, v5, v4
	v_add3_u32 v34, v7, v1, v6
	s_cbranch_scc1 .LBB63_119
; %bb.120:
	v_mov_b32_e32 v1, v36
	s_and_b32 s4, s31, 3
	s_cmp_eq_u32 s4, 0
	s_cbranch_scc0 .LBB63_124
	s_branch .LBB63_126
.LBB63_121:
                                        ; implicit-def: $vgpr36
                                        ; implicit-def: $vgpr34
	s_branch .LBB63_127
.LBB63_122:
	v_mov_b32_e32 v36, 0
	v_mov_b32_e32 v34, 0
	s_branch .LBB63_126
.LBB63_123:
	v_mov_b32_e32 v34, 0
                                        ; implicit-def: $vgpr36
	v_mov_b32_e32 v1, v34
	v_mov_b32_e32 v3, v2
	s_and_b32 s4, s31, 3
	s_cmp_eq_u32 s4, 0
	s_cbranch_scc1 .LBB63_126
.LBB63_124:
	s_lshl_b32 s0, s30, 3
	s_add_u32 s0, s28, s0
	s_addc_u32 s1, s29, 0
	s_add_u32 s0, s0, 0xc4
	s_addc_u32 s1, s1, 0
	s_mul_i32 s2, s30, 12
	s_add_u32 s2, s28, s2
	s_addc_u32 s3, s29, 0
.LBB63_125:                             ; =>This Inner Loop Header: Depth=1
	s_load_dwordx2 s[6:7], s[2:3], 0x4
	s_load_dword s5, s[2:3], 0xc
	s_load_dwordx2 s[8:9], s[0:1], 0x0
	v_mov_b32_e32 v4, v1
	s_add_u32 s2, s2, 12
	s_waitcnt lgkmcnt(0)
	v_mul_hi_u32 v1, s7, v3
	v_add_u32_e32 v1, v3, v1
	v_lshrrev_b32_e32 v1, s5, v1
	s_addc_u32 s3, s3, 0
	v_mul_lo_u32 v5, v1, s6
	s_add_u32 s0, s0, 8
	v_sub_u32_e32 v5, v3, v5
	s_addc_u32 s1, s1, 0
	s_add_i32 s4, s4, -1
	v_mad_u64_u32 v[36:37], s[6:7], v5, s9, v[4:5]
	s_cmp_lg_u32 s4, 0
	v_mov_b32_e32 v3, v1
	v_mad_u64_u32 v[34:35], s[6:7], v5, s8, v[34:35]
	v_mov_b32_e32 v1, v36
	s_cbranch_scc1 .LBB63_125
.LBB63_126:
	s_cbranch_execnz .LBB63_129
.LBB63_127:
	s_load_dwordx4 s[0:3], s[28:29], 0x4
	s_load_dwordx2 s[4:5], s[28:29], 0xc4
	s_cmp_lt_u32 s33, 2
	s_waitcnt lgkmcnt(0)
	v_mul_hi_u32 v1, s1, v2
	v_add_u32_e32 v1, v2, v1
	v_lshrrev_b32_e32 v1, s2, v1
	v_mul_lo_u32 v3, v1, s0
	v_sub_u32_e32 v2, v2, v3
	v_mul_lo_u32 v36, v2, s5
	v_mul_lo_u32 v34, v2, s4
	s_cbranch_scc1 .LBB63_129
; %bb.128:
	s_load_dwordx4 s[0:3], s[28:29], 0x10
	s_load_dwordx2 s[4:5], s[28:29], 0xcc
	s_waitcnt lgkmcnt(0)
	v_mul_hi_u32 v2, s1, v1
	v_add_u32_e32 v2, v1, v2
	v_lshrrev_b32_e32 v2, s2, v2
	v_mul_lo_u32 v2, v2, s0
	v_sub_u32_e32 v1, v1, v2
	v_mad_u64_u32 v[34:35], s[0:1], v1, s4, v[34:35]
	v_mad_u64_u32 v[36:37], s[0:1], v1, s5, v[36:37]
.LBB63_129:
	s_load_dwordx4 s[20:23], s[28:29], 0x148
	v_mov_b32_e32 v35, 0
	s_getpc_b64 s[18:19]
	s_add_u32 s18, s18, _ZN16c10_complex_math3expIfEEN3c107complexIT_EERKS4_@rel32@lo+4
	s_addc_u32 s19, s19, _ZN16c10_complex_math3expIfEEN3c107complexIT_EERKS4_@rel32@hi+12
	s_waitcnt lgkmcnt(0)
	global_load_dwordx2 v[0:1], v0, s[22:23]
	v_lshl_add_u64 v[38:39], s[20:21], 0, v[34:35]
	s_swappc_b64 s[30:31], s[18:19]
	v_mov_b32_e32 v22, v0
	v_mov_b32_e32 v23, v1
	global_load_dwordx2 v[0:1], v24, s[22:23]
	s_swappc_b64 s[30:31], s[18:19]
	v_mov_b32_e32 v24, v0
	v_mov_b32_e32 v25, v1
	global_load_dwordx2 v[0:1], v26, s[22:23]
	;; [unrolled: 4-line block ×3, first 2 shown]
	s_swappc_b64 s[30:31], s[18:19]
	s_or_b64 s[24:25], s[24:25], exec
	global_store_dwordx2 v28, v[22:23], s[20:21]
	global_store_dwordx2 v30, v[24:25], s[20:21]
	;; [unrolled: 1-line block ×3, first 2 shown]
	global_store_dword v34, v0, s[20:21]
	s_or_b64 exec, exec, s[26:27]
	s_and_saveexec_b64 s[0:1], s[24:25]
	s_cbranch_execz .LBB63_3
.LBB63_130:
	global_store_dword v[38:39], v1, off offset:4
	s_endpgm
	.section	.rodata,"a",@progbits
	.p2align	6, 0x0
	.amdhsa_kernel _ZN2at6native32elementwise_kernel_manual_unrollILi128ELi4EZNS0_22gpu_kernel_impl_nocastIZZZNS0_15exp_kernel_cudaERNS_18TensorIteratorBaseEENKUlvE_clEvENKUlvE0_clEvEUlN3c107complexIfEEE_EEvS4_RKT_EUlibE_EEviT1_
		.amdhsa_group_segment_fixed_size 0
		.amdhsa_private_segment_fixed_size 0
		.amdhsa_kernarg_size 360
		.amdhsa_user_sgpr_count 2
		.amdhsa_user_sgpr_dispatch_ptr 0
		.amdhsa_user_sgpr_queue_ptr 0
		.amdhsa_user_sgpr_kernarg_segment_ptr 1
		.amdhsa_user_sgpr_dispatch_id 0
		.amdhsa_user_sgpr_kernarg_preload_length 0
		.amdhsa_user_sgpr_kernarg_preload_offset 0
		.amdhsa_user_sgpr_private_segment_size 0
		.amdhsa_uses_dynamic_stack 0
		.amdhsa_enable_private_segment 0
		.amdhsa_system_sgpr_workgroup_id_x 1
		.amdhsa_system_sgpr_workgroup_id_y 0
		.amdhsa_system_sgpr_workgroup_id_z 0
		.amdhsa_system_sgpr_workgroup_info 0
		.amdhsa_system_vgpr_workitem_id 0
		.amdhsa_next_free_vgpr 40
		.amdhsa_next_free_sgpr 60
		.amdhsa_accum_offset 40
		.amdhsa_reserve_vcc 1
		.amdhsa_float_round_mode_32 0
		.amdhsa_float_round_mode_16_64 0
		.amdhsa_float_denorm_mode_32 3
		.amdhsa_float_denorm_mode_16_64 3
		.amdhsa_dx10_clamp 1
		.amdhsa_ieee_mode 1
		.amdhsa_fp16_overflow 0
		.amdhsa_tg_split 0
		.amdhsa_exception_fp_ieee_invalid_op 0
		.amdhsa_exception_fp_denorm_src 0
		.amdhsa_exception_fp_ieee_div_zero 0
		.amdhsa_exception_fp_ieee_overflow 0
		.amdhsa_exception_fp_ieee_underflow 0
		.amdhsa_exception_fp_ieee_inexact 0
		.amdhsa_exception_int_div_zero 0
	.end_amdhsa_kernel
	.section	.text._ZN2at6native32elementwise_kernel_manual_unrollILi128ELi4EZNS0_22gpu_kernel_impl_nocastIZZZNS0_15exp_kernel_cudaERNS_18TensorIteratorBaseEENKUlvE_clEvENKUlvE0_clEvEUlN3c107complexIfEEE_EEvS4_RKT_EUlibE_EEviT1_,"axG",@progbits,_ZN2at6native32elementwise_kernel_manual_unrollILi128ELi4EZNS0_22gpu_kernel_impl_nocastIZZZNS0_15exp_kernel_cudaERNS_18TensorIteratorBaseEENKUlvE_clEvENKUlvE0_clEvEUlN3c107complexIfEEE_EEvS4_RKT_EUlibE_EEviT1_,comdat
.Lfunc_end63:
	.size	_ZN2at6native32elementwise_kernel_manual_unrollILi128ELi4EZNS0_22gpu_kernel_impl_nocastIZZZNS0_15exp_kernel_cudaERNS_18TensorIteratorBaseEENKUlvE_clEvENKUlvE0_clEvEUlN3c107complexIfEEE_EEvS4_RKT_EUlibE_EEviT1_, .Lfunc_end63-_ZN2at6native32elementwise_kernel_manual_unrollILi128ELi4EZNS0_22gpu_kernel_impl_nocastIZZZNS0_15exp_kernel_cudaERNS_18TensorIteratorBaseEENKUlvE_clEvENKUlvE0_clEvEUlN3c107complexIfEEE_EEvS4_RKT_EUlibE_EEviT1_
                                        ; -- End function
	.set _ZN2at6native32elementwise_kernel_manual_unrollILi128ELi4EZNS0_22gpu_kernel_impl_nocastIZZZNS0_15exp_kernel_cudaERNS_18TensorIteratorBaseEENKUlvE_clEvENKUlvE0_clEvEUlN3c107complexIfEEE_EEvS4_RKT_EUlibE_EEviT1_.num_vgpr, max(40, .L_ZN16c10_complex_math3expIfEEN3c107complexIT_EERKS4_.num_vgpr)
	.set _ZN2at6native32elementwise_kernel_manual_unrollILi128ELi4EZNS0_22gpu_kernel_impl_nocastIZZZNS0_15exp_kernel_cudaERNS_18TensorIteratorBaseEENKUlvE_clEvENKUlvE0_clEvEUlN3c107complexIfEEE_EEvS4_RKT_EUlibE_EEviT1_.num_agpr, max(0, .L_ZN16c10_complex_math3expIfEEN3c107complexIT_EERKS4_.num_agpr)
	.set _ZN2at6native32elementwise_kernel_manual_unrollILi128ELi4EZNS0_22gpu_kernel_impl_nocastIZZZNS0_15exp_kernel_cudaERNS_18TensorIteratorBaseEENKUlvE_clEvENKUlvE0_clEvEUlN3c107complexIfEEE_EEvS4_RKT_EUlibE_EEviT1_.numbered_sgpr, max(60, .L_ZN16c10_complex_math3expIfEEN3c107complexIT_EERKS4_.numbered_sgpr)
	.set _ZN2at6native32elementwise_kernel_manual_unrollILi128ELi4EZNS0_22gpu_kernel_impl_nocastIZZZNS0_15exp_kernel_cudaERNS_18TensorIteratorBaseEENKUlvE_clEvENKUlvE0_clEvEUlN3c107complexIfEEE_EEvS4_RKT_EUlibE_EEviT1_.num_named_barrier, max(0, .L_ZN16c10_complex_math3expIfEEN3c107complexIT_EERKS4_.num_named_barrier)
	.set _ZN2at6native32elementwise_kernel_manual_unrollILi128ELi4EZNS0_22gpu_kernel_impl_nocastIZZZNS0_15exp_kernel_cudaERNS_18TensorIteratorBaseEENKUlvE_clEvENKUlvE0_clEvEUlN3c107complexIfEEE_EEvS4_RKT_EUlibE_EEviT1_.private_seg_size, 0+max(.L_ZN16c10_complex_math3expIfEEN3c107complexIT_EERKS4_.private_seg_size)
	.set _ZN2at6native32elementwise_kernel_manual_unrollILi128ELi4EZNS0_22gpu_kernel_impl_nocastIZZZNS0_15exp_kernel_cudaERNS_18TensorIteratorBaseEENKUlvE_clEvENKUlvE0_clEvEUlN3c107complexIfEEE_EEvS4_RKT_EUlibE_EEviT1_.uses_vcc, or(1, .L_ZN16c10_complex_math3expIfEEN3c107complexIT_EERKS4_.uses_vcc)
	.set _ZN2at6native32elementwise_kernel_manual_unrollILi128ELi4EZNS0_22gpu_kernel_impl_nocastIZZZNS0_15exp_kernel_cudaERNS_18TensorIteratorBaseEENKUlvE_clEvENKUlvE0_clEvEUlN3c107complexIfEEE_EEvS4_RKT_EUlibE_EEviT1_.uses_flat_scratch, or(0, .L_ZN16c10_complex_math3expIfEEN3c107complexIT_EERKS4_.uses_flat_scratch)
	.set _ZN2at6native32elementwise_kernel_manual_unrollILi128ELi4EZNS0_22gpu_kernel_impl_nocastIZZZNS0_15exp_kernel_cudaERNS_18TensorIteratorBaseEENKUlvE_clEvENKUlvE0_clEvEUlN3c107complexIfEEE_EEvS4_RKT_EUlibE_EEviT1_.has_dyn_sized_stack, or(0, .L_ZN16c10_complex_math3expIfEEN3c107complexIT_EERKS4_.has_dyn_sized_stack)
	.set _ZN2at6native32elementwise_kernel_manual_unrollILi128ELi4EZNS0_22gpu_kernel_impl_nocastIZZZNS0_15exp_kernel_cudaERNS_18TensorIteratorBaseEENKUlvE_clEvENKUlvE0_clEvEUlN3c107complexIfEEE_EEvS4_RKT_EUlibE_EEviT1_.has_recursion, or(0, .L_ZN16c10_complex_math3expIfEEN3c107complexIT_EERKS4_.has_recursion)
	.set _ZN2at6native32elementwise_kernel_manual_unrollILi128ELi4EZNS0_22gpu_kernel_impl_nocastIZZZNS0_15exp_kernel_cudaERNS_18TensorIteratorBaseEENKUlvE_clEvENKUlvE0_clEvEUlN3c107complexIfEEE_EEvS4_RKT_EUlibE_EEviT1_.has_indirect_call, or(0, .L_ZN16c10_complex_math3expIfEEN3c107complexIT_EERKS4_.has_indirect_call)
	.section	.AMDGPU.csdata,"",@progbits
; Kernel info:
; codeLenInByte = 5940
; TotalNumSgprs: 66
; NumVgprs: 40
; NumAgprs: 0
; TotalNumVgprs: 40
; ScratchSize: 0
; MemoryBound: 0
; FloatMode: 240
; IeeeMode: 1
; LDSByteSize: 0 bytes/workgroup (compile time only)
; SGPRBlocks: 8
; VGPRBlocks: 4
; NumSGPRsForWavesPerEU: 66
; NumVGPRsForWavesPerEU: 40
; AccumOffset: 40
; Occupancy: 8
; WaveLimiterHint : 1
; COMPUTE_PGM_RSRC2:SCRATCH_EN: 0
; COMPUTE_PGM_RSRC2:USER_SGPR: 2
; COMPUTE_PGM_RSRC2:TRAP_HANDLER: 0
; COMPUTE_PGM_RSRC2:TGID_X_EN: 1
; COMPUTE_PGM_RSRC2:TGID_Y_EN: 0
; COMPUTE_PGM_RSRC2:TGID_Z_EN: 0
; COMPUTE_PGM_RSRC2:TIDIG_COMP_CNT: 0
; COMPUTE_PGM_RSRC3_GFX90A:ACCUM_OFFSET: 9
; COMPUTE_PGM_RSRC3_GFX90A:TG_SPLIT: 0
	.section	.text._ZN2at6native32elementwise_kernel_manual_unrollILi128ELi4EZNS0_15gpu_kernel_implIZZZNS0_15exp_kernel_cudaERNS_18TensorIteratorBaseEENKUlvE_clEvENKUlvE0_clEvEUlN3c107complexIfEEE_EEvS4_RKT_EUlibE_EEviT1_,"axG",@progbits,_ZN2at6native32elementwise_kernel_manual_unrollILi128ELi4EZNS0_15gpu_kernel_implIZZZNS0_15exp_kernel_cudaERNS_18TensorIteratorBaseEENKUlvE_clEvENKUlvE0_clEvEUlN3c107complexIfEEE_EEvS4_RKT_EUlibE_EEviT1_,comdat
	.globl	_ZN2at6native32elementwise_kernel_manual_unrollILi128ELi4EZNS0_15gpu_kernel_implIZZZNS0_15exp_kernel_cudaERNS_18TensorIteratorBaseEENKUlvE_clEvENKUlvE0_clEvEUlN3c107complexIfEEE_EEvS4_RKT_EUlibE_EEviT1_ ; -- Begin function _ZN2at6native32elementwise_kernel_manual_unrollILi128ELi4EZNS0_15gpu_kernel_implIZZZNS0_15exp_kernel_cudaERNS_18TensorIteratorBaseEENKUlvE_clEvENKUlvE0_clEvEUlN3c107complexIfEEE_EEvS4_RKT_EUlibE_EEviT1_
	.p2align	8
	.type	_ZN2at6native32elementwise_kernel_manual_unrollILi128ELi4EZNS0_15gpu_kernel_implIZZZNS0_15exp_kernel_cudaERNS_18TensorIteratorBaseEENKUlvE_clEvENKUlvE0_clEvEUlN3c107complexIfEEE_EEvS4_RKT_EUlibE_EEviT1_,@function
_ZN2at6native32elementwise_kernel_manual_unrollILi128ELi4EZNS0_15gpu_kernel_implIZZZNS0_15exp_kernel_cudaERNS_18TensorIteratorBaseEENKUlvE_clEvENKUlvE0_clEvEUlN3c107complexIfEEE_EEvS4_RKT_EUlibE_EEviT1_: ; @_ZN2at6native32elementwise_kernel_manual_unrollILi128ELi4EZNS0_15gpu_kernel_implIZZZNS0_15exp_kernel_cudaERNS_18TensorIteratorBaseEENKUlvE_clEvENKUlvE0_clEvEUlN3c107complexIfEEE_EEvS4_RKT_EUlibE_EEviT1_
; %bb.0:
	v_mov_b32_e32 v1, 0
	global_load_ushort v1, v1, s[0:1] offset:33
	s_load_dwordx4 s[20:23], s[0:1], 0x8
	s_load_dwordx2 s[18:19], s[0:1], 0x18
	s_load_dword s49, s[0:1], 0x0
	v_lshl_or_b32 v21, s2, 9, v0
	v_or_b32_e32 v0, 0x180, v21
	s_mov_b64 s[24:25], 0
	s_mov_b64 s[28:29], 0
	s_waitcnt lgkmcnt(0)
	v_cmp_le_i32_e32 vcc, s49, v0
	s_mov_b32 s32, 0
	s_waitcnt vmcnt(0)
	v_readfirstlane_b32 s33, v1
	s_and_b32 s0, 0xffff, s33
	s_lshr_b32 s48, s0, 8
	s_and_saveexec_b64 s[0:1], vcc
	s_xor_b64 s[26:27], exec, s[0:1]
	s_cbranch_execz .LBB64_1039
; %bb.1:
	v_cmp_gt_i32_e32 vcc, s49, v21
	s_mov_b64 s[2:3], -1
	s_mov_b64 s[40:41], 0
	s_mov_b64 s[34:35], 0
	s_and_saveexec_b64 s[36:37], vcc
	s_cbranch_execz .LBB64_251
; %bb.2:
	v_mul_lo_u32 v0, v21, s19
	v_ashrrev_i32_e32 v1, 31, v0
	s_and_b32 s6, 0xffff, s48
	s_cmp_lt_i32 s6, 11
	v_lshl_add_u64 v[2:3], s[22:23], 0, v[0:1]
	s_cbranch_scc1 .LBB64_9
; %bb.3:
	s_cmp_gt_i32 s6, 25
	s_cbranch_scc0 .LBB64_18
; %bb.4:
	s_cmp_gt_i32 s6, 28
	s_cbranch_scc0 .LBB64_22
	;; [unrolled: 3-line block ×4, first 2 shown]
; %bb.7:
	s_cmp_eq_u32 s6, 46
	s_mov_b64 s[2:3], 0
	s_cbranch_scc0 .LBB64_27
; %bb.8:
	global_load_dword v0, v[2:3], off
	s_mov_b64 s[0:1], -1
	s_waitcnt vmcnt(0)
	v_and_b32_e32 v1, 0xffff0000, v0
	v_lshlrev_b32_e32 v0, 16, v0
	s_branch .LBB64_29
.LBB64_9:
                                        ; implicit-def: $vgpr1
	s_mov_b64 s[0:1], 0
	s_and_b64 vcc, exec, s[2:3]
	s_cbranch_vccnz .LBB64_200
.LBB64_10:
	s_andn2_b64 vcc, exec, s[0:1]
	s_cbranch_vccnz .LBB64_249
.LBB64_11:
	s_getpc_b64 s[0:1]
	s_add_u32 s0, s0, _ZN16c10_complex_math3expIfEEN3c107complexIT_EERKS4_@rel32@lo+4
	s_addc_u32 s1, s1, _ZN16c10_complex_math3expIfEEN3c107complexIT_EERKS4_@rel32@hi+12
	s_swappc_b64 s[30:31], s[0:1]
	v_mul_lo_u32 v2, v21, s18
	v_ashrrev_i32_e32 v3, 31, v2
	s_and_b32 s8, s33, 0xff
	s_cmp_lt_i32 s8, 11
	v_lshl_add_u64 v[2:3], s[20:21], 0, v[2:3]
	s_cbranch_scc1 .LBB64_19
; %bb.12:
	s_and_b32 s9, 0xffff, s8
	s_cmp_gt_i32 s9, 25
	s_cbranch_scc0 .LBB64_23
; %bb.13:
	s_cmp_gt_i32 s9, 28
	s_cbranch_scc0 .LBB64_25
; %bb.14:
	;; [unrolled: 3-line block ×4, first 2 shown]
	s_mov_b64 s[4:5], 0
	s_mov_b64 s[0:1], -1
	s_cmp_eq_u32 s9, 46
	s_mov_b64 s[2:3], 0
	s_cbranch_scc0 .LBB64_33
; %bb.17:
	s_movk_i32 s0, 0x7fff
	v_bfe_u32 v5, v1, 16, 1
	v_add3_u32 v5, v1, v5, s0
	v_bfe_u32 v4, v0, 16, 1
	v_and_b32_e32 v5, 0xffff0000, v5
	v_mov_b32_e32 v6, 0x7fc00000
	v_cmp_o_f32_e32 vcc, v1, v1
	v_add3_u32 v4, v0, v4, s0
	s_mov_b64 s[2:3], -1
	v_cndmask_b32_e32 v5, v6, v5, vcc
	v_cmp_o_f32_e32 vcc, v0, v0
	v_mov_b32_e32 v6, 0x7fc0
	s_mov_b64 s[0:1], 0
	v_cndmask_b32_sdwa v4, v6, v4, vcc dst_sel:DWORD dst_unused:UNUSED_PAD src0_sel:DWORD src1_sel:WORD_1
	v_or_b32_e32 v4, v5, v4
	global_store_dword v[2:3], v4, off
	s_branch .LBB64_33
.LBB64_18:
	s_mov_b64 s[0:1], 0
                                        ; implicit-def: $vgpr1
	s_and_b64 vcc, exec, s[2:3]
	s_cbranch_vccnz .LBB64_167
	s_branch .LBB64_199
.LBB64_19:
	s_mov_b64 s[0:1], 0
	s_mov_b64 s[2:3], 0
	s_cbranch_execnz .LBB64_102
.LBB64_20:
	s_andn2_b64 vcc, exec, s[2:3]
	s_cbranch_vccnz .LBB64_140
.LBB64_21:
	v_add_u32_e32 v21, 0x80, v21
	s_mov_b64 s[2:3], -1
	s_branch .LBB64_250
.LBB64_22:
	s_mov_b64 s[0:1], 0
                                        ; implicit-def: $vgpr1
	s_branch .LBB64_150
.LBB64_23:
	s_mov_b64 s[4:5], -1
	s_mov_b64 s[0:1], 0
	s_mov_b64 s[2:3], 0
	s_branch .LBB64_60
.LBB64_24:
	s_mov_b64 s[0:1], 0
                                        ; implicit-def: $vgpr1
	s_branch .LBB64_144
.LBB64_25:
	s_mov_b64 s[4:5], -1
	s_mov_b64 s[0:1], 0
	s_mov_b64 s[2:3], 0
	s_branch .LBB64_43
.LBB64_26:
	s_mov_b64 s[4:5], -1
	s_mov_b64 s[0:1], 0
	s_mov_b64 s[2:3], 0
	s_branch .LBB64_39
.LBB64_27:
	s_mov_b64 s[34:35], -1
.LBB64_28:
	s_mov_b64 s[0:1], 0
                                        ; implicit-def: $vgpr1
.LBB64_29:
	s_and_b64 vcc, exec, s[2:3]
	s_cbranch_vccz .LBB64_143
; %bb.30:
	s_cmp_eq_u32 s6, 44
	s_cbranch_scc0 .LBB64_141
; %bb.31:
	global_load_ubyte v0, v[2:3], off
	s_movk_i32 s2, 0xff
	v_mov_b32_e32 v1, 0x7f800001
	v_mov_b32_e32 v4, 0x400000
	s_mov_b64 s[0:1], -1
	s_mov_b64 s[34:35], 0
	s_waitcnt vmcnt(0)
	v_lshlrev_b32_e32 v5, 23, v0
	v_cmp_ne_u32_e32 vcc, s2, v0
	s_nop 1
	v_cndmask_b32_e32 v1, v1, v5, vcc
	v_cmp_ne_u32_e32 vcc, 0, v0
	s_nop 1
	v_cndmask_b32_e32 v0, v4, v1, vcc
	s_branch .LBB64_142
.LBB64_32:
	s_mov_b64 s[4:5], -1
	s_mov_b64 s[0:1], 0
	s_mov_b64 s[2:3], 0
.LBB64_33:
	s_and_b64 vcc, exec, s[4:5]
	s_cbranch_vccz .LBB64_38
; %bb.34:
	s_cmp_eq_u32 s9, 44
	s_mov_b64 s[0:1], -1
	s_cbranch_scc0 .LBB64_38
; %bb.35:
	v_bfe_u32 v4, v0, 23, 8
	s_movk_i32 s0, 0xff
	v_cmp_ne_u32_e32 vcc, s0, v4
	v_mov_b32_e32 v5, 0xff
	s_and_saveexec_b64 s[2:3], vcc
; %bb.36:
	s_mov_b32 s0, 0x3fffff
	v_and_b32_e32 v6, 0x400000, v0
	v_and_or_b32 v4, v0, s0, v4
	v_cmp_ne_u32_e32 vcc, 0, v6
	v_cmp_ne_u32_e64 s[0:1], 0, v4
	s_and_b64 s[0:1], vcc, s[0:1]
	v_lshrrev_b32_e32 v5, 23, v0
	v_cndmask_b32_e64 v4, 0, 1, s[0:1]
	v_add_u32_e32 v5, v5, v4
; %bb.37:
	s_or_b64 exec, exec, s[2:3]
	s_mov_b64 s[2:3], -1
	s_mov_b64 s[0:1], 0
	global_store_byte v[2:3], v5, off
.LBB64_38:
	s_mov_b64 s[4:5], 0
.LBB64_39:
	s_and_b64 vcc, exec, s[4:5]
	s_cbranch_vccz .LBB64_42
; %bb.40:
	s_cmp_eq_u32 s9, 29
	s_mov_b64 s[0:1], -1
	s_cbranch_scc0 .LBB64_42
; %bb.41:
	v_trunc_f32_e32 v4, v0
	v_mul_f32_e32 v5, 0x2f800000, v4
	v_floor_f32_e32 v6, v5
	v_fmamk_f32 v4, v6, 0xcf800000, v4
	v_cvt_u32_f32_e32 v5, v6
	v_cvt_u32_f32_e32 v4, v4
	s_mov_b64 s[2:3], -1
	s_mov_b64 s[0:1], 0
	s_mov_b64 s[4:5], 0
	global_store_dwordx2 v[2:3], v[4:5], off
	s_branch .LBB64_43
.LBB64_42:
	s_mov_b64 s[4:5], 0
.LBB64_43:
	s_and_b64 vcc, exec, s[4:5]
	s_cbranch_vccz .LBB64_59
; %bb.44:
	s_cmp_lt_i32 s9, 27
	s_mov_b64 s[2:3], -1
	s_cbranch_scc1 .LBB64_50
; %bb.45:
	v_cvt_u32_f32_e32 v4, v0
	s_cmp_gt_i32 s9, 27
	s_cbranch_scc0 .LBB64_47
; %bb.46:
	s_mov_b64 s[2:3], 0
	global_store_dword v[2:3], v4, off
.LBB64_47:
	s_andn2_b64 vcc, exec, s[2:3]
	s_cbranch_vccnz .LBB64_49
; %bb.48:
	global_store_short v[2:3], v4, off
.LBB64_49:
	s_mov_b64 s[2:3], 0
.LBB64_50:
	s_andn2_b64 vcc, exec, s[2:3]
	s_cbranch_vccnz .LBB64_58
; %bb.51:
	v_and_b32_e32 v4, 0x7fffffff, v0
	s_mov_b32 s2, 0x43800000
	v_cmp_gt_u32_e32 vcc, s2, v4
	v_mov_b32_e32 v5, 0x80
	s_and_saveexec_b64 s[2:3], vcc
	s_cbranch_execz .LBB64_57
; %bb.52:
	s_mov_b32 s4, 0x3bffffff
	v_cmp_lt_u32_e32 vcc, s4, v4
	s_mov_b64 s[4:5], 0
                                        ; implicit-def: $vgpr4
	s_and_saveexec_b64 s[6:7], vcc
	s_xor_b64 s[6:7], exec, s[6:7]
	s_cbranch_execnz .LBB64_284
; %bb.53:
	s_andn2_saveexec_b64 s[6:7], s[6:7]
	s_cbranch_execnz .LBB64_285
.LBB64_54:
	s_or_b64 exec, exec, s[6:7]
	v_mov_b32_e32 v5, 0
	s_and_saveexec_b64 s[6:7], s[4:5]
.LBB64_55:
	v_lshrrev_b32_e32 v5, 24, v0
	s_movk_i32 s4, 0x80
	v_and_or_b32 v5, v5, s4, v4
.LBB64_56:
	s_or_b64 exec, exec, s[6:7]
.LBB64_57:
	s_or_b64 exec, exec, s[2:3]
	global_store_byte v[2:3], v5, off
.LBB64_58:
	s_mov_b64 s[2:3], -1
.LBB64_59:
	s_mov_b64 s[4:5], 0
.LBB64_60:
	s_and_b64 vcc, exec, s[4:5]
	s_cbranch_vccz .LBB64_101
; %bb.61:
	s_cmp_gt_i32 s9, 22
	s_mov_b64 s[4:5], -1
	s_cbranch_scc0 .LBB64_93
; %bb.62:
	s_cmp_lt_i32 s9, 24
	s_mov_b64 s[2:3], -1
	s_cbranch_scc1 .LBB64_82
; %bb.63:
	s_cmp_gt_i32 s9, 24
	s_cbranch_scc0 .LBB64_71
; %bb.64:
	v_and_b32_e32 v4, 0x7fffffff, v0
	s_mov_b32 s2, 0x47800000
	v_cmp_gt_u32_e32 vcc, s2, v4
	v_mov_b32_e32 v5, 0x80
	s_and_saveexec_b64 s[2:3], vcc
	s_cbranch_execz .LBB64_70
; %bb.65:
	s_mov_b32 s4, 0x37ffffff
	v_cmp_lt_u32_e32 vcc, s4, v4
	s_mov_b64 s[4:5], 0
                                        ; implicit-def: $vgpr4
	s_and_saveexec_b64 s[6:7], vcc
	s_xor_b64 s[6:7], exec, s[6:7]
	s_cbranch_execnz .LBB64_533
; %bb.66:
	s_andn2_saveexec_b64 s[6:7], s[6:7]
	s_cbranch_execnz .LBB64_534
.LBB64_67:
	s_or_b64 exec, exec, s[6:7]
	v_mov_b32_e32 v5, 0
	s_and_saveexec_b64 s[6:7], s[4:5]
.LBB64_68:
	v_lshrrev_b32_e32 v5, 24, v0
	s_movk_i32 s4, 0x80
	v_and_or_b32 v5, v5, s4, v4
.LBB64_69:
	s_or_b64 exec, exec, s[6:7]
.LBB64_70:
	s_or_b64 exec, exec, s[2:3]
	s_mov_b64 s[2:3], 0
	global_store_byte v[2:3], v5, off
.LBB64_71:
	s_and_b64 vcc, exec, s[2:3]
	s_cbranch_vccz .LBB64_81
; %bb.72:
	v_and_b32_e32 v5, 0x7fffffff, v0
	s_mov_b32 s2, 0x43f00000
	v_cmp_gt_u32_e32 vcc, s2, v5
                                        ; implicit-def: $vgpr4
	s_and_saveexec_b64 s[2:3], vcc
	s_xor_b64 s[2:3], exec, s[2:3]
	s_cbranch_execz .LBB64_78
; %bb.73:
	s_mov_b32 s4, 0x3c7fffff
	v_cmp_lt_u32_e32 vcc, s4, v5
                                        ; implicit-def: $vgpr4
	s_and_saveexec_b64 s[4:5], vcc
	s_xor_b64 s[4:5], exec, s[4:5]
; %bb.74:
	v_bfe_u32 v4, v0, 20, 1
	s_mov_b32 s6, 0x407ffff
	v_add3_u32 v4, v0, v4, s6
	v_lshrrev_b32_e32 v5, 20, v4
	v_and_b32_e32 v4, 0xff00000, v4
	s_mov_b32 s6, 0x7f00000
	v_mov_b32_e32 v6, 0x7e
	v_cmp_ne_u32_e32 vcc, s6, v4
	s_nop 1
	v_cndmask_b32_e32 v4, v6, v5, vcc
; %bb.75:
	s_andn2_saveexec_b64 s[4:5], s[4:5]
; %bb.76:
	s_mov_b32 s6, 0x46800000
	v_add_f32_e64 v4, |v0|, s6
; %bb.77:
	s_or_b64 exec, exec, s[4:5]
                                        ; implicit-def: $vgpr5
.LBB64_78:
	s_andn2_saveexec_b64 s[2:3], s[2:3]
; %bb.79:
	s_mov_b32 s4, 0x7f800000
	v_mov_b32_e32 v4, 0x7e
	v_mov_b32_e32 v6, 0x7f
	v_cmp_lt_u32_e32 vcc, s4, v5
	s_nop 1
	v_cndmask_b32_e32 v4, v4, v6, vcc
; %bb.80:
	s_or_b64 exec, exec, s[2:3]
	v_lshrrev_b32_e32 v5, 24, v0
	s_movk_i32 s2, 0x80
	v_and_or_b32 v4, v5, s2, v4
	global_store_byte v[2:3], v4, off
.LBB64_81:
	s_mov_b64 s[2:3], 0
.LBB64_82:
	s_andn2_b64 vcc, exec, s[2:3]
	s_cbranch_vccnz .LBB64_92
; %bb.83:
	v_and_b32_e32 v5, 0x7fffffff, v0
	s_mov_b32 s2, 0x47800000
	v_cmp_gt_u32_e32 vcc, s2, v5
                                        ; implicit-def: $vgpr4
	s_and_saveexec_b64 s[2:3], vcc
	s_xor_b64 s[2:3], exec, s[2:3]
	s_cbranch_execz .LBB64_89
; %bb.84:
	s_mov_b32 s4, 0x387fffff
	v_cmp_lt_u32_e32 vcc, s4, v5
                                        ; implicit-def: $vgpr4
	s_and_saveexec_b64 s[4:5], vcc
	s_xor_b64 s[4:5], exec, s[4:5]
; %bb.85:
	v_bfe_u32 v4, v0, 21, 1
	s_mov_b32 s6, 0x80fffff
	v_add3_u32 v4, v0, v4, s6
	v_lshrrev_b32_e32 v4, 21, v4
; %bb.86:
	s_andn2_saveexec_b64 s[4:5], s[4:5]
; %bb.87:
	s_mov_b32 s6, 0x43000000
	v_add_f32_e64 v4, |v0|, s6
; %bb.88:
	s_or_b64 exec, exec, s[4:5]
                                        ; implicit-def: $vgpr5
.LBB64_89:
	s_andn2_saveexec_b64 s[2:3], s[2:3]
; %bb.90:
	s_mov_b32 s4, 0x7f800000
	v_mov_b32_e32 v4, 0x7c
	v_mov_b32_e32 v6, 0x7f
	v_cmp_lt_u32_e32 vcc, s4, v5
	s_nop 1
	v_cndmask_b32_e32 v4, v4, v6, vcc
; %bb.91:
	s_or_b64 exec, exec, s[2:3]
	v_lshrrev_b32_e32 v5, 24, v0
	s_movk_i32 s2, 0x80
	v_and_or_b32 v4, v5, s2, v4
	global_store_byte v[2:3], v4, off
.LBB64_92:
	s_mov_b64 s[4:5], 0
	s_mov_b64 s[2:3], -1
.LBB64_93:
	s_andn2_b64 vcc, exec, s[4:5]
	s_cbranch_vccnz .LBB64_101
; %bb.94:
	s_cmp_gt_i32 s9, 14
	s_mov_b64 s[4:5], -1
	s_cbranch_scc0 .LBB64_98
; %bb.95:
	s_cmp_eq_u32 s9, 15
	s_mov_b64 s[0:1], -1
	s_cbranch_scc0 .LBB64_97
; %bb.96:
	v_bfe_u32 v4, v0, 16, 1
	s_movk_i32 s0, 0x7fff
	v_add3_u32 v4, v0, v4, s0
	v_cmp_o_f32_e32 vcc, v0, v0
	v_mov_b32_e32 v5, 0x7fc0
	s_mov_b64 s[2:3], -1
	v_cndmask_b32_sdwa v4, v5, v4, vcc dst_sel:DWORD dst_unused:UNUSED_PAD src0_sel:DWORD src1_sel:WORD_1
	global_store_short v[2:3], v4, off
	s_mov_b64 s[0:1], 0
.LBB64_97:
	s_mov_b64 s[4:5], 0
.LBB64_98:
	s_and_b64 vcc, exec, s[4:5]
	s_cbranch_vccz .LBB64_101
; %bb.99:
	s_cmp_eq_u32 s9, 11
	s_mov_b64 s[0:1], -1
	s_cbranch_scc0 .LBB64_101
; %bb.100:
	s_brev_b32 s0, -2
	v_bitop3_b32 v4, v0, s0, v1 bitop3:0xc8
	v_cmp_ne_u32_e32 vcc, 0, v4
	s_mov_b64 s[2:3], -1
	s_mov_b64 s[0:1], 0
	v_cndmask_b32_e64 v4, 0, 1, vcc
	global_store_byte v[2:3], v4, off
.LBB64_101:
	s_branch .LBB64_20
.LBB64_102:
	s_and_b32 s4, 0xffff, s8
	s_cmp_lt_i32 s4, 5
	s_mov_b64 s[2:3], -1
	s_cbranch_scc1 .LBB64_123
; %bb.103:
	s_cmp_lt_i32 s4, 8
	s_cbranch_scc1 .LBB64_113
; %bb.104:
	s_cmp_lt_i32 s4, 9
	s_cbranch_scc1 .LBB64_110
; %bb.105:
	s_cmp_gt_i32 s4, 9
	s_cbranch_scc0 .LBB64_107
; %bb.106:
	v_cvt_f64_f32_e32 v[4:5], v0
	v_cvt_f64_f32_e32 v[6:7], v1
	global_store_dwordx4 v[2:3], v[4:7], off
	s_mov_b64 s[2:3], 0
.LBB64_107:
	s_andn2_b64 vcc, exec, s[2:3]
	s_cbranch_vccnz .LBB64_109
; %bb.108:
	global_store_dwordx2 v[2:3], v[0:1], off
.LBB64_109:
	s_mov_b64 s[2:3], 0
.LBB64_110:
	s_andn2_b64 vcc, exec, s[2:3]
	s_cbranch_vccnz .LBB64_112
; %bb.111:
	v_cvt_f16_f32_e32 v4, v0
	v_cvt_f16_f32_sdwa v1, v1 dst_sel:WORD_1 dst_unused:UNUSED_PAD src0_sel:DWORD
	s_nop 0
	v_or_b32_e32 v1, v1, v4
	global_store_dword v[2:3], v1, off
.LBB64_112:
	s_mov_b64 s[2:3], 0
.LBB64_113:
	s_andn2_b64 vcc, exec, s[2:3]
	s_cbranch_vccnz .LBB64_122
; %bb.114:
	s_cmp_lt_i32 s4, 6
	s_mov_b64 s[2:3], -1
	s_cbranch_scc1 .LBB64_120
; %bb.115:
	s_cmp_gt_i32 s4, 6
	s_cbranch_scc0 .LBB64_117
; %bb.116:
	v_cvt_f64_f32_e32 v[4:5], v0
	global_store_dwordx2 v[2:3], v[4:5], off
	s_mov_b64 s[2:3], 0
.LBB64_117:
	s_andn2_b64 vcc, exec, s[2:3]
	s_cbranch_vccnz .LBB64_119
; %bb.118:
	global_store_dword v[2:3], v0, off
.LBB64_119:
	s_mov_b64 s[2:3], 0
.LBB64_120:
	s_andn2_b64 vcc, exec, s[2:3]
	s_cbranch_vccnz .LBB64_122
; %bb.121:
	v_cvt_f16_f32_e32 v1, v0
	global_store_short v[2:3], v1, off
.LBB64_122:
	s_mov_b64 s[2:3], 0
.LBB64_123:
	s_andn2_b64 vcc, exec, s[2:3]
	s_cbranch_vccnz .LBB64_139
; %bb.124:
	s_cmp_lt_i32 s4, 2
	s_mov_b64 s[2:3], -1
	s_cbranch_scc1 .LBB64_134
; %bb.125:
	s_cmp_lt_i32 s4, 3
	s_cbranch_scc1 .LBB64_131
; %bb.126:
	s_cmp_gt_i32 s4, 3
	s_cbranch_scc0 .LBB64_128
; %bb.127:
	v_trunc_f32_e32 v1, v0
	s_mov_b32 s2, 0x2f800000
	v_mul_f32_e64 v4, |v1|, s2
	v_floor_f32_e32 v4, v4
	s_mov_b32 s2, 0xcf800000
	v_cvt_u32_f32_e32 v5, v4
	v_fma_f32 v4, v4, s2, |v1|
	v_cvt_u32_f32_e32 v4, v4
	v_ashrrev_i32_e32 v1, 31, v1
	v_xor_b32_e32 v5, v5, v1
	s_mov_b64 s[2:3], 0
	v_xor_b32_e32 v4, v4, v1
	v_sub_co_u32_e32 v4, vcc, v4, v1
	s_nop 1
	v_subb_co_u32_e32 v5, vcc, v5, v1, vcc
	global_store_dwordx2 v[2:3], v[4:5], off
.LBB64_128:
	s_andn2_b64 vcc, exec, s[2:3]
	s_cbranch_vccnz .LBB64_130
; %bb.129:
	v_cvt_i32_f32_e32 v1, v0
	global_store_dword v[2:3], v1, off
.LBB64_130:
	s_mov_b64 s[2:3], 0
.LBB64_131:
	s_andn2_b64 vcc, exec, s[2:3]
	s_cbranch_vccnz .LBB64_133
; %bb.132:
	v_cvt_i32_f32_e32 v1, v0
	global_store_short v[2:3], v1, off
.LBB64_133:
	s_mov_b64 s[2:3], 0
.LBB64_134:
	s_andn2_b64 vcc, exec, s[2:3]
	s_cbranch_vccnz .LBB64_139
; %bb.135:
	s_cmp_gt_i32 s4, 0
	s_mov_b64 s[2:3], -1
	s_cbranch_scc0 .LBB64_137
; %bb.136:
	v_cvt_i32_f32_e32 v1, v0
	s_mov_b64 s[2:3], 0
	global_store_byte v[2:3], v1, off
.LBB64_137:
	s_andn2_b64 vcc, exec, s[2:3]
	s_cbranch_vccnz .LBB64_139
; %bb.138:
	v_trunc_f32_e32 v0, v0
	s_mov_b32 s2, 0x2f800000
	v_mul_f32_e64 v1, |v0|, s2
	v_floor_f32_e32 v1, v1
	s_mov_b32 s2, 0xcf800000
	v_fma_f32 v1, v1, s2, |v0|
	v_cvt_u32_f32_e32 v1, v1
	v_ashrrev_i32_e32 v0, 31, v0
	v_xor_b32_e32 v1, v1, v0
	v_sub_u32_e32 v0, v1, v0
	global_store_byte v[2:3], v0, off
.LBB64_139:
	s_branch .LBB64_21
.LBB64_140:
	s_mov_b64 s[2:3], 0
                                        ; implicit-def: $vgpr21
	s_branch .LBB64_250
.LBB64_141:
	s_mov_b64 s[34:35], -1
                                        ; implicit-def: $vgpr0
.LBB64_142:
	v_mov_b32_e32 v1, 0
.LBB64_143:
	s_mov_b64 s[2:3], 0
.LBB64_144:
	s_and_b64 vcc, exec, s[2:3]
	s_cbranch_vccz .LBB64_149
; %bb.145:
	s_cmp_eq_u32 s6, 29
	s_cbranch_scc0 .LBB64_147
; %bb.146:
	global_load_dwordx2 v[0:1], v[2:3], off
	s_mov_b64 s[0:1], -1
	s_mov_b64 s[34:35], 0
	s_waitcnt vmcnt(0)
	v_ffbh_u32_e32 v4, v1
	v_min_u32_e32 v4, 32, v4
	v_lshlrev_b64 v[0:1], v4, v[0:1]
	v_min_u32_e32 v0, 1, v0
	v_or_b32_e32 v0, v1, v0
	v_cvt_f32_u32_e32 v0, v0
	v_sub_u32_e32 v1, 32, v4
	v_ldexp_f32 v0, v0, v1
	s_branch .LBB64_148
.LBB64_147:
	s_mov_b64 s[34:35], -1
                                        ; implicit-def: $vgpr0
.LBB64_148:
	v_mov_b32_e32 v1, 0
.LBB64_149:
	s_mov_b64 s[2:3], 0
.LBB64_150:
	s_and_b64 vcc, exec, s[2:3]
	s_cbranch_vccz .LBB64_166
; %bb.151:
	s_cmp_lt_i32 s6, 27
	s_cbranch_scc1 .LBB64_154
; %bb.152:
	s_cmp_gt_i32 s6, 27
	s_cbranch_scc0 .LBB64_155
; %bb.153:
	global_load_dword v0, v[2:3], off
	s_mov_b64 s[0:1], 0
	s_waitcnt vmcnt(0)
	v_cvt_f32_u32_e32 v0, v0
	s_branch .LBB64_156
.LBB64_154:
	s_mov_b64 s[0:1], -1
                                        ; implicit-def: $vgpr0
	s_branch .LBB64_159
.LBB64_155:
	s_mov_b64 s[0:1], -1
                                        ; implicit-def: $vgpr0
.LBB64_156:
	s_andn2_b64 vcc, exec, s[0:1]
	s_cbranch_vccnz .LBB64_158
; %bb.157:
	global_load_ushort v0, v[2:3], off
	s_waitcnt vmcnt(0)
	v_cvt_f32_u32_e32 v0, v0
.LBB64_158:
	s_mov_b64 s[0:1], 0
.LBB64_159:
	s_andn2_b64 vcc, exec, s[0:1]
	s_cbranch_vccnz .LBB64_165
; %bb.160:
	global_load_ubyte v1, v[2:3], off
	s_movk_i32 s0, 0x7f
	s_waitcnt vmcnt(0)
	v_cmp_lt_i16_e32 vcc, s0, v1
	s_mov_b64 s[0:1], 0
	s_and_saveexec_b64 s[2:3], vcc
	s_xor_b64 s[2:3], exec, s[2:3]
	s_cbranch_execnz .LBB64_177
; %bb.161:
	s_or_saveexec_b64 s[2:3], s[2:3]
	v_mov_b32_e32 v0, 0x7f800001
	s_xor_b64 exec, exec, s[2:3]
	s_cbranch_execnz .LBB64_180
.LBB64_162:
	s_or_b64 exec, exec, s[2:3]
	s_and_saveexec_b64 s[2:3], s[0:1]
	s_cbranch_execz .LBB64_164
.LBB64_163:
	v_lshlrev_b32_e32 v0, 24, v1
	v_and_b32_e32 v1, 0xffff, v1
	v_and_b32_e32 v4, 7, v1
	v_ffbh_u32_e32 v6, v4
	v_min_u32_e32 v6, 32, v6
	v_subrev_u32_e32 v7, 28, v6
	v_bfe_u32 v5, v1, 3, 4
	v_lshlrev_b32_e32 v1, v7, v1
	v_sub_u32_e32 v6, 29, v6
	v_and_b32_e32 v1, 7, v1
	v_cmp_eq_u32_e32 vcc, 0, v5
	v_and_b32_e32 v0, 0x80000000, v0
	s_nop 0
	v_cndmask_b32_e32 v5, v5, v6, vcc
	v_cndmask_b32_e32 v1, v4, v1, vcc
	v_mov_b32_e32 v4, 0x3b800000
	v_lshlrev_b32_e32 v1, 20, v1
	v_lshl_add_u32 v4, v5, 23, v4
	v_or3_b32 v0, v0, v4, v1
.LBB64_164:
	s_or_b64 exec, exec, s[2:3]
.LBB64_165:
	s_mov_b64 s[0:1], -1
	v_mov_b32_e32 v1, 0
.LBB64_166:
	s_branch .LBB64_199
.LBB64_167:
	s_cmp_gt_i32 s6, 22
	s_cbranch_scc0 .LBB64_175
; %bb.168:
	s_cmp_lt_i32 s6, 24
	s_cbranch_scc1 .LBB64_176
; %bb.169:
	s_cmp_gt_i32 s6, 24
	s_cbranch_scc0 .LBB64_181
; %bb.170:
	global_load_ubyte v1, v[2:3], off
	s_movk_i32 s0, 0x7f
	s_waitcnt vmcnt(0)
	v_cmp_lt_i16_e32 vcc, s0, v1
	s_mov_b64 s[0:1], 0
	s_and_saveexec_b64 s[2:3], vcc
	s_xor_b64 s[2:3], exec, s[2:3]
	s_cbranch_execnz .LBB64_278
; %bb.171:
	s_or_saveexec_b64 s[2:3], s[2:3]
	v_mov_b32_e32 v0, 0x7f800001
	s_xor_b64 exec, exec, s[2:3]
	s_cbranch_execnz .LBB64_281
.LBB64_172:
	s_or_b64 exec, exec, s[2:3]
	s_and_saveexec_b64 s[2:3], s[0:1]
	s_cbranch_execz .LBB64_174
.LBB64_173:
	v_lshlrev_b32_e32 v0, 24, v1
	v_and_b32_e32 v1, 0xffff, v1
	v_and_b32_e32 v4, 3, v1
	v_ffbh_u32_e32 v6, v4
	v_min_u32_e32 v6, 32, v6
	v_subrev_u32_e32 v7, 29, v6
	v_bfe_u32 v5, v1, 2, 5
	v_lshlrev_b32_e32 v1, v7, v1
	v_sub_u32_e32 v6, 30, v6
	v_and_b32_e32 v1, 3, v1
	v_cmp_eq_u32_e32 vcc, 0, v5
	v_and_b32_e32 v0, 0x80000000, v0
	s_nop 0
	v_cndmask_b32_e32 v5, v5, v6, vcc
	v_cndmask_b32_e32 v1, v4, v1, vcc
	v_mov_b32_e32 v4, 0x37800000
	v_lshlrev_b32_e32 v1, 21, v1
	v_lshl_add_u32 v4, v5, 23, v4
	v_or3_b32 v0, v0, v4, v1
.LBB64_174:
	s_or_b64 exec, exec, s[2:3]
	s_mov_b64 s[0:1], 0
	s_branch .LBB64_182
.LBB64_175:
                                        ; implicit-def: $vgpr0
	s_branch .LBB64_188
.LBB64_176:
	s_mov_b64 s[0:1], -1
                                        ; implicit-def: $vgpr0
	s_branch .LBB64_185
.LBB64_177:
	s_movk_i32 s0, 0x80
	v_cmp_eq_u16_e32 vcc, s0, v1
	s_mov_b64 s[0:1], -1
	s_and_saveexec_b64 s[4:5], vcc
; %bb.178:
	s_xor_b64 s[0:1], exec, -1
; %bb.179:
	s_or_b64 exec, exec, s[4:5]
	s_and_b64 s[0:1], s[0:1], exec
	s_or_saveexec_b64 s[2:3], s[2:3]
	v_mov_b32_e32 v0, 0x7f800001
	s_xor_b64 exec, exec, s[2:3]
	s_cbranch_execz .LBB64_162
.LBB64_180:
	v_cmp_ne_u16_e32 vcc, 0, v1
	s_andn2_b64 s[0:1], s[0:1], exec
	s_and_b64 s[4:5], vcc, exec
	v_mov_b32_e32 v0, 0
	s_or_b64 s[0:1], s[0:1], s[4:5]
	s_or_b64 exec, exec, s[2:3]
	s_and_saveexec_b64 s[2:3], s[0:1]
	s_cbranch_execnz .LBB64_163
	s_branch .LBB64_164
.LBB64_181:
	s_mov_b64 s[0:1], -1
                                        ; implicit-def: $vgpr0
.LBB64_182:
	s_and_b64 vcc, exec, s[0:1]
	s_cbranch_vccz .LBB64_184
; %bb.183:
	global_load_ubyte v0, v[2:3], off
	s_mov_b32 s0, 0x7f800000
	s_waitcnt vmcnt(0)
	v_lshlrev_b32_e32 v0, 24, v0
	v_and_b32_e32 v1, 0x7f000000, v0
	v_ffbh_u32_e32 v4, v1
	v_min_u32_e32 v4, 32, v4
	v_sub_u32_e64 v4, v4, 4 clamp
	v_lshlrev_b32_e32 v6, v4, v1
	v_lshlrev_b32_e32 v4, 23, v4
	v_lshrrev_b32_e32 v6, 4, v6
	v_add_u32_e32 v5, 0x1000000, v1
	v_sub_u32_e32 v4, v6, v4
	v_ashrrev_i32_e32 v5, 8, v5
	v_add_u32_e32 v4, 0x3c000000, v4
	v_and_or_b32 v4, v5, s0, v4
	v_cmp_ne_u32_e32 vcc, 0, v1
	s_brev_b32 s0, 1
	s_nop 0
	v_cndmask_b32_e32 v1, 0, v4, vcc
	v_and_or_b32 v0, v0, s0, v1
.LBB64_184:
	s_mov_b64 s[0:1], 0
.LBB64_185:
	s_andn2_b64 vcc, exec, s[0:1]
	s_cbranch_vccnz .LBB64_187
; %bb.186:
	global_load_ubyte v0, v[2:3], off
	s_movk_i32 s0, 0x7f00
	s_brev_b32 s1, 16
	s_waitcnt vmcnt(0)
	v_lshlrev_b16_e32 v1, 8, v0
	v_lshlrev_b32_e32 v0, 25, v0
	v_lshrrev_b32_e32 v4, 4, v0
	v_and_or_b32 v5, v1, s0, 0.5
	v_or_b32_e32 v4, 0x70000000, v4
	v_add_f32_e32 v5, -0.5, v5
	v_mul_f32_e32 v4, 0x7800000, v4
	v_cmp_gt_u32_e32 vcc, s1, v0
	v_bfe_i32 v1, v1, 0, 16
	s_brev_b32 s0, 1
	v_cndmask_b32_e32 v0, v4, v5, vcc
	v_and_or_b32 v0, v1, s0, v0
.LBB64_187:
	s_mov_b64 s[0:1], -1
	s_cbranch_execnz .LBB64_198
.LBB64_188:
	s_cmp_gt_i32 s6, 14
	s_cbranch_scc0 .LBB64_191
; %bb.189:
	s_cmp_eq_u32 s6, 15
	s_cbranch_scc0 .LBB64_192
; %bb.190:
	global_load_ushort v0, v[2:3], off
	s_mov_b64 s[0:1], -1
	s_mov_b64 s[34:35], 0
	s_waitcnt vmcnt(0)
	v_lshlrev_b32_e32 v0, 16, v0
	s_branch .LBB64_193
.LBB64_191:
	s_mov_b64 s[2:3], -1
                                        ; implicit-def: $vgpr0
	s_branch .LBB64_194
.LBB64_192:
	s_mov_b64 s[34:35], -1
                                        ; implicit-def: $vgpr0
.LBB64_193:
	s_mov_b64 s[2:3], 0
.LBB64_194:
	s_and_b64 vcc, exec, s[2:3]
	s_cbranch_vccz .LBB64_198
; %bb.195:
	s_cmp_eq_u32 s6, 11
	s_cbranch_scc0 .LBB64_197
; %bb.196:
	global_load_ubyte v0, v[2:3], off
	s_mov_b64 s[0:1], -1
	s_mov_b64 s[34:35], 0
	v_mov_b32_e32 v1, 0
	s_waitcnt vmcnt(0)
	v_cmp_ne_u16_e32 vcc, 0, v0
	s_nop 1
	v_cndmask_b32_e64 v0, 0, 1.0, vcc
	s_branch .LBB64_199
.LBB64_197:
	s_mov_b64 s[34:35], -1
                                        ; implicit-def: $vgpr0
.LBB64_198:
	v_mov_b32_e32 v1, 0
.LBB64_199:
	s_branch .LBB64_10
.LBB64_200:
	s_cmp_lt_i32 s6, 5
	s_cbranch_scc1 .LBB64_205
; %bb.201:
	s_cmp_lt_i32 s6, 8
	s_cbranch_scc1 .LBB64_206
; %bb.202:
	;; [unrolled: 3-line block ×3, first 2 shown]
	s_cmp_gt_i32 s6, 9
	s_cbranch_scc0 .LBB64_208
; %bb.204:
	global_load_dwordx4 v[4:7], v[2:3], off
	s_mov_b64 s[0:1], 0
	s_waitcnt vmcnt(0)
	v_cvt_f32_f64_e32 v0, v[4:5]
	v_cvt_f32_f64_e32 v1, v[6:7]
	s_branch .LBB64_209
.LBB64_205:
                                        ; implicit-def: $vgpr1
	s_branch .LBB64_228
.LBB64_206:
	s_mov_b64 s[0:1], -1
                                        ; implicit-def: $vgpr1
	s_branch .LBB64_215
.LBB64_207:
	s_mov_b64 s[0:1], -1
                                        ; implicit-def: $vgpr1
	s_branch .LBB64_212
.LBB64_208:
	s_mov_b64 s[0:1], -1
                                        ; implicit-def: $vgpr1
.LBB64_209:
	s_andn2_b64 vcc, exec, s[0:1]
	s_cbranch_vccnz .LBB64_211
; %bb.210:
	global_load_dwordx2 v[0:1], v[2:3], off
.LBB64_211:
	s_mov_b64 s[0:1], 0
.LBB64_212:
	s_andn2_b64 vcc, exec, s[0:1]
	s_cbranch_vccnz .LBB64_214
; %bb.213:
	global_load_dword v0, v[2:3], off
	s_waitcnt vmcnt(0)
	v_cvt_f32_f16_sdwa v1, v0 dst_sel:DWORD dst_unused:UNUSED_PAD src0_sel:WORD_1
	v_cvt_f32_f16_e32 v0, v0
.LBB64_214:
	s_mov_b64 s[0:1], 0
.LBB64_215:
	s_andn2_b64 vcc, exec, s[0:1]
	s_cbranch_vccnz .LBB64_227
; %bb.216:
	s_cmp_lt_i32 s6, 6
	s_cbranch_scc1 .LBB64_219
; %bb.217:
	s_cmp_gt_i32 s6, 6
	s_cbranch_scc0 .LBB64_220
; %bb.218:
	global_load_dwordx2 v[0:1], v[2:3], off
	s_mov_b64 s[0:1], 0
	s_waitcnt vmcnt(0)
	v_cvt_f32_f64_e32 v0, v[0:1]
	s_branch .LBB64_221
.LBB64_219:
	s_mov_b64 s[0:1], -1
                                        ; implicit-def: $vgpr0
	s_branch .LBB64_224
.LBB64_220:
	s_mov_b64 s[0:1], -1
                                        ; implicit-def: $vgpr0
.LBB64_221:
	s_andn2_b64 vcc, exec, s[0:1]
	s_cbranch_vccnz .LBB64_223
; %bb.222:
	global_load_dword v0, v[2:3], off
.LBB64_223:
	s_mov_b64 s[0:1], 0
.LBB64_224:
	s_andn2_b64 vcc, exec, s[0:1]
	s_cbranch_vccnz .LBB64_226
; %bb.225:
	global_load_ushort v0, v[2:3], off
	s_waitcnt vmcnt(0)
	v_cvt_f32_f16_e32 v0, v0
.LBB64_226:
	s_waitcnt vmcnt(0)
	v_mov_b32_e32 v1, 0
.LBB64_227:
	s_cbranch_execnz .LBB64_248
.LBB64_228:
	s_cmp_lt_i32 s6, 2
	s_cbranch_scc1 .LBB64_232
; %bb.229:
	s_cmp_lt_i32 s6, 3
	s_cbranch_scc1 .LBB64_233
; %bb.230:
	s_cmp_gt_i32 s6, 3
	s_cbranch_scc0 .LBB64_234
; %bb.231:
	global_load_dwordx2 v[0:1], v[2:3], off
	s_mov_b64 s[0:1], 0
	s_waitcnt vmcnt(0)
	v_xor_b32_e32 v5, v0, v1
	v_ffbh_i32_e32 v4, v1
	v_ashrrev_i32_e32 v5, 31, v5
	v_add_u32_e32 v4, -1, v4
	v_add_u32_e32 v5, 32, v5
	v_min_u32_e32 v4, v4, v5
	v_lshlrev_b64 v[0:1], v4, v[0:1]
	v_min_u32_e32 v0, 1, v0
	v_or_b32_e32 v0, v1, v0
	v_cvt_f32_i32_e32 v0, v0
	v_sub_u32_e32 v1, 32, v4
	v_ldexp_f32 v0, v0, v1
	s_branch .LBB64_235
.LBB64_232:
	s_mov_b64 s[0:1], -1
                                        ; implicit-def: $vgpr0
	s_branch .LBB64_241
.LBB64_233:
	s_mov_b64 s[0:1], -1
                                        ; implicit-def: $vgpr0
	s_branch .LBB64_238
.LBB64_234:
	s_mov_b64 s[0:1], -1
                                        ; implicit-def: $vgpr0
.LBB64_235:
	s_andn2_b64 vcc, exec, s[0:1]
	s_cbranch_vccnz .LBB64_237
; %bb.236:
	global_load_dword v0, v[2:3], off
	s_waitcnt vmcnt(0)
	v_cvt_f32_i32_e32 v0, v0
.LBB64_237:
	s_mov_b64 s[0:1], 0
.LBB64_238:
	s_andn2_b64 vcc, exec, s[0:1]
	s_cbranch_vccnz .LBB64_240
; %bb.239:
	global_load_sshort v0, v[2:3], off
	s_waitcnt vmcnt(0)
	v_cvt_f32_i32_e32 v0, v0
.LBB64_240:
	s_mov_b64 s[0:1], 0
.LBB64_241:
	s_andn2_b64 vcc, exec, s[0:1]
	s_cbranch_vccnz .LBB64_247
; %bb.242:
	s_cmp_gt_i32 s6, 0
	s_cbranch_scc0 .LBB64_244
; %bb.243:
	global_load_sbyte v0, v[2:3], off
	s_mov_b64 s[0:1], 0
	s_waitcnt vmcnt(0)
	v_cvt_f32_i32_e32 v0, v0
	s_branch .LBB64_245
.LBB64_244:
	s_mov_b64 s[0:1], -1
                                        ; implicit-def: $vgpr0
.LBB64_245:
	s_andn2_b64 vcc, exec, s[0:1]
	s_cbranch_vccnz .LBB64_247
; %bb.246:
	global_load_ubyte v0, v[2:3], off
	s_waitcnt vmcnt(0)
	v_cvt_f32_ubyte0_e32 v0, v0
.LBB64_247:
	s_waitcnt vmcnt(0)
	v_mov_b32_e32 v1, 0
.LBB64_248:
	s_branch .LBB64_11
.LBB64_249:
	s_mov_b64 s[0:1], 0
                                        ; implicit-def: $vgpr21
	s_mov_b64 s[2:3], 0
.LBB64_250:
	s_and_b64 s[28:29], s[0:1], exec
	s_and_b64 s[34:35], s[34:35], exec
	s_orn2_b64 s[2:3], s[2:3], exec
.LBB64_251:
	s_or_b64 exec, exec, s[36:37]
	s_mov_b64 s[4:5], 0
	s_mov_b64 s[0:1], 0
                                        ; implicit-def: $vgpr0_vgpr1
                                        ; implicit-def: $vgpr3
	s_and_saveexec_b64 s[36:37], s[2:3]
	s_cbranch_execnz .LBB64_255
; %bb.252:
	s_or_b64 exec, exec, s[36:37]
	s_mov_b64 s[36:37], 0
	s_and_saveexec_b64 s[2:3], s[34:35]
	s_cbranch_execnz .LBB64_869
.LBB64_253:
	s_or_b64 exec, exec, s[2:3]
	s_and_saveexec_b64 s[2:3], s[40:41]
	s_xor_b64 s[2:3], exec, s[2:3]
	s_cbranch_execnz .LBB64_870
.LBB64_254:
	s_or_b64 exec, exec, s[2:3]
	s_and_saveexec_b64 s[2:3], s[4:5]
	s_cbranch_execnz .LBB64_871
	s_branch .LBB64_918
.LBB64_255:
	v_cmp_gt_i32_e32 vcc, s49, v21
	s_mov_b64 s[0:1], -1
	s_mov_b64 s[38:39], s[34:35]
	s_mov_b64 s[40:41], s[28:29]
	s_and_saveexec_b64 s[42:43], vcc
	s_cbranch_execz .LBB64_515
; %bb.256:
	s_waitcnt vmcnt(0)
	v_mul_lo_u32 v0, v21, s19
	v_ashrrev_i32_e32 v1, 31, v0
	s_and_b32 s6, 0xffff, s48
	s_cmp_lt_i32 s6, 11
	v_lshl_add_u64 v[2:3], s[22:23], 0, v[0:1]
	s_cbranch_scc1 .LBB64_263
; %bb.257:
	s_cmp_gt_i32 s6, 25
	s_cbranch_scc0 .LBB64_272
; %bb.258:
	s_cmp_gt_i32 s6, 28
	s_cbranch_scc0 .LBB64_274
	;; [unrolled: 3-line block ×4, first 2 shown]
; %bb.261:
	s_cmp_eq_u32 s6, 46
	s_mov_b64 s[2:3], 0
	s_cbranch_scc0 .LBB64_286
; %bb.262:
	global_load_dword v0, v[2:3], off
	s_mov_b64 s[38:39], 0
	s_waitcnt vmcnt(0)
	v_and_b32_e32 v1, 0xffff0000, v0
	v_lshlrev_b32_e32 v0, 16, v0
	s_branch .LBB64_287
.LBB64_263:
	s_mov_b64 s[0:1], 0
                                        ; implicit-def: $vgpr1
	s_mov_b64 s[38:39], s[34:35]
	s_cbranch_execnz .LBB64_463
.LBB64_264:
	s_andn2_b64 vcc, exec, s[0:1]
	s_cbranch_vccnz .LBB64_513
.LBB64_265:
	s_getpc_b64 s[0:1]
	s_add_u32 s0, s0, _ZN16c10_complex_math3expIfEEN3c107complexIT_EERKS4_@rel32@lo+4
	s_addc_u32 s1, s1, _ZN16c10_complex_math3expIfEEN3c107complexIT_EERKS4_@rel32@hi+12
	s_swappc_b64 s[30:31], s[0:1]
	v_mul_lo_u32 v2, v21, s18
	v_ashrrev_i32_e32 v3, 31, v2
	s_and_b32 s8, s33, 0xff
	s_cmp_lt_i32 s8, 11
	v_lshl_add_u64 v[2:3], s[20:21], 0, v[2:3]
	s_cbranch_scc1 .LBB64_273
; %bb.266:
	s_and_b32 s9, 0xffff, s8
	s_cmp_gt_i32 s9, 25
	s_cbranch_scc0 .LBB64_275
; %bb.267:
	s_cmp_gt_i32 s9, 28
	s_cbranch_scc0 .LBB64_277
; %bb.268:
	;; [unrolled: 3-line block ×4, first 2 shown]
	s_mov_b64 s[4:5], 0
	s_mov_b64 s[0:1], -1
	s_cmp_eq_u32 s9, 46
	s_mov_b64 s[2:3], 0
	s_cbranch_scc0 .LBB64_291
; %bb.271:
	s_movk_i32 s0, 0x7fff
	v_bfe_u32 v5, v1, 16, 1
	v_add3_u32 v5, v1, v5, s0
	v_bfe_u32 v4, v0, 16, 1
	v_and_b32_e32 v5, 0xffff0000, v5
	v_mov_b32_e32 v6, 0x7fc00000
	v_cmp_o_f32_e32 vcc, v1, v1
	v_add3_u32 v4, v0, v4, s0
	s_mov_b64 s[2:3], -1
	v_cndmask_b32_e32 v5, v6, v5, vcc
	v_cmp_o_f32_e32 vcc, v0, v0
	v_mov_b32_e32 v6, 0x7fc0
	s_mov_b64 s[0:1], 0
	v_cndmask_b32_sdwa v4, v6, v4, vcc dst_sel:DWORD dst_unused:UNUSED_PAD src0_sel:DWORD src1_sel:WORD_1
	v_or_b32_e32 v4, v5, v4
	global_store_dword v[2:3], v4, off
	s_branch .LBB64_291
.LBB64_272:
	s_mov_b64 s[2:3], -1
	s_mov_b64 s[0:1], 0
	s_mov_b64 s[38:39], s[34:35]
                                        ; implicit-def: $vgpr1
	s_branch .LBB64_428
.LBB64_273:
	s_mov_b64 s[4:5], -1
	s_mov_b64 s[2:3], 0
	s_mov_b64 s[0:1], s[28:29]
	s_branch .LBB64_360
.LBB64_274:
	s_mov_b64 s[2:3], -1
	s_mov_b64 s[0:1], 0
	s_mov_b64 s[38:39], s[34:35]
                                        ; implicit-def: $vgpr1
	s_branch .LBB64_411
.LBB64_275:
	s_mov_b64 s[4:5], -1
	s_mov_b64 s[2:3], 0
	s_mov_b64 s[0:1], s[28:29]
	s_branch .LBB64_318
.LBB64_276:
	s_mov_b64 s[2:3], -1
	s_mov_b64 s[0:1], 0
	s_mov_b64 s[38:39], s[34:35]
                                        ; implicit-def: $vgpr1
	s_branch .LBB64_405
.LBB64_277:
	s_mov_b64 s[4:5], -1
	s_mov_b64 s[2:3], 0
	s_mov_b64 s[0:1], s[28:29]
	s_branch .LBB64_301
.LBB64_278:
	s_movk_i32 s0, 0x80
	v_cmp_eq_u16_e32 vcc, s0, v1
	s_mov_b64 s[0:1], -1
	s_and_saveexec_b64 s[4:5], vcc
; %bb.279:
	s_xor_b64 s[0:1], exec, -1
; %bb.280:
	s_or_b64 exec, exec, s[4:5]
	s_and_b64 s[0:1], s[0:1], exec
	s_or_saveexec_b64 s[2:3], s[2:3]
	v_mov_b32_e32 v0, 0x7f800001
	s_xor_b64 exec, exec, s[2:3]
	s_cbranch_execz .LBB64_172
.LBB64_281:
	v_cmp_ne_u16_e32 vcc, 0, v1
	s_andn2_b64 s[0:1], s[0:1], exec
	s_and_b64 s[4:5], vcc, exec
	v_mov_b32_e32 v0, 0
	s_or_b64 s[0:1], s[0:1], s[4:5]
	s_or_b64 exec, exec, s[2:3]
	s_and_saveexec_b64 s[2:3], s[0:1]
	s_cbranch_execnz .LBB64_173
	s_branch .LBB64_174
.LBB64_282:
	s_mov_b64 s[2:3], -1
	s_mov_b64 s[0:1], 0
	s_mov_b64 s[38:39], s[34:35]
                                        ; implicit-def: $vgpr1
	s_branch .LBB64_287
.LBB64_283:
	s_mov_b64 s[4:5], -1
	s_mov_b64 s[2:3], 0
	s_mov_b64 s[0:1], s[28:29]
	s_branch .LBB64_297
.LBB64_284:
	v_bfe_u32 v4, v0, 20, 1
	s_mov_b32 s10, 0x487ffff
	v_add3_u32 v4, v0, v4, s10
	s_mov_b64 s[4:5], exec
	v_lshrrev_b32_e32 v4, 20, v4
	s_andn2_saveexec_b64 s[6:7], s[6:7]
	s_cbranch_execz .LBB64_54
.LBB64_285:
	s_mov_b32 s10, 0x46000000
	v_add_f32_e64 v4, |v0|, s10
	v_and_b32_e32 v4, 0xff, v4
	v_cmp_ne_u32_e32 vcc, 0, v4
	s_andn2_b64 s[4:5], s[4:5], exec
	s_and_b64 s[10:11], vcc, exec
	s_or_b64 s[4:5], s[4:5], s[10:11]
	s_or_b64 exec, exec, s[6:7]
	v_mov_b32_e32 v5, 0
	s_and_saveexec_b64 s[6:7], s[4:5]
	s_cbranch_execnz .LBB64_55
	s_branch .LBB64_56
.LBB64_286:
	s_mov_b64 s[38:39], -1
                                        ; implicit-def: $vgpr1
	s_mov_b64 s[0:1], 0
.LBB64_287:
	s_and_b64 vcc, exec, s[2:3]
	s_cbranch_vccz .LBB64_404
; %bb.288:
	s_cmp_eq_u32 s6, 44
	s_cbranch_scc0 .LBB64_402
; %bb.289:
	global_load_ubyte v0, v[2:3], off
	s_movk_i32 s2, 0xff
	v_mov_b32_e32 v1, 0x7f800001
	v_mov_b32_e32 v4, 0x400000
	s_mov_b64 s[0:1], -1
	s_mov_b64 s[38:39], 0
	s_waitcnt vmcnt(0)
	v_lshlrev_b32_e32 v5, 23, v0
	v_cmp_ne_u32_e32 vcc, s2, v0
	s_nop 1
	v_cndmask_b32_e32 v1, v1, v5, vcc
	v_cmp_ne_u32_e32 vcc, 0, v0
	s_nop 1
	v_cndmask_b32_e32 v0, v4, v1, vcc
	s_branch .LBB64_403
.LBB64_290:
	s_mov_b64 s[4:5], -1
	s_mov_b64 s[2:3], 0
	s_mov_b64 s[0:1], s[28:29]
.LBB64_291:
	s_and_b64 vcc, exec, s[4:5]
	s_cbranch_vccz .LBB64_296
; %bb.292:
	s_cmp_eq_u32 s9, 44
	s_mov_b64 s[0:1], -1
	s_cbranch_scc0 .LBB64_296
; %bb.293:
	v_bfe_u32 v4, v0, 23, 8
	s_movk_i32 s0, 0xff
	v_cmp_ne_u32_e32 vcc, s0, v4
	v_mov_b32_e32 v5, 0xff
	s_and_saveexec_b64 s[2:3], vcc
; %bb.294:
	s_mov_b32 s0, 0x3fffff
	v_and_b32_e32 v6, 0x400000, v0
	v_and_or_b32 v4, v0, s0, v4
	v_cmp_ne_u32_e32 vcc, 0, v6
	v_cmp_ne_u32_e64 s[0:1], 0, v4
	s_and_b64 s[0:1], vcc, s[0:1]
	v_lshrrev_b32_e32 v5, 23, v0
	v_cndmask_b32_e64 v4, 0, 1, s[0:1]
	v_add_u32_e32 v5, v5, v4
; %bb.295:
	s_or_b64 exec, exec, s[2:3]
	s_mov_b64 s[2:3], -1
	s_mov_b64 s[0:1], 0
	global_store_byte v[2:3], v5, off
.LBB64_296:
	s_mov_b64 s[4:5], 0
.LBB64_297:
	s_and_b64 vcc, exec, s[4:5]
	s_cbranch_vccz .LBB64_300
; %bb.298:
	s_cmp_eq_u32 s9, 29
	s_mov_b64 s[0:1], -1
	s_cbranch_scc0 .LBB64_300
; %bb.299:
	v_trunc_f32_e32 v4, v0
	v_mul_f32_e32 v5, 0x2f800000, v4
	v_floor_f32_e32 v6, v5
	v_fmamk_f32 v4, v6, 0xcf800000, v4
	v_cvt_u32_f32_e32 v5, v6
	v_cvt_u32_f32_e32 v4, v4
	s_mov_b64 s[2:3], -1
	s_mov_b64 s[0:1], 0
	s_mov_b64 s[4:5], 0
	global_store_dwordx2 v[2:3], v[4:5], off
	s_branch .LBB64_301
.LBB64_300:
	s_mov_b64 s[4:5], 0
.LBB64_301:
	s_and_b64 vcc, exec, s[4:5]
	s_cbranch_vccz .LBB64_317
; %bb.302:
	s_cmp_lt_i32 s9, 27
	s_mov_b64 s[2:3], -1
	s_cbranch_scc1 .LBB64_308
; %bb.303:
	v_cvt_u32_f32_e32 v4, v0
	s_cmp_gt_i32 s9, 27
	s_cbranch_scc0 .LBB64_305
; %bb.304:
	s_mov_b64 s[2:3], 0
	global_store_dword v[2:3], v4, off
.LBB64_305:
	s_andn2_b64 vcc, exec, s[2:3]
	s_cbranch_vccnz .LBB64_307
; %bb.306:
	global_store_short v[2:3], v4, off
.LBB64_307:
	s_mov_b64 s[2:3], 0
.LBB64_308:
	s_andn2_b64 vcc, exec, s[2:3]
	s_cbranch_vccnz .LBB64_316
; %bb.309:
	v_and_b32_e32 v4, 0x7fffffff, v0
	s_mov_b32 s2, 0x43800000
	v_cmp_gt_u32_e32 vcc, s2, v4
	v_mov_b32_e32 v5, 0x80
	s_and_saveexec_b64 s[2:3], vcc
	s_cbranch_execz .LBB64_315
; %bb.310:
	s_mov_b32 s4, 0x3bffffff
	v_cmp_lt_u32_e32 vcc, s4, v4
	s_mov_b64 s[4:5], 0
                                        ; implicit-def: $vgpr4
	s_and_saveexec_b64 s[6:7], vcc
	s_xor_b64 s[6:7], exec, s[6:7]
	s_cbranch_execnz .LBB64_535
; %bb.311:
	s_andn2_saveexec_b64 s[6:7], s[6:7]
	s_cbranch_execnz .LBB64_536
.LBB64_312:
	s_or_b64 exec, exec, s[6:7]
	v_mov_b32_e32 v5, 0
	s_and_saveexec_b64 s[6:7], s[4:5]
.LBB64_313:
	v_lshrrev_b32_e32 v5, 24, v0
	s_movk_i32 s4, 0x80
	v_and_or_b32 v5, v5, s4, v4
.LBB64_314:
	s_or_b64 exec, exec, s[6:7]
.LBB64_315:
	s_or_b64 exec, exec, s[2:3]
	global_store_byte v[2:3], v5, off
.LBB64_316:
	s_mov_b64 s[2:3], -1
.LBB64_317:
	s_mov_b64 s[4:5], 0
.LBB64_318:
	s_and_b64 vcc, exec, s[4:5]
	s_cbranch_vccz .LBB64_359
; %bb.319:
	s_cmp_gt_i32 s9, 22
	s_mov_b64 s[4:5], -1
	s_cbranch_scc0 .LBB64_351
; %bb.320:
	s_cmp_lt_i32 s9, 24
	s_mov_b64 s[2:3], -1
	s_cbranch_scc1 .LBB64_340
; %bb.321:
	s_cmp_gt_i32 s9, 24
	s_cbranch_scc0 .LBB64_329
; %bb.322:
	v_and_b32_e32 v4, 0x7fffffff, v0
	s_mov_b32 s2, 0x47800000
	v_cmp_gt_u32_e32 vcc, s2, v4
	v_mov_b32_e32 v5, 0x80
	s_and_saveexec_b64 s[2:3], vcc
	s_cbranch_execz .LBB64_328
; %bb.323:
	s_mov_b32 s4, 0x37ffffff
	v_cmp_lt_u32_e32 vcc, s4, v4
	s_mov_b64 s[4:5], 0
                                        ; implicit-def: $vgpr4
	s_and_saveexec_b64 s[6:7], vcc
	s_xor_b64 s[6:7], exec, s[6:7]
	s_cbranch_execnz .LBB64_797
; %bb.324:
	s_andn2_saveexec_b64 s[6:7], s[6:7]
	s_cbranch_execnz .LBB64_798
.LBB64_325:
	s_or_b64 exec, exec, s[6:7]
	v_mov_b32_e32 v5, 0
	s_and_saveexec_b64 s[6:7], s[4:5]
.LBB64_326:
	v_lshrrev_b32_e32 v5, 24, v0
	s_movk_i32 s4, 0x80
	v_and_or_b32 v5, v5, s4, v4
.LBB64_327:
	s_or_b64 exec, exec, s[6:7]
.LBB64_328:
	s_or_b64 exec, exec, s[2:3]
	s_mov_b64 s[2:3], 0
	global_store_byte v[2:3], v5, off
.LBB64_329:
	s_and_b64 vcc, exec, s[2:3]
	s_cbranch_vccz .LBB64_339
; %bb.330:
	v_and_b32_e32 v5, 0x7fffffff, v0
	s_mov_b32 s2, 0x43f00000
	v_cmp_gt_u32_e32 vcc, s2, v5
                                        ; implicit-def: $vgpr4
	s_and_saveexec_b64 s[2:3], vcc
	s_xor_b64 s[2:3], exec, s[2:3]
	s_cbranch_execz .LBB64_336
; %bb.331:
	s_mov_b32 s4, 0x3c7fffff
	v_cmp_lt_u32_e32 vcc, s4, v5
                                        ; implicit-def: $vgpr4
	s_and_saveexec_b64 s[4:5], vcc
	s_xor_b64 s[4:5], exec, s[4:5]
; %bb.332:
	v_bfe_u32 v4, v0, 20, 1
	s_mov_b32 s6, 0x407ffff
	v_add3_u32 v4, v0, v4, s6
	v_lshrrev_b32_e32 v5, 20, v4
	v_and_b32_e32 v4, 0xff00000, v4
	s_mov_b32 s6, 0x7f00000
	v_mov_b32_e32 v6, 0x7e
	v_cmp_ne_u32_e32 vcc, s6, v4
	s_nop 1
	v_cndmask_b32_e32 v4, v6, v5, vcc
; %bb.333:
	s_andn2_saveexec_b64 s[4:5], s[4:5]
; %bb.334:
	s_mov_b32 s6, 0x46800000
	v_add_f32_e64 v4, |v0|, s6
; %bb.335:
	s_or_b64 exec, exec, s[4:5]
                                        ; implicit-def: $vgpr5
.LBB64_336:
	s_andn2_saveexec_b64 s[2:3], s[2:3]
; %bb.337:
	s_mov_b32 s4, 0x7f800000
	v_mov_b32_e32 v4, 0x7e
	v_mov_b32_e32 v6, 0x7f
	v_cmp_lt_u32_e32 vcc, s4, v5
	s_nop 1
	v_cndmask_b32_e32 v4, v4, v6, vcc
; %bb.338:
	s_or_b64 exec, exec, s[2:3]
	v_lshrrev_b32_e32 v5, 24, v0
	s_movk_i32 s2, 0x80
	v_and_or_b32 v4, v5, s2, v4
	global_store_byte v[2:3], v4, off
.LBB64_339:
	s_mov_b64 s[2:3], 0
.LBB64_340:
	s_andn2_b64 vcc, exec, s[2:3]
	s_cbranch_vccnz .LBB64_350
; %bb.341:
	v_and_b32_e32 v5, 0x7fffffff, v0
	s_mov_b32 s2, 0x47800000
	v_cmp_gt_u32_e32 vcc, s2, v5
                                        ; implicit-def: $vgpr4
	s_and_saveexec_b64 s[2:3], vcc
	s_xor_b64 s[2:3], exec, s[2:3]
	s_cbranch_execz .LBB64_347
; %bb.342:
	s_mov_b32 s4, 0x387fffff
	v_cmp_lt_u32_e32 vcc, s4, v5
                                        ; implicit-def: $vgpr4
	s_and_saveexec_b64 s[4:5], vcc
	s_xor_b64 s[4:5], exec, s[4:5]
; %bb.343:
	v_bfe_u32 v4, v0, 21, 1
	s_mov_b32 s6, 0x80fffff
	v_add3_u32 v4, v0, v4, s6
	v_lshrrev_b32_e32 v4, 21, v4
; %bb.344:
	s_andn2_saveexec_b64 s[4:5], s[4:5]
; %bb.345:
	s_mov_b32 s6, 0x43000000
	v_add_f32_e64 v4, |v0|, s6
; %bb.346:
	s_or_b64 exec, exec, s[4:5]
                                        ; implicit-def: $vgpr5
.LBB64_347:
	s_andn2_saveexec_b64 s[2:3], s[2:3]
; %bb.348:
	s_mov_b32 s4, 0x7f800000
	v_mov_b32_e32 v4, 0x7c
	v_mov_b32_e32 v6, 0x7f
	v_cmp_lt_u32_e32 vcc, s4, v5
	s_nop 1
	v_cndmask_b32_e32 v4, v4, v6, vcc
; %bb.349:
	s_or_b64 exec, exec, s[2:3]
	v_lshrrev_b32_e32 v5, 24, v0
	s_movk_i32 s2, 0x80
	v_and_or_b32 v4, v5, s2, v4
	global_store_byte v[2:3], v4, off
.LBB64_350:
	s_mov_b64 s[4:5], 0
	s_mov_b64 s[2:3], -1
.LBB64_351:
	s_andn2_b64 vcc, exec, s[4:5]
	s_cbranch_vccnz .LBB64_359
; %bb.352:
	s_cmp_gt_i32 s9, 14
	s_mov_b64 s[4:5], -1
	s_cbranch_scc0 .LBB64_356
; %bb.353:
	s_cmp_eq_u32 s9, 15
	s_mov_b64 s[0:1], -1
	s_cbranch_scc0 .LBB64_355
; %bb.354:
	v_bfe_u32 v4, v0, 16, 1
	s_movk_i32 s0, 0x7fff
	v_add3_u32 v4, v0, v4, s0
	v_cmp_o_f32_e32 vcc, v0, v0
	v_mov_b32_e32 v5, 0x7fc0
	s_mov_b64 s[2:3], -1
	v_cndmask_b32_sdwa v4, v5, v4, vcc dst_sel:DWORD dst_unused:UNUSED_PAD src0_sel:DWORD src1_sel:WORD_1
	global_store_short v[2:3], v4, off
	s_mov_b64 s[0:1], 0
.LBB64_355:
	s_mov_b64 s[4:5], 0
.LBB64_356:
	s_and_b64 vcc, exec, s[4:5]
	s_cbranch_vccz .LBB64_359
; %bb.357:
	s_cmp_eq_u32 s9, 11
	s_mov_b64 s[0:1], -1
	s_cbranch_scc0 .LBB64_359
; %bb.358:
	s_brev_b32 s0, -2
	v_bitop3_b32 v4, v0, s0, v1 bitop3:0xc8
	v_cmp_ne_u32_e32 vcc, 0, v4
	s_mov_b64 s[2:3], -1
	s_mov_b64 s[0:1], 0
	v_cndmask_b32_e64 v4, 0, 1, vcc
	global_store_byte v[2:3], v4, off
.LBB64_359:
	s_mov_b64 s[4:5], 0
.LBB64_360:
	s_and_b64 vcc, exec, s[4:5]
	s_cbranch_vccz .LBB64_399
; %bb.361:
	s_and_b32 s4, 0xffff, s8
	s_cmp_lt_i32 s4, 5
	s_mov_b64 s[2:3], -1
	s_cbranch_scc1 .LBB64_382
; %bb.362:
	s_cmp_lt_i32 s4, 8
	s_cbranch_scc1 .LBB64_372
; %bb.363:
	s_cmp_lt_i32 s4, 9
	s_cbranch_scc1 .LBB64_369
; %bb.364:
	s_cmp_gt_i32 s4, 9
	s_cbranch_scc0 .LBB64_366
; %bb.365:
	v_cvt_f64_f32_e32 v[4:5], v0
	v_cvt_f64_f32_e32 v[6:7], v1
	s_mov_b64 s[2:3], 0
	global_store_dwordx4 v[2:3], v[4:7], off
.LBB64_366:
	s_andn2_b64 vcc, exec, s[2:3]
	s_cbranch_vccnz .LBB64_368
; %bb.367:
	global_store_dwordx2 v[2:3], v[0:1], off
.LBB64_368:
	s_mov_b64 s[2:3], 0
.LBB64_369:
	s_andn2_b64 vcc, exec, s[2:3]
	s_cbranch_vccnz .LBB64_371
; %bb.370:
	v_cvt_f16_f32_e32 v4, v0
	v_cvt_f16_f32_sdwa v1, v1 dst_sel:WORD_1 dst_unused:UNUSED_PAD src0_sel:DWORD
	s_nop 0
	v_or_b32_e32 v1, v1, v4
	global_store_dword v[2:3], v1, off
.LBB64_371:
	s_mov_b64 s[2:3], 0
.LBB64_372:
	s_andn2_b64 vcc, exec, s[2:3]
	s_cbranch_vccnz .LBB64_381
; %bb.373:
	s_cmp_lt_i32 s4, 6
	s_mov_b64 s[2:3], -1
	s_cbranch_scc1 .LBB64_379
; %bb.374:
	s_cmp_gt_i32 s4, 6
	s_cbranch_scc0 .LBB64_376
; %bb.375:
	v_cvt_f64_f32_e32 v[4:5], v0
	s_mov_b64 s[2:3], 0
	global_store_dwordx2 v[2:3], v[4:5], off
.LBB64_376:
	s_andn2_b64 vcc, exec, s[2:3]
	s_cbranch_vccnz .LBB64_378
; %bb.377:
	global_store_dword v[2:3], v0, off
.LBB64_378:
	s_mov_b64 s[2:3], 0
.LBB64_379:
	s_andn2_b64 vcc, exec, s[2:3]
	s_cbranch_vccnz .LBB64_381
; %bb.380:
	v_cvt_f16_f32_e32 v1, v0
	global_store_short v[2:3], v1, off
.LBB64_381:
	s_mov_b64 s[2:3], 0
.LBB64_382:
	s_andn2_b64 vcc, exec, s[2:3]
	s_cbranch_vccnz .LBB64_398
; %bb.383:
	s_cmp_lt_i32 s4, 2
	s_mov_b64 s[2:3], -1
	s_cbranch_scc1 .LBB64_393
; %bb.384:
	s_cmp_lt_i32 s4, 3
	s_cbranch_scc1 .LBB64_390
; %bb.385:
	s_cmp_gt_i32 s4, 3
	s_cbranch_scc0 .LBB64_387
; %bb.386:
	v_trunc_f32_e32 v1, v0
	s_mov_b32 s2, 0x2f800000
	v_mul_f32_e64 v4, |v1|, s2
	v_floor_f32_e32 v4, v4
	s_mov_b32 s2, 0xcf800000
	v_cvt_u32_f32_e32 v5, v4
	v_fma_f32 v4, v4, s2, |v1|
	v_cvt_u32_f32_e32 v4, v4
	v_ashrrev_i32_e32 v1, 31, v1
	v_xor_b32_e32 v5, v5, v1
	s_mov_b64 s[2:3], 0
	v_xor_b32_e32 v4, v4, v1
	v_sub_co_u32_e32 v4, vcc, v4, v1
	s_nop 1
	v_subb_co_u32_e32 v5, vcc, v5, v1, vcc
	global_store_dwordx2 v[2:3], v[4:5], off
.LBB64_387:
	s_andn2_b64 vcc, exec, s[2:3]
	s_cbranch_vccnz .LBB64_389
; %bb.388:
	v_cvt_i32_f32_e32 v1, v0
	global_store_dword v[2:3], v1, off
.LBB64_389:
	s_mov_b64 s[2:3], 0
.LBB64_390:
	s_andn2_b64 vcc, exec, s[2:3]
	s_cbranch_vccnz .LBB64_392
; %bb.391:
	v_cvt_i32_f32_e32 v1, v0
	global_store_short v[2:3], v1, off
.LBB64_392:
	s_mov_b64 s[2:3], 0
.LBB64_393:
	s_andn2_b64 vcc, exec, s[2:3]
	s_cbranch_vccnz .LBB64_398
; %bb.394:
	s_cmp_gt_i32 s4, 0
	s_mov_b64 s[2:3], -1
	s_cbranch_scc0 .LBB64_396
; %bb.395:
	v_cvt_i32_f32_e32 v1, v0
	s_mov_b64 s[2:3], 0
	global_store_byte v[2:3], v1, off
.LBB64_396:
	s_andn2_b64 vcc, exec, s[2:3]
	s_cbranch_vccnz .LBB64_398
; %bb.397:
	v_trunc_f32_e32 v0, v0
	s_mov_b32 s2, 0x2f800000
	v_mul_f32_e64 v1, |v0|, s2
	v_floor_f32_e32 v1, v1
	s_mov_b32 s2, 0xcf800000
	v_fma_f32 v1, v1, s2, |v0|
	v_cvt_u32_f32_e32 v1, v1
	v_ashrrev_i32_e32 v0, 31, v0
	v_xor_b32_e32 v1, v1, v0
	v_sub_u32_e32 v0, v1, v0
	global_store_byte v[2:3], v0, off
.LBB64_398:
	s_mov_b64 s[2:3], -1
.LBB64_399:
	s_andn2_b64 vcc, exec, s[2:3]
	s_cbranch_vccnz .LBB64_401
; %bb.400:
	v_add_u32_e32 v21, 0x80, v21
	s_mov_b64 s[2:3], -1
	s_branch .LBB64_514
.LBB64_401:
	s_mov_b64 s[2:3], 0
                                        ; implicit-def: $vgpr21
	s_branch .LBB64_514
.LBB64_402:
	s_mov_b64 s[38:39], -1
                                        ; implicit-def: $vgpr0
.LBB64_403:
	v_mov_b32_e32 v1, 0
.LBB64_404:
	s_mov_b64 s[2:3], 0
.LBB64_405:
	s_and_b64 vcc, exec, s[2:3]
	s_cbranch_vccz .LBB64_410
; %bb.406:
	s_cmp_eq_u32 s6, 29
	s_cbranch_scc0 .LBB64_408
; %bb.407:
	global_load_dwordx2 v[0:1], v[2:3], off
	s_mov_b64 s[0:1], -1
	s_mov_b64 s[38:39], 0
	s_waitcnt vmcnt(0)
	v_ffbh_u32_e32 v4, v1
	v_min_u32_e32 v4, 32, v4
	v_lshlrev_b64 v[0:1], v4, v[0:1]
	v_min_u32_e32 v0, 1, v0
	v_or_b32_e32 v0, v1, v0
	v_cvt_f32_u32_e32 v0, v0
	v_sub_u32_e32 v1, 32, v4
	v_ldexp_f32 v0, v0, v1
	s_branch .LBB64_409
.LBB64_408:
	s_mov_b64 s[38:39], -1
                                        ; implicit-def: $vgpr0
.LBB64_409:
	v_mov_b32_e32 v1, 0
.LBB64_410:
	s_mov_b64 s[2:3], 0
.LBB64_411:
	s_and_b64 vcc, exec, s[2:3]
	s_cbranch_vccz .LBB64_427
; %bb.412:
	s_cmp_lt_i32 s6, 27
	s_cbranch_scc1 .LBB64_415
; %bb.413:
	s_cmp_gt_i32 s6, 27
	s_cbranch_scc0 .LBB64_416
; %bb.414:
	global_load_dword v0, v[2:3], off
	s_mov_b64 s[0:1], 0
	s_waitcnt vmcnt(0)
	v_cvt_f32_u32_e32 v0, v0
	s_branch .LBB64_417
.LBB64_415:
	s_mov_b64 s[0:1], -1
                                        ; implicit-def: $vgpr0
	s_branch .LBB64_420
.LBB64_416:
	s_mov_b64 s[0:1], -1
                                        ; implicit-def: $vgpr0
.LBB64_417:
	s_andn2_b64 vcc, exec, s[0:1]
	s_cbranch_vccnz .LBB64_419
; %bb.418:
	global_load_ushort v0, v[2:3], off
	s_waitcnt vmcnt(0)
	v_cvt_f32_u32_e32 v0, v0
.LBB64_419:
	s_mov_b64 s[0:1], 0
.LBB64_420:
	s_andn2_b64 vcc, exec, s[0:1]
	s_cbranch_vccnz .LBB64_426
; %bb.421:
	global_load_ubyte v1, v[2:3], off
	s_movk_i32 s0, 0x7f
	s_waitcnt vmcnt(0)
	v_cmp_lt_i16_e32 vcc, s0, v1
	s_mov_b64 s[0:1], 0
	s_and_saveexec_b64 s[2:3], vcc
	s_xor_b64 s[2:3], exec, s[2:3]
	s_cbranch_execnz .LBB64_439
; %bb.422:
	s_or_saveexec_b64 s[2:3], s[2:3]
	v_mov_b32_e32 v0, 0x7f800001
	s_xor_b64 exec, exec, s[2:3]
	s_cbranch_execnz .LBB64_442
.LBB64_423:
	s_or_b64 exec, exec, s[2:3]
	s_and_saveexec_b64 s[2:3], s[0:1]
	s_cbranch_execz .LBB64_425
.LBB64_424:
	v_lshlrev_b32_e32 v0, 24, v1
	v_and_b32_e32 v1, 0xffff, v1
	v_and_b32_e32 v4, 7, v1
	v_ffbh_u32_e32 v6, v4
	v_min_u32_e32 v6, 32, v6
	v_subrev_u32_e32 v7, 28, v6
	v_bfe_u32 v5, v1, 3, 4
	v_lshlrev_b32_e32 v1, v7, v1
	v_sub_u32_e32 v6, 29, v6
	v_and_b32_e32 v1, 7, v1
	v_cmp_eq_u32_e32 vcc, 0, v5
	v_and_b32_e32 v0, 0x80000000, v0
	s_nop 0
	v_cndmask_b32_e32 v5, v5, v6, vcc
	v_cndmask_b32_e32 v1, v4, v1, vcc
	v_mov_b32_e32 v4, 0x3b800000
	v_lshlrev_b32_e32 v1, 20, v1
	v_lshl_add_u32 v4, v5, 23, v4
	v_or3_b32 v0, v0, v4, v1
.LBB64_425:
	s_or_b64 exec, exec, s[2:3]
.LBB64_426:
	s_mov_b64 s[0:1], -1
	v_mov_b32_e32 v1, 0
.LBB64_427:
	s_mov_b64 s[2:3], 0
.LBB64_428:
	s_and_b64 vcc, exec, s[2:3]
	s_cbranch_vccz .LBB64_462
; %bb.429:
	s_cmp_gt_i32 s6, 22
	s_cbranch_scc0 .LBB64_437
; %bb.430:
	s_cmp_lt_i32 s6, 24
	s_cbranch_scc1 .LBB64_438
; %bb.431:
	s_cmp_gt_i32 s6, 24
	s_cbranch_scc0 .LBB64_443
; %bb.432:
	global_load_ubyte v1, v[2:3], off
	s_movk_i32 s0, 0x7f
	s_waitcnt vmcnt(0)
	v_cmp_lt_i16_e32 vcc, s0, v1
	s_mov_b64 s[0:1], 0
	s_and_saveexec_b64 s[2:3], vcc
	s_xor_b64 s[2:3], exec, s[2:3]
	s_cbranch_execnz .LBB64_528
; %bb.433:
	s_or_saveexec_b64 s[2:3], s[2:3]
	v_mov_b32_e32 v0, 0x7f800001
	s_xor_b64 exec, exec, s[2:3]
	s_cbranch_execnz .LBB64_531
.LBB64_434:
	s_or_b64 exec, exec, s[2:3]
	s_and_saveexec_b64 s[2:3], s[0:1]
	s_cbranch_execz .LBB64_436
.LBB64_435:
	v_lshlrev_b32_e32 v0, 24, v1
	v_and_b32_e32 v1, 0xffff, v1
	v_and_b32_e32 v4, 3, v1
	v_ffbh_u32_e32 v6, v4
	v_min_u32_e32 v6, 32, v6
	v_subrev_u32_e32 v7, 29, v6
	v_bfe_u32 v5, v1, 2, 5
	v_lshlrev_b32_e32 v1, v7, v1
	v_sub_u32_e32 v6, 30, v6
	v_and_b32_e32 v1, 3, v1
	v_cmp_eq_u32_e32 vcc, 0, v5
	v_and_b32_e32 v0, 0x80000000, v0
	s_nop 0
	v_cndmask_b32_e32 v5, v5, v6, vcc
	v_cndmask_b32_e32 v1, v4, v1, vcc
	v_mov_b32_e32 v4, 0x37800000
	v_lshlrev_b32_e32 v1, 21, v1
	v_lshl_add_u32 v4, v5, 23, v4
	v_or3_b32 v0, v0, v4, v1
.LBB64_436:
	s_or_b64 exec, exec, s[2:3]
	s_mov_b64 s[0:1], 0
	s_branch .LBB64_444
.LBB64_437:
	s_mov_b64 s[2:3], -1
                                        ; implicit-def: $vgpr0
	s_branch .LBB64_450
.LBB64_438:
	s_mov_b64 s[0:1], -1
                                        ; implicit-def: $vgpr0
	s_branch .LBB64_447
.LBB64_439:
	s_movk_i32 s0, 0x80
	v_cmp_eq_u16_e32 vcc, s0, v1
	s_mov_b64 s[0:1], -1
	s_and_saveexec_b64 s[4:5], vcc
; %bb.440:
	s_xor_b64 s[0:1], exec, -1
; %bb.441:
	s_or_b64 exec, exec, s[4:5]
	s_and_b64 s[0:1], s[0:1], exec
	s_or_saveexec_b64 s[2:3], s[2:3]
	v_mov_b32_e32 v0, 0x7f800001
	s_xor_b64 exec, exec, s[2:3]
	s_cbranch_execz .LBB64_423
.LBB64_442:
	v_cmp_ne_u16_e32 vcc, 0, v1
	s_andn2_b64 s[0:1], s[0:1], exec
	s_and_b64 s[4:5], vcc, exec
	v_mov_b32_e32 v0, 0
	s_or_b64 s[0:1], s[0:1], s[4:5]
	s_or_b64 exec, exec, s[2:3]
	s_and_saveexec_b64 s[2:3], s[0:1]
	s_cbranch_execnz .LBB64_424
	s_branch .LBB64_425
.LBB64_443:
	s_mov_b64 s[0:1], -1
                                        ; implicit-def: $vgpr0
.LBB64_444:
	s_and_b64 vcc, exec, s[0:1]
	s_cbranch_vccz .LBB64_446
; %bb.445:
	global_load_ubyte v0, v[2:3], off
	s_mov_b32 s0, 0x7f800000
	s_waitcnt vmcnt(0)
	v_lshlrev_b32_e32 v0, 24, v0
	v_and_b32_e32 v1, 0x7f000000, v0
	v_ffbh_u32_e32 v4, v1
	v_min_u32_e32 v4, 32, v4
	v_sub_u32_e64 v4, v4, 4 clamp
	v_lshlrev_b32_e32 v6, v4, v1
	v_lshlrev_b32_e32 v4, 23, v4
	v_lshrrev_b32_e32 v6, 4, v6
	v_add_u32_e32 v5, 0x1000000, v1
	v_sub_u32_e32 v4, v6, v4
	v_ashrrev_i32_e32 v5, 8, v5
	v_add_u32_e32 v4, 0x3c000000, v4
	v_and_or_b32 v4, v5, s0, v4
	v_cmp_ne_u32_e32 vcc, 0, v1
	s_brev_b32 s0, 1
	s_nop 0
	v_cndmask_b32_e32 v1, 0, v4, vcc
	v_and_or_b32 v0, v0, s0, v1
.LBB64_446:
	s_mov_b64 s[0:1], 0
.LBB64_447:
	s_andn2_b64 vcc, exec, s[0:1]
	s_cbranch_vccnz .LBB64_449
; %bb.448:
	global_load_ubyte v0, v[2:3], off
	s_movk_i32 s0, 0x7f00
	s_brev_b32 s1, 16
	s_waitcnt vmcnt(0)
	v_lshlrev_b16_e32 v1, 8, v0
	v_lshlrev_b32_e32 v0, 25, v0
	v_lshrrev_b32_e32 v4, 4, v0
	v_and_or_b32 v5, v1, s0, 0.5
	v_or_b32_e32 v4, 0x70000000, v4
	v_add_f32_e32 v5, -0.5, v5
	v_mul_f32_e32 v4, 0x7800000, v4
	v_cmp_gt_u32_e32 vcc, s1, v0
	v_bfe_i32 v1, v1, 0, 16
	s_brev_b32 s0, 1
	v_cndmask_b32_e32 v0, v4, v5, vcc
	v_and_or_b32 v0, v1, s0, v0
.LBB64_449:
	s_mov_b64 s[2:3], 0
	s_mov_b64 s[0:1], -1
.LBB64_450:
	s_andn2_b64 vcc, exec, s[2:3]
	s_cbranch_vccnz .LBB64_461
; %bb.451:
	s_cmp_gt_i32 s6, 14
	s_cbranch_scc0 .LBB64_454
; %bb.452:
	s_cmp_eq_u32 s6, 15
	s_cbranch_scc0 .LBB64_455
; %bb.453:
	global_load_ushort v0, v[2:3], off
	s_mov_b64 s[0:1], -1
	s_mov_b64 s[38:39], 0
	s_waitcnt vmcnt(0)
	v_lshlrev_b32_e32 v0, 16, v0
	s_branch .LBB64_456
.LBB64_454:
	s_mov_b64 s[2:3], -1
                                        ; implicit-def: $vgpr0
	s_branch .LBB64_457
.LBB64_455:
	s_mov_b64 s[38:39], -1
                                        ; implicit-def: $vgpr0
.LBB64_456:
	s_mov_b64 s[2:3], 0
.LBB64_457:
	s_and_b64 vcc, exec, s[2:3]
	s_cbranch_vccz .LBB64_461
; %bb.458:
	s_cmp_eq_u32 s6, 11
	s_cbranch_scc0 .LBB64_460
; %bb.459:
	global_load_ubyte v0, v[2:3], off
	s_mov_b64 s[0:1], -1
	s_mov_b64 s[38:39], 0
	v_mov_b32_e32 v1, 0
	s_waitcnt vmcnt(0)
	v_cmp_ne_u16_e32 vcc, 0, v0
	s_nop 1
	v_cndmask_b32_e64 v0, 0, 1.0, vcc
	s_branch .LBB64_462
.LBB64_460:
	s_mov_b64 s[38:39], -1
                                        ; implicit-def: $vgpr0
.LBB64_461:
	v_mov_b32_e32 v1, 0
.LBB64_462:
	s_branch .LBB64_264
.LBB64_463:
	s_cmp_lt_i32 s6, 5
	s_cbranch_scc1 .LBB64_468
; %bb.464:
	s_cmp_lt_i32 s6, 8
	s_cbranch_scc1 .LBB64_469
; %bb.465:
	;; [unrolled: 3-line block ×3, first 2 shown]
	s_cmp_gt_i32 s6, 9
	s_cbranch_scc0 .LBB64_471
; %bb.467:
	global_load_dwordx4 v[4:7], v[2:3], off
	s_mov_b64 s[0:1], 0
	s_waitcnt vmcnt(0)
	v_cvt_f32_f64_e32 v0, v[4:5]
	v_cvt_f32_f64_e32 v1, v[6:7]
	s_branch .LBB64_472
.LBB64_468:
	s_mov_b64 s[0:1], -1
                                        ; implicit-def: $vgpr1
	s_branch .LBB64_491
.LBB64_469:
	s_mov_b64 s[0:1], -1
                                        ; implicit-def: $vgpr1
	s_branch .LBB64_478
.LBB64_470:
	s_mov_b64 s[0:1], -1
                                        ; implicit-def: $vgpr1
	s_branch .LBB64_475
.LBB64_471:
	s_mov_b64 s[0:1], -1
                                        ; implicit-def: $vgpr1
.LBB64_472:
	s_andn2_b64 vcc, exec, s[0:1]
	s_cbranch_vccnz .LBB64_474
; %bb.473:
	global_load_dwordx2 v[0:1], v[2:3], off
.LBB64_474:
	s_mov_b64 s[0:1], 0
.LBB64_475:
	s_andn2_b64 vcc, exec, s[0:1]
	s_cbranch_vccnz .LBB64_477
; %bb.476:
	global_load_dword v0, v[2:3], off
	s_waitcnt vmcnt(0)
	v_cvt_f32_f16_sdwa v1, v0 dst_sel:DWORD dst_unused:UNUSED_PAD src0_sel:WORD_1
	v_cvt_f32_f16_e32 v0, v0
.LBB64_477:
	s_mov_b64 s[0:1], 0
.LBB64_478:
	s_andn2_b64 vcc, exec, s[0:1]
	s_cbranch_vccnz .LBB64_490
; %bb.479:
	s_cmp_lt_i32 s6, 6
	s_cbranch_scc1 .LBB64_482
; %bb.480:
	s_cmp_gt_i32 s6, 6
	s_cbranch_scc0 .LBB64_483
; %bb.481:
	global_load_dwordx2 v[0:1], v[2:3], off
	s_mov_b64 s[0:1], 0
	s_waitcnt vmcnt(0)
	v_cvt_f32_f64_e32 v0, v[0:1]
	s_branch .LBB64_484
.LBB64_482:
	s_mov_b64 s[0:1], -1
                                        ; implicit-def: $vgpr0
	s_branch .LBB64_487
.LBB64_483:
	s_mov_b64 s[0:1], -1
                                        ; implicit-def: $vgpr0
.LBB64_484:
	s_andn2_b64 vcc, exec, s[0:1]
	s_cbranch_vccnz .LBB64_486
; %bb.485:
	global_load_dword v0, v[2:3], off
.LBB64_486:
	s_mov_b64 s[0:1], 0
.LBB64_487:
	s_andn2_b64 vcc, exec, s[0:1]
	s_cbranch_vccnz .LBB64_489
; %bb.488:
	global_load_ushort v0, v[2:3], off
	s_waitcnt vmcnt(0)
	v_cvt_f32_f16_e32 v0, v0
.LBB64_489:
	s_waitcnt vmcnt(0)
	v_mov_b32_e32 v1, 0
.LBB64_490:
	s_mov_b64 s[0:1], 0
.LBB64_491:
	s_andn2_b64 vcc, exec, s[0:1]
	s_cbranch_vccnz .LBB64_512
; %bb.492:
	s_cmp_lt_i32 s6, 2
	s_cbranch_scc1 .LBB64_496
; %bb.493:
	s_cmp_lt_i32 s6, 3
	s_cbranch_scc1 .LBB64_497
; %bb.494:
	s_cmp_gt_i32 s6, 3
	s_cbranch_scc0 .LBB64_498
; %bb.495:
	global_load_dwordx2 v[0:1], v[2:3], off
	s_mov_b64 s[0:1], 0
	s_waitcnt vmcnt(0)
	v_xor_b32_e32 v5, v0, v1
	v_ffbh_i32_e32 v4, v1
	v_ashrrev_i32_e32 v5, 31, v5
	v_add_u32_e32 v4, -1, v4
	v_add_u32_e32 v5, 32, v5
	v_min_u32_e32 v4, v4, v5
	v_lshlrev_b64 v[0:1], v4, v[0:1]
	v_min_u32_e32 v0, 1, v0
	v_or_b32_e32 v0, v1, v0
	v_cvt_f32_i32_e32 v0, v0
	v_sub_u32_e32 v1, 32, v4
	v_ldexp_f32 v0, v0, v1
	s_branch .LBB64_499
.LBB64_496:
	s_mov_b64 s[0:1], -1
                                        ; implicit-def: $vgpr0
	s_branch .LBB64_505
.LBB64_497:
	s_mov_b64 s[0:1], -1
                                        ; implicit-def: $vgpr0
	s_branch .LBB64_502
.LBB64_498:
	s_mov_b64 s[0:1], -1
                                        ; implicit-def: $vgpr0
.LBB64_499:
	s_andn2_b64 vcc, exec, s[0:1]
	s_cbranch_vccnz .LBB64_501
; %bb.500:
	global_load_dword v0, v[2:3], off
	s_waitcnt vmcnt(0)
	v_cvt_f32_i32_e32 v0, v0
.LBB64_501:
	s_mov_b64 s[0:1], 0
.LBB64_502:
	s_andn2_b64 vcc, exec, s[0:1]
	s_cbranch_vccnz .LBB64_504
; %bb.503:
	global_load_sshort v0, v[2:3], off
	s_waitcnt vmcnt(0)
	v_cvt_f32_i32_e32 v0, v0
.LBB64_504:
	s_mov_b64 s[0:1], 0
.LBB64_505:
	s_andn2_b64 vcc, exec, s[0:1]
	s_cbranch_vccnz .LBB64_511
; %bb.506:
	s_cmp_gt_i32 s6, 0
	s_cbranch_scc0 .LBB64_508
; %bb.507:
	global_load_sbyte v0, v[2:3], off
	s_mov_b64 s[0:1], 0
	s_waitcnt vmcnt(0)
	v_cvt_f32_i32_e32 v0, v0
	s_branch .LBB64_509
.LBB64_508:
	s_mov_b64 s[0:1], -1
                                        ; implicit-def: $vgpr0
.LBB64_509:
	s_andn2_b64 vcc, exec, s[0:1]
	s_cbranch_vccnz .LBB64_511
; %bb.510:
	global_load_ubyte v0, v[2:3], off
	s_waitcnt vmcnt(0)
	v_cvt_f32_ubyte0_e32 v0, v0
.LBB64_511:
	s_waitcnt vmcnt(0)
	v_mov_b32_e32 v1, 0
.LBB64_512:
	s_branch .LBB64_265
.LBB64_513:
	s_mov_b64 s[2:3], 0
                                        ; implicit-def: $vgpr21
	s_mov_b64 s[0:1], s[28:29]
.LBB64_514:
	s_andn2_b64 s[4:5], s[28:29], exec
	s_and_b64 s[0:1], s[0:1], exec
	s_or_b64 s[40:41], s[4:5], s[0:1]
	s_andn2_b64 s[0:1], s[34:35], exec
	s_and_b64 s[4:5], s[38:39], exec
	s_or_b64 s[38:39], s[0:1], s[4:5]
	s_orn2_b64 s[0:1], s[2:3], exec
.LBB64_515:
	s_or_b64 exec, exec, s[42:43]
	s_mov_b64 s[2:3], 0
	s_mov_b64 s[4:5], 0
	;; [unrolled: 1-line block ×3, first 2 shown]
                                        ; implicit-def: $vgpr0_vgpr1
                                        ; implicit-def: $vgpr3
	s_and_saveexec_b64 s[42:43], s[0:1]
	s_cbranch_execz .LBB64_868
; %bb.516:
	v_cmp_gt_i32_e32 vcc, s49, v21
	s_mov_b64 s[10:11], -1
	s_mov_b64 s[0:1], s[38:39]
	s_mov_b64 s[2:3], s[40:41]
	s_and_saveexec_b64 s[44:45], vcc
	s_cbranch_execz .LBB64_783
; %bb.517:
	s_waitcnt vmcnt(0)
	v_mul_lo_u32 v0, v21, s19
	v_ashrrev_i32_e32 v1, 31, v0
	s_and_b32 s6, 0xffff, s48
	s_cmp_lt_i32 s6, 11
	v_lshl_add_u64 v[2:3], s[22:23], 0, v[0:1]
	s_cbranch_scc1 .LBB64_524
; %bb.518:
	s_cmp_gt_i32 s6, 25
	s_cbranch_scc0 .LBB64_525
; %bb.519:
	s_cmp_gt_i32 s6, 28
	s_cbranch_scc0 .LBB64_526
	;; [unrolled: 3-line block ×4, first 2 shown]
; %bb.522:
	s_cmp_eq_u32 s6, 46
	s_mov_b64 s[2:3], 0
	s_cbranch_scc0 .LBB64_537
; %bb.523:
	global_load_dword v0, v[2:3], off
	s_mov_b64 s[0:1], -1
	s_mov_b64 s[46:47], 0
	s_waitcnt vmcnt(0)
	v_and_b32_e32 v1, 0xffff0000, v0
	v_lshlrev_b32_e32 v0, 16, v0
	s_branch .LBB64_538
.LBB64_524:
	s_mov_b64 s[2:3], -1
	s_mov_b64 s[0:1], 0
                                        ; implicit-def: $vgpr1
	s_mov_b64 s[46:47], s[38:39]
	s_branch .LBB64_602
.LBB64_525:
	s_mov_b64 s[2:3], -1
	s_mov_b64 s[0:1], 0
	s_mov_b64 s[46:47], s[38:39]
                                        ; implicit-def: $vgpr1
	s_branch .LBB64_567
.LBB64_526:
	s_mov_b64 s[2:3], -1
	s_mov_b64 s[0:1], 0
	s_mov_b64 s[46:47], s[38:39]
                                        ; implicit-def: $vgpr1
	s_branch .LBB64_550
.LBB64_527:
	s_mov_b64 s[2:3], -1
	s_mov_b64 s[0:1], 0
	s_mov_b64 s[46:47], s[38:39]
                                        ; implicit-def: $vgpr1
	s_branch .LBB64_544
.LBB64_528:
	s_movk_i32 s0, 0x80
	v_cmp_eq_u16_e32 vcc, s0, v1
	s_mov_b64 s[0:1], -1
	s_and_saveexec_b64 s[4:5], vcc
; %bb.529:
	s_xor_b64 s[0:1], exec, -1
; %bb.530:
	s_or_b64 exec, exec, s[4:5]
	s_and_b64 s[0:1], s[0:1], exec
	s_or_saveexec_b64 s[2:3], s[2:3]
	v_mov_b32_e32 v0, 0x7f800001
	s_xor_b64 exec, exec, s[2:3]
	s_cbranch_execz .LBB64_434
.LBB64_531:
	v_cmp_ne_u16_e32 vcc, 0, v1
	s_andn2_b64 s[0:1], s[0:1], exec
	s_and_b64 s[4:5], vcc, exec
	v_mov_b32_e32 v0, 0
	s_or_b64 s[0:1], s[0:1], s[4:5]
	s_or_b64 exec, exec, s[2:3]
	s_and_saveexec_b64 s[2:3], s[0:1]
	s_cbranch_execnz .LBB64_435
	s_branch .LBB64_436
.LBB64_532:
	s_mov_b64 s[2:3], -1
	s_mov_b64 s[0:1], 0
	s_mov_b64 s[46:47], s[38:39]
                                        ; implicit-def: $vgpr1
	s_branch .LBB64_538
.LBB64_533:
	v_bfe_u32 v4, v0, 21, 1
	s_mov_b32 s10, 0x88fffff
	v_add3_u32 v4, v0, v4, s10
	s_mov_b64 s[4:5], exec
	v_lshrrev_b32_e32 v4, 21, v4
	s_andn2_saveexec_b64 s[6:7], s[6:7]
	s_cbranch_execz .LBB64_67
.LBB64_534:
	s_mov_b32 s10, 0x42800000
	v_add_f32_e64 v4, |v0|, s10
	v_and_b32_e32 v4, 0xff, v4
	v_cmp_ne_u32_e32 vcc, 0, v4
	s_andn2_b64 s[4:5], s[4:5], exec
	s_and_b64 s[10:11], vcc, exec
	s_or_b64 s[4:5], s[4:5], s[10:11]
	s_or_b64 exec, exec, s[6:7]
	v_mov_b32_e32 v5, 0
	s_and_saveexec_b64 s[6:7], s[4:5]
	s_cbranch_execnz .LBB64_68
	s_branch .LBB64_69
.LBB64_535:
	v_bfe_u32 v4, v0, 20, 1
	s_mov_b32 s10, 0x487ffff
	v_add3_u32 v4, v0, v4, s10
	s_mov_b64 s[4:5], exec
	v_lshrrev_b32_e32 v4, 20, v4
	s_andn2_saveexec_b64 s[6:7], s[6:7]
	s_cbranch_execz .LBB64_312
.LBB64_536:
	s_mov_b32 s10, 0x46000000
	v_add_f32_e64 v4, |v0|, s10
	v_and_b32_e32 v4, 0xff, v4
	v_cmp_ne_u32_e32 vcc, 0, v4
	s_andn2_b64 s[4:5], s[4:5], exec
	s_and_b64 s[10:11], vcc, exec
	s_or_b64 s[4:5], s[4:5], s[10:11]
	s_or_b64 exec, exec, s[6:7]
	v_mov_b32_e32 v5, 0
	s_and_saveexec_b64 s[6:7], s[4:5]
	s_cbranch_execnz .LBB64_313
	s_branch .LBB64_314
.LBB64_537:
	s_mov_b64 s[46:47], -1
                                        ; implicit-def: $vgpr1
	s_mov_b64 s[0:1], 0
.LBB64_538:
	s_and_b64 vcc, exec, s[2:3]
	s_cbranch_vccz .LBB64_543
; %bb.539:
	s_cmp_eq_u32 s6, 44
	s_cbranch_scc0 .LBB64_541
; %bb.540:
	global_load_ubyte v0, v[2:3], off
	s_movk_i32 s2, 0xff
	v_mov_b32_e32 v1, 0x7f800001
	v_mov_b32_e32 v4, 0x400000
	s_mov_b64 s[0:1], -1
	s_mov_b64 s[46:47], 0
	s_waitcnt vmcnt(0)
	v_lshlrev_b32_e32 v5, 23, v0
	v_cmp_ne_u32_e32 vcc, s2, v0
	s_nop 1
	v_cndmask_b32_e32 v1, v1, v5, vcc
	v_cmp_ne_u32_e32 vcc, 0, v0
	s_nop 1
	v_cndmask_b32_e32 v0, v4, v1, vcc
	s_branch .LBB64_542
.LBB64_541:
	s_mov_b64 s[46:47], -1
                                        ; implicit-def: $vgpr0
.LBB64_542:
	v_mov_b32_e32 v1, 0
.LBB64_543:
	s_mov_b64 s[2:3], 0
.LBB64_544:
	s_and_b64 vcc, exec, s[2:3]
	s_cbranch_vccz .LBB64_549
; %bb.545:
	s_cmp_eq_u32 s6, 29
	s_cbranch_scc0 .LBB64_547
; %bb.546:
	global_load_dwordx2 v[0:1], v[2:3], off
	s_mov_b64 s[0:1], -1
	s_mov_b64 s[46:47], 0
	s_waitcnt vmcnt(0)
	v_ffbh_u32_e32 v4, v1
	v_min_u32_e32 v4, 32, v4
	v_lshlrev_b64 v[0:1], v4, v[0:1]
	v_min_u32_e32 v0, 1, v0
	v_or_b32_e32 v0, v1, v0
	v_cvt_f32_u32_e32 v0, v0
	v_sub_u32_e32 v1, 32, v4
	v_ldexp_f32 v0, v0, v1
	s_branch .LBB64_548
.LBB64_547:
	s_mov_b64 s[46:47], -1
                                        ; implicit-def: $vgpr0
.LBB64_548:
	v_mov_b32_e32 v1, 0
.LBB64_549:
	s_mov_b64 s[2:3], 0
.LBB64_550:
	s_and_b64 vcc, exec, s[2:3]
	s_cbranch_vccz .LBB64_566
; %bb.551:
	s_cmp_lt_i32 s6, 27
	s_cbranch_scc1 .LBB64_554
; %bb.552:
	s_cmp_gt_i32 s6, 27
	s_cbranch_scc0 .LBB64_555
; %bb.553:
	global_load_dword v0, v[2:3], off
	s_mov_b64 s[0:1], 0
	s_waitcnt vmcnt(0)
	v_cvt_f32_u32_e32 v0, v0
	s_branch .LBB64_556
.LBB64_554:
	s_mov_b64 s[0:1], -1
                                        ; implicit-def: $vgpr0
	s_branch .LBB64_559
.LBB64_555:
	s_mov_b64 s[0:1], -1
                                        ; implicit-def: $vgpr0
.LBB64_556:
	s_andn2_b64 vcc, exec, s[0:1]
	s_cbranch_vccnz .LBB64_558
; %bb.557:
	global_load_ushort v0, v[2:3], off
	s_waitcnt vmcnt(0)
	v_cvt_f32_u32_e32 v0, v0
.LBB64_558:
	s_mov_b64 s[0:1], 0
.LBB64_559:
	s_andn2_b64 vcc, exec, s[0:1]
	s_cbranch_vccnz .LBB64_565
; %bb.560:
	global_load_ubyte v1, v[2:3], off
	s_movk_i32 s0, 0x7f
	s_waitcnt vmcnt(0)
	v_cmp_lt_i16_e32 vcc, s0, v1
	s_mov_b64 s[0:1], 0
	s_and_saveexec_b64 s[2:3], vcc
	s_xor_b64 s[2:3], exec, s[2:3]
	s_cbranch_execnz .LBB64_578
; %bb.561:
	s_or_saveexec_b64 s[2:3], s[2:3]
	v_mov_b32_e32 v0, 0x7f800001
	s_xor_b64 exec, exec, s[2:3]
	s_cbranch_execnz .LBB64_581
.LBB64_562:
	s_or_b64 exec, exec, s[2:3]
	s_and_saveexec_b64 s[2:3], s[0:1]
	s_cbranch_execz .LBB64_564
.LBB64_563:
	v_lshlrev_b32_e32 v0, 24, v1
	v_and_b32_e32 v1, 0xffff, v1
	v_and_b32_e32 v4, 7, v1
	v_ffbh_u32_e32 v6, v4
	v_min_u32_e32 v6, 32, v6
	v_subrev_u32_e32 v7, 28, v6
	v_bfe_u32 v5, v1, 3, 4
	v_lshlrev_b32_e32 v1, v7, v1
	v_sub_u32_e32 v6, 29, v6
	v_and_b32_e32 v1, 7, v1
	v_cmp_eq_u32_e32 vcc, 0, v5
	v_and_b32_e32 v0, 0x80000000, v0
	s_nop 0
	v_cndmask_b32_e32 v5, v5, v6, vcc
	v_cndmask_b32_e32 v1, v4, v1, vcc
	v_mov_b32_e32 v4, 0x3b800000
	v_lshlrev_b32_e32 v1, 20, v1
	v_lshl_add_u32 v4, v5, 23, v4
	v_or3_b32 v0, v0, v4, v1
.LBB64_564:
	s_or_b64 exec, exec, s[2:3]
.LBB64_565:
	s_mov_b64 s[0:1], -1
	v_mov_b32_e32 v1, 0
.LBB64_566:
	s_mov_b64 s[2:3], 0
.LBB64_567:
	s_and_b64 vcc, exec, s[2:3]
	s_cbranch_vccz .LBB64_601
; %bb.568:
	s_cmp_gt_i32 s6, 22
	s_cbranch_scc0 .LBB64_576
; %bb.569:
	s_cmp_lt_i32 s6, 24
	s_cbranch_scc1 .LBB64_577
; %bb.570:
	s_cmp_gt_i32 s6, 24
	s_cbranch_scc0 .LBB64_582
; %bb.571:
	global_load_ubyte v1, v[2:3], off
	s_movk_i32 s0, 0x7f
	s_waitcnt vmcnt(0)
	v_cmp_lt_i16_e32 vcc, s0, v1
	s_mov_b64 s[0:1], 0
	s_and_saveexec_b64 s[2:3], vcc
	s_xor_b64 s[2:3], exec, s[2:3]
	s_cbranch_execnz .LBB64_666
; %bb.572:
	s_or_saveexec_b64 s[2:3], s[2:3]
	v_mov_b32_e32 v0, 0x7f800001
	s_xor_b64 exec, exec, s[2:3]
	s_cbranch_execnz .LBB64_669
.LBB64_573:
	s_or_b64 exec, exec, s[2:3]
	s_and_saveexec_b64 s[2:3], s[0:1]
	s_cbranch_execz .LBB64_575
.LBB64_574:
	v_lshlrev_b32_e32 v0, 24, v1
	v_and_b32_e32 v1, 0xffff, v1
	v_and_b32_e32 v4, 3, v1
	v_ffbh_u32_e32 v6, v4
	v_min_u32_e32 v6, 32, v6
	v_subrev_u32_e32 v7, 29, v6
	v_bfe_u32 v5, v1, 2, 5
	v_lshlrev_b32_e32 v1, v7, v1
	v_sub_u32_e32 v6, 30, v6
	v_and_b32_e32 v1, 3, v1
	v_cmp_eq_u32_e32 vcc, 0, v5
	v_and_b32_e32 v0, 0x80000000, v0
	s_nop 0
	v_cndmask_b32_e32 v5, v5, v6, vcc
	v_cndmask_b32_e32 v1, v4, v1, vcc
	v_mov_b32_e32 v4, 0x37800000
	v_lshlrev_b32_e32 v1, 21, v1
	v_lshl_add_u32 v4, v5, 23, v4
	v_or3_b32 v0, v0, v4, v1
.LBB64_575:
	s_or_b64 exec, exec, s[2:3]
	s_mov_b64 s[0:1], 0
	s_branch .LBB64_583
.LBB64_576:
	s_mov_b64 s[2:3], -1
                                        ; implicit-def: $vgpr0
	s_branch .LBB64_589
.LBB64_577:
	s_mov_b64 s[0:1], -1
                                        ; implicit-def: $vgpr0
	s_branch .LBB64_586
.LBB64_578:
	s_movk_i32 s0, 0x80
	v_cmp_eq_u16_e32 vcc, s0, v1
	s_mov_b64 s[0:1], -1
	s_and_saveexec_b64 s[4:5], vcc
; %bb.579:
	s_xor_b64 s[0:1], exec, -1
; %bb.580:
	s_or_b64 exec, exec, s[4:5]
	s_and_b64 s[0:1], s[0:1], exec
	s_or_saveexec_b64 s[2:3], s[2:3]
	v_mov_b32_e32 v0, 0x7f800001
	s_xor_b64 exec, exec, s[2:3]
	s_cbranch_execz .LBB64_562
.LBB64_581:
	v_cmp_ne_u16_e32 vcc, 0, v1
	s_andn2_b64 s[0:1], s[0:1], exec
	s_and_b64 s[4:5], vcc, exec
	v_mov_b32_e32 v0, 0
	s_or_b64 s[0:1], s[0:1], s[4:5]
	s_or_b64 exec, exec, s[2:3]
	s_and_saveexec_b64 s[2:3], s[0:1]
	s_cbranch_execnz .LBB64_563
	s_branch .LBB64_564
.LBB64_582:
	s_mov_b64 s[0:1], -1
                                        ; implicit-def: $vgpr0
.LBB64_583:
	s_and_b64 vcc, exec, s[0:1]
	s_cbranch_vccz .LBB64_585
; %bb.584:
	global_load_ubyte v0, v[2:3], off
	s_mov_b32 s0, 0x7f800000
	s_waitcnt vmcnt(0)
	v_lshlrev_b32_e32 v0, 24, v0
	v_and_b32_e32 v1, 0x7f000000, v0
	v_ffbh_u32_e32 v4, v1
	v_min_u32_e32 v4, 32, v4
	v_sub_u32_e64 v4, v4, 4 clamp
	v_lshlrev_b32_e32 v6, v4, v1
	v_lshlrev_b32_e32 v4, 23, v4
	v_lshrrev_b32_e32 v6, 4, v6
	v_add_u32_e32 v5, 0x1000000, v1
	v_sub_u32_e32 v4, v6, v4
	v_ashrrev_i32_e32 v5, 8, v5
	v_add_u32_e32 v4, 0x3c000000, v4
	v_and_or_b32 v4, v5, s0, v4
	v_cmp_ne_u32_e32 vcc, 0, v1
	s_brev_b32 s0, 1
	s_nop 0
	v_cndmask_b32_e32 v1, 0, v4, vcc
	v_and_or_b32 v0, v0, s0, v1
.LBB64_585:
	s_mov_b64 s[0:1], 0
.LBB64_586:
	s_andn2_b64 vcc, exec, s[0:1]
	s_cbranch_vccnz .LBB64_588
; %bb.587:
	global_load_ubyte v0, v[2:3], off
	s_movk_i32 s0, 0x7f00
	s_brev_b32 s1, 16
	s_waitcnt vmcnt(0)
	v_lshlrev_b16_e32 v1, 8, v0
	v_lshlrev_b32_e32 v0, 25, v0
	v_lshrrev_b32_e32 v4, 4, v0
	v_and_or_b32 v5, v1, s0, 0.5
	v_or_b32_e32 v4, 0x70000000, v4
	v_add_f32_e32 v5, -0.5, v5
	v_mul_f32_e32 v4, 0x7800000, v4
	v_cmp_gt_u32_e32 vcc, s1, v0
	v_bfe_i32 v1, v1, 0, 16
	s_brev_b32 s0, 1
	v_cndmask_b32_e32 v0, v4, v5, vcc
	v_and_or_b32 v0, v1, s0, v0
.LBB64_588:
	s_mov_b64 s[2:3], 0
	s_mov_b64 s[0:1], -1
.LBB64_589:
	s_andn2_b64 vcc, exec, s[2:3]
	s_cbranch_vccnz .LBB64_600
; %bb.590:
	s_cmp_gt_i32 s6, 14
	s_cbranch_scc0 .LBB64_593
; %bb.591:
	s_cmp_eq_u32 s6, 15
	s_cbranch_scc0 .LBB64_594
; %bb.592:
	global_load_ushort v0, v[2:3], off
	s_mov_b64 s[0:1], -1
	s_mov_b64 s[46:47], 0
	s_waitcnt vmcnt(0)
	v_lshlrev_b32_e32 v0, 16, v0
	s_branch .LBB64_595
.LBB64_593:
	s_mov_b64 s[2:3], -1
                                        ; implicit-def: $vgpr0
	s_branch .LBB64_596
.LBB64_594:
	s_mov_b64 s[46:47], -1
                                        ; implicit-def: $vgpr0
.LBB64_595:
	s_mov_b64 s[2:3], 0
.LBB64_596:
	s_and_b64 vcc, exec, s[2:3]
	s_cbranch_vccz .LBB64_600
; %bb.597:
	s_cmp_eq_u32 s6, 11
	s_cbranch_scc0 .LBB64_599
; %bb.598:
	global_load_ubyte v0, v[2:3], off
	s_mov_b64 s[0:1], -1
	s_mov_b64 s[46:47], 0
	v_mov_b32_e32 v1, 0
	s_waitcnt vmcnt(0)
	v_cmp_ne_u16_e32 vcc, 0, v0
	s_nop 1
	v_cndmask_b32_e64 v0, 0, 1.0, vcc
	s_branch .LBB64_601
.LBB64_599:
	s_mov_b64 s[46:47], -1
                                        ; implicit-def: $vgpr0
.LBB64_600:
	v_mov_b32_e32 v1, 0
.LBB64_601:
	s_mov_b64 s[2:3], 0
.LBB64_602:
	s_and_b64 vcc, exec, s[2:3]
	s_cbranch_vccz .LBB64_653
; %bb.603:
	s_cmp_lt_i32 s6, 5
	s_cbranch_scc1 .LBB64_608
; %bb.604:
	s_cmp_lt_i32 s6, 8
	s_cbranch_scc1 .LBB64_609
	;; [unrolled: 3-line block ×3, first 2 shown]
; %bb.606:
	s_cmp_gt_i32 s6, 9
	s_cbranch_scc0 .LBB64_611
; %bb.607:
	global_load_dwordx4 v[4:7], v[2:3], off
	s_mov_b64 s[0:1], 0
	s_waitcnt vmcnt(0)
	v_cvt_f32_f64_e32 v0, v[4:5]
	v_cvt_f32_f64_e32 v1, v[6:7]
	s_branch .LBB64_612
.LBB64_608:
	s_mov_b64 s[0:1], -1
                                        ; implicit-def: $vgpr1
	s_branch .LBB64_631
.LBB64_609:
	s_mov_b64 s[0:1], -1
                                        ; implicit-def: $vgpr1
	s_branch .LBB64_618
.LBB64_610:
	s_mov_b64 s[0:1], -1
                                        ; implicit-def: $vgpr1
	s_branch .LBB64_615
.LBB64_611:
	s_mov_b64 s[0:1], -1
                                        ; implicit-def: $vgpr1
.LBB64_612:
	s_andn2_b64 vcc, exec, s[0:1]
	s_cbranch_vccnz .LBB64_614
; %bb.613:
	global_load_dwordx2 v[0:1], v[2:3], off
.LBB64_614:
	s_mov_b64 s[0:1], 0
.LBB64_615:
	s_andn2_b64 vcc, exec, s[0:1]
	s_cbranch_vccnz .LBB64_617
; %bb.616:
	global_load_dword v0, v[2:3], off
	s_waitcnt vmcnt(0)
	v_cvt_f32_f16_sdwa v1, v0 dst_sel:DWORD dst_unused:UNUSED_PAD src0_sel:WORD_1
	v_cvt_f32_f16_e32 v0, v0
.LBB64_617:
	s_mov_b64 s[0:1], 0
.LBB64_618:
	s_andn2_b64 vcc, exec, s[0:1]
	s_cbranch_vccnz .LBB64_630
; %bb.619:
	s_cmp_lt_i32 s6, 6
	s_cbranch_scc1 .LBB64_622
; %bb.620:
	s_cmp_gt_i32 s6, 6
	s_cbranch_scc0 .LBB64_623
; %bb.621:
	global_load_dwordx2 v[0:1], v[2:3], off
	s_mov_b64 s[0:1], 0
	s_waitcnt vmcnt(0)
	v_cvt_f32_f64_e32 v0, v[0:1]
	s_branch .LBB64_624
.LBB64_622:
	s_mov_b64 s[0:1], -1
                                        ; implicit-def: $vgpr0
	s_branch .LBB64_627
.LBB64_623:
	s_mov_b64 s[0:1], -1
                                        ; implicit-def: $vgpr0
.LBB64_624:
	s_andn2_b64 vcc, exec, s[0:1]
	s_cbranch_vccnz .LBB64_626
; %bb.625:
	global_load_dword v0, v[2:3], off
.LBB64_626:
	s_mov_b64 s[0:1], 0
.LBB64_627:
	s_andn2_b64 vcc, exec, s[0:1]
	s_cbranch_vccnz .LBB64_629
; %bb.628:
	global_load_ushort v0, v[2:3], off
	s_waitcnt vmcnt(0)
	v_cvt_f32_f16_e32 v0, v0
.LBB64_629:
	s_waitcnt vmcnt(0)
	v_mov_b32_e32 v1, 0
.LBB64_630:
	s_mov_b64 s[0:1], 0
.LBB64_631:
	s_andn2_b64 vcc, exec, s[0:1]
	s_cbranch_vccnz .LBB64_652
; %bb.632:
	s_cmp_lt_i32 s6, 2
	s_cbranch_scc1 .LBB64_636
; %bb.633:
	s_cmp_lt_i32 s6, 3
	s_cbranch_scc1 .LBB64_637
; %bb.634:
	s_cmp_gt_i32 s6, 3
	s_cbranch_scc0 .LBB64_638
; %bb.635:
	global_load_dwordx2 v[0:1], v[2:3], off
	s_mov_b64 s[0:1], 0
	s_waitcnt vmcnt(0)
	v_xor_b32_e32 v5, v0, v1
	v_ffbh_i32_e32 v4, v1
	v_ashrrev_i32_e32 v5, 31, v5
	v_add_u32_e32 v4, -1, v4
	v_add_u32_e32 v5, 32, v5
	v_min_u32_e32 v4, v4, v5
	v_lshlrev_b64 v[0:1], v4, v[0:1]
	v_min_u32_e32 v0, 1, v0
	v_or_b32_e32 v0, v1, v0
	v_cvt_f32_i32_e32 v0, v0
	v_sub_u32_e32 v1, 32, v4
	v_ldexp_f32 v0, v0, v1
	s_branch .LBB64_639
.LBB64_636:
	s_mov_b64 s[0:1], -1
                                        ; implicit-def: $vgpr0
	s_branch .LBB64_645
.LBB64_637:
	s_mov_b64 s[0:1], -1
                                        ; implicit-def: $vgpr0
	s_branch .LBB64_642
.LBB64_638:
	s_mov_b64 s[0:1], -1
                                        ; implicit-def: $vgpr0
.LBB64_639:
	s_andn2_b64 vcc, exec, s[0:1]
	s_cbranch_vccnz .LBB64_641
; %bb.640:
	global_load_dword v0, v[2:3], off
	s_waitcnt vmcnt(0)
	v_cvt_f32_i32_e32 v0, v0
.LBB64_641:
	s_mov_b64 s[0:1], 0
.LBB64_642:
	s_andn2_b64 vcc, exec, s[0:1]
	s_cbranch_vccnz .LBB64_644
; %bb.643:
	global_load_sshort v0, v[2:3], off
	s_waitcnt vmcnt(0)
	v_cvt_f32_i32_e32 v0, v0
.LBB64_644:
	s_mov_b64 s[0:1], 0
.LBB64_645:
	s_andn2_b64 vcc, exec, s[0:1]
	s_cbranch_vccnz .LBB64_651
; %bb.646:
	s_cmp_gt_i32 s6, 0
	s_cbranch_scc0 .LBB64_648
; %bb.647:
	global_load_sbyte v0, v[2:3], off
	s_mov_b64 s[0:1], 0
	s_waitcnt vmcnt(0)
	v_cvt_f32_i32_e32 v0, v0
	s_branch .LBB64_649
.LBB64_648:
	s_mov_b64 s[0:1], -1
                                        ; implicit-def: $vgpr0
.LBB64_649:
	s_andn2_b64 vcc, exec, s[0:1]
	s_cbranch_vccnz .LBB64_651
; %bb.650:
	global_load_ubyte v0, v[2:3], off
	s_waitcnt vmcnt(0)
	v_cvt_f32_ubyte0_e32 v0, v0
.LBB64_651:
	s_waitcnt vmcnt(0)
	v_mov_b32_e32 v1, 0
.LBB64_652:
	s_mov_b64 s[0:1], -1
.LBB64_653:
	s_andn2_b64 vcc, exec, s[0:1]
	s_cbranch_vccnz .LBB64_661
; %bb.654:
	s_getpc_b64 s[0:1]
	s_add_u32 s0, s0, _ZN16c10_complex_math3expIfEEN3c107complexIT_EERKS4_@rel32@lo+4
	s_addc_u32 s1, s1, _ZN16c10_complex_math3expIfEEN3c107complexIT_EERKS4_@rel32@hi+12
	s_swappc_b64 s[30:31], s[0:1]
	v_mul_lo_u32 v2, v21, s18
	v_ashrrev_i32_e32 v3, 31, v2
	s_and_b32 s8, s33, 0xff
	s_cmp_lt_i32 s8, 11
	v_lshl_add_u64 v[2:3], s[20:21], 0, v[2:3]
	s_cbranch_scc1 .LBB64_662
; %bb.655:
	s_and_b32 s9, 0xffff, s8
	s_cmp_gt_i32 s9, 25
	s_cbranch_scc0 .LBB64_663
; %bb.656:
	s_cmp_gt_i32 s9, 28
	s_cbranch_scc0 .LBB64_664
; %bb.657:
	;; [unrolled: 3-line block ×4, first 2 shown]
	s_mov_b64 s[4:5], 0
	s_mov_b64 s[0:1], -1
	s_cmp_eq_u32 s9, 46
	s_mov_b64 s[2:3], 0
	s_cbranch_scc0 .LBB64_671
; %bb.660:
	s_movk_i32 s0, 0x7fff
	v_bfe_u32 v5, v1, 16, 1
	v_add3_u32 v5, v1, v5, s0
	v_bfe_u32 v4, v0, 16, 1
	v_and_b32_e32 v5, 0xffff0000, v5
	v_mov_b32_e32 v6, 0x7fc00000
	v_cmp_o_f32_e32 vcc, v1, v1
	v_add3_u32 v4, v0, v4, s0
	s_mov_b64 s[2:3], -1
	v_cndmask_b32_e32 v5, v6, v5, vcc
	v_cmp_o_f32_e32 vcc, v0, v0
	v_mov_b32_e32 v6, 0x7fc0
	s_mov_b64 s[0:1], 0
	v_cndmask_b32_sdwa v4, v6, v4, vcc dst_sel:DWORD dst_unused:UNUSED_PAD src0_sel:DWORD src1_sel:WORD_1
	v_or_b32_e32 v4, v5, v4
	global_store_dword v[2:3], v4, off
	s_branch .LBB64_671
.LBB64_661:
	s_mov_b64 s[4:5], 0
                                        ; implicit-def: $vgpr21
	s_mov_b64 s[0:1], s[40:41]
	s_branch .LBB64_782
.LBB64_662:
	s_mov_b64 s[4:5], -1
	s_mov_b64 s[2:3], 0
	s_mov_b64 s[0:1], s[40:41]
	s_branch .LBB64_740
.LBB64_663:
	s_mov_b64 s[4:5], -1
	s_mov_b64 s[2:3], 0
	s_mov_b64 s[0:1], s[40:41]
	s_branch .LBB64_698
.LBB64_664:
	s_mov_b64 s[4:5], -1
	s_mov_b64 s[2:3], 0
	s_mov_b64 s[0:1], s[40:41]
	s_branch .LBB64_681
.LBB64_665:
	s_mov_b64 s[4:5], -1
	s_mov_b64 s[2:3], 0
	s_mov_b64 s[0:1], s[40:41]
	s_branch .LBB64_677
.LBB64_666:
	s_movk_i32 s0, 0x80
	v_cmp_eq_u16_e32 vcc, s0, v1
	s_mov_b64 s[0:1], -1
	s_and_saveexec_b64 s[4:5], vcc
; %bb.667:
	s_xor_b64 s[0:1], exec, -1
; %bb.668:
	s_or_b64 exec, exec, s[4:5]
	s_and_b64 s[0:1], s[0:1], exec
	s_or_saveexec_b64 s[2:3], s[2:3]
	v_mov_b32_e32 v0, 0x7f800001
	s_xor_b64 exec, exec, s[2:3]
	s_cbranch_execz .LBB64_573
.LBB64_669:
	v_cmp_ne_u16_e32 vcc, 0, v1
	s_andn2_b64 s[0:1], s[0:1], exec
	s_and_b64 s[4:5], vcc, exec
	v_mov_b32_e32 v0, 0
	s_or_b64 s[0:1], s[0:1], s[4:5]
	s_or_b64 exec, exec, s[2:3]
	s_and_saveexec_b64 s[2:3], s[0:1]
	s_cbranch_execnz .LBB64_574
	s_branch .LBB64_575
.LBB64_670:
	s_mov_b64 s[4:5], -1
	s_mov_b64 s[2:3], 0
	s_mov_b64 s[0:1], s[40:41]
.LBB64_671:
	s_and_b64 vcc, exec, s[4:5]
	s_cbranch_vccz .LBB64_676
; %bb.672:
	s_cmp_eq_u32 s9, 44
	s_mov_b64 s[0:1], -1
	s_cbranch_scc0 .LBB64_676
; %bb.673:
	v_bfe_u32 v4, v0, 23, 8
	s_movk_i32 s0, 0xff
	v_cmp_ne_u32_e32 vcc, s0, v4
	v_mov_b32_e32 v5, 0xff
	s_and_saveexec_b64 s[2:3], vcc
; %bb.674:
	s_mov_b32 s0, 0x3fffff
	v_and_b32_e32 v6, 0x400000, v0
	v_and_or_b32 v4, v0, s0, v4
	v_cmp_ne_u32_e32 vcc, 0, v6
	v_cmp_ne_u32_e64 s[0:1], 0, v4
	s_and_b64 s[0:1], vcc, s[0:1]
	v_lshrrev_b32_e32 v5, 23, v0
	v_cndmask_b32_e64 v4, 0, 1, s[0:1]
	v_add_u32_e32 v5, v5, v4
; %bb.675:
	s_or_b64 exec, exec, s[2:3]
	s_mov_b64 s[2:3], -1
	s_mov_b64 s[0:1], 0
	global_store_byte v[2:3], v5, off
.LBB64_676:
	s_mov_b64 s[4:5], 0
.LBB64_677:
	s_and_b64 vcc, exec, s[4:5]
	s_cbranch_vccz .LBB64_680
; %bb.678:
	s_cmp_eq_u32 s9, 29
	s_mov_b64 s[0:1], -1
	s_cbranch_scc0 .LBB64_680
; %bb.679:
	v_trunc_f32_e32 v4, v0
	v_mul_f32_e32 v5, 0x2f800000, v4
	v_floor_f32_e32 v6, v5
	v_fmamk_f32 v4, v6, 0xcf800000, v4
	v_cvt_u32_f32_e32 v5, v6
	v_cvt_u32_f32_e32 v4, v4
	s_mov_b64 s[2:3], -1
	s_mov_b64 s[0:1], 0
	s_mov_b64 s[4:5], 0
	global_store_dwordx2 v[2:3], v[4:5], off
	s_branch .LBB64_681
.LBB64_680:
	s_mov_b64 s[4:5], 0
.LBB64_681:
	s_and_b64 vcc, exec, s[4:5]
	s_cbranch_vccz .LBB64_697
; %bb.682:
	s_cmp_lt_i32 s9, 27
	s_mov_b64 s[2:3], -1
	s_cbranch_scc1 .LBB64_688
; %bb.683:
	v_cvt_u32_f32_e32 v4, v0
	s_cmp_gt_i32 s9, 27
	s_cbranch_scc0 .LBB64_685
; %bb.684:
	s_mov_b64 s[2:3], 0
	global_store_dword v[2:3], v4, off
.LBB64_685:
	s_andn2_b64 vcc, exec, s[2:3]
	s_cbranch_vccnz .LBB64_687
; %bb.686:
	global_store_short v[2:3], v4, off
.LBB64_687:
	s_mov_b64 s[2:3], 0
.LBB64_688:
	s_andn2_b64 vcc, exec, s[2:3]
	s_cbranch_vccnz .LBB64_696
; %bb.689:
	v_and_b32_e32 v4, 0x7fffffff, v0
	s_mov_b32 s2, 0x43800000
	v_cmp_gt_u32_e32 vcc, s2, v4
	v_mov_b32_e32 v5, 0x80
	s_and_saveexec_b64 s[2:3], vcc
	s_cbranch_execz .LBB64_695
; %bb.690:
	s_mov_b32 s4, 0x3bffffff
	v_cmp_lt_u32_e32 vcc, s4, v4
	s_mov_b64 s[4:5], 0
                                        ; implicit-def: $vgpr4
	s_and_saveexec_b64 s[6:7], vcc
	s_xor_b64 s[6:7], exec, s[6:7]
	s_cbranch_execnz .LBB64_799
; %bb.691:
	s_andn2_saveexec_b64 s[6:7], s[6:7]
	s_cbranch_execnz .LBB64_800
.LBB64_692:
	s_or_b64 exec, exec, s[6:7]
	v_mov_b32_e32 v5, 0
	s_and_saveexec_b64 s[6:7], s[4:5]
.LBB64_693:
	v_lshrrev_b32_e32 v5, 24, v0
	s_movk_i32 s4, 0x80
	v_and_or_b32 v5, v5, s4, v4
.LBB64_694:
	s_or_b64 exec, exec, s[6:7]
.LBB64_695:
	s_or_b64 exec, exec, s[2:3]
	global_store_byte v[2:3], v5, off
.LBB64_696:
	s_mov_b64 s[2:3], -1
.LBB64_697:
	s_mov_b64 s[4:5], 0
.LBB64_698:
	s_and_b64 vcc, exec, s[4:5]
	s_cbranch_vccz .LBB64_739
; %bb.699:
	s_cmp_gt_i32 s9, 22
	s_mov_b64 s[4:5], -1
	s_cbranch_scc0 .LBB64_731
; %bb.700:
	s_cmp_lt_i32 s9, 24
	s_mov_b64 s[2:3], -1
	s_cbranch_scc1 .LBB64_720
; %bb.701:
	s_cmp_gt_i32 s9, 24
	s_cbranch_scc0 .LBB64_709
; %bb.702:
	v_and_b32_e32 v4, 0x7fffffff, v0
	s_mov_b32 s2, 0x47800000
	v_cmp_gt_u32_e32 vcc, s2, v4
	v_mov_b32_e32 v5, 0x80
	s_and_saveexec_b64 s[2:3], vcc
	s_cbranch_execz .LBB64_708
; %bb.703:
	s_mov_b32 s4, 0x37ffffff
	v_cmp_lt_u32_e32 vcc, s4, v4
	s_mov_b64 s[4:5], 0
                                        ; implicit-def: $vgpr4
	s_and_saveexec_b64 s[6:7], vcc
	s_xor_b64 s[6:7], exec, s[6:7]
	s_cbranch_execnz .LBB64_2060
; %bb.704:
	s_andn2_saveexec_b64 s[6:7], s[6:7]
	s_cbranch_execnz .LBB64_2061
.LBB64_705:
	s_or_b64 exec, exec, s[6:7]
	v_mov_b32_e32 v5, 0
	s_and_saveexec_b64 s[6:7], s[4:5]
.LBB64_706:
	v_lshrrev_b32_e32 v5, 24, v0
	s_movk_i32 s4, 0x80
	v_and_or_b32 v5, v5, s4, v4
.LBB64_707:
	s_or_b64 exec, exec, s[6:7]
.LBB64_708:
	s_or_b64 exec, exec, s[2:3]
	s_mov_b64 s[2:3], 0
	global_store_byte v[2:3], v5, off
.LBB64_709:
	s_and_b64 vcc, exec, s[2:3]
	s_cbranch_vccz .LBB64_719
; %bb.710:
	v_and_b32_e32 v5, 0x7fffffff, v0
	s_mov_b32 s2, 0x43f00000
	v_cmp_gt_u32_e32 vcc, s2, v5
                                        ; implicit-def: $vgpr4
	s_and_saveexec_b64 s[2:3], vcc
	s_xor_b64 s[2:3], exec, s[2:3]
	s_cbranch_execz .LBB64_716
; %bb.711:
	s_mov_b32 s4, 0x3c7fffff
	v_cmp_lt_u32_e32 vcc, s4, v5
                                        ; implicit-def: $vgpr4
	s_and_saveexec_b64 s[4:5], vcc
	s_xor_b64 s[4:5], exec, s[4:5]
; %bb.712:
	v_bfe_u32 v4, v0, 20, 1
	s_mov_b32 s6, 0x407ffff
	v_add3_u32 v4, v0, v4, s6
	v_lshrrev_b32_e32 v5, 20, v4
	v_and_b32_e32 v4, 0xff00000, v4
	s_mov_b32 s6, 0x7f00000
	v_mov_b32_e32 v6, 0x7e
	v_cmp_ne_u32_e32 vcc, s6, v4
	s_nop 1
	v_cndmask_b32_e32 v4, v6, v5, vcc
; %bb.713:
	s_andn2_saveexec_b64 s[4:5], s[4:5]
; %bb.714:
	s_mov_b32 s6, 0x46800000
	v_add_f32_e64 v4, |v0|, s6
; %bb.715:
	s_or_b64 exec, exec, s[4:5]
                                        ; implicit-def: $vgpr5
.LBB64_716:
	s_andn2_saveexec_b64 s[2:3], s[2:3]
; %bb.717:
	s_mov_b32 s4, 0x7f800000
	v_mov_b32_e32 v4, 0x7e
	v_mov_b32_e32 v6, 0x7f
	v_cmp_lt_u32_e32 vcc, s4, v5
	s_nop 1
	v_cndmask_b32_e32 v4, v4, v6, vcc
; %bb.718:
	s_or_b64 exec, exec, s[2:3]
	v_lshrrev_b32_e32 v5, 24, v0
	s_movk_i32 s2, 0x80
	v_and_or_b32 v4, v5, s2, v4
	global_store_byte v[2:3], v4, off
.LBB64_719:
	s_mov_b64 s[2:3], 0
.LBB64_720:
	s_andn2_b64 vcc, exec, s[2:3]
	s_cbranch_vccnz .LBB64_730
; %bb.721:
	v_and_b32_e32 v5, 0x7fffffff, v0
	s_mov_b32 s2, 0x47800000
	v_cmp_gt_u32_e32 vcc, s2, v5
                                        ; implicit-def: $vgpr4
	s_and_saveexec_b64 s[2:3], vcc
	s_xor_b64 s[2:3], exec, s[2:3]
	s_cbranch_execz .LBB64_727
; %bb.722:
	s_mov_b32 s4, 0x387fffff
	v_cmp_lt_u32_e32 vcc, s4, v5
                                        ; implicit-def: $vgpr4
	s_and_saveexec_b64 s[4:5], vcc
	s_xor_b64 s[4:5], exec, s[4:5]
; %bb.723:
	v_bfe_u32 v4, v0, 21, 1
	s_mov_b32 s6, 0x80fffff
	v_add3_u32 v4, v0, v4, s6
	v_lshrrev_b32_e32 v4, 21, v4
; %bb.724:
	s_andn2_saveexec_b64 s[4:5], s[4:5]
; %bb.725:
	s_mov_b32 s6, 0x43000000
	v_add_f32_e64 v4, |v0|, s6
; %bb.726:
	s_or_b64 exec, exec, s[4:5]
                                        ; implicit-def: $vgpr5
.LBB64_727:
	s_andn2_saveexec_b64 s[2:3], s[2:3]
; %bb.728:
	s_mov_b32 s4, 0x7f800000
	v_mov_b32_e32 v4, 0x7c
	v_mov_b32_e32 v6, 0x7f
	v_cmp_lt_u32_e32 vcc, s4, v5
	s_nop 1
	v_cndmask_b32_e32 v4, v4, v6, vcc
; %bb.729:
	s_or_b64 exec, exec, s[2:3]
	v_lshrrev_b32_e32 v5, 24, v0
	s_movk_i32 s2, 0x80
	v_and_or_b32 v4, v5, s2, v4
	global_store_byte v[2:3], v4, off
.LBB64_730:
	s_mov_b64 s[4:5], 0
	s_mov_b64 s[2:3], -1
.LBB64_731:
	s_andn2_b64 vcc, exec, s[4:5]
	s_cbranch_vccnz .LBB64_739
; %bb.732:
	s_cmp_gt_i32 s9, 14
	s_mov_b64 s[4:5], -1
	s_cbranch_scc0 .LBB64_736
; %bb.733:
	s_cmp_eq_u32 s9, 15
	s_mov_b64 s[0:1], -1
	s_cbranch_scc0 .LBB64_735
; %bb.734:
	v_bfe_u32 v4, v0, 16, 1
	s_movk_i32 s0, 0x7fff
	v_add3_u32 v4, v0, v4, s0
	v_cmp_o_f32_e32 vcc, v0, v0
	v_mov_b32_e32 v5, 0x7fc0
	s_mov_b64 s[2:3], -1
	v_cndmask_b32_sdwa v4, v5, v4, vcc dst_sel:DWORD dst_unused:UNUSED_PAD src0_sel:DWORD src1_sel:WORD_1
	global_store_short v[2:3], v4, off
	s_mov_b64 s[0:1], 0
.LBB64_735:
	s_mov_b64 s[4:5], 0
.LBB64_736:
	s_and_b64 vcc, exec, s[4:5]
	s_cbranch_vccz .LBB64_739
; %bb.737:
	s_cmp_eq_u32 s9, 11
	s_mov_b64 s[0:1], -1
	s_cbranch_scc0 .LBB64_739
; %bb.738:
	s_brev_b32 s0, -2
	v_bitop3_b32 v4, v0, s0, v1 bitop3:0xc8
	v_cmp_ne_u32_e32 vcc, 0, v4
	s_mov_b64 s[2:3], -1
	s_mov_b64 s[0:1], 0
	v_cndmask_b32_e64 v4, 0, 1, vcc
	global_store_byte v[2:3], v4, off
.LBB64_739:
	s_mov_b64 s[4:5], 0
.LBB64_740:
	s_and_b64 vcc, exec, s[4:5]
	s_cbranch_vccz .LBB64_779
; %bb.741:
	s_and_b32 s4, 0xffff, s8
	s_cmp_lt_i32 s4, 5
	s_mov_b64 s[2:3], -1
	s_cbranch_scc1 .LBB64_762
; %bb.742:
	s_cmp_lt_i32 s4, 8
	s_cbranch_scc1 .LBB64_752
; %bb.743:
	s_cmp_lt_i32 s4, 9
	s_cbranch_scc1 .LBB64_749
; %bb.744:
	s_cmp_gt_i32 s4, 9
	s_cbranch_scc0 .LBB64_746
; %bb.745:
	v_cvt_f64_f32_e32 v[4:5], v0
	v_cvt_f64_f32_e32 v[6:7], v1
	s_mov_b64 s[2:3], 0
	global_store_dwordx4 v[2:3], v[4:7], off
.LBB64_746:
	s_andn2_b64 vcc, exec, s[2:3]
	s_cbranch_vccnz .LBB64_748
; %bb.747:
	global_store_dwordx2 v[2:3], v[0:1], off
.LBB64_748:
	s_mov_b64 s[2:3], 0
.LBB64_749:
	s_andn2_b64 vcc, exec, s[2:3]
	s_cbranch_vccnz .LBB64_751
; %bb.750:
	v_cvt_f16_f32_e32 v4, v0
	v_cvt_f16_f32_sdwa v1, v1 dst_sel:WORD_1 dst_unused:UNUSED_PAD src0_sel:DWORD
	s_nop 0
	v_or_b32_e32 v1, v1, v4
	global_store_dword v[2:3], v1, off
.LBB64_751:
	s_mov_b64 s[2:3], 0
.LBB64_752:
	s_andn2_b64 vcc, exec, s[2:3]
	s_cbranch_vccnz .LBB64_761
; %bb.753:
	s_cmp_lt_i32 s4, 6
	s_mov_b64 s[2:3], -1
	s_cbranch_scc1 .LBB64_759
; %bb.754:
	s_cmp_gt_i32 s4, 6
	s_cbranch_scc0 .LBB64_756
; %bb.755:
	v_cvt_f64_f32_e32 v[4:5], v0
	s_mov_b64 s[2:3], 0
	global_store_dwordx2 v[2:3], v[4:5], off
.LBB64_756:
	s_andn2_b64 vcc, exec, s[2:3]
	s_cbranch_vccnz .LBB64_758
; %bb.757:
	global_store_dword v[2:3], v0, off
.LBB64_758:
	s_mov_b64 s[2:3], 0
.LBB64_759:
	s_andn2_b64 vcc, exec, s[2:3]
	s_cbranch_vccnz .LBB64_761
; %bb.760:
	v_cvt_f16_f32_e32 v1, v0
	global_store_short v[2:3], v1, off
.LBB64_761:
	s_mov_b64 s[2:3], 0
.LBB64_762:
	s_andn2_b64 vcc, exec, s[2:3]
	s_cbranch_vccnz .LBB64_778
; %bb.763:
	s_cmp_lt_i32 s4, 2
	s_mov_b64 s[2:3], -1
	s_cbranch_scc1 .LBB64_773
; %bb.764:
	s_cmp_lt_i32 s4, 3
	s_cbranch_scc1 .LBB64_770
; %bb.765:
	s_cmp_gt_i32 s4, 3
	s_cbranch_scc0 .LBB64_767
; %bb.766:
	v_trunc_f32_e32 v1, v0
	s_mov_b32 s2, 0x2f800000
	v_mul_f32_e64 v4, |v1|, s2
	v_floor_f32_e32 v4, v4
	s_mov_b32 s2, 0xcf800000
	v_cvt_u32_f32_e32 v5, v4
	v_fma_f32 v4, v4, s2, |v1|
	v_cvt_u32_f32_e32 v4, v4
	v_ashrrev_i32_e32 v1, 31, v1
	v_xor_b32_e32 v5, v5, v1
	s_mov_b64 s[2:3], 0
	v_xor_b32_e32 v4, v4, v1
	v_sub_co_u32_e32 v4, vcc, v4, v1
	s_nop 1
	v_subb_co_u32_e32 v5, vcc, v5, v1, vcc
	global_store_dwordx2 v[2:3], v[4:5], off
.LBB64_767:
	s_andn2_b64 vcc, exec, s[2:3]
	s_cbranch_vccnz .LBB64_769
; %bb.768:
	v_cvt_i32_f32_e32 v1, v0
	global_store_dword v[2:3], v1, off
.LBB64_769:
	s_mov_b64 s[2:3], 0
.LBB64_770:
	s_andn2_b64 vcc, exec, s[2:3]
	s_cbranch_vccnz .LBB64_772
; %bb.771:
	v_cvt_i32_f32_e32 v1, v0
	global_store_short v[2:3], v1, off
.LBB64_772:
	s_mov_b64 s[2:3], 0
.LBB64_773:
	s_andn2_b64 vcc, exec, s[2:3]
	s_cbranch_vccnz .LBB64_778
; %bb.774:
	s_cmp_gt_i32 s4, 0
	s_mov_b64 s[2:3], -1
	s_cbranch_scc0 .LBB64_776
; %bb.775:
	v_cvt_i32_f32_e32 v1, v0
	s_mov_b64 s[2:3], 0
	global_store_byte v[2:3], v1, off
.LBB64_776:
	s_andn2_b64 vcc, exec, s[2:3]
	s_cbranch_vccnz .LBB64_778
; %bb.777:
	v_trunc_f32_e32 v0, v0
	s_mov_b32 s2, 0x2f800000
	v_mul_f32_e64 v1, |v0|, s2
	v_floor_f32_e32 v1, v1
	s_mov_b32 s2, 0xcf800000
	v_fma_f32 v1, v1, s2, |v0|
	v_cvt_u32_f32_e32 v1, v1
	v_ashrrev_i32_e32 v0, 31, v0
	v_xor_b32_e32 v1, v1, v0
	v_sub_u32_e32 v0, v1, v0
	global_store_byte v[2:3], v0, off
.LBB64_778:
	s_mov_b64 s[2:3], -1
.LBB64_779:
	s_andn2_b64 vcc, exec, s[2:3]
	s_cbranch_vccnz .LBB64_781
; %bb.780:
	v_add_u32_e32 v21, 0x80, v21
	s_mov_b64 s[4:5], -1
	s_branch .LBB64_782
.LBB64_781:
	s_mov_b64 s[4:5], 0
                                        ; implicit-def: $vgpr21
.LBB64_782:
	s_andn2_b64 s[2:3], s[40:41], exec
	s_and_b64 s[0:1], s[0:1], exec
	s_or_b64 s[2:3], s[2:3], s[0:1]
	s_andn2_b64 s[0:1], s[38:39], exec
	s_and_b64 s[6:7], s[46:47], exec
	s_or_b64 s[0:1], s[0:1], s[6:7]
	s_orn2_b64 s[10:11], s[4:5], exec
.LBB64_783:
	s_or_b64 exec, exec, s[44:45]
	s_mov_b64 s[8:9], 0
	s_mov_b64 s[12:13], 0
	;; [unrolled: 1-line block ×3, first 2 shown]
                                        ; implicit-def: $vgpr0_vgpr1
                                        ; implicit-def: $vgpr3
	s_and_saveexec_b64 s[4:5], s[10:11]
	s_cbranch_execz .LBB64_867
; %bb.784:
	v_cmp_gt_i32_e32 vcc, s49, v21
	s_mov_b64 s[10:11], 0
	s_mov_b64 s[14:15], s[0:1]
	;; [unrolled: 1-line block ×3, first 2 shown]
                                        ; implicit-def: $vgpr0_vgpr1
                                        ; implicit-def: $vgpr3
	s_and_saveexec_b64 s[6:7], vcc
	s_cbranch_execz .LBB64_866
; %bb.785:
	s_waitcnt vmcnt(0)
	v_mul_lo_u32 v0, v21, s19
	v_ashrrev_i32_e32 v1, 31, v0
	s_and_b32 s30, 0xffff, s48
	s_cmp_lt_i32 s30, 11
	v_lshl_add_u64 v[0:1], s[22:23], 0, v[0:1]
	s_cbranch_scc1 .LBB64_792
; %bb.786:
	s_cmp_gt_i32 s30, 25
	s_cbranch_scc0 .LBB64_793
; %bb.787:
	s_cmp_gt_i32 s30, 28
	s_cbranch_scc0 .LBB64_794
	;; [unrolled: 3-line block ×4, first 2 shown]
; %bb.790:
	s_cmp_eq_u32 s30, 46
	s_mov_b64 s[14:15], 0
	s_cbranch_scc0 .LBB64_801
; %bb.791:
	global_load_dword v2, v[0:1], off
	s_mov_b64 s[12:13], -1
	s_waitcnt vmcnt(0)
	v_and_b32_e32 v3, 0xffff0000, v2
	v_lshlrev_b32_e32 v2, 16, v2
	s_branch .LBB64_803
.LBB64_792:
	s_mov_b64 s[14:15], -1
                                        ; implicit-def: $vgpr3
	s_mov_b64 s[8:9], s[0:1]
	s_branch .LBB64_865
.LBB64_793:
	s_mov_b64 s[14:15], -1
	s_mov_b64 s[8:9], s[0:1]
                                        ; implicit-def: $vgpr3
	s_branch .LBB64_832
.LBB64_794:
	s_mov_b64 s[14:15], -1
	s_mov_b64 s[8:9], s[0:1]
                                        ; implicit-def: $vgpr3
	s_branch .LBB64_815
.LBB64_795:
	s_mov_b64 s[14:15], -1
	s_mov_b64 s[8:9], s[0:1]
                                        ; implicit-def: $vgpr3
	s_branch .LBB64_809
.LBB64_796:
	s_mov_b64 s[14:15], -1
	s_mov_b64 s[8:9], s[0:1]
	s_branch .LBB64_802
.LBB64_797:
	v_bfe_u32 v4, v0, 21, 1
	s_mov_b32 s10, 0x88fffff
	v_add3_u32 v4, v0, v4, s10
	s_mov_b64 s[4:5], exec
	v_lshrrev_b32_e32 v4, 21, v4
	s_andn2_saveexec_b64 s[6:7], s[6:7]
	s_cbranch_execz .LBB64_325
.LBB64_798:
	s_mov_b32 s10, 0x42800000
	v_add_f32_e64 v4, |v0|, s10
	v_and_b32_e32 v4, 0xff, v4
	v_cmp_ne_u32_e32 vcc, 0, v4
	s_andn2_b64 s[4:5], s[4:5], exec
	s_and_b64 s[10:11], vcc, exec
	s_or_b64 s[4:5], s[4:5], s[10:11]
	s_or_b64 exec, exec, s[6:7]
	v_mov_b32_e32 v5, 0
	s_and_saveexec_b64 s[6:7], s[4:5]
	s_cbranch_execnz .LBB64_326
	s_branch .LBB64_327
.LBB64_799:
	v_bfe_u32 v4, v0, 20, 1
	s_mov_b32 s10, 0x487ffff
	v_add3_u32 v4, v0, v4, s10
	s_mov_b64 s[4:5], exec
	v_lshrrev_b32_e32 v4, 20, v4
	s_andn2_saveexec_b64 s[6:7], s[6:7]
	s_cbranch_execz .LBB64_692
.LBB64_800:
	s_mov_b32 s10, 0x46000000
	v_add_f32_e64 v4, |v0|, s10
	v_and_b32_e32 v4, 0xff, v4
	v_cmp_ne_u32_e32 vcc, 0, v4
	s_andn2_b64 s[4:5], s[4:5], exec
	s_and_b64 s[10:11], vcc, exec
	s_or_b64 s[4:5], s[4:5], s[10:11]
	s_or_b64 exec, exec, s[6:7]
	v_mov_b32_e32 v5, 0
	s_and_saveexec_b64 s[6:7], s[4:5]
	s_cbranch_execnz .LBB64_693
	s_branch .LBB64_694
.LBB64_801:
	s_mov_b64 s[8:9], -1
.LBB64_802:
                                        ; implicit-def: $vgpr3
.LBB64_803:
	s_and_b64 vcc, exec, s[14:15]
	s_cbranch_vccz .LBB64_808
; %bb.804:
	s_cmp_eq_u32 s30, 44
	s_cbranch_scc0 .LBB64_806
; %bb.805:
	global_load_ubyte v2, v[0:1], off
	s_movk_i32 s12, 0xff
	v_mov_b32_e32 v3, 0x7f800001
	v_mov_b32_e32 v4, 0x400000
	s_mov_b64 s[8:9], 0
	s_waitcnt vmcnt(0)
	v_lshlrev_b32_e32 v5, 23, v2
	v_cmp_ne_u32_e32 vcc, s12, v2
	s_mov_b64 s[12:13], -1
	s_nop 0
	v_cndmask_b32_e32 v3, v3, v5, vcc
	v_cmp_ne_u32_e32 vcc, 0, v2
	s_nop 1
	v_cndmask_b32_e32 v2, v4, v3, vcc
	s_branch .LBB64_807
.LBB64_806:
	s_mov_b64 s[8:9], -1
                                        ; implicit-def: $vgpr2
.LBB64_807:
	v_mov_b32_e32 v3, 0
.LBB64_808:
	s_mov_b64 s[14:15], 0
.LBB64_809:
	s_and_b64 vcc, exec, s[14:15]
	s_cbranch_vccz .LBB64_814
; %bb.810:
	s_cmp_eq_u32 s30, 29
	s_cbranch_scc0 .LBB64_812
; %bb.811:
	global_load_dwordx2 v[2:3], v[0:1], off
	s_mov_b64 s[8:9], 0
	s_mov_b64 s[12:13], -1
	s_waitcnt vmcnt(0)
	v_ffbh_u32_e32 v4, v3
	v_min_u32_e32 v4, 32, v4
	v_lshlrev_b64 v[2:3], v4, v[2:3]
	v_min_u32_e32 v2, 1, v2
	v_or_b32_e32 v2, v3, v2
	v_cvt_f32_u32_e32 v2, v2
	v_sub_u32_e32 v3, 32, v4
	v_ldexp_f32 v2, v2, v3
	s_branch .LBB64_813
.LBB64_812:
	s_mov_b64 s[8:9], -1
                                        ; implicit-def: $vgpr2
.LBB64_813:
	v_mov_b32_e32 v3, 0
.LBB64_814:
	s_mov_b64 s[14:15], 0
.LBB64_815:
	s_and_b64 vcc, exec, s[14:15]
	s_cbranch_vccz .LBB64_831
; %bb.816:
	s_cmp_lt_i32 s30, 27
	s_cbranch_scc1 .LBB64_819
; %bb.817:
	s_cmp_gt_i32 s30, 27
	s_cbranch_scc0 .LBB64_820
; %bb.818:
	global_load_dword v2, v[0:1], off
	s_mov_b64 s[12:13], 0
	s_waitcnt vmcnt(0)
	v_cvt_f32_u32_e32 v2, v2
	s_branch .LBB64_821
.LBB64_819:
	s_mov_b64 s[12:13], -1
                                        ; implicit-def: $vgpr2
	s_branch .LBB64_824
.LBB64_820:
	s_mov_b64 s[12:13], -1
                                        ; implicit-def: $vgpr2
.LBB64_821:
	s_andn2_b64 vcc, exec, s[12:13]
	s_cbranch_vccnz .LBB64_823
; %bb.822:
	global_load_ushort v2, v[0:1], off
	s_waitcnt vmcnt(0)
	v_cvt_f32_u32_e32 v2, v2
.LBB64_823:
	s_mov_b64 s[12:13], 0
.LBB64_824:
	s_andn2_b64 vcc, exec, s[12:13]
	s_cbranch_vccnz .LBB64_830
; %bb.825:
	global_load_ubyte v3, v[0:1], off
	s_movk_i32 s12, 0x7f
	s_waitcnt vmcnt(0)
	v_cmp_lt_i16_e32 vcc, s12, v3
	s_mov_b64 s[12:13], 0
	s_and_saveexec_b64 s[14:15], vcc
	s_xor_b64 s[14:15], exec, s[14:15]
	s_cbranch_execnz .LBB64_843
; %bb.826:
	s_or_saveexec_b64 s[14:15], s[14:15]
	v_mov_b32_e32 v2, 0x7f800001
	s_xor_b64 exec, exec, s[14:15]
	s_cbranch_execnz .LBB64_846
.LBB64_827:
	s_or_b64 exec, exec, s[14:15]
	s_and_saveexec_b64 s[14:15], s[12:13]
	s_cbranch_execz .LBB64_829
.LBB64_828:
	v_lshlrev_b32_e32 v2, 24, v3
	v_and_b32_e32 v3, 0xffff, v3
	v_and_b32_e32 v4, 7, v3
	v_ffbh_u32_e32 v6, v4
	v_min_u32_e32 v6, 32, v6
	v_subrev_u32_e32 v7, 28, v6
	v_bfe_u32 v5, v3, 3, 4
	v_lshlrev_b32_e32 v3, v7, v3
	v_sub_u32_e32 v6, 29, v6
	v_and_b32_e32 v3, 7, v3
	v_cmp_eq_u32_e32 vcc, 0, v5
	v_and_b32_e32 v2, 0x80000000, v2
	s_nop 0
	v_cndmask_b32_e32 v5, v5, v6, vcc
	v_cndmask_b32_e32 v3, v4, v3, vcc
	v_mov_b32_e32 v4, 0x3b800000
	v_lshlrev_b32_e32 v3, 20, v3
	v_lshl_add_u32 v4, v5, 23, v4
	v_or3_b32 v2, v2, v4, v3
.LBB64_829:
	s_or_b64 exec, exec, s[14:15]
.LBB64_830:
	s_mov_b64 s[12:13], -1
	v_mov_b32_e32 v3, 0
.LBB64_831:
	s_mov_b64 s[14:15], 0
.LBB64_832:
	s_and_b64 vcc, exec, s[14:15]
	s_cbranch_vccz .LBB64_864
; %bb.833:
	s_cmp_gt_i32 s30, 22
	s_cbranch_scc0 .LBB64_841
; %bb.834:
	s_cmp_lt_i32 s30, 24
	s_cbranch_scc1 .LBB64_842
; %bb.835:
	s_cmp_gt_i32 s30, 24
	s_cbranch_scc0 .LBB64_847
; %bb.836:
	global_load_ubyte v3, v[0:1], off
	s_movk_i32 s10, 0x7f
	s_waitcnt vmcnt(0)
	v_cmp_lt_i16_e32 vcc, s10, v3
	s_mov_b64 s[10:11], 0
	s_and_saveexec_b64 s[12:13], vcc
	s_xor_b64 s[12:13], exec, s[12:13]
	s_cbranch_execnz .LBB64_2053
; %bb.837:
	s_or_saveexec_b64 s[12:13], s[12:13]
	v_mov_b32_e32 v2, 0x7f800001
	s_xor_b64 exec, exec, s[12:13]
	s_cbranch_execnz .LBB64_2056
.LBB64_838:
	s_or_b64 exec, exec, s[12:13]
	s_and_saveexec_b64 s[12:13], s[10:11]
	s_cbranch_execz .LBB64_840
.LBB64_839:
	v_lshlrev_b32_e32 v2, 24, v3
	v_and_b32_e32 v3, 0xffff, v3
	v_and_b32_e32 v4, 3, v3
	v_ffbh_u32_e32 v6, v4
	v_min_u32_e32 v6, 32, v6
	v_subrev_u32_e32 v7, 29, v6
	v_bfe_u32 v5, v3, 2, 5
	v_lshlrev_b32_e32 v3, v7, v3
	v_sub_u32_e32 v6, 30, v6
	v_and_b32_e32 v3, 3, v3
	v_cmp_eq_u32_e32 vcc, 0, v5
	v_and_b32_e32 v2, 0x80000000, v2
	s_nop 0
	v_cndmask_b32_e32 v5, v5, v6, vcc
	v_cndmask_b32_e32 v3, v4, v3, vcc
	v_mov_b32_e32 v4, 0x37800000
	v_lshlrev_b32_e32 v3, 21, v3
	v_lshl_add_u32 v4, v5, 23, v4
	v_or3_b32 v2, v2, v4, v3
.LBB64_840:
	s_or_b64 exec, exec, s[12:13]
	s_mov_b64 s[10:11], 0
	s_branch .LBB64_848
.LBB64_841:
	s_mov_b64 s[10:11], -1
                                        ; implicit-def: $vgpr2
	s_branch .LBB64_854
.LBB64_842:
	s_mov_b64 s[10:11], -1
                                        ; implicit-def: $vgpr2
	s_branch .LBB64_851
.LBB64_843:
	s_movk_i32 s12, 0x80
	v_cmp_eq_u16_e32 vcc, s12, v3
	s_mov_b64 s[12:13], -1
	s_and_saveexec_b64 s[16:17], vcc
; %bb.844:
	s_xor_b64 s[12:13], exec, -1
; %bb.845:
	s_or_b64 exec, exec, s[16:17]
	s_and_b64 s[12:13], s[12:13], exec
	s_or_saveexec_b64 s[14:15], s[14:15]
	v_mov_b32_e32 v2, 0x7f800001
	s_xor_b64 exec, exec, s[14:15]
	s_cbranch_execz .LBB64_827
.LBB64_846:
	v_cmp_ne_u16_e32 vcc, 0, v3
	s_andn2_b64 s[12:13], s[12:13], exec
	s_and_b64 s[16:17], vcc, exec
	v_mov_b32_e32 v2, 0
	s_or_b64 s[12:13], s[12:13], s[16:17]
	s_or_b64 exec, exec, s[14:15]
	s_and_saveexec_b64 s[14:15], s[12:13]
	s_cbranch_execnz .LBB64_828
	s_branch .LBB64_829
.LBB64_847:
	s_mov_b64 s[10:11], -1
                                        ; implicit-def: $vgpr2
.LBB64_848:
	s_and_b64 vcc, exec, s[10:11]
	s_cbranch_vccz .LBB64_850
; %bb.849:
	global_load_ubyte v2, v[0:1], off
	s_mov_b32 s10, 0x7f800000
	s_waitcnt vmcnt(0)
	v_lshlrev_b32_e32 v2, 24, v2
	v_and_b32_e32 v3, 0x7f000000, v2
	v_ffbh_u32_e32 v4, v3
	v_min_u32_e32 v4, 32, v4
	v_sub_u32_e64 v4, v4, 4 clamp
	v_lshlrev_b32_e32 v6, v4, v3
	v_lshlrev_b32_e32 v4, 23, v4
	v_lshrrev_b32_e32 v6, 4, v6
	v_add_u32_e32 v5, 0x1000000, v3
	v_sub_u32_e32 v4, v6, v4
	v_ashrrev_i32_e32 v5, 8, v5
	v_add_u32_e32 v4, 0x3c000000, v4
	v_and_or_b32 v4, v5, s10, v4
	v_cmp_ne_u32_e32 vcc, 0, v3
	s_brev_b32 s10, 1
	s_nop 0
	v_cndmask_b32_e32 v3, 0, v4, vcc
	v_and_or_b32 v2, v2, s10, v3
.LBB64_850:
	s_mov_b64 s[10:11], 0
.LBB64_851:
	s_andn2_b64 vcc, exec, s[10:11]
	s_cbranch_vccnz .LBB64_853
; %bb.852:
	global_load_ubyte v2, v[0:1], off
	s_movk_i32 s10, 0x7f00
	s_brev_b32 s11, 16
	s_waitcnt vmcnt(0)
	v_lshlrev_b16_e32 v3, 8, v2
	v_lshlrev_b32_e32 v2, 25, v2
	v_lshrrev_b32_e32 v4, 4, v2
	v_and_or_b32 v5, v3, s10, 0.5
	v_or_b32_e32 v4, 0x70000000, v4
	v_add_f32_e32 v5, -0.5, v5
	v_mul_f32_e32 v4, 0x7800000, v4
	v_cmp_gt_u32_e32 vcc, s11, v2
	v_bfe_i32 v3, v3, 0, 16
	s_brev_b32 s10, 1
	v_cndmask_b32_e32 v2, v4, v5, vcc
	v_and_or_b32 v2, v3, s10, v2
.LBB64_853:
	s_mov_b64 s[10:11], 0
	s_mov_b64 s[12:13], -1
.LBB64_854:
	s_andn2_b64 vcc, exec, s[10:11]
	s_mov_b64 s[10:11], 0
	s_cbranch_vccnz .LBB64_863
; %bb.855:
	s_cmp_gt_i32 s30, 14
	s_cbranch_scc0 .LBB64_858
; %bb.856:
	s_cmp_eq_u32 s30, 15
	s_cbranch_scc0 .LBB64_859
; %bb.857:
	global_load_ushort v2, v[0:1], off
	s_mov_b64 s[8:9], 0
	s_mov_b64 s[12:13], -1
	s_waitcnt vmcnt(0)
	v_lshlrev_b32_e32 v2, 16, v2
	s_branch .LBB64_860
.LBB64_858:
	s_mov_b64 s[14:15], -1
                                        ; implicit-def: $vgpr2
	s_branch .LBB64_861
.LBB64_859:
	s_mov_b64 s[8:9], -1
                                        ; implicit-def: $vgpr2
.LBB64_860:
	s_mov_b64 s[14:15], 0
.LBB64_861:
	s_and_b64 vcc, exec, s[14:15]
	s_cbranch_vccz .LBB64_863
; %bb.862:
	s_cmp_lg_u32 s30, 11
	s_cselect_b64 s[14:15], -1, 0
	s_andn2_b64 s[8:9], s[8:9], exec
	s_and_b64 s[14:15], s[14:15], exec
	s_mov_b64 s[10:11], -1
	s_or_b64 s[8:9], s[8:9], s[14:15]
.LBB64_863:
	v_mov_b32_e32 v3, 0
.LBB64_864:
	s_mov_b64 s[14:15], 0
.LBB64_865:
	s_and_b64 s[16:17], s[12:13], exec
	s_and_b64 s[12:13], s[14:15], exec
	s_andn2_b64 s[14:15], s[0:1], exec
	s_and_b64 s[8:9], s[8:9], exec
	s_and_b64 s[10:11], s[10:11], exec
	s_or_b64 s[14:15], s[14:15], s[8:9]
.LBB64_866:
	s_or_b64 exec, exec, s[6:7]
	s_and_b64 s[8:9], s[10:11], exec
	s_andn2_b64 s[0:1], s[0:1], exec
	s_and_b64 s[10:11], s[14:15], exec
	s_and_b64 s[6:7], s[16:17], exec
	s_and_b64 s[12:13], s[12:13], exec
	s_or_b64 s[0:1], s[0:1], s[10:11]
.LBB64_867:
	s_or_b64 exec, exec, s[4:5]
	s_andn2_b64 s[4:5], s[40:41], exec
	s_and_b64 s[2:3], s[2:3], exec
	s_or_b64 s[40:41], s[4:5], s[2:3]
	s_and_b64 s[2:3], s[8:9], exec
	s_andn2_b64 s[8:9], s[38:39], exec
	s_and_b64 s[0:1], s[0:1], exec
	s_and_b64 s[6:7], s[6:7], exec
	;; [unrolled: 1-line block ×3, first 2 shown]
	s_or_b64 s[38:39], s[8:9], s[0:1]
.LBB64_868:
	s_or_b64 exec, exec, s[42:43]
	s_andn2_b64 s[0:1], s[28:29], exec
	s_and_b64 s[8:9], s[40:41], exec
	s_or_b64 s[28:29], s[0:1], s[8:9]
	s_and_b64 s[0:1], s[6:7], exec
	s_and_b64 s[40:41], s[2:3], exec
	s_andn2_b64 s[2:3], s[34:35], exec
	s_and_b64 s[6:7], s[38:39], exec
	s_and_b64 s[4:5], s[4:5], exec
	s_or_b64 s[34:35], s[2:3], s[6:7]
	s_or_b64 exec, exec, s[36:37]
	s_mov_b64 s[36:37], 0
	s_and_saveexec_b64 s[2:3], s[34:35]
	s_cbranch_execz .LBB64_253
.LBB64_869:
	s_mov_b64 s[36:37], exec
	s_andn2_b64 s[40:41], s[40:41], exec
	s_trap 2
	s_or_b64 exec, exec, s[2:3]
	s_and_saveexec_b64 s[2:3], s[40:41]
	s_xor_b64 s[2:3], exec, s[2:3]
	s_cbranch_execz .LBB64_254
.LBB64_870:
	s_waitcnt vmcnt(0)
	global_load_ubyte v2, v[0:1], off
	v_mov_b32_e32 v3, 0
	s_or_b64 s[0:1], s[0:1], exec
	s_waitcnt vmcnt(0)
	v_cmp_ne_u16_e32 vcc, 0, v2
	s_nop 1
	v_cndmask_b32_e64 v2, 0, 1.0, vcc
	s_or_b64 exec, exec, s[2:3]
	s_and_saveexec_b64 s[2:3], s[4:5]
	s_cbranch_execz .LBB64_918
.LBB64_871:
	s_sext_i32_i16 s4, s48
	s_cmp_lt_i32 s4, 5
	s_cbranch_scc1 .LBB64_876
; %bb.872:
	s_cmp_lt_i32 s4, 8
	s_cbranch_scc1 .LBB64_877
; %bb.873:
	;; [unrolled: 3-line block ×3, first 2 shown]
	s_cmp_gt_i32 s4, 9
	s_cbranch_scc0 .LBB64_879
; %bb.875:
	s_waitcnt vmcnt(0)
	global_load_dwordx4 v[2:5], v[0:1], off
	s_mov_b64 s[4:5], 0
	s_waitcnt vmcnt(0)
	v_cvt_f32_f64_e32 v2, v[2:3]
	v_cvt_f32_f64_e32 v3, v[4:5]
	s_branch .LBB64_880
.LBB64_876:
                                        ; implicit-def: $vgpr3
	s_branch .LBB64_898
.LBB64_877:
                                        ; implicit-def: $vgpr3
	s_branch .LBB64_886
.LBB64_878:
	s_mov_b64 s[4:5], -1
                                        ; implicit-def: $vgpr3
	s_branch .LBB64_883
.LBB64_879:
	s_mov_b64 s[4:5], -1
                                        ; implicit-def: $vgpr3
.LBB64_880:
	s_andn2_b64 vcc, exec, s[4:5]
	s_cbranch_vccnz .LBB64_882
; %bb.881:
	s_waitcnt vmcnt(0)
	global_load_dwordx2 v[2:3], v[0:1], off
.LBB64_882:
	s_mov_b64 s[4:5], 0
.LBB64_883:
	s_andn2_b64 vcc, exec, s[4:5]
	s_cbranch_vccnz .LBB64_885
; %bb.884:
	s_waitcnt vmcnt(0)
	global_load_dword v2, v[0:1], off
	s_waitcnt vmcnt(0)
	v_cvt_f32_f16_sdwa v3, v2 dst_sel:DWORD dst_unused:UNUSED_PAD src0_sel:WORD_1
	v_cvt_f32_f16_e32 v2, v2
.LBB64_885:
	s_cbranch_execnz .LBB64_897
.LBB64_886:
	s_sext_i32_i16 s4, s48
	s_cmp_lt_i32 s4, 6
	s_cbranch_scc1 .LBB64_889
; %bb.887:
	s_cmp_gt_i32 s4, 6
	s_cbranch_scc0 .LBB64_890
; %bb.888:
	s_waitcnt vmcnt(0)
	global_load_dwordx2 v[2:3], v[0:1], off
	s_mov_b64 s[4:5], 0
	s_waitcnt vmcnt(0)
	v_cvt_f32_f64_e32 v2, v[2:3]
	s_branch .LBB64_891
.LBB64_889:
	s_mov_b64 s[4:5], -1
                                        ; implicit-def: $vgpr2
	s_branch .LBB64_894
.LBB64_890:
	s_mov_b64 s[4:5], -1
                                        ; implicit-def: $vgpr2
.LBB64_891:
	s_andn2_b64 vcc, exec, s[4:5]
	s_cbranch_vccnz .LBB64_893
; %bb.892:
	s_waitcnt vmcnt(0)
	global_load_dword v2, v[0:1], off
.LBB64_893:
	s_mov_b64 s[4:5], 0
.LBB64_894:
	s_andn2_b64 vcc, exec, s[4:5]
	s_cbranch_vccnz .LBB64_896
; %bb.895:
	s_waitcnt vmcnt(0)
	global_load_ushort v2, v[0:1], off
	s_waitcnt vmcnt(0)
	v_cvt_f32_f16_e32 v2, v2
.LBB64_896:
	s_waitcnt vmcnt(0)
	v_mov_b32_e32 v3, 0
.LBB64_897:
	s_cbranch_execnz .LBB64_917
.LBB64_898:
	s_sext_i32_i16 s4, s48
	s_cmp_lt_i32 s4, 2
	s_cbranch_scc1 .LBB64_902
; %bb.899:
	s_cmp_lt_i32 s4, 3
	s_cbranch_scc1 .LBB64_903
; %bb.900:
	s_cmp_gt_i32 s4, 3
	s_cbranch_scc0 .LBB64_904
; %bb.901:
	s_waitcnt vmcnt(0)
	global_load_dwordx2 v[2:3], v[0:1], off
	s_mov_b64 s[4:5], 0
	s_waitcnt vmcnt(0)
	v_xor_b32_e32 v5, v2, v3
	v_ffbh_i32_e32 v4, v3
	v_ashrrev_i32_e32 v5, 31, v5
	v_add_u32_e32 v4, -1, v4
	v_add_u32_e32 v5, 32, v5
	v_min_u32_e32 v4, v4, v5
	v_lshlrev_b64 v[2:3], v4, v[2:3]
	v_min_u32_e32 v2, 1, v2
	v_or_b32_e32 v2, v3, v2
	v_cvt_f32_i32_e32 v2, v2
	v_sub_u32_e32 v3, 32, v4
	v_ldexp_f32 v2, v2, v3
	s_branch .LBB64_905
.LBB64_902:
                                        ; implicit-def: $vgpr2
	s_branch .LBB64_911
.LBB64_903:
	s_mov_b64 s[4:5], -1
                                        ; implicit-def: $vgpr2
	s_branch .LBB64_908
.LBB64_904:
	s_mov_b64 s[4:5], -1
                                        ; implicit-def: $vgpr2
.LBB64_905:
	s_andn2_b64 vcc, exec, s[4:5]
	s_cbranch_vccnz .LBB64_907
; %bb.906:
	s_waitcnt vmcnt(0)
	global_load_dword v2, v[0:1], off
	s_waitcnt vmcnt(0)
	v_cvt_f32_i32_e32 v2, v2
.LBB64_907:
	s_mov_b64 s[4:5], 0
.LBB64_908:
	s_andn2_b64 vcc, exec, s[4:5]
	s_cbranch_vccnz .LBB64_910
; %bb.909:
	s_waitcnt vmcnt(0)
	global_load_sshort v2, v[0:1], off
	s_waitcnt vmcnt(0)
	v_cvt_f32_i32_e32 v2, v2
.LBB64_910:
	s_cbranch_execnz .LBB64_916
.LBB64_911:
	s_sext_i32_i16 s4, s48
	s_cmp_gt_i32 s4, 0
	s_cbranch_scc0 .LBB64_913
; %bb.912:
	s_waitcnt vmcnt(0)
	global_load_sbyte v2, v[0:1], off
	s_mov_b64 s[4:5], 0
	s_waitcnt vmcnt(0)
	v_cvt_f32_i32_e32 v2, v2
	s_branch .LBB64_914
.LBB64_913:
	s_mov_b64 s[4:5], -1
                                        ; implicit-def: $vgpr2
.LBB64_914:
	s_andn2_b64 vcc, exec, s[4:5]
	s_cbranch_vccnz .LBB64_916
; %bb.915:
	s_waitcnt vmcnt(0)
	global_load_ubyte v0, v[0:1], off
	s_waitcnt vmcnt(0)
	v_cvt_f32_ubyte0_e32 v2, v0
.LBB64_916:
	s_waitcnt vmcnt(0)
	v_mov_b32_e32 v3, 0
.LBB64_917:
	s_or_b64 s[0:1], s[0:1], exec
.LBB64_918:
	s_or_b64 exec, exec, s[2:3]
	s_mov_b64 s[4:5], 0
	s_mov_b64 s[2:3], 0
                                        ; implicit-def: $sgpr10
                                        ; implicit-def: $vgpr4_vgpr5
                                        ; implicit-def: $vgpr0
	s_and_saveexec_b64 s[34:35], s[0:1]
	s_cbranch_execnz .LBB64_922
; %bb.919:
	s_or_b64 exec, exec, s[34:35]
	s_and_saveexec_b64 s[0:1], s[28:29]
	s_cbranch_execnz .LBB64_999
.LBB64_920:
	s_or_b64 exec, exec, s[0:1]
	s_and_saveexec_b64 s[0:1], s[4:5]
	s_xor_b64 s[0:1], exec, s[0:1]
	s_cbranch_execnz .LBB64_1000
.LBB64_921:
	s_or_b64 exec, exec, s[0:1]
	s_and_saveexec_b64 s[0:1], s[2:3]
	s_xor_b64 s[0:1], exec, s[0:1]
	s_cbranch_execnz .LBB64_1001
	s_branch .LBB64_1038
.LBB64_922:
	s_getpc_b64 s[0:1]
	s_add_u32 s0, s0, _ZN16c10_complex_math3expIfEEN3c107complexIT_EERKS4_@rel32@lo+4
	s_addc_u32 s1, s1, _ZN16c10_complex_math3expIfEEN3c107complexIT_EERKS4_@rel32@hi+12
	s_waitcnt vmcnt(0)
	v_mov_b32_e32 v0, v2
	v_mov_b32_e32 v1, v3
	s_swappc_b64 s[30:31], s[0:1]
	v_mul_lo_u32 v2, v21, s18
	v_ashrrev_i32_e32 v3, 31, v2
	s_and_b32 s10, s33, 0xff
	s_cmp_lt_i32 s10, 11
	v_lshl_add_u64 v[4:5], s[20:21], 0, v[2:3]
	s_cbranch_scc1 .LBB64_929
; %bb.923:
	s_and_b32 s11, 0xffff, s10
	s_mov_b64 s[4:5], -1
	s_cmp_gt_i32 s11, 25
	s_mov_b64 s[0:1], s[28:29]
	s_cbranch_scc0 .LBB64_957
; %bb.924:
	s_mov_b64 s[2:3], -1
	s_cmp_gt_i32 s11, 28
	s_mov_b64 s[0:1], s[28:29]
	s_cbranch_scc0 .LBB64_941
; %bb.925:
	s_cmp_gt_i32 s11, 43
	s_mov_b64 s[0:1], s[28:29]
	s_cbranch_scc0 .LBB64_937
; %bb.926:
	;; [unrolled: 4-line block ×3, first 2 shown]
	s_cmp_eq_u32 s11, 46
	s_mov_b64 s[0:1], -1
	s_cbranch_scc0 .LBB64_930
; %bb.928:
	s_movk_i32 s0, 0x7fff
	v_bfe_u32 v3, v1, 16, 1
	v_add3_u32 v3, v1, v3, s0
	v_bfe_u32 v2, v0, 16, 1
	v_and_b32_e32 v3, 0xffff0000, v3
	v_mov_b32_e32 v6, 0x7fc00000
	v_cmp_o_f32_e32 vcc, v1, v1
	v_add3_u32 v2, v0, v2, s0
	s_mov_b64 s[0:1], 0
	v_cndmask_b32_e32 v3, v6, v3, vcc
	v_cmp_o_f32_e32 vcc, v0, v0
	v_mov_b32_e32 v6, 0x7fc0
	s_mov_b64 s[2:3], 0
	v_cndmask_b32_sdwa v2, v6, v2, vcc dst_sel:DWORD dst_unused:UNUSED_PAD src0_sel:DWORD src1_sel:WORD_1
	v_or_b32_e32 v2, v3, v2
	global_store_dword v[4:5], v2, off
	s_branch .LBB64_931
.LBB64_929:
	s_mov_b64 s[4:5], 0
	s_mov_b64 s[2:3], -1
	s_mov_b64 s[0:1], s[28:29]
	s_branch .LBB64_998
.LBB64_930:
	s_mov_b64 s[2:3], 0
.LBB64_931:
	s_and_b64 vcc, exec, s[2:3]
	s_cbranch_vccz .LBB64_936
; %bb.932:
	s_cmp_eq_u32 s11, 44
	s_mov_b64 s[0:1], -1
	s_cbranch_scc0 .LBB64_936
; %bb.933:
	v_bfe_u32 v2, v0, 23, 8
	s_movk_i32 s0, 0xff
	v_cmp_ne_u32_e32 vcc, s0, v2
	v_mov_b32_e32 v3, 0xff
	s_and_saveexec_b64 s[2:3], vcc
; %bb.934:
	s_mov_b32 s0, 0x3fffff
	v_and_b32_e32 v6, 0x400000, v0
	v_and_or_b32 v2, v0, s0, v2
	v_cmp_ne_u32_e32 vcc, 0, v6
	v_cmp_ne_u32_e64 s[0:1], 0, v2
	s_and_b64 s[0:1], vcc, s[0:1]
	v_lshrrev_b32_e32 v3, 23, v0
	v_cndmask_b32_e64 v2, 0, 1, s[0:1]
	v_add_u32_e32 v3, v3, v2
; %bb.935:
	s_or_b64 exec, exec, s[2:3]
	s_mov_b64 s[0:1], 0
	global_store_byte v[4:5], v3, off
.LBB64_936:
	s_mov_b64 s[2:3], 0
.LBB64_937:
	s_and_b64 vcc, exec, s[2:3]
	s_cbranch_vccz .LBB64_940
; %bb.938:
	s_cmp_eq_u32 s11, 29
	s_mov_b64 s[0:1], -1
	s_cbranch_scc0 .LBB64_940
; %bb.939:
	v_trunc_f32_e32 v2, v0
	v_mul_f32_e32 v3, 0x2f800000, v2
	v_floor_f32_e32 v6, v3
	v_fmamk_f32 v2, v6, 0xcf800000, v2
	v_cvt_u32_f32_e32 v3, v6
	v_cvt_u32_f32_e32 v2, v2
	s_mov_b64 s[0:1], 0
	s_mov_b64 s[2:3], 0
	global_store_dwordx2 v[4:5], v[2:3], off
	s_branch .LBB64_941
.LBB64_940:
	s_mov_b64 s[2:3], 0
.LBB64_941:
	s_and_b64 vcc, exec, s[2:3]
	s_cbranch_vccz .LBB64_956
; %bb.942:
	s_cmp_lt_i32 s11, 27
	s_mov_b64 s[2:3], -1
	s_cbranch_scc1 .LBB64_948
; %bb.943:
	v_cvt_u32_f32_e32 v2, v0
	s_cmp_gt_i32 s11, 27
	s_cbranch_scc0 .LBB64_945
; %bb.944:
	s_mov_b64 s[2:3], 0
	global_store_dword v[4:5], v2, off
.LBB64_945:
	s_andn2_b64 vcc, exec, s[2:3]
	s_cbranch_vccnz .LBB64_947
; %bb.946:
	global_store_short v[4:5], v2, off
.LBB64_947:
	s_mov_b64 s[2:3], 0
.LBB64_948:
	s_andn2_b64 vcc, exec, s[2:3]
	s_cbranch_vccnz .LBB64_956
; %bb.949:
	v_and_b32_e32 v2, 0x7fffffff, v0
	s_mov_b32 s2, 0x43800000
	v_cmp_gt_u32_e32 vcc, s2, v2
	v_mov_b32_e32 v3, 0x80
	s_and_saveexec_b64 s[2:3], vcc
	s_cbranch_execz .LBB64_955
; %bb.950:
	s_mov_b32 s4, 0x3bffffff
	v_cmp_lt_u32_e32 vcc, s4, v2
	s_mov_b64 s[4:5], 0
                                        ; implicit-def: $vgpr2
	s_and_saveexec_b64 s[6:7], vcc
	s_xor_b64 s[6:7], exec, s[6:7]
	s_cbranch_execnz .LBB64_1181
; %bb.951:
	s_andn2_saveexec_b64 s[6:7], s[6:7]
	s_cbranch_execnz .LBB64_1182
.LBB64_952:
	s_or_b64 exec, exec, s[6:7]
	v_mov_b32_e32 v3, 0
	s_and_saveexec_b64 s[6:7], s[4:5]
.LBB64_953:
	v_lshrrev_b32_e32 v3, 24, v0
	s_movk_i32 s4, 0x80
	v_and_or_b32 v3, v3, s4, v2
.LBB64_954:
	s_or_b64 exec, exec, s[6:7]
.LBB64_955:
	s_or_b64 exec, exec, s[2:3]
	global_store_byte v[4:5], v3, off
.LBB64_956:
	s_mov_b64 s[4:5], 0
.LBB64_957:
	s_mov_b64 s[2:3], 0
	s_and_b64 vcc, exec, s[4:5]
	s_cbranch_vccz .LBB64_997
; %bb.958:
	s_cmp_gt_i32 s11, 22
	s_mov_b64 s[4:5], -1
	s_cbranch_scc0 .LBB64_990
; %bb.959:
	s_cmp_lt_i32 s11, 24
	s_cbranch_scc1 .LBB64_979
; %bb.960:
	s_cmp_gt_i32 s11, 24
	s_cbranch_scc0 .LBB64_968
; %bb.961:
	v_and_b32_e32 v2, 0x7fffffff, v0
	s_mov_b32 s4, 0x47800000
	v_cmp_gt_u32_e32 vcc, s4, v2
	v_mov_b32_e32 v3, 0x80
	s_and_saveexec_b64 s[4:5], vcc
	s_cbranch_execz .LBB64_967
; %bb.962:
	s_mov_b32 s6, 0x37ffffff
	v_cmp_lt_u32_e32 vcc, s6, v2
	s_mov_b64 s[6:7], 0
                                        ; implicit-def: $vgpr2
	s_and_saveexec_b64 s[8:9], vcc
	s_xor_b64 s[8:9], exec, s[8:9]
	s_cbranch_execnz .LBB64_1315
; %bb.963:
	s_andn2_saveexec_b64 s[8:9], s[8:9]
	s_cbranch_execnz .LBB64_1316
.LBB64_964:
	s_or_b64 exec, exec, s[8:9]
	v_mov_b32_e32 v3, 0
	s_and_saveexec_b64 s[8:9], s[6:7]
.LBB64_965:
	v_lshrrev_b32_e32 v3, 24, v0
	s_movk_i32 s6, 0x80
	v_and_or_b32 v3, v3, s6, v2
.LBB64_966:
	s_or_b64 exec, exec, s[8:9]
.LBB64_967:
	s_or_b64 exec, exec, s[4:5]
	s_mov_b64 s[4:5], 0
	global_store_byte v[4:5], v3, off
.LBB64_968:
	s_and_b64 vcc, exec, s[4:5]
	s_cbranch_vccz .LBB64_978
; %bb.969:
	v_and_b32_e32 v3, 0x7fffffff, v0
	s_mov_b32 s4, 0x43f00000
	v_cmp_gt_u32_e32 vcc, s4, v3
                                        ; implicit-def: $vgpr2
	s_and_saveexec_b64 s[4:5], vcc
	s_xor_b64 s[4:5], exec, s[4:5]
	s_cbranch_execz .LBB64_975
; %bb.970:
	s_mov_b32 s6, 0x3c7fffff
	v_cmp_lt_u32_e32 vcc, s6, v3
                                        ; implicit-def: $vgpr2
	s_and_saveexec_b64 s[6:7], vcc
	s_xor_b64 s[6:7], exec, s[6:7]
; %bb.971:
	v_bfe_u32 v2, v0, 20, 1
	s_mov_b32 s8, 0x407ffff
	v_add3_u32 v2, v0, v2, s8
	v_lshrrev_b32_e32 v3, 20, v2
	v_and_b32_e32 v2, 0xff00000, v2
	s_mov_b32 s8, 0x7f00000
	v_mov_b32_e32 v6, 0x7e
	v_cmp_ne_u32_e32 vcc, s8, v2
	s_nop 1
	v_cndmask_b32_e32 v2, v6, v3, vcc
; %bb.972:
	s_andn2_saveexec_b64 s[6:7], s[6:7]
; %bb.973:
	s_mov_b32 s8, 0x46800000
	v_add_f32_e64 v2, |v0|, s8
; %bb.974:
	s_or_b64 exec, exec, s[6:7]
                                        ; implicit-def: $vgpr3
.LBB64_975:
	s_andn2_saveexec_b64 s[4:5], s[4:5]
; %bb.976:
	s_mov_b32 s6, 0x7f800000
	v_mov_b32_e32 v2, 0x7e
	v_mov_b32_e32 v6, 0x7f
	v_cmp_lt_u32_e32 vcc, s6, v3
	s_nop 1
	v_cndmask_b32_e32 v2, v2, v6, vcc
; %bb.977:
	s_or_b64 exec, exec, s[4:5]
	v_lshrrev_b32_e32 v3, 24, v0
	s_movk_i32 s4, 0x80
	v_and_or_b32 v2, v3, s4, v2
	global_store_byte v[4:5], v2, off
.LBB64_978:
	s_mov_b64 s[4:5], 0
.LBB64_979:
	s_andn2_b64 vcc, exec, s[4:5]
	s_cbranch_vccnz .LBB64_989
; %bb.980:
	v_and_b32_e32 v3, 0x7fffffff, v0
	s_mov_b32 s4, 0x47800000
	v_cmp_gt_u32_e32 vcc, s4, v3
                                        ; implicit-def: $vgpr2
	s_and_saveexec_b64 s[4:5], vcc
	s_xor_b64 s[4:5], exec, s[4:5]
	s_cbranch_execz .LBB64_986
; %bb.981:
	s_mov_b32 s6, 0x387fffff
	v_cmp_lt_u32_e32 vcc, s6, v3
                                        ; implicit-def: $vgpr2
	s_and_saveexec_b64 s[6:7], vcc
	s_xor_b64 s[6:7], exec, s[6:7]
; %bb.982:
	v_bfe_u32 v2, v0, 21, 1
	s_mov_b32 s8, 0x80fffff
	v_add3_u32 v2, v0, v2, s8
	v_lshrrev_b32_e32 v2, 21, v2
; %bb.983:
	s_andn2_saveexec_b64 s[6:7], s[6:7]
; %bb.984:
	s_mov_b32 s8, 0x43000000
	v_add_f32_e64 v2, |v0|, s8
; %bb.985:
	s_or_b64 exec, exec, s[6:7]
                                        ; implicit-def: $vgpr3
.LBB64_986:
	s_andn2_saveexec_b64 s[4:5], s[4:5]
; %bb.987:
	s_mov_b32 s6, 0x7f800000
	v_mov_b32_e32 v2, 0x7c
	v_mov_b32_e32 v6, 0x7f
	v_cmp_lt_u32_e32 vcc, s6, v3
	s_nop 1
	v_cndmask_b32_e32 v2, v2, v6, vcc
; %bb.988:
	s_or_b64 exec, exec, s[4:5]
	v_lshrrev_b32_e32 v3, 24, v0
	s_movk_i32 s4, 0x80
	v_and_or_b32 v2, v3, s4, v2
	global_store_byte v[4:5], v2, off
.LBB64_989:
	s_mov_b64 s[4:5], 0
.LBB64_990:
	s_andn2_b64 vcc, exec, s[4:5]
	s_mov_b64 s[4:5], 0
	s_cbranch_vccnz .LBB64_998
; %bb.991:
	s_cmp_gt_i32 s11, 14
	s_mov_b64 s[6:7], -1
	s_cbranch_scc0 .LBB64_995
; %bb.992:
	s_cmp_eq_u32 s11, 15
	s_mov_b64 s[0:1], -1
	s_cbranch_scc0 .LBB64_994
; %bb.993:
	v_bfe_u32 v2, v0, 16, 1
	s_movk_i32 s0, 0x7fff
	v_add3_u32 v2, v0, v2, s0
	v_cmp_o_f32_e32 vcc, v0, v0
	v_mov_b32_e32 v3, 0x7fc0
	s_mov_b64 s[0:1], 0
	v_cndmask_b32_sdwa v2, v3, v2, vcc dst_sel:DWORD dst_unused:UNUSED_PAD src0_sel:DWORD src1_sel:WORD_1
	global_store_short v[4:5], v2, off
.LBB64_994:
	s_mov_b64 s[6:7], 0
.LBB64_995:
	s_and_b64 vcc, exec, s[6:7]
	s_cbranch_vccz .LBB64_998
; %bb.996:
	s_cmp_lg_u32 s11, 11
	s_cselect_b64 s[6:7], -1, 0
	s_andn2_b64 s[0:1], s[0:1], exec
	s_and_b64 s[6:7], s[6:7], exec
	s_mov_b64 s[4:5], -1
	s_or_b64 s[0:1], s[0:1], s[6:7]
	s_branch .LBB64_998
.LBB64_997:
	s_mov_b64 s[4:5], 0
.LBB64_998:
	s_andn2_b64 s[6:7], s[28:29], exec
	s_and_b64 s[0:1], s[0:1], exec
	s_and_b64 s[2:3], s[2:3], exec
	;; [unrolled: 1-line block ×3, first 2 shown]
	s_or_b64 s[28:29], s[6:7], s[0:1]
	s_or_b64 exec, exec, s[34:35]
	s_and_saveexec_b64 s[0:1], s[28:29]
	s_cbranch_execz .LBB64_920
.LBB64_999:
	s_or_b64 s[36:37], s[36:37], exec
	s_andn2_b64 s[4:5], s[4:5], exec
	s_trap 2
	s_or_b64 exec, exec, s[0:1]
	s_and_saveexec_b64 s[0:1], s[4:5]
	s_xor_b64 s[0:1], exec, s[0:1]
	s_cbranch_execz .LBB64_921
.LBB64_1000:
	s_brev_b32 s4, -2
	s_waitcnt vmcnt(0)
	v_bitop3_b32 v2, v0, s4, v1 bitop3:0xc8
	v_cmp_ne_u32_e32 vcc, 0, v2
	s_nop 1
	v_cndmask_b32_e64 v2, 0, 1, vcc
	global_store_byte v[4:5], v2, off
	s_or_b64 exec, exec, s[0:1]
	s_and_saveexec_b64 s[0:1], s[2:3]
	s_xor_b64 s[0:1], exec, s[0:1]
	s_cbranch_execz .LBB64_1038
.LBB64_1001:
	s_sext_i32_i16 s4, s10
	s_cmp_lt_i32 s4, 5
	s_mov_b64 s[2:3], -1
	s_cbranch_scc1 .LBB64_1022
; %bb.1002:
	s_cmp_lt_i32 s4, 8
	s_cbranch_scc1 .LBB64_1012
; %bb.1003:
	s_cmp_lt_i32 s4, 9
	s_cbranch_scc1 .LBB64_1009
; %bb.1004:
	s_cmp_gt_i32 s4, 9
	s_cbranch_scc0 .LBB64_1006
; %bb.1005:
	s_waitcnt vmcnt(0)
	v_cvt_f64_f32_e32 v[6:7], v0
	v_cvt_f64_f32_e32 v[8:9], v1
	s_mov_b64 s[2:3], 0
	global_store_dwordx4 v[4:5], v[6:9], off
.LBB64_1006:
	s_andn2_b64 vcc, exec, s[2:3]
	s_cbranch_vccnz .LBB64_1008
; %bb.1007:
	s_waitcnt vmcnt(0)
	global_store_dwordx2 v[4:5], v[0:1], off
.LBB64_1008:
	s_mov_b64 s[2:3], 0
.LBB64_1009:
	s_andn2_b64 vcc, exec, s[2:3]
	s_cbranch_vccnz .LBB64_1011
; %bb.1010:
	s_waitcnt vmcnt(0)
	v_cvt_f16_f32_e32 v2, v0
	v_cvt_f16_f32_sdwa v1, v1 dst_sel:WORD_1 dst_unused:UNUSED_PAD src0_sel:DWORD
	s_nop 0
	v_or_b32_e32 v1, v1, v2
	global_store_dword v[4:5], v1, off
.LBB64_1011:
	s_mov_b64 s[2:3], 0
.LBB64_1012:
	s_andn2_b64 vcc, exec, s[2:3]
	s_cbranch_vccnz .LBB64_1021
; %bb.1013:
	s_sext_i32_i16 s4, s10
	s_cmp_lt_i32 s4, 6
	s_mov_b64 s[2:3], -1
	s_cbranch_scc1 .LBB64_1019
; %bb.1014:
	s_cmp_gt_i32 s4, 6
	s_cbranch_scc0 .LBB64_1016
; %bb.1015:
	s_waitcnt vmcnt(0)
	v_cvt_f64_f32_e32 v[2:3], v0
	s_mov_b64 s[2:3], 0
	global_store_dwordx2 v[4:5], v[2:3], off
.LBB64_1016:
	s_andn2_b64 vcc, exec, s[2:3]
	s_cbranch_vccnz .LBB64_1018
; %bb.1017:
	s_waitcnt vmcnt(0)
	global_store_dword v[4:5], v0, off
.LBB64_1018:
	s_mov_b64 s[2:3], 0
.LBB64_1019:
	s_andn2_b64 vcc, exec, s[2:3]
	s_cbranch_vccnz .LBB64_1021
; %bb.1020:
	s_waitcnt vmcnt(0)
	v_cvt_f16_f32_e32 v1, v0
	global_store_short v[4:5], v1, off
.LBB64_1021:
	s_mov_b64 s[2:3], 0
.LBB64_1022:
	s_andn2_b64 vcc, exec, s[2:3]
	s_cbranch_vccnz .LBB64_1038
; %bb.1023:
	s_sext_i32_i16 s4, s10
	s_cmp_lt_i32 s4, 2
	s_mov_b64 s[2:3], -1
	s_cbranch_scc1 .LBB64_1033
; %bb.1024:
	s_cmp_lt_i32 s4, 3
	s_cbranch_scc1 .LBB64_1030
; %bb.1025:
	s_cmp_gt_i32 s4, 3
	s_cbranch_scc0 .LBB64_1027
; %bb.1026:
	s_waitcnt vmcnt(0)
	v_trunc_f32_e32 v1, v0
	s_mov_b32 s2, 0x2f800000
	v_mul_f32_e64 v2, |v1|, s2
	v_floor_f32_e32 v2, v2
	s_mov_b32 s2, 0xcf800000
	v_cvt_u32_f32_e32 v3, v2
	v_fma_f32 v2, v2, s2, |v1|
	v_cvt_u32_f32_e32 v2, v2
	v_ashrrev_i32_e32 v1, 31, v1
	v_xor_b32_e32 v3, v3, v1
	s_mov_b64 s[2:3], 0
	v_xor_b32_e32 v2, v2, v1
	v_sub_co_u32_e32 v2, vcc, v2, v1
	s_nop 1
	v_subb_co_u32_e32 v3, vcc, v3, v1, vcc
	global_store_dwordx2 v[4:5], v[2:3], off
.LBB64_1027:
	s_andn2_b64 vcc, exec, s[2:3]
	s_cbranch_vccnz .LBB64_1029
; %bb.1028:
	s_waitcnt vmcnt(0)
	v_cvt_i32_f32_e32 v1, v0
	global_store_dword v[4:5], v1, off
.LBB64_1029:
	s_mov_b64 s[2:3], 0
.LBB64_1030:
	s_andn2_b64 vcc, exec, s[2:3]
	s_cbranch_vccnz .LBB64_1032
; %bb.1031:
	s_waitcnt vmcnt(0)
	v_cvt_i32_f32_e32 v1, v0
	global_store_short v[4:5], v1, off
.LBB64_1032:
	s_mov_b64 s[2:3], 0
.LBB64_1033:
	s_andn2_b64 vcc, exec, s[2:3]
	s_cbranch_vccnz .LBB64_1038
; %bb.1034:
	s_sext_i32_i16 s2, s10
	s_cmp_gt_i32 s2, 0
	s_mov_b64 s[2:3], -1
	s_cbranch_scc0 .LBB64_1036
; %bb.1035:
	s_waitcnt vmcnt(0)
	v_cvt_i32_f32_e32 v1, v0
	s_mov_b64 s[2:3], 0
	global_store_byte v[4:5], v1, off
.LBB64_1036:
	s_andn2_b64 vcc, exec, s[2:3]
	s_cbranch_vccnz .LBB64_1038
; %bb.1037:
	s_waitcnt vmcnt(0)
	v_trunc_f32_e32 v0, v0
	s_mov_b32 s2, 0x2f800000
	v_mul_f32_e64 v1, |v0|, s2
	v_floor_f32_e32 v1, v1
	s_mov_b32 s2, 0xcf800000
	v_fma_f32 v1, v1, s2, |v0|
	v_cvt_u32_f32_e32 v1, v1
	v_ashrrev_i32_e32 v0, 31, v0
	v_xor_b32_e32 v1, v1, v0
	v_sub_u32_e32 v0, v1, v0
	global_store_byte v[4:5], v0, off
.LBB64_1038:
	s_or_b64 exec, exec, s[0:1]
	s_and_b64 s[28:29], s[36:37], exec
                                        ; implicit-def: $vgpr21
.LBB64_1039:
	s_or_saveexec_b64 s[26:27], s[26:27]
	s_mov_b64 s[0:1], 0
                                        ; implicit-def: $sgpr36
                                        ; implicit-def: $vgpr2_vgpr3
                                        ; implicit-def: $vgpr0
	s_xor_b64 exec, exec, s[26:27]
	s_cbranch_execz .LBB64_2004
; %bb.1040:
	s_waitcnt vmcnt(0)
	v_mul_lo_u32 v2, s19, v21
	v_ashrrev_i32_e32 v3, 31, v2
	s_and_b32 s10, 0xffff, s48
	s_cmp_lt_i32 s10, 11
	v_lshl_add_u64 v[4:5], s[22:23], 0, v[2:3]
	s_cbranch_scc1 .LBB64_1047
; %bb.1041:
	s_cmp_gt_i32 s10, 25
	s_mov_b64 s[2:3], 0
	s_cbranch_scc0 .LBB64_1049
; %bb.1042:
	s_cmp_gt_i32 s10, 28
	s_cbranch_scc0 .LBB64_1050
; %bb.1043:
	s_cmp_gt_i32 s10, 43
	;; [unrolled: 3-line block ×3, first 2 shown]
	s_cbranch_scc0 .LBB64_1052
; %bb.1045:
	s_cmp_eq_u32 s10, 46
	s_mov_b64 s[6:7], 0
	s_cbranch_scc0 .LBB64_1053
; %bb.1046:
	global_load_dword v0, v[4:5], off
	s_mov_b64 s[4:5], -1
	s_waitcnt vmcnt(0)
	v_and_b32_e32 v1, 0xffff0000, v0
	v_lshlrev_b32_e32 v0, 16, v0
	s_branch .LBB64_1054
.LBB64_1047:
	s_mov_b64 s[4:5], 0
                                        ; implicit-def: $vgpr1
	s_mov_b64 s[34:35], s[28:29]
	s_cbranch_execnz .LBB64_1116
.LBB64_1048:
	s_andn2_b64 vcc, exec, s[4:5]
	s_cbranch_vccz .LBB64_1163
	s_branch .LBB64_2002
.LBB64_1049:
	s_mov_b64 s[4:5], 0
                                        ; implicit-def: $vgpr1
	s_cbranch_execnz .LBB64_1082
	s_branch .LBB64_1112
.LBB64_1050:
	s_mov_b64 s[4:5], 0
                                        ; implicit-def: $vgpr1
	s_cbranch_execnz .LBB64_1066
	s_branch .LBB64_1081
.LBB64_1051:
	s_mov_b64 s[6:7], -1
	s_mov_b64 s[4:5], 0
                                        ; implicit-def: $vgpr1
	s_branch .LBB64_1060
.LBB64_1052:
	s_mov_b64 s[6:7], -1
	s_mov_b64 s[4:5], 0
                                        ; implicit-def: $vgpr1
	s_branch .LBB64_1054
.LBB64_1053:
	s_mov_b64 s[0:1], -1
                                        ; implicit-def: $vgpr1
	s_mov_b64 s[4:5], 0
.LBB64_1054:
	s_and_b64 vcc, exec, s[6:7]
	s_cbranch_vccz .LBB64_1059
; %bb.1055:
	s_cmp_eq_u32 s10, 44
	s_cbranch_scc0 .LBB64_1057
; %bb.1056:
	global_load_ubyte v0, v[4:5], off
	s_movk_i32 s4, 0xff
	v_mov_b32_e32 v1, 0x7f800001
	v_mov_b32_e32 v3, 0x400000
	s_mov_b64 s[0:1], 0
	s_waitcnt vmcnt(0)
	v_lshlrev_b32_e32 v6, 23, v0
	v_cmp_ne_u32_e32 vcc, s4, v0
	s_mov_b64 s[4:5], -1
	s_nop 0
	v_cndmask_b32_e32 v1, v1, v6, vcc
	v_cmp_ne_u32_e32 vcc, 0, v0
	s_nop 1
	v_cndmask_b32_e32 v0, v3, v1, vcc
	s_branch .LBB64_1058
.LBB64_1057:
	s_mov_b64 s[0:1], -1
                                        ; implicit-def: $vgpr0
.LBB64_1058:
	v_mov_b32_e32 v1, 0
.LBB64_1059:
	s_mov_b64 s[6:7], 0
.LBB64_1060:
	s_and_b64 vcc, exec, s[6:7]
	s_cbranch_vccz .LBB64_1065
; %bb.1061:
	s_cmp_eq_u32 s10, 29
	s_cbranch_scc0 .LBB64_1063
; %bb.1062:
	global_load_dwordx2 v[0:1], v[4:5], off
	s_mov_b64 s[0:1], 0
	s_mov_b64 s[4:5], -1
	s_waitcnt vmcnt(0)
	v_ffbh_u32_e32 v3, v1
	v_min_u32_e32 v3, 32, v3
	v_lshlrev_b64 v[0:1], v3, v[0:1]
	v_min_u32_e32 v0, 1, v0
	v_or_b32_e32 v0, v1, v0
	v_cvt_f32_u32_e32 v0, v0
	v_sub_u32_e32 v1, 32, v3
	v_ldexp_f32 v0, v0, v1
	s_branch .LBB64_1064
.LBB64_1063:
	s_mov_b64 s[0:1], -1
                                        ; implicit-def: $vgpr0
.LBB64_1064:
	v_mov_b32_e32 v1, 0
.LBB64_1065:
	s_branch .LBB64_1081
.LBB64_1066:
	s_cmp_lt_i32 s10, 27
	s_cbranch_scc1 .LBB64_1069
; %bb.1067:
	s_cmp_gt_i32 s10, 27
	s_cbranch_scc0 .LBB64_1070
; %bb.1068:
	global_load_dword v0, v[4:5], off
	s_mov_b64 s[4:5], 0
	s_waitcnt vmcnt(0)
	v_cvt_f32_u32_e32 v0, v0
	s_branch .LBB64_1071
.LBB64_1069:
	s_mov_b64 s[4:5], -1
                                        ; implicit-def: $vgpr0
	s_branch .LBB64_1074
.LBB64_1070:
	s_mov_b64 s[4:5], -1
                                        ; implicit-def: $vgpr0
.LBB64_1071:
	s_andn2_b64 vcc, exec, s[4:5]
	s_cbranch_vccnz .LBB64_1073
; %bb.1072:
	global_load_ushort v0, v[4:5], off
	s_waitcnt vmcnt(0)
	v_cvt_f32_u32_e32 v0, v0
.LBB64_1073:
	s_mov_b64 s[4:5], 0
.LBB64_1074:
	s_andn2_b64 vcc, exec, s[4:5]
	s_cbranch_vccnz .LBB64_1080
; %bb.1075:
	global_load_ubyte v1, v[4:5], off
	s_movk_i32 s4, 0x7f
	s_waitcnt vmcnt(0)
	v_cmp_lt_i16_e32 vcc, s4, v1
	s_mov_b64 s[4:5], 0
	s_and_saveexec_b64 s[6:7], vcc
	s_xor_b64 s[6:7], exec, s[6:7]
	s_cbranch_execnz .LBB64_1092
; %bb.1076:
	s_or_saveexec_b64 s[6:7], s[6:7]
	v_mov_b32_e32 v0, 0x7f800001
	s_xor_b64 exec, exec, s[6:7]
	s_cbranch_execnz .LBB64_1095
.LBB64_1077:
	s_or_b64 exec, exec, s[6:7]
	s_and_saveexec_b64 s[6:7], s[4:5]
	s_cbranch_execz .LBB64_1079
.LBB64_1078:
	v_lshlrev_b32_e32 v0, 24, v1
	v_and_b32_e32 v1, 0xffff, v1
	v_and_b32_e32 v3, 7, v1
	v_ffbh_u32_e32 v7, v3
	v_min_u32_e32 v7, 32, v7
	v_subrev_u32_e32 v8, 28, v7
	v_bfe_u32 v6, v1, 3, 4
	v_lshlrev_b32_e32 v1, v8, v1
	v_sub_u32_e32 v7, 29, v7
	v_and_b32_e32 v1, 7, v1
	v_cmp_eq_u32_e32 vcc, 0, v6
	v_and_b32_e32 v0, 0x80000000, v0
	s_nop 0
	v_cndmask_b32_e32 v6, v6, v7, vcc
	v_cndmask_b32_e32 v1, v3, v1, vcc
	v_mov_b32_e32 v3, 0x3b800000
	v_lshlrev_b32_e32 v1, 20, v1
	v_lshl_add_u32 v3, v6, 23, v3
	v_or3_b32 v0, v0, v3, v1
.LBB64_1079:
	s_or_b64 exec, exec, s[6:7]
.LBB64_1080:
	s_mov_b64 s[4:5], -1
	v_mov_b32_e32 v1, 0
.LBB64_1081:
	s_branch .LBB64_1112
.LBB64_1082:
	s_cmp_gt_i32 s10, 22
	s_cbranch_scc0 .LBB64_1090
; %bb.1083:
	s_cmp_lt_i32 s10, 24
	s_cbranch_scc1 .LBB64_1091
; %bb.1084:
	s_cmp_gt_i32 s10, 24
	s_cbranch_scc0 .LBB64_1096
; %bb.1085:
	global_load_ubyte v1, v[4:5], off
	s_movk_i32 s2, 0x7f
	s_waitcnt vmcnt(0)
	v_cmp_lt_i16_e32 vcc, s2, v1
	s_mov_b64 s[2:3], 0
	s_and_saveexec_b64 s[4:5], vcc
	s_xor_b64 s[4:5], exec, s[4:5]
	s_cbranch_execnz .LBB64_1176
; %bb.1086:
	s_or_saveexec_b64 s[4:5], s[4:5]
	v_mov_b32_e32 v0, 0x7f800001
	s_xor_b64 exec, exec, s[4:5]
	s_cbranch_execnz .LBB64_1179
.LBB64_1087:
	s_or_b64 exec, exec, s[4:5]
	s_and_saveexec_b64 s[4:5], s[2:3]
	s_cbranch_execz .LBB64_1089
.LBB64_1088:
	v_lshlrev_b32_e32 v0, 24, v1
	v_and_b32_e32 v1, 0xffff, v1
	v_and_b32_e32 v3, 3, v1
	v_ffbh_u32_e32 v7, v3
	v_min_u32_e32 v7, 32, v7
	v_subrev_u32_e32 v8, 29, v7
	v_bfe_u32 v6, v1, 2, 5
	v_lshlrev_b32_e32 v1, v8, v1
	v_sub_u32_e32 v7, 30, v7
	v_and_b32_e32 v1, 3, v1
	v_cmp_eq_u32_e32 vcc, 0, v6
	v_and_b32_e32 v0, 0x80000000, v0
	s_nop 0
	v_cndmask_b32_e32 v6, v6, v7, vcc
	v_cndmask_b32_e32 v1, v3, v1, vcc
	v_mov_b32_e32 v3, 0x37800000
	v_lshlrev_b32_e32 v1, 21, v1
	v_lshl_add_u32 v3, v6, 23, v3
	v_or3_b32 v0, v0, v3, v1
.LBB64_1089:
	s_or_b64 exec, exec, s[4:5]
	s_mov_b64 s[2:3], 0
	s_branch .LBB64_1097
.LBB64_1090:
                                        ; implicit-def: $vgpr0
	s_mov_b64 s[2:3], 0
	s_branch .LBB64_1103
.LBB64_1091:
	s_mov_b64 s[2:3], -1
                                        ; implicit-def: $vgpr0
	s_branch .LBB64_1100
.LBB64_1092:
	s_movk_i32 s4, 0x80
	v_cmp_eq_u16_e32 vcc, s4, v1
	s_mov_b64 s[4:5], -1
	s_and_saveexec_b64 s[8:9], vcc
; %bb.1093:
	s_xor_b64 s[4:5], exec, -1
; %bb.1094:
	s_or_b64 exec, exec, s[8:9]
	s_and_b64 s[4:5], s[4:5], exec
	s_or_saveexec_b64 s[6:7], s[6:7]
	v_mov_b32_e32 v0, 0x7f800001
	s_xor_b64 exec, exec, s[6:7]
	s_cbranch_execz .LBB64_1077
.LBB64_1095:
	v_cmp_ne_u16_e32 vcc, 0, v1
	s_andn2_b64 s[4:5], s[4:5], exec
	s_and_b64 s[8:9], vcc, exec
	v_mov_b32_e32 v0, 0
	s_or_b64 s[4:5], s[4:5], s[8:9]
	s_or_b64 exec, exec, s[6:7]
	s_and_saveexec_b64 s[6:7], s[4:5]
	s_cbranch_execnz .LBB64_1078
	s_branch .LBB64_1079
.LBB64_1096:
	s_mov_b64 s[2:3], -1
                                        ; implicit-def: $vgpr0
.LBB64_1097:
	s_and_b64 vcc, exec, s[2:3]
	s_cbranch_vccz .LBB64_1099
; %bb.1098:
	global_load_ubyte v0, v[4:5], off
	s_mov_b32 s2, 0x7f800000
	s_waitcnt vmcnt(0)
	v_lshlrev_b32_e32 v0, 24, v0
	v_and_b32_e32 v1, 0x7f000000, v0
	v_ffbh_u32_e32 v3, v1
	v_min_u32_e32 v3, 32, v3
	v_sub_u32_e64 v3, v3, 4 clamp
	v_lshlrev_b32_e32 v7, v3, v1
	v_lshlrev_b32_e32 v3, 23, v3
	v_lshrrev_b32_e32 v7, 4, v7
	v_add_u32_e32 v6, 0x1000000, v1
	v_sub_u32_e32 v3, v7, v3
	v_ashrrev_i32_e32 v6, 8, v6
	v_add_u32_e32 v3, 0x3c000000, v3
	v_and_or_b32 v3, v6, s2, v3
	v_cmp_ne_u32_e32 vcc, 0, v1
	s_brev_b32 s2, 1
	s_nop 0
	v_cndmask_b32_e32 v1, 0, v3, vcc
	v_and_or_b32 v0, v0, s2, v1
.LBB64_1099:
	s_mov_b64 s[2:3], 0
.LBB64_1100:
	s_andn2_b64 vcc, exec, s[2:3]
	s_cbranch_vccnz .LBB64_1102
; %bb.1101:
	global_load_ubyte v0, v[4:5], off
	s_movk_i32 s2, 0x7f00
	s_brev_b32 s3, 16
	s_waitcnt vmcnt(0)
	v_lshlrev_b16_e32 v1, 8, v0
	v_lshlrev_b32_e32 v0, 25, v0
	v_lshrrev_b32_e32 v3, 4, v0
	v_and_or_b32 v6, v1, s2, 0.5
	v_or_b32_e32 v3, 0x70000000, v3
	v_add_f32_e32 v6, -0.5, v6
	v_mul_f32_e32 v3, 0x7800000, v3
	v_cmp_gt_u32_e32 vcc, s3, v0
	v_bfe_i32 v1, v1, 0, 16
	s_brev_b32 s2, 1
	v_cndmask_b32_e32 v0, v3, v6, vcc
	v_and_or_b32 v0, v1, s2, v0
.LBB64_1102:
	s_mov_b64 s[4:5], -1
	s_mov_b64 s[2:3], 0
	s_cbranch_execnz .LBB64_1111
.LBB64_1103:
	s_cmp_gt_i32 s10, 14
	s_cbranch_scc0 .LBB64_1106
; %bb.1104:
	s_cmp_eq_u32 s10, 15
	s_cbranch_scc0 .LBB64_1107
; %bb.1105:
	global_load_ushort v0, v[4:5], off
	s_mov_b64 s[0:1], 0
	s_mov_b64 s[4:5], -1
	s_waitcnt vmcnt(0)
	v_lshlrev_b32_e32 v0, 16, v0
	s_branch .LBB64_1108
.LBB64_1106:
	s_mov_b64 s[6:7], -1
                                        ; implicit-def: $vgpr0
	s_branch .LBB64_1109
.LBB64_1107:
	s_mov_b64 s[0:1], -1
                                        ; implicit-def: $vgpr0
.LBB64_1108:
	s_mov_b64 s[6:7], 0
.LBB64_1109:
	s_and_b64 vcc, exec, s[6:7]
	s_cbranch_vccz .LBB64_1111
; %bb.1110:
	s_cmp_lg_u32 s10, 11
	s_mov_b64 s[2:3], -1
	s_cselect_b64 s[0:1], -1, 0
.LBB64_1111:
	v_mov_b32_e32 v1, 0
.LBB64_1112:
	s_and_b64 vcc, exec, s[0:1]
	s_mov_b64 s[34:35], s[28:29]
	s_cbranch_vccnz .LBB64_1175
; %bb.1113:
	s_andn2_b64 vcc, exec, s[2:3]
	s_cbranch_vccnz .LBB64_1115
.LBB64_1114:
	global_load_ubyte v0, v[4:5], off
	v_mov_b32_e32 v1, 0
	s_mov_b64 s[4:5], -1
	s_waitcnt vmcnt(0)
	v_cmp_ne_u16_e32 vcc, 0, v0
	s_nop 1
	v_cndmask_b32_e64 v0, 0, 1.0, vcc
.LBB64_1115:
	s_branch .LBB64_1048
.LBB64_1116:
	s_cmp_lt_i32 s10, 5
	s_cbranch_scc1 .LBB64_1121
; %bb.1117:
	s_cmp_lt_i32 s10, 8
	s_cbranch_scc1 .LBB64_1123
; %bb.1118:
	;; [unrolled: 3-line block ×3, first 2 shown]
	s_cmp_gt_i32 s10, 9
	s_cbranch_scc0 .LBB64_1125
; %bb.1120:
	global_load_dwordx4 v[6:9], v[4:5], off
	s_mov_b64 s[0:1], 0
	s_waitcnt vmcnt(0)
	v_cvt_f32_f64_e32 v0, v[6:7]
	v_cvt_f32_f64_e32 v1, v[8:9]
	s_branch .LBB64_1126
.LBB64_1121:
                                        ; implicit-def: $vgpr1
	s_branch .LBB64_1144
.LBB64_1122:
	s_branch .LBB64_1163
.LBB64_1123:
                                        ; implicit-def: $vgpr1
	s_branch .LBB64_1132
.LBB64_1124:
	s_mov_b64 s[0:1], -1
                                        ; implicit-def: $vgpr1
	s_branch .LBB64_1129
.LBB64_1125:
	s_mov_b64 s[0:1], -1
                                        ; implicit-def: $vgpr1
.LBB64_1126:
	s_andn2_b64 vcc, exec, s[0:1]
	s_cbranch_vccnz .LBB64_1128
; %bb.1127:
	global_load_dwordx2 v[0:1], v[4:5], off
.LBB64_1128:
	s_mov_b64 s[0:1], 0
.LBB64_1129:
	s_andn2_b64 vcc, exec, s[0:1]
	s_cbranch_vccnz .LBB64_1131
; %bb.1130:
	global_load_dword v0, v[4:5], off
	s_waitcnt vmcnt(0)
	v_cvt_f32_f16_sdwa v1, v0 dst_sel:DWORD dst_unused:UNUSED_PAD src0_sel:WORD_1
	v_cvt_f32_f16_e32 v0, v0
.LBB64_1131:
	s_cbranch_execnz .LBB64_1143
.LBB64_1132:
	s_cmp_lt_i32 s10, 6
	s_cbranch_scc1 .LBB64_1135
; %bb.1133:
	s_cmp_gt_i32 s10, 6
	s_cbranch_scc0 .LBB64_1136
; %bb.1134:
	global_load_dwordx2 v[0:1], v[4:5], off
	s_mov_b64 s[0:1], 0
	s_waitcnt vmcnt(0)
	v_cvt_f32_f64_e32 v0, v[0:1]
	s_branch .LBB64_1137
.LBB64_1135:
	s_mov_b64 s[0:1], -1
                                        ; implicit-def: $vgpr0
	s_branch .LBB64_1140
.LBB64_1136:
	s_mov_b64 s[0:1], -1
                                        ; implicit-def: $vgpr0
.LBB64_1137:
	s_andn2_b64 vcc, exec, s[0:1]
	s_cbranch_vccnz .LBB64_1139
; %bb.1138:
	global_load_dword v0, v[4:5], off
.LBB64_1139:
	s_mov_b64 s[0:1], 0
.LBB64_1140:
	s_andn2_b64 vcc, exec, s[0:1]
	s_cbranch_vccnz .LBB64_1142
; %bb.1141:
	global_load_ushort v0, v[4:5], off
	s_waitcnt vmcnt(0)
	v_cvt_f32_f16_e32 v0, v0
.LBB64_1142:
	s_waitcnt vmcnt(0)
	v_mov_b32_e32 v1, 0
.LBB64_1143:
	s_cbranch_execnz .LBB64_1122
.LBB64_1144:
	s_cmp_lt_i32 s10, 2
	s_cbranch_scc1 .LBB64_1148
; %bb.1145:
	s_cmp_lt_i32 s10, 3
	s_cbranch_scc1 .LBB64_1149
; %bb.1146:
	s_cmp_gt_i32 s10, 3
	s_cbranch_scc0 .LBB64_1150
; %bb.1147:
	global_load_dwordx2 v[0:1], v[4:5], off
	s_mov_b64 s[0:1], 0
	s_waitcnt vmcnt(0)
	v_xor_b32_e32 v6, v0, v1
	v_ffbh_i32_e32 v3, v1
	v_ashrrev_i32_e32 v6, 31, v6
	v_add_u32_e32 v3, -1, v3
	v_add_u32_e32 v6, 32, v6
	v_min_u32_e32 v3, v3, v6
	v_lshlrev_b64 v[0:1], v3, v[0:1]
	v_min_u32_e32 v0, 1, v0
	v_or_b32_e32 v0, v1, v0
	v_cvt_f32_i32_e32 v0, v0
	v_sub_u32_e32 v1, 32, v3
	v_ldexp_f32 v0, v0, v1
	s_branch .LBB64_1151
.LBB64_1148:
                                        ; implicit-def: $vgpr0
	s_branch .LBB64_1157
.LBB64_1149:
	s_mov_b64 s[0:1], -1
                                        ; implicit-def: $vgpr0
	s_branch .LBB64_1154
.LBB64_1150:
	s_mov_b64 s[0:1], -1
                                        ; implicit-def: $vgpr0
.LBB64_1151:
	s_andn2_b64 vcc, exec, s[0:1]
	s_cbranch_vccnz .LBB64_1153
; %bb.1152:
	global_load_dword v0, v[4:5], off
	s_waitcnt vmcnt(0)
	v_cvt_f32_i32_e32 v0, v0
.LBB64_1153:
	s_mov_b64 s[0:1], 0
.LBB64_1154:
	s_andn2_b64 vcc, exec, s[0:1]
	s_cbranch_vccnz .LBB64_1156
; %bb.1155:
	global_load_sshort v0, v[4:5], off
	s_waitcnt vmcnt(0)
	v_cvt_f32_i32_e32 v0, v0
.LBB64_1156:
	s_cbranch_execnz .LBB64_1162
.LBB64_1157:
	s_cmp_gt_i32 s10, 0
	s_cbranch_scc0 .LBB64_1159
; %bb.1158:
	global_load_sbyte v0, v[4:5], off
	s_mov_b64 s[0:1], 0
	s_waitcnt vmcnt(0)
	v_cvt_f32_i32_e32 v0, v0
	s_branch .LBB64_1160
.LBB64_1159:
	s_mov_b64 s[0:1], -1
                                        ; implicit-def: $vgpr0
.LBB64_1160:
	s_andn2_b64 vcc, exec, s[0:1]
	s_cbranch_vccnz .LBB64_1162
; %bb.1161:
	global_load_ubyte v0, v[4:5], off
	s_waitcnt vmcnt(0)
	v_cvt_f32_ubyte0_e32 v0, v0
.LBB64_1162:
	s_waitcnt vmcnt(0)
	v_mov_b32_e32 v1, 0
.LBB64_1163:
	s_lshl_b32 s11, s19, 7
	v_add_u32_e32 v2, s11, v2
	v_ashrrev_i32_e32 v3, 31, v2
	s_cmp_lt_i32 s10, 11
	v_lshl_add_u64 v[4:5], s[22:23], 0, v[2:3]
	s_cbranch_scc1 .LBB64_1170
; %bb.1164:
	s_cmp_gt_i32 s10, 25
	s_mov_b64 s[2:3], 0
	s_cbranch_scc0 .LBB64_1172
; %bb.1165:
	s_cmp_gt_i32 s10, 28
	s_cbranch_scc0 .LBB64_1173
; %bb.1166:
	s_cmp_gt_i32 s10, 43
	;; [unrolled: 3-line block ×3, first 2 shown]
	s_cbranch_scc0 .LBB64_1180
; %bb.1168:
	s_cmp_eq_u32 s10, 46
	s_mov_b64 s[6:7], 0
	s_cbranch_scc0 .LBB64_1183
; %bb.1169:
	global_load_dword v3, v[4:5], off
	s_mov_b64 s[0:1], 0
	s_mov_b64 s[4:5], -1
	s_waitcnt vmcnt(0)
	v_and_b32_e32 v23, 0xffff0000, v3
	v_lshlrev_b32_e32 v22, 16, v3
	s_branch .LBB64_1184
.LBB64_1170:
	s_mov_b64 s[4:5], 0
                                        ; implicit-def: $vgpr23
	s_cbranch_execnz .LBB64_1248
.LBB64_1171:
	s_andn2_b64 vcc, exec, s[4:5]
	s_cbranch_vccz .LBB64_1297
	s_branch .LBB64_2002
.LBB64_1172:
	s_mov_b64 s[4:5], 0
	s_mov_b64 s[0:1], 0
                                        ; implicit-def: $vgpr23
	s_cbranch_execnz .LBB64_1213
	s_branch .LBB64_1244
.LBB64_1173:
	s_mov_b64 s[6:7], -1
	s_mov_b64 s[4:5], 0
	s_mov_b64 s[0:1], 0
                                        ; implicit-def: $vgpr23
	s_branch .LBB64_1196
.LBB64_1174:
	s_mov_b64 s[6:7], -1
	s_mov_b64 s[4:5], 0
	s_mov_b64 s[0:1], 0
                                        ; implicit-def: $vgpr23
	s_branch .LBB64_1190
.LBB64_1175:
	s_trap 2
	s_or_b64 s[34:35], s[28:29], exec
	s_cbranch_execz .LBB64_1114
	s_branch .LBB64_1115
.LBB64_1176:
	s_movk_i32 s2, 0x80
	v_cmp_eq_u16_e32 vcc, s2, v1
	s_mov_b64 s[2:3], -1
	s_and_saveexec_b64 s[6:7], vcc
; %bb.1177:
	s_xor_b64 s[2:3], exec, -1
; %bb.1178:
	s_or_b64 exec, exec, s[6:7]
	s_and_b64 s[2:3], s[2:3], exec
	s_or_saveexec_b64 s[4:5], s[4:5]
	v_mov_b32_e32 v0, 0x7f800001
	s_xor_b64 exec, exec, s[4:5]
	s_cbranch_execz .LBB64_1087
.LBB64_1179:
	v_cmp_ne_u16_e32 vcc, 0, v1
	s_andn2_b64 s[2:3], s[2:3], exec
	s_and_b64 s[6:7], vcc, exec
	v_mov_b32_e32 v0, 0
	s_or_b64 s[2:3], s[2:3], s[6:7]
	s_or_b64 exec, exec, s[4:5]
	s_and_saveexec_b64 s[4:5], s[2:3]
	s_cbranch_execnz .LBB64_1088
	s_branch .LBB64_1089
.LBB64_1180:
	s_mov_b64 s[6:7], -1
	s_mov_b64 s[4:5], 0
	s_mov_b64 s[0:1], 0
                                        ; implicit-def: $vgpr23
	s_branch .LBB64_1184
.LBB64_1181:
	v_bfe_u32 v2, v0, 20, 1
	s_mov_b32 s8, 0x487ffff
	v_add3_u32 v2, v0, v2, s8
	s_mov_b64 s[4:5], exec
	v_lshrrev_b32_e32 v2, 20, v2
	s_andn2_saveexec_b64 s[6:7], s[6:7]
	s_cbranch_execz .LBB64_952
.LBB64_1182:
	s_mov_b32 s8, 0x46000000
	v_add_f32_e64 v2, |v0|, s8
	v_and_b32_e32 v2, 0xff, v2
	v_cmp_ne_u32_e32 vcc, 0, v2
	s_andn2_b64 s[4:5], s[4:5], exec
	s_and_b64 s[8:9], vcc, exec
	s_or_b64 s[4:5], s[4:5], s[8:9]
	s_or_b64 exec, exec, s[6:7]
	v_mov_b32_e32 v3, 0
	s_and_saveexec_b64 s[6:7], s[4:5]
	s_cbranch_execnz .LBB64_953
	s_branch .LBB64_954
.LBB64_1183:
	s_mov_b64 s[0:1], -1
                                        ; implicit-def: $vgpr23
	s_mov_b64 s[4:5], 0
.LBB64_1184:
	s_and_b64 vcc, exec, s[6:7]
	s_cbranch_vccz .LBB64_1189
; %bb.1185:
	s_cmp_eq_u32 s10, 44
	s_cbranch_scc0 .LBB64_1187
; %bb.1186:
	global_load_ubyte v3, v[4:5], off
	s_movk_i32 s4, 0xff
	v_mov_b32_e32 v6, 0x7f800001
	v_mov_b32_e32 v7, 0x400000
	s_mov_b64 s[0:1], 0
	s_waitcnt vmcnt(0)
	v_lshlrev_b32_e32 v8, 23, v3
	v_cmp_ne_u32_e32 vcc, s4, v3
	s_mov_b64 s[4:5], -1
	s_nop 0
	v_cndmask_b32_e32 v6, v6, v8, vcc
	v_cmp_ne_u32_e32 vcc, 0, v3
	s_nop 1
	v_cndmask_b32_e32 v22, v7, v6, vcc
	s_branch .LBB64_1188
.LBB64_1187:
	s_mov_b64 s[0:1], -1
                                        ; implicit-def: $vgpr22
.LBB64_1188:
	v_mov_b32_e32 v23, 0
.LBB64_1189:
	s_mov_b64 s[6:7], 0
.LBB64_1190:
	s_and_b64 vcc, exec, s[6:7]
	s_cbranch_vccz .LBB64_1195
; %bb.1191:
	s_cmp_eq_u32 s10, 29
	s_cbranch_scc0 .LBB64_1193
; %bb.1192:
	global_load_dwordx2 v[6:7], v[4:5], off
	s_mov_b64 s[0:1], 0
	s_mov_b64 s[4:5], -1
	s_waitcnt vmcnt(0)
	v_ffbh_u32_e32 v3, v7
	v_min_u32_e32 v3, 32, v3
	v_lshlrev_b64 v[6:7], v3, v[6:7]
	v_min_u32_e32 v6, 1, v6
	v_or_b32_e32 v6, v7, v6
	v_cvt_f32_u32_e32 v6, v6
	v_sub_u32_e32 v3, 32, v3
	v_ldexp_f32 v22, v6, v3
	s_branch .LBB64_1194
.LBB64_1193:
	s_mov_b64 s[0:1], -1
                                        ; implicit-def: $vgpr22
.LBB64_1194:
	v_mov_b32_e32 v23, 0
.LBB64_1195:
	s_mov_b64 s[6:7], 0
.LBB64_1196:
	s_and_b64 vcc, exec, s[6:7]
	s_cbranch_vccz .LBB64_1212
; %bb.1197:
	s_cmp_lt_i32 s10, 27
	s_cbranch_scc1 .LBB64_1200
; %bb.1198:
	s_cmp_gt_i32 s10, 27
	s_cbranch_scc0 .LBB64_1201
; %bb.1199:
	global_load_dword v3, v[4:5], off
	s_mov_b64 s[4:5], 0
	s_waitcnt vmcnt(0)
	v_cvt_f32_u32_e32 v22, v3
	s_branch .LBB64_1202
.LBB64_1200:
	s_mov_b64 s[4:5], -1
                                        ; implicit-def: $vgpr22
	s_branch .LBB64_1205
.LBB64_1201:
	s_mov_b64 s[4:5], -1
                                        ; implicit-def: $vgpr22
.LBB64_1202:
	s_andn2_b64 vcc, exec, s[4:5]
	s_cbranch_vccnz .LBB64_1204
; %bb.1203:
	global_load_ushort v3, v[4:5], off
	s_waitcnt vmcnt(0)
	v_cvt_f32_u32_e32 v22, v3
.LBB64_1204:
	s_mov_b64 s[4:5], 0
.LBB64_1205:
	s_andn2_b64 vcc, exec, s[4:5]
	s_cbranch_vccnz .LBB64_1211
; %bb.1206:
	global_load_ubyte v3, v[4:5], off
	s_movk_i32 s4, 0x7f
	s_waitcnt vmcnt(0)
	v_cmp_lt_i16_e32 vcc, s4, v3
	s_mov_b64 s[4:5], 0
	s_and_saveexec_b64 s[6:7], vcc
	s_xor_b64 s[6:7], exec, s[6:7]
	s_cbranch_execnz .LBB64_1223
; %bb.1207:
	s_or_saveexec_b64 s[6:7], s[6:7]
	v_mov_b32_e32 v22, 0x7f800001
	s_xor_b64 exec, exec, s[6:7]
	s_cbranch_execnz .LBB64_1226
.LBB64_1208:
	s_or_b64 exec, exec, s[6:7]
	s_and_saveexec_b64 s[6:7], s[4:5]
	s_cbranch_execz .LBB64_1210
.LBB64_1209:
	v_lshlrev_b32_e32 v6, 24, v3
	v_and_b32_e32 v3, 0xffff, v3
	v_and_b32_e32 v7, 7, v3
	v_ffbh_u32_e32 v9, v7
	v_min_u32_e32 v9, 32, v9
	v_subrev_u32_e32 v10, 28, v9
	v_bfe_u32 v8, v3, 3, 4
	v_lshlrev_b32_e32 v3, v10, v3
	v_sub_u32_e32 v9, 29, v9
	v_and_b32_e32 v3, 7, v3
	v_cmp_eq_u32_e32 vcc, 0, v8
	v_and_b32_e32 v6, 0x80000000, v6
	s_nop 0
	v_cndmask_b32_e32 v8, v8, v9, vcc
	v_cndmask_b32_e32 v3, v7, v3, vcc
	v_mov_b32_e32 v7, 0x3b800000
	v_lshlrev_b32_e32 v3, 20, v3
	v_lshl_add_u32 v7, v8, 23, v7
	v_or3_b32 v22, v6, v7, v3
.LBB64_1210:
	s_or_b64 exec, exec, s[6:7]
.LBB64_1211:
	s_mov_b64 s[4:5], -1
	v_mov_b32_e32 v23, 0
.LBB64_1212:
	s_branch .LBB64_1244
.LBB64_1213:
	s_cmp_gt_i32 s10, 22
	s_cbranch_scc0 .LBB64_1221
; %bb.1214:
	s_cmp_lt_i32 s10, 24
	s_cbranch_scc1 .LBB64_1222
; %bb.1215:
	s_cmp_gt_i32 s10, 24
	s_cbranch_scc0 .LBB64_1227
; %bb.1216:
	global_load_ubyte v3, v[4:5], off
	s_movk_i32 s2, 0x7f
	s_waitcnt vmcnt(0)
	v_cmp_lt_i16_e32 vcc, s2, v3
	s_mov_b64 s[2:3], 0
	s_and_saveexec_b64 s[4:5], vcc
	s_xor_b64 s[4:5], exec, s[4:5]
	s_cbranch_execnz .LBB64_1310
; %bb.1217:
	s_or_saveexec_b64 s[4:5], s[4:5]
	v_mov_b32_e32 v22, 0x7f800001
	s_xor_b64 exec, exec, s[4:5]
	s_cbranch_execnz .LBB64_1313
.LBB64_1218:
	s_or_b64 exec, exec, s[4:5]
	s_and_saveexec_b64 s[4:5], s[2:3]
	s_cbranch_execz .LBB64_1220
.LBB64_1219:
	v_lshlrev_b32_e32 v6, 24, v3
	v_and_b32_e32 v3, 0xffff, v3
	v_and_b32_e32 v7, 3, v3
	v_ffbh_u32_e32 v9, v7
	v_min_u32_e32 v9, 32, v9
	v_subrev_u32_e32 v10, 29, v9
	v_bfe_u32 v8, v3, 2, 5
	v_lshlrev_b32_e32 v3, v10, v3
	v_sub_u32_e32 v9, 30, v9
	v_and_b32_e32 v3, 3, v3
	v_cmp_eq_u32_e32 vcc, 0, v8
	v_and_b32_e32 v6, 0x80000000, v6
	s_nop 0
	v_cndmask_b32_e32 v8, v8, v9, vcc
	v_cndmask_b32_e32 v3, v7, v3, vcc
	v_mov_b32_e32 v7, 0x37800000
	v_lshlrev_b32_e32 v3, 21, v3
	v_lshl_add_u32 v7, v8, 23, v7
	v_or3_b32 v22, v6, v7, v3
.LBB64_1220:
	s_or_b64 exec, exec, s[4:5]
	s_mov_b64 s[2:3], 0
	s_branch .LBB64_1228
.LBB64_1221:
	s_mov_b64 s[2:3], -1
                                        ; implicit-def: $vgpr22
	s_branch .LBB64_1234
.LBB64_1222:
	s_mov_b64 s[2:3], -1
                                        ; implicit-def: $vgpr22
	s_branch .LBB64_1231
.LBB64_1223:
	s_movk_i32 s4, 0x80
	v_cmp_eq_u16_e32 vcc, s4, v3
	s_mov_b64 s[4:5], -1
	s_and_saveexec_b64 s[8:9], vcc
; %bb.1224:
	s_xor_b64 s[4:5], exec, -1
; %bb.1225:
	s_or_b64 exec, exec, s[8:9]
	s_and_b64 s[4:5], s[4:5], exec
	s_or_saveexec_b64 s[6:7], s[6:7]
	v_mov_b32_e32 v22, 0x7f800001
	s_xor_b64 exec, exec, s[6:7]
	s_cbranch_execz .LBB64_1208
.LBB64_1226:
	v_cmp_ne_u16_e32 vcc, 0, v3
	s_andn2_b64 s[4:5], s[4:5], exec
	s_and_b64 s[8:9], vcc, exec
	v_mov_b32_e32 v22, 0
	s_or_b64 s[4:5], s[4:5], s[8:9]
	s_or_b64 exec, exec, s[6:7]
	s_and_saveexec_b64 s[6:7], s[4:5]
	s_cbranch_execnz .LBB64_1209
	s_branch .LBB64_1210
.LBB64_1227:
	s_mov_b64 s[2:3], -1
                                        ; implicit-def: $vgpr22
.LBB64_1228:
	s_and_b64 vcc, exec, s[2:3]
	s_cbranch_vccz .LBB64_1230
; %bb.1229:
	global_load_ubyte v3, v[4:5], off
	s_mov_b32 s2, 0x7f800000
	s_waitcnt vmcnt(0)
	v_lshlrev_b32_e32 v3, 24, v3
	v_and_b32_e32 v6, 0x7f000000, v3
	v_ffbh_u32_e32 v7, v6
	v_min_u32_e32 v7, 32, v7
	v_sub_u32_e64 v7, v7, 4 clamp
	v_lshlrev_b32_e32 v9, v7, v6
	v_lshlrev_b32_e32 v7, 23, v7
	v_lshrrev_b32_e32 v9, 4, v9
	v_add_u32_e32 v8, 0x1000000, v6
	v_sub_u32_e32 v7, v9, v7
	v_ashrrev_i32_e32 v8, 8, v8
	v_add_u32_e32 v7, 0x3c000000, v7
	v_and_or_b32 v7, v8, s2, v7
	v_cmp_ne_u32_e32 vcc, 0, v6
	s_brev_b32 s2, 1
	s_nop 0
	v_cndmask_b32_e32 v6, 0, v7, vcc
	v_and_or_b32 v22, v3, s2, v6
.LBB64_1230:
	s_mov_b64 s[2:3], 0
.LBB64_1231:
	s_andn2_b64 vcc, exec, s[2:3]
	s_cbranch_vccnz .LBB64_1233
; %bb.1232:
	global_load_ubyte v3, v[4:5], off
	s_movk_i32 s2, 0x7f00
	s_brev_b32 s3, 16
	s_waitcnt vmcnt(0)
	v_lshlrev_b16_e32 v6, 8, v3
	v_lshlrev_b32_e32 v3, 25, v3
	v_lshrrev_b32_e32 v7, 4, v3
	v_and_or_b32 v8, v6, s2, 0.5
	v_or_b32_e32 v7, 0x70000000, v7
	v_add_f32_e32 v8, -0.5, v8
	v_mul_f32_e32 v7, 0x7800000, v7
	v_cmp_gt_u32_e32 vcc, s3, v3
	v_bfe_i32 v6, v6, 0, 16
	s_brev_b32 s2, 1
	v_cndmask_b32_e32 v3, v7, v8, vcc
	v_and_or_b32 v22, v6, s2, v3
.LBB64_1233:
	s_mov_b64 s[2:3], 0
	s_mov_b64 s[4:5], -1
.LBB64_1234:
	s_andn2_b64 vcc, exec, s[2:3]
	s_mov_b64 s[2:3], 0
	s_cbranch_vccnz .LBB64_1243
; %bb.1235:
	s_cmp_gt_i32 s10, 14
	s_cbranch_scc0 .LBB64_1238
; %bb.1236:
	s_cmp_eq_u32 s10, 15
	s_cbranch_scc0 .LBB64_1239
; %bb.1237:
	global_load_ushort v3, v[4:5], off
	s_mov_b64 s[0:1], 0
	s_mov_b64 s[4:5], -1
	s_waitcnt vmcnt(0)
	v_lshlrev_b32_e32 v22, 16, v3
	s_branch .LBB64_1240
.LBB64_1238:
	s_mov_b64 s[6:7], -1
                                        ; implicit-def: $vgpr22
	s_branch .LBB64_1241
.LBB64_1239:
	s_mov_b64 s[0:1], -1
                                        ; implicit-def: $vgpr22
.LBB64_1240:
	s_mov_b64 s[6:7], 0
.LBB64_1241:
	s_and_b64 vcc, exec, s[6:7]
	s_cbranch_vccz .LBB64_1243
; %bb.1242:
	s_cmp_lg_u32 s10, 11
	s_mov_b64 s[2:3], -1
	s_cselect_b64 s[0:1], -1, 0
.LBB64_1243:
	v_mov_b32_e32 v23, 0
.LBB64_1244:
	s_and_b64 vcc, exec, s[0:1]
	s_cbranch_vccnz .LBB64_1309
; %bb.1245:
	s_andn2_b64 vcc, exec, s[2:3]
	s_cbranch_vccnz .LBB64_1247
.LBB64_1246:
	global_load_ubyte v3, v[4:5], off
	v_mov_b32_e32 v23, 0
	s_mov_b64 s[4:5], -1
	s_waitcnt vmcnt(0)
	v_cmp_ne_u16_e32 vcc, 0, v3
	s_nop 1
	v_cndmask_b32_e64 v22, 0, 1.0, vcc
.LBB64_1247:
	s_branch .LBB64_1171
.LBB64_1248:
	s_cmp_lt_i32 s10, 5
	s_cbranch_scc1 .LBB64_1253
; %bb.1249:
	s_cmp_lt_i32 s10, 8
	s_cbranch_scc1 .LBB64_1255
; %bb.1250:
	;; [unrolled: 3-line block ×3, first 2 shown]
	s_cmp_gt_i32 s10, 9
	s_cbranch_scc0 .LBB64_1257
; %bb.1252:
	global_load_dwordx4 v[6:9], v[4:5], off
	s_mov_b64 s[0:1], 0
	s_waitcnt vmcnt(0)
	v_cvt_f32_f64_e32 v22, v[6:7]
	v_cvt_f32_f64_e32 v23, v[8:9]
	s_branch .LBB64_1258
.LBB64_1253:
                                        ; implicit-def: $vgpr23
	s_branch .LBB64_1277
.LBB64_1254:
	s_branch .LBB64_1297
.LBB64_1255:
	s_mov_b64 s[0:1], -1
                                        ; implicit-def: $vgpr23
	s_branch .LBB64_1264
.LBB64_1256:
	s_mov_b64 s[0:1], -1
                                        ; implicit-def: $vgpr23
	s_branch .LBB64_1261
.LBB64_1257:
	s_mov_b64 s[0:1], -1
                                        ; implicit-def: $vgpr23
.LBB64_1258:
	s_andn2_b64 vcc, exec, s[0:1]
	s_cbranch_vccnz .LBB64_1260
; %bb.1259:
	global_load_dwordx2 v[22:23], v[4:5], off
.LBB64_1260:
	s_mov_b64 s[0:1], 0
.LBB64_1261:
	s_andn2_b64 vcc, exec, s[0:1]
	s_cbranch_vccnz .LBB64_1263
; %bb.1262:
	global_load_dword v3, v[4:5], off
	s_waitcnt vmcnt(0)
	v_cvt_f32_f16_sdwa v23, v3 dst_sel:DWORD dst_unused:UNUSED_PAD src0_sel:WORD_1
	v_cvt_f32_f16_e32 v22, v3
.LBB64_1263:
	s_mov_b64 s[0:1], 0
.LBB64_1264:
	s_andn2_b64 vcc, exec, s[0:1]
	s_cbranch_vccnz .LBB64_1276
; %bb.1265:
	s_cmp_lt_i32 s10, 6
	s_cbranch_scc1 .LBB64_1268
; %bb.1266:
	s_cmp_gt_i32 s10, 6
	s_cbranch_scc0 .LBB64_1269
; %bb.1267:
	global_load_dwordx2 v[6:7], v[4:5], off
	s_mov_b64 s[0:1], 0
	s_waitcnt vmcnt(0)
	v_cvt_f32_f64_e32 v22, v[6:7]
	s_branch .LBB64_1270
.LBB64_1268:
	s_mov_b64 s[0:1], -1
                                        ; implicit-def: $vgpr22
	s_branch .LBB64_1273
.LBB64_1269:
	s_mov_b64 s[0:1], -1
                                        ; implicit-def: $vgpr22
.LBB64_1270:
	s_andn2_b64 vcc, exec, s[0:1]
	s_cbranch_vccnz .LBB64_1272
; %bb.1271:
	global_load_dword v22, v[4:5], off
.LBB64_1272:
	s_mov_b64 s[0:1], 0
.LBB64_1273:
	s_andn2_b64 vcc, exec, s[0:1]
	s_cbranch_vccnz .LBB64_1275
; %bb.1274:
	global_load_ushort v3, v[4:5], off
	s_waitcnt vmcnt(0)
	v_cvt_f32_f16_e32 v22, v3
.LBB64_1275:
	s_waitcnt vmcnt(0)
	v_mov_b32_e32 v23, 0
.LBB64_1276:
	s_cbranch_execnz .LBB64_1254
.LBB64_1277:
	s_cmp_lt_i32 s10, 2
	s_cbranch_scc1 .LBB64_1281
; %bb.1278:
	s_cmp_lt_i32 s10, 3
	s_cbranch_scc1 .LBB64_1282
; %bb.1279:
	s_cmp_gt_i32 s10, 3
	s_cbranch_scc0 .LBB64_1283
; %bb.1280:
	global_load_dwordx2 v[6:7], v[4:5], off
	s_mov_b64 s[0:1], 0
	s_waitcnt vmcnt(0)
	v_xor_b32_e32 v8, v6, v7
	v_ffbh_i32_e32 v3, v7
	v_ashrrev_i32_e32 v8, 31, v8
	v_add_u32_e32 v3, -1, v3
	v_add_u32_e32 v8, 32, v8
	v_min_u32_e32 v3, v3, v8
	v_lshlrev_b64 v[6:7], v3, v[6:7]
	v_min_u32_e32 v6, 1, v6
	v_or_b32_e32 v6, v7, v6
	v_cvt_f32_i32_e32 v6, v6
	v_sub_u32_e32 v3, 32, v3
	v_ldexp_f32 v22, v6, v3
	s_branch .LBB64_1284
.LBB64_1281:
	s_mov_b64 s[0:1], -1
                                        ; implicit-def: $vgpr22
	s_branch .LBB64_1290
.LBB64_1282:
	s_mov_b64 s[0:1], -1
                                        ; implicit-def: $vgpr22
	s_branch .LBB64_1287
.LBB64_1283:
	s_mov_b64 s[0:1], -1
                                        ; implicit-def: $vgpr22
.LBB64_1284:
	s_andn2_b64 vcc, exec, s[0:1]
	s_cbranch_vccnz .LBB64_1286
; %bb.1285:
	global_load_dword v3, v[4:5], off
	s_waitcnt vmcnt(0)
	v_cvt_f32_i32_e32 v22, v3
.LBB64_1286:
	s_mov_b64 s[0:1], 0
.LBB64_1287:
	s_andn2_b64 vcc, exec, s[0:1]
	s_cbranch_vccnz .LBB64_1289
; %bb.1288:
	global_load_sshort v3, v[4:5], off
	s_waitcnt vmcnt(0)
	v_cvt_f32_i32_e32 v22, v3
.LBB64_1289:
	s_mov_b64 s[0:1], 0
.LBB64_1290:
	s_andn2_b64 vcc, exec, s[0:1]
	s_cbranch_vccnz .LBB64_1296
; %bb.1291:
	s_cmp_gt_i32 s10, 0
	s_cbranch_scc0 .LBB64_1293
; %bb.1292:
	global_load_sbyte v3, v[4:5], off
	s_mov_b64 s[0:1], 0
	s_waitcnt vmcnt(0)
	v_cvt_f32_i32_e32 v22, v3
	s_branch .LBB64_1294
.LBB64_1293:
	s_mov_b64 s[0:1], -1
                                        ; implicit-def: $vgpr22
.LBB64_1294:
	s_andn2_b64 vcc, exec, s[0:1]
	s_cbranch_vccnz .LBB64_1296
; %bb.1295:
	global_load_ubyte v3, v[4:5], off
	s_waitcnt vmcnt(0)
	v_cvt_f32_ubyte0_e32 v22, v3
.LBB64_1296:
	s_waitcnt vmcnt(0)
	v_mov_b32_e32 v23, 0
.LBB64_1297:
	v_add_u32_e32 v2, s11, v2
	v_ashrrev_i32_e32 v3, 31, v2
	s_cmp_lt_i32 s10, 11
	v_lshl_add_u64 v[4:5], s[22:23], 0, v[2:3]
	s_cbranch_scc1 .LBB64_1304
; %bb.1298:
	s_cmp_gt_i32 s10, 25
	s_mov_b64 s[2:3], 0
	s_cbranch_scc0 .LBB64_1306
; %bb.1299:
	s_cmp_gt_i32 s10, 28
	s_cbranch_scc0 .LBB64_1307
; %bb.1300:
	s_cmp_gt_i32 s10, 43
	s_cbranch_scc0 .LBB64_1308
; %bb.1301:
	s_cmp_gt_i32 s10, 45
	s_cbranch_scc0 .LBB64_1314
; %bb.1302:
	s_cmp_eq_u32 s10, 46
	s_mov_b64 s[6:7], 0
	s_cbranch_scc0 .LBB64_1317
; %bb.1303:
	global_load_dword v3, v[4:5], off
	s_mov_b64 s[0:1], 0
	s_mov_b64 s[4:5], -1
	s_waitcnt vmcnt(0)
	v_and_b32_e32 v25, 0xffff0000, v3
	v_lshlrev_b32_e32 v24, 16, v3
	s_branch .LBB64_1318
.LBB64_1304:
	s_mov_b64 s[4:5], 0
                                        ; implicit-def: $vgpr25
	s_cbranch_execnz .LBB64_1352
.LBB64_1305:
	s_andn2_b64 vcc, exec, s[4:5]
	s_cbranch_vccz .LBB64_1434
	s_branch .LBB64_2002
.LBB64_1306:
	s_mov_b64 s[6:7], -1
	s_mov_b64 s[4:5], 0
	s_mov_b64 s[0:1], 0
                                        ; implicit-def: $vgpr25
	s_branch .LBB64_1347
.LBB64_1307:
	s_mov_b64 s[6:7], -1
	s_mov_b64 s[4:5], 0
	s_mov_b64 s[0:1], 0
                                        ; implicit-def: $vgpr25
	s_branch .LBB64_1330
.LBB64_1308:
	s_mov_b64 s[6:7], -1
	s_mov_b64 s[4:5], 0
	s_mov_b64 s[0:1], 0
                                        ; implicit-def: $vgpr25
	s_branch .LBB64_1324
.LBB64_1309:
	s_trap 2
	s_or_b64 s[34:35], s[34:35], exec
	s_cbranch_execz .LBB64_1246
	s_branch .LBB64_1247
.LBB64_1310:
	s_movk_i32 s2, 0x80
	v_cmp_eq_u16_e32 vcc, s2, v3
	s_mov_b64 s[2:3], -1
	s_and_saveexec_b64 s[6:7], vcc
; %bb.1311:
	s_xor_b64 s[2:3], exec, -1
; %bb.1312:
	s_or_b64 exec, exec, s[6:7]
	s_and_b64 s[2:3], s[2:3], exec
	s_or_saveexec_b64 s[4:5], s[4:5]
	v_mov_b32_e32 v22, 0x7f800001
	s_xor_b64 exec, exec, s[4:5]
	s_cbranch_execz .LBB64_1218
.LBB64_1313:
	v_cmp_ne_u16_e32 vcc, 0, v3
	s_andn2_b64 s[2:3], s[2:3], exec
	s_and_b64 s[6:7], vcc, exec
	v_mov_b32_e32 v22, 0
	s_or_b64 s[2:3], s[2:3], s[6:7]
	s_or_b64 exec, exec, s[4:5]
	s_and_saveexec_b64 s[4:5], s[2:3]
	s_cbranch_execnz .LBB64_1219
	s_branch .LBB64_1220
.LBB64_1314:
	s_mov_b64 s[6:7], -1
	s_mov_b64 s[4:5], 0
	s_mov_b64 s[0:1], 0
                                        ; implicit-def: $vgpr25
	s_branch .LBB64_1318
.LBB64_1315:
	v_bfe_u32 v2, v0, 21, 1
	s_mov_b32 s12, 0x88fffff
	v_add3_u32 v2, v0, v2, s12
	s_mov_b64 s[6:7], exec
	v_lshrrev_b32_e32 v2, 21, v2
	s_andn2_saveexec_b64 s[8:9], s[8:9]
	s_cbranch_execz .LBB64_964
.LBB64_1316:
	s_mov_b32 s12, 0x42800000
	v_add_f32_e64 v2, |v0|, s12
	v_and_b32_e32 v2, 0xff, v2
	v_cmp_ne_u32_e32 vcc, 0, v2
	s_andn2_b64 s[6:7], s[6:7], exec
	s_and_b64 s[12:13], vcc, exec
	s_or_b64 s[6:7], s[6:7], s[12:13]
	s_or_b64 exec, exec, s[8:9]
	v_mov_b32_e32 v3, 0
	s_and_saveexec_b64 s[8:9], s[6:7]
	s_cbranch_execnz .LBB64_965
	s_branch .LBB64_966
.LBB64_1317:
	s_mov_b64 s[0:1], -1
                                        ; implicit-def: $vgpr25
	s_mov_b64 s[4:5], 0
.LBB64_1318:
	s_and_b64 vcc, exec, s[6:7]
	s_cbranch_vccz .LBB64_1323
; %bb.1319:
	s_cmp_eq_u32 s10, 44
	s_cbranch_scc0 .LBB64_1321
; %bb.1320:
	global_load_ubyte v3, v[4:5], off
	s_movk_i32 s4, 0xff
	v_mov_b32_e32 v6, 0x7f800001
	v_mov_b32_e32 v7, 0x400000
	s_mov_b64 s[0:1], 0
	s_waitcnt vmcnt(0)
	v_lshlrev_b32_e32 v8, 23, v3
	v_cmp_ne_u32_e32 vcc, s4, v3
	s_mov_b64 s[4:5], -1
	s_nop 0
	v_cndmask_b32_e32 v6, v6, v8, vcc
	v_cmp_ne_u32_e32 vcc, 0, v3
	s_nop 1
	v_cndmask_b32_e32 v24, v7, v6, vcc
	s_branch .LBB64_1322
.LBB64_1321:
	s_mov_b64 s[0:1], -1
                                        ; implicit-def: $vgpr24
.LBB64_1322:
	v_mov_b32_e32 v25, 0
.LBB64_1323:
	s_mov_b64 s[6:7], 0
.LBB64_1324:
	s_and_b64 vcc, exec, s[6:7]
	s_cbranch_vccz .LBB64_1329
; %bb.1325:
	s_cmp_eq_u32 s10, 29
	s_cbranch_scc0 .LBB64_1327
; %bb.1326:
	global_load_dwordx2 v[6:7], v[4:5], off
	s_mov_b64 s[0:1], 0
	s_mov_b64 s[4:5], -1
	s_waitcnt vmcnt(0)
	v_ffbh_u32_e32 v3, v7
	v_min_u32_e32 v3, 32, v3
	v_lshlrev_b64 v[6:7], v3, v[6:7]
	v_min_u32_e32 v6, 1, v6
	v_or_b32_e32 v6, v7, v6
	v_cvt_f32_u32_e32 v6, v6
	v_sub_u32_e32 v3, 32, v3
	v_ldexp_f32 v24, v6, v3
	s_branch .LBB64_1328
.LBB64_1327:
	s_mov_b64 s[0:1], -1
                                        ; implicit-def: $vgpr24
.LBB64_1328:
	v_mov_b32_e32 v25, 0
.LBB64_1329:
	s_mov_b64 s[6:7], 0
.LBB64_1330:
	s_and_b64 vcc, exec, s[6:7]
	s_cbranch_vccz .LBB64_1346
; %bb.1331:
	s_cmp_lt_i32 s10, 27
	s_cbranch_scc1 .LBB64_1334
; %bb.1332:
	s_cmp_gt_i32 s10, 27
	s_cbranch_scc0 .LBB64_1335
; %bb.1333:
	global_load_dword v3, v[4:5], off
	s_mov_b64 s[4:5], 0
	s_waitcnt vmcnt(0)
	v_cvt_f32_u32_e32 v24, v3
	s_branch .LBB64_1336
.LBB64_1334:
	s_mov_b64 s[4:5], -1
                                        ; implicit-def: $vgpr24
	s_branch .LBB64_1339
.LBB64_1335:
	s_mov_b64 s[4:5], -1
                                        ; implicit-def: $vgpr24
.LBB64_1336:
	s_andn2_b64 vcc, exec, s[4:5]
	s_cbranch_vccnz .LBB64_1338
; %bb.1337:
	global_load_ushort v3, v[4:5], off
	s_waitcnt vmcnt(0)
	v_cvt_f32_u32_e32 v24, v3
.LBB64_1338:
	s_mov_b64 s[4:5], 0
.LBB64_1339:
	s_andn2_b64 vcc, exec, s[4:5]
	s_cbranch_vccnz .LBB64_1345
; %bb.1340:
	global_load_ubyte v3, v[4:5], off
	s_movk_i32 s4, 0x7f
	s_waitcnt vmcnt(0)
	v_cmp_lt_i16_e32 vcc, s4, v3
	s_mov_b64 s[4:5], 0
	s_and_saveexec_b64 s[6:7], vcc
	s_xor_b64 s[6:7], exec, s[6:7]
	s_cbranch_execnz .LBB64_1370
; %bb.1341:
	s_or_saveexec_b64 s[6:7], s[6:7]
	v_mov_b32_e32 v24, 0x7f800001
	s_xor_b64 exec, exec, s[6:7]
	s_cbranch_execnz .LBB64_1373
.LBB64_1342:
	s_or_b64 exec, exec, s[6:7]
	s_and_saveexec_b64 s[6:7], s[4:5]
	s_cbranch_execz .LBB64_1344
.LBB64_1343:
	v_lshlrev_b32_e32 v6, 24, v3
	v_and_b32_e32 v3, 0xffff, v3
	v_and_b32_e32 v7, 7, v3
	v_ffbh_u32_e32 v9, v7
	v_min_u32_e32 v9, 32, v9
	v_subrev_u32_e32 v10, 28, v9
	v_bfe_u32 v8, v3, 3, 4
	v_lshlrev_b32_e32 v3, v10, v3
	v_sub_u32_e32 v9, 29, v9
	v_and_b32_e32 v3, 7, v3
	v_cmp_eq_u32_e32 vcc, 0, v8
	v_and_b32_e32 v6, 0x80000000, v6
	s_nop 0
	v_cndmask_b32_e32 v8, v8, v9, vcc
	v_cndmask_b32_e32 v3, v7, v3, vcc
	v_mov_b32_e32 v7, 0x3b800000
	v_lshlrev_b32_e32 v3, 20, v3
	v_lshl_add_u32 v7, v8, 23, v7
	v_or3_b32 v24, v6, v7, v3
.LBB64_1344:
	s_or_b64 exec, exec, s[6:7]
.LBB64_1345:
	s_mov_b64 s[4:5], -1
	v_mov_b32_e32 v25, 0
.LBB64_1346:
	s_mov_b64 s[6:7], 0
.LBB64_1347:
	s_and_b64 vcc, exec, s[6:7]
	s_cbranch_vccnz .LBB64_1357
; %bb.1348:
	s_and_b64 vcc, exec, s[0:1]
	s_cbranch_vccnz .LBB64_1418
.LBB64_1349:
	s_andn2_b64 vcc, exec, s[2:3]
	s_cbranch_vccnz .LBB64_1351
.LBB64_1350:
	global_load_ubyte v3, v[4:5], off
	v_mov_b32_e32 v25, 0
	s_mov_b64 s[4:5], -1
	s_waitcnt vmcnt(0)
	v_cmp_ne_u16_e32 vcc, 0, v3
	s_nop 1
	v_cndmask_b32_e64 v24, 0, 1.0, vcc
.LBB64_1351:
	s_branch .LBB64_1305
.LBB64_1352:
	s_cmp_lt_i32 s10, 5
	s_cbranch_scc1 .LBB64_1365
; %bb.1353:
	s_cmp_lt_i32 s10, 8
	s_cbranch_scc1 .LBB64_1366
; %bb.1354:
	s_cmp_lt_i32 s10, 9
	s_cbranch_scc1 .LBB64_1368
; %bb.1355:
	s_cmp_gt_i32 s10, 9
	s_cbranch_scc0 .LBB64_1374
; %bb.1356:
	global_load_dwordx4 v[6:9], v[4:5], off
	s_mov_b64 s[0:1], 0
	s_waitcnt vmcnt(0)
	v_cvt_f32_f64_e32 v24, v[6:7]
	v_cvt_f32_f64_e32 v25, v[8:9]
	s_branch .LBB64_1375
.LBB64_1357:
	s_cmp_gt_i32 s10, 22
	s_cbranch_scc0 .LBB64_1367
; %bb.1358:
	s_cmp_lt_i32 s10, 24
	s_cbranch_scc1 .LBB64_1369
; %bb.1359:
	s_cmp_gt_i32 s10, 24
	s_cbranch_scc0 .LBB64_1386
; %bb.1360:
	global_load_ubyte v3, v[4:5], off
	s_movk_i32 s2, 0x7f
	s_waitcnt vmcnt(0)
	v_cmp_lt_i16_e32 vcc, s2, v3
	s_mov_b64 s[2:3], 0
	s_and_saveexec_b64 s[4:5], vcc
	s_xor_b64 s[4:5], exec, s[4:5]
	s_cbranch_execnz .LBB64_1445
; %bb.1361:
	s_or_saveexec_b64 s[4:5], s[4:5]
	v_mov_b32_e32 v24, 0x7f800001
	s_xor_b64 exec, exec, s[4:5]
	s_cbranch_execnz .LBB64_1448
.LBB64_1362:
	s_or_b64 exec, exec, s[4:5]
	s_and_saveexec_b64 s[4:5], s[2:3]
	s_cbranch_execz .LBB64_1364
.LBB64_1363:
	v_lshlrev_b32_e32 v6, 24, v3
	v_and_b32_e32 v3, 0xffff, v3
	v_and_b32_e32 v7, 3, v3
	v_ffbh_u32_e32 v9, v7
	v_min_u32_e32 v9, 32, v9
	v_subrev_u32_e32 v10, 29, v9
	v_bfe_u32 v8, v3, 2, 5
	v_lshlrev_b32_e32 v3, v10, v3
	v_sub_u32_e32 v9, 30, v9
	v_and_b32_e32 v3, 3, v3
	v_cmp_eq_u32_e32 vcc, 0, v8
	v_and_b32_e32 v6, 0x80000000, v6
	s_nop 0
	v_cndmask_b32_e32 v8, v8, v9, vcc
	v_cndmask_b32_e32 v3, v7, v3, vcc
	v_mov_b32_e32 v7, 0x37800000
	v_lshlrev_b32_e32 v3, 21, v3
	v_lshl_add_u32 v7, v8, 23, v7
	v_or3_b32 v24, v6, v7, v3
.LBB64_1364:
	s_or_b64 exec, exec, s[4:5]
	s_mov_b64 s[2:3], 0
	s_branch .LBB64_1387
.LBB64_1365:
	s_mov_b64 s[0:1], -1
                                        ; implicit-def: $vgpr25
	s_branch .LBB64_1406
.LBB64_1366:
	s_mov_b64 s[0:1], -1
                                        ; implicit-def: $vgpr25
	s_branch .LBB64_1381
.LBB64_1367:
	s_mov_b64 s[2:3], -1
                                        ; implicit-def: $vgpr24
	s_branch .LBB64_1393
.LBB64_1368:
	s_mov_b64 s[0:1], -1
                                        ; implicit-def: $vgpr25
	s_branch .LBB64_1378
.LBB64_1369:
	s_mov_b64 s[2:3], -1
                                        ; implicit-def: $vgpr24
	s_branch .LBB64_1390
.LBB64_1370:
	s_movk_i32 s4, 0x80
	v_cmp_eq_u16_e32 vcc, s4, v3
	s_mov_b64 s[4:5], -1
	s_and_saveexec_b64 s[8:9], vcc
; %bb.1371:
	s_xor_b64 s[4:5], exec, -1
; %bb.1372:
	s_or_b64 exec, exec, s[8:9]
	s_and_b64 s[4:5], s[4:5], exec
	s_or_saveexec_b64 s[6:7], s[6:7]
	v_mov_b32_e32 v24, 0x7f800001
	s_xor_b64 exec, exec, s[6:7]
	s_cbranch_execz .LBB64_1342
.LBB64_1373:
	v_cmp_ne_u16_e32 vcc, 0, v3
	s_andn2_b64 s[4:5], s[4:5], exec
	s_and_b64 s[8:9], vcc, exec
	v_mov_b32_e32 v24, 0
	s_or_b64 s[4:5], s[4:5], s[8:9]
	s_or_b64 exec, exec, s[6:7]
	s_and_saveexec_b64 s[6:7], s[4:5]
	s_cbranch_execnz .LBB64_1343
	s_branch .LBB64_1344
.LBB64_1374:
	s_mov_b64 s[0:1], -1
                                        ; implicit-def: $vgpr25
.LBB64_1375:
	s_andn2_b64 vcc, exec, s[0:1]
	s_cbranch_vccnz .LBB64_1377
; %bb.1376:
	global_load_dwordx2 v[24:25], v[4:5], off
.LBB64_1377:
	s_mov_b64 s[0:1], 0
.LBB64_1378:
	s_andn2_b64 vcc, exec, s[0:1]
	s_cbranch_vccnz .LBB64_1380
; %bb.1379:
	global_load_dword v3, v[4:5], off
	s_waitcnt vmcnt(0)
	v_cvt_f32_f16_sdwa v25, v3 dst_sel:DWORD dst_unused:UNUSED_PAD src0_sel:WORD_1
	v_cvt_f32_f16_e32 v24, v3
.LBB64_1380:
	s_mov_b64 s[0:1], 0
.LBB64_1381:
	s_andn2_b64 vcc, exec, s[0:1]
	s_cbranch_vccnz .LBB64_1405
; %bb.1382:
	s_cmp_lt_i32 s10, 6
	s_cbranch_scc1 .LBB64_1385
; %bb.1383:
	s_cmp_gt_i32 s10, 6
	s_cbranch_scc0 .LBB64_1398
; %bb.1384:
	global_load_dwordx2 v[6:7], v[4:5], off
	s_mov_b64 s[0:1], 0
	s_waitcnt vmcnt(0)
	v_cvt_f32_f64_e32 v24, v[6:7]
	s_branch .LBB64_1399
.LBB64_1385:
	s_mov_b64 s[0:1], -1
                                        ; implicit-def: $vgpr24
	s_branch .LBB64_1402
.LBB64_1386:
	s_mov_b64 s[2:3], -1
                                        ; implicit-def: $vgpr24
.LBB64_1387:
	s_and_b64 vcc, exec, s[2:3]
	s_cbranch_vccz .LBB64_1389
; %bb.1388:
	global_load_ubyte v3, v[4:5], off
	s_mov_b32 s2, 0x7f800000
	s_waitcnt vmcnt(0)
	v_lshlrev_b32_e32 v3, 24, v3
	v_and_b32_e32 v6, 0x7f000000, v3
	v_ffbh_u32_e32 v7, v6
	v_min_u32_e32 v7, 32, v7
	v_sub_u32_e64 v7, v7, 4 clamp
	v_lshlrev_b32_e32 v9, v7, v6
	v_lshlrev_b32_e32 v7, 23, v7
	v_lshrrev_b32_e32 v9, 4, v9
	v_add_u32_e32 v8, 0x1000000, v6
	v_sub_u32_e32 v7, v9, v7
	v_ashrrev_i32_e32 v8, 8, v8
	v_add_u32_e32 v7, 0x3c000000, v7
	v_and_or_b32 v7, v8, s2, v7
	v_cmp_ne_u32_e32 vcc, 0, v6
	s_brev_b32 s2, 1
	s_nop 0
	v_cndmask_b32_e32 v6, 0, v7, vcc
	v_and_or_b32 v24, v3, s2, v6
.LBB64_1389:
	s_mov_b64 s[2:3], 0
.LBB64_1390:
	s_andn2_b64 vcc, exec, s[2:3]
	s_cbranch_vccnz .LBB64_1392
; %bb.1391:
	global_load_ubyte v3, v[4:5], off
	s_movk_i32 s2, 0x7f00
	s_brev_b32 s3, 16
	s_waitcnt vmcnt(0)
	v_lshlrev_b16_e32 v6, 8, v3
	v_lshlrev_b32_e32 v3, 25, v3
	v_lshrrev_b32_e32 v7, 4, v3
	v_and_or_b32 v8, v6, s2, 0.5
	v_or_b32_e32 v7, 0x70000000, v7
	v_add_f32_e32 v8, -0.5, v8
	v_mul_f32_e32 v7, 0x7800000, v7
	v_cmp_gt_u32_e32 vcc, s3, v3
	v_bfe_i32 v6, v6, 0, 16
	s_brev_b32 s2, 1
	v_cndmask_b32_e32 v3, v7, v8, vcc
	v_and_or_b32 v24, v6, s2, v3
.LBB64_1392:
	s_mov_b64 s[2:3], 0
	s_mov_b64 s[4:5], -1
.LBB64_1393:
	s_andn2_b64 vcc, exec, s[2:3]
	s_mov_b64 s[2:3], 0
	s_cbranch_vccnz .LBB64_1417
; %bb.1394:
	s_cmp_gt_i32 s10, 14
	s_cbranch_scc0 .LBB64_1397
; %bb.1395:
	s_cmp_eq_u32 s10, 15
	s_cbranch_scc0 .LBB64_1413
; %bb.1396:
	global_load_ushort v3, v[4:5], off
	s_mov_b64 s[0:1], 0
	s_mov_b64 s[4:5], -1
	s_waitcnt vmcnt(0)
	v_lshlrev_b32_e32 v24, 16, v3
	s_branch .LBB64_1414
.LBB64_1397:
	s_mov_b64 s[6:7], -1
                                        ; implicit-def: $vgpr24
	s_branch .LBB64_1415
.LBB64_1398:
	s_mov_b64 s[0:1], -1
                                        ; implicit-def: $vgpr24
.LBB64_1399:
	s_andn2_b64 vcc, exec, s[0:1]
	s_cbranch_vccnz .LBB64_1401
; %bb.1400:
	global_load_dword v24, v[4:5], off
.LBB64_1401:
	s_mov_b64 s[0:1], 0
.LBB64_1402:
	s_andn2_b64 vcc, exec, s[0:1]
	s_cbranch_vccnz .LBB64_1404
; %bb.1403:
	global_load_ushort v3, v[4:5], off
	s_waitcnt vmcnt(0)
	v_cvt_f32_f16_e32 v24, v3
.LBB64_1404:
	s_waitcnt vmcnt(0)
	v_mov_b32_e32 v25, 0
.LBB64_1405:
	s_mov_b64 s[0:1], 0
.LBB64_1406:
	s_andn2_b64 vcc, exec, s[0:1]
	s_cbranch_vccnz .LBB64_1433
; %bb.1407:
	s_cmp_lt_i32 s10, 2
	s_cbranch_scc1 .LBB64_1411
; %bb.1408:
	s_cmp_lt_i32 s10, 3
	s_cbranch_scc1 .LBB64_1412
; %bb.1409:
	s_cmp_gt_i32 s10, 3
	s_cbranch_scc0 .LBB64_1419
; %bb.1410:
	global_load_dwordx2 v[6:7], v[4:5], off
	s_mov_b64 s[0:1], 0
	s_waitcnt vmcnt(0)
	v_xor_b32_e32 v8, v6, v7
	v_ffbh_i32_e32 v3, v7
	v_ashrrev_i32_e32 v8, 31, v8
	v_add_u32_e32 v3, -1, v3
	v_add_u32_e32 v8, 32, v8
	v_min_u32_e32 v3, v3, v8
	v_lshlrev_b64 v[6:7], v3, v[6:7]
	v_min_u32_e32 v6, 1, v6
	v_or_b32_e32 v6, v7, v6
	v_cvt_f32_i32_e32 v6, v6
	v_sub_u32_e32 v3, 32, v3
	v_ldexp_f32 v24, v6, v3
	s_branch .LBB64_1420
.LBB64_1411:
	s_mov_b64 s[0:1], -1
                                        ; implicit-def: $vgpr24
	s_branch .LBB64_1426
.LBB64_1412:
	s_mov_b64 s[0:1], -1
                                        ; implicit-def: $vgpr24
	s_branch .LBB64_1423
.LBB64_1413:
	s_mov_b64 s[0:1], -1
                                        ; implicit-def: $vgpr24
.LBB64_1414:
	s_mov_b64 s[6:7], 0
.LBB64_1415:
	s_and_b64 vcc, exec, s[6:7]
	s_cbranch_vccz .LBB64_1417
; %bb.1416:
	s_cmp_lg_u32 s10, 11
	s_mov_b64 s[2:3], -1
	s_cselect_b64 s[0:1], -1, 0
.LBB64_1417:
	v_mov_b32_e32 v25, 0
	s_and_b64 vcc, exec, s[0:1]
	s_cbranch_vccz .LBB64_1349
.LBB64_1418:
	s_trap 2
	s_or_b64 s[34:35], s[34:35], exec
	s_cbranch_execz .LBB64_1350
	s_branch .LBB64_1351
.LBB64_1419:
	s_mov_b64 s[0:1], -1
                                        ; implicit-def: $vgpr24
.LBB64_1420:
	s_andn2_b64 vcc, exec, s[0:1]
	s_cbranch_vccnz .LBB64_1422
; %bb.1421:
	global_load_dword v3, v[4:5], off
	s_waitcnt vmcnt(0)
	v_cvt_f32_i32_e32 v24, v3
.LBB64_1422:
	s_mov_b64 s[0:1], 0
.LBB64_1423:
	s_andn2_b64 vcc, exec, s[0:1]
	s_cbranch_vccnz .LBB64_1425
; %bb.1424:
	global_load_sshort v3, v[4:5], off
	s_waitcnt vmcnt(0)
	v_cvt_f32_i32_e32 v24, v3
.LBB64_1425:
	s_mov_b64 s[0:1], 0
.LBB64_1426:
	s_andn2_b64 vcc, exec, s[0:1]
	s_cbranch_vccnz .LBB64_1432
; %bb.1427:
	s_cmp_gt_i32 s10, 0
	s_cbranch_scc0 .LBB64_1429
; %bb.1428:
	global_load_sbyte v3, v[4:5], off
	s_mov_b64 s[0:1], 0
	s_waitcnt vmcnt(0)
	v_cvt_f32_i32_e32 v24, v3
	s_branch .LBB64_1430
.LBB64_1429:
	s_mov_b64 s[0:1], -1
                                        ; implicit-def: $vgpr24
.LBB64_1430:
	s_andn2_b64 vcc, exec, s[0:1]
	s_cbranch_vccnz .LBB64_1432
; %bb.1431:
	global_load_ubyte v3, v[4:5], off
	s_waitcnt vmcnt(0)
	v_cvt_f32_ubyte0_e32 v24, v3
.LBB64_1432:
	s_waitcnt vmcnt(0)
	v_mov_b32_e32 v25, 0
.LBB64_1433:
.LBB64_1434:
	v_add_u32_e32 v2, s11, v2
	v_ashrrev_i32_e32 v3, 31, v2
	s_cmp_lt_i32 s10, 11
	v_lshl_add_u64 v[2:3], s[22:23], 0, v[2:3]
	s_cbranch_scc1 .LBB64_1441
; %bb.1435:
	s_cmp_gt_i32 s10, 25
	s_mov_b64 s[2:3], 0
	s_cbranch_scc0 .LBB64_1442
; %bb.1436:
	s_cmp_gt_i32 s10, 28
	s_cbranch_scc0 .LBB64_1443
; %bb.1437:
	s_cmp_gt_i32 s10, 43
	;; [unrolled: 3-line block ×3, first 2 shown]
	s_cbranch_scc0 .LBB64_1449
; %bb.1439:
	s_cmp_eq_u32 s10, 46
	s_mov_b64 s[6:7], 0
	s_cbranch_scc0 .LBB64_1450
; %bb.1440:
	global_load_dword v4, v[2:3], off
	s_mov_b64 s[0:1], 0
	s_mov_b64 s[4:5], -1
	s_waitcnt vmcnt(0)
	v_and_b32_e32 v27, 0xffff0000, v4
	v_lshlrev_b32_e32 v26, 16, v4
	s_branch .LBB64_1451
.LBB64_1441:
	s_mov_b64 s[0:1], -1
	s_mov_b64 s[4:5], 0
                                        ; implicit-def: $vgpr27
	s_branch .LBB64_1485
.LBB64_1442:
	s_mov_b64 s[6:7], -1
	s_mov_b64 s[4:5], 0
	s_mov_b64 s[0:1], 0
                                        ; implicit-def: $vgpr27
	s_branch .LBB64_1480
.LBB64_1443:
	s_mov_b64 s[6:7], -1
	s_mov_b64 s[4:5], 0
	s_mov_b64 s[0:1], 0
                                        ; implicit-def: $vgpr27
	s_branch .LBB64_1463
.LBB64_1444:
	s_mov_b64 s[6:7], -1
	s_mov_b64 s[4:5], 0
	s_mov_b64 s[0:1], 0
                                        ; implicit-def: $vgpr27
	s_branch .LBB64_1457
.LBB64_1445:
	s_movk_i32 s2, 0x80
	v_cmp_eq_u16_e32 vcc, s2, v3
	s_mov_b64 s[2:3], -1
	s_and_saveexec_b64 s[6:7], vcc
; %bb.1446:
	s_xor_b64 s[2:3], exec, -1
; %bb.1447:
	s_or_b64 exec, exec, s[6:7]
	s_and_b64 s[2:3], s[2:3], exec
	s_or_saveexec_b64 s[4:5], s[4:5]
	v_mov_b32_e32 v24, 0x7f800001
	s_xor_b64 exec, exec, s[4:5]
	s_cbranch_execz .LBB64_1362
.LBB64_1448:
	v_cmp_ne_u16_e32 vcc, 0, v3
	s_andn2_b64 s[2:3], s[2:3], exec
	s_and_b64 s[6:7], vcc, exec
	v_mov_b32_e32 v24, 0
	s_or_b64 s[2:3], s[2:3], s[6:7]
	s_or_b64 exec, exec, s[4:5]
	s_and_saveexec_b64 s[4:5], s[2:3]
	s_cbranch_execnz .LBB64_1363
	s_branch .LBB64_1364
.LBB64_1449:
	s_mov_b64 s[6:7], -1
	s_mov_b64 s[4:5], 0
	s_mov_b64 s[0:1], 0
                                        ; implicit-def: $vgpr27
	s_branch .LBB64_1451
.LBB64_1450:
	s_mov_b64 s[0:1], -1
                                        ; implicit-def: $vgpr27
	s_mov_b64 s[4:5], 0
.LBB64_1451:
	s_and_b64 vcc, exec, s[6:7]
	s_cbranch_vccz .LBB64_1456
; %bb.1452:
	s_cmp_eq_u32 s10, 44
	s_cbranch_scc0 .LBB64_1454
; %bb.1453:
	global_load_ubyte v4, v[2:3], off
	s_movk_i32 s4, 0xff
	v_mov_b32_e32 v5, 0x7f800001
	v_mov_b32_e32 v6, 0x400000
	s_mov_b64 s[0:1], 0
	s_waitcnt vmcnt(0)
	v_lshlrev_b32_e32 v7, 23, v4
	v_cmp_ne_u32_e32 vcc, s4, v4
	s_mov_b64 s[4:5], -1
	s_nop 0
	v_cndmask_b32_e32 v5, v5, v7, vcc
	v_cmp_ne_u32_e32 vcc, 0, v4
	s_nop 1
	v_cndmask_b32_e32 v26, v6, v5, vcc
	s_branch .LBB64_1455
.LBB64_1454:
	s_mov_b64 s[0:1], -1
                                        ; implicit-def: $vgpr26
.LBB64_1455:
	v_mov_b32_e32 v27, 0
.LBB64_1456:
	s_mov_b64 s[6:7], 0
.LBB64_1457:
	s_and_b64 vcc, exec, s[6:7]
	s_cbranch_vccz .LBB64_1462
; %bb.1458:
	s_cmp_eq_u32 s10, 29
	s_cbranch_scc0 .LBB64_1460
; %bb.1459:
	global_load_dwordx2 v[4:5], v[2:3], off
	s_mov_b64 s[0:1], 0
	s_mov_b64 s[4:5], -1
	s_waitcnt vmcnt(0)
	v_ffbh_u32_e32 v6, v5
	v_min_u32_e32 v6, 32, v6
	v_lshlrev_b64 v[4:5], v6, v[4:5]
	v_min_u32_e32 v4, 1, v4
	v_or_b32_e32 v4, v5, v4
	v_cvt_f32_u32_e32 v4, v4
	v_sub_u32_e32 v5, 32, v6
	v_ldexp_f32 v26, v4, v5
	s_branch .LBB64_1461
.LBB64_1460:
	s_mov_b64 s[0:1], -1
                                        ; implicit-def: $vgpr26
.LBB64_1461:
	v_mov_b32_e32 v27, 0
.LBB64_1462:
	s_mov_b64 s[6:7], 0
.LBB64_1463:
	s_and_b64 vcc, exec, s[6:7]
	s_cbranch_vccz .LBB64_1479
; %bb.1464:
	s_cmp_lt_i32 s10, 27
	s_cbranch_scc1 .LBB64_1467
; %bb.1465:
	s_cmp_gt_i32 s10, 27
	s_cbranch_scc0 .LBB64_1468
; %bb.1466:
	global_load_dword v4, v[2:3], off
	s_mov_b64 s[4:5], 0
	s_waitcnt vmcnt(0)
	v_cvt_f32_u32_e32 v26, v4
	s_branch .LBB64_1469
.LBB64_1467:
	s_mov_b64 s[4:5], -1
                                        ; implicit-def: $vgpr26
	s_branch .LBB64_1472
.LBB64_1468:
	s_mov_b64 s[4:5], -1
                                        ; implicit-def: $vgpr26
.LBB64_1469:
	s_andn2_b64 vcc, exec, s[4:5]
	s_cbranch_vccnz .LBB64_1471
; %bb.1470:
	global_load_ushort v4, v[2:3], off
	s_waitcnt vmcnt(0)
	v_cvt_f32_u32_e32 v26, v4
.LBB64_1471:
	s_mov_b64 s[4:5], 0
.LBB64_1472:
	s_andn2_b64 vcc, exec, s[4:5]
	s_cbranch_vccnz .LBB64_1478
; %bb.1473:
	global_load_ubyte v4, v[2:3], off
	s_movk_i32 s4, 0x7f
	s_waitcnt vmcnt(0)
	v_cmp_lt_i16_e32 vcc, s4, v4
	s_mov_b64 s[4:5], 0
	s_and_saveexec_b64 s[6:7], vcc
	s_xor_b64 s[6:7], exec, s[6:7]
	s_cbranch_execnz .LBB64_1504
; %bb.1474:
	s_or_saveexec_b64 s[6:7], s[6:7]
	v_mov_b32_e32 v26, 0x7f800001
	s_xor_b64 exec, exec, s[6:7]
	s_cbranch_execnz .LBB64_1507
.LBB64_1475:
	s_or_b64 exec, exec, s[6:7]
	s_and_saveexec_b64 s[6:7], s[4:5]
	s_cbranch_execz .LBB64_1477
.LBB64_1476:
	v_lshlrev_b32_e32 v5, 24, v4
	v_and_b32_e32 v4, 0xffff, v4
	v_and_b32_e32 v6, 7, v4
	v_ffbh_u32_e32 v8, v6
	v_min_u32_e32 v8, 32, v8
	v_subrev_u32_e32 v9, 28, v8
	v_bfe_u32 v7, v4, 3, 4
	v_lshlrev_b32_e32 v4, v9, v4
	v_sub_u32_e32 v8, 29, v8
	v_and_b32_e32 v4, 7, v4
	v_cmp_eq_u32_e32 vcc, 0, v7
	v_and_b32_e32 v5, 0x80000000, v5
	s_nop 0
	v_cndmask_b32_e32 v7, v7, v8, vcc
	v_cndmask_b32_e32 v4, v6, v4, vcc
	v_mov_b32_e32 v6, 0x3b800000
	v_lshlrev_b32_e32 v4, 20, v4
	v_lshl_add_u32 v6, v7, 23, v6
	v_or3_b32 v26, v5, v6, v4
.LBB64_1477:
	s_or_b64 exec, exec, s[6:7]
.LBB64_1478:
	s_mov_b64 s[4:5], -1
	v_mov_b32_e32 v27, 0
.LBB64_1479:
	s_mov_b64 s[6:7], 0
.LBB64_1480:
	s_and_b64 vcc, exec, s[6:7]
	s_cbranch_vccnz .LBB64_1491
; %bb.1481:
	s_and_b64 vcc, exec, s[0:1]
	s_cbranch_vccnz .LBB64_1552
.LBB64_1482:
	s_andn2_b64 vcc, exec, s[2:3]
	s_cbranch_vccnz .LBB64_1484
.LBB64_1483:
	global_load_ubyte v4, v[2:3], off
	v_mov_b32_e32 v27, 0
	s_mov_b64 s[4:5], -1
	s_waitcnt vmcnt(0)
	v_cmp_ne_u16_e32 vcc, 0, v4
	s_nop 1
	v_cndmask_b32_e64 v26, 0, 1.0, vcc
.LBB64_1484:
	s_mov_b64 s[0:1], 0
.LBB64_1485:
	s_and_b64 vcc, exec, s[0:1]
	s_cbranch_vccz .LBB64_1568
; %bb.1486:
	s_cmp_lt_i32 s10, 5
	s_cbranch_scc1 .LBB64_1499
; %bb.1487:
	s_cmp_lt_i32 s10, 8
	s_cbranch_scc1 .LBB64_1500
	;; [unrolled: 3-line block ×3, first 2 shown]
; %bb.1489:
	s_cmp_gt_i32 s10, 9
	s_cbranch_scc0 .LBB64_1508
; %bb.1490:
	global_load_dwordx4 v[4:7], v[2:3], off
	s_mov_b64 s[0:1], 0
	s_waitcnt vmcnt(0)
	v_cvt_f32_f64_e32 v26, v[4:5]
	v_cvt_f32_f64_e32 v27, v[6:7]
	s_branch .LBB64_1509
.LBB64_1491:
	s_cmp_gt_i32 s10, 22
	s_cbranch_scc0 .LBB64_1501
; %bb.1492:
	s_cmp_lt_i32 s10, 24
	s_cbranch_scc1 .LBB64_1503
; %bb.1493:
	s_cmp_gt_i32 s10, 24
	s_cbranch_scc0 .LBB64_1520
; %bb.1494:
	global_load_ubyte v4, v[2:3], off
	s_movk_i32 s2, 0x7f
	s_waitcnt vmcnt(0)
	v_cmp_lt_i16_e32 vcc, s2, v4
	s_mov_b64 s[2:3], 0
	s_and_saveexec_b64 s[4:5], vcc
	s_xor_b64 s[4:5], exec, s[4:5]
	s_cbranch_execnz .LBB64_2048
; %bb.1495:
	s_or_saveexec_b64 s[4:5], s[4:5]
	v_mov_b32_e32 v26, 0x7f800001
	s_xor_b64 exec, exec, s[4:5]
	s_cbranch_execnz .LBB64_2051
.LBB64_1496:
	s_or_b64 exec, exec, s[4:5]
	s_and_saveexec_b64 s[4:5], s[2:3]
	s_cbranch_execz .LBB64_1498
.LBB64_1497:
	v_lshlrev_b32_e32 v5, 24, v4
	v_and_b32_e32 v4, 0xffff, v4
	v_and_b32_e32 v6, 3, v4
	v_ffbh_u32_e32 v8, v6
	v_min_u32_e32 v8, 32, v8
	v_subrev_u32_e32 v9, 29, v8
	v_bfe_u32 v7, v4, 2, 5
	v_lshlrev_b32_e32 v4, v9, v4
	v_sub_u32_e32 v8, 30, v8
	v_and_b32_e32 v4, 3, v4
	v_cmp_eq_u32_e32 vcc, 0, v7
	v_and_b32_e32 v5, 0x80000000, v5
	s_nop 0
	v_cndmask_b32_e32 v7, v7, v8, vcc
	v_cndmask_b32_e32 v4, v6, v4, vcc
	v_mov_b32_e32 v6, 0x37800000
	v_lshlrev_b32_e32 v4, 21, v4
	v_lshl_add_u32 v6, v7, 23, v6
	v_or3_b32 v26, v5, v6, v4
.LBB64_1498:
	s_or_b64 exec, exec, s[4:5]
	s_mov_b64 s[2:3], 0
	s_branch .LBB64_1521
.LBB64_1499:
	s_mov_b64 s[0:1], -1
                                        ; implicit-def: $vgpr27
	s_branch .LBB64_1540
.LBB64_1500:
	s_mov_b64 s[0:1], -1
                                        ; implicit-def: $vgpr27
	s_branch .LBB64_1515
.LBB64_1501:
	s_mov_b64 s[2:3], -1
                                        ; implicit-def: $vgpr26
	s_branch .LBB64_1527
.LBB64_1502:
	s_mov_b64 s[0:1], -1
                                        ; implicit-def: $vgpr27
	s_branch .LBB64_1512
.LBB64_1503:
	s_mov_b64 s[2:3], -1
                                        ; implicit-def: $vgpr26
	s_branch .LBB64_1524
.LBB64_1504:
	s_movk_i32 s4, 0x80
	v_cmp_eq_u16_e32 vcc, s4, v4
	s_mov_b64 s[4:5], -1
	s_and_saveexec_b64 s[8:9], vcc
; %bb.1505:
	s_xor_b64 s[4:5], exec, -1
; %bb.1506:
	s_or_b64 exec, exec, s[8:9]
	s_and_b64 s[4:5], s[4:5], exec
	s_or_saveexec_b64 s[6:7], s[6:7]
	v_mov_b32_e32 v26, 0x7f800001
	s_xor_b64 exec, exec, s[6:7]
	s_cbranch_execz .LBB64_1475
.LBB64_1507:
	v_cmp_ne_u16_e32 vcc, 0, v4
	s_andn2_b64 s[4:5], s[4:5], exec
	s_and_b64 s[8:9], vcc, exec
	v_mov_b32_e32 v26, 0
	s_or_b64 s[4:5], s[4:5], s[8:9]
	s_or_b64 exec, exec, s[6:7]
	s_and_saveexec_b64 s[6:7], s[4:5]
	s_cbranch_execnz .LBB64_1476
	s_branch .LBB64_1477
.LBB64_1508:
	s_mov_b64 s[0:1], -1
                                        ; implicit-def: $vgpr27
.LBB64_1509:
	s_andn2_b64 vcc, exec, s[0:1]
	s_cbranch_vccnz .LBB64_1511
; %bb.1510:
	global_load_dwordx2 v[26:27], v[2:3], off
.LBB64_1511:
	s_mov_b64 s[0:1], 0
.LBB64_1512:
	s_andn2_b64 vcc, exec, s[0:1]
	s_cbranch_vccnz .LBB64_1514
; %bb.1513:
	global_load_dword v4, v[2:3], off
	s_waitcnt vmcnt(0)
	v_cvt_f32_f16_sdwa v27, v4 dst_sel:DWORD dst_unused:UNUSED_PAD src0_sel:WORD_1
	v_cvt_f32_f16_e32 v26, v4
.LBB64_1514:
	s_mov_b64 s[0:1], 0
.LBB64_1515:
	s_andn2_b64 vcc, exec, s[0:1]
	s_cbranch_vccnz .LBB64_1539
; %bb.1516:
	s_cmp_lt_i32 s10, 6
	s_cbranch_scc1 .LBB64_1519
; %bb.1517:
	s_cmp_gt_i32 s10, 6
	s_cbranch_scc0 .LBB64_1532
; %bb.1518:
	global_load_dwordx2 v[4:5], v[2:3], off
	s_mov_b64 s[0:1], 0
	s_waitcnt vmcnt(0)
	v_cvt_f32_f64_e32 v26, v[4:5]
	s_branch .LBB64_1533
.LBB64_1519:
	s_mov_b64 s[0:1], -1
                                        ; implicit-def: $vgpr26
	s_branch .LBB64_1536
.LBB64_1520:
	s_mov_b64 s[2:3], -1
                                        ; implicit-def: $vgpr26
.LBB64_1521:
	s_and_b64 vcc, exec, s[2:3]
	s_cbranch_vccz .LBB64_1523
; %bb.1522:
	global_load_ubyte v4, v[2:3], off
	s_mov_b32 s2, 0x7f800000
	s_waitcnt vmcnt(0)
	v_lshlrev_b32_e32 v4, 24, v4
	v_and_b32_e32 v5, 0x7f000000, v4
	v_ffbh_u32_e32 v6, v5
	v_min_u32_e32 v6, 32, v6
	v_sub_u32_e64 v6, v6, 4 clamp
	v_lshlrev_b32_e32 v8, v6, v5
	v_lshlrev_b32_e32 v6, 23, v6
	v_lshrrev_b32_e32 v8, 4, v8
	v_add_u32_e32 v7, 0x1000000, v5
	v_sub_u32_e32 v6, v8, v6
	v_ashrrev_i32_e32 v7, 8, v7
	v_add_u32_e32 v6, 0x3c000000, v6
	v_and_or_b32 v6, v7, s2, v6
	v_cmp_ne_u32_e32 vcc, 0, v5
	s_brev_b32 s2, 1
	s_nop 0
	v_cndmask_b32_e32 v5, 0, v6, vcc
	v_and_or_b32 v26, v4, s2, v5
.LBB64_1523:
	s_mov_b64 s[2:3], 0
.LBB64_1524:
	s_andn2_b64 vcc, exec, s[2:3]
	s_cbranch_vccnz .LBB64_1526
; %bb.1525:
	global_load_ubyte v4, v[2:3], off
	s_movk_i32 s2, 0x7f00
	s_brev_b32 s3, 16
	s_waitcnt vmcnt(0)
	v_lshlrev_b16_e32 v5, 8, v4
	v_lshlrev_b32_e32 v4, 25, v4
	v_lshrrev_b32_e32 v6, 4, v4
	v_and_or_b32 v7, v5, s2, 0.5
	v_or_b32_e32 v6, 0x70000000, v6
	v_add_f32_e32 v7, -0.5, v7
	v_mul_f32_e32 v6, 0x7800000, v6
	v_cmp_gt_u32_e32 vcc, s3, v4
	v_bfe_i32 v5, v5, 0, 16
	s_brev_b32 s2, 1
	v_cndmask_b32_e32 v4, v6, v7, vcc
	v_and_or_b32 v26, v5, s2, v4
.LBB64_1526:
	s_mov_b64 s[2:3], 0
	s_mov_b64 s[4:5], -1
.LBB64_1527:
	s_andn2_b64 vcc, exec, s[2:3]
	s_mov_b64 s[2:3], 0
	s_cbranch_vccnz .LBB64_1551
; %bb.1528:
	s_cmp_gt_i32 s10, 14
	s_cbranch_scc0 .LBB64_1531
; %bb.1529:
	s_cmp_eq_u32 s10, 15
	s_cbranch_scc0 .LBB64_1547
; %bb.1530:
	global_load_ushort v4, v[2:3], off
	s_mov_b64 s[0:1], 0
	s_mov_b64 s[4:5], -1
	s_waitcnt vmcnt(0)
	v_lshlrev_b32_e32 v26, 16, v4
	s_branch .LBB64_1548
.LBB64_1531:
	s_mov_b64 s[6:7], -1
                                        ; implicit-def: $vgpr26
	s_branch .LBB64_1549
.LBB64_1532:
	s_mov_b64 s[0:1], -1
                                        ; implicit-def: $vgpr26
.LBB64_1533:
	s_andn2_b64 vcc, exec, s[0:1]
	s_cbranch_vccnz .LBB64_1535
; %bb.1534:
	global_load_dword v26, v[2:3], off
.LBB64_1535:
	s_mov_b64 s[0:1], 0
.LBB64_1536:
	s_andn2_b64 vcc, exec, s[0:1]
	s_cbranch_vccnz .LBB64_1538
; %bb.1537:
	global_load_ushort v4, v[2:3], off
	s_waitcnt vmcnt(0)
	v_cvt_f32_f16_e32 v26, v4
.LBB64_1538:
	s_waitcnt vmcnt(0)
	v_mov_b32_e32 v27, 0
.LBB64_1539:
	s_mov_b64 s[0:1], 0
.LBB64_1540:
	s_andn2_b64 vcc, exec, s[0:1]
	s_cbranch_vccnz .LBB64_1567
; %bb.1541:
	s_cmp_lt_i32 s10, 2
	s_cbranch_scc1 .LBB64_1545
; %bb.1542:
	s_cmp_lt_i32 s10, 3
	s_cbranch_scc1 .LBB64_1546
; %bb.1543:
	s_cmp_gt_i32 s10, 3
	s_cbranch_scc0 .LBB64_1553
; %bb.1544:
	global_load_dwordx2 v[4:5], v[2:3], off
	s_mov_b64 s[0:1], 0
	s_waitcnt vmcnt(0)
	v_xor_b32_e32 v7, v4, v5
	v_ffbh_i32_e32 v6, v5
	v_ashrrev_i32_e32 v7, 31, v7
	v_add_u32_e32 v6, -1, v6
	v_add_u32_e32 v7, 32, v7
	v_min_u32_e32 v6, v6, v7
	v_lshlrev_b64 v[4:5], v6, v[4:5]
	v_min_u32_e32 v4, 1, v4
	v_or_b32_e32 v4, v5, v4
	v_cvt_f32_i32_e32 v4, v4
	v_sub_u32_e32 v5, 32, v6
	v_ldexp_f32 v26, v4, v5
	s_branch .LBB64_1554
.LBB64_1545:
	s_mov_b64 s[0:1], -1
                                        ; implicit-def: $vgpr26
	s_branch .LBB64_1560
.LBB64_1546:
	s_mov_b64 s[0:1], -1
                                        ; implicit-def: $vgpr26
	s_branch .LBB64_1557
.LBB64_1547:
	s_mov_b64 s[0:1], -1
                                        ; implicit-def: $vgpr26
.LBB64_1548:
	s_mov_b64 s[6:7], 0
.LBB64_1549:
	s_and_b64 vcc, exec, s[6:7]
	s_cbranch_vccz .LBB64_1551
; %bb.1550:
	s_cmp_lg_u32 s10, 11
	s_mov_b64 s[2:3], -1
	s_cselect_b64 s[0:1], -1, 0
.LBB64_1551:
	v_mov_b32_e32 v27, 0
	s_and_b64 vcc, exec, s[0:1]
	s_cbranch_vccz .LBB64_1482
.LBB64_1552:
	s_trap 2
	s_or_b64 s[34:35], s[34:35], exec
	s_cbranch_execz .LBB64_1483
	s_branch .LBB64_1484
.LBB64_1553:
	s_mov_b64 s[0:1], -1
                                        ; implicit-def: $vgpr26
.LBB64_1554:
	s_andn2_b64 vcc, exec, s[0:1]
	s_cbranch_vccnz .LBB64_1556
; %bb.1555:
	global_load_dword v4, v[2:3], off
	s_waitcnt vmcnt(0)
	v_cvt_f32_i32_e32 v26, v4
.LBB64_1556:
	s_mov_b64 s[0:1], 0
.LBB64_1557:
	s_andn2_b64 vcc, exec, s[0:1]
	s_cbranch_vccnz .LBB64_1559
; %bb.1558:
	global_load_sshort v4, v[2:3], off
	s_waitcnt vmcnt(0)
	v_cvt_f32_i32_e32 v26, v4
.LBB64_1559:
	s_mov_b64 s[0:1], 0
.LBB64_1560:
	s_andn2_b64 vcc, exec, s[0:1]
	s_cbranch_vccnz .LBB64_1566
; %bb.1561:
	s_cmp_gt_i32 s10, 0
	s_cbranch_scc0 .LBB64_1563
; %bb.1562:
	global_load_sbyte v4, v[2:3], off
	s_mov_b64 s[0:1], 0
	s_waitcnt vmcnt(0)
	v_cvt_f32_i32_e32 v26, v4
	s_branch .LBB64_1564
.LBB64_1563:
	s_mov_b64 s[0:1], -1
                                        ; implicit-def: $vgpr26
.LBB64_1564:
	s_andn2_b64 vcc, exec, s[0:1]
	s_cbranch_vccnz .LBB64_1566
; %bb.1565:
	global_load_ubyte v2, v[2:3], off
	s_waitcnt vmcnt(0)
	v_cvt_f32_ubyte0_e32 v26, v2
.LBB64_1566:
	s_waitcnt vmcnt(0)
	v_mov_b32_e32 v27, 0
.LBB64_1567:
	s_mov_b64 s[4:5], -1
.LBB64_1568:
	s_andn2_b64 vcc, exec, s[4:5]
	s_cbranch_vccnz .LBB64_2002
; %bb.1569:
	s_getpc_b64 s[0:1]
	s_add_u32 s0, s0, _ZN16c10_complex_math3expIfEEN3c107complexIT_EERKS4_@rel32@lo+4
	s_addc_u32 s1, s1, _ZN16c10_complex_math3expIfEEN3c107complexIT_EERKS4_@rel32@hi+12
	s_swappc_b64 s[30:31], s[0:1]
	v_mul_lo_u32 v28, s18, v21
	v_ashrrev_i32_e32 v29, 31, v28
	s_and_b32 s36, s33, 0xff
	s_cmp_lt_i32 s36, 11
	v_lshl_add_u64 v[2:3], s[20:21], 0, v[28:29]
	s_cbranch_scc1 .LBB64_1647
; %bb.1570:
	s_and_b32 s10, 0xffff, s36
	s_mov_b64 s[6:7], -1
	s_mov_b64 s[2:3], 0
	s_cmp_gt_i32 s10, 25
	s_mov_b64 s[4:5], 0
	s_mov_b64 s[0:1], 0
	s_cbranch_scc0 .LBB64_1603
; %bb.1571:
	s_cmp_gt_i32 s10, 28
	s_cbranch_scc0 .LBB64_1586
; %bb.1572:
	s_cmp_gt_i32 s10, 43
	s_cbranch_scc0 .LBB64_1582
; %bb.1573:
	s_cmp_gt_i32 s10, 45
	s_cbranch_scc0 .LBB64_1576
; %bb.1574:
	s_mov_b64 s[0:1], -1
	s_mov_b64 s[6:7], 0
	s_cmp_eq_u32 s10, 46
	s_cbranch_scc0 .LBB64_1576
; %bb.1575:
	s_movk_i32 s0, 0x7fff
	v_bfe_u32 v5, v1, 16, 1
	v_add3_u32 v5, v1, v5, s0
	v_bfe_u32 v4, v0, 16, 1
	v_and_b32_e32 v5, 0xffff0000, v5
	v_mov_b32_e32 v6, 0x7fc00000
	v_cmp_o_f32_e32 vcc, v1, v1
	v_add3_u32 v4, v0, v4, s0
	s_mov_b64 s[0:1], 0
	v_cndmask_b32_e32 v5, v6, v5, vcc
	v_cmp_o_f32_e32 vcc, v0, v0
	v_mov_b32_e32 v6, 0x7fc0
	s_mov_b64 s[4:5], -1
	v_cndmask_b32_sdwa v4, v6, v4, vcc dst_sel:DWORD dst_unused:UNUSED_PAD src0_sel:DWORD src1_sel:WORD_1
	v_or_b32_e32 v4, v5, v4
	global_store_dword v[2:3], v4, off
.LBB64_1576:
	s_and_b64 vcc, exec, s[6:7]
	s_cbranch_vccz .LBB64_1581
; %bb.1577:
	s_cmp_eq_u32 s10, 44
	s_mov_b64 s[0:1], -1
	s_cbranch_scc0 .LBB64_1581
; %bb.1578:
	v_bfe_u32 v4, v0, 23, 8
	s_movk_i32 s0, 0xff
	v_cmp_ne_u32_e32 vcc, s0, v4
	v_mov_b32_e32 v5, 0xff
	s_and_saveexec_b64 s[4:5], vcc
; %bb.1579:
	s_mov_b32 s0, 0x3fffff
	v_and_b32_e32 v6, 0x400000, v0
	v_and_or_b32 v4, v0, s0, v4
	v_cmp_ne_u32_e32 vcc, 0, v6
	v_cmp_ne_u32_e64 s[0:1], 0, v4
	s_and_b64 s[0:1], vcc, s[0:1]
	v_lshrrev_b32_e32 v5, 23, v0
	v_cndmask_b32_e64 v4, 0, 1, s[0:1]
	v_add_u32_e32 v5, v5, v4
; %bb.1580:
	s_or_b64 exec, exec, s[4:5]
	s_mov_b64 s[0:1], 0
	s_mov_b64 s[4:5], -1
	global_store_byte v[2:3], v5, off
.LBB64_1581:
	s_mov_b64 s[6:7], 0
.LBB64_1582:
	s_and_b64 vcc, exec, s[6:7]
	s_cbranch_vccz .LBB64_1585
; %bb.1583:
	s_cmp_eq_u32 s10, 29
	s_mov_b64 s[0:1], -1
	s_cbranch_scc0 .LBB64_1585
; %bb.1584:
	v_trunc_f32_e32 v4, v0
	v_mul_f32_e32 v5, 0x2f800000, v4
	v_floor_f32_e32 v6, v5
	v_fmamk_f32 v4, v6, 0xcf800000, v4
	v_cvt_u32_f32_e32 v5, v6
	v_cvt_u32_f32_e32 v4, v4
	s_mov_b64 s[0:1], 0
	s_mov_b64 s[4:5], -1
	global_store_dwordx2 v[2:3], v[4:5], off
.LBB64_1585:
	s_mov_b64 s[6:7], 0
.LBB64_1586:
	s_and_b64 vcc, exec, s[6:7]
	s_cbranch_vccz .LBB64_1602
; %bb.1587:
	s_cmp_lt_i32 s10, 27
	s_mov_b64 s[4:5], -1
	s_cbranch_scc1 .LBB64_1593
; %bb.1588:
	v_cvt_u32_f32_e32 v4, v0
	s_cmp_gt_i32 s10, 27
	s_cbranch_scc0 .LBB64_1590
; %bb.1589:
	s_mov_b64 s[4:5], 0
	global_store_dword v[2:3], v4, off
.LBB64_1590:
	s_andn2_b64 vcc, exec, s[4:5]
	s_cbranch_vccnz .LBB64_1592
; %bb.1591:
	global_store_short v[2:3], v4, off
.LBB64_1592:
	s_mov_b64 s[4:5], 0
.LBB64_1593:
	s_andn2_b64 vcc, exec, s[4:5]
	s_cbranch_vccnz .LBB64_1601
; %bb.1594:
	v_and_b32_e32 v4, 0x7fffffff, v0
	s_mov_b32 s4, 0x43800000
	v_cmp_gt_u32_e32 vcc, s4, v4
	v_mov_b32_e32 v5, 0x80
	s_and_saveexec_b64 s[4:5], vcc
	s_cbranch_execz .LBB64_1600
; %bb.1595:
	s_mov_b32 s6, 0x3bffffff
	v_cmp_lt_u32_e32 vcc, s6, v4
	s_mov_b64 s[6:7], 0
                                        ; implicit-def: $vgpr4
	s_and_saveexec_b64 s[8:9], vcc
	s_xor_b64 s[8:9], exec, s[8:9]
	s_cbranch_execnz .LBB64_2057
; %bb.1596:
	s_andn2_saveexec_b64 s[8:9], s[8:9]
	s_cbranch_execnz .LBB64_2058
.LBB64_1597:
	s_or_b64 exec, exec, s[8:9]
	v_mov_b32_e32 v5, 0
	s_and_saveexec_b64 s[8:9], s[6:7]
.LBB64_1598:
	v_lshrrev_b32_e32 v5, 24, v0
	s_movk_i32 s6, 0x80
	v_and_or_b32 v5, v5, s6, v4
.LBB64_1599:
	s_or_b64 exec, exec, s[8:9]
.LBB64_1600:
	s_or_b64 exec, exec, s[4:5]
	global_store_byte v[2:3], v5, off
.LBB64_1601:
	s_mov_b64 s[4:5], -1
.LBB64_1602:
	s_mov_b64 s[6:7], 0
.LBB64_1603:
	s_and_b64 vcc, exec, s[6:7]
	s_cbranch_vccz .LBB64_1643
; %bb.1604:
	s_cmp_gt_i32 s10, 22
	s_mov_b64 s[2:3], -1
	s_cbranch_scc0 .LBB64_1636
; %bb.1605:
	s_cmp_lt_i32 s10, 24
	s_cbranch_scc1 .LBB64_1625
; %bb.1606:
	s_cmp_gt_i32 s10, 24
	s_cbranch_scc0 .LBB64_1614
; %bb.1607:
	v_and_b32_e32 v4, 0x7fffffff, v0
	s_mov_b32 s2, 0x47800000
	v_cmp_gt_u32_e32 vcc, s2, v4
	v_mov_b32_e32 v5, 0x80
	s_and_saveexec_b64 s[2:3], vcc
	s_cbranch_execz .LBB64_1613
; %bb.1608:
	s_mov_b32 s4, 0x37ffffff
	v_cmp_lt_u32_e32 vcc, s4, v4
	s_mov_b64 s[4:5], 0
                                        ; implicit-def: $vgpr4
	s_and_saveexec_b64 s[6:7], vcc
	s_xor_b64 s[6:7], exec, s[6:7]
	s_cbranch_execnz .LBB64_2062
; %bb.1609:
	s_andn2_saveexec_b64 s[6:7], s[6:7]
	s_cbranch_execnz .LBB64_2063
.LBB64_1610:
	s_or_b64 exec, exec, s[6:7]
	v_mov_b32_e32 v5, 0
	s_and_saveexec_b64 s[6:7], s[4:5]
.LBB64_1611:
	v_lshrrev_b32_e32 v5, 24, v0
	s_movk_i32 s4, 0x80
	v_and_or_b32 v5, v5, s4, v4
.LBB64_1612:
	s_or_b64 exec, exec, s[6:7]
.LBB64_1613:
	s_or_b64 exec, exec, s[2:3]
	s_mov_b64 s[2:3], 0
	global_store_byte v[2:3], v5, off
.LBB64_1614:
	s_and_b64 vcc, exec, s[2:3]
	s_cbranch_vccz .LBB64_1624
; %bb.1615:
	v_and_b32_e32 v5, 0x7fffffff, v0
	s_mov_b32 s2, 0x43f00000
	v_cmp_gt_u32_e32 vcc, s2, v5
                                        ; implicit-def: $vgpr4
	s_and_saveexec_b64 s[2:3], vcc
	s_xor_b64 s[2:3], exec, s[2:3]
	s_cbranch_execz .LBB64_1621
; %bb.1616:
	s_mov_b32 s4, 0x3c7fffff
	v_cmp_lt_u32_e32 vcc, s4, v5
                                        ; implicit-def: $vgpr4
	s_and_saveexec_b64 s[4:5], vcc
	s_xor_b64 s[4:5], exec, s[4:5]
; %bb.1617:
	v_bfe_u32 v4, v0, 20, 1
	s_mov_b32 s6, 0x407ffff
	v_add3_u32 v4, v0, v4, s6
	v_lshrrev_b32_e32 v5, 20, v4
	v_and_b32_e32 v4, 0xff00000, v4
	s_mov_b32 s6, 0x7f00000
	v_mov_b32_e32 v6, 0x7e
	v_cmp_ne_u32_e32 vcc, s6, v4
	s_nop 1
	v_cndmask_b32_e32 v4, v6, v5, vcc
; %bb.1618:
	s_andn2_saveexec_b64 s[4:5], s[4:5]
; %bb.1619:
	s_mov_b32 s6, 0x46800000
	v_add_f32_e64 v4, |v0|, s6
; %bb.1620:
	s_or_b64 exec, exec, s[4:5]
                                        ; implicit-def: $vgpr5
.LBB64_1621:
	s_andn2_saveexec_b64 s[2:3], s[2:3]
; %bb.1622:
	s_mov_b32 s4, 0x7f800000
	v_mov_b32_e32 v4, 0x7e
	v_mov_b32_e32 v6, 0x7f
	v_cmp_lt_u32_e32 vcc, s4, v5
	s_nop 1
	v_cndmask_b32_e32 v4, v4, v6, vcc
; %bb.1623:
	s_or_b64 exec, exec, s[2:3]
	v_lshrrev_b32_e32 v5, 24, v0
	s_movk_i32 s2, 0x80
	v_and_or_b32 v4, v5, s2, v4
	global_store_byte v[2:3], v4, off
.LBB64_1624:
	s_mov_b64 s[2:3], 0
.LBB64_1625:
	s_andn2_b64 vcc, exec, s[2:3]
	s_cbranch_vccnz .LBB64_1635
; %bb.1626:
	v_and_b32_e32 v5, 0x7fffffff, v0
	s_mov_b32 s2, 0x47800000
	v_cmp_gt_u32_e32 vcc, s2, v5
                                        ; implicit-def: $vgpr4
	s_and_saveexec_b64 s[2:3], vcc
	s_xor_b64 s[2:3], exec, s[2:3]
	s_cbranch_execz .LBB64_1632
; %bb.1627:
	s_mov_b32 s4, 0x387fffff
	v_cmp_lt_u32_e32 vcc, s4, v5
                                        ; implicit-def: $vgpr4
	s_and_saveexec_b64 s[4:5], vcc
	s_xor_b64 s[4:5], exec, s[4:5]
; %bb.1628:
	v_bfe_u32 v4, v0, 21, 1
	s_mov_b32 s6, 0x80fffff
	v_add3_u32 v4, v0, v4, s6
	v_lshrrev_b32_e32 v4, 21, v4
; %bb.1629:
	s_andn2_saveexec_b64 s[4:5], s[4:5]
; %bb.1630:
	s_mov_b32 s6, 0x43000000
	v_add_f32_e64 v4, |v0|, s6
; %bb.1631:
	s_or_b64 exec, exec, s[4:5]
                                        ; implicit-def: $vgpr5
.LBB64_1632:
	s_andn2_saveexec_b64 s[2:3], s[2:3]
; %bb.1633:
	s_mov_b32 s4, 0x7f800000
	v_mov_b32_e32 v4, 0x7c
	v_mov_b32_e32 v6, 0x7f
	v_cmp_lt_u32_e32 vcc, s4, v5
	s_nop 1
	v_cndmask_b32_e32 v4, v4, v6, vcc
; %bb.1634:
	s_or_b64 exec, exec, s[2:3]
	v_lshrrev_b32_e32 v5, 24, v0
	s_movk_i32 s2, 0x80
	v_and_or_b32 v4, v5, s2, v4
	global_store_byte v[2:3], v4, off
.LBB64_1635:
	s_mov_b64 s[2:3], 0
	s_mov_b64 s[4:5], -1
.LBB64_1636:
	s_andn2_b64 vcc, exec, s[2:3]
	s_mov_b64 s[2:3], 0
	s_cbranch_vccnz .LBB64_1643
; %bb.1637:
	s_cmp_gt_i32 s10, 14
	s_mov_b64 s[6:7], -1
	s_cbranch_scc0 .LBB64_1641
; %bb.1638:
	s_cmp_eq_u32 s10, 15
	s_mov_b64 s[0:1], -1
	s_cbranch_scc0 .LBB64_1640
; %bb.1639:
	v_bfe_u32 v4, v0, 16, 1
	s_movk_i32 s0, 0x7fff
	v_add3_u32 v4, v0, v4, s0
	v_cmp_o_f32_e32 vcc, v0, v0
	v_mov_b32_e32 v5, 0x7fc0
	s_mov_b64 s[0:1], 0
	v_cndmask_b32_sdwa v4, v5, v4, vcc dst_sel:DWORD dst_unused:UNUSED_PAD src0_sel:DWORD src1_sel:WORD_1
	global_store_short v[2:3], v4, off
	s_mov_b64 s[4:5], -1
.LBB64_1640:
	s_mov_b64 s[6:7], 0
.LBB64_1641:
	s_and_b64 vcc, exec, s[6:7]
	s_cbranch_vccz .LBB64_1643
; %bb.1642:
	s_cmp_lg_u32 s10, 11
	s_mov_b64 s[2:3], -1
	s_cselect_b64 s[0:1], -1, 0
.LBB64_1643:
	s_and_b64 vcc, exec, s[0:1]
	s_cbranch_vccnz .LBB64_2052
; %bb.1644:
	s_andn2_b64 vcc, exec, s[2:3]
	s_cbranch_vccnz .LBB64_1646
.LBB64_1645:
	s_brev_b32 s0, -2
	v_bitop3_b32 v4, v0, s0, v1 bitop3:0xc8
	v_cmp_ne_u32_e32 vcc, 0, v4
	s_mov_b64 s[4:5], -1
	s_nop 0
	v_cndmask_b32_e64 v4, 0, 1, vcc
	global_store_byte v[2:3], v4, off
.LBB64_1646:
	s_mov_b64 s[0:1], 0
	s_branch .LBB64_1648
.LBB64_1647:
	s_mov_b64 s[0:1], -1
	s_mov_b64 s[4:5], 0
.LBB64_1648:
	s_and_b64 vcc, exec, s[0:1]
	s_cbranch_vccz .LBB64_1687
; %bb.1649:
	s_and_b32 s2, 0xffff, s36
	s_cmp_lt_i32 s2, 5
	s_mov_b64 s[0:1], -1
	s_cbranch_scc1 .LBB64_1670
; %bb.1650:
	s_cmp_lt_i32 s2, 8
	s_cbranch_scc1 .LBB64_1660
; %bb.1651:
	s_cmp_lt_i32 s2, 9
	s_cbranch_scc1 .LBB64_1657
; %bb.1652:
	s_cmp_gt_i32 s2, 9
	s_cbranch_scc0 .LBB64_1654
; %bb.1653:
	v_cvt_f64_f32_e32 v[4:5], v0
	v_cvt_f64_f32_e32 v[6:7], v1
	global_store_dwordx4 v[2:3], v[4:7], off
	s_mov_b64 s[0:1], 0
.LBB64_1654:
	s_andn2_b64 vcc, exec, s[0:1]
	s_cbranch_vccnz .LBB64_1656
; %bb.1655:
	global_store_dwordx2 v[2:3], v[0:1], off
.LBB64_1656:
	s_mov_b64 s[0:1], 0
.LBB64_1657:
	s_andn2_b64 vcc, exec, s[0:1]
	s_cbranch_vccnz .LBB64_1659
; %bb.1658:
	v_cvt_f16_f32_e32 v4, v0
	v_cvt_f16_f32_sdwa v1, v1 dst_sel:WORD_1 dst_unused:UNUSED_PAD src0_sel:DWORD
	s_nop 0
	v_or_b32_e32 v1, v1, v4
	global_store_dword v[2:3], v1, off
.LBB64_1659:
	s_mov_b64 s[0:1], 0
.LBB64_1660:
	s_andn2_b64 vcc, exec, s[0:1]
	s_cbranch_vccnz .LBB64_1669
; %bb.1661:
	s_cmp_lt_i32 s2, 6
	s_mov_b64 s[0:1], -1
	s_cbranch_scc1 .LBB64_1667
; %bb.1662:
	s_cmp_gt_i32 s2, 6
	s_cbranch_scc0 .LBB64_1664
; %bb.1663:
	v_cvt_f64_f32_e32 v[4:5], v0
	global_store_dwordx2 v[2:3], v[4:5], off
	s_mov_b64 s[0:1], 0
.LBB64_1664:
	s_andn2_b64 vcc, exec, s[0:1]
	s_cbranch_vccnz .LBB64_1666
; %bb.1665:
	global_store_dword v[2:3], v0, off
.LBB64_1666:
	s_mov_b64 s[0:1], 0
.LBB64_1667:
	s_andn2_b64 vcc, exec, s[0:1]
	s_cbranch_vccnz .LBB64_1669
; %bb.1668:
	v_cvt_f16_f32_e32 v1, v0
	global_store_short v[2:3], v1, off
.LBB64_1669:
	s_mov_b64 s[0:1], 0
.LBB64_1670:
	s_andn2_b64 vcc, exec, s[0:1]
	s_cbranch_vccnz .LBB64_1686
; %bb.1671:
	s_cmp_lt_i32 s2, 2
	s_mov_b64 s[0:1], -1
	s_cbranch_scc1 .LBB64_1681
; %bb.1672:
	s_cmp_lt_i32 s2, 3
	s_cbranch_scc1 .LBB64_1678
; %bb.1673:
	s_cmp_gt_i32 s2, 3
	s_cbranch_scc0 .LBB64_1675
; %bb.1674:
	v_trunc_f32_e32 v1, v0
	s_mov_b32 s0, 0x2f800000
	v_mul_f32_e64 v4, |v1|, s0
	v_floor_f32_e32 v4, v4
	s_mov_b32 s0, 0xcf800000
	v_cvt_u32_f32_e32 v5, v4
	v_fma_f32 v4, v4, s0, |v1|
	v_cvt_u32_f32_e32 v4, v4
	v_ashrrev_i32_e32 v1, 31, v1
	v_xor_b32_e32 v5, v5, v1
	s_mov_b64 s[0:1], 0
	v_xor_b32_e32 v4, v4, v1
	v_sub_co_u32_e32 v4, vcc, v4, v1
	s_nop 1
	v_subb_co_u32_e32 v5, vcc, v5, v1, vcc
	global_store_dwordx2 v[2:3], v[4:5], off
.LBB64_1675:
	s_andn2_b64 vcc, exec, s[0:1]
	s_cbranch_vccnz .LBB64_1677
; %bb.1676:
	v_cvt_i32_f32_e32 v1, v0
	global_store_dword v[2:3], v1, off
.LBB64_1677:
	s_mov_b64 s[0:1], 0
.LBB64_1678:
	s_andn2_b64 vcc, exec, s[0:1]
	s_cbranch_vccnz .LBB64_1680
; %bb.1679:
	v_cvt_i32_f32_e32 v1, v0
	global_store_short v[2:3], v1, off
.LBB64_1680:
	s_mov_b64 s[0:1], 0
.LBB64_1681:
	s_andn2_b64 vcc, exec, s[0:1]
	s_cbranch_vccnz .LBB64_1686
; %bb.1682:
	s_cmp_gt_i32 s2, 0
	s_mov_b64 s[0:1], -1
	s_cbranch_scc0 .LBB64_1684
; %bb.1683:
	v_cvt_i32_f32_e32 v1, v0
	s_mov_b64 s[0:1], 0
	global_store_byte v[2:3], v1, off
.LBB64_1684:
	s_andn2_b64 vcc, exec, s[0:1]
	s_cbranch_vccnz .LBB64_1686
; %bb.1685:
	v_trunc_f32_e32 v0, v0
	s_mov_b32 s0, 0x2f800000
	v_mul_f32_e64 v1, |v0|, s0
	v_floor_f32_e32 v1, v1
	s_mov_b32 s0, 0xcf800000
	v_fma_f32 v1, v1, s0, |v0|
	v_cvt_u32_f32_e32 v1, v1
	v_ashrrev_i32_e32 v0, 31, v0
	v_xor_b32_e32 v1, v1, v0
	v_sub_u32_e32 v0, v1, v0
	global_store_byte v[2:3], v0, off
.LBB64_1686:
	s_mov_b64 s[4:5], -1
.LBB64_1687:
	s_andn2_b64 vcc, exec, s[4:5]
	s_cbranch_vccnz .LBB64_2002
; %bb.1688:
	s_getpc_b64 s[0:1]
	s_add_u32 s0, s0, _ZN16c10_complex_math3expIfEEN3c107complexIT_EERKS4_@rel32@lo+4
	s_addc_u32 s1, s1, _ZN16c10_complex_math3expIfEEN3c107complexIT_EERKS4_@rel32@hi+12
	v_mov_b32_e32 v0, v22
	v_mov_b32_e32 v1, v23
	s_swappc_b64 s[30:31], s[0:1]
	s_lshl_b32 s18, s18, 7
	v_add_u32_e32 v22, s18, v28
	v_ashrrev_i32_e32 v23, 31, v22
	s_cmp_lt_i32 s36, 11
	v_lshl_add_u64 v[2:3], s[20:21], 0, v[22:23]
	s_cbranch_scc1 .LBB64_1766
; %bb.1689:
	s_and_b32 s10, 0xffff, s36
	s_mov_b64 s[6:7], -1
	s_mov_b64 s[2:3], 0
	s_cmp_gt_i32 s10, 25
	s_mov_b64 s[4:5], 0
	s_mov_b64 s[0:1], 0
	s_cbranch_scc0 .LBB64_1722
; %bb.1690:
	s_cmp_gt_i32 s10, 28
	s_cbranch_scc0 .LBB64_1705
; %bb.1691:
	s_cmp_gt_i32 s10, 43
	;; [unrolled: 3-line block ×3, first 2 shown]
	s_cbranch_scc0 .LBB64_1695
; %bb.1693:
	s_mov_b64 s[0:1], -1
	s_mov_b64 s[6:7], 0
	s_cmp_eq_u32 s10, 46
	s_cbranch_scc0 .LBB64_1695
; %bb.1694:
	s_movk_i32 s0, 0x7fff
	v_bfe_u32 v5, v1, 16, 1
	v_add3_u32 v5, v1, v5, s0
	v_bfe_u32 v4, v0, 16, 1
	v_and_b32_e32 v5, 0xffff0000, v5
	v_mov_b32_e32 v6, 0x7fc00000
	v_cmp_o_f32_e32 vcc, v1, v1
	v_add3_u32 v4, v0, v4, s0
	s_mov_b64 s[0:1], 0
	v_cndmask_b32_e32 v5, v6, v5, vcc
	v_cmp_o_f32_e32 vcc, v0, v0
	v_mov_b32_e32 v6, 0x7fc0
	s_mov_b64 s[4:5], -1
	v_cndmask_b32_sdwa v4, v6, v4, vcc dst_sel:DWORD dst_unused:UNUSED_PAD src0_sel:DWORD src1_sel:WORD_1
	v_or_b32_e32 v4, v5, v4
	global_store_dword v[2:3], v4, off
.LBB64_1695:
	s_and_b64 vcc, exec, s[6:7]
	s_cbranch_vccz .LBB64_1700
; %bb.1696:
	s_cmp_eq_u32 s10, 44
	s_mov_b64 s[0:1], -1
	s_cbranch_scc0 .LBB64_1700
; %bb.1697:
	v_bfe_u32 v4, v0, 23, 8
	s_movk_i32 s0, 0xff
	v_cmp_ne_u32_e32 vcc, s0, v4
	v_mov_b32_e32 v5, 0xff
	s_and_saveexec_b64 s[4:5], vcc
; %bb.1698:
	s_mov_b32 s0, 0x3fffff
	v_and_b32_e32 v6, 0x400000, v0
	v_and_or_b32 v4, v0, s0, v4
	v_cmp_ne_u32_e32 vcc, 0, v6
	v_cmp_ne_u32_e64 s[0:1], 0, v4
	s_and_b64 s[0:1], vcc, s[0:1]
	v_lshrrev_b32_e32 v5, 23, v0
	v_cndmask_b32_e64 v4, 0, 1, s[0:1]
	v_add_u32_e32 v5, v5, v4
; %bb.1699:
	s_or_b64 exec, exec, s[4:5]
	s_mov_b64 s[0:1], 0
	s_mov_b64 s[4:5], -1
	global_store_byte v[2:3], v5, off
.LBB64_1700:
	s_mov_b64 s[6:7], 0
.LBB64_1701:
	s_and_b64 vcc, exec, s[6:7]
	s_cbranch_vccz .LBB64_1704
; %bb.1702:
	s_cmp_eq_u32 s10, 29
	s_mov_b64 s[0:1], -1
	s_cbranch_scc0 .LBB64_1704
; %bb.1703:
	v_trunc_f32_e32 v4, v0
	v_mul_f32_e32 v5, 0x2f800000, v4
	v_floor_f32_e32 v6, v5
	v_fmamk_f32 v4, v6, 0xcf800000, v4
	v_cvt_u32_f32_e32 v5, v6
	v_cvt_u32_f32_e32 v4, v4
	s_mov_b64 s[0:1], 0
	s_mov_b64 s[4:5], -1
	global_store_dwordx2 v[2:3], v[4:5], off
.LBB64_1704:
	s_mov_b64 s[6:7], 0
.LBB64_1705:
	s_and_b64 vcc, exec, s[6:7]
	s_cbranch_vccz .LBB64_1721
; %bb.1706:
	s_cmp_lt_i32 s10, 27
	s_mov_b64 s[4:5], -1
	s_cbranch_scc1 .LBB64_1712
; %bb.1707:
	v_cvt_u32_f32_e32 v4, v0
	s_cmp_gt_i32 s10, 27
	s_cbranch_scc0 .LBB64_1709
; %bb.1708:
	s_mov_b64 s[4:5], 0
	global_store_dword v[2:3], v4, off
.LBB64_1709:
	s_andn2_b64 vcc, exec, s[4:5]
	s_cbranch_vccnz .LBB64_1711
; %bb.1710:
	global_store_short v[2:3], v4, off
.LBB64_1711:
	s_mov_b64 s[4:5], 0
.LBB64_1712:
	s_andn2_b64 vcc, exec, s[4:5]
	s_cbranch_vccnz .LBB64_1720
; %bb.1713:
	v_and_b32_e32 v4, 0x7fffffff, v0
	s_mov_b32 s4, 0x43800000
	v_cmp_gt_u32_e32 vcc, s4, v4
	v_mov_b32_e32 v5, 0x80
	s_and_saveexec_b64 s[4:5], vcc
	s_cbranch_execz .LBB64_1719
; %bb.1714:
	s_mov_b32 s6, 0x3bffffff
	v_cmp_lt_u32_e32 vcc, s6, v4
	s_mov_b64 s[6:7], 0
                                        ; implicit-def: $vgpr4
	s_and_saveexec_b64 s[8:9], vcc
	s_xor_b64 s[8:9], exec, s[8:9]
	s_cbranch_execnz .LBB64_2064
; %bb.1715:
	s_andn2_saveexec_b64 s[8:9], s[8:9]
	s_cbranch_execnz .LBB64_2065
.LBB64_1716:
	s_or_b64 exec, exec, s[8:9]
	v_mov_b32_e32 v5, 0
	s_and_saveexec_b64 s[8:9], s[6:7]
.LBB64_1717:
	v_lshrrev_b32_e32 v5, 24, v0
	s_movk_i32 s6, 0x80
	v_and_or_b32 v5, v5, s6, v4
.LBB64_1718:
	s_or_b64 exec, exec, s[8:9]
.LBB64_1719:
	s_or_b64 exec, exec, s[4:5]
	global_store_byte v[2:3], v5, off
.LBB64_1720:
	s_mov_b64 s[4:5], -1
.LBB64_1721:
	s_mov_b64 s[6:7], 0
.LBB64_1722:
	s_and_b64 vcc, exec, s[6:7]
	s_cbranch_vccz .LBB64_1762
; %bb.1723:
	s_cmp_gt_i32 s10, 22
	s_mov_b64 s[2:3], -1
	s_cbranch_scc0 .LBB64_1755
; %bb.1724:
	s_cmp_lt_i32 s10, 24
	s_cbranch_scc1 .LBB64_1744
; %bb.1725:
	s_cmp_gt_i32 s10, 24
	s_cbranch_scc0 .LBB64_1733
; %bb.1726:
	v_and_b32_e32 v4, 0x7fffffff, v0
	s_mov_b32 s2, 0x47800000
	v_cmp_gt_u32_e32 vcc, s2, v4
	v_mov_b32_e32 v5, 0x80
	s_and_saveexec_b64 s[2:3], vcc
	s_cbranch_execz .LBB64_1732
; %bb.1727:
	s_mov_b32 s4, 0x37ffffff
	v_cmp_lt_u32_e32 vcc, s4, v4
	s_mov_b64 s[4:5], 0
                                        ; implicit-def: $vgpr4
	s_and_saveexec_b64 s[6:7], vcc
	s_xor_b64 s[6:7], exec, s[6:7]
	s_cbranch_execnz .LBB64_2067
; %bb.1728:
	s_andn2_saveexec_b64 s[6:7], s[6:7]
	s_cbranch_execnz .LBB64_2068
.LBB64_1729:
	s_or_b64 exec, exec, s[6:7]
	v_mov_b32_e32 v5, 0
	s_and_saveexec_b64 s[6:7], s[4:5]
.LBB64_1730:
	v_lshrrev_b32_e32 v5, 24, v0
	s_movk_i32 s4, 0x80
	v_and_or_b32 v5, v5, s4, v4
.LBB64_1731:
	s_or_b64 exec, exec, s[6:7]
.LBB64_1732:
	s_or_b64 exec, exec, s[2:3]
	s_mov_b64 s[2:3], 0
	global_store_byte v[2:3], v5, off
.LBB64_1733:
	s_and_b64 vcc, exec, s[2:3]
	s_cbranch_vccz .LBB64_1743
; %bb.1734:
	v_and_b32_e32 v5, 0x7fffffff, v0
	s_mov_b32 s2, 0x43f00000
	v_cmp_gt_u32_e32 vcc, s2, v5
                                        ; implicit-def: $vgpr4
	s_and_saveexec_b64 s[2:3], vcc
	s_xor_b64 s[2:3], exec, s[2:3]
	s_cbranch_execz .LBB64_1740
; %bb.1735:
	s_mov_b32 s4, 0x3c7fffff
	v_cmp_lt_u32_e32 vcc, s4, v5
                                        ; implicit-def: $vgpr4
	s_and_saveexec_b64 s[4:5], vcc
	s_xor_b64 s[4:5], exec, s[4:5]
; %bb.1736:
	v_bfe_u32 v4, v0, 20, 1
	s_mov_b32 s6, 0x407ffff
	v_add3_u32 v4, v0, v4, s6
	v_lshrrev_b32_e32 v5, 20, v4
	v_and_b32_e32 v4, 0xff00000, v4
	s_mov_b32 s6, 0x7f00000
	v_mov_b32_e32 v6, 0x7e
	v_cmp_ne_u32_e32 vcc, s6, v4
	s_nop 1
	v_cndmask_b32_e32 v4, v6, v5, vcc
; %bb.1737:
	s_andn2_saveexec_b64 s[4:5], s[4:5]
; %bb.1738:
	s_mov_b32 s6, 0x46800000
	v_add_f32_e64 v4, |v0|, s6
; %bb.1739:
	s_or_b64 exec, exec, s[4:5]
                                        ; implicit-def: $vgpr5
.LBB64_1740:
	s_andn2_saveexec_b64 s[2:3], s[2:3]
; %bb.1741:
	s_mov_b32 s4, 0x7f800000
	v_mov_b32_e32 v4, 0x7e
	v_mov_b32_e32 v6, 0x7f
	v_cmp_lt_u32_e32 vcc, s4, v5
	s_nop 1
	v_cndmask_b32_e32 v4, v4, v6, vcc
; %bb.1742:
	s_or_b64 exec, exec, s[2:3]
	v_lshrrev_b32_e32 v5, 24, v0
	s_movk_i32 s2, 0x80
	v_and_or_b32 v4, v5, s2, v4
	global_store_byte v[2:3], v4, off
.LBB64_1743:
	s_mov_b64 s[2:3], 0
.LBB64_1744:
	s_andn2_b64 vcc, exec, s[2:3]
	s_cbranch_vccnz .LBB64_1754
; %bb.1745:
	v_and_b32_e32 v5, 0x7fffffff, v0
	s_mov_b32 s2, 0x47800000
	v_cmp_gt_u32_e32 vcc, s2, v5
                                        ; implicit-def: $vgpr4
	s_and_saveexec_b64 s[2:3], vcc
	s_xor_b64 s[2:3], exec, s[2:3]
	s_cbranch_execz .LBB64_1751
; %bb.1746:
	s_mov_b32 s4, 0x387fffff
	v_cmp_lt_u32_e32 vcc, s4, v5
                                        ; implicit-def: $vgpr4
	s_and_saveexec_b64 s[4:5], vcc
	s_xor_b64 s[4:5], exec, s[4:5]
; %bb.1747:
	v_bfe_u32 v4, v0, 21, 1
	s_mov_b32 s6, 0x80fffff
	v_add3_u32 v4, v0, v4, s6
	v_lshrrev_b32_e32 v4, 21, v4
; %bb.1748:
	s_andn2_saveexec_b64 s[4:5], s[4:5]
; %bb.1749:
	s_mov_b32 s6, 0x43000000
	v_add_f32_e64 v4, |v0|, s6
; %bb.1750:
	s_or_b64 exec, exec, s[4:5]
                                        ; implicit-def: $vgpr5
.LBB64_1751:
	s_andn2_saveexec_b64 s[2:3], s[2:3]
; %bb.1752:
	s_mov_b32 s4, 0x7f800000
	v_mov_b32_e32 v4, 0x7c
	v_mov_b32_e32 v6, 0x7f
	v_cmp_lt_u32_e32 vcc, s4, v5
	s_nop 1
	v_cndmask_b32_e32 v4, v4, v6, vcc
; %bb.1753:
	s_or_b64 exec, exec, s[2:3]
	v_lshrrev_b32_e32 v5, 24, v0
	s_movk_i32 s2, 0x80
	v_and_or_b32 v4, v5, s2, v4
	global_store_byte v[2:3], v4, off
.LBB64_1754:
	s_mov_b64 s[2:3], 0
	s_mov_b64 s[4:5], -1
.LBB64_1755:
	s_andn2_b64 vcc, exec, s[2:3]
	s_mov_b64 s[2:3], 0
	s_cbranch_vccnz .LBB64_1762
; %bb.1756:
	s_cmp_gt_i32 s10, 14
	s_mov_b64 s[6:7], -1
	s_cbranch_scc0 .LBB64_1760
; %bb.1757:
	s_cmp_eq_u32 s10, 15
	s_mov_b64 s[0:1], -1
	s_cbranch_scc0 .LBB64_1759
; %bb.1758:
	v_bfe_u32 v4, v0, 16, 1
	s_movk_i32 s0, 0x7fff
	v_add3_u32 v4, v0, v4, s0
	v_cmp_o_f32_e32 vcc, v0, v0
	v_mov_b32_e32 v5, 0x7fc0
	s_mov_b64 s[0:1], 0
	v_cndmask_b32_sdwa v4, v5, v4, vcc dst_sel:DWORD dst_unused:UNUSED_PAD src0_sel:DWORD src1_sel:WORD_1
	global_store_short v[2:3], v4, off
	s_mov_b64 s[4:5], -1
.LBB64_1759:
	s_mov_b64 s[6:7], 0
.LBB64_1760:
	s_and_b64 vcc, exec, s[6:7]
	s_cbranch_vccz .LBB64_1762
; %bb.1761:
	s_cmp_lg_u32 s10, 11
	s_mov_b64 s[2:3], -1
	s_cselect_b64 s[0:1], -1, 0
.LBB64_1762:
	s_and_b64 vcc, exec, s[0:1]
	s_cbranch_vccnz .LBB64_2059
; %bb.1763:
	s_andn2_b64 vcc, exec, s[2:3]
	s_cbranch_vccnz .LBB64_1765
.LBB64_1764:
	s_brev_b32 s0, -2
	v_bitop3_b32 v4, v0, s0, v1 bitop3:0xc8
	v_cmp_ne_u32_e32 vcc, 0, v4
	s_mov_b64 s[4:5], -1
	s_nop 0
	v_cndmask_b32_e64 v4, 0, 1, vcc
	global_store_byte v[2:3], v4, off
.LBB64_1765:
	s_mov_b64 s[0:1], 0
	s_branch .LBB64_1767
.LBB64_1766:
	s_mov_b64 s[0:1], -1
	s_mov_b64 s[4:5], 0
.LBB64_1767:
	s_and_b64 vcc, exec, s[0:1]
	s_cbranch_vccz .LBB64_1806
; %bb.1768:
	s_and_b32 s2, 0xffff, s36
	s_cmp_lt_i32 s2, 5
	s_mov_b64 s[0:1], -1
	s_cbranch_scc1 .LBB64_1789
; %bb.1769:
	s_cmp_lt_i32 s2, 8
	s_cbranch_scc1 .LBB64_1779
; %bb.1770:
	s_cmp_lt_i32 s2, 9
	s_cbranch_scc1 .LBB64_1776
; %bb.1771:
	s_cmp_gt_i32 s2, 9
	s_cbranch_scc0 .LBB64_1773
; %bb.1772:
	v_cvt_f64_f32_e32 v[4:5], v0
	v_cvt_f64_f32_e32 v[6:7], v1
	global_store_dwordx4 v[2:3], v[4:7], off
	s_mov_b64 s[0:1], 0
.LBB64_1773:
	s_andn2_b64 vcc, exec, s[0:1]
	s_cbranch_vccnz .LBB64_1775
; %bb.1774:
	global_store_dwordx2 v[2:3], v[0:1], off
.LBB64_1775:
	s_mov_b64 s[0:1], 0
.LBB64_1776:
	s_andn2_b64 vcc, exec, s[0:1]
	s_cbranch_vccnz .LBB64_1778
; %bb.1777:
	v_cvt_f16_f32_e32 v4, v0
	v_cvt_f16_f32_sdwa v1, v1 dst_sel:WORD_1 dst_unused:UNUSED_PAD src0_sel:DWORD
	s_nop 0
	v_or_b32_e32 v1, v1, v4
	global_store_dword v[2:3], v1, off
.LBB64_1778:
	s_mov_b64 s[0:1], 0
.LBB64_1779:
	s_andn2_b64 vcc, exec, s[0:1]
	s_cbranch_vccnz .LBB64_1788
; %bb.1780:
	s_cmp_lt_i32 s2, 6
	s_mov_b64 s[0:1], -1
	s_cbranch_scc1 .LBB64_1786
; %bb.1781:
	s_cmp_gt_i32 s2, 6
	s_cbranch_scc0 .LBB64_1783
; %bb.1782:
	v_cvt_f64_f32_e32 v[4:5], v0
	global_store_dwordx2 v[2:3], v[4:5], off
	s_mov_b64 s[0:1], 0
.LBB64_1783:
	s_andn2_b64 vcc, exec, s[0:1]
	s_cbranch_vccnz .LBB64_1785
; %bb.1784:
	global_store_dword v[2:3], v0, off
.LBB64_1785:
	s_mov_b64 s[0:1], 0
.LBB64_1786:
	s_andn2_b64 vcc, exec, s[0:1]
	s_cbranch_vccnz .LBB64_1788
; %bb.1787:
	v_cvt_f16_f32_e32 v1, v0
	global_store_short v[2:3], v1, off
.LBB64_1788:
	s_mov_b64 s[0:1], 0
.LBB64_1789:
	s_andn2_b64 vcc, exec, s[0:1]
	s_cbranch_vccnz .LBB64_1805
; %bb.1790:
	s_cmp_lt_i32 s2, 2
	s_mov_b64 s[0:1], -1
	s_cbranch_scc1 .LBB64_1800
; %bb.1791:
	s_cmp_lt_i32 s2, 3
	s_cbranch_scc1 .LBB64_1797
; %bb.1792:
	s_cmp_gt_i32 s2, 3
	s_cbranch_scc0 .LBB64_1794
; %bb.1793:
	v_trunc_f32_e32 v1, v0
	s_mov_b32 s0, 0x2f800000
	v_mul_f32_e64 v4, |v1|, s0
	v_floor_f32_e32 v4, v4
	s_mov_b32 s0, 0xcf800000
	v_cvt_u32_f32_e32 v5, v4
	v_fma_f32 v4, v4, s0, |v1|
	v_cvt_u32_f32_e32 v4, v4
	v_ashrrev_i32_e32 v1, 31, v1
	v_xor_b32_e32 v5, v5, v1
	s_mov_b64 s[0:1], 0
	v_xor_b32_e32 v4, v4, v1
	v_sub_co_u32_e32 v4, vcc, v4, v1
	s_nop 1
	v_subb_co_u32_e32 v5, vcc, v5, v1, vcc
	global_store_dwordx2 v[2:3], v[4:5], off
.LBB64_1794:
	s_andn2_b64 vcc, exec, s[0:1]
	s_cbranch_vccnz .LBB64_1796
; %bb.1795:
	v_cvt_i32_f32_e32 v1, v0
	global_store_dword v[2:3], v1, off
.LBB64_1796:
	s_mov_b64 s[0:1], 0
.LBB64_1797:
	s_andn2_b64 vcc, exec, s[0:1]
	s_cbranch_vccnz .LBB64_1799
; %bb.1798:
	v_cvt_i32_f32_e32 v1, v0
	global_store_short v[2:3], v1, off
.LBB64_1799:
	s_mov_b64 s[0:1], 0
.LBB64_1800:
	s_andn2_b64 vcc, exec, s[0:1]
	s_cbranch_vccnz .LBB64_1805
; %bb.1801:
	s_cmp_gt_i32 s2, 0
	s_mov_b64 s[0:1], -1
	s_cbranch_scc0 .LBB64_1803
; %bb.1802:
	v_cvt_i32_f32_e32 v1, v0
	s_mov_b64 s[0:1], 0
	global_store_byte v[2:3], v1, off
.LBB64_1803:
	s_andn2_b64 vcc, exec, s[0:1]
	s_cbranch_vccnz .LBB64_1805
; %bb.1804:
	v_trunc_f32_e32 v0, v0
	s_mov_b32 s0, 0x2f800000
	v_mul_f32_e64 v1, |v0|, s0
	v_floor_f32_e32 v1, v1
	s_mov_b32 s0, 0xcf800000
	v_fma_f32 v1, v1, s0, |v0|
	v_cvt_u32_f32_e32 v1, v1
	v_ashrrev_i32_e32 v0, 31, v0
	v_xor_b32_e32 v1, v1, v0
	v_sub_u32_e32 v0, v1, v0
	global_store_byte v[2:3], v0, off
.LBB64_1805:
	s_mov_b64 s[4:5], -1
.LBB64_1806:
	s_andn2_b64 vcc, exec, s[4:5]
	s_cbranch_vccnz .LBB64_2002
; %bb.1807:
	s_getpc_b64 s[0:1]
	s_add_u32 s0, s0, _ZN16c10_complex_math3expIfEEN3c107complexIT_EERKS4_@rel32@lo+4
	s_addc_u32 s1, s1, _ZN16c10_complex_math3expIfEEN3c107complexIT_EERKS4_@rel32@hi+12
	v_mov_b32_e32 v0, v24
	v_mov_b32_e32 v1, v25
	s_swappc_b64 s[30:31], s[0:1]
	v_add_u32_e32 v22, s18, v22
	v_ashrrev_i32_e32 v23, 31, v22
	s_cmp_lt_i32 s36, 11
	v_lshl_add_u64 v[2:3], s[20:21], 0, v[22:23]
	s_cbranch_scc1 .LBB64_1885
; %bb.1808:
	s_and_b32 s10, 0xffff, s36
	s_mov_b64 s[6:7], -1
	s_mov_b64 s[2:3], 0
	s_cmp_gt_i32 s10, 25
	s_mov_b64 s[4:5], 0
	s_mov_b64 s[0:1], 0
	s_cbranch_scc0 .LBB64_1841
; %bb.1809:
	s_cmp_gt_i32 s10, 28
	s_cbranch_scc0 .LBB64_1824
; %bb.1810:
	s_cmp_gt_i32 s10, 43
	s_cbranch_scc0 .LBB64_1820
; %bb.1811:
	s_cmp_gt_i32 s10, 45
	s_cbranch_scc0 .LBB64_1814
; %bb.1812:
	s_mov_b64 s[0:1], -1
	s_mov_b64 s[6:7], 0
	s_cmp_eq_u32 s10, 46
	s_cbranch_scc0 .LBB64_1814
; %bb.1813:
	s_movk_i32 s0, 0x7fff
	v_bfe_u32 v5, v1, 16, 1
	v_add3_u32 v5, v1, v5, s0
	v_bfe_u32 v4, v0, 16, 1
	v_and_b32_e32 v5, 0xffff0000, v5
	v_mov_b32_e32 v6, 0x7fc00000
	v_cmp_o_f32_e32 vcc, v1, v1
	v_add3_u32 v4, v0, v4, s0
	s_mov_b64 s[0:1], 0
	v_cndmask_b32_e32 v5, v6, v5, vcc
	v_cmp_o_f32_e32 vcc, v0, v0
	v_mov_b32_e32 v6, 0x7fc0
	s_mov_b64 s[4:5], -1
	v_cndmask_b32_sdwa v4, v6, v4, vcc dst_sel:DWORD dst_unused:UNUSED_PAD src0_sel:DWORD src1_sel:WORD_1
	v_or_b32_e32 v4, v5, v4
	global_store_dword v[2:3], v4, off
.LBB64_1814:
	s_and_b64 vcc, exec, s[6:7]
	s_cbranch_vccz .LBB64_1819
; %bb.1815:
	s_cmp_eq_u32 s10, 44
	s_mov_b64 s[0:1], -1
	s_cbranch_scc0 .LBB64_1819
; %bb.1816:
	v_bfe_u32 v4, v0, 23, 8
	s_movk_i32 s0, 0xff
	v_cmp_ne_u32_e32 vcc, s0, v4
	v_mov_b32_e32 v5, 0xff
	s_and_saveexec_b64 s[4:5], vcc
; %bb.1817:
	s_mov_b32 s0, 0x3fffff
	v_and_b32_e32 v6, 0x400000, v0
	v_and_or_b32 v4, v0, s0, v4
	v_cmp_ne_u32_e32 vcc, 0, v6
	v_cmp_ne_u32_e64 s[0:1], 0, v4
	s_and_b64 s[0:1], vcc, s[0:1]
	v_lshrrev_b32_e32 v5, 23, v0
	v_cndmask_b32_e64 v4, 0, 1, s[0:1]
	v_add_u32_e32 v5, v5, v4
; %bb.1818:
	s_or_b64 exec, exec, s[4:5]
	s_mov_b64 s[0:1], 0
	s_mov_b64 s[4:5], -1
	global_store_byte v[2:3], v5, off
.LBB64_1819:
	s_mov_b64 s[6:7], 0
.LBB64_1820:
	s_and_b64 vcc, exec, s[6:7]
	s_cbranch_vccz .LBB64_1823
; %bb.1821:
	s_cmp_eq_u32 s10, 29
	s_mov_b64 s[0:1], -1
	s_cbranch_scc0 .LBB64_1823
; %bb.1822:
	v_trunc_f32_e32 v4, v0
	v_mul_f32_e32 v5, 0x2f800000, v4
	v_floor_f32_e32 v6, v5
	v_fmamk_f32 v4, v6, 0xcf800000, v4
	v_cvt_u32_f32_e32 v5, v6
	v_cvt_u32_f32_e32 v4, v4
	s_mov_b64 s[0:1], 0
	s_mov_b64 s[4:5], -1
	global_store_dwordx2 v[2:3], v[4:5], off
.LBB64_1823:
	s_mov_b64 s[6:7], 0
.LBB64_1824:
	s_and_b64 vcc, exec, s[6:7]
	s_cbranch_vccz .LBB64_1840
; %bb.1825:
	s_cmp_lt_i32 s10, 27
	s_mov_b64 s[4:5], -1
	s_cbranch_scc1 .LBB64_1831
; %bb.1826:
	v_cvt_u32_f32_e32 v4, v0
	s_cmp_gt_i32 s10, 27
	s_cbranch_scc0 .LBB64_1828
; %bb.1827:
	s_mov_b64 s[4:5], 0
	global_store_dword v[2:3], v4, off
.LBB64_1828:
	s_andn2_b64 vcc, exec, s[4:5]
	s_cbranch_vccnz .LBB64_1830
; %bb.1829:
	global_store_short v[2:3], v4, off
.LBB64_1830:
	s_mov_b64 s[4:5], 0
.LBB64_1831:
	s_andn2_b64 vcc, exec, s[4:5]
	s_cbranch_vccnz .LBB64_1839
; %bb.1832:
	v_and_b32_e32 v4, 0x7fffffff, v0
	s_mov_b32 s4, 0x43800000
	v_cmp_gt_u32_e32 vcc, s4, v4
	v_mov_b32_e32 v5, 0x80
	s_and_saveexec_b64 s[4:5], vcc
	s_cbranch_execz .LBB64_1838
; %bb.1833:
	s_mov_b32 s6, 0x3bffffff
	v_cmp_lt_u32_e32 vcc, s6, v4
	s_mov_b64 s[6:7], 0
                                        ; implicit-def: $vgpr4
	s_and_saveexec_b64 s[8:9], vcc
	s_xor_b64 s[8:9], exec, s[8:9]
	s_cbranch_execnz .LBB64_2069
; %bb.1834:
	s_andn2_saveexec_b64 s[8:9], s[8:9]
	s_cbranch_execnz .LBB64_2070
.LBB64_1835:
	s_or_b64 exec, exec, s[8:9]
	v_mov_b32_e32 v5, 0
	s_and_saveexec_b64 s[8:9], s[6:7]
.LBB64_1836:
	v_lshrrev_b32_e32 v5, 24, v0
	s_movk_i32 s6, 0x80
	v_and_or_b32 v5, v5, s6, v4
.LBB64_1837:
	s_or_b64 exec, exec, s[8:9]
.LBB64_1838:
	s_or_b64 exec, exec, s[4:5]
	global_store_byte v[2:3], v5, off
.LBB64_1839:
	s_mov_b64 s[4:5], -1
.LBB64_1840:
	s_mov_b64 s[6:7], 0
.LBB64_1841:
	s_and_b64 vcc, exec, s[6:7]
	s_cbranch_vccz .LBB64_1881
; %bb.1842:
	s_cmp_gt_i32 s10, 22
	s_mov_b64 s[2:3], -1
	s_cbranch_scc0 .LBB64_1874
; %bb.1843:
	s_cmp_lt_i32 s10, 24
	s_cbranch_scc1 .LBB64_1863
; %bb.1844:
	s_cmp_gt_i32 s10, 24
	s_cbranch_scc0 .LBB64_1852
; %bb.1845:
	v_and_b32_e32 v4, 0x7fffffff, v0
	s_mov_b32 s2, 0x47800000
	v_cmp_gt_u32_e32 vcc, s2, v4
	v_mov_b32_e32 v5, 0x80
	s_and_saveexec_b64 s[2:3], vcc
	s_cbranch_execz .LBB64_1851
; %bb.1846:
	s_mov_b32 s4, 0x37ffffff
	v_cmp_lt_u32_e32 vcc, s4, v4
	s_mov_b64 s[4:5], 0
                                        ; implicit-def: $vgpr4
	s_and_saveexec_b64 s[6:7], vcc
	s_xor_b64 s[6:7], exec, s[6:7]
	s_cbranch_execnz .LBB64_2072
; %bb.1847:
	s_andn2_saveexec_b64 s[6:7], s[6:7]
	s_cbranch_execnz .LBB64_2073
.LBB64_1848:
	s_or_b64 exec, exec, s[6:7]
	v_mov_b32_e32 v5, 0
	s_and_saveexec_b64 s[6:7], s[4:5]
.LBB64_1849:
	v_lshrrev_b32_e32 v5, 24, v0
	s_movk_i32 s4, 0x80
	v_and_or_b32 v5, v5, s4, v4
.LBB64_1850:
	s_or_b64 exec, exec, s[6:7]
.LBB64_1851:
	s_or_b64 exec, exec, s[2:3]
	s_mov_b64 s[2:3], 0
	global_store_byte v[2:3], v5, off
.LBB64_1852:
	s_and_b64 vcc, exec, s[2:3]
	s_cbranch_vccz .LBB64_1862
; %bb.1853:
	v_and_b32_e32 v5, 0x7fffffff, v0
	s_mov_b32 s2, 0x43f00000
	v_cmp_gt_u32_e32 vcc, s2, v5
                                        ; implicit-def: $vgpr4
	s_and_saveexec_b64 s[2:3], vcc
	s_xor_b64 s[2:3], exec, s[2:3]
	s_cbranch_execz .LBB64_1859
; %bb.1854:
	s_mov_b32 s4, 0x3c7fffff
	v_cmp_lt_u32_e32 vcc, s4, v5
                                        ; implicit-def: $vgpr4
	s_and_saveexec_b64 s[4:5], vcc
	s_xor_b64 s[4:5], exec, s[4:5]
; %bb.1855:
	v_bfe_u32 v4, v0, 20, 1
	s_mov_b32 s6, 0x407ffff
	v_add3_u32 v4, v0, v4, s6
	v_lshrrev_b32_e32 v5, 20, v4
	v_and_b32_e32 v4, 0xff00000, v4
	s_mov_b32 s6, 0x7f00000
	v_mov_b32_e32 v6, 0x7e
	v_cmp_ne_u32_e32 vcc, s6, v4
	s_nop 1
	v_cndmask_b32_e32 v4, v6, v5, vcc
; %bb.1856:
	s_andn2_saveexec_b64 s[4:5], s[4:5]
; %bb.1857:
	s_mov_b32 s6, 0x46800000
	v_add_f32_e64 v4, |v0|, s6
; %bb.1858:
	s_or_b64 exec, exec, s[4:5]
                                        ; implicit-def: $vgpr5
.LBB64_1859:
	s_andn2_saveexec_b64 s[2:3], s[2:3]
; %bb.1860:
	s_mov_b32 s4, 0x7f800000
	v_mov_b32_e32 v4, 0x7e
	v_mov_b32_e32 v6, 0x7f
	v_cmp_lt_u32_e32 vcc, s4, v5
	s_nop 1
	v_cndmask_b32_e32 v4, v4, v6, vcc
; %bb.1861:
	s_or_b64 exec, exec, s[2:3]
	v_lshrrev_b32_e32 v5, 24, v0
	s_movk_i32 s2, 0x80
	v_and_or_b32 v4, v5, s2, v4
	global_store_byte v[2:3], v4, off
.LBB64_1862:
	s_mov_b64 s[2:3], 0
.LBB64_1863:
	s_andn2_b64 vcc, exec, s[2:3]
	s_cbranch_vccnz .LBB64_1873
; %bb.1864:
	v_and_b32_e32 v5, 0x7fffffff, v0
	s_mov_b32 s2, 0x47800000
	v_cmp_gt_u32_e32 vcc, s2, v5
                                        ; implicit-def: $vgpr4
	s_and_saveexec_b64 s[2:3], vcc
	s_xor_b64 s[2:3], exec, s[2:3]
	s_cbranch_execz .LBB64_1870
; %bb.1865:
	s_mov_b32 s4, 0x387fffff
	v_cmp_lt_u32_e32 vcc, s4, v5
                                        ; implicit-def: $vgpr4
	s_and_saveexec_b64 s[4:5], vcc
	s_xor_b64 s[4:5], exec, s[4:5]
; %bb.1866:
	v_bfe_u32 v4, v0, 21, 1
	s_mov_b32 s6, 0x80fffff
	v_add3_u32 v4, v0, v4, s6
	v_lshrrev_b32_e32 v4, 21, v4
; %bb.1867:
	s_andn2_saveexec_b64 s[4:5], s[4:5]
; %bb.1868:
	s_mov_b32 s6, 0x43000000
	v_add_f32_e64 v4, |v0|, s6
; %bb.1869:
	s_or_b64 exec, exec, s[4:5]
                                        ; implicit-def: $vgpr5
.LBB64_1870:
	s_andn2_saveexec_b64 s[2:3], s[2:3]
; %bb.1871:
	s_mov_b32 s4, 0x7f800000
	v_mov_b32_e32 v4, 0x7c
	v_mov_b32_e32 v6, 0x7f
	v_cmp_lt_u32_e32 vcc, s4, v5
	s_nop 1
	v_cndmask_b32_e32 v4, v4, v6, vcc
; %bb.1872:
	s_or_b64 exec, exec, s[2:3]
	v_lshrrev_b32_e32 v5, 24, v0
	s_movk_i32 s2, 0x80
	v_and_or_b32 v4, v5, s2, v4
	global_store_byte v[2:3], v4, off
.LBB64_1873:
	s_mov_b64 s[2:3], 0
	s_mov_b64 s[4:5], -1
.LBB64_1874:
	s_andn2_b64 vcc, exec, s[2:3]
	s_mov_b64 s[2:3], 0
	s_cbranch_vccnz .LBB64_1881
; %bb.1875:
	s_cmp_gt_i32 s10, 14
	s_mov_b64 s[6:7], -1
	s_cbranch_scc0 .LBB64_1879
; %bb.1876:
	s_cmp_eq_u32 s10, 15
	s_mov_b64 s[0:1], -1
	s_cbranch_scc0 .LBB64_1878
; %bb.1877:
	v_bfe_u32 v4, v0, 16, 1
	s_movk_i32 s0, 0x7fff
	v_add3_u32 v4, v0, v4, s0
	v_cmp_o_f32_e32 vcc, v0, v0
	v_mov_b32_e32 v5, 0x7fc0
	s_mov_b64 s[0:1], 0
	v_cndmask_b32_sdwa v4, v5, v4, vcc dst_sel:DWORD dst_unused:UNUSED_PAD src0_sel:DWORD src1_sel:WORD_1
	global_store_short v[2:3], v4, off
	s_mov_b64 s[4:5], -1
.LBB64_1878:
	s_mov_b64 s[6:7], 0
.LBB64_1879:
	s_and_b64 vcc, exec, s[6:7]
	s_cbranch_vccz .LBB64_1881
; %bb.1880:
	s_cmp_lg_u32 s10, 11
	s_mov_b64 s[2:3], -1
	s_cselect_b64 s[0:1], -1, 0
.LBB64_1881:
	s_and_b64 vcc, exec, s[0:1]
	s_cbranch_vccnz .LBB64_2066
; %bb.1882:
	s_andn2_b64 vcc, exec, s[2:3]
	s_cbranch_vccnz .LBB64_1884
.LBB64_1883:
	s_brev_b32 s0, -2
	v_bitop3_b32 v4, v0, s0, v1 bitop3:0xc8
	v_cmp_ne_u32_e32 vcc, 0, v4
	s_mov_b64 s[4:5], -1
	s_nop 0
	v_cndmask_b32_e64 v4, 0, 1, vcc
	global_store_byte v[2:3], v4, off
.LBB64_1884:
	s_mov_b64 s[0:1], 0
	s_branch .LBB64_1886
.LBB64_1885:
	s_mov_b64 s[0:1], -1
	s_mov_b64 s[4:5], 0
.LBB64_1886:
	s_and_b64 vcc, exec, s[0:1]
	s_cbranch_vccz .LBB64_1925
; %bb.1887:
	s_and_b32 s2, 0xffff, s36
	s_cmp_lt_i32 s2, 5
	s_mov_b64 s[0:1], -1
	s_cbranch_scc1 .LBB64_1908
; %bb.1888:
	s_cmp_lt_i32 s2, 8
	s_cbranch_scc1 .LBB64_1898
; %bb.1889:
	s_cmp_lt_i32 s2, 9
	s_cbranch_scc1 .LBB64_1895
; %bb.1890:
	s_cmp_gt_i32 s2, 9
	s_cbranch_scc0 .LBB64_1892
; %bb.1891:
	v_cvt_f64_f32_e32 v[4:5], v0
	v_cvt_f64_f32_e32 v[6:7], v1
	global_store_dwordx4 v[2:3], v[4:7], off
	s_mov_b64 s[0:1], 0
.LBB64_1892:
	s_andn2_b64 vcc, exec, s[0:1]
	s_cbranch_vccnz .LBB64_1894
; %bb.1893:
	global_store_dwordx2 v[2:3], v[0:1], off
.LBB64_1894:
	s_mov_b64 s[0:1], 0
.LBB64_1895:
	s_andn2_b64 vcc, exec, s[0:1]
	s_cbranch_vccnz .LBB64_1897
; %bb.1896:
	v_cvt_f16_f32_e32 v4, v0
	v_cvt_f16_f32_sdwa v1, v1 dst_sel:WORD_1 dst_unused:UNUSED_PAD src0_sel:DWORD
	s_nop 0
	v_or_b32_e32 v1, v1, v4
	global_store_dword v[2:3], v1, off
.LBB64_1897:
	s_mov_b64 s[0:1], 0
.LBB64_1898:
	s_andn2_b64 vcc, exec, s[0:1]
	s_cbranch_vccnz .LBB64_1907
; %bb.1899:
	s_cmp_lt_i32 s2, 6
	s_mov_b64 s[0:1], -1
	s_cbranch_scc1 .LBB64_1905
; %bb.1900:
	s_cmp_gt_i32 s2, 6
	s_cbranch_scc0 .LBB64_1902
; %bb.1901:
	v_cvt_f64_f32_e32 v[4:5], v0
	global_store_dwordx2 v[2:3], v[4:5], off
	s_mov_b64 s[0:1], 0
.LBB64_1902:
	s_andn2_b64 vcc, exec, s[0:1]
	s_cbranch_vccnz .LBB64_1904
; %bb.1903:
	global_store_dword v[2:3], v0, off
.LBB64_1904:
	s_mov_b64 s[0:1], 0
.LBB64_1905:
	s_andn2_b64 vcc, exec, s[0:1]
	s_cbranch_vccnz .LBB64_1907
; %bb.1906:
	v_cvt_f16_f32_e32 v1, v0
	global_store_short v[2:3], v1, off
.LBB64_1907:
	s_mov_b64 s[0:1], 0
.LBB64_1908:
	s_andn2_b64 vcc, exec, s[0:1]
	s_cbranch_vccnz .LBB64_1924
; %bb.1909:
	s_cmp_lt_i32 s2, 2
	s_mov_b64 s[0:1], -1
	s_cbranch_scc1 .LBB64_1919
; %bb.1910:
	s_cmp_lt_i32 s2, 3
	s_cbranch_scc1 .LBB64_1916
; %bb.1911:
	s_cmp_gt_i32 s2, 3
	s_cbranch_scc0 .LBB64_1913
; %bb.1912:
	v_trunc_f32_e32 v1, v0
	s_mov_b32 s0, 0x2f800000
	v_mul_f32_e64 v4, |v1|, s0
	v_floor_f32_e32 v4, v4
	s_mov_b32 s0, 0xcf800000
	v_cvt_u32_f32_e32 v5, v4
	v_fma_f32 v4, v4, s0, |v1|
	v_cvt_u32_f32_e32 v4, v4
	v_ashrrev_i32_e32 v1, 31, v1
	v_xor_b32_e32 v5, v5, v1
	s_mov_b64 s[0:1], 0
	v_xor_b32_e32 v4, v4, v1
	v_sub_co_u32_e32 v4, vcc, v4, v1
	s_nop 1
	v_subb_co_u32_e32 v5, vcc, v5, v1, vcc
	global_store_dwordx2 v[2:3], v[4:5], off
.LBB64_1913:
	s_andn2_b64 vcc, exec, s[0:1]
	s_cbranch_vccnz .LBB64_1915
; %bb.1914:
	v_cvt_i32_f32_e32 v1, v0
	global_store_dword v[2:3], v1, off
.LBB64_1915:
	s_mov_b64 s[0:1], 0
.LBB64_1916:
	s_andn2_b64 vcc, exec, s[0:1]
	s_cbranch_vccnz .LBB64_1918
; %bb.1917:
	v_cvt_i32_f32_e32 v1, v0
	global_store_short v[2:3], v1, off
.LBB64_1918:
	s_mov_b64 s[0:1], 0
.LBB64_1919:
	s_andn2_b64 vcc, exec, s[0:1]
	s_cbranch_vccnz .LBB64_1924
; %bb.1920:
	s_cmp_gt_i32 s2, 0
	s_mov_b64 s[0:1], -1
	s_cbranch_scc0 .LBB64_1922
; %bb.1921:
	v_cvt_i32_f32_e32 v1, v0
	s_mov_b64 s[0:1], 0
	global_store_byte v[2:3], v1, off
.LBB64_1922:
	s_andn2_b64 vcc, exec, s[0:1]
	s_cbranch_vccnz .LBB64_1924
; %bb.1923:
	v_trunc_f32_e32 v0, v0
	s_mov_b32 s0, 0x2f800000
	v_mul_f32_e64 v1, |v0|, s0
	v_floor_f32_e32 v1, v1
	s_mov_b32 s0, 0xcf800000
	v_fma_f32 v1, v1, s0, |v0|
	v_cvt_u32_f32_e32 v1, v1
	v_ashrrev_i32_e32 v0, 31, v0
	v_xor_b32_e32 v1, v1, v0
	v_sub_u32_e32 v0, v1, v0
	global_store_byte v[2:3], v0, off
.LBB64_1924:
	s_mov_b64 s[4:5], -1
.LBB64_1925:
	s_andn2_b64 vcc, exec, s[4:5]
	s_cbranch_vccnz .LBB64_2002
; %bb.1926:
	s_getpc_b64 s[0:1]
	s_add_u32 s0, s0, _ZN16c10_complex_math3expIfEEN3c107complexIT_EERKS4_@rel32@lo+4
	s_addc_u32 s1, s1, _ZN16c10_complex_math3expIfEEN3c107complexIT_EERKS4_@rel32@hi+12
	v_mov_b32_e32 v0, v26
	v_mov_b32_e32 v1, v27
	s_swappc_b64 s[30:31], s[0:1]
	v_add_u32_e32 v2, s18, v22
	v_ashrrev_i32_e32 v3, 31, v2
	s_cmp_lt_i32 s36, 11
	v_lshl_add_u64 v[2:3], s[20:21], 0, v[2:3]
	s_cbranch_scc1 .LBB64_2047
; %bb.1927:
	s_and_b32 s10, 0xffff, s36
	s_mov_b64 s[4:5], -1
	s_mov_b64 s[2:3], 0
	s_cmp_gt_i32 s10, 25
	s_mov_b64 s[0:1], 0
	s_cbranch_scc0 .LBB64_1960
; %bb.1928:
	s_cmp_gt_i32 s10, 28
	s_cbranch_scc0 .LBB64_1944
; %bb.1929:
	s_cmp_gt_i32 s10, 43
	;; [unrolled: 3-line block ×3, first 2 shown]
	s_cbranch_scc0 .LBB64_1934
; %bb.1931:
	s_cmp_eq_u32 s10, 46
	s_mov_b64 s[0:1], -1
	s_cbranch_scc0 .LBB64_1933
; %bb.1932:
	s_movk_i32 s0, 0x7fff
	v_bfe_u32 v5, v1, 16, 1
	v_add3_u32 v5, v1, v5, s0
	v_bfe_u32 v4, v0, 16, 1
	v_and_b32_e32 v5, 0xffff0000, v5
	v_mov_b32_e32 v6, 0x7fc00000
	v_cmp_o_f32_e32 vcc, v1, v1
	v_add3_u32 v4, v0, v4, s0
	s_mov_b64 s[0:1], 0
	v_cndmask_b32_e32 v5, v6, v5, vcc
	v_cmp_o_f32_e32 vcc, v0, v0
	v_mov_b32_e32 v6, 0x7fc0
	s_nop 0
	v_cndmask_b32_sdwa v4, v6, v4, vcc dst_sel:DWORD dst_unused:UNUSED_PAD src0_sel:DWORD src1_sel:WORD_1
	v_or_b32_e32 v4, v5, v4
	global_store_dword v[2:3], v4, off
.LBB64_1933:
	s_mov_b64 s[4:5], 0
.LBB64_1934:
	s_and_b64 vcc, exec, s[4:5]
	s_cbranch_vccz .LBB64_1939
; %bb.1935:
	s_cmp_eq_u32 s10, 44
	s_mov_b64 s[0:1], -1
	s_cbranch_scc0 .LBB64_1939
; %bb.1936:
	v_bfe_u32 v4, v0, 23, 8
	s_movk_i32 s0, 0xff
	v_cmp_ne_u32_e32 vcc, s0, v4
	v_mov_b32_e32 v5, 0xff
	s_and_saveexec_b64 s[4:5], vcc
; %bb.1937:
	s_mov_b32 s0, 0x3fffff
	v_and_b32_e32 v6, 0x400000, v0
	v_and_or_b32 v4, v0, s0, v4
	v_cmp_ne_u32_e32 vcc, 0, v6
	v_cmp_ne_u32_e64 s[0:1], 0, v4
	s_and_b64 s[0:1], vcc, s[0:1]
	v_lshrrev_b32_e32 v5, 23, v0
	v_cndmask_b32_e64 v4, 0, 1, s[0:1]
	v_add_u32_e32 v5, v5, v4
; %bb.1938:
	s_or_b64 exec, exec, s[4:5]
	s_mov_b64 s[0:1], 0
	global_store_byte v[2:3], v5, off
.LBB64_1939:
	s_mov_b64 s[4:5], 0
.LBB64_1940:
	s_and_b64 vcc, exec, s[4:5]
	s_cbranch_vccz .LBB64_1943
; %bb.1941:
	s_cmp_eq_u32 s10, 29
	s_mov_b64 s[0:1], -1
	s_cbranch_scc0 .LBB64_1943
; %bb.1942:
	v_trunc_f32_e32 v4, v0
	v_mul_f32_e32 v5, 0x2f800000, v4
	v_floor_f32_e32 v6, v5
	v_fmamk_f32 v4, v6, 0xcf800000, v4
	v_cvt_u32_f32_e32 v5, v6
	v_cvt_u32_f32_e32 v4, v4
	s_mov_b64 s[0:1], 0
	global_store_dwordx2 v[2:3], v[4:5], off
.LBB64_1943:
	s_mov_b64 s[4:5], 0
.LBB64_1944:
	s_and_b64 vcc, exec, s[4:5]
	s_cbranch_vccz .LBB64_1959
; %bb.1945:
	s_cmp_lt_i32 s10, 27
	s_mov_b64 s[4:5], -1
	s_cbranch_scc1 .LBB64_1951
; %bb.1946:
	v_cvt_u32_f32_e32 v4, v0
	s_cmp_gt_i32 s10, 27
	s_cbranch_scc0 .LBB64_1948
; %bb.1947:
	global_store_dword v[2:3], v4, off
	s_mov_b64 s[4:5], 0
.LBB64_1948:
	s_andn2_b64 vcc, exec, s[4:5]
	s_cbranch_vccnz .LBB64_1950
; %bb.1949:
	global_store_short v[2:3], v4, off
.LBB64_1950:
	s_mov_b64 s[4:5], 0
.LBB64_1951:
	s_andn2_b64 vcc, exec, s[4:5]
	s_cbranch_vccnz .LBB64_1959
; %bb.1952:
	v_and_b32_e32 v4, 0x7fffffff, v0
	s_mov_b32 s4, 0x43800000
	v_cmp_gt_u32_e32 vcc, s4, v4
	v_mov_b32_e32 v5, 0x80
	s_and_saveexec_b64 s[4:5], vcc
	s_cbranch_execz .LBB64_1958
; %bb.1953:
	s_mov_b32 s6, 0x3bffffff
	v_cmp_lt_u32_e32 vcc, s6, v4
	s_mov_b64 s[6:7], 0
                                        ; implicit-def: $vgpr4
	s_and_saveexec_b64 s[8:9], vcc
	s_xor_b64 s[8:9], exec, s[8:9]
	s_cbranch_execnz .LBB64_2074
; %bb.1954:
	s_andn2_saveexec_b64 s[8:9], s[8:9]
	s_cbranch_execnz .LBB64_2075
.LBB64_1955:
	s_or_b64 exec, exec, s[8:9]
	v_mov_b32_e32 v5, 0
	s_and_saveexec_b64 s[8:9], s[6:7]
.LBB64_1956:
	v_lshrrev_b32_e32 v5, 24, v0
	s_movk_i32 s6, 0x80
	v_and_or_b32 v5, v5, s6, v4
.LBB64_1957:
	s_or_b64 exec, exec, s[8:9]
.LBB64_1958:
	s_or_b64 exec, exec, s[4:5]
	global_store_byte v[2:3], v5, off
.LBB64_1959:
	s_mov_b64 s[4:5], 0
.LBB64_1960:
	s_and_b64 vcc, exec, s[4:5]
	s_cbranch_vccz .LBB64_2000
; %bb.1961:
	s_cmp_gt_i32 s10, 22
	s_mov_b64 s[2:3], -1
	s_cbranch_scc0 .LBB64_1993
; %bb.1962:
	s_cmp_lt_i32 s10, 24
	s_cbranch_scc1 .LBB64_1982
; %bb.1963:
	s_cmp_gt_i32 s10, 24
	s_cbranch_scc0 .LBB64_1971
; %bb.1964:
	v_and_b32_e32 v4, 0x7fffffff, v0
	s_mov_b32 s2, 0x47800000
	v_cmp_gt_u32_e32 vcc, s2, v4
	v_mov_b32_e32 v5, 0x80
	s_and_saveexec_b64 s[2:3], vcc
	s_cbranch_execz .LBB64_1970
; %bb.1965:
	s_mov_b32 s4, 0x37ffffff
	v_cmp_lt_u32_e32 vcc, s4, v4
	s_mov_b64 s[4:5], 0
                                        ; implicit-def: $vgpr4
	s_and_saveexec_b64 s[6:7], vcc
	s_xor_b64 s[6:7], exec, s[6:7]
	s_cbranch_execnz .LBB64_2076
; %bb.1966:
	s_andn2_saveexec_b64 s[6:7], s[6:7]
	s_cbranch_execnz .LBB64_2077
.LBB64_1967:
	s_or_b64 exec, exec, s[6:7]
	v_mov_b32_e32 v5, 0
	s_and_saveexec_b64 s[6:7], s[4:5]
.LBB64_1968:
	v_lshrrev_b32_e32 v5, 24, v0
	s_movk_i32 s4, 0x80
	v_and_or_b32 v5, v5, s4, v4
.LBB64_1969:
	s_or_b64 exec, exec, s[6:7]
.LBB64_1970:
	s_or_b64 exec, exec, s[2:3]
	s_mov_b64 s[2:3], 0
	global_store_byte v[2:3], v5, off
.LBB64_1971:
	s_and_b64 vcc, exec, s[2:3]
	s_cbranch_vccz .LBB64_1981
; %bb.1972:
	v_and_b32_e32 v5, 0x7fffffff, v0
	s_mov_b32 s2, 0x43f00000
	v_cmp_gt_u32_e32 vcc, s2, v5
                                        ; implicit-def: $vgpr4
	s_and_saveexec_b64 s[2:3], vcc
	s_xor_b64 s[2:3], exec, s[2:3]
	s_cbranch_execz .LBB64_1978
; %bb.1973:
	s_mov_b32 s4, 0x3c7fffff
	v_cmp_lt_u32_e32 vcc, s4, v5
                                        ; implicit-def: $vgpr4
	s_and_saveexec_b64 s[4:5], vcc
	s_xor_b64 s[4:5], exec, s[4:5]
; %bb.1974:
	v_bfe_u32 v4, v0, 20, 1
	s_mov_b32 s6, 0x407ffff
	v_add3_u32 v4, v0, v4, s6
	v_lshrrev_b32_e32 v5, 20, v4
	v_and_b32_e32 v4, 0xff00000, v4
	s_mov_b32 s6, 0x7f00000
	v_mov_b32_e32 v6, 0x7e
	v_cmp_ne_u32_e32 vcc, s6, v4
	s_nop 1
	v_cndmask_b32_e32 v4, v6, v5, vcc
; %bb.1975:
	s_andn2_saveexec_b64 s[4:5], s[4:5]
; %bb.1976:
	s_mov_b32 s6, 0x46800000
	v_add_f32_e64 v4, |v0|, s6
; %bb.1977:
	s_or_b64 exec, exec, s[4:5]
                                        ; implicit-def: $vgpr5
.LBB64_1978:
	s_andn2_saveexec_b64 s[2:3], s[2:3]
; %bb.1979:
	s_mov_b32 s4, 0x7f800000
	v_mov_b32_e32 v4, 0x7e
	v_mov_b32_e32 v6, 0x7f
	v_cmp_lt_u32_e32 vcc, s4, v5
	s_nop 1
	v_cndmask_b32_e32 v4, v4, v6, vcc
; %bb.1980:
	s_or_b64 exec, exec, s[2:3]
	v_lshrrev_b32_e32 v5, 24, v0
	s_movk_i32 s2, 0x80
	v_and_or_b32 v4, v5, s2, v4
	global_store_byte v[2:3], v4, off
.LBB64_1981:
	s_mov_b64 s[2:3], 0
.LBB64_1982:
	s_andn2_b64 vcc, exec, s[2:3]
	s_cbranch_vccnz .LBB64_1992
; %bb.1983:
	v_and_b32_e32 v5, 0x7fffffff, v0
	s_mov_b32 s2, 0x47800000
	v_cmp_gt_u32_e32 vcc, s2, v5
                                        ; implicit-def: $vgpr4
	s_and_saveexec_b64 s[2:3], vcc
	s_xor_b64 s[2:3], exec, s[2:3]
	s_cbranch_execz .LBB64_1989
; %bb.1984:
	s_mov_b32 s4, 0x387fffff
	v_cmp_lt_u32_e32 vcc, s4, v5
                                        ; implicit-def: $vgpr4
	s_and_saveexec_b64 s[4:5], vcc
	s_xor_b64 s[4:5], exec, s[4:5]
; %bb.1985:
	v_bfe_u32 v4, v0, 21, 1
	s_mov_b32 s6, 0x80fffff
	v_add3_u32 v4, v0, v4, s6
	v_lshrrev_b32_e32 v4, 21, v4
; %bb.1986:
	s_andn2_saveexec_b64 s[4:5], s[4:5]
; %bb.1987:
	s_mov_b32 s6, 0x43000000
	v_add_f32_e64 v4, |v0|, s6
; %bb.1988:
	s_or_b64 exec, exec, s[4:5]
                                        ; implicit-def: $vgpr5
.LBB64_1989:
	s_andn2_saveexec_b64 s[2:3], s[2:3]
; %bb.1990:
	s_mov_b32 s4, 0x7f800000
	v_mov_b32_e32 v4, 0x7c
	v_mov_b32_e32 v6, 0x7f
	v_cmp_lt_u32_e32 vcc, s4, v5
	s_nop 1
	v_cndmask_b32_e32 v4, v4, v6, vcc
; %bb.1991:
	s_or_b64 exec, exec, s[2:3]
	v_lshrrev_b32_e32 v5, 24, v0
	s_movk_i32 s2, 0x80
	v_and_or_b32 v4, v5, s2, v4
	global_store_byte v[2:3], v4, off
.LBB64_1992:
	s_mov_b64 s[2:3], 0
.LBB64_1993:
	s_andn2_b64 vcc, exec, s[2:3]
	s_mov_b64 s[2:3], 0
	s_cbranch_vccnz .LBB64_2000
; %bb.1994:
	s_cmp_gt_i32 s10, 14
	s_mov_b64 s[4:5], -1
	s_cbranch_scc0 .LBB64_1998
; %bb.1995:
	s_cmp_eq_u32 s10, 15
	s_mov_b64 s[0:1], -1
	s_cbranch_scc0 .LBB64_1997
; %bb.1996:
	v_bfe_u32 v4, v0, 16, 1
	s_movk_i32 s0, 0x7fff
	v_add3_u32 v4, v0, v4, s0
	v_cmp_o_f32_e32 vcc, v0, v0
	v_mov_b32_e32 v5, 0x7fc0
	s_mov_b64 s[0:1], 0
	v_cndmask_b32_sdwa v4, v5, v4, vcc dst_sel:DWORD dst_unused:UNUSED_PAD src0_sel:DWORD src1_sel:WORD_1
	global_store_short v[2:3], v4, off
.LBB64_1997:
	s_mov_b64 s[4:5], 0
.LBB64_1998:
	s_and_b64 vcc, exec, s[4:5]
	s_cbranch_vccz .LBB64_2000
; %bb.1999:
	s_cmp_lg_u32 s10, 11
	s_mov_b64 s[2:3], -1
	s_cselect_b64 s[0:1], -1, 0
.LBB64_2000:
	s_and_b64 vcc, exec, s[0:1]
	s_cbranch_vccnz .LBB64_2071
.LBB64_2001:
	s_mov_b64 s[0:1], 0
	s_branch .LBB64_2003
.LBB64_2002:
	s_mov_b64 s[0:1], 0
	s_mov_b64 s[2:3], 0
                                        ; implicit-def: $sgpr36
                                        ; implicit-def: $vgpr2_vgpr3
                                        ; implicit-def: $vgpr0
.LBB64_2003:
	s_and_b64 s[24:25], s[2:3], exec
	s_andn2_b64 s[2:3], s[28:29], exec
	s_and_b64 s[4:5], s[34:35], exec
	s_and_b64 s[0:1], s[0:1], exec
	s_or_b64 s[28:29], s[2:3], s[4:5]
.LBB64_2004:
	s_or_b64 exec, exec, s[26:27]
	s_and_saveexec_b64 s[2:3], s[28:29]
	s_cbranch_execnz .LBB64_2008
; %bb.2005:
	s_or_b64 exec, exec, s[2:3]
	s_and_saveexec_b64 s[2:3], s[24:25]
	s_xor_b64 s[2:3], exec, s[2:3]
	s_cbranch_execnz .LBB64_2009
.LBB64_2006:
	s_or_b64 exec, exec, s[2:3]
	s_and_saveexec_b64 s[2:3], s[0:1]
	s_cbranch_execnz .LBB64_2010
.LBB64_2007:
	s_endpgm
.LBB64_2008:
	; divergent unreachable
	s_or_b64 exec, exec, s[2:3]
	s_and_saveexec_b64 s[2:3], s[24:25]
	s_xor_b64 s[2:3], exec, s[2:3]
	s_cbranch_execz .LBB64_2006
.LBB64_2009:
	s_brev_b32 s4, -2
	s_waitcnt vmcnt(0)
	v_bitop3_b32 v4, v0, s4, v1 bitop3:0xc8
	v_cmp_ne_u32_e32 vcc, 0, v4
	s_nop 1
	v_cndmask_b32_e64 v4, 0, 1, vcc
	global_store_byte v[2:3], v4, off
	s_or_b64 exec, exec, s[2:3]
	s_and_saveexec_b64 s[2:3], s[0:1]
	s_cbranch_execz .LBB64_2007
.LBB64_2010:
	s_sext_i32_i16 s2, s36
	s_cmp_lt_i32 s2, 5
	s_mov_b64 s[0:1], -1
	s_cbranch_scc1 .LBB64_2031
; %bb.2011:
	s_cmp_lt_i32 s2, 8
	s_cbranch_scc1 .LBB64_2021
; %bb.2012:
	s_cmp_lt_i32 s2, 9
	s_cbranch_scc1 .LBB64_2018
; %bb.2013:
	s_cmp_gt_i32 s2, 9
	s_cbranch_scc0 .LBB64_2015
; %bb.2014:
	s_waitcnt vmcnt(0)
	v_cvt_f64_f32_e32 v[4:5], v0
	v_cvt_f64_f32_e32 v[6:7], v1
	global_store_dwordx4 v[2:3], v[4:7], off
	s_mov_b64 s[0:1], 0
.LBB64_2015:
	s_andn2_b64 vcc, exec, s[0:1]
	s_cbranch_vccnz .LBB64_2017
; %bb.2016:
	s_waitcnt vmcnt(0)
	global_store_dwordx2 v[2:3], v[0:1], off
.LBB64_2017:
	s_mov_b64 s[0:1], 0
.LBB64_2018:
	s_andn2_b64 vcc, exec, s[0:1]
	s_cbranch_vccnz .LBB64_2020
; %bb.2019:
	s_waitcnt vmcnt(0)
	v_cvt_f16_f32_e32 v4, v0
	v_cvt_f16_f32_sdwa v1, v1 dst_sel:WORD_1 dst_unused:UNUSED_PAD src0_sel:DWORD
	s_nop 0
	v_or_b32_e32 v1, v1, v4
	global_store_dword v[2:3], v1, off
.LBB64_2020:
	s_mov_b64 s[0:1], 0
.LBB64_2021:
	s_andn2_b64 vcc, exec, s[0:1]
	s_cbranch_vccnz .LBB64_2030
; %bb.2022:
	s_sext_i32_i16 s2, s36
	s_cmp_lt_i32 s2, 6
	s_mov_b64 s[0:1], -1
	s_cbranch_scc1 .LBB64_2028
; %bb.2023:
	s_cmp_gt_i32 s2, 6
	s_cbranch_scc0 .LBB64_2025
; %bb.2024:
	s_waitcnt vmcnt(0)
	v_cvt_f64_f32_e32 v[4:5], v0
	global_store_dwordx2 v[2:3], v[4:5], off
	s_mov_b64 s[0:1], 0
.LBB64_2025:
	s_andn2_b64 vcc, exec, s[0:1]
	s_cbranch_vccnz .LBB64_2027
; %bb.2026:
	s_waitcnt vmcnt(0)
	global_store_dword v[2:3], v0, off
.LBB64_2027:
	s_mov_b64 s[0:1], 0
.LBB64_2028:
	s_andn2_b64 vcc, exec, s[0:1]
	s_cbranch_vccnz .LBB64_2030
; %bb.2029:
	s_waitcnt vmcnt(0)
	v_cvt_f16_f32_e32 v1, v0
	global_store_short v[2:3], v1, off
.LBB64_2030:
	s_mov_b64 s[0:1], 0
.LBB64_2031:
	s_andn2_b64 vcc, exec, s[0:1]
	s_cbranch_vccnz .LBB64_2007
; %bb.2032:
	s_sext_i32_i16 s2, s36
	s_cmp_lt_i32 s2, 2
	s_mov_b64 s[0:1], -1
	s_cbranch_scc1 .LBB64_2042
; %bb.2033:
	s_cmp_lt_i32 s2, 3
	s_cbranch_scc1 .LBB64_2039
; %bb.2034:
	s_cmp_gt_i32 s2, 3
	s_cbranch_scc0 .LBB64_2036
; %bb.2035:
	s_waitcnt vmcnt(0)
	v_trunc_f32_e32 v1, v0
	s_mov_b32 s0, 0x2f800000
	v_mul_f32_e64 v4, |v1|, s0
	v_floor_f32_e32 v4, v4
	s_mov_b32 s0, 0xcf800000
	v_cvt_u32_f32_e32 v5, v4
	v_fma_f32 v4, v4, s0, |v1|
	v_cvt_u32_f32_e32 v4, v4
	v_ashrrev_i32_e32 v1, 31, v1
	v_xor_b32_e32 v5, v5, v1
	s_mov_b64 s[0:1], 0
	v_xor_b32_e32 v4, v4, v1
	v_sub_co_u32_e32 v4, vcc, v4, v1
	s_nop 1
	v_subb_co_u32_e32 v5, vcc, v5, v1, vcc
	global_store_dwordx2 v[2:3], v[4:5], off
.LBB64_2036:
	s_andn2_b64 vcc, exec, s[0:1]
	s_cbranch_vccnz .LBB64_2038
; %bb.2037:
	s_waitcnt vmcnt(0)
	v_cvt_i32_f32_e32 v1, v0
	global_store_dword v[2:3], v1, off
.LBB64_2038:
	s_mov_b64 s[0:1], 0
.LBB64_2039:
	s_andn2_b64 vcc, exec, s[0:1]
	s_cbranch_vccnz .LBB64_2041
; %bb.2040:
	s_waitcnt vmcnt(0)
	v_cvt_i32_f32_e32 v1, v0
	global_store_short v[2:3], v1, off
.LBB64_2041:
	s_mov_b64 s[0:1], 0
.LBB64_2042:
	s_andn2_b64 vcc, exec, s[0:1]
	s_cbranch_vccnz .LBB64_2007
; %bb.2043:
	s_sext_i32_i16 s0, s36
	s_cmp_gt_i32 s0, 0
	s_mov_b64 s[0:1], -1
	s_cbranch_scc0 .LBB64_2045
; %bb.2044:
	s_waitcnt vmcnt(0)
	v_cvt_i32_f32_e32 v1, v0
	s_mov_b64 s[0:1], 0
	global_store_byte v[2:3], v1, off
.LBB64_2045:
	s_andn2_b64 vcc, exec, s[0:1]
	s_cbranch_vccnz .LBB64_2007
; %bb.2046:
	s_waitcnt vmcnt(0)
	v_trunc_f32_e32 v0, v0
	s_mov_b32 s0, 0x2f800000
	v_mul_f32_e64 v1, |v0|, s0
	v_floor_f32_e32 v1, v1
	s_mov_b32 s0, 0xcf800000
	v_fma_f32 v1, v1, s0, |v0|
	v_cvt_u32_f32_e32 v1, v1
	v_ashrrev_i32_e32 v0, 31, v0
	v_xor_b32_e32 v1, v1, v0
	v_sub_u32_e32 v0, v1, v0
	global_store_byte v[2:3], v0, off
	s_endpgm
.LBB64_2047:
	s_mov_b64 s[2:3], 0
	s_mov_b64 s[0:1], -1
	s_branch .LBB64_2003
.LBB64_2048:
	s_movk_i32 s2, 0x80
	v_cmp_eq_u16_e32 vcc, s2, v4
	s_mov_b64 s[2:3], -1
	s_and_saveexec_b64 s[6:7], vcc
; %bb.2049:
	s_xor_b64 s[2:3], exec, -1
; %bb.2050:
	s_or_b64 exec, exec, s[6:7]
	s_and_b64 s[2:3], s[2:3], exec
	s_or_saveexec_b64 s[4:5], s[4:5]
	v_mov_b32_e32 v26, 0x7f800001
	s_xor_b64 exec, exec, s[4:5]
	s_cbranch_execz .LBB64_1496
.LBB64_2051:
	v_cmp_ne_u16_e32 vcc, 0, v4
	s_andn2_b64 s[2:3], s[2:3], exec
	s_and_b64 s[6:7], vcc, exec
	v_mov_b32_e32 v26, 0
	s_or_b64 s[2:3], s[2:3], s[6:7]
	s_or_b64 exec, exec, s[4:5]
	s_and_saveexec_b64 s[4:5], s[2:3]
	s_cbranch_execnz .LBB64_1497
	s_branch .LBB64_1498
.LBB64_2052:
	s_trap 2
	s_or_b64 s[34:35], s[34:35], exec
	s_cbranch_execz .LBB64_1645
	s_branch .LBB64_1646
.LBB64_2053:
	s_movk_i32 s10, 0x80
	v_cmp_eq_u16_e32 vcc, s10, v3
	s_mov_b64 s[10:11], -1
	s_and_saveexec_b64 s[14:15], vcc
; %bb.2054:
	s_xor_b64 s[10:11], exec, -1
; %bb.2055:
	s_or_b64 exec, exec, s[14:15]
	s_and_b64 s[10:11], s[10:11], exec
	s_or_saveexec_b64 s[12:13], s[12:13]
	v_mov_b32_e32 v2, 0x7f800001
	s_xor_b64 exec, exec, s[12:13]
	s_cbranch_execz .LBB64_838
.LBB64_2056:
	v_cmp_ne_u16_e32 vcc, 0, v3
	s_andn2_b64 s[10:11], s[10:11], exec
	s_and_b64 s[14:15], vcc, exec
	v_mov_b32_e32 v2, 0
	s_or_b64 s[10:11], s[10:11], s[14:15]
	s_or_b64 exec, exec, s[12:13]
	s_and_saveexec_b64 s[12:13], s[10:11]
	s_cbranch_execnz .LBB64_839
	s_branch .LBB64_840
.LBB64_2057:
	v_bfe_u32 v4, v0, 20, 1
	s_mov_b32 s11, 0x487ffff
	v_add3_u32 v4, v0, v4, s11
	s_mov_b64 s[6:7], exec
	v_lshrrev_b32_e32 v4, 20, v4
	s_andn2_saveexec_b64 s[8:9], s[8:9]
	s_cbranch_execz .LBB64_1597
.LBB64_2058:
	s_mov_b32 s11, 0x46000000
	v_add_f32_e64 v4, |v0|, s11
	v_and_b32_e32 v4, 0xff, v4
	v_cmp_ne_u32_e32 vcc, 0, v4
	s_andn2_b64 s[6:7], s[6:7], exec
	s_and_b64 s[12:13], vcc, exec
	s_or_b64 s[6:7], s[6:7], s[12:13]
	s_or_b64 exec, exec, s[8:9]
	v_mov_b32_e32 v5, 0
	s_and_saveexec_b64 s[8:9], s[6:7]
	s_cbranch_execnz .LBB64_1598
	s_branch .LBB64_1599
.LBB64_2059:
	s_trap 2
	s_or_b64 s[34:35], s[34:35], exec
	s_cbranch_execz .LBB64_1764
	s_branch .LBB64_1765
.LBB64_2060:
	v_bfe_u32 v4, v0, 21, 1
	s_mov_b32 s10, 0x88fffff
	v_add3_u32 v4, v0, v4, s10
	s_mov_b64 s[4:5], exec
	v_lshrrev_b32_e32 v4, 21, v4
	s_andn2_saveexec_b64 s[6:7], s[6:7]
	s_cbranch_execz .LBB64_705
.LBB64_2061:
	s_mov_b32 s10, 0x42800000
	v_add_f32_e64 v4, |v0|, s10
	v_and_b32_e32 v4, 0xff, v4
	v_cmp_ne_u32_e32 vcc, 0, v4
	s_andn2_b64 s[4:5], s[4:5], exec
	s_and_b64 s[10:11], vcc, exec
	s_or_b64 s[4:5], s[4:5], s[10:11]
	s_or_b64 exec, exec, s[6:7]
	v_mov_b32_e32 v5, 0
	s_and_saveexec_b64 s[6:7], s[4:5]
	s_cbranch_execnz .LBB64_706
	s_branch .LBB64_707
.LBB64_2062:
	v_bfe_u32 v4, v0, 21, 1
	s_mov_b32 s8, 0x88fffff
	v_add3_u32 v4, v0, v4, s8
	s_mov_b64 s[4:5], exec
	v_lshrrev_b32_e32 v4, 21, v4
	s_andn2_saveexec_b64 s[6:7], s[6:7]
	s_cbranch_execz .LBB64_1610
.LBB64_2063:
	s_mov_b32 s8, 0x42800000
	v_add_f32_e64 v4, |v0|, s8
	v_and_b32_e32 v4, 0xff, v4
	v_cmp_ne_u32_e32 vcc, 0, v4
	s_andn2_b64 s[4:5], s[4:5], exec
	s_and_b64 s[8:9], vcc, exec
	s_or_b64 s[4:5], s[4:5], s[8:9]
	s_or_b64 exec, exec, s[6:7]
	v_mov_b32_e32 v5, 0
	s_and_saveexec_b64 s[6:7], s[4:5]
	s_cbranch_execnz .LBB64_1611
	s_branch .LBB64_1612
.LBB64_2064:
	v_bfe_u32 v4, v0, 20, 1
	s_mov_b32 s11, 0x487ffff
	v_add3_u32 v4, v0, v4, s11
	s_mov_b64 s[6:7], exec
	v_lshrrev_b32_e32 v4, 20, v4
	s_andn2_saveexec_b64 s[8:9], s[8:9]
	s_cbranch_execz .LBB64_1716
.LBB64_2065:
	s_mov_b32 s11, 0x46000000
	v_add_f32_e64 v4, |v0|, s11
	v_and_b32_e32 v4, 0xff, v4
	v_cmp_ne_u32_e32 vcc, 0, v4
	s_andn2_b64 s[6:7], s[6:7], exec
	s_and_b64 s[12:13], vcc, exec
	s_or_b64 s[6:7], s[6:7], s[12:13]
	s_or_b64 exec, exec, s[8:9]
	v_mov_b32_e32 v5, 0
	s_and_saveexec_b64 s[8:9], s[6:7]
	s_cbranch_execnz .LBB64_1717
	s_branch .LBB64_1718
.LBB64_2066:
	s_trap 2
	s_or_b64 s[34:35], s[34:35], exec
	s_cbranch_execz .LBB64_1883
	s_branch .LBB64_1884
.LBB64_2067:
	v_bfe_u32 v4, v0, 21, 1
	s_mov_b32 s8, 0x88fffff
	v_add3_u32 v4, v0, v4, s8
	s_mov_b64 s[4:5], exec
	v_lshrrev_b32_e32 v4, 21, v4
	s_andn2_saveexec_b64 s[6:7], s[6:7]
	s_cbranch_execz .LBB64_1729
.LBB64_2068:
	s_mov_b32 s8, 0x42800000
	v_add_f32_e64 v4, |v0|, s8
	v_and_b32_e32 v4, 0xff, v4
	v_cmp_ne_u32_e32 vcc, 0, v4
	s_andn2_b64 s[4:5], s[4:5], exec
	s_and_b64 s[8:9], vcc, exec
	s_or_b64 s[4:5], s[4:5], s[8:9]
	s_or_b64 exec, exec, s[6:7]
	v_mov_b32_e32 v5, 0
	s_and_saveexec_b64 s[6:7], s[4:5]
	s_cbranch_execnz .LBB64_1730
	s_branch .LBB64_1731
.LBB64_2069:
	v_bfe_u32 v4, v0, 20, 1
	s_mov_b32 s11, 0x487ffff
	v_add3_u32 v4, v0, v4, s11
	s_mov_b64 s[6:7], exec
	v_lshrrev_b32_e32 v4, 20, v4
	s_andn2_saveexec_b64 s[8:9], s[8:9]
	s_cbranch_execz .LBB64_1835
.LBB64_2070:
	s_mov_b32 s11, 0x46000000
	v_add_f32_e64 v4, |v0|, s11
	v_and_b32_e32 v4, 0xff, v4
	v_cmp_ne_u32_e32 vcc, 0, v4
	s_andn2_b64 s[6:7], s[6:7], exec
	s_and_b64 s[12:13], vcc, exec
	s_or_b64 s[6:7], s[6:7], s[12:13]
	s_or_b64 exec, exec, s[8:9]
	v_mov_b32_e32 v5, 0
	s_and_saveexec_b64 s[8:9], s[6:7]
	s_cbranch_execnz .LBB64_1836
	s_branch .LBB64_1837
.LBB64_2071:
	s_mov_b64 s[2:3], 0
	s_or_b64 s[34:35], s[34:35], exec
	s_trap 2
	s_branch .LBB64_2001
.LBB64_2072:
	v_bfe_u32 v4, v0, 21, 1
	s_mov_b32 s8, 0x88fffff
	v_add3_u32 v4, v0, v4, s8
	s_mov_b64 s[4:5], exec
	v_lshrrev_b32_e32 v4, 21, v4
	s_andn2_saveexec_b64 s[6:7], s[6:7]
	s_cbranch_execz .LBB64_1848
.LBB64_2073:
	s_mov_b32 s8, 0x42800000
	v_add_f32_e64 v4, |v0|, s8
	v_and_b32_e32 v4, 0xff, v4
	v_cmp_ne_u32_e32 vcc, 0, v4
	s_andn2_b64 s[4:5], s[4:5], exec
	s_and_b64 s[8:9], vcc, exec
	s_or_b64 s[4:5], s[4:5], s[8:9]
	s_or_b64 exec, exec, s[6:7]
	v_mov_b32_e32 v5, 0
	s_and_saveexec_b64 s[6:7], s[4:5]
	s_cbranch_execnz .LBB64_1849
	s_branch .LBB64_1850
.LBB64_2074:
	v_bfe_u32 v4, v0, 20, 1
	s_mov_b32 s11, 0x487ffff
	v_add3_u32 v4, v0, v4, s11
	s_mov_b64 s[6:7], exec
	v_lshrrev_b32_e32 v4, 20, v4
	s_andn2_saveexec_b64 s[8:9], s[8:9]
	s_cbranch_execz .LBB64_1955
.LBB64_2075:
	s_mov_b32 s11, 0x46000000
	v_add_f32_e64 v4, |v0|, s11
	v_and_b32_e32 v4, 0xff, v4
	v_cmp_ne_u32_e32 vcc, 0, v4
	s_andn2_b64 s[6:7], s[6:7], exec
	s_and_b64 s[12:13], vcc, exec
	s_or_b64 s[6:7], s[6:7], s[12:13]
	s_or_b64 exec, exec, s[8:9]
	v_mov_b32_e32 v5, 0
	s_and_saveexec_b64 s[8:9], s[6:7]
	s_cbranch_execnz .LBB64_1956
	s_branch .LBB64_1957
.LBB64_2076:
	v_bfe_u32 v4, v0, 21, 1
	s_mov_b32 s8, 0x88fffff
	v_add3_u32 v4, v0, v4, s8
	s_mov_b64 s[4:5], exec
	v_lshrrev_b32_e32 v4, 21, v4
	s_andn2_saveexec_b64 s[6:7], s[6:7]
	s_cbranch_execz .LBB64_1967
.LBB64_2077:
	s_mov_b32 s8, 0x42800000
	v_add_f32_e64 v4, |v0|, s8
	v_and_b32_e32 v4, 0xff, v4
	v_cmp_ne_u32_e32 vcc, 0, v4
	s_andn2_b64 s[4:5], s[4:5], exec
	s_and_b64 s[8:9], vcc, exec
	s_or_b64 s[4:5], s[4:5], s[8:9]
	s_or_b64 exec, exec, s[6:7]
	v_mov_b32_e32 v5, 0
	s_and_saveexec_b64 s[6:7], s[4:5]
	s_cbranch_execnz .LBB64_1968
	s_branch .LBB64_1969
	.section	.rodata,"a",@progbits
	.p2align	6, 0x0
	.amdhsa_kernel _ZN2at6native32elementwise_kernel_manual_unrollILi128ELi4EZNS0_15gpu_kernel_implIZZZNS0_15exp_kernel_cudaERNS_18TensorIteratorBaseEENKUlvE_clEvENKUlvE0_clEvEUlN3c107complexIfEEE_EEvS4_RKT_EUlibE_EEviT1_
		.amdhsa_group_segment_fixed_size 0
		.amdhsa_private_segment_fixed_size 0
		.amdhsa_kernarg_size 40
		.amdhsa_user_sgpr_count 2
		.amdhsa_user_sgpr_dispatch_ptr 0
		.amdhsa_user_sgpr_queue_ptr 0
		.amdhsa_user_sgpr_kernarg_segment_ptr 1
		.amdhsa_user_sgpr_dispatch_id 0
		.amdhsa_user_sgpr_kernarg_preload_length 0
		.amdhsa_user_sgpr_kernarg_preload_offset 0
		.amdhsa_user_sgpr_private_segment_size 0
		.amdhsa_uses_dynamic_stack 0
		.amdhsa_enable_private_segment 0
		.amdhsa_system_sgpr_workgroup_id_x 1
		.amdhsa_system_sgpr_workgroup_id_y 0
		.amdhsa_system_sgpr_workgroup_id_z 0
		.amdhsa_system_sgpr_workgroup_info 0
		.amdhsa_system_vgpr_workitem_id 0
		.amdhsa_next_free_vgpr 30
		.amdhsa_next_free_sgpr 50
		.amdhsa_accum_offset 32
		.amdhsa_reserve_vcc 1
		.amdhsa_float_round_mode_32 0
		.amdhsa_float_round_mode_16_64 0
		.amdhsa_float_denorm_mode_32 3
		.amdhsa_float_denorm_mode_16_64 3
		.amdhsa_dx10_clamp 1
		.amdhsa_ieee_mode 1
		.amdhsa_fp16_overflow 0
		.amdhsa_tg_split 0
		.amdhsa_exception_fp_ieee_invalid_op 0
		.amdhsa_exception_fp_denorm_src 0
		.amdhsa_exception_fp_ieee_div_zero 0
		.amdhsa_exception_fp_ieee_overflow 0
		.amdhsa_exception_fp_ieee_underflow 0
		.amdhsa_exception_fp_ieee_inexact 0
		.amdhsa_exception_int_div_zero 0
	.end_amdhsa_kernel
	.section	.text._ZN2at6native32elementwise_kernel_manual_unrollILi128ELi4EZNS0_15gpu_kernel_implIZZZNS0_15exp_kernel_cudaERNS_18TensorIteratorBaseEENKUlvE_clEvENKUlvE0_clEvEUlN3c107complexIfEEE_EEvS4_RKT_EUlibE_EEviT1_,"axG",@progbits,_ZN2at6native32elementwise_kernel_manual_unrollILi128ELi4EZNS0_15gpu_kernel_implIZZZNS0_15exp_kernel_cudaERNS_18TensorIteratorBaseEENKUlvE_clEvENKUlvE0_clEvEUlN3c107complexIfEEE_EEvS4_RKT_EUlibE_EEviT1_,comdat
.Lfunc_end64:
	.size	_ZN2at6native32elementwise_kernel_manual_unrollILi128ELi4EZNS0_15gpu_kernel_implIZZZNS0_15exp_kernel_cudaERNS_18TensorIteratorBaseEENKUlvE_clEvENKUlvE0_clEvEUlN3c107complexIfEEE_EEvS4_RKT_EUlibE_EEviT1_, .Lfunc_end64-_ZN2at6native32elementwise_kernel_manual_unrollILi128ELi4EZNS0_15gpu_kernel_implIZZZNS0_15exp_kernel_cudaERNS_18TensorIteratorBaseEENKUlvE_clEvENKUlvE0_clEvEUlN3c107complexIfEEE_EEvS4_RKT_EUlibE_EEviT1_
                                        ; -- End function
	.set _ZN2at6native32elementwise_kernel_manual_unrollILi128ELi4EZNS0_15gpu_kernel_implIZZZNS0_15exp_kernel_cudaERNS_18TensorIteratorBaseEENKUlvE_clEvENKUlvE0_clEvEUlN3c107complexIfEEE_EEvS4_RKT_EUlibE_EEviT1_.num_vgpr, max(30, .L_ZN16c10_complex_math3expIfEEN3c107complexIT_EERKS4_.num_vgpr)
	.set _ZN2at6native32elementwise_kernel_manual_unrollILi128ELi4EZNS0_15gpu_kernel_implIZZZNS0_15exp_kernel_cudaERNS_18TensorIteratorBaseEENKUlvE_clEvENKUlvE0_clEvEUlN3c107complexIfEEE_EEvS4_RKT_EUlibE_EEviT1_.num_agpr, max(0, .L_ZN16c10_complex_math3expIfEEN3c107complexIT_EERKS4_.num_agpr)
	.set _ZN2at6native32elementwise_kernel_manual_unrollILi128ELi4EZNS0_15gpu_kernel_implIZZZNS0_15exp_kernel_cudaERNS_18TensorIteratorBaseEENKUlvE_clEvENKUlvE0_clEvEUlN3c107complexIfEEE_EEvS4_RKT_EUlibE_EEviT1_.numbered_sgpr, max(50, .L_ZN16c10_complex_math3expIfEEN3c107complexIT_EERKS4_.numbered_sgpr)
	.set _ZN2at6native32elementwise_kernel_manual_unrollILi128ELi4EZNS0_15gpu_kernel_implIZZZNS0_15exp_kernel_cudaERNS_18TensorIteratorBaseEENKUlvE_clEvENKUlvE0_clEvEUlN3c107complexIfEEE_EEvS4_RKT_EUlibE_EEviT1_.num_named_barrier, max(0, .L_ZN16c10_complex_math3expIfEEN3c107complexIT_EERKS4_.num_named_barrier)
	.set _ZN2at6native32elementwise_kernel_manual_unrollILi128ELi4EZNS0_15gpu_kernel_implIZZZNS0_15exp_kernel_cudaERNS_18TensorIteratorBaseEENKUlvE_clEvENKUlvE0_clEvEUlN3c107complexIfEEE_EEvS4_RKT_EUlibE_EEviT1_.private_seg_size, 0+max(.L_ZN16c10_complex_math3expIfEEN3c107complexIT_EERKS4_.private_seg_size)
	.set _ZN2at6native32elementwise_kernel_manual_unrollILi128ELi4EZNS0_15gpu_kernel_implIZZZNS0_15exp_kernel_cudaERNS_18TensorIteratorBaseEENKUlvE_clEvENKUlvE0_clEvEUlN3c107complexIfEEE_EEvS4_RKT_EUlibE_EEviT1_.uses_vcc, or(1, .L_ZN16c10_complex_math3expIfEEN3c107complexIT_EERKS4_.uses_vcc)
	.set _ZN2at6native32elementwise_kernel_manual_unrollILi128ELi4EZNS0_15gpu_kernel_implIZZZNS0_15exp_kernel_cudaERNS_18TensorIteratorBaseEENKUlvE_clEvENKUlvE0_clEvEUlN3c107complexIfEEE_EEvS4_RKT_EUlibE_EEviT1_.uses_flat_scratch, or(0, .L_ZN16c10_complex_math3expIfEEN3c107complexIT_EERKS4_.uses_flat_scratch)
	.set _ZN2at6native32elementwise_kernel_manual_unrollILi128ELi4EZNS0_15gpu_kernel_implIZZZNS0_15exp_kernel_cudaERNS_18TensorIteratorBaseEENKUlvE_clEvENKUlvE0_clEvEUlN3c107complexIfEEE_EEvS4_RKT_EUlibE_EEviT1_.has_dyn_sized_stack, or(0, .L_ZN16c10_complex_math3expIfEEN3c107complexIT_EERKS4_.has_dyn_sized_stack)
	.set _ZN2at6native32elementwise_kernel_manual_unrollILi128ELi4EZNS0_15gpu_kernel_implIZZZNS0_15exp_kernel_cudaERNS_18TensorIteratorBaseEENKUlvE_clEvENKUlvE0_clEvEUlN3c107complexIfEEE_EEvS4_RKT_EUlibE_EEviT1_.has_recursion, or(0, .L_ZN16c10_complex_math3expIfEEN3c107complexIT_EERKS4_.has_recursion)
	.set _ZN2at6native32elementwise_kernel_manual_unrollILi128ELi4EZNS0_15gpu_kernel_implIZZZNS0_15exp_kernel_cudaERNS_18TensorIteratorBaseEENKUlvE_clEvENKUlvE0_clEvEUlN3c107complexIfEEE_EEvS4_RKT_EUlibE_EEviT1_.has_indirect_call, or(0, .L_ZN16c10_complex_math3expIfEEN3c107complexIT_EERKS4_.has_indirect_call)
	.section	.AMDGPU.csdata,"",@progbits
; Kernel info:
; codeLenInByte = 33680
; TotalNumSgprs: 56
; NumVgprs: 30
; NumAgprs: 0
; TotalNumVgprs: 30
; ScratchSize: 0
; MemoryBound: 1
; FloatMode: 240
; IeeeMode: 1
; LDSByteSize: 0 bytes/workgroup (compile time only)
; SGPRBlocks: 6
; VGPRBlocks: 3
; NumSGPRsForWavesPerEU: 56
; NumVGPRsForWavesPerEU: 30
; AccumOffset: 32
; Occupancy: 8
; WaveLimiterHint : 0
; COMPUTE_PGM_RSRC2:SCRATCH_EN: 0
; COMPUTE_PGM_RSRC2:USER_SGPR: 2
; COMPUTE_PGM_RSRC2:TRAP_HANDLER: 0
; COMPUTE_PGM_RSRC2:TGID_X_EN: 1
; COMPUTE_PGM_RSRC2:TGID_Y_EN: 0
; COMPUTE_PGM_RSRC2:TGID_Z_EN: 0
; COMPUTE_PGM_RSRC2:TIDIG_COMP_CNT: 0
; COMPUTE_PGM_RSRC3_GFX90A:ACCUM_OFFSET: 7
; COMPUTE_PGM_RSRC3_GFX90A:TG_SPLIT: 0
	.section	.text._ZN2at6native32elementwise_kernel_manual_unrollILi128ELi4EZNS0_15gpu_kernel_implIZZZNS0_15exp_kernel_cudaERNS_18TensorIteratorBaseEENKUlvE_clEvENKUlvE0_clEvEUlN3c107complexIfEEE_EEvS4_RKT_EUlibE0_EEviT1_,"axG",@progbits,_ZN2at6native32elementwise_kernel_manual_unrollILi128ELi4EZNS0_15gpu_kernel_implIZZZNS0_15exp_kernel_cudaERNS_18TensorIteratorBaseEENKUlvE_clEvENKUlvE0_clEvEUlN3c107complexIfEEE_EEvS4_RKT_EUlibE0_EEviT1_,comdat
	.globl	_ZN2at6native32elementwise_kernel_manual_unrollILi128ELi4EZNS0_15gpu_kernel_implIZZZNS0_15exp_kernel_cudaERNS_18TensorIteratorBaseEENKUlvE_clEvENKUlvE0_clEvEUlN3c107complexIfEEE_EEvS4_RKT_EUlibE0_EEviT1_ ; -- Begin function _ZN2at6native32elementwise_kernel_manual_unrollILi128ELi4EZNS0_15gpu_kernel_implIZZZNS0_15exp_kernel_cudaERNS_18TensorIteratorBaseEENKUlvE_clEvENKUlvE0_clEvEUlN3c107complexIfEEE_EEvS4_RKT_EUlibE0_EEviT1_
	.p2align	8
	.type	_ZN2at6native32elementwise_kernel_manual_unrollILi128ELi4EZNS0_15gpu_kernel_implIZZZNS0_15exp_kernel_cudaERNS_18TensorIteratorBaseEENKUlvE_clEvENKUlvE0_clEvEUlN3c107complexIfEEE_EEvS4_RKT_EUlibE0_EEviT1_,@function
_ZN2at6native32elementwise_kernel_manual_unrollILi128ELi4EZNS0_15gpu_kernel_implIZZZNS0_15exp_kernel_cudaERNS_18TensorIteratorBaseEENKUlvE_clEvENKUlvE0_clEvEUlN3c107complexIfEEE_EEvS4_RKT_EUlibE0_EEviT1_: ; @_ZN2at6native32elementwise_kernel_manual_unrollILi128ELi4EZNS0_15gpu_kernel_implIZZZNS0_15exp_kernel_cudaERNS_18TensorIteratorBaseEENKUlvE_clEvENKUlvE0_clEvEUlN3c107complexIfEEE_EEvS4_RKT_EUlibE0_EEviT1_
; %bb.0:
	s_load_dword s70, s[0:1], 0x0
	s_load_dword s33, s[0:1], 0x8
	s_mov_b64 s[18:19], s[0:1]
	s_add_u32 s34, s18, 8
	s_addc_u32 s35, s19, 0
	v_lshl_or_b32 v21, s2, 9, v0
	s_waitcnt lgkmcnt(0)
	s_add_i32 s72, s33, -1
	v_or_b32_e32 v8, 0x180, v21
	s_cmp_gt_u32 s72, 1
	v_cmp_le_i32_e32 vcc, s70, v8
	s_cselect_b64 s[42:43], -1, 0
	s_mov_b64 s[40:41], 0
	s_mov_b64 s[28:29], 0
	s_mov_b32 s32, 0
	s_and_saveexec_b64 s[0:1], vcc
	s_xor_b64 s[44:45], exec, s[0:1]
	s_cbranch_execz .LBB65_1109
; %bb.1:
	v_mov_b32_e32 v0, 0
	global_load_ushort v0, v0, s[34:35] offset:345
	s_load_dwordx4 s[36:39], s[34:35], 0x4
	s_load_dwordx2 s[46:47], s[34:35], 0x14
	s_load_dwordx4 s[24:27], s[34:35], 0xc4
	s_load_dwordx4 s[20:23], s[34:35], 0x148
	s_cmp_lg_u32 s33, 0
	s_cselect_b64 s[52:53], -1, 0
	s_add_u32 s50, s34, 0xc4
	s_addc_u32 s51, s35, 0
	s_min_u32 s75, s72, 15
	s_cmp_gt_u32 s33, 1
	s_cselect_b64 s[48:49], -1, 0
	v_cmp_gt_i32_e32 vcc, s70, v21
	s_mov_b64 s[2:3], -1
	s_mov_b64 s[62:63], 0
	s_mov_b64 s[56:57], 0
	;; [unrolled: 1-line block ×3, first 2 shown]
	s_waitcnt vmcnt(0)
	v_readfirstlane_b32 s73, v0
	s_and_b32 s0, 0xffff, s73
	s_lshr_b32 s74, s0, 8
	s_and_saveexec_b64 s[58:59], vcc
	s_cbranch_execz .LBB65_271
; %bb.2:
	s_andn2_b64 vcc, exec, s[42:43]
	s_cbranch_vccnz .LBB65_8
; %bb.3:
	s_andn2_b64 vcc, exec, s[52:53]
	s_cbranch_vccnz .LBB65_9
; %bb.4:
	s_add_i32 s57, s75, 1
	s_cmp_eq_u32 s72, 2
	s_cbranch_scc1 .LBB65_10
; %bb.5:
	s_and_b32 s56, s57, 28
	s_mov_b32 s60, 0
	v_mov_b32_e32 v22, 0
	v_mov_b32_e32 v0, 0
	s_mov_b64 s[16:17], s[34:35]
	s_mov_b64 s[54:55], s[50:51]
	v_mov_b32_e32 v2, v21
.LBB65_6:                               ; =>This Inner Loop Header: Depth=1
	s_load_dwordx8 s[8:15], s[16:17], 0x4
	s_load_dwordx4 s[28:31], s[16:17], 0x24
	s_load_dwordx8 s[0:7], s[54:55], 0x0
	s_add_u32 s16, s16, 48
	s_addc_u32 s17, s17, 0
	s_waitcnt lgkmcnt(0)
	v_mul_hi_u32 v1, s9, v2
	v_add_u32_e32 v1, v2, v1
	v_lshrrev_b32_e32 v1, s10, v1
	v_mul_lo_u32 v3, v1, s8
	v_mul_hi_u32 v4, s12, v1
	v_sub_u32_e32 v2, v2, v3
	v_add_u32_e32 v3, v1, v4
	v_lshrrev_b32_e32 v3, s13, v3
	v_mul_lo_u32 v5, v3, s11
	v_mul_hi_u32 v6, s15, v3
	v_sub_u32_e32 v1, v1, v5
	v_add_u32_e32 v5, v3, v6
	v_mul_lo_u32 v4, v2, s1
	v_mul_lo_u32 v2, v2, s0
	;; [unrolled: 1-line block ×4, first 2 shown]
	v_lshrrev_b32_e32 v5, s28, v5
	v_add3_u32 v1, v2, v22, v1
	v_add3_u32 v0, v4, v0, v6
	v_mul_lo_u32 v2, v5, s14
	v_mul_hi_u32 v4, s30, v5
	v_sub_u32_e32 v2, v3, v2
	v_add_u32_e32 v3, v5, v4
	v_mul_lo_u32 v4, v2, s4
	v_mul_lo_u32 v6, v2, s5
	v_lshrrev_b32_e32 v2, s31, v3
	s_add_i32 s60, s60, 4
	v_mul_lo_u32 v3, v2, s29
	s_add_u32 s54, s54, 32
	v_sub_u32_e32 v3, v5, v3
	s_addc_u32 s55, s55, 0
	v_mul_lo_u32 v5, v3, s6
	v_mul_lo_u32 v3, v3, s7
	s_cmp_lg_u32 s56, s60
	v_add3_u32 v0, v6, v0, v3
	v_add3_u32 v22, v4, v1, v5
	s_cbranch_scc1 .LBB65_6
; %bb.7:
	v_mov_b32_e32 v1, v0
	s_branch .LBB65_11
.LBB65_8:
                                        ; implicit-def: $vgpr0
                                        ; implicit-def: $vgpr22
	s_branch .LBB65_15
.LBB65_9:
	v_mov_b32_e32 v0, 0
	v_mov_b32_e32 v22, 0
	s_branch .LBB65_14
.LBB65_10:
	v_mov_b32_e32 v22, 0
	s_mov_b32 s56, 0
	v_mov_b32_e32 v1, v22
                                        ; implicit-def: $vgpr0
	v_mov_b32_e32 v2, v21
.LBB65_11:
	s_and_b32 s4, s57, 3
	s_cmp_eq_u32 s4, 0
	s_cbranch_scc1 .LBB65_14
; %bb.12:
	s_lshl_b32 s0, s56, 3
	s_add_u32 s0, s34, s0
	s_addc_u32 s1, s35, 0
	s_add_u32 s0, s0, 0xc4
	s_addc_u32 s1, s1, 0
	s_mul_i32 s2, s56, 12
	s_add_u32 s2, s34, s2
	s_addc_u32 s3, s35, 0
.LBB65_13:                              ; =>This Inner Loop Header: Depth=1
	s_load_dwordx2 s[6:7], s[2:3], 0x4
	s_load_dword s5, s[2:3], 0xc
	s_load_dwordx2 s[8:9], s[0:1], 0x0
	v_mov_b32_e32 v0, v1
	s_add_u32 s2, s2, 12
	s_waitcnt lgkmcnt(0)
	v_mul_hi_u32 v1, s7, v2
	v_add_u32_e32 v1, v2, v1
	v_lshrrev_b32_e32 v1, s5, v1
	s_addc_u32 s3, s3, 0
	v_mul_lo_u32 v3, v1, s6
	s_add_u32 s0, s0, 8
	v_sub_u32_e32 v3, v2, v3
	s_addc_u32 s1, s1, 0
	s_add_i32 s4, s4, -1
	v_mov_b32_e32 v2, v1
	v_mad_u64_u32 v[0:1], s[6:7], v3, s9, v[0:1]
	s_cmp_lg_u32 s4, 0
	v_mad_u64_u32 v[22:23], s[6:7], v3, s8, v[22:23]
	v_mov_b32_e32 v1, v0
	s_cbranch_scc1 .LBB65_13
.LBB65_14:
	s_cbranch_execnz .LBB65_17
.LBB65_15:
	s_waitcnt lgkmcnt(0)
	v_mul_hi_u32 v0, s37, v21
	v_add_u32_e32 v0, v21, v0
	v_lshrrev_b32_e32 v1, s38, v0
	v_mul_lo_u32 v0, v1, s36
	v_sub_u32_e32 v2, v21, v0
	v_mul_lo_u32 v0, v2, s25
	s_andn2_b64 vcc, exec, s[48:49]
	v_mul_lo_u32 v22, v2, s24
	s_cbranch_vccnz .LBB65_17
; %bb.16:
	v_mul_hi_u32 v2, s46, v1
	v_add_u32_e32 v2, v1, v2
	v_lshrrev_b32_e32 v2, s47, v2
	v_mul_lo_u32 v2, v2, s39
	v_sub_u32_e32 v1, v1, v2
	v_mad_u64_u32 v[22:23], s[0:1], v1, s26, v[22:23]
	v_mad_u64_u32 v[0:1], s[0:1], v1, s27, v[0:1]
.LBB65_17:
	v_mov_b32_e32 v1, 0
	s_and_b32 s6, 0xffff, s74
	s_cmp_lt_i32 s6, 11
	s_waitcnt lgkmcnt(0)
	v_lshl_add_u64 v[2:3], s[22:23], 0, v[0:1]
	s_cbranch_scc1 .LBB65_24
; %bb.18:
	s_cmp_gt_i32 s6, 25
	s_cbranch_scc0 .LBB65_33
; %bb.19:
	s_cmp_gt_i32 s6, 28
	s_cbranch_scc0 .LBB65_36
	;; [unrolled: 3-line block ×4, first 2 shown]
; %bb.22:
	s_cmp_eq_u32 s6, 46
	s_mov_b64 s[2:3], 0
	s_cbranch_scc0 .LBB65_42
; %bb.23:
	global_load_dword v0, v[2:3], off
	s_mov_b64 s[0:1], -1
	s_mov_b64 s[28:29], 0
	s_waitcnt vmcnt(0)
	v_and_b32_e32 v1, 0xffff0000, v0
	v_lshlrev_b32_e32 v0, 16, v0
	s_branch .LBB65_44
.LBB65_24:
	s_mov_b64 s[28:29], 0
                                        ; implicit-def: $vgpr1
	s_mov_b64 s[0:1], 0
	s_cbranch_execnz .LBB65_219
.LBB65_25:
	s_andn2_b64 vcc, exec, s[0:1]
	s_cbranch_vccnz .LBB65_268
.LBB65_26:
	s_getpc_b64 s[0:1]
	s_add_u32 s0, s0, _ZN16c10_complex_math3expIfEEN3c107complexIT_EERKS4_@rel32@lo+4
	s_addc_u32 s1, s1, _ZN16c10_complex_math3expIfEEN3c107complexIT_EERKS4_@rel32@hi+12
	s_swappc_b64 s[30:31], s[0:1]
	v_mov_b32_e32 v23, 0
	s_and_b32 s8, s73, 0xff
	s_cmp_lt_i32 s8, 11
	v_lshl_add_u64 v[2:3], s[20:21], 0, v[22:23]
	s_cbranch_scc1 .LBB65_34
; %bb.27:
	s_and_b32 s9, 0xffff, s8
	s_cmp_gt_i32 s9, 25
	s_cbranch_scc0 .LBB65_37
; %bb.28:
	s_cmp_gt_i32 s9, 28
	s_cbranch_scc0 .LBB65_39
; %bb.29:
	;; [unrolled: 3-line block ×4, first 2 shown]
	s_mov_b64 s[4:5], 0
	s_mov_b64 s[0:1], -1
	s_cmp_eq_u32 s9, 46
	s_mov_b64 s[2:3], 0
	s_cbranch_scc0 .LBB65_48
; %bb.32:
	s_movk_i32 s0, 0x7fff
	v_bfe_u32 v5, v1, 16, 1
	v_add3_u32 v5, v1, v5, s0
	v_bfe_u32 v4, v0, 16, 1
	v_and_b32_e32 v5, 0xffff0000, v5
	v_mov_b32_e32 v6, 0x7fc00000
	v_cmp_o_f32_e32 vcc, v1, v1
	v_add3_u32 v4, v0, v4, s0
	s_mov_b64 s[2:3], -1
	v_cndmask_b32_e32 v5, v6, v5, vcc
	v_cmp_o_f32_e32 vcc, v0, v0
	v_mov_b32_e32 v6, 0x7fc0
	s_mov_b64 s[0:1], 0
	v_cndmask_b32_sdwa v4, v6, v4, vcc dst_sel:DWORD dst_unused:UNUSED_PAD src0_sel:DWORD src1_sel:WORD_1
	v_or_b32_e32 v4, v5, v4
	global_store_dword v[2:3], v4, off
	s_branch .LBB65_48
.LBB65_33:
	s_mov_b64 s[28:29], 0
	s_mov_b64 s[0:1], 0
                                        ; implicit-def: $vgpr1
	s_cbranch_execnz .LBB65_184
	s_branch .LBB65_218
.LBB65_34:
	s_mov_b64 s[0:1], 0
	s_mov_b64 s[2:3], 0
	s_cbranch_execnz .LBB65_117
.LBB65_35:
	s_andn2_b64 vcc, exec, s[2:3]
	s_cbranch_vccnz .LBB65_269
	s_branch .LBB65_155
.LBB65_36:
	s_mov_b64 s[2:3], -1
	s_mov_b64 s[28:29], 0
	s_mov_b64 s[0:1], 0
                                        ; implicit-def: $vgpr1
	s_branch .LBB65_165
.LBB65_37:
	s_mov_b64 s[4:5], -1
	s_mov_b64 s[0:1], 0
	s_mov_b64 s[2:3], 0
	s_branch .LBB65_75
.LBB65_38:
	s_mov_b64 s[2:3], -1
	s_mov_b64 s[28:29], 0
	s_mov_b64 s[0:1], 0
                                        ; implicit-def: $vgpr1
	s_branch .LBB65_159
.LBB65_39:
	s_mov_b64 s[4:5], -1
	s_mov_b64 s[0:1], 0
	s_mov_b64 s[2:3], 0
	s_branch .LBB65_58
.LBB65_40:
	s_mov_b64 s[2:3], -1
	s_mov_b64 s[28:29], 0
	s_branch .LBB65_43
.LBB65_41:
	s_mov_b64 s[4:5], -1
	s_mov_b64 s[0:1], 0
	s_mov_b64 s[2:3], 0
	s_branch .LBB65_54
.LBB65_42:
	s_mov_b64 s[28:29], -1
.LBB65_43:
	s_mov_b64 s[0:1], 0
                                        ; implicit-def: $vgpr1
.LBB65_44:
	s_and_b64 vcc, exec, s[2:3]
	s_cbranch_vccz .LBB65_158
; %bb.45:
	s_cmp_eq_u32 s6, 44
	s_cbranch_scc0 .LBB65_156
; %bb.46:
	global_load_ubyte v0, v[2:3], off
	s_movk_i32 s2, 0xff
	v_mov_b32_e32 v1, 0x7f800001
	v_mov_b32_e32 v4, 0x400000
	s_mov_b64 s[0:1], -1
	s_mov_b64 s[28:29], 0
	s_waitcnt vmcnt(0)
	v_lshlrev_b32_e32 v5, 23, v0
	v_cmp_ne_u32_e32 vcc, s2, v0
	s_nop 1
	v_cndmask_b32_e32 v1, v1, v5, vcc
	v_cmp_ne_u32_e32 vcc, 0, v0
	s_nop 1
	v_cndmask_b32_e32 v0, v4, v1, vcc
	s_branch .LBB65_157
.LBB65_47:
	s_mov_b64 s[4:5], -1
	s_mov_b64 s[0:1], 0
	s_mov_b64 s[2:3], 0
.LBB65_48:
	s_and_b64 vcc, exec, s[4:5]
	s_cbranch_vccz .LBB65_53
; %bb.49:
	s_cmp_eq_u32 s9, 44
	s_mov_b64 s[0:1], -1
	s_cbranch_scc0 .LBB65_53
; %bb.50:
	v_bfe_u32 v4, v0, 23, 8
	s_movk_i32 s0, 0xff
	v_cmp_ne_u32_e32 vcc, s0, v4
	v_mov_b32_e32 v5, 0xff
	s_and_saveexec_b64 s[2:3], vcc
; %bb.51:
	s_mov_b32 s0, 0x3fffff
	v_and_b32_e32 v6, 0x400000, v0
	v_and_or_b32 v4, v0, s0, v4
	v_cmp_ne_u32_e32 vcc, 0, v6
	v_cmp_ne_u32_e64 s[0:1], 0, v4
	s_and_b64 s[0:1], vcc, s[0:1]
	v_lshrrev_b32_e32 v5, 23, v0
	v_cndmask_b32_e64 v4, 0, 1, s[0:1]
	v_add_u32_e32 v5, v5, v4
; %bb.52:
	s_or_b64 exec, exec, s[2:3]
	s_mov_b64 s[2:3], -1
	s_mov_b64 s[0:1], 0
	global_store_byte v[2:3], v5, off
.LBB65_53:
	s_mov_b64 s[4:5], 0
.LBB65_54:
	s_and_b64 vcc, exec, s[4:5]
	s_cbranch_vccz .LBB65_57
; %bb.55:
	s_cmp_eq_u32 s9, 29
	s_mov_b64 s[0:1], -1
	s_cbranch_scc0 .LBB65_57
; %bb.56:
	v_trunc_f32_e32 v4, v0
	v_mul_f32_e32 v5, 0x2f800000, v4
	v_floor_f32_e32 v6, v5
	v_fmamk_f32 v4, v6, 0xcf800000, v4
	v_cvt_u32_f32_e32 v5, v6
	v_cvt_u32_f32_e32 v4, v4
	s_mov_b64 s[2:3], -1
	s_mov_b64 s[0:1], 0
	s_mov_b64 s[4:5], 0
	global_store_dwordx2 v[2:3], v[4:5], off
	s_branch .LBB65_58
.LBB65_57:
	s_mov_b64 s[4:5], 0
.LBB65_58:
	s_and_b64 vcc, exec, s[4:5]
	s_cbranch_vccz .LBB65_74
; %bb.59:
	s_cmp_lt_i32 s9, 27
	s_mov_b64 s[2:3], -1
	s_cbranch_scc1 .LBB65_65
; %bb.60:
	v_cvt_u32_f32_e32 v4, v0
	s_cmp_gt_i32 s9, 27
	s_cbranch_scc0 .LBB65_62
; %bb.61:
	s_mov_b64 s[2:3], 0
	global_store_dword v[2:3], v4, off
.LBB65_62:
	s_andn2_b64 vcc, exec, s[2:3]
	s_cbranch_vccnz .LBB65_64
; %bb.63:
	global_store_short v[2:3], v4, off
.LBB65_64:
	s_mov_b64 s[2:3], 0
.LBB65_65:
	s_andn2_b64 vcc, exec, s[2:3]
	s_cbranch_vccnz .LBB65_73
; %bb.66:
	v_and_b32_e32 v4, 0x7fffffff, v0
	s_mov_b32 s2, 0x43800000
	v_cmp_gt_u32_e32 vcc, s2, v4
	v_mov_b32_e32 v5, 0x80
	s_and_saveexec_b64 s[2:3], vcc
	s_cbranch_execz .LBB65_72
; %bb.67:
	s_mov_b32 s4, 0x3bffffff
	v_cmp_lt_u32_e32 vcc, s4, v4
	s_mov_b64 s[4:5], 0
                                        ; implicit-def: $vgpr4
	s_and_saveexec_b64 s[6:7], vcc
	s_xor_b64 s[6:7], exec, s[6:7]
	s_cbranch_execz .LBB65_313
; %bb.68:
	v_bfe_u32 v4, v0, 20, 1
	s_mov_b32 s10, 0x487ffff
	v_add3_u32 v4, v0, v4, s10
	s_mov_b64 s[4:5], exec
	v_lshrrev_b32_e32 v4, 20, v4
	s_andn2_saveexec_b64 s[6:7], s[6:7]
	s_cbranch_execnz .LBB65_314
.LBB65_69:
	s_or_b64 exec, exec, s[6:7]
	v_mov_b32_e32 v5, 0
	s_and_saveexec_b64 s[6:7], s[4:5]
.LBB65_70:
	v_lshrrev_b32_e32 v5, 24, v0
	s_movk_i32 s4, 0x80
	v_and_or_b32 v5, v5, s4, v4
.LBB65_71:
	s_or_b64 exec, exec, s[6:7]
.LBB65_72:
	s_or_b64 exec, exec, s[2:3]
	global_store_byte v[2:3], v5, off
.LBB65_73:
	s_mov_b64 s[2:3], -1
.LBB65_74:
	s_mov_b64 s[4:5], 0
.LBB65_75:
	s_and_b64 vcc, exec, s[4:5]
	s_cbranch_vccz .LBB65_116
; %bb.76:
	s_cmp_gt_i32 s9, 22
	s_mov_b64 s[4:5], -1
	s_cbranch_scc0 .LBB65_108
; %bb.77:
	s_cmp_lt_i32 s9, 24
	s_mov_b64 s[2:3], -1
	s_cbranch_scc1 .LBB65_97
; %bb.78:
	s_cmp_gt_i32 s9, 24
	s_cbranch_scc0 .LBB65_86
; %bb.79:
	v_and_b32_e32 v4, 0x7fffffff, v0
	s_mov_b32 s2, 0x47800000
	v_cmp_gt_u32_e32 vcc, s2, v4
	v_mov_b32_e32 v5, 0x80
	s_and_saveexec_b64 s[2:3], vcc
	s_cbranch_execz .LBB65_85
; %bb.80:
	s_mov_b32 s4, 0x37ffffff
	v_cmp_lt_u32_e32 vcc, s4, v4
	s_mov_b64 s[4:5], 0
                                        ; implicit-def: $vgpr4
	s_and_saveexec_b64 s[6:7], vcc
	s_xor_b64 s[6:7], exec, s[6:7]
	s_cbranch_execz .LBB65_317
; %bb.81:
	v_bfe_u32 v4, v0, 21, 1
	s_mov_b32 s10, 0x88fffff
	v_add3_u32 v4, v0, v4, s10
	s_mov_b64 s[4:5], exec
	v_lshrrev_b32_e32 v4, 21, v4
	s_andn2_saveexec_b64 s[6:7], s[6:7]
	s_cbranch_execnz .LBB65_318
.LBB65_82:
	s_or_b64 exec, exec, s[6:7]
	v_mov_b32_e32 v5, 0
	s_and_saveexec_b64 s[6:7], s[4:5]
.LBB65_83:
	v_lshrrev_b32_e32 v5, 24, v0
	s_movk_i32 s4, 0x80
	v_and_or_b32 v5, v5, s4, v4
.LBB65_84:
	s_or_b64 exec, exec, s[6:7]
.LBB65_85:
	s_or_b64 exec, exec, s[2:3]
	s_mov_b64 s[2:3], 0
	global_store_byte v[2:3], v5, off
.LBB65_86:
	s_and_b64 vcc, exec, s[2:3]
	s_cbranch_vccz .LBB65_96
; %bb.87:
	v_and_b32_e32 v5, 0x7fffffff, v0
	s_mov_b32 s2, 0x43f00000
	v_cmp_gt_u32_e32 vcc, s2, v5
                                        ; implicit-def: $vgpr4
	s_and_saveexec_b64 s[2:3], vcc
	s_xor_b64 s[2:3], exec, s[2:3]
	s_cbranch_execz .LBB65_93
; %bb.88:
	s_mov_b32 s4, 0x3c7fffff
	v_cmp_lt_u32_e32 vcc, s4, v5
                                        ; implicit-def: $vgpr4
	s_and_saveexec_b64 s[4:5], vcc
	s_xor_b64 s[4:5], exec, s[4:5]
; %bb.89:
	v_bfe_u32 v4, v0, 20, 1
	s_mov_b32 s6, 0x407ffff
	v_add3_u32 v4, v0, v4, s6
	v_lshrrev_b32_e32 v5, 20, v4
	v_and_b32_e32 v4, 0xff00000, v4
	s_mov_b32 s6, 0x7f00000
	v_mov_b32_e32 v6, 0x7e
	v_cmp_ne_u32_e32 vcc, s6, v4
	s_nop 1
	v_cndmask_b32_e32 v4, v6, v5, vcc
; %bb.90:
	s_andn2_saveexec_b64 s[4:5], s[4:5]
; %bb.91:
	s_mov_b32 s6, 0x46800000
	v_add_f32_e64 v4, |v0|, s6
; %bb.92:
	s_or_b64 exec, exec, s[4:5]
                                        ; implicit-def: $vgpr5
.LBB65_93:
	s_andn2_saveexec_b64 s[2:3], s[2:3]
; %bb.94:
	s_mov_b32 s4, 0x7f800000
	v_mov_b32_e32 v4, 0x7e
	v_mov_b32_e32 v6, 0x7f
	v_cmp_lt_u32_e32 vcc, s4, v5
	s_nop 1
	v_cndmask_b32_e32 v4, v4, v6, vcc
; %bb.95:
	s_or_b64 exec, exec, s[2:3]
	v_lshrrev_b32_e32 v5, 24, v0
	s_movk_i32 s2, 0x80
	v_and_or_b32 v4, v5, s2, v4
	global_store_byte v[2:3], v4, off
.LBB65_96:
	s_mov_b64 s[2:3], 0
.LBB65_97:
	s_andn2_b64 vcc, exec, s[2:3]
	s_cbranch_vccnz .LBB65_107
; %bb.98:
	v_and_b32_e32 v5, 0x7fffffff, v0
	s_mov_b32 s2, 0x47800000
	v_cmp_gt_u32_e32 vcc, s2, v5
                                        ; implicit-def: $vgpr4
	s_and_saveexec_b64 s[2:3], vcc
	s_xor_b64 s[2:3], exec, s[2:3]
	s_cbranch_execz .LBB65_104
; %bb.99:
	s_mov_b32 s4, 0x387fffff
	v_cmp_lt_u32_e32 vcc, s4, v5
                                        ; implicit-def: $vgpr4
	s_and_saveexec_b64 s[4:5], vcc
	s_xor_b64 s[4:5], exec, s[4:5]
; %bb.100:
	v_bfe_u32 v4, v0, 21, 1
	s_mov_b32 s6, 0x80fffff
	v_add3_u32 v4, v0, v4, s6
	v_lshrrev_b32_e32 v4, 21, v4
; %bb.101:
	s_andn2_saveexec_b64 s[4:5], s[4:5]
; %bb.102:
	s_mov_b32 s6, 0x43000000
	v_add_f32_e64 v4, |v0|, s6
; %bb.103:
	s_or_b64 exec, exec, s[4:5]
                                        ; implicit-def: $vgpr5
.LBB65_104:
	s_andn2_saveexec_b64 s[2:3], s[2:3]
; %bb.105:
	s_mov_b32 s4, 0x7f800000
	v_mov_b32_e32 v4, 0x7c
	v_mov_b32_e32 v6, 0x7f
	v_cmp_lt_u32_e32 vcc, s4, v5
	s_nop 1
	v_cndmask_b32_e32 v4, v4, v6, vcc
; %bb.106:
	s_or_b64 exec, exec, s[2:3]
	v_lshrrev_b32_e32 v5, 24, v0
	s_movk_i32 s2, 0x80
	v_and_or_b32 v4, v5, s2, v4
	global_store_byte v[2:3], v4, off
.LBB65_107:
	s_mov_b64 s[4:5], 0
	s_mov_b64 s[2:3], -1
.LBB65_108:
	s_andn2_b64 vcc, exec, s[4:5]
	s_cbranch_vccnz .LBB65_116
; %bb.109:
	s_cmp_gt_i32 s9, 14
	s_mov_b64 s[4:5], -1
	s_cbranch_scc0 .LBB65_113
; %bb.110:
	s_cmp_eq_u32 s9, 15
	s_mov_b64 s[0:1], -1
	s_cbranch_scc0 .LBB65_112
; %bb.111:
	v_bfe_u32 v4, v0, 16, 1
	s_movk_i32 s0, 0x7fff
	v_add3_u32 v4, v0, v4, s0
	v_cmp_o_f32_e32 vcc, v0, v0
	v_mov_b32_e32 v5, 0x7fc0
	s_mov_b64 s[2:3], -1
	v_cndmask_b32_sdwa v4, v5, v4, vcc dst_sel:DWORD dst_unused:UNUSED_PAD src0_sel:DWORD src1_sel:WORD_1
	global_store_short v[2:3], v4, off
	s_mov_b64 s[0:1], 0
.LBB65_112:
	s_mov_b64 s[4:5], 0
.LBB65_113:
	s_and_b64 vcc, exec, s[4:5]
	s_cbranch_vccz .LBB65_116
; %bb.114:
	s_cmp_eq_u32 s9, 11
	s_mov_b64 s[0:1], -1
	s_cbranch_scc0 .LBB65_116
; %bb.115:
	s_brev_b32 s0, -2
	v_bitop3_b32 v4, v0, s0, v1 bitop3:0xc8
	v_cmp_ne_u32_e32 vcc, 0, v4
	s_mov_b64 s[2:3], -1
	s_mov_b64 s[0:1], 0
	v_cndmask_b32_e64 v4, 0, 1, vcc
	global_store_byte v[2:3], v4, off
.LBB65_116:
	s_branch .LBB65_35
.LBB65_117:
	s_and_b32 s4, 0xffff, s8
	s_cmp_lt_i32 s4, 5
	s_mov_b64 s[2:3], -1
	s_cbranch_scc1 .LBB65_138
; %bb.118:
	s_cmp_lt_i32 s4, 8
	s_cbranch_scc1 .LBB65_128
; %bb.119:
	s_cmp_lt_i32 s4, 9
	s_cbranch_scc1 .LBB65_125
; %bb.120:
	s_cmp_gt_i32 s4, 9
	s_cbranch_scc0 .LBB65_122
; %bb.121:
	v_cvt_f64_f32_e32 v[4:5], v0
	v_cvt_f64_f32_e32 v[6:7], v1
	global_store_dwordx4 v[2:3], v[4:7], off
	s_mov_b64 s[2:3], 0
.LBB65_122:
	s_andn2_b64 vcc, exec, s[2:3]
	s_cbranch_vccnz .LBB65_124
; %bb.123:
	global_store_dwordx2 v[2:3], v[0:1], off
.LBB65_124:
	s_mov_b64 s[2:3], 0
.LBB65_125:
	s_andn2_b64 vcc, exec, s[2:3]
	s_cbranch_vccnz .LBB65_127
; %bb.126:
	v_cvt_f16_f32_e32 v4, v0
	v_cvt_f16_f32_sdwa v1, v1 dst_sel:WORD_1 dst_unused:UNUSED_PAD src0_sel:DWORD
	s_nop 0
	v_or_b32_e32 v1, v1, v4
	global_store_dword v[2:3], v1, off
.LBB65_127:
	s_mov_b64 s[2:3], 0
.LBB65_128:
	s_andn2_b64 vcc, exec, s[2:3]
	s_cbranch_vccnz .LBB65_137
; %bb.129:
	s_cmp_lt_i32 s4, 6
	s_mov_b64 s[2:3], -1
	s_cbranch_scc1 .LBB65_135
; %bb.130:
	s_cmp_gt_i32 s4, 6
	s_cbranch_scc0 .LBB65_132
; %bb.131:
	v_cvt_f64_f32_e32 v[4:5], v0
	global_store_dwordx2 v[2:3], v[4:5], off
	s_mov_b64 s[2:3], 0
.LBB65_132:
	s_andn2_b64 vcc, exec, s[2:3]
	s_cbranch_vccnz .LBB65_134
; %bb.133:
	global_store_dword v[2:3], v0, off
.LBB65_134:
	s_mov_b64 s[2:3], 0
.LBB65_135:
	s_andn2_b64 vcc, exec, s[2:3]
	s_cbranch_vccnz .LBB65_137
; %bb.136:
	v_cvt_f16_f32_e32 v1, v0
	global_store_short v[2:3], v1, off
.LBB65_137:
	s_mov_b64 s[2:3], 0
.LBB65_138:
	s_andn2_b64 vcc, exec, s[2:3]
	s_cbranch_vccnz .LBB65_154
; %bb.139:
	s_cmp_lt_i32 s4, 2
	s_mov_b64 s[2:3], -1
	s_cbranch_scc1 .LBB65_149
; %bb.140:
	s_cmp_lt_i32 s4, 3
	s_cbranch_scc1 .LBB65_146
; %bb.141:
	s_cmp_gt_i32 s4, 3
	s_cbranch_scc0 .LBB65_143
; %bb.142:
	v_trunc_f32_e32 v1, v0
	s_mov_b32 s2, 0x2f800000
	v_mul_f32_e64 v4, |v1|, s2
	v_floor_f32_e32 v4, v4
	s_mov_b32 s2, 0xcf800000
	v_cvt_u32_f32_e32 v5, v4
	v_fma_f32 v4, v4, s2, |v1|
	v_cvt_u32_f32_e32 v4, v4
	v_ashrrev_i32_e32 v1, 31, v1
	v_xor_b32_e32 v5, v5, v1
	s_mov_b64 s[2:3], 0
	v_xor_b32_e32 v4, v4, v1
	v_sub_co_u32_e32 v4, vcc, v4, v1
	s_nop 1
	v_subb_co_u32_e32 v5, vcc, v5, v1, vcc
	global_store_dwordx2 v[2:3], v[4:5], off
.LBB65_143:
	s_andn2_b64 vcc, exec, s[2:3]
	s_cbranch_vccnz .LBB65_145
; %bb.144:
	v_cvt_i32_f32_e32 v1, v0
	global_store_dword v[2:3], v1, off
.LBB65_145:
	s_mov_b64 s[2:3], 0
.LBB65_146:
	s_andn2_b64 vcc, exec, s[2:3]
	s_cbranch_vccnz .LBB65_148
; %bb.147:
	v_cvt_i32_f32_e32 v1, v0
	global_store_short v[2:3], v1, off
.LBB65_148:
	s_mov_b64 s[2:3], 0
.LBB65_149:
	s_andn2_b64 vcc, exec, s[2:3]
	s_cbranch_vccnz .LBB65_154
; %bb.150:
	s_cmp_gt_i32 s4, 0
	s_mov_b64 s[2:3], -1
	s_cbranch_scc0 .LBB65_152
; %bb.151:
	v_cvt_i32_f32_e32 v1, v0
	s_mov_b64 s[2:3], 0
	global_store_byte v[2:3], v1, off
.LBB65_152:
	s_andn2_b64 vcc, exec, s[2:3]
	s_cbranch_vccnz .LBB65_154
; %bb.153:
	v_trunc_f32_e32 v0, v0
	s_mov_b32 s2, 0x2f800000
	v_mul_f32_e64 v1, |v0|, s2
	v_floor_f32_e32 v1, v1
	s_mov_b32 s2, 0xcf800000
	v_fma_f32 v1, v1, s2, |v0|
	v_cvt_u32_f32_e32 v1, v1
	v_ashrrev_i32_e32 v0, 31, v0
	v_xor_b32_e32 v1, v1, v0
	v_sub_u32_e32 v0, v1, v0
	global_store_byte v[2:3], v0, off
.LBB65_154:
.LBB65_155:
	v_add_u32_e32 v21, 0x80, v21
	s_mov_b64 s[2:3], -1
	s_branch .LBB65_270
.LBB65_156:
	s_mov_b64 s[28:29], -1
                                        ; implicit-def: $vgpr0
.LBB65_157:
	v_mov_b32_e32 v1, 0
.LBB65_158:
	s_mov_b64 s[2:3], 0
.LBB65_159:
	s_and_b64 vcc, exec, s[2:3]
	s_cbranch_vccz .LBB65_164
; %bb.160:
	s_cmp_eq_u32 s6, 29
	s_cbranch_scc0 .LBB65_162
; %bb.161:
	global_load_dwordx2 v[0:1], v[2:3], off
	s_mov_b64 s[0:1], -1
	s_mov_b64 s[28:29], 0
	s_waitcnt vmcnt(0)
	v_ffbh_u32_e32 v4, v1
	v_min_u32_e32 v4, 32, v4
	v_lshlrev_b64 v[0:1], v4, v[0:1]
	v_min_u32_e32 v0, 1, v0
	v_or_b32_e32 v0, v1, v0
	v_cvt_f32_u32_e32 v0, v0
	v_sub_u32_e32 v1, 32, v4
	v_ldexp_f32 v0, v0, v1
	s_branch .LBB65_163
.LBB65_162:
	s_mov_b64 s[28:29], -1
                                        ; implicit-def: $vgpr0
.LBB65_163:
	v_mov_b32_e32 v1, 0
.LBB65_164:
	s_mov_b64 s[2:3], 0
.LBB65_165:
	s_and_b64 vcc, exec, s[2:3]
	s_cbranch_vccz .LBB65_183
; %bb.166:
	s_cmp_lt_i32 s6, 27
	s_cbranch_scc1 .LBB65_169
; %bb.167:
	s_cmp_gt_i32 s6, 27
	s_cbranch_scc0 .LBB65_170
; %bb.168:
	global_load_dword v0, v[2:3], off
	s_mov_b64 s[0:1], 0
	s_waitcnt vmcnt(0)
	v_cvt_f32_u32_e32 v0, v0
	s_branch .LBB65_171
.LBB65_169:
	s_mov_b64 s[0:1], -1
                                        ; implicit-def: $vgpr0
	s_branch .LBB65_174
.LBB65_170:
	s_mov_b64 s[0:1], -1
                                        ; implicit-def: $vgpr0
.LBB65_171:
	s_andn2_b64 vcc, exec, s[0:1]
	s_cbranch_vccnz .LBB65_173
; %bb.172:
	global_load_ushort v0, v[2:3], off
	s_waitcnt vmcnt(0)
	v_cvt_f32_u32_e32 v0, v0
.LBB65_173:
	s_mov_b64 s[0:1], 0
.LBB65_174:
	s_andn2_b64 vcc, exec, s[0:1]
	s_cbranch_vccnz .LBB65_182
; %bb.175:
	global_load_ubyte v1, v[2:3], off
	s_movk_i32 s0, 0x7f
	s_waitcnt vmcnt(0)
	v_cmp_lt_i16_e32 vcc, s0, v1
	s_mov_b64 s[0:1], 0
	s_and_saveexec_b64 s[2:3], vcc
	s_xor_b64 s[2:3], exec, s[2:3]
	s_cbranch_execz .LBB65_195
; %bb.176:
	s_movk_i32 s0, 0x80
	v_cmp_eq_u16_e32 vcc, s0, v1
	s_mov_b64 s[0:1], -1
	s_and_saveexec_b64 s[4:5], vcc
; %bb.177:
	s_xor_b64 s[0:1], exec, -1
; %bb.178:
	s_or_b64 exec, exec, s[4:5]
	s_and_b64 s[0:1], s[0:1], exec
	s_or_saveexec_b64 s[2:3], s[2:3]
	v_mov_b32_e32 v0, 0x7f800001
	s_xor_b64 exec, exec, s[2:3]
	s_cbranch_execnz .LBB65_196
.LBB65_179:
	s_or_b64 exec, exec, s[2:3]
	s_and_saveexec_b64 s[2:3], s[0:1]
	s_cbranch_execz .LBB65_181
.LBB65_180:
	v_lshlrev_b32_e32 v0, 24, v1
	v_and_b32_e32 v1, 0xffff, v1
	v_and_b32_e32 v4, 7, v1
	v_ffbh_u32_e32 v6, v4
	v_min_u32_e32 v6, 32, v6
	v_subrev_u32_e32 v7, 28, v6
	v_bfe_u32 v5, v1, 3, 4
	v_lshlrev_b32_e32 v1, v7, v1
	v_sub_u32_e32 v6, 29, v6
	v_and_b32_e32 v1, 7, v1
	v_cmp_eq_u32_e32 vcc, 0, v5
	v_and_b32_e32 v0, 0x80000000, v0
	s_nop 0
	v_cndmask_b32_e32 v5, v5, v6, vcc
	v_cndmask_b32_e32 v1, v4, v1, vcc
	v_mov_b32_e32 v4, 0x3b800000
	v_lshlrev_b32_e32 v1, 20, v1
	v_lshl_add_u32 v4, v5, 23, v4
	v_or3_b32 v0, v0, v4, v1
.LBB65_181:
	s_or_b64 exec, exec, s[2:3]
.LBB65_182:
	s_mov_b64 s[0:1], -1
	v_mov_b32_e32 v1, 0
.LBB65_183:
	s_branch .LBB65_218
.LBB65_184:
	s_cmp_gt_i32 s6, 22
	s_cbranch_scc0 .LBB65_194
; %bb.185:
	s_cmp_lt_i32 s6, 24
	s_cbranch_scc1 .LBB65_197
; %bb.186:
	s_cmp_gt_i32 s6, 24
	s_cbranch_scc0 .LBB65_198
; %bb.187:
	global_load_ubyte v1, v[2:3], off
	s_movk_i32 s0, 0x7f
	s_waitcnt vmcnt(0)
	v_cmp_lt_i16_e32 vcc, s0, v1
	s_mov_b64 s[0:1], 0
	s_and_saveexec_b64 s[2:3], vcc
	s_xor_b64 s[2:3], exec, s[2:3]
	s_cbranch_execz .LBB65_209
; %bb.188:
	s_movk_i32 s0, 0x80
	v_cmp_eq_u16_e32 vcc, s0, v1
	s_mov_b64 s[0:1], -1
	s_and_saveexec_b64 s[4:5], vcc
; %bb.189:
	s_xor_b64 s[0:1], exec, -1
; %bb.190:
	s_or_b64 exec, exec, s[4:5]
	s_and_b64 s[0:1], s[0:1], exec
	s_or_saveexec_b64 s[2:3], s[2:3]
	v_mov_b32_e32 v0, 0x7f800001
	s_xor_b64 exec, exec, s[2:3]
	s_cbranch_execnz .LBB65_210
.LBB65_191:
	s_or_b64 exec, exec, s[2:3]
	s_and_saveexec_b64 s[2:3], s[0:1]
	s_cbranch_execz .LBB65_193
.LBB65_192:
	v_lshlrev_b32_e32 v0, 24, v1
	v_and_b32_e32 v1, 0xffff, v1
	v_and_b32_e32 v4, 3, v1
	v_ffbh_u32_e32 v6, v4
	v_min_u32_e32 v6, 32, v6
	v_subrev_u32_e32 v7, 29, v6
	v_bfe_u32 v5, v1, 2, 5
	v_lshlrev_b32_e32 v1, v7, v1
	v_sub_u32_e32 v6, 30, v6
	v_and_b32_e32 v1, 3, v1
	v_cmp_eq_u32_e32 vcc, 0, v5
	v_and_b32_e32 v0, 0x80000000, v0
	s_nop 0
	v_cndmask_b32_e32 v5, v5, v6, vcc
	v_cndmask_b32_e32 v1, v4, v1, vcc
	v_mov_b32_e32 v4, 0x37800000
	v_lshlrev_b32_e32 v1, 21, v1
	v_lshl_add_u32 v4, v5, 23, v4
	v_or3_b32 v0, v0, v4, v1
.LBB65_193:
	s_or_b64 exec, exec, s[2:3]
	s_mov_b64 s[0:1], 0
	s_branch .LBB65_199
.LBB65_194:
                                        ; implicit-def: $vgpr0
	s_branch .LBB65_205
.LBB65_195:
	s_or_saveexec_b64 s[2:3], s[2:3]
	v_mov_b32_e32 v0, 0x7f800001
	s_xor_b64 exec, exec, s[2:3]
	s_cbranch_execz .LBB65_179
.LBB65_196:
	v_cmp_ne_u16_e32 vcc, 0, v1
	s_andn2_b64 s[0:1], s[0:1], exec
	s_and_b64 s[4:5], vcc, exec
	v_mov_b32_e32 v0, 0
	s_or_b64 s[0:1], s[0:1], s[4:5]
	s_or_b64 exec, exec, s[2:3]
	s_and_saveexec_b64 s[2:3], s[0:1]
	s_cbranch_execnz .LBB65_180
	s_branch .LBB65_181
.LBB65_197:
	s_mov_b64 s[0:1], -1
                                        ; implicit-def: $vgpr0
	s_branch .LBB65_202
.LBB65_198:
	s_mov_b64 s[0:1], -1
                                        ; implicit-def: $vgpr0
.LBB65_199:
	s_and_b64 vcc, exec, s[0:1]
	s_cbranch_vccz .LBB65_201
; %bb.200:
	global_load_ubyte v0, v[2:3], off
	s_mov_b32 s0, 0x7f800000
	s_waitcnt vmcnt(0)
	v_lshlrev_b32_e32 v0, 24, v0
	v_and_b32_e32 v1, 0x7f000000, v0
	v_ffbh_u32_e32 v4, v1
	v_min_u32_e32 v4, 32, v4
	v_sub_u32_e64 v4, v4, 4 clamp
	v_lshlrev_b32_e32 v6, v4, v1
	v_lshlrev_b32_e32 v4, 23, v4
	v_lshrrev_b32_e32 v6, 4, v6
	v_add_u32_e32 v5, 0x1000000, v1
	v_sub_u32_e32 v4, v6, v4
	v_ashrrev_i32_e32 v5, 8, v5
	v_add_u32_e32 v4, 0x3c000000, v4
	v_and_or_b32 v4, v5, s0, v4
	v_cmp_ne_u32_e32 vcc, 0, v1
	s_brev_b32 s0, 1
	s_nop 0
	v_cndmask_b32_e32 v1, 0, v4, vcc
	v_and_or_b32 v0, v0, s0, v1
.LBB65_201:
	s_mov_b64 s[0:1], 0
.LBB65_202:
	s_andn2_b64 vcc, exec, s[0:1]
	s_cbranch_vccnz .LBB65_204
; %bb.203:
	global_load_ubyte v0, v[2:3], off
	s_movk_i32 s0, 0x7f00
	s_brev_b32 s1, 16
	s_waitcnt vmcnt(0)
	v_lshlrev_b16_e32 v1, 8, v0
	v_lshlrev_b32_e32 v0, 25, v0
	v_lshrrev_b32_e32 v4, 4, v0
	v_and_or_b32 v5, v1, s0, 0.5
	v_or_b32_e32 v4, 0x70000000, v4
	v_add_f32_e32 v5, -0.5, v5
	v_mul_f32_e32 v4, 0x7800000, v4
	v_cmp_gt_u32_e32 vcc, s1, v0
	v_bfe_i32 v1, v1, 0, 16
	s_brev_b32 s0, 1
	v_cndmask_b32_e32 v0, v4, v5, vcc
	v_and_or_b32 v0, v1, s0, v0
.LBB65_204:
	s_mov_b64 s[0:1], -1
	s_cbranch_execnz .LBB65_217
.LBB65_205:
	s_cmp_gt_i32 s6, 14
	s_cbranch_scc0 .LBB65_208
; %bb.206:
	s_cmp_eq_u32 s6, 15
	s_cbranch_scc0 .LBB65_211
; %bb.207:
	global_load_ushort v0, v[2:3], off
	s_mov_b64 s[0:1], -1
	s_mov_b64 s[28:29], 0
	s_waitcnt vmcnt(0)
	v_lshlrev_b32_e32 v0, 16, v0
	s_branch .LBB65_212
.LBB65_208:
	s_mov_b64 s[2:3], -1
                                        ; implicit-def: $vgpr0
	s_branch .LBB65_213
.LBB65_209:
	s_or_saveexec_b64 s[2:3], s[2:3]
	v_mov_b32_e32 v0, 0x7f800001
	s_xor_b64 exec, exec, s[2:3]
	s_cbranch_execz .LBB65_191
.LBB65_210:
	v_cmp_ne_u16_e32 vcc, 0, v1
	s_andn2_b64 s[0:1], s[0:1], exec
	s_and_b64 s[4:5], vcc, exec
	v_mov_b32_e32 v0, 0
	s_or_b64 s[0:1], s[0:1], s[4:5]
	s_or_b64 exec, exec, s[2:3]
	s_and_saveexec_b64 s[2:3], s[0:1]
	s_cbranch_execnz .LBB65_192
	s_branch .LBB65_193
.LBB65_211:
	s_mov_b64 s[28:29], -1
                                        ; implicit-def: $vgpr0
.LBB65_212:
	s_mov_b64 s[2:3], 0
.LBB65_213:
	s_and_b64 vcc, exec, s[2:3]
	s_cbranch_vccz .LBB65_217
; %bb.214:
	s_cmp_eq_u32 s6, 11
	s_cbranch_scc0 .LBB65_216
; %bb.215:
	global_load_ubyte v0, v[2:3], off
	s_mov_b64 s[0:1], -1
	s_mov_b64 s[28:29], 0
	v_mov_b32_e32 v1, 0
	s_waitcnt vmcnt(0)
	v_cmp_ne_u16_e32 vcc, 0, v0
	s_nop 1
	v_cndmask_b32_e64 v0, 0, 1.0, vcc
	s_branch .LBB65_218
.LBB65_216:
	s_mov_b64 s[28:29], -1
                                        ; implicit-def: $vgpr0
.LBB65_217:
	v_mov_b32_e32 v1, 0
.LBB65_218:
	s_branch .LBB65_25
.LBB65_219:
	s_cmp_lt_i32 s6, 5
	s_cbranch_scc1 .LBB65_224
; %bb.220:
	s_cmp_lt_i32 s6, 8
	s_cbranch_scc1 .LBB65_225
; %bb.221:
	;; [unrolled: 3-line block ×3, first 2 shown]
	s_cmp_gt_i32 s6, 9
	s_cbranch_scc0 .LBB65_227
; %bb.223:
	global_load_dwordx4 v[4:7], v[2:3], off
	s_mov_b64 s[0:1], 0
	s_waitcnt vmcnt(0)
	v_cvt_f32_f64_e32 v0, v[4:5]
	v_cvt_f32_f64_e32 v1, v[6:7]
	s_branch .LBB65_228
.LBB65_224:
                                        ; implicit-def: $vgpr1
	s_branch .LBB65_247
.LBB65_225:
	s_mov_b64 s[0:1], -1
                                        ; implicit-def: $vgpr1
	s_branch .LBB65_234
.LBB65_226:
	s_mov_b64 s[0:1], -1
                                        ; implicit-def: $vgpr1
	s_branch .LBB65_231
.LBB65_227:
	s_mov_b64 s[0:1], -1
                                        ; implicit-def: $vgpr1
.LBB65_228:
	s_andn2_b64 vcc, exec, s[0:1]
	s_cbranch_vccnz .LBB65_230
; %bb.229:
	global_load_dwordx2 v[0:1], v[2:3], off
.LBB65_230:
	s_mov_b64 s[0:1], 0
.LBB65_231:
	s_andn2_b64 vcc, exec, s[0:1]
	s_cbranch_vccnz .LBB65_233
; %bb.232:
	global_load_dword v0, v[2:3], off
	s_waitcnt vmcnt(0)
	v_cvt_f32_f16_sdwa v1, v0 dst_sel:DWORD dst_unused:UNUSED_PAD src0_sel:WORD_1
	v_cvt_f32_f16_e32 v0, v0
.LBB65_233:
	s_mov_b64 s[0:1], 0
.LBB65_234:
	s_andn2_b64 vcc, exec, s[0:1]
	s_cbranch_vccnz .LBB65_246
; %bb.235:
	s_cmp_lt_i32 s6, 6
	s_cbranch_scc1 .LBB65_238
; %bb.236:
	s_cmp_gt_i32 s6, 6
	s_cbranch_scc0 .LBB65_239
; %bb.237:
	global_load_dwordx2 v[0:1], v[2:3], off
	s_mov_b64 s[0:1], 0
	s_waitcnt vmcnt(0)
	v_cvt_f32_f64_e32 v0, v[0:1]
	s_branch .LBB65_240
.LBB65_238:
	s_mov_b64 s[0:1], -1
                                        ; implicit-def: $vgpr0
	s_branch .LBB65_243
.LBB65_239:
	s_mov_b64 s[0:1], -1
                                        ; implicit-def: $vgpr0
.LBB65_240:
	s_andn2_b64 vcc, exec, s[0:1]
	s_cbranch_vccnz .LBB65_242
; %bb.241:
	global_load_dword v0, v[2:3], off
.LBB65_242:
	s_mov_b64 s[0:1], 0
.LBB65_243:
	s_andn2_b64 vcc, exec, s[0:1]
	s_cbranch_vccnz .LBB65_245
; %bb.244:
	global_load_ushort v0, v[2:3], off
	s_waitcnt vmcnt(0)
	v_cvt_f32_f16_e32 v0, v0
.LBB65_245:
	s_waitcnt vmcnt(0)
	v_mov_b32_e32 v1, 0
.LBB65_246:
	s_cbranch_execnz .LBB65_267
.LBB65_247:
	s_cmp_lt_i32 s6, 2
	s_cbranch_scc1 .LBB65_251
; %bb.248:
	s_cmp_lt_i32 s6, 3
	s_cbranch_scc1 .LBB65_252
; %bb.249:
	s_cmp_gt_i32 s6, 3
	s_cbranch_scc0 .LBB65_253
; %bb.250:
	global_load_dwordx2 v[0:1], v[2:3], off
	s_mov_b64 s[0:1], 0
	s_waitcnt vmcnt(0)
	v_xor_b32_e32 v5, v0, v1
	v_ffbh_i32_e32 v4, v1
	v_ashrrev_i32_e32 v5, 31, v5
	v_add_u32_e32 v4, -1, v4
	v_add_u32_e32 v5, 32, v5
	v_min_u32_e32 v4, v4, v5
	v_lshlrev_b64 v[0:1], v4, v[0:1]
	v_min_u32_e32 v0, 1, v0
	v_or_b32_e32 v0, v1, v0
	v_cvt_f32_i32_e32 v0, v0
	v_sub_u32_e32 v1, 32, v4
	v_ldexp_f32 v0, v0, v1
	s_branch .LBB65_254
.LBB65_251:
	s_mov_b64 s[0:1], -1
                                        ; implicit-def: $vgpr0
	s_branch .LBB65_260
.LBB65_252:
	s_mov_b64 s[0:1], -1
                                        ; implicit-def: $vgpr0
	s_branch .LBB65_257
.LBB65_253:
	s_mov_b64 s[0:1], -1
                                        ; implicit-def: $vgpr0
.LBB65_254:
	s_andn2_b64 vcc, exec, s[0:1]
	s_cbranch_vccnz .LBB65_256
; %bb.255:
	global_load_dword v0, v[2:3], off
	s_waitcnt vmcnt(0)
	v_cvt_f32_i32_e32 v0, v0
.LBB65_256:
	s_mov_b64 s[0:1], 0
.LBB65_257:
	s_andn2_b64 vcc, exec, s[0:1]
	s_cbranch_vccnz .LBB65_259
; %bb.258:
	global_load_sshort v0, v[2:3], off
	s_waitcnt vmcnt(0)
	v_cvt_f32_i32_e32 v0, v0
.LBB65_259:
	s_mov_b64 s[0:1], 0
.LBB65_260:
	s_andn2_b64 vcc, exec, s[0:1]
	s_cbranch_vccnz .LBB65_266
; %bb.261:
	s_cmp_gt_i32 s6, 0
	s_cbranch_scc0 .LBB65_263
; %bb.262:
	global_load_sbyte v0, v[2:3], off
	s_mov_b64 s[0:1], 0
	s_waitcnt vmcnt(0)
	v_cvt_f32_i32_e32 v0, v0
	s_branch .LBB65_264
.LBB65_263:
	s_mov_b64 s[0:1], -1
                                        ; implicit-def: $vgpr0
.LBB65_264:
	s_andn2_b64 vcc, exec, s[0:1]
	s_cbranch_vccnz .LBB65_266
; %bb.265:
	global_load_ubyte v0, v[2:3], off
	s_waitcnt vmcnt(0)
	v_cvt_f32_ubyte0_e32 v0, v0
.LBB65_266:
	s_waitcnt vmcnt(0)
	v_mov_b32_e32 v1, 0
.LBB65_267:
	s_branch .LBB65_26
.LBB65_268:
	s_mov_b64 s[0:1], 0
.LBB65_269:
	s_mov_b64 s[2:3], 0
                                        ; implicit-def: $vgpr21
.LBB65_270:
	s_and_b64 s[54:55], s[0:1], exec
	s_and_b64 s[56:57], s[28:29], exec
	s_orn2_b64 s[2:3], s[2:3], exec
.LBB65_271:
	s_or_b64 exec, exec, s[58:59]
	s_mov_b64 s[4:5], 0
	s_mov_b64 s[0:1], 0
                                        ; implicit-def: $vgpr0_vgpr1
                                        ; implicit-def: $vgpr22
                                        ; implicit-def: $vgpr3
	s_and_saveexec_b64 s[58:59], s[2:3]
	s_cbranch_execz .LBB65_279
; %bb.272:
	v_cmp_gt_i32_e32 vcc, s70, v21
	s_mov_b64 s[0:1], -1
	s_mov_b64 s[60:61], s[56:57]
	s_mov_b64 s[62:63], s[54:55]
	s_and_saveexec_b64 s[64:65], vcc
	s_cbranch_execz .LBB65_553
; %bb.273:
	s_andn2_b64 vcc, exec, s[42:43]
	s_cbranch_vccnz .LBB65_282
; %bb.274:
	s_andn2_b64 vcc, exec, s[52:53]
	s_cbranch_vccnz .LBB65_283
; %bb.275:
	s_add_i32 s63, s75, 1
	s_cmp_eq_u32 s72, 2
	s_cbranch_scc1 .LBB65_284
; %bb.276:
	s_and_b32 s62, s63, 28
	s_mov_b32 s66, 0
	v_mov_b32_e32 v22, 0
	s_waitcnt vmcnt(0)
	v_mov_b32_e32 v0, 0
	s_mov_b64 s[16:17], s[34:35]
	s_mov_b64 s[60:61], s[50:51]
	v_mov_b32_e32 v2, v21
.LBB65_277:                             ; =>This Inner Loop Header: Depth=1
	s_load_dwordx8 s[8:15], s[16:17], 0x4
	s_load_dwordx4 s[28:31], s[16:17], 0x24
	s_load_dwordx8 s[0:7], s[60:61], 0x0
	s_add_u32 s16, s16, 48
	s_addc_u32 s17, s17, 0
	s_waitcnt lgkmcnt(0)
	v_mul_hi_u32 v1, s9, v2
	v_add_u32_e32 v1, v2, v1
	v_lshrrev_b32_e32 v1, s10, v1
	v_mul_lo_u32 v3, v1, s8
	v_mul_hi_u32 v4, s12, v1
	v_sub_u32_e32 v2, v2, v3
	v_add_u32_e32 v3, v1, v4
	v_lshrrev_b32_e32 v3, s13, v3
	v_mul_lo_u32 v5, v3, s11
	v_mul_hi_u32 v6, s15, v3
	v_sub_u32_e32 v1, v1, v5
	v_add_u32_e32 v5, v3, v6
	v_mul_lo_u32 v4, v2, s1
	v_mul_lo_u32 v2, v2, s0
	;; [unrolled: 1-line block ×4, first 2 shown]
	v_lshrrev_b32_e32 v5, s28, v5
	v_add3_u32 v1, v2, v22, v1
	v_add3_u32 v0, v4, v0, v6
	v_mul_lo_u32 v2, v5, s14
	v_mul_hi_u32 v4, s30, v5
	v_sub_u32_e32 v2, v3, v2
	v_add_u32_e32 v3, v5, v4
	v_mul_lo_u32 v4, v2, s4
	v_mul_lo_u32 v6, v2, s5
	v_lshrrev_b32_e32 v2, s31, v3
	s_add_i32 s66, s66, 4
	v_mul_lo_u32 v3, v2, s29
	s_add_u32 s60, s60, 32
	v_sub_u32_e32 v3, v5, v3
	s_addc_u32 s61, s61, 0
	v_mul_lo_u32 v5, v3, s6
	v_mul_lo_u32 v3, v3, s7
	s_cmp_eq_u32 s62, s66
	v_add3_u32 v0, v6, v0, v3
	v_add3_u32 v22, v4, v1, v5
	s_cbranch_scc0 .LBB65_277
; %bb.278:
	v_mov_b32_e32 v1, v0
	s_branch .LBB65_285
.LBB65_279:
	s_or_b64 exec, exec, s[58:59]
	s_waitcnt lgkmcnt(0)
	s_mov_b64 s[22:23], 0
	s_and_saveexec_b64 s[2:3], s[56:57]
	s_cbranch_execnz .LBB65_939
.LBB65_280:
	s_or_b64 exec, exec, s[2:3]
	s_and_saveexec_b64 s[2:3], s[62:63]
	s_xor_b64 s[2:3], exec, s[2:3]
	s_cbranch_execz .LBB65_940
.LBB65_281:
	s_waitcnt vmcnt(0)
	global_load_ubyte v2, v[0:1], off
	v_mov_b32_e32 v3, 0
	s_or_b64 s[0:1], s[0:1], exec
	s_waitcnt vmcnt(0)
	v_cmp_ne_u16_e32 vcc, 0, v2
	s_nop 1
	v_cndmask_b32_e64 v2, 0, 1.0, vcc
	s_or_b64 exec, exec, s[2:3]
	s_and_saveexec_b64 s[2:3], s[4:5]
	s_cbranch_execz .LBB65_988
	s_branch .LBB65_941
.LBB65_282:
                                        ; implicit-def: $vgpr0
                                        ; implicit-def: $vgpr22
	s_andn2_b64 vcc, exec, s[0:1]
	s_cbranch_vccz .LBB65_289
	s_branch .LBB65_291
.LBB65_283:
	s_waitcnt vmcnt(0)
	v_mov_b32_e32 v0, 0
	v_mov_b32_e32 v22, 0
	s_branch .LBB65_288
.LBB65_284:
	v_mov_b32_e32 v22, 0
	s_mov_b32 s62, 0
	s_waitcnt vmcnt(0)
	v_mov_b32_e32 v1, v22
                                        ; implicit-def: $vgpr0
	v_mov_b32_e32 v2, v21
.LBB65_285:
	s_and_b32 s4, s63, 3
	s_cmp_eq_u32 s4, 0
	s_cbranch_scc1 .LBB65_288
; %bb.286:
	s_lshl_b32 s0, s62, 3
	s_add_u32 s0, s34, s0
	s_addc_u32 s1, s35, 0
	s_add_u32 s0, s0, 0xc4
	s_addc_u32 s1, s1, 0
	s_mul_i32 s2, s62, 12
	s_add_u32 s2, s34, s2
	s_addc_u32 s3, s35, 0
.LBB65_287:                             ; =>This Inner Loop Header: Depth=1
	s_load_dwordx2 s[6:7], s[2:3], 0x4
	s_load_dword s5, s[2:3], 0xc
	s_load_dwordx2 s[8:9], s[0:1], 0x0
	v_mov_b32_e32 v0, v1
	s_add_u32 s2, s2, 12
	s_waitcnt lgkmcnt(0)
	v_mul_hi_u32 v1, s7, v2
	v_add_u32_e32 v1, v2, v1
	v_lshrrev_b32_e32 v1, s5, v1
	s_addc_u32 s3, s3, 0
	v_mul_lo_u32 v3, v1, s6
	s_add_u32 s0, s0, 8
	v_sub_u32_e32 v3, v2, v3
	s_addc_u32 s1, s1, 0
	s_add_i32 s4, s4, -1
	v_mov_b32_e32 v2, v1
	v_mad_u64_u32 v[0:1], s[6:7], v3, s9, v[0:1]
	s_cmp_lg_u32 s4, 0
	v_mad_u64_u32 v[22:23], s[6:7], v3, s8, v[22:23]
	v_mov_b32_e32 v1, v0
	s_cbranch_scc1 .LBB65_287
.LBB65_288:
	s_cbranch_execnz .LBB65_291
.LBB65_289:
	s_waitcnt vmcnt(0) lgkmcnt(0)
	v_mul_hi_u32 v0, s37, v21
	v_add_u32_e32 v0, v21, v0
	v_lshrrev_b32_e32 v1, s38, v0
	v_mul_lo_u32 v0, v1, s36
	v_sub_u32_e32 v2, v21, v0
	v_mul_lo_u32 v0, v2, s25
	s_andn2_b64 vcc, exec, s[48:49]
	v_mul_lo_u32 v22, v2, s24
	s_cbranch_vccnz .LBB65_291
; %bb.290:
	v_mul_hi_u32 v2, s46, v1
	v_add_u32_e32 v2, v1, v2
	v_lshrrev_b32_e32 v2, s47, v2
	v_mul_lo_u32 v2, v2, s39
	v_sub_u32_e32 v1, v1, v2
	v_mad_u64_u32 v[22:23], s[0:1], v1, s26, v[22:23]
	v_mad_u64_u32 v[0:1], s[0:1], v1, s27, v[0:1]
.LBB65_291:
	s_waitcnt vmcnt(0)
	v_mov_b32_e32 v1, 0
	s_and_b32 s6, 0xffff, s74
	s_cmp_lt_i32 s6, 11
	s_waitcnt lgkmcnt(0)
	v_lshl_add_u64 v[2:3], s[22:23], 0, v[0:1]
	s_cbranch_scc1 .LBB65_298
; %bb.292:
	s_cmp_gt_i32 s6, 25
	s_cbranch_scc0 .LBB65_307
; %bb.293:
	s_cmp_gt_i32 s6, 28
	s_cbranch_scc0 .LBB65_309
	;; [unrolled: 3-line block ×4, first 2 shown]
; %bb.296:
	s_cmp_eq_u32 s6, 46
	s_mov_b64 s[2:3], 0
	s_cbranch_scc0 .LBB65_319
; %bb.297:
	global_load_dword v0, v[2:3], off
	s_mov_b64 s[0:1], -1
	s_mov_b64 s[28:29], 0
	s_waitcnt vmcnt(0)
	v_and_b32_e32 v1, 0xffff0000, v0
	v_lshlrev_b32_e32 v0, 16, v0
	s_branch .LBB65_320
.LBB65_298:
	s_mov_b64 s[0:1], 0
                                        ; implicit-def: $vgpr1
	s_mov_b64 s[28:29], s[56:57]
	s_cbranch_execnz .LBB65_500
.LBB65_299:
	s_andn2_b64 vcc, exec, s[0:1]
	s_cbranch_vccnz .LBB65_550
.LBB65_300:
	s_getpc_b64 s[0:1]
	s_add_u32 s0, s0, _ZN16c10_complex_math3expIfEEN3c107complexIT_EERKS4_@rel32@lo+4
	s_addc_u32 s1, s1, _ZN16c10_complex_math3expIfEEN3c107complexIT_EERKS4_@rel32@hi+12
	s_swappc_b64 s[30:31], s[0:1]
	v_mov_b32_e32 v23, 0
	s_and_b32 s8, s73, 0xff
	s_cmp_lt_i32 s8, 11
	v_lshl_add_u64 v[2:3], s[20:21], 0, v[22:23]
	s_cbranch_scc1 .LBB65_308
; %bb.301:
	s_and_b32 s9, 0xffff, s8
	s_cmp_gt_i32 s9, 25
	s_cbranch_scc0 .LBB65_310
; %bb.302:
	s_cmp_gt_i32 s9, 28
	s_cbranch_scc0 .LBB65_312
; %bb.303:
	;; [unrolled: 3-line block ×4, first 2 shown]
	s_mov_b64 s[4:5], 0
	s_mov_b64 s[0:1], -1
	s_cmp_eq_u32 s9, 46
	s_mov_b64 s[2:3], 0
	s_cbranch_scc0 .LBB65_324
; %bb.306:
	s_movk_i32 s0, 0x7fff
	v_bfe_u32 v5, v1, 16, 1
	v_add3_u32 v5, v1, v5, s0
	v_bfe_u32 v4, v0, 16, 1
	v_and_b32_e32 v5, 0xffff0000, v5
	v_mov_b32_e32 v6, 0x7fc00000
	v_cmp_o_f32_e32 vcc, v1, v1
	v_add3_u32 v4, v0, v4, s0
	s_mov_b64 s[2:3], -1
	v_cndmask_b32_e32 v5, v6, v5, vcc
	v_cmp_o_f32_e32 vcc, v0, v0
	v_mov_b32_e32 v6, 0x7fc0
	s_mov_b64 s[0:1], 0
	v_cndmask_b32_sdwa v4, v6, v4, vcc dst_sel:DWORD dst_unused:UNUSED_PAD src0_sel:DWORD src1_sel:WORD_1
	v_or_b32_e32 v4, v5, v4
	global_store_dword v[2:3], v4, off
	s_branch .LBB65_324
.LBB65_307:
	s_mov_b64 s[2:3], -1
	s_mov_b64 s[0:1], 0
	s_mov_b64 s[28:29], s[56:57]
                                        ; implicit-def: $vgpr1
	s_branch .LBB65_463
.LBB65_308:
	s_mov_b64 s[4:5], -1
	s_mov_b64 s[2:3], 0
	s_mov_b64 s[0:1], s[54:55]
	s_branch .LBB65_393
.LBB65_309:
	s_mov_b64 s[2:3], -1
	s_mov_b64 s[0:1], 0
	s_mov_b64 s[28:29], s[56:57]
                                        ; implicit-def: $vgpr1
	s_branch .LBB65_444
.LBB65_310:
	s_mov_b64 s[4:5], -1
	s_mov_b64 s[2:3], 0
	s_mov_b64 s[0:1], s[54:55]
	s_branch .LBB65_351
.LBB65_311:
	s_mov_b64 s[2:3], -1
	s_mov_b64 s[0:1], 0
	s_mov_b64 s[28:29], s[56:57]
                                        ; implicit-def: $vgpr1
	s_branch .LBB65_438
.LBB65_312:
	s_mov_b64 s[4:5], -1
	s_mov_b64 s[2:3], 0
	s_mov_b64 s[0:1], s[54:55]
	s_branch .LBB65_334
.LBB65_313:
	s_andn2_saveexec_b64 s[6:7], s[6:7]
	s_cbranch_execz .LBB65_69
.LBB65_314:
	s_mov_b32 s10, 0x46000000
	v_add_f32_e64 v4, |v0|, s10
	v_and_b32_e32 v4, 0xff, v4
	v_cmp_ne_u32_e32 vcc, 0, v4
	s_andn2_b64 s[4:5], s[4:5], exec
	s_and_b64 s[10:11], vcc, exec
	s_or_b64 s[4:5], s[4:5], s[10:11]
	s_or_b64 exec, exec, s[6:7]
	v_mov_b32_e32 v5, 0
	s_and_saveexec_b64 s[6:7], s[4:5]
	s_cbranch_execnz .LBB65_70
	s_branch .LBB65_71
.LBB65_315:
	s_mov_b64 s[2:3], -1
	s_mov_b64 s[0:1], 0
	s_mov_b64 s[28:29], s[56:57]
                                        ; implicit-def: $vgpr1
	s_branch .LBB65_320
.LBB65_316:
	s_mov_b64 s[4:5], -1
	s_mov_b64 s[2:3], 0
	s_mov_b64 s[0:1], s[54:55]
	s_branch .LBB65_330
.LBB65_317:
	s_andn2_saveexec_b64 s[6:7], s[6:7]
	s_cbranch_execz .LBB65_82
.LBB65_318:
	s_mov_b32 s10, 0x42800000
	v_add_f32_e64 v4, |v0|, s10
	v_and_b32_e32 v4, 0xff, v4
	v_cmp_ne_u32_e32 vcc, 0, v4
	s_andn2_b64 s[4:5], s[4:5], exec
	s_and_b64 s[10:11], vcc, exec
	s_or_b64 s[4:5], s[4:5], s[10:11]
	s_or_b64 exec, exec, s[6:7]
	v_mov_b32_e32 v5, 0
	s_and_saveexec_b64 s[6:7], s[4:5]
	s_cbranch_execnz .LBB65_83
	s_branch .LBB65_84
.LBB65_319:
	s_mov_b64 s[28:29], -1
                                        ; implicit-def: $vgpr1
	s_mov_b64 s[0:1], 0
.LBB65_320:
	s_and_b64 vcc, exec, s[2:3]
	s_cbranch_vccz .LBB65_437
; %bb.321:
	s_cmp_eq_u32 s6, 44
	s_cbranch_scc0 .LBB65_435
; %bb.322:
	global_load_ubyte v0, v[2:3], off
	s_movk_i32 s2, 0xff
	v_mov_b32_e32 v1, 0x7f800001
	v_mov_b32_e32 v4, 0x400000
	s_mov_b64 s[0:1], -1
	s_mov_b64 s[28:29], 0
	s_waitcnt vmcnt(0)
	v_lshlrev_b32_e32 v5, 23, v0
	v_cmp_ne_u32_e32 vcc, s2, v0
	s_nop 1
	v_cndmask_b32_e32 v1, v1, v5, vcc
	v_cmp_ne_u32_e32 vcc, 0, v0
	s_nop 1
	v_cndmask_b32_e32 v0, v4, v1, vcc
	s_branch .LBB65_436
.LBB65_323:
	s_mov_b64 s[4:5], -1
	s_mov_b64 s[2:3], 0
	s_mov_b64 s[0:1], s[54:55]
.LBB65_324:
	s_and_b64 vcc, exec, s[4:5]
	s_cbranch_vccz .LBB65_329
; %bb.325:
	s_cmp_eq_u32 s9, 44
	s_mov_b64 s[0:1], -1
	s_cbranch_scc0 .LBB65_329
; %bb.326:
	v_bfe_u32 v4, v0, 23, 8
	s_movk_i32 s0, 0xff
	v_cmp_ne_u32_e32 vcc, s0, v4
	v_mov_b32_e32 v5, 0xff
	s_and_saveexec_b64 s[2:3], vcc
; %bb.327:
	s_mov_b32 s0, 0x3fffff
	v_and_b32_e32 v6, 0x400000, v0
	v_and_or_b32 v4, v0, s0, v4
	v_cmp_ne_u32_e32 vcc, 0, v6
	v_cmp_ne_u32_e64 s[0:1], 0, v4
	s_and_b64 s[0:1], vcc, s[0:1]
	v_lshrrev_b32_e32 v5, 23, v0
	v_cndmask_b32_e64 v4, 0, 1, s[0:1]
	v_add_u32_e32 v5, v5, v4
; %bb.328:
	s_or_b64 exec, exec, s[2:3]
	s_mov_b64 s[2:3], -1
	s_mov_b64 s[0:1], 0
	global_store_byte v[2:3], v5, off
.LBB65_329:
	s_mov_b64 s[4:5], 0
.LBB65_330:
	s_and_b64 vcc, exec, s[4:5]
	s_cbranch_vccz .LBB65_333
; %bb.331:
	s_cmp_eq_u32 s9, 29
	s_mov_b64 s[0:1], -1
	s_cbranch_scc0 .LBB65_333
; %bb.332:
	v_trunc_f32_e32 v4, v0
	v_mul_f32_e32 v5, 0x2f800000, v4
	v_floor_f32_e32 v6, v5
	v_fmamk_f32 v4, v6, 0xcf800000, v4
	v_cvt_u32_f32_e32 v5, v6
	v_cvt_u32_f32_e32 v4, v4
	s_mov_b64 s[2:3], -1
	s_mov_b64 s[0:1], 0
	s_mov_b64 s[4:5], 0
	global_store_dwordx2 v[2:3], v[4:5], off
	s_branch .LBB65_334
.LBB65_333:
	s_mov_b64 s[4:5], 0
.LBB65_334:
	s_and_b64 vcc, exec, s[4:5]
	s_cbranch_vccz .LBB65_350
; %bb.335:
	s_cmp_lt_i32 s9, 27
	s_mov_b64 s[2:3], -1
	s_cbranch_scc1 .LBB65_341
; %bb.336:
	v_cvt_u32_f32_e32 v4, v0
	s_cmp_gt_i32 s9, 27
	s_cbranch_scc0 .LBB65_338
; %bb.337:
	s_mov_b64 s[2:3], 0
	global_store_dword v[2:3], v4, off
.LBB65_338:
	s_andn2_b64 vcc, exec, s[2:3]
	s_cbranch_vccnz .LBB65_340
; %bb.339:
	global_store_short v[2:3], v4, off
.LBB65_340:
	s_mov_b64 s[2:3], 0
.LBB65_341:
	s_andn2_b64 vcc, exec, s[2:3]
	s_cbranch_vccnz .LBB65_349
; %bb.342:
	v_and_b32_e32 v4, 0x7fffffff, v0
	s_mov_b32 s2, 0x43800000
	v_cmp_gt_u32_e32 vcc, s2, v4
	v_mov_b32_e32 v5, 0x80
	s_and_saveexec_b64 s[2:3], vcc
	s_cbranch_execz .LBB65_348
; %bb.343:
	s_mov_b32 s4, 0x3bffffff
	v_cmp_lt_u32_e32 vcc, s4, v4
	s_mov_b64 s[4:5], 0
                                        ; implicit-def: $vgpr4
	s_and_saveexec_b64 s[6:7], vcc
	s_xor_b64 s[6:7], exec, s[6:7]
	s_cbranch_execz .LBB65_582
; %bb.344:
	v_bfe_u32 v4, v0, 20, 1
	s_mov_b32 s10, 0x487ffff
	v_add3_u32 v4, v0, v4, s10
	s_mov_b64 s[4:5], exec
	v_lshrrev_b32_e32 v4, 20, v4
	s_andn2_saveexec_b64 s[6:7], s[6:7]
	s_cbranch_execnz .LBB65_583
.LBB65_345:
	s_or_b64 exec, exec, s[6:7]
	v_mov_b32_e32 v5, 0
	s_and_saveexec_b64 s[6:7], s[4:5]
.LBB65_346:
	v_lshrrev_b32_e32 v5, 24, v0
	s_movk_i32 s4, 0x80
	v_and_or_b32 v5, v5, s4, v4
.LBB65_347:
	s_or_b64 exec, exec, s[6:7]
.LBB65_348:
	s_or_b64 exec, exec, s[2:3]
	global_store_byte v[2:3], v5, off
.LBB65_349:
	s_mov_b64 s[2:3], -1
.LBB65_350:
	s_mov_b64 s[4:5], 0
.LBB65_351:
	s_and_b64 vcc, exec, s[4:5]
	s_cbranch_vccz .LBB65_392
; %bb.352:
	s_cmp_gt_i32 s9, 22
	s_mov_b64 s[4:5], -1
	s_cbranch_scc0 .LBB65_384
; %bb.353:
	s_cmp_lt_i32 s9, 24
	s_mov_b64 s[2:3], -1
	s_cbranch_scc1 .LBB65_373
; %bb.354:
	s_cmp_gt_i32 s9, 24
	s_cbranch_scc0 .LBB65_362
; %bb.355:
	v_and_b32_e32 v4, 0x7fffffff, v0
	s_mov_b32 s2, 0x47800000
	v_cmp_gt_u32_e32 vcc, s2, v4
	v_mov_b32_e32 v5, 0x80
	s_and_saveexec_b64 s[2:3], vcc
	s_cbranch_execz .LBB65_361
; %bb.356:
	s_mov_b32 s4, 0x37ffffff
	v_cmp_lt_u32_e32 vcc, s4, v4
	s_mov_b64 s[4:5], 0
                                        ; implicit-def: $vgpr4
	s_and_saveexec_b64 s[6:7], vcc
	s_xor_b64 s[6:7], exec, s[6:7]
	s_cbranch_execz .LBB65_585
; %bb.357:
	v_bfe_u32 v4, v0, 21, 1
	s_mov_b32 s10, 0x88fffff
	v_add3_u32 v4, v0, v4, s10
	s_mov_b64 s[4:5], exec
	v_lshrrev_b32_e32 v4, 21, v4
	s_andn2_saveexec_b64 s[6:7], s[6:7]
	s_cbranch_execnz .LBB65_586
.LBB65_358:
	s_or_b64 exec, exec, s[6:7]
	v_mov_b32_e32 v5, 0
	s_and_saveexec_b64 s[6:7], s[4:5]
.LBB65_359:
	v_lshrrev_b32_e32 v5, 24, v0
	s_movk_i32 s4, 0x80
	v_and_or_b32 v5, v5, s4, v4
.LBB65_360:
	s_or_b64 exec, exec, s[6:7]
.LBB65_361:
	s_or_b64 exec, exec, s[2:3]
	s_mov_b64 s[2:3], 0
	global_store_byte v[2:3], v5, off
.LBB65_362:
	s_and_b64 vcc, exec, s[2:3]
	s_cbranch_vccz .LBB65_372
; %bb.363:
	v_and_b32_e32 v5, 0x7fffffff, v0
	s_mov_b32 s2, 0x43f00000
	v_cmp_gt_u32_e32 vcc, s2, v5
                                        ; implicit-def: $vgpr4
	s_and_saveexec_b64 s[2:3], vcc
	s_xor_b64 s[2:3], exec, s[2:3]
	s_cbranch_execz .LBB65_369
; %bb.364:
	s_mov_b32 s4, 0x3c7fffff
	v_cmp_lt_u32_e32 vcc, s4, v5
                                        ; implicit-def: $vgpr4
	s_and_saveexec_b64 s[4:5], vcc
	s_xor_b64 s[4:5], exec, s[4:5]
; %bb.365:
	v_bfe_u32 v4, v0, 20, 1
	s_mov_b32 s6, 0x407ffff
	v_add3_u32 v4, v0, v4, s6
	v_lshrrev_b32_e32 v5, 20, v4
	v_and_b32_e32 v4, 0xff00000, v4
	s_mov_b32 s6, 0x7f00000
	v_mov_b32_e32 v6, 0x7e
	v_cmp_ne_u32_e32 vcc, s6, v4
	s_nop 1
	v_cndmask_b32_e32 v4, v6, v5, vcc
; %bb.366:
	s_andn2_saveexec_b64 s[4:5], s[4:5]
; %bb.367:
	s_mov_b32 s6, 0x46800000
	v_add_f32_e64 v4, |v0|, s6
; %bb.368:
	s_or_b64 exec, exec, s[4:5]
                                        ; implicit-def: $vgpr5
.LBB65_369:
	s_andn2_saveexec_b64 s[2:3], s[2:3]
; %bb.370:
	s_mov_b32 s4, 0x7f800000
	v_mov_b32_e32 v4, 0x7e
	v_mov_b32_e32 v6, 0x7f
	v_cmp_lt_u32_e32 vcc, s4, v5
	s_nop 1
	v_cndmask_b32_e32 v4, v4, v6, vcc
; %bb.371:
	s_or_b64 exec, exec, s[2:3]
	v_lshrrev_b32_e32 v5, 24, v0
	s_movk_i32 s2, 0x80
	v_and_or_b32 v4, v5, s2, v4
	global_store_byte v[2:3], v4, off
.LBB65_372:
	s_mov_b64 s[2:3], 0
.LBB65_373:
	s_andn2_b64 vcc, exec, s[2:3]
	s_cbranch_vccnz .LBB65_383
; %bb.374:
	v_and_b32_e32 v5, 0x7fffffff, v0
	s_mov_b32 s2, 0x47800000
	v_cmp_gt_u32_e32 vcc, s2, v5
                                        ; implicit-def: $vgpr4
	s_and_saveexec_b64 s[2:3], vcc
	s_xor_b64 s[2:3], exec, s[2:3]
	s_cbranch_execz .LBB65_380
; %bb.375:
	s_mov_b32 s4, 0x387fffff
	v_cmp_lt_u32_e32 vcc, s4, v5
                                        ; implicit-def: $vgpr4
	s_and_saveexec_b64 s[4:5], vcc
	s_xor_b64 s[4:5], exec, s[4:5]
; %bb.376:
	v_bfe_u32 v4, v0, 21, 1
	s_mov_b32 s6, 0x80fffff
	v_add3_u32 v4, v0, v4, s6
	v_lshrrev_b32_e32 v4, 21, v4
; %bb.377:
	s_andn2_saveexec_b64 s[4:5], s[4:5]
; %bb.378:
	s_mov_b32 s6, 0x43000000
	v_add_f32_e64 v4, |v0|, s6
; %bb.379:
	s_or_b64 exec, exec, s[4:5]
                                        ; implicit-def: $vgpr5
.LBB65_380:
	s_andn2_saveexec_b64 s[2:3], s[2:3]
; %bb.381:
	s_mov_b32 s4, 0x7f800000
	v_mov_b32_e32 v4, 0x7c
	v_mov_b32_e32 v6, 0x7f
	v_cmp_lt_u32_e32 vcc, s4, v5
	s_nop 1
	v_cndmask_b32_e32 v4, v4, v6, vcc
; %bb.382:
	s_or_b64 exec, exec, s[2:3]
	v_lshrrev_b32_e32 v5, 24, v0
	s_movk_i32 s2, 0x80
	v_and_or_b32 v4, v5, s2, v4
	global_store_byte v[2:3], v4, off
.LBB65_383:
	s_mov_b64 s[4:5], 0
	s_mov_b64 s[2:3], -1
.LBB65_384:
	s_andn2_b64 vcc, exec, s[4:5]
	s_cbranch_vccnz .LBB65_392
; %bb.385:
	s_cmp_gt_i32 s9, 14
	s_mov_b64 s[4:5], -1
	s_cbranch_scc0 .LBB65_389
; %bb.386:
	s_cmp_eq_u32 s9, 15
	s_mov_b64 s[0:1], -1
	s_cbranch_scc0 .LBB65_388
; %bb.387:
	v_bfe_u32 v4, v0, 16, 1
	s_movk_i32 s0, 0x7fff
	v_add3_u32 v4, v0, v4, s0
	v_cmp_o_f32_e32 vcc, v0, v0
	v_mov_b32_e32 v5, 0x7fc0
	s_mov_b64 s[2:3], -1
	v_cndmask_b32_sdwa v4, v5, v4, vcc dst_sel:DWORD dst_unused:UNUSED_PAD src0_sel:DWORD src1_sel:WORD_1
	global_store_short v[2:3], v4, off
	s_mov_b64 s[0:1], 0
.LBB65_388:
	s_mov_b64 s[4:5], 0
.LBB65_389:
	s_and_b64 vcc, exec, s[4:5]
	s_cbranch_vccz .LBB65_392
; %bb.390:
	s_cmp_eq_u32 s9, 11
	s_mov_b64 s[0:1], -1
	s_cbranch_scc0 .LBB65_392
; %bb.391:
	s_brev_b32 s0, -2
	v_bitop3_b32 v4, v0, s0, v1 bitop3:0xc8
	v_cmp_ne_u32_e32 vcc, 0, v4
	s_mov_b64 s[2:3], -1
	s_mov_b64 s[0:1], 0
	v_cndmask_b32_e64 v4, 0, 1, vcc
	global_store_byte v[2:3], v4, off
.LBB65_392:
	s_mov_b64 s[4:5], 0
.LBB65_393:
	s_and_b64 vcc, exec, s[4:5]
	s_cbranch_vccz .LBB65_432
; %bb.394:
	s_and_b32 s4, 0xffff, s8
	s_cmp_lt_i32 s4, 5
	s_mov_b64 s[2:3], -1
	s_cbranch_scc1 .LBB65_415
; %bb.395:
	s_cmp_lt_i32 s4, 8
	s_cbranch_scc1 .LBB65_405
; %bb.396:
	s_cmp_lt_i32 s4, 9
	s_cbranch_scc1 .LBB65_402
; %bb.397:
	s_cmp_gt_i32 s4, 9
	s_cbranch_scc0 .LBB65_399
; %bb.398:
	v_cvt_f64_f32_e32 v[4:5], v0
	v_cvt_f64_f32_e32 v[6:7], v1
	s_mov_b64 s[2:3], 0
	global_store_dwordx4 v[2:3], v[4:7], off
.LBB65_399:
	s_andn2_b64 vcc, exec, s[2:3]
	s_cbranch_vccnz .LBB65_401
; %bb.400:
	global_store_dwordx2 v[2:3], v[0:1], off
.LBB65_401:
	s_mov_b64 s[2:3], 0
.LBB65_402:
	s_andn2_b64 vcc, exec, s[2:3]
	s_cbranch_vccnz .LBB65_404
; %bb.403:
	v_cvt_f16_f32_e32 v4, v0
	v_cvt_f16_f32_sdwa v1, v1 dst_sel:WORD_1 dst_unused:UNUSED_PAD src0_sel:DWORD
	s_nop 0
	v_or_b32_e32 v1, v1, v4
	global_store_dword v[2:3], v1, off
.LBB65_404:
	s_mov_b64 s[2:3], 0
.LBB65_405:
	s_andn2_b64 vcc, exec, s[2:3]
	s_cbranch_vccnz .LBB65_414
; %bb.406:
	s_cmp_lt_i32 s4, 6
	s_mov_b64 s[2:3], -1
	s_cbranch_scc1 .LBB65_412
; %bb.407:
	s_cmp_gt_i32 s4, 6
	s_cbranch_scc0 .LBB65_409
; %bb.408:
	v_cvt_f64_f32_e32 v[4:5], v0
	s_mov_b64 s[2:3], 0
	global_store_dwordx2 v[2:3], v[4:5], off
.LBB65_409:
	s_andn2_b64 vcc, exec, s[2:3]
	s_cbranch_vccnz .LBB65_411
; %bb.410:
	global_store_dword v[2:3], v0, off
.LBB65_411:
	s_mov_b64 s[2:3], 0
.LBB65_412:
	s_andn2_b64 vcc, exec, s[2:3]
	s_cbranch_vccnz .LBB65_414
; %bb.413:
	v_cvt_f16_f32_e32 v1, v0
	global_store_short v[2:3], v1, off
.LBB65_414:
	s_mov_b64 s[2:3], 0
.LBB65_415:
	s_andn2_b64 vcc, exec, s[2:3]
	s_cbranch_vccnz .LBB65_431
; %bb.416:
	s_cmp_lt_i32 s4, 2
	s_mov_b64 s[2:3], -1
	s_cbranch_scc1 .LBB65_426
; %bb.417:
	s_cmp_lt_i32 s4, 3
	s_cbranch_scc1 .LBB65_423
; %bb.418:
	s_cmp_gt_i32 s4, 3
	s_cbranch_scc0 .LBB65_420
; %bb.419:
	v_trunc_f32_e32 v1, v0
	s_mov_b32 s2, 0x2f800000
	v_mul_f32_e64 v4, |v1|, s2
	v_floor_f32_e32 v4, v4
	s_mov_b32 s2, 0xcf800000
	v_cvt_u32_f32_e32 v5, v4
	v_fma_f32 v4, v4, s2, |v1|
	v_cvt_u32_f32_e32 v4, v4
	v_ashrrev_i32_e32 v1, 31, v1
	v_xor_b32_e32 v5, v5, v1
	s_mov_b64 s[2:3], 0
	v_xor_b32_e32 v4, v4, v1
	v_sub_co_u32_e32 v4, vcc, v4, v1
	s_nop 1
	v_subb_co_u32_e32 v5, vcc, v5, v1, vcc
	global_store_dwordx2 v[2:3], v[4:5], off
.LBB65_420:
	s_andn2_b64 vcc, exec, s[2:3]
	s_cbranch_vccnz .LBB65_422
; %bb.421:
	v_cvt_i32_f32_e32 v1, v0
	global_store_dword v[2:3], v1, off
.LBB65_422:
	s_mov_b64 s[2:3], 0
.LBB65_423:
	s_andn2_b64 vcc, exec, s[2:3]
	s_cbranch_vccnz .LBB65_425
; %bb.424:
	v_cvt_i32_f32_e32 v1, v0
	global_store_short v[2:3], v1, off
.LBB65_425:
	s_mov_b64 s[2:3], 0
.LBB65_426:
	s_andn2_b64 vcc, exec, s[2:3]
	s_cbranch_vccnz .LBB65_431
; %bb.427:
	s_cmp_gt_i32 s4, 0
	s_mov_b64 s[2:3], -1
	s_cbranch_scc0 .LBB65_429
; %bb.428:
	v_cvt_i32_f32_e32 v1, v0
	s_mov_b64 s[2:3], 0
	global_store_byte v[2:3], v1, off
.LBB65_429:
	s_andn2_b64 vcc, exec, s[2:3]
	s_cbranch_vccnz .LBB65_431
; %bb.430:
	v_trunc_f32_e32 v0, v0
	s_mov_b32 s2, 0x2f800000
	v_mul_f32_e64 v1, |v0|, s2
	v_floor_f32_e32 v1, v1
	s_mov_b32 s2, 0xcf800000
	v_fma_f32 v1, v1, s2, |v0|
	v_cvt_u32_f32_e32 v1, v1
	v_ashrrev_i32_e32 v0, 31, v0
	v_xor_b32_e32 v1, v1, v0
	v_sub_u32_e32 v0, v1, v0
	global_store_byte v[2:3], v0, off
.LBB65_431:
	s_mov_b64 s[2:3], -1
.LBB65_432:
	s_andn2_b64 vcc, exec, s[2:3]
	s_cbranch_vccnz .LBB65_434
; %bb.433:
	v_add_u32_e32 v21, 0x80, v21
	s_mov_b64 s[2:3], -1
	s_branch .LBB65_552
.LBB65_434:
	s_mov_b64 s[2:3], 0
	s_branch .LBB65_551
.LBB65_435:
	s_mov_b64 s[28:29], -1
                                        ; implicit-def: $vgpr0
.LBB65_436:
	v_mov_b32_e32 v1, 0
.LBB65_437:
	s_mov_b64 s[2:3], 0
.LBB65_438:
	s_and_b64 vcc, exec, s[2:3]
	s_cbranch_vccz .LBB65_443
; %bb.439:
	s_cmp_eq_u32 s6, 29
	s_cbranch_scc0 .LBB65_441
; %bb.440:
	global_load_dwordx2 v[0:1], v[2:3], off
	s_mov_b64 s[0:1], -1
	s_mov_b64 s[28:29], 0
	s_waitcnt vmcnt(0)
	v_ffbh_u32_e32 v4, v1
	v_min_u32_e32 v4, 32, v4
	v_lshlrev_b64 v[0:1], v4, v[0:1]
	v_min_u32_e32 v0, 1, v0
	v_or_b32_e32 v0, v1, v0
	v_cvt_f32_u32_e32 v0, v0
	v_sub_u32_e32 v1, 32, v4
	v_ldexp_f32 v0, v0, v1
	s_branch .LBB65_442
.LBB65_441:
	s_mov_b64 s[28:29], -1
                                        ; implicit-def: $vgpr0
.LBB65_442:
	v_mov_b32_e32 v1, 0
.LBB65_443:
	s_mov_b64 s[2:3], 0
.LBB65_444:
	s_and_b64 vcc, exec, s[2:3]
	s_cbranch_vccz .LBB65_462
; %bb.445:
	s_cmp_lt_i32 s6, 27
	s_cbranch_scc1 .LBB65_448
; %bb.446:
	s_cmp_gt_i32 s6, 27
	s_cbranch_scc0 .LBB65_449
; %bb.447:
	global_load_dword v0, v[2:3], off
	s_mov_b64 s[0:1], 0
	s_waitcnt vmcnt(0)
	v_cvt_f32_u32_e32 v0, v0
	s_branch .LBB65_450
.LBB65_448:
	s_mov_b64 s[0:1], -1
                                        ; implicit-def: $vgpr0
	s_branch .LBB65_453
.LBB65_449:
	s_mov_b64 s[0:1], -1
                                        ; implicit-def: $vgpr0
.LBB65_450:
	s_andn2_b64 vcc, exec, s[0:1]
	s_cbranch_vccnz .LBB65_452
; %bb.451:
	global_load_ushort v0, v[2:3], off
	s_waitcnt vmcnt(0)
	v_cvt_f32_u32_e32 v0, v0
.LBB65_452:
	s_mov_b64 s[0:1], 0
.LBB65_453:
	s_andn2_b64 vcc, exec, s[0:1]
	s_cbranch_vccnz .LBB65_461
; %bb.454:
	global_load_ubyte v1, v[2:3], off
	s_movk_i32 s0, 0x7f
	s_waitcnt vmcnt(0)
	v_cmp_lt_i16_e32 vcc, s0, v1
	s_mov_b64 s[0:1], 0
	s_and_saveexec_b64 s[2:3], vcc
	s_xor_b64 s[2:3], exec, s[2:3]
	s_cbranch_execz .LBB65_475
; %bb.455:
	s_movk_i32 s0, 0x80
	v_cmp_eq_u16_e32 vcc, s0, v1
	s_mov_b64 s[0:1], -1
	s_and_saveexec_b64 s[4:5], vcc
; %bb.456:
	s_xor_b64 s[0:1], exec, -1
; %bb.457:
	s_or_b64 exec, exec, s[4:5]
	s_and_b64 s[0:1], s[0:1], exec
	s_or_saveexec_b64 s[2:3], s[2:3]
	v_mov_b32_e32 v0, 0x7f800001
	s_xor_b64 exec, exec, s[2:3]
	s_cbranch_execnz .LBB65_476
.LBB65_458:
	s_or_b64 exec, exec, s[2:3]
	s_and_saveexec_b64 s[2:3], s[0:1]
	s_cbranch_execz .LBB65_460
.LBB65_459:
	v_lshlrev_b32_e32 v0, 24, v1
	v_and_b32_e32 v1, 0xffff, v1
	v_and_b32_e32 v4, 7, v1
	v_ffbh_u32_e32 v6, v4
	v_min_u32_e32 v6, 32, v6
	v_subrev_u32_e32 v7, 28, v6
	v_bfe_u32 v5, v1, 3, 4
	v_lshlrev_b32_e32 v1, v7, v1
	v_sub_u32_e32 v6, 29, v6
	v_and_b32_e32 v1, 7, v1
	v_cmp_eq_u32_e32 vcc, 0, v5
	v_and_b32_e32 v0, 0x80000000, v0
	s_nop 0
	v_cndmask_b32_e32 v5, v5, v6, vcc
	v_cndmask_b32_e32 v1, v4, v1, vcc
	v_mov_b32_e32 v4, 0x3b800000
	v_lshlrev_b32_e32 v1, 20, v1
	v_lshl_add_u32 v4, v5, 23, v4
	v_or3_b32 v0, v0, v4, v1
.LBB65_460:
	s_or_b64 exec, exec, s[2:3]
.LBB65_461:
	s_mov_b64 s[0:1], -1
	v_mov_b32_e32 v1, 0
.LBB65_462:
	s_mov_b64 s[2:3], 0
.LBB65_463:
	s_and_b64 vcc, exec, s[2:3]
	s_cbranch_vccz .LBB65_499
; %bb.464:
	s_cmp_gt_i32 s6, 22
	s_cbranch_scc0 .LBB65_474
; %bb.465:
	s_cmp_lt_i32 s6, 24
	s_cbranch_scc1 .LBB65_477
; %bb.466:
	s_cmp_gt_i32 s6, 24
	s_cbranch_scc0 .LBB65_478
; %bb.467:
	global_load_ubyte v1, v[2:3], off
	s_movk_i32 s0, 0x7f
	s_waitcnt vmcnt(0)
	v_cmp_lt_i16_e32 vcc, s0, v1
	s_mov_b64 s[0:1], 0
	s_and_saveexec_b64 s[2:3], vcc
	s_xor_b64 s[2:3], exec, s[2:3]
	s_cbranch_execz .LBB65_490
; %bb.468:
	s_movk_i32 s0, 0x80
	v_cmp_eq_u16_e32 vcc, s0, v1
	s_mov_b64 s[0:1], -1
	s_and_saveexec_b64 s[4:5], vcc
; %bb.469:
	s_xor_b64 s[0:1], exec, -1
; %bb.470:
	s_or_b64 exec, exec, s[4:5]
	s_and_b64 s[0:1], s[0:1], exec
	s_or_saveexec_b64 s[2:3], s[2:3]
	v_mov_b32_e32 v0, 0x7f800001
	s_xor_b64 exec, exec, s[2:3]
	s_cbranch_execnz .LBB65_491
.LBB65_471:
	s_or_b64 exec, exec, s[2:3]
	s_and_saveexec_b64 s[2:3], s[0:1]
	s_cbranch_execz .LBB65_473
.LBB65_472:
	v_lshlrev_b32_e32 v0, 24, v1
	v_and_b32_e32 v1, 0xffff, v1
	v_and_b32_e32 v4, 3, v1
	v_ffbh_u32_e32 v6, v4
	v_min_u32_e32 v6, 32, v6
	v_subrev_u32_e32 v7, 29, v6
	v_bfe_u32 v5, v1, 2, 5
	v_lshlrev_b32_e32 v1, v7, v1
	v_sub_u32_e32 v6, 30, v6
	v_and_b32_e32 v1, 3, v1
	v_cmp_eq_u32_e32 vcc, 0, v5
	v_and_b32_e32 v0, 0x80000000, v0
	s_nop 0
	v_cndmask_b32_e32 v5, v5, v6, vcc
	v_cndmask_b32_e32 v1, v4, v1, vcc
	v_mov_b32_e32 v4, 0x37800000
	v_lshlrev_b32_e32 v1, 21, v1
	v_lshl_add_u32 v4, v5, 23, v4
	v_or3_b32 v0, v0, v4, v1
.LBB65_473:
	s_or_b64 exec, exec, s[2:3]
	s_mov_b64 s[0:1], 0
	s_branch .LBB65_479
.LBB65_474:
	s_mov_b64 s[2:3], -1
                                        ; implicit-def: $vgpr0
	s_branch .LBB65_485
.LBB65_475:
	s_or_saveexec_b64 s[2:3], s[2:3]
	v_mov_b32_e32 v0, 0x7f800001
	s_xor_b64 exec, exec, s[2:3]
	s_cbranch_execz .LBB65_458
.LBB65_476:
	v_cmp_ne_u16_e32 vcc, 0, v1
	s_andn2_b64 s[0:1], s[0:1], exec
	s_and_b64 s[4:5], vcc, exec
	v_mov_b32_e32 v0, 0
	s_or_b64 s[0:1], s[0:1], s[4:5]
	s_or_b64 exec, exec, s[2:3]
	s_and_saveexec_b64 s[2:3], s[0:1]
	s_cbranch_execnz .LBB65_459
	s_branch .LBB65_460
.LBB65_477:
	s_mov_b64 s[0:1], -1
                                        ; implicit-def: $vgpr0
	s_branch .LBB65_482
.LBB65_478:
	s_mov_b64 s[0:1], -1
                                        ; implicit-def: $vgpr0
.LBB65_479:
	s_and_b64 vcc, exec, s[0:1]
	s_cbranch_vccz .LBB65_481
; %bb.480:
	global_load_ubyte v0, v[2:3], off
	s_mov_b32 s0, 0x7f800000
	s_waitcnt vmcnt(0)
	v_lshlrev_b32_e32 v0, 24, v0
	v_and_b32_e32 v1, 0x7f000000, v0
	v_ffbh_u32_e32 v4, v1
	v_min_u32_e32 v4, 32, v4
	v_sub_u32_e64 v4, v4, 4 clamp
	v_lshlrev_b32_e32 v6, v4, v1
	v_lshlrev_b32_e32 v4, 23, v4
	v_lshrrev_b32_e32 v6, 4, v6
	v_add_u32_e32 v5, 0x1000000, v1
	v_sub_u32_e32 v4, v6, v4
	v_ashrrev_i32_e32 v5, 8, v5
	v_add_u32_e32 v4, 0x3c000000, v4
	v_and_or_b32 v4, v5, s0, v4
	v_cmp_ne_u32_e32 vcc, 0, v1
	s_brev_b32 s0, 1
	s_nop 0
	v_cndmask_b32_e32 v1, 0, v4, vcc
	v_and_or_b32 v0, v0, s0, v1
.LBB65_481:
	s_mov_b64 s[0:1], 0
.LBB65_482:
	s_andn2_b64 vcc, exec, s[0:1]
	s_cbranch_vccnz .LBB65_484
; %bb.483:
	global_load_ubyte v0, v[2:3], off
	s_movk_i32 s0, 0x7f00
	s_brev_b32 s1, 16
	s_waitcnt vmcnt(0)
	v_lshlrev_b16_e32 v1, 8, v0
	v_lshlrev_b32_e32 v0, 25, v0
	v_lshrrev_b32_e32 v4, 4, v0
	v_and_or_b32 v5, v1, s0, 0.5
	v_or_b32_e32 v4, 0x70000000, v4
	v_add_f32_e32 v5, -0.5, v5
	v_mul_f32_e32 v4, 0x7800000, v4
	v_cmp_gt_u32_e32 vcc, s1, v0
	v_bfe_i32 v1, v1, 0, 16
	s_brev_b32 s0, 1
	v_cndmask_b32_e32 v0, v4, v5, vcc
	v_and_or_b32 v0, v1, s0, v0
.LBB65_484:
	s_mov_b64 s[2:3], 0
	s_mov_b64 s[0:1], -1
.LBB65_485:
	s_andn2_b64 vcc, exec, s[2:3]
	s_cbranch_vccnz .LBB65_498
; %bb.486:
	s_cmp_gt_i32 s6, 14
	s_cbranch_scc0 .LBB65_489
; %bb.487:
	s_cmp_eq_u32 s6, 15
	s_cbranch_scc0 .LBB65_492
; %bb.488:
	global_load_ushort v0, v[2:3], off
	s_mov_b64 s[0:1], -1
	s_mov_b64 s[28:29], 0
	s_waitcnt vmcnt(0)
	v_lshlrev_b32_e32 v0, 16, v0
	s_branch .LBB65_493
.LBB65_489:
	s_mov_b64 s[2:3], -1
                                        ; implicit-def: $vgpr0
	s_branch .LBB65_494
.LBB65_490:
	s_or_saveexec_b64 s[2:3], s[2:3]
	v_mov_b32_e32 v0, 0x7f800001
	s_xor_b64 exec, exec, s[2:3]
	s_cbranch_execz .LBB65_471
.LBB65_491:
	v_cmp_ne_u16_e32 vcc, 0, v1
	s_andn2_b64 s[0:1], s[0:1], exec
	s_and_b64 s[4:5], vcc, exec
	v_mov_b32_e32 v0, 0
	s_or_b64 s[0:1], s[0:1], s[4:5]
	s_or_b64 exec, exec, s[2:3]
	s_and_saveexec_b64 s[2:3], s[0:1]
	s_cbranch_execnz .LBB65_472
	s_branch .LBB65_473
.LBB65_492:
	s_mov_b64 s[28:29], -1
                                        ; implicit-def: $vgpr0
.LBB65_493:
	s_mov_b64 s[2:3], 0
.LBB65_494:
	s_and_b64 vcc, exec, s[2:3]
	s_cbranch_vccz .LBB65_498
; %bb.495:
	s_cmp_eq_u32 s6, 11
	s_cbranch_scc0 .LBB65_497
; %bb.496:
	global_load_ubyte v0, v[2:3], off
	s_mov_b64 s[0:1], -1
	s_mov_b64 s[28:29], 0
	v_mov_b32_e32 v1, 0
	s_waitcnt vmcnt(0)
	v_cmp_ne_u16_e32 vcc, 0, v0
	s_nop 1
	v_cndmask_b32_e64 v0, 0, 1.0, vcc
	s_branch .LBB65_499
.LBB65_497:
	s_mov_b64 s[28:29], -1
                                        ; implicit-def: $vgpr0
.LBB65_498:
	v_mov_b32_e32 v1, 0
.LBB65_499:
	s_branch .LBB65_299
.LBB65_500:
	s_cmp_lt_i32 s6, 5
	s_cbranch_scc1 .LBB65_505
; %bb.501:
	s_cmp_lt_i32 s6, 8
	s_cbranch_scc1 .LBB65_506
; %bb.502:
	;; [unrolled: 3-line block ×3, first 2 shown]
	s_cmp_gt_i32 s6, 9
	s_cbranch_scc0 .LBB65_508
; %bb.504:
	global_load_dwordx4 v[4:7], v[2:3], off
	s_mov_b64 s[0:1], 0
	s_waitcnt vmcnt(0)
	v_cvt_f32_f64_e32 v0, v[4:5]
	v_cvt_f32_f64_e32 v1, v[6:7]
	s_branch .LBB65_509
.LBB65_505:
	s_mov_b64 s[0:1], -1
                                        ; implicit-def: $vgpr1
	s_branch .LBB65_528
.LBB65_506:
	s_mov_b64 s[0:1], -1
                                        ; implicit-def: $vgpr1
	s_branch .LBB65_515
.LBB65_507:
	s_mov_b64 s[0:1], -1
                                        ; implicit-def: $vgpr1
	s_branch .LBB65_512
.LBB65_508:
	s_mov_b64 s[0:1], -1
                                        ; implicit-def: $vgpr1
.LBB65_509:
	s_andn2_b64 vcc, exec, s[0:1]
	s_cbranch_vccnz .LBB65_511
; %bb.510:
	global_load_dwordx2 v[0:1], v[2:3], off
.LBB65_511:
	s_mov_b64 s[0:1], 0
.LBB65_512:
	s_andn2_b64 vcc, exec, s[0:1]
	s_cbranch_vccnz .LBB65_514
; %bb.513:
	global_load_dword v0, v[2:3], off
	s_waitcnt vmcnt(0)
	v_cvt_f32_f16_sdwa v1, v0 dst_sel:DWORD dst_unused:UNUSED_PAD src0_sel:WORD_1
	v_cvt_f32_f16_e32 v0, v0
.LBB65_514:
	s_mov_b64 s[0:1], 0
.LBB65_515:
	s_andn2_b64 vcc, exec, s[0:1]
	s_cbranch_vccnz .LBB65_527
; %bb.516:
	s_cmp_lt_i32 s6, 6
	s_cbranch_scc1 .LBB65_519
; %bb.517:
	s_cmp_gt_i32 s6, 6
	s_cbranch_scc0 .LBB65_520
; %bb.518:
	global_load_dwordx2 v[0:1], v[2:3], off
	s_mov_b64 s[0:1], 0
	s_waitcnt vmcnt(0)
	v_cvt_f32_f64_e32 v0, v[0:1]
	s_branch .LBB65_521
.LBB65_519:
	s_mov_b64 s[0:1], -1
                                        ; implicit-def: $vgpr0
	s_branch .LBB65_524
.LBB65_520:
	s_mov_b64 s[0:1], -1
                                        ; implicit-def: $vgpr0
.LBB65_521:
	s_andn2_b64 vcc, exec, s[0:1]
	s_cbranch_vccnz .LBB65_523
; %bb.522:
	global_load_dword v0, v[2:3], off
.LBB65_523:
	s_mov_b64 s[0:1], 0
.LBB65_524:
	s_andn2_b64 vcc, exec, s[0:1]
	s_cbranch_vccnz .LBB65_526
; %bb.525:
	global_load_ushort v0, v[2:3], off
	s_waitcnt vmcnt(0)
	v_cvt_f32_f16_e32 v0, v0
.LBB65_526:
	s_waitcnt vmcnt(0)
	v_mov_b32_e32 v1, 0
.LBB65_527:
	s_mov_b64 s[0:1], 0
.LBB65_528:
	s_andn2_b64 vcc, exec, s[0:1]
	s_cbranch_vccnz .LBB65_549
; %bb.529:
	s_cmp_lt_i32 s6, 2
	s_cbranch_scc1 .LBB65_533
; %bb.530:
	s_cmp_lt_i32 s6, 3
	s_cbranch_scc1 .LBB65_534
; %bb.531:
	s_cmp_gt_i32 s6, 3
	s_cbranch_scc0 .LBB65_535
; %bb.532:
	global_load_dwordx2 v[0:1], v[2:3], off
	s_mov_b64 s[0:1], 0
	s_waitcnt vmcnt(0)
	v_xor_b32_e32 v5, v0, v1
	v_ffbh_i32_e32 v4, v1
	v_ashrrev_i32_e32 v5, 31, v5
	v_add_u32_e32 v4, -1, v4
	v_add_u32_e32 v5, 32, v5
	v_min_u32_e32 v4, v4, v5
	v_lshlrev_b64 v[0:1], v4, v[0:1]
	v_min_u32_e32 v0, 1, v0
	v_or_b32_e32 v0, v1, v0
	v_cvt_f32_i32_e32 v0, v0
	v_sub_u32_e32 v1, 32, v4
	v_ldexp_f32 v0, v0, v1
	s_branch .LBB65_536
.LBB65_533:
	s_mov_b64 s[0:1], -1
                                        ; implicit-def: $vgpr0
	s_branch .LBB65_542
.LBB65_534:
	s_mov_b64 s[0:1], -1
                                        ; implicit-def: $vgpr0
	s_branch .LBB65_539
.LBB65_535:
	s_mov_b64 s[0:1], -1
                                        ; implicit-def: $vgpr0
.LBB65_536:
	s_andn2_b64 vcc, exec, s[0:1]
	s_cbranch_vccnz .LBB65_538
; %bb.537:
	global_load_dword v0, v[2:3], off
	s_waitcnt vmcnt(0)
	v_cvt_f32_i32_e32 v0, v0
.LBB65_538:
	s_mov_b64 s[0:1], 0
.LBB65_539:
	s_andn2_b64 vcc, exec, s[0:1]
	s_cbranch_vccnz .LBB65_541
; %bb.540:
	global_load_sshort v0, v[2:3], off
	s_waitcnt vmcnt(0)
	v_cvt_f32_i32_e32 v0, v0
.LBB65_541:
	s_mov_b64 s[0:1], 0
.LBB65_542:
	s_andn2_b64 vcc, exec, s[0:1]
	s_cbranch_vccnz .LBB65_548
; %bb.543:
	s_cmp_gt_i32 s6, 0
	s_cbranch_scc0 .LBB65_545
; %bb.544:
	global_load_sbyte v0, v[2:3], off
	s_mov_b64 s[0:1], 0
	s_waitcnt vmcnt(0)
	v_cvt_f32_i32_e32 v0, v0
	s_branch .LBB65_546
.LBB65_545:
	s_mov_b64 s[0:1], -1
                                        ; implicit-def: $vgpr0
.LBB65_546:
	s_andn2_b64 vcc, exec, s[0:1]
	s_cbranch_vccnz .LBB65_548
; %bb.547:
	global_load_ubyte v0, v[2:3], off
	s_waitcnt vmcnt(0)
	v_cvt_f32_ubyte0_e32 v0, v0
.LBB65_548:
	s_waitcnt vmcnt(0)
	v_mov_b32_e32 v1, 0
.LBB65_549:
	s_branch .LBB65_300
.LBB65_550:
	s_mov_b64 s[2:3], 0
	s_mov_b64 s[0:1], s[54:55]
.LBB65_551:
                                        ; implicit-def: $vgpr21
.LBB65_552:
	s_andn2_b64 s[4:5], s[54:55], exec
	s_and_b64 s[0:1], s[0:1], exec
	s_or_b64 s[62:63], s[4:5], s[0:1]
	s_andn2_b64 s[0:1], s[56:57], exec
	s_and_b64 s[4:5], s[28:29], exec
	s_or_b64 s[60:61], s[0:1], s[4:5]
	s_orn2_b64 s[0:1], s[2:3], exec
.LBB65_553:
	s_or_b64 exec, exec, s[64:65]
	s_mov_b64 s[2:3], 0
	s_mov_b64 s[4:5], 0
	;; [unrolled: 1-line block ×3, first 2 shown]
                                        ; implicit-def: $vgpr0_vgpr1
                                        ; implicit-def: $vgpr22
                                        ; implicit-def: $vgpr3
	s_and_saveexec_b64 s[64:65], s[0:1]
	s_cbranch_execz .LBB65_938
; %bb.554:
	v_cmp_gt_i32_e32 vcc, s70, v21
	s_mov_b64 s[2:3], -1
	s_mov_b64 s[16:17], s[60:61]
	s_mov_b64 s[68:69], s[62:63]
	s_and_saveexec_b64 s[66:67], vcc
	s_cbranch_execz .LBB65_834
; %bb.555:
	s_andn2_b64 vcc, exec, s[42:43]
	s_cbranch_vccnz .LBB65_561
; %bb.556:
	s_andn2_b64 vcc, exec, s[52:53]
	s_cbranch_vccnz .LBB65_562
; %bb.557:
	s_add_i32 s76, s75, 1
	s_cmp_eq_u32 s72, 2
	s_cbranch_scc1 .LBB65_563
; %bb.558:
	s_and_b32 s71, s76, 28
	s_mov_b32 s77, 0
	v_mov_b32_e32 v22, 0
	s_waitcnt vmcnt(0)
	v_mov_b32_e32 v0, 0
	s_mov_b64 s[16:17], s[34:35]
	s_mov_b64 s[68:69], s[50:51]
	v_mov_b32_e32 v2, v21
.LBB65_559:                             ; =>This Inner Loop Header: Depth=1
	s_load_dwordx8 s[8:15], s[16:17], 0x4
	s_load_dwordx4 s[28:31], s[16:17], 0x24
	s_load_dwordx8 s[0:7], s[68:69], 0x0
	s_add_u32 s16, s16, 48
	s_addc_u32 s17, s17, 0
	s_waitcnt lgkmcnt(0)
	v_mul_hi_u32 v1, s9, v2
	v_add_u32_e32 v1, v2, v1
	v_lshrrev_b32_e32 v1, s10, v1
	v_mul_lo_u32 v3, v1, s8
	v_mul_hi_u32 v4, s12, v1
	v_sub_u32_e32 v2, v2, v3
	v_add_u32_e32 v3, v1, v4
	v_lshrrev_b32_e32 v3, s13, v3
	v_mul_lo_u32 v5, v3, s11
	v_mul_hi_u32 v6, s15, v3
	v_sub_u32_e32 v1, v1, v5
	v_add_u32_e32 v5, v3, v6
	v_mul_lo_u32 v4, v2, s1
	v_mul_lo_u32 v2, v2, s0
	;; [unrolled: 1-line block ×4, first 2 shown]
	v_lshrrev_b32_e32 v5, s28, v5
	v_add3_u32 v1, v2, v22, v1
	v_add3_u32 v0, v4, v0, v6
	v_mul_lo_u32 v2, v5, s14
	v_mul_hi_u32 v4, s30, v5
	v_sub_u32_e32 v2, v3, v2
	v_add_u32_e32 v3, v5, v4
	v_mul_lo_u32 v4, v2, s4
	v_mul_lo_u32 v6, v2, s5
	v_lshrrev_b32_e32 v2, s31, v3
	s_add_i32 s77, s77, 4
	v_mul_lo_u32 v3, v2, s29
	s_add_u32 s68, s68, 32
	v_sub_u32_e32 v3, v5, v3
	s_addc_u32 s69, s69, 0
	v_mul_lo_u32 v5, v3, s6
	v_mul_lo_u32 v3, v3, s7
	s_cmp_eq_u32 s71, s77
	v_add3_u32 v0, v6, v0, v3
	v_add3_u32 v22, v4, v1, v5
	s_cbranch_scc0 .LBB65_559
; %bb.560:
	v_mov_b32_e32 v1, v0
	s_branch .LBB65_564
.LBB65_561:
	s_mov_b64 s[0:1], -1
                                        ; implicit-def: $vgpr0
                                        ; implicit-def: $vgpr22
	s_branch .LBB65_568
.LBB65_562:
	s_waitcnt vmcnt(0)
	v_mov_b32_e32 v0, 0
	v_mov_b32_e32 v22, 0
	s_branch .LBB65_567
.LBB65_563:
	v_mov_b32_e32 v22, 0
	s_mov_b32 s71, 0
	s_waitcnt vmcnt(0)
	v_mov_b32_e32 v1, v22
                                        ; implicit-def: $vgpr0
	v_mov_b32_e32 v2, v21
.LBB65_564:
	s_and_b32 s4, s76, 3
	s_cmp_eq_u32 s4, 0
	s_cbranch_scc1 .LBB65_567
; %bb.565:
	s_lshl_b32 s0, s71, 3
	s_add_u32 s0, s34, s0
	s_addc_u32 s1, s35, 0
	s_add_u32 s0, s0, 0xc4
	s_addc_u32 s1, s1, 0
	s_mul_i32 s2, s71, 12
	s_add_u32 s2, s34, s2
	s_addc_u32 s3, s35, 0
.LBB65_566:                             ; =>This Inner Loop Header: Depth=1
	s_load_dwordx2 s[6:7], s[2:3], 0x4
	s_load_dword s5, s[2:3], 0xc
	s_load_dwordx2 s[8:9], s[0:1], 0x0
	v_mov_b32_e32 v0, v1
	s_add_u32 s2, s2, 12
	s_waitcnt lgkmcnt(0)
	v_mul_hi_u32 v1, s7, v2
	v_add_u32_e32 v1, v2, v1
	v_lshrrev_b32_e32 v1, s5, v1
	s_addc_u32 s3, s3, 0
	v_mul_lo_u32 v3, v1, s6
	s_add_u32 s0, s0, 8
	v_sub_u32_e32 v3, v2, v3
	s_addc_u32 s1, s1, 0
	s_add_i32 s4, s4, -1
	v_mov_b32_e32 v2, v1
	v_mad_u64_u32 v[0:1], s[6:7], v3, s9, v[0:1]
	s_cmp_lg_u32 s4, 0
	v_mad_u64_u32 v[22:23], s[6:7], v3, s8, v[22:23]
	v_mov_b32_e32 v1, v0
	s_cbranch_scc1 .LBB65_566
.LBB65_567:
	s_mov_b64 s[0:1], 0
.LBB65_568:
	s_andn2_b64 vcc, exec, s[0:1]
	s_cbranch_vccnz .LBB65_571
; %bb.569:
	s_waitcnt vmcnt(0) lgkmcnt(0)
	v_mul_hi_u32 v0, s37, v21
	v_add_u32_e32 v0, v21, v0
	v_lshrrev_b32_e32 v1, s38, v0
	v_mul_lo_u32 v0, v1, s36
	v_sub_u32_e32 v2, v21, v0
	v_mul_lo_u32 v0, v2, s25
	s_andn2_b64 vcc, exec, s[48:49]
	v_mul_lo_u32 v22, v2, s24
	s_cbranch_vccnz .LBB65_571
; %bb.570:
	v_mul_hi_u32 v2, s46, v1
	v_add_u32_e32 v2, v1, v2
	v_lshrrev_b32_e32 v2, s47, v2
	v_mul_lo_u32 v2, v2, s39
	v_sub_u32_e32 v1, v1, v2
	v_mad_u64_u32 v[22:23], s[0:1], v1, s26, v[22:23]
	v_mad_u64_u32 v[0:1], s[0:1], v1, s27, v[0:1]
.LBB65_571:
	s_waitcnt vmcnt(0)
	v_mov_b32_e32 v1, 0
	s_and_b32 s6, 0xffff, s74
	s_cmp_lt_i32 s6, 11
	s_waitcnt lgkmcnt(0)
	v_lshl_add_u64 v[2:3], s[22:23], 0, v[0:1]
	s_cbranch_scc1 .LBB65_578
; %bb.572:
	s_cmp_gt_i32 s6, 25
	s_cbranch_scc0 .LBB65_579
; %bb.573:
	s_cmp_gt_i32 s6, 28
	s_cbranch_scc0 .LBB65_580
	;; [unrolled: 3-line block ×4, first 2 shown]
; %bb.576:
	s_cmp_eq_u32 s6, 46
	s_mov_b64 s[2:3], 0
	s_cbranch_scc0 .LBB65_587
; %bb.577:
	global_load_dword v0, v[2:3], off
	s_mov_b64 s[0:1], -1
	s_mov_b64 s[28:29], 0
	s_waitcnt vmcnt(0)
	v_and_b32_e32 v1, 0xffff0000, v0
	v_lshlrev_b32_e32 v0, 16, v0
	s_branch .LBB65_588
.LBB65_578:
	s_mov_b64 s[2:3], -1
	s_mov_b64 s[0:1], 0
                                        ; implicit-def: $vgpr1
	s_mov_b64 s[28:29], s[60:61]
	s_branch .LBB65_656
.LBB65_579:
	s_mov_b64 s[2:3], -1
	s_mov_b64 s[0:1], 0
	s_mov_b64 s[28:29], s[60:61]
                                        ; implicit-def: $vgpr1
	s_branch .LBB65_619
.LBB65_580:
	s_mov_b64 s[2:3], -1
	s_mov_b64 s[0:1], 0
	s_mov_b64 s[28:29], s[60:61]
                                        ; implicit-def: $vgpr1
	s_branch .LBB65_600
.LBB65_581:
	s_mov_b64 s[2:3], -1
	s_mov_b64 s[0:1], 0
	s_mov_b64 s[28:29], s[60:61]
                                        ; implicit-def: $vgpr1
	s_branch .LBB65_594
.LBB65_582:
	s_andn2_saveexec_b64 s[6:7], s[6:7]
	s_cbranch_execz .LBB65_345
.LBB65_583:
	s_mov_b32 s10, 0x46000000
	v_add_f32_e64 v4, |v0|, s10
	v_and_b32_e32 v4, 0xff, v4
	v_cmp_ne_u32_e32 vcc, 0, v4
	s_andn2_b64 s[4:5], s[4:5], exec
	s_and_b64 s[10:11], vcc, exec
	s_or_b64 s[4:5], s[4:5], s[10:11]
	s_or_b64 exec, exec, s[6:7]
	v_mov_b32_e32 v5, 0
	s_and_saveexec_b64 s[6:7], s[4:5]
	s_cbranch_execnz .LBB65_346
	s_branch .LBB65_347
.LBB65_584:
	s_mov_b64 s[2:3], -1
	s_mov_b64 s[0:1], 0
	s_mov_b64 s[28:29], s[60:61]
                                        ; implicit-def: $vgpr1
	s_branch .LBB65_588
.LBB65_585:
	s_andn2_saveexec_b64 s[6:7], s[6:7]
	s_cbranch_execz .LBB65_358
.LBB65_586:
	s_mov_b32 s10, 0x42800000
	v_add_f32_e64 v4, |v0|, s10
	v_and_b32_e32 v4, 0xff, v4
	v_cmp_ne_u32_e32 vcc, 0, v4
	s_andn2_b64 s[4:5], s[4:5], exec
	s_and_b64 s[10:11], vcc, exec
	s_or_b64 s[4:5], s[4:5], s[10:11]
	s_or_b64 exec, exec, s[6:7]
	v_mov_b32_e32 v5, 0
	s_and_saveexec_b64 s[6:7], s[4:5]
	s_cbranch_execnz .LBB65_359
	s_branch .LBB65_360
.LBB65_587:
	s_mov_b64 s[28:29], -1
                                        ; implicit-def: $vgpr1
	s_mov_b64 s[0:1], 0
.LBB65_588:
	s_and_b64 vcc, exec, s[2:3]
	s_cbranch_vccz .LBB65_593
; %bb.589:
	s_cmp_eq_u32 s6, 44
	s_cbranch_scc0 .LBB65_591
; %bb.590:
	global_load_ubyte v0, v[2:3], off
	s_movk_i32 s2, 0xff
	v_mov_b32_e32 v1, 0x7f800001
	v_mov_b32_e32 v4, 0x400000
	s_mov_b64 s[0:1], -1
	s_mov_b64 s[28:29], 0
	s_waitcnt vmcnt(0)
	v_lshlrev_b32_e32 v5, 23, v0
	v_cmp_ne_u32_e32 vcc, s2, v0
	s_nop 1
	v_cndmask_b32_e32 v1, v1, v5, vcc
	v_cmp_ne_u32_e32 vcc, 0, v0
	s_nop 1
	v_cndmask_b32_e32 v0, v4, v1, vcc
	s_branch .LBB65_592
.LBB65_591:
	s_mov_b64 s[28:29], -1
                                        ; implicit-def: $vgpr0
.LBB65_592:
	v_mov_b32_e32 v1, 0
.LBB65_593:
	s_mov_b64 s[2:3], 0
.LBB65_594:
	s_and_b64 vcc, exec, s[2:3]
	s_cbranch_vccz .LBB65_599
; %bb.595:
	s_cmp_eq_u32 s6, 29
	s_cbranch_scc0 .LBB65_597
; %bb.596:
	global_load_dwordx2 v[0:1], v[2:3], off
	s_mov_b64 s[0:1], -1
	s_mov_b64 s[28:29], 0
	s_waitcnt vmcnt(0)
	v_ffbh_u32_e32 v4, v1
	v_min_u32_e32 v4, 32, v4
	v_lshlrev_b64 v[0:1], v4, v[0:1]
	v_min_u32_e32 v0, 1, v0
	v_or_b32_e32 v0, v1, v0
	v_cvt_f32_u32_e32 v0, v0
	v_sub_u32_e32 v1, 32, v4
	v_ldexp_f32 v0, v0, v1
	s_branch .LBB65_598
.LBB65_597:
	s_mov_b64 s[28:29], -1
                                        ; implicit-def: $vgpr0
.LBB65_598:
	v_mov_b32_e32 v1, 0
.LBB65_599:
	s_mov_b64 s[2:3], 0
.LBB65_600:
	s_and_b64 vcc, exec, s[2:3]
	s_cbranch_vccz .LBB65_618
; %bb.601:
	s_cmp_lt_i32 s6, 27
	s_cbranch_scc1 .LBB65_604
; %bb.602:
	s_cmp_gt_i32 s6, 27
	s_cbranch_scc0 .LBB65_605
; %bb.603:
	global_load_dword v0, v[2:3], off
	s_mov_b64 s[0:1], 0
	s_waitcnt vmcnt(0)
	v_cvt_f32_u32_e32 v0, v0
	s_branch .LBB65_606
.LBB65_604:
	s_mov_b64 s[0:1], -1
                                        ; implicit-def: $vgpr0
	s_branch .LBB65_609
.LBB65_605:
	s_mov_b64 s[0:1], -1
                                        ; implicit-def: $vgpr0
.LBB65_606:
	s_andn2_b64 vcc, exec, s[0:1]
	s_cbranch_vccnz .LBB65_608
; %bb.607:
	global_load_ushort v0, v[2:3], off
	s_waitcnt vmcnt(0)
	v_cvt_f32_u32_e32 v0, v0
.LBB65_608:
	s_mov_b64 s[0:1], 0
.LBB65_609:
	s_andn2_b64 vcc, exec, s[0:1]
	s_cbranch_vccnz .LBB65_617
; %bb.610:
	global_load_ubyte v1, v[2:3], off
	s_movk_i32 s0, 0x7f
	s_waitcnt vmcnt(0)
	v_cmp_lt_i16_e32 vcc, s0, v1
	s_mov_b64 s[0:1], 0
	s_and_saveexec_b64 s[2:3], vcc
	s_xor_b64 s[2:3], exec, s[2:3]
	s_cbranch_execz .LBB65_631
; %bb.611:
	s_movk_i32 s0, 0x80
	v_cmp_eq_u16_e32 vcc, s0, v1
	s_mov_b64 s[0:1], -1
	s_and_saveexec_b64 s[4:5], vcc
; %bb.612:
	s_xor_b64 s[0:1], exec, -1
; %bb.613:
	s_or_b64 exec, exec, s[4:5]
	s_and_b64 s[0:1], s[0:1], exec
	s_or_saveexec_b64 s[2:3], s[2:3]
	v_mov_b32_e32 v0, 0x7f800001
	s_xor_b64 exec, exec, s[2:3]
	s_cbranch_execnz .LBB65_632
.LBB65_614:
	s_or_b64 exec, exec, s[2:3]
	s_and_saveexec_b64 s[2:3], s[0:1]
	s_cbranch_execz .LBB65_616
.LBB65_615:
	v_lshlrev_b32_e32 v0, 24, v1
	v_and_b32_e32 v1, 0xffff, v1
	v_and_b32_e32 v4, 7, v1
	v_ffbh_u32_e32 v6, v4
	v_min_u32_e32 v6, 32, v6
	v_subrev_u32_e32 v7, 28, v6
	v_bfe_u32 v5, v1, 3, 4
	v_lshlrev_b32_e32 v1, v7, v1
	v_sub_u32_e32 v6, 29, v6
	v_and_b32_e32 v1, 7, v1
	v_cmp_eq_u32_e32 vcc, 0, v5
	v_and_b32_e32 v0, 0x80000000, v0
	s_nop 0
	v_cndmask_b32_e32 v5, v5, v6, vcc
	v_cndmask_b32_e32 v1, v4, v1, vcc
	v_mov_b32_e32 v4, 0x3b800000
	v_lshlrev_b32_e32 v1, 20, v1
	v_lshl_add_u32 v4, v5, 23, v4
	v_or3_b32 v0, v0, v4, v1
.LBB65_616:
	s_or_b64 exec, exec, s[2:3]
.LBB65_617:
	s_mov_b64 s[0:1], -1
	v_mov_b32_e32 v1, 0
.LBB65_618:
	s_mov_b64 s[2:3], 0
.LBB65_619:
	s_and_b64 vcc, exec, s[2:3]
	s_cbranch_vccz .LBB65_655
; %bb.620:
	s_cmp_gt_i32 s6, 22
	s_cbranch_scc0 .LBB65_630
; %bb.621:
	s_cmp_lt_i32 s6, 24
	s_cbranch_scc1 .LBB65_633
; %bb.622:
	s_cmp_gt_i32 s6, 24
	s_cbranch_scc0 .LBB65_634
; %bb.623:
	global_load_ubyte v1, v[2:3], off
	s_movk_i32 s0, 0x7f
	s_waitcnt vmcnt(0)
	v_cmp_lt_i16_e32 vcc, s0, v1
	s_mov_b64 s[0:1], 0
	s_and_saveexec_b64 s[2:3], vcc
	s_xor_b64 s[2:3], exec, s[2:3]
	s_cbranch_execz .LBB65_646
; %bb.624:
	s_movk_i32 s0, 0x80
	v_cmp_eq_u16_e32 vcc, s0, v1
	s_mov_b64 s[0:1], -1
	s_and_saveexec_b64 s[4:5], vcc
; %bb.625:
	s_xor_b64 s[0:1], exec, -1
; %bb.626:
	s_or_b64 exec, exec, s[4:5]
	s_and_b64 s[0:1], s[0:1], exec
	s_or_saveexec_b64 s[2:3], s[2:3]
	v_mov_b32_e32 v0, 0x7f800001
	s_xor_b64 exec, exec, s[2:3]
	s_cbranch_execnz .LBB65_647
.LBB65_627:
	s_or_b64 exec, exec, s[2:3]
	s_and_saveexec_b64 s[2:3], s[0:1]
	s_cbranch_execz .LBB65_629
.LBB65_628:
	v_lshlrev_b32_e32 v0, 24, v1
	v_and_b32_e32 v1, 0xffff, v1
	v_and_b32_e32 v4, 3, v1
	v_ffbh_u32_e32 v6, v4
	v_min_u32_e32 v6, 32, v6
	v_subrev_u32_e32 v7, 29, v6
	v_bfe_u32 v5, v1, 2, 5
	v_lshlrev_b32_e32 v1, v7, v1
	v_sub_u32_e32 v6, 30, v6
	v_and_b32_e32 v1, 3, v1
	v_cmp_eq_u32_e32 vcc, 0, v5
	v_and_b32_e32 v0, 0x80000000, v0
	s_nop 0
	v_cndmask_b32_e32 v5, v5, v6, vcc
	v_cndmask_b32_e32 v1, v4, v1, vcc
	v_mov_b32_e32 v4, 0x37800000
	v_lshlrev_b32_e32 v1, 21, v1
	v_lshl_add_u32 v4, v5, 23, v4
	v_or3_b32 v0, v0, v4, v1
.LBB65_629:
	s_or_b64 exec, exec, s[2:3]
	s_mov_b64 s[0:1], 0
	s_branch .LBB65_635
.LBB65_630:
	s_mov_b64 s[2:3], -1
                                        ; implicit-def: $vgpr0
	s_branch .LBB65_641
.LBB65_631:
	s_or_saveexec_b64 s[2:3], s[2:3]
	v_mov_b32_e32 v0, 0x7f800001
	s_xor_b64 exec, exec, s[2:3]
	s_cbranch_execz .LBB65_614
.LBB65_632:
	v_cmp_ne_u16_e32 vcc, 0, v1
	s_andn2_b64 s[0:1], s[0:1], exec
	s_and_b64 s[4:5], vcc, exec
	v_mov_b32_e32 v0, 0
	s_or_b64 s[0:1], s[0:1], s[4:5]
	s_or_b64 exec, exec, s[2:3]
	s_and_saveexec_b64 s[2:3], s[0:1]
	s_cbranch_execnz .LBB65_615
	s_branch .LBB65_616
.LBB65_633:
	s_mov_b64 s[0:1], -1
                                        ; implicit-def: $vgpr0
	s_branch .LBB65_638
.LBB65_634:
	s_mov_b64 s[0:1], -1
                                        ; implicit-def: $vgpr0
.LBB65_635:
	s_and_b64 vcc, exec, s[0:1]
	s_cbranch_vccz .LBB65_637
; %bb.636:
	global_load_ubyte v0, v[2:3], off
	s_mov_b32 s0, 0x7f800000
	s_waitcnt vmcnt(0)
	v_lshlrev_b32_e32 v0, 24, v0
	v_and_b32_e32 v1, 0x7f000000, v0
	v_ffbh_u32_e32 v4, v1
	v_min_u32_e32 v4, 32, v4
	v_sub_u32_e64 v4, v4, 4 clamp
	v_lshlrev_b32_e32 v6, v4, v1
	v_lshlrev_b32_e32 v4, 23, v4
	v_lshrrev_b32_e32 v6, 4, v6
	v_add_u32_e32 v5, 0x1000000, v1
	v_sub_u32_e32 v4, v6, v4
	v_ashrrev_i32_e32 v5, 8, v5
	v_add_u32_e32 v4, 0x3c000000, v4
	v_and_or_b32 v4, v5, s0, v4
	v_cmp_ne_u32_e32 vcc, 0, v1
	s_brev_b32 s0, 1
	s_nop 0
	v_cndmask_b32_e32 v1, 0, v4, vcc
	v_and_or_b32 v0, v0, s0, v1
.LBB65_637:
	s_mov_b64 s[0:1], 0
.LBB65_638:
	s_andn2_b64 vcc, exec, s[0:1]
	s_cbranch_vccnz .LBB65_640
; %bb.639:
	global_load_ubyte v0, v[2:3], off
	s_movk_i32 s0, 0x7f00
	s_brev_b32 s1, 16
	s_waitcnt vmcnt(0)
	v_lshlrev_b16_e32 v1, 8, v0
	v_lshlrev_b32_e32 v0, 25, v0
	v_lshrrev_b32_e32 v4, 4, v0
	v_and_or_b32 v5, v1, s0, 0.5
	v_or_b32_e32 v4, 0x70000000, v4
	v_add_f32_e32 v5, -0.5, v5
	v_mul_f32_e32 v4, 0x7800000, v4
	v_cmp_gt_u32_e32 vcc, s1, v0
	v_bfe_i32 v1, v1, 0, 16
	s_brev_b32 s0, 1
	v_cndmask_b32_e32 v0, v4, v5, vcc
	v_and_or_b32 v0, v1, s0, v0
.LBB65_640:
	s_mov_b64 s[2:3], 0
	s_mov_b64 s[0:1], -1
.LBB65_641:
	s_andn2_b64 vcc, exec, s[2:3]
	s_cbranch_vccnz .LBB65_654
; %bb.642:
	s_cmp_gt_i32 s6, 14
	s_cbranch_scc0 .LBB65_645
; %bb.643:
	s_cmp_eq_u32 s6, 15
	s_cbranch_scc0 .LBB65_648
; %bb.644:
	global_load_ushort v0, v[2:3], off
	s_mov_b64 s[0:1], -1
	s_mov_b64 s[28:29], 0
	s_waitcnt vmcnt(0)
	v_lshlrev_b32_e32 v0, 16, v0
	s_branch .LBB65_649
.LBB65_645:
	s_mov_b64 s[2:3], -1
                                        ; implicit-def: $vgpr0
	s_branch .LBB65_650
.LBB65_646:
	s_or_saveexec_b64 s[2:3], s[2:3]
	v_mov_b32_e32 v0, 0x7f800001
	s_xor_b64 exec, exec, s[2:3]
	s_cbranch_execz .LBB65_627
.LBB65_647:
	v_cmp_ne_u16_e32 vcc, 0, v1
	s_andn2_b64 s[0:1], s[0:1], exec
	s_and_b64 s[4:5], vcc, exec
	v_mov_b32_e32 v0, 0
	s_or_b64 s[0:1], s[0:1], s[4:5]
	s_or_b64 exec, exec, s[2:3]
	s_and_saveexec_b64 s[2:3], s[0:1]
	s_cbranch_execnz .LBB65_628
	s_branch .LBB65_629
.LBB65_648:
	s_mov_b64 s[28:29], -1
                                        ; implicit-def: $vgpr0
.LBB65_649:
	s_mov_b64 s[2:3], 0
.LBB65_650:
	s_and_b64 vcc, exec, s[2:3]
	s_cbranch_vccz .LBB65_654
; %bb.651:
	s_cmp_eq_u32 s6, 11
	s_cbranch_scc0 .LBB65_653
; %bb.652:
	global_load_ubyte v0, v[2:3], off
	s_mov_b64 s[0:1], -1
	s_mov_b64 s[28:29], 0
	v_mov_b32_e32 v1, 0
	s_waitcnt vmcnt(0)
	v_cmp_ne_u16_e32 vcc, 0, v0
	s_nop 1
	v_cndmask_b32_e64 v0, 0, 1.0, vcc
	s_branch .LBB65_655
.LBB65_653:
	s_mov_b64 s[28:29], -1
                                        ; implicit-def: $vgpr0
.LBB65_654:
	v_mov_b32_e32 v1, 0
.LBB65_655:
	s_mov_b64 s[2:3], 0
.LBB65_656:
	s_and_b64 vcc, exec, s[2:3]
	s_cbranch_vccz .LBB65_707
; %bb.657:
	s_cmp_lt_i32 s6, 5
	s_cbranch_scc1 .LBB65_662
; %bb.658:
	s_cmp_lt_i32 s6, 8
	s_cbranch_scc1 .LBB65_663
	;; [unrolled: 3-line block ×3, first 2 shown]
; %bb.660:
	s_cmp_gt_i32 s6, 9
	s_cbranch_scc0 .LBB65_665
; %bb.661:
	global_load_dwordx4 v[4:7], v[2:3], off
	s_mov_b64 s[0:1], 0
	s_waitcnt vmcnt(0)
	v_cvt_f32_f64_e32 v0, v[4:5]
	v_cvt_f32_f64_e32 v1, v[6:7]
	s_branch .LBB65_666
.LBB65_662:
	s_mov_b64 s[0:1], -1
                                        ; implicit-def: $vgpr1
	s_branch .LBB65_685
.LBB65_663:
	s_mov_b64 s[0:1], -1
                                        ; implicit-def: $vgpr1
	s_branch .LBB65_672
.LBB65_664:
	s_mov_b64 s[0:1], -1
                                        ; implicit-def: $vgpr1
	s_branch .LBB65_669
.LBB65_665:
	s_mov_b64 s[0:1], -1
                                        ; implicit-def: $vgpr1
.LBB65_666:
	s_andn2_b64 vcc, exec, s[0:1]
	s_cbranch_vccnz .LBB65_668
; %bb.667:
	global_load_dwordx2 v[0:1], v[2:3], off
.LBB65_668:
	s_mov_b64 s[0:1], 0
.LBB65_669:
	s_andn2_b64 vcc, exec, s[0:1]
	s_cbranch_vccnz .LBB65_671
; %bb.670:
	global_load_dword v0, v[2:3], off
	s_waitcnt vmcnt(0)
	v_cvt_f32_f16_sdwa v1, v0 dst_sel:DWORD dst_unused:UNUSED_PAD src0_sel:WORD_1
	v_cvt_f32_f16_e32 v0, v0
.LBB65_671:
	s_mov_b64 s[0:1], 0
.LBB65_672:
	s_andn2_b64 vcc, exec, s[0:1]
	s_cbranch_vccnz .LBB65_684
; %bb.673:
	s_cmp_lt_i32 s6, 6
	s_cbranch_scc1 .LBB65_676
; %bb.674:
	s_cmp_gt_i32 s6, 6
	s_cbranch_scc0 .LBB65_677
; %bb.675:
	global_load_dwordx2 v[0:1], v[2:3], off
	s_mov_b64 s[0:1], 0
	s_waitcnt vmcnt(0)
	v_cvt_f32_f64_e32 v0, v[0:1]
	s_branch .LBB65_678
.LBB65_676:
	s_mov_b64 s[0:1], -1
                                        ; implicit-def: $vgpr0
	s_branch .LBB65_681
.LBB65_677:
	s_mov_b64 s[0:1], -1
                                        ; implicit-def: $vgpr0
.LBB65_678:
	s_andn2_b64 vcc, exec, s[0:1]
	s_cbranch_vccnz .LBB65_680
; %bb.679:
	global_load_dword v0, v[2:3], off
.LBB65_680:
	s_mov_b64 s[0:1], 0
.LBB65_681:
	s_andn2_b64 vcc, exec, s[0:1]
	s_cbranch_vccnz .LBB65_683
; %bb.682:
	global_load_ushort v0, v[2:3], off
	s_waitcnt vmcnt(0)
	v_cvt_f32_f16_e32 v0, v0
.LBB65_683:
	s_waitcnt vmcnt(0)
	v_mov_b32_e32 v1, 0
.LBB65_684:
	s_mov_b64 s[0:1], 0
.LBB65_685:
	s_andn2_b64 vcc, exec, s[0:1]
	s_cbranch_vccnz .LBB65_706
; %bb.686:
	s_cmp_lt_i32 s6, 2
	s_cbranch_scc1 .LBB65_690
; %bb.687:
	s_cmp_lt_i32 s6, 3
	s_cbranch_scc1 .LBB65_691
; %bb.688:
	s_cmp_gt_i32 s6, 3
	s_cbranch_scc0 .LBB65_692
; %bb.689:
	global_load_dwordx2 v[0:1], v[2:3], off
	s_mov_b64 s[0:1], 0
	s_waitcnt vmcnt(0)
	v_xor_b32_e32 v5, v0, v1
	v_ffbh_i32_e32 v4, v1
	v_ashrrev_i32_e32 v5, 31, v5
	v_add_u32_e32 v4, -1, v4
	v_add_u32_e32 v5, 32, v5
	v_min_u32_e32 v4, v4, v5
	v_lshlrev_b64 v[0:1], v4, v[0:1]
	v_min_u32_e32 v0, 1, v0
	v_or_b32_e32 v0, v1, v0
	v_cvt_f32_i32_e32 v0, v0
	v_sub_u32_e32 v1, 32, v4
	v_ldexp_f32 v0, v0, v1
	s_branch .LBB65_693
.LBB65_690:
	s_mov_b64 s[0:1], -1
                                        ; implicit-def: $vgpr0
	s_branch .LBB65_699
.LBB65_691:
	s_mov_b64 s[0:1], -1
                                        ; implicit-def: $vgpr0
	s_branch .LBB65_696
.LBB65_692:
	s_mov_b64 s[0:1], -1
                                        ; implicit-def: $vgpr0
.LBB65_693:
	s_andn2_b64 vcc, exec, s[0:1]
	s_cbranch_vccnz .LBB65_695
; %bb.694:
	global_load_dword v0, v[2:3], off
	s_waitcnt vmcnt(0)
	v_cvt_f32_i32_e32 v0, v0
.LBB65_695:
	s_mov_b64 s[0:1], 0
.LBB65_696:
	s_andn2_b64 vcc, exec, s[0:1]
	s_cbranch_vccnz .LBB65_698
; %bb.697:
	global_load_sshort v0, v[2:3], off
	s_waitcnt vmcnt(0)
	v_cvt_f32_i32_e32 v0, v0
.LBB65_698:
	s_mov_b64 s[0:1], 0
.LBB65_699:
	s_andn2_b64 vcc, exec, s[0:1]
	s_cbranch_vccnz .LBB65_705
; %bb.700:
	s_cmp_gt_i32 s6, 0
	s_cbranch_scc0 .LBB65_702
; %bb.701:
	global_load_sbyte v0, v[2:3], off
	s_mov_b64 s[0:1], 0
	s_waitcnt vmcnt(0)
	v_cvt_f32_i32_e32 v0, v0
	s_branch .LBB65_703
.LBB65_702:
	s_mov_b64 s[0:1], -1
                                        ; implicit-def: $vgpr0
.LBB65_703:
	s_andn2_b64 vcc, exec, s[0:1]
	s_cbranch_vccnz .LBB65_705
; %bb.704:
	global_load_ubyte v0, v[2:3], off
	s_waitcnt vmcnt(0)
	v_cvt_f32_ubyte0_e32 v0, v0
.LBB65_705:
	s_waitcnt vmcnt(0)
	v_mov_b32_e32 v1, 0
.LBB65_706:
	s_mov_b64 s[0:1], -1
.LBB65_707:
	s_andn2_b64 vcc, exec, s[0:1]
	s_cbranch_vccnz .LBB65_715
; %bb.708:
	s_getpc_b64 s[0:1]
	s_add_u32 s0, s0, _ZN16c10_complex_math3expIfEEN3c107complexIT_EERKS4_@rel32@lo+4
	s_addc_u32 s1, s1, _ZN16c10_complex_math3expIfEEN3c107complexIT_EERKS4_@rel32@hi+12
	s_swappc_b64 s[30:31], s[0:1]
	v_mov_b32_e32 v23, 0
	s_and_b32 s8, s73, 0xff
	s_cmp_lt_i32 s8, 11
	v_lshl_add_u64 v[2:3], s[20:21], 0, v[22:23]
	s_cbranch_scc1 .LBB65_716
; %bb.709:
	s_and_b32 s9, 0xffff, s8
	s_cmp_gt_i32 s9, 25
	s_cbranch_scc0 .LBB65_717
; %bb.710:
	s_cmp_gt_i32 s9, 28
	s_cbranch_scc0 .LBB65_718
; %bb.711:
	;; [unrolled: 3-line block ×4, first 2 shown]
	s_mov_b64 s[4:5], 0
	s_mov_b64 s[0:1], -1
	s_cmp_eq_u32 s9, 46
	s_mov_b64 s[2:3], 0
	s_cbranch_scc0 .LBB65_721
; %bb.714:
	s_movk_i32 s0, 0x7fff
	v_bfe_u32 v5, v1, 16, 1
	v_add3_u32 v5, v1, v5, s0
	v_bfe_u32 v4, v0, 16, 1
	v_and_b32_e32 v5, 0xffff0000, v5
	v_mov_b32_e32 v6, 0x7fc00000
	v_cmp_o_f32_e32 vcc, v1, v1
	v_add3_u32 v4, v0, v4, s0
	s_mov_b64 s[2:3], -1
	v_cndmask_b32_e32 v5, v6, v5, vcc
	v_cmp_o_f32_e32 vcc, v0, v0
	v_mov_b32_e32 v6, 0x7fc0
	s_mov_b64 s[0:1], 0
	v_cndmask_b32_sdwa v4, v6, v4, vcc dst_sel:DWORD dst_unused:UNUSED_PAD src0_sel:DWORD src1_sel:WORD_1
	v_or_b32_e32 v4, v5, v4
	global_store_dword v[2:3], v4, off
	s_branch .LBB65_721
.LBB65_715:
	s_mov_b64 s[2:3], 0
	s_mov_b64 s[0:1], s[62:63]
	s_branch .LBB65_832
.LBB65_716:
	s_mov_b64 s[4:5], -1
	s_mov_b64 s[2:3], 0
	s_mov_b64 s[0:1], s[62:63]
	s_branch .LBB65_790
.LBB65_717:
	s_mov_b64 s[4:5], -1
	s_mov_b64 s[2:3], 0
	s_mov_b64 s[0:1], s[62:63]
	s_branch .LBB65_748
.LBB65_718:
	s_mov_b64 s[4:5], -1
	s_mov_b64 s[2:3], 0
	s_mov_b64 s[0:1], s[62:63]
	s_branch .LBB65_731
.LBB65_719:
	s_mov_b64 s[4:5], -1
	s_mov_b64 s[2:3], 0
	s_mov_b64 s[0:1], s[62:63]
	s_branch .LBB65_727
.LBB65_720:
	s_mov_b64 s[4:5], -1
	s_mov_b64 s[2:3], 0
	s_mov_b64 s[0:1], s[62:63]
.LBB65_721:
	s_and_b64 vcc, exec, s[4:5]
	s_cbranch_vccz .LBB65_726
; %bb.722:
	s_cmp_eq_u32 s9, 44
	s_mov_b64 s[0:1], -1
	s_cbranch_scc0 .LBB65_726
; %bb.723:
	v_bfe_u32 v4, v0, 23, 8
	s_movk_i32 s0, 0xff
	v_cmp_ne_u32_e32 vcc, s0, v4
	v_mov_b32_e32 v5, 0xff
	s_and_saveexec_b64 s[2:3], vcc
; %bb.724:
	s_mov_b32 s0, 0x3fffff
	v_and_b32_e32 v6, 0x400000, v0
	v_and_or_b32 v4, v0, s0, v4
	v_cmp_ne_u32_e32 vcc, 0, v6
	v_cmp_ne_u32_e64 s[0:1], 0, v4
	s_and_b64 s[0:1], vcc, s[0:1]
	v_lshrrev_b32_e32 v5, 23, v0
	v_cndmask_b32_e64 v4, 0, 1, s[0:1]
	v_add_u32_e32 v5, v5, v4
; %bb.725:
	s_or_b64 exec, exec, s[2:3]
	s_mov_b64 s[2:3], -1
	s_mov_b64 s[0:1], 0
	global_store_byte v[2:3], v5, off
.LBB65_726:
	s_mov_b64 s[4:5], 0
.LBB65_727:
	s_and_b64 vcc, exec, s[4:5]
	s_cbranch_vccz .LBB65_730
; %bb.728:
	s_cmp_eq_u32 s9, 29
	s_mov_b64 s[0:1], -1
	s_cbranch_scc0 .LBB65_730
; %bb.729:
	v_trunc_f32_e32 v4, v0
	v_mul_f32_e32 v5, 0x2f800000, v4
	v_floor_f32_e32 v6, v5
	v_fmamk_f32 v4, v6, 0xcf800000, v4
	v_cvt_u32_f32_e32 v5, v6
	v_cvt_u32_f32_e32 v4, v4
	s_mov_b64 s[2:3], -1
	s_mov_b64 s[0:1], 0
	s_mov_b64 s[4:5], 0
	global_store_dwordx2 v[2:3], v[4:5], off
	s_branch .LBB65_731
.LBB65_730:
	s_mov_b64 s[4:5], 0
.LBB65_731:
	s_and_b64 vcc, exec, s[4:5]
	s_cbranch_vccz .LBB65_747
; %bb.732:
	s_cmp_lt_i32 s9, 27
	s_mov_b64 s[2:3], -1
	s_cbranch_scc1 .LBB65_738
; %bb.733:
	v_cvt_u32_f32_e32 v4, v0
	s_cmp_gt_i32 s9, 27
	s_cbranch_scc0 .LBB65_735
; %bb.734:
	s_mov_b64 s[2:3], 0
	global_store_dword v[2:3], v4, off
.LBB65_735:
	s_andn2_b64 vcc, exec, s[2:3]
	s_cbranch_vccnz .LBB65_737
; %bb.736:
	global_store_short v[2:3], v4, off
.LBB65_737:
	s_mov_b64 s[2:3], 0
.LBB65_738:
	s_andn2_b64 vcc, exec, s[2:3]
	s_cbranch_vccnz .LBB65_746
; %bb.739:
	v_and_b32_e32 v4, 0x7fffffff, v0
	s_mov_b32 s2, 0x43800000
	v_cmp_gt_u32_e32 vcc, s2, v4
	v_mov_b32_e32 v5, 0x80
	s_and_saveexec_b64 s[2:3], vcc
	s_cbranch_execz .LBB65_745
; %bb.740:
	s_mov_b32 s4, 0x3bffffff
	v_cmp_lt_u32_e32 vcc, s4, v4
	s_mov_b64 s[4:5], 0
                                        ; implicit-def: $vgpr4
	s_and_saveexec_b64 s[6:7], vcc
	s_xor_b64 s[6:7], exec, s[6:7]
	s_cbranch_execz .LBB65_863
; %bb.741:
	v_bfe_u32 v4, v0, 20, 1
	s_mov_b32 s10, 0x487ffff
	v_add3_u32 v4, v0, v4, s10
	s_mov_b64 s[4:5], exec
	v_lshrrev_b32_e32 v4, 20, v4
	s_andn2_saveexec_b64 s[6:7], s[6:7]
	s_cbranch_execnz .LBB65_864
.LBB65_742:
	s_or_b64 exec, exec, s[6:7]
	v_mov_b32_e32 v5, 0
	s_and_saveexec_b64 s[6:7], s[4:5]
.LBB65_743:
	v_lshrrev_b32_e32 v5, 24, v0
	s_movk_i32 s4, 0x80
	v_and_or_b32 v5, v5, s4, v4
.LBB65_744:
	s_or_b64 exec, exec, s[6:7]
.LBB65_745:
	s_or_b64 exec, exec, s[2:3]
	global_store_byte v[2:3], v5, off
.LBB65_746:
	s_mov_b64 s[2:3], -1
.LBB65_747:
	s_mov_b64 s[4:5], 0
.LBB65_748:
	s_and_b64 vcc, exec, s[4:5]
	s_cbranch_vccz .LBB65_789
; %bb.749:
	s_cmp_gt_i32 s9, 22
	s_mov_b64 s[4:5], -1
	s_cbranch_scc0 .LBB65_781
; %bb.750:
	s_cmp_lt_i32 s9, 24
	s_mov_b64 s[2:3], -1
	s_cbranch_scc1 .LBB65_770
; %bb.751:
	s_cmp_gt_i32 s9, 24
	s_cbranch_scc0 .LBB65_759
; %bb.752:
	v_and_b32_e32 v4, 0x7fffffff, v0
	s_mov_b32 s2, 0x47800000
	v_cmp_gt_u32_e32 vcc, s2, v4
	v_mov_b32_e32 v5, 0x80
	s_and_saveexec_b64 s[2:3], vcc
	s_cbranch_execz .LBB65_758
; %bb.753:
	s_mov_b32 s4, 0x37ffffff
	v_cmp_lt_u32_e32 vcc, s4, v4
	s_mov_b64 s[4:5], 0
                                        ; implicit-def: $vgpr4
	s_and_saveexec_b64 s[6:7], vcc
	s_xor_b64 s[6:7], exec, s[6:7]
	s_cbranch_execz .LBB65_866
; %bb.754:
	v_bfe_u32 v4, v0, 21, 1
	s_mov_b32 s10, 0x88fffff
	v_add3_u32 v4, v0, v4, s10
	s_mov_b64 s[4:5], exec
	v_lshrrev_b32_e32 v4, 21, v4
	s_andn2_saveexec_b64 s[6:7], s[6:7]
	s_cbranch_execnz .LBB65_867
.LBB65_755:
	s_or_b64 exec, exec, s[6:7]
	v_mov_b32_e32 v5, 0
	s_and_saveexec_b64 s[6:7], s[4:5]
.LBB65_756:
	v_lshrrev_b32_e32 v5, 24, v0
	s_movk_i32 s4, 0x80
	v_and_or_b32 v5, v5, s4, v4
.LBB65_757:
	s_or_b64 exec, exec, s[6:7]
.LBB65_758:
	s_or_b64 exec, exec, s[2:3]
	s_mov_b64 s[2:3], 0
	global_store_byte v[2:3], v5, off
.LBB65_759:
	s_and_b64 vcc, exec, s[2:3]
	s_cbranch_vccz .LBB65_769
; %bb.760:
	v_and_b32_e32 v5, 0x7fffffff, v0
	s_mov_b32 s2, 0x43f00000
	v_cmp_gt_u32_e32 vcc, s2, v5
                                        ; implicit-def: $vgpr4
	s_and_saveexec_b64 s[2:3], vcc
	s_xor_b64 s[2:3], exec, s[2:3]
	s_cbranch_execz .LBB65_766
; %bb.761:
	s_mov_b32 s4, 0x3c7fffff
	v_cmp_lt_u32_e32 vcc, s4, v5
                                        ; implicit-def: $vgpr4
	s_and_saveexec_b64 s[4:5], vcc
	s_xor_b64 s[4:5], exec, s[4:5]
; %bb.762:
	v_bfe_u32 v4, v0, 20, 1
	s_mov_b32 s6, 0x407ffff
	v_add3_u32 v4, v0, v4, s6
	v_lshrrev_b32_e32 v5, 20, v4
	v_and_b32_e32 v4, 0xff00000, v4
	s_mov_b32 s6, 0x7f00000
	v_mov_b32_e32 v6, 0x7e
	v_cmp_ne_u32_e32 vcc, s6, v4
	s_nop 1
	v_cndmask_b32_e32 v4, v6, v5, vcc
; %bb.763:
	s_andn2_saveexec_b64 s[4:5], s[4:5]
; %bb.764:
	s_mov_b32 s6, 0x46800000
	v_add_f32_e64 v4, |v0|, s6
; %bb.765:
	s_or_b64 exec, exec, s[4:5]
                                        ; implicit-def: $vgpr5
.LBB65_766:
	s_andn2_saveexec_b64 s[2:3], s[2:3]
; %bb.767:
	s_mov_b32 s4, 0x7f800000
	v_mov_b32_e32 v4, 0x7e
	v_mov_b32_e32 v6, 0x7f
	v_cmp_lt_u32_e32 vcc, s4, v5
	s_nop 1
	v_cndmask_b32_e32 v4, v4, v6, vcc
; %bb.768:
	s_or_b64 exec, exec, s[2:3]
	v_lshrrev_b32_e32 v5, 24, v0
	s_movk_i32 s2, 0x80
	v_and_or_b32 v4, v5, s2, v4
	global_store_byte v[2:3], v4, off
.LBB65_769:
	s_mov_b64 s[2:3], 0
.LBB65_770:
	s_andn2_b64 vcc, exec, s[2:3]
	s_cbranch_vccnz .LBB65_780
; %bb.771:
	v_and_b32_e32 v5, 0x7fffffff, v0
	s_mov_b32 s2, 0x47800000
	v_cmp_gt_u32_e32 vcc, s2, v5
                                        ; implicit-def: $vgpr4
	s_and_saveexec_b64 s[2:3], vcc
	s_xor_b64 s[2:3], exec, s[2:3]
	s_cbranch_execz .LBB65_777
; %bb.772:
	s_mov_b32 s4, 0x387fffff
	v_cmp_lt_u32_e32 vcc, s4, v5
                                        ; implicit-def: $vgpr4
	s_and_saveexec_b64 s[4:5], vcc
	s_xor_b64 s[4:5], exec, s[4:5]
; %bb.773:
	v_bfe_u32 v4, v0, 21, 1
	s_mov_b32 s6, 0x80fffff
	v_add3_u32 v4, v0, v4, s6
	v_lshrrev_b32_e32 v4, 21, v4
; %bb.774:
	s_andn2_saveexec_b64 s[4:5], s[4:5]
; %bb.775:
	s_mov_b32 s6, 0x43000000
	v_add_f32_e64 v4, |v0|, s6
; %bb.776:
	s_or_b64 exec, exec, s[4:5]
                                        ; implicit-def: $vgpr5
.LBB65_777:
	s_andn2_saveexec_b64 s[2:3], s[2:3]
; %bb.778:
	s_mov_b32 s4, 0x7f800000
	v_mov_b32_e32 v4, 0x7c
	v_mov_b32_e32 v6, 0x7f
	v_cmp_lt_u32_e32 vcc, s4, v5
	s_nop 1
	v_cndmask_b32_e32 v4, v4, v6, vcc
; %bb.779:
	s_or_b64 exec, exec, s[2:3]
	v_lshrrev_b32_e32 v5, 24, v0
	s_movk_i32 s2, 0x80
	v_and_or_b32 v4, v5, s2, v4
	global_store_byte v[2:3], v4, off
.LBB65_780:
	s_mov_b64 s[4:5], 0
	s_mov_b64 s[2:3], -1
.LBB65_781:
	s_andn2_b64 vcc, exec, s[4:5]
	s_cbranch_vccnz .LBB65_789
; %bb.782:
	s_cmp_gt_i32 s9, 14
	s_mov_b64 s[4:5], -1
	s_cbranch_scc0 .LBB65_786
; %bb.783:
	s_cmp_eq_u32 s9, 15
	s_mov_b64 s[0:1], -1
	s_cbranch_scc0 .LBB65_785
; %bb.784:
	v_bfe_u32 v4, v0, 16, 1
	s_movk_i32 s0, 0x7fff
	v_add3_u32 v4, v0, v4, s0
	v_cmp_o_f32_e32 vcc, v0, v0
	v_mov_b32_e32 v5, 0x7fc0
	s_mov_b64 s[2:3], -1
	v_cndmask_b32_sdwa v4, v5, v4, vcc dst_sel:DWORD dst_unused:UNUSED_PAD src0_sel:DWORD src1_sel:WORD_1
	global_store_short v[2:3], v4, off
	s_mov_b64 s[0:1], 0
.LBB65_785:
	s_mov_b64 s[4:5], 0
.LBB65_786:
	s_and_b64 vcc, exec, s[4:5]
	s_cbranch_vccz .LBB65_789
; %bb.787:
	s_cmp_eq_u32 s9, 11
	s_mov_b64 s[0:1], -1
	s_cbranch_scc0 .LBB65_789
; %bb.788:
	s_brev_b32 s0, -2
	v_bitop3_b32 v4, v0, s0, v1 bitop3:0xc8
	v_cmp_ne_u32_e32 vcc, 0, v4
	s_mov_b64 s[2:3], -1
	s_mov_b64 s[0:1], 0
	v_cndmask_b32_e64 v4, 0, 1, vcc
	global_store_byte v[2:3], v4, off
.LBB65_789:
	s_mov_b64 s[4:5], 0
.LBB65_790:
	s_and_b64 vcc, exec, s[4:5]
	s_cbranch_vccz .LBB65_829
; %bb.791:
	s_and_b32 s4, 0xffff, s8
	s_cmp_lt_i32 s4, 5
	s_mov_b64 s[2:3], -1
	s_cbranch_scc1 .LBB65_812
; %bb.792:
	s_cmp_lt_i32 s4, 8
	s_cbranch_scc1 .LBB65_802
; %bb.793:
	s_cmp_lt_i32 s4, 9
	s_cbranch_scc1 .LBB65_799
; %bb.794:
	s_cmp_gt_i32 s4, 9
	s_cbranch_scc0 .LBB65_796
; %bb.795:
	v_cvt_f64_f32_e32 v[4:5], v0
	v_cvt_f64_f32_e32 v[6:7], v1
	s_mov_b64 s[2:3], 0
	global_store_dwordx4 v[2:3], v[4:7], off
.LBB65_796:
	s_andn2_b64 vcc, exec, s[2:3]
	s_cbranch_vccnz .LBB65_798
; %bb.797:
	global_store_dwordx2 v[2:3], v[0:1], off
.LBB65_798:
	s_mov_b64 s[2:3], 0
.LBB65_799:
	s_andn2_b64 vcc, exec, s[2:3]
	s_cbranch_vccnz .LBB65_801
; %bb.800:
	v_cvt_f16_f32_e32 v4, v0
	v_cvt_f16_f32_sdwa v1, v1 dst_sel:WORD_1 dst_unused:UNUSED_PAD src0_sel:DWORD
	s_nop 0
	v_or_b32_e32 v1, v1, v4
	global_store_dword v[2:3], v1, off
.LBB65_801:
	s_mov_b64 s[2:3], 0
.LBB65_802:
	s_andn2_b64 vcc, exec, s[2:3]
	s_cbranch_vccnz .LBB65_811
; %bb.803:
	s_cmp_lt_i32 s4, 6
	s_mov_b64 s[2:3], -1
	s_cbranch_scc1 .LBB65_809
; %bb.804:
	s_cmp_gt_i32 s4, 6
	s_cbranch_scc0 .LBB65_806
; %bb.805:
	v_cvt_f64_f32_e32 v[4:5], v0
	s_mov_b64 s[2:3], 0
	global_store_dwordx2 v[2:3], v[4:5], off
.LBB65_806:
	s_andn2_b64 vcc, exec, s[2:3]
	s_cbranch_vccnz .LBB65_808
; %bb.807:
	global_store_dword v[2:3], v0, off
.LBB65_808:
	s_mov_b64 s[2:3], 0
.LBB65_809:
	s_andn2_b64 vcc, exec, s[2:3]
	s_cbranch_vccnz .LBB65_811
; %bb.810:
	v_cvt_f16_f32_e32 v1, v0
	global_store_short v[2:3], v1, off
.LBB65_811:
	s_mov_b64 s[2:3], 0
.LBB65_812:
	s_andn2_b64 vcc, exec, s[2:3]
	s_cbranch_vccnz .LBB65_828
; %bb.813:
	s_cmp_lt_i32 s4, 2
	s_mov_b64 s[2:3], -1
	s_cbranch_scc1 .LBB65_823
; %bb.814:
	s_cmp_lt_i32 s4, 3
	s_cbranch_scc1 .LBB65_820
; %bb.815:
	s_cmp_gt_i32 s4, 3
	s_cbranch_scc0 .LBB65_817
; %bb.816:
	v_trunc_f32_e32 v1, v0
	s_mov_b32 s2, 0x2f800000
	v_mul_f32_e64 v4, |v1|, s2
	v_floor_f32_e32 v4, v4
	s_mov_b32 s2, 0xcf800000
	v_cvt_u32_f32_e32 v5, v4
	v_fma_f32 v4, v4, s2, |v1|
	v_cvt_u32_f32_e32 v4, v4
	v_ashrrev_i32_e32 v1, 31, v1
	v_xor_b32_e32 v5, v5, v1
	s_mov_b64 s[2:3], 0
	v_xor_b32_e32 v4, v4, v1
	v_sub_co_u32_e32 v4, vcc, v4, v1
	s_nop 1
	v_subb_co_u32_e32 v5, vcc, v5, v1, vcc
	global_store_dwordx2 v[2:3], v[4:5], off
.LBB65_817:
	s_andn2_b64 vcc, exec, s[2:3]
	s_cbranch_vccnz .LBB65_819
; %bb.818:
	v_cvt_i32_f32_e32 v1, v0
	global_store_dword v[2:3], v1, off
.LBB65_819:
	s_mov_b64 s[2:3], 0
.LBB65_820:
	s_andn2_b64 vcc, exec, s[2:3]
	s_cbranch_vccnz .LBB65_822
; %bb.821:
	v_cvt_i32_f32_e32 v1, v0
	global_store_short v[2:3], v1, off
.LBB65_822:
	s_mov_b64 s[2:3], 0
.LBB65_823:
	s_andn2_b64 vcc, exec, s[2:3]
	s_cbranch_vccnz .LBB65_828
; %bb.824:
	s_cmp_gt_i32 s4, 0
	s_mov_b64 s[2:3], -1
	s_cbranch_scc0 .LBB65_826
; %bb.825:
	v_cvt_i32_f32_e32 v1, v0
	s_mov_b64 s[2:3], 0
	global_store_byte v[2:3], v1, off
.LBB65_826:
	s_andn2_b64 vcc, exec, s[2:3]
	s_cbranch_vccnz .LBB65_828
; %bb.827:
	v_trunc_f32_e32 v0, v0
	s_mov_b32 s2, 0x2f800000
	v_mul_f32_e64 v1, |v0|, s2
	v_floor_f32_e32 v1, v1
	s_mov_b32 s2, 0xcf800000
	v_fma_f32 v1, v1, s2, |v0|
	v_cvt_u32_f32_e32 v1, v1
	v_ashrrev_i32_e32 v0, 31, v0
	v_xor_b32_e32 v1, v1, v0
	v_sub_u32_e32 v0, v1, v0
	global_store_byte v[2:3], v0, off
.LBB65_828:
	s_mov_b64 s[2:3], -1
.LBB65_829:
	s_andn2_b64 vcc, exec, s[2:3]
	s_cbranch_vccnz .LBB65_831
; %bb.830:
	v_add_u32_e32 v21, 0x80, v21
	s_mov_b64 s[2:3], -1
	s_branch .LBB65_833
.LBB65_831:
	s_mov_b64 s[2:3], 0
.LBB65_832:
                                        ; implicit-def: $vgpr21
.LBB65_833:
	s_andn2_b64 s[4:5], s[62:63], exec
	s_and_b64 s[0:1], s[0:1], exec
	s_or_b64 s[68:69], s[4:5], s[0:1]
	s_andn2_b64 s[0:1], s[60:61], exec
	s_and_b64 s[4:5], s[28:29], exec
	s_or_b64 s[16:17], s[0:1], s[4:5]
	s_orn2_b64 s[2:3], s[2:3], exec
.LBB65_834:
	s_or_b64 exec, exec, s[66:67]
	s_mov_b64 s[0:1], 0
	s_mov_b64 s[4:5], 0
	;; [unrolled: 1-line block ×3, first 2 shown]
                                        ; implicit-def: $vgpr0_vgpr1
                                        ; implicit-def: $vgpr22
                                        ; implicit-def: $vgpr3
	s_and_saveexec_b64 s[66:67], s[2:3]
	s_cbranch_execz .LBB65_937
; %bb.835:
	v_cmp_gt_i32_e32 vcc, s70, v21
	s_mov_b64 s[2:3], 0
	s_mov_b64 s[8:9], s[16:17]
                                        ; implicit-def: $vgpr0_vgpr1
                                        ; implicit-def: $vgpr22
                                        ; implicit-def: $vgpr3
	s_and_saveexec_b64 s[70:71], vcc
	s_cbranch_execz .LBB65_936
; %bb.836:
	s_andn2_b64 vcc, exec, s[42:43]
	s_cbranch_vccnz .LBB65_842
; %bb.837:
	s_andn2_b64 vcc, exec, s[52:53]
	s_cbranch_vccnz .LBB65_843
; %bb.838:
	s_add_i32 s76, s75, 1
	s_cmp_eq_u32 s72, 2
	s_cbranch_scc1 .LBB65_844
; %bb.839:
	s_and_b32 s75, s76, 28
	s_mov_b32 s77, 0
	v_mov_b32_e32 v22, 0
	s_waitcnt vmcnt(0)
	v_mov_b32_e32 v0, 0
	s_mov_b64 s[52:53], s[34:35]
	v_mov_b32_e32 v2, v21
.LBB65_840:                             ; =>This Inner Loop Header: Depth=1
	s_load_dwordx8 s[8:15], s[52:53], 0x4
	s_load_dwordx4 s[28:31], s[52:53], 0x24
	s_load_dwordx8 s[0:7], s[50:51], 0x0
	s_add_u32 s52, s52, 48
	s_addc_u32 s53, s53, 0
	s_waitcnt lgkmcnt(0)
	v_mul_hi_u32 v1, s9, v2
	v_add_u32_e32 v1, v2, v1
	v_lshrrev_b32_e32 v1, s10, v1
	v_mul_lo_u32 v3, v1, s8
	v_mul_hi_u32 v4, s12, v1
	v_sub_u32_e32 v2, v2, v3
	v_add_u32_e32 v3, v1, v4
	v_lshrrev_b32_e32 v3, s13, v3
	v_mul_lo_u32 v5, v3, s11
	v_mul_hi_u32 v6, s15, v3
	v_sub_u32_e32 v1, v1, v5
	v_add_u32_e32 v5, v3, v6
	v_mul_lo_u32 v4, v2, s1
	v_mul_lo_u32 v2, v2, s0
	;; [unrolled: 1-line block ×4, first 2 shown]
	v_lshrrev_b32_e32 v5, s28, v5
	v_add3_u32 v1, v2, v22, v1
	v_add3_u32 v0, v4, v0, v6
	v_mul_lo_u32 v2, v5, s14
	v_mul_hi_u32 v4, s30, v5
	v_sub_u32_e32 v2, v3, v2
	v_add_u32_e32 v3, v5, v4
	v_mul_lo_u32 v4, v2, s4
	v_mul_lo_u32 v6, v2, s5
	v_lshrrev_b32_e32 v2, s31, v3
	s_add_i32 s77, s77, 4
	v_mul_lo_u32 v3, v2, s29
	s_add_u32 s50, s50, 32
	v_sub_u32_e32 v3, v5, v3
	s_addc_u32 s51, s51, 0
	v_mul_lo_u32 v5, v3, s6
	v_mul_lo_u32 v3, v3, s7
	s_cmp_eq_u32 s75, s77
	v_add3_u32 v0, v6, v0, v3
	v_add3_u32 v22, v4, v1, v5
	s_cbranch_scc0 .LBB65_840
; %bb.841:
	v_mov_b32_e32 v1, v0
	s_branch .LBB65_845
.LBB65_842:
	s_mov_b64 s[0:1], -1
                                        ; implicit-def: $vgpr0
                                        ; implicit-def: $vgpr22
	s_branch .LBB65_849
.LBB65_843:
	s_waitcnt vmcnt(0)
	v_mov_b32_e32 v0, 0
	v_mov_b32_e32 v22, 0
	s_branch .LBB65_848
.LBB65_844:
	v_mov_b32_e32 v22, 0
	s_mov_b32 s75, 0
	s_waitcnt vmcnt(0)
	v_mov_b32_e32 v1, v22
                                        ; implicit-def: $vgpr0
	v_mov_b32_e32 v2, v21
.LBB65_845:
	s_and_b32 s4, s76, 3
	s_cmp_eq_u32 s4, 0
	s_cbranch_scc1 .LBB65_848
; %bb.846:
	s_lshl_b32 s0, s75, 3
	s_add_u32 s0, s34, s0
	s_addc_u32 s1, s35, 0
	s_add_u32 s0, s0, 0xc4
	s_addc_u32 s1, s1, 0
	s_mul_i32 s2, s75, 12
	s_add_u32 s2, s34, s2
	s_addc_u32 s3, s35, 0
.LBB65_847:                             ; =>This Inner Loop Header: Depth=1
	s_load_dwordx2 s[6:7], s[2:3], 0x4
	s_load_dword s5, s[2:3], 0xc
	s_load_dwordx2 s[8:9], s[0:1], 0x0
	v_mov_b32_e32 v0, v1
	s_add_u32 s2, s2, 12
	s_waitcnt lgkmcnt(0)
	v_mul_hi_u32 v1, s7, v2
	v_add_u32_e32 v1, v2, v1
	v_lshrrev_b32_e32 v1, s5, v1
	s_addc_u32 s3, s3, 0
	v_mul_lo_u32 v3, v1, s6
	s_add_u32 s0, s0, 8
	v_sub_u32_e32 v3, v2, v3
	s_addc_u32 s1, s1, 0
	s_add_i32 s4, s4, -1
	v_mov_b32_e32 v2, v1
	v_mad_u64_u32 v[0:1], s[6:7], v3, s9, v[0:1]
	s_cmp_lg_u32 s4, 0
	v_mad_u64_u32 v[22:23], s[6:7], v3, s8, v[22:23]
	v_mov_b32_e32 v1, v0
	s_cbranch_scc1 .LBB65_847
.LBB65_848:
	s_mov_b64 s[0:1], 0
.LBB65_849:
	s_andn2_b64 vcc, exec, s[0:1]
	s_cbranch_vccnz .LBB65_852
; %bb.850:
	s_waitcnt vmcnt(0) lgkmcnt(0)
	v_mul_hi_u32 v0, s37, v21
	v_add_u32_e32 v0, v21, v0
	v_lshrrev_b32_e32 v1, s38, v0
	v_mul_lo_u32 v0, v1, s36
	v_sub_u32_e32 v2, v21, v0
	v_mul_lo_u32 v0, v2, s25
	s_andn2_b64 vcc, exec, s[48:49]
	v_mul_lo_u32 v22, v2, s24
	s_cbranch_vccnz .LBB65_852
; %bb.851:
	v_mul_hi_u32 v2, s46, v1
	v_add_u32_e32 v2, v1, v2
	v_lshrrev_b32_e32 v2, s47, v2
	v_mul_lo_u32 v2, v2, s39
	v_sub_u32_e32 v1, v1, v2
	v_mad_u64_u32 v[22:23], s[0:1], v1, s26, v[22:23]
	v_mad_u64_u32 v[0:1], s[0:1], v1, s27, v[0:1]
.LBB65_852:
	s_waitcnt vmcnt(0)
	v_mov_b32_e32 v1, 0
	s_and_b32 s10, 0xffff, s74
	s_cmp_lt_i32 s10, 11
	s_waitcnt lgkmcnt(0)
	v_lshl_add_u64 v[0:1], s[22:23], 0, v[0:1]
	s_cbranch_scc1 .LBB65_859
; %bb.853:
	s_cmp_gt_i32 s10, 25
	s_mov_b64 s[2:3], 0
	s_cbranch_scc0 .LBB65_860
; %bb.854:
	s_cmp_gt_i32 s10, 28
	s_cbranch_scc0 .LBB65_861
; %bb.855:
	s_cmp_gt_i32 s10, 43
	;; [unrolled: 3-line block ×3, first 2 shown]
	s_cbranch_scc0 .LBB65_865
; %bb.857:
	s_cmp_eq_u32 s10, 46
	s_mov_b64 s[6:7], 0
	s_cbranch_scc0 .LBB65_868
; %bb.858:
	global_load_dword v2, v[0:1], off
	s_mov_b64 s[0:1], 0
	s_mov_b64 s[4:5], -1
	s_waitcnt vmcnt(0)
	v_and_b32_e32 v3, 0xffff0000, v2
	v_lshlrev_b32_e32 v2, 16, v2
	s_branch .LBB65_869
.LBB65_859:
	s_mov_b64 s[8:9], -1
	s_mov_b64 s[4:5], 0
	s_mov_b64 s[2:3], 0
	;; [unrolled: 1-line block ×3, first 2 shown]
                                        ; implicit-def: $vgpr3
	s_branch .LBB65_935
.LBB65_860:
	s_mov_b64 s[6:7], -1
	s_mov_b64 s[4:5], 0
	s_mov_b64 s[0:1], s[16:17]
                                        ; implicit-def: $vgpr3
	s_branch .LBB65_900
.LBB65_861:
	s_mov_b64 s[6:7], -1
	s_mov_b64 s[4:5], 0
	s_mov_b64 s[0:1], s[16:17]
                                        ; implicit-def: $vgpr3
	s_branch .LBB65_881
.LBB65_862:
	s_mov_b64 s[6:7], -1
	s_mov_b64 s[4:5], 0
	s_mov_b64 s[0:1], s[16:17]
                                        ; implicit-def: $vgpr3
	s_branch .LBB65_875
.LBB65_863:
	s_andn2_saveexec_b64 s[6:7], s[6:7]
	s_cbranch_execz .LBB65_742
.LBB65_864:
	s_mov_b32 s10, 0x46000000
	v_add_f32_e64 v4, |v0|, s10
	v_and_b32_e32 v4, 0xff, v4
	v_cmp_ne_u32_e32 vcc, 0, v4
	s_andn2_b64 s[4:5], s[4:5], exec
	s_and_b64 s[10:11], vcc, exec
	s_or_b64 s[4:5], s[4:5], s[10:11]
	s_or_b64 exec, exec, s[6:7]
	v_mov_b32_e32 v5, 0
	s_and_saveexec_b64 s[6:7], s[4:5]
	s_cbranch_execnz .LBB65_743
	s_branch .LBB65_744
.LBB65_865:
	s_mov_b64 s[6:7], -1
	s_mov_b64 s[4:5], 0
	s_mov_b64 s[0:1], s[16:17]
                                        ; implicit-def: $vgpr3
	s_branch .LBB65_869
.LBB65_866:
	s_andn2_saveexec_b64 s[6:7], s[6:7]
	s_cbranch_execz .LBB65_755
.LBB65_867:
	s_mov_b32 s10, 0x42800000
	v_add_f32_e64 v4, |v0|, s10
	v_and_b32_e32 v4, 0xff, v4
	v_cmp_ne_u32_e32 vcc, 0, v4
	s_andn2_b64 s[4:5], s[4:5], exec
	s_and_b64 s[10:11], vcc, exec
	s_or_b64 s[4:5], s[4:5], s[10:11]
	s_or_b64 exec, exec, s[6:7]
	v_mov_b32_e32 v5, 0
	s_and_saveexec_b64 s[6:7], s[4:5]
	s_cbranch_execnz .LBB65_756
	s_branch .LBB65_757
.LBB65_868:
	s_mov_b64 s[0:1], -1
                                        ; implicit-def: $vgpr3
	s_mov_b64 s[4:5], 0
.LBB65_869:
	s_and_b64 vcc, exec, s[6:7]
	s_cbranch_vccz .LBB65_874
; %bb.870:
	s_cmp_eq_u32 s10, 44
	s_cbranch_scc0 .LBB65_872
; %bb.871:
	global_load_ubyte v2, v[0:1], off
	s_movk_i32 s4, 0xff
	v_mov_b32_e32 v3, 0x7f800001
	v_mov_b32_e32 v4, 0x400000
	s_mov_b64 s[0:1], 0
	s_waitcnt vmcnt(0)
	v_lshlrev_b32_e32 v5, 23, v2
	v_cmp_ne_u32_e32 vcc, s4, v2
	s_mov_b64 s[4:5], -1
	s_nop 0
	v_cndmask_b32_e32 v3, v3, v5, vcc
	v_cmp_ne_u32_e32 vcc, 0, v2
	s_nop 1
	v_cndmask_b32_e32 v2, v4, v3, vcc
	s_branch .LBB65_873
.LBB65_872:
	s_mov_b64 s[0:1], -1
                                        ; implicit-def: $vgpr2
.LBB65_873:
	v_mov_b32_e32 v3, 0
.LBB65_874:
	s_mov_b64 s[6:7], 0
.LBB65_875:
	s_and_b64 vcc, exec, s[6:7]
	s_cbranch_vccz .LBB65_880
; %bb.876:
	s_cmp_eq_u32 s10, 29
	s_cbranch_scc0 .LBB65_878
; %bb.877:
	global_load_dwordx2 v[2:3], v[0:1], off
	s_mov_b64 s[0:1], 0
	s_mov_b64 s[4:5], -1
	s_waitcnt vmcnt(0)
	v_ffbh_u32_e32 v4, v3
	v_min_u32_e32 v4, 32, v4
	v_lshlrev_b64 v[2:3], v4, v[2:3]
	v_min_u32_e32 v2, 1, v2
	v_or_b32_e32 v2, v3, v2
	v_cvt_f32_u32_e32 v2, v2
	v_sub_u32_e32 v3, 32, v4
	v_ldexp_f32 v2, v2, v3
	s_branch .LBB65_879
.LBB65_878:
	s_mov_b64 s[0:1], -1
                                        ; implicit-def: $vgpr2
.LBB65_879:
	v_mov_b32_e32 v3, 0
.LBB65_880:
	s_mov_b64 s[6:7], 0
.LBB65_881:
	s_and_b64 vcc, exec, s[6:7]
	s_cbranch_vccz .LBB65_899
; %bb.882:
	s_cmp_lt_i32 s10, 27
	s_cbranch_scc1 .LBB65_885
; %bb.883:
	s_cmp_gt_i32 s10, 27
	s_cbranch_scc0 .LBB65_886
; %bb.884:
	global_load_dword v2, v[0:1], off
	s_mov_b64 s[4:5], 0
	s_waitcnt vmcnt(0)
	v_cvt_f32_u32_e32 v2, v2
	s_branch .LBB65_887
.LBB65_885:
	s_mov_b64 s[4:5], -1
                                        ; implicit-def: $vgpr2
	s_branch .LBB65_890
.LBB65_886:
	s_mov_b64 s[4:5], -1
                                        ; implicit-def: $vgpr2
.LBB65_887:
	s_andn2_b64 vcc, exec, s[4:5]
	s_cbranch_vccnz .LBB65_889
; %bb.888:
	global_load_ushort v2, v[0:1], off
	s_waitcnt vmcnt(0)
	v_cvt_f32_u32_e32 v2, v2
.LBB65_889:
	s_mov_b64 s[4:5], 0
.LBB65_890:
	s_andn2_b64 vcc, exec, s[4:5]
	s_cbranch_vccnz .LBB65_898
; %bb.891:
	global_load_ubyte v3, v[0:1], off
	s_movk_i32 s4, 0x7f
	s_waitcnt vmcnt(0)
	v_cmp_lt_i16_e32 vcc, s4, v3
	s_mov_b64 s[4:5], 0
	s_and_saveexec_b64 s[6:7], vcc
	s_xor_b64 s[6:7], exec, s[6:7]
	s_cbranch_execz .LBB65_912
; %bb.892:
	s_movk_i32 s4, 0x80
	v_cmp_eq_u16_e32 vcc, s4, v3
	s_mov_b64 s[4:5], -1
	s_and_saveexec_b64 s[8:9], vcc
; %bb.893:
	s_xor_b64 s[4:5], exec, -1
; %bb.894:
	s_or_b64 exec, exec, s[8:9]
	s_and_b64 s[4:5], s[4:5], exec
	s_or_saveexec_b64 s[6:7], s[6:7]
	v_mov_b32_e32 v2, 0x7f800001
	s_xor_b64 exec, exec, s[6:7]
	s_cbranch_execnz .LBB65_913
.LBB65_895:
	s_or_b64 exec, exec, s[6:7]
	s_and_saveexec_b64 s[6:7], s[4:5]
	s_cbranch_execz .LBB65_897
.LBB65_896:
	v_lshlrev_b32_e32 v2, 24, v3
	v_and_b32_e32 v3, 0xffff, v3
	v_and_b32_e32 v4, 7, v3
	v_ffbh_u32_e32 v6, v4
	v_min_u32_e32 v6, 32, v6
	v_subrev_u32_e32 v7, 28, v6
	v_bfe_u32 v5, v3, 3, 4
	v_lshlrev_b32_e32 v3, v7, v3
	v_sub_u32_e32 v6, 29, v6
	v_and_b32_e32 v3, 7, v3
	v_cmp_eq_u32_e32 vcc, 0, v5
	v_and_b32_e32 v2, 0x80000000, v2
	s_nop 0
	v_cndmask_b32_e32 v5, v5, v6, vcc
	v_cndmask_b32_e32 v3, v4, v3, vcc
	v_mov_b32_e32 v4, 0x3b800000
	v_lshlrev_b32_e32 v3, 20, v3
	v_lshl_add_u32 v4, v5, 23, v4
	v_or3_b32 v2, v2, v4, v3
.LBB65_897:
	s_or_b64 exec, exec, s[6:7]
.LBB65_898:
	s_mov_b64 s[4:5], -1
	v_mov_b32_e32 v3, 0
.LBB65_899:
	s_mov_b64 s[6:7], 0
.LBB65_900:
	s_and_b64 vcc, exec, s[6:7]
	s_cbranch_vccz .LBB65_934
; %bb.901:
	s_cmp_gt_i32 s10, 22
	s_cbranch_scc0 .LBB65_911
; %bb.902:
	s_cmp_lt_i32 s10, 24
	s_cbranch_scc1 .LBB65_914
; %bb.903:
	s_cmp_gt_i32 s10, 24
	s_cbranch_scc0 .LBB65_915
; %bb.904:
	global_load_ubyte v3, v[0:1], off
	s_movk_i32 s2, 0x7f
	s_waitcnt vmcnt(0)
	v_cmp_lt_i16_e32 vcc, s2, v3
	s_mov_b64 s[2:3], 0
	s_and_saveexec_b64 s[4:5], vcc
	s_xor_b64 s[4:5], exec, s[4:5]
	s_cbranch_execz .LBB65_927
; %bb.905:
	s_movk_i32 s2, 0x80
	v_cmp_eq_u16_e32 vcc, s2, v3
	s_mov_b64 s[2:3], -1
	s_and_saveexec_b64 s[6:7], vcc
; %bb.906:
	s_xor_b64 s[2:3], exec, -1
; %bb.907:
	s_or_b64 exec, exec, s[6:7]
	s_and_b64 s[2:3], s[2:3], exec
	s_or_saveexec_b64 s[4:5], s[4:5]
	v_mov_b32_e32 v2, 0x7f800001
	s_xor_b64 exec, exec, s[4:5]
	s_cbranch_execnz .LBB65_928
.LBB65_908:
	s_or_b64 exec, exec, s[4:5]
	s_and_saveexec_b64 s[4:5], s[2:3]
	s_cbranch_execz .LBB65_910
.LBB65_909:
	v_lshlrev_b32_e32 v2, 24, v3
	v_and_b32_e32 v3, 0xffff, v3
	v_and_b32_e32 v4, 3, v3
	v_ffbh_u32_e32 v6, v4
	v_min_u32_e32 v6, 32, v6
	v_subrev_u32_e32 v7, 29, v6
	v_bfe_u32 v5, v3, 2, 5
	v_lshlrev_b32_e32 v3, v7, v3
	v_sub_u32_e32 v6, 30, v6
	v_and_b32_e32 v3, 3, v3
	v_cmp_eq_u32_e32 vcc, 0, v5
	v_and_b32_e32 v2, 0x80000000, v2
	s_nop 0
	v_cndmask_b32_e32 v5, v5, v6, vcc
	v_cndmask_b32_e32 v3, v4, v3, vcc
	v_mov_b32_e32 v4, 0x37800000
	v_lshlrev_b32_e32 v3, 21, v3
	v_lshl_add_u32 v4, v5, 23, v4
	v_or3_b32 v2, v2, v4, v3
.LBB65_910:
	s_or_b64 exec, exec, s[4:5]
	s_mov_b64 s[2:3], 0
	s_branch .LBB65_916
.LBB65_911:
	s_mov_b64 s[2:3], -1
                                        ; implicit-def: $vgpr2
	s_branch .LBB65_922
.LBB65_912:
	s_or_saveexec_b64 s[6:7], s[6:7]
	v_mov_b32_e32 v2, 0x7f800001
	s_xor_b64 exec, exec, s[6:7]
	s_cbranch_execz .LBB65_895
.LBB65_913:
	v_cmp_ne_u16_e32 vcc, 0, v3
	s_andn2_b64 s[4:5], s[4:5], exec
	s_and_b64 s[8:9], vcc, exec
	v_mov_b32_e32 v2, 0
	s_or_b64 s[4:5], s[4:5], s[8:9]
	s_or_b64 exec, exec, s[6:7]
	s_and_saveexec_b64 s[6:7], s[4:5]
	s_cbranch_execnz .LBB65_896
	s_branch .LBB65_897
.LBB65_914:
	s_mov_b64 s[2:3], -1
                                        ; implicit-def: $vgpr2
	s_branch .LBB65_919
.LBB65_915:
	s_mov_b64 s[2:3], -1
                                        ; implicit-def: $vgpr2
.LBB65_916:
	s_and_b64 vcc, exec, s[2:3]
	s_cbranch_vccz .LBB65_918
; %bb.917:
	global_load_ubyte v2, v[0:1], off
	s_mov_b32 s2, 0x7f800000
	s_waitcnt vmcnt(0)
	v_lshlrev_b32_e32 v2, 24, v2
	v_and_b32_e32 v3, 0x7f000000, v2
	v_ffbh_u32_e32 v4, v3
	v_min_u32_e32 v4, 32, v4
	v_sub_u32_e64 v4, v4, 4 clamp
	v_lshlrev_b32_e32 v6, v4, v3
	v_lshlrev_b32_e32 v4, 23, v4
	v_lshrrev_b32_e32 v6, 4, v6
	v_add_u32_e32 v5, 0x1000000, v3
	v_sub_u32_e32 v4, v6, v4
	v_ashrrev_i32_e32 v5, 8, v5
	v_add_u32_e32 v4, 0x3c000000, v4
	v_and_or_b32 v4, v5, s2, v4
	v_cmp_ne_u32_e32 vcc, 0, v3
	s_brev_b32 s2, 1
	s_nop 0
	v_cndmask_b32_e32 v3, 0, v4, vcc
	v_and_or_b32 v2, v2, s2, v3
.LBB65_918:
	s_mov_b64 s[2:3], 0
.LBB65_919:
	s_andn2_b64 vcc, exec, s[2:3]
	s_cbranch_vccnz .LBB65_921
; %bb.920:
	global_load_ubyte v2, v[0:1], off
	s_movk_i32 s2, 0x7f00
	s_brev_b32 s3, 16
	s_waitcnt vmcnt(0)
	v_lshlrev_b16_e32 v3, 8, v2
	v_lshlrev_b32_e32 v2, 25, v2
	v_lshrrev_b32_e32 v4, 4, v2
	v_and_or_b32 v5, v3, s2, 0.5
	v_or_b32_e32 v4, 0x70000000, v4
	v_add_f32_e32 v5, -0.5, v5
	v_mul_f32_e32 v4, 0x7800000, v4
	v_cmp_gt_u32_e32 vcc, s3, v2
	v_bfe_i32 v3, v3, 0, 16
	s_brev_b32 s2, 1
	v_cndmask_b32_e32 v2, v4, v5, vcc
	v_and_or_b32 v2, v3, s2, v2
.LBB65_921:
	s_mov_b64 s[2:3], 0
	s_mov_b64 s[4:5], -1
.LBB65_922:
	s_andn2_b64 vcc, exec, s[2:3]
	s_mov_b64 s[2:3], 0
	s_cbranch_vccnz .LBB65_933
; %bb.923:
	s_cmp_gt_i32 s10, 14
	s_cbranch_scc0 .LBB65_926
; %bb.924:
	s_cmp_eq_u32 s10, 15
	s_cbranch_scc0 .LBB65_929
; %bb.925:
	global_load_ushort v2, v[0:1], off
	s_mov_b64 s[0:1], 0
	s_mov_b64 s[4:5], -1
	s_waitcnt vmcnt(0)
	v_lshlrev_b32_e32 v2, 16, v2
	s_branch .LBB65_930
.LBB65_926:
	s_mov_b64 s[6:7], -1
                                        ; implicit-def: $vgpr2
	s_branch .LBB65_931
.LBB65_927:
	s_or_saveexec_b64 s[4:5], s[4:5]
	v_mov_b32_e32 v2, 0x7f800001
	s_xor_b64 exec, exec, s[4:5]
	s_cbranch_execz .LBB65_908
.LBB65_928:
	v_cmp_ne_u16_e32 vcc, 0, v3
	s_andn2_b64 s[2:3], s[2:3], exec
	s_and_b64 s[6:7], vcc, exec
	v_mov_b32_e32 v2, 0
	s_or_b64 s[2:3], s[2:3], s[6:7]
	s_or_b64 exec, exec, s[4:5]
	s_and_saveexec_b64 s[4:5], s[2:3]
	s_cbranch_execnz .LBB65_909
	s_branch .LBB65_910
.LBB65_929:
	s_mov_b64 s[0:1], -1
                                        ; implicit-def: $vgpr2
.LBB65_930:
	s_mov_b64 s[6:7], 0
.LBB65_931:
	s_and_b64 vcc, exec, s[6:7]
	s_cbranch_vccz .LBB65_933
; %bb.932:
	s_cmp_lg_u32 s10, 11
	s_cselect_b64 s[6:7], -1, 0
	s_andn2_b64 s[0:1], s[0:1], exec
	s_and_b64 s[6:7], s[6:7], exec
	s_mov_b64 s[2:3], -1
	s_or_b64 s[0:1], s[0:1], s[6:7]
.LBB65_933:
	v_mov_b32_e32 v3, 0
.LBB65_934:
	s_mov_b64 s[8:9], 0
.LBB65_935:
	s_and_b64 s[6:7], s[4:5], exec
	s_and_b64 s[4:5], s[8:9], exec
	s_andn2_b64 s[8:9], s[16:17], exec
	s_and_b64 s[0:1], s[0:1], exec
	s_and_b64 s[2:3], s[2:3], exec
	s_or_b64 s[8:9], s[8:9], s[0:1]
.LBB65_936:
	s_or_b64 exec, exec, s[70:71]
	s_and_b64 s[0:1], s[2:3], exec
	s_andn2_b64 s[2:3], s[16:17], exec
	s_and_b64 s[8:9], s[8:9], exec
	s_and_b64 s[6:7], s[6:7], exec
	;; [unrolled: 1-line block ×3, first 2 shown]
	s_or_b64 s[16:17], s[2:3], s[8:9]
.LBB65_937:
	s_or_b64 exec, exec, s[66:67]
	s_andn2_b64 s[2:3], s[62:63], exec
	s_and_b64 s[8:9], s[68:69], exec
	s_or_b64 s[62:63], s[2:3], s[8:9]
	s_and_b64 s[2:3], s[0:1], exec
	s_andn2_b64 s[0:1], s[60:61], exec
	s_and_b64 s[8:9], s[16:17], exec
	s_and_b64 s[6:7], s[6:7], exec
	;; [unrolled: 1-line block ×3, first 2 shown]
	s_or_b64 s[60:61], s[0:1], s[8:9]
.LBB65_938:
	s_or_b64 exec, exec, s[64:65]
	s_andn2_b64 s[0:1], s[54:55], exec
	s_and_b64 s[8:9], s[62:63], exec
	s_or_b64 s[54:55], s[0:1], s[8:9]
	s_and_b64 s[0:1], s[6:7], exec
	s_and_b64 s[62:63], s[2:3], exec
	s_andn2_b64 s[2:3], s[56:57], exec
	s_and_b64 s[6:7], s[60:61], exec
	s_and_b64 s[4:5], s[4:5], exec
	s_or_b64 s[56:57], s[2:3], s[6:7]
	s_or_b64 exec, exec, s[58:59]
	s_waitcnt lgkmcnt(0)
	s_mov_b64 s[22:23], 0
	s_and_saveexec_b64 s[2:3], s[56:57]
	s_cbranch_execz .LBB65_280
.LBB65_939:
	s_mov_b64 s[22:23], exec
	s_andn2_b64 s[62:63], s[62:63], exec
	s_trap 2
	s_or_b64 exec, exec, s[2:3]
	s_and_saveexec_b64 s[2:3], s[62:63]
	s_xor_b64 s[2:3], exec, s[2:3]
	s_cbranch_execnz .LBB65_281
.LBB65_940:
	s_or_b64 exec, exec, s[2:3]
	s_and_saveexec_b64 s[2:3], s[4:5]
	s_cbranch_execz .LBB65_988
.LBB65_941:
	s_sext_i32_i16 s4, s74
	s_cmp_lt_i32 s4, 5
	s_cbranch_scc1 .LBB65_946
; %bb.942:
	s_cmp_lt_i32 s4, 8
	s_cbranch_scc1 .LBB65_947
; %bb.943:
	;; [unrolled: 3-line block ×3, first 2 shown]
	s_cmp_gt_i32 s4, 9
	s_cbranch_scc0 .LBB65_949
; %bb.945:
	s_waitcnt vmcnt(0)
	global_load_dwordx4 v[2:5], v[0:1], off
	s_mov_b64 s[4:5], 0
	s_waitcnt vmcnt(0)
	v_cvt_f32_f64_e32 v2, v[2:3]
	v_cvt_f32_f64_e32 v3, v[4:5]
	s_branch .LBB65_950
.LBB65_946:
                                        ; implicit-def: $vgpr3
	s_branch .LBB65_968
.LBB65_947:
                                        ; implicit-def: $vgpr3
	s_branch .LBB65_956
.LBB65_948:
	s_mov_b64 s[4:5], -1
                                        ; implicit-def: $vgpr3
	s_branch .LBB65_953
.LBB65_949:
	s_mov_b64 s[4:5], -1
                                        ; implicit-def: $vgpr3
.LBB65_950:
	s_andn2_b64 vcc, exec, s[4:5]
	s_cbranch_vccnz .LBB65_952
; %bb.951:
	s_waitcnt vmcnt(0)
	global_load_dwordx2 v[2:3], v[0:1], off
.LBB65_952:
	s_mov_b64 s[4:5], 0
.LBB65_953:
	s_andn2_b64 vcc, exec, s[4:5]
	s_cbranch_vccnz .LBB65_955
; %bb.954:
	s_waitcnt vmcnt(0)
	global_load_dword v2, v[0:1], off
	s_waitcnt vmcnt(0)
	v_cvt_f32_f16_sdwa v3, v2 dst_sel:DWORD dst_unused:UNUSED_PAD src0_sel:WORD_1
	v_cvt_f32_f16_e32 v2, v2
.LBB65_955:
	s_cbranch_execnz .LBB65_967
.LBB65_956:
	s_sext_i32_i16 s4, s74
	s_cmp_lt_i32 s4, 6
	s_cbranch_scc1 .LBB65_959
; %bb.957:
	s_cmp_gt_i32 s4, 6
	s_cbranch_scc0 .LBB65_960
; %bb.958:
	s_waitcnt vmcnt(0)
	global_load_dwordx2 v[2:3], v[0:1], off
	s_mov_b64 s[4:5], 0
	s_waitcnt vmcnt(0)
	v_cvt_f32_f64_e32 v2, v[2:3]
	s_branch .LBB65_961
.LBB65_959:
	s_mov_b64 s[4:5], -1
                                        ; implicit-def: $vgpr2
	s_branch .LBB65_964
.LBB65_960:
	s_mov_b64 s[4:5], -1
                                        ; implicit-def: $vgpr2
.LBB65_961:
	s_andn2_b64 vcc, exec, s[4:5]
	s_cbranch_vccnz .LBB65_963
; %bb.962:
	s_waitcnt vmcnt(0)
	global_load_dword v2, v[0:1], off
.LBB65_963:
	s_mov_b64 s[4:5], 0
.LBB65_964:
	s_andn2_b64 vcc, exec, s[4:5]
	s_cbranch_vccnz .LBB65_966
; %bb.965:
	s_waitcnt vmcnt(0)
	global_load_ushort v2, v[0:1], off
	s_waitcnt vmcnt(0)
	v_cvt_f32_f16_e32 v2, v2
.LBB65_966:
	s_waitcnt vmcnt(0)
	v_mov_b32_e32 v3, 0
.LBB65_967:
	s_cbranch_execnz .LBB65_987
.LBB65_968:
	s_sext_i32_i16 s4, s74
	s_cmp_lt_i32 s4, 2
	s_cbranch_scc1 .LBB65_972
; %bb.969:
	s_cmp_lt_i32 s4, 3
	s_cbranch_scc1 .LBB65_973
; %bb.970:
	s_cmp_gt_i32 s4, 3
	s_cbranch_scc0 .LBB65_974
; %bb.971:
	s_waitcnt vmcnt(0)
	global_load_dwordx2 v[2:3], v[0:1], off
	s_mov_b64 s[4:5], 0
	s_waitcnt vmcnt(0)
	v_xor_b32_e32 v5, v2, v3
	v_ffbh_i32_e32 v4, v3
	v_ashrrev_i32_e32 v5, 31, v5
	v_add_u32_e32 v4, -1, v4
	v_add_u32_e32 v5, 32, v5
	v_min_u32_e32 v4, v4, v5
	v_lshlrev_b64 v[2:3], v4, v[2:3]
	v_min_u32_e32 v2, 1, v2
	v_or_b32_e32 v2, v3, v2
	v_cvt_f32_i32_e32 v2, v2
	v_sub_u32_e32 v3, 32, v4
	v_ldexp_f32 v2, v2, v3
	s_branch .LBB65_975
.LBB65_972:
                                        ; implicit-def: $vgpr2
	s_branch .LBB65_981
.LBB65_973:
	s_mov_b64 s[4:5], -1
                                        ; implicit-def: $vgpr2
	s_branch .LBB65_978
.LBB65_974:
	s_mov_b64 s[4:5], -1
                                        ; implicit-def: $vgpr2
.LBB65_975:
	s_andn2_b64 vcc, exec, s[4:5]
	s_cbranch_vccnz .LBB65_977
; %bb.976:
	s_waitcnt vmcnt(0)
	global_load_dword v2, v[0:1], off
	s_waitcnt vmcnt(0)
	v_cvt_f32_i32_e32 v2, v2
.LBB65_977:
	s_mov_b64 s[4:5], 0
.LBB65_978:
	s_andn2_b64 vcc, exec, s[4:5]
	s_cbranch_vccnz .LBB65_980
; %bb.979:
	s_waitcnt vmcnt(0)
	global_load_sshort v2, v[0:1], off
	s_waitcnt vmcnt(0)
	v_cvt_f32_i32_e32 v2, v2
.LBB65_980:
	s_cbranch_execnz .LBB65_986
.LBB65_981:
	s_sext_i32_i16 s4, s74
	s_cmp_gt_i32 s4, 0
	s_cbranch_scc0 .LBB65_983
; %bb.982:
	s_waitcnt vmcnt(0)
	global_load_sbyte v2, v[0:1], off
	s_mov_b64 s[4:5], 0
	s_waitcnt vmcnt(0)
	v_cvt_f32_i32_e32 v2, v2
	s_branch .LBB65_984
.LBB65_983:
	s_mov_b64 s[4:5], -1
                                        ; implicit-def: $vgpr2
.LBB65_984:
	s_andn2_b64 vcc, exec, s[4:5]
	s_cbranch_vccnz .LBB65_986
; %bb.985:
	s_waitcnt vmcnt(0)
	global_load_ubyte v0, v[0:1], off
	s_waitcnt vmcnt(0)
	v_cvt_f32_ubyte0_e32 v2, v0
.LBB65_986:
	s_waitcnt vmcnt(0)
	v_mov_b32_e32 v3, 0
.LBB65_987:
	s_or_b64 s[0:1], s[0:1], exec
.LBB65_988:
	s_or_b64 exec, exec, s[2:3]
	s_mov_b64 s[4:5], 0
	s_mov_b64 s[2:3], 0
                                        ; implicit-def: $sgpr10
                                        ; implicit-def: $vgpr4_vgpr5
                                        ; implicit-def: $vgpr0
	s_and_saveexec_b64 s[24:25], s[0:1]
	s_cbranch_execz .LBB65_996
; %bb.989:
	s_getpc_b64 s[0:1]
	s_add_u32 s0, s0, _ZN16c10_complex_math3expIfEEN3c107complexIT_EERKS4_@rel32@lo+4
	s_addc_u32 s1, s1, _ZN16c10_complex_math3expIfEEN3c107complexIT_EERKS4_@rel32@hi+12
	s_waitcnt vmcnt(0)
	v_mov_b32_e32 v0, v2
	v_mov_b32_e32 v1, v3
	s_swappc_b64 s[30:31], s[0:1]
	v_mov_b32_e32 v23, 0
	s_and_b32 s10, s73, 0xff
	s_cmp_lt_i32 s10, 11
	v_lshl_add_u64 v[4:5], s[20:21], 0, v[22:23]
	s_cbranch_scc1 .LBB65_999
; %bb.990:
	s_and_b32 s11, 0xffff, s10
	s_mov_b64 s[4:5], -1
	s_cmp_gt_i32 s11, 25
	s_mov_b64 s[0:1], s[54:55]
	s_cbranch_scc0 .LBB65_1027
; %bb.991:
	s_mov_b64 s[2:3], -1
	s_cmp_gt_i32 s11, 28
	s_mov_b64 s[0:1], s[54:55]
	s_cbranch_scc0 .LBB65_1011
; %bb.992:
	s_cmp_gt_i32 s11, 43
	s_mov_b64 s[0:1], s[54:55]
	s_cbranch_scc0 .LBB65_1007
; %bb.993:
	;; [unrolled: 4-line block ×3, first 2 shown]
	s_cmp_eq_u32 s11, 46
	s_mov_b64 s[0:1], -1
	s_cbranch_scc0 .LBB65_1000
; %bb.995:
	s_movk_i32 s0, 0x7fff
	v_bfe_u32 v3, v1, 16, 1
	v_add3_u32 v3, v1, v3, s0
	v_bfe_u32 v2, v0, 16, 1
	v_and_b32_e32 v3, 0xffff0000, v3
	v_mov_b32_e32 v6, 0x7fc00000
	v_cmp_o_f32_e32 vcc, v1, v1
	v_add3_u32 v2, v0, v2, s0
	s_mov_b64 s[0:1], 0
	v_cndmask_b32_e32 v3, v6, v3, vcc
	v_cmp_o_f32_e32 vcc, v0, v0
	v_mov_b32_e32 v6, 0x7fc0
	s_mov_b64 s[2:3], 0
	v_cndmask_b32_sdwa v2, v6, v2, vcc dst_sel:DWORD dst_unused:UNUSED_PAD src0_sel:DWORD src1_sel:WORD_1
	v_or_b32_e32 v2, v3, v2
	global_store_dword v[4:5], v2, off
	s_branch .LBB65_1001
.LBB65_996:
	s_or_b64 exec, exec, s[24:25]
	s_and_saveexec_b64 s[0:1], s[54:55]
	s_cbranch_execnz .LBB65_1069
.LBB65_997:
	s_or_b64 exec, exec, s[0:1]
	s_and_saveexec_b64 s[0:1], s[4:5]
	s_xor_b64 s[0:1], exec, s[0:1]
	s_cbranch_execz .LBB65_1070
.LBB65_998:
	s_brev_b32 s4, -2
	s_waitcnt vmcnt(0)
	v_bitop3_b32 v2, v0, s4, v1 bitop3:0xc8
	v_cmp_ne_u32_e32 vcc, 0, v2
	s_nop 1
	v_cndmask_b32_e64 v2, 0, 1, vcc
	global_store_byte v[4:5], v2, off
	s_or_b64 exec, exec, s[0:1]
	s_and_saveexec_b64 s[0:1], s[2:3]
	s_xor_b64 s[0:1], exec, s[0:1]
	s_cbranch_execz .LBB65_1108
	s_branch .LBB65_1071
.LBB65_999:
	s_mov_b64 s[4:5], 0
	s_mov_b64 s[2:3], -1
	s_mov_b64 s[0:1], s[54:55]
	s_branch .LBB65_1068
.LBB65_1000:
	s_mov_b64 s[2:3], 0
.LBB65_1001:
	s_and_b64 vcc, exec, s[2:3]
	s_cbranch_vccz .LBB65_1006
; %bb.1002:
	s_cmp_eq_u32 s11, 44
	s_mov_b64 s[0:1], -1
	s_cbranch_scc0 .LBB65_1006
; %bb.1003:
	v_bfe_u32 v2, v0, 23, 8
	s_movk_i32 s0, 0xff
	v_cmp_ne_u32_e32 vcc, s0, v2
	v_mov_b32_e32 v3, 0xff
	s_and_saveexec_b64 s[2:3], vcc
; %bb.1004:
	s_mov_b32 s0, 0x3fffff
	v_and_b32_e32 v6, 0x400000, v0
	v_and_or_b32 v2, v0, s0, v2
	v_cmp_ne_u32_e32 vcc, 0, v6
	v_cmp_ne_u32_e64 s[0:1], 0, v2
	s_and_b64 s[0:1], vcc, s[0:1]
	v_lshrrev_b32_e32 v3, 23, v0
	v_cndmask_b32_e64 v2, 0, 1, s[0:1]
	v_add_u32_e32 v3, v3, v2
; %bb.1005:
	s_or_b64 exec, exec, s[2:3]
	s_mov_b64 s[0:1], 0
	global_store_byte v[4:5], v3, off
.LBB65_1006:
	s_mov_b64 s[2:3], 0
.LBB65_1007:
	s_and_b64 vcc, exec, s[2:3]
	s_cbranch_vccz .LBB65_1010
; %bb.1008:
	s_cmp_eq_u32 s11, 29
	s_mov_b64 s[0:1], -1
	s_cbranch_scc0 .LBB65_1010
; %bb.1009:
	v_trunc_f32_e32 v2, v0
	v_mul_f32_e32 v3, 0x2f800000, v2
	v_floor_f32_e32 v6, v3
	v_fmamk_f32 v2, v6, 0xcf800000, v2
	v_cvt_u32_f32_e32 v3, v6
	v_cvt_u32_f32_e32 v2, v2
	s_mov_b64 s[0:1], 0
	s_mov_b64 s[2:3], 0
	global_store_dwordx2 v[4:5], v[2:3], off
	s_branch .LBB65_1011
.LBB65_1010:
	s_mov_b64 s[2:3], 0
.LBB65_1011:
	s_and_b64 vcc, exec, s[2:3]
	s_cbranch_vccz .LBB65_1026
; %bb.1012:
	s_cmp_lt_i32 s11, 27
	s_mov_b64 s[2:3], -1
	s_cbranch_scc1 .LBB65_1018
; %bb.1013:
	s_cmp_gt_i32 s11, 27
	s_cbranch_scc0 .LBB65_1015
; %bb.1014:
	v_cvt_u32_f32_e32 v2, v0
	s_mov_b64 s[2:3], 0
	global_store_dword v[4:5], v2, off
.LBB65_1015:
	s_andn2_b64 vcc, exec, s[2:3]
	s_cbranch_vccnz .LBB65_1017
; %bb.1016:
	v_cvt_u32_f32_e32 v2, v0
	global_store_short v[4:5], v2, off
.LBB65_1017:
	s_mov_b64 s[2:3], 0
.LBB65_1018:
	s_andn2_b64 vcc, exec, s[2:3]
	s_cbranch_vccnz .LBB65_1026
; %bb.1019:
	v_and_b32_e32 v2, 0x7fffffff, v0
	s_mov_b32 s2, 0x43800000
	v_cmp_gt_u32_e32 vcc, s2, v2
	v_mov_b32_e32 v3, 0x80
	s_and_saveexec_b64 s[2:3], vcc
	s_cbranch_execz .LBB65_1025
; %bb.1020:
	s_mov_b32 s4, 0x3bffffff
	v_cmp_lt_u32_e32 vcc, s4, v2
	s_mov_b64 s[4:5], 0
                                        ; implicit-def: $vgpr2
	s_and_saveexec_b64 s[6:7], vcc
	s_xor_b64 s[6:7], exec, s[6:7]
	s_cbranch_execz .LBB65_1179
; %bb.1021:
	v_bfe_u32 v2, v0, 20, 1
	s_mov_b32 s8, 0x487ffff
	v_add3_u32 v2, v0, v2, s8
	s_mov_b64 s[4:5], exec
	v_lshrrev_b32_e32 v2, 20, v2
	s_andn2_saveexec_b64 s[6:7], s[6:7]
	s_cbranch_execnz .LBB65_1180
.LBB65_1022:
	s_or_b64 exec, exec, s[6:7]
	v_mov_b32_e32 v3, 0
	s_and_saveexec_b64 s[6:7], s[4:5]
.LBB65_1023:
	v_lshrrev_b32_e32 v3, 24, v0
	s_movk_i32 s4, 0x80
	v_and_or_b32 v3, v3, s4, v2
.LBB65_1024:
	s_or_b64 exec, exec, s[6:7]
.LBB65_1025:
	s_or_b64 exec, exec, s[2:3]
	global_store_byte v[4:5], v3, off
.LBB65_1026:
	s_mov_b64 s[4:5], 0
.LBB65_1027:
	s_mov_b64 s[2:3], 0
	s_and_b64 vcc, exec, s[4:5]
	s_cbranch_vccz .LBB65_1067
; %bb.1028:
	s_cmp_gt_i32 s11, 22
	s_mov_b64 s[4:5], -1
	s_cbranch_scc0 .LBB65_1060
; %bb.1029:
	s_cmp_lt_i32 s11, 24
	s_cbranch_scc1 .LBB65_1049
; %bb.1030:
	s_cmp_gt_i32 s11, 24
	s_cbranch_scc0 .LBB65_1038
; %bb.1031:
	v_and_b32_e32 v2, 0x7fffffff, v0
	s_mov_b32 s4, 0x47800000
	v_cmp_gt_u32_e32 vcc, s4, v2
	v_mov_b32_e32 v3, 0x80
	s_and_saveexec_b64 s[4:5], vcc
	s_cbranch_execz .LBB65_1037
; %bb.1032:
	s_mov_b32 s6, 0x37ffffff
	v_cmp_lt_u32_e32 vcc, s6, v2
	s_mov_b64 s[6:7], 0
                                        ; implicit-def: $vgpr2
	s_and_saveexec_b64 s[8:9], vcc
	s_xor_b64 s[8:9], exec, s[8:9]
	s_cbranch_execz .LBB65_1309
; %bb.1033:
	v_bfe_u32 v2, v0, 21, 1
	s_mov_b32 s12, 0x88fffff
	v_add3_u32 v2, v0, v2, s12
	s_mov_b64 s[6:7], exec
	v_lshrrev_b32_e32 v2, 21, v2
	s_andn2_saveexec_b64 s[8:9], s[8:9]
	s_cbranch_execnz .LBB65_1310
.LBB65_1034:
	s_or_b64 exec, exec, s[8:9]
	v_mov_b32_e32 v3, 0
	s_and_saveexec_b64 s[8:9], s[6:7]
.LBB65_1035:
	v_lshrrev_b32_e32 v3, 24, v0
	s_movk_i32 s6, 0x80
	v_and_or_b32 v3, v3, s6, v2
.LBB65_1036:
	s_or_b64 exec, exec, s[8:9]
.LBB65_1037:
	s_or_b64 exec, exec, s[4:5]
	s_mov_b64 s[4:5], 0
	global_store_byte v[4:5], v3, off
.LBB65_1038:
	s_and_b64 vcc, exec, s[4:5]
	s_cbranch_vccz .LBB65_1048
; %bb.1039:
	v_and_b32_e32 v3, 0x7fffffff, v0
	s_mov_b32 s4, 0x43f00000
	v_cmp_gt_u32_e32 vcc, s4, v3
                                        ; implicit-def: $vgpr2
	s_and_saveexec_b64 s[4:5], vcc
	s_xor_b64 s[4:5], exec, s[4:5]
	s_cbranch_execz .LBB65_1045
; %bb.1040:
	s_mov_b32 s6, 0x3c7fffff
	v_cmp_lt_u32_e32 vcc, s6, v3
                                        ; implicit-def: $vgpr2
	s_and_saveexec_b64 s[6:7], vcc
	s_xor_b64 s[6:7], exec, s[6:7]
; %bb.1041:
	v_bfe_u32 v2, v0, 20, 1
	s_mov_b32 s8, 0x407ffff
	v_add3_u32 v2, v0, v2, s8
	v_lshrrev_b32_e32 v3, 20, v2
	v_and_b32_e32 v2, 0xff00000, v2
	s_mov_b32 s8, 0x7f00000
	v_mov_b32_e32 v6, 0x7e
	v_cmp_ne_u32_e32 vcc, s8, v2
	s_nop 1
	v_cndmask_b32_e32 v2, v6, v3, vcc
; %bb.1042:
	s_andn2_saveexec_b64 s[6:7], s[6:7]
; %bb.1043:
	s_mov_b32 s8, 0x46800000
	v_add_f32_e64 v2, |v0|, s8
; %bb.1044:
	s_or_b64 exec, exec, s[6:7]
                                        ; implicit-def: $vgpr3
.LBB65_1045:
	s_andn2_saveexec_b64 s[4:5], s[4:5]
; %bb.1046:
	s_mov_b32 s6, 0x7f800000
	v_mov_b32_e32 v2, 0x7e
	v_mov_b32_e32 v6, 0x7f
	v_cmp_lt_u32_e32 vcc, s6, v3
	s_nop 1
	v_cndmask_b32_e32 v2, v2, v6, vcc
; %bb.1047:
	s_or_b64 exec, exec, s[4:5]
	v_lshrrev_b32_e32 v3, 24, v0
	s_movk_i32 s4, 0x80
	v_and_or_b32 v2, v3, s4, v2
	global_store_byte v[4:5], v2, off
.LBB65_1048:
	s_mov_b64 s[4:5], 0
.LBB65_1049:
	s_andn2_b64 vcc, exec, s[4:5]
	s_cbranch_vccnz .LBB65_1059
; %bb.1050:
	v_and_b32_e32 v3, 0x7fffffff, v0
	s_mov_b32 s4, 0x47800000
	v_cmp_gt_u32_e32 vcc, s4, v3
                                        ; implicit-def: $vgpr2
	s_and_saveexec_b64 s[4:5], vcc
	s_xor_b64 s[4:5], exec, s[4:5]
	s_cbranch_execz .LBB65_1056
; %bb.1051:
	s_mov_b32 s6, 0x387fffff
	v_cmp_lt_u32_e32 vcc, s6, v3
                                        ; implicit-def: $vgpr2
	s_and_saveexec_b64 s[6:7], vcc
	s_xor_b64 s[6:7], exec, s[6:7]
; %bb.1052:
	v_bfe_u32 v2, v0, 21, 1
	s_mov_b32 s8, 0x80fffff
	v_add3_u32 v2, v0, v2, s8
	v_lshrrev_b32_e32 v2, 21, v2
; %bb.1053:
	s_andn2_saveexec_b64 s[6:7], s[6:7]
; %bb.1054:
	s_mov_b32 s8, 0x43000000
	v_add_f32_e64 v2, |v0|, s8
; %bb.1055:
	s_or_b64 exec, exec, s[6:7]
                                        ; implicit-def: $vgpr3
.LBB65_1056:
	s_andn2_saveexec_b64 s[4:5], s[4:5]
; %bb.1057:
	s_mov_b32 s6, 0x7f800000
	v_mov_b32_e32 v2, 0x7c
	v_mov_b32_e32 v6, 0x7f
	v_cmp_lt_u32_e32 vcc, s6, v3
	s_nop 1
	v_cndmask_b32_e32 v2, v2, v6, vcc
; %bb.1058:
	s_or_b64 exec, exec, s[4:5]
	v_lshrrev_b32_e32 v3, 24, v0
	s_movk_i32 s4, 0x80
	v_and_or_b32 v2, v3, s4, v2
	global_store_byte v[4:5], v2, off
.LBB65_1059:
	s_mov_b64 s[4:5], 0
.LBB65_1060:
	s_andn2_b64 vcc, exec, s[4:5]
	s_mov_b64 s[4:5], 0
	s_cbranch_vccnz .LBB65_1068
; %bb.1061:
	s_cmp_gt_i32 s11, 14
	s_mov_b64 s[6:7], -1
	s_cbranch_scc0 .LBB65_1065
; %bb.1062:
	s_cmp_eq_u32 s11, 15
	s_mov_b64 s[0:1], -1
	s_cbranch_scc0 .LBB65_1064
; %bb.1063:
	v_bfe_u32 v2, v0, 16, 1
	s_movk_i32 s0, 0x7fff
	v_add3_u32 v2, v0, v2, s0
	v_cmp_o_f32_e32 vcc, v0, v0
	v_mov_b32_e32 v3, 0x7fc0
	s_mov_b64 s[0:1], 0
	v_cndmask_b32_sdwa v2, v3, v2, vcc dst_sel:DWORD dst_unused:UNUSED_PAD src0_sel:DWORD src1_sel:WORD_1
	global_store_short v[4:5], v2, off
.LBB65_1064:
	s_mov_b64 s[6:7], 0
.LBB65_1065:
	s_and_b64 vcc, exec, s[6:7]
	s_cbranch_vccz .LBB65_1068
; %bb.1066:
	s_cmp_lg_u32 s11, 11
	s_cselect_b64 s[6:7], -1, 0
	s_andn2_b64 s[0:1], s[0:1], exec
	s_and_b64 s[6:7], s[6:7], exec
	s_mov_b64 s[4:5], -1
	s_or_b64 s[0:1], s[0:1], s[6:7]
	s_branch .LBB65_1068
.LBB65_1067:
	s_mov_b64 s[4:5], 0
.LBB65_1068:
	s_andn2_b64 s[6:7], s[54:55], exec
	s_and_b64 s[0:1], s[0:1], exec
	s_and_b64 s[2:3], s[2:3], exec
	;; [unrolled: 1-line block ×3, first 2 shown]
	s_or_b64 s[54:55], s[6:7], s[0:1]
	s_or_b64 exec, exec, s[24:25]
	s_and_saveexec_b64 s[0:1], s[54:55]
	s_cbranch_execz .LBB65_997
.LBB65_1069:
	s_or_b64 s[22:23], s[22:23], exec
	s_andn2_b64 s[4:5], s[4:5], exec
	s_trap 2
	s_or_b64 exec, exec, s[0:1]
	s_and_saveexec_b64 s[0:1], s[4:5]
	s_xor_b64 s[0:1], exec, s[0:1]
	s_cbranch_execnz .LBB65_998
.LBB65_1070:
	s_or_b64 exec, exec, s[0:1]
	s_and_saveexec_b64 s[0:1], s[2:3]
	s_xor_b64 s[0:1], exec, s[0:1]
	s_cbranch_execz .LBB65_1108
.LBB65_1071:
	s_sext_i32_i16 s4, s10
	s_cmp_lt_i32 s4, 5
	s_mov_b64 s[2:3], -1
	s_cbranch_scc1 .LBB65_1092
; %bb.1072:
	s_cmp_lt_i32 s4, 8
	s_cbranch_scc1 .LBB65_1082
; %bb.1073:
	s_cmp_lt_i32 s4, 9
	s_cbranch_scc1 .LBB65_1079
; %bb.1074:
	s_cmp_gt_i32 s4, 9
	s_cbranch_scc0 .LBB65_1076
; %bb.1075:
	s_waitcnt vmcnt(0)
	v_cvt_f64_f32_e32 v[6:7], v0
	v_cvt_f64_f32_e32 v[8:9], v1
	s_mov_b64 s[2:3], 0
	global_store_dwordx4 v[4:5], v[6:9], off
.LBB65_1076:
	s_andn2_b64 vcc, exec, s[2:3]
	s_cbranch_vccnz .LBB65_1078
; %bb.1077:
	s_waitcnt vmcnt(0)
	global_store_dwordx2 v[4:5], v[0:1], off
.LBB65_1078:
	s_mov_b64 s[2:3], 0
.LBB65_1079:
	s_andn2_b64 vcc, exec, s[2:3]
	s_cbranch_vccnz .LBB65_1081
; %bb.1080:
	s_waitcnt vmcnt(0)
	v_cvt_f16_f32_e32 v2, v0
	v_cvt_f16_f32_sdwa v1, v1 dst_sel:WORD_1 dst_unused:UNUSED_PAD src0_sel:DWORD
	s_nop 0
	v_or_b32_e32 v1, v1, v2
	global_store_dword v[4:5], v1, off
.LBB65_1081:
	s_mov_b64 s[2:3], 0
.LBB65_1082:
	s_andn2_b64 vcc, exec, s[2:3]
	s_cbranch_vccnz .LBB65_1091
; %bb.1083:
	s_sext_i32_i16 s4, s10
	s_cmp_lt_i32 s4, 6
	s_mov_b64 s[2:3], -1
	s_cbranch_scc1 .LBB65_1089
; %bb.1084:
	s_cmp_gt_i32 s4, 6
	s_cbranch_scc0 .LBB65_1086
; %bb.1085:
	s_waitcnt vmcnt(0)
	v_cvt_f64_f32_e32 v[2:3], v0
	s_mov_b64 s[2:3], 0
	global_store_dwordx2 v[4:5], v[2:3], off
.LBB65_1086:
	s_andn2_b64 vcc, exec, s[2:3]
	s_cbranch_vccnz .LBB65_1088
; %bb.1087:
	s_waitcnt vmcnt(0)
	global_store_dword v[4:5], v0, off
.LBB65_1088:
	s_mov_b64 s[2:3], 0
.LBB65_1089:
	s_andn2_b64 vcc, exec, s[2:3]
	s_cbranch_vccnz .LBB65_1091
; %bb.1090:
	s_waitcnt vmcnt(0)
	v_cvt_f16_f32_e32 v1, v0
	global_store_short v[4:5], v1, off
.LBB65_1091:
	s_mov_b64 s[2:3], 0
.LBB65_1092:
	s_andn2_b64 vcc, exec, s[2:3]
	s_cbranch_vccnz .LBB65_1108
; %bb.1093:
	s_sext_i32_i16 s4, s10
	s_cmp_lt_i32 s4, 2
	s_mov_b64 s[2:3], -1
	s_cbranch_scc1 .LBB65_1103
; %bb.1094:
	s_cmp_lt_i32 s4, 3
	s_cbranch_scc1 .LBB65_1100
; %bb.1095:
	s_cmp_gt_i32 s4, 3
	s_cbranch_scc0 .LBB65_1097
; %bb.1096:
	s_waitcnt vmcnt(0)
	v_trunc_f32_e32 v1, v0
	s_mov_b32 s2, 0x2f800000
	v_mul_f32_e64 v2, |v1|, s2
	v_floor_f32_e32 v2, v2
	s_mov_b32 s2, 0xcf800000
	v_cvt_u32_f32_e32 v3, v2
	v_fma_f32 v2, v2, s2, |v1|
	v_cvt_u32_f32_e32 v2, v2
	v_ashrrev_i32_e32 v1, 31, v1
	v_xor_b32_e32 v3, v3, v1
	s_mov_b64 s[2:3], 0
	v_xor_b32_e32 v2, v2, v1
	v_sub_co_u32_e32 v2, vcc, v2, v1
	s_nop 1
	v_subb_co_u32_e32 v3, vcc, v3, v1, vcc
	global_store_dwordx2 v[4:5], v[2:3], off
.LBB65_1097:
	s_andn2_b64 vcc, exec, s[2:3]
	s_cbranch_vccnz .LBB65_1099
; %bb.1098:
	s_waitcnt vmcnt(0)
	v_cvt_i32_f32_e32 v1, v0
	global_store_dword v[4:5], v1, off
.LBB65_1099:
	s_mov_b64 s[2:3], 0
.LBB65_1100:
	s_andn2_b64 vcc, exec, s[2:3]
	s_cbranch_vccnz .LBB65_1102
; %bb.1101:
	s_waitcnt vmcnt(0)
	v_cvt_i32_f32_e32 v1, v0
	global_store_short v[4:5], v1, off
.LBB65_1102:
	s_mov_b64 s[2:3], 0
.LBB65_1103:
	s_andn2_b64 vcc, exec, s[2:3]
	s_cbranch_vccnz .LBB65_1108
; %bb.1104:
	s_sext_i32_i16 s2, s10
	s_cmp_gt_i32 s2, 0
	s_mov_b64 s[2:3], -1
	s_cbranch_scc0 .LBB65_1106
; %bb.1105:
	s_waitcnt vmcnt(0)
	v_cvt_i32_f32_e32 v1, v0
	s_mov_b64 s[2:3], 0
	global_store_byte v[4:5], v1, off
.LBB65_1106:
	s_andn2_b64 vcc, exec, s[2:3]
	s_cbranch_vccnz .LBB65_1108
; %bb.1107:
	s_waitcnt vmcnt(0)
	v_trunc_f32_e32 v0, v0
	s_mov_b32 s2, 0x2f800000
	v_mul_f32_e64 v1, |v0|, s2
	v_floor_f32_e32 v1, v1
	s_mov_b32 s2, 0xcf800000
	v_fma_f32 v1, v1, s2, |v0|
	v_cvt_u32_f32_e32 v1, v1
	v_ashrrev_i32_e32 v0, 31, v0
	v_xor_b32_e32 v1, v1, v0
	v_sub_u32_e32 v0, v1, v0
	global_store_byte v[4:5], v0, off
.LBB65_1108:
	s_or_b64 exec, exec, s[0:1]
	s_and_b64 s[28:29], s[22:23], exec
                                        ; implicit-def: $vgpr8
                                        ; implicit-def: $vgpr21
.LBB65_1109:
	s_or_saveexec_b64 s[36:37], s[44:45]
	s_mov_b64 s[0:1], 0
                                        ; implicit-def: $vgpr2_vgpr3
                                        ; implicit-def: $sgpr22
                                        ; implicit-def: $vgpr0
	s_xor_b64 exec, exec, s[36:37]
	s_cbranch_execz .LBB65_2133
; %bb.1110:
	s_waitcnt vmcnt(0)
	v_cndmask_b32_e64 v0, 0, 1, s[42:43]
	v_cmp_ne_u32_e64 s[0:1], 1, v0
	s_andn2_b64 vcc, exec, s[42:43]
	s_cbranch_vccnz .LBB65_1116
; %bb.1111:
	s_cmp_lg_u32 s33, 0
	s_mov_b32 s30, 0
	s_cbranch_scc0 .LBB65_1117
; %bb.1112:
	s_min_u32 s31, s72, 15
	s_add_i32 s31, s31, 1
	s_cmp_eq_u32 s72, 2
	s_cbranch_scc1 .LBB65_1118
; %bb.1113:
	s_and_b32 s30, s31, 28
	s_add_u32 s2, s34, 0xc4
	s_addc_u32 s3, s35, 0
	s_mov_b32 s38, 0
	v_mov_b32_e32 v34, 0
	v_mov_b32_e32 v0, 0
	s_mov_b64 s[16:17], s[34:35]
	v_mov_b32_e32 v2, v21
.LBB65_1114:                            ; =>This Inner Loop Header: Depth=1
	s_load_dwordx8 s[20:27], s[16:17], 0x4
	s_load_dwordx4 s[12:15], s[16:17], 0x24
	s_load_dwordx8 s[4:11], s[2:3], 0x0
	s_add_u32 s16, s16, 48
	s_addc_u32 s17, s17, 0
	s_waitcnt lgkmcnt(0)
	v_mul_hi_u32 v1, s21, v2
	v_add_u32_e32 v1, v2, v1
	v_lshrrev_b32_e32 v1, s22, v1
	v_mul_lo_u32 v3, v1, s20
	v_mul_hi_u32 v4, s24, v1
	v_sub_u32_e32 v2, v2, v3
	v_add_u32_e32 v3, v1, v4
	v_lshrrev_b32_e32 v3, s25, v3
	v_mul_lo_u32 v5, v3, s23
	v_mul_hi_u32 v6, s27, v3
	v_sub_u32_e32 v1, v1, v5
	v_add_u32_e32 v5, v3, v6
	v_mul_lo_u32 v4, v2, s5
	v_mul_lo_u32 v2, v2, s4
	;; [unrolled: 1-line block ×4, first 2 shown]
	v_lshrrev_b32_e32 v5, s12, v5
	v_add3_u32 v1, v2, v34, v1
	v_add3_u32 v0, v4, v0, v6
	v_mul_lo_u32 v2, v5, s26
	v_mul_hi_u32 v4, s14, v5
	v_sub_u32_e32 v2, v3, v2
	v_add_u32_e32 v3, v5, v4
	v_mul_lo_u32 v4, v2, s8
	v_mul_lo_u32 v6, v2, s9
	v_lshrrev_b32_e32 v2, s15, v3
	s_add_i32 s38, s38, 4
	v_mul_lo_u32 v3, v2, s13
	s_add_u32 s2, s2, 32
	v_sub_u32_e32 v3, v5, v3
	s_addc_u32 s3, s3, 0
	v_mul_lo_u32 v5, v3, s10
	v_mul_lo_u32 v3, v3, s11
	s_cmp_lg_u32 s30, s38
	v_add3_u32 v0, v6, v0, v3
	v_add3_u32 v34, v4, v1, v5
	s_cbranch_scc1 .LBB65_1114
; %bb.1115:
	v_mov_b32_e32 v1, v0
	s_and_b32 s6, s31, 3
	s_cmp_eq_u32 s6, 0
	s_cbranch_scc0 .LBB65_1119
	s_branch .LBB65_1121
.LBB65_1116:
                                        ; implicit-def: $vgpr0
                                        ; implicit-def: $vgpr34
	s_branch .LBB65_1122
.LBB65_1117:
	v_mov_b32_e32 v0, 0
	v_mov_b32_e32 v34, 0
	s_branch .LBB65_1121
.LBB65_1118:
	v_mov_b32_e32 v34, 0
                                        ; implicit-def: $vgpr0
	v_mov_b32_e32 v1, v34
	v_mov_b32_e32 v2, v21
	s_and_b32 s6, s31, 3
	s_cmp_eq_u32 s6, 0
	s_cbranch_scc1 .LBB65_1121
.LBB65_1119:
	s_lshl_b32 s2, s30, 3
	s_add_u32 s2, s34, s2
	s_addc_u32 s3, s35, 0
	s_add_u32 s2, s2, 0xc4
	s_addc_u32 s3, s3, 0
	s_mul_i32 s4, s30, 12
	s_add_u32 s4, s34, s4
	s_addc_u32 s5, s35, 0
.LBB65_1120:                            ; =>This Inner Loop Header: Depth=1
	s_load_dwordx2 s[8:9], s[4:5], 0x4
	s_load_dword s7, s[4:5], 0xc
	s_load_dwordx2 s[10:11], s[2:3], 0x0
	v_mov_b32_e32 v0, v1
	s_add_u32 s4, s4, 12
	s_waitcnt lgkmcnt(0)
	v_mul_hi_u32 v1, s9, v2
	v_add_u32_e32 v1, v2, v1
	v_lshrrev_b32_e32 v1, s7, v1
	s_addc_u32 s5, s5, 0
	v_mul_lo_u32 v3, v1, s8
	s_add_u32 s2, s2, 8
	v_sub_u32_e32 v3, v2, v3
	s_addc_u32 s3, s3, 0
	s_add_i32 s6, s6, -1
	v_mov_b32_e32 v2, v1
	v_mad_u64_u32 v[0:1], s[8:9], v3, s11, v[0:1]
	s_cmp_lg_u32 s6, 0
	v_mad_u64_u32 v[34:35], s[8:9], v3, s10, v[34:35]
	v_mov_b32_e32 v1, v0
	s_cbranch_scc1 .LBB65_1120
.LBB65_1121:
	s_cbranch_execnz .LBB65_1124
.LBB65_1122:
	s_load_dwordx4 s[4:7], s[34:35], 0x4
	s_load_dwordx2 s[2:3], s[34:35], 0xc4
	s_cmp_lt_u32 s33, 2
	s_waitcnt lgkmcnt(0)
	v_mul_hi_u32 v0, s5, v21
	v_add_u32_e32 v0, v21, v0
	v_lshrrev_b32_e32 v1, s6, v0
	v_mul_lo_u32 v0, v1, s4
	v_sub_u32_e32 v2, v21, v0
	v_mul_lo_u32 v0, v2, s3
	v_mul_lo_u32 v34, v2, s2
	s_cbranch_scc1 .LBB65_1124
; %bb.1123:
	s_load_dwordx4 s[4:7], s[34:35], 0x10
	s_load_dwordx2 s[2:3], s[34:35], 0xcc
	s_waitcnt lgkmcnt(0)
	v_mul_hi_u32 v2, s5, v1
	v_add_u32_e32 v2, v1, v2
	v_lshrrev_b32_e32 v2, s6, v2
	v_mul_lo_u32 v2, v2, s4
	v_sub_u32_e32 v1, v1, v2
	v_mad_u64_u32 v[34:35], s[4:5], v1, s2, v[34:35]
	v_mad_u64_u32 v[0:1], s[2:3], v1, s3, v[0:1]
.LBB65_1124:
	s_and_b64 vcc, exec, s[0:1]
	v_add_u32_e32 v2, 0x80, v21
	s_cbranch_vccnz .LBB65_1130
; %bb.1125:
	s_cmp_lg_u32 s33, 0
	s_mov_b32 s30, 0
	s_cbranch_scc0 .LBB65_1131
; %bb.1126:
	s_min_u32 s31, s72, 15
	s_add_i32 s31, s31, 1
	s_cmp_eq_u32 s72, 2
	s_cbranch_scc1 .LBB65_1132
; %bb.1127:
	s_and_b32 s30, s31, 28
	s_add_u32 s2, s34, 0xc4
	s_addc_u32 s3, s35, 0
	s_mov_b32 s38, 0
	v_mov_b32_e32 v32, 0
	v_mov_b32_e32 v6, 0
	s_mov_b64 s[16:17], s[34:35]
	v_mov_b32_e32 v3, v2
.LBB65_1128:                            ; =>This Inner Loop Header: Depth=1
	s_load_dwordx8 s[20:27], s[16:17], 0x4
	s_load_dwordx4 s[12:15], s[16:17], 0x24
	s_load_dwordx8 s[4:11], s[2:3], 0x0
	s_add_u32 s16, s16, 48
	s_addc_u32 s17, s17, 0
	s_waitcnt lgkmcnt(0)
	v_mul_hi_u32 v1, s21, v3
	v_add_u32_e32 v1, v3, v1
	v_lshrrev_b32_e32 v1, s22, v1
	v_mul_lo_u32 v4, v1, s20
	v_mul_hi_u32 v5, s24, v1
	v_sub_u32_e32 v3, v3, v4
	v_add_u32_e32 v4, v1, v5
	v_lshrrev_b32_e32 v4, s25, v4
	v_mul_lo_u32 v7, v4, s23
	v_mul_hi_u32 v9, s27, v4
	v_sub_u32_e32 v1, v1, v7
	v_add_u32_e32 v7, v4, v9
	v_mul_lo_u32 v5, v3, s5
	v_mul_lo_u32 v3, v3, s4
	;; [unrolled: 1-line block ×4, first 2 shown]
	v_lshrrev_b32_e32 v7, s12, v7
	v_add3_u32 v1, v3, v32, v1
	v_add3_u32 v5, v5, v6, v9
	v_mul_lo_u32 v3, v7, s26
	v_mul_hi_u32 v6, s14, v7
	v_sub_u32_e32 v3, v4, v3
	v_add_u32_e32 v4, v7, v6
	v_mul_lo_u32 v9, v3, s8
	v_mul_lo_u32 v6, v3, s9
	v_lshrrev_b32_e32 v3, s15, v4
	s_add_i32 s38, s38, 4
	v_mul_lo_u32 v4, v3, s13
	s_add_u32 s2, s2, 32
	v_sub_u32_e32 v4, v7, v4
	s_addc_u32 s3, s3, 0
	v_mul_lo_u32 v7, v4, s10
	v_mul_lo_u32 v4, v4, s11
	s_cmp_lg_u32 s30, s38
	v_add3_u32 v6, v6, v5, v4
	v_add3_u32 v32, v9, v1, v7
	s_cbranch_scc1 .LBB65_1128
; %bb.1129:
	v_mov_b32_e32 v1, v6
	s_and_b32 s6, s31, 3
	s_cmp_eq_u32 s6, 0
	s_cbranch_scc0 .LBB65_1133
	s_branch .LBB65_1135
.LBB65_1130:
                                        ; implicit-def: $vgpr6
                                        ; implicit-def: $vgpr32
	s_branch .LBB65_1136
.LBB65_1131:
	v_mov_b32_e32 v6, 0
	v_mov_b32_e32 v32, 0
	s_branch .LBB65_1135
.LBB65_1132:
	v_mov_b32_e32 v32, 0
                                        ; implicit-def: $vgpr6
	v_mov_b32_e32 v1, v32
	v_mov_b32_e32 v3, v2
	s_and_b32 s6, s31, 3
	s_cmp_eq_u32 s6, 0
	s_cbranch_scc1 .LBB65_1135
.LBB65_1133:
	s_lshl_b32 s2, s30, 3
	s_add_u32 s2, s34, s2
	s_addc_u32 s3, s35, 0
	s_add_u32 s2, s2, 0xc4
	s_addc_u32 s3, s3, 0
	s_mul_i32 s4, s30, 12
	s_add_u32 s4, s34, s4
	s_addc_u32 s5, s35, 0
.LBB65_1134:                            ; =>This Inner Loop Header: Depth=1
	s_load_dwordx2 s[8:9], s[4:5], 0x4
	s_load_dword s7, s[4:5], 0xc
	s_load_dwordx2 s[10:11], s[2:3], 0x0
	v_mov_b32_e32 v4, v1
	s_add_u32 s4, s4, 12
	s_waitcnt lgkmcnt(0)
	v_mul_hi_u32 v1, s9, v3
	v_add_u32_e32 v1, v3, v1
	v_lshrrev_b32_e32 v1, s7, v1
	s_addc_u32 s5, s5, 0
	v_mul_lo_u32 v5, v1, s8
	s_add_u32 s2, s2, 8
	v_sub_u32_e32 v5, v3, v5
	s_addc_u32 s3, s3, 0
	s_add_i32 s6, s6, -1
	v_mad_u64_u32 v[6:7], s[8:9], v5, s11, v[4:5]
	s_cmp_lg_u32 s6, 0
	v_mov_b32_e32 v3, v1
	v_mad_u64_u32 v[32:33], s[8:9], v5, s10, v[32:33]
	v_mov_b32_e32 v1, v6
	s_cbranch_scc1 .LBB65_1134
.LBB65_1135:
	s_cbranch_execnz .LBB65_1138
.LBB65_1136:
	s_load_dwordx4 s[4:7], s[34:35], 0x4
	s_load_dwordx2 s[2:3], s[34:35], 0xc4
	s_cmp_lt_u32 s33, 2
	s_waitcnt lgkmcnt(0)
	v_mul_hi_u32 v1, s5, v2
	v_add_u32_e32 v1, v2, v1
	v_lshrrev_b32_e32 v1, s6, v1
	v_mul_lo_u32 v3, v1, s4
	v_sub_u32_e32 v2, v2, v3
	v_mul_lo_u32 v6, v2, s3
	v_mul_lo_u32 v32, v2, s2
	s_cbranch_scc1 .LBB65_1138
; %bb.1137:
	s_load_dwordx4 s[4:7], s[34:35], 0x10
	s_load_dwordx2 s[2:3], s[34:35], 0xcc
	s_waitcnt lgkmcnt(0)
	v_mul_hi_u32 v2, s5, v1
	v_add_u32_e32 v2, v1, v2
	v_lshrrev_b32_e32 v2, s6, v2
	v_mul_lo_u32 v2, v2, s4
	v_sub_u32_e32 v1, v1, v2
	v_mad_u64_u32 v[32:33], s[4:5], v1, s2, v[32:33]
	v_mad_u64_u32 v[6:7], s[2:3], v1, s3, v[6:7]
.LBB65_1138:
	s_and_b64 vcc, exec, s[0:1]
	v_add_u32_e32 v2, 0x100, v21
	s_cbranch_vccnz .LBB65_1144
; %bb.1139:
	s_cmp_lg_u32 s33, 0
	s_mov_b32 s30, 0
	s_cbranch_scc0 .LBB65_1145
; %bb.1140:
	s_min_u32 s31, s72, 15
	s_add_i32 s31, s31, 1
	s_cmp_eq_u32 s72, 2
	s_cbranch_scc1 .LBB65_1146
; %bb.1141:
	s_and_b32 s30, s31, 28
	s_add_u32 s2, s34, 0xc4
	s_addc_u32 s3, s35, 0
	s_mov_b32 s38, 0
	v_mov_b32_e32 v30, 0
	v_mov_b32_e32 v4, 0
	s_mov_b64 s[16:17], s[34:35]
	v_mov_b32_e32 v3, v2
.LBB65_1142:                            ; =>This Inner Loop Header: Depth=1
	s_load_dwordx8 s[20:27], s[16:17], 0x4
	s_load_dwordx4 s[12:15], s[16:17], 0x24
	s_load_dwordx8 s[4:11], s[2:3], 0x0
	s_add_u32 s16, s16, 48
	s_addc_u32 s17, s17, 0
	s_waitcnt lgkmcnt(0)
	v_mul_hi_u32 v1, s21, v3
	v_add_u32_e32 v1, v3, v1
	v_lshrrev_b32_e32 v1, s22, v1
	v_mul_lo_u32 v5, v1, s20
	v_mul_hi_u32 v7, s24, v1
	v_sub_u32_e32 v3, v3, v5
	v_add_u32_e32 v5, v1, v7
	v_lshrrev_b32_e32 v5, s25, v5
	v_mul_lo_u32 v9, v5, s23
	v_mul_hi_u32 v10, s27, v5
	v_sub_u32_e32 v1, v1, v9
	v_add_u32_e32 v9, v5, v10
	v_mul_lo_u32 v7, v3, s5
	v_mul_lo_u32 v3, v3, s4
	;; [unrolled: 1-line block ×4, first 2 shown]
	v_lshrrev_b32_e32 v9, s12, v9
	v_add3_u32 v1, v3, v30, v1
	v_add3_u32 v4, v7, v4, v10
	v_mul_lo_u32 v3, v9, s26
	v_mul_hi_u32 v7, s14, v9
	v_sub_u32_e32 v3, v5, v3
	v_add_u32_e32 v5, v9, v7
	v_mul_lo_u32 v7, v3, s8
	v_mul_lo_u32 v10, v3, s9
	v_lshrrev_b32_e32 v3, s15, v5
	s_add_i32 s38, s38, 4
	v_mul_lo_u32 v5, v3, s13
	s_add_u32 s2, s2, 32
	v_sub_u32_e32 v5, v9, v5
	s_addc_u32 s3, s3, 0
	v_mul_lo_u32 v9, v5, s10
	v_mul_lo_u32 v5, v5, s11
	s_cmp_lg_u32 s30, s38
	v_add3_u32 v4, v10, v4, v5
	v_add3_u32 v30, v7, v1, v9
	s_cbranch_scc1 .LBB65_1142
; %bb.1143:
	v_mov_b32_e32 v1, v4
	s_and_b32 s6, s31, 3
	s_cmp_eq_u32 s6, 0
	s_cbranch_scc0 .LBB65_1147
	s_branch .LBB65_1149
.LBB65_1144:
                                        ; implicit-def: $vgpr4
                                        ; implicit-def: $vgpr30
	s_branch .LBB65_1150
.LBB65_1145:
	v_mov_b32_e32 v4, 0
	v_mov_b32_e32 v30, 0
	s_branch .LBB65_1149
.LBB65_1146:
	v_mov_b32_e32 v30, 0
                                        ; implicit-def: $vgpr4
	v_mov_b32_e32 v1, v30
	v_mov_b32_e32 v3, v2
	s_and_b32 s6, s31, 3
	s_cmp_eq_u32 s6, 0
	s_cbranch_scc1 .LBB65_1149
.LBB65_1147:
	s_lshl_b32 s2, s30, 3
	s_add_u32 s2, s34, s2
	s_addc_u32 s3, s35, 0
	s_add_u32 s2, s2, 0xc4
	s_addc_u32 s3, s3, 0
	s_mul_i32 s4, s30, 12
	s_add_u32 s4, s34, s4
	s_addc_u32 s5, s35, 0
.LBB65_1148:                            ; =>This Inner Loop Header: Depth=1
	s_load_dwordx2 s[8:9], s[4:5], 0x4
	s_load_dword s7, s[4:5], 0xc
	s_load_dwordx2 s[10:11], s[2:3], 0x0
	v_mov_b32_e32 v4, v1
	s_add_u32 s4, s4, 12
	s_waitcnt lgkmcnt(0)
	v_mul_hi_u32 v1, s9, v3
	v_add_u32_e32 v1, v3, v1
	v_lshrrev_b32_e32 v1, s7, v1
	s_addc_u32 s5, s5, 0
	v_mul_lo_u32 v5, v1, s8
	s_add_u32 s2, s2, 8
	v_sub_u32_e32 v7, v3, v5
	s_addc_u32 s3, s3, 0
	s_add_i32 s6, s6, -1
	v_mad_u64_u32 v[4:5], s[8:9], v7, s11, v[4:5]
	s_cmp_lg_u32 s6, 0
	v_mov_b32_e32 v3, v1
	v_mad_u64_u32 v[30:31], s[8:9], v7, s10, v[30:31]
	v_mov_b32_e32 v1, v4
	s_cbranch_scc1 .LBB65_1148
.LBB65_1149:
	s_cbranch_execnz .LBB65_1152
.LBB65_1150:
	s_load_dwordx4 s[4:7], s[34:35], 0x4
	s_load_dwordx2 s[2:3], s[34:35], 0xc4
	s_cmp_lt_u32 s33, 2
	s_waitcnt lgkmcnt(0)
	v_mul_hi_u32 v1, s5, v2
	v_add_u32_e32 v1, v2, v1
	v_lshrrev_b32_e32 v1, s6, v1
	v_mul_lo_u32 v3, v1, s4
	v_sub_u32_e32 v2, v2, v3
	v_mul_lo_u32 v4, v2, s3
	v_mul_lo_u32 v30, v2, s2
	s_cbranch_scc1 .LBB65_1152
; %bb.1151:
	s_load_dwordx4 s[4:7], s[34:35], 0x10
	s_load_dwordx2 s[2:3], s[34:35], 0xcc
	s_waitcnt lgkmcnt(0)
	v_mul_hi_u32 v2, s5, v1
	v_add_u32_e32 v2, v1, v2
	v_lshrrev_b32_e32 v2, s6, v2
	v_mul_lo_u32 v2, v2, s4
	v_sub_u32_e32 v1, v1, v2
	v_mad_u64_u32 v[30:31], s[4:5], v1, s2, v[30:31]
	v_mad_u64_u32 v[4:5], s[2:3], v1, s3, v[4:5]
.LBB65_1152:
	s_and_b64 vcc, exec, s[0:1]
	s_cbranch_vccnz .LBB65_1158
; %bb.1153:
	s_cmp_lg_u32 s33, 0
	s_mov_b32 s26, 0
	s_cbranch_scc0 .LBB65_1159
; %bb.1154:
	s_min_u32 s27, s72, 15
	s_add_i32 s27, s27, 1
	s_cmp_eq_u32 s72, 2
	s_cbranch_scc1 .LBB65_1160
; %bb.1155:
	s_and_b32 s26, s27, 28
	s_add_u32 s16, s34, 0xc4
	s_addc_u32 s17, s35, 0
	s_mov_b32 s30, 0
	v_mov_b32_e32 v28, 0
	v_mov_b32_e32 v2, 0
	s_mov_b64 s[24:25], s[34:35]
	v_mov_b32_e32 v5, v8
.LBB65_1156:                            ; =>This Inner Loop Header: Depth=1
	s_load_dwordx8 s[8:15], s[24:25], 0x4
	s_load_dwordx4 s[20:23], s[24:25], 0x24
	s_load_dwordx8 s[0:7], s[16:17], 0x0
	s_add_u32 s24, s24, 48
	s_addc_u32 s25, s25, 0
	s_waitcnt lgkmcnt(0)
	v_mul_hi_u32 v1, s9, v5
	v_add_u32_e32 v1, v5, v1
	v_lshrrev_b32_e32 v1, s10, v1
	v_mul_lo_u32 v3, v1, s8
	v_mul_hi_u32 v7, s12, v1
	v_sub_u32_e32 v3, v5, v3
	v_add_u32_e32 v5, v1, v7
	v_lshrrev_b32_e32 v5, s13, v5
	v_mul_lo_u32 v9, v5, s11
	v_mul_hi_u32 v10, s15, v5
	v_sub_u32_e32 v1, v1, v9
	v_add_u32_e32 v9, v5, v10
	v_mul_lo_u32 v7, v3, s1
	v_mul_lo_u32 v3, v3, s0
	;; [unrolled: 1-line block ×4, first 2 shown]
	v_lshrrev_b32_e32 v9, s20, v9
	v_add3_u32 v1, v3, v28, v1
	v_add3_u32 v2, v7, v2, v10
	v_mul_lo_u32 v3, v9, s14
	v_mul_hi_u32 v7, s22, v9
	v_sub_u32_e32 v3, v5, v3
	v_add_u32_e32 v5, v9, v7
	v_lshrrev_b32_e32 v5, s23, v5
	s_add_i32 s30, s30, 4
	v_mul_lo_u32 v10, v5, s21
	s_add_u32 s16, s16, 32
	v_sub_u32_e32 v9, v9, v10
	s_addc_u32 s17, s17, 0
	v_mul_lo_u32 v7, v3, s4
	v_mul_lo_u32 v3, v3, s5
	v_mul_lo_u32 v10, v9, s6
	v_mul_lo_u32 v9, v9, s7
	s_cmp_lg_u32 s26, s30
	v_add3_u32 v2, v3, v2, v9
	v_add3_u32 v28, v7, v1, v10
	s_cbranch_scc1 .LBB65_1156
; %bb.1157:
	v_mov_b32_e32 v1, v2
	s_and_b32 s4, s27, 3
	s_cmp_eq_u32 s4, 0
	s_cbranch_scc0 .LBB65_1161
	s_branch .LBB65_1163
.LBB65_1158:
                                        ; implicit-def: $vgpr2
                                        ; implicit-def: $vgpr28
	s_branch .LBB65_1164
.LBB65_1159:
	v_mov_b32_e32 v2, 0
	v_mov_b32_e32 v28, 0
	s_branch .LBB65_1163
.LBB65_1160:
	v_mov_b32_e32 v28, 0
                                        ; implicit-def: $vgpr2
	v_mov_b32_e32 v1, v28
	v_mov_b32_e32 v5, v8
	s_and_b32 s4, s27, 3
	s_cmp_eq_u32 s4, 0
	s_cbranch_scc1 .LBB65_1163
.LBB65_1161:
	s_lshl_b32 s0, s26, 3
	s_add_u32 s0, s34, s0
	s_addc_u32 s1, s35, 0
	s_add_u32 s0, s0, 0xc4
	s_addc_u32 s1, s1, 0
	s_mul_i32 s2, s26, 12
	s_add_u32 s2, s34, s2
	s_addc_u32 s3, s35, 0
.LBB65_1162:                            ; =>This Inner Loop Header: Depth=1
	s_load_dwordx2 s[6:7], s[2:3], 0x4
	s_load_dword s5, s[2:3], 0xc
	s_load_dwordx2 s[8:9], s[0:1], 0x0
	v_mov_b32_e32 v2, v1
	s_add_u32 s2, s2, 12
	s_waitcnt lgkmcnt(0)
	v_mul_hi_u32 v1, s7, v5
	v_add_u32_e32 v1, v5, v1
	v_lshrrev_b32_e32 v1, s5, v1
	s_addc_u32 s3, s3, 0
	v_mul_lo_u32 v3, v1, s6
	s_add_u32 s0, s0, 8
	v_sub_u32_e32 v7, v5, v3
	s_addc_u32 s1, s1, 0
	s_add_i32 s4, s4, -1
	v_mad_u64_u32 v[2:3], s[6:7], v7, s9, v[2:3]
	s_cmp_lg_u32 s4, 0
	v_mov_b32_e32 v5, v1
	v_mad_u64_u32 v[28:29], s[6:7], v7, s8, v[28:29]
	v_mov_b32_e32 v1, v2
	s_cbranch_scc1 .LBB65_1162
.LBB65_1163:
	s_cbranch_execnz .LBB65_1166
.LBB65_1164:
	s_load_dwordx4 s[0:3], s[34:35], 0x4
	s_load_dwordx2 s[4:5], s[34:35], 0xc4
	s_cmp_lt_u32 s33, 2
	s_waitcnt lgkmcnt(0)
	v_mul_hi_u32 v1, s1, v8
	v_add_u32_e32 v1, v8, v1
	v_lshrrev_b32_e32 v1, s2, v1
	v_mul_lo_u32 v2, v1, s0
	v_sub_u32_e32 v3, v8, v2
	v_mul_lo_u32 v2, v3, s5
	v_mul_lo_u32 v28, v3, s4
	s_cbranch_scc1 .LBB65_1166
; %bb.1165:
	s_load_dwordx4 s[0:3], s[34:35], 0x10
	s_load_dwordx2 s[4:5], s[34:35], 0xcc
	s_waitcnt lgkmcnt(0)
	v_mul_hi_u32 v3, s1, v1
	v_add_u32_e32 v3, v1, v3
	v_lshrrev_b32_e32 v3, s2, v3
	v_mul_lo_u32 v3, v3, s0
	v_sub_u32_e32 v1, v1, v3
	v_mad_u64_u32 v[28:29], s[0:1], v1, s4, v[28:29]
	v_mad_u64_u32 v[2:3], s[0:1], v1, s5, v[2:3]
.LBB65_1166:
	s_load_dword s24, s[18:19], 0x160
	s_load_dwordx4 s[20:23], s[34:35], 0x148
	v_mov_b32_e32 v1, 0
	s_waitcnt lgkmcnt(0)
	s_bfe_u32 s10, s24, 0x80010
	s_cmp_lt_i32 s10, 11
	v_lshl_add_u64 v[8:9], s[22:23], 0, v[0:1]
	s_cbranch_scc1 .LBB65_1173
; %bb.1167:
	s_and_b32 s11, 0xffff, s10
	s_cmp_gt_i32 s11, 25
	s_mov_b64 s[2:3], 0
	s_cbranch_scc0 .LBB65_1175
; %bb.1168:
	s_cmp_gt_i32 s11, 28
	s_cbranch_scc0 .LBB65_1176
; %bb.1169:
	s_cmp_gt_i32 s11, 43
	;; [unrolled: 3-line block ×3, first 2 shown]
	s_cbranch_scc0 .LBB65_1178
; %bb.1171:
	s_cmp_eq_u32 s11, 46
	s_mov_b64 s[6:7], 0
	s_cbranch_scc0 .LBB65_1181
; %bb.1172:
	global_load_dword v0, v[8:9], off
	s_mov_b64 s[0:1], 0
	s_mov_b64 s[4:5], -1
	s_waitcnt vmcnt(0)
	v_and_b32_e32 v1, 0xffff0000, v0
	v_lshlrev_b32_e32 v0, 16, v0
	s_branch .LBB65_1182
.LBB65_1173:
	s_mov_b64 s[4:5], 0
                                        ; implicit-def: $vgpr1
	s_mov_b64 s[18:19], s[28:29]
	s_cbranch_execnz .LBB65_1248
.LBB65_1174:
	s_andn2_b64 vcc, exec, s[4:5]
	s_cbranch_vccz .LBB65_1295
	s_branch .LBB65_2131
.LBB65_1175:
	s_mov_b64 s[4:5], 0
	s_mov_b64 s[0:1], 0
                                        ; implicit-def: $vgpr1
	s_cbranch_execnz .LBB65_1212
	s_branch .LBB65_1244
.LBB65_1176:
	s_mov_b64 s[4:5], 0
	s_mov_b64 s[0:1], 0
                                        ; implicit-def: $vgpr1
	s_cbranch_execnz .LBB65_1194
	s_branch .LBB65_1211
.LBB65_1177:
	s_mov_b64 s[6:7], -1
	s_mov_b64 s[4:5], 0
	s_mov_b64 s[0:1], 0
                                        ; implicit-def: $vgpr1
	s_branch .LBB65_1188
.LBB65_1178:
	s_mov_b64 s[6:7], -1
	s_mov_b64 s[4:5], 0
	s_mov_b64 s[0:1], 0
                                        ; implicit-def: $vgpr1
	s_branch .LBB65_1182
.LBB65_1179:
	s_andn2_saveexec_b64 s[6:7], s[6:7]
	s_cbranch_execz .LBB65_1022
.LBB65_1180:
	s_mov_b32 s8, 0x46000000
	v_add_f32_e64 v2, |v0|, s8
	v_and_b32_e32 v2, 0xff, v2
	v_cmp_ne_u32_e32 vcc, 0, v2
	s_andn2_b64 s[4:5], s[4:5], exec
	s_and_b64 s[8:9], vcc, exec
	s_or_b64 s[4:5], s[4:5], s[8:9]
	s_or_b64 exec, exec, s[6:7]
	v_mov_b32_e32 v3, 0
	s_and_saveexec_b64 s[6:7], s[4:5]
	s_cbranch_execnz .LBB65_1023
	s_branch .LBB65_1024
.LBB65_1181:
	s_mov_b64 s[0:1], -1
                                        ; implicit-def: $vgpr1
	s_mov_b64 s[4:5], 0
.LBB65_1182:
	s_and_b64 vcc, exec, s[6:7]
	s_cbranch_vccz .LBB65_1187
; %bb.1183:
	s_cmp_eq_u32 s11, 44
	s_cbranch_scc0 .LBB65_1185
; %bb.1184:
	global_load_ubyte v0, v[8:9], off
	s_movk_i32 s4, 0xff
	v_mov_b32_e32 v1, 0x7f800001
	v_mov_b32_e32 v3, 0x400000
	s_mov_b64 s[0:1], 0
	s_waitcnt vmcnt(0)
	v_lshlrev_b32_e32 v5, 23, v0
	v_cmp_ne_u32_e32 vcc, s4, v0
	s_mov_b64 s[4:5], -1
	s_nop 0
	v_cndmask_b32_e32 v1, v1, v5, vcc
	v_cmp_ne_u32_e32 vcc, 0, v0
	s_nop 1
	v_cndmask_b32_e32 v0, v3, v1, vcc
	s_branch .LBB65_1186
.LBB65_1185:
	s_mov_b64 s[0:1], -1
                                        ; implicit-def: $vgpr0
.LBB65_1186:
	v_mov_b32_e32 v1, 0
.LBB65_1187:
	s_mov_b64 s[6:7], 0
.LBB65_1188:
	s_and_b64 vcc, exec, s[6:7]
	s_cbranch_vccz .LBB65_1193
; %bb.1189:
	s_cmp_eq_u32 s11, 29
	s_cbranch_scc0 .LBB65_1191
; %bb.1190:
	global_load_dwordx2 v[0:1], v[8:9], off
	s_mov_b64 s[0:1], 0
	s_mov_b64 s[4:5], -1
	s_waitcnt vmcnt(0)
	v_ffbh_u32_e32 v3, v1
	v_min_u32_e32 v3, 32, v3
	v_lshlrev_b64 v[0:1], v3, v[0:1]
	v_min_u32_e32 v0, 1, v0
	v_or_b32_e32 v0, v1, v0
	v_cvt_f32_u32_e32 v0, v0
	v_sub_u32_e32 v1, 32, v3
	v_ldexp_f32 v0, v0, v1
	s_branch .LBB65_1192
.LBB65_1191:
	s_mov_b64 s[0:1], -1
                                        ; implicit-def: $vgpr0
.LBB65_1192:
	v_mov_b32_e32 v1, 0
.LBB65_1193:
	s_branch .LBB65_1211
.LBB65_1194:
	s_cmp_lt_i32 s11, 27
	s_cbranch_scc1 .LBB65_1197
; %bb.1195:
	s_cmp_gt_i32 s11, 27
	s_cbranch_scc0 .LBB65_1198
; %bb.1196:
	global_load_dword v0, v[8:9], off
	s_mov_b64 s[4:5], 0
	s_waitcnt vmcnt(0)
	v_cvt_f32_u32_e32 v0, v0
	s_branch .LBB65_1199
.LBB65_1197:
	s_mov_b64 s[4:5], -1
                                        ; implicit-def: $vgpr0
	s_branch .LBB65_1202
.LBB65_1198:
	s_mov_b64 s[4:5], -1
                                        ; implicit-def: $vgpr0
.LBB65_1199:
	s_andn2_b64 vcc, exec, s[4:5]
	s_cbranch_vccnz .LBB65_1201
; %bb.1200:
	global_load_ushort v0, v[8:9], off
	s_waitcnt vmcnt(0)
	v_cvt_f32_u32_e32 v0, v0
.LBB65_1201:
	s_mov_b64 s[4:5], 0
.LBB65_1202:
	s_andn2_b64 vcc, exec, s[4:5]
	s_cbranch_vccnz .LBB65_1210
; %bb.1203:
	global_load_ubyte v1, v[8:9], off
	s_movk_i32 s4, 0x7f
	s_waitcnt vmcnt(0)
	v_cmp_lt_i16_e32 vcc, s4, v1
	s_mov_b64 s[4:5], 0
	s_and_saveexec_b64 s[6:7], vcc
	s_xor_b64 s[6:7], exec, s[6:7]
	s_cbranch_execz .LBB65_1223
; %bb.1204:
	s_movk_i32 s4, 0x80
	v_cmp_eq_u16_e32 vcc, s4, v1
	s_mov_b64 s[4:5], -1
	s_and_saveexec_b64 s[8:9], vcc
; %bb.1205:
	s_xor_b64 s[4:5], exec, -1
; %bb.1206:
	s_or_b64 exec, exec, s[8:9]
	s_and_b64 s[4:5], s[4:5], exec
	s_or_saveexec_b64 s[6:7], s[6:7]
	v_mov_b32_e32 v0, 0x7f800001
	s_xor_b64 exec, exec, s[6:7]
	s_cbranch_execnz .LBB65_1224
.LBB65_1207:
	s_or_b64 exec, exec, s[6:7]
	s_and_saveexec_b64 s[6:7], s[4:5]
	s_cbranch_execz .LBB65_1209
.LBB65_1208:
	v_lshlrev_b32_e32 v0, 24, v1
	v_and_b32_e32 v1, 0xffff, v1
	v_and_b32_e32 v3, 7, v1
	v_ffbh_u32_e32 v7, v3
	v_min_u32_e32 v7, 32, v7
	v_subrev_u32_e32 v10, 28, v7
	v_bfe_u32 v5, v1, 3, 4
	v_lshlrev_b32_e32 v1, v10, v1
	v_sub_u32_e32 v7, 29, v7
	v_and_b32_e32 v1, 7, v1
	v_cmp_eq_u32_e32 vcc, 0, v5
	v_and_b32_e32 v0, 0x80000000, v0
	s_nop 0
	v_cndmask_b32_e32 v5, v5, v7, vcc
	v_cndmask_b32_e32 v1, v3, v1, vcc
	v_mov_b32_e32 v3, 0x3b800000
	v_lshlrev_b32_e32 v1, 20, v1
	v_lshl_add_u32 v3, v5, 23, v3
	v_or3_b32 v0, v0, v3, v1
.LBB65_1209:
	s_or_b64 exec, exec, s[6:7]
.LBB65_1210:
	s_mov_b64 s[4:5], -1
	v_mov_b32_e32 v1, 0
.LBB65_1211:
	s_branch .LBB65_1244
.LBB65_1212:
	s_cmp_gt_i32 s11, 22
	s_cbranch_scc0 .LBB65_1222
; %bb.1213:
	s_cmp_lt_i32 s11, 24
	s_cbranch_scc1 .LBB65_1225
; %bb.1214:
	s_cmp_gt_i32 s11, 24
	s_cbranch_scc0 .LBB65_1226
; %bb.1215:
	global_load_ubyte v1, v[8:9], off
	s_movk_i32 s2, 0x7f
	s_waitcnt vmcnt(0)
	v_cmp_lt_i16_e32 vcc, s2, v1
	s_mov_b64 s[2:3], 0
	s_and_saveexec_b64 s[4:5], vcc
	s_xor_b64 s[4:5], exec, s[4:5]
	s_cbranch_execz .LBB65_1237
; %bb.1216:
	s_movk_i32 s2, 0x80
	v_cmp_eq_u16_e32 vcc, s2, v1
	s_mov_b64 s[2:3], -1
	s_and_saveexec_b64 s[6:7], vcc
; %bb.1217:
	s_xor_b64 s[2:3], exec, -1
; %bb.1218:
	s_or_b64 exec, exec, s[6:7]
	s_and_b64 s[2:3], s[2:3], exec
	s_or_saveexec_b64 s[4:5], s[4:5]
	v_mov_b32_e32 v0, 0x7f800001
	s_xor_b64 exec, exec, s[4:5]
	s_cbranch_execnz .LBB65_1238
.LBB65_1219:
	s_or_b64 exec, exec, s[4:5]
	s_and_saveexec_b64 s[4:5], s[2:3]
	s_cbranch_execz .LBB65_1221
.LBB65_1220:
	v_lshlrev_b32_e32 v0, 24, v1
	v_and_b32_e32 v1, 0xffff, v1
	v_and_b32_e32 v3, 3, v1
	v_ffbh_u32_e32 v7, v3
	v_min_u32_e32 v7, 32, v7
	v_subrev_u32_e32 v10, 29, v7
	v_bfe_u32 v5, v1, 2, 5
	v_lshlrev_b32_e32 v1, v10, v1
	v_sub_u32_e32 v7, 30, v7
	v_and_b32_e32 v1, 3, v1
	v_cmp_eq_u32_e32 vcc, 0, v5
	v_and_b32_e32 v0, 0x80000000, v0
	s_nop 0
	v_cndmask_b32_e32 v5, v5, v7, vcc
	v_cndmask_b32_e32 v1, v3, v1, vcc
	v_mov_b32_e32 v3, 0x37800000
	v_lshlrev_b32_e32 v1, 21, v1
	v_lshl_add_u32 v3, v5, 23, v3
	v_or3_b32 v0, v0, v3, v1
.LBB65_1221:
	s_or_b64 exec, exec, s[4:5]
	s_mov_b64 s[2:3], 0
	s_branch .LBB65_1227
.LBB65_1222:
                                        ; implicit-def: $vgpr0
	s_mov_b64 s[2:3], 0
	s_branch .LBB65_1233
.LBB65_1223:
	s_or_saveexec_b64 s[6:7], s[6:7]
	v_mov_b32_e32 v0, 0x7f800001
	s_xor_b64 exec, exec, s[6:7]
	s_cbranch_execz .LBB65_1207
.LBB65_1224:
	v_cmp_ne_u16_e32 vcc, 0, v1
	s_andn2_b64 s[4:5], s[4:5], exec
	s_and_b64 s[8:9], vcc, exec
	v_mov_b32_e32 v0, 0
	s_or_b64 s[4:5], s[4:5], s[8:9]
	s_or_b64 exec, exec, s[6:7]
	s_and_saveexec_b64 s[6:7], s[4:5]
	s_cbranch_execnz .LBB65_1208
	s_branch .LBB65_1209
.LBB65_1225:
	s_mov_b64 s[2:3], -1
                                        ; implicit-def: $vgpr0
	s_branch .LBB65_1230
.LBB65_1226:
	s_mov_b64 s[2:3], -1
                                        ; implicit-def: $vgpr0
.LBB65_1227:
	s_and_b64 vcc, exec, s[2:3]
	s_cbranch_vccz .LBB65_1229
; %bb.1228:
	global_load_ubyte v0, v[8:9], off
	s_mov_b32 s2, 0x7f800000
	s_waitcnt vmcnt(0)
	v_lshlrev_b32_e32 v0, 24, v0
	v_and_b32_e32 v1, 0x7f000000, v0
	v_ffbh_u32_e32 v3, v1
	v_min_u32_e32 v3, 32, v3
	v_sub_u32_e64 v3, v3, 4 clamp
	v_lshlrev_b32_e32 v7, v3, v1
	v_lshlrev_b32_e32 v3, 23, v3
	v_lshrrev_b32_e32 v7, 4, v7
	v_add_u32_e32 v5, 0x1000000, v1
	v_sub_u32_e32 v3, v7, v3
	v_ashrrev_i32_e32 v5, 8, v5
	v_add_u32_e32 v3, 0x3c000000, v3
	v_and_or_b32 v3, v5, s2, v3
	v_cmp_ne_u32_e32 vcc, 0, v1
	s_brev_b32 s2, 1
	s_nop 0
	v_cndmask_b32_e32 v1, 0, v3, vcc
	v_and_or_b32 v0, v0, s2, v1
.LBB65_1229:
	s_mov_b64 s[2:3], 0
.LBB65_1230:
	s_andn2_b64 vcc, exec, s[2:3]
	s_cbranch_vccnz .LBB65_1232
; %bb.1231:
	global_load_ubyte v0, v[8:9], off
	s_movk_i32 s2, 0x7f00
	s_brev_b32 s3, 16
	s_waitcnt vmcnt(0)
	v_lshlrev_b16_e32 v1, 8, v0
	v_lshlrev_b32_e32 v0, 25, v0
	v_lshrrev_b32_e32 v3, 4, v0
	v_and_or_b32 v5, v1, s2, 0.5
	v_or_b32_e32 v3, 0x70000000, v3
	v_add_f32_e32 v5, -0.5, v5
	v_mul_f32_e32 v3, 0x7800000, v3
	v_cmp_gt_u32_e32 vcc, s3, v0
	v_bfe_i32 v1, v1, 0, 16
	s_brev_b32 s2, 1
	v_cndmask_b32_e32 v0, v3, v5, vcc
	v_and_or_b32 v0, v1, s2, v0
.LBB65_1232:
	s_mov_b64 s[4:5], -1
	s_mov_b64 s[2:3], 0
	s_cbranch_execnz .LBB65_1243
.LBB65_1233:
	s_cmp_gt_i32 s11, 14
	s_cbranch_scc0 .LBB65_1236
; %bb.1234:
	s_cmp_eq_u32 s11, 15
	s_cbranch_scc0 .LBB65_1239
; %bb.1235:
	global_load_ushort v0, v[8:9], off
	s_mov_b64 s[0:1], 0
	s_mov_b64 s[4:5], -1
	s_waitcnt vmcnt(0)
	v_lshlrev_b32_e32 v0, 16, v0
	s_branch .LBB65_1240
.LBB65_1236:
	s_mov_b64 s[6:7], -1
                                        ; implicit-def: $vgpr0
	s_branch .LBB65_1241
.LBB65_1237:
	s_or_saveexec_b64 s[4:5], s[4:5]
	v_mov_b32_e32 v0, 0x7f800001
	s_xor_b64 exec, exec, s[4:5]
	s_cbranch_execz .LBB65_1219
.LBB65_1238:
	v_cmp_ne_u16_e32 vcc, 0, v1
	s_andn2_b64 s[2:3], s[2:3], exec
	s_and_b64 s[6:7], vcc, exec
	v_mov_b32_e32 v0, 0
	s_or_b64 s[2:3], s[2:3], s[6:7]
	s_or_b64 exec, exec, s[4:5]
	s_and_saveexec_b64 s[4:5], s[2:3]
	s_cbranch_execnz .LBB65_1220
	s_branch .LBB65_1221
.LBB65_1239:
	s_mov_b64 s[0:1], -1
                                        ; implicit-def: $vgpr0
.LBB65_1240:
	s_mov_b64 s[6:7], 0
.LBB65_1241:
	s_and_b64 vcc, exec, s[6:7]
	s_cbranch_vccz .LBB65_1243
; %bb.1242:
	s_cmp_lg_u32 s11, 11
	s_mov_b64 s[2:3], -1
	s_cselect_b64 s[0:1], -1, 0
.LBB65_1243:
	v_mov_b32_e32 v1, 0
.LBB65_1244:
	s_and_b64 vcc, exec, s[0:1]
	s_mov_b64 s[18:19], s[28:29]
	s_cbranch_vccnz .LBB65_1307
; %bb.1245:
	s_andn2_b64 vcc, exec, s[2:3]
	s_cbranch_vccnz .LBB65_1247
.LBB65_1246:
	global_load_ubyte v0, v[8:9], off
	v_mov_b32_e32 v1, 0
	s_mov_b64 s[4:5], -1
	s_waitcnt vmcnt(0)
	v_cmp_ne_u16_e32 vcc, 0, v0
	s_nop 1
	v_cndmask_b32_e64 v0, 0, 1.0, vcc
.LBB65_1247:
	s_branch .LBB65_1174
.LBB65_1248:
	s_and_b32 s2, 0xffff, s10
	s_cmp_lt_i32 s2, 5
	s_cbranch_scc1 .LBB65_1253
; %bb.1249:
	s_cmp_lt_i32 s2, 8
	s_cbranch_scc1 .LBB65_1255
; %bb.1250:
	;; [unrolled: 3-line block ×3, first 2 shown]
	s_cmp_gt_i32 s2, 9
	s_cbranch_scc0 .LBB65_1257
; %bb.1252:
	global_load_dwordx4 v[10:13], v[8:9], off
	s_mov_b64 s[0:1], 0
	s_waitcnt vmcnt(0)
	v_cvt_f32_f64_e32 v0, v[10:11]
	v_cvt_f32_f64_e32 v1, v[12:13]
	s_branch .LBB65_1258
.LBB65_1253:
                                        ; implicit-def: $vgpr1
	s_branch .LBB65_1276
.LBB65_1254:
	s_branch .LBB65_1295
.LBB65_1255:
                                        ; implicit-def: $vgpr1
	s_branch .LBB65_1264
.LBB65_1256:
	s_mov_b64 s[0:1], -1
                                        ; implicit-def: $vgpr1
	s_branch .LBB65_1261
.LBB65_1257:
	s_mov_b64 s[0:1], -1
                                        ; implicit-def: $vgpr1
.LBB65_1258:
	s_andn2_b64 vcc, exec, s[0:1]
	s_cbranch_vccnz .LBB65_1260
; %bb.1259:
	global_load_dwordx2 v[0:1], v[8:9], off
.LBB65_1260:
	s_mov_b64 s[0:1], 0
.LBB65_1261:
	s_andn2_b64 vcc, exec, s[0:1]
	s_cbranch_vccnz .LBB65_1263
; %bb.1262:
	global_load_dword v0, v[8:9], off
	s_waitcnt vmcnt(0)
	v_cvt_f32_f16_sdwa v1, v0 dst_sel:DWORD dst_unused:UNUSED_PAD src0_sel:WORD_1
	v_cvt_f32_f16_e32 v0, v0
.LBB65_1263:
	s_cbranch_execnz .LBB65_1275
.LBB65_1264:
	s_cmp_lt_i32 s2, 6
	s_cbranch_scc1 .LBB65_1267
; %bb.1265:
	s_cmp_gt_i32 s2, 6
	s_cbranch_scc0 .LBB65_1268
; %bb.1266:
	global_load_dwordx2 v[0:1], v[8:9], off
	s_mov_b64 s[0:1], 0
	s_waitcnt vmcnt(0)
	v_cvt_f32_f64_e32 v0, v[0:1]
	s_branch .LBB65_1269
.LBB65_1267:
	s_mov_b64 s[0:1], -1
                                        ; implicit-def: $vgpr0
	s_branch .LBB65_1272
.LBB65_1268:
	s_mov_b64 s[0:1], -1
                                        ; implicit-def: $vgpr0
.LBB65_1269:
	s_andn2_b64 vcc, exec, s[0:1]
	s_cbranch_vccnz .LBB65_1271
; %bb.1270:
	global_load_dword v0, v[8:9], off
.LBB65_1271:
	s_mov_b64 s[0:1], 0
.LBB65_1272:
	s_andn2_b64 vcc, exec, s[0:1]
	s_cbranch_vccnz .LBB65_1274
; %bb.1273:
	global_load_ushort v0, v[8:9], off
	s_waitcnt vmcnt(0)
	v_cvt_f32_f16_e32 v0, v0
.LBB65_1274:
	s_waitcnt vmcnt(0)
	v_mov_b32_e32 v1, 0
.LBB65_1275:
	s_cbranch_execnz .LBB65_1254
.LBB65_1276:
	s_cmp_lt_i32 s2, 2
	s_cbranch_scc1 .LBB65_1280
; %bb.1277:
	s_cmp_lt_i32 s2, 3
	s_cbranch_scc1 .LBB65_1281
; %bb.1278:
	s_cmp_gt_i32 s2, 3
	s_cbranch_scc0 .LBB65_1282
; %bb.1279:
	global_load_dwordx2 v[0:1], v[8:9], off
	s_mov_b64 s[0:1], 0
	s_waitcnt vmcnt(0)
	v_xor_b32_e32 v5, v0, v1
	v_ffbh_i32_e32 v3, v1
	v_ashrrev_i32_e32 v5, 31, v5
	v_add_u32_e32 v3, -1, v3
	v_add_u32_e32 v5, 32, v5
	v_min_u32_e32 v3, v3, v5
	v_lshlrev_b64 v[0:1], v3, v[0:1]
	v_min_u32_e32 v0, 1, v0
	v_or_b32_e32 v0, v1, v0
	v_cvt_f32_i32_e32 v0, v0
	v_sub_u32_e32 v1, 32, v3
	v_ldexp_f32 v0, v0, v1
	s_branch .LBB65_1283
.LBB65_1280:
                                        ; implicit-def: $vgpr0
	s_branch .LBB65_1289
.LBB65_1281:
	s_mov_b64 s[0:1], -1
                                        ; implicit-def: $vgpr0
	s_branch .LBB65_1286
.LBB65_1282:
	s_mov_b64 s[0:1], -1
                                        ; implicit-def: $vgpr0
.LBB65_1283:
	s_andn2_b64 vcc, exec, s[0:1]
	s_cbranch_vccnz .LBB65_1285
; %bb.1284:
	global_load_dword v0, v[8:9], off
	s_waitcnt vmcnt(0)
	v_cvt_f32_i32_e32 v0, v0
.LBB65_1285:
	s_mov_b64 s[0:1], 0
.LBB65_1286:
	s_andn2_b64 vcc, exec, s[0:1]
	s_cbranch_vccnz .LBB65_1288
; %bb.1287:
	global_load_sshort v0, v[8:9], off
	s_waitcnt vmcnt(0)
	v_cvt_f32_i32_e32 v0, v0
.LBB65_1288:
	s_cbranch_execnz .LBB65_1294
.LBB65_1289:
	s_cmp_gt_i32 s2, 0
	s_cbranch_scc0 .LBB65_1291
; %bb.1290:
	global_load_sbyte v0, v[8:9], off
	s_mov_b64 s[0:1], 0
	s_waitcnt vmcnt(0)
	v_cvt_f32_i32_e32 v0, v0
	s_branch .LBB65_1292
.LBB65_1291:
	s_mov_b64 s[0:1], -1
                                        ; implicit-def: $vgpr0
.LBB65_1292:
	s_andn2_b64 vcc, exec, s[0:1]
	s_cbranch_vccnz .LBB65_1294
; %bb.1293:
	global_load_ubyte v0, v[8:9], off
	s_waitcnt vmcnt(0)
	v_cvt_f32_ubyte0_e32 v0, v0
.LBB65_1294:
	s_waitcnt vmcnt(0)
	v_mov_b32_e32 v1, 0
.LBB65_1295:
	s_lshr_b32 s0, s24, 16
	v_mov_b32_e32 v7, 0
	s_and_b32 s10, s0, 0xff
	s_cmp_lt_i32 s10, 11
	v_lshl_add_u64 v[6:7], s[22:23], 0, v[6:7]
	s_cbranch_scc1 .LBB65_1302
; %bb.1296:
	s_and_b32 s11, 0xffff, s10
	s_cmp_gt_i32 s11, 25
	s_mov_b64 s[2:3], 0
	s_cbranch_scc0 .LBB65_1304
; %bb.1297:
	s_cmp_gt_i32 s11, 28
	s_cbranch_scc0 .LBB65_1305
; %bb.1298:
	s_cmp_gt_i32 s11, 43
	;; [unrolled: 3-line block ×3, first 2 shown]
	s_cbranch_scc0 .LBB65_1308
; %bb.1300:
	s_cmp_eq_u32 s11, 46
	s_mov_b64 s[6:7], 0
	s_cbranch_scc0 .LBB65_1311
; %bb.1301:
	global_load_dword v3, v[6:7], off
	s_mov_b64 s[0:1], 0
	s_mov_b64 s[4:5], -1
	s_waitcnt vmcnt(0)
	v_and_b32_e32 v23, 0xffff0000, v3
	v_lshlrev_b32_e32 v22, 16, v3
	s_branch .LBB65_1312
.LBB65_1302:
	s_mov_b64 s[4:5], 0
                                        ; implicit-def: $vgpr23
	s_cbranch_execnz .LBB65_1380
.LBB65_1303:
	s_andn2_b64 vcc, exec, s[4:5]
	s_cbranch_vccnz .LBB65_2131
	s_branch .LBB65_1429
.LBB65_1304:
	s_mov_b64 s[4:5], 0
	s_mov_b64 s[0:1], 0
                                        ; implicit-def: $vgpr23
	s_cbranch_execnz .LBB65_1343
	s_branch .LBB65_1376
.LBB65_1305:
	s_mov_b64 s[6:7], -1
	s_mov_b64 s[4:5], 0
	s_mov_b64 s[0:1], 0
                                        ; implicit-def: $vgpr23
	s_branch .LBB65_1324
.LBB65_1306:
	s_mov_b64 s[6:7], -1
	s_mov_b64 s[4:5], 0
	s_mov_b64 s[0:1], 0
                                        ; implicit-def: $vgpr23
	s_branch .LBB65_1318
.LBB65_1307:
	s_trap 2
	s_or_b64 s[18:19], s[28:29], exec
	s_cbranch_execz .LBB65_1246
	s_branch .LBB65_1247
.LBB65_1308:
	s_mov_b64 s[6:7], -1
	s_mov_b64 s[4:5], 0
	s_mov_b64 s[0:1], 0
                                        ; implicit-def: $vgpr23
	s_branch .LBB65_1312
.LBB65_1309:
	s_andn2_saveexec_b64 s[8:9], s[8:9]
	s_cbranch_execz .LBB65_1034
.LBB65_1310:
	s_mov_b32 s12, 0x42800000
	v_add_f32_e64 v2, |v0|, s12
	v_and_b32_e32 v2, 0xff, v2
	v_cmp_ne_u32_e32 vcc, 0, v2
	s_andn2_b64 s[6:7], s[6:7], exec
	s_and_b64 s[12:13], vcc, exec
	s_or_b64 s[6:7], s[6:7], s[12:13]
	s_or_b64 exec, exec, s[8:9]
	v_mov_b32_e32 v3, 0
	s_and_saveexec_b64 s[8:9], s[6:7]
	s_cbranch_execnz .LBB65_1035
	s_branch .LBB65_1036
.LBB65_1311:
	s_mov_b64 s[0:1], -1
                                        ; implicit-def: $vgpr23
	s_mov_b64 s[4:5], 0
.LBB65_1312:
	s_and_b64 vcc, exec, s[6:7]
	s_cbranch_vccz .LBB65_1317
; %bb.1313:
	s_cmp_eq_u32 s11, 44
	s_cbranch_scc0 .LBB65_1315
; %bb.1314:
	global_load_ubyte v3, v[6:7], off
	s_movk_i32 s4, 0xff
	v_mov_b32_e32 v5, 0x7f800001
	v_mov_b32_e32 v8, 0x400000
	s_mov_b64 s[0:1], 0
	s_waitcnt vmcnt(0)
	v_lshlrev_b32_e32 v9, 23, v3
	v_cmp_ne_u32_e32 vcc, s4, v3
	s_mov_b64 s[4:5], -1
	s_nop 0
	v_cndmask_b32_e32 v5, v5, v9, vcc
	v_cmp_ne_u32_e32 vcc, 0, v3
	s_nop 1
	v_cndmask_b32_e32 v22, v8, v5, vcc
	s_branch .LBB65_1316
.LBB65_1315:
	s_mov_b64 s[0:1], -1
                                        ; implicit-def: $vgpr22
.LBB65_1316:
	v_mov_b32_e32 v23, 0
.LBB65_1317:
	s_mov_b64 s[6:7], 0
.LBB65_1318:
	s_and_b64 vcc, exec, s[6:7]
	s_cbranch_vccz .LBB65_1323
; %bb.1319:
	s_cmp_eq_u32 s11, 29
	s_cbranch_scc0 .LBB65_1321
; %bb.1320:
	global_load_dwordx2 v[8:9], v[6:7], off
	s_mov_b64 s[0:1], 0
	s_mov_b64 s[4:5], -1
	s_waitcnt vmcnt(0)
	v_ffbh_u32_e32 v3, v9
	v_min_u32_e32 v3, 32, v3
	v_lshlrev_b64 v[8:9], v3, v[8:9]
	v_min_u32_e32 v5, 1, v8
	v_or_b32_e32 v5, v9, v5
	v_cvt_f32_u32_e32 v5, v5
	v_sub_u32_e32 v3, 32, v3
	v_ldexp_f32 v22, v5, v3
	s_branch .LBB65_1322
.LBB65_1321:
	s_mov_b64 s[0:1], -1
                                        ; implicit-def: $vgpr22
.LBB65_1322:
	v_mov_b32_e32 v23, 0
.LBB65_1323:
	s_mov_b64 s[6:7], 0
.LBB65_1324:
	s_and_b64 vcc, exec, s[6:7]
	s_cbranch_vccz .LBB65_1342
; %bb.1325:
	s_cmp_lt_i32 s11, 27
	s_cbranch_scc1 .LBB65_1328
; %bb.1326:
	s_cmp_gt_i32 s11, 27
	s_cbranch_scc0 .LBB65_1329
; %bb.1327:
	global_load_dword v3, v[6:7], off
	s_mov_b64 s[4:5], 0
	s_waitcnt vmcnt(0)
	v_cvt_f32_u32_e32 v22, v3
	s_branch .LBB65_1330
.LBB65_1328:
	s_mov_b64 s[4:5], -1
                                        ; implicit-def: $vgpr22
	s_branch .LBB65_1333
.LBB65_1329:
	s_mov_b64 s[4:5], -1
                                        ; implicit-def: $vgpr22
.LBB65_1330:
	s_andn2_b64 vcc, exec, s[4:5]
	s_cbranch_vccnz .LBB65_1332
; %bb.1331:
	global_load_ushort v3, v[6:7], off
	s_waitcnt vmcnt(0)
	v_cvt_f32_u32_e32 v22, v3
.LBB65_1332:
	s_mov_b64 s[4:5], 0
.LBB65_1333:
	s_andn2_b64 vcc, exec, s[4:5]
	s_cbranch_vccnz .LBB65_1341
; %bb.1334:
	global_load_ubyte v3, v[6:7], off
	s_movk_i32 s4, 0x7f
	s_waitcnt vmcnt(0)
	v_cmp_lt_i16_e32 vcc, s4, v3
	s_mov_b64 s[4:5], 0
	s_and_saveexec_b64 s[6:7], vcc
	s_xor_b64 s[6:7], exec, s[6:7]
	s_cbranch_execz .LBB65_1354
; %bb.1335:
	s_movk_i32 s4, 0x80
	v_cmp_eq_u16_e32 vcc, s4, v3
	s_mov_b64 s[4:5], -1
	s_and_saveexec_b64 s[8:9], vcc
; %bb.1336:
	s_xor_b64 s[4:5], exec, -1
; %bb.1337:
	s_or_b64 exec, exec, s[8:9]
	s_and_b64 s[4:5], s[4:5], exec
	s_or_saveexec_b64 s[6:7], s[6:7]
	v_mov_b32_e32 v22, 0x7f800001
	s_xor_b64 exec, exec, s[6:7]
	s_cbranch_execnz .LBB65_1355
.LBB65_1338:
	s_or_b64 exec, exec, s[6:7]
	s_and_saveexec_b64 s[6:7], s[4:5]
	s_cbranch_execz .LBB65_1340
.LBB65_1339:
	v_lshlrev_b32_e32 v5, 24, v3
	v_and_b32_e32 v3, 0xffff, v3
	v_and_b32_e32 v8, 7, v3
	v_ffbh_u32_e32 v10, v8
	v_min_u32_e32 v10, 32, v10
	v_subrev_u32_e32 v11, 28, v10
	v_bfe_u32 v9, v3, 3, 4
	v_lshlrev_b32_e32 v3, v11, v3
	v_sub_u32_e32 v10, 29, v10
	v_and_b32_e32 v3, 7, v3
	v_cmp_eq_u32_e32 vcc, 0, v9
	v_and_b32_e32 v5, 0x80000000, v5
	s_nop 0
	v_cndmask_b32_e32 v9, v9, v10, vcc
	v_cndmask_b32_e32 v3, v8, v3, vcc
	v_mov_b32_e32 v8, 0x3b800000
	v_lshlrev_b32_e32 v3, 20, v3
	v_lshl_add_u32 v8, v9, 23, v8
	v_or3_b32 v22, v5, v8, v3
.LBB65_1340:
	s_or_b64 exec, exec, s[6:7]
.LBB65_1341:
	s_mov_b64 s[4:5], -1
	v_mov_b32_e32 v23, 0
.LBB65_1342:
	s_branch .LBB65_1376
.LBB65_1343:
	s_cmp_gt_i32 s11, 22
	s_cbranch_scc0 .LBB65_1353
; %bb.1344:
	s_cmp_lt_i32 s11, 24
	s_cbranch_scc1 .LBB65_1356
; %bb.1345:
	s_cmp_gt_i32 s11, 24
	s_cbranch_scc0 .LBB65_1357
; %bb.1346:
	global_load_ubyte v3, v[6:7], off
	s_movk_i32 s2, 0x7f
	s_waitcnt vmcnt(0)
	v_cmp_lt_i16_e32 vcc, s2, v3
	s_mov_b64 s[2:3], 0
	s_and_saveexec_b64 s[4:5], vcc
	s_xor_b64 s[4:5], exec, s[4:5]
	s_cbranch_execz .LBB65_1369
; %bb.1347:
	s_movk_i32 s2, 0x80
	v_cmp_eq_u16_e32 vcc, s2, v3
	s_mov_b64 s[2:3], -1
	s_and_saveexec_b64 s[6:7], vcc
; %bb.1348:
	s_xor_b64 s[2:3], exec, -1
; %bb.1349:
	s_or_b64 exec, exec, s[6:7]
	s_and_b64 s[2:3], s[2:3], exec
	s_or_saveexec_b64 s[4:5], s[4:5]
	v_mov_b32_e32 v22, 0x7f800001
	s_xor_b64 exec, exec, s[4:5]
	s_cbranch_execnz .LBB65_1370
.LBB65_1350:
	s_or_b64 exec, exec, s[4:5]
	s_and_saveexec_b64 s[4:5], s[2:3]
	s_cbranch_execz .LBB65_1352
.LBB65_1351:
	v_lshlrev_b32_e32 v5, 24, v3
	v_and_b32_e32 v3, 0xffff, v3
	v_and_b32_e32 v8, 3, v3
	v_ffbh_u32_e32 v10, v8
	v_min_u32_e32 v10, 32, v10
	v_subrev_u32_e32 v11, 29, v10
	v_bfe_u32 v9, v3, 2, 5
	v_lshlrev_b32_e32 v3, v11, v3
	v_sub_u32_e32 v10, 30, v10
	v_and_b32_e32 v3, 3, v3
	v_cmp_eq_u32_e32 vcc, 0, v9
	v_and_b32_e32 v5, 0x80000000, v5
	s_nop 0
	v_cndmask_b32_e32 v9, v9, v10, vcc
	v_cndmask_b32_e32 v3, v8, v3, vcc
	v_mov_b32_e32 v8, 0x37800000
	v_lshlrev_b32_e32 v3, 21, v3
	v_lshl_add_u32 v8, v9, 23, v8
	v_or3_b32 v22, v5, v8, v3
.LBB65_1352:
	s_or_b64 exec, exec, s[4:5]
	s_mov_b64 s[2:3], 0
	s_branch .LBB65_1358
.LBB65_1353:
	s_mov_b64 s[2:3], -1
                                        ; implicit-def: $vgpr22
	s_branch .LBB65_1364
.LBB65_1354:
	s_or_saveexec_b64 s[6:7], s[6:7]
	v_mov_b32_e32 v22, 0x7f800001
	s_xor_b64 exec, exec, s[6:7]
	s_cbranch_execz .LBB65_1338
.LBB65_1355:
	v_cmp_ne_u16_e32 vcc, 0, v3
	s_andn2_b64 s[4:5], s[4:5], exec
	s_and_b64 s[8:9], vcc, exec
	v_mov_b32_e32 v22, 0
	s_or_b64 s[4:5], s[4:5], s[8:9]
	s_or_b64 exec, exec, s[6:7]
	s_and_saveexec_b64 s[6:7], s[4:5]
	s_cbranch_execnz .LBB65_1339
	s_branch .LBB65_1340
.LBB65_1356:
	s_mov_b64 s[2:3], -1
                                        ; implicit-def: $vgpr22
	s_branch .LBB65_1361
.LBB65_1357:
	s_mov_b64 s[2:3], -1
                                        ; implicit-def: $vgpr22
.LBB65_1358:
	s_and_b64 vcc, exec, s[2:3]
	s_cbranch_vccz .LBB65_1360
; %bb.1359:
	global_load_ubyte v3, v[6:7], off
	s_mov_b32 s2, 0x7f800000
	s_waitcnt vmcnt(0)
	v_lshlrev_b32_e32 v3, 24, v3
	v_and_b32_e32 v5, 0x7f000000, v3
	v_ffbh_u32_e32 v8, v5
	v_min_u32_e32 v8, 32, v8
	v_sub_u32_e64 v8, v8, 4 clamp
	v_lshlrev_b32_e32 v10, v8, v5
	v_lshlrev_b32_e32 v8, 23, v8
	v_lshrrev_b32_e32 v10, 4, v10
	v_add_u32_e32 v9, 0x1000000, v5
	v_sub_u32_e32 v8, v10, v8
	v_ashrrev_i32_e32 v9, 8, v9
	v_add_u32_e32 v8, 0x3c000000, v8
	v_and_or_b32 v8, v9, s2, v8
	v_cmp_ne_u32_e32 vcc, 0, v5
	s_brev_b32 s2, 1
	s_nop 0
	v_cndmask_b32_e32 v5, 0, v8, vcc
	v_and_or_b32 v22, v3, s2, v5
.LBB65_1360:
	s_mov_b64 s[2:3], 0
.LBB65_1361:
	s_andn2_b64 vcc, exec, s[2:3]
	s_cbranch_vccnz .LBB65_1363
; %bb.1362:
	global_load_ubyte v3, v[6:7], off
	s_movk_i32 s2, 0x7f00
	s_brev_b32 s3, 16
	s_waitcnt vmcnt(0)
	v_lshlrev_b16_e32 v5, 8, v3
	v_lshlrev_b32_e32 v3, 25, v3
	v_lshrrev_b32_e32 v8, 4, v3
	v_and_or_b32 v9, v5, s2, 0.5
	v_or_b32_e32 v8, 0x70000000, v8
	v_add_f32_e32 v9, -0.5, v9
	v_mul_f32_e32 v8, 0x7800000, v8
	v_cmp_gt_u32_e32 vcc, s3, v3
	v_bfe_i32 v5, v5, 0, 16
	s_brev_b32 s2, 1
	v_cndmask_b32_e32 v3, v8, v9, vcc
	v_and_or_b32 v22, v5, s2, v3
.LBB65_1363:
	s_mov_b64 s[2:3], 0
	s_mov_b64 s[4:5], -1
.LBB65_1364:
	s_andn2_b64 vcc, exec, s[2:3]
	s_mov_b64 s[2:3], 0
	s_cbranch_vccnz .LBB65_1375
; %bb.1365:
	s_cmp_gt_i32 s11, 14
	s_cbranch_scc0 .LBB65_1368
; %bb.1366:
	s_cmp_eq_u32 s11, 15
	s_cbranch_scc0 .LBB65_1371
; %bb.1367:
	global_load_ushort v3, v[6:7], off
	s_mov_b64 s[0:1], 0
	s_mov_b64 s[4:5], -1
	s_waitcnt vmcnt(0)
	v_lshlrev_b32_e32 v22, 16, v3
	s_branch .LBB65_1372
.LBB65_1368:
	s_mov_b64 s[6:7], -1
                                        ; implicit-def: $vgpr22
	s_branch .LBB65_1373
.LBB65_1369:
	s_or_saveexec_b64 s[4:5], s[4:5]
	v_mov_b32_e32 v22, 0x7f800001
	s_xor_b64 exec, exec, s[4:5]
	s_cbranch_execz .LBB65_1350
.LBB65_1370:
	v_cmp_ne_u16_e32 vcc, 0, v3
	s_andn2_b64 s[2:3], s[2:3], exec
	s_and_b64 s[6:7], vcc, exec
	v_mov_b32_e32 v22, 0
	s_or_b64 s[2:3], s[2:3], s[6:7]
	s_or_b64 exec, exec, s[4:5]
	s_and_saveexec_b64 s[4:5], s[2:3]
	s_cbranch_execnz .LBB65_1351
	s_branch .LBB65_1352
.LBB65_1371:
	s_mov_b64 s[0:1], -1
                                        ; implicit-def: $vgpr22
.LBB65_1372:
	s_mov_b64 s[6:7], 0
.LBB65_1373:
	s_and_b64 vcc, exec, s[6:7]
	s_cbranch_vccz .LBB65_1375
; %bb.1374:
	s_cmp_lg_u32 s11, 11
	s_mov_b64 s[2:3], -1
	s_cselect_b64 s[0:1], -1, 0
.LBB65_1375:
	v_mov_b32_e32 v23, 0
.LBB65_1376:
	s_and_b64 vcc, exec, s[0:1]
	s_cbranch_vccnz .LBB65_1453
; %bb.1377:
	s_andn2_b64 vcc, exec, s[2:3]
	s_cbranch_vccnz .LBB65_1379
.LBB65_1378:
	global_load_ubyte v3, v[6:7], off
	v_mov_b32_e32 v23, 0
	s_mov_b64 s[4:5], -1
	s_waitcnt vmcnt(0)
	v_cmp_ne_u16_e32 vcc, 0, v3
	s_nop 1
	v_cndmask_b32_e64 v22, 0, 1.0, vcc
.LBB65_1379:
	s_branch .LBB65_1303
.LBB65_1380:
	s_and_b32 s2, 0xffff, s10
	s_cmp_lt_i32 s2, 5
	s_cbranch_scc1 .LBB65_1385
; %bb.1381:
	s_cmp_lt_i32 s2, 8
	s_cbranch_scc1 .LBB65_1387
; %bb.1382:
	;; [unrolled: 3-line block ×3, first 2 shown]
	s_cmp_gt_i32 s2, 9
	s_cbranch_scc0 .LBB65_1389
; %bb.1384:
	global_load_dwordx4 v[8:11], v[6:7], off
	s_mov_b64 s[0:1], 0
	s_waitcnt vmcnt(0)
	v_cvt_f32_f64_e32 v22, v[8:9]
	v_cvt_f32_f64_e32 v23, v[10:11]
	s_branch .LBB65_1390
.LBB65_1385:
                                        ; implicit-def: $vgpr23
	s_branch .LBB65_1409
.LBB65_1386:
	s_branch .LBB65_1429
.LBB65_1387:
	s_mov_b64 s[0:1], -1
                                        ; implicit-def: $vgpr23
	s_branch .LBB65_1396
.LBB65_1388:
	s_mov_b64 s[0:1], -1
                                        ; implicit-def: $vgpr23
	s_branch .LBB65_1393
.LBB65_1389:
	s_mov_b64 s[0:1], -1
                                        ; implicit-def: $vgpr23
.LBB65_1390:
	s_andn2_b64 vcc, exec, s[0:1]
	s_cbranch_vccnz .LBB65_1392
; %bb.1391:
	global_load_dwordx2 v[22:23], v[6:7], off
.LBB65_1392:
	s_mov_b64 s[0:1], 0
.LBB65_1393:
	s_andn2_b64 vcc, exec, s[0:1]
	s_cbranch_vccnz .LBB65_1395
; %bb.1394:
	global_load_dword v3, v[6:7], off
	s_waitcnt vmcnt(0)
	v_cvt_f32_f16_sdwa v23, v3 dst_sel:DWORD dst_unused:UNUSED_PAD src0_sel:WORD_1
	v_cvt_f32_f16_e32 v22, v3
.LBB65_1395:
	s_mov_b64 s[0:1], 0
.LBB65_1396:
	s_andn2_b64 vcc, exec, s[0:1]
	s_cbranch_vccnz .LBB65_1408
; %bb.1397:
	s_cmp_lt_i32 s2, 6
	s_cbranch_scc1 .LBB65_1400
; %bb.1398:
	s_cmp_gt_i32 s2, 6
	s_cbranch_scc0 .LBB65_1401
; %bb.1399:
	global_load_dwordx2 v[8:9], v[6:7], off
	s_mov_b64 s[0:1], 0
	s_waitcnt vmcnt(0)
	v_cvt_f32_f64_e32 v22, v[8:9]
	s_branch .LBB65_1402
.LBB65_1400:
	s_mov_b64 s[0:1], -1
                                        ; implicit-def: $vgpr22
	s_branch .LBB65_1405
.LBB65_1401:
	s_mov_b64 s[0:1], -1
                                        ; implicit-def: $vgpr22
.LBB65_1402:
	s_andn2_b64 vcc, exec, s[0:1]
	s_cbranch_vccnz .LBB65_1404
; %bb.1403:
	global_load_dword v22, v[6:7], off
.LBB65_1404:
	s_mov_b64 s[0:1], 0
.LBB65_1405:
	s_andn2_b64 vcc, exec, s[0:1]
	s_cbranch_vccnz .LBB65_1407
; %bb.1406:
	global_load_ushort v3, v[6:7], off
	s_waitcnt vmcnt(0)
	v_cvt_f32_f16_e32 v22, v3
.LBB65_1407:
	s_waitcnt vmcnt(0)
	v_mov_b32_e32 v23, 0
.LBB65_1408:
	s_cbranch_execnz .LBB65_1386
.LBB65_1409:
	s_cmp_lt_i32 s2, 2
	s_cbranch_scc1 .LBB65_1413
; %bb.1410:
	s_cmp_lt_i32 s2, 3
	s_cbranch_scc1 .LBB65_1414
; %bb.1411:
	s_cmp_gt_i32 s2, 3
	s_cbranch_scc0 .LBB65_1415
; %bb.1412:
	global_load_dwordx2 v[8:9], v[6:7], off
	s_mov_b64 s[0:1], 0
	s_waitcnt vmcnt(0)
	v_xor_b32_e32 v5, v8, v9
	v_ffbh_i32_e32 v3, v9
	v_ashrrev_i32_e32 v5, 31, v5
	v_add_u32_e32 v3, -1, v3
	v_add_u32_e32 v5, 32, v5
	v_min_u32_e32 v3, v3, v5
	v_lshlrev_b64 v[8:9], v3, v[8:9]
	v_min_u32_e32 v5, 1, v8
	v_or_b32_e32 v5, v9, v5
	v_cvt_f32_i32_e32 v5, v5
	v_sub_u32_e32 v3, 32, v3
	v_ldexp_f32 v22, v5, v3
	s_branch .LBB65_1416
.LBB65_1413:
	s_mov_b64 s[0:1], -1
                                        ; implicit-def: $vgpr22
	s_branch .LBB65_1422
.LBB65_1414:
	s_mov_b64 s[0:1], -1
                                        ; implicit-def: $vgpr22
	s_branch .LBB65_1419
.LBB65_1415:
	s_mov_b64 s[0:1], -1
                                        ; implicit-def: $vgpr22
.LBB65_1416:
	s_andn2_b64 vcc, exec, s[0:1]
	s_cbranch_vccnz .LBB65_1418
; %bb.1417:
	global_load_dword v3, v[6:7], off
	s_waitcnt vmcnt(0)
	v_cvt_f32_i32_e32 v22, v3
.LBB65_1418:
	s_mov_b64 s[0:1], 0
.LBB65_1419:
	s_andn2_b64 vcc, exec, s[0:1]
	s_cbranch_vccnz .LBB65_1421
; %bb.1420:
	global_load_sshort v3, v[6:7], off
	s_waitcnt vmcnt(0)
	v_cvt_f32_i32_e32 v22, v3
.LBB65_1421:
	s_mov_b64 s[0:1], 0
.LBB65_1422:
	s_andn2_b64 vcc, exec, s[0:1]
	s_cbranch_vccnz .LBB65_1428
; %bb.1423:
	s_cmp_gt_i32 s2, 0
	s_cbranch_scc0 .LBB65_1425
; %bb.1424:
	global_load_sbyte v3, v[6:7], off
	s_mov_b64 s[0:1], 0
	s_waitcnt vmcnt(0)
	v_cvt_f32_i32_e32 v22, v3
	s_branch .LBB65_1426
.LBB65_1425:
	s_mov_b64 s[0:1], -1
                                        ; implicit-def: $vgpr22
.LBB65_1426:
	s_andn2_b64 vcc, exec, s[0:1]
	s_cbranch_vccnz .LBB65_1428
; %bb.1427:
	global_load_ubyte v3, v[6:7], off
	s_waitcnt vmcnt(0)
	v_cvt_f32_ubyte0_e32 v22, v3
.LBB65_1428:
	s_waitcnt vmcnt(0)
	v_mov_b32_e32 v23, 0
.LBB65_1429:
	v_mov_b32_e32 v5, 0
	s_cmp_lt_i32 s10, 11
	v_lshl_add_u64 v[4:5], s[22:23], 0, v[4:5]
	s_cbranch_scc1 .LBB65_1436
; %bb.1430:
	s_and_b32 s11, 0xffff, s10
	s_cmp_gt_i32 s11, 25
	s_mov_b64 s[2:3], 0
	s_cbranch_scc0 .LBB65_1438
; %bb.1431:
	s_cmp_gt_i32 s11, 28
	s_cbranch_scc0 .LBB65_1449
; %bb.1432:
	s_cmp_gt_i32 s11, 43
	;; [unrolled: 3-line block ×3, first 2 shown]
	s_cbranch_scc0 .LBB65_1454
; %bb.1434:
	s_cmp_eq_u32 s11, 46
	s_mov_b64 s[6:7], 0
	s_cbranch_scc0 .LBB65_1508
; %bb.1435:
	global_load_dword v3, v[4:5], off
	s_mov_b64 s[0:1], 0
	s_mov_b64 s[4:5], -1
	s_waitcnt vmcnt(0)
	v_and_b32_e32 v25, 0xffff0000, v3
	v_lshlrev_b32_e32 v24, 16, v3
	s_branch .LBB65_1509
.LBB65_1436:
	s_mov_b64 s[4:5], 0
                                        ; implicit-def: $vgpr25
	s_cbranch_execnz .LBB65_1443
.LBB65_1437:
	s_andn2_b64 vcc, exec, s[4:5]
	s_cbranch_vccnz .LBB65_2131
	s_branch .LBB65_1497
.LBB65_1438:
	s_mov_b64 s[4:5], 0
	s_mov_b64 s[0:1], 0
                                        ; implicit-def: $vgpr25
	s_cbranch_execnz .LBB65_1541
.LBB65_1439:
	s_and_b64 vcc, exec, s[0:1]
	s_cbranch_vccnz .LBB65_1574
.LBB65_1440:
	s_andn2_b64 vcc, exec, s[2:3]
	s_cbranch_vccnz .LBB65_1442
.LBB65_1441:
	global_load_ubyte v3, v[4:5], off
	v_mov_b32_e32 v25, 0
	s_mov_b64 s[4:5], -1
	s_waitcnt vmcnt(0)
	v_cmp_ne_u16_e32 vcc, 0, v3
	s_nop 1
	v_cndmask_b32_e64 v24, 0, 1.0, vcc
.LBB65_1442:
	s_branch .LBB65_1437
.LBB65_1443:
	s_and_b32 s2, 0xffff, s10
	s_cmp_lt_i32 s2, 5
	s_cbranch_scc1 .LBB65_1448
; %bb.1444:
	s_cmp_lt_i32 s2, 8
	s_cbranch_scc1 .LBB65_1450
; %bb.1445:
	;; [unrolled: 3-line block ×3, first 2 shown]
	s_cmp_gt_i32 s2, 9
	s_cbranch_scc0 .LBB65_1455
; %bb.1447:
	global_load_dwordx4 v[6:9], v[4:5], off
	s_mov_b64 s[0:1], 0
	s_waitcnt vmcnt(0)
	v_cvt_f32_f64_e32 v24, v[6:7]
	v_cvt_f32_f64_e32 v25, v[8:9]
	s_branch .LBB65_1456
.LBB65_1448:
	s_mov_b64 s[0:1], -1
                                        ; implicit-def: $vgpr25
	s_branch .LBB65_1475
.LBB65_1449:
	s_mov_b64 s[6:7], -1
	s_mov_b64 s[4:5], 0
	s_mov_b64 s[0:1], 0
                                        ; implicit-def: $vgpr25
	s_branch .LBB65_1522
.LBB65_1450:
	s_mov_b64 s[0:1], -1
                                        ; implicit-def: $vgpr25
	s_branch .LBB65_1462
.LBB65_1451:
	s_mov_b64 s[6:7], -1
	s_mov_b64 s[4:5], 0
	s_mov_b64 s[0:1], 0
                                        ; implicit-def: $vgpr25
	s_branch .LBB65_1516
.LBB65_1452:
	s_mov_b64 s[0:1], -1
                                        ; implicit-def: $vgpr25
	s_branch .LBB65_1459
.LBB65_1453:
	s_trap 2
	s_or_b64 s[18:19], s[18:19], exec
	s_cbranch_execz .LBB65_1378
	s_branch .LBB65_1379
.LBB65_1454:
	s_mov_b64 s[6:7], -1
	s_mov_b64 s[4:5], 0
	s_mov_b64 s[0:1], 0
                                        ; implicit-def: $vgpr25
	s_branch .LBB65_1509
.LBB65_1455:
	s_mov_b64 s[0:1], -1
                                        ; implicit-def: $vgpr25
.LBB65_1456:
	s_andn2_b64 vcc, exec, s[0:1]
	s_cbranch_vccnz .LBB65_1458
; %bb.1457:
	global_load_dwordx2 v[24:25], v[4:5], off
.LBB65_1458:
	s_mov_b64 s[0:1], 0
.LBB65_1459:
	s_andn2_b64 vcc, exec, s[0:1]
	s_cbranch_vccnz .LBB65_1461
; %bb.1460:
	global_load_dword v3, v[4:5], off
	s_waitcnt vmcnt(0)
	v_cvt_f32_f16_sdwa v25, v3 dst_sel:DWORD dst_unused:UNUSED_PAD src0_sel:WORD_1
	v_cvt_f32_f16_e32 v24, v3
.LBB65_1461:
	s_mov_b64 s[0:1], 0
.LBB65_1462:
	s_andn2_b64 vcc, exec, s[0:1]
	s_cbranch_vccnz .LBB65_1474
; %bb.1463:
	s_cmp_lt_i32 s2, 6
	s_cbranch_scc1 .LBB65_1466
; %bb.1464:
	s_cmp_gt_i32 s2, 6
	s_cbranch_scc0 .LBB65_1467
; %bb.1465:
	global_load_dwordx2 v[6:7], v[4:5], off
	s_mov_b64 s[0:1], 0
	s_waitcnt vmcnt(0)
	v_cvt_f32_f64_e32 v24, v[6:7]
	s_branch .LBB65_1468
.LBB65_1466:
	s_mov_b64 s[0:1], -1
                                        ; implicit-def: $vgpr24
	s_branch .LBB65_1471
.LBB65_1467:
	s_mov_b64 s[0:1], -1
                                        ; implicit-def: $vgpr24
.LBB65_1468:
	s_andn2_b64 vcc, exec, s[0:1]
	s_cbranch_vccnz .LBB65_1470
; %bb.1469:
	global_load_dword v24, v[4:5], off
.LBB65_1470:
	s_mov_b64 s[0:1], 0
.LBB65_1471:
	s_andn2_b64 vcc, exec, s[0:1]
	s_cbranch_vccnz .LBB65_1473
; %bb.1472:
	global_load_ushort v3, v[4:5], off
	s_waitcnt vmcnt(0)
	v_cvt_f32_f16_e32 v24, v3
.LBB65_1473:
	s_waitcnt vmcnt(0)
	v_mov_b32_e32 v25, 0
.LBB65_1474:
	s_mov_b64 s[0:1], 0
.LBB65_1475:
	s_andn2_b64 vcc, exec, s[0:1]
	s_cbranch_vccnz .LBB65_1496
; %bb.1476:
	s_cmp_lt_i32 s2, 2
	s_cbranch_scc1 .LBB65_1480
; %bb.1477:
	s_cmp_lt_i32 s2, 3
	s_cbranch_scc1 .LBB65_1481
; %bb.1478:
	s_cmp_gt_i32 s2, 3
	s_cbranch_scc0 .LBB65_1482
; %bb.1479:
	global_load_dwordx2 v[6:7], v[4:5], off
	s_mov_b64 s[0:1], 0
	s_waitcnt vmcnt(0)
	v_xor_b32_e32 v8, v6, v7
	v_ffbh_i32_e32 v3, v7
	v_ashrrev_i32_e32 v8, 31, v8
	v_add_u32_e32 v3, -1, v3
	v_add_u32_e32 v8, 32, v8
	v_min_u32_e32 v3, v3, v8
	v_lshlrev_b64 v[6:7], v3, v[6:7]
	v_min_u32_e32 v6, 1, v6
	v_or_b32_e32 v6, v7, v6
	v_cvt_f32_i32_e32 v6, v6
	v_sub_u32_e32 v3, 32, v3
	v_ldexp_f32 v24, v6, v3
	s_branch .LBB65_1483
.LBB65_1480:
	s_mov_b64 s[0:1], -1
                                        ; implicit-def: $vgpr24
	s_branch .LBB65_1489
.LBB65_1481:
	s_mov_b64 s[0:1], -1
                                        ; implicit-def: $vgpr24
	s_branch .LBB65_1486
.LBB65_1482:
	s_mov_b64 s[0:1], -1
                                        ; implicit-def: $vgpr24
.LBB65_1483:
	s_andn2_b64 vcc, exec, s[0:1]
	s_cbranch_vccnz .LBB65_1485
; %bb.1484:
	global_load_dword v3, v[4:5], off
	s_waitcnt vmcnt(0)
	v_cvt_f32_i32_e32 v24, v3
.LBB65_1485:
	s_mov_b64 s[0:1], 0
.LBB65_1486:
	s_andn2_b64 vcc, exec, s[0:1]
	s_cbranch_vccnz .LBB65_1488
; %bb.1487:
	global_load_sshort v3, v[4:5], off
	s_waitcnt vmcnt(0)
	v_cvt_f32_i32_e32 v24, v3
.LBB65_1488:
	s_mov_b64 s[0:1], 0
.LBB65_1489:
	s_andn2_b64 vcc, exec, s[0:1]
	s_cbranch_vccnz .LBB65_1495
; %bb.1490:
	s_cmp_gt_i32 s2, 0
	s_cbranch_scc0 .LBB65_1492
; %bb.1491:
	global_load_sbyte v3, v[4:5], off
	s_mov_b64 s[0:1], 0
	s_waitcnt vmcnt(0)
	v_cvt_f32_i32_e32 v24, v3
	s_branch .LBB65_1493
.LBB65_1492:
	s_mov_b64 s[0:1], -1
                                        ; implicit-def: $vgpr24
.LBB65_1493:
	s_andn2_b64 vcc, exec, s[0:1]
	s_cbranch_vccnz .LBB65_1495
; %bb.1494:
	global_load_ubyte v3, v[4:5], off
	s_waitcnt vmcnt(0)
	v_cvt_f32_ubyte0_e32 v24, v3
.LBB65_1495:
	s_waitcnt vmcnt(0)
	v_mov_b32_e32 v25, 0
.LBB65_1496:
.LBB65_1497:
	v_mov_b32_e32 v3, 0
	s_cmp_lt_i32 s10, 11
	v_lshl_add_u64 v[2:3], s[22:23], 0, v[2:3]
	s_cbranch_scc1 .LBB65_1504
; %bb.1498:
	s_and_b32 s11, 0xffff, s10
	s_cmp_gt_i32 s11, 25
	s_mov_b64 s[2:3], 0
	s_cbranch_scc0 .LBB65_1505
; %bb.1499:
	s_cmp_gt_i32 s11, 28
	s_cbranch_scc0 .LBB65_1506
; %bb.1500:
	s_cmp_gt_i32 s11, 43
	;; [unrolled: 3-line block ×3, first 2 shown]
	s_cbranch_scc0 .LBB65_1512
; %bb.1502:
	s_cmp_eq_u32 s11, 46
	s_mov_b64 s[6:7], 0
	s_cbranch_scc0 .LBB65_1575
; %bb.1503:
	global_load_dword v4, v[2:3], off
	s_mov_b64 s[0:1], 0
	s_mov_b64 s[4:5], -1
	s_waitcnt vmcnt(0)
	v_and_b32_e32 v27, 0xffff0000, v4
	v_lshlrev_b32_e32 v26, 16, v4
	s_branch .LBB65_1576
.LBB65_1504:
	s_mov_b64 s[0:1], -1
	s_mov_b64 s[4:5], 0
                                        ; implicit-def: $vgpr27
	s_branch .LBB65_1622
.LBB65_1505:
	s_mov_b64 s[6:7], -1
	s_mov_b64 s[4:5], 0
	s_mov_b64 s[0:1], 0
                                        ; implicit-def: $vgpr27
	s_branch .LBB65_1607
.LBB65_1506:
	s_mov_b64 s[6:7], -1
	s_mov_b64 s[4:5], 0
	s_mov_b64 s[0:1], 0
                                        ; implicit-def: $vgpr27
	s_branch .LBB65_1588
.LBB65_1507:
	s_mov_b64 s[6:7], -1
	s_mov_b64 s[4:5], 0
	s_mov_b64 s[0:1], 0
                                        ; implicit-def: $vgpr27
	s_branch .LBB65_1582
.LBB65_1508:
	s_mov_b64 s[0:1], -1
                                        ; implicit-def: $vgpr25
	s_mov_b64 s[4:5], 0
.LBB65_1509:
	s_and_b64 vcc, exec, s[6:7]
	s_cbranch_vccz .LBB65_1515
; %bb.1510:
	s_cmp_eq_u32 s11, 44
	s_cbranch_scc0 .LBB65_1513
; %bb.1511:
	global_load_ubyte v3, v[4:5], off
	s_movk_i32 s4, 0xff
	v_mov_b32_e32 v6, 0x7f800001
	v_mov_b32_e32 v7, 0x400000
	s_mov_b64 s[0:1], 0
	s_waitcnt vmcnt(0)
	v_lshlrev_b32_e32 v8, 23, v3
	v_cmp_ne_u32_e32 vcc, s4, v3
	s_mov_b64 s[4:5], -1
	s_nop 0
	v_cndmask_b32_e32 v6, v6, v8, vcc
	v_cmp_ne_u32_e32 vcc, 0, v3
	s_nop 1
	v_cndmask_b32_e32 v24, v7, v6, vcc
	s_branch .LBB65_1514
.LBB65_1512:
	s_mov_b64 s[6:7], -1
	s_mov_b64 s[4:5], 0
	s_mov_b64 s[0:1], 0
                                        ; implicit-def: $vgpr27
	s_branch .LBB65_1576
.LBB65_1513:
	s_mov_b64 s[0:1], -1
                                        ; implicit-def: $vgpr24
.LBB65_1514:
	v_mov_b32_e32 v25, 0
.LBB65_1515:
	s_mov_b64 s[6:7], 0
.LBB65_1516:
	s_and_b64 vcc, exec, s[6:7]
	s_cbranch_vccz .LBB65_1521
; %bb.1517:
	s_cmp_eq_u32 s11, 29
	s_cbranch_scc0 .LBB65_1519
; %bb.1518:
	global_load_dwordx2 v[6:7], v[4:5], off
	s_mov_b64 s[0:1], 0
	s_mov_b64 s[4:5], -1
	s_waitcnt vmcnt(0)
	v_ffbh_u32_e32 v3, v7
	v_min_u32_e32 v3, 32, v3
	v_lshlrev_b64 v[6:7], v3, v[6:7]
	v_min_u32_e32 v6, 1, v6
	v_or_b32_e32 v6, v7, v6
	v_cvt_f32_u32_e32 v6, v6
	v_sub_u32_e32 v3, 32, v3
	v_ldexp_f32 v24, v6, v3
	s_branch .LBB65_1520
.LBB65_1519:
	s_mov_b64 s[0:1], -1
                                        ; implicit-def: $vgpr24
.LBB65_1520:
	v_mov_b32_e32 v25, 0
.LBB65_1521:
	s_mov_b64 s[6:7], 0
.LBB65_1522:
	s_and_b64 vcc, exec, s[6:7]
	s_cbranch_vccz .LBB65_1540
; %bb.1523:
	s_cmp_lt_i32 s11, 27
	s_cbranch_scc1 .LBB65_1526
; %bb.1524:
	s_cmp_gt_i32 s11, 27
	s_cbranch_scc0 .LBB65_1527
; %bb.1525:
	global_load_dword v3, v[4:5], off
	s_mov_b64 s[4:5], 0
	s_waitcnt vmcnt(0)
	v_cvt_f32_u32_e32 v24, v3
	s_branch .LBB65_1528
.LBB65_1526:
	s_mov_b64 s[4:5], -1
                                        ; implicit-def: $vgpr24
	s_branch .LBB65_1531
.LBB65_1527:
	s_mov_b64 s[4:5], -1
                                        ; implicit-def: $vgpr24
.LBB65_1528:
	s_andn2_b64 vcc, exec, s[4:5]
	s_cbranch_vccnz .LBB65_1530
; %bb.1529:
	global_load_ushort v3, v[4:5], off
	s_waitcnt vmcnt(0)
	v_cvt_f32_u32_e32 v24, v3
.LBB65_1530:
	s_mov_b64 s[4:5], 0
.LBB65_1531:
	s_andn2_b64 vcc, exec, s[4:5]
	s_cbranch_vccnz .LBB65_1539
; %bb.1532:
	global_load_ubyte v3, v[4:5], off
	s_movk_i32 s4, 0x7f
	s_waitcnt vmcnt(0)
	v_cmp_lt_i16_e32 vcc, s4, v3
	s_mov_b64 s[4:5], 0
	s_and_saveexec_b64 s[6:7], vcc
	s_xor_b64 s[6:7], exec, s[6:7]
	s_cbranch_execz .LBB65_1552
; %bb.1533:
	s_movk_i32 s4, 0x80
	v_cmp_eq_u16_e32 vcc, s4, v3
	s_mov_b64 s[4:5], -1
	s_and_saveexec_b64 s[8:9], vcc
; %bb.1534:
	s_xor_b64 s[4:5], exec, -1
; %bb.1535:
	s_or_b64 exec, exec, s[8:9]
	s_and_b64 s[4:5], s[4:5], exec
	s_or_saveexec_b64 s[6:7], s[6:7]
	v_mov_b32_e32 v24, 0x7f800001
	s_xor_b64 exec, exec, s[6:7]
	s_cbranch_execnz .LBB65_1553
.LBB65_1536:
	s_or_b64 exec, exec, s[6:7]
	s_and_saveexec_b64 s[6:7], s[4:5]
	s_cbranch_execz .LBB65_1538
.LBB65_1537:
	v_lshlrev_b32_e32 v6, 24, v3
	v_and_b32_e32 v3, 0xffff, v3
	v_and_b32_e32 v7, 7, v3
	v_ffbh_u32_e32 v9, v7
	v_min_u32_e32 v9, 32, v9
	v_subrev_u32_e32 v10, 28, v9
	v_bfe_u32 v8, v3, 3, 4
	v_lshlrev_b32_e32 v3, v10, v3
	v_sub_u32_e32 v9, 29, v9
	v_and_b32_e32 v3, 7, v3
	v_cmp_eq_u32_e32 vcc, 0, v8
	v_and_b32_e32 v6, 0x80000000, v6
	s_nop 0
	v_cndmask_b32_e32 v8, v8, v9, vcc
	v_cndmask_b32_e32 v3, v7, v3, vcc
	v_mov_b32_e32 v7, 0x3b800000
	v_lshlrev_b32_e32 v3, 20, v3
	v_lshl_add_u32 v7, v8, 23, v7
	v_or3_b32 v24, v6, v7, v3
.LBB65_1538:
	s_or_b64 exec, exec, s[6:7]
.LBB65_1539:
	s_mov_b64 s[4:5], -1
	v_mov_b32_e32 v25, 0
.LBB65_1540:
	s_branch .LBB65_1439
.LBB65_1541:
	s_cmp_gt_i32 s11, 22
	s_cbranch_scc0 .LBB65_1551
; %bb.1542:
	s_cmp_lt_i32 s11, 24
	s_cbranch_scc1 .LBB65_1554
; %bb.1543:
	s_cmp_gt_i32 s11, 24
	s_cbranch_scc0 .LBB65_1555
; %bb.1544:
	global_load_ubyte v3, v[4:5], off
	s_movk_i32 s2, 0x7f
	s_waitcnt vmcnt(0)
	v_cmp_lt_i16_e32 vcc, s2, v3
	s_mov_b64 s[2:3], 0
	s_and_saveexec_b64 s[4:5], vcc
	s_xor_b64 s[4:5], exec, s[4:5]
	s_cbranch_execz .LBB65_1567
; %bb.1545:
	s_movk_i32 s2, 0x80
	v_cmp_eq_u16_e32 vcc, s2, v3
	s_mov_b64 s[2:3], -1
	s_and_saveexec_b64 s[6:7], vcc
; %bb.1546:
	s_xor_b64 s[2:3], exec, -1
; %bb.1547:
	s_or_b64 exec, exec, s[6:7]
	s_and_b64 s[2:3], s[2:3], exec
	s_or_saveexec_b64 s[4:5], s[4:5]
	v_mov_b32_e32 v24, 0x7f800001
	s_xor_b64 exec, exec, s[4:5]
	s_cbranch_execnz .LBB65_1568
.LBB65_1548:
	s_or_b64 exec, exec, s[4:5]
	s_and_saveexec_b64 s[4:5], s[2:3]
	s_cbranch_execz .LBB65_1550
.LBB65_1549:
	v_lshlrev_b32_e32 v6, 24, v3
	v_and_b32_e32 v3, 0xffff, v3
	v_and_b32_e32 v7, 3, v3
	v_ffbh_u32_e32 v9, v7
	v_min_u32_e32 v9, 32, v9
	v_subrev_u32_e32 v10, 29, v9
	v_bfe_u32 v8, v3, 2, 5
	v_lshlrev_b32_e32 v3, v10, v3
	v_sub_u32_e32 v9, 30, v9
	v_and_b32_e32 v3, 3, v3
	v_cmp_eq_u32_e32 vcc, 0, v8
	v_and_b32_e32 v6, 0x80000000, v6
	s_nop 0
	v_cndmask_b32_e32 v8, v8, v9, vcc
	v_cndmask_b32_e32 v3, v7, v3, vcc
	v_mov_b32_e32 v7, 0x37800000
	v_lshlrev_b32_e32 v3, 21, v3
	v_lshl_add_u32 v7, v8, 23, v7
	v_or3_b32 v24, v6, v7, v3
.LBB65_1550:
	s_or_b64 exec, exec, s[4:5]
	s_mov_b64 s[2:3], 0
	s_branch .LBB65_1556
.LBB65_1551:
	s_mov_b64 s[2:3], -1
                                        ; implicit-def: $vgpr24
	s_branch .LBB65_1562
.LBB65_1552:
	s_or_saveexec_b64 s[6:7], s[6:7]
	v_mov_b32_e32 v24, 0x7f800001
	s_xor_b64 exec, exec, s[6:7]
	s_cbranch_execz .LBB65_1536
.LBB65_1553:
	v_cmp_ne_u16_e32 vcc, 0, v3
	s_andn2_b64 s[4:5], s[4:5], exec
	s_and_b64 s[8:9], vcc, exec
	v_mov_b32_e32 v24, 0
	s_or_b64 s[4:5], s[4:5], s[8:9]
	s_or_b64 exec, exec, s[6:7]
	s_and_saveexec_b64 s[6:7], s[4:5]
	s_cbranch_execnz .LBB65_1537
	s_branch .LBB65_1538
.LBB65_1554:
	s_mov_b64 s[2:3], -1
                                        ; implicit-def: $vgpr24
	s_branch .LBB65_1559
.LBB65_1555:
	s_mov_b64 s[2:3], -1
                                        ; implicit-def: $vgpr24
.LBB65_1556:
	s_and_b64 vcc, exec, s[2:3]
	s_cbranch_vccz .LBB65_1558
; %bb.1557:
	global_load_ubyte v3, v[4:5], off
	s_mov_b32 s2, 0x7f800000
	s_waitcnt vmcnt(0)
	v_lshlrev_b32_e32 v3, 24, v3
	v_and_b32_e32 v6, 0x7f000000, v3
	v_ffbh_u32_e32 v7, v6
	v_min_u32_e32 v7, 32, v7
	v_sub_u32_e64 v7, v7, 4 clamp
	v_lshlrev_b32_e32 v9, v7, v6
	v_lshlrev_b32_e32 v7, 23, v7
	v_lshrrev_b32_e32 v9, 4, v9
	v_add_u32_e32 v8, 0x1000000, v6
	v_sub_u32_e32 v7, v9, v7
	v_ashrrev_i32_e32 v8, 8, v8
	v_add_u32_e32 v7, 0x3c000000, v7
	v_and_or_b32 v7, v8, s2, v7
	v_cmp_ne_u32_e32 vcc, 0, v6
	s_brev_b32 s2, 1
	s_nop 0
	v_cndmask_b32_e32 v6, 0, v7, vcc
	v_and_or_b32 v24, v3, s2, v6
.LBB65_1558:
	s_mov_b64 s[2:3], 0
.LBB65_1559:
	s_andn2_b64 vcc, exec, s[2:3]
	s_cbranch_vccnz .LBB65_1561
; %bb.1560:
	global_load_ubyte v3, v[4:5], off
	s_movk_i32 s2, 0x7f00
	s_brev_b32 s3, 16
	s_waitcnt vmcnt(0)
	v_lshlrev_b16_e32 v6, 8, v3
	v_lshlrev_b32_e32 v3, 25, v3
	v_lshrrev_b32_e32 v7, 4, v3
	v_and_or_b32 v8, v6, s2, 0.5
	v_or_b32_e32 v7, 0x70000000, v7
	v_add_f32_e32 v8, -0.5, v8
	v_mul_f32_e32 v7, 0x7800000, v7
	v_cmp_gt_u32_e32 vcc, s3, v3
	v_bfe_i32 v6, v6, 0, 16
	s_brev_b32 s2, 1
	v_cndmask_b32_e32 v3, v7, v8, vcc
	v_and_or_b32 v24, v6, s2, v3
.LBB65_1561:
	s_mov_b64 s[2:3], 0
	s_mov_b64 s[4:5], -1
.LBB65_1562:
	s_andn2_b64 vcc, exec, s[2:3]
	s_mov_b64 s[2:3], 0
	s_cbranch_vccnz .LBB65_1573
; %bb.1563:
	s_cmp_gt_i32 s11, 14
	s_cbranch_scc0 .LBB65_1566
; %bb.1564:
	s_cmp_eq_u32 s11, 15
	s_cbranch_scc0 .LBB65_1569
; %bb.1565:
	global_load_ushort v3, v[4:5], off
	s_mov_b64 s[0:1], 0
	s_mov_b64 s[4:5], -1
	s_waitcnt vmcnt(0)
	v_lshlrev_b32_e32 v24, 16, v3
	s_branch .LBB65_1570
.LBB65_1566:
	s_mov_b64 s[6:7], -1
                                        ; implicit-def: $vgpr24
	s_branch .LBB65_1571
.LBB65_1567:
	s_or_saveexec_b64 s[4:5], s[4:5]
	v_mov_b32_e32 v24, 0x7f800001
	s_xor_b64 exec, exec, s[4:5]
	s_cbranch_execz .LBB65_1548
.LBB65_1568:
	v_cmp_ne_u16_e32 vcc, 0, v3
	s_andn2_b64 s[2:3], s[2:3], exec
	s_and_b64 s[6:7], vcc, exec
	v_mov_b32_e32 v24, 0
	s_or_b64 s[2:3], s[2:3], s[6:7]
	s_or_b64 exec, exec, s[4:5]
	s_and_saveexec_b64 s[4:5], s[2:3]
	s_cbranch_execnz .LBB65_1549
	s_branch .LBB65_1550
.LBB65_1569:
	s_mov_b64 s[0:1], -1
                                        ; implicit-def: $vgpr24
.LBB65_1570:
	s_mov_b64 s[6:7], 0
.LBB65_1571:
	s_and_b64 vcc, exec, s[6:7]
	s_cbranch_vccz .LBB65_1573
; %bb.1572:
	s_cmp_lg_u32 s11, 11
	s_mov_b64 s[2:3], -1
	s_cselect_b64 s[0:1], -1, 0
.LBB65_1573:
	v_mov_b32_e32 v25, 0
	s_and_b64 vcc, exec, s[0:1]
	s_cbranch_vccz .LBB65_1440
.LBB65_1574:
	s_trap 2
	s_or_b64 s[18:19], s[18:19], exec
	s_cbranch_execz .LBB65_1441
	s_branch .LBB65_1442
.LBB65_1575:
	s_mov_b64 s[0:1], -1
                                        ; implicit-def: $vgpr27
	s_mov_b64 s[4:5], 0
.LBB65_1576:
	s_and_b64 vcc, exec, s[6:7]
	s_cbranch_vccz .LBB65_1581
; %bb.1577:
	s_cmp_eq_u32 s11, 44
	s_cbranch_scc0 .LBB65_1579
; %bb.1578:
	global_load_ubyte v4, v[2:3], off
	s_movk_i32 s4, 0xff
	v_mov_b32_e32 v5, 0x7f800001
	v_mov_b32_e32 v6, 0x400000
	s_mov_b64 s[0:1], 0
	s_waitcnt vmcnt(0)
	v_lshlrev_b32_e32 v7, 23, v4
	v_cmp_ne_u32_e32 vcc, s4, v4
	s_mov_b64 s[4:5], -1
	s_nop 0
	v_cndmask_b32_e32 v5, v5, v7, vcc
	v_cmp_ne_u32_e32 vcc, 0, v4
	s_nop 1
	v_cndmask_b32_e32 v26, v6, v5, vcc
	s_branch .LBB65_1580
.LBB65_1579:
	s_mov_b64 s[0:1], -1
                                        ; implicit-def: $vgpr26
.LBB65_1580:
	v_mov_b32_e32 v27, 0
.LBB65_1581:
	s_mov_b64 s[6:7], 0
.LBB65_1582:
	s_and_b64 vcc, exec, s[6:7]
	s_cbranch_vccz .LBB65_1587
; %bb.1583:
	s_cmp_eq_u32 s11, 29
	s_cbranch_scc0 .LBB65_1585
; %bb.1584:
	global_load_dwordx2 v[4:5], v[2:3], off
	s_mov_b64 s[0:1], 0
	s_mov_b64 s[4:5], -1
	s_waitcnt vmcnt(0)
	v_ffbh_u32_e32 v6, v5
	v_min_u32_e32 v6, 32, v6
	v_lshlrev_b64 v[4:5], v6, v[4:5]
	v_min_u32_e32 v4, 1, v4
	v_or_b32_e32 v4, v5, v4
	v_cvt_f32_u32_e32 v4, v4
	v_sub_u32_e32 v5, 32, v6
	v_ldexp_f32 v26, v4, v5
	s_branch .LBB65_1586
.LBB65_1585:
	s_mov_b64 s[0:1], -1
                                        ; implicit-def: $vgpr26
.LBB65_1586:
	v_mov_b32_e32 v27, 0
.LBB65_1587:
	s_mov_b64 s[6:7], 0
.LBB65_1588:
	s_and_b64 vcc, exec, s[6:7]
	s_cbranch_vccz .LBB65_1606
; %bb.1589:
	s_cmp_lt_i32 s11, 27
	s_cbranch_scc1 .LBB65_1592
; %bb.1590:
	s_cmp_gt_i32 s11, 27
	s_cbranch_scc0 .LBB65_1593
; %bb.1591:
	global_load_dword v4, v[2:3], off
	s_mov_b64 s[4:5], 0
	s_waitcnt vmcnt(0)
	v_cvt_f32_u32_e32 v26, v4
	s_branch .LBB65_1594
.LBB65_1592:
	s_mov_b64 s[4:5], -1
                                        ; implicit-def: $vgpr26
	s_branch .LBB65_1597
.LBB65_1593:
	s_mov_b64 s[4:5], -1
                                        ; implicit-def: $vgpr26
.LBB65_1594:
	s_andn2_b64 vcc, exec, s[4:5]
	s_cbranch_vccnz .LBB65_1596
; %bb.1595:
	global_load_ushort v4, v[2:3], off
	s_waitcnt vmcnt(0)
	v_cvt_f32_u32_e32 v26, v4
.LBB65_1596:
	s_mov_b64 s[4:5], 0
.LBB65_1597:
	s_andn2_b64 vcc, exec, s[4:5]
	s_cbranch_vccnz .LBB65_1605
; %bb.1598:
	global_load_ubyte v4, v[2:3], off
	s_movk_i32 s4, 0x7f
	s_waitcnt vmcnt(0)
	v_cmp_lt_i16_e32 vcc, s4, v4
	s_mov_b64 s[4:5], 0
	s_and_saveexec_b64 s[6:7], vcc
	s_xor_b64 s[6:7], exec, s[6:7]
	s_cbranch_execz .LBB65_1631
; %bb.1599:
	s_movk_i32 s4, 0x80
	v_cmp_eq_u16_e32 vcc, s4, v4
	s_mov_b64 s[4:5], -1
	s_and_saveexec_b64 s[8:9], vcc
; %bb.1600:
	s_xor_b64 s[4:5], exec, -1
; %bb.1601:
	s_or_b64 exec, exec, s[8:9]
	s_and_b64 s[4:5], s[4:5], exec
	s_or_saveexec_b64 s[6:7], s[6:7]
	v_mov_b32_e32 v26, 0x7f800001
	s_xor_b64 exec, exec, s[6:7]
	s_cbranch_execnz .LBB65_1632
.LBB65_1602:
	s_or_b64 exec, exec, s[6:7]
	s_and_saveexec_b64 s[6:7], s[4:5]
	s_cbranch_execz .LBB65_1604
.LBB65_1603:
	v_lshlrev_b32_e32 v5, 24, v4
	v_and_b32_e32 v4, 0xffff, v4
	v_and_b32_e32 v6, 7, v4
	v_ffbh_u32_e32 v8, v6
	v_min_u32_e32 v8, 32, v8
	v_subrev_u32_e32 v9, 28, v8
	v_bfe_u32 v7, v4, 3, 4
	v_lshlrev_b32_e32 v4, v9, v4
	v_sub_u32_e32 v8, 29, v8
	v_and_b32_e32 v4, 7, v4
	v_cmp_eq_u32_e32 vcc, 0, v7
	v_and_b32_e32 v5, 0x80000000, v5
	s_nop 0
	v_cndmask_b32_e32 v7, v7, v8, vcc
	v_cndmask_b32_e32 v4, v6, v4, vcc
	v_mov_b32_e32 v6, 0x3b800000
	v_lshlrev_b32_e32 v4, 20, v4
	v_lshl_add_u32 v6, v7, 23, v6
	v_or3_b32 v26, v5, v6, v4
.LBB65_1604:
	s_or_b64 exec, exec, s[6:7]
.LBB65_1605:
	s_mov_b64 s[4:5], -1
	v_mov_b32_e32 v27, 0
.LBB65_1606:
	s_mov_b64 s[6:7], 0
.LBB65_1607:
	s_and_b64 vcc, exec, s[6:7]
	s_cbranch_vccz .LBB65_1618
; %bb.1608:
	s_cmp_gt_i32 s11, 22
	s_cbranch_scc0 .LBB65_1629
; %bb.1609:
	s_cmp_lt_i32 s11, 24
	s_cbranch_scc1 .LBB65_1633
; %bb.1610:
	s_cmp_gt_i32 s11, 24
	s_cbranch_scc0 .LBB65_1635
; %bb.1611:
	global_load_ubyte v4, v[2:3], off
	s_movk_i32 s2, 0x7f
	s_waitcnt vmcnt(0)
	v_cmp_lt_i16_e32 vcc, s2, v4
	s_mov_b64 s[2:3], 0
	s_and_saveexec_b64 s[4:5], vcc
	s_xor_b64 s[4:5], exec, s[4:5]
	s_cbranch_execz .LBB65_1647
; %bb.1612:
	s_movk_i32 s2, 0x80
	v_cmp_eq_u16_e32 vcc, s2, v4
	s_mov_b64 s[2:3], -1
	s_and_saveexec_b64 s[6:7], vcc
; %bb.1613:
	s_xor_b64 s[2:3], exec, -1
; %bb.1614:
	s_or_b64 exec, exec, s[6:7]
	s_and_b64 s[2:3], s[2:3], exec
	s_or_saveexec_b64 s[4:5], s[4:5]
	v_mov_b32_e32 v26, 0x7f800001
	s_xor_b64 exec, exec, s[4:5]
	s_cbranch_execnz .LBB65_1648
.LBB65_1615:
	s_or_b64 exec, exec, s[4:5]
	s_and_saveexec_b64 s[4:5], s[2:3]
	s_cbranch_execz .LBB65_1617
.LBB65_1616:
	v_lshlrev_b32_e32 v5, 24, v4
	v_and_b32_e32 v4, 0xffff, v4
	v_and_b32_e32 v6, 3, v4
	v_ffbh_u32_e32 v8, v6
	v_min_u32_e32 v8, 32, v8
	v_subrev_u32_e32 v9, 29, v8
	v_bfe_u32 v7, v4, 2, 5
	v_lshlrev_b32_e32 v4, v9, v4
	v_sub_u32_e32 v8, 30, v8
	v_and_b32_e32 v4, 3, v4
	v_cmp_eq_u32_e32 vcc, 0, v7
	v_and_b32_e32 v5, 0x80000000, v5
	s_nop 0
	v_cndmask_b32_e32 v7, v7, v8, vcc
	v_cndmask_b32_e32 v4, v6, v4, vcc
	v_mov_b32_e32 v6, 0x37800000
	v_lshlrev_b32_e32 v4, 21, v4
	v_lshl_add_u32 v6, v7, 23, v6
	v_or3_b32 v26, v5, v6, v4
.LBB65_1617:
	s_or_b64 exec, exec, s[4:5]
	s_mov_b64 s[2:3], 0
	s_branch .LBB65_1636
.LBB65_1618:
	s_and_b64 vcc, exec, s[0:1]
	s_cbranch_vccnz .LBB65_1666
.LBB65_1619:
	s_andn2_b64 vcc, exec, s[2:3]
	s_cbranch_vccnz .LBB65_1621
.LBB65_1620:
	global_load_ubyte v4, v[2:3], off
	v_mov_b32_e32 v27, 0
	s_mov_b64 s[4:5], -1
	s_waitcnt vmcnt(0)
	v_cmp_ne_u16_e32 vcc, 0, v4
	s_nop 1
	v_cndmask_b32_e64 v26, 0, 1.0, vcc
.LBB65_1621:
	s_mov_b64 s[0:1], 0
.LBB65_1622:
	s_and_b64 vcc, exec, s[0:1]
	s_cbranch_vccz .LBB65_1697
; %bb.1623:
	s_and_b32 s2, 0xffff, s10
	s_cmp_lt_i32 s2, 5
	s_cbranch_scc1 .LBB65_1628
; %bb.1624:
	s_cmp_lt_i32 s2, 8
	s_cbranch_scc1 .LBB65_1630
; %bb.1625:
	;; [unrolled: 3-line block ×3, first 2 shown]
	s_cmp_gt_i32 s2, 9
	s_cbranch_scc0 .LBB65_1649
; %bb.1627:
	global_load_dwordx4 v[4:7], v[2:3], off
	s_mov_b64 s[0:1], 0
	s_waitcnt vmcnt(0)
	v_cvt_f32_f64_e32 v26, v[4:5]
	v_cvt_f32_f64_e32 v27, v[6:7]
	s_branch .LBB65_1650
.LBB65_1628:
	s_mov_b64 s[0:1], -1
                                        ; implicit-def: $vgpr27
	s_branch .LBB65_1675
.LBB65_1629:
	s_mov_b64 s[2:3], -1
                                        ; implicit-def: $vgpr26
	s_branch .LBB65_1642
.LBB65_1630:
	s_mov_b64 s[0:1], -1
                                        ; implicit-def: $vgpr27
	s_branch .LBB65_1656
.LBB65_1631:
	s_or_saveexec_b64 s[6:7], s[6:7]
	v_mov_b32_e32 v26, 0x7f800001
	s_xor_b64 exec, exec, s[6:7]
	s_cbranch_execz .LBB65_1602
.LBB65_1632:
	v_cmp_ne_u16_e32 vcc, 0, v4
	s_andn2_b64 s[4:5], s[4:5], exec
	s_and_b64 s[8:9], vcc, exec
	v_mov_b32_e32 v26, 0
	s_or_b64 s[4:5], s[4:5], s[8:9]
	s_or_b64 exec, exec, s[6:7]
	s_and_saveexec_b64 s[6:7], s[4:5]
	s_cbranch_execnz .LBB65_1603
	s_branch .LBB65_1604
.LBB65_1633:
	s_mov_b64 s[2:3], -1
                                        ; implicit-def: $vgpr26
	s_branch .LBB65_1639
.LBB65_1634:
	s_mov_b64 s[0:1], -1
                                        ; implicit-def: $vgpr27
	s_branch .LBB65_1653
.LBB65_1635:
	s_mov_b64 s[2:3], -1
                                        ; implicit-def: $vgpr26
.LBB65_1636:
	s_and_b64 vcc, exec, s[2:3]
	s_cbranch_vccz .LBB65_1638
; %bb.1637:
	global_load_ubyte v4, v[2:3], off
	s_mov_b32 s2, 0x7f800000
	s_waitcnt vmcnt(0)
	v_lshlrev_b32_e32 v4, 24, v4
	v_and_b32_e32 v5, 0x7f000000, v4
	v_ffbh_u32_e32 v6, v5
	v_min_u32_e32 v6, 32, v6
	v_sub_u32_e64 v6, v6, 4 clamp
	v_lshlrev_b32_e32 v8, v6, v5
	v_lshlrev_b32_e32 v6, 23, v6
	v_lshrrev_b32_e32 v8, 4, v8
	v_add_u32_e32 v7, 0x1000000, v5
	v_sub_u32_e32 v6, v8, v6
	v_ashrrev_i32_e32 v7, 8, v7
	v_add_u32_e32 v6, 0x3c000000, v6
	v_and_or_b32 v6, v7, s2, v6
	v_cmp_ne_u32_e32 vcc, 0, v5
	s_brev_b32 s2, 1
	s_nop 0
	v_cndmask_b32_e32 v5, 0, v6, vcc
	v_and_or_b32 v26, v4, s2, v5
.LBB65_1638:
	s_mov_b64 s[2:3], 0
.LBB65_1639:
	s_andn2_b64 vcc, exec, s[2:3]
	s_cbranch_vccnz .LBB65_1641
; %bb.1640:
	global_load_ubyte v4, v[2:3], off
	s_movk_i32 s2, 0x7f00
	s_brev_b32 s3, 16
	s_waitcnt vmcnt(0)
	v_lshlrev_b16_e32 v5, 8, v4
	v_lshlrev_b32_e32 v4, 25, v4
	v_lshrrev_b32_e32 v6, 4, v4
	v_and_or_b32 v7, v5, s2, 0.5
	v_or_b32_e32 v6, 0x70000000, v6
	v_add_f32_e32 v7, -0.5, v7
	v_mul_f32_e32 v6, 0x7800000, v6
	v_cmp_gt_u32_e32 vcc, s3, v4
	v_bfe_i32 v5, v5, 0, 16
	s_brev_b32 s2, 1
	v_cndmask_b32_e32 v4, v6, v7, vcc
	v_and_or_b32 v26, v5, s2, v4
.LBB65_1641:
	s_mov_b64 s[2:3], 0
	s_mov_b64 s[4:5], -1
.LBB65_1642:
	s_andn2_b64 vcc, exec, s[2:3]
	s_mov_b64 s[2:3], 0
	s_cbranch_vccnz .LBB65_1665
; %bb.1643:
	s_cmp_gt_i32 s11, 14
	s_cbranch_scc0 .LBB65_1646
; %bb.1644:
	s_cmp_eq_u32 s11, 15
	s_cbranch_scc0 .LBB65_1661
; %bb.1645:
	global_load_ushort v4, v[2:3], off
	s_mov_b64 s[0:1], 0
	s_mov_b64 s[4:5], -1
	s_waitcnt vmcnt(0)
	v_lshlrev_b32_e32 v26, 16, v4
	s_branch .LBB65_1662
.LBB65_1646:
	s_mov_b64 s[6:7], -1
                                        ; implicit-def: $vgpr26
	s_branch .LBB65_1663
.LBB65_1647:
	s_or_saveexec_b64 s[4:5], s[4:5]
	v_mov_b32_e32 v26, 0x7f800001
	s_xor_b64 exec, exec, s[4:5]
	s_cbranch_execz .LBB65_1615
.LBB65_1648:
	v_cmp_ne_u16_e32 vcc, 0, v4
	s_andn2_b64 s[2:3], s[2:3], exec
	s_and_b64 s[6:7], vcc, exec
	v_mov_b32_e32 v26, 0
	s_or_b64 s[2:3], s[2:3], s[6:7]
	s_or_b64 exec, exec, s[4:5]
	s_and_saveexec_b64 s[4:5], s[2:3]
	s_cbranch_execnz .LBB65_1616
	s_branch .LBB65_1617
.LBB65_1649:
	s_mov_b64 s[0:1], -1
                                        ; implicit-def: $vgpr27
.LBB65_1650:
	s_andn2_b64 vcc, exec, s[0:1]
	s_cbranch_vccnz .LBB65_1652
; %bb.1651:
	global_load_dwordx2 v[26:27], v[2:3], off
.LBB65_1652:
	s_mov_b64 s[0:1], 0
.LBB65_1653:
	s_andn2_b64 vcc, exec, s[0:1]
	s_cbranch_vccnz .LBB65_1655
; %bb.1654:
	global_load_dword v4, v[2:3], off
	s_waitcnt vmcnt(0)
	v_cvt_f32_f16_sdwa v27, v4 dst_sel:DWORD dst_unused:UNUSED_PAD src0_sel:WORD_1
	v_cvt_f32_f16_e32 v26, v4
.LBB65_1655:
	s_mov_b64 s[0:1], 0
.LBB65_1656:
	s_andn2_b64 vcc, exec, s[0:1]
	s_cbranch_vccnz .LBB65_1674
; %bb.1657:
	s_cmp_lt_i32 s2, 6
	s_cbranch_scc1 .LBB65_1660
; %bb.1658:
	s_cmp_gt_i32 s2, 6
	s_cbranch_scc0 .LBB65_1667
; %bb.1659:
	global_load_dwordx2 v[4:5], v[2:3], off
	s_mov_b64 s[0:1], 0
	s_waitcnt vmcnt(0)
	v_cvt_f32_f64_e32 v26, v[4:5]
	s_branch .LBB65_1668
.LBB65_1660:
	s_mov_b64 s[0:1], -1
                                        ; implicit-def: $vgpr26
	s_branch .LBB65_1671
.LBB65_1661:
	s_mov_b64 s[0:1], -1
                                        ; implicit-def: $vgpr26
.LBB65_1662:
	s_mov_b64 s[6:7], 0
.LBB65_1663:
	s_and_b64 vcc, exec, s[6:7]
	s_cbranch_vccz .LBB65_1665
; %bb.1664:
	s_cmp_lg_u32 s11, 11
	s_mov_b64 s[2:3], -1
	s_cselect_b64 s[0:1], -1, 0
.LBB65_1665:
	v_mov_b32_e32 v27, 0
	s_and_b64 vcc, exec, s[0:1]
	s_cbranch_vccz .LBB65_1619
.LBB65_1666:
	s_trap 2
	s_or_b64 s[18:19], s[18:19], exec
	s_cbranch_execz .LBB65_1620
	s_branch .LBB65_1621
.LBB65_1667:
	s_mov_b64 s[0:1], -1
                                        ; implicit-def: $vgpr26
.LBB65_1668:
	s_andn2_b64 vcc, exec, s[0:1]
	s_cbranch_vccnz .LBB65_1670
; %bb.1669:
	global_load_dword v26, v[2:3], off
.LBB65_1670:
	s_mov_b64 s[0:1], 0
.LBB65_1671:
	s_andn2_b64 vcc, exec, s[0:1]
	s_cbranch_vccnz .LBB65_1673
; %bb.1672:
	global_load_ushort v4, v[2:3], off
	s_waitcnt vmcnt(0)
	v_cvt_f32_f16_e32 v26, v4
.LBB65_1673:
	s_waitcnt vmcnt(0)
	v_mov_b32_e32 v27, 0
.LBB65_1674:
	s_mov_b64 s[0:1], 0
.LBB65_1675:
	s_andn2_b64 vcc, exec, s[0:1]
	s_cbranch_vccnz .LBB65_1696
; %bb.1676:
	s_cmp_lt_i32 s2, 2
	s_cbranch_scc1 .LBB65_1680
; %bb.1677:
	s_cmp_lt_i32 s2, 3
	s_cbranch_scc1 .LBB65_1681
; %bb.1678:
	s_cmp_gt_i32 s2, 3
	s_cbranch_scc0 .LBB65_1682
; %bb.1679:
	global_load_dwordx2 v[4:5], v[2:3], off
	s_mov_b64 s[0:1], 0
	s_waitcnt vmcnt(0)
	v_xor_b32_e32 v7, v4, v5
	v_ffbh_i32_e32 v6, v5
	v_ashrrev_i32_e32 v7, 31, v7
	v_add_u32_e32 v6, -1, v6
	v_add_u32_e32 v7, 32, v7
	v_min_u32_e32 v6, v6, v7
	v_lshlrev_b64 v[4:5], v6, v[4:5]
	v_min_u32_e32 v4, 1, v4
	v_or_b32_e32 v4, v5, v4
	v_cvt_f32_i32_e32 v4, v4
	v_sub_u32_e32 v5, 32, v6
	v_ldexp_f32 v26, v4, v5
	s_branch .LBB65_1683
.LBB65_1680:
	s_mov_b64 s[0:1], -1
                                        ; implicit-def: $vgpr26
	s_branch .LBB65_1689
.LBB65_1681:
	s_mov_b64 s[0:1], -1
                                        ; implicit-def: $vgpr26
	s_branch .LBB65_1686
.LBB65_1682:
	s_mov_b64 s[0:1], -1
                                        ; implicit-def: $vgpr26
.LBB65_1683:
	s_andn2_b64 vcc, exec, s[0:1]
	s_cbranch_vccnz .LBB65_1685
; %bb.1684:
	global_load_dword v4, v[2:3], off
	s_waitcnt vmcnt(0)
	v_cvt_f32_i32_e32 v26, v4
.LBB65_1685:
	s_mov_b64 s[0:1], 0
.LBB65_1686:
	s_andn2_b64 vcc, exec, s[0:1]
	s_cbranch_vccnz .LBB65_1688
; %bb.1687:
	global_load_sshort v4, v[2:3], off
	s_waitcnt vmcnt(0)
	v_cvt_f32_i32_e32 v26, v4
.LBB65_1688:
	s_mov_b64 s[0:1], 0
.LBB65_1689:
	s_andn2_b64 vcc, exec, s[0:1]
	s_cbranch_vccnz .LBB65_1695
; %bb.1690:
	s_cmp_gt_i32 s2, 0
	s_cbranch_scc0 .LBB65_1692
; %bb.1691:
	global_load_sbyte v4, v[2:3], off
	s_mov_b64 s[0:1], 0
	s_waitcnt vmcnt(0)
	v_cvt_f32_i32_e32 v26, v4
	s_branch .LBB65_1693
.LBB65_1692:
	s_mov_b64 s[0:1], -1
                                        ; implicit-def: $vgpr26
.LBB65_1693:
	s_andn2_b64 vcc, exec, s[0:1]
	s_cbranch_vccnz .LBB65_1695
; %bb.1694:
	global_load_ubyte v2, v[2:3], off
	s_waitcnt vmcnt(0)
	v_cvt_f32_ubyte0_e32 v26, v2
.LBB65_1695:
	s_waitcnt vmcnt(0)
	v_mov_b32_e32 v27, 0
.LBB65_1696:
	s_mov_b64 s[4:5], -1
.LBB65_1697:
	s_andn2_b64 vcc, exec, s[4:5]
	s_cbranch_vccnz .LBB65_2131
; %bb.1698:
	s_bfe_u32 s22, s24, 0x80008
	s_getpc_b64 s[0:1]
	s_add_u32 s0, s0, _ZN16c10_complex_math3expIfEEN3c107complexIT_EERKS4_@rel32@lo+4
	s_addc_u32 s1, s1, _ZN16c10_complex_math3expIfEEN3c107complexIT_EERKS4_@rel32@hi+12
	s_swappc_b64 s[30:31], s[0:1]
	v_mov_b32_e32 v35, 0
	s_cmp_lt_i32 s22, 11
	v_lshl_add_u64 v[2:3], s[20:21], 0, v[34:35]
	s_cbranch_scc1 .LBB65_1776
; %bb.1699:
	s_and_b32 s10, 0xffff, s22
	s_mov_b64 s[6:7], -1
	s_mov_b64 s[2:3], 0
	s_cmp_gt_i32 s10, 25
	s_mov_b64 s[4:5], 0
	s_mov_b64 s[0:1], 0
	s_cbranch_scc0 .LBB65_1732
; %bb.1700:
	s_cmp_gt_i32 s10, 28
	s_cbranch_scc0 .LBB65_1715
; %bb.1701:
	s_cmp_gt_i32 s10, 43
	;; [unrolled: 3-line block ×3, first 2 shown]
	s_cbranch_scc0 .LBB65_1705
; %bb.1703:
	s_mov_b64 s[0:1], -1
	s_mov_b64 s[6:7], 0
	s_cmp_eq_u32 s10, 46
	s_cbranch_scc0 .LBB65_1705
; %bb.1704:
	s_movk_i32 s0, 0x7fff
	v_bfe_u32 v5, v1, 16, 1
	v_add3_u32 v5, v1, v5, s0
	v_bfe_u32 v4, v0, 16, 1
	v_and_b32_e32 v5, 0xffff0000, v5
	v_mov_b32_e32 v6, 0x7fc00000
	v_cmp_o_f32_e32 vcc, v1, v1
	v_add3_u32 v4, v0, v4, s0
	s_mov_b64 s[0:1], 0
	v_cndmask_b32_e32 v5, v6, v5, vcc
	v_cmp_o_f32_e32 vcc, v0, v0
	v_mov_b32_e32 v6, 0x7fc0
	s_mov_b64 s[4:5], -1
	v_cndmask_b32_sdwa v4, v6, v4, vcc dst_sel:DWORD dst_unused:UNUSED_PAD src0_sel:DWORD src1_sel:WORD_1
	v_or_b32_e32 v4, v5, v4
	global_store_dword v[2:3], v4, off
.LBB65_1705:
	s_and_b64 vcc, exec, s[6:7]
	s_cbranch_vccz .LBB65_1710
; %bb.1706:
	s_cmp_eq_u32 s10, 44
	s_mov_b64 s[0:1], -1
	s_cbranch_scc0 .LBB65_1710
; %bb.1707:
	v_bfe_u32 v4, v0, 23, 8
	s_movk_i32 s0, 0xff
	v_cmp_ne_u32_e32 vcc, s0, v4
	v_mov_b32_e32 v5, 0xff
	s_and_saveexec_b64 s[4:5], vcc
; %bb.1708:
	s_mov_b32 s0, 0x3fffff
	v_and_b32_e32 v6, 0x400000, v0
	v_and_or_b32 v4, v0, s0, v4
	v_cmp_ne_u32_e32 vcc, 0, v6
	v_cmp_ne_u32_e64 s[0:1], 0, v4
	s_and_b64 s[0:1], vcc, s[0:1]
	v_lshrrev_b32_e32 v5, 23, v0
	v_cndmask_b32_e64 v4, 0, 1, s[0:1]
	v_add_u32_e32 v5, v5, v4
; %bb.1709:
	s_or_b64 exec, exec, s[4:5]
	s_mov_b64 s[0:1], 0
	s_mov_b64 s[4:5], -1
	global_store_byte v[2:3], v5, off
.LBB65_1710:
	s_mov_b64 s[6:7], 0
.LBB65_1711:
	s_and_b64 vcc, exec, s[6:7]
	s_cbranch_vccz .LBB65_1714
; %bb.1712:
	s_cmp_eq_u32 s10, 29
	s_mov_b64 s[0:1], -1
	s_cbranch_scc0 .LBB65_1714
; %bb.1713:
	v_trunc_f32_e32 v4, v0
	v_mul_f32_e32 v5, 0x2f800000, v4
	v_floor_f32_e32 v6, v5
	v_fmamk_f32 v4, v6, 0xcf800000, v4
	v_cvt_u32_f32_e32 v5, v6
	v_cvt_u32_f32_e32 v4, v4
	s_mov_b64 s[0:1], 0
	s_mov_b64 s[4:5], -1
	global_store_dwordx2 v[2:3], v[4:5], off
.LBB65_1714:
	s_mov_b64 s[6:7], 0
.LBB65_1715:
	s_and_b64 vcc, exec, s[6:7]
	s_cbranch_vccz .LBB65_1731
; %bb.1716:
	s_cmp_lt_i32 s10, 27
	s_mov_b64 s[4:5], -1
	s_cbranch_scc1 .LBB65_1722
; %bb.1717:
	v_cvt_u32_f32_e32 v4, v0
	s_cmp_gt_i32 s10, 27
	s_cbranch_scc0 .LBB65_1719
; %bb.1718:
	s_mov_b64 s[4:5], 0
	global_store_dword v[2:3], v4, off
.LBB65_1719:
	s_andn2_b64 vcc, exec, s[4:5]
	s_cbranch_vccnz .LBB65_1721
; %bb.1720:
	global_store_short v[2:3], v4, off
.LBB65_1721:
	s_mov_b64 s[4:5], 0
.LBB65_1722:
	s_andn2_b64 vcc, exec, s[4:5]
	s_cbranch_vccnz .LBB65_1730
; %bb.1723:
	v_and_b32_e32 v4, 0x7fffffff, v0
	s_mov_b32 s4, 0x43800000
	v_cmp_gt_u32_e32 vcc, s4, v4
	v_mov_b32_e32 v5, 0x80
	s_and_saveexec_b64 s[4:5], vcc
	s_cbranch_execz .LBB65_1729
; %bb.1724:
	s_mov_b32 s6, 0x3bffffff
	v_cmp_lt_u32_e32 vcc, s6, v4
	s_mov_b64 s[6:7], 0
                                        ; implicit-def: $vgpr4
	s_and_saveexec_b64 s[8:9], vcc
	s_xor_b64 s[8:9], exec, s[8:9]
	s_cbranch_execz .LBB65_2177
; %bb.1725:
	v_bfe_u32 v4, v0, 20, 1
	s_mov_b32 s11, 0x487ffff
	v_add3_u32 v4, v0, v4, s11
	s_mov_b64 s[6:7], exec
	v_lshrrev_b32_e32 v4, 20, v4
	s_andn2_saveexec_b64 s[8:9], s[8:9]
	s_cbranch_execnz .LBB65_2178
.LBB65_1726:
	s_or_b64 exec, exec, s[8:9]
	v_mov_b32_e32 v5, 0
	s_and_saveexec_b64 s[8:9], s[6:7]
.LBB65_1727:
	v_lshrrev_b32_e32 v5, 24, v0
	s_movk_i32 s6, 0x80
	v_and_or_b32 v5, v5, s6, v4
.LBB65_1728:
	s_or_b64 exec, exec, s[8:9]
.LBB65_1729:
	s_or_b64 exec, exec, s[4:5]
	global_store_byte v[2:3], v5, off
.LBB65_1730:
	s_mov_b64 s[4:5], -1
.LBB65_1731:
	s_mov_b64 s[6:7], 0
.LBB65_1732:
	s_and_b64 vcc, exec, s[6:7]
	s_cbranch_vccz .LBB65_1772
; %bb.1733:
	s_cmp_gt_i32 s10, 22
	s_mov_b64 s[2:3], -1
	s_cbranch_scc0 .LBB65_1765
; %bb.1734:
	s_cmp_lt_i32 s10, 24
	s_cbranch_scc1 .LBB65_1754
; %bb.1735:
	s_cmp_gt_i32 s10, 24
	s_cbranch_scc0 .LBB65_1743
; %bb.1736:
	v_and_b32_e32 v4, 0x7fffffff, v0
	s_mov_b32 s2, 0x47800000
	v_cmp_gt_u32_e32 vcc, s2, v4
	v_mov_b32_e32 v5, 0x80
	s_and_saveexec_b64 s[2:3], vcc
	s_cbranch_execz .LBB65_1742
; %bb.1737:
	s_mov_b32 s4, 0x37ffffff
	v_cmp_lt_u32_e32 vcc, s4, v4
	s_mov_b64 s[4:5], 0
                                        ; implicit-def: $vgpr4
	s_and_saveexec_b64 s[6:7], vcc
	s_xor_b64 s[6:7], exec, s[6:7]
	s_cbranch_execz .LBB65_2180
; %bb.1738:
	v_bfe_u32 v4, v0, 21, 1
	s_mov_b32 s8, 0x88fffff
	v_add3_u32 v4, v0, v4, s8
	s_mov_b64 s[4:5], exec
	v_lshrrev_b32_e32 v4, 21, v4
	s_andn2_saveexec_b64 s[6:7], s[6:7]
	s_cbranch_execnz .LBB65_2181
.LBB65_1739:
	s_or_b64 exec, exec, s[6:7]
	v_mov_b32_e32 v5, 0
	s_and_saveexec_b64 s[6:7], s[4:5]
.LBB65_1740:
	v_lshrrev_b32_e32 v5, 24, v0
	s_movk_i32 s4, 0x80
	v_and_or_b32 v5, v5, s4, v4
.LBB65_1741:
	s_or_b64 exec, exec, s[6:7]
.LBB65_1742:
	s_or_b64 exec, exec, s[2:3]
	s_mov_b64 s[2:3], 0
	global_store_byte v[2:3], v5, off
.LBB65_1743:
	s_and_b64 vcc, exec, s[2:3]
	s_cbranch_vccz .LBB65_1753
; %bb.1744:
	v_and_b32_e32 v5, 0x7fffffff, v0
	s_mov_b32 s2, 0x43f00000
	v_cmp_gt_u32_e32 vcc, s2, v5
                                        ; implicit-def: $vgpr4
	s_and_saveexec_b64 s[2:3], vcc
	s_xor_b64 s[2:3], exec, s[2:3]
	s_cbranch_execz .LBB65_1750
; %bb.1745:
	s_mov_b32 s4, 0x3c7fffff
	v_cmp_lt_u32_e32 vcc, s4, v5
                                        ; implicit-def: $vgpr4
	s_and_saveexec_b64 s[4:5], vcc
	s_xor_b64 s[4:5], exec, s[4:5]
; %bb.1746:
	v_bfe_u32 v4, v0, 20, 1
	s_mov_b32 s6, 0x407ffff
	v_add3_u32 v4, v0, v4, s6
	v_lshrrev_b32_e32 v5, 20, v4
	v_and_b32_e32 v4, 0xff00000, v4
	s_mov_b32 s6, 0x7f00000
	v_mov_b32_e32 v6, 0x7e
	v_cmp_ne_u32_e32 vcc, s6, v4
	s_nop 1
	v_cndmask_b32_e32 v4, v6, v5, vcc
; %bb.1747:
	s_andn2_saveexec_b64 s[4:5], s[4:5]
; %bb.1748:
	s_mov_b32 s6, 0x46800000
	v_add_f32_e64 v4, |v0|, s6
; %bb.1749:
	s_or_b64 exec, exec, s[4:5]
                                        ; implicit-def: $vgpr5
.LBB65_1750:
	s_andn2_saveexec_b64 s[2:3], s[2:3]
; %bb.1751:
	s_mov_b32 s4, 0x7f800000
	v_mov_b32_e32 v4, 0x7e
	v_mov_b32_e32 v6, 0x7f
	v_cmp_lt_u32_e32 vcc, s4, v5
	s_nop 1
	v_cndmask_b32_e32 v4, v4, v6, vcc
; %bb.1752:
	s_or_b64 exec, exec, s[2:3]
	v_lshrrev_b32_e32 v5, 24, v0
	s_movk_i32 s2, 0x80
	v_and_or_b32 v4, v5, s2, v4
	global_store_byte v[2:3], v4, off
.LBB65_1753:
	s_mov_b64 s[2:3], 0
.LBB65_1754:
	s_andn2_b64 vcc, exec, s[2:3]
	s_cbranch_vccnz .LBB65_1764
; %bb.1755:
	v_and_b32_e32 v5, 0x7fffffff, v0
	s_mov_b32 s2, 0x47800000
	v_cmp_gt_u32_e32 vcc, s2, v5
                                        ; implicit-def: $vgpr4
	s_and_saveexec_b64 s[2:3], vcc
	s_xor_b64 s[2:3], exec, s[2:3]
	s_cbranch_execz .LBB65_1761
; %bb.1756:
	s_mov_b32 s4, 0x387fffff
	v_cmp_lt_u32_e32 vcc, s4, v5
                                        ; implicit-def: $vgpr4
	s_and_saveexec_b64 s[4:5], vcc
	s_xor_b64 s[4:5], exec, s[4:5]
; %bb.1757:
	v_bfe_u32 v4, v0, 21, 1
	s_mov_b32 s6, 0x80fffff
	v_add3_u32 v4, v0, v4, s6
	v_lshrrev_b32_e32 v4, 21, v4
; %bb.1758:
	s_andn2_saveexec_b64 s[4:5], s[4:5]
; %bb.1759:
	s_mov_b32 s6, 0x43000000
	v_add_f32_e64 v4, |v0|, s6
; %bb.1760:
	s_or_b64 exec, exec, s[4:5]
                                        ; implicit-def: $vgpr5
.LBB65_1761:
	s_andn2_saveexec_b64 s[2:3], s[2:3]
; %bb.1762:
	s_mov_b32 s4, 0x7f800000
	v_mov_b32_e32 v4, 0x7c
	v_mov_b32_e32 v6, 0x7f
	v_cmp_lt_u32_e32 vcc, s4, v5
	s_nop 1
	v_cndmask_b32_e32 v4, v4, v6, vcc
; %bb.1763:
	s_or_b64 exec, exec, s[2:3]
	v_lshrrev_b32_e32 v5, 24, v0
	s_movk_i32 s2, 0x80
	v_and_or_b32 v4, v5, s2, v4
	global_store_byte v[2:3], v4, off
.LBB65_1764:
	s_mov_b64 s[2:3], 0
	s_mov_b64 s[4:5], -1
.LBB65_1765:
	s_andn2_b64 vcc, exec, s[2:3]
	s_mov_b64 s[2:3], 0
	s_cbranch_vccnz .LBB65_1772
; %bb.1766:
	s_cmp_gt_i32 s10, 14
	s_mov_b64 s[6:7], -1
	s_cbranch_scc0 .LBB65_1770
; %bb.1767:
	s_cmp_eq_u32 s10, 15
	s_mov_b64 s[0:1], -1
	s_cbranch_scc0 .LBB65_1769
; %bb.1768:
	v_bfe_u32 v4, v0, 16, 1
	s_movk_i32 s0, 0x7fff
	v_add3_u32 v4, v0, v4, s0
	v_cmp_o_f32_e32 vcc, v0, v0
	v_mov_b32_e32 v5, 0x7fc0
	s_mov_b64 s[0:1], 0
	v_cndmask_b32_sdwa v4, v5, v4, vcc dst_sel:DWORD dst_unused:UNUSED_PAD src0_sel:DWORD src1_sel:WORD_1
	global_store_short v[2:3], v4, off
	s_mov_b64 s[4:5], -1
.LBB65_1769:
	s_mov_b64 s[6:7], 0
.LBB65_1770:
	s_and_b64 vcc, exec, s[6:7]
	s_cbranch_vccz .LBB65_1772
; %bb.1771:
	s_cmp_lg_u32 s10, 11
	s_mov_b64 s[2:3], -1
	s_cselect_b64 s[0:1], -1, 0
.LBB65_1772:
	s_and_b64 vcc, exec, s[0:1]
	s_cbranch_vccnz .LBB65_2179
; %bb.1773:
	s_andn2_b64 vcc, exec, s[2:3]
	s_cbranch_vccnz .LBB65_1775
.LBB65_1774:
	s_brev_b32 s0, -2
	v_bitop3_b32 v4, v0, s0, v1 bitop3:0xc8
	v_cmp_ne_u32_e32 vcc, 0, v4
	s_mov_b64 s[4:5], -1
	s_nop 0
	v_cndmask_b32_e64 v4, 0, 1, vcc
	global_store_byte v[2:3], v4, off
.LBB65_1775:
	s_mov_b64 s[0:1], 0
	s_branch .LBB65_1777
.LBB65_1776:
	s_mov_b64 s[0:1], -1
	s_mov_b64 s[4:5], 0
.LBB65_1777:
	s_and_b64 vcc, exec, s[0:1]
	s_cbranch_vccz .LBB65_1816
; %bb.1778:
	s_and_b32 s2, 0xffff, s22
	s_cmp_lt_i32 s2, 5
	s_mov_b64 s[0:1], -1
	s_cbranch_scc1 .LBB65_1799
; %bb.1779:
	s_cmp_lt_i32 s2, 8
	s_cbranch_scc1 .LBB65_1789
; %bb.1780:
	s_cmp_lt_i32 s2, 9
	s_cbranch_scc1 .LBB65_1786
; %bb.1781:
	s_cmp_gt_i32 s2, 9
	s_cbranch_scc0 .LBB65_1783
; %bb.1782:
	v_cvt_f64_f32_e32 v[4:5], v0
	v_cvt_f64_f32_e32 v[6:7], v1
	global_store_dwordx4 v[2:3], v[4:7], off
	s_mov_b64 s[0:1], 0
.LBB65_1783:
	s_andn2_b64 vcc, exec, s[0:1]
	s_cbranch_vccnz .LBB65_1785
; %bb.1784:
	global_store_dwordx2 v[2:3], v[0:1], off
.LBB65_1785:
	s_mov_b64 s[0:1], 0
.LBB65_1786:
	s_andn2_b64 vcc, exec, s[0:1]
	s_cbranch_vccnz .LBB65_1788
; %bb.1787:
	v_cvt_f16_f32_e32 v4, v0
	v_cvt_f16_f32_sdwa v1, v1 dst_sel:WORD_1 dst_unused:UNUSED_PAD src0_sel:DWORD
	s_nop 0
	v_or_b32_e32 v1, v1, v4
	global_store_dword v[2:3], v1, off
.LBB65_1788:
	s_mov_b64 s[0:1], 0
.LBB65_1789:
	s_andn2_b64 vcc, exec, s[0:1]
	s_cbranch_vccnz .LBB65_1798
; %bb.1790:
	s_cmp_lt_i32 s2, 6
	s_mov_b64 s[0:1], -1
	s_cbranch_scc1 .LBB65_1796
; %bb.1791:
	s_cmp_gt_i32 s2, 6
	s_cbranch_scc0 .LBB65_1793
; %bb.1792:
	v_cvt_f64_f32_e32 v[4:5], v0
	global_store_dwordx2 v[2:3], v[4:5], off
	s_mov_b64 s[0:1], 0
.LBB65_1793:
	s_andn2_b64 vcc, exec, s[0:1]
	s_cbranch_vccnz .LBB65_1795
; %bb.1794:
	global_store_dword v[2:3], v0, off
.LBB65_1795:
	s_mov_b64 s[0:1], 0
.LBB65_1796:
	s_andn2_b64 vcc, exec, s[0:1]
	s_cbranch_vccnz .LBB65_1798
; %bb.1797:
	v_cvt_f16_f32_e32 v1, v0
	global_store_short v[2:3], v1, off
.LBB65_1798:
	s_mov_b64 s[0:1], 0
.LBB65_1799:
	s_andn2_b64 vcc, exec, s[0:1]
	s_cbranch_vccnz .LBB65_1815
; %bb.1800:
	s_cmp_lt_i32 s2, 2
	s_mov_b64 s[0:1], -1
	s_cbranch_scc1 .LBB65_1810
; %bb.1801:
	s_cmp_lt_i32 s2, 3
	s_cbranch_scc1 .LBB65_1807
; %bb.1802:
	s_cmp_gt_i32 s2, 3
	s_cbranch_scc0 .LBB65_1804
; %bb.1803:
	v_trunc_f32_e32 v1, v0
	s_mov_b32 s0, 0x2f800000
	v_mul_f32_e64 v4, |v1|, s0
	v_floor_f32_e32 v4, v4
	s_mov_b32 s0, 0xcf800000
	v_cvt_u32_f32_e32 v5, v4
	v_fma_f32 v4, v4, s0, |v1|
	v_cvt_u32_f32_e32 v4, v4
	v_ashrrev_i32_e32 v1, 31, v1
	v_xor_b32_e32 v5, v5, v1
	s_mov_b64 s[0:1], 0
	v_xor_b32_e32 v4, v4, v1
	v_sub_co_u32_e32 v4, vcc, v4, v1
	s_nop 1
	v_subb_co_u32_e32 v5, vcc, v5, v1, vcc
	global_store_dwordx2 v[2:3], v[4:5], off
.LBB65_1804:
	s_andn2_b64 vcc, exec, s[0:1]
	s_cbranch_vccnz .LBB65_1806
; %bb.1805:
	v_cvt_i32_f32_e32 v1, v0
	global_store_dword v[2:3], v1, off
.LBB65_1806:
	s_mov_b64 s[0:1], 0
.LBB65_1807:
	s_andn2_b64 vcc, exec, s[0:1]
	s_cbranch_vccnz .LBB65_1809
; %bb.1808:
	v_cvt_i32_f32_e32 v1, v0
	global_store_short v[2:3], v1, off
.LBB65_1809:
	s_mov_b64 s[0:1], 0
.LBB65_1810:
	s_andn2_b64 vcc, exec, s[0:1]
	s_cbranch_vccnz .LBB65_1815
; %bb.1811:
	s_cmp_gt_i32 s2, 0
	s_mov_b64 s[0:1], -1
	s_cbranch_scc0 .LBB65_1813
; %bb.1812:
	v_cvt_i32_f32_e32 v1, v0
	s_mov_b64 s[0:1], 0
	global_store_byte v[2:3], v1, off
.LBB65_1813:
	s_andn2_b64 vcc, exec, s[0:1]
	s_cbranch_vccnz .LBB65_1815
; %bb.1814:
	v_trunc_f32_e32 v0, v0
	s_mov_b32 s0, 0x2f800000
	v_mul_f32_e64 v1, |v0|, s0
	v_floor_f32_e32 v1, v1
	s_mov_b32 s0, 0xcf800000
	v_fma_f32 v1, v1, s0, |v0|
	v_cvt_u32_f32_e32 v1, v1
	v_ashrrev_i32_e32 v0, 31, v0
	v_xor_b32_e32 v1, v1, v0
	v_sub_u32_e32 v0, v1, v0
	global_store_byte v[2:3], v0, off
.LBB65_1815:
	s_mov_b64 s[4:5], -1
.LBB65_1816:
	s_andn2_b64 vcc, exec, s[4:5]
	s_cbranch_vccnz .LBB65_2131
; %bb.1817:
	s_lshr_b32 s0, s24, 8
	s_and_b32 s22, s0, 0xff
	s_getpc_b64 s[0:1]
	s_add_u32 s0, s0, _ZN16c10_complex_math3expIfEEN3c107complexIT_EERKS4_@rel32@lo+4
	s_addc_u32 s1, s1, _ZN16c10_complex_math3expIfEEN3c107complexIT_EERKS4_@rel32@hi+12
	v_mov_b32_e32 v0, v22
	v_mov_b32_e32 v1, v23
	s_swappc_b64 s[30:31], s[0:1]
	v_mov_b32_e32 v33, 0
	s_cmp_lt_i32 s22, 11
	v_lshl_add_u64 v[2:3], s[20:21], 0, v[32:33]
	s_cbranch_scc1 .LBB65_1895
; %bb.1818:
	s_and_b32 s10, 0xffff, s22
	s_mov_b64 s[6:7], -1
	s_mov_b64 s[2:3], 0
	s_cmp_gt_i32 s10, 25
	s_mov_b64 s[4:5], 0
	s_mov_b64 s[0:1], 0
	s_cbranch_scc0 .LBB65_1851
; %bb.1819:
	s_cmp_gt_i32 s10, 28
	s_cbranch_scc0 .LBB65_1834
; %bb.1820:
	s_cmp_gt_i32 s10, 43
	;; [unrolled: 3-line block ×3, first 2 shown]
	s_cbranch_scc0 .LBB65_1824
; %bb.1822:
	s_mov_b64 s[0:1], -1
	s_mov_b64 s[6:7], 0
	s_cmp_eq_u32 s10, 46
	s_cbranch_scc0 .LBB65_1824
; %bb.1823:
	s_movk_i32 s0, 0x7fff
	v_bfe_u32 v5, v1, 16, 1
	v_add3_u32 v5, v1, v5, s0
	v_bfe_u32 v4, v0, 16, 1
	v_and_b32_e32 v5, 0xffff0000, v5
	v_mov_b32_e32 v6, 0x7fc00000
	v_cmp_o_f32_e32 vcc, v1, v1
	v_add3_u32 v4, v0, v4, s0
	s_mov_b64 s[0:1], 0
	v_cndmask_b32_e32 v5, v6, v5, vcc
	v_cmp_o_f32_e32 vcc, v0, v0
	v_mov_b32_e32 v6, 0x7fc0
	s_mov_b64 s[4:5], -1
	v_cndmask_b32_sdwa v4, v6, v4, vcc dst_sel:DWORD dst_unused:UNUSED_PAD src0_sel:DWORD src1_sel:WORD_1
	v_or_b32_e32 v4, v5, v4
	global_store_dword v[2:3], v4, off
.LBB65_1824:
	s_and_b64 vcc, exec, s[6:7]
	s_cbranch_vccz .LBB65_1829
; %bb.1825:
	s_cmp_eq_u32 s10, 44
	s_mov_b64 s[0:1], -1
	s_cbranch_scc0 .LBB65_1829
; %bb.1826:
	v_bfe_u32 v4, v0, 23, 8
	s_movk_i32 s0, 0xff
	v_cmp_ne_u32_e32 vcc, s0, v4
	v_mov_b32_e32 v5, 0xff
	s_and_saveexec_b64 s[4:5], vcc
; %bb.1827:
	s_mov_b32 s0, 0x3fffff
	v_and_b32_e32 v6, 0x400000, v0
	v_and_or_b32 v4, v0, s0, v4
	v_cmp_ne_u32_e32 vcc, 0, v6
	v_cmp_ne_u32_e64 s[0:1], 0, v4
	s_and_b64 s[0:1], vcc, s[0:1]
	v_lshrrev_b32_e32 v5, 23, v0
	v_cndmask_b32_e64 v4, 0, 1, s[0:1]
	v_add_u32_e32 v5, v5, v4
; %bb.1828:
	s_or_b64 exec, exec, s[4:5]
	s_mov_b64 s[0:1], 0
	s_mov_b64 s[4:5], -1
	global_store_byte v[2:3], v5, off
.LBB65_1829:
	s_mov_b64 s[6:7], 0
.LBB65_1830:
	s_and_b64 vcc, exec, s[6:7]
	s_cbranch_vccz .LBB65_1833
; %bb.1831:
	s_cmp_eq_u32 s10, 29
	s_mov_b64 s[0:1], -1
	s_cbranch_scc0 .LBB65_1833
; %bb.1832:
	v_trunc_f32_e32 v4, v0
	v_mul_f32_e32 v5, 0x2f800000, v4
	v_floor_f32_e32 v6, v5
	v_fmamk_f32 v4, v6, 0xcf800000, v4
	v_cvt_u32_f32_e32 v5, v6
	v_cvt_u32_f32_e32 v4, v4
	s_mov_b64 s[0:1], 0
	s_mov_b64 s[4:5], -1
	global_store_dwordx2 v[2:3], v[4:5], off
.LBB65_1833:
	s_mov_b64 s[6:7], 0
.LBB65_1834:
	s_and_b64 vcc, exec, s[6:7]
	s_cbranch_vccz .LBB65_1850
; %bb.1835:
	s_cmp_lt_i32 s10, 27
	s_mov_b64 s[4:5], -1
	s_cbranch_scc1 .LBB65_1841
; %bb.1836:
	s_cmp_gt_i32 s10, 27
	s_cbranch_scc0 .LBB65_1838
; %bb.1837:
	v_cvt_u32_f32_e32 v4, v0
	s_mov_b64 s[4:5], 0
	global_store_dword v[2:3], v4, off
.LBB65_1838:
	s_andn2_b64 vcc, exec, s[4:5]
	s_cbranch_vccnz .LBB65_1840
; %bb.1839:
	v_cvt_u32_f32_e32 v4, v0
	global_store_short v[2:3], v4, off
.LBB65_1840:
	s_mov_b64 s[4:5], 0
.LBB65_1841:
	s_andn2_b64 vcc, exec, s[4:5]
	s_cbranch_vccnz .LBB65_1849
; %bb.1842:
	v_and_b32_e32 v4, 0x7fffffff, v0
	s_mov_b32 s4, 0x43800000
	v_cmp_gt_u32_e32 vcc, s4, v4
	v_mov_b32_e32 v5, 0x80
	s_and_saveexec_b64 s[4:5], vcc
	s_cbranch_execz .LBB65_1848
; %bb.1843:
	s_mov_b32 s6, 0x3bffffff
	v_cmp_lt_u32_e32 vcc, s6, v4
	s_mov_b64 s[6:7], 0
                                        ; implicit-def: $vgpr4
	s_and_saveexec_b64 s[8:9], vcc
	s_xor_b64 s[8:9], exec, s[8:9]
	s_cbranch_execz .LBB65_2182
; %bb.1844:
	v_bfe_u32 v4, v0, 20, 1
	s_mov_b32 s11, 0x487ffff
	v_add3_u32 v4, v0, v4, s11
	s_mov_b64 s[6:7], exec
	v_lshrrev_b32_e32 v4, 20, v4
	s_andn2_saveexec_b64 s[8:9], s[8:9]
	s_cbranch_execnz .LBB65_2183
.LBB65_1845:
	s_or_b64 exec, exec, s[8:9]
	v_mov_b32_e32 v5, 0
	s_and_saveexec_b64 s[8:9], s[6:7]
.LBB65_1846:
	v_lshrrev_b32_e32 v5, 24, v0
	s_movk_i32 s6, 0x80
	v_and_or_b32 v5, v5, s6, v4
.LBB65_1847:
	s_or_b64 exec, exec, s[8:9]
.LBB65_1848:
	s_or_b64 exec, exec, s[4:5]
	global_store_byte v[2:3], v5, off
.LBB65_1849:
	s_mov_b64 s[4:5], -1
.LBB65_1850:
	s_mov_b64 s[6:7], 0
.LBB65_1851:
	s_and_b64 vcc, exec, s[6:7]
	s_cbranch_vccz .LBB65_1891
; %bb.1852:
	s_cmp_gt_i32 s10, 22
	s_mov_b64 s[2:3], -1
	s_cbranch_scc0 .LBB65_1884
; %bb.1853:
	s_cmp_lt_i32 s10, 24
	s_cbranch_scc1 .LBB65_1873
; %bb.1854:
	s_cmp_gt_i32 s10, 24
	s_cbranch_scc0 .LBB65_1862
; %bb.1855:
	v_and_b32_e32 v4, 0x7fffffff, v0
	s_mov_b32 s2, 0x47800000
	v_cmp_gt_u32_e32 vcc, s2, v4
	v_mov_b32_e32 v5, 0x80
	s_and_saveexec_b64 s[2:3], vcc
	s_cbranch_execz .LBB65_1861
; %bb.1856:
	s_mov_b32 s4, 0x37ffffff
	v_cmp_lt_u32_e32 vcc, s4, v4
	s_mov_b64 s[4:5], 0
                                        ; implicit-def: $vgpr4
	s_and_saveexec_b64 s[6:7], vcc
	s_xor_b64 s[6:7], exec, s[6:7]
	s_cbranch_execz .LBB65_2185
; %bb.1857:
	v_bfe_u32 v4, v0, 21, 1
	s_mov_b32 s8, 0x88fffff
	v_add3_u32 v4, v0, v4, s8
	s_mov_b64 s[4:5], exec
	v_lshrrev_b32_e32 v4, 21, v4
	s_andn2_saveexec_b64 s[6:7], s[6:7]
	s_cbranch_execnz .LBB65_2186
.LBB65_1858:
	s_or_b64 exec, exec, s[6:7]
	v_mov_b32_e32 v5, 0
	s_and_saveexec_b64 s[6:7], s[4:5]
.LBB65_1859:
	v_lshrrev_b32_e32 v5, 24, v0
	s_movk_i32 s4, 0x80
	v_and_or_b32 v5, v5, s4, v4
.LBB65_1860:
	s_or_b64 exec, exec, s[6:7]
.LBB65_1861:
	s_or_b64 exec, exec, s[2:3]
	s_mov_b64 s[2:3], 0
	global_store_byte v[2:3], v5, off
.LBB65_1862:
	s_and_b64 vcc, exec, s[2:3]
	s_cbranch_vccz .LBB65_1872
; %bb.1863:
	v_and_b32_e32 v5, 0x7fffffff, v0
	s_mov_b32 s2, 0x43f00000
	v_cmp_gt_u32_e32 vcc, s2, v5
                                        ; implicit-def: $vgpr4
	s_and_saveexec_b64 s[2:3], vcc
	s_xor_b64 s[2:3], exec, s[2:3]
	s_cbranch_execz .LBB65_1869
; %bb.1864:
	s_mov_b32 s4, 0x3c7fffff
	v_cmp_lt_u32_e32 vcc, s4, v5
                                        ; implicit-def: $vgpr4
	s_and_saveexec_b64 s[4:5], vcc
	s_xor_b64 s[4:5], exec, s[4:5]
; %bb.1865:
	v_bfe_u32 v4, v0, 20, 1
	s_mov_b32 s6, 0x407ffff
	v_add3_u32 v4, v0, v4, s6
	v_lshrrev_b32_e32 v5, 20, v4
	v_and_b32_e32 v4, 0xff00000, v4
	s_mov_b32 s6, 0x7f00000
	v_mov_b32_e32 v6, 0x7e
	v_cmp_ne_u32_e32 vcc, s6, v4
	s_nop 1
	v_cndmask_b32_e32 v4, v6, v5, vcc
; %bb.1866:
	s_andn2_saveexec_b64 s[4:5], s[4:5]
; %bb.1867:
	s_mov_b32 s6, 0x46800000
	v_add_f32_e64 v4, |v0|, s6
; %bb.1868:
	s_or_b64 exec, exec, s[4:5]
                                        ; implicit-def: $vgpr5
.LBB65_1869:
	s_andn2_saveexec_b64 s[2:3], s[2:3]
; %bb.1870:
	s_mov_b32 s4, 0x7f800000
	v_mov_b32_e32 v4, 0x7e
	v_mov_b32_e32 v6, 0x7f
	v_cmp_lt_u32_e32 vcc, s4, v5
	s_nop 1
	v_cndmask_b32_e32 v4, v4, v6, vcc
; %bb.1871:
	s_or_b64 exec, exec, s[2:3]
	v_lshrrev_b32_e32 v5, 24, v0
	s_movk_i32 s2, 0x80
	v_and_or_b32 v4, v5, s2, v4
	global_store_byte v[2:3], v4, off
.LBB65_1872:
	s_mov_b64 s[2:3], 0
.LBB65_1873:
	s_andn2_b64 vcc, exec, s[2:3]
	s_cbranch_vccnz .LBB65_1883
; %bb.1874:
	v_and_b32_e32 v5, 0x7fffffff, v0
	s_mov_b32 s2, 0x47800000
	v_cmp_gt_u32_e32 vcc, s2, v5
                                        ; implicit-def: $vgpr4
	s_and_saveexec_b64 s[2:3], vcc
	s_xor_b64 s[2:3], exec, s[2:3]
	s_cbranch_execz .LBB65_1880
; %bb.1875:
	s_mov_b32 s4, 0x387fffff
	v_cmp_lt_u32_e32 vcc, s4, v5
                                        ; implicit-def: $vgpr4
	s_and_saveexec_b64 s[4:5], vcc
	s_xor_b64 s[4:5], exec, s[4:5]
; %bb.1876:
	v_bfe_u32 v4, v0, 21, 1
	s_mov_b32 s6, 0x80fffff
	v_add3_u32 v4, v0, v4, s6
	v_lshrrev_b32_e32 v4, 21, v4
; %bb.1877:
	s_andn2_saveexec_b64 s[4:5], s[4:5]
; %bb.1878:
	s_mov_b32 s6, 0x43000000
	v_add_f32_e64 v4, |v0|, s6
; %bb.1879:
	s_or_b64 exec, exec, s[4:5]
                                        ; implicit-def: $vgpr5
.LBB65_1880:
	s_andn2_saveexec_b64 s[2:3], s[2:3]
; %bb.1881:
	s_mov_b32 s4, 0x7f800000
	v_mov_b32_e32 v4, 0x7c
	v_mov_b32_e32 v6, 0x7f
	v_cmp_lt_u32_e32 vcc, s4, v5
	s_nop 1
	v_cndmask_b32_e32 v4, v4, v6, vcc
; %bb.1882:
	s_or_b64 exec, exec, s[2:3]
	v_lshrrev_b32_e32 v5, 24, v0
	s_movk_i32 s2, 0x80
	v_and_or_b32 v4, v5, s2, v4
	global_store_byte v[2:3], v4, off
.LBB65_1883:
	s_mov_b64 s[2:3], 0
	s_mov_b64 s[4:5], -1
.LBB65_1884:
	s_andn2_b64 vcc, exec, s[2:3]
	s_mov_b64 s[2:3], 0
	s_cbranch_vccnz .LBB65_1891
; %bb.1885:
	s_cmp_gt_i32 s10, 14
	s_mov_b64 s[6:7], -1
	s_cbranch_scc0 .LBB65_1889
; %bb.1886:
	s_cmp_eq_u32 s10, 15
	s_mov_b64 s[0:1], -1
	s_cbranch_scc0 .LBB65_1888
; %bb.1887:
	v_bfe_u32 v4, v0, 16, 1
	s_movk_i32 s0, 0x7fff
	v_add3_u32 v4, v0, v4, s0
	v_cmp_o_f32_e32 vcc, v0, v0
	v_mov_b32_e32 v5, 0x7fc0
	s_mov_b64 s[0:1], 0
	v_cndmask_b32_sdwa v4, v5, v4, vcc dst_sel:DWORD dst_unused:UNUSED_PAD src0_sel:DWORD src1_sel:WORD_1
	global_store_short v[2:3], v4, off
	s_mov_b64 s[4:5], -1
.LBB65_1888:
	s_mov_b64 s[6:7], 0
.LBB65_1889:
	s_and_b64 vcc, exec, s[6:7]
	s_cbranch_vccz .LBB65_1891
; %bb.1890:
	s_cmp_lg_u32 s10, 11
	s_mov_b64 s[2:3], -1
	s_cselect_b64 s[0:1], -1, 0
.LBB65_1891:
	s_and_b64 vcc, exec, s[0:1]
	s_cbranch_vccnz .LBB65_2184
; %bb.1892:
	s_andn2_b64 vcc, exec, s[2:3]
	s_cbranch_vccnz .LBB65_1894
.LBB65_1893:
	s_brev_b32 s0, -2
	v_bitop3_b32 v4, v0, s0, v1 bitop3:0xc8
	v_cmp_ne_u32_e32 vcc, 0, v4
	s_mov_b64 s[4:5], -1
	s_nop 0
	v_cndmask_b32_e64 v4, 0, 1, vcc
	global_store_byte v[2:3], v4, off
.LBB65_1894:
	s_mov_b64 s[0:1], 0
	s_branch .LBB65_1896
.LBB65_1895:
	s_mov_b64 s[0:1], -1
	s_mov_b64 s[4:5], 0
.LBB65_1896:
	s_and_b64 vcc, exec, s[0:1]
	s_cbranch_vccz .LBB65_1935
; %bb.1897:
	s_and_b32 s2, 0xffff, s22
	s_cmp_lt_i32 s2, 5
	s_mov_b64 s[0:1], -1
	s_cbranch_scc1 .LBB65_1918
; %bb.1898:
	s_cmp_lt_i32 s2, 8
	s_cbranch_scc1 .LBB65_1908
; %bb.1899:
	s_cmp_lt_i32 s2, 9
	s_cbranch_scc1 .LBB65_1905
; %bb.1900:
	s_cmp_gt_i32 s2, 9
	s_cbranch_scc0 .LBB65_1902
; %bb.1901:
	v_cvt_f64_f32_e32 v[4:5], v0
	v_cvt_f64_f32_e32 v[6:7], v1
	global_store_dwordx4 v[2:3], v[4:7], off
	s_mov_b64 s[0:1], 0
.LBB65_1902:
	s_andn2_b64 vcc, exec, s[0:1]
	s_cbranch_vccnz .LBB65_1904
; %bb.1903:
	global_store_dwordx2 v[2:3], v[0:1], off
.LBB65_1904:
	s_mov_b64 s[0:1], 0
.LBB65_1905:
	s_andn2_b64 vcc, exec, s[0:1]
	s_cbranch_vccnz .LBB65_1907
; %bb.1906:
	v_cvt_f16_f32_e32 v4, v0
	v_cvt_f16_f32_sdwa v1, v1 dst_sel:WORD_1 dst_unused:UNUSED_PAD src0_sel:DWORD
	s_nop 0
	v_or_b32_e32 v1, v1, v4
	global_store_dword v[2:3], v1, off
.LBB65_1907:
	s_mov_b64 s[0:1], 0
.LBB65_1908:
	s_andn2_b64 vcc, exec, s[0:1]
	s_cbranch_vccnz .LBB65_1917
; %bb.1909:
	s_cmp_lt_i32 s2, 6
	s_mov_b64 s[0:1], -1
	s_cbranch_scc1 .LBB65_1915
; %bb.1910:
	s_cmp_gt_i32 s2, 6
	s_cbranch_scc0 .LBB65_1912
; %bb.1911:
	v_cvt_f64_f32_e32 v[4:5], v0
	global_store_dwordx2 v[2:3], v[4:5], off
	s_mov_b64 s[0:1], 0
.LBB65_1912:
	s_andn2_b64 vcc, exec, s[0:1]
	s_cbranch_vccnz .LBB65_1914
; %bb.1913:
	global_store_dword v[2:3], v0, off
.LBB65_1914:
	s_mov_b64 s[0:1], 0
.LBB65_1915:
	s_andn2_b64 vcc, exec, s[0:1]
	s_cbranch_vccnz .LBB65_1917
; %bb.1916:
	v_cvt_f16_f32_e32 v1, v0
	global_store_short v[2:3], v1, off
.LBB65_1917:
	s_mov_b64 s[0:1], 0
.LBB65_1918:
	s_andn2_b64 vcc, exec, s[0:1]
	s_cbranch_vccnz .LBB65_1934
; %bb.1919:
	s_cmp_lt_i32 s2, 2
	s_mov_b64 s[0:1], -1
	s_cbranch_scc1 .LBB65_1929
; %bb.1920:
	s_cmp_lt_i32 s2, 3
	s_cbranch_scc1 .LBB65_1926
; %bb.1921:
	s_cmp_gt_i32 s2, 3
	s_cbranch_scc0 .LBB65_1923
; %bb.1922:
	v_trunc_f32_e32 v1, v0
	s_mov_b32 s0, 0x2f800000
	v_mul_f32_e64 v4, |v1|, s0
	v_floor_f32_e32 v4, v4
	s_mov_b32 s0, 0xcf800000
	v_cvt_u32_f32_e32 v5, v4
	v_fma_f32 v4, v4, s0, |v1|
	v_cvt_u32_f32_e32 v4, v4
	v_ashrrev_i32_e32 v1, 31, v1
	v_xor_b32_e32 v5, v5, v1
	s_mov_b64 s[0:1], 0
	v_xor_b32_e32 v4, v4, v1
	v_sub_co_u32_e32 v4, vcc, v4, v1
	s_nop 1
	v_subb_co_u32_e32 v5, vcc, v5, v1, vcc
	global_store_dwordx2 v[2:3], v[4:5], off
.LBB65_1923:
	s_andn2_b64 vcc, exec, s[0:1]
	s_cbranch_vccnz .LBB65_1925
; %bb.1924:
	v_cvt_i32_f32_e32 v1, v0
	global_store_dword v[2:3], v1, off
.LBB65_1925:
	s_mov_b64 s[0:1], 0
.LBB65_1926:
	s_andn2_b64 vcc, exec, s[0:1]
	s_cbranch_vccnz .LBB65_1928
; %bb.1927:
	v_cvt_i32_f32_e32 v1, v0
	global_store_short v[2:3], v1, off
.LBB65_1928:
	s_mov_b64 s[0:1], 0
.LBB65_1929:
	s_andn2_b64 vcc, exec, s[0:1]
	s_cbranch_vccnz .LBB65_1934
; %bb.1930:
	s_cmp_gt_i32 s2, 0
	s_mov_b64 s[0:1], -1
	s_cbranch_scc0 .LBB65_1932
; %bb.1931:
	v_cvt_i32_f32_e32 v1, v0
	s_mov_b64 s[0:1], 0
	global_store_byte v[2:3], v1, off
.LBB65_1932:
	s_andn2_b64 vcc, exec, s[0:1]
	s_cbranch_vccnz .LBB65_1934
; %bb.1933:
	v_trunc_f32_e32 v0, v0
	s_mov_b32 s0, 0x2f800000
	v_mul_f32_e64 v1, |v0|, s0
	v_floor_f32_e32 v1, v1
	s_mov_b32 s0, 0xcf800000
	v_fma_f32 v1, v1, s0, |v0|
	v_cvt_u32_f32_e32 v1, v1
	v_ashrrev_i32_e32 v0, 31, v0
	v_xor_b32_e32 v1, v1, v0
	v_sub_u32_e32 v0, v1, v0
	global_store_byte v[2:3], v0, off
.LBB65_1934:
	s_mov_b64 s[4:5], -1
.LBB65_1935:
	s_andn2_b64 vcc, exec, s[4:5]
	s_cbranch_vccnz .LBB65_2131
; %bb.1936:
	s_getpc_b64 s[0:1]
	s_add_u32 s0, s0, _ZN16c10_complex_math3expIfEEN3c107complexIT_EERKS4_@rel32@lo+4
	s_addc_u32 s1, s1, _ZN16c10_complex_math3expIfEEN3c107complexIT_EERKS4_@rel32@hi+12
	v_mov_b32_e32 v0, v24
	v_mov_b32_e32 v1, v25
	s_swappc_b64 s[30:31], s[0:1]
	v_mov_b32_e32 v31, 0
	s_cmp_lt_i32 s22, 11
	v_lshl_add_u64 v[2:3], s[20:21], 0, v[30:31]
	s_cbranch_scc1 .LBB65_2014
; %bb.1937:
	s_and_b32 s10, 0xffff, s22
	s_mov_b64 s[6:7], -1
	s_mov_b64 s[2:3], 0
	s_cmp_gt_i32 s10, 25
	s_mov_b64 s[4:5], 0
	s_mov_b64 s[0:1], 0
	s_cbranch_scc0 .LBB65_1970
; %bb.1938:
	s_cmp_gt_i32 s10, 28
	s_cbranch_scc0 .LBB65_1953
; %bb.1939:
	s_cmp_gt_i32 s10, 43
	;; [unrolled: 3-line block ×3, first 2 shown]
	s_cbranch_scc0 .LBB65_1943
; %bb.1941:
	s_mov_b64 s[0:1], -1
	s_mov_b64 s[6:7], 0
	s_cmp_eq_u32 s10, 46
	s_cbranch_scc0 .LBB65_1943
; %bb.1942:
	s_movk_i32 s0, 0x7fff
	v_bfe_u32 v5, v1, 16, 1
	v_add3_u32 v5, v1, v5, s0
	v_bfe_u32 v4, v0, 16, 1
	v_and_b32_e32 v5, 0xffff0000, v5
	v_mov_b32_e32 v6, 0x7fc00000
	v_cmp_o_f32_e32 vcc, v1, v1
	v_add3_u32 v4, v0, v4, s0
	s_mov_b64 s[0:1], 0
	v_cndmask_b32_e32 v5, v6, v5, vcc
	v_cmp_o_f32_e32 vcc, v0, v0
	v_mov_b32_e32 v6, 0x7fc0
	s_mov_b64 s[4:5], -1
	v_cndmask_b32_sdwa v4, v6, v4, vcc dst_sel:DWORD dst_unused:UNUSED_PAD src0_sel:DWORD src1_sel:WORD_1
	v_or_b32_e32 v4, v5, v4
	global_store_dword v[2:3], v4, off
.LBB65_1943:
	s_and_b64 vcc, exec, s[6:7]
	s_cbranch_vccz .LBB65_1948
; %bb.1944:
	s_cmp_eq_u32 s10, 44
	s_mov_b64 s[0:1], -1
	s_cbranch_scc0 .LBB65_1948
; %bb.1945:
	v_bfe_u32 v4, v0, 23, 8
	s_movk_i32 s0, 0xff
	v_cmp_ne_u32_e32 vcc, s0, v4
	v_mov_b32_e32 v5, 0xff
	s_and_saveexec_b64 s[4:5], vcc
; %bb.1946:
	s_mov_b32 s0, 0x3fffff
	v_and_b32_e32 v6, 0x400000, v0
	v_and_or_b32 v4, v0, s0, v4
	v_cmp_ne_u32_e32 vcc, 0, v6
	v_cmp_ne_u32_e64 s[0:1], 0, v4
	s_and_b64 s[0:1], vcc, s[0:1]
	v_lshrrev_b32_e32 v5, 23, v0
	v_cndmask_b32_e64 v4, 0, 1, s[0:1]
	v_add_u32_e32 v5, v5, v4
; %bb.1947:
	s_or_b64 exec, exec, s[4:5]
	s_mov_b64 s[0:1], 0
	s_mov_b64 s[4:5], -1
	global_store_byte v[2:3], v5, off
.LBB65_1948:
	s_mov_b64 s[6:7], 0
.LBB65_1949:
	s_and_b64 vcc, exec, s[6:7]
	s_cbranch_vccz .LBB65_1952
; %bb.1950:
	s_cmp_eq_u32 s10, 29
	s_mov_b64 s[0:1], -1
	s_cbranch_scc0 .LBB65_1952
; %bb.1951:
	v_trunc_f32_e32 v4, v0
	v_mul_f32_e32 v5, 0x2f800000, v4
	v_floor_f32_e32 v6, v5
	v_fmamk_f32 v4, v6, 0xcf800000, v4
	v_cvt_u32_f32_e32 v5, v6
	v_cvt_u32_f32_e32 v4, v4
	s_mov_b64 s[0:1], 0
	s_mov_b64 s[4:5], -1
	global_store_dwordx2 v[2:3], v[4:5], off
.LBB65_1952:
	s_mov_b64 s[6:7], 0
.LBB65_1953:
	s_and_b64 vcc, exec, s[6:7]
	s_cbranch_vccz .LBB65_1969
; %bb.1954:
	s_cmp_lt_i32 s10, 27
	s_mov_b64 s[4:5], -1
	s_cbranch_scc1 .LBB65_1960
; %bb.1955:
	v_cvt_u32_f32_e32 v4, v0
	s_cmp_gt_i32 s10, 27
	s_cbranch_scc0 .LBB65_1957
; %bb.1956:
	s_mov_b64 s[4:5], 0
	global_store_dword v[2:3], v4, off
.LBB65_1957:
	s_andn2_b64 vcc, exec, s[4:5]
	s_cbranch_vccnz .LBB65_1959
; %bb.1958:
	global_store_short v[2:3], v4, off
.LBB65_1959:
	s_mov_b64 s[4:5], 0
.LBB65_1960:
	s_andn2_b64 vcc, exec, s[4:5]
	s_cbranch_vccnz .LBB65_1968
; %bb.1961:
	v_and_b32_e32 v4, 0x7fffffff, v0
	s_mov_b32 s4, 0x43800000
	v_cmp_gt_u32_e32 vcc, s4, v4
	v_mov_b32_e32 v5, 0x80
	s_and_saveexec_b64 s[4:5], vcc
	s_cbranch_execz .LBB65_1967
; %bb.1962:
	s_mov_b32 s6, 0x3bffffff
	v_cmp_lt_u32_e32 vcc, s6, v4
	s_mov_b64 s[6:7], 0
                                        ; implicit-def: $vgpr4
	s_and_saveexec_b64 s[8:9], vcc
	s_xor_b64 s[8:9], exec, s[8:9]
	s_cbranch_execz .LBB65_2187
; %bb.1963:
	v_bfe_u32 v4, v0, 20, 1
	s_mov_b32 s11, 0x487ffff
	v_add3_u32 v4, v0, v4, s11
	s_mov_b64 s[6:7], exec
	v_lshrrev_b32_e32 v4, 20, v4
	s_andn2_saveexec_b64 s[8:9], s[8:9]
	s_cbranch_execnz .LBB65_2188
.LBB65_1964:
	s_or_b64 exec, exec, s[8:9]
	v_mov_b32_e32 v5, 0
	s_and_saveexec_b64 s[8:9], s[6:7]
.LBB65_1965:
	v_lshrrev_b32_e32 v5, 24, v0
	s_movk_i32 s6, 0x80
	v_and_or_b32 v5, v5, s6, v4
.LBB65_1966:
	s_or_b64 exec, exec, s[8:9]
.LBB65_1967:
	s_or_b64 exec, exec, s[4:5]
	global_store_byte v[2:3], v5, off
.LBB65_1968:
	s_mov_b64 s[4:5], -1
.LBB65_1969:
	s_mov_b64 s[6:7], 0
.LBB65_1970:
	s_and_b64 vcc, exec, s[6:7]
	s_cbranch_vccz .LBB65_2010
; %bb.1971:
	s_cmp_gt_i32 s10, 22
	s_mov_b64 s[2:3], -1
	s_cbranch_scc0 .LBB65_2003
; %bb.1972:
	s_cmp_lt_i32 s10, 24
	s_cbranch_scc1 .LBB65_1992
; %bb.1973:
	s_cmp_gt_i32 s10, 24
	s_cbranch_scc0 .LBB65_1981
; %bb.1974:
	v_and_b32_e32 v4, 0x7fffffff, v0
	s_mov_b32 s2, 0x47800000
	v_cmp_gt_u32_e32 vcc, s2, v4
	v_mov_b32_e32 v5, 0x80
	s_and_saveexec_b64 s[2:3], vcc
	s_cbranch_execz .LBB65_1980
; %bb.1975:
	s_mov_b32 s4, 0x37ffffff
	v_cmp_lt_u32_e32 vcc, s4, v4
	s_mov_b64 s[4:5], 0
                                        ; implicit-def: $vgpr4
	s_and_saveexec_b64 s[6:7], vcc
	s_xor_b64 s[6:7], exec, s[6:7]
	s_cbranch_execz .LBB65_2190
; %bb.1976:
	v_bfe_u32 v4, v0, 21, 1
	s_mov_b32 s8, 0x88fffff
	v_add3_u32 v4, v0, v4, s8
	s_mov_b64 s[4:5], exec
	v_lshrrev_b32_e32 v4, 21, v4
	s_andn2_saveexec_b64 s[6:7], s[6:7]
	s_cbranch_execnz .LBB65_2191
.LBB65_1977:
	s_or_b64 exec, exec, s[6:7]
	v_mov_b32_e32 v5, 0
	s_and_saveexec_b64 s[6:7], s[4:5]
.LBB65_1978:
	v_lshrrev_b32_e32 v5, 24, v0
	s_movk_i32 s4, 0x80
	v_and_or_b32 v5, v5, s4, v4
.LBB65_1979:
	s_or_b64 exec, exec, s[6:7]
.LBB65_1980:
	s_or_b64 exec, exec, s[2:3]
	s_mov_b64 s[2:3], 0
	global_store_byte v[2:3], v5, off
.LBB65_1981:
	s_and_b64 vcc, exec, s[2:3]
	s_cbranch_vccz .LBB65_1991
; %bb.1982:
	v_and_b32_e32 v5, 0x7fffffff, v0
	s_mov_b32 s2, 0x43f00000
	v_cmp_gt_u32_e32 vcc, s2, v5
                                        ; implicit-def: $vgpr4
	s_and_saveexec_b64 s[2:3], vcc
	s_xor_b64 s[2:3], exec, s[2:3]
	s_cbranch_execz .LBB65_1988
; %bb.1983:
	s_mov_b32 s4, 0x3c7fffff
	v_cmp_lt_u32_e32 vcc, s4, v5
                                        ; implicit-def: $vgpr4
	s_and_saveexec_b64 s[4:5], vcc
	s_xor_b64 s[4:5], exec, s[4:5]
; %bb.1984:
	v_bfe_u32 v4, v0, 20, 1
	s_mov_b32 s6, 0x407ffff
	v_add3_u32 v4, v0, v4, s6
	v_lshrrev_b32_e32 v5, 20, v4
	v_and_b32_e32 v4, 0xff00000, v4
	s_mov_b32 s6, 0x7f00000
	v_mov_b32_e32 v6, 0x7e
	v_cmp_ne_u32_e32 vcc, s6, v4
	s_nop 1
	v_cndmask_b32_e32 v4, v6, v5, vcc
; %bb.1985:
	s_andn2_saveexec_b64 s[4:5], s[4:5]
; %bb.1986:
	s_mov_b32 s6, 0x46800000
	v_add_f32_e64 v4, |v0|, s6
; %bb.1987:
	s_or_b64 exec, exec, s[4:5]
                                        ; implicit-def: $vgpr5
.LBB65_1988:
	s_andn2_saveexec_b64 s[2:3], s[2:3]
; %bb.1989:
	s_mov_b32 s4, 0x7f800000
	v_mov_b32_e32 v4, 0x7e
	v_mov_b32_e32 v6, 0x7f
	v_cmp_lt_u32_e32 vcc, s4, v5
	s_nop 1
	v_cndmask_b32_e32 v4, v4, v6, vcc
; %bb.1990:
	s_or_b64 exec, exec, s[2:3]
	v_lshrrev_b32_e32 v5, 24, v0
	s_movk_i32 s2, 0x80
	v_and_or_b32 v4, v5, s2, v4
	global_store_byte v[2:3], v4, off
.LBB65_1991:
	s_mov_b64 s[2:3], 0
.LBB65_1992:
	s_andn2_b64 vcc, exec, s[2:3]
	s_cbranch_vccnz .LBB65_2002
; %bb.1993:
	v_and_b32_e32 v5, 0x7fffffff, v0
	s_mov_b32 s2, 0x47800000
	v_cmp_gt_u32_e32 vcc, s2, v5
                                        ; implicit-def: $vgpr4
	s_and_saveexec_b64 s[2:3], vcc
	s_xor_b64 s[2:3], exec, s[2:3]
	s_cbranch_execz .LBB65_1999
; %bb.1994:
	s_mov_b32 s4, 0x387fffff
	v_cmp_lt_u32_e32 vcc, s4, v5
                                        ; implicit-def: $vgpr4
	s_and_saveexec_b64 s[4:5], vcc
	s_xor_b64 s[4:5], exec, s[4:5]
; %bb.1995:
	v_bfe_u32 v4, v0, 21, 1
	s_mov_b32 s6, 0x80fffff
	v_add3_u32 v4, v0, v4, s6
	v_lshrrev_b32_e32 v4, 21, v4
; %bb.1996:
	s_andn2_saveexec_b64 s[4:5], s[4:5]
; %bb.1997:
	s_mov_b32 s6, 0x43000000
	v_add_f32_e64 v4, |v0|, s6
; %bb.1998:
	s_or_b64 exec, exec, s[4:5]
                                        ; implicit-def: $vgpr5
.LBB65_1999:
	s_andn2_saveexec_b64 s[2:3], s[2:3]
; %bb.2000:
	s_mov_b32 s4, 0x7f800000
	v_mov_b32_e32 v4, 0x7c
	v_mov_b32_e32 v6, 0x7f
	v_cmp_lt_u32_e32 vcc, s4, v5
	s_nop 1
	v_cndmask_b32_e32 v4, v4, v6, vcc
; %bb.2001:
	s_or_b64 exec, exec, s[2:3]
	v_lshrrev_b32_e32 v5, 24, v0
	s_movk_i32 s2, 0x80
	v_and_or_b32 v4, v5, s2, v4
	global_store_byte v[2:3], v4, off
.LBB65_2002:
	s_mov_b64 s[2:3], 0
	s_mov_b64 s[4:5], -1
.LBB65_2003:
	s_andn2_b64 vcc, exec, s[2:3]
	s_mov_b64 s[2:3], 0
	s_cbranch_vccnz .LBB65_2010
; %bb.2004:
	s_cmp_gt_i32 s10, 14
	s_mov_b64 s[6:7], -1
	s_cbranch_scc0 .LBB65_2008
; %bb.2005:
	s_cmp_eq_u32 s10, 15
	s_mov_b64 s[0:1], -1
	s_cbranch_scc0 .LBB65_2007
; %bb.2006:
	v_bfe_u32 v4, v0, 16, 1
	s_movk_i32 s0, 0x7fff
	v_add3_u32 v4, v0, v4, s0
	v_cmp_o_f32_e32 vcc, v0, v0
	v_mov_b32_e32 v5, 0x7fc0
	s_mov_b64 s[0:1], 0
	v_cndmask_b32_sdwa v4, v5, v4, vcc dst_sel:DWORD dst_unused:UNUSED_PAD src0_sel:DWORD src1_sel:WORD_1
	global_store_short v[2:3], v4, off
	s_mov_b64 s[4:5], -1
.LBB65_2007:
	s_mov_b64 s[6:7], 0
.LBB65_2008:
	s_and_b64 vcc, exec, s[6:7]
	s_cbranch_vccz .LBB65_2010
; %bb.2009:
	s_cmp_lg_u32 s10, 11
	s_mov_b64 s[2:3], -1
	s_cselect_b64 s[0:1], -1, 0
.LBB65_2010:
	s_and_b64 vcc, exec, s[0:1]
	s_cbranch_vccnz .LBB65_2189
; %bb.2011:
	s_andn2_b64 vcc, exec, s[2:3]
	s_cbranch_vccnz .LBB65_2013
.LBB65_2012:
	s_brev_b32 s0, -2
	v_bitop3_b32 v4, v0, s0, v1 bitop3:0xc8
	v_cmp_ne_u32_e32 vcc, 0, v4
	s_mov_b64 s[4:5], -1
	s_nop 0
	v_cndmask_b32_e64 v4, 0, 1, vcc
	global_store_byte v[2:3], v4, off
.LBB65_2013:
	s_mov_b64 s[0:1], 0
	s_branch .LBB65_2015
.LBB65_2014:
	s_mov_b64 s[0:1], -1
	s_mov_b64 s[4:5], 0
.LBB65_2015:
	s_and_b64 vcc, exec, s[0:1]
	s_cbranch_vccz .LBB65_2054
; %bb.2016:
	s_and_b32 s2, 0xffff, s22
	s_cmp_lt_i32 s2, 5
	s_mov_b64 s[0:1], -1
	s_cbranch_scc1 .LBB65_2037
; %bb.2017:
	s_cmp_lt_i32 s2, 8
	s_cbranch_scc1 .LBB65_2027
; %bb.2018:
	s_cmp_lt_i32 s2, 9
	s_cbranch_scc1 .LBB65_2024
; %bb.2019:
	s_cmp_gt_i32 s2, 9
	s_cbranch_scc0 .LBB65_2021
; %bb.2020:
	v_cvt_f64_f32_e32 v[4:5], v0
	v_cvt_f64_f32_e32 v[6:7], v1
	global_store_dwordx4 v[2:3], v[4:7], off
	s_mov_b64 s[0:1], 0
.LBB65_2021:
	s_andn2_b64 vcc, exec, s[0:1]
	s_cbranch_vccnz .LBB65_2023
; %bb.2022:
	global_store_dwordx2 v[2:3], v[0:1], off
.LBB65_2023:
	s_mov_b64 s[0:1], 0
.LBB65_2024:
	s_andn2_b64 vcc, exec, s[0:1]
	s_cbranch_vccnz .LBB65_2026
; %bb.2025:
	v_cvt_f16_f32_e32 v4, v0
	v_cvt_f16_f32_sdwa v1, v1 dst_sel:WORD_1 dst_unused:UNUSED_PAD src0_sel:DWORD
	s_nop 0
	v_or_b32_e32 v1, v1, v4
	global_store_dword v[2:3], v1, off
.LBB65_2026:
	s_mov_b64 s[0:1], 0
.LBB65_2027:
	s_andn2_b64 vcc, exec, s[0:1]
	s_cbranch_vccnz .LBB65_2036
; %bb.2028:
	s_cmp_lt_i32 s2, 6
	s_mov_b64 s[0:1], -1
	s_cbranch_scc1 .LBB65_2034
; %bb.2029:
	s_cmp_gt_i32 s2, 6
	s_cbranch_scc0 .LBB65_2031
; %bb.2030:
	v_cvt_f64_f32_e32 v[4:5], v0
	global_store_dwordx2 v[2:3], v[4:5], off
	s_mov_b64 s[0:1], 0
.LBB65_2031:
	s_andn2_b64 vcc, exec, s[0:1]
	s_cbranch_vccnz .LBB65_2033
; %bb.2032:
	global_store_dword v[2:3], v0, off
.LBB65_2033:
	s_mov_b64 s[0:1], 0
.LBB65_2034:
	s_andn2_b64 vcc, exec, s[0:1]
	s_cbranch_vccnz .LBB65_2036
; %bb.2035:
	v_cvt_f16_f32_e32 v1, v0
	global_store_short v[2:3], v1, off
.LBB65_2036:
	s_mov_b64 s[0:1], 0
.LBB65_2037:
	s_andn2_b64 vcc, exec, s[0:1]
	s_cbranch_vccnz .LBB65_2053
; %bb.2038:
	s_cmp_lt_i32 s2, 2
	s_mov_b64 s[0:1], -1
	s_cbranch_scc1 .LBB65_2048
; %bb.2039:
	s_cmp_lt_i32 s2, 3
	s_cbranch_scc1 .LBB65_2045
; %bb.2040:
	s_cmp_gt_i32 s2, 3
	s_cbranch_scc0 .LBB65_2042
; %bb.2041:
	v_trunc_f32_e32 v1, v0
	s_mov_b32 s0, 0x2f800000
	v_mul_f32_e64 v4, |v1|, s0
	v_floor_f32_e32 v4, v4
	s_mov_b32 s0, 0xcf800000
	v_cvt_u32_f32_e32 v5, v4
	v_fma_f32 v4, v4, s0, |v1|
	v_cvt_u32_f32_e32 v4, v4
	v_ashrrev_i32_e32 v1, 31, v1
	v_xor_b32_e32 v5, v5, v1
	s_mov_b64 s[0:1], 0
	v_xor_b32_e32 v4, v4, v1
	v_sub_co_u32_e32 v4, vcc, v4, v1
	s_nop 1
	v_subb_co_u32_e32 v5, vcc, v5, v1, vcc
	global_store_dwordx2 v[2:3], v[4:5], off
.LBB65_2042:
	s_andn2_b64 vcc, exec, s[0:1]
	s_cbranch_vccnz .LBB65_2044
; %bb.2043:
	v_cvt_i32_f32_e32 v1, v0
	global_store_dword v[2:3], v1, off
.LBB65_2044:
	s_mov_b64 s[0:1], 0
.LBB65_2045:
	s_andn2_b64 vcc, exec, s[0:1]
	s_cbranch_vccnz .LBB65_2047
; %bb.2046:
	v_cvt_i32_f32_e32 v1, v0
	global_store_short v[2:3], v1, off
.LBB65_2047:
	s_mov_b64 s[0:1], 0
.LBB65_2048:
	s_andn2_b64 vcc, exec, s[0:1]
	s_cbranch_vccnz .LBB65_2053
; %bb.2049:
	s_cmp_gt_i32 s2, 0
	s_mov_b64 s[0:1], -1
	s_cbranch_scc0 .LBB65_2051
; %bb.2050:
	v_cvt_i32_f32_e32 v1, v0
	s_mov_b64 s[0:1], 0
	global_store_byte v[2:3], v1, off
.LBB65_2051:
	s_andn2_b64 vcc, exec, s[0:1]
	s_cbranch_vccnz .LBB65_2053
; %bb.2052:
	v_trunc_f32_e32 v0, v0
	s_mov_b32 s0, 0x2f800000
	v_mul_f32_e64 v1, |v0|, s0
	v_floor_f32_e32 v1, v1
	s_mov_b32 s0, 0xcf800000
	v_fma_f32 v1, v1, s0, |v0|
	v_cvt_u32_f32_e32 v1, v1
	v_ashrrev_i32_e32 v0, 31, v0
	v_xor_b32_e32 v1, v1, v0
	v_sub_u32_e32 v0, v1, v0
	global_store_byte v[2:3], v0, off
.LBB65_2053:
	s_mov_b64 s[4:5], -1
.LBB65_2054:
	s_andn2_b64 vcc, exec, s[4:5]
	s_cbranch_vccnz .LBB65_2131
; %bb.2055:
	s_getpc_b64 s[0:1]
	s_add_u32 s0, s0, _ZN16c10_complex_math3expIfEEN3c107complexIT_EERKS4_@rel32@lo+4
	s_addc_u32 s1, s1, _ZN16c10_complex_math3expIfEEN3c107complexIT_EERKS4_@rel32@hi+12
	v_mov_b32_e32 v0, v26
	v_mov_b32_e32 v1, v27
	s_swappc_b64 s[30:31], s[0:1]
	v_mov_b32_e32 v29, 0
	s_cmp_lt_i32 s22, 11
	v_lshl_add_u64 v[2:3], s[20:21], 0, v[28:29]
	s_cbranch_scc1 .LBB65_2176
; %bb.2056:
	s_and_b32 s10, 0xffff, s22
	s_mov_b64 s[4:5], -1
	s_mov_b64 s[2:3], 0
	s_cmp_gt_i32 s10, 25
	s_mov_b64 s[0:1], 0
	s_cbranch_scc0 .LBB65_2089
; %bb.2057:
	s_cmp_gt_i32 s10, 28
	s_cbranch_scc0 .LBB65_2073
; %bb.2058:
	s_cmp_gt_i32 s10, 43
	;; [unrolled: 3-line block ×3, first 2 shown]
	s_cbranch_scc0 .LBB65_2063
; %bb.2060:
	s_cmp_eq_u32 s10, 46
	s_mov_b64 s[0:1], -1
	s_cbranch_scc0 .LBB65_2062
; %bb.2061:
	s_movk_i32 s0, 0x7fff
	v_bfe_u32 v5, v1, 16, 1
	v_add3_u32 v5, v1, v5, s0
	v_bfe_u32 v4, v0, 16, 1
	v_and_b32_e32 v5, 0xffff0000, v5
	v_mov_b32_e32 v6, 0x7fc00000
	v_cmp_o_f32_e32 vcc, v1, v1
	v_add3_u32 v4, v0, v4, s0
	s_mov_b64 s[0:1], 0
	v_cndmask_b32_e32 v5, v6, v5, vcc
	v_cmp_o_f32_e32 vcc, v0, v0
	v_mov_b32_e32 v6, 0x7fc0
	s_nop 0
	v_cndmask_b32_sdwa v4, v6, v4, vcc dst_sel:DWORD dst_unused:UNUSED_PAD src0_sel:DWORD src1_sel:WORD_1
	v_or_b32_e32 v4, v5, v4
	global_store_dword v[2:3], v4, off
.LBB65_2062:
	s_mov_b64 s[4:5], 0
.LBB65_2063:
	s_and_b64 vcc, exec, s[4:5]
	s_cbranch_vccz .LBB65_2068
; %bb.2064:
	s_cmp_eq_u32 s10, 44
	s_mov_b64 s[0:1], -1
	s_cbranch_scc0 .LBB65_2068
; %bb.2065:
	v_bfe_u32 v4, v0, 23, 8
	s_movk_i32 s0, 0xff
	v_cmp_ne_u32_e32 vcc, s0, v4
	v_mov_b32_e32 v5, 0xff
	s_and_saveexec_b64 s[4:5], vcc
; %bb.2066:
	s_mov_b32 s0, 0x3fffff
	v_and_b32_e32 v6, 0x400000, v0
	v_and_or_b32 v4, v0, s0, v4
	v_cmp_ne_u32_e32 vcc, 0, v6
	v_cmp_ne_u32_e64 s[0:1], 0, v4
	s_and_b64 s[0:1], vcc, s[0:1]
	v_lshrrev_b32_e32 v5, 23, v0
	v_cndmask_b32_e64 v4, 0, 1, s[0:1]
	v_add_u32_e32 v5, v5, v4
; %bb.2067:
	s_or_b64 exec, exec, s[4:5]
	s_mov_b64 s[0:1], 0
	global_store_byte v[2:3], v5, off
.LBB65_2068:
	s_mov_b64 s[4:5], 0
.LBB65_2069:
	s_and_b64 vcc, exec, s[4:5]
	s_cbranch_vccz .LBB65_2072
; %bb.2070:
	s_cmp_eq_u32 s10, 29
	s_mov_b64 s[0:1], -1
	s_cbranch_scc0 .LBB65_2072
; %bb.2071:
	v_trunc_f32_e32 v4, v0
	v_mul_f32_e32 v5, 0x2f800000, v4
	v_floor_f32_e32 v6, v5
	v_fmamk_f32 v4, v6, 0xcf800000, v4
	v_cvt_u32_f32_e32 v5, v6
	v_cvt_u32_f32_e32 v4, v4
	s_mov_b64 s[0:1], 0
	global_store_dwordx2 v[2:3], v[4:5], off
.LBB65_2072:
	s_mov_b64 s[4:5], 0
.LBB65_2073:
	s_and_b64 vcc, exec, s[4:5]
	s_cbranch_vccz .LBB65_2088
; %bb.2074:
	s_cmp_lt_i32 s10, 27
	s_mov_b64 s[4:5], -1
	s_cbranch_scc1 .LBB65_2080
; %bb.2075:
	s_cmp_gt_i32 s10, 27
	s_cbranch_scc0 .LBB65_2077
; %bb.2076:
	v_cvt_u32_f32_e32 v4, v0
	s_mov_b64 s[4:5], 0
	global_store_dword v[2:3], v4, off
.LBB65_2077:
	s_andn2_b64 vcc, exec, s[4:5]
	s_cbranch_vccnz .LBB65_2079
; %bb.2078:
	v_cvt_u32_f32_e32 v4, v0
	global_store_short v[2:3], v4, off
.LBB65_2079:
	s_mov_b64 s[4:5], 0
.LBB65_2080:
	s_andn2_b64 vcc, exec, s[4:5]
	s_cbranch_vccnz .LBB65_2088
; %bb.2081:
	v_and_b32_e32 v4, 0x7fffffff, v0
	s_mov_b32 s4, 0x43800000
	v_cmp_gt_u32_e32 vcc, s4, v4
	v_mov_b32_e32 v5, 0x80
	s_and_saveexec_b64 s[4:5], vcc
	s_cbranch_execz .LBB65_2087
; %bb.2082:
	s_mov_b32 s6, 0x3bffffff
	v_cmp_lt_u32_e32 vcc, s6, v4
	s_mov_b64 s[6:7], 0
                                        ; implicit-def: $vgpr4
	s_and_saveexec_b64 s[8:9], vcc
	s_xor_b64 s[8:9], exec, s[8:9]
	s_cbranch_execz .LBB65_2192
; %bb.2083:
	v_bfe_u32 v4, v0, 20, 1
	s_mov_b32 s11, 0x487ffff
	v_add3_u32 v4, v0, v4, s11
	s_mov_b64 s[6:7], exec
	v_lshrrev_b32_e32 v4, 20, v4
	s_andn2_saveexec_b64 s[8:9], s[8:9]
	s_cbranch_execnz .LBB65_2193
.LBB65_2084:
	s_or_b64 exec, exec, s[8:9]
	v_mov_b32_e32 v5, 0
	s_and_saveexec_b64 s[8:9], s[6:7]
.LBB65_2085:
	v_lshrrev_b32_e32 v5, 24, v0
	s_movk_i32 s6, 0x80
	v_and_or_b32 v5, v5, s6, v4
.LBB65_2086:
	s_or_b64 exec, exec, s[8:9]
.LBB65_2087:
	s_or_b64 exec, exec, s[4:5]
	global_store_byte v[2:3], v5, off
.LBB65_2088:
	s_mov_b64 s[4:5], 0
.LBB65_2089:
	s_and_b64 vcc, exec, s[4:5]
	s_cbranch_vccz .LBB65_2129
; %bb.2090:
	s_cmp_gt_i32 s10, 22
	s_mov_b64 s[2:3], -1
	s_cbranch_scc0 .LBB65_2122
; %bb.2091:
	s_cmp_lt_i32 s10, 24
	s_cbranch_scc1 .LBB65_2111
; %bb.2092:
	s_cmp_gt_i32 s10, 24
	s_cbranch_scc0 .LBB65_2100
; %bb.2093:
	v_and_b32_e32 v4, 0x7fffffff, v0
	s_mov_b32 s2, 0x47800000
	v_cmp_gt_u32_e32 vcc, s2, v4
	v_mov_b32_e32 v5, 0x80
	s_and_saveexec_b64 s[2:3], vcc
	s_cbranch_execz .LBB65_2099
; %bb.2094:
	s_mov_b32 s4, 0x37ffffff
	v_cmp_lt_u32_e32 vcc, s4, v4
	s_mov_b64 s[4:5], 0
                                        ; implicit-def: $vgpr4
	s_and_saveexec_b64 s[6:7], vcc
	s_xor_b64 s[6:7], exec, s[6:7]
	s_cbranch_execz .LBB65_2195
; %bb.2095:
	v_bfe_u32 v4, v0, 21, 1
	s_mov_b32 s8, 0x88fffff
	v_add3_u32 v4, v0, v4, s8
	s_mov_b64 s[4:5], exec
	v_lshrrev_b32_e32 v4, 21, v4
	s_andn2_saveexec_b64 s[6:7], s[6:7]
	s_cbranch_execnz .LBB65_2196
.LBB65_2096:
	s_or_b64 exec, exec, s[6:7]
	v_mov_b32_e32 v5, 0
	s_and_saveexec_b64 s[6:7], s[4:5]
.LBB65_2097:
	v_lshrrev_b32_e32 v5, 24, v0
	s_movk_i32 s4, 0x80
	v_and_or_b32 v5, v5, s4, v4
.LBB65_2098:
	s_or_b64 exec, exec, s[6:7]
.LBB65_2099:
	s_or_b64 exec, exec, s[2:3]
	s_mov_b64 s[2:3], 0
	global_store_byte v[2:3], v5, off
.LBB65_2100:
	s_and_b64 vcc, exec, s[2:3]
	s_cbranch_vccz .LBB65_2110
; %bb.2101:
	v_and_b32_e32 v5, 0x7fffffff, v0
	s_mov_b32 s2, 0x43f00000
	v_cmp_gt_u32_e32 vcc, s2, v5
                                        ; implicit-def: $vgpr4
	s_and_saveexec_b64 s[2:3], vcc
	s_xor_b64 s[2:3], exec, s[2:3]
	s_cbranch_execz .LBB65_2107
; %bb.2102:
	s_mov_b32 s4, 0x3c7fffff
	v_cmp_lt_u32_e32 vcc, s4, v5
                                        ; implicit-def: $vgpr4
	s_and_saveexec_b64 s[4:5], vcc
	s_xor_b64 s[4:5], exec, s[4:5]
; %bb.2103:
	v_bfe_u32 v4, v0, 20, 1
	s_mov_b32 s6, 0x407ffff
	v_add3_u32 v4, v0, v4, s6
	v_lshrrev_b32_e32 v5, 20, v4
	v_and_b32_e32 v4, 0xff00000, v4
	s_mov_b32 s6, 0x7f00000
	v_mov_b32_e32 v6, 0x7e
	v_cmp_ne_u32_e32 vcc, s6, v4
	s_nop 1
	v_cndmask_b32_e32 v4, v6, v5, vcc
; %bb.2104:
	s_andn2_saveexec_b64 s[4:5], s[4:5]
; %bb.2105:
	s_mov_b32 s6, 0x46800000
	v_add_f32_e64 v4, |v0|, s6
; %bb.2106:
	s_or_b64 exec, exec, s[4:5]
                                        ; implicit-def: $vgpr5
.LBB65_2107:
	s_andn2_saveexec_b64 s[2:3], s[2:3]
; %bb.2108:
	s_mov_b32 s4, 0x7f800000
	v_mov_b32_e32 v4, 0x7e
	v_mov_b32_e32 v6, 0x7f
	v_cmp_lt_u32_e32 vcc, s4, v5
	s_nop 1
	v_cndmask_b32_e32 v4, v4, v6, vcc
; %bb.2109:
	s_or_b64 exec, exec, s[2:3]
	v_lshrrev_b32_e32 v5, 24, v0
	s_movk_i32 s2, 0x80
	v_and_or_b32 v4, v5, s2, v4
	global_store_byte v[2:3], v4, off
.LBB65_2110:
	s_mov_b64 s[2:3], 0
.LBB65_2111:
	s_andn2_b64 vcc, exec, s[2:3]
	s_cbranch_vccnz .LBB65_2121
; %bb.2112:
	v_and_b32_e32 v5, 0x7fffffff, v0
	s_mov_b32 s2, 0x47800000
	v_cmp_gt_u32_e32 vcc, s2, v5
                                        ; implicit-def: $vgpr4
	s_and_saveexec_b64 s[2:3], vcc
	s_xor_b64 s[2:3], exec, s[2:3]
	s_cbranch_execz .LBB65_2118
; %bb.2113:
	s_mov_b32 s4, 0x387fffff
	v_cmp_lt_u32_e32 vcc, s4, v5
                                        ; implicit-def: $vgpr4
	s_and_saveexec_b64 s[4:5], vcc
	s_xor_b64 s[4:5], exec, s[4:5]
; %bb.2114:
	v_bfe_u32 v4, v0, 21, 1
	s_mov_b32 s6, 0x80fffff
	v_add3_u32 v4, v0, v4, s6
	v_lshrrev_b32_e32 v4, 21, v4
; %bb.2115:
	s_andn2_saveexec_b64 s[4:5], s[4:5]
; %bb.2116:
	s_mov_b32 s6, 0x43000000
	v_add_f32_e64 v4, |v0|, s6
; %bb.2117:
	s_or_b64 exec, exec, s[4:5]
                                        ; implicit-def: $vgpr5
.LBB65_2118:
	s_andn2_saveexec_b64 s[2:3], s[2:3]
; %bb.2119:
	s_mov_b32 s4, 0x7f800000
	v_mov_b32_e32 v4, 0x7c
	v_mov_b32_e32 v6, 0x7f
	v_cmp_lt_u32_e32 vcc, s4, v5
	s_nop 1
	v_cndmask_b32_e32 v4, v4, v6, vcc
; %bb.2120:
	s_or_b64 exec, exec, s[2:3]
	v_lshrrev_b32_e32 v5, 24, v0
	s_movk_i32 s2, 0x80
	v_and_or_b32 v4, v5, s2, v4
	global_store_byte v[2:3], v4, off
.LBB65_2121:
	s_mov_b64 s[2:3], 0
.LBB65_2122:
	s_andn2_b64 vcc, exec, s[2:3]
	s_mov_b64 s[2:3], 0
	s_cbranch_vccnz .LBB65_2129
; %bb.2123:
	s_cmp_gt_i32 s10, 14
	s_mov_b64 s[4:5], -1
	s_cbranch_scc0 .LBB65_2127
; %bb.2124:
	s_cmp_eq_u32 s10, 15
	s_mov_b64 s[0:1], -1
	s_cbranch_scc0 .LBB65_2126
; %bb.2125:
	v_bfe_u32 v4, v0, 16, 1
	s_movk_i32 s0, 0x7fff
	v_add3_u32 v4, v0, v4, s0
	v_cmp_o_f32_e32 vcc, v0, v0
	v_mov_b32_e32 v5, 0x7fc0
	s_mov_b64 s[0:1], 0
	v_cndmask_b32_sdwa v4, v5, v4, vcc dst_sel:DWORD dst_unused:UNUSED_PAD src0_sel:DWORD src1_sel:WORD_1
	global_store_short v[2:3], v4, off
.LBB65_2126:
	s_mov_b64 s[4:5], 0
.LBB65_2127:
	s_and_b64 vcc, exec, s[4:5]
	s_cbranch_vccz .LBB65_2129
; %bb.2128:
	s_cmp_lg_u32 s10, 11
	s_mov_b64 s[2:3], -1
	s_cselect_b64 s[0:1], -1, 0
.LBB65_2129:
	s_and_b64 vcc, exec, s[0:1]
	s_cbranch_vccnz .LBB65_2194
.LBB65_2130:
	s_mov_b64 s[0:1], 0
	s_branch .LBB65_2132
.LBB65_2131:
	s_mov_b64 s[0:1], 0
	s_mov_b64 s[2:3], 0
                                        ; implicit-def: $vgpr2_vgpr3
                                        ; implicit-def: $sgpr22
                                        ; implicit-def: $vgpr0
.LBB65_2132:
	s_and_b64 s[40:41], s[2:3], exec
	s_andn2_b64 s[2:3], s[28:29], exec
	s_and_b64 s[4:5], s[18:19], exec
	s_and_b64 s[0:1], s[0:1], exec
	s_or_b64 s[28:29], s[2:3], s[4:5]
.LBB65_2133:
	s_or_b64 exec, exec, s[36:37]
	s_and_saveexec_b64 s[2:3], s[28:29]
	s_cbranch_execz .LBB65_2136
; %bb.2134:
	; divergent unreachable
	s_or_b64 exec, exec, s[2:3]
	s_and_saveexec_b64 s[2:3], s[40:41]
	s_xor_b64 s[2:3], exec, s[2:3]
	s_cbranch_execnz .LBB65_2137
.LBB65_2135:
	s_or_b64 exec, exec, s[2:3]
	s_and_saveexec_b64 s[2:3], s[0:1]
	s_cbranch_execnz .LBB65_2138
	s_branch .LBB65_2175
.LBB65_2136:
	s_or_b64 exec, exec, s[2:3]
	s_and_saveexec_b64 s[2:3], s[40:41]
	s_xor_b64 s[2:3], exec, s[2:3]
	s_cbranch_execz .LBB65_2135
.LBB65_2137:
	s_brev_b32 s4, -2
	s_waitcnt vmcnt(0)
	v_bitop3_b32 v4, v0, s4, v1 bitop3:0xc8
	v_cmp_ne_u32_e32 vcc, 0, v4
	s_nop 1
	v_cndmask_b32_e64 v4, 0, 1, vcc
	global_store_byte v[2:3], v4, off
	s_or_b64 exec, exec, s[2:3]
	s_and_saveexec_b64 s[2:3], s[0:1]
	s_cbranch_execz .LBB65_2175
.LBB65_2138:
	s_sext_i32_i16 s2, s22
	s_cmp_lt_i32 s2, 5
	s_mov_b64 s[0:1], -1
	s_cbranch_scc1 .LBB65_2159
; %bb.2139:
	s_cmp_lt_i32 s2, 8
	s_cbranch_scc1 .LBB65_2149
; %bb.2140:
	s_cmp_lt_i32 s2, 9
	s_cbranch_scc1 .LBB65_2146
; %bb.2141:
	s_cmp_gt_i32 s2, 9
	s_cbranch_scc0 .LBB65_2143
; %bb.2142:
	s_waitcnt vmcnt(0)
	v_cvt_f64_f32_e32 v[4:5], v0
	v_cvt_f64_f32_e32 v[6:7], v1
	global_store_dwordx4 v[2:3], v[4:7], off
	s_mov_b64 s[0:1], 0
.LBB65_2143:
	s_andn2_b64 vcc, exec, s[0:1]
	s_cbranch_vccnz .LBB65_2145
; %bb.2144:
	s_waitcnt vmcnt(0)
	global_store_dwordx2 v[2:3], v[0:1], off
.LBB65_2145:
	s_mov_b64 s[0:1], 0
.LBB65_2146:
	s_andn2_b64 vcc, exec, s[0:1]
	s_cbranch_vccnz .LBB65_2148
; %bb.2147:
	s_waitcnt vmcnt(0)
	v_cvt_f16_f32_e32 v4, v0
	v_cvt_f16_f32_sdwa v1, v1 dst_sel:WORD_1 dst_unused:UNUSED_PAD src0_sel:DWORD
	s_nop 0
	v_or_b32_e32 v1, v1, v4
	global_store_dword v[2:3], v1, off
.LBB65_2148:
	s_mov_b64 s[0:1], 0
.LBB65_2149:
	s_andn2_b64 vcc, exec, s[0:1]
	s_cbranch_vccnz .LBB65_2158
; %bb.2150:
	s_sext_i32_i16 s2, s22
	s_cmp_lt_i32 s2, 6
	s_mov_b64 s[0:1], -1
	s_cbranch_scc1 .LBB65_2156
; %bb.2151:
	s_cmp_gt_i32 s2, 6
	s_cbranch_scc0 .LBB65_2153
; %bb.2152:
	s_waitcnt vmcnt(0)
	v_cvt_f64_f32_e32 v[4:5], v0
	global_store_dwordx2 v[2:3], v[4:5], off
	s_mov_b64 s[0:1], 0
.LBB65_2153:
	s_andn2_b64 vcc, exec, s[0:1]
	s_cbranch_vccnz .LBB65_2155
; %bb.2154:
	s_waitcnt vmcnt(0)
	global_store_dword v[2:3], v0, off
.LBB65_2155:
	s_mov_b64 s[0:1], 0
.LBB65_2156:
	s_andn2_b64 vcc, exec, s[0:1]
	s_cbranch_vccnz .LBB65_2158
; %bb.2157:
	s_waitcnt vmcnt(0)
	v_cvt_f16_f32_e32 v1, v0
	global_store_short v[2:3], v1, off
.LBB65_2158:
	s_mov_b64 s[0:1], 0
.LBB65_2159:
	s_andn2_b64 vcc, exec, s[0:1]
	s_cbranch_vccnz .LBB65_2175
; %bb.2160:
	s_sext_i32_i16 s2, s22
	s_cmp_lt_i32 s2, 2
	s_mov_b64 s[0:1], -1
	s_cbranch_scc1 .LBB65_2170
; %bb.2161:
	s_cmp_lt_i32 s2, 3
	s_cbranch_scc1 .LBB65_2167
; %bb.2162:
	s_cmp_gt_i32 s2, 3
	s_cbranch_scc0 .LBB65_2164
; %bb.2163:
	s_waitcnt vmcnt(0)
	v_trunc_f32_e32 v1, v0
	s_mov_b32 s0, 0x2f800000
	v_mul_f32_e64 v4, |v1|, s0
	v_floor_f32_e32 v4, v4
	s_mov_b32 s0, 0xcf800000
	v_cvt_u32_f32_e32 v5, v4
	v_fma_f32 v4, v4, s0, |v1|
	v_cvt_u32_f32_e32 v4, v4
	v_ashrrev_i32_e32 v1, 31, v1
	v_xor_b32_e32 v5, v5, v1
	s_mov_b64 s[0:1], 0
	v_xor_b32_e32 v4, v4, v1
	v_sub_co_u32_e32 v4, vcc, v4, v1
	s_nop 1
	v_subb_co_u32_e32 v5, vcc, v5, v1, vcc
	global_store_dwordx2 v[2:3], v[4:5], off
.LBB65_2164:
	s_andn2_b64 vcc, exec, s[0:1]
	s_cbranch_vccnz .LBB65_2166
; %bb.2165:
	s_waitcnt vmcnt(0)
	v_cvt_i32_f32_e32 v1, v0
	global_store_dword v[2:3], v1, off
.LBB65_2166:
	s_mov_b64 s[0:1], 0
.LBB65_2167:
	s_andn2_b64 vcc, exec, s[0:1]
	s_cbranch_vccnz .LBB65_2169
; %bb.2168:
	s_waitcnt vmcnt(0)
	v_cvt_i32_f32_e32 v1, v0
	global_store_short v[2:3], v1, off
.LBB65_2169:
	s_mov_b64 s[0:1], 0
.LBB65_2170:
	s_andn2_b64 vcc, exec, s[0:1]
	s_cbranch_vccnz .LBB65_2175
; %bb.2171:
	s_sext_i32_i16 s0, s22
	s_cmp_gt_i32 s0, 0
	s_mov_b64 s[0:1], -1
	s_cbranch_scc0 .LBB65_2173
; %bb.2172:
	s_waitcnt vmcnt(0)
	v_cvt_i32_f32_e32 v1, v0
	s_mov_b64 s[0:1], 0
	global_store_byte v[2:3], v1, off
.LBB65_2173:
	s_andn2_b64 vcc, exec, s[0:1]
	s_cbranch_vccnz .LBB65_2175
; %bb.2174:
	s_waitcnt vmcnt(0)
	v_trunc_f32_e32 v0, v0
	s_mov_b32 s0, 0x2f800000
	v_mul_f32_e64 v1, |v0|, s0
	v_floor_f32_e32 v1, v1
	s_mov_b32 s0, 0xcf800000
	v_fma_f32 v1, v1, s0, |v0|
	v_cvt_u32_f32_e32 v1, v1
	v_ashrrev_i32_e32 v0, 31, v0
	v_xor_b32_e32 v1, v1, v0
	v_sub_u32_e32 v0, v1, v0
	global_store_byte v[2:3], v0, off
	s_endpgm
.LBB65_2175:
	s_endpgm
.LBB65_2176:
	s_mov_b64 s[2:3], 0
	s_mov_b64 s[0:1], -1
	s_branch .LBB65_2132
.LBB65_2177:
	s_andn2_saveexec_b64 s[8:9], s[8:9]
	s_cbranch_execz .LBB65_1726
.LBB65_2178:
	s_mov_b32 s11, 0x46000000
	v_add_f32_e64 v4, |v0|, s11
	v_and_b32_e32 v4, 0xff, v4
	v_cmp_ne_u32_e32 vcc, 0, v4
	s_andn2_b64 s[6:7], s[6:7], exec
	s_and_b64 s[12:13], vcc, exec
	s_or_b64 s[6:7], s[6:7], s[12:13]
	s_or_b64 exec, exec, s[8:9]
	v_mov_b32_e32 v5, 0
	s_and_saveexec_b64 s[8:9], s[6:7]
	s_cbranch_execnz .LBB65_1727
	s_branch .LBB65_1728
.LBB65_2179:
	s_trap 2
	s_or_b64 s[18:19], s[18:19], exec
	s_cbranch_execz .LBB65_1774
	s_branch .LBB65_1775
.LBB65_2180:
	s_andn2_saveexec_b64 s[6:7], s[6:7]
	s_cbranch_execz .LBB65_1739
.LBB65_2181:
	s_mov_b32 s8, 0x42800000
	v_add_f32_e64 v4, |v0|, s8
	v_and_b32_e32 v4, 0xff, v4
	v_cmp_ne_u32_e32 vcc, 0, v4
	s_andn2_b64 s[4:5], s[4:5], exec
	s_and_b64 s[8:9], vcc, exec
	s_or_b64 s[4:5], s[4:5], s[8:9]
	s_or_b64 exec, exec, s[6:7]
	v_mov_b32_e32 v5, 0
	s_and_saveexec_b64 s[6:7], s[4:5]
	s_cbranch_execnz .LBB65_1740
	s_branch .LBB65_1741
.LBB65_2182:
	s_andn2_saveexec_b64 s[8:9], s[8:9]
	s_cbranch_execz .LBB65_1845
.LBB65_2183:
	s_mov_b32 s11, 0x46000000
	v_add_f32_e64 v4, |v0|, s11
	v_and_b32_e32 v4, 0xff, v4
	v_cmp_ne_u32_e32 vcc, 0, v4
	s_andn2_b64 s[6:7], s[6:7], exec
	s_and_b64 s[12:13], vcc, exec
	s_or_b64 s[6:7], s[6:7], s[12:13]
	s_or_b64 exec, exec, s[8:9]
	v_mov_b32_e32 v5, 0
	s_and_saveexec_b64 s[8:9], s[6:7]
	s_cbranch_execnz .LBB65_1846
	s_branch .LBB65_1847
.LBB65_2184:
	s_trap 2
	s_or_b64 s[18:19], s[18:19], exec
	s_cbranch_execz .LBB65_1893
	s_branch .LBB65_1894
.LBB65_2185:
	s_andn2_saveexec_b64 s[6:7], s[6:7]
	s_cbranch_execz .LBB65_1858
.LBB65_2186:
	s_mov_b32 s8, 0x42800000
	v_add_f32_e64 v4, |v0|, s8
	v_and_b32_e32 v4, 0xff, v4
	v_cmp_ne_u32_e32 vcc, 0, v4
	s_andn2_b64 s[4:5], s[4:5], exec
	s_and_b64 s[8:9], vcc, exec
	s_or_b64 s[4:5], s[4:5], s[8:9]
	s_or_b64 exec, exec, s[6:7]
	v_mov_b32_e32 v5, 0
	s_and_saveexec_b64 s[6:7], s[4:5]
	s_cbranch_execnz .LBB65_1859
	s_branch .LBB65_1860
.LBB65_2187:
	s_andn2_saveexec_b64 s[8:9], s[8:9]
	s_cbranch_execz .LBB65_1964
.LBB65_2188:
	s_mov_b32 s11, 0x46000000
	v_add_f32_e64 v4, |v0|, s11
	v_and_b32_e32 v4, 0xff, v4
	v_cmp_ne_u32_e32 vcc, 0, v4
	s_andn2_b64 s[6:7], s[6:7], exec
	s_and_b64 s[12:13], vcc, exec
	s_or_b64 s[6:7], s[6:7], s[12:13]
	s_or_b64 exec, exec, s[8:9]
	v_mov_b32_e32 v5, 0
	s_and_saveexec_b64 s[8:9], s[6:7]
	s_cbranch_execnz .LBB65_1965
	s_branch .LBB65_1966
.LBB65_2189:
	s_trap 2
	s_or_b64 s[18:19], s[18:19], exec
	s_cbranch_execz .LBB65_2012
	s_branch .LBB65_2013
.LBB65_2190:
	s_andn2_saveexec_b64 s[6:7], s[6:7]
	s_cbranch_execz .LBB65_1977
.LBB65_2191:
	s_mov_b32 s8, 0x42800000
	v_add_f32_e64 v4, |v0|, s8
	v_and_b32_e32 v4, 0xff, v4
	v_cmp_ne_u32_e32 vcc, 0, v4
	s_andn2_b64 s[4:5], s[4:5], exec
	s_and_b64 s[8:9], vcc, exec
	s_or_b64 s[4:5], s[4:5], s[8:9]
	s_or_b64 exec, exec, s[6:7]
	v_mov_b32_e32 v5, 0
	s_and_saveexec_b64 s[6:7], s[4:5]
	s_cbranch_execnz .LBB65_1978
	s_branch .LBB65_1979
.LBB65_2192:
	s_andn2_saveexec_b64 s[8:9], s[8:9]
	s_cbranch_execz .LBB65_2084
.LBB65_2193:
	s_mov_b32 s11, 0x46000000
	v_add_f32_e64 v4, |v0|, s11
	v_and_b32_e32 v4, 0xff, v4
	v_cmp_ne_u32_e32 vcc, 0, v4
	s_andn2_b64 s[6:7], s[6:7], exec
	s_and_b64 s[12:13], vcc, exec
	s_or_b64 s[6:7], s[6:7], s[12:13]
	s_or_b64 exec, exec, s[8:9]
	v_mov_b32_e32 v5, 0
	s_and_saveexec_b64 s[8:9], s[6:7]
	s_cbranch_execnz .LBB65_2085
	s_branch .LBB65_2086
.LBB65_2194:
	s_mov_b64 s[2:3], 0
	s_or_b64 s[18:19], s[18:19], exec
	s_trap 2
	s_branch .LBB65_2130
.LBB65_2195:
	s_andn2_saveexec_b64 s[6:7], s[6:7]
	s_cbranch_execz .LBB65_2096
.LBB65_2196:
	s_mov_b32 s8, 0x42800000
	v_add_f32_e64 v4, |v0|, s8
	v_and_b32_e32 v4, 0xff, v4
	v_cmp_ne_u32_e32 vcc, 0, v4
	s_andn2_b64 s[4:5], s[4:5], exec
	s_and_b64 s[8:9], vcc, exec
	s_or_b64 s[4:5], s[4:5], s[8:9]
	s_or_b64 exec, exec, s[6:7]
	v_mov_b32_e32 v5, 0
	s_and_saveexec_b64 s[6:7], s[4:5]
	s_cbranch_execnz .LBB65_2097
	s_branch .LBB65_2098
	.section	.rodata,"a",@progbits
	.p2align	6, 0x0
	.amdhsa_kernel _ZN2at6native32elementwise_kernel_manual_unrollILi128ELi4EZNS0_15gpu_kernel_implIZZZNS0_15exp_kernel_cudaERNS_18TensorIteratorBaseEENKUlvE_clEvENKUlvE0_clEvEUlN3c107complexIfEEE_EEvS4_RKT_EUlibE0_EEviT1_
		.amdhsa_group_segment_fixed_size 0
		.amdhsa_private_segment_fixed_size 0
		.amdhsa_kernarg_size 360
		.amdhsa_user_sgpr_count 2
		.amdhsa_user_sgpr_dispatch_ptr 0
		.amdhsa_user_sgpr_queue_ptr 0
		.amdhsa_user_sgpr_kernarg_segment_ptr 1
		.amdhsa_user_sgpr_dispatch_id 0
		.amdhsa_user_sgpr_kernarg_preload_length 0
		.amdhsa_user_sgpr_kernarg_preload_offset 0
		.amdhsa_user_sgpr_private_segment_size 0
		.amdhsa_uses_dynamic_stack 0
		.amdhsa_enable_private_segment 0
		.amdhsa_system_sgpr_workgroup_id_x 1
		.amdhsa_system_sgpr_workgroup_id_y 0
		.amdhsa_system_sgpr_workgroup_id_z 0
		.amdhsa_system_sgpr_workgroup_info 0
		.amdhsa_system_vgpr_workitem_id 0
		.amdhsa_next_free_vgpr 36
		.amdhsa_next_free_sgpr 78
		.amdhsa_accum_offset 36
		.amdhsa_reserve_vcc 1
		.amdhsa_float_round_mode_32 0
		.amdhsa_float_round_mode_16_64 0
		.amdhsa_float_denorm_mode_32 3
		.amdhsa_float_denorm_mode_16_64 3
		.amdhsa_dx10_clamp 1
		.amdhsa_ieee_mode 1
		.amdhsa_fp16_overflow 0
		.amdhsa_tg_split 0
		.amdhsa_exception_fp_ieee_invalid_op 0
		.amdhsa_exception_fp_denorm_src 0
		.amdhsa_exception_fp_ieee_div_zero 0
		.amdhsa_exception_fp_ieee_overflow 0
		.amdhsa_exception_fp_ieee_underflow 0
		.amdhsa_exception_fp_ieee_inexact 0
		.amdhsa_exception_int_div_zero 0
	.end_amdhsa_kernel
	.section	.text._ZN2at6native32elementwise_kernel_manual_unrollILi128ELi4EZNS0_15gpu_kernel_implIZZZNS0_15exp_kernel_cudaERNS_18TensorIteratorBaseEENKUlvE_clEvENKUlvE0_clEvEUlN3c107complexIfEEE_EEvS4_RKT_EUlibE0_EEviT1_,"axG",@progbits,_ZN2at6native32elementwise_kernel_manual_unrollILi128ELi4EZNS0_15gpu_kernel_implIZZZNS0_15exp_kernel_cudaERNS_18TensorIteratorBaseEENKUlvE_clEvENKUlvE0_clEvEUlN3c107complexIfEEE_EEvS4_RKT_EUlibE0_EEviT1_,comdat
.Lfunc_end65:
	.size	_ZN2at6native32elementwise_kernel_manual_unrollILi128ELi4EZNS0_15gpu_kernel_implIZZZNS0_15exp_kernel_cudaERNS_18TensorIteratorBaseEENKUlvE_clEvENKUlvE0_clEvEUlN3c107complexIfEEE_EEvS4_RKT_EUlibE0_EEviT1_, .Lfunc_end65-_ZN2at6native32elementwise_kernel_manual_unrollILi128ELi4EZNS0_15gpu_kernel_implIZZZNS0_15exp_kernel_cudaERNS_18TensorIteratorBaseEENKUlvE_clEvENKUlvE0_clEvEUlN3c107complexIfEEE_EEvS4_RKT_EUlibE0_EEviT1_
                                        ; -- End function
	.set _ZN2at6native32elementwise_kernel_manual_unrollILi128ELi4EZNS0_15gpu_kernel_implIZZZNS0_15exp_kernel_cudaERNS_18TensorIteratorBaseEENKUlvE_clEvENKUlvE0_clEvEUlN3c107complexIfEEE_EEvS4_RKT_EUlibE0_EEviT1_.num_vgpr, max(36, .L_ZN16c10_complex_math3expIfEEN3c107complexIT_EERKS4_.num_vgpr)
	.set _ZN2at6native32elementwise_kernel_manual_unrollILi128ELi4EZNS0_15gpu_kernel_implIZZZNS0_15exp_kernel_cudaERNS_18TensorIteratorBaseEENKUlvE_clEvENKUlvE0_clEvEUlN3c107complexIfEEE_EEvS4_RKT_EUlibE0_EEviT1_.num_agpr, max(0, .L_ZN16c10_complex_math3expIfEEN3c107complexIT_EERKS4_.num_agpr)
	.set _ZN2at6native32elementwise_kernel_manual_unrollILi128ELi4EZNS0_15gpu_kernel_implIZZZNS0_15exp_kernel_cudaERNS_18TensorIteratorBaseEENKUlvE_clEvENKUlvE0_clEvEUlN3c107complexIfEEE_EEvS4_RKT_EUlibE0_EEviT1_.numbered_sgpr, max(78, .L_ZN16c10_complex_math3expIfEEN3c107complexIT_EERKS4_.numbered_sgpr)
	.set _ZN2at6native32elementwise_kernel_manual_unrollILi128ELi4EZNS0_15gpu_kernel_implIZZZNS0_15exp_kernel_cudaERNS_18TensorIteratorBaseEENKUlvE_clEvENKUlvE0_clEvEUlN3c107complexIfEEE_EEvS4_RKT_EUlibE0_EEviT1_.num_named_barrier, max(0, .L_ZN16c10_complex_math3expIfEEN3c107complexIT_EERKS4_.num_named_barrier)
	.set _ZN2at6native32elementwise_kernel_manual_unrollILi128ELi4EZNS0_15gpu_kernel_implIZZZNS0_15exp_kernel_cudaERNS_18TensorIteratorBaseEENKUlvE_clEvENKUlvE0_clEvEUlN3c107complexIfEEE_EEvS4_RKT_EUlibE0_EEviT1_.private_seg_size, 0+max(.L_ZN16c10_complex_math3expIfEEN3c107complexIT_EERKS4_.private_seg_size)
	.set _ZN2at6native32elementwise_kernel_manual_unrollILi128ELi4EZNS0_15gpu_kernel_implIZZZNS0_15exp_kernel_cudaERNS_18TensorIteratorBaseEENKUlvE_clEvENKUlvE0_clEvEUlN3c107complexIfEEE_EEvS4_RKT_EUlibE0_EEviT1_.uses_vcc, or(1, .L_ZN16c10_complex_math3expIfEEN3c107complexIT_EERKS4_.uses_vcc)
	.set _ZN2at6native32elementwise_kernel_manual_unrollILi128ELi4EZNS0_15gpu_kernel_implIZZZNS0_15exp_kernel_cudaERNS_18TensorIteratorBaseEENKUlvE_clEvENKUlvE0_clEvEUlN3c107complexIfEEE_EEvS4_RKT_EUlibE0_EEviT1_.uses_flat_scratch, or(0, .L_ZN16c10_complex_math3expIfEEN3c107complexIT_EERKS4_.uses_flat_scratch)
	.set _ZN2at6native32elementwise_kernel_manual_unrollILi128ELi4EZNS0_15gpu_kernel_implIZZZNS0_15exp_kernel_cudaERNS_18TensorIteratorBaseEENKUlvE_clEvENKUlvE0_clEvEUlN3c107complexIfEEE_EEvS4_RKT_EUlibE0_EEviT1_.has_dyn_sized_stack, or(0, .L_ZN16c10_complex_math3expIfEEN3c107complexIT_EERKS4_.has_dyn_sized_stack)
	.set _ZN2at6native32elementwise_kernel_manual_unrollILi128ELi4EZNS0_15gpu_kernel_implIZZZNS0_15exp_kernel_cudaERNS_18TensorIteratorBaseEENKUlvE_clEvENKUlvE0_clEvEUlN3c107complexIfEEE_EEvS4_RKT_EUlibE0_EEviT1_.has_recursion, or(0, .L_ZN16c10_complex_math3expIfEEN3c107complexIT_EERKS4_.has_recursion)
	.set _ZN2at6native32elementwise_kernel_manual_unrollILi128ELi4EZNS0_15gpu_kernel_implIZZZNS0_15exp_kernel_cudaERNS_18TensorIteratorBaseEENKUlvE_clEvENKUlvE0_clEvEUlN3c107complexIfEEE_EEvS4_RKT_EUlibE0_EEviT1_.has_indirect_call, or(0, .L_ZN16c10_complex_math3expIfEEN3c107complexIT_EERKS4_.has_indirect_call)
	.section	.AMDGPU.csdata,"",@progbits
; Kernel info:
; codeLenInByte = 39196
; TotalNumSgprs: 84
; NumVgprs: 36
; NumAgprs: 0
; TotalNumVgprs: 36
; ScratchSize: 0
; MemoryBound: 1
; FloatMode: 240
; IeeeMode: 1
; LDSByteSize: 0 bytes/workgroup (compile time only)
; SGPRBlocks: 10
; VGPRBlocks: 4
; NumSGPRsForWavesPerEU: 84
; NumVGPRsForWavesPerEU: 36
; AccumOffset: 36
; Occupancy: 8
; WaveLimiterHint : 1
; COMPUTE_PGM_RSRC2:SCRATCH_EN: 0
; COMPUTE_PGM_RSRC2:USER_SGPR: 2
; COMPUTE_PGM_RSRC2:TRAP_HANDLER: 0
; COMPUTE_PGM_RSRC2:TGID_X_EN: 1
; COMPUTE_PGM_RSRC2:TGID_Y_EN: 0
; COMPUTE_PGM_RSRC2:TGID_Z_EN: 0
; COMPUTE_PGM_RSRC2:TIDIG_COMP_CNT: 0
; COMPUTE_PGM_RSRC3_GFX90A:ACCUM_OFFSET: 8
; COMPUTE_PGM_RSRC3_GFX90A:TG_SPLIT: 0
	.section	.text._ZN2at6native29vectorized_elementwise_kernelILi16EZZZNS0_15exp_kernel_cudaERNS_18TensorIteratorBaseEENKUlvE_clEvENKUlvE1_clEvEUlN3c107complexINS6_4HalfEEEE_St5arrayIPcLm2EEEEviT0_T1_,"axG",@progbits,_ZN2at6native29vectorized_elementwise_kernelILi16EZZZNS0_15exp_kernel_cudaERNS_18TensorIteratorBaseEENKUlvE_clEvENKUlvE1_clEvEUlN3c107complexINS6_4HalfEEEE_St5arrayIPcLm2EEEEviT0_T1_,comdat
	.globl	_ZN2at6native29vectorized_elementwise_kernelILi16EZZZNS0_15exp_kernel_cudaERNS_18TensorIteratorBaseEENKUlvE_clEvENKUlvE1_clEvEUlN3c107complexINS6_4HalfEEEE_St5arrayIPcLm2EEEEviT0_T1_ ; -- Begin function _ZN2at6native29vectorized_elementwise_kernelILi16EZZZNS0_15exp_kernel_cudaERNS_18TensorIteratorBaseEENKUlvE_clEvENKUlvE1_clEvEUlN3c107complexINS6_4HalfEEEE_St5arrayIPcLm2EEEEviT0_T1_
	.p2align	8
	.type	_ZN2at6native29vectorized_elementwise_kernelILi16EZZZNS0_15exp_kernel_cudaERNS_18TensorIteratorBaseEENKUlvE_clEvENKUlvE1_clEvEUlN3c107complexINS6_4HalfEEEE_St5arrayIPcLm2EEEEviT0_T1_,@function
_ZN2at6native29vectorized_elementwise_kernelILi16EZZZNS0_15exp_kernel_cudaERNS_18TensorIteratorBaseEENKUlvE_clEvENKUlvE1_clEvEUlN3c107complexINS6_4HalfEEEE_St5arrayIPcLm2EEEEviT0_T1_: ; @_ZN2at6native29vectorized_elementwise_kernelILi16EZZZNS0_15exp_kernel_cudaERNS_18TensorIteratorBaseEENKUlvE_clEvENKUlvE1_clEvEUlN3c107complexINS6_4HalfEEEE_St5arrayIPcLm2EEEEviT0_T1_
; %bb.0:
	s_load_dword s3, s[0:1], 0x0
	s_load_dwordx4 s[20:23], s[0:1], 0x8
	s_lshl_b32 s24, s2, 10
	v_mov_b32_e32 v21, v0
	s_mov_b64 s[0:1], -1
	s_waitcnt lgkmcnt(0)
	s_sub_i32 s26, s3, s24
	s_cmpk_gt_i32 s26, 0x3ff
	s_mov_b32 s32, 0
	s_cbranch_scc0 .LBB66_2
; %bb.1:
	s_ashr_i32 s25, s24, 31
	s_lshl_b64 s[18:19], s[24:25], 2
	s_add_u32 s0, s22, s18
	s_addc_u32 s1, s23, s19
	v_lshlrev_b32_e32 v30, 4, v21
	global_load_dwordx4 v[26:29], v30, s[0:1]
	s_getpc_b64 s[28:29]
	s_add_u32 s28, s28, _ZN16c10_complex_math3expIfEEN3c107complexIT_EERKS4_@rel32@lo+4
	s_addc_u32 s29, s29, _ZN16c10_complex_math3expIfEEN3c107complexIT_EERKS4_@rel32@hi+12
	s_waitcnt vmcnt(0)
	v_cvt_f32_f16_e32 v0, v26
	v_cvt_f32_f16_sdwa v1, v26 dst_sel:DWORD dst_unused:UNUSED_PAD src0_sel:WORD_1
	s_swappc_b64 s[30:31], s[28:29]
	v_mov_b32_e32 v22, v0
	v_mov_b32_e32 v23, v1
	v_cvt_f32_f16_e32 v0, v27
	v_cvt_f32_f16_sdwa v1, v27 dst_sel:DWORD dst_unused:UNUSED_PAD src0_sel:WORD_1
	s_swappc_b64 s[30:31], s[28:29]
	v_mov_b32_e32 v24, v0
	v_mov_b32_e32 v25, v1
	;; [unrolled: 5-line block ×3, first 2 shown]
	v_cvt_f32_f16_e32 v0, v29
	v_cvt_f32_f16_sdwa v1, v29 dst_sel:DWORD dst_unused:UNUSED_PAD src0_sel:WORD_1
	s_swappc_b64 s[30:31], s[28:29]
	v_cvt_pk_f16_f32 v3, v23, v25
	v_cvt_pk_f16_f32 v2, v22, v24
	v_and_b32_e32 v4, 0xffff0000, v3
	v_cvt_pk_f16_f32 v1, v27, v1
	s_add_u32 s0, s20, s18
	v_lshlrev_b32_e32 v5, 16, v3
	v_or_b32_sdwa v3, v4, v2 dst_sel:DWORD dst_unused:UNUSED_PAD src0_sel:DWORD src1_sel:WORD_1
	v_cvt_pk_f16_f32 v0, v26, v0
	v_and_b32_e32 v4, 0xffff0000, v1
	v_lshlrev_b32_e32 v1, 16, v1
	s_addc_u32 s1, s21, s19
	v_or_b32_sdwa v2, v5, v2 dst_sel:DWORD dst_unused:UNUSED_PAD src0_sel:DWORD src1_sel:WORD_0
	v_or_b32_sdwa v5, v4, v0 dst_sel:DWORD dst_unused:UNUSED_PAD src0_sel:DWORD src1_sel:WORD_1
	v_or_b32_sdwa v4, v1, v0 dst_sel:DWORD dst_unused:UNUSED_PAD src0_sel:DWORD src1_sel:WORD_0
	global_store_dwordx4 v30, v[2:5], s[0:1]
	s_mov_b64 s[0:1], 0
.LBB66_2:
	s_andn2_b64 vcc, exec, s[0:1]
	s_cbranch_vccnz .LBB66_23
; %bb.3:
	v_cmp_gt_i32_e64 s[18:19], s26, v21
	v_mov_b32_e32 v24, 0
	v_or_b32_e32 v22, s24, v21
	v_mov_b32_e32 v25, 0
	v_mov_b32_e32 v23, 0
	;; [unrolled: 1-line block ×3, first 2 shown]
	s_and_saveexec_b64 s[0:1], s[18:19]
	s_cbranch_execz .LBB66_11
; %bb.4:
	v_mov_b32_e32 v23, 0
	v_lshl_add_u64 v[0:1], v[22:23], 2, s[22:23]
	global_load_dword v2, v[0:1], off
	v_or_b32_e32 v0, 0x100, v21
	v_cmp_gt_u32_e32 vcc, s26, v0
	v_mov_b32_e32 v25, v23
	v_mov_b32_e32 v24, v23
	s_and_saveexec_b64 s[2:3], vcc
	s_cbranch_execz .LBB66_10
; %bb.5:
	v_add_u32_e32 v24, s24, v21
	v_mov_b32_e32 v25, 0
	v_lshl_add_u64 v[0:1], v[24:25], 2, s[22:23]
	global_load_dword v23, v[0:1], off offset:1024
	v_or_b32_e32 v3, 0x200, v21
	v_cmp_gt_u32_e32 vcc, s26, v3
	v_mov_b32_e32 v24, v25
	s_and_saveexec_b64 s[4:5], vcc
	s_cbranch_execz .LBB66_9
; %bb.6:
	global_load_dword v25, v[0:1], off offset:2048
	v_or_b32_e32 v3, 0x300, v21
	v_cmp_gt_u32_e32 vcc, s26, v3
	v_mov_b32_e32 v24, 0
	s_and_saveexec_b64 s[6:7], vcc
	s_cbranch_execz .LBB66_8
; %bb.7:
	global_load_dword v24, v[0:1], off offset:3072
.LBB66_8:
	s_or_b64 exec, exec, s[6:7]
.LBB66_9:
	s_or_b64 exec, exec, s[4:5]
.LBB66_10:
	s_or_b64 exec, exec, s[2:3]
.LBB66_11:
	s_or_b64 exec, exec, s[0:1]
                                        ; implicit-def: $vgpr26
	s_and_saveexec_b64 s[22:23], s[18:19]
	s_cbranch_execz .LBB66_13
; %bb.12:
	s_waitcnt vmcnt(0)
	v_cvt_f32_f16_e32 v0, v2
	v_cvt_f32_f16_sdwa v1, v2 dst_sel:DWORD dst_unused:UNUSED_PAD src0_sel:WORD_1
	s_getpc_b64 s[0:1]
	s_add_u32 s0, s0, _ZN16c10_complex_math3expIfEEN3c107complexIT_EERKS4_@rel32@lo+4
	s_addc_u32 s1, s1, _ZN16c10_complex_math3expIfEEN3c107complexIT_EERKS4_@rel32@hi+12
	s_swappc_b64 s[30:31], s[0:1]
	v_cvt_f16_f32_e32 v0, v0
	v_cvt_f16_f32_sdwa v1, v1 dst_sel:WORD_1 dst_unused:UNUSED_PAD src0_sel:DWORD
	s_nop 0
	v_or_b32_e32 v26, v1, v0
.LBB66_13:
	s_or_b64 exec, exec, s[22:23]
	v_or_b32_e32 v27, 0x100, v21
	v_cmp_gt_i32_e32 vcc, s26, v27
                                        ; implicit-def: $vgpr28
	s_and_saveexec_b64 s[22:23], vcc
	s_cbranch_execz .LBB66_15
; %bb.14:
	s_waitcnt vmcnt(0)
	v_cvt_f32_f16_e32 v0, v23
	v_cvt_f32_f16_sdwa v1, v23 dst_sel:DWORD dst_unused:UNUSED_PAD src0_sel:WORD_1
	s_getpc_b64 s[0:1]
	s_add_u32 s0, s0, _ZN16c10_complex_math3expIfEEN3c107complexIT_EERKS4_@rel32@lo+4
	s_addc_u32 s1, s1, _ZN16c10_complex_math3expIfEEN3c107complexIT_EERKS4_@rel32@hi+12
	s_swappc_b64 s[30:31], s[0:1]
	v_cvt_f16_f32_e32 v0, v0
	v_cvt_f16_f32_sdwa v1, v1 dst_sel:WORD_1 dst_unused:UNUSED_PAD src0_sel:DWORD
	s_nop 0
	v_or_b32_e32 v28, v1, v0
.LBB66_15:
	s_or_b64 exec, exec, s[22:23]
	v_or_b32_e32 v0, 0x200, v21
	v_cmp_gt_i32_e32 vcc, s26, v0
                                        ; implicit-def: $vgpr29
	s_and_saveexec_b64 s[22:23], vcc
	s_cbranch_execz .LBB66_17
; %bb.16:
	s_waitcnt vmcnt(0)
	v_cvt_f32_f16_e32 v0, v25
	v_cvt_f32_f16_sdwa v1, v25 dst_sel:DWORD dst_unused:UNUSED_PAD src0_sel:WORD_1
	s_getpc_b64 s[0:1]
	s_add_u32 s0, s0, _ZN16c10_complex_math3expIfEEN3c107complexIT_EERKS4_@rel32@lo+4
	s_addc_u32 s1, s1, _ZN16c10_complex_math3expIfEEN3c107complexIT_EERKS4_@rel32@hi+12
	s_swappc_b64 s[30:31], s[0:1]
	v_cvt_f16_f32_e32 v0, v0
	v_cvt_f16_f32_sdwa v1, v1 dst_sel:WORD_1 dst_unused:UNUSED_PAD src0_sel:DWORD
	s_nop 0
	v_or_b32_e32 v29, v1, v0
.LBB66_17:
	s_or_b64 exec, exec, s[22:23]
	v_or_b32_e32 v0, 0x300, v21
	v_cmp_gt_i32_e32 vcc, s26, v0
                                        ; implicit-def: $vgpr0
	s_and_saveexec_b64 s[22:23], vcc
	s_cbranch_execnz .LBB66_24
; %bb.18:
	s_or_b64 exec, exec, s[22:23]
	s_and_saveexec_b64 s[0:1], s[18:19]
	s_xor_b64 s[0:1], exec, s[0:1]
	s_cbranch_execnz .LBB66_25
.LBB66_19:
	s_or_b64 exec, exec, s[0:1]
	v_cmp_gt_i32_e32 vcc, s26, v21
	s_and_saveexec_b64 s[0:1], vcc
	s_cbranch_execnz .LBB66_26
.LBB66_20:
	s_or_b64 exec, exec, s[0:1]
	v_cmp_gt_i32_e32 vcc, s26, v21
	s_and_saveexec_b64 s[0:1], vcc
	s_cbranch_execnz .LBB66_27
.LBB66_21:
	s_or_b64 exec, exec, s[0:1]
	v_cmp_gt_i32_e32 vcc, s26, v21
	s_and_saveexec_b64 s[0:1], vcc
	s_cbranch_execz .LBB66_23
.LBB66_22:
	s_waitcnt vmcnt(0)
	v_add_u32_e32 v2, s24, v21
	v_mov_b32_e32 v3, 0
	v_lshl_add_u64 v[2:3], v[2:3], 2, s[20:21]
	global_store_dword v[2:3], v0, off
.LBB66_23:
	s_endpgm
.LBB66_24:
	s_waitcnt vmcnt(0)
	v_cvt_f32_f16_e32 v0, v24
	v_cvt_f32_f16_sdwa v1, v24 dst_sel:DWORD dst_unused:UNUSED_PAD src0_sel:WORD_1
	s_getpc_b64 s[0:1]
	s_add_u32 s0, s0, _ZN16c10_complex_math3expIfEEN3c107complexIT_EERKS4_@rel32@lo+4
	s_addc_u32 s1, s1, _ZN16c10_complex_math3expIfEEN3c107complexIT_EERKS4_@rel32@hi+12
	s_swappc_b64 s[30:31], s[0:1]
	v_cvt_f16_f32_e32 v0, v0
	v_cvt_f16_f32_sdwa v1, v1 dst_sel:WORD_1 dst_unused:UNUSED_PAD src0_sel:DWORD
	s_nop 0
	v_or_b32_e32 v0, v1, v0
	s_or_b64 exec, exec, s[22:23]
	s_and_saveexec_b64 s[0:1], s[18:19]
	s_xor_b64 s[0:1], exec, s[0:1]
	s_cbranch_execz .LBB66_19
.LBB66_25:
	s_waitcnt vmcnt(0)
	v_mov_b32_e32 v23, 0
	v_lshl_add_u64 v[2:3], v[22:23], 2, s[20:21]
	v_mov_b32_e32 v21, v27
	global_store_dword v[2:3], v26, off
	s_or_b64 exec, exec, s[0:1]
	v_cmp_gt_i32_e32 vcc, s26, v21
	s_and_saveexec_b64 s[0:1], vcc
	s_cbranch_execz .LBB66_20
.LBB66_26:
	s_waitcnt vmcnt(0)
	v_add_u32_e32 v2, s24, v21
	v_mov_b32_e32 v3, 0
	v_lshl_add_u64 v[2:3], v[2:3], 2, s[20:21]
	v_add_u32_e32 v21, 0x100, v21
	global_store_dword v[2:3], v28, off
	s_or_b64 exec, exec, s[0:1]
	v_cmp_gt_i32_e32 vcc, s26, v21
	s_and_saveexec_b64 s[0:1], vcc
	s_cbranch_execz .LBB66_21
.LBB66_27:
	s_waitcnt vmcnt(0)
	v_add_u32_e32 v2, s24, v21
	v_mov_b32_e32 v3, 0
	v_lshl_add_u64 v[2:3], v[2:3], 2, s[20:21]
	v_add_u32_e32 v21, 0x100, v21
	global_store_dword v[2:3], v29, off
	s_or_b64 exec, exec, s[0:1]
	v_cmp_gt_i32_e32 vcc, s26, v21
	s_and_saveexec_b64 s[0:1], vcc
	s_cbranch_execnz .LBB66_22
	s_branch .LBB66_23
	.section	.rodata,"a",@progbits
	.p2align	6, 0x0
	.amdhsa_kernel _ZN2at6native29vectorized_elementwise_kernelILi16EZZZNS0_15exp_kernel_cudaERNS_18TensorIteratorBaseEENKUlvE_clEvENKUlvE1_clEvEUlN3c107complexINS6_4HalfEEEE_St5arrayIPcLm2EEEEviT0_T1_
		.amdhsa_group_segment_fixed_size 0
		.amdhsa_private_segment_fixed_size 0
		.amdhsa_kernarg_size 24
		.amdhsa_user_sgpr_count 2
		.amdhsa_user_sgpr_dispatch_ptr 0
		.amdhsa_user_sgpr_queue_ptr 0
		.amdhsa_user_sgpr_kernarg_segment_ptr 1
		.amdhsa_user_sgpr_dispatch_id 0
		.amdhsa_user_sgpr_kernarg_preload_length 0
		.amdhsa_user_sgpr_kernarg_preload_offset 0
		.amdhsa_user_sgpr_private_segment_size 0
		.amdhsa_uses_dynamic_stack 0
		.amdhsa_enable_private_segment 0
		.amdhsa_system_sgpr_workgroup_id_x 1
		.amdhsa_system_sgpr_workgroup_id_y 0
		.amdhsa_system_sgpr_workgroup_id_z 0
		.amdhsa_system_sgpr_workgroup_info 0
		.amdhsa_system_vgpr_workitem_id 0
		.amdhsa_next_free_vgpr 31
		.amdhsa_next_free_sgpr 33
		.amdhsa_accum_offset 32
		.amdhsa_reserve_vcc 1
		.amdhsa_float_round_mode_32 0
		.amdhsa_float_round_mode_16_64 0
		.amdhsa_float_denorm_mode_32 3
		.amdhsa_float_denorm_mode_16_64 3
		.amdhsa_dx10_clamp 1
		.amdhsa_ieee_mode 1
		.amdhsa_fp16_overflow 0
		.amdhsa_tg_split 0
		.amdhsa_exception_fp_ieee_invalid_op 0
		.amdhsa_exception_fp_denorm_src 0
		.amdhsa_exception_fp_ieee_div_zero 0
		.amdhsa_exception_fp_ieee_overflow 0
		.amdhsa_exception_fp_ieee_underflow 0
		.amdhsa_exception_fp_ieee_inexact 0
		.amdhsa_exception_int_div_zero 0
	.end_amdhsa_kernel
	.section	.text._ZN2at6native29vectorized_elementwise_kernelILi16EZZZNS0_15exp_kernel_cudaERNS_18TensorIteratorBaseEENKUlvE_clEvENKUlvE1_clEvEUlN3c107complexINS6_4HalfEEEE_St5arrayIPcLm2EEEEviT0_T1_,"axG",@progbits,_ZN2at6native29vectorized_elementwise_kernelILi16EZZZNS0_15exp_kernel_cudaERNS_18TensorIteratorBaseEENKUlvE_clEvENKUlvE1_clEvEUlN3c107complexINS6_4HalfEEEE_St5arrayIPcLm2EEEEviT0_T1_,comdat
.Lfunc_end66:
	.size	_ZN2at6native29vectorized_elementwise_kernelILi16EZZZNS0_15exp_kernel_cudaERNS_18TensorIteratorBaseEENKUlvE_clEvENKUlvE1_clEvEUlN3c107complexINS6_4HalfEEEE_St5arrayIPcLm2EEEEviT0_T1_, .Lfunc_end66-_ZN2at6native29vectorized_elementwise_kernelILi16EZZZNS0_15exp_kernel_cudaERNS_18TensorIteratorBaseEENKUlvE_clEvENKUlvE1_clEvEUlN3c107complexINS6_4HalfEEEE_St5arrayIPcLm2EEEEviT0_T1_
                                        ; -- End function
	.set _ZN2at6native29vectorized_elementwise_kernelILi16EZZZNS0_15exp_kernel_cudaERNS_18TensorIteratorBaseEENKUlvE_clEvENKUlvE1_clEvEUlN3c107complexINS6_4HalfEEEE_St5arrayIPcLm2EEEEviT0_T1_.num_vgpr, max(31, .L_ZN16c10_complex_math3expIfEEN3c107complexIT_EERKS4_.num_vgpr)
	.set _ZN2at6native29vectorized_elementwise_kernelILi16EZZZNS0_15exp_kernel_cudaERNS_18TensorIteratorBaseEENKUlvE_clEvENKUlvE1_clEvEUlN3c107complexINS6_4HalfEEEE_St5arrayIPcLm2EEEEviT0_T1_.num_agpr, max(0, .L_ZN16c10_complex_math3expIfEEN3c107complexIT_EERKS4_.num_agpr)
	.set _ZN2at6native29vectorized_elementwise_kernelILi16EZZZNS0_15exp_kernel_cudaERNS_18TensorIteratorBaseEENKUlvE_clEvENKUlvE1_clEvEUlN3c107complexINS6_4HalfEEEE_St5arrayIPcLm2EEEEviT0_T1_.numbered_sgpr, max(33, .L_ZN16c10_complex_math3expIfEEN3c107complexIT_EERKS4_.numbered_sgpr)
	.set _ZN2at6native29vectorized_elementwise_kernelILi16EZZZNS0_15exp_kernel_cudaERNS_18TensorIteratorBaseEENKUlvE_clEvENKUlvE1_clEvEUlN3c107complexINS6_4HalfEEEE_St5arrayIPcLm2EEEEviT0_T1_.num_named_barrier, max(0, .L_ZN16c10_complex_math3expIfEEN3c107complexIT_EERKS4_.num_named_barrier)
	.set _ZN2at6native29vectorized_elementwise_kernelILi16EZZZNS0_15exp_kernel_cudaERNS_18TensorIteratorBaseEENKUlvE_clEvENKUlvE1_clEvEUlN3c107complexINS6_4HalfEEEE_St5arrayIPcLm2EEEEviT0_T1_.private_seg_size, 0+max(.L_ZN16c10_complex_math3expIfEEN3c107complexIT_EERKS4_.private_seg_size)
	.set _ZN2at6native29vectorized_elementwise_kernelILi16EZZZNS0_15exp_kernel_cudaERNS_18TensorIteratorBaseEENKUlvE_clEvENKUlvE1_clEvEUlN3c107complexINS6_4HalfEEEE_St5arrayIPcLm2EEEEviT0_T1_.uses_vcc, or(1, .L_ZN16c10_complex_math3expIfEEN3c107complexIT_EERKS4_.uses_vcc)
	.set _ZN2at6native29vectorized_elementwise_kernelILi16EZZZNS0_15exp_kernel_cudaERNS_18TensorIteratorBaseEENKUlvE_clEvENKUlvE1_clEvEUlN3c107complexINS6_4HalfEEEE_St5arrayIPcLm2EEEEviT0_T1_.uses_flat_scratch, or(0, .L_ZN16c10_complex_math3expIfEEN3c107complexIT_EERKS4_.uses_flat_scratch)
	.set _ZN2at6native29vectorized_elementwise_kernelILi16EZZZNS0_15exp_kernel_cudaERNS_18TensorIteratorBaseEENKUlvE_clEvENKUlvE1_clEvEUlN3c107complexINS6_4HalfEEEE_St5arrayIPcLm2EEEEviT0_T1_.has_dyn_sized_stack, or(0, .L_ZN16c10_complex_math3expIfEEN3c107complexIT_EERKS4_.has_dyn_sized_stack)
	.set _ZN2at6native29vectorized_elementwise_kernelILi16EZZZNS0_15exp_kernel_cudaERNS_18TensorIteratorBaseEENKUlvE_clEvENKUlvE1_clEvEUlN3c107complexINS6_4HalfEEEE_St5arrayIPcLm2EEEEviT0_T1_.has_recursion, or(0, .L_ZN16c10_complex_math3expIfEEN3c107complexIT_EERKS4_.has_recursion)
	.set _ZN2at6native29vectorized_elementwise_kernelILi16EZZZNS0_15exp_kernel_cudaERNS_18TensorIteratorBaseEENKUlvE_clEvENKUlvE1_clEvEUlN3c107complexINS6_4HalfEEEE_St5arrayIPcLm2EEEEviT0_T1_.has_indirect_call, or(0, .L_ZN16c10_complex_math3expIfEEN3c107complexIT_EERKS4_.has_indirect_call)
	.section	.AMDGPU.csdata,"",@progbits
; Kernel info:
; codeLenInByte = 1076
; TotalNumSgprs: 39
; NumVgprs: 31
; NumAgprs: 0
; TotalNumVgprs: 31
; ScratchSize: 0
; MemoryBound: 0
; FloatMode: 240
; IeeeMode: 1
; LDSByteSize: 0 bytes/workgroup (compile time only)
; SGPRBlocks: 4
; VGPRBlocks: 3
; NumSGPRsForWavesPerEU: 39
; NumVGPRsForWavesPerEU: 31
; AccumOffset: 32
; Occupancy: 8
; WaveLimiterHint : 0
; COMPUTE_PGM_RSRC2:SCRATCH_EN: 0
; COMPUTE_PGM_RSRC2:USER_SGPR: 2
; COMPUTE_PGM_RSRC2:TRAP_HANDLER: 0
; COMPUTE_PGM_RSRC2:TGID_X_EN: 1
; COMPUTE_PGM_RSRC2:TGID_Y_EN: 0
; COMPUTE_PGM_RSRC2:TGID_Z_EN: 0
; COMPUTE_PGM_RSRC2:TIDIG_COMP_CNT: 0
; COMPUTE_PGM_RSRC3_GFX90A:ACCUM_OFFSET: 7
; COMPUTE_PGM_RSRC3_GFX90A:TG_SPLIT: 0
	.section	.text._ZN2at6native29vectorized_elementwise_kernelILi8EZZZNS0_15exp_kernel_cudaERNS_18TensorIteratorBaseEENKUlvE_clEvENKUlvE1_clEvEUlN3c107complexINS6_4HalfEEEE_St5arrayIPcLm2EEEEviT0_T1_,"axG",@progbits,_ZN2at6native29vectorized_elementwise_kernelILi8EZZZNS0_15exp_kernel_cudaERNS_18TensorIteratorBaseEENKUlvE_clEvENKUlvE1_clEvEUlN3c107complexINS6_4HalfEEEE_St5arrayIPcLm2EEEEviT0_T1_,comdat
	.globl	_ZN2at6native29vectorized_elementwise_kernelILi8EZZZNS0_15exp_kernel_cudaERNS_18TensorIteratorBaseEENKUlvE_clEvENKUlvE1_clEvEUlN3c107complexINS6_4HalfEEEE_St5arrayIPcLm2EEEEviT0_T1_ ; -- Begin function _ZN2at6native29vectorized_elementwise_kernelILi8EZZZNS0_15exp_kernel_cudaERNS_18TensorIteratorBaseEENKUlvE_clEvENKUlvE1_clEvEUlN3c107complexINS6_4HalfEEEE_St5arrayIPcLm2EEEEviT0_T1_
	.p2align	8
	.type	_ZN2at6native29vectorized_elementwise_kernelILi8EZZZNS0_15exp_kernel_cudaERNS_18TensorIteratorBaseEENKUlvE_clEvENKUlvE1_clEvEUlN3c107complexINS6_4HalfEEEE_St5arrayIPcLm2EEEEviT0_T1_,@function
_ZN2at6native29vectorized_elementwise_kernelILi8EZZZNS0_15exp_kernel_cudaERNS_18TensorIteratorBaseEENKUlvE_clEvENKUlvE1_clEvEUlN3c107complexINS6_4HalfEEEE_St5arrayIPcLm2EEEEviT0_T1_: ; @_ZN2at6native29vectorized_elementwise_kernelILi8EZZZNS0_15exp_kernel_cudaERNS_18TensorIteratorBaseEENKUlvE_clEvENKUlvE1_clEvEUlN3c107complexINS6_4HalfEEEE_St5arrayIPcLm2EEEEviT0_T1_
; %bb.0:
	s_load_dword s3, s[0:1], 0x0
	s_load_dwordx4 s[20:23], s[0:1], 0x8
	s_lshl_b32 s24, s2, 10
	v_mov_b32_e32 v21, v0
	s_mov_b64 s[0:1], -1
	s_waitcnt lgkmcnt(0)
	s_sub_i32 s26, s3, s24
	s_cmpk_gt_i32 s26, 0x3ff
	s_mov_b32 s32, 0
	s_cbranch_scc0 .LBB67_2
; %bb.1:
	s_ashr_i32 s25, s24, 31
	s_lshl_b64 s[18:19], s[24:25], 2
	s_add_u32 s0, s22, s18
	s_addc_u32 s1, s23, s19
	v_lshlrev_b32_e32 v30, 4, v21
	global_load_dwordx4 v[26:29], v30, s[0:1]
	s_getpc_b64 s[28:29]
	s_add_u32 s28, s28, _ZN16c10_complex_math3expIfEEN3c107complexIT_EERKS4_@rel32@lo+4
	s_addc_u32 s29, s29, _ZN16c10_complex_math3expIfEEN3c107complexIT_EERKS4_@rel32@hi+12
	s_waitcnt vmcnt(0)
	v_cvt_f32_f16_e32 v0, v26
	v_cvt_f32_f16_sdwa v1, v26 dst_sel:DWORD dst_unused:UNUSED_PAD src0_sel:WORD_1
	s_swappc_b64 s[30:31], s[28:29]
	v_mov_b32_e32 v22, v0
	v_mov_b32_e32 v23, v1
	v_cvt_f32_f16_e32 v0, v27
	v_cvt_f32_f16_sdwa v1, v27 dst_sel:DWORD dst_unused:UNUSED_PAD src0_sel:WORD_1
	s_swappc_b64 s[30:31], s[28:29]
	v_mov_b32_e32 v24, v0
	v_mov_b32_e32 v25, v1
	;; [unrolled: 5-line block ×3, first 2 shown]
	v_cvt_f32_f16_e32 v0, v29
	v_cvt_f32_f16_sdwa v1, v29 dst_sel:DWORD dst_unused:UNUSED_PAD src0_sel:WORD_1
	s_swappc_b64 s[30:31], s[28:29]
	v_cvt_pk_f16_f32 v3, v23, v25
	v_cvt_pk_f16_f32 v2, v22, v24
	v_and_b32_e32 v4, 0xffff0000, v3
	v_cvt_pk_f16_f32 v1, v27, v1
	s_add_u32 s0, s20, s18
	v_lshlrev_b32_e32 v5, 16, v3
	v_or_b32_sdwa v3, v4, v2 dst_sel:DWORD dst_unused:UNUSED_PAD src0_sel:DWORD src1_sel:WORD_1
	v_cvt_pk_f16_f32 v0, v26, v0
	v_and_b32_e32 v4, 0xffff0000, v1
	v_lshlrev_b32_e32 v1, 16, v1
	s_addc_u32 s1, s21, s19
	v_or_b32_sdwa v2, v5, v2 dst_sel:DWORD dst_unused:UNUSED_PAD src0_sel:DWORD src1_sel:WORD_0
	v_or_b32_sdwa v5, v4, v0 dst_sel:DWORD dst_unused:UNUSED_PAD src0_sel:DWORD src1_sel:WORD_1
	v_or_b32_sdwa v4, v1, v0 dst_sel:DWORD dst_unused:UNUSED_PAD src0_sel:DWORD src1_sel:WORD_0
	global_store_dwordx4 v30, v[2:5], s[0:1]
	s_mov_b64 s[0:1], 0
.LBB67_2:
	s_andn2_b64 vcc, exec, s[0:1]
	s_cbranch_vccnz .LBB67_23
; %bb.3:
	v_cmp_gt_i32_e64 s[18:19], s26, v21
	v_mov_b32_e32 v24, 0
	v_or_b32_e32 v22, s24, v21
	v_mov_b32_e32 v25, 0
	v_mov_b32_e32 v23, 0
	;; [unrolled: 1-line block ×3, first 2 shown]
	s_and_saveexec_b64 s[0:1], s[18:19]
	s_cbranch_execz .LBB67_11
; %bb.4:
	v_mov_b32_e32 v23, 0
	v_lshl_add_u64 v[0:1], v[22:23], 2, s[22:23]
	global_load_dword v2, v[0:1], off
	v_or_b32_e32 v0, 0x100, v21
	v_cmp_gt_u32_e32 vcc, s26, v0
	v_mov_b32_e32 v25, v23
	v_mov_b32_e32 v24, v23
	s_and_saveexec_b64 s[2:3], vcc
	s_cbranch_execz .LBB67_10
; %bb.5:
	v_add_u32_e32 v24, s24, v21
	v_mov_b32_e32 v25, 0
	v_lshl_add_u64 v[0:1], v[24:25], 2, s[22:23]
	global_load_dword v23, v[0:1], off offset:1024
	v_or_b32_e32 v3, 0x200, v21
	v_cmp_gt_u32_e32 vcc, s26, v3
	v_mov_b32_e32 v24, v25
	s_and_saveexec_b64 s[4:5], vcc
	s_cbranch_execz .LBB67_9
; %bb.6:
	global_load_dword v25, v[0:1], off offset:2048
	v_or_b32_e32 v3, 0x300, v21
	v_cmp_gt_u32_e32 vcc, s26, v3
	v_mov_b32_e32 v24, 0
	s_and_saveexec_b64 s[6:7], vcc
	s_cbranch_execz .LBB67_8
; %bb.7:
	global_load_dword v24, v[0:1], off offset:3072
.LBB67_8:
	s_or_b64 exec, exec, s[6:7]
.LBB67_9:
	s_or_b64 exec, exec, s[4:5]
.LBB67_10:
	s_or_b64 exec, exec, s[2:3]
.LBB67_11:
	s_or_b64 exec, exec, s[0:1]
                                        ; implicit-def: $vgpr26
	s_and_saveexec_b64 s[22:23], s[18:19]
	s_cbranch_execz .LBB67_13
; %bb.12:
	s_waitcnt vmcnt(0)
	v_cvt_f32_f16_e32 v0, v2
	v_cvt_f32_f16_sdwa v1, v2 dst_sel:DWORD dst_unused:UNUSED_PAD src0_sel:WORD_1
	s_getpc_b64 s[0:1]
	s_add_u32 s0, s0, _ZN16c10_complex_math3expIfEEN3c107complexIT_EERKS4_@rel32@lo+4
	s_addc_u32 s1, s1, _ZN16c10_complex_math3expIfEEN3c107complexIT_EERKS4_@rel32@hi+12
	s_swappc_b64 s[30:31], s[0:1]
	v_cvt_f16_f32_e32 v0, v0
	v_cvt_f16_f32_sdwa v1, v1 dst_sel:WORD_1 dst_unused:UNUSED_PAD src0_sel:DWORD
	s_nop 0
	v_or_b32_e32 v26, v1, v0
.LBB67_13:
	s_or_b64 exec, exec, s[22:23]
	v_or_b32_e32 v27, 0x100, v21
	v_cmp_gt_i32_e32 vcc, s26, v27
                                        ; implicit-def: $vgpr28
	s_and_saveexec_b64 s[22:23], vcc
	s_cbranch_execz .LBB67_15
; %bb.14:
	s_waitcnt vmcnt(0)
	v_cvt_f32_f16_e32 v0, v23
	v_cvt_f32_f16_sdwa v1, v23 dst_sel:DWORD dst_unused:UNUSED_PAD src0_sel:WORD_1
	s_getpc_b64 s[0:1]
	s_add_u32 s0, s0, _ZN16c10_complex_math3expIfEEN3c107complexIT_EERKS4_@rel32@lo+4
	s_addc_u32 s1, s1, _ZN16c10_complex_math3expIfEEN3c107complexIT_EERKS4_@rel32@hi+12
	s_swappc_b64 s[30:31], s[0:1]
	v_cvt_f16_f32_e32 v0, v0
	v_cvt_f16_f32_sdwa v1, v1 dst_sel:WORD_1 dst_unused:UNUSED_PAD src0_sel:DWORD
	s_nop 0
	v_or_b32_e32 v28, v1, v0
.LBB67_15:
	s_or_b64 exec, exec, s[22:23]
	v_or_b32_e32 v0, 0x200, v21
	v_cmp_gt_i32_e32 vcc, s26, v0
                                        ; implicit-def: $vgpr29
	s_and_saveexec_b64 s[22:23], vcc
	s_cbranch_execz .LBB67_17
; %bb.16:
	s_waitcnt vmcnt(0)
	v_cvt_f32_f16_e32 v0, v25
	v_cvt_f32_f16_sdwa v1, v25 dst_sel:DWORD dst_unused:UNUSED_PAD src0_sel:WORD_1
	s_getpc_b64 s[0:1]
	s_add_u32 s0, s0, _ZN16c10_complex_math3expIfEEN3c107complexIT_EERKS4_@rel32@lo+4
	s_addc_u32 s1, s1, _ZN16c10_complex_math3expIfEEN3c107complexIT_EERKS4_@rel32@hi+12
	s_swappc_b64 s[30:31], s[0:1]
	v_cvt_f16_f32_e32 v0, v0
	v_cvt_f16_f32_sdwa v1, v1 dst_sel:WORD_1 dst_unused:UNUSED_PAD src0_sel:DWORD
	s_nop 0
	v_or_b32_e32 v29, v1, v0
.LBB67_17:
	s_or_b64 exec, exec, s[22:23]
	v_or_b32_e32 v0, 0x300, v21
	v_cmp_gt_i32_e32 vcc, s26, v0
                                        ; implicit-def: $vgpr0
	s_and_saveexec_b64 s[22:23], vcc
	s_cbranch_execnz .LBB67_24
; %bb.18:
	s_or_b64 exec, exec, s[22:23]
	s_and_saveexec_b64 s[0:1], s[18:19]
	s_xor_b64 s[0:1], exec, s[0:1]
	s_cbranch_execnz .LBB67_25
.LBB67_19:
	s_or_b64 exec, exec, s[0:1]
	v_cmp_gt_i32_e32 vcc, s26, v21
	s_and_saveexec_b64 s[0:1], vcc
	s_cbranch_execnz .LBB67_26
.LBB67_20:
	s_or_b64 exec, exec, s[0:1]
	v_cmp_gt_i32_e32 vcc, s26, v21
	s_and_saveexec_b64 s[0:1], vcc
	s_cbranch_execnz .LBB67_27
.LBB67_21:
	s_or_b64 exec, exec, s[0:1]
	v_cmp_gt_i32_e32 vcc, s26, v21
	s_and_saveexec_b64 s[0:1], vcc
	s_cbranch_execz .LBB67_23
.LBB67_22:
	s_waitcnt vmcnt(0)
	v_add_u32_e32 v2, s24, v21
	v_mov_b32_e32 v3, 0
	v_lshl_add_u64 v[2:3], v[2:3], 2, s[20:21]
	global_store_dword v[2:3], v0, off
.LBB67_23:
	s_endpgm
.LBB67_24:
	s_waitcnt vmcnt(0)
	v_cvt_f32_f16_e32 v0, v24
	v_cvt_f32_f16_sdwa v1, v24 dst_sel:DWORD dst_unused:UNUSED_PAD src0_sel:WORD_1
	s_getpc_b64 s[0:1]
	s_add_u32 s0, s0, _ZN16c10_complex_math3expIfEEN3c107complexIT_EERKS4_@rel32@lo+4
	s_addc_u32 s1, s1, _ZN16c10_complex_math3expIfEEN3c107complexIT_EERKS4_@rel32@hi+12
	s_swappc_b64 s[30:31], s[0:1]
	v_cvt_f16_f32_e32 v0, v0
	v_cvt_f16_f32_sdwa v1, v1 dst_sel:WORD_1 dst_unused:UNUSED_PAD src0_sel:DWORD
	s_nop 0
	v_or_b32_e32 v0, v1, v0
	s_or_b64 exec, exec, s[22:23]
	s_and_saveexec_b64 s[0:1], s[18:19]
	s_xor_b64 s[0:1], exec, s[0:1]
	s_cbranch_execz .LBB67_19
.LBB67_25:
	s_waitcnt vmcnt(0)
	v_mov_b32_e32 v23, 0
	v_lshl_add_u64 v[2:3], v[22:23], 2, s[20:21]
	v_mov_b32_e32 v21, v27
	global_store_dword v[2:3], v26, off
	s_or_b64 exec, exec, s[0:1]
	v_cmp_gt_i32_e32 vcc, s26, v21
	s_and_saveexec_b64 s[0:1], vcc
	s_cbranch_execz .LBB67_20
.LBB67_26:
	s_waitcnt vmcnt(0)
	v_add_u32_e32 v2, s24, v21
	v_mov_b32_e32 v3, 0
	v_lshl_add_u64 v[2:3], v[2:3], 2, s[20:21]
	v_add_u32_e32 v21, 0x100, v21
	global_store_dword v[2:3], v28, off
	s_or_b64 exec, exec, s[0:1]
	v_cmp_gt_i32_e32 vcc, s26, v21
	s_and_saveexec_b64 s[0:1], vcc
	s_cbranch_execz .LBB67_21
.LBB67_27:
	s_waitcnt vmcnt(0)
	v_add_u32_e32 v2, s24, v21
	v_mov_b32_e32 v3, 0
	v_lshl_add_u64 v[2:3], v[2:3], 2, s[20:21]
	v_add_u32_e32 v21, 0x100, v21
	global_store_dword v[2:3], v29, off
	s_or_b64 exec, exec, s[0:1]
	v_cmp_gt_i32_e32 vcc, s26, v21
	s_and_saveexec_b64 s[0:1], vcc
	s_cbranch_execnz .LBB67_22
	s_branch .LBB67_23
	.section	.rodata,"a",@progbits
	.p2align	6, 0x0
	.amdhsa_kernel _ZN2at6native29vectorized_elementwise_kernelILi8EZZZNS0_15exp_kernel_cudaERNS_18TensorIteratorBaseEENKUlvE_clEvENKUlvE1_clEvEUlN3c107complexINS6_4HalfEEEE_St5arrayIPcLm2EEEEviT0_T1_
		.amdhsa_group_segment_fixed_size 0
		.amdhsa_private_segment_fixed_size 0
		.amdhsa_kernarg_size 24
		.amdhsa_user_sgpr_count 2
		.amdhsa_user_sgpr_dispatch_ptr 0
		.amdhsa_user_sgpr_queue_ptr 0
		.amdhsa_user_sgpr_kernarg_segment_ptr 1
		.amdhsa_user_sgpr_dispatch_id 0
		.amdhsa_user_sgpr_kernarg_preload_length 0
		.amdhsa_user_sgpr_kernarg_preload_offset 0
		.amdhsa_user_sgpr_private_segment_size 0
		.amdhsa_uses_dynamic_stack 0
		.amdhsa_enable_private_segment 0
		.amdhsa_system_sgpr_workgroup_id_x 1
		.amdhsa_system_sgpr_workgroup_id_y 0
		.amdhsa_system_sgpr_workgroup_id_z 0
		.amdhsa_system_sgpr_workgroup_info 0
		.amdhsa_system_vgpr_workitem_id 0
		.amdhsa_next_free_vgpr 31
		.amdhsa_next_free_sgpr 33
		.amdhsa_accum_offset 32
		.amdhsa_reserve_vcc 1
		.amdhsa_float_round_mode_32 0
		.amdhsa_float_round_mode_16_64 0
		.amdhsa_float_denorm_mode_32 3
		.amdhsa_float_denorm_mode_16_64 3
		.amdhsa_dx10_clamp 1
		.amdhsa_ieee_mode 1
		.amdhsa_fp16_overflow 0
		.amdhsa_tg_split 0
		.amdhsa_exception_fp_ieee_invalid_op 0
		.amdhsa_exception_fp_denorm_src 0
		.amdhsa_exception_fp_ieee_div_zero 0
		.amdhsa_exception_fp_ieee_overflow 0
		.amdhsa_exception_fp_ieee_underflow 0
		.amdhsa_exception_fp_ieee_inexact 0
		.amdhsa_exception_int_div_zero 0
	.end_amdhsa_kernel
	.section	.text._ZN2at6native29vectorized_elementwise_kernelILi8EZZZNS0_15exp_kernel_cudaERNS_18TensorIteratorBaseEENKUlvE_clEvENKUlvE1_clEvEUlN3c107complexINS6_4HalfEEEE_St5arrayIPcLm2EEEEviT0_T1_,"axG",@progbits,_ZN2at6native29vectorized_elementwise_kernelILi8EZZZNS0_15exp_kernel_cudaERNS_18TensorIteratorBaseEENKUlvE_clEvENKUlvE1_clEvEUlN3c107complexINS6_4HalfEEEE_St5arrayIPcLm2EEEEviT0_T1_,comdat
.Lfunc_end67:
	.size	_ZN2at6native29vectorized_elementwise_kernelILi8EZZZNS0_15exp_kernel_cudaERNS_18TensorIteratorBaseEENKUlvE_clEvENKUlvE1_clEvEUlN3c107complexINS6_4HalfEEEE_St5arrayIPcLm2EEEEviT0_T1_, .Lfunc_end67-_ZN2at6native29vectorized_elementwise_kernelILi8EZZZNS0_15exp_kernel_cudaERNS_18TensorIteratorBaseEENKUlvE_clEvENKUlvE1_clEvEUlN3c107complexINS6_4HalfEEEE_St5arrayIPcLm2EEEEviT0_T1_
                                        ; -- End function
	.set _ZN2at6native29vectorized_elementwise_kernelILi8EZZZNS0_15exp_kernel_cudaERNS_18TensorIteratorBaseEENKUlvE_clEvENKUlvE1_clEvEUlN3c107complexINS6_4HalfEEEE_St5arrayIPcLm2EEEEviT0_T1_.num_vgpr, max(31, .L_ZN16c10_complex_math3expIfEEN3c107complexIT_EERKS4_.num_vgpr)
	.set _ZN2at6native29vectorized_elementwise_kernelILi8EZZZNS0_15exp_kernel_cudaERNS_18TensorIteratorBaseEENKUlvE_clEvENKUlvE1_clEvEUlN3c107complexINS6_4HalfEEEE_St5arrayIPcLm2EEEEviT0_T1_.num_agpr, max(0, .L_ZN16c10_complex_math3expIfEEN3c107complexIT_EERKS4_.num_agpr)
	.set _ZN2at6native29vectorized_elementwise_kernelILi8EZZZNS0_15exp_kernel_cudaERNS_18TensorIteratorBaseEENKUlvE_clEvENKUlvE1_clEvEUlN3c107complexINS6_4HalfEEEE_St5arrayIPcLm2EEEEviT0_T1_.numbered_sgpr, max(33, .L_ZN16c10_complex_math3expIfEEN3c107complexIT_EERKS4_.numbered_sgpr)
	.set _ZN2at6native29vectorized_elementwise_kernelILi8EZZZNS0_15exp_kernel_cudaERNS_18TensorIteratorBaseEENKUlvE_clEvENKUlvE1_clEvEUlN3c107complexINS6_4HalfEEEE_St5arrayIPcLm2EEEEviT0_T1_.num_named_barrier, max(0, .L_ZN16c10_complex_math3expIfEEN3c107complexIT_EERKS4_.num_named_barrier)
	.set _ZN2at6native29vectorized_elementwise_kernelILi8EZZZNS0_15exp_kernel_cudaERNS_18TensorIteratorBaseEENKUlvE_clEvENKUlvE1_clEvEUlN3c107complexINS6_4HalfEEEE_St5arrayIPcLm2EEEEviT0_T1_.private_seg_size, 0+max(.L_ZN16c10_complex_math3expIfEEN3c107complexIT_EERKS4_.private_seg_size)
	.set _ZN2at6native29vectorized_elementwise_kernelILi8EZZZNS0_15exp_kernel_cudaERNS_18TensorIteratorBaseEENKUlvE_clEvENKUlvE1_clEvEUlN3c107complexINS6_4HalfEEEE_St5arrayIPcLm2EEEEviT0_T1_.uses_vcc, or(1, .L_ZN16c10_complex_math3expIfEEN3c107complexIT_EERKS4_.uses_vcc)
	.set _ZN2at6native29vectorized_elementwise_kernelILi8EZZZNS0_15exp_kernel_cudaERNS_18TensorIteratorBaseEENKUlvE_clEvENKUlvE1_clEvEUlN3c107complexINS6_4HalfEEEE_St5arrayIPcLm2EEEEviT0_T1_.uses_flat_scratch, or(0, .L_ZN16c10_complex_math3expIfEEN3c107complexIT_EERKS4_.uses_flat_scratch)
	.set _ZN2at6native29vectorized_elementwise_kernelILi8EZZZNS0_15exp_kernel_cudaERNS_18TensorIteratorBaseEENKUlvE_clEvENKUlvE1_clEvEUlN3c107complexINS6_4HalfEEEE_St5arrayIPcLm2EEEEviT0_T1_.has_dyn_sized_stack, or(0, .L_ZN16c10_complex_math3expIfEEN3c107complexIT_EERKS4_.has_dyn_sized_stack)
	.set _ZN2at6native29vectorized_elementwise_kernelILi8EZZZNS0_15exp_kernel_cudaERNS_18TensorIteratorBaseEENKUlvE_clEvENKUlvE1_clEvEUlN3c107complexINS6_4HalfEEEE_St5arrayIPcLm2EEEEviT0_T1_.has_recursion, or(0, .L_ZN16c10_complex_math3expIfEEN3c107complexIT_EERKS4_.has_recursion)
	.set _ZN2at6native29vectorized_elementwise_kernelILi8EZZZNS0_15exp_kernel_cudaERNS_18TensorIteratorBaseEENKUlvE_clEvENKUlvE1_clEvEUlN3c107complexINS6_4HalfEEEE_St5arrayIPcLm2EEEEviT0_T1_.has_indirect_call, or(0, .L_ZN16c10_complex_math3expIfEEN3c107complexIT_EERKS4_.has_indirect_call)
	.section	.AMDGPU.csdata,"",@progbits
; Kernel info:
; codeLenInByte = 1076
; TotalNumSgprs: 39
; NumVgprs: 31
; NumAgprs: 0
; TotalNumVgprs: 31
; ScratchSize: 0
; MemoryBound: 0
; FloatMode: 240
; IeeeMode: 1
; LDSByteSize: 0 bytes/workgroup (compile time only)
; SGPRBlocks: 4
; VGPRBlocks: 3
; NumSGPRsForWavesPerEU: 39
; NumVGPRsForWavesPerEU: 31
; AccumOffset: 32
; Occupancy: 8
; WaveLimiterHint : 0
; COMPUTE_PGM_RSRC2:SCRATCH_EN: 0
; COMPUTE_PGM_RSRC2:USER_SGPR: 2
; COMPUTE_PGM_RSRC2:TRAP_HANDLER: 0
; COMPUTE_PGM_RSRC2:TGID_X_EN: 1
; COMPUTE_PGM_RSRC2:TGID_Y_EN: 0
; COMPUTE_PGM_RSRC2:TGID_Z_EN: 0
; COMPUTE_PGM_RSRC2:TIDIG_COMP_CNT: 0
; COMPUTE_PGM_RSRC3_GFX90A:ACCUM_OFFSET: 7
; COMPUTE_PGM_RSRC3_GFX90A:TG_SPLIT: 0
	.section	.text._ZN2at6native29vectorized_elementwise_kernelILi4EZZZNS0_15exp_kernel_cudaERNS_18TensorIteratorBaseEENKUlvE_clEvENKUlvE1_clEvEUlN3c107complexINS6_4HalfEEEE_St5arrayIPcLm2EEEEviT0_T1_,"axG",@progbits,_ZN2at6native29vectorized_elementwise_kernelILi4EZZZNS0_15exp_kernel_cudaERNS_18TensorIteratorBaseEENKUlvE_clEvENKUlvE1_clEvEUlN3c107complexINS6_4HalfEEEE_St5arrayIPcLm2EEEEviT0_T1_,comdat
	.globl	_ZN2at6native29vectorized_elementwise_kernelILi4EZZZNS0_15exp_kernel_cudaERNS_18TensorIteratorBaseEENKUlvE_clEvENKUlvE1_clEvEUlN3c107complexINS6_4HalfEEEE_St5arrayIPcLm2EEEEviT0_T1_ ; -- Begin function _ZN2at6native29vectorized_elementwise_kernelILi4EZZZNS0_15exp_kernel_cudaERNS_18TensorIteratorBaseEENKUlvE_clEvENKUlvE1_clEvEUlN3c107complexINS6_4HalfEEEE_St5arrayIPcLm2EEEEviT0_T1_
	.p2align	8
	.type	_ZN2at6native29vectorized_elementwise_kernelILi4EZZZNS0_15exp_kernel_cudaERNS_18TensorIteratorBaseEENKUlvE_clEvENKUlvE1_clEvEUlN3c107complexINS6_4HalfEEEE_St5arrayIPcLm2EEEEviT0_T1_,@function
_ZN2at6native29vectorized_elementwise_kernelILi4EZZZNS0_15exp_kernel_cudaERNS_18TensorIteratorBaseEENKUlvE_clEvENKUlvE1_clEvEUlN3c107complexINS6_4HalfEEEE_St5arrayIPcLm2EEEEviT0_T1_: ; @_ZN2at6native29vectorized_elementwise_kernelILi4EZZZNS0_15exp_kernel_cudaERNS_18TensorIteratorBaseEENKUlvE_clEvENKUlvE1_clEvEUlN3c107complexINS6_4HalfEEEE_St5arrayIPcLm2EEEEviT0_T1_
; %bb.0:
	s_load_dword s3, s[0:1], 0x0
	s_load_dwordx4 s[20:23], s[0:1], 0x8
	s_lshl_b32 s24, s2, 10
	v_mov_b32_e32 v21, v0
	s_mov_b64 s[0:1], -1
	s_waitcnt lgkmcnt(0)
	s_sub_i32 s26, s3, s24
	s_cmpk_gt_i32 s26, 0x3ff
	s_mov_b32 s32, 0
	s_cbranch_scc0 .LBB68_2
; %bb.1:
	s_ashr_i32 s25, s24, 31
	s_lshl_b64 s[18:19], s[24:25], 2
	s_add_u32 s0, s22, s18
	s_addc_u32 s1, s23, s19
	v_lshlrev_b32_e32 v30, 4, v21
	global_load_dwordx4 v[26:29], v30, s[0:1]
	s_getpc_b64 s[28:29]
	s_add_u32 s28, s28, _ZN16c10_complex_math3expIfEEN3c107complexIT_EERKS4_@rel32@lo+4
	s_addc_u32 s29, s29, _ZN16c10_complex_math3expIfEEN3c107complexIT_EERKS4_@rel32@hi+12
	s_waitcnt vmcnt(0)
	v_cvt_f32_f16_e32 v0, v26
	v_cvt_f32_f16_sdwa v1, v26 dst_sel:DWORD dst_unused:UNUSED_PAD src0_sel:WORD_1
	s_swappc_b64 s[30:31], s[28:29]
	v_mov_b32_e32 v22, v0
	v_mov_b32_e32 v23, v1
	v_cvt_f32_f16_e32 v0, v27
	v_cvt_f32_f16_sdwa v1, v27 dst_sel:DWORD dst_unused:UNUSED_PAD src0_sel:WORD_1
	s_swappc_b64 s[30:31], s[28:29]
	v_mov_b32_e32 v24, v0
	v_mov_b32_e32 v25, v1
	;; [unrolled: 5-line block ×3, first 2 shown]
	v_cvt_f32_f16_e32 v0, v29
	v_cvt_f32_f16_sdwa v1, v29 dst_sel:DWORD dst_unused:UNUSED_PAD src0_sel:WORD_1
	s_swappc_b64 s[30:31], s[28:29]
	v_cvt_pk_f16_f32 v3, v23, v25
	v_cvt_pk_f16_f32 v2, v22, v24
	v_and_b32_e32 v4, 0xffff0000, v3
	v_cvt_pk_f16_f32 v1, v27, v1
	s_add_u32 s0, s20, s18
	v_lshlrev_b32_e32 v5, 16, v3
	v_or_b32_sdwa v3, v4, v2 dst_sel:DWORD dst_unused:UNUSED_PAD src0_sel:DWORD src1_sel:WORD_1
	v_cvt_pk_f16_f32 v0, v26, v0
	v_and_b32_e32 v4, 0xffff0000, v1
	v_lshlrev_b32_e32 v1, 16, v1
	s_addc_u32 s1, s21, s19
	v_or_b32_sdwa v2, v5, v2 dst_sel:DWORD dst_unused:UNUSED_PAD src0_sel:DWORD src1_sel:WORD_0
	v_or_b32_sdwa v5, v4, v0 dst_sel:DWORD dst_unused:UNUSED_PAD src0_sel:DWORD src1_sel:WORD_1
	v_or_b32_sdwa v4, v1, v0 dst_sel:DWORD dst_unused:UNUSED_PAD src0_sel:DWORD src1_sel:WORD_0
	global_store_dwordx4 v30, v[2:5], s[0:1]
	s_mov_b64 s[0:1], 0
.LBB68_2:
	s_andn2_b64 vcc, exec, s[0:1]
	s_cbranch_vccnz .LBB68_23
; %bb.3:
	v_cmp_gt_i32_e64 s[18:19], s26, v21
	v_mov_b32_e32 v24, 0
	v_or_b32_e32 v22, s24, v21
	v_mov_b32_e32 v25, 0
	v_mov_b32_e32 v23, 0
	;; [unrolled: 1-line block ×3, first 2 shown]
	s_and_saveexec_b64 s[0:1], s[18:19]
	s_cbranch_execz .LBB68_11
; %bb.4:
	v_mov_b32_e32 v23, 0
	v_lshl_add_u64 v[0:1], v[22:23], 2, s[22:23]
	global_load_dword v2, v[0:1], off
	v_or_b32_e32 v0, 0x100, v21
	v_cmp_gt_u32_e32 vcc, s26, v0
	v_mov_b32_e32 v25, v23
	v_mov_b32_e32 v24, v23
	s_and_saveexec_b64 s[2:3], vcc
	s_cbranch_execz .LBB68_10
; %bb.5:
	v_add_u32_e32 v24, s24, v21
	v_mov_b32_e32 v25, 0
	v_lshl_add_u64 v[0:1], v[24:25], 2, s[22:23]
	global_load_dword v23, v[0:1], off offset:1024
	v_or_b32_e32 v3, 0x200, v21
	v_cmp_gt_u32_e32 vcc, s26, v3
	v_mov_b32_e32 v24, v25
	s_and_saveexec_b64 s[4:5], vcc
	s_cbranch_execz .LBB68_9
; %bb.6:
	global_load_dword v25, v[0:1], off offset:2048
	v_or_b32_e32 v3, 0x300, v21
	v_cmp_gt_u32_e32 vcc, s26, v3
	v_mov_b32_e32 v24, 0
	s_and_saveexec_b64 s[6:7], vcc
	s_cbranch_execz .LBB68_8
; %bb.7:
	global_load_dword v24, v[0:1], off offset:3072
.LBB68_8:
	s_or_b64 exec, exec, s[6:7]
.LBB68_9:
	s_or_b64 exec, exec, s[4:5]
.LBB68_10:
	s_or_b64 exec, exec, s[2:3]
.LBB68_11:
	s_or_b64 exec, exec, s[0:1]
                                        ; implicit-def: $vgpr26
	s_and_saveexec_b64 s[22:23], s[18:19]
	s_cbranch_execz .LBB68_13
; %bb.12:
	s_waitcnt vmcnt(0)
	v_cvt_f32_f16_e32 v0, v2
	v_cvt_f32_f16_sdwa v1, v2 dst_sel:DWORD dst_unused:UNUSED_PAD src0_sel:WORD_1
	s_getpc_b64 s[0:1]
	s_add_u32 s0, s0, _ZN16c10_complex_math3expIfEEN3c107complexIT_EERKS4_@rel32@lo+4
	s_addc_u32 s1, s1, _ZN16c10_complex_math3expIfEEN3c107complexIT_EERKS4_@rel32@hi+12
	s_swappc_b64 s[30:31], s[0:1]
	v_cvt_f16_f32_e32 v0, v0
	v_cvt_f16_f32_sdwa v1, v1 dst_sel:WORD_1 dst_unused:UNUSED_PAD src0_sel:DWORD
	s_nop 0
	v_or_b32_e32 v26, v1, v0
.LBB68_13:
	s_or_b64 exec, exec, s[22:23]
	v_or_b32_e32 v27, 0x100, v21
	v_cmp_gt_i32_e32 vcc, s26, v27
                                        ; implicit-def: $vgpr28
	s_and_saveexec_b64 s[22:23], vcc
	s_cbranch_execz .LBB68_15
; %bb.14:
	s_waitcnt vmcnt(0)
	v_cvt_f32_f16_e32 v0, v23
	v_cvt_f32_f16_sdwa v1, v23 dst_sel:DWORD dst_unused:UNUSED_PAD src0_sel:WORD_1
	s_getpc_b64 s[0:1]
	s_add_u32 s0, s0, _ZN16c10_complex_math3expIfEEN3c107complexIT_EERKS4_@rel32@lo+4
	s_addc_u32 s1, s1, _ZN16c10_complex_math3expIfEEN3c107complexIT_EERKS4_@rel32@hi+12
	s_swappc_b64 s[30:31], s[0:1]
	v_cvt_f16_f32_e32 v0, v0
	v_cvt_f16_f32_sdwa v1, v1 dst_sel:WORD_1 dst_unused:UNUSED_PAD src0_sel:DWORD
	s_nop 0
	v_or_b32_e32 v28, v1, v0
.LBB68_15:
	s_or_b64 exec, exec, s[22:23]
	v_or_b32_e32 v0, 0x200, v21
	v_cmp_gt_i32_e32 vcc, s26, v0
                                        ; implicit-def: $vgpr29
	s_and_saveexec_b64 s[22:23], vcc
	s_cbranch_execz .LBB68_17
; %bb.16:
	s_waitcnt vmcnt(0)
	v_cvt_f32_f16_e32 v0, v25
	v_cvt_f32_f16_sdwa v1, v25 dst_sel:DWORD dst_unused:UNUSED_PAD src0_sel:WORD_1
	s_getpc_b64 s[0:1]
	s_add_u32 s0, s0, _ZN16c10_complex_math3expIfEEN3c107complexIT_EERKS4_@rel32@lo+4
	s_addc_u32 s1, s1, _ZN16c10_complex_math3expIfEEN3c107complexIT_EERKS4_@rel32@hi+12
	s_swappc_b64 s[30:31], s[0:1]
	v_cvt_f16_f32_e32 v0, v0
	v_cvt_f16_f32_sdwa v1, v1 dst_sel:WORD_1 dst_unused:UNUSED_PAD src0_sel:DWORD
	s_nop 0
	v_or_b32_e32 v29, v1, v0
.LBB68_17:
	s_or_b64 exec, exec, s[22:23]
	v_or_b32_e32 v0, 0x300, v21
	v_cmp_gt_i32_e32 vcc, s26, v0
                                        ; implicit-def: $vgpr0
	s_and_saveexec_b64 s[22:23], vcc
	s_cbranch_execnz .LBB68_24
; %bb.18:
	s_or_b64 exec, exec, s[22:23]
	s_and_saveexec_b64 s[0:1], s[18:19]
	s_xor_b64 s[0:1], exec, s[0:1]
	s_cbranch_execnz .LBB68_25
.LBB68_19:
	s_or_b64 exec, exec, s[0:1]
	v_cmp_gt_i32_e32 vcc, s26, v21
	s_and_saveexec_b64 s[0:1], vcc
	s_cbranch_execnz .LBB68_26
.LBB68_20:
	s_or_b64 exec, exec, s[0:1]
	v_cmp_gt_i32_e32 vcc, s26, v21
	s_and_saveexec_b64 s[0:1], vcc
	s_cbranch_execnz .LBB68_27
.LBB68_21:
	s_or_b64 exec, exec, s[0:1]
	v_cmp_gt_i32_e32 vcc, s26, v21
	s_and_saveexec_b64 s[0:1], vcc
	s_cbranch_execz .LBB68_23
.LBB68_22:
	s_waitcnt vmcnt(0)
	v_add_u32_e32 v2, s24, v21
	v_mov_b32_e32 v3, 0
	v_lshl_add_u64 v[2:3], v[2:3], 2, s[20:21]
	global_store_dword v[2:3], v0, off
.LBB68_23:
	s_endpgm
.LBB68_24:
	s_waitcnt vmcnt(0)
	v_cvt_f32_f16_e32 v0, v24
	v_cvt_f32_f16_sdwa v1, v24 dst_sel:DWORD dst_unused:UNUSED_PAD src0_sel:WORD_1
	s_getpc_b64 s[0:1]
	s_add_u32 s0, s0, _ZN16c10_complex_math3expIfEEN3c107complexIT_EERKS4_@rel32@lo+4
	s_addc_u32 s1, s1, _ZN16c10_complex_math3expIfEEN3c107complexIT_EERKS4_@rel32@hi+12
	s_swappc_b64 s[30:31], s[0:1]
	v_cvt_f16_f32_e32 v0, v0
	v_cvt_f16_f32_sdwa v1, v1 dst_sel:WORD_1 dst_unused:UNUSED_PAD src0_sel:DWORD
	s_nop 0
	v_or_b32_e32 v0, v1, v0
	s_or_b64 exec, exec, s[22:23]
	s_and_saveexec_b64 s[0:1], s[18:19]
	s_xor_b64 s[0:1], exec, s[0:1]
	s_cbranch_execz .LBB68_19
.LBB68_25:
	s_waitcnt vmcnt(0)
	v_mov_b32_e32 v23, 0
	v_lshl_add_u64 v[2:3], v[22:23], 2, s[20:21]
	v_mov_b32_e32 v21, v27
	global_store_dword v[2:3], v26, off
	s_or_b64 exec, exec, s[0:1]
	v_cmp_gt_i32_e32 vcc, s26, v21
	s_and_saveexec_b64 s[0:1], vcc
	s_cbranch_execz .LBB68_20
.LBB68_26:
	s_waitcnt vmcnt(0)
	v_add_u32_e32 v2, s24, v21
	v_mov_b32_e32 v3, 0
	v_lshl_add_u64 v[2:3], v[2:3], 2, s[20:21]
	v_add_u32_e32 v21, 0x100, v21
	global_store_dword v[2:3], v28, off
	s_or_b64 exec, exec, s[0:1]
	v_cmp_gt_i32_e32 vcc, s26, v21
	s_and_saveexec_b64 s[0:1], vcc
	s_cbranch_execz .LBB68_21
.LBB68_27:
	s_waitcnt vmcnt(0)
	v_add_u32_e32 v2, s24, v21
	v_mov_b32_e32 v3, 0
	v_lshl_add_u64 v[2:3], v[2:3], 2, s[20:21]
	v_add_u32_e32 v21, 0x100, v21
	global_store_dword v[2:3], v29, off
	s_or_b64 exec, exec, s[0:1]
	v_cmp_gt_i32_e32 vcc, s26, v21
	s_and_saveexec_b64 s[0:1], vcc
	s_cbranch_execnz .LBB68_22
	s_branch .LBB68_23
	.section	.rodata,"a",@progbits
	.p2align	6, 0x0
	.amdhsa_kernel _ZN2at6native29vectorized_elementwise_kernelILi4EZZZNS0_15exp_kernel_cudaERNS_18TensorIteratorBaseEENKUlvE_clEvENKUlvE1_clEvEUlN3c107complexINS6_4HalfEEEE_St5arrayIPcLm2EEEEviT0_T1_
		.amdhsa_group_segment_fixed_size 0
		.amdhsa_private_segment_fixed_size 0
		.amdhsa_kernarg_size 24
		.amdhsa_user_sgpr_count 2
		.amdhsa_user_sgpr_dispatch_ptr 0
		.amdhsa_user_sgpr_queue_ptr 0
		.amdhsa_user_sgpr_kernarg_segment_ptr 1
		.amdhsa_user_sgpr_dispatch_id 0
		.amdhsa_user_sgpr_kernarg_preload_length 0
		.amdhsa_user_sgpr_kernarg_preload_offset 0
		.amdhsa_user_sgpr_private_segment_size 0
		.amdhsa_uses_dynamic_stack 0
		.amdhsa_enable_private_segment 0
		.amdhsa_system_sgpr_workgroup_id_x 1
		.amdhsa_system_sgpr_workgroup_id_y 0
		.amdhsa_system_sgpr_workgroup_id_z 0
		.amdhsa_system_sgpr_workgroup_info 0
		.amdhsa_system_vgpr_workitem_id 0
		.amdhsa_next_free_vgpr 31
		.amdhsa_next_free_sgpr 33
		.amdhsa_accum_offset 32
		.amdhsa_reserve_vcc 1
		.amdhsa_float_round_mode_32 0
		.amdhsa_float_round_mode_16_64 0
		.amdhsa_float_denorm_mode_32 3
		.amdhsa_float_denorm_mode_16_64 3
		.amdhsa_dx10_clamp 1
		.amdhsa_ieee_mode 1
		.amdhsa_fp16_overflow 0
		.amdhsa_tg_split 0
		.amdhsa_exception_fp_ieee_invalid_op 0
		.amdhsa_exception_fp_denorm_src 0
		.amdhsa_exception_fp_ieee_div_zero 0
		.amdhsa_exception_fp_ieee_overflow 0
		.amdhsa_exception_fp_ieee_underflow 0
		.amdhsa_exception_fp_ieee_inexact 0
		.amdhsa_exception_int_div_zero 0
	.end_amdhsa_kernel
	.section	.text._ZN2at6native29vectorized_elementwise_kernelILi4EZZZNS0_15exp_kernel_cudaERNS_18TensorIteratorBaseEENKUlvE_clEvENKUlvE1_clEvEUlN3c107complexINS6_4HalfEEEE_St5arrayIPcLm2EEEEviT0_T1_,"axG",@progbits,_ZN2at6native29vectorized_elementwise_kernelILi4EZZZNS0_15exp_kernel_cudaERNS_18TensorIteratorBaseEENKUlvE_clEvENKUlvE1_clEvEUlN3c107complexINS6_4HalfEEEE_St5arrayIPcLm2EEEEviT0_T1_,comdat
.Lfunc_end68:
	.size	_ZN2at6native29vectorized_elementwise_kernelILi4EZZZNS0_15exp_kernel_cudaERNS_18TensorIteratorBaseEENKUlvE_clEvENKUlvE1_clEvEUlN3c107complexINS6_4HalfEEEE_St5arrayIPcLm2EEEEviT0_T1_, .Lfunc_end68-_ZN2at6native29vectorized_elementwise_kernelILi4EZZZNS0_15exp_kernel_cudaERNS_18TensorIteratorBaseEENKUlvE_clEvENKUlvE1_clEvEUlN3c107complexINS6_4HalfEEEE_St5arrayIPcLm2EEEEviT0_T1_
                                        ; -- End function
	.set _ZN2at6native29vectorized_elementwise_kernelILi4EZZZNS0_15exp_kernel_cudaERNS_18TensorIteratorBaseEENKUlvE_clEvENKUlvE1_clEvEUlN3c107complexINS6_4HalfEEEE_St5arrayIPcLm2EEEEviT0_T1_.num_vgpr, max(31, .L_ZN16c10_complex_math3expIfEEN3c107complexIT_EERKS4_.num_vgpr)
	.set _ZN2at6native29vectorized_elementwise_kernelILi4EZZZNS0_15exp_kernel_cudaERNS_18TensorIteratorBaseEENKUlvE_clEvENKUlvE1_clEvEUlN3c107complexINS6_4HalfEEEE_St5arrayIPcLm2EEEEviT0_T1_.num_agpr, max(0, .L_ZN16c10_complex_math3expIfEEN3c107complexIT_EERKS4_.num_agpr)
	.set _ZN2at6native29vectorized_elementwise_kernelILi4EZZZNS0_15exp_kernel_cudaERNS_18TensorIteratorBaseEENKUlvE_clEvENKUlvE1_clEvEUlN3c107complexINS6_4HalfEEEE_St5arrayIPcLm2EEEEviT0_T1_.numbered_sgpr, max(33, .L_ZN16c10_complex_math3expIfEEN3c107complexIT_EERKS4_.numbered_sgpr)
	.set _ZN2at6native29vectorized_elementwise_kernelILi4EZZZNS0_15exp_kernel_cudaERNS_18TensorIteratorBaseEENKUlvE_clEvENKUlvE1_clEvEUlN3c107complexINS6_4HalfEEEE_St5arrayIPcLm2EEEEviT0_T1_.num_named_barrier, max(0, .L_ZN16c10_complex_math3expIfEEN3c107complexIT_EERKS4_.num_named_barrier)
	.set _ZN2at6native29vectorized_elementwise_kernelILi4EZZZNS0_15exp_kernel_cudaERNS_18TensorIteratorBaseEENKUlvE_clEvENKUlvE1_clEvEUlN3c107complexINS6_4HalfEEEE_St5arrayIPcLm2EEEEviT0_T1_.private_seg_size, 0+max(.L_ZN16c10_complex_math3expIfEEN3c107complexIT_EERKS4_.private_seg_size)
	.set _ZN2at6native29vectorized_elementwise_kernelILi4EZZZNS0_15exp_kernel_cudaERNS_18TensorIteratorBaseEENKUlvE_clEvENKUlvE1_clEvEUlN3c107complexINS6_4HalfEEEE_St5arrayIPcLm2EEEEviT0_T1_.uses_vcc, or(1, .L_ZN16c10_complex_math3expIfEEN3c107complexIT_EERKS4_.uses_vcc)
	.set _ZN2at6native29vectorized_elementwise_kernelILi4EZZZNS0_15exp_kernel_cudaERNS_18TensorIteratorBaseEENKUlvE_clEvENKUlvE1_clEvEUlN3c107complexINS6_4HalfEEEE_St5arrayIPcLm2EEEEviT0_T1_.uses_flat_scratch, or(0, .L_ZN16c10_complex_math3expIfEEN3c107complexIT_EERKS4_.uses_flat_scratch)
	.set _ZN2at6native29vectorized_elementwise_kernelILi4EZZZNS0_15exp_kernel_cudaERNS_18TensorIteratorBaseEENKUlvE_clEvENKUlvE1_clEvEUlN3c107complexINS6_4HalfEEEE_St5arrayIPcLm2EEEEviT0_T1_.has_dyn_sized_stack, or(0, .L_ZN16c10_complex_math3expIfEEN3c107complexIT_EERKS4_.has_dyn_sized_stack)
	.set _ZN2at6native29vectorized_elementwise_kernelILi4EZZZNS0_15exp_kernel_cudaERNS_18TensorIteratorBaseEENKUlvE_clEvENKUlvE1_clEvEUlN3c107complexINS6_4HalfEEEE_St5arrayIPcLm2EEEEviT0_T1_.has_recursion, or(0, .L_ZN16c10_complex_math3expIfEEN3c107complexIT_EERKS4_.has_recursion)
	.set _ZN2at6native29vectorized_elementwise_kernelILi4EZZZNS0_15exp_kernel_cudaERNS_18TensorIteratorBaseEENKUlvE_clEvENKUlvE1_clEvEUlN3c107complexINS6_4HalfEEEE_St5arrayIPcLm2EEEEviT0_T1_.has_indirect_call, or(0, .L_ZN16c10_complex_math3expIfEEN3c107complexIT_EERKS4_.has_indirect_call)
	.section	.AMDGPU.csdata,"",@progbits
; Kernel info:
; codeLenInByte = 1076
; TotalNumSgprs: 39
; NumVgprs: 31
; NumAgprs: 0
; TotalNumVgprs: 31
; ScratchSize: 0
; MemoryBound: 0
; FloatMode: 240
; IeeeMode: 1
; LDSByteSize: 0 bytes/workgroup (compile time only)
; SGPRBlocks: 4
; VGPRBlocks: 3
; NumSGPRsForWavesPerEU: 39
; NumVGPRsForWavesPerEU: 31
; AccumOffset: 32
; Occupancy: 8
; WaveLimiterHint : 0
; COMPUTE_PGM_RSRC2:SCRATCH_EN: 0
; COMPUTE_PGM_RSRC2:USER_SGPR: 2
; COMPUTE_PGM_RSRC2:TRAP_HANDLER: 0
; COMPUTE_PGM_RSRC2:TGID_X_EN: 1
; COMPUTE_PGM_RSRC2:TGID_Y_EN: 0
; COMPUTE_PGM_RSRC2:TGID_Z_EN: 0
; COMPUTE_PGM_RSRC2:TIDIG_COMP_CNT: 0
; COMPUTE_PGM_RSRC3_GFX90A:ACCUM_OFFSET: 7
; COMPUTE_PGM_RSRC3_GFX90A:TG_SPLIT: 0
	.section	.text._ZN2at6native29vectorized_elementwise_kernelILi2EZZZNS0_15exp_kernel_cudaERNS_18TensorIteratorBaseEENKUlvE_clEvENKUlvE1_clEvEUlN3c107complexINS6_4HalfEEEE_St5arrayIPcLm2EEEEviT0_T1_,"axG",@progbits,_ZN2at6native29vectorized_elementwise_kernelILi2EZZZNS0_15exp_kernel_cudaERNS_18TensorIteratorBaseEENKUlvE_clEvENKUlvE1_clEvEUlN3c107complexINS6_4HalfEEEE_St5arrayIPcLm2EEEEviT0_T1_,comdat
	.globl	_ZN2at6native29vectorized_elementwise_kernelILi2EZZZNS0_15exp_kernel_cudaERNS_18TensorIteratorBaseEENKUlvE_clEvENKUlvE1_clEvEUlN3c107complexINS6_4HalfEEEE_St5arrayIPcLm2EEEEviT0_T1_ ; -- Begin function _ZN2at6native29vectorized_elementwise_kernelILi2EZZZNS0_15exp_kernel_cudaERNS_18TensorIteratorBaseEENKUlvE_clEvENKUlvE1_clEvEUlN3c107complexINS6_4HalfEEEE_St5arrayIPcLm2EEEEviT0_T1_
	.p2align	8
	.type	_ZN2at6native29vectorized_elementwise_kernelILi2EZZZNS0_15exp_kernel_cudaERNS_18TensorIteratorBaseEENKUlvE_clEvENKUlvE1_clEvEUlN3c107complexINS6_4HalfEEEE_St5arrayIPcLm2EEEEviT0_T1_,@function
_ZN2at6native29vectorized_elementwise_kernelILi2EZZZNS0_15exp_kernel_cudaERNS_18TensorIteratorBaseEENKUlvE_clEvENKUlvE1_clEvEUlN3c107complexINS6_4HalfEEEE_St5arrayIPcLm2EEEEviT0_T1_: ; @_ZN2at6native29vectorized_elementwise_kernelILi2EZZZNS0_15exp_kernel_cudaERNS_18TensorIteratorBaseEENKUlvE_clEvENKUlvE1_clEvEUlN3c107complexINS6_4HalfEEEE_St5arrayIPcLm2EEEEviT0_T1_
; %bb.0:
	s_load_dword s3, s[0:1], 0x0
	s_load_dwordx4 s[20:23], s[0:1], 0x8
	s_lshl_b32 s24, s2, 10
	v_mov_b32_e32 v21, v0
	s_mov_b64 s[0:1], -1
	s_waitcnt lgkmcnt(0)
	s_sub_i32 s26, s3, s24
	s_cmpk_gt_i32 s26, 0x3ff
	s_mov_b32 s32, 0
	s_cbranch_scc0 .LBB69_2
; %bb.1:
	s_ashr_i32 s25, s24, 31
	s_lshl_b64 s[18:19], s[24:25], 2
	s_add_u32 s0, s22, s18
	s_addc_u32 s1, s23, s19
	v_lshlrev_b32_e32 v26, 3, v21
	global_load_dwordx2 v[22:23], v26, s[0:1]
	global_load_dwordx2 v[24:25], v26, s[0:1] offset:2048
	s_getpc_b64 s[28:29]
	s_add_u32 s28, s28, _ZN16c10_complex_math3expIfEEN3c107complexIT_EERKS4_@rel32@lo+4
	s_addc_u32 s29, s29, _ZN16c10_complex_math3expIfEEN3c107complexIT_EERKS4_@rel32@hi+12
	s_waitcnt vmcnt(1)
	v_cvt_f32_f16_e32 v0, v22
	v_cvt_f32_f16_sdwa v1, v22 dst_sel:DWORD dst_unused:UNUSED_PAD src0_sel:WORD_1
	s_swappc_b64 s[30:31], s[28:29]
	v_cvt_f16_f32_e32 v2, v0
	v_cvt_f16_f32_sdwa v3, v1 dst_sel:WORD_1 dst_unused:UNUSED_PAD src0_sel:DWORD
	v_cvt_f32_f16_e32 v0, v23
	v_cvt_f32_f16_sdwa v1, v23 dst_sel:DWORD dst_unused:UNUSED_PAD src0_sel:WORD_1
	v_or_b32_e32 v22, v3, v2
	s_swappc_b64 s[30:31], s[28:29]
	v_cvt_f16_f32_e32 v0, v0
	v_cvt_f16_f32_sdwa v1, v1 dst_sel:WORD_1 dst_unused:UNUSED_PAD src0_sel:DWORD
	v_or3_b32 v22, 0, 0, v22
	v_or3_b32 v23, v1, v0, 0
	v_cvt_f32_f16_e32 v0, v24
	v_cvt_f32_f16_sdwa v1, v24 dst_sel:DWORD dst_unused:UNUSED_PAD src0_sel:WORD_1
	s_swappc_b64 s[30:31], s[28:29]
	v_cvt_f16_f32_e32 v2, v0
	v_cvt_f16_f32_sdwa v3, v1 dst_sel:WORD_1 dst_unused:UNUSED_PAD src0_sel:DWORD
	v_cvt_f32_f16_e32 v0, v25
	v_cvt_f32_f16_sdwa v1, v25 dst_sel:DWORD dst_unused:UNUSED_PAD src0_sel:WORD_1
	v_or_b32_e32 v24, v3, v2
	s_swappc_b64 s[30:31], s[28:29]
	v_cvt_f16_f32_e32 v0, v0
	v_cvt_f16_f32_sdwa v1, v1 dst_sel:WORD_1 dst_unused:UNUSED_PAD src0_sel:DWORD
	s_add_u32 s0, s20, s18
	s_addc_u32 s1, s21, s19
	v_or3_b32 v1, v1, v0, 0
	v_or3_b32 v0, 0, 0, v24
	global_store_dwordx2 v26, v[22:23], s[0:1]
	global_store_dwordx2 v26, v[0:1], s[0:1] offset:2048
	s_mov_b64 s[0:1], 0
.LBB69_2:
	s_andn2_b64 vcc, exec, s[0:1]
	s_cbranch_vccnz .LBB69_23
; %bb.3:
	v_cmp_gt_i32_e64 s[18:19], s26, v21
	v_mov_b32_e32 v24, 0
	v_or_b32_e32 v22, s24, v21
	v_mov_b32_e32 v25, 0
	v_mov_b32_e32 v23, 0
	;; [unrolled: 1-line block ×3, first 2 shown]
	s_and_saveexec_b64 s[0:1], s[18:19]
	s_cbranch_execz .LBB69_11
; %bb.4:
	v_mov_b32_e32 v23, 0
	v_lshl_add_u64 v[0:1], v[22:23], 2, s[22:23]
	global_load_dword v2, v[0:1], off
	v_or_b32_e32 v0, 0x100, v21
	v_cmp_gt_u32_e32 vcc, s26, v0
	v_mov_b32_e32 v25, v23
	v_mov_b32_e32 v24, v23
	s_and_saveexec_b64 s[2:3], vcc
	s_cbranch_execz .LBB69_10
; %bb.5:
	v_add_u32_e32 v24, s24, v21
	v_mov_b32_e32 v25, 0
	v_lshl_add_u64 v[0:1], v[24:25], 2, s[22:23]
	global_load_dword v23, v[0:1], off offset:1024
	v_or_b32_e32 v3, 0x200, v21
	v_cmp_gt_u32_e32 vcc, s26, v3
	v_mov_b32_e32 v24, v25
	s_and_saveexec_b64 s[4:5], vcc
	s_cbranch_execz .LBB69_9
; %bb.6:
	global_load_dword v25, v[0:1], off offset:2048
	v_or_b32_e32 v3, 0x300, v21
	v_cmp_gt_u32_e32 vcc, s26, v3
	v_mov_b32_e32 v24, 0
	s_and_saveexec_b64 s[6:7], vcc
	s_cbranch_execz .LBB69_8
; %bb.7:
	global_load_dword v24, v[0:1], off offset:3072
.LBB69_8:
	s_or_b64 exec, exec, s[6:7]
.LBB69_9:
	s_or_b64 exec, exec, s[4:5]
.LBB69_10:
	s_or_b64 exec, exec, s[2:3]
.LBB69_11:
	s_or_b64 exec, exec, s[0:1]
                                        ; implicit-def: $vgpr26
	s_and_saveexec_b64 s[22:23], s[18:19]
	s_cbranch_execz .LBB69_13
; %bb.12:
	s_waitcnt vmcnt(0)
	v_cvt_f32_f16_e32 v0, v2
	v_cvt_f32_f16_sdwa v1, v2 dst_sel:DWORD dst_unused:UNUSED_PAD src0_sel:WORD_1
	s_getpc_b64 s[0:1]
	s_add_u32 s0, s0, _ZN16c10_complex_math3expIfEEN3c107complexIT_EERKS4_@rel32@lo+4
	s_addc_u32 s1, s1, _ZN16c10_complex_math3expIfEEN3c107complexIT_EERKS4_@rel32@hi+12
	s_swappc_b64 s[30:31], s[0:1]
	v_cvt_f16_f32_e32 v0, v0
	v_cvt_f16_f32_sdwa v1, v1 dst_sel:WORD_1 dst_unused:UNUSED_PAD src0_sel:DWORD
	s_nop 0
	v_or_b32_e32 v26, v1, v0
.LBB69_13:
	s_or_b64 exec, exec, s[22:23]
	v_or_b32_e32 v27, 0x100, v21
	v_cmp_gt_i32_e32 vcc, s26, v27
                                        ; implicit-def: $vgpr28
	s_and_saveexec_b64 s[22:23], vcc
	s_cbranch_execz .LBB69_15
; %bb.14:
	s_waitcnt vmcnt(0)
	v_cvt_f32_f16_e32 v0, v23
	v_cvt_f32_f16_sdwa v1, v23 dst_sel:DWORD dst_unused:UNUSED_PAD src0_sel:WORD_1
	s_getpc_b64 s[0:1]
	s_add_u32 s0, s0, _ZN16c10_complex_math3expIfEEN3c107complexIT_EERKS4_@rel32@lo+4
	s_addc_u32 s1, s1, _ZN16c10_complex_math3expIfEEN3c107complexIT_EERKS4_@rel32@hi+12
	s_swappc_b64 s[30:31], s[0:1]
	v_cvt_f16_f32_e32 v0, v0
	v_cvt_f16_f32_sdwa v1, v1 dst_sel:WORD_1 dst_unused:UNUSED_PAD src0_sel:DWORD
	s_nop 0
	v_or_b32_e32 v28, v1, v0
.LBB69_15:
	s_or_b64 exec, exec, s[22:23]
	v_or_b32_e32 v0, 0x200, v21
	v_cmp_gt_i32_e32 vcc, s26, v0
                                        ; implicit-def: $vgpr29
	s_and_saveexec_b64 s[22:23], vcc
	s_cbranch_execz .LBB69_17
; %bb.16:
	s_waitcnt vmcnt(0)
	v_cvt_f32_f16_e32 v0, v25
	v_cvt_f32_f16_sdwa v1, v25 dst_sel:DWORD dst_unused:UNUSED_PAD src0_sel:WORD_1
	s_getpc_b64 s[0:1]
	s_add_u32 s0, s0, _ZN16c10_complex_math3expIfEEN3c107complexIT_EERKS4_@rel32@lo+4
	s_addc_u32 s1, s1, _ZN16c10_complex_math3expIfEEN3c107complexIT_EERKS4_@rel32@hi+12
	s_swappc_b64 s[30:31], s[0:1]
	v_cvt_f16_f32_e32 v0, v0
	v_cvt_f16_f32_sdwa v1, v1 dst_sel:WORD_1 dst_unused:UNUSED_PAD src0_sel:DWORD
	s_nop 0
	v_or_b32_e32 v29, v1, v0
.LBB69_17:
	s_or_b64 exec, exec, s[22:23]
	v_or_b32_e32 v0, 0x300, v21
	v_cmp_gt_i32_e32 vcc, s26, v0
                                        ; implicit-def: $vgpr0
	s_and_saveexec_b64 s[22:23], vcc
	s_cbranch_execnz .LBB69_24
; %bb.18:
	s_or_b64 exec, exec, s[22:23]
	s_and_saveexec_b64 s[0:1], s[18:19]
	s_xor_b64 s[0:1], exec, s[0:1]
	s_cbranch_execnz .LBB69_25
.LBB69_19:
	s_or_b64 exec, exec, s[0:1]
	v_cmp_gt_i32_e32 vcc, s26, v21
	s_and_saveexec_b64 s[0:1], vcc
	s_cbranch_execnz .LBB69_26
.LBB69_20:
	s_or_b64 exec, exec, s[0:1]
	v_cmp_gt_i32_e32 vcc, s26, v21
	s_and_saveexec_b64 s[0:1], vcc
	s_cbranch_execnz .LBB69_27
.LBB69_21:
	s_or_b64 exec, exec, s[0:1]
	v_cmp_gt_i32_e32 vcc, s26, v21
	s_and_saveexec_b64 s[0:1], vcc
	s_cbranch_execz .LBB69_23
.LBB69_22:
	s_waitcnt vmcnt(0)
	v_add_u32_e32 v2, s24, v21
	v_mov_b32_e32 v3, 0
	v_lshl_add_u64 v[2:3], v[2:3], 2, s[20:21]
	global_store_dword v[2:3], v0, off
.LBB69_23:
	s_endpgm
.LBB69_24:
	s_waitcnt vmcnt(0)
	v_cvt_f32_f16_e32 v0, v24
	v_cvt_f32_f16_sdwa v1, v24 dst_sel:DWORD dst_unused:UNUSED_PAD src0_sel:WORD_1
	s_getpc_b64 s[0:1]
	s_add_u32 s0, s0, _ZN16c10_complex_math3expIfEEN3c107complexIT_EERKS4_@rel32@lo+4
	s_addc_u32 s1, s1, _ZN16c10_complex_math3expIfEEN3c107complexIT_EERKS4_@rel32@hi+12
	s_swappc_b64 s[30:31], s[0:1]
	v_cvt_f16_f32_e32 v0, v0
	v_cvt_f16_f32_sdwa v1, v1 dst_sel:WORD_1 dst_unused:UNUSED_PAD src0_sel:DWORD
	s_nop 0
	v_or_b32_e32 v0, v1, v0
	s_or_b64 exec, exec, s[22:23]
	s_and_saveexec_b64 s[0:1], s[18:19]
	s_xor_b64 s[0:1], exec, s[0:1]
	s_cbranch_execz .LBB69_19
.LBB69_25:
	s_waitcnt vmcnt(0)
	v_mov_b32_e32 v23, 0
	v_lshl_add_u64 v[2:3], v[22:23], 2, s[20:21]
	v_mov_b32_e32 v21, v27
	global_store_dword v[2:3], v26, off
	s_or_b64 exec, exec, s[0:1]
	v_cmp_gt_i32_e32 vcc, s26, v21
	s_and_saveexec_b64 s[0:1], vcc
	s_cbranch_execz .LBB69_20
.LBB69_26:
	s_waitcnt vmcnt(0)
	v_add_u32_e32 v2, s24, v21
	v_mov_b32_e32 v3, 0
	v_lshl_add_u64 v[2:3], v[2:3], 2, s[20:21]
	v_add_u32_e32 v21, 0x100, v21
	global_store_dword v[2:3], v28, off
	s_or_b64 exec, exec, s[0:1]
	v_cmp_gt_i32_e32 vcc, s26, v21
	s_and_saveexec_b64 s[0:1], vcc
	s_cbranch_execz .LBB69_21
.LBB69_27:
	s_waitcnt vmcnt(0)
	v_add_u32_e32 v2, s24, v21
	v_mov_b32_e32 v3, 0
	v_lshl_add_u64 v[2:3], v[2:3], 2, s[20:21]
	v_add_u32_e32 v21, 0x100, v21
	global_store_dword v[2:3], v29, off
	s_or_b64 exec, exec, s[0:1]
	v_cmp_gt_i32_e32 vcc, s26, v21
	s_and_saveexec_b64 s[0:1], vcc
	s_cbranch_execnz .LBB69_22
	s_branch .LBB69_23
	.section	.rodata,"a",@progbits
	.p2align	6, 0x0
	.amdhsa_kernel _ZN2at6native29vectorized_elementwise_kernelILi2EZZZNS0_15exp_kernel_cudaERNS_18TensorIteratorBaseEENKUlvE_clEvENKUlvE1_clEvEUlN3c107complexINS6_4HalfEEEE_St5arrayIPcLm2EEEEviT0_T1_
		.amdhsa_group_segment_fixed_size 0
		.amdhsa_private_segment_fixed_size 0
		.amdhsa_kernarg_size 24
		.amdhsa_user_sgpr_count 2
		.amdhsa_user_sgpr_dispatch_ptr 0
		.amdhsa_user_sgpr_queue_ptr 0
		.amdhsa_user_sgpr_kernarg_segment_ptr 1
		.amdhsa_user_sgpr_dispatch_id 0
		.amdhsa_user_sgpr_kernarg_preload_length 0
		.amdhsa_user_sgpr_kernarg_preload_offset 0
		.amdhsa_user_sgpr_private_segment_size 0
		.amdhsa_uses_dynamic_stack 0
		.amdhsa_enable_private_segment 0
		.amdhsa_system_sgpr_workgroup_id_x 1
		.amdhsa_system_sgpr_workgroup_id_y 0
		.amdhsa_system_sgpr_workgroup_id_z 0
		.amdhsa_system_sgpr_workgroup_info 0
		.amdhsa_system_vgpr_workitem_id 0
		.amdhsa_next_free_vgpr 30
		.amdhsa_next_free_sgpr 33
		.amdhsa_accum_offset 32
		.amdhsa_reserve_vcc 1
		.amdhsa_float_round_mode_32 0
		.amdhsa_float_round_mode_16_64 0
		.amdhsa_float_denorm_mode_32 3
		.amdhsa_float_denorm_mode_16_64 3
		.amdhsa_dx10_clamp 1
		.amdhsa_ieee_mode 1
		.amdhsa_fp16_overflow 0
		.amdhsa_tg_split 0
		.amdhsa_exception_fp_ieee_invalid_op 0
		.amdhsa_exception_fp_denorm_src 0
		.amdhsa_exception_fp_ieee_div_zero 0
		.amdhsa_exception_fp_ieee_overflow 0
		.amdhsa_exception_fp_ieee_underflow 0
		.amdhsa_exception_fp_ieee_inexact 0
		.amdhsa_exception_int_div_zero 0
	.end_amdhsa_kernel
	.section	.text._ZN2at6native29vectorized_elementwise_kernelILi2EZZZNS0_15exp_kernel_cudaERNS_18TensorIteratorBaseEENKUlvE_clEvENKUlvE1_clEvEUlN3c107complexINS6_4HalfEEEE_St5arrayIPcLm2EEEEviT0_T1_,"axG",@progbits,_ZN2at6native29vectorized_elementwise_kernelILi2EZZZNS0_15exp_kernel_cudaERNS_18TensorIteratorBaseEENKUlvE_clEvENKUlvE1_clEvEUlN3c107complexINS6_4HalfEEEE_St5arrayIPcLm2EEEEviT0_T1_,comdat
.Lfunc_end69:
	.size	_ZN2at6native29vectorized_elementwise_kernelILi2EZZZNS0_15exp_kernel_cudaERNS_18TensorIteratorBaseEENKUlvE_clEvENKUlvE1_clEvEUlN3c107complexINS6_4HalfEEEE_St5arrayIPcLm2EEEEviT0_T1_, .Lfunc_end69-_ZN2at6native29vectorized_elementwise_kernelILi2EZZZNS0_15exp_kernel_cudaERNS_18TensorIteratorBaseEENKUlvE_clEvENKUlvE1_clEvEUlN3c107complexINS6_4HalfEEEE_St5arrayIPcLm2EEEEviT0_T1_
                                        ; -- End function
	.set _ZN2at6native29vectorized_elementwise_kernelILi2EZZZNS0_15exp_kernel_cudaERNS_18TensorIteratorBaseEENKUlvE_clEvENKUlvE1_clEvEUlN3c107complexINS6_4HalfEEEE_St5arrayIPcLm2EEEEviT0_T1_.num_vgpr, max(30, .L_ZN16c10_complex_math3expIfEEN3c107complexIT_EERKS4_.num_vgpr)
	.set _ZN2at6native29vectorized_elementwise_kernelILi2EZZZNS0_15exp_kernel_cudaERNS_18TensorIteratorBaseEENKUlvE_clEvENKUlvE1_clEvEUlN3c107complexINS6_4HalfEEEE_St5arrayIPcLm2EEEEviT0_T1_.num_agpr, max(0, .L_ZN16c10_complex_math3expIfEEN3c107complexIT_EERKS4_.num_agpr)
	.set _ZN2at6native29vectorized_elementwise_kernelILi2EZZZNS0_15exp_kernel_cudaERNS_18TensorIteratorBaseEENKUlvE_clEvENKUlvE1_clEvEUlN3c107complexINS6_4HalfEEEE_St5arrayIPcLm2EEEEviT0_T1_.numbered_sgpr, max(33, .L_ZN16c10_complex_math3expIfEEN3c107complexIT_EERKS4_.numbered_sgpr)
	.set _ZN2at6native29vectorized_elementwise_kernelILi2EZZZNS0_15exp_kernel_cudaERNS_18TensorIteratorBaseEENKUlvE_clEvENKUlvE1_clEvEUlN3c107complexINS6_4HalfEEEE_St5arrayIPcLm2EEEEviT0_T1_.num_named_barrier, max(0, .L_ZN16c10_complex_math3expIfEEN3c107complexIT_EERKS4_.num_named_barrier)
	.set _ZN2at6native29vectorized_elementwise_kernelILi2EZZZNS0_15exp_kernel_cudaERNS_18TensorIteratorBaseEENKUlvE_clEvENKUlvE1_clEvEUlN3c107complexINS6_4HalfEEEE_St5arrayIPcLm2EEEEviT0_T1_.private_seg_size, 0+max(.L_ZN16c10_complex_math3expIfEEN3c107complexIT_EERKS4_.private_seg_size)
	.set _ZN2at6native29vectorized_elementwise_kernelILi2EZZZNS0_15exp_kernel_cudaERNS_18TensorIteratorBaseEENKUlvE_clEvENKUlvE1_clEvEUlN3c107complexINS6_4HalfEEEE_St5arrayIPcLm2EEEEviT0_T1_.uses_vcc, or(1, .L_ZN16c10_complex_math3expIfEEN3c107complexIT_EERKS4_.uses_vcc)
	.set _ZN2at6native29vectorized_elementwise_kernelILi2EZZZNS0_15exp_kernel_cudaERNS_18TensorIteratorBaseEENKUlvE_clEvENKUlvE1_clEvEUlN3c107complexINS6_4HalfEEEE_St5arrayIPcLm2EEEEviT0_T1_.uses_flat_scratch, or(0, .L_ZN16c10_complex_math3expIfEEN3c107complexIT_EERKS4_.uses_flat_scratch)
	.set _ZN2at6native29vectorized_elementwise_kernelILi2EZZZNS0_15exp_kernel_cudaERNS_18TensorIteratorBaseEENKUlvE_clEvENKUlvE1_clEvEUlN3c107complexINS6_4HalfEEEE_St5arrayIPcLm2EEEEviT0_T1_.has_dyn_sized_stack, or(0, .L_ZN16c10_complex_math3expIfEEN3c107complexIT_EERKS4_.has_dyn_sized_stack)
	.set _ZN2at6native29vectorized_elementwise_kernelILi2EZZZNS0_15exp_kernel_cudaERNS_18TensorIteratorBaseEENKUlvE_clEvENKUlvE1_clEvEUlN3c107complexINS6_4HalfEEEE_St5arrayIPcLm2EEEEviT0_T1_.has_recursion, or(0, .L_ZN16c10_complex_math3expIfEEN3c107complexIT_EERKS4_.has_recursion)
	.set _ZN2at6native29vectorized_elementwise_kernelILi2EZZZNS0_15exp_kernel_cudaERNS_18TensorIteratorBaseEENKUlvE_clEvENKUlvE1_clEvEUlN3c107complexINS6_4HalfEEEE_St5arrayIPcLm2EEEEviT0_T1_.has_indirect_call, or(0, .L_ZN16c10_complex_math3expIfEEN3c107complexIT_EERKS4_.has_indirect_call)
	.section	.AMDGPU.csdata,"",@progbits
; Kernel info:
; codeLenInByte = 1068
; TotalNumSgprs: 39
; NumVgprs: 30
; NumAgprs: 0
; TotalNumVgprs: 30
; ScratchSize: 0
; MemoryBound: 0
; FloatMode: 240
; IeeeMode: 1
; LDSByteSize: 0 bytes/workgroup (compile time only)
; SGPRBlocks: 4
; VGPRBlocks: 3
; NumSGPRsForWavesPerEU: 39
; NumVGPRsForWavesPerEU: 30
; AccumOffset: 32
; Occupancy: 8
; WaveLimiterHint : 0
; COMPUTE_PGM_RSRC2:SCRATCH_EN: 0
; COMPUTE_PGM_RSRC2:USER_SGPR: 2
; COMPUTE_PGM_RSRC2:TRAP_HANDLER: 0
; COMPUTE_PGM_RSRC2:TGID_X_EN: 1
; COMPUTE_PGM_RSRC2:TGID_Y_EN: 0
; COMPUTE_PGM_RSRC2:TGID_Z_EN: 0
; COMPUTE_PGM_RSRC2:TIDIG_COMP_CNT: 0
; COMPUTE_PGM_RSRC3_GFX90A:ACCUM_OFFSET: 7
; COMPUTE_PGM_RSRC3_GFX90A:TG_SPLIT: 0
	.section	.text._ZN2at6native27unrolled_elementwise_kernelIZZZNS0_15exp_kernel_cudaERNS_18TensorIteratorBaseEENKUlvE_clEvENKUlvE1_clEvEUlN3c107complexINS6_4HalfEEEE_St5arrayIPcLm2EELi4E23TrivialOffsetCalculatorILi1EjESF_NS0_6memory15LoadWithoutCastENSG_16StoreWithoutCastEEEviT_T0_T2_T3_T4_T5_,"axG",@progbits,_ZN2at6native27unrolled_elementwise_kernelIZZZNS0_15exp_kernel_cudaERNS_18TensorIteratorBaseEENKUlvE_clEvENKUlvE1_clEvEUlN3c107complexINS6_4HalfEEEE_St5arrayIPcLm2EELi4E23TrivialOffsetCalculatorILi1EjESF_NS0_6memory15LoadWithoutCastENSG_16StoreWithoutCastEEEviT_T0_T2_T3_T4_T5_,comdat
	.globl	_ZN2at6native27unrolled_elementwise_kernelIZZZNS0_15exp_kernel_cudaERNS_18TensorIteratorBaseEENKUlvE_clEvENKUlvE1_clEvEUlN3c107complexINS6_4HalfEEEE_St5arrayIPcLm2EELi4E23TrivialOffsetCalculatorILi1EjESF_NS0_6memory15LoadWithoutCastENSG_16StoreWithoutCastEEEviT_T0_T2_T3_T4_T5_ ; -- Begin function _ZN2at6native27unrolled_elementwise_kernelIZZZNS0_15exp_kernel_cudaERNS_18TensorIteratorBaseEENKUlvE_clEvENKUlvE1_clEvEUlN3c107complexINS6_4HalfEEEE_St5arrayIPcLm2EELi4E23TrivialOffsetCalculatorILi1EjESF_NS0_6memory15LoadWithoutCastENSG_16StoreWithoutCastEEEviT_T0_T2_T3_T4_T5_
	.p2align	8
	.type	_ZN2at6native27unrolled_elementwise_kernelIZZZNS0_15exp_kernel_cudaERNS_18TensorIteratorBaseEENKUlvE_clEvENKUlvE1_clEvEUlN3c107complexINS6_4HalfEEEE_St5arrayIPcLm2EELi4E23TrivialOffsetCalculatorILi1EjESF_NS0_6memory15LoadWithoutCastENSG_16StoreWithoutCastEEEviT_T0_T2_T3_T4_T5_,@function
_ZN2at6native27unrolled_elementwise_kernelIZZZNS0_15exp_kernel_cudaERNS_18TensorIteratorBaseEENKUlvE_clEvENKUlvE1_clEvEUlN3c107complexINS6_4HalfEEEE_St5arrayIPcLm2EELi4E23TrivialOffsetCalculatorILi1EjESF_NS0_6memory15LoadWithoutCastENSG_16StoreWithoutCastEEEviT_T0_T2_T3_T4_T5_: ; @_ZN2at6native27unrolled_elementwise_kernelIZZZNS0_15exp_kernel_cudaERNS_18TensorIteratorBaseEENKUlvE_clEvENKUlvE1_clEvEUlN3c107complexINS6_4HalfEEEE_St5arrayIPcLm2EELi4E23TrivialOffsetCalculatorILi1EjESF_NS0_6memory15LoadWithoutCastENSG_16StoreWithoutCastEEEviT_T0_T2_T3_T4_T5_
; %bb.0:
	s_load_dword s3, s[0:1], 0x0
	s_load_dwordx4 s[20:23], s[0:1], 0x8
	s_lshl_b32 s24, s2, 10
	v_mov_b32_e32 v21, v0
	v_mov_b32_e32 v25, 0
	s_waitcnt lgkmcnt(0)
	s_sub_i32 s25, s3, s24
	v_cmp_gt_i32_e64 s[18:19], s25, v21
	v_or_b32_e32 v22, s24, v21
	v_mov_b32_e32 v27, 0
	v_mov_b32_e32 v23, v25
	v_mov_b32_e32 v1, 0
	s_mov_b32 s32, 0
	s_and_saveexec_b64 s[0:1], s[18:19]
	s_cbranch_execz .LBB70_8
; %bb.1:
	v_mov_b32_e32 v23, 0
	v_lshl_add_u64 v[0:1], v[22:23], 2, s[22:23]
	global_load_dword v1, v[0:1], off
	v_or_b32_e32 v0, 0x100, v21
	v_cmp_gt_u32_e32 vcc, s25, v0
	v_mov_b32_e32 v27, v23
	v_mov_b32_e32 v25, v23
	s_and_saveexec_b64 s[2:3], vcc
	s_cbranch_execz .LBB70_7
; %bb.2:
	v_add_u32_e32 v26, s24, v0
	v_mov_b32_e32 v27, 0
	v_lshl_add_u64 v[2:3], v[26:27], 2, s[22:23]
	global_load_dword v23, v[2:3], off
	v_or_b32_e32 v0, 0x200, v21
	v_cmp_gt_u32_e32 vcc, s25, v0
	v_mov_b32_e32 v25, v27
	s_and_saveexec_b64 s[4:5], vcc
	s_cbranch_execz .LBB70_6
; %bb.3:
	v_add_u32_e32 v24, s24, v0
	v_mov_b32_e32 v25, 0
	v_lshl_add_u64 v[2:3], v[24:25], 2, s[22:23]
	global_load_dword v27, v[2:3], off
	v_or_b32_e32 v0, 0x300, v21
	v_cmp_gt_u32_e32 vcc, s25, v0
	s_and_saveexec_b64 s[6:7], vcc
	s_cbranch_execz .LBB70_5
; %bb.4:
	v_add_u32_e32 v2, s24, v0
	v_mov_b32_e32 v3, 0
	v_lshl_add_u64 v[2:3], v[2:3], 2, s[22:23]
	global_load_dword v25, v[2:3], off
.LBB70_5:
	s_or_b64 exec, exec, s[6:7]
.LBB70_6:
	s_or_b64 exec, exec, s[4:5]
.LBB70_7:
	s_or_b64 exec, exec, s[2:3]
.LBB70_8:
	s_or_b64 exec, exec, s[0:1]
                                        ; implicit-def: $vgpr24
	s_and_saveexec_b64 s[22:23], s[18:19]
	s_cbranch_execz .LBB70_10
; %bb.9:
	s_waitcnt vmcnt(0)
	v_cvt_f32_f16_e32 v0, v1
	v_cvt_f32_f16_sdwa v1, v1 dst_sel:DWORD dst_unused:UNUSED_PAD src0_sel:WORD_1
	s_getpc_b64 s[0:1]
	s_add_u32 s0, s0, _ZN16c10_complex_math3expIfEEN3c107complexIT_EERKS4_@rel32@lo+4
	s_addc_u32 s1, s1, _ZN16c10_complex_math3expIfEEN3c107complexIT_EERKS4_@rel32@hi+12
	s_swappc_b64 s[30:31], s[0:1]
	v_cvt_f16_f32_e32 v0, v0
	v_cvt_f16_f32_sdwa v1, v1 dst_sel:WORD_1 dst_unused:UNUSED_PAD src0_sel:DWORD
	s_nop 0
	v_or_b32_e32 v24, v1, v0
.LBB70_10:
	s_or_b64 exec, exec, s[22:23]
	v_or_b32_e32 v26, 0x100, v21
	v_cmp_gt_i32_e32 vcc, s25, v26
                                        ; implicit-def: $vgpr28
	s_and_saveexec_b64 s[22:23], vcc
	s_cbranch_execz .LBB70_12
; %bb.11:
	s_waitcnt vmcnt(0)
	v_cvt_f32_f16_e32 v0, v23
	v_cvt_f32_f16_sdwa v1, v23 dst_sel:DWORD dst_unused:UNUSED_PAD src0_sel:WORD_1
	s_getpc_b64 s[0:1]
	s_add_u32 s0, s0, _ZN16c10_complex_math3expIfEEN3c107complexIT_EERKS4_@rel32@lo+4
	s_addc_u32 s1, s1, _ZN16c10_complex_math3expIfEEN3c107complexIT_EERKS4_@rel32@hi+12
	s_swappc_b64 s[30:31], s[0:1]
	v_cvt_f16_f32_e32 v0, v0
	v_cvt_f16_f32_sdwa v1, v1 dst_sel:WORD_1 dst_unused:UNUSED_PAD src0_sel:DWORD
	s_nop 0
	v_or_b32_e32 v28, v1, v0
.LBB70_12:
	s_or_b64 exec, exec, s[22:23]
	v_or_b32_e32 v0, 0x200, v21
	v_cmp_gt_i32_e32 vcc, s25, v0
                                        ; implicit-def: $vgpr29
	s_and_saveexec_b64 s[22:23], vcc
	s_cbranch_execz .LBB70_14
; %bb.13:
	s_waitcnt vmcnt(0)
	v_cvt_f32_f16_e32 v0, v27
	v_cvt_f32_f16_sdwa v1, v27 dst_sel:DWORD dst_unused:UNUSED_PAD src0_sel:WORD_1
	s_getpc_b64 s[0:1]
	s_add_u32 s0, s0, _ZN16c10_complex_math3expIfEEN3c107complexIT_EERKS4_@rel32@lo+4
	s_addc_u32 s1, s1, _ZN16c10_complex_math3expIfEEN3c107complexIT_EERKS4_@rel32@hi+12
	s_swappc_b64 s[30:31], s[0:1]
	v_cvt_f16_f32_e32 v0, v0
	v_cvt_f16_f32_sdwa v1, v1 dst_sel:WORD_1 dst_unused:UNUSED_PAD src0_sel:DWORD
	s_nop 0
	v_or_b32_e32 v29, v1, v0
.LBB70_14:
	s_or_b64 exec, exec, s[22:23]
	v_or_b32_e32 v0, 0x300, v21
	v_cmp_gt_i32_e32 vcc, s25, v0
                                        ; implicit-def: $vgpr0
	s_and_saveexec_b64 s[22:23], vcc
	s_cbranch_execnz .LBB70_20
; %bb.15:
	s_or_b64 exec, exec, s[22:23]
	s_and_saveexec_b64 s[0:1], s[18:19]
	s_xor_b64 s[0:1], exec, s[0:1]
	s_cbranch_execnz .LBB70_21
.LBB70_16:
	s_or_b64 exec, exec, s[0:1]
	v_cmp_gt_i32_e32 vcc, s25, v21
	s_and_saveexec_b64 s[0:1], vcc
	s_cbranch_execnz .LBB70_22
.LBB70_17:
	s_or_b64 exec, exec, s[0:1]
	v_cmp_gt_i32_e32 vcc, s25, v21
	s_and_saveexec_b64 s[0:1], vcc
	s_cbranch_execnz .LBB70_23
.LBB70_18:
	s_or_b64 exec, exec, s[0:1]
	v_cmp_gt_i32_e32 vcc, s25, v21
	s_and_saveexec_b64 s[0:1], vcc
	s_cbranch_execnz .LBB70_24
.LBB70_19:
	s_endpgm
.LBB70_20:
	s_waitcnt vmcnt(0)
	v_cvt_f32_f16_e32 v0, v25
	v_cvt_f32_f16_sdwa v1, v25 dst_sel:DWORD dst_unused:UNUSED_PAD src0_sel:WORD_1
	s_getpc_b64 s[0:1]
	s_add_u32 s0, s0, _ZN16c10_complex_math3expIfEEN3c107complexIT_EERKS4_@rel32@lo+4
	s_addc_u32 s1, s1, _ZN16c10_complex_math3expIfEEN3c107complexIT_EERKS4_@rel32@hi+12
	s_swappc_b64 s[30:31], s[0:1]
	v_cvt_f16_f32_e32 v0, v0
	v_cvt_f16_f32_sdwa v1, v1 dst_sel:WORD_1 dst_unused:UNUSED_PAD src0_sel:DWORD
	s_nop 0
	v_or_b32_e32 v0, v1, v0
	s_or_b64 exec, exec, s[22:23]
	s_and_saveexec_b64 s[0:1], s[18:19]
	s_xor_b64 s[0:1], exec, s[0:1]
	s_cbranch_execz .LBB70_16
.LBB70_21:
	s_waitcnt vmcnt(0)
	v_mov_b32_e32 v23, 0
	v_lshl_add_u64 v[2:3], v[22:23], 2, s[20:21]
	v_mov_b32_e32 v21, v26
	global_store_dword v[2:3], v24, off
	s_or_b64 exec, exec, s[0:1]
	v_cmp_gt_i32_e32 vcc, s25, v21
	s_and_saveexec_b64 s[0:1], vcc
	s_cbranch_execz .LBB70_17
.LBB70_22:
	s_waitcnt vmcnt(0)
	v_add_u32_e32 v1, 0x100, v21
	v_add_u32_e32 v2, s24, v21
	v_mov_b32_e32 v3, 0
	v_lshl_add_u64 v[2:3], v[2:3], 2, s[20:21]
	v_mov_b32_e32 v21, v1
	global_store_dword v[2:3], v28, off
	s_or_b64 exec, exec, s[0:1]
	v_cmp_gt_i32_e32 vcc, s25, v21
	s_and_saveexec_b64 s[0:1], vcc
	s_cbranch_execz .LBB70_18
.LBB70_23:
	s_waitcnt vmcnt(0)
	v_add_u32_e32 v1, 0x100, v21
	v_add_u32_e32 v2, s24, v21
	v_mov_b32_e32 v3, 0
	v_lshl_add_u64 v[2:3], v[2:3], 2, s[20:21]
	v_mov_b32_e32 v21, v1
	global_store_dword v[2:3], v29, off
	s_or_b64 exec, exec, s[0:1]
	v_cmp_gt_i32_e32 vcc, s25, v21
	s_and_saveexec_b64 s[0:1], vcc
	s_cbranch_execz .LBB70_19
.LBB70_24:
	v_add_u32_e32 v2, s24, v21
	v_mov_b32_e32 v3, 0
	v_lshl_add_u64 v[2:3], v[2:3], 2, s[20:21]
	global_store_dword v[2:3], v0, off
	s_endpgm
	.section	.rodata,"a",@progbits
	.p2align	6, 0x0
	.amdhsa_kernel _ZN2at6native27unrolled_elementwise_kernelIZZZNS0_15exp_kernel_cudaERNS_18TensorIteratorBaseEENKUlvE_clEvENKUlvE1_clEvEUlN3c107complexINS6_4HalfEEEE_St5arrayIPcLm2EELi4E23TrivialOffsetCalculatorILi1EjESF_NS0_6memory15LoadWithoutCastENSG_16StoreWithoutCastEEEviT_T0_T2_T3_T4_T5_
		.amdhsa_group_segment_fixed_size 0
		.amdhsa_private_segment_fixed_size 0
		.amdhsa_kernarg_size 28
		.amdhsa_user_sgpr_count 2
		.amdhsa_user_sgpr_dispatch_ptr 0
		.amdhsa_user_sgpr_queue_ptr 0
		.amdhsa_user_sgpr_kernarg_segment_ptr 1
		.amdhsa_user_sgpr_dispatch_id 0
		.amdhsa_user_sgpr_kernarg_preload_length 0
		.amdhsa_user_sgpr_kernarg_preload_offset 0
		.amdhsa_user_sgpr_private_segment_size 0
		.amdhsa_uses_dynamic_stack 0
		.amdhsa_enable_private_segment 0
		.amdhsa_system_sgpr_workgroup_id_x 1
		.amdhsa_system_sgpr_workgroup_id_y 0
		.amdhsa_system_sgpr_workgroup_id_z 0
		.amdhsa_system_sgpr_workgroup_info 0
		.amdhsa_system_vgpr_workitem_id 0
		.amdhsa_next_free_vgpr 30
		.amdhsa_next_free_sgpr 33
		.amdhsa_accum_offset 32
		.amdhsa_reserve_vcc 1
		.amdhsa_float_round_mode_32 0
		.amdhsa_float_round_mode_16_64 0
		.amdhsa_float_denorm_mode_32 3
		.amdhsa_float_denorm_mode_16_64 3
		.amdhsa_dx10_clamp 1
		.amdhsa_ieee_mode 1
		.amdhsa_fp16_overflow 0
		.amdhsa_tg_split 0
		.amdhsa_exception_fp_ieee_invalid_op 0
		.amdhsa_exception_fp_denorm_src 0
		.amdhsa_exception_fp_ieee_div_zero 0
		.amdhsa_exception_fp_ieee_overflow 0
		.amdhsa_exception_fp_ieee_underflow 0
		.amdhsa_exception_fp_ieee_inexact 0
		.amdhsa_exception_int_div_zero 0
	.end_amdhsa_kernel
	.section	.text._ZN2at6native27unrolled_elementwise_kernelIZZZNS0_15exp_kernel_cudaERNS_18TensorIteratorBaseEENKUlvE_clEvENKUlvE1_clEvEUlN3c107complexINS6_4HalfEEEE_St5arrayIPcLm2EELi4E23TrivialOffsetCalculatorILi1EjESF_NS0_6memory15LoadWithoutCastENSG_16StoreWithoutCastEEEviT_T0_T2_T3_T4_T5_,"axG",@progbits,_ZN2at6native27unrolled_elementwise_kernelIZZZNS0_15exp_kernel_cudaERNS_18TensorIteratorBaseEENKUlvE_clEvENKUlvE1_clEvEUlN3c107complexINS6_4HalfEEEE_St5arrayIPcLm2EELi4E23TrivialOffsetCalculatorILi1EjESF_NS0_6memory15LoadWithoutCastENSG_16StoreWithoutCastEEEviT_T0_T2_T3_T4_T5_,comdat
.Lfunc_end70:
	.size	_ZN2at6native27unrolled_elementwise_kernelIZZZNS0_15exp_kernel_cudaERNS_18TensorIteratorBaseEENKUlvE_clEvENKUlvE1_clEvEUlN3c107complexINS6_4HalfEEEE_St5arrayIPcLm2EELi4E23TrivialOffsetCalculatorILi1EjESF_NS0_6memory15LoadWithoutCastENSG_16StoreWithoutCastEEEviT_T0_T2_T3_T4_T5_, .Lfunc_end70-_ZN2at6native27unrolled_elementwise_kernelIZZZNS0_15exp_kernel_cudaERNS_18TensorIteratorBaseEENKUlvE_clEvENKUlvE1_clEvEUlN3c107complexINS6_4HalfEEEE_St5arrayIPcLm2EELi4E23TrivialOffsetCalculatorILi1EjESF_NS0_6memory15LoadWithoutCastENSG_16StoreWithoutCastEEEviT_T0_T2_T3_T4_T5_
                                        ; -- End function
	.set _ZN2at6native27unrolled_elementwise_kernelIZZZNS0_15exp_kernel_cudaERNS_18TensorIteratorBaseEENKUlvE_clEvENKUlvE1_clEvEUlN3c107complexINS6_4HalfEEEE_St5arrayIPcLm2EELi4E23TrivialOffsetCalculatorILi1EjESF_NS0_6memory15LoadWithoutCastENSG_16StoreWithoutCastEEEviT_T0_T2_T3_T4_T5_.num_vgpr, max(30, .L_ZN16c10_complex_math3expIfEEN3c107complexIT_EERKS4_.num_vgpr)
	.set _ZN2at6native27unrolled_elementwise_kernelIZZZNS0_15exp_kernel_cudaERNS_18TensorIteratorBaseEENKUlvE_clEvENKUlvE1_clEvEUlN3c107complexINS6_4HalfEEEE_St5arrayIPcLm2EELi4E23TrivialOffsetCalculatorILi1EjESF_NS0_6memory15LoadWithoutCastENSG_16StoreWithoutCastEEEviT_T0_T2_T3_T4_T5_.num_agpr, max(0, .L_ZN16c10_complex_math3expIfEEN3c107complexIT_EERKS4_.num_agpr)
	.set _ZN2at6native27unrolled_elementwise_kernelIZZZNS0_15exp_kernel_cudaERNS_18TensorIteratorBaseEENKUlvE_clEvENKUlvE1_clEvEUlN3c107complexINS6_4HalfEEEE_St5arrayIPcLm2EELi4E23TrivialOffsetCalculatorILi1EjESF_NS0_6memory15LoadWithoutCastENSG_16StoreWithoutCastEEEviT_T0_T2_T3_T4_T5_.numbered_sgpr, max(33, .L_ZN16c10_complex_math3expIfEEN3c107complexIT_EERKS4_.numbered_sgpr)
	.set _ZN2at6native27unrolled_elementwise_kernelIZZZNS0_15exp_kernel_cudaERNS_18TensorIteratorBaseEENKUlvE_clEvENKUlvE1_clEvEUlN3c107complexINS6_4HalfEEEE_St5arrayIPcLm2EELi4E23TrivialOffsetCalculatorILi1EjESF_NS0_6memory15LoadWithoutCastENSG_16StoreWithoutCastEEEviT_T0_T2_T3_T4_T5_.num_named_barrier, max(0, .L_ZN16c10_complex_math3expIfEEN3c107complexIT_EERKS4_.num_named_barrier)
	.set _ZN2at6native27unrolled_elementwise_kernelIZZZNS0_15exp_kernel_cudaERNS_18TensorIteratorBaseEENKUlvE_clEvENKUlvE1_clEvEUlN3c107complexINS6_4HalfEEEE_St5arrayIPcLm2EELi4E23TrivialOffsetCalculatorILi1EjESF_NS0_6memory15LoadWithoutCastENSG_16StoreWithoutCastEEEviT_T0_T2_T3_T4_T5_.private_seg_size, 0+max(.L_ZN16c10_complex_math3expIfEEN3c107complexIT_EERKS4_.private_seg_size)
	.set _ZN2at6native27unrolled_elementwise_kernelIZZZNS0_15exp_kernel_cudaERNS_18TensorIteratorBaseEENKUlvE_clEvENKUlvE1_clEvEUlN3c107complexINS6_4HalfEEEE_St5arrayIPcLm2EELi4E23TrivialOffsetCalculatorILi1EjESF_NS0_6memory15LoadWithoutCastENSG_16StoreWithoutCastEEEviT_T0_T2_T3_T4_T5_.uses_vcc, or(1, .L_ZN16c10_complex_math3expIfEEN3c107complexIT_EERKS4_.uses_vcc)
	.set _ZN2at6native27unrolled_elementwise_kernelIZZZNS0_15exp_kernel_cudaERNS_18TensorIteratorBaseEENKUlvE_clEvENKUlvE1_clEvEUlN3c107complexINS6_4HalfEEEE_St5arrayIPcLm2EELi4E23TrivialOffsetCalculatorILi1EjESF_NS0_6memory15LoadWithoutCastENSG_16StoreWithoutCastEEEviT_T0_T2_T3_T4_T5_.uses_flat_scratch, or(0, .L_ZN16c10_complex_math3expIfEEN3c107complexIT_EERKS4_.uses_flat_scratch)
	.set _ZN2at6native27unrolled_elementwise_kernelIZZZNS0_15exp_kernel_cudaERNS_18TensorIteratorBaseEENKUlvE_clEvENKUlvE1_clEvEUlN3c107complexINS6_4HalfEEEE_St5arrayIPcLm2EELi4E23TrivialOffsetCalculatorILi1EjESF_NS0_6memory15LoadWithoutCastENSG_16StoreWithoutCastEEEviT_T0_T2_T3_T4_T5_.has_dyn_sized_stack, or(0, .L_ZN16c10_complex_math3expIfEEN3c107complexIT_EERKS4_.has_dyn_sized_stack)
	.set _ZN2at6native27unrolled_elementwise_kernelIZZZNS0_15exp_kernel_cudaERNS_18TensorIteratorBaseEENKUlvE_clEvENKUlvE1_clEvEUlN3c107complexINS6_4HalfEEEE_St5arrayIPcLm2EELi4E23TrivialOffsetCalculatorILi1EjESF_NS0_6memory15LoadWithoutCastENSG_16StoreWithoutCastEEEviT_T0_T2_T3_T4_T5_.has_recursion, or(0, .L_ZN16c10_complex_math3expIfEEN3c107complexIT_EERKS4_.has_recursion)
	.set _ZN2at6native27unrolled_elementwise_kernelIZZZNS0_15exp_kernel_cudaERNS_18TensorIteratorBaseEENKUlvE_clEvENKUlvE1_clEvEUlN3c107complexINS6_4HalfEEEE_St5arrayIPcLm2EELi4E23TrivialOffsetCalculatorILi1EjESF_NS0_6memory15LoadWithoutCastENSG_16StoreWithoutCastEEEviT_T0_T2_T3_T4_T5_.has_indirect_call, or(0, .L_ZN16c10_complex_math3expIfEEN3c107complexIT_EERKS4_.has_indirect_call)
	.section	.AMDGPU.csdata,"",@progbits
; Kernel info:
; codeLenInByte = 840
; TotalNumSgprs: 39
; NumVgprs: 30
; NumAgprs: 0
; TotalNumVgprs: 30
; ScratchSize: 0
; MemoryBound: 0
; FloatMode: 240
; IeeeMode: 1
; LDSByteSize: 0 bytes/workgroup (compile time only)
; SGPRBlocks: 4
; VGPRBlocks: 3
; NumSGPRsForWavesPerEU: 39
; NumVGPRsForWavesPerEU: 30
; AccumOffset: 32
; Occupancy: 8
; WaveLimiterHint : 0
; COMPUTE_PGM_RSRC2:SCRATCH_EN: 0
; COMPUTE_PGM_RSRC2:USER_SGPR: 2
; COMPUTE_PGM_RSRC2:TRAP_HANDLER: 0
; COMPUTE_PGM_RSRC2:TGID_X_EN: 1
; COMPUTE_PGM_RSRC2:TGID_Y_EN: 0
; COMPUTE_PGM_RSRC2:TGID_Z_EN: 0
; COMPUTE_PGM_RSRC2:TIDIG_COMP_CNT: 0
; COMPUTE_PGM_RSRC3_GFX90A:ACCUM_OFFSET: 7
; COMPUTE_PGM_RSRC3_GFX90A:TG_SPLIT: 0
	.section	.text._ZN2at6native32elementwise_kernel_manual_unrollILi128ELi4EZNS0_22gpu_kernel_impl_nocastIZZZNS0_15exp_kernel_cudaERNS_18TensorIteratorBaseEENKUlvE_clEvENKUlvE1_clEvEUlN3c107complexINS7_4HalfEEEE_EEvS4_RKT_EUlibE_EEviT1_,"axG",@progbits,_ZN2at6native32elementwise_kernel_manual_unrollILi128ELi4EZNS0_22gpu_kernel_impl_nocastIZZZNS0_15exp_kernel_cudaERNS_18TensorIteratorBaseEENKUlvE_clEvENKUlvE1_clEvEUlN3c107complexINS7_4HalfEEEE_EEvS4_RKT_EUlibE_EEviT1_,comdat
	.globl	_ZN2at6native32elementwise_kernel_manual_unrollILi128ELi4EZNS0_22gpu_kernel_impl_nocastIZZZNS0_15exp_kernel_cudaERNS_18TensorIteratorBaseEENKUlvE_clEvENKUlvE1_clEvEUlN3c107complexINS7_4HalfEEEE_EEvS4_RKT_EUlibE_EEviT1_ ; -- Begin function _ZN2at6native32elementwise_kernel_manual_unrollILi128ELi4EZNS0_22gpu_kernel_impl_nocastIZZZNS0_15exp_kernel_cudaERNS_18TensorIteratorBaseEENKUlvE_clEvENKUlvE1_clEvEUlN3c107complexINS7_4HalfEEEE_EEvS4_RKT_EUlibE_EEviT1_
	.p2align	8
	.type	_ZN2at6native32elementwise_kernel_manual_unrollILi128ELi4EZNS0_22gpu_kernel_impl_nocastIZZZNS0_15exp_kernel_cudaERNS_18TensorIteratorBaseEENKUlvE_clEvENKUlvE1_clEvEUlN3c107complexINS7_4HalfEEEE_EEvS4_RKT_EUlibE_EEviT1_,@function
_ZN2at6native32elementwise_kernel_manual_unrollILi128ELi4EZNS0_22gpu_kernel_impl_nocastIZZZNS0_15exp_kernel_cudaERNS_18TensorIteratorBaseEENKUlvE_clEvENKUlvE1_clEvEUlN3c107complexINS7_4HalfEEEE_EEvS4_RKT_EUlibE_EEviT1_: ; @_ZN2at6native32elementwise_kernel_manual_unrollILi128ELi4EZNS0_22gpu_kernel_impl_nocastIZZZNS0_15exp_kernel_cudaERNS_18TensorIteratorBaseEENKUlvE_clEvENKUlvE1_clEvEUlN3c107complexINS7_4HalfEEEE_EEvS4_RKT_EUlibE_EEviT1_
; %bb.0:
	s_load_dword s55, s[0:1], 0x0
	s_load_dword s33, s[0:1], 0x8
	s_add_u32 s28, s0, 8
	s_addc_u32 s29, s1, 0
	v_lshl_or_b32 v21, s2, 9, v0
	v_or_b32_e32 v2, 0x180, v21
	s_waitcnt lgkmcnt(0)
	s_add_i32 s54, s33, -1
	s_cmp_gt_u32 s54, 1
	v_cmp_le_i32_e32 vcc, s55, v2
	s_cselect_b64 s[34:35], -1, 0
	s_mov_b32 s32, 0
	s_and_saveexec_b64 s[0:1], vcc
	s_xor_b64 s[40:41], exec, s[0:1]
	s_cbranch_execz .LBB71_8
; %bb.1:
	s_load_dwordx4 s[36:39], s[28:29], 0x4
	s_load_dwordx2 s[42:43], s[28:29], 0x14
	s_load_dwordx4 s[24:27], s[28:29], 0xc4
	s_load_dwordx4 s[20:23], s[28:29], 0x148
	s_cmp_lg_u32 s33, 0
	s_cselect_b64 s[48:49], -1, 0
	s_add_u32 s46, s28, 0xc4
	s_addc_u32 s47, s29, 0
	s_min_u32 s56, s54, 15
	s_cmp_gt_u32 s33, 1
	s_cselect_b64 s[44:45], -1, 0
	v_cmp_gt_i32_e32 vcc, s55, v21
	s_and_saveexec_b64 s[50:51], vcc
	s_cbranch_execz .LBB71_15
; %bb.2:
	s_andn2_b64 vcc, exec, s[34:35]
	s_cbranch_vccnz .LBB71_23
; %bb.3:
	s_andn2_b64 vcc, exec, s[48:49]
	s_cbranch_vccnz .LBB71_75
; %bb.4:
	s_add_i32 s58, s56, 1
	s_cmp_eq_u32 s54, 2
	s_cbranch_scc1 .LBB71_77
; %bb.5:
	s_and_b32 s57, s58, 28
	s_mov_b32 s59, 0
	v_mov_b32_e32 v22, 0
	v_mov_b32_e32 v0, 0
	s_mov_b64 s[30:31], s[28:29]
	s_mov_b64 s[52:53], s[46:47]
	v_mov_b32_e32 v2, v21
.LBB71_6:                               ; =>This Inner Loop Header: Depth=1
	s_load_dwordx8 s[8:15], s[30:31], 0x4
	s_load_dwordx4 s[16:19], s[30:31], 0x24
	s_load_dwordx8 s[0:7], s[52:53], 0x0
	s_add_u32 s30, s30, 48
	s_addc_u32 s31, s31, 0
	s_waitcnt lgkmcnt(0)
	v_mul_hi_u32 v1, s9, v2
	v_add_u32_e32 v1, v2, v1
	v_lshrrev_b32_e32 v1, s10, v1
	v_mul_lo_u32 v3, v1, s8
	v_mul_hi_u32 v4, s12, v1
	v_sub_u32_e32 v2, v2, v3
	v_add_u32_e32 v3, v1, v4
	v_lshrrev_b32_e32 v3, s13, v3
	v_mul_lo_u32 v5, v3, s11
	v_mul_hi_u32 v6, s15, v3
	v_sub_u32_e32 v1, v1, v5
	v_add_u32_e32 v5, v3, v6
	v_mul_lo_u32 v4, v2, s1
	v_mul_lo_u32 v2, v2, s0
	;; [unrolled: 1-line block ×4, first 2 shown]
	v_lshrrev_b32_e32 v5, s16, v5
	v_add3_u32 v1, v2, v22, v1
	v_add3_u32 v0, v4, v0, v6
	v_mul_lo_u32 v2, v5, s14
	v_mul_hi_u32 v4, s18, v5
	v_sub_u32_e32 v2, v3, v2
	v_add_u32_e32 v3, v5, v4
	v_mul_lo_u32 v4, v2, s4
	v_mul_lo_u32 v6, v2, s5
	v_lshrrev_b32_e32 v2, s19, v3
	s_add_i32 s59, s59, 4
	v_mul_lo_u32 v3, v2, s17
	s_add_u32 s52, s52, 32
	v_sub_u32_e32 v3, v5, v3
	s_addc_u32 s53, s53, 0
	v_mul_lo_u32 v5, v3, s6
	v_mul_lo_u32 v3, v3, s7
	s_cmp_lg_u32 s57, s59
	v_add3_u32 v0, v6, v0, v3
	v_add3_u32 v22, v4, v1, v5
	s_cbranch_scc1 .LBB71_6
; %bb.7:
	v_mov_b32_e32 v1, v0
	s_branch .LBB71_78
.LBB71_8:
	s_andn2_saveexec_b64 s[0:1], s[40:41]
	s_cbranch_execz .LBB71_104
.LBB71_9:
	v_cndmask_b32_e64 v0, 0, 1, s[34:35]
	v_cmp_ne_u32_e64 s[0:1], 1, v0
	s_andn2_b64 vcc, exec, s[34:35]
	s_cbranch_vccnz .LBB71_22
; %bb.10:
	s_cmp_lg_u32 s33, 0
	s_waitcnt lgkmcnt(0)
	s_mov_b32 s26, 0
	s_cbranch_scc0 .LBB71_25
; %bb.11:
	s_min_u32 s27, s54, 15
	s_add_i32 s27, s27, 1
	s_cmp_eq_u32 s54, 2
	s_cbranch_scc1 .LBB71_26
; %bb.12:
	s_and_b32 s26, s27, 28
	s_add_u32 s2, s28, 0xc4
	s_addc_u32 s3, s29, 0
	s_mov_b32 s30, 0
	v_mov_b32_e32 v22, 0
	v_mov_b32_e32 v0, 0
	s_mov_b64 s[24:25], s[28:29]
	v_mov_b32_e32 v3, v21
.LBB71_13:                              ; =>This Inner Loop Header: Depth=1
	s_load_dwordx8 s[12:19], s[24:25], 0x4
	s_load_dwordx4 s[20:23], s[24:25], 0x24
	s_load_dwordx8 s[4:11], s[2:3], 0x0
	s_add_u32 s24, s24, 48
	s_addc_u32 s25, s25, 0
	s_waitcnt lgkmcnt(0)
	v_mul_hi_u32 v1, s13, v3
	v_add_u32_e32 v1, v3, v1
	v_lshrrev_b32_e32 v1, s14, v1
	v_mul_lo_u32 v4, v1, s12
	v_mul_hi_u32 v5, s16, v1
	v_sub_u32_e32 v3, v3, v4
	v_add_u32_e32 v4, v1, v5
	v_lshrrev_b32_e32 v4, s17, v4
	v_mul_lo_u32 v6, v4, s15
	v_mul_hi_u32 v7, s19, v4
	v_sub_u32_e32 v1, v1, v6
	v_add_u32_e32 v6, v4, v7
	v_mul_lo_u32 v5, v3, s5
	v_mul_lo_u32 v3, v3, s4
	;; [unrolled: 1-line block ×4, first 2 shown]
	v_lshrrev_b32_e32 v6, s20, v6
	v_add3_u32 v1, v3, v22, v1
	v_add3_u32 v0, v5, v0, v7
	v_mul_lo_u32 v3, v6, s18
	v_mul_hi_u32 v5, s22, v6
	v_sub_u32_e32 v3, v4, v3
	v_add_u32_e32 v4, v6, v5
	v_mul_lo_u32 v5, v3, s8
	v_mul_lo_u32 v7, v3, s9
	v_lshrrev_b32_e32 v3, s23, v4
	s_add_i32 s30, s30, 4
	v_mul_lo_u32 v4, v3, s21
	s_add_u32 s2, s2, 32
	v_sub_u32_e32 v4, v6, v4
	s_addc_u32 s3, s3, 0
	v_mul_lo_u32 v6, v4, s10
	v_mul_lo_u32 v4, v4, s11
	s_cmp_lg_u32 s26, s30
	v_add3_u32 v0, v7, v0, v4
	v_add3_u32 v22, v5, v1, v6
	s_cbranch_scc1 .LBB71_13
; %bb.14:
	v_mov_b32_e32 v1, v0
	s_and_b32 s6, s27, 3
	s_cmp_eq_u32 s6, 0
	s_cbranch_scc0 .LBB71_27
	s_branch .LBB71_29
.LBB71_15:
	s_or_b64 exec, exec, s[50:51]
	v_cmp_gt_i32_e32 vcc, s55, v21
	s_and_saveexec_b64 s[50:51], vcc
	s_cbranch_execz .LBB71_85
.LBB71_16:
	s_andn2_b64 vcc, exec, s[34:35]
	s_cbranch_vccnz .LBB71_24
; %bb.17:
	s_andn2_b64 vcc, exec, s[48:49]
	s_cbranch_vccnz .LBB71_76
; %bb.18:
	s_add_i32 s58, s56, 1
	s_cmp_eq_u32 s54, 2
	s_cbranch_scc1 .LBB71_94
; %bb.19:
	s_and_b32 s57, s58, 28
	s_mov_b32 s59, 0
	v_mov_b32_e32 v22, 0
	v_mov_b32_e32 v0, 0
	s_mov_b64 s[30:31], s[28:29]
	s_mov_b64 s[52:53], s[46:47]
	v_mov_b32_e32 v2, v21
.LBB71_20:                              ; =>This Inner Loop Header: Depth=1
	s_load_dwordx8 s[8:15], s[30:31], 0x4
	s_load_dwordx4 s[16:19], s[30:31], 0x24
	s_load_dwordx8 s[0:7], s[52:53], 0x0
	s_add_u32 s30, s30, 48
	s_addc_u32 s31, s31, 0
	s_waitcnt lgkmcnt(0)
	v_mul_hi_u32 v1, s9, v2
	v_add_u32_e32 v1, v2, v1
	v_lshrrev_b32_e32 v1, s10, v1
	v_mul_lo_u32 v3, v1, s8
	v_mul_hi_u32 v4, s12, v1
	v_sub_u32_e32 v2, v2, v3
	v_add_u32_e32 v3, v1, v4
	v_lshrrev_b32_e32 v3, s13, v3
	v_mul_lo_u32 v5, v3, s11
	v_mul_hi_u32 v6, s15, v3
	v_sub_u32_e32 v1, v1, v5
	v_add_u32_e32 v5, v3, v6
	v_mul_lo_u32 v4, v2, s1
	v_mul_lo_u32 v2, v2, s0
	;; [unrolled: 1-line block ×4, first 2 shown]
	v_lshrrev_b32_e32 v5, s16, v5
	v_add3_u32 v1, v2, v22, v1
	v_add3_u32 v0, v4, v0, v6
	v_mul_lo_u32 v2, v5, s14
	v_mul_hi_u32 v4, s18, v5
	v_sub_u32_e32 v2, v3, v2
	v_add_u32_e32 v3, v5, v4
	v_mul_lo_u32 v4, v2, s4
	v_mul_lo_u32 v6, v2, s5
	v_lshrrev_b32_e32 v2, s19, v3
	s_add_i32 s59, s59, 4
	v_mul_lo_u32 v3, v2, s17
	s_add_u32 s52, s52, 32
	v_sub_u32_e32 v3, v5, v3
	s_addc_u32 s53, s53, 0
	v_mul_lo_u32 v5, v3, s6
	v_mul_lo_u32 v3, v3, s7
	s_cmp_eq_u32 s57, s59
	v_add3_u32 v0, v6, v0, v3
	v_add3_u32 v22, v4, v1, v5
	s_cbranch_scc0 .LBB71_20
; %bb.21:
	v_mov_b32_e32 v1, v0
	s_branch .LBB71_95
.LBB71_22:
                                        ; implicit-def: $vgpr0
                                        ; implicit-def: $vgpr22
	s_branch .LBB71_30
.LBB71_23:
                                        ; implicit-def: $vgpr0
                                        ; implicit-def: $vgpr22
	s_branch .LBB71_82
.LBB71_24:
                                        ; implicit-def: $vgpr0
                                        ; implicit-def: $vgpr22
	s_branch .LBB71_99
.LBB71_25:
	v_mov_b32_e32 v0, 0
	v_mov_b32_e32 v22, 0
	s_branch .LBB71_29
.LBB71_26:
	v_mov_b32_e32 v22, 0
                                        ; implicit-def: $vgpr0
	v_mov_b32_e32 v1, v22
	v_mov_b32_e32 v3, v21
	s_and_b32 s6, s27, 3
	s_cmp_eq_u32 s6, 0
	s_cbranch_scc1 .LBB71_29
.LBB71_27:
	s_lshl_b32 s2, s26, 3
	s_add_u32 s2, s28, s2
	s_addc_u32 s3, s29, 0
	s_add_u32 s2, s2, 0xc4
	s_addc_u32 s3, s3, 0
	s_mul_i32 s4, s26, 12
	s_add_u32 s4, s28, s4
	s_addc_u32 s5, s29, 0
.LBB71_28:                              ; =>This Inner Loop Header: Depth=1
	s_load_dwordx2 s[8:9], s[4:5], 0x4
	s_load_dword s7, s[4:5], 0xc
	s_load_dwordx2 s[10:11], s[2:3], 0x0
	v_mov_b32_e32 v0, v1
	s_add_u32 s4, s4, 12
	s_waitcnt lgkmcnt(0)
	v_mul_hi_u32 v1, s9, v3
	v_add_u32_e32 v1, v3, v1
	v_lshrrev_b32_e32 v1, s7, v1
	s_addc_u32 s5, s5, 0
	v_mul_lo_u32 v4, v1, s8
	s_add_u32 s2, s2, 8
	v_sub_u32_e32 v4, v3, v4
	s_addc_u32 s3, s3, 0
	s_add_i32 s6, s6, -1
	v_mov_b32_e32 v3, v1
	v_mad_u64_u32 v[0:1], s[8:9], v4, s11, v[0:1]
	s_cmp_lg_u32 s6, 0
	v_mad_u64_u32 v[22:23], s[8:9], v4, s10, v[22:23]
	v_mov_b32_e32 v1, v0
	s_cbranch_scc1 .LBB71_28
.LBB71_29:
	s_cbranch_execnz .LBB71_32
.LBB71_30:
	s_load_dwordx4 s[4:7], s[28:29], 0x4
	s_load_dwordx2 s[2:3], s[28:29], 0xc4
	s_cmp_lt_u32 s33, 2
	s_waitcnt lgkmcnt(0)
	v_mul_hi_u32 v0, s5, v21
	v_add_u32_e32 v0, v21, v0
	v_lshrrev_b32_e32 v1, s6, v0
	v_mul_lo_u32 v0, v1, s4
	v_sub_u32_e32 v3, v21, v0
	v_mul_lo_u32 v0, v3, s3
	v_mul_lo_u32 v22, v3, s2
	s_cbranch_scc1 .LBB71_32
; %bb.31:
	s_load_dwordx4 s[4:7], s[28:29], 0x10
	s_load_dwordx2 s[2:3], s[28:29], 0xcc
	s_waitcnt lgkmcnt(0)
	v_mul_hi_u32 v3, s5, v1
	v_add_u32_e32 v3, v1, v3
	v_lshrrev_b32_e32 v3, s6, v3
	v_mul_lo_u32 v3, v3, s4
	v_sub_u32_e32 v1, v1, v3
	v_mad_u64_u32 v[22:23], s[4:5], v1, s2, v[22:23]
	v_mad_u64_u32 v[0:1], s[2:3], v1, s3, v[0:1]
.LBB71_32:
	s_and_b64 vcc, exec, s[0:1]
	v_add_u32_e32 v3, 0x80, v21
	s_cbranch_vccnz .LBB71_38
; %bb.33:
	s_cmp_lg_u32 s33, 0
	s_waitcnt lgkmcnt(0)
	s_mov_b32 s26, 0
	s_cbranch_scc0 .LBB71_39
; %bb.34:
	s_min_u32 s27, s54, 15
	s_add_i32 s27, s27, 1
	s_cmp_eq_u32 s54, 2
	s_cbranch_scc1 .LBB71_40
; %bb.35:
	s_and_b32 s26, s27, 28
	s_add_u32 s2, s28, 0xc4
	s_addc_u32 s3, s29, 0
	s_mov_b32 s30, 0
	v_mov_b32_e32 v24, 0
	v_mov_b32_e32 v26, 0
	s_mov_b64 s[24:25], s[28:29]
	v_mov_b32_e32 v4, v3
.LBB71_36:                              ; =>This Inner Loop Header: Depth=1
	s_load_dwordx8 s[12:19], s[24:25], 0x4
	s_load_dwordx4 s[20:23], s[24:25], 0x24
	s_load_dwordx8 s[4:11], s[2:3], 0x0
	s_add_u32 s24, s24, 48
	s_addc_u32 s25, s25, 0
	s_waitcnt lgkmcnt(0)
	v_mul_hi_u32 v1, s13, v4
	v_add_u32_e32 v1, v4, v1
	v_lshrrev_b32_e32 v1, s14, v1
	v_mul_lo_u32 v5, v1, s12
	v_mul_hi_u32 v6, s16, v1
	v_sub_u32_e32 v4, v4, v5
	v_add_u32_e32 v5, v1, v6
	v_lshrrev_b32_e32 v5, s17, v5
	v_mul_lo_u32 v7, v5, s15
	v_mul_hi_u32 v8, s19, v5
	v_sub_u32_e32 v1, v1, v7
	v_add_u32_e32 v7, v5, v8
	v_mul_lo_u32 v6, v4, s5
	v_mul_lo_u32 v4, v4, s4
	;; [unrolled: 1-line block ×4, first 2 shown]
	v_lshrrev_b32_e32 v7, s20, v7
	v_add3_u32 v1, v4, v24, v1
	v_add3_u32 v6, v6, v26, v8
	v_mul_lo_u32 v4, v7, s18
	v_mul_hi_u32 v8, s22, v7
	v_sub_u32_e32 v4, v5, v4
	v_add_u32_e32 v5, v7, v8
	v_mul_lo_u32 v8, v4, s8
	v_mul_lo_u32 v9, v4, s9
	v_lshrrev_b32_e32 v4, s23, v5
	s_add_i32 s30, s30, 4
	v_mul_lo_u32 v5, v4, s21
	s_add_u32 s2, s2, 32
	v_sub_u32_e32 v5, v7, v5
	s_addc_u32 s3, s3, 0
	v_mul_lo_u32 v7, v5, s10
	v_mul_lo_u32 v5, v5, s11
	s_cmp_lg_u32 s26, s30
	v_add3_u32 v26, v9, v6, v5
	v_add3_u32 v24, v8, v1, v7
	s_cbranch_scc1 .LBB71_36
; %bb.37:
	v_mov_b32_e32 v1, v26
	s_and_b32 s6, s27, 3
	s_cmp_eq_u32 s6, 0
	s_cbranch_scc0 .LBB71_41
	s_branch .LBB71_43
.LBB71_38:
                                        ; implicit-def: $vgpr26
                                        ; implicit-def: $vgpr24
	s_branch .LBB71_44
.LBB71_39:
	v_mov_b32_e32 v26, 0
	v_mov_b32_e32 v24, 0
	s_branch .LBB71_43
.LBB71_40:
	v_mov_b32_e32 v24, 0
                                        ; implicit-def: $vgpr26
	v_mov_b32_e32 v1, v24
	v_mov_b32_e32 v4, v3
	s_and_b32 s6, s27, 3
	s_cmp_eq_u32 s6, 0
	s_cbranch_scc1 .LBB71_43
.LBB71_41:
	s_lshl_b32 s2, s26, 3
	s_add_u32 s2, s28, s2
	s_addc_u32 s3, s29, 0
	s_add_u32 s2, s2, 0xc4
	s_addc_u32 s3, s3, 0
	s_mul_i32 s4, s26, 12
	s_add_u32 s4, s28, s4
	s_addc_u32 s5, s29, 0
.LBB71_42:                              ; =>This Inner Loop Header: Depth=1
	s_load_dwordx2 s[8:9], s[4:5], 0x4
	s_load_dword s7, s[4:5], 0xc
	s_load_dwordx2 s[10:11], s[2:3], 0x0
	v_mov_b32_e32 v6, v1
	s_add_u32 s4, s4, 12
	s_waitcnt lgkmcnt(0)
	v_mul_hi_u32 v1, s9, v4
	v_add_u32_e32 v1, v4, v1
	v_lshrrev_b32_e32 v1, s7, v1
	s_addc_u32 s5, s5, 0
	v_mul_lo_u32 v5, v1, s8
	s_add_u32 s2, s2, 8
	v_sub_u32_e32 v5, v4, v5
	s_addc_u32 s3, s3, 0
	s_add_i32 s6, s6, -1
	v_mad_u64_u32 v[26:27], s[8:9], v5, s11, v[6:7]
	s_cmp_lg_u32 s6, 0
	v_mov_b32_e32 v4, v1
	v_mad_u64_u32 v[24:25], s[8:9], v5, s10, v[24:25]
	v_mov_b32_e32 v1, v26
	s_cbranch_scc1 .LBB71_42
.LBB71_43:
	s_cbranch_execnz .LBB71_46
.LBB71_44:
	s_load_dwordx4 s[4:7], s[28:29], 0x4
	s_load_dwordx2 s[2:3], s[28:29], 0xc4
	s_cmp_lt_u32 s33, 2
	s_waitcnt lgkmcnt(0)
	v_mul_hi_u32 v1, s5, v3
	v_add_u32_e32 v1, v3, v1
	v_lshrrev_b32_e32 v1, s6, v1
	v_mul_lo_u32 v4, v1, s4
	v_sub_u32_e32 v3, v3, v4
	v_mul_lo_u32 v26, v3, s3
	v_mul_lo_u32 v24, v3, s2
	s_cbranch_scc1 .LBB71_46
; %bb.45:
	s_load_dwordx4 s[4:7], s[28:29], 0x10
	s_load_dwordx2 s[2:3], s[28:29], 0xcc
	s_waitcnt lgkmcnt(0)
	v_mul_hi_u32 v3, s5, v1
	v_add_u32_e32 v3, v1, v3
	v_lshrrev_b32_e32 v3, s6, v3
	v_mul_lo_u32 v3, v3, s4
	v_sub_u32_e32 v1, v1, v3
	v_mad_u64_u32 v[24:25], s[4:5], v1, s2, v[24:25]
	v_mad_u64_u32 v[26:27], s[2:3], v1, s3, v[26:27]
.LBB71_46:
	s_and_b64 vcc, exec, s[0:1]
	v_add_u32_e32 v3, 0x100, v21
	s_cbranch_vccnz .LBB71_52
; %bb.47:
	s_cmp_lg_u32 s33, 0
	s_waitcnt lgkmcnt(0)
	s_mov_b32 s26, 0
	s_cbranch_scc0 .LBB71_53
; %bb.48:
	s_min_u32 s27, s54, 15
	s_add_i32 s27, s27, 1
	s_cmp_eq_u32 s54, 2
	s_cbranch_scc1 .LBB71_54
; %bb.49:
	s_and_b32 s26, s27, 28
	s_add_u32 s2, s28, 0xc4
	s_addc_u32 s3, s29, 0
	s_mov_b32 s30, 0
	v_mov_b32_e32 v28, 0
	v_mov_b32_e32 v30, 0
	s_mov_b64 s[24:25], s[28:29]
	v_mov_b32_e32 v4, v3
.LBB71_50:                              ; =>This Inner Loop Header: Depth=1
	s_load_dwordx8 s[12:19], s[24:25], 0x4
	s_load_dwordx4 s[20:23], s[24:25], 0x24
	s_load_dwordx8 s[4:11], s[2:3], 0x0
	s_add_u32 s24, s24, 48
	s_addc_u32 s25, s25, 0
	s_waitcnt lgkmcnt(0)
	v_mul_hi_u32 v1, s13, v4
	v_add_u32_e32 v1, v4, v1
	v_lshrrev_b32_e32 v1, s14, v1
	v_mul_lo_u32 v5, v1, s12
	v_mul_hi_u32 v6, s16, v1
	v_sub_u32_e32 v4, v4, v5
	v_add_u32_e32 v5, v1, v6
	v_lshrrev_b32_e32 v5, s17, v5
	v_mul_lo_u32 v7, v5, s15
	v_mul_hi_u32 v8, s19, v5
	v_sub_u32_e32 v1, v1, v7
	v_add_u32_e32 v7, v5, v8
	v_mul_lo_u32 v6, v4, s5
	v_mul_lo_u32 v4, v4, s4
	v_mul_lo_u32 v8, v1, s7
	v_mul_lo_u32 v1, v1, s6
	v_lshrrev_b32_e32 v7, s20, v7
	v_add3_u32 v1, v4, v28, v1
	v_add3_u32 v6, v6, v30, v8
	v_mul_lo_u32 v4, v7, s18
	v_mul_hi_u32 v8, s22, v7
	v_sub_u32_e32 v4, v5, v4
	v_add_u32_e32 v5, v7, v8
	v_mul_lo_u32 v8, v4, s8
	v_mul_lo_u32 v9, v4, s9
	v_lshrrev_b32_e32 v4, s23, v5
	s_add_i32 s30, s30, 4
	v_mul_lo_u32 v5, v4, s21
	s_add_u32 s2, s2, 32
	v_sub_u32_e32 v5, v7, v5
	s_addc_u32 s3, s3, 0
	v_mul_lo_u32 v7, v5, s10
	v_mul_lo_u32 v5, v5, s11
	s_cmp_lg_u32 s26, s30
	v_add3_u32 v30, v9, v6, v5
	v_add3_u32 v28, v8, v1, v7
	s_cbranch_scc1 .LBB71_50
; %bb.51:
	v_mov_b32_e32 v1, v30
	s_and_b32 s6, s27, 3
	s_cmp_eq_u32 s6, 0
	s_cbranch_scc0 .LBB71_55
	s_branch .LBB71_57
.LBB71_52:
                                        ; implicit-def: $vgpr30
                                        ; implicit-def: $vgpr28
	s_branch .LBB71_58
.LBB71_53:
	v_mov_b32_e32 v30, 0
	v_mov_b32_e32 v28, 0
	s_branch .LBB71_57
.LBB71_54:
	v_mov_b32_e32 v28, 0
                                        ; implicit-def: $vgpr30
	v_mov_b32_e32 v1, v28
	v_mov_b32_e32 v4, v3
	s_and_b32 s6, s27, 3
	s_cmp_eq_u32 s6, 0
	s_cbranch_scc1 .LBB71_57
.LBB71_55:
	s_lshl_b32 s2, s26, 3
	s_add_u32 s2, s28, s2
	s_addc_u32 s3, s29, 0
	s_add_u32 s2, s2, 0xc4
	s_addc_u32 s3, s3, 0
	s_mul_i32 s4, s26, 12
	s_add_u32 s4, s28, s4
	s_addc_u32 s5, s29, 0
.LBB71_56:                              ; =>This Inner Loop Header: Depth=1
	s_load_dwordx2 s[8:9], s[4:5], 0x4
	s_load_dword s7, s[4:5], 0xc
	s_load_dwordx2 s[10:11], s[2:3], 0x0
	v_mov_b32_e32 v6, v1
	s_add_u32 s4, s4, 12
	s_waitcnt lgkmcnt(0)
	v_mul_hi_u32 v1, s9, v4
	v_add_u32_e32 v1, v4, v1
	v_lshrrev_b32_e32 v1, s7, v1
	s_addc_u32 s5, s5, 0
	v_mul_lo_u32 v5, v1, s8
	s_add_u32 s2, s2, 8
	v_sub_u32_e32 v5, v4, v5
	s_addc_u32 s3, s3, 0
	s_add_i32 s6, s6, -1
	v_mad_u64_u32 v[30:31], s[8:9], v5, s11, v[6:7]
	s_cmp_lg_u32 s6, 0
	v_mov_b32_e32 v4, v1
	v_mad_u64_u32 v[28:29], s[8:9], v5, s10, v[28:29]
	v_mov_b32_e32 v1, v30
	s_cbranch_scc1 .LBB71_56
.LBB71_57:
	s_cbranch_execnz .LBB71_60
.LBB71_58:
	s_load_dwordx4 s[4:7], s[28:29], 0x4
	s_load_dwordx2 s[2:3], s[28:29], 0xc4
	s_cmp_lt_u32 s33, 2
	s_waitcnt lgkmcnt(0)
	v_mul_hi_u32 v1, s5, v3
	v_add_u32_e32 v1, v3, v1
	v_lshrrev_b32_e32 v1, s6, v1
	v_mul_lo_u32 v4, v1, s4
	v_sub_u32_e32 v3, v3, v4
	v_mul_lo_u32 v30, v3, s3
	v_mul_lo_u32 v28, v3, s2
	s_cbranch_scc1 .LBB71_60
; %bb.59:
	s_load_dwordx4 s[4:7], s[28:29], 0x10
	s_load_dwordx2 s[2:3], s[28:29], 0xcc
	s_waitcnt lgkmcnt(0)
	v_mul_hi_u32 v3, s5, v1
	v_add_u32_e32 v3, v1, v3
	v_lshrrev_b32_e32 v3, s6, v3
	v_mul_lo_u32 v3, v3, s4
	v_sub_u32_e32 v1, v1, v3
	v_mad_u64_u32 v[28:29], s[4:5], v1, s2, v[28:29]
	v_mad_u64_u32 v[30:31], s[2:3], v1, s3, v[30:31]
.LBB71_60:
	s_and_b64 vcc, exec, s[0:1]
	s_cbranch_vccnz .LBB71_66
; %bb.61:
	s_cmp_lg_u32 s33, 0
	s_waitcnt lgkmcnt(0)
	s_mov_b32 s24, 0
	s_cbranch_scc0 .LBB71_67
; %bb.62:
	s_min_u32 s25, s54, 15
	s_add_i32 s25, s25, 1
	s_cmp_eq_u32 s54, 2
	s_cbranch_scc1 .LBB71_68
; %bb.63:
	s_and_b32 s24, s25, 28
	s_add_u32 s20, s28, 0xc4
	s_addc_u32 s21, s29, 0
	s_mov_b32 s26, 0
	v_mov_b32_e32 v32, 0
	v_mov_b32_e32 v34, 0
	s_mov_b64 s[22:23], s[28:29]
	v_mov_b32_e32 v3, v2
.LBB71_64:                              ; =>This Inner Loop Header: Depth=1
	s_load_dwordx8 s[8:15], s[22:23], 0x4
	s_load_dwordx4 s[16:19], s[22:23], 0x24
	s_load_dwordx8 s[0:7], s[20:21], 0x0
	s_add_u32 s22, s22, 48
	s_addc_u32 s23, s23, 0
	s_waitcnt lgkmcnt(0)
	v_mul_hi_u32 v1, s9, v3
	v_add_u32_e32 v1, v3, v1
	v_lshrrev_b32_e32 v1, s10, v1
	v_mul_lo_u32 v4, v1, s8
	v_mul_hi_u32 v5, s12, v1
	v_sub_u32_e32 v3, v3, v4
	v_add_u32_e32 v4, v1, v5
	v_lshrrev_b32_e32 v4, s13, v4
	v_mul_lo_u32 v6, v4, s11
	v_mul_hi_u32 v7, s15, v4
	v_sub_u32_e32 v1, v1, v6
	v_add_u32_e32 v6, v4, v7
	v_mul_lo_u32 v5, v3, s1
	v_mul_lo_u32 v3, v3, s0
	;; [unrolled: 1-line block ×4, first 2 shown]
	v_lshrrev_b32_e32 v6, s16, v6
	v_add3_u32 v1, v3, v32, v1
	v_add3_u32 v5, v5, v34, v7
	v_mul_lo_u32 v3, v6, s14
	v_mul_hi_u32 v7, s18, v6
	v_sub_u32_e32 v3, v4, v3
	v_add_u32_e32 v4, v6, v7
	v_mul_lo_u32 v7, v3, s4
	v_mul_lo_u32 v8, v3, s5
	v_lshrrev_b32_e32 v3, s19, v4
	s_add_i32 s26, s26, 4
	v_mul_lo_u32 v4, v3, s17
	s_add_u32 s20, s20, 32
	v_sub_u32_e32 v4, v6, v4
	s_addc_u32 s21, s21, 0
	v_mul_lo_u32 v6, v4, s6
	v_mul_lo_u32 v4, v4, s7
	s_cmp_lg_u32 s24, s26
	v_add3_u32 v34, v8, v5, v4
	v_add3_u32 v32, v7, v1, v6
	s_cbranch_scc1 .LBB71_64
; %bb.65:
	v_mov_b32_e32 v1, v34
	s_and_b32 s4, s25, 3
	s_cmp_eq_u32 s4, 0
	s_cbranch_scc0 .LBB71_69
	s_branch .LBB71_71
.LBB71_66:
                                        ; implicit-def: $vgpr34
                                        ; implicit-def: $vgpr32
	s_branch .LBB71_72
.LBB71_67:
	v_mov_b32_e32 v34, 0
	v_mov_b32_e32 v32, 0
	s_branch .LBB71_71
.LBB71_68:
	v_mov_b32_e32 v32, 0
                                        ; implicit-def: $vgpr34
	v_mov_b32_e32 v1, v32
	v_mov_b32_e32 v3, v2
	s_and_b32 s4, s25, 3
	s_cmp_eq_u32 s4, 0
	s_cbranch_scc1 .LBB71_71
.LBB71_69:
	s_lshl_b32 s0, s24, 3
	s_add_u32 s0, s28, s0
	s_addc_u32 s1, s29, 0
	s_add_u32 s0, s0, 0xc4
	s_addc_u32 s1, s1, 0
	s_mul_i32 s2, s24, 12
	s_add_u32 s2, s28, s2
	s_addc_u32 s3, s29, 0
.LBB71_70:                              ; =>This Inner Loop Header: Depth=1
	s_load_dwordx2 s[6:7], s[2:3], 0x4
	s_load_dword s5, s[2:3], 0xc
	s_load_dwordx2 s[8:9], s[0:1], 0x0
	v_mov_b32_e32 v4, v1
	s_add_u32 s2, s2, 12
	s_waitcnt lgkmcnt(0)
	v_mul_hi_u32 v1, s7, v3
	v_add_u32_e32 v1, v3, v1
	v_lshrrev_b32_e32 v1, s5, v1
	s_addc_u32 s3, s3, 0
	v_mul_lo_u32 v5, v1, s6
	s_add_u32 s0, s0, 8
	v_sub_u32_e32 v5, v3, v5
	s_addc_u32 s1, s1, 0
	s_add_i32 s4, s4, -1
	v_mad_u64_u32 v[34:35], s[6:7], v5, s9, v[4:5]
	s_cmp_lg_u32 s4, 0
	v_mov_b32_e32 v3, v1
	v_mad_u64_u32 v[32:33], s[6:7], v5, s8, v[32:33]
	v_mov_b32_e32 v1, v34
	s_cbranch_scc1 .LBB71_70
.LBB71_71:
	s_cbranch_execnz .LBB71_74
.LBB71_72:
	s_load_dwordx4 s[0:3], s[28:29], 0x4
	s_load_dwordx2 s[4:5], s[28:29], 0xc4
	s_cmp_lt_u32 s33, 2
	s_waitcnt lgkmcnt(0)
	v_mul_hi_u32 v1, s1, v2
	v_add_u32_e32 v1, v2, v1
	v_lshrrev_b32_e32 v1, s2, v1
	v_mul_lo_u32 v3, v1, s0
	v_sub_u32_e32 v2, v2, v3
	v_mul_lo_u32 v34, v2, s5
	v_mul_lo_u32 v32, v2, s4
	s_cbranch_scc1 .LBB71_74
; %bb.73:
	s_load_dwordx4 s[0:3], s[28:29], 0x10
	s_load_dwordx2 s[4:5], s[28:29], 0xcc
	s_waitcnt lgkmcnt(0)
	v_mul_hi_u32 v2, s1, v1
	v_add_u32_e32 v2, v1, v2
	v_lshrrev_b32_e32 v2, s2, v2
	v_mul_lo_u32 v2, v2, s0
	v_sub_u32_e32 v1, v1, v2
	v_mad_u64_u32 v[32:33], s[0:1], v1, s4, v[32:33]
	v_mad_u64_u32 v[34:35], s[0:1], v1, s5, v[34:35]
.LBB71_74:
	s_waitcnt lgkmcnt(0)
	s_load_dwordx4 s[20:23], s[28:29], 0x148
	s_getpc_b64 s[18:19]
	s_add_u32 s18, s18, _ZN16c10_complex_math3expIfEEN3c107complexIT_EERKS4_@rel32@lo+4
	s_addc_u32 s19, s19, _ZN16c10_complex_math3expIfEEN3c107complexIT_EERKS4_@rel32@hi+12
	s_waitcnt lgkmcnt(0)
	global_load_dword v1, v0, s[22:23]
	s_waitcnt vmcnt(0)
	v_cvt_f32_f16_e32 v0, v1
	v_cvt_f32_f16_sdwa v1, v1 dst_sel:DWORD dst_unused:UNUSED_PAD src0_sel:WORD_1
	s_swappc_b64 s[30:31], s[18:19]
	global_load_dword v2, v26, s[22:23]
	v_cvt_f16_f32_e32 v3, v0
	v_cvt_f16_f32_sdwa v4, v1 dst_sel:WORD_1 dst_unused:UNUSED_PAD src0_sel:DWORD
	s_waitcnt vmcnt(0)
	v_cvt_f32_f16_e32 v0, v2
	v_cvt_f32_f16_sdwa v1, v2 dst_sel:DWORD dst_unused:UNUSED_PAD src0_sel:WORD_1
	v_or_b32_e32 v21, v4, v3
	s_swappc_b64 s[30:31], s[18:19]
	global_load_dword v2, v30, s[22:23]
	v_cvt_f16_f32_e32 v3, v0
	v_cvt_f16_f32_sdwa v4, v1 dst_sel:WORD_1 dst_unused:UNUSED_PAD src0_sel:DWORD
	s_waitcnt vmcnt(0)
	v_cvt_f32_f16_e32 v0, v2
	v_cvt_f32_f16_sdwa v1, v2 dst_sel:DWORD dst_unused:UNUSED_PAD src0_sel:WORD_1
	v_or_b32_e32 v23, v4, v3
	;; [unrolled: 8-line block ×3, first 2 shown]
	s_swappc_b64 s[30:31], s[18:19]
	v_cvt_f16_f32_e32 v0, v0
	v_cvt_f16_f32_sdwa v1, v1 dst_sel:WORD_1 dst_unused:UNUSED_PAD src0_sel:DWORD
	s_nop 0
	v_or_b32_e32 v0, v1, v0
	global_store_dword v22, v21, s[20:21]
	global_store_dword v24, v23, s[20:21]
	;; [unrolled: 1-line block ×4, first 2 shown]
	s_endpgm
.LBB71_75:
	v_mov_b32_e32 v0, 0
	v_mov_b32_e32 v22, 0
	s_branch .LBB71_81
.LBB71_76:
	v_mov_b32_e32 v0, 0
	v_mov_b32_e32 v22, 0
	s_branch .LBB71_98
.LBB71_77:
	v_mov_b32_e32 v22, 0
	s_mov_b32 s57, 0
	v_mov_b32_e32 v1, v22
                                        ; implicit-def: $vgpr0
	v_mov_b32_e32 v2, v21
.LBB71_78:
	s_and_b32 s4, s58, 3
	s_cmp_eq_u32 s4, 0
	s_cbranch_scc1 .LBB71_81
; %bb.79:
	s_lshl_b32 s0, s57, 3
	s_add_u32 s0, s28, s0
	s_addc_u32 s1, s29, 0
	s_add_u32 s0, s0, 0xc4
	s_addc_u32 s1, s1, 0
	s_mul_i32 s2, s57, 12
	s_add_u32 s2, s28, s2
	s_addc_u32 s3, s29, 0
.LBB71_80:                              ; =>This Inner Loop Header: Depth=1
	s_load_dwordx2 s[6:7], s[2:3], 0x4
	s_load_dword s5, s[2:3], 0xc
	s_load_dwordx2 s[8:9], s[0:1], 0x0
	v_mov_b32_e32 v0, v1
	s_add_u32 s2, s2, 12
	s_waitcnt lgkmcnt(0)
	v_mul_hi_u32 v1, s7, v2
	v_add_u32_e32 v1, v2, v1
	v_lshrrev_b32_e32 v1, s5, v1
	s_addc_u32 s3, s3, 0
	v_mul_lo_u32 v3, v1, s6
	s_add_u32 s0, s0, 8
	v_sub_u32_e32 v3, v2, v3
	s_addc_u32 s1, s1, 0
	s_add_i32 s4, s4, -1
	v_mov_b32_e32 v2, v1
	v_mad_u64_u32 v[0:1], s[6:7], v3, s9, v[0:1]
	s_cmp_lg_u32 s4, 0
	v_mad_u64_u32 v[22:23], s[6:7], v3, s8, v[22:23]
	v_mov_b32_e32 v1, v0
	s_cbranch_scc1 .LBB71_80
.LBB71_81:
	s_cbranch_execnz .LBB71_84
.LBB71_82:
	s_waitcnt lgkmcnt(0)
	v_mul_hi_u32 v0, s37, v21
	v_add_u32_e32 v0, v21, v0
	v_lshrrev_b32_e32 v1, s38, v0
	v_mul_lo_u32 v0, v1, s36
	v_sub_u32_e32 v2, v21, v0
	v_mul_lo_u32 v0, v2, s25
	s_andn2_b64 vcc, exec, s[44:45]
	v_mul_lo_u32 v22, v2, s24
	s_cbranch_vccnz .LBB71_84
; %bb.83:
	v_mul_hi_u32 v2, s42, v1
	v_add_u32_e32 v2, v1, v2
	v_lshrrev_b32_e32 v2, s43, v2
	v_mul_lo_u32 v2, v2, s39
	v_sub_u32_e32 v1, v1, v2
	v_mad_u64_u32 v[22:23], s[0:1], v1, s26, v[22:23]
	v_mad_u64_u32 v[0:1], s[0:1], v1, s27, v[0:1]
.LBB71_84:
	s_waitcnt lgkmcnt(0)
	global_load_dword v1, v0, s[22:23]
	s_getpc_b64 s[0:1]
	s_add_u32 s0, s0, _ZN16c10_complex_math3expIfEEN3c107complexIT_EERKS4_@rel32@lo+4
	s_addc_u32 s1, s1, _ZN16c10_complex_math3expIfEEN3c107complexIT_EERKS4_@rel32@hi+12
	s_waitcnt vmcnt(0)
	v_cvt_f32_f16_e32 v0, v1
	v_cvt_f32_f16_sdwa v1, v1 dst_sel:DWORD dst_unused:UNUSED_PAD src0_sel:WORD_1
	s_swappc_b64 s[30:31], s[0:1]
	v_cvt_f16_f32_e32 v0, v0
	v_cvt_f16_f32_sdwa v1, v1 dst_sel:WORD_1 dst_unused:UNUSED_PAD src0_sel:DWORD
	v_add_u32_e32 v21, 0x80, v21
	v_or_b32_e32 v0, v1, v0
	global_store_dword v22, v0, s[20:21]
	s_or_b64 exec, exec, s[50:51]
	v_cmp_gt_i32_e32 vcc, s55, v21
	s_and_saveexec_b64 s[50:51], vcc
	s_cbranch_execnz .LBB71_16
.LBB71_85:
	s_or_b64 exec, exec, s[50:51]
	v_cmp_gt_i32_e32 vcc, s55, v21
	s_and_saveexec_b64 s[50:51], vcc
	s_cbranch_execz .LBB71_102
.LBB71_86:
	s_andn2_b64 vcc, exec, s[34:35]
	s_cbranch_vccnz .LBB71_92
; %bb.87:
	s_andn2_b64 vcc, exec, s[48:49]
	s_cbranch_vccnz .LBB71_93
; %bb.88:
	s_add_i32 s58, s56, 1
	s_cmp_eq_u32 s54, 2
	s_cbranch_scc1 .LBB71_105
; %bb.89:
	s_and_b32 s57, s58, 28
	s_mov_b32 s59, 0
	v_mov_b32_e32 v22, 0
	v_mov_b32_e32 v0, 0
	s_mov_b64 s[30:31], s[28:29]
	s_mov_b64 s[52:53], s[46:47]
	v_mov_b32_e32 v2, v21
.LBB71_90:                              ; =>This Inner Loop Header: Depth=1
	s_load_dwordx8 s[8:15], s[30:31], 0x4
	s_load_dwordx4 s[16:19], s[30:31], 0x24
	s_load_dwordx8 s[0:7], s[52:53], 0x0
	s_add_u32 s30, s30, 48
	s_addc_u32 s31, s31, 0
	s_waitcnt lgkmcnt(0)
	v_mul_hi_u32 v1, s9, v2
	v_add_u32_e32 v1, v2, v1
	v_lshrrev_b32_e32 v1, s10, v1
	v_mul_lo_u32 v3, v1, s8
	v_mul_hi_u32 v4, s12, v1
	v_sub_u32_e32 v2, v2, v3
	v_add_u32_e32 v3, v1, v4
	v_lshrrev_b32_e32 v3, s13, v3
	v_mul_lo_u32 v5, v3, s11
	v_mul_hi_u32 v6, s15, v3
	v_sub_u32_e32 v1, v1, v5
	v_add_u32_e32 v5, v3, v6
	v_mul_lo_u32 v4, v2, s1
	v_mul_lo_u32 v2, v2, s0
	;; [unrolled: 1-line block ×4, first 2 shown]
	v_lshrrev_b32_e32 v5, s16, v5
	v_add3_u32 v1, v2, v22, v1
	v_add3_u32 v0, v4, v0, v6
	v_mul_lo_u32 v2, v5, s14
	v_mul_hi_u32 v4, s18, v5
	v_sub_u32_e32 v2, v3, v2
	v_add_u32_e32 v3, v5, v4
	v_mul_lo_u32 v4, v2, s4
	v_mul_lo_u32 v6, v2, s5
	v_lshrrev_b32_e32 v2, s19, v3
	s_add_i32 s59, s59, 4
	v_mul_lo_u32 v3, v2, s17
	s_add_u32 s52, s52, 32
	v_sub_u32_e32 v3, v5, v3
	s_addc_u32 s53, s53, 0
	v_mul_lo_u32 v5, v3, s6
	v_mul_lo_u32 v3, v3, s7
	s_cmp_eq_u32 s57, s59
	v_add3_u32 v0, v6, v0, v3
	v_add3_u32 v22, v4, v1, v5
	s_cbranch_scc0 .LBB71_90
; %bb.91:
	v_mov_b32_e32 v1, v0
	s_branch .LBB71_106
.LBB71_92:
                                        ; implicit-def: $vgpr0
                                        ; implicit-def: $vgpr22
	s_branch .LBB71_110
.LBB71_93:
	v_mov_b32_e32 v0, 0
	v_mov_b32_e32 v22, 0
	s_branch .LBB71_109
.LBB71_94:
	v_mov_b32_e32 v22, 0
	s_mov_b32 s57, 0
	v_mov_b32_e32 v1, v22
                                        ; implicit-def: $vgpr0
	v_mov_b32_e32 v2, v21
.LBB71_95:
	s_and_b32 s4, s58, 3
	s_cmp_eq_u32 s4, 0
	s_cbranch_scc1 .LBB71_98
; %bb.96:
	s_lshl_b32 s0, s57, 3
	s_add_u32 s0, s28, s0
	s_addc_u32 s1, s29, 0
	s_add_u32 s0, s0, 0xc4
	s_addc_u32 s1, s1, 0
	s_mul_i32 s2, s57, 12
	s_add_u32 s2, s28, s2
	s_addc_u32 s3, s29, 0
.LBB71_97:                              ; =>This Inner Loop Header: Depth=1
	s_load_dwordx2 s[6:7], s[2:3], 0x4
	s_load_dword s5, s[2:3], 0xc
	s_load_dwordx2 s[8:9], s[0:1], 0x0
	v_mov_b32_e32 v0, v1
	s_add_u32 s2, s2, 12
	s_waitcnt lgkmcnt(0)
	v_mul_hi_u32 v1, s7, v2
	v_add_u32_e32 v1, v2, v1
	v_lshrrev_b32_e32 v1, s5, v1
	s_addc_u32 s3, s3, 0
	v_mul_lo_u32 v3, v1, s6
	s_add_u32 s0, s0, 8
	v_sub_u32_e32 v3, v2, v3
	s_addc_u32 s1, s1, 0
	s_add_i32 s4, s4, -1
	v_mov_b32_e32 v2, v1
	v_mad_u64_u32 v[0:1], s[6:7], v3, s9, v[0:1]
	s_cmp_lg_u32 s4, 0
	v_mad_u64_u32 v[22:23], s[6:7], v3, s8, v[22:23]
	v_mov_b32_e32 v1, v0
	s_cbranch_scc1 .LBB71_97
.LBB71_98:
	s_cbranch_execnz .LBB71_101
.LBB71_99:
	s_waitcnt lgkmcnt(0)
	v_mul_hi_u32 v0, s37, v21
	v_add_u32_e32 v0, v21, v0
	v_lshrrev_b32_e32 v1, s38, v0
	v_mul_lo_u32 v0, v1, s36
	v_sub_u32_e32 v2, v21, v0
	v_mul_lo_u32 v0, v2, s25
	s_andn2_b64 vcc, exec, s[44:45]
	v_mul_lo_u32 v22, v2, s24
	s_cbranch_vccnz .LBB71_101
; %bb.100:
	v_mul_hi_u32 v2, s42, v1
	v_add_u32_e32 v2, v1, v2
	v_lshrrev_b32_e32 v2, s43, v2
	v_mul_lo_u32 v2, v2, s39
	v_sub_u32_e32 v1, v1, v2
	v_mad_u64_u32 v[22:23], s[0:1], v1, s26, v[22:23]
	v_mad_u64_u32 v[0:1], s[0:1], v1, s27, v[0:1]
.LBB71_101:
	s_waitcnt lgkmcnt(0)
	global_load_dword v1, v0, s[22:23]
	s_getpc_b64 s[0:1]
	s_add_u32 s0, s0, _ZN16c10_complex_math3expIfEEN3c107complexIT_EERKS4_@rel32@lo+4
	s_addc_u32 s1, s1, _ZN16c10_complex_math3expIfEEN3c107complexIT_EERKS4_@rel32@hi+12
	s_waitcnt vmcnt(0)
	v_cvt_f32_f16_e32 v0, v1
	v_cvt_f32_f16_sdwa v1, v1 dst_sel:DWORD dst_unused:UNUSED_PAD src0_sel:WORD_1
	s_swappc_b64 s[30:31], s[0:1]
	v_cvt_f16_f32_e32 v0, v0
	v_cvt_f16_f32_sdwa v1, v1 dst_sel:WORD_1 dst_unused:UNUSED_PAD src0_sel:DWORD
	v_add_u32_e32 v21, 0x80, v21
	v_or_b32_e32 v0, v1, v0
	global_store_dword v22, v0, s[20:21]
	s_or_b64 exec, exec, s[50:51]
	v_cmp_gt_i32_e32 vcc, s55, v21
	s_and_saveexec_b64 s[50:51], vcc
	s_cbranch_execnz .LBB71_86
.LBB71_102:
	s_or_b64 exec, exec, s[50:51]
	v_cmp_gt_i32_e32 vcc, s55, v21
	s_and_saveexec_b64 s[50:51], vcc
	s_cbranch_execnz .LBB71_113
.LBB71_103:
	s_or_b64 exec, exec, s[50:51]
                                        ; implicit-def: $vgpr2
                                        ; implicit-def: $vgpr21
	s_andn2_saveexec_b64 s[0:1], s[40:41]
	s_cbranch_execnz .LBB71_9
.LBB71_104:
	s_endpgm
.LBB71_105:
	v_mov_b32_e32 v22, 0
	s_mov_b32 s57, 0
	v_mov_b32_e32 v1, v22
                                        ; implicit-def: $vgpr0
	v_mov_b32_e32 v2, v21
.LBB71_106:
	s_and_b32 s4, s58, 3
	s_cmp_eq_u32 s4, 0
	s_cbranch_scc1 .LBB71_109
; %bb.107:
	s_lshl_b32 s0, s57, 3
	s_add_u32 s0, s28, s0
	s_addc_u32 s1, s29, 0
	s_add_u32 s0, s0, 0xc4
	s_addc_u32 s1, s1, 0
	s_mul_i32 s2, s57, 12
	s_add_u32 s2, s28, s2
	s_addc_u32 s3, s29, 0
.LBB71_108:                             ; =>This Inner Loop Header: Depth=1
	s_load_dwordx2 s[6:7], s[2:3], 0x4
	s_load_dword s5, s[2:3], 0xc
	s_load_dwordx2 s[8:9], s[0:1], 0x0
	v_mov_b32_e32 v0, v1
	s_add_u32 s2, s2, 12
	s_waitcnt lgkmcnt(0)
	v_mul_hi_u32 v1, s7, v2
	v_add_u32_e32 v1, v2, v1
	v_lshrrev_b32_e32 v1, s5, v1
	s_addc_u32 s3, s3, 0
	v_mul_lo_u32 v3, v1, s6
	s_add_u32 s0, s0, 8
	v_sub_u32_e32 v3, v2, v3
	s_addc_u32 s1, s1, 0
	s_add_i32 s4, s4, -1
	v_mov_b32_e32 v2, v1
	v_mad_u64_u32 v[0:1], s[6:7], v3, s9, v[0:1]
	s_cmp_lg_u32 s4, 0
	v_mad_u64_u32 v[22:23], s[6:7], v3, s8, v[22:23]
	v_mov_b32_e32 v1, v0
	s_cbranch_scc1 .LBB71_108
.LBB71_109:
	s_cbranch_execnz .LBB71_112
.LBB71_110:
	s_waitcnt lgkmcnt(0)
	v_mul_hi_u32 v0, s37, v21
	v_add_u32_e32 v0, v21, v0
	v_lshrrev_b32_e32 v1, s38, v0
	v_mul_lo_u32 v0, v1, s36
	v_sub_u32_e32 v2, v21, v0
	v_mul_lo_u32 v0, v2, s25
	s_andn2_b64 vcc, exec, s[44:45]
	v_mul_lo_u32 v22, v2, s24
	s_cbranch_vccnz .LBB71_112
; %bb.111:
	v_mul_hi_u32 v2, s42, v1
	v_add_u32_e32 v2, v1, v2
	v_lshrrev_b32_e32 v2, s43, v2
	v_mul_lo_u32 v2, v2, s39
	v_sub_u32_e32 v1, v1, v2
	v_mad_u64_u32 v[22:23], s[0:1], v1, s26, v[22:23]
	v_mad_u64_u32 v[0:1], s[0:1], v1, s27, v[0:1]
.LBB71_112:
	s_waitcnt lgkmcnt(0)
	global_load_dword v1, v0, s[22:23]
	s_getpc_b64 s[0:1]
	s_add_u32 s0, s0, _ZN16c10_complex_math3expIfEEN3c107complexIT_EERKS4_@rel32@lo+4
	s_addc_u32 s1, s1, _ZN16c10_complex_math3expIfEEN3c107complexIT_EERKS4_@rel32@hi+12
	s_waitcnt vmcnt(0)
	v_cvt_f32_f16_e32 v0, v1
	v_cvt_f32_f16_sdwa v1, v1 dst_sel:DWORD dst_unused:UNUSED_PAD src0_sel:WORD_1
	s_swappc_b64 s[30:31], s[0:1]
	v_cvt_f16_f32_e32 v0, v0
	v_cvt_f16_f32_sdwa v1, v1 dst_sel:WORD_1 dst_unused:UNUSED_PAD src0_sel:DWORD
	v_add_u32_e32 v21, 0x80, v21
	v_or_b32_e32 v0, v1, v0
	global_store_dword v22, v0, s[20:21]
	s_or_b64 exec, exec, s[50:51]
	v_cmp_gt_i32_e32 vcc, s55, v21
	s_and_saveexec_b64 s[50:51], vcc
	s_cbranch_execz .LBB71_103
.LBB71_113:
	s_andn2_b64 vcc, exec, s[34:35]
	s_cbranch_vccnz .LBB71_119
; %bb.114:
	s_andn2_b64 vcc, exec, s[48:49]
	s_cbranch_vccnz .LBB71_120
; %bb.115:
	s_add_i32 s56, s56, 1
	s_cmp_eq_u32 s54, 2
	s_cbranch_scc1 .LBB71_121
; %bb.116:
	s_and_b32 s48, s56, 28
	s_mov_b32 s49, 0
	v_mov_b32_e32 v22, 0
	v_mov_b32_e32 v0, 0
	s_mov_b64 s[30:31], s[28:29]
	v_mov_b32_e32 v2, v21
.LBB71_117:                             ; =>This Inner Loop Header: Depth=1
	s_load_dwordx8 s[8:15], s[30:31], 0x4
	s_load_dwordx4 s[16:19], s[30:31], 0x24
	s_load_dwordx8 s[0:7], s[46:47], 0x0
	s_add_u32 s30, s30, 48
	s_addc_u32 s31, s31, 0
	s_waitcnt lgkmcnt(0)
	v_mul_hi_u32 v1, s9, v2
	v_add_u32_e32 v1, v2, v1
	v_lshrrev_b32_e32 v1, s10, v1
	v_mul_lo_u32 v3, v1, s8
	v_mul_hi_u32 v4, s12, v1
	v_sub_u32_e32 v2, v2, v3
	v_add_u32_e32 v3, v1, v4
	v_lshrrev_b32_e32 v3, s13, v3
	v_mul_lo_u32 v5, v3, s11
	v_mul_hi_u32 v6, s15, v3
	v_sub_u32_e32 v1, v1, v5
	v_add_u32_e32 v5, v3, v6
	v_mul_lo_u32 v4, v2, s1
	v_mul_lo_u32 v2, v2, s0
	;; [unrolled: 1-line block ×4, first 2 shown]
	v_lshrrev_b32_e32 v5, s16, v5
	v_add3_u32 v1, v2, v22, v1
	v_add3_u32 v0, v4, v0, v6
	v_mul_lo_u32 v2, v5, s14
	v_mul_hi_u32 v4, s18, v5
	v_sub_u32_e32 v2, v3, v2
	v_add_u32_e32 v3, v5, v4
	v_mul_lo_u32 v4, v2, s4
	v_mul_lo_u32 v6, v2, s5
	v_lshrrev_b32_e32 v2, s19, v3
	s_add_i32 s49, s49, 4
	v_mul_lo_u32 v3, v2, s17
	s_add_u32 s46, s46, 32
	v_sub_u32_e32 v3, v5, v3
	s_addc_u32 s47, s47, 0
	v_mul_lo_u32 v5, v3, s6
	v_mul_lo_u32 v3, v3, s7
	s_cmp_eq_u32 s48, s49
	v_add3_u32 v0, v6, v0, v3
	v_add3_u32 v22, v4, v1, v5
	s_cbranch_scc0 .LBB71_117
; %bb.118:
	v_mov_b32_e32 v1, v0
	s_branch .LBB71_122
.LBB71_119:
                                        ; implicit-def: $vgpr0
                                        ; implicit-def: $vgpr22
	s_branch .LBB71_126
.LBB71_120:
	v_mov_b32_e32 v0, 0
	v_mov_b32_e32 v22, 0
	s_branch .LBB71_125
.LBB71_121:
	v_mov_b32_e32 v22, 0
	s_mov_b32 s48, 0
	v_mov_b32_e32 v1, v22
                                        ; implicit-def: $vgpr0
	v_mov_b32_e32 v2, v21
.LBB71_122:
	s_and_b32 s4, s56, 3
	s_cmp_eq_u32 s4, 0
	s_cbranch_scc1 .LBB71_125
; %bb.123:
	s_lshl_b32 s0, s48, 3
	s_add_u32 s0, s28, s0
	s_addc_u32 s1, s29, 0
	s_add_u32 s0, s0, 0xc4
	s_addc_u32 s1, s1, 0
	s_mul_i32 s2, s48, 12
	s_add_u32 s2, s28, s2
	s_addc_u32 s3, s29, 0
.LBB71_124:                             ; =>This Inner Loop Header: Depth=1
	s_load_dwordx2 s[6:7], s[2:3], 0x4
	s_load_dword s5, s[2:3], 0xc
	s_load_dwordx2 s[8:9], s[0:1], 0x0
	v_mov_b32_e32 v0, v1
	s_add_u32 s2, s2, 12
	s_waitcnt lgkmcnt(0)
	v_mul_hi_u32 v1, s7, v2
	v_add_u32_e32 v1, v2, v1
	v_lshrrev_b32_e32 v1, s5, v1
	s_addc_u32 s3, s3, 0
	v_mul_lo_u32 v3, v1, s6
	s_add_u32 s0, s0, 8
	v_sub_u32_e32 v3, v2, v3
	s_addc_u32 s1, s1, 0
	s_add_i32 s4, s4, -1
	v_mov_b32_e32 v2, v1
	v_mad_u64_u32 v[0:1], s[6:7], v3, s9, v[0:1]
	s_cmp_lg_u32 s4, 0
	v_mad_u64_u32 v[22:23], s[6:7], v3, s8, v[22:23]
	v_mov_b32_e32 v1, v0
	s_cbranch_scc1 .LBB71_124
.LBB71_125:
	s_cbranch_execnz .LBB71_128
.LBB71_126:
	s_waitcnt lgkmcnt(0)
	v_mul_hi_u32 v0, s37, v21
	v_add_u32_e32 v0, v21, v0
	v_lshrrev_b32_e32 v1, s38, v0
	v_mul_lo_u32 v0, v1, s36
	v_sub_u32_e32 v2, v21, v0
	v_mul_lo_u32 v0, v2, s25
	s_andn2_b64 vcc, exec, s[44:45]
	v_mul_lo_u32 v22, v2, s24
	s_cbranch_vccnz .LBB71_128
; %bb.127:
	v_mul_hi_u32 v2, s42, v1
	v_add_u32_e32 v2, v1, v2
	v_lshrrev_b32_e32 v2, s43, v2
	v_mul_lo_u32 v2, v2, s39
	v_sub_u32_e32 v1, v1, v2
	v_mad_u64_u32 v[22:23], s[0:1], v1, s26, v[22:23]
	v_mad_u64_u32 v[0:1], s[0:1], v1, s27, v[0:1]
.LBB71_128:
	s_waitcnt lgkmcnt(0)
	global_load_dword v1, v0, s[22:23]
	s_getpc_b64 s[0:1]
	s_add_u32 s0, s0, _ZN16c10_complex_math3expIfEEN3c107complexIT_EERKS4_@rel32@lo+4
	s_addc_u32 s1, s1, _ZN16c10_complex_math3expIfEEN3c107complexIT_EERKS4_@rel32@hi+12
	s_waitcnt vmcnt(0)
	v_cvt_f32_f16_e32 v0, v1
	v_cvt_f32_f16_sdwa v1, v1 dst_sel:DWORD dst_unused:UNUSED_PAD src0_sel:WORD_1
	s_swappc_b64 s[30:31], s[0:1]
	v_cvt_f16_f32_e32 v0, v0
	v_cvt_f16_f32_sdwa v1, v1 dst_sel:WORD_1 dst_unused:UNUSED_PAD src0_sel:DWORD
	s_nop 0
	v_or_b32_e32 v0, v1, v0
	global_store_dword v22, v0, s[20:21]
	s_or_b64 exec, exec, s[50:51]
                                        ; implicit-def: $vgpr2
                                        ; implicit-def: $vgpr21
	s_andn2_saveexec_b64 s[0:1], s[40:41]
	s_cbranch_execz .LBB71_104
	s_branch .LBB71_9
	.section	.rodata,"a",@progbits
	.p2align	6, 0x0
	.amdhsa_kernel _ZN2at6native32elementwise_kernel_manual_unrollILi128ELi4EZNS0_22gpu_kernel_impl_nocastIZZZNS0_15exp_kernel_cudaERNS_18TensorIteratorBaseEENKUlvE_clEvENKUlvE1_clEvEUlN3c107complexINS7_4HalfEEEE_EEvS4_RKT_EUlibE_EEviT1_
		.amdhsa_group_segment_fixed_size 0
		.amdhsa_private_segment_fixed_size 0
		.amdhsa_kernarg_size 360
		.amdhsa_user_sgpr_count 2
		.amdhsa_user_sgpr_dispatch_ptr 0
		.amdhsa_user_sgpr_queue_ptr 0
		.amdhsa_user_sgpr_kernarg_segment_ptr 1
		.amdhsa_user_sgpr_dispatch_id 0
		.amdhsa_user_sgpr_kernarg_preload_length 0
		.amdhsa_user_sgpr_kernarg_preload_offset 0
		.amdhsa_user_sgpr_private_segment_size 0
		.amdhsa_uses_dynamic_stack 0
		.amdhsa_enable_private_segment 0
		.amdhsa_system_sgpr_workgroup_id_x 1
		.amdhsa_system_sgpr_workgroup_id_y 0
		.amdhsa_system_sgpr_workgroup_id_z 0
		.amdhsa_system_sgpr_workgroup_info 0
		.amdhsa_system_vgpr_workitem_id 0
		.amdhsa_next_free_vgpr 36
		.amdhsa_next_free_sgpr 60
		.amdhsa_accum_offset 36
		.amdhsa_reserve_vcc 1
		.amdhsa_float_round_mode_32 0
		.amdhsa_float_round_mode_16_64 0
		.amdhsa_float_denorm_mode_32 3
		.amdhsa_float_denorm_mode_16_64 3
		.amdhsa_dx10_clamp 1
		.amdhsa_ieee_mode 1
		.amdhsa_fp16_overflow 0
		.amdhsa_tg_split 0
		.amdhsa_exception_fp_ieee_invalid_op 0
		.amdhsa_exception_fp_denorm_src 0
		.amdhsa_exception_fp_ieee_div_zero 0
		.amdhsa_exception_fp_ieee_overflow 0
		.amdhsa_exception_fp_ieee_underflow 0
		.amdhsa_exception_fp_ieee_inexact 0
		.amdhsa_exception_int_div_zero 0
	.end_amdhsa_kernel
	.section	.text._ZN2at6native32elementwise_kernel_manual_unrollILi128ELi4EZNS0_22gpu_kernel_impl_nocastIZZZNS0_15exp_kernel_cudaERNS_18TensorIteratorBaseEENKUlvE_clEvENKUlvE1_clEvEUlN3c107complexINS7_4HalfEEEE_EEvS4_RKT_EUlibE_EEviT1_,"axG",@progbits,_ZN2at6native32elementwise_kernel_manual_unrollILi128ELi4EZNS0_22gpu_kernel_impl_nocastIZZZNS0_15exp_kernel_cudaERNS_18TensorIteratorBaseEENKUlvE_clEvENKUlvE1_clEvEUlN3c107complexINS7_4HalfEEEE_EEvS4_RKT_EUlibE_EEviT1_,comdat
.Lfunc_end71:
	.size	_ZN2at6native32elementwise_kernel_manual_unrollILi128ELi4EZNS0_22gpu_kernel_impl_nocastIZZZNS0_15exp_kernel_cudaERNS_18TensorIteratorBaseEENKUlvE_clEvENKUlvE1_clEvEUlN3c107complexINS7_4HalfEEEE_EEvS4_RKT_EUlibE_EEviT1_, .Lfunc_end71-_ZN2at6native32elementwise_kernel_manual_unrollILi128ELi4EZNS0_22gpu_kernel_impl_nocastIZZZNS0_15exp_kernel_cudaERNS_18TensorIteratorBaseEENKUlvE_clEvENKUlvE1_clEvEUlN3c107complexINS7_4HalfEEEE_EEvS4_RKT_EUlibE_EEviT1_
                                        ; -- End function
	.set _ZN2at6native32elementwise_kernel_manual_unrollILi128ELi4EZNS0_22gpu_kernel_impl_nocastIZZZNS0_15exp_kernel_cudaERNS_18TensorIteratorBaseEENKUlvE_clEvENKUlvE1_clEvEUlN3c107complexINS7_4HalfEEEE_EEvS4_RKT_EUlibE_EEviT1_.num_vgpr, max(36, .L_ZN16c10_complex_math3expIfEEN3c107complexIT_EERKS4_.num_vgpr)
	.set _ZN2at6native32elementwise_kernel_manual_unrollILi128ELi4EZNS0_22gpu_kernel_impl_nocastIZZZNS0_15exp_kernel_cudaERNS_18TensorIteratorBaseEENKUlvE_clEvENKUlvE1_clEvEUlN3c107complexINS7_4HalfEEEE_EEvS4_RKT_EUlibE_EEviT1_.num_agpr, max(0, .L_ZN16c10_complex_math3expIfEEN3c107complexIT_EERKS4_.num_agpr)
	.set _ZN2at6native32elementwise_kernel_manual_unrollILi128ELi4EZNS0_22gpu_kernel_impl_nocastIZZZNS0_15exp_kernel_cudaERNS_18TensorIteratorBaseEENKUlvE_clEvENKUlvE1_clEvEUlN3c107complexINS7_4HalfEEEE_EEvS4_RKT_EUlibE_EEviT1_.numbered_sgpr, max(60, .L_ZN16c10_complex_math3expIfEEN3c107complexIT_EERKS4_.numbered_sgpr)
	.set _ZN2at6native32elementwise_kernel_manual_unrollILi128ELi4EZNS0_22gpu_kernel_impl_nocastIZZZNS0_15exp_kernel_cudaERNS_18TensorIteratorBaseEENKUlvE_clEvENKUlvE1_clEvEUlN3c107complexINS7_4HalfEEEE_EEvS4_RKT_EUlibE_EEviT1_.num_named_barrier, max(0, .L_ZN16c10_complex_math3expIfEEN3c107complexIT_EERKS4_.num_named_barrier)
	.set _ZN2at6native32elementwise_kernel_manual_unrollILi128ELi4EZNS0_22gpu_kernel_impl_nocastIZZZNS0_15exp_kernel_cudaERNS_18TensorIteratorBaseEENKUlvE_clEvENKUlvE1_clEvEUlN3c107complexINS7_4HalfEEEE_EEvS4_RKT_EUlibE_EEviT1_.private_seg_size, 0+max(.L_ZN16c10_complex_math3expIfEEN3c107complexIT_EERKS4_.private_seg_size)
	.set _ZN2at6native32elementwise_kernel_manual_unrollILi128ELi4EZNS0_22gpu_kernel_impl_nocastIZZZNS0_15exp_kernel_cudaERNS_18TensorIteratorBaseEENKUlvE_clEvENKUlvE1_clEvEUlN3c107complexINS7_4HalfEEEE_EEvS4_RKT_EUlibE_EEviT1_.uses_vcc, or(1, .L_ZN16c10_complex_math3expIfEEN3c107complexIT_EERKS4_.uses_vcc)
	.set _ZN2at6native32elementwise_kernel_manual_unrollILi128ELi4EZNS0_22gpu_kernel_impl_nocastIZZZNS0_15exp_kernel_cudaERNS_18TensorIteratorBaseEENKUlvE_clEvENKUlvE1_clEvEUlN3c107complexINS7_4HalfEEEE_EEvS4_RKT_EUlibE_EEviT1_.uses_flat_scratch, or(0, .L_ZN16c10_complex_math3expIfEEN3c107complexIT_EERKS4_.uses_flat_scratch)
	.set _ZN2at6native32elementwise_kernel_manual_unrollILi128ELi4EZNS0_22gpu_kernel_impl_nocastIZZZNS0_15exp_kernel_cudaERNS_18TensorIteratorBaseEENKUlvE_clEvENKUlvE1_clEvEUlN3c107complexINS7_4HalfEEEE_EEvS4_RKT_EUlibE_EEviT1_.has_dyn_sized_stack, or(0, .L_ZN16c10_complex_math3expIfEEN3c107complexIT_EERKS4_.has_dyn_sized_stack)
	.set _ZN2at6native32elementwise_kernel_manual_unrollILi128ELi4EZNS0_22gpu_kernel_impl_nocastIZZZNS0_15exp_kernel_cudaERNS_18TensorIteratorBaseEENKUlvE_clEvENKUlvE1_clEvEUlN3c107complexINS7_4HalfEEEE_EEvS4_RKT_EUlibE_EEviT1_.has_recursion, or(0, .L_ZN16c10_complex_math3expIfEEN3c107complexIT_EERKS4_.has_recursion)
	.set _ZN2at6native32elementwise_kernel_manual_unrollILi128ELi4EZNS0_22gpu_kernel_impl_nocastIZZZNS0_15exp_kernel_cudaERNS_18TensorIteratorBaseEENKUlvE_clEvENKUlvE1_clEvEUlN3c107complexINS7_4HalfEEEE_EEvS4_RKT_EUlibE_EEviT1_.has_indirect_call, or(0, .L_ZN16c10_complex_math3expIfEEN3c107complexIT_EERKS4_.has_indirect_call)
	.section	.AMDGPU.csdata,"",@progbits
; Kernel info:
; codeLenInByte = 6148
; TotalNumSgprs: 66
; NumVgprs: 36
; NumAgprs: 0
; TotalNumVgprs: 36
; ScratchSize: 0
; MemoryBound: 0
; FloatMode: 240
; IeeeMode: 1
; LDSByteSize: 0 bytes/workgroup (compile time only)
; SGPRBlocks: 8
; VGPRBlocks: 4
; NumSGPRsForWavesPerEU: 66
; NumVGPRsForWavesPerEU: 36
; AccumOffset: 36
; Occupancy: 8
; WaveLimiterHint : 1
; COMPUTE_PGM_RSRC2:SCRATCH_EN: 0
; COMPUTE_PGM_RSRC2:USER_SGPR: 2
; COMPUTE_PGM_RSRC2:TRAP_HANDLER: 0
; COMPUTE_PGM_RSRC2:TGID_X_EN: 1
; COMPUTE_PGM_RSRC2:TGID_Y_EN: 0
; COMPUTE_PGM_RSRC2:TGID_Z_EN: 0
; COMPUTE_PGM_RSRC2:TIDIG_COMP_CNT: 0
; COMPUTE_PGM_RSRC3_GFX90A:ACCUM_OFFSET: 8
; COMPUTE_PGM_RSRC3_GFX90A:TG_SPLIT: 0
	.section	.text._ZN2at6native32elementwise_kernel_manual_unrollILi128ELi4EZNS0_15gpu_kernel_implIZZZNS0_15exp_kernel_cudaERNS_18TensorIteratorBaseEENKUlvE_clEvENKUlvE1_clEvEUlN3c107complexINS7_4HalfEEEE_EEvS4_RKT_EUlibE_EEviT1_,"axG",@progbits,_ZN2at6native32elementwise_kernel_manual_unrollILi128ELi4EZNS0_15gpu_kernel_implIZZZNS0_15exp_kernel_cudaERNS_18TensorIteratorBaseEENKUlvE_clEvENKUlvE1_clEvEUlN3c107complexINS7_4HalfEEEE_EEvS4_RKT_EUlibE_EEviT1_,comdat
	.globl	_ZN2at6native32elementwise_kernel_manual_unrollILi128ELi4EZNS0_15gpu_kernel_implIZZZNS0_15exp_kernel_cudaERNS_18TensorIteratorBaseEENKUlvE_clEvENKUlvE1_clEvEUlN3c107complexINS7_4HalfEEEE_EEvS4_RKT_EUlibE_EEviT1_ ; -- Begin function _ZN2at6native32elementwise_kernel_manual_unrollILi128ELi4EZNS0_15gpu_kernel_implIZZZNS0_15exp_kernel_cudaERNS_18TensorIteratorBaseEENKUlvE_clEvENKUlvE1_clEvEUlN3c107complexINS7_4HalfEEEE_EEvS4_RKT_EUlibE_EEviT1_
	.p2align	8
	.type	_ZN2at6native32elementwise_kernel_manual_unrollILi128ELi4EZNS0_15gpu_kernel_implIZZZNS0_15exp_kernel_cudaERNS_18TensorIteratorBaseEENKUlvE_clEvENKUlvE1_clEvEUlN3c107complexINS7_4HalfEEEE_EEvS4_RKT_EUlibE_EEviT1_,@function
_ZN2at6native32elementwise_kernel_manual_unrollILi128ELi4EZNS0_15gpu_kernel_implIZZZNS0_15exp_kernel_cudaERNS_18TensorIteratorBaseEENKUlvE_clEvENKUlvE1_clEvEUlN3c107complexINS7_4HalfEEEE_EEvS4_RKT_EUlibE_EEviT1_: ; @_ZN2at6native32elementwise_kernel_manual_unrollILi128ELi4EZNS0_15gpu_kernel_implIZZZNS0_15exp_kernel_cudaERNS_18TensorIteratorBaseEENKUlvE_clEvENKUlvE1_clEvEUlN3c107complexINS7_4HalfEEEE_EEvS4_RKT_EUlibE_EEviT1_
; %bb.0:
	v_mov_b32_e32 v1, 0
	global_load_ushort v1, v1, s[0:1] offset:33
	s_load_dwordx4 s[20:23], s[0:1], 0x8
	s_load_dwordx2 s[18:19], s[0:1], 0x18
	s_load_dword s49, s[0:1], 0x0
	v_lshl_or_b32 v21, s2, 9, v0
	v_or_b32_e32 v0, 0x180, v21
	s_mov_b64 s[24:25], 0
	s_mov_b64 s[28:29], 0
	s_waitcnt lgkmcnt(0)
	v_cmp_le_i32_e32 vcc, s49, v0
	s_mov_b32 s32, 0
	s_waitcnt vmcnt(0)
	v_readfirstlane_b32 s33, v1
	s_and_b32 s0, 0xffff, s33
	s_lshr_b32 s48, s0, 8
	s_and_saveexec_b64 s[0:1], vcc
	s_xor_b64 s[26:27], exec, s[0:1]
	s_cbranch_execz .LBB72_1045
; %bb.1:
	v_cmp_gt_i32_e32 vcc, s49, v21
	s_mov_b64 s[2:3], -1
	s_mov_b64 s[40:41], 0
	s_mov_b64 s[34:35], 0
	s_and_saveexec_b64 s[36:37], vcc
	s_cbranch_execz .LBB72_255
; %bb.2:
	v_mul_lo_u32 v0, v21, s19
	v_ashrrev_i32_e32 v1, 31, v0
	s_and_b32 s6, 0xffff, s48
	s_cmp_lt_i32 s6, 11
	v_lshl_add_u64 v[0:1], s[22:23], 0, v[0:1]
	s_cbranch_scc1 .LBB72_9
; %bb.3:
	s_cmp_gt_i32 s6, 25
	s_cbranch_scc0 .LBB72_18
; %bb.4:
	s_cmp_gt_i32 s6, 28
	s_cbranch_scc0 .LBB72_22
	;; [unrolled: 3-line block ×4, first 2 shown]
; %bb.7:
	s_cmp_eq_u32 s6, 46
	s_mov_b64 s[2:3], 0
	s_cbranch_scc0 .LBB72_27
; %bb.8:
	global_load_dword v2, v[0:1], off
	s_mov_b64 s[0:1], -1
	s_waitcnt vmcnt(0)
	v_and_b32_e32 v3, 0xffff0000, v2
	v_lshlrev_b32_e32 v2, 16, v2
	v_cvt_f16_f32_e32 v2, v2
	v_cvt_f16_f32_e32 v3, v3
	s_branch .LBB72_29
.LBB72_9:
                                        ; implicit-def: $vgpr3
                                        ; implicit-def: $vgpr2
	s_mov_b64 s[0:1], 0
	s_and_b64 vcc, exec, s[2:3]
	s_cbranch_vccnz .LBB72_204
.LBB72_10:
	s_andn2_b64 vcc, exec, s[0:1]
	s_cbranch_vccnz .LBB72_253
.LBB72_11:
	s_waitcnt vmcnt(0)
	v_cvt_f32_f16_e32 v0, v2
	v_cvt_f32_f16_e32 v1, v3
	s_getpc_b64 s[0:1]
	s_add_u32 s0, s0, _ZN16c10_complex_math3expIfEEN3c107complexIT_EERKS4_@rel32@lo+4
	s_addc_u32 s1, s1, _ZN16c10_complex_math3expIfEEN3c107complexIT_EERKS4_@rel32@hi+12
	s_swappc_b64 s[30:31], s[0:1]
	v_cvt_f16_f32_e32 v2, v1
	v_cvt_f16_f32_e32 v4, v0
	s_and_b32 s8, s33, 0xff
	s_cmp_lt_i32 s8, 11
	v_lshlrev_b32_e32 v0, 16, v2
	v_or_b32_e32 v5, v0, v4
	v_mul_lo_u32 v0, v21, s18
	v_ashrrev_i32_e32 v1, 31, v0
	v_lshl_add_u64 v[0:1], s[20:21], 0, v[0:1]
	s_cbranch_scc1 .LBB72_19
; %bb.12:
	s_and_b32 s9, 0xffff, s8
	s_cmp_gt_i32 s9, 25
	s_cbranch_scc0 .LBB72_23
; %bb.13:
	s_cmp_gt_i32 s9, 28
	s_cbranch_scc0 .LBB72_25
; %bb.14:
	;; [unrolled: 3-line block ×4, first 2 shown]
	s_mov_b64 s[4:5], 0
	s_mov_b64 s[0:1], -1
	s_cmp_eq_u32 s9, 46
	s_mov_b64 s[2:3], 0
	s_cbranch_scc0 .LBB72_33
; %bb.17:
	v_cvt_f32_f16_e32 v6, v2
	v_cvt_f32_f16_e32 v3, v4
	s_movk_i32 s0, 0x7fff
	v_cmp_o_f16_e32 vcc, v2, v2
	v_bfe_u32 v8, v6, 16, 1
	v_bfe_u32 v7, v3, 16, 1
	v_add3_u32 v6, v6, v8, s0
	v_add3_u32 v3, v3, v7, s0
	v_and_b32_e32 v6, 0xffff0000, v6
	v_mov_b32_e32 v7, 0x7fc00000
	v_cndmask_b32_e32 v6, v7, v6, vcc
	v_cmp_o_f16_e32 vcc, v4, v4
	v_mov_b32_e32 v7, 0x7fc0
	s_mov_b64 s[2:3], -1
	v_cndmask_b32_sdwa v3, v7, v3, vcc dst_sel:DWORD dst_unused:UNUSED_PAD src0_sel:DWORD src1_sel:WORD_1
	v_or_b32_e32 v3, v6, v3
	global_store_dword v[0:1], v3, off
	s_mov_b64 s[0:1], 0
	s_branch .LBB72_33
.LBB72_18:
	s_mov_b64 s[0:1], 0
                                        ; implicit-def: $vgpr3
                                        ; implicit-def: $vgpr2
	s_and_b64 vcc, exec, s[2:3]
	s_cbranch_vccnz .LBB72_169
	s_branch .LBB72_203
.LBB72_19:
	s_mov_b64 s[0:1], 0
	s_mov_b64 s[2:3], 0
	s_cbranch_execnz .LBB72_102
.LBB72_20:
	s_andn2_b64 vcc, exec, s[2:3]
	s_cbranch_vccnz .LBB72_140
.LBB72_21:
	v_add_u32_e32 v21, 0x80, v21
	s_mov_b64 s[2:3], -1
	s_branch .LBB72_254
.LBB72_22:
	s_mov_b64 s[0:1], 0
                                        ; implicit-def: $vgpr3
                                        ; implicit-def: $vgpr2
	s_branch .LBB72_150
.LBB72_23:
	s_mov_b64 s[4:5], -1
	s_mov_b64 s[0:1], 0
	s_mov_b64 s[2:3], 0
	s_branch .LBB72_60
.LBB72_24:
	s_mov_b64 s[0:1], 0
                                        ; implicit-def: $vgpr3
                                        ; implicit-def: $vgpr2
	s_branch .LBB72_144
.LBB72_25:
	s_mov_b64 s[4:5], -1
	s_mov_b64 s[0:1], 0
	s_mov_b64 s[2:3], 0
	s_branch .LBB72_43
.LBB72_26:
	s_mov_b64 s[4:5], -1
	s_mov_b64 s[0:1], 0
	s_mov_b64 s[2:3], 0
	s_branch .LBB72_39
.LBB72_27:
	s_mov_b64 s[34:35], -1
.LBB72_28:
	s_mov_b64 s[0:1], 0
                                        ; implicit-def: $vgpr3
                                        ; implicit-def: $vgpr2
.LBB72_29:
	s_and_b64 vcc, exec, s[2:3]
	s_cbranch_vccz .LBB72_143
; %bb.30:
	s_cmp_eq_u32 s6, 44
	s_cbranch_scc0 .LBB72_141
; %bb.31:
	global_load_ubyte v2, v[0:1], off
	s_movk_i32 s2, 0xff
	v_mov_b32_e32 v4, 0x7e00
	s_mov_b64 s[0:1], -1
	s_mov_b64 s[34:35], 0
	s_waitcnt vmcnt(0)
	v_lshlrev_b32_e32 v3, 23, v2
	v_cvt_f16_f32_e32 v3, v3
	v_cmp_ne_u32_e32 vcc, s2, v2
	s_nop 1
	v_cndmask_b32_e32 v3, v4, v3, vcc
	v_cmp_ne_u32_e32 vcc, 0, v2
	s_nop 1
	v_cndmask_b32_e32 v2, 0, v3, vcc
	s_branch .LBB72_142
.LBB72_32:
	s_mov_b64 s[4:5], -1
	s_mov_b64 s[0:1], 0
	s_mov_b64 s[2:3], 0
.LBB72_33:
	s_and_b64 vcc, exec, s[4:5]
	s_cbranch_vccz .LBB72_38
; %bb.34:
	s_cmp_eq_u32 s9, 44
	s_mov_b64 s[0:1], -1
	s_cbranch_scc0 .LBB72_38
; %bb.35:
	v_cvt_f32_f16_e32 v3, v4
	s_movk_i32 s0, 0xff
	v_mov_b32_e32 v7, 0xff
	v_bfe_u32 v6, v3, 23, 8
	v_cmp_ne_u32_e32 vcc, s0, v6
	s_and_saveexec_b64 s[2:3], vcc
; %bb.36:
	s_mov_b32 s0, 0x3fffff
	v_lshrrev_b32_e32 v7, 23, v3
	v_and_b32_e32 v8, 0x400000, v3
	v_and_or_b32 v3, v3, s0, v6
	v_cmp_ne_u32_e32 vcc, 0, v8
	v_cmp_ne_u32_e64 s[0:1], 0, v3
	s_and_b64 s[0:1], vcc, s[0:1]
	s_nop 0
	v_cndmask_b32_e64 v3, 0, 1, s[0:1]
	v_add_u32_e32 v7, v7, v3
; %bb.37:
	s_or_b64 exec, exec, s[2:3]
	s_mov_b64 s[2:3], -1
	s_mov_b64 s[0:1], 0
	global_store_byte v[0:1], v7, off
.LBB72_38:
	s_mov_b64 s[4:5], 0
.LBB72_39:
	s_and_b64 vcc, exec, s[4:5]
	s_cbranch_vccz .LBB72_42
; %bb.40:
	s_cmp_eq_u32 s9, 29
	s_mov_b64 s[0:1], -1
	s_cbranch_scc0 .LBB72_42
; %bb.41:
	v_cvt_f32_f16_e32 v3, v4
	v_mov_b32_e32 v7, 0
	s_mov_b64 s[2:3], -1
	s_mov_b64 s[0:1], 0
	v_cvt_u32_f32_e32 v6, v3
	s_mov_b64 s[4:5], 0
	global_store_dwordx2 v[0:1], v[6:7], off
	s_branch .LBB72_43
.LBB72_42:
	s_mov_b64 s[4:5], 0
.LBB72_43:
	s_and_b64 vcc, exec, s[4:5]
	s_cbranch_vccz .LBB72_59
; %bb.44:
	s_cmp_lt_i32 s9, 27
	s_mov_b64 s[2:3], -1
	s_cbranch_scc1 .LBB72_50
; %bb.45:
	s_cmp_gt_i32 s9, 27
	s_cbranch_scc0 .LBB72_47
; %bb.46:
	v_cvt_f32_f16_e32 v3, v4
	s_mov_b64 s[2:3], 0
	v_cvt_u32_f32_e32 v3, v3
	global_store_dword v[0:1], v3, off
.LBB72_47:
	s_andn2_b64 vcc, exec, s[2:3]
	s_cbranch_vccnz .LBB72_49
; %bb.48:
	v_cvt_u16_f16_e32 v3, v4
	global_store_short v[0:1], v3, off
.LBB72_49:
	s_mov_b64 s[2:3], 0
.LBB72_50:
	s_andn2_b64 vcc, exec, s[2:3]
	s_cbranch_vccnz .LBB72_58
; %bb.51:
	v_cvt_f32_f16_e32 v3, v4
	s_mov_b32 s2, 0x43800000
	v_mov_b32_e32 v7, 0x80
	v_and_b32_e32 v6, 0x7fffffff, v3
	v_cmp_gt_u32_e32 vcc, s2, v6
	s_and_saveexec_b64 s[2:3], vcc
	s_cbranch_execz .LBB72_57
; %bb.52:
	s_mov_b32 s4, 0x3bffffff
	v_cmp_lt_u32_e32 vcc, s4, v6
	s_mov_b64 s[4:5], 0
                                        ; implicit-def: $vgpr6
	s_and_saveexec_b64 s[6:7], vcc
	s_xor_b64 s[6:7], exec, s[6:7]
	s_cbranch_execz .LBB72_282
; %bb.53:
	v_bfe_u32 v6, v3, 20, 1
	s_mov_b32 s10, 0x487ffff
	v_add3_u32 v6, v3, v6, s10
	s_mov_b64 s[4:5], exec
	v_lshrrev_b32_e32 v6, 20, v6
	s_andn2_saveexec_b64 s[6:7], s[6:7]
	s_cbranch_execnz .LBB72_283
.LBB72_54:
	s_or_b64 exec, exec, s[6:7]
	v_mov_b32_e32 v7, 0
	s_and_saveexec_b64 s[6:7], s[4:5]
.LBB72_55:
	v_lshrrev_b32_e32 v3, 24, v3
	s_movk_i32 s4, 0x80
	v_and_or_b32 v7, v3, s4, v6
.LBB72_56:
	s_or_b64 exec, exec, s[6:7]
.LBB72_57:
	s_or_b64 exec, exec, s[2:3]
	global_store_byte v[0:1], v7, off
.LBB72_58:
	s_mov_b64 s[2:3], -1
.LBB72_59:
	s_mov_b64 s[4:5], 0
.LBB72_60:
	s_and_b64 vcc, exec, s[4:5]
	s_cbranch_vccz .LBB72_101
; %bb.61:
	s_cmp_gt_i32 s9, 22
	s_mov_b64 s[4:5], -1
	s_cbranch_scc0 .LBB72_93
; %bb.62:
	s_cmp_lt_i32 s9, 24
	s_mov_b64 s[2:3], -1
	s_cbranch_scc1 .LBB72_82
; %bb.63:
	s_cmp_gt_i32 s9, 24
	s_cbranch_scc0 .LBB72_71
; %bb.64:
	v_cvt_f32_f16_e32 v3, v4
	s_mov_b32 s2, 0x47800000
	v_mov_b32_e32 v7, 0x80
	v_and_b32_e32 v6, 0x7fffffff, v3
	v_cmp_gt_u32_e32 vcc, s2, v6
	s_and_saveexec_b64 s[2:3], vcc
	s_cbranch_execz .LBB72_70
; %bb.65:
	s_mov_b32 s4, 0x37ffffff
	v_cmp_lt_u32_e32 vcc, s4, v6
	s_mov_b64 s[4:5], 0
                                        ; implicit-def: $vgpr6
	s_and_saveexec_b64 s[6:7], vcc
	s_xor_b64 s[6:7], exec, s[6:7]
	s_cbranch_execz .LBB72_286
; %bb.66:
	v_bfe_u32 v6, v3, 21, 1
	s_mov_b32 s10, 0x88fffff
	v_add3_u32 v6, v3, v6, s10
	s_mov_b64 s[4:5], exec
	v_lshrrev_b32_e32 v6, 21, v6
	s_andn2_saveexec_b64 s[6:7], s[6:7]
	s_cbranch_execnz .LBB72_287
.LBB72_67:
	s_or_b64 exec, exec, s[6:7]
	v_mov_b32_e32 v7, 0
	s_and_saveexec_b64 s[6:7], s[4:5]
.LBB72_68:
	v_lshrrev_b32_e32 v3, 24, v3
	s_movk_i32 s4, 0x80
	v_and_or_b32 v7, v3, s4, v6
.LBB72_69:
	s_or_b64 exec, exec, s[6:7]
.LBB72_70:
	s_or_b64 exec, exec, s[2:3]
	s_mov_b64 s[2:3], 0
	global_store_byte v[0:1], v7, off
.LBB72_71:
	s_and_b64 vcc, exec, s[2:3]
	s_cbranch_vccz .LBB72_81
; %bb.72:
	v_cvt_f32_f16_e32 v3, v4
	s_mov_b32 s2, 0x43f00000
                                        ; implicit-def: $vgpr6
	v_and_b32_e32 v7, 0x7fffffff, v3
	v_cmp_gt_u32_e32 vcc, s2, v7
	s_and_saveexec_b64 s[2:3], vcc
	s_xor_b64 s[2:3], exec, s[2:3]
	s_cbranch_execz .LBB72_78
; %bb.73:
	s_mov_b32 s4, 0x3c7fffff
	v_cmp_lt_u32_e32 vcc, s4, v7
                                        ; implicit-def: $vgpr6
	s_and_saveexec_b64 s[4:5], vcc
	s_xor_b64 s[4:5], exec, s[4:5]
; %bb.74:
	v_bfe_u32 v6, v3, 20, 1
	s_mov_b32 s6, 0x407ffff
	v_add3_u32 v6, v3, v6, s6
	v_lshrrev_b32_e32 v7, 20, v6
	v_and_b32_e32 v6, 0xff00000, v6
	s_mov_b32 s6, 0x7f00000
	v_mov_b32_e32 v8, 0x7e
	v_cmp_ne_u32_e32 vcc, s6, v6
	s_nop 1
	v_cndmask_b32_e32 v6, v8, v7, vcc
; %bb.75:
	s_andn2_saveexec_b64 s[4:5], s[4:5]
; %bb.76:
	s_mov_b32 s6, 0x46800000
	v_add_f32_e64 v6, |v3|, s6
; %bb.77:
	s_or_b64 exec, exec, s[4:5]
                                        ; implicit-def: $vgpr7
.LBB72_78:
	s_andn2_saveexec_b64 s[2:3], s[2:3]
; %bb.79:
	s_mov_b32 s4, 0x7f800000
	v_mov_b32_e32 v6, 0x7e
	v_mov_b32_e32 v8, 0x7f
	v_cmp_lt_u32_e32 vcc, s4, v7
	s_nop 1
	v_cndmask_b32_e32 v6, v6, v8, vcc
; %bb.80:
	s_or_b64 exec, exec, s[2:3]
	v_lshrrev_b32_e32 v3, 24, v3
	s_movk_i32 s2, 0x80
	v_and_or_b32 v3, v3, s2, v6
	global_store_byte v[0:1], v3, off
.LBB72_81:
	s_mov_b64 s[2:3], 0
.LBB72_82:
	s_andn2_b64 vcc, exec, s[2:3]
	s_cbranch_vccnz .LBB72_92
; %bb.83:
	v_cvt_f32_f16_e32 v3, v4
	s_mov_b32 s2, 0x47800000
                                        ; implicit-def: $vgpr6
	v_and_b32_e32 v7, 0x7fffffff, v3
	v_cmp_gt_u32_e32 vcc, s2, v7
	s_and_saveexec_b64 s[2:3], vcc
	s_xor_b64 s[2:3], exec, s[2:3]
	s_cbranch_execz .LBB72_89
; %bb.84:
	s_mov_b32 s4, 0x387fffff
	v_cmp_lt_u32_e32 vcc, s4, v7
                                        ; implicit-def: $vgpr6
	s_and_saveexec_b64 s[4:5], vcc
	s_xor_b64 s[4:5], exec, s[4:5]
; %bb.85:
	v_bfe_u32 v6, v3, 21, 1
	s_mov_b32 s6, 0x80fffff
	v_add3_u32 v6, v3, v6, s6
	v_lshrrev_b32_e32 v6, 21, v6
; %bb.86:
	s_andn2_saveexec_b64 s[4:5], s[4:5]
; %bb.87:
	s_mov_b32 s6, 0x43000000
	v_add_f32_e64 v6, |v3|, s6
; %bb.88:
	s_or_b64 exec, exec, s[4:5]
                                        ; implicit-def: $vgpr7
.LBB72_89:
	s_andn2_saveexec_b64 s[2:3], s[2:3]
; %bb.90:
	s_mov_b32 s4, 0x7f800000
	v_mov_b32_e32 v6, 0x7c
	v_mov_b32_e32 v8, 0x7f
	v_cmp_lt_u32_e32 vcc, s4, v7
	s_nop 1
	v_cndmask_b32_e32 v6, v6, v8, vcc
; %bb.91:
	s_or_b64 exec, exec, s[2:3]
	v_lshrrev_b32_e32 v3, 24, v3
	s_movk_i32 s2, 0x80
	v_and_or_b32 v3, v3, s2, v6
	global_store_byte v[0:1], v3, off
.LBB72_92:
	s_mov_b64 s[4:5], 0
	s_mov_b64 s[2:3], -1
.LBB72_93:
	s_andn2_b64 vcc, exec, s[4:5]
	s_cbranch_vccnz .LBB72_101
; %bb.94:
	s_cmp_gt_i32 s9, 14
	s_mov_b64 s[4:5], -1
	s_cbranch_scc0 .LBB72_98
; %bb.95:
	s_cmp_eq_u32 s9, 15
	s_mov_b64 s[0:1], -1
	s_cbranch_scc0 .LBB72_97
; %bb.96:
	v_cvt_f32_f16_e32 v3, v4
	s_movk_i32 s0, 0x7fff
	v_cmp_o_f16_e32 vcc, v4, v4
	v_mov_b32_e32 v6, 0x7fc0
	v_bfe_u32 v7, v3, 16, 1
	v_add3_u32 v3, v3, v7, s0
	v_cndmask_b32_sdwa v3, v6, v3, vcc dst_sel:DWORD dst_unused:UNUSED_PAD src0_sel:DWORD src1_sel:WORD_1
	global_store_short v[0:1], v3, off
	s_mov_b64 s[2:3], -1
	s_mov_b64 s[0:1], 0
.LBB72_97:
	s_mov_b64 s[4:5], 0
.LBB72_98:
	s_and_b64 vcc, exec, s[4:5]
	s_cbranch_vccz .LBB72_101
; %bb.99:
	s_cmp_eq_u32 s9, 11
	s_mov_b64 s[0:1], -1
	s_cbranch_scc0 .LBB72_101
; %bb.100:
	v_and_b32_e32 v3, 0x7fff7fff, v5
	v_cmp_ne_u32_e32 vcc, 0, v3
	s_mov_b64 s[2:3], -1
	s_mov_b64 s[0:1], 0
	v_cndmask_b32_e64 v3, 0, 1, vcc
	global_store_byte v[0:1], v3, off
.LBB72_101:
	s_branch .LBB72_20
.LBB72_102:
	s_and_b32 s4, 0xffff, s8
	s_cmp_lt_i32 s4, 5
	s_mov_b64 s[2:3], -1
	s_cbranch_scc1 .LBB72_123
; %bb.103:
	s_cmp_lt_i32 s4, 8
	s_cbranch_scc1 .LBB72_113
; %bb.104:
	s_cmp_lt_i32 s4, 9
	s_cbranch_scc1 .LBB72_110
; %bb.105:
	v_cvt_f32_f16_e32 v3, v2
	s_cmp_gt_i32 s4, 9
	s_cbranch_scc0 .LBB72_107
; %bb.106:
	v_cvt_f32_f16_e32 v2, v4
	v_cvt_f64_f32_e32 v[8:9], v3
	s_mov_b64 s[2:3], 0
	v_cvt_f64_f32_e32 v[6:7], v2
	global_store_dwordx4 v[0:1], v[6:9], off
.LBB72_107:
	s_andn2_b64 vcc, exec, s[2:3]
	s_cbranch_vccnz .LBB72_109
; %bb.108:
	v_cvt_f32_f16_e32 v2, v4
	global_store_dwordx2 v[0:1], v[2:3], off
.LBB72_109:
	s_mov_b64 s[2:3], 0
.LBB72_110:
	s_andn2_b64 vcc, exec, s[2:3]
	s_cbranch_vccnz .LBB72_112
; %bb.111:
	global_store_dword v[0:1], v5, off
.LBB72_112:
	s_mov_b64 s[2:3], 0
.LBB72_113:
	s_andn2_b64 vcc, exec, s[2:3]
	s_cbranch_vccnz .LBB72_122
; %bb.114:
	s_cmp_lt_i32 s4, 6
	s_mov_b64 s[2:3], -1
	s_cbranch_scc1 .LBB72_120
; %bb.115:
	s_cmp_gt_i32 s4, 6
	s_cbranch_scc0 .LBB72_117
; %bb.116:
	v_cvt_f32_f16_e32 v2, v4
	s_mov_b64 s[2:3], 0
	v_cvt_f64_f32_e32 v[2:3], v2
	global_store_dwordx2 v[0:1], v[2:3], off
.LBB72_117:
	s_andn2_b64 vcc, exec, s[2:3]
	s_cbranch_vccnz .LBB72_119
; %bb.118:
	v_cvt_f32_f16_e32 v2, v4
	global_store_dword v[0:1], v2, off
.LBB72_119:
	s_mov_b64 s[2:3], 0
.LBB72_120:
	s_andn2_b64 vcc, exec, s[2:3]
	s_cbranch_vccnz .LBB72_122
; %bb.121:
	global_store_short v[0:1], v4, off
.LBB72_122:
	s_mov_b64 s[2:3], 0
.LBB72_123:
	s_andn2_b64 vcc, exec, s[2:3]
	s_cbranch_vccnz .LBB72_139
; %bb.124:
	s_cmp_lt_i32 s4, 2
	s_mov_b64 s[2:3], -1
	s_cbranch_scc1 .LBB72_134
; %bb.125:
	s_cmp_lt_i32 s4, 3
	s_cbranch_scc1 .LBB72_131
; %bb.126:
	s_cmp_gt_i32 s4, 3
	s_cbranch_scc0 .LBB72_128
; %bb.127:
	v_cvt_f32_f16_e32 v2, v4
	s_mov_b64 s[2:3], 0
	v_cvt_i32_f32_e32 v2, v2
	v_ashrrev_i32_e32 v3, 31, v2
	global_store_dwordx2 v[0:1], v[2:3], off
.LBB72_128:
	s_andn2_b64 vcc, exec, s[2:3]
	s_cbranch_vccnz .LBB72_130
; %bb.129:
	v_cvt_f32_f16_e32 v2, v4
	v_cvt_i32_f32_e32 v2, v2
	global_store_dword v[0:1], v2, off
.LBB72_130:
	s_mov_b64 s[2:3], 0
.LBB72_131:
	s_andn2_b64 vcc, exec, s[2:3]
	s_cbranch_vccnz .LBB72_133
; %bb.132:
	v_cvt_i16_f16_e32 v2, v4
	global_store_short v[0:1], v2, off
.LBB72_133:
	s_mov_b64 s[2:3], 0
.LBB72_134:
	s_andn2_b64 vcc, exec, s[2:3]
	s_cbranch_vccnz .LBB72_139
; %bb.135:
	s_cmp_gt_i32 s4, 0
	s_mov_b64 s[2:3], -1
	s_cbranch_scc0 .LBB72_137
; %bb.136:
	v_cvt_i16_f16_e32 v2, v4
	global_store_byte v[0:1], v2, off
	s_mov_b64 s[2:3], 0
.LBB72_137:
	s_andn2_b64 vcc, exec, s[2:3]
	s_cbranch_vccnz .LBB72_139
; %bb.138:
	v_cvt_f32_f16_e32 v2, v4
	v_cvt_i32_f32_e32 v2, v2
	global_store_byte v[0:1], v2, off
.LBB72_139:
	s_branch .LBB72_21
.LBB72_140:
	s_mov_b64 s[2:3], 0
                                        ; implicit-def: $vgpr21
	s_branch .LBB72_254
.LBB72_141:
	s_mov_b64 s[34:35], -1
                                        ; implicit-def: $vgpr2
.LBB72_142:
	v_mov_b32_e32 v3, 0
.LBB72_143:
	s_mov_b64 s[2:3], 0
.LBB72_144:
	s_and_b64 vcc, exec, s[2:3]
	s_cbranch_vccz .LBB72_149
; %bb.145:
	s_cmp_eq_u32 s6, 29
	s_cbranch_scc0 .LBB72_147
; %bb.146:
	global_load_dwordx2 v[2:3], v[0:1], off
	s_mov_b64 s[0:1], -1
	s_mov_b64 s[34:35], 0
	s_waitcnt vmcnt(0)
	v_ffbh_u32_e32 v4, v3
	v_min_u32_e32 v4, 32, v4
	v_lshlrev_b64 v[2:3], v4, v[2:3]
	v_min_u32_e32 v2, 1, v2
	v_or_b32_e32 v2, v3, v2
	v_cvt_f32_u32_e32 v2, v2
	v_sub_u32_e32 v3, 32, v4
	v_ldexp_f32 v2, v2, v3
	v_cvt_f16_f32_e32 v2, v2
	s_branch .LBB72_148
.LBB72_147:
	s_mov_b64 s[34:35], -1
                                        ; implicit-def: $vgpr2
.LBB72_148:
	v_mov_b32_e32 v3, 0
.LBB72_149:
	s_mov_b64 s[2:3], 0
.LBB72_150:
	s_and_b64 vcc, exec, s[2:3]
	s_cbranch_vccz .LBB72_168
; %bb.151:
	s_cmp_lt_i32 s6, 27
	s_cbranch_scc1 .LBB72_154
; %bb.152:
	s_cmp_gt_i32 s6, 27
	s_cbranch_scc0 .LBB72_155
; %bb.153:
	global_load_dword v2, v[0:1], off
	s_mov_b64 s[0:1], 0
	s_waitcnt vmcnt(0)
	v_cvt_f32_u32_e32 v2, v2
	v_cvt_f16_f32_e32 v2, v2
	s_branch .LBB72_156
.LBB72_154:
	s_mov_b64 s[0:1], -1
                                        ; implicit-def: $vgpr2
	s_branch .LBB72_159
.LBB72_155:
	s_mov_b64 s[0:1], -1
                                        ; implicit-def: $vgpr2
.LBB72_156:
	s_andn2_b64 vcc, exec, s[0:1]
	s_cbranch_vccnz .LBB72_158
; %bb.157:
	global_load_ushort v2, v[0:1], off
	s_waitcnt vmcnt(0)
	v_cvt_f16_u16_e32 v2, v2
.LBB72_158:
	s_mov_b64 s[0:1], 0
.LBB72_159:
	s_andn2_b64 vcc, exec, s[0:1]
	s_cbranch_vccnz .LBB72_167
; %bb.160:
	global_load_ubyte v3, v[0:1], off
	s_movk_i32 s0, 0x7f
	s_waitcnt vmcnt(0)
	v_cmp_lt_i16_e32 vcc, s0, v3
	s_mov_b64 s[0:1], 0
	s_and_saveexec_b64 s[2:3], vcc
	s_xor_b64 s[2:3], exec, s[2:3]
	s_cbranch_execz .LBB72_180
; %bb.161:
	s_movk_i32 s0, 0x80
	v_cmp_eq_u16_e32 vcc, s0, v3
	s_mov_b64 s[0:1], -1
	s_and_saveexec_b64 s[4:5], vcc
; %bb.162:
	s_xor_b64 s[0:1], exec, -1
; %bb.163:
	s_or_b64 exec, exec, s[4:5]
	s_and_b64 s[0:1], s[0:1], exec
	s_or_saveexec_b64 s[2:3], s[2:3]
	v_mov_b32_e32 v2, 0x7e00
	s_xor_b64 exec, exec, s[2:3]
	s_cbranch_execnz .LBB72_181
.LBB72_164:
	s_or_b64 exec, exec, s[2:3]
	s_and_saveexec_b64 s[2:3], s[0:1]
	s_cbranch_execz .LBB72_166
.LBB72_165:
	v_lshlrev_b32_e32 v2, 24, v3
	v_and_b32_e32 v3, 0xffff, v3
	v_and_b32_e32 v4, 7, v3
	v_ffbh_u32_e32 v6, v4
	v_min_u32_e32 v6, 32, v6
	v_subrev_u32_e32 v7, 28, v6
	v_bfe_u32 v5, v3, 3, 4
	v_lshlrev_b32_e32 v3, v7, v3
	v_sub_u32_e32 v6, 29, v6
	v_and_b32_e32 v3, 7, v3
	v_cmp_eq_u32_e32 vcc, 0, v5
	v_and_b32_e32 v2, 0x80000000, v2
	s_nop 0
	v_cndmask_b32_e32 v5, v5, v6, vcc
	v_cndmask_b32_e32 v3, v4, v3, vcc
	v_mov_b32_e32 v4, 0x3b800000
	v_lshlrev_b32_e32 v3, 20, v3
	v_lshl_add_u32 v4, v5, 23, v4
	v_or3_b32 v2, v2, v4, v3
	v_cvt_f16_f32_e32 v2, v2
.LBB72_166:
	s_or_b64 exec, exec, s[2:3]
.LBB72_167:
	s_mov_b64 s[0:1], -1
	v_mov_b32_e32 v3, 0
.LBB72_168:
	s_branch .LBB72_203
.LBB72_169:
	s_cmp_gt_i32 s6, 22
	s_cbranch_scc0 .LBB72_179
; %bb.170:
	s_cmp_lt_i32 s6, 24
	s_cbranch_scc1 .LBB72_182
; %bb.171:
	s_cmp_gt_i32 s6, 24
	s_cbranch_scc0 .LBB72_183
; %bb.172:
	global_load_ubyte v3, v[0:1], off
	s_movk_i32 s0, 0x7f
	s_waitcnt vmcnt(0)
	v_cmp_lt_i16_e32 vcc, s0, v3
	s_mov_b64 s[0:1], 0
	s_and_saveexec_b64 s[2:3], vcc
	s_xor_b64 s[2:3], exec, s[2:3]
	s_cbranch_execz .LBB72_194
; %bb.173:
	s_movk_i32 s0, 0x80
	v_cmp_eq_u16_e32 vcc, s0, v3
	s_mov_b64 s[0:1], -1
	s_and_saveexec_b64 s[4:5], vcc
; %bb.174:
	s_xor_b64 s[0:1], exec, -1
; %bb.175:
	s_or_b64 exec, exec, s[4:5]
	s_and_b64 s[0:1], s[0:1], exec
	s_or_saveexec_b64 s[2:3], s[2:3]
	v_mov_b32_e32 v2, 0x7e00
	s_xor_b64 exec, exec, s[2:3]
	s_cbranch_execnz .LBB72_195
.LBB72_176:
	s_or_b64 exec, exec, s[2:3]
	s_and_saveexec_b64 s[2:3], s[0:1]
	s_cbranch_execz .LBB72_178
.LBB72_177:
	v_lshlrev_b32_e32 v2, 24, v3
	v_and_b32_e32 v3, 0xffff, v3
	v_and_b32_e32 v4, 3, v3
	v_ffbh_u32_e32 v6, v4
	v_min_u32_e32 v6, 32, v6
	v_subrev_u32_e32 v7, 29, v6
	v_bfe_u32 v5, v3, 2, 5
	v_lshlrev_b32_e32 v3, v7, v3
	v_sub_u32_e32 v6, 30, v6
	v_and_b32_e32 v3, 3, v3
	v_cmp_eq_u32_e32 vcc, 0, v5
	v_and_b32_e32 v2, 0x80000000, v2
	s_nop 0
	v_cndmask_b32_e32 v5, v5, v6, vcc
	v_cndmask_b32_e32 v3, v4, v3, vcc
	v_mov_b32_e32 v4, 0x37800000
	v_lshlrev_b32_e32 v3, 21, v3
	v_lshl_add_u32 v4, v5, 23, v4
	v_or3_b32 v2, v2, v4, v3
	v_cvt_f16_f32_e32 v2, v2
.LBB72_178:
	s_or_b64 exec, exec, s[2:3]
	s_mov_b64 s[0:1], 0
	s_branch .LBB72_184
.LBB72_179:
                                        ; implicit-def: $vgpr2
	s_branch .LBB72_190
.LBB72_180:
	s_or_saveexec_b64 s[2:3], s[2:3]
	v_mov_b32_e32 v2, 0x7e00
	s_xor_b64 exec, exec, s[2:3]
	s_cbranch_execz .LBB72_164
.LBB72_181:
	v_cmp_ne_u16_e32 vcc, 0, v3
	s_andn2_b64 s[0:1], s[0:1], exec
	s_and_b64 s[4:5], vcc, exec
	s_or_b64 s[0:1], s[0:1], s[4:5]
	v_mov_b32_e32 v2, v3
	s_or_b64 exec, exec, s[2:3]
	s_and_saveexec_b64 s[2:3], s[0:1]
	s_cbranch_execnz .LBB72_165
	s_branch .LBB72_166
.LBB72_182:
	s_mov_b64 s[0:1], -1
                                        ; implicit-def: $vgpr2
	s_branch .LBB72_187
.LBB72_183:
	s_mov_b64 s[0:1], -1
                                        ; implicit-def: $vgpr2
.LBB72_184:
	s_and_b64 vcc, exec, s[0:1]
	s_cbranch_vccz .LBB72_186
; %bb.185:
	global_load_ubyte v2, v[0:1], off
	s_mov_b32 s0, 0x7f800000
	s_waitcnt vmcnt(0)
	v_lshlrev_b32_e32 v2, 24, v2
	v_and_b32_e32 v3, 0x7f000000, v2
	v_ffbh_u32_e32 v4, v3
	v_min_u32_e32 v4, 32, v4
	v_sub_u32_e64 v4, v4, 4 clamp
	v_lshlrev_b32_e32 v6, v4, v3
	v_lshlrev_b32_e32 v4, 23, v4
	v_lshrrev_b32_e32 v6, 4, v6
	v_add_u32_e32 v5, 0x1000000, v3
	v_sub_u32_e32 v4, v6, v4
	v_ashrrev_i32_e32 v5, 8, v5
	v_add_u32_e32 v4, 0x3c000000, v4
	v_and_or_b32 v4, v5, s0, v4
	v_cmp_ne_u32_e32 vcc, 0, v3
	s_brev_b32 s0, 1
	s_nop 0
	v_cndmask_b32_e32 v3, 0, v4, vcc
	v_and_or_b32 v2, v2, s0, v3
	v_cvt_f16_f32_e32 v2, v2
.LBB72_186:
	s_mov_b64 s[0:1], 0
.LBB72_187:
	s_andn2_b64 vcc, exec, s[0:1]
	s_cbranch_vccnz .LBB72_189
; %bb.188:
	global_load_ubyte v2, v[0:1], off
	s_movk_i32 s0, 0x7f00
	s_brev_b32 s1, 16
	s_waitcnt vmcnt(0)
	v_lshlrev_b16_e32 v3, 8, v2
	v_lshlrev_b32_e32 v2, 25, v2
	v_lshrrev_b32_e32 v4, 4, v2
	v_and_or_b32 v5, v3, s0, 0.5
	v_or_b32_e32 v4, 0x70000000, v4
	v_add_f32_e32 v5, -0.5, v5
	v_mul_f32_e32 v4, 0x7800000, v4
	v_cmp_gt_u32_e32 vcc, s1, v2
	v_bfe_i32 v3, v3, 0, 16
	s_brev_b32 s0, 1
	v_cndmask_b32_e32 v2, v4, v5, vcc
	v_and_or_b32 v2, v3, s0, v2
	v_cvt_f16_f32_e32 v2, v2
.LBB72_189:
	s_mov_b64 s[0:1], -1
	s_cbranch_execnz .LBB72_202
.LBB72_190:
	s_cmp_gt_i32 s6, 14
	s_cbranch_scc0 .LBB72_193
; %bb.191:
	s_cmp_eq_u32 s6, 15
	s_cbranch_scc0 .LBB72_196
; %bb.192:
	global_load_ushort v2, v[0:1], off
	s_mov_b64 s[0:1], -1
	s_mov_b64 s[34:35], 0
	s_waitcnt vmcnt(0)
	v_lshlrev_b32_e32 v2, 16, v2
	v_cvt_f16_f32_e32 v2, v2
	s_branch .LBB72_197
.LBB72_193:
	s_mov_b64 s[2:3], -1
                                        ; implicit-def: $vgpr2
	s_branch .LBB72_198
.LBB72_194:
	s_or_saveexec_b64 s[2:3], s[2:3]
	v_mov_b32_e32 v2, 0x7e00
	s_xor_b64 exec, exec, s[2:3]
	s_cbranch_execz .LBB72_176
.LBB72_195:
	v_cmp_ne_u16_e32 vcc, 0, v3
	s_andn2_b64 s[0:1], s[0:1], exec
	s_and_b64 s[4:5], vcc, exec
	s_or_b64 s[0:1], s[0:1], s[4:5]
	v_mov_b32_e32 v2, v3
	s_or_b64 exec, exec, s[2:3]
	s_and_saveexec_b64 s[2:3], s[0:1]
	s_cbranch_execnz .LBB72_177
	s_branch .LBB72_178
.LBB72_196:
	s_mov_b64 s[34:35], -1
                                        ; implicit-def: $vgpr2
.LBB72_197:
	s_mov_b64 s[2:3], 0
.LBB72_198:
	s_and_b64 vcc, exec, s[2:3]
	s_cbranch_vccz .LBB72_202
; %bb.199:
	s_cmp_eq_u32 s6, 11
	s_cbranch_scc0 .LBB72_201
; %bb.200:
	global_load_ubyte v2, v[0:1], off
	v_mov_b32_e32 v3, 0x3c00
	s_mov_b64 s[0:1], -1
	s_mov_b64 s[34:35], 0
	s_waitcnt vmcnt(0)
	v_cmp_ne_u16_e32 vcc, 0, v2
	s_nop 1
	v_cndmask_b32_e32 v2, 0, v3, vcc
	s_branch .LBB72_202
.LBB72_201:
	s_mov_b64 s[34:35], -1
                                        ; implicit-def: $vgpr2
.LBB72_202:
	v_mov_b32_e32 v3, 0
.LBB72_203:
	s_branch .LBB72_10
.LBB72_204:
	s_cmp_lt_i32 s6, 5
	s_cbranch_scc1 .LBB72_209
; %bb.205:
	s_cmp_lt_i32 s6, 8
	s_cbranch_scc1 .LBB72_210
; %bb.206:
	;; [unrolled: 3-line block ×3, first 2 shown]
	s_cmp_gt_i32 s6, 9
	s_cbranch_scc0 .LBB72_212
; %bb.208:
	global_load_dwordx4 v[2:5], v[0:1], off
	s_movk_i32 s0, 0x1ff
	s_movk_i32 s1, 0xffe
	v_mov_b32_e32 v6, 0x7c00
	v_mov_b32_e32 v7, 0x7e00
	s_movk_i32 s2, 0x40f
	s_mov_b32 s3, 0x8000
	s_waitcnt vmcnt(0)
	v_and_or_b32 v2, v3, s0, v2
	v_and_or_b32 v4, v5, s0, v4
	v_cmp_ne_u32_e32 vcc, 0, v2
	v_lshrrev_b32_e32 v8, 8, v3
	v_bfe_u32 v9, v3, 20, 11
	v_cndmask_b32_e64 v2, 0, 1, vcc
	v_cmp_ne_u32_e32 vcc, 0, v4
	v_lshrrev_b32_e32 v10, 8, v5
	v_bfe_u32 v11, v5, 20, 11
	v_cndmask_b32_e64 v4, 0, 1, vcc
	v_and_or_b32 v2, v8, s1, v2
	v_sub_u32_e32 v12, 0x3f1, v9
	v_add_u32_e32 v9, 0xfffffc10, v9
	v_sub_u32_e32 v13, 0x3f1, v11
	v_and_or_b32 v4, v10, s1, v4
	v_cmp_ne_u32_e32 vcc, 0, v2
	v_add_u32_e32 v11, 0xfffffc10, v11
	v_med3_i32 v8, v12, 0, 13
	v_med3_i32 v10, v13, 0, 13
	v_or_b32_e32 v12, 0x1000, v2
	v_lshl_or_b32 v13, v9, 12, v2
	v_cndmask_b32_e32 v2, v6, v7, vcc
	v_cmp_ne_u32_e32 vcc, 0, v4
	v_or_b32_e32 v14, 0x1000, v4
	v_lshl_or_b32 v15, v11, 12, v4
	v_cndmask_b32_e32 v4, v6, v7, vcc
	v_lshrrev_b32_e32 v7, v8, v12
	v_lshrrev_b32_e32 v16, v10, v14
	v_lshlrev_b32_e32 v8, v8, v7
	v_lshlrev_b32_e32 v10, v10, v16
	v_cmp_ne_u32_e32 vcc, v8, v12
	v_lshrrev_b32_e32 v3, 16, v3
	v_lshrrev_b32_e32 v5, 16, v5
	v_cndmask_b32_e64 v8, 0, 1, vcc
	v_cmp_ne_u32_e32 vcc, v10, v14
	v_or_b32_e32 v7, v7, v8
	s_mov_b64 s[0:1], 0
	v_cndmask_b32_e64 v10, 0, 1, vcc
	v_cmp_gt_i32_e32 vcc, 1, v9
	v_or_b32_e32 v8, v16, v10
	s_nop 0
	v_cndmask_b32_e32 v7, v13, v7, vcc
	v_cmp_gt_i32_e32 vcc, 1, v11
	v_and_b32_e32 v10, 7, v7
	v_lshrrev_b32_e32 v7, 2, v7
	v_cndmask_b32_e32 v8, v15, v8, vcc
	v_cmp_lt_i32_e32 vcc, 5, v10
	v_and_b32_e32 v12, 7, v8
	v_lshrrev_b32_e32 v8, 2, v8
	v_cndmask_b32_e64 v13, 0, 1, vcc
	v_cmp_eq_u32_e32 vcc, 3, v10
	s_nop 1
	v_cndmask_b32_e64 v10, 0, 1, vcc
	v_cmp_lt_i32_e32 vcc, 5, v12
	v_or_b32_e32 v10, v10, v13
	v_add_u32_e32 v7, v7, v10
	v_cndmask_b32_e64 v14, 0, 1, vcc
	v_cmp_eq_u32_e32 vcc, 3, v12
	s_nop 1
	v_cndmask_b32_e64 v12, 0, 1, vcc
	v_or_b32_e32 v12, v12, v14
	v_cmp_gt_i32_e32 vcc, 31, v9
	v_add_u32_e32 v8, v8, v12
	s_nop 0
	v_cndmask_b32_e32 v7, v6, v7, vcc
	v_cmp_gt_i32_e32 vcc, 31, v11
	s_nop 1
	v_cndmask_b32_e32 v6, v6, v8, vcc
	v_cmp_eq_u32_e32 vcc, s2, v9
	s_nop 1
	v_cndmask_b32_e32 v2, v7, v2, vcc
	v_cmp_eq_u32_e32 vcc, s2, v11
	v_and_or_b32 v2, v3, s3, v2
	s_nop 0
	v_cndmask_b32_e32 v4, v6, v4, vcc
	v_and_or_b32 v3, v5, s3, v4
	s_branch .LBB72_213
.LBB72_209:
                                        ; implicit-def: $vgpr3
                                        ; implicit-def: $vgpr2
	s_branch .LBB72_232
.LBB72_210:
	s_mov_b64 s[0:1], -1
                                        ; implicit-def: $vgpr3
                                        ; implicit-def: $vgpr2
	s_branch .LBB72_219
.LBB72_211:
	s_mov_b64 s[0:1], -1
                                        ; implicit-def: $vgpr3
                                        ; implicit-def: $vgpr2
	s_branch .LBB72_216
.LBB72_212:
	s_mov_b64 s[0:1], -1
                                        ; implicit-def: $vgpr3
                                        ; implicit-def: $vgpr2
.LBB72_213:
	s_andn2_b64 vcc, exec, s[0:1]
	s_cbranch_vccnz .LBB72_215
; %bb.214:
	global_load_dwordx2 v[2:3], v[0:1], off
	s_waitcnt vmcnt(0)
	v_cvt_f16_f32_e32 v2, v2
	v_cvt_f16_f32_e32 v3, v3
.LBB72_215:
	s_mov_b64 s[0:1], 0
.LBB72_216:
	s_andn2_b64 vcc, exec, s[0:1]
	s_cbranch_vccnz .LBB72_218
; %bb.217:
	global_load_dword v2, v[0:1], off
	s_waitcnt vmcnt(0)
	v_lshrrev_b32_e32 v3, 16, v2
.LBB72_218:
	s_mov_b64 s[0:1], 0
.LBB72_219:
	s_andn2_b64 vcc, exec, s[0:1]
	s_cbranch_vccnz .LBB72_231
; %bb.220:
	s_cmp_lt_i32 s6, 6
	s_cbranch_scc1 .LBB72_223
; %bb.221:
	s_cmp_gt_i32 s6, 6
	s_cbranch_scc0 .LBB72_224
; %bb.222:
	global_load_dwordx2 v[2:3], v[0:1], off
	s_movk_i32 s0, 0x1ff
	s_movk_i32 s1, 0xffe
	v_mov_b32_e32 v4, 0x7c00
	v_mov_b32_e32 v5, 0x7e00
	s_movk_i32 s2, 0x40f
	s_mov_b32 s3, 0x8000
	s_waitcnt vmcnt(0)
	v_and_or_b32 v2, v3, s0, v2
	v_cmp_ne_u32_e32 vcc, 0, v2
	v_lshrrev_b32_e32 v6, 8, v3
	v_bfe_u32 v7, v3, 20, 11
	v_cndmask_b32_e64 v2, 0, 1, vcc
	v_sub_u32_e32 v8, 0x3f1, v7
	v_and_or_b32 v2, v6, s1, v2
	v_add_u32_e32 v7, 0xfffffc10, v7
	v_med3_i32 v6, v8, 0, 13
	v_or_b32_e32 v8, 0x1000, v2
	v_cmp_ne_u32_e32 vcc, 0, v2
	v_lshl_or_b32 v9, v7, 12, v2
	v_lshrrev_b32_e32 v3, 16, v3
	v_cndmask_b32_e32 v2, v4, v5, vcc
	v_lshrrev_b32_e32 v5, v6, v8
	v_lshlrev_b32_e32 v6, v6, v5
	v_cmp_ne_u32_e32 vcc, v6, v8
	s_mov_b64 s[0:1], 0
	s_nop 0
	v_cndmask_b32_e64 v6, 0, 1, vcc
	v_or_b32_e32 v5, v5, v6
	v_cmp_gt_i32_e32 vcc, 1, v7
	s_nop 1
	v_cndmask_b32_e32 v5, v9, v5, vcc
	v_and_b32_e32 v6, 7, v5
	v_cmp_lt_i32_e32 vcc, 5, v6
	v_lshrrev_b32_e32 v5, 2, v5
	s_nop 0
	v_cndmask_b32_e64 v8, 0, 1, vcc
	v_cmp_eq_u32_e32 vcc, 3, v6
	s_nop 1
	v_cndmask_b32_e64 v6, 0, 1, vcc
	v_or_b32_e32 v6, v6, v8
	v_add_u32_e32 v5, v5, v6
	v_cmp_gt_i32_e32 vcc, 31, v7
	s_nop 1
	v_cndmask_b32_e32 v4, v4, v5, vcc
	v_cmp_eq_u32_e32 vcc, s2, v7
	s_nop 1
	v_cndmask_b32_e32 v2, v4, v2, vcc
	v_and_or_b32 v2, v3, s3, v2
	s_branch .LBB72_225
.LBB72_223:
	s_mov_b64 s[0:1], -1
                                        ; implicit-def: $vgpr2
	s_branch .LBB72_228
.LBB72_224:
	s_mov_b64 s[0:1], -1
                                        ; implicit-def: $vgpr2
.LBB72_225:
	s_andn2_b64 vcc, exec, s[0:1]
	s_cbranch_vccnz .LBB72_227
; %bb.226:
	global_load_dword v2, v[0:1], off
	s_waitcnt vmcnt(0)
	v_cvt_f16_f32_e32 v2, v2
.LBB72_227:
	s_mov_b64 s[0:1], 0
.LBB72_228:
	s_andn2_b64 vcc, exec, s[0:1]
	s_cbranch_vccnz .LBB72_230
; %bb.229:
	global_load_ushort v2, v[0:1], off
.LBB72_230:
	v_mov_b32_e32 v3, 0
.LBB72_231:
	s_cbranch_execnz .LBB72_252
.LBB72_232:
	s_cmp_lt_i32 s6, 2
	s_cbranch_scc1 .LBB72_236
; %bb.233:
	s_cmp_lt_i32 s6, 3
	s_cbranch_scc1 .LBB72_237
; %bb.234:
	s_cmp_gt_i32 s6, 3
	s_cbranch_scc0 .LBB72_238
; %bb.235:
	global_load_dwordx2 v[2:3], v[0:1], off
	s_mov_b64 s[0:1], 0
	s_waitcnt vmcnt(0)
	v_xor_b32_e32 v5, v2, v3
	v_ffbh_i32_e32 v4, v3
	v_ashrrev_i32_e32 v5, 31, v5
	v_add_u32_e32 v4, -1, v4
	v_add_u32_e32 v5, 32, v5
	v_min_u32_e32 v4, v4, v5
	v_lshlrev_b64 v[2:3], v4, v[2:3]
	v_min_u32_e32 v2, 1, v2
	v_or_b32_e32 v2, v3, v2
	v_cvt_f32_i32_e32 v2, v2
	v_sub_u32_e32 v3, 32, v4
	v_ldexp_f32 v2, v2, v3
	v_cvt_f16_f32_e32 v2, v2
	s_branch .LBB72_239
.LBB72_236:
	s_mov_b64 s[0:1], -1
                                        ; implicit-def: $vgpr2
	s_branch .LBB72_245
.LBB72_237:
	s_mov_b64 s[0:1], -1
                                        ; implicit-def: $vgpr2
	s_branch .LBB72_242
.LBB72_238:
	s_mov_b64 s[0:1], -1
                                        ; implicit-def: $vgpr2
.LBB72_239:
	s_andn2_b64 vcc, exec, s[0:1]
	s_cbranch_vccnz .LBB72_241
; %bb.240:
	global_load_dword v2, v[0:1], off
	s_waitcnt vmcnt(0)
	v_cvt_f32_i32_e32 v2, v2
	v_cvt_f16_f32_e32 v2, v2
.LBB72_241:
	s_mov_b64 s[0:1], 0
.LBB72_242:
	s_andn2_b64 vcc, exec, s[0:1]
	s_cbranch_vccnz .LBB72_244
; %bb.243:
	global_load_ushort v2, v[0:1], off
	s_waitcnt vmcnt(0)
	v_cvt_f16_i16_e32 v2, v2
.LBB72_244:
	s_mov_b64 s[0:1], 0
.LBB72_245:
	s_andn2_b64 vcc, exec, s[0:1]
	s_cbranch_vccnz .LBB72_251
; %bb.246:
	s_cmp_gt_i32 s6, 0
	s_cbranch_scc0 .LBB72_248
; %bb.247:
	global_load_sbyte v2, v[0:1], off
	s_mov_b64 s[0:1], 0
	s_waitcnt vmcnt(0)
	v_cvt_f16_i16_e32 v2, v2
	s_branch .LBB72_249
.LBB72_248:
	s_mov_b64 s[0:1], -1
                                        ; implicit-def: $vgpr2
.LBB72_249:
	s_andn2_b64 vcc, exec, s[0:1]
	s_cbranch_vccnz .LBB72_251
; %bb.250:
	global_load_ubyte v0, v[0:1], off
	s_waitcnt vmcnt(0)
	v_cvt_f16_u16_e32 v2, v0
.LBB72_251:
	v_mov_b32_e32 v3, 0
.LBB72_252:
	s_branch .LBB72_11
.LBB72_253:
	s_mov_b64 s[0:1], 0
                                        ; implicit-def: $vgpr21
	s_mov_b64 s[2:3], 0
.LBB72_254:
	s_and_b64 s[28:29], s[0:1], exec
	s_and_b64 s[34:35], s[34:35], exec
	s_orn2_b64 s[2:3], s[2:3], exec
.LBB72_255:
	s_or_b64 exec, exec, s[36:37]
	s_mov_b64 s[4:5], 0
	s_mov_b64 s[0:1], 0
                                        ; implicit-def: $vgpr0_vgpr1
                                        ; implicit-def: $vgpr5
                                        ; implicit-def: $vgpr2
	s_and_saveexec_b64 s[36:37], s[2:3]
	s_cbranch_execz .LBB72_264
; %bb.256:
	v_cmp_gt_i32_e32 vcc, s49, v21
	s_mov_b64 s[0:1], -1
	s_mov_b64 s[38:39], s[34:35]
	s_mov_b64 s[40:41], s[28:29]
	s_and_saveexec_b64 s[42:43], vcc
	s_cbranch_execz .LBB72_521
; %bb.257:
	v_mul_lo_u32 v0, v21, s19
	v_ashrrev_i32_e32 v1, 31, v0
	s_and_b32 s6, 0xffff, s48
	s_cmp_lt_i32 s6, 11
	v_lshl_add_u64 v[0:1], s[22:23], 0, v[0:1]
	s_cbranch_scc1 .LBB72_267
; %bb.258:
	s_cmp_gt_i32 s6, 25
	s_cbranch_scc0 .LBB72_276
; %bb.259:
	s_cmp_gt_i32 s6, 28
	s_cbranch_scc0 .LBB72_278
	;; [unrolled: 3-line block ×4, first 2 shown]
; %bb.262:
	s_cmp_eq_u32 s6, 46
	s_mov_b64 s[2:3], 0
	s_cbranch_scc0 .LBB72_288
; %bb.263:
	global_load_dword v2, v[0:1], off
	s_mov_b64 s[38:39], 0
	s_waitcnt vmcnt(0)
	v_and_b32_e32 v3, 0xffff0000, v2
	v_lshlrev_b32_e32 v2, 16, v2
	v_cvt_f16_f32_e32 v2, v2
	v_cvt_f16_f32_e32 v3, v3
	s_branch .LBB72_289
.LBB72_264:
	s_or_b64 exec, exec, s[36:37]
	s_mov_b64 s[36:37], 0
	s_and_saveexec_b64 s[2:3], s[34:35]
	s_cbranch_execnz .LBB72_875
.LBB72_265:
	s_or_b64 exec, exec, s[2:3]
	s_and_saveexec_b64 s[2:3], s[40:41]
	s_xor_b64 s[2:3], exec, s[2:3]
	s_cbranch_execz .LBB72_876
.LBB72_266:
	global_load_ubyte v2, v[0:1], off
	v_mov_b32_e32 v3, 0x3c00
	v_mov_b32_e32 v5, 0
	s_or_b64 s[0:1], s[0:1], exec
	s_waitcnt vmcnt(0)
	v_cmp_ne_u16_e32 vcc, 0, v2
	s_nop 1
	v_cndmask_b32_e32 v2, 0, v3, vcc
	s_or_b64 exec, exec, s[2:3]
	s_and_saveexec_b64 s[2:3], s[4:5]
	s_cbranch_execz .LBB72_924
	s_branch .LBB72_877
.LBB72_267:
	s_mov_b64 s[0:1], 0
                                        ; implicit-def: $vgpr3
                                        ; implicit-def: $vgpr2
	s_mov_b64 s[38:39], s[34:35]
	s_cbranch_execnz .LBB72_469
.LBB72_268:
	s_andn2_b64 vcc, exec, s[0:1]
	s_cbranch_vccnz .LBB72_519
.LBB72_269:
	s_waitcnt vmcnt(0)
	v_cvt_f32_f16_e32 v0, v2
	v_cvt_f32_f16_e32 v1, v3
	s_getpc_b64 s[0:1]
	s_add_u32 s0, s0, _ZN16c10_complex_math3expIfEEN3c107complexIT_EERKS4_@rel32@lo+4
	s_addc_u32 s1, s1, _ZN16c10_complex_math3expIfEEN3c107complexIT_EERKS4_@rel32@hi+12
	s_swappc_b64 s[30:31], s[0:1]
	v_cvt_f16_f32_e32 v2, v1
	v_cvt_f16_f32_e32 v4, v0
	s_and_b32 s8, s33, 0xff
	s_cmp_lt_i32 s8, 11
	v_lshlrev_b32_e32 v0, 16, v2
	v_or_b32_e32 v5, v0, v4
	v_mul_lo_u32 v0, v21, s18
	v_ashrrev_i32_e32 v1, 31, v0
	v_lshl_add_u64 v[0:1], s[20:21], 0, v[0:1]
	s_cbranch_scc1 .LBB72_277
; %bb.270:
	s_and_b32 s9, 0xffff, s8
	s_cmp_gt_i32 s9, 25
	s_cbranch_scc0 .LBB72_279
; %bb.271:
	s_cmp_gt_i32 s9, 28
	s_cbranch_scc0 .LBB72_281
; %bb.272:
	;; [unrolled: 3-line block ×4, first 2 shown]
	s_mov_b64 s[4:5], 0
	s_mov_b64 s[0:1], -1
	s_cmp_eq_u32 s9, 46
	s_mov_b64 s[2:3], 0
	s_cbranch_scc0 .LBB72_293
; %bb.275:
	v_cvt_f32_f16_e32 v6, v2
	v_cvt_f32_f16_e32 v3, v4
	s_movk_i32 s0, 0x7fff
	v_cmp_o_f16_e32 vcc, v2, v2
	v_bfe_u32 v8, v6, 16, 1
	v_bfe_u32 v7, v3, 16, 1
	v_add3_u32 v6, v6, v8, s0
	v_add3_u32 v3, v3, v7, s0
	v_and_b32_e32 v6, 0xffff0000, v6
	v_mov_b32_e32 v7, 0x7fc00000
	v_cndmask_b32_e32 v6, v7, v6, vcc
	v_cmp_o_f16_e32 vcc, v4, v4
	v_mov_b32_e32 v7, 0x7fc0
	s_mov_b64 s[2:3], -1
	v_cndmask_b32_sdwa v3, v7, v3, vcc dst_sel:DWORD dst_unused:UNUSED_PAD src0_sel:DWORD src1_sel:WORD_1
	v_or_b32_e32 v3, v6, v3
	global_store_dword v[0:1], v3, off
	s_mov_b64 s[0:1], 0
	s_branch .LBB72_293
.LBB72_276:
	s_mov_b64 s[2:3], -1
	s_mov_b64 s[0:1], 0
	s_mov_b64 s[38:39], s[34:35]
                                        ; implicit-def: $vgpr3
                                        ; implicit-def: $vgpr2
	s_branch .LBB72_432
.LBB72_277:
	s_mov_b64 s[4:5], -1
	s_mov_b64 s[2:3], 0
	s_mov_b64 s[0:1], s[28:29]
	s_branch .LBB72_362
.LBB72_278:
	s_mov_b64 s[2:3], -1
	s_mov_b64 s[0:1], 0
	s_mov_b64 s[38:39], s[34:35]
                                        ; implicit-def: $vgpr3
                                        ; implicit-def: $vgpr2
	s_branch .LBB72_413
.LBB72_279:
	s_mov_b64 s[4:5], -1
	s_mov_b64 s[2:3], 0
	s_mov_b64 s[0:1], s[28:29]
	s_branch .LBB72_320
.LBB72_280:
	s_mov_b64 s[2:3], -1
	s_mov_b64 s[0:1], 0
	s_mov_b64 s[38:39], s[34:35]
                                        ; implicit-def: $vgpr3
                                        ; implicit-def: $vgpr2
	s_branch .LBB72_407
.LBB72_281:
	s_mov_b64 s[4:5], -1
	s_mov_b64 s[2:3], 0
	s_mov_b64 s[0:1], s[28:29]
	s_branch .LBB72_303
.LBB72_282:
	s_andn2_saveexec_b64 s[6:7], s[6:7]
	s_cbranch_execz .LBB72_54
.LBB72_283:
	s_mov_b32 s10, 0x46000000
	v_add_f32_e64 v6, |v3|, s10
	v_and_b32_e32 v6, 0xff, v6
	v_cmp_ne_u32_e32 vcc, 0, v6
	s_andn2_b64 s[4:5], s[4:5], exec
	s_and_b64 s[10:11], vcc, exec
	s_or_b64 s[4:5], s[4:5], s[10:11]
	s_or_b64 exec, exec, s[6:7]
	v_mov_b32_e32 v7, 0
	s_and_saveexec_b64 s[6:7], s[4:5]
	s_cbranch_execnz .LBB72_55
	s_branch .LBB72_56
.LBB72_284:
	s_mov_b64 s[2:3], -1
	s_mov_b64 s[0:1], 0
	s_mov_b64 s[38:39], s[34:35]
                                        ; implicit-def: $vgpr3
                                        ; implicit-def: $vgpr2
	s_branch .LBB72_289
.LBB72_285:
	s_mov_b64 s[4:5], -1
	s_mov_b64 s[2:3], 0
	s_mov_b64 s[0:1], s[28:29]
	s_branch .LBB72_299
.LBB72_286:
	s_andn2_saveexec_b64 s[6:7], s[6:7]
	s_cbranch_execz .LBB72_67
.LBB72_287:
	s_mov_b32 s10, 0x42800000
	v_add_f32_e64 v6, |v3|, s10
	v_and_b32_e32 v6, 0xff, v6
	v_cmp_ne_u32_e32 vcc, 0, v6
	s_andn2_b64 s[4:5], s[4:5], exec
	s_and_b64 s[10:11], vcc, exec
	s_or_b64 s[4:5], s[4:5], s[10:11]
	s_or_b64 exec, exec, s[6:7]
	v_mov_b32_e32 v7, 0
	s_and_saveexec_b64 s[6:7], s[4:5]
	s_cbranch_execnz .LBB72_68
	s_branch .LBB72_69
.LBB72_288:
	s_mov_b64 s[38:39], -1
                                        ; implicit-def: $vgpr3
                                        ; implicit-def: $vgpr2
	s_mov_b64 s[0:1], 0
.LBB72_289:
	s_and_b64 vcc, exec, s[2:3]
	s_cbranch_vccz .LBB72_406
; %bb.290:
	s_cmp_eq_u32 s6, 44
	s_cbranch_scc0 .LBB72_404
; %bb.291:
	global_load_ubyte v2, v[0:1], off
	s_movk_i32 s2, 0xff
	v_mov_b32_e32 v4, 0x7e00
	s_mov_b64 s[0:1], -1
	s_mov_b64 s[38:39], 0
	s_waitcnt vmcnt(0)
	v_lshlrev_b32_e32 v3, 23, v2
	v_cvt_f16_f32_e32 v3, v3
	v_cmp_ne_u32_e32 vcc, s2, v2
	s_nop 1
	v_cndmask_b32_e32 v3, v4, v3, vcc
	v_cmp_ne_u32_e32 vcc, 0, v2
	s_nop 1
	v_cndmask_b32_e32 v2, 0, v3, vcc
	s_branch .LBB72_405
.LBB72_292:
	s_mov_b64 s[4:5], -1
	s_mov_b64 s[2:3], 0
	s_mov_b64 s[0:1], s[28:29]
.LBB72_293:
	s_and_b64 vcc, exec, s[4:5]
	s_cbranch_vccz .LBB72_298
; %bb.294:
	s_cmp_eq_u32 s9, 44
	s_mov_b64 s[0:1], -1
	s_cbranch_scc0 .LBB72_298
; %bb.295:
	v_cvt_f32_f16_e32 v3, v4
	s_movk_i32 s0, 0xff
	v_mov_b32_e32 v7, 0xff
	v_bfe_u32 v6, v3, 23, 8
	v_cmp_ne_u32_e32 vcc, s0, v6
	s_and_saveexec_b64 s[2:3], vcc
; %bb.296:
	s_mov_b32 s0, 0x3fffff
	v_lshrrev_b32_e32 v7, 23, v3
	v_and_b32_e32 v8, 0x400000, v3
	v_and_or_b32 v3, v3, s0, v6
	v_cmp_ne_u32_e32 vcc, 0, v8
	v_cmp_ne_u32_e64 s[0:1], 0, v3
	s_and_b64 s[0:1], vcc, s[0:1]
	s_nop 0
	v_cndmask_b32_e64 v3, 0, 1, s[0:1]
	v_add_u32_e32 v7, v7, v3
; %bb.297:
	s_or_b64 exec, exec, s[2:3]
	s_mov_b64 s[2:3], -1
	s_mov_b64 s[0:1], 0
	global_store_byte v[0:1], v7, off
.LBB72_298:
	s_mov_b64 s[4:5], 0
.LBB72_299:
	s_and_b64 vcc, exec, s[4:5]
	s_cbranch_vccz .LBB72_302
; %bb.300:
	s_cmp_eq_u32 s9, 29
	s_mov_b64 s[0:1], -1
	s_cbranch_scc0 .LBB72_302
; %bb.301:
	v_cvt_f32_f16_e32 v3, v4
	v_mov_b32_e32 v7, 0
	s_mov_b64 s[2:3], -1
	s_mov_b64 s[0:1], 0
	v_cvt_u32_f32_e32 v6, v3
	s_mov_b64 s[4:5], 0
	global_store_dwordx2 v[0:1], v[6:7], off
	s_branch .LBB72_303
.LBB72_302:
	s_mov_b64 s[4:5], 0
.LBB72_303:
	s_and_b64 vcc, exec, s[4:5]
	s_cbranch_vccz .LBB72_319
; %bb.304:
	s_cmp_lt_i32 s9, 27
	s_mov_b64 s[2:3], -1
	s_cbranch_scc1 .LBB72_310
; %bb.305:
	s_cmp_gt_i32 s9, 27
	s_cbranch_scc0 .LBB72_307
; %bb.306:
	v_cvt_f32_f16_e32 v3, v4
	s_mov_b64 s[2:3], 0
	v_cvt_u32_f32_e32 v3, v3
	global_store_dword v[0:1], v3, off
.LBB72_307:
	s_andn2_b64 vcc, exec, s[2:3]
	s_cbranch_vccnz .LBB72_309
; %bb.308:
	v_cvt_u16_f16_e32 v3, v4
	global_store_short v[0:1], v3, off
.LBB72_309:
	s_mov_b64 s[2:3], 0
.LBB72_310:
	s_andn2_b64 vcc, exec, s[2:3]
	s_cbranch_vccnz .LBB72_318
; %bb.311:
	v_cvt_f32_f16_e32 v3, v4
	s_mov_b32 s2, 0x43800000
	v_mov_b32_e32 v7, 0x80
	v_and_b32_e32 v6, 0x7fffffff, v3
	v_cmp_gt_u32_e32 vcc, s2, v6
	s_and_saveexec_b64 s[2:3], vcc
	s_cbranch_execz .LBB72_317
; %bb.312:
	s_mov_b32 s4, 0x3bffffff
	v_cmp_lt_u32_e32 vcc, s4, v6
	s_mov_b64 s[4:5], 0
                                        ; implicit-def: $vgpr6
	s_and_saveexec_b64 s[6:7], vcc
	s_xor_b64 s[6:7], exec, s[6:7]
	s_cbranch_execz .LBB72_534
; %bb.313:
	v_bfe_u32 v6, v3, 20, 1
	s_mov_b32 s10, 0x487ffff
	v_add3_u32 v6, v3, v6, s10
	s_mov_b64 s[4:5], exec
	v_lshrrev_b32_e32 v6, 20, v6
	s_andn2_saveexec_b64 s[6:7], s[6:7]
	s_cbranch_execnz .LBB72_535
.LBB72_314:
	s_or_b64 exec, exec, s[6:7]
	v_mov_b32_e32 v7, 0
	s_and_saveexec_b64 s[6:7], s[4:5]
.LBB72_315:
	v_lshrrev_b32_e32 v3, 24, v3
	s_movk_i32 s4, 0x80
	v_and_or_b32 v7, v3, s4, v6
.LBB72_316:
	s_or_b64 exec, exec, s[6:7]
.LBB72_317:
	s_or_b64 exec, exec, s[2:3]
	global_store_byte v[0:1], v7, off
.LBB72_318:
	s_mov_b64 s[2:3], -1
.LBB72_319:
	s_mov_b64 s[4:5], 0
.LBB72_320:
	s_and_b64 vcc, exec, s[4:5]
	s_cbranch_vccz .LBB72_361
; %bb.321:
	s_cmp_gt_i32 s9, 22
	s_mov_b64 s[4:5], -1
	s_cbranch_scc0 .LBB72_353
; %bb.322:
	s_cmp_lt_i32 s9, 24
	s_mov_b64 s[2:3], -1
	s_cbranch_scc1 .LBB72_342
; %bb.323:
	s_cmp_gt_i32 s9, 24
	s_cbranch_scc0 .LBB72_331
; %bb.324:
	v_cvt_f32_f16_e32 v3, v4
	s_mov_b32 s2, 0x47800000
	v_mov_b32_e32 v7, 0x80
	v_and_b32_e32 v6, 0x7fffffff, v3
	v_cmp_gt_u32_e32 vcc, s2, v6
	s_and_saveexec_b64 s[2:3], vcc
	s_cbranch_execz .LBB72_330
; %bb.325:
	s_mov_b32 s4, 0x37ffffff
	v_cmp_lt_u32_e32 vcc, s4, v6
	s_mov_b64 s[4:5], 0
                                        ; implicit-def: $vgpr6
	s_and_saveexec_b64 s[6:7], vcc
	s_xor_b64 s[6:7], exec, s[6:7]
	s_cbranch_execz .LBB72_537
; %bb.326:
	v_bfe_u32 v6, v3, 21, 1
	s_mov_b32 s10, 0x88fffff
	v_add3_u32 v6, v3, v6, s10
	s_mov_b64 s[4:5], exec
	v_lshrrev_b32_e32 v6, 21, v6
	s_andn2_saveexec_b64 s[6:7], s[6:7]
	s_cbranch_execnz .LBB72_538
.LBB72_327:
	s_or_b64 exec, exec, s[6:7]
	v_mov_b32_e32 v7, 0
	s_and_saveexec_b64 s[6:7], s[4:5]
.LBB72_328:
	v_lshrrev_b32_e32 v3, 24, v3
	s_movk_i32 s4, 0x80
	v_and_or_b32 v7, v3, s4, v6
.LBB72_329:
	s_or_b64 exec, exec, s[6:7]
.LBB72_330:
	s_or_b64 exec, exec, s[2:3]
	s_mov_b64 s[2:3], 0
	global_store_byte v[0:1], v7, off
.LBB72_331:
	s_and_b64 vcc, exec, s[2:3]
	s_cbranch_vccz .LBB72_341
; %bb.332:
	v_cvt_f32_f16_e32 v3, v4
	s_mov_b32 s2, 0x43f00000
                                        ; implicit-def: $vgpr6
	v_and_b32_e32 v7, 0x7fffffff, v3
	v_cmp_gt_u32_e32 vcc, s2, v7
	s_and_saveexec_b64 s[2:3], vcc
	s_xor_b64 s[2:3], exec, s[2:3]
	s_cbranch_execz .LBB72_338
; %bb.333:
	s_mov_b32 s4, 0x3c7fffff
	v_cmp_lt_u32_e32 vcc, s4, v7
                                        ; implicit-def: $vgpr6
	s_and_saveexec_b64 s[4:5], vcc
	s_xor_b64 s[4:5], exec, s[4:5]
; %bb.334:
	v_bfe_u32 v6, v3, 20, 1
	s_mov_b32 s6, 0x407ffff
	v_add3_u32 v6, v3, v6, s6
	v_lshrrev_b32_e32 v7, 20, v6
	v_and_b32_e32 v6, 0xff00000, v6
	s_mov_b32 s6, 0x7f00000
	v_mov_b32_e32 v8, 0x7e
	v_cmp_ne_u32_e32 vcc, s6, v6
	s_nop 1
	v_cndmask_b32_e32 v6, v8, v7, vcc
; %bb.335:
	s_andn2_saveexec_b64 s[4:5], s[4:5]
; %bb.336:
	s_mov_b32 s6, 0x46800000
	v_add_f32_e64 v6, |v3|, s6
; %bb.337:
	s_or_b64 exec, exec, s[4:5]
                                        ; implicit-def: $vgpr7
.LBB72_338:
	s_andn2_saveexec_b64 s[2:3], s[2:3]
; %bb.339:
	s_mov_b32 s4, 0x7f800000
	v_mov_b32_e32 v6, 0x7e
	v_mov_b32_e32 v8, 0x7f
	v_cmp_lt_u32_e32 vcc, s4, v7
	s_nop 1
	v_cndmask_b32_e32 v6, v6, v8, vcc
; %bb.340:
	s_or_b64 exec, exec, s[2:3]
	v_lshrrev_b32_e32 v3, 24, v3
	s_movk_i32 s2, 0x80
	v_and_or_b32 v3, v3, s2, v6
	global_store_byte v[0:1], v3, off
.LBB72_341:
	s_mov_b64 s[2:3], 0
.LBB72_342:
	s_andn2_b64 vcc, exec, s[2:3]
	s_cbranch_vccnz .LBB72_352
; %bb.343:
	v_cvt_f32_f16_e32 v3, v4
	s_mov_b32 s2, 0x47800000
                                        ; implicit-def: $vgpr6
	v_and_b32_e32 v7, 0x7fffffff, v3
	v_cmp_gt_u32_e32 vcc, s2, v7
	s_and_saveexec_b64 s[2:3], vcc
	s_xor_b64 s[2:3], exec, s[2:3]
	s_cbranch_execz .LBB72_349
; %bb.344:
	s_mov_b32 s4, 0x387fffff
	v_cmp_lt_u32_e32 vcc, s4, v7
                                        ; implicit-def: $vgpr6
	s_and_saveexec_b64 s[4:5], vcc
	s_xor_b64 s[4:5], exec, s[4:5]
; %bb.345:
	v_bfe_u32 v6, v3, 21, 1
	s_mov_b32 s6, 0x80fffff
	v_add3_u32 v6, v3, v6, s6
	v_lshrrev_b32_e32 v6, 21, v6
; %bb.346:
	s_andn2_saveexec_b64 s[4:5], s[4:5]
; %bb.347:
	s_mov_b32 s6, 0x43000000
	v_add_f32_e64 v6, |v3|, s6
; %bb.348:
	s_or_b64 exec, exec, s[4:5]
                                        ; implicit-def: $vgpr7
.LBB72_349:
	s_andn2_saveexec_b64 s[2:3], s[2:3]
; %bb.350:
	s_mov_b32 s4, 0x7f800000
	v_mov_b32_e32 v6, 0x7c
	v_mov_b32_e32 v8, 0x7f
	v_cmp_lt_u32_e32 vcc, s4, v7
	s_nop 1
	v_cndmask_b32_e32 v6, v6, v8, vcc
; %bb.351:
	s_or_b64 exec, exec, s[2:3]
	v_lshrrev_b32_e32 v3, 24, v3
	s_movk_i32 s2, 0x80
	v_and_or_b32 v3, v3, s2, v6
	global_store_byte v[0:1], v3, off
.LBB72_352:
	s_mov_b64 s[4:5], 0
	s_mov_b64 s[2:3], -1
.LBB72_353:
	s_andn2_b64 vcc, exec, s[4:5]
	s_cbranch_vccnz .LBB72_361
; %bb.354:
	s_cmp_gt_i32 s9, 14
	s_mov_b64 s[4:5], -1
	s_cbranch_scc0 .LBB72_358
; %bb.355:
	s_cmp_eq_u32 s9, 15
	s_mov_b64 s[0:1], -1
	s_cbranch_scc0 .LBB72_357
; %bb.356:
	v_cvt_f32_f16_e32 v3, v4
	s_movk_i32 s0, 0x7fff
	v_cmp_o_f16_e32 vcc, v4, v4
	v_mov_b32_e32 v6, 0x7fc0
	v_bfe_u32 v7, v3, 16, 1
	v_add3_u32 v3, v3, v7, s0
	v_cndmask_b32_sdwa v3, v6, v3, vcc dst_sel:DWORD dst_unused:UNUSED_PAD src0_sel:DWORD src1_sel:WORD_1
	global_store_short v[0:1], v3, off
	s_mov_b64 s[2:3], -1
	s_mov_b64 s[0:1], 0
.LBB72_357:
	s_mov_b64 s[4:5], 0
.LBB72_358:
	s_and_b64 vcc, exec, s[4:5]
	s_cbranch_vccz .LBB72_361
; %bb.359:
	s_cmp_eq_u32 s9, 11
	s_mov_b64 s[0:1], -1
	s_cbranch_scc0 .LBB72_361
; %bb.360:
	v_and_b32_e32 v3, 0x7fff7fff, v5
	v_cmp_ne_u32_e32 vcc, 0, v3
	s_mov_b64 s[2:3], -1
	s_mov_b64 s[0:1], 0
	v_cndmask_b32_e64 v3, 0, 1, vcc
	global_store_byte v[0:1], v3, off
.LBB72_361:
	s_mov_b64 s[4:5], 0
.LBB72_362:
	s_and_b64 vcc, exec, s[4:5]
	s_cbranch_vccz .LBB72_401
; %bb.363:
	s_and_b32 s4, 0xffff, s8
	s_cmp_lt_i32 s4, 5
	s_mov_b64 s[2:3], -1
	s_cbranch_scc1 .LBB72_384
; %bb.364:
	s_cmp_lt_i32 s4, 8
	s_cbranch_scc1 .LBB72_374
; %bb.365:
	s_cmp_lt_i32 s4, 9
	s_cbranch_scc1 .LBB72_371
; %bb.366:
	v_cvt_f32_f16_e32 v3, v2
	s_cmp_gt_i32 s4, 9
	s_cbranch_scc0 .LBB72_368
; %bb.367:
	v_cvt_f32_f16_e32 v2, v4
	v_cvt_f64_f32_e32 v[8:9], v3
	s_mov_b64 s[2:3], 0
	v_cvt_f64_f32_e32 v[6:7], v2
	global_store_dwordx4 v[0:1], v[6:9], off
.LBB72_368:
	s_andn2_b64 vcc, exec, s[2:3]
	s_cbranch_vccnz .LBB72_370
; %bb.369:
	v_cvt_f32_f16_e32 v2, v4
	global_store_dwordx2 v[0:1], v[2:3], off
.LBB72_370:
	s_mov_b64 s[2:3], 0
.LBB72_371:
	s_andn2_b64 vcc, exec, s[2:3]
	s_cbranch_vccnz .LBB72_373
; %bb.372:
	global_store_dword v[0:1], v5, off
.LBB72_373:
	s_mov_b64 s[2:3], 0
.LBB72_374:
	s_andn2_b64 vcc, exec, s[2:3]
	s_cbranch_vccnz .LBB72_383
; %bb.375:
	s_cmp_lt_i32 s4, 6
	s_mov_b64 s[2:3], -1
	s_cbranch_scc1 .LBB72_381
; %bb.376:
	s_cmp_gt_i32 s4, 6
	s_cbranch_scc0 .LBB72_378
; %bb.377:
	v_cvt_f32_f16_e32 v2, v4
	s_mov_b64 s[2:3], 0
	v_cvt_f64_f32_e32 v[2:3], v2
	global_store_dwordx2 v[0:1], v[2:3], off
.LBB72_378:
	s_andn2_b64 vcc, exec, s[2:3]
	s_cbranch_vccnz .LBB72_380
; %bb.379:
	v_cvt_f32_f16_e32 v2, v4
	global_store_dword v[0:1], v2, off
.LBB72_380:
	s_mov_b64 s[2:3], 0
.LBB72_381:
	s_andn2_b64 vcc, exec, s[2:3]
	s_cbranch_vccnz .LBB72_383
; %bb.382:
	global_store_short v[0:1], v4, off
.LBB72_383:
	s_mov_b64 s[2:3], 0
.LBB72_384:
	s_andn2_b64 vcc, exec, s[2:3]
	s_cbranch_vccnz .LBB72_400
; %bb.385:
	s_cmp_lt_i32 s4, 2
	s_mov_b64 s[2:3], -1
	s_cbranch_scc1 .LBB72_395
; %bb.386:
	s_cmp_lt_i32 s4, 3
	s_cbranch_scc1 .LBB72_392
; %bb.387:
	s_cmp_gt_i32 s4, 3
	s_cbranch_scc0 .LBB72_389
; %bb.388:
	v_cvt_f32_f16_e32 v2, v4
	s_mov_b64 s[2:3], 0
	v_cvt_i32_f32_e32 v2, v2
	v_ashrrev_i32_e32 v3, 31, v2
	global_store_dwordx2 v[0:1], v[2:3], off
.LBB72_389:
	s_andn2_b64 vcc, exec, s[2:3]
	s_cbranch_vccnz .LBB72_391
; %bb.390:
	v_cvt_f32_f16_e32 v2, v4
	v_cvt_i32_f32_e32 v2, v2
	global_store_dword v[0:1], v2, off
.LBB72_391:
	s_mov_b64 s[2:3], 0
.LBB72_392:
	s_andn2_b64 vcc, exec, s[2:3]
	s_cbranch_vccnz .LBB72_394
; %bb.393:
	v_cvt_i16_f16_e32 v2, v4
	global_store_short v[0:1], v2, off
.LBB72_394:
	s_mov_b64 s[2:3], 0
.LBB72_395:
	s_andn2_b64 vcc, exec, s[2:3]
	s_cbranch_vccnz .LBB72_400
; %bb.396:
	s_cmp_gt_i32 s4, 0
	s_mov_b64 s[2:3], -1
	s_cbranch_scc0 .LBB72_398
; %bb.397:
	v_cvt_i16_f16_e32 v2, v4
	s_mov_b64 s[2:3], 0
	global_store_byte v[0:1], v2, off
.LBB72_398:
	s_andn2_b64 vcc, exec, s[2:3]
	s_cbranch_vccnz .LBB72_400
; %bb.399:
	v_cvt_f32_f16_e32 v2, v4
	v_cvt_i32_f32_e32 v2, v2
	global_store_byte v[0:1], v2, off
.LBB72_400:
	s_mov_b64 s[2:3], -1
.LBB72_401:
	s_andn2_b64 vcc, exec, s[2:3]
	s_cbranch_vccnz .LBB72_403
; %bb.402:
	v_add_u32_e32 v21, 0x80, v21
	s_mov_b64 s[2:3], -1
	s_branch .LBB72_520
.LBB72_403:
	s_mov_b64 s[2:3], 0
                                        ; implicit-def: $vgpr21
	s_branch .LBB72_520
.LBB72_404:
	s_mov_b64 s[38:39], -1
                                        ; implicit-def: $vgpr2
.LBB72_405:
	v_mov_b32_e32 v3, 0
.LBB72_406:
	s_mov_b64 s[2:3], 0
.LBB72_407:
	s_and_b64 vcc, exec, s[2:3]
	s_cbranch_vccz .LBB72_412
; %bb.408:
	s_cmp_eq_u32 s6, 29
	s_cbranch_scc0 .LBB72_410
; %bb.409:
	global_load_dwordx2 v[2:3], v[0:1], off
	s_mov_b64 s[0:1], -1
	s_mov_b64 s[38:39], 0
	s_waitcnt vmcnt(0)
	v_ffbh_u32_e32 v4, v3
	v_min_u32_e32 v4, 32, v4
	v_lshlrev_b64 v[2:3], v4, v[2:3]
	v_min_u32_e32 v2, 1, v2
	v_or_b32_e32 v2, v3, v2
	v_cvt_f32_u32_e32 v2, v2
	v_sub_u32_e32 v3, 32, v4
	v_ldexp_f32 v2, v2, v3
	v_cvt_f16_f32_e32 v2, v2
	s_branch .LBB72_411
.LBB72_410:
	s_mov_b64 s[38:39], -1
                                        ; implicit-def: $vgpr2
.LBB72_411:
	v_mov_b32_e32 v3, 0
.LBB72_412:
	s_mov_b64 s[2:3], 0
.LBB72_413:
	s_and_b64 vcc, exec, s[2:3]
	s_cbranch_vccz .LBB72_431
; %bb.414:
	s_cmp_lt_i32 s6, 27
	s_cbranch_scc1 .LBB72_417
; %bb.415:
	s_cmp_gt_i32 s6, 27
	s_cbranch_scc0 .LBB72_418
; %bb.416:
	global_load_dword v2, v[0:1], off
	s_mov_b64 s[0:1], 0
	s_waitcnt vmcnt(0)
	v_cvt_f32_u32_e32 v2, v2
	v_cvt_f16_f32_e32 v2, v2
	s_branch .LBB72_419
.LBB72_417:
	s_mov_b64 s[0:1], -1
                                        ; implicit-def: $vgpr2
	s_branch .LBB72_422
.LBB72_418:
	s_mov_b64 s[0:1], -1
                                        ; implicit-def: $vgpr2
.LBB72_419:
	s_andn2_b64 vcc, exec, s[0:1]
	s_cbranch_vccnz .LBB72_421
; %bb.420:
	global_load_ushort v2, v[0:1], off
	s_waitcnt vmcnt(0)
	v_cvt_f16_u16_e32 v2, v2
.LBB72_421:
	s_mov_b64 s[0:1], 0
.LBB72_422:
	s_andn2_b64 vcc, exec, s[0:1]
	s_cbranch_vccnz .LBB72_430
; %bb.423:
	global_load_ubyte v3, v[0:1], off
	s_movk_i32 s0, 0x7f
	s_waitcnt vmcnt(0)
	v_cmp_lt_i16_e32 vcc, s0, v3
	s_mov_b64 s[0:1], 0
	s_and_saveexec_b64 s[2:3], vcc
	s_xor_b64 s[2:3], exec, s[2:3]
	s_cbranch_execz .LBB72_444
; %bb.424:
	s_movk_i32 s0, 0x80
	v_cmp_eq_u16_e32 vcc, s0, v3
	s_mov_b64 s[0:1], -1
	s_and_saveexec_b64 s[4:5], vcc
; %bb.425:
	s_xor_b64 s[0:1], exec, -1
; %bb.426:
	s_or_b64 exec, exec, s[4:5]
	s_and_b64 s[0:1], s[0:1], exec
	s_or_saveexec_b64 s[2:3], s[2:3]
	v_mov_b32_e32 v2, 0x7e00
	s_xor_b64 exec, exec, s[2:3]
	s_cbranch_execnz .LBB72_445
.LBB72_427:
	s_or_b64 exec, exec, s[2:3]
	s_and_saveexec_b64 s[2:3], s[0:1]
	s_cbranch_execz .LBB72_429
.LBB72_428:
	v_lshlrev_b32_e32 v2, 24, v3
	v_and_b32_e32 v3, 0xffff, v3
	v_and_b32_e32 v4, 7, v3
	v_ffbh_u32_e32 v6, v4
	v_min_u32_e32 v6, 32, v6
	v_subrev_u32_e32 v7, 28, v6
	v_bfe_u32 v5, v3, 3, 4
	v_lshlrev_b32_e32 v3, v7, v3
	v_sub_u32_e32 v6, 29, v6
	v_and_b32_e32 v3, 7, v3
	v_cmp_eq_u32_e32 vcc, 0, v5
	v_and_b32_e32 v2, 0x80000000, v2
	s_nop 0
	v_cndmask_b32_e32 v5, v5, v6, vcc
	v_cndmask_b32_e32 v3, v4, v3, vcc
	v_mov_b32_e32 v4, 0x3b800000
	v_lshlrev_b32_e32 v3, 20, v3
	v_lshl_add_u32 v4, v5, 23, v4
	v_or3_b32 v2, v2, v4, v3
	v_cvt_f16_f32_e32 v2, v2
.LBB72_429:
	s_or_b64 exec, exec, s[2:3]
.LBB72_430:
	s_mov_b64 s[0:1], -1
	v_mov_b32_e32 v3, 0
.LBB72_431:
	s_mov_b64 s[2:3], 0
.LBB72_432:
	s_and_b64 vcc, exec, s[2:3]
	s_cbranch_vccz .LBB72_468
; %bb.433:
	s_cmp_gt_i32 s6, 22
	s_cbranch_scc0 .LBB72_443
; %bb.434:
	s_cmp_lt_i32 s6, 24
	s_cbranch_scc1 .LBB72_446
; %bb.435:
	s_cmp_gt_i32 s6, 24
	s_cbranch_scc0 .LBB72_447
; %bb.436:
	global_load_ubyte v3, v[0:1], off
	s_movk_i32 s0, 0x7f
	s_waitcnt vmcnt(0)
	v_cmp_lt_i16_e32 vcc, s0, v3
	s_mov_b64 s[0:1], 0
	s_and_saveexec_b64 s[2:3], vcc
	s_xor_b64 s[2:3], exec, s[2:3]
	s_cbranch_execz .LBB72_459
; %bb.437:
	s_movk_i32 s0, 0x80
	v_cmp_eq_u16_e32 vcc, s0, v3
	s_mov_b64 s[0:1], -1
	s_and_saveexec_b64 s[4:5], vcc
; %bb.438:
	s_xor_b64 s[0:1], exec, -1
; %bb.439:
	s_or_b64 exec, exec, s[4:5]
	s_and_b64 s[0:1], s[0:1], exec
	s_or_saveexec_b64 s[2:3], s[2:3]
	v_mov_b32_e32 v2, 0x7e00
	s_xor_b64 exec, exec, s[2:3]
	s_cbranch_execnz .LBB72_460
.LBB72_440:
	s_or_b64 exec, exec, s[2:3]
	s_and_saveexec_b64 s[2:3], s[0:1]
	s_cbranch_execz .LBB72_442
.LBB72_441:
	v_lshlrev_b32_e32 v2, 24, v3
	v_and_b32_e32 v3, 0xffff, v3
	v_and_b32_e32 v4, 3, v3
	v_ffbh_u32_e32 v6, v4
	v_min_u32_e32 v6, 32, v6
	v_subrev_u32_e32 v7, 29, v6
	v_bfe_u32 v5, v3, 2, 5
	v_lshlrev_b32_e32 v3, v7, v3
	v_sub_u32_e32 v6, 30, v6
	v_and_b32_e32 v3, 3, v3
	v_cmp_eq_u32_e32 vcc, 0, v5
	v_and_b32_e32 v2, 0x80000000, v2
	s_nop 0
	v_cndmask_b32_e32 v5, v5, v6, vcc
	v_cndmask_b32_e32 v3, v4, v3, vcc
	v_mov_b32_e32 v4, 0x37800000
	v_lshlrev_b32_e32 v3, 21, v3
	v_lshl_add_u32 v4, v5, 23, v4
	v_or3_b32 v2, v2, v4, v3
	v_cvt_f16_f32_e32 v2, v2
.LBB72_442:
	s_or_b64 exec, exec, s[2:3]
	s_mov_b64 s[0:1], 0
	s_branch .LBB72_448
.LBB72_443:
	s_mov_b64 s[2:3], -1
                                        ; implicit-def: $vgpr2
	s_branch .LBB72_454
.LBB72_444:
	s_or_saveexec_b64 s[2:3], s[2:3]
	v_mov_b32_e32 v2, 0x7e00
	s_xor_b64 exec, exec, s[2:3]
	s_cbranch_execz .LBB72_427
.LBB72_445:
	v_cmp_ne_u16_e32 vcc, 0, v3
	s_andn2_b64 s[0:1], s[0:1], exec
	s_and_b64 s[4:5], vcc, exec
	s_or_b64 s[0:1], s[0:1], s[4:5]
	v_mov_b32_e32 v2, v3
	s_or_b64 exec, exec, s[2:3]
	s_and_saveexec_b64 s[2:3], s[0:1]
	s_cbranch_execnz .LBB72_428
	s_branch .LBB72_429
.LBB72_446:
	s_mov_b64 s[0:1], -1
                                        ; implicit-def: $vgpr2
	s_branch .LBB72_451
.LBB72_447:
	s_mov_b64 s[0:1], -1
                                        ; implicit-def: $vgpr2
.LBB72_448:
	s_and_b64 vcc, exec, s[0:1]
	s_cbranch_vccz .LBB72_450
; %bb.449:
	global_load_ubyte v2, v[0:1], off
	s_mov_b32 s0, 0x7f800000
	s_waitcnt vmcnt(0)
	v_lshlrev_b32_e32 v2, 24, v2
	v_and_b32_e32 v3, 0x7f000000, v2
	v_ffbh_u32_e32 v4, v3
	v_min_u32_e32 v4, 32, v4
	v_sub_u32_e64 v4, v4, 4 clamp
	v_lshlrev_b32_e32 v6, v4, v3
	v_lshlrev_b32_e32 v4, 23, v4
	v_lshrrev_b32_e32 v6, 4, v6
	v_add_u32_e32 v5, 0x1000000, v3
	v_sub_u32_e32 v4, v6, v4
	v_ashrrev_i32_e32 v5, 8, v5
	v_add_u32_e32 v4, 0x3c000000, v4
	v_and_or_b32 v4, v5, s0, v4
	v_cmp_ne_u32_e32 vcc, 0, v3
	s_brev_b32 s0, 1
	s_nop 0
	v_cndmask_b32_e32 v3, 0, v4, vcc
	v_and_or_b32 v2, v2, s0, v3
	v_cvt_f16_f32_e32 v2, v2
.LBB72_450:
	s_mov_b64 s[0:1], 0
.LBB72_451:
	s_andn2_b64 vcc, exec, s[0:1]
	s_cbranch_vccnz .LBB72_453
; %bb.452:
	global_load_ubyte v2, v[0:1], off
	s_movk_i32 s0, 0x7f00
	s_brev_b32 s1, 16
	s_waitcnt vmcnt(0)
	v_lshlrev_b16_e32 v3, 8, v2
	v_lshlrev_b32_e32 v2, 25, v2
	v_lshrrev_b32_e32 v4, 4, v2
	v_and_or_b32 v5, v3, s0, 0.5
	v_or_b32_e32 v4, 0x70000000, v4
	v_add_f32_e32 v5, -0.5, v5
	v_mul_f32_e32 v4, 0x7800000, v4
	v_cmp_gt_u32_e32 vcc, s1, v2
	v_bfe_i32 v3, v3, 0, 16
	s_brev_b32 s0, 1
	v_cndmask_b32_e32 v2, v4, v5, vcc
	v_and_or_b32 v2, v3, s0, v2
	v_cvt_f16_f32_e32 v2, v2
.LBB72_453:
	s_mov_b64 s[2:3], 0
	s_mov_b64 s[0:1], -1
.LBB72_454:
	s_andn2_b64 vcc, exec, s[2:3]
	s_cbranch_vccnz .LBB72_467
; %bb.455:
	s_cmp_gt_i32 s6, 14
	s_cbranch_scc0 .LBB72_458
; %bb.456:
	s_cmp_eq_u32 s6, 15
	s_cbranch_scc0 .LBB72_461
; %bb.457:
	global_load_ushort v2, v[0:1], off
	s_mov_b64 s[0:1], -1
	s_mov_b64 s[38:39], 0
	s_waitcnt vmcnt(0)
	v_lshlrev_b32_e32 v2, 16, v2
	v_cvt_f16_f32_e32 v2, v2
	s_branch .LBB72_462
.LBB72_458:
	s_mov_b64 s[2:3], -1
                                        ; implicit-def: $vgpr2
	s_branch .LBB72_463
.LBB72_459:
	s_or_saveexec_b64 s[2:3], s[2:3]
	v_mov_b32_e32 v2, 0x7e00
	s_xor_b64 exec, exec, s[2:3]
	s_cbranch_execz .LBB72_440
.LBB72_460:
	v_cmp_ne_u16_e32 vcc, 0, v3
	s_andn2_b64 s[0:1], s[0:1], exec
	s_and_b64 s[4:5], vcc, exec
	s_or_b64 s[0:1], s[0:1], s[4:5]
	v_mov_b32_e32 v2, v3
	s_or_b64 exec, exec, s[2:3]
	s_and_saveexec_b64 s[2:3], s[0:1]
	s_cbranch_execnz .LBB72_441
	s_branch .LBB72_442
.LBB72_461:
	s_mov_b64 s[38:39], -1
                                        ; implicit-def: $vgpr2
.LBB72_462:
	s_mov_b64 s[2:3], 0
.LBB72_463:
	s_and_b64 vcc, exec, s[2:3]
	s_cbranch_vccz .LBB72_467
; %bb.464:
	s_cmp_eq_u32 s6, 11
	s_cbranch_scc0 .LBB72_466
; %bb.465:
	global_load_ubyte v2, v[0:1], off
	v_mov_b32_e32 v3, 0x3c00
	s_mov_b64 s[0:1], -1
	s_mov_b64 s[38:39], 0
	s_waitcnt vmcnt(0)
	v_cmp_ne_u16_e32 vcc, 0, v2
	s_nop 1
	v_cndmask_b32_e32 v2, 0, v3, vcc
	s_branch .LBB72_467
.LBB72_466:
	s_mov_b64 s[38:39], -1
                                        ; implicit-def: $vgpr2
.LBB72_467:
	v_mov_b32_e32 v3, 0
.LBB72_468:
	s_branch .LBB72_268
.LBB72_469:
	s_cmp_lt_i32 s6, 5
	s_cbranch_scc1 .LBB72_474
; %bb.470:
	s_cmp_lt_i32 s6, 8
	s_cbranch_scc1 .LBB72_475
; %bb.471:
	;; [unrolled: 3-line block ×3, first 2 shown]
	s_cmp_gt_i32 s6, 9
	s_cbranch_scc0 .LBB72_477
; %bb.473:
	global_load_dwordx4 v[2:5], v[0:1], off
	s_movk_i32 s0, 0x1ff
	s_movk_i32 s1, 0xffe
	v_mov_b32_e32 v6, 0x7c00
	v_mov_b32_e32 v7, 0x7e00
	s_movk_i32 s2, 0x40f
	s_mov_b32 s3, 0x8000
	s_waitcnt vmcnt(0)
	v_and_or_b32 v2, v3, s0, v2
	v_and_or_b32 v4, v5, s0, v4
	v_cmp_ne_u32_e32 vcc, 0, v2
	v_lshrrev_b32_e32 v8, 8, v3
	v_bfe_u32 v9, v3, 20, 11
	v_cndmask_b32_e64 v2, 0, 1, vcc
	v_cmp_ne_u32_e32 vcc, 0, v4
	v_lshrrev_b32_e32 v10, 8, v5
	v_bfe_u32 v11, v5, 20, 11
	v_cndmask_b32_e64 v4, 0, 1, vcc
	v_and_or_b32 v2, v8, s1, v2
	v_sub_u32_e32 v12, 0x3f1, v9
	v_add_u32_e32 v9, 0xfffffc10, v9
	v_sub_u32_e32 v13, 0x3f1, v11
	v_and_or_b32 v4, v10, s1, v4
	v_cmp_ne_u32_e32 vcc, 0, v2
	v_add_u32_e32 v11, 0xfffffc10, v11
	v_med3_i32 v8, v12, 0, 13
	v_med3_i32 v10, v13, 0, 13
	v_or_b32_e32 v12, 0x1000, v2
	v_lshl_or_b32 v13, v9, 12, v2
	v_cndmask_b32_e32 v2, v6, v7, vcc
	v_cmp_ne_u32_e32 vcc, 0, v4
	v_or_b32_e32 v14, 0x1000, v4
	v_lshl_or_b32 v15, v11, 12, v4
	v_cndmask_b32_e32 v4, v6, v7, vcc
	v_lshrrev_b32_e32 v7, v8, v12
	v_lshrrev_b32_e32 v16, v10, v14
	v_lshlrev_b32_e32 v8, v8, v7
	v_lshlrev_b32_e32 v10, v10, v16
	v_cmp_ne_u32_e32 vcc, v8, v12
	v_lshrrev_b32_e32 v3, 16, v3
	v_lshrrev_b32_e32 v5, 16, v5
	v_cndmask_b32_e64 v8, 0, 1, vcc
	v_cmp_ne_u32_e32 vcc, v10, v14
	v_or_b32_e32 v7, v7, v8
	s_mov_b64 s[0:1], 0
	v_cndmask_b32_e64 v10, 0, 1, vcc
	v_cmp_gt_i32_e32 vcc, 1, v9
	v_or_b32_e32 v8, v16, v10
	s_nop 0
	v_cndmask_b32_e32 v7, v13, v7, vcc
	v_cmp_gt_i32_e32 vcc, 1, v11
	v_and_b32_e32 v10, 7, v7
	v_lshrrev_b32_e32 v7, 2, v7
	v_cndmask_b32_e32 v8, v15, v8, vcc
	v_cmp_lt_i32_e32 vcc, 5, v10
	v_and_b32_e32 v12, 7, v8
	v_lshrrev_b32_e32 v8, 2, v8
	v_cndmask_b32_e64 v13, 0, 1, vcc
	v_cmp_eq_u32_e32 vcc, 3, v10
	s_nop 1
	v_cndmask_b32_e64 v10, 0, 1, vcc
	v_cmp_lt_i32_e32 vcc, 5, v12
	v_or_b32_e32 v10, v10, v13
	v_add_u32_e32 v7, v7, v10
	v_cndmask_b32_e64 v14, 0, 1, vcc
	v_cmp_eq_u32_e32 vcc, 3, v12
	s_nop 1
	v_cndmask_b32_e64 v12, 0, 1, vcc
	v_or_b32_e32 v12, v12, v14
	v_cmp_gt_i32_e32 vcc, 31, v9
	v_add_u32_e32 v8, v8, v12
	s_nop 0
	v_cndmask_b32_e32 v7, v6, v7, vcc
	v_cmp_gt_i32_e32 vcc, 31, v11
	s_nop 1
	v_cndmask_b32_e32 v6, v6, v8, vcc
	v_cmp_eq_u32_e32 vcc, s2, v9
	s_nop 1
	v_cndmask_b32_e32 v2, v7, v2, vcc
	v_cmp_eq_u32_e32 vcc, s2, v11
	v_and_or_b32 v2, v3, s3, v2
	s_nop 0
	v_cndmask_b32_e32 v4, v6, v4, vcc
	v_and_or_b32 v3, v5, s3, v4
	s_branch .LBB72_478
.LBB72_474:
	s_mov_b64 s[0:1], -1
                                        ; implicit-def: $vgpr3
                                        ; implicit-def: $vgpr2
	s_branch .LBB72_497
.LBB72_475:
	s_mov_b64 s[0:1], -1
                                        ; implicit-def: $vgpr3
                                        ; implicit-def: $vgpr2
	s_branch .LBB72_484
.LBB72_476:
	s_mov_b64 s[0:1], -1
                                        ; implicit-def: $vgpr3
                                        ; implicit-def: $vgpr2
	s_branch .LBB72_481
.LBB72_477:
	s_mov_b64 s[0:1], -1
                                        ; implicit-def: $vgpr3
                                        ; implicit-def: $vgpr2
.LBB72_478:
	s_andn2_b64 vcc, exec, s[0:1]
	s_cbranch_vccnz .LBB72_480
; %bb.479:
	global_load_dwordx2 v[2:3], v[0:1], off
	s_waitcnt vmcnt(0)
	v_cvt_f16_f32_e32 v2, v2
	v_cvt_f16_f32_e32 v3, v3
.LBB72_480:
	s_mov_b64 s[0:1], 0
.LBB72_481:
	s_andn2_b64 vcc, exec, s[0:1]
	s_cbranch_vccnz .LBB72_483
; %bb.482:
	global_load_dword v2, v[0:1], off
	s_waitcnt vmcnt(0)
	v_lshrrev_b32_e32 v3, 16, v2
.LBB72_483:
	s_mov_b64 s[0:1], 0
.LBB72_484:
	s_andn2_b64 vcc, exec, s[0:1]
	s_cbranch_vccnz .LBB72_496
; %bb.485:
	s_cmp_lt_i32 s6, 6
	s_cbranch_scc1 .LBB72_488
; %bb.486:
	s_cmp_gt_i32 s6, 6
	s_cbranch_scc0 .LBB72_489
; %bb.487:
	global_load_dwordx2 v[2:3], v[0:1], off
	s_movk_i32 s0, 0x1ff
	s_movk_i32 s1, 0xffe
	v_mov_b32_e32 v4, 0x7c00
	v_mov_b32_e32 v5, 0x7e00
	s_movk_i32 s2, 0x40f
	s_mov_b32 s3, 0x8000
	s_waitcnt vmcnt(0)
	v_and_or_b32 v2, v3, s0, v2
	v_cmp_ne_u32_e32 vcc, 0, v2
	v_lshrrev_b32_e32 v6, 8, v3
	v_bfe_u32 v7, v3, 20, 11
	v_cndmask_b32_e64 v2, 0, 1, vcc
	v_sub_u32_e32 v8, 0x3f1, v7
	v_and_or_b32 v2, v6, s1, v2
	v_add_u32_e32 v7, 0xfffffc10, v7
	v_med3_i32 v6, v8, 0, 13
	v_or_b32_e32 v8, 0x1000, v2
	v_cmp_ne_u32_e32 vcc, 0, v2
	v_lshl_or_b32 v9, v7, 12, v2
	v_lshrrev_b32_e32 v3, 16, v3
	v_cndmask_b32_e32 v2, v4, v5, vcc
	v_lshrrev_b32_e32 v5, v6, v8
	v_lshlrev_b32_e32 v6, v6, v5
	v_cmp_ne_u32_e32 vcc, v6, v8
	s_mov_b64 s[0:1], 0
	s_nop 0
	v_cndmask_b32_e64 v6, 0, 1, vcc
	v_or_b32_e32 v5, v5, v6
	v_cmp_gt_i32_e32 vcc, 1, v7
	s_nop 1
	v_cndmask_b32_e32 v5, v9, v5, vcc
	v_and_b32_e32 v6, 7, v5
	v_cmp_lt_i32_e32 vcc, 5, v6
	v_lshrrev_b32_e32 v5, 2, v5
	s_nop 0
	v_cndmask_b32_e64 v8, 0, 1, vcc
	v_cmp_eq_u32_e32 vcc, 3, v6
	s_nop 1
	v_cndmask_b32_e64 v6, 0, 1, vcc
	v_or_b32_e32 v6, v6, v8
	v_add_u32_e32 v5, v5, v6
	v_cmp_gt_i32_e32 vcc, 31, v7
	s_nop 1
	v_cndmask_b32_e32 v4, v4, v5, vcc
	v_cmp_eq_u32_e32 vcc, s2, v7
	s_nop 1
	v_cndmask_b32_e32 v2, v4, v2, vcc
	v_and_or_b32 v2, v3, s3, v2
	s_branch .LBB72_490
.LBB72_488:
	s_mov_b64 s[0:1], -1
                                        ; implicit-def: $vgpr2
	s_branch .LBB72_493
.LBB72_489:
	s_mov_b64 s[0:1], -1
                                        ; implicit-def: $vgpr2
.LBB72_490:
	s_andn2_b64 vcc, exec, s[0:1]
	s_cbranch_vccnz .LBB72_492
; %bb.491:
	global_load_dword v2, v[0:1], off
	s_waitcnt vmcnt(0)
	v_cvt_f16_f32_e32 v2, v2
.LBB72_492:
	s_mov_b64 s[0:1], 0
.LBB72_493:
	s_andn2_b64 vcc, exec, s[0:1]
	s_cbranch_vccnz .LBB72_495
; %bb.494:
	global_load_ushort v2, v[0:1], off
.LBB72_495:
	v_mov_b32_e32 v3, 0
.LBB72_496:
	s_mov_b64 s[0:1], 0
.LBB72_497:
	s_andn2_b64 vcc, exec, s[0:1]
	s_cbranch_vccnz .LBB72_518
; %bb.498:
	s_cmp_lt_i32 s6, 2
	s_cbranch_scc1 .LBB72_502
; %bb.499:
	s_cmp_lt_i32 s6, 3
	s_cbranch_scc1 .LBB72_503
; %bb.500:
	s_cmp_gt_i32 s6, 3
	s_cbranch_scc0 .LBB72_504
; %bb.501:
	global_load_dwordx2 v[2:3], v[0:1], off
	s_mov_b64 s[0:1], 0
	s_waitcnt vmcnt(0)
	v_xor_b32_e32 v5, v2, v3
	v_ffbh_i32_e32 v4, v3
	v_ashrrev_i32_e32 v5, 31, v5
	v_add_u32_e32 v4, -1, v4
	v_add_u32_e32 v5, 32, v5
	v_min_u32_e32 v4, v4, v5
	v_lshlrev_b64 v[2:3], v4, v[2:3]
	v_min_u32_e32 v2, 1, v2
	v_or_b32_e32 v2, v3, v2
	v_cvt_f32_i32_e32 v2, v2
	v_sub_u32_e32 v3, 32, v4
	v_ldexp_f32 v2, v2, v3
	v_cvt_f16_f32_e32 v2, v2
	s_branch .LBB72_505
.LBB72_502:
	s_mov_b64 s[0:1], -1
                                        ; implicit-def: $vgpr2
	s_branch .LBB72_511
.LBB72_503:
	s_mov_b64 s[0:1], -1
                                        ; implicit-def: $vgpr2
	s_branch .LBB72_508
.LBB72_504:
	s_mov_b64 s[0:1], -1
                                        ; implicit-def: $vgpr2
.LBB72_505:
	s_andn2_b64 vcc, exec, s[0:1]
	s_cbranch_vccnz .LBB72_507
; %bb.506:
	global_load_dword v2, v[0:1], off
	s_waitcnt vmcnt(0)
	v_cvt_f32_i32_e32 v2, v2
	v_cvt_f16_f32_e32 v2, v2
.LBB72_507:
	s_mov_b64 s[0:1], 0
.LBB72_508:
	s_andn2_b64 vcc, exec, s[0:1]
	s_cbranch_vccnz .LBB72_510
; %bb.509:
	global_load_ushort v2, v[0:1], off
	s_waitcnt vmcnt(0)
	v_cvt_f16_i16_e32 v2, v2
.LBB72_510:
	s_mov_b64 s[0:1], 0
.LBB72_511:
	s_andn2_b64 vcc, exec, s[0:1]
	s_cbranch_vccnz .LBB72_517
; %bb.512:
	s_cmp_gt_i32 s6, 0
	s_cbranch_scc0 .LBB72_514
; %bb.513:
	global_load_sbyte v2, v[0:1], off
	s_mov_b64 s[0:1], 0
	s_waitcnt vmcnt(0)
	v_cvt_f16_i16_e32 v2, v2
	s_branch .LBB72_515
.LBB72_514:
	s_mov_b64 s[0:1], -1
                                        ; implicit-def: $vgpr2
.LBB72_515:
	s_andn2_b64 vcc, exec, s[0:1]
	s_cbranch_vccnz .LBB72_517
; %bb.516:
	global_load_ubyte v0, v[0:1], off
	s_waitcnt vmcnt(0)
	v_cvt_f16_u16_e32 v2, v0
.LBB72_517:
	v_mov_b32_e32 v3, 0
.LBB72_518:
	s_branch .LBB72_269
.LBB72_519:
	s_mov_b64 s[2:3], 0
                                        ; implicit-def: $vgpr21
	s_mov_b64 s[0:1], s[28:29]
.LBB72_520:
	s_andn2_b64 s[4:5], s[28:29], exec
	s_and_b64 s[0:1], s[0:1], exec
	s_or_b64 s[40:41], s[4:5], s[0:1]
	s_andn2_b64 s[0:1], s[34:35], exec
	s_and_b64 s[4:5], s[38:39], exec
	s_or_b64 s[38:39], s[0:1], s[4:5]
	s_orn2_b64 s[0:1], s[2:3], exec
.LBB72_521:
	s_or_b64 exec, exec, s[42:43]
	s_mov_b64 s[2:3], 0
	s_mov_b64 s[4:5], 0
	;; [unrolled: 1-line block ×3, first 2 shown]
                                        ; implicit-def: $vgpr0_vgpr1
                                        ; implicit-def: $vgpr5
                                        ; implicit-def: $vgpr2
	s_and_saveexec_b64 s[42:43], s[0:1]
	s_cbranch_execz .LBB72_874
; %bb.522:
	v_cmp_gt_i32_e32 vcc, s49, v21
	s_mov_b64 s[10:11], -1
	s_mov_b64 s[0:1], s[38:39]
	s_mov_b64 s[2:3], s[40:41]
	s_and_saveexec_b64 s[44:45], vcc
	s_cbranch_execz .LBB72_785
; %bb.523:
	v_mul_lo_u32 v0, v21, s19
	v_ashrrev_i32_e32 v1, 31, v0
	s_and_b32 s6, 0xffff, s48
	s_cmp_lt_i32 s6, 11
	v_lshl_add_u64 v[0:1], s[22:23], 0, v[0:1]
	s_cbranch_scc1 .LBB72_530
; %bb.524:
	s_cmp_gt_i32 s6, 25
	s_cbranch_scc0 .LBB72_531
; %bb.525:
	s_cmp_gt_i32 s6, 28
	s_cbranch_scc0 .LBB72_532
	;; [unrolled: 3-line block ×4, first 2 shown]
; %bb.528:
	s_cmp_eq_u32 s6, 46
	s_mov_b64 s[2:3], 0
	s_cbranch_scc0 .LBB72_539
; %bb.529:
	global_load_dword v2, v[0:1], off
	s_mov_b64 s[0:1], -1
	s_mov_b64 s[46:47], 0
	s_waitcnt vmcnt(0)
	v_and_b32_e32 v3, 0xffff0000, v2
	v_lshlrev_b32_e32 v2, 16, v2
	v_cvt_f16_f32_e32 v2, v2
	v_cvt_f16_f32_e32 v3, v3
	s_branch .LBB72_540
.LBB72_530:
	s_mov_b64 s[2:3], -1
	s_mov_b64 s[0:1], 0
                                        ; implicit-def: $vgpr3
                                        ; implicit-def: $vgpr2
	s_mov_b64 s[46:47], s[38:39]
	s_branch .LBB72_608
.LBB72_531:
	s_mov_b64 s[2:3], -1
	s_mov_b64 s[0:1], 0
	s_mov_b64 s[46:47], s[38:39]
                                        ; implicit-def: $vgpr3
                                        ; implicit-def: $vgpr2
	s_branch .LBB72_571
.LBB72_532:
	s_mov_b64 s[2:3], -1
	s_mov_b64 s[0:1], 0
	s_mov_b64 s[46:47], s[38:39]
                                        ; implicit-def: $vgpr3
                                        ; implicit-def: $vgpr2
	s_branch .LBB72_552
.LBB72_533:
	s_mov_b64 s[2:3], -1
	s_mov_b64 s[0:1], 0
	s_mov_b64 s[46:47], s[38:39]
                                        ; implicit-def: $vgpr3
                                        ; implicit-def: $vgpr2
	s_branch .LBB72_546
.LBB72_534:
	s_andn2_saveexec_b64 s[6:7], s[6:7]
	s_cbranch_execz .LBB72_314
.LBB72_535:
	s_mov_b32 s10, 0x46000000
	v_add_f32_e64 v6, |v3|, s10
	v_and_b32_e32 v6, 0xff, v6
	v_cmp_ne_u32_e32 vcc, 0, v6
	s_andn2_b64 s[4:5], s[4:5], exec
	s_and_b64 s[10:11], vcc, exec
	s_or_b64 s[4:5], s[4:5], s[10:11]
	s_or_b64 exec, exec, s[6:7]
	v_mov_b32_e32 v7, 0
	s_and_saveexec_b64 s[6:7], s[4:5]
	s_cbranch_execnz .LBB72_315
	s_branch .LBB72_316
.LBB72_536:
	s_mov_b64 s[2:3], -1
	s_mov_b64 s[0:1], 0
	s_mov_b64 s[46:47], s[38:39]
                                        ; implicit-def: $vgpr3
                                        ; implicit-def: $vgpr2
	s_branch .LBB72_540
.LBB72_537:
	s_andn2_saveexec_b64 s[6:7], s[6:7]
	s_cbranch_execz .LBB72_327
.LBB72_538:
	s_mov_b32 s10, 0x42800000
	v_add_f32_e64 v6, |v3|, s10
	v_and_b32_e32 v6, 0xff, v6
	v_cmp_ne_u32_e32 vcc, 0, v6
	s_andn2_b64 s[4:5], s[4:5], exec
	s_and_b64 s[10:11], vcc, exec
	s_or_b64 s[4:5], s[4:5], s[10:11]
	s_or_b64 exec, exec, s[6:7]
	v_mov_b32_e32 v7, 0
	s_and_saveexec_b64 s[6:7], s[4:5]
	s_cbranch_execnz .LBB72_328
	s_branch .LBB72_329
.LBB72_539:
	s_mov_b64 s[46:47], -1
                                        ; implicit-def: $vgpr3
                                        ; implicit-def: $vgpr2
	s_mov_b64 s[0:1], 0
.LBB72_540:
	s_and_b64 vcc, exec, s[2:3]
	s_cbranch_vccz .LBB72_545
; %bb.541:
	s_cmp_eq_u32 s6, 44
	s_cbranch_scc0 .LBB72_543
; %bb.542:
	global_load_ubyte v2, v[0:1], off
	s_movk_i32 s2, 0xff
	v_mov_b32_e32 v4, 0x7e00
	s_mov_b64 s[0:1], -1
	s_mov_b64 s[46:47], 0
	s_waitcnt vmcnt(0)
	v_lshlrev_b32_e32 v3, 23, v2
	v_cvt_f16_f32_e32 v3, v3
	v_cmp_ne_u32_e32 vcc, s2, v2
	s_nop 1
	v_cndmask_b32_e32 v3, v4, v3, vcc
	v_cmp_ne_u32_e32 vcc, 0, v2
	s_nop 1
	v_cndmask_b32_e32 v2, 0, v3, vcc
	s_branch .LBB72_544
.LBB72_543:
	s_mov_b64 s[46:47], -1
                                        ; implicit-def: $vgpr2
.LBB72_544:
	v_mov_b32_e32 v3, 0
.LBB72_545:
	s_mov_b64 s[2:3], 0
.LBB72_546:
	s_and_b64 vcc, exec, s[2:3]
	s_cbranch_vccz .LBB72_551
; %bb.547:
	s_cmp_eq_u32 s6, 29
	s_cbranch_scc0 .LBB72_549
; %bb.548:
	global_load_dwordx2 v[2:3], v[0:1], off
	s_mov_b64 s[0:1], -1
	s_mov_b64 s[46:47], 0
	s_waitcnt vmcnt(0)
	v_ffbh_u32_e32 v4, v3
	v_min_u32_e32 v4, 32, v4
	v_lshlrev_b64 v[2:3], v4, v[2:3]
	v_min_u32_e32 v2, 1, v2
	v_or_b32_e32 v2, v3, v2
	v_cvt_f32_u32_e32 v2, v2
	v_sub_u32_e32 v3, 32, v4
	v_ldexp_f32 v2, v2, v3
	v_cvt_f16_f32_e32 v2, v2
	s_branch .LBB72_550
.LBB72_549:
	s_mov_b64 s[46:47], -1
                                        ; implicit-def: $vgpr2
.LBB72_550:
	v_mov_b32_e32 v3, 0
.LBB72_551:
	s_mov_b64 s[2:3], 0
.LBB72_552:
	s_and_b64 vcc, exec, s[2:3]
	s_cbranch_vccz .LBB72_570
; %bb.553:
	s_cmp_lt_i32 s6, 27
	s_cbranch_scc1 .LBB72_556
; %bb.554:
	s_cmp_gt_i32 s6, 27
	s_cbranch_scc0 .LBB72_557
; %bb.555:
	global_load_dword v2, v[0:1], off
	s_mov_b64 s[0:1], 0
	s_waitcnt vmcnt(0)
	v_cvt_f32_u32_e32 v2, v2
	v_cvt_f16_f32_e32 v2, v2
	s_branch .LBB72_558
.LBB72_556:
	s_mov_b64 s[0:1], -1
                                        ; implicit-def: $vgpr2
	s_branch .LBB72_561
.LBB72_557:
	s_mov_b64 s[0:1], -1
                                        ; implicit-def: $vgpr2
.LBB72_558:
	s_andn2_b64 vcc, exec, s[0:1]
	s_cbranch_vccnz .LBB72_560
; %bb.559:
	global_load_ushort v2, v[0:1], off
	s_waitcnt vmcnt(0)
	v_cvt_f16_u16_e32 v2, v2
.LBB72_560:
	s_mov_b64 s[0:1], 0
.LBB72_561:
	s_andn2_b64 vcc, exec, s[0:1]
	s_cbranch_vccnz .LBB72_569
; %bb.562:
	global_load_ubyte v3, v[0:1], off
	s_movk_i32 s0, 0x7f
	s_waitcnt vmcnt(0)
	v_cmp_lt_i16_e32 vcc, s0, v3
	s_mov_b64 s[0:1], 0
	s_and_saveexec_b64 s[2:3], vcc
	s_xor_b64 s[2:3], exec, s[2:3]
	s_cbranch_execz .LBB72_583
; %bb.563:
	s_movk_i32 s0, 0x80
	v_cmp_eq_u16_e32 vcc, s0, v3
	s_mov_b64 s[0:1], -1
	s_and_saveexec_b64 s[4:5], vcc
; %bb.564:
	s_xor_b64 s[0:1], exec, -1
; %bb.565:
	s_or_b64 exec, exec, s[4:5]
	s_and_b64 s[0:1], s[0:1], exec
	s_or_saveexec_b64 s[2:3], s[2:3]
	v_mov_b32_e32 v2, 0x7e00
	s_xor_b64 exec, exec, s[2:3]
	s_cbranch_execnz .LBB72_584
.LBB72_566:
	s_or_b64 exec, exec, s[2:3]
	s_and_saveexec_b64 s[2:3], s[0:1]
	s_cbranch_execz .LBB72_568
.LBB72_567:
	v_lshlrev_b32_e32 v2, 24, v3
	v_and_b32_e32 v3, 0xffff, v3
	v_and_b32_e32 v4, 7, v3
	v_ffbh_u32_e32 v6, v4
	v_min_u32_e32 v6, 32, v6
	v_subrev_u32_e32 v7, 28, v6
	v_bfe_u32 v5, v3, 3, 4
	v_lshlrev_b32_e32 v3, v7, v3
	v_sub_u32_e32 v6, 29, v6
	v_and_b32_e32 v3, 7, v3
	v_cmp_eq_u32_e32 vcc, 0, v5
	v_and_b32_e32 v2, 0x80000000, v2
	s_nop 0
	v_cndmask_b32_e32 v5, v5, v6, vcc
	v_cndmask_b32_e32 v3, v4, v3, vcc
	v_mov_b32_e32 v4, 0x3b800000
	v_lshlrev_b32_e32 v3, 20, v3
	v_lshl_add_u32 v4, v5, 23, v4
	v_or3_b32 v2, v2, v4, v3
	v_cvt_f16_f32_e32 v2, v2
.LBB72_568:
	s_or_b64 exec, exec, s[2:3]
.LBB72_569:
	s_mov_b64 s[0:1], -1
	v_mov_b32_e32 v3, 0
.LBB72_570:
	s_mov_b64 s[2:3], 0
.LBB72_571:
	s_and_b64 vcc, exec, s[2:3]
	s_cbranch_vccz .LBB72_607
; %bb.572:
	s_cmp_gt_i32 s6, 22
	s_cbranch_scc0 .LBB72_582
; %bb.573:
	s_cmp_lt_i32 s6, 24
	s_cbranch_scc1 .LBB72_585
; %bb.574:
	s_cmp_gt_i32 s6, 24
	s_cbranch_scc0 .LBB72_586
; %bb.575:
	global_load_ubyte v3, v[0:1], off
	s_movk_i32 s0, 0x7f
	s_waitcnt vmcnt(0)
	v_cmp_lt_i16_e32 vcc, s0, v3
	s_mov_b64 s[0:1], 0
	s_and_saveexec_b64 s[2:3], vcc
	s_xor_b64 s[2:3], exec, s[2:3]
	s_cbranch_execz .LBB72_598
; %bb.576:
	s_movk_i32 s0, 0x80
	v_cmp_eq_u16_e32 vcc, s0, v3
	s_mov_b64 s[0:1], -1
	s_and_saveexec_b64 s[4:5], vcc
; %bb.577:
	s_xor_b64 s[0:1], exec, -1
; %bb.578:
	s_or_b64 exec, exec, s[4:5]
	s_and_b64 s[0:1], s[0:1], exec
	s_or_saveexec_b64 s[2:3], s[2:3]
	v_mov_b32_e32 v2, 0x7e00
	s_xor_b64 exec, exec, s[2:3]
	s_cbranch_execnz .LBB72_599
.LBB72_579:
	s_or_b64 exec, exec, s[2:3]
	s_and_saveexec_b64 s[2:3], s[0:1]
	s_cbranch_execz .LBB72_581
.LBB72_580:
	v_lshlrev_b32_e32 v2, 24, v3
	v_and_b32_e32 v3, 0xffff, v3
	v_and_b32_e32 v4, 3, v3
	v_ffbh_u32_e32 v6, v4
	v_min_u32_e32 v6, 32, v6
	v_subrev_u32_e32 v7, 29, v6
	v_bfe_u32 v5, v3, 2, 5
	v_lshlrev_b32_e32 v3, v7, v3
	v_sub_u32_e32 v6, 30, v6
	v_and_b32_e32 v3, 3, v3
	v_cmp_eq_u32_e32 vcc, 0, v5
	v_and_b32_e32 v2, 0x80000000, v2
	s_nop 0
	v_cndmask_b32_e32 v5, v5, v6, vcc
	v_cndmask_b32_e32 v3, v4, v3, vcc
	v_mov_b32_e32 v4, 0x37800000
	v_lshlrev_b32_e32 v3, 21, v3
	v_lshl_add_u32 v4, v5, 23, v4
	v_or3_b32 v2, v2, v4, v3
	v_cvt_f16_f32_e32 v2, v2
.LBB72_581:
	s_or_b64 exec, exec, s[2:3]
	s_mov_b64 s[0:1], 0
	s_branch .LBB72_587
.LBB72_582:
	s_mov_b64 s[2:3], -1
                                        ; implicit-def: $vgpr2
	s_branch .LBB72_593
.LBB72_583:
	s_or_saveexec_b64 s[2:3], s[2:3]
	v_mov_b32_e32 v2, 0x7e00
	s_xor_b64 exec, exec, s[2:3]
	s_cbranch_execz .LBB72_566
.LBB72_584:
	v_cmp_ne_u16_e32 vcc, 0, v3
	s_andn2_b64 s[0:1], s[0:1], exec
	s_and_b64 s[4:5], vcc, exec
	s_or_b64 s[0:1], s[0:1], s[4:5]
	v_mov_b32_e32 v2, v3
	s_or_b64 exec, exec, s[2:3]
	s_and_saveexec_b64 s[2:3], s[0:1]
	s_cbranch_execnz .LBB72_567
	s_branch .LBB72_568
.LBB72_585:
	s_mov_b64 s[0:1], -1
                                        ; implicit-def: $vgpr2
	s_branch .LBB72_590
.LBB72_586:
	s_mov_b64 s[0:1], -1
                                        ; implicit-def: $vgpr2
.LBB72_587:
	s_and_b64 vcc, exec, s[0:1]
	s_cbranch_vccz .LBB72_589
; %bb.588:
	global_load_ubyte v2, v[0:1], off
	s_mov_b32 s0, 0x7f800000
	s_waitcnt vmcnt(0)
	v_lshlrev_b32_e32 v2, 24, v2
	v_and_b32_e32 v3, 0x7f000000, v2
	v_ffbh_u32_e32 v4, v3
	v_min_u32_e32 v4, 32, v4
	v_sub_u32_e64 v4, v4, 4 clamp
	v_lshlrev_b32_e32 v6, v4, v3
	v_lshlrev_b32_e32 v4, 23, v4
	v_lshrrev_b32_e32 v6, 4, v6
	v_add_u32_e32 v5, 0x1000000, v3
	v_sub_u32_e32 v4, v6, v4
	v_ashrrev_i32_e32 v5, 8, v5
	v_add_u32_e32 v4, 0x3c000000, v4
	v_and_or_b32 v4, v5, s0, v4
	v_cmp_ne_u32_e32 vcc, 0, v3
	s_brev_b32 s0, 1
	s_nop 0
	v_cndmask_b32_e32 v3, 0, v4, vcc
	v_and_or_b32 v2, v2, s0, v3
	v_cvt_f16_f32_e32 v2, v2
.LBB72_589:
	s_mov_b64 s[0:1], 0
.LBB72_590:
	s_andn2_b64 vcc, exec, s[0:1]
	s_cbranch_vccnz .LBB72_592
; %bb.591:
	global_load_ubyte v2, v[0:1], off
	s_movk_i32 s0, 0x7f00
	s_brev_b32 s1, 16
	s_waitcnt vmcnt(0)
	v_lshlrev_b16_e32 v3, 8, v2
	v_lshlrev_b32_e32 v2, 25, v2
	v_lshrrev_b32_e32 v4, 4, v2
	v_and_or_b32 v5, v3, s0, 0.5
	v_or_b32_e32 v4, 0x70000000, v4
	v_add_f32_e32 v5, -0.5, v5
	v_mul_f32_e32 v4, 0x7800000, v4
	v_cmp_gt_u32_e32 vcc, s1, v2
	v_bfe_i32 v3, v3, 0, 16
	s_brev_b32 s0, 1
	v_cndmask_b32_e32 v2, v4, v5, vcc
	v_and_or_b32 v2, v3, s0, v2
	v_cvt_f16_f32_e32 v2, v2
.LBB72_592:
	s_mov_b64 s[2:3], 0
	s_mov_b64 s[0:1], -1
.LBB72_593:
	s_andn2_b64 vcc, exec, s[2:3]
	s_cbranch_vccnz .LBB72_606
; %bb.594:
	s_cmp_gt_i32 s6, 14
	s_cbranch_scc0 .LBB72_597
; %bb.595:
	s_cmp_eq_u32 s6, 15
	s_cbranch_scc0 .LBB72_600
; %bb.596:
	global_load_ushort v2, v[0:1], off
	s_mov_b64 s[0:1], -1
	s_mov_b64 s[46:47], 0
	s_waitcnt vmcnt(0)
	v_lshlrev_b32_e32 v2, 16, v2
	v_cvt_f16_f32_e32 v2, v2
	s_branch .LBB72_601
.LBB72_597:
	s_mov_b64 s[2:3], -1
                                        ; implicit-def: $vgpr2
	s_branch .LBB72_602
.LBB72_598:
	s_or_saveexec_b64 s[2:3], s[2:3]
	v_mov_b32_e32 v2, 0x7e00
	s_xor_b64 exec, exec, s[2:3]
	s_cbranch_execz .LBB72_579
.LBB72_599:
	v_cmp_ne_u16_e32 vcc, 0, v3
	s_andn2_b64 s[0:1], s[0:1], exec
	s_and_b64 s[4:5], vcc, exec
	s_or_b64 s[0:1], s[0:1], s[4:5]
	v_mov_b32_e32 v2, v3
	s_or_b64 exec, exec, s[2:3]
	s_and_saveexec_b64 s[2:3], s[0:1]
	s_cbranch_execnz .LBB72_580
	s_branch .LBB72_581
.LBB72_600:
	s_mov_b64 s[46:47], -1
                                        ; implicit-def: $vgpr2
.LBB72_601:
	s_mov_b64 s[2:3], 0
.LBB72_602:
	s_and_b64 vcc, exec, s[2:3]
	s_cbranch_vccz .LBB72_606
; %bb.603:
	s_cmp_eq_u32 s6, 11
	s_cbranch_scc0 .LBB72_605
; %bb.604:
	global_load_ubyte v2, v[0:1], off
	v_mov_b32_e32 v3, 0x3c00
	s_mov_b64 s[0:1], -1
	s_mov_b64 s[46:47], 0
	s_waitcnt vmcnt(0)
	v_cmp_ne_u16_e32 vcc, 0, v2
	s_nop 1
	v_cndmask_b32_e32 v2, 0, v3, vcc
	s_branch .LBB72_606
.LBB72_605:
	s_mov_b64 s[46:47], -1
                                        ; implicit-def: $vgpr2
.LBB72_606:
	v_mov_b32_e32 v3, 0
.LBB72_607:
	s_mov_b64 s[2:3], 0
.LBB72_608:
	s_and_b64 vcc, exec, s[2:3]
	s_cbranch_vccz .LBB72_659
; %bb.609:
	s_cmp_lt_i32 s6, 5
	s_cbranch_scc1 .LBB72_614
; %bb.610:
	s_cmp_lt_i32 s6, 8
	s_cbranch_scc1 .LBB72_615
	;; [unrolled: 3-line block ×3, first 2 shown]
; %bb.612:
	s_cmp_gt_i32 s6, 9
	s_cbranch_scc0 .LBB72_617
; %bb.613:
	global_load_dwordx4 v[2:5], v[0:1], off
	s_movk_i32 s0, 0x1ff
	s_movk_i32 s1, 0xffe
	v_mov_b32_e32 v6, 0x7c00
	v_mov_b32_e32 v7, 0x7e00
	s_movk_i32 s2, 0x40f
	s_mov_b32 s3, 0x8000
	s_waitcnt vmcnt(0)
	v_and_or_b32 v2, v3, s0, v2
	v_and_or_b32 v4, v5, s0, v4
	v_cmp_ne_u32_e32 vcc, 0, v2
	v_lshrrev_b32_e32 v8, 8, v3
	v_bfe_u32 v9, v3, 20, 11
	v_cndmask_b32_e64 v2, 0, 1, vcc
	v_cmp_ne_u32_e32 vcc, 0, v4
	v_lshrrev_b32_e32 v10, 8, v5
	v_bfe_u32 v11, v5, 20, 11
	v_cndmask_b32_e64 v4, 0, 1, vcc
	v_and_or_b32 v2, v8, s1, v2
	v_sub_u32_e32 v12, 0x3f1, v9
	v_add_u32_e32 v9, 0xfffffc10, v9
	v_sub_u32_e32 v13, 0x3f1, v11
	v_and_or_b32 v4, v10, s1, v4
	v_cmp_ne_u32_e32 vcc, 0, v2
	v_add_u32_e32 v11, 0xfffffc10, v11
	v_med3_i32 v8, v12, 0, 13
	v_med3_i32 v10, v13, 0, 13
	v_or_b32_e32 v12, 0x1000, v2
	v_lshl_or_b32 v13, v9, 12, v2
	v_cndmask_b32_e32 v2, v6, v7, vcc
	v_cmp_ne_u32_e32 vcc, 0, v4
	v_or_b32_e32 v14, 0x1000, v4
	v_lshl_or_b32 v15, v11, 12, v4
	v_cndmask_b32_e32 v4, v6, v7, vcc
	v_lshrrev_b32_e32 v7, v8, v12
	v_lshrrev_b32_e32 v16, v10, v14
	v_lshlrev_b32_e32 v8, v8, v7
	v_lshlrev_b32_e32 v10, v10, v16
	v_cmp_ne_u32_e32 vcc, v8, v12
	v_lshrrev_b32_e32 v3, 16, v3
	v_lshrrev_b32_e32 v5, 16, v5
	v_cndmask_b32_e64 v8, 0, 1, vcc
	v_cmp_ne_u32_e32 vcc, v10, v14
	v_or_b32_e32 v7, v7, v8
	s_mov_b64 s[0:1], 0
	v_cndmask_b32_e64 v10, 0, 1, vcc
	v_cmp_gt_i32_e32 vcc, 1, v9
	v_or_b32_e32 v8, v16, v10
	s_nop 0
	v_cndmask_b32_e32 v7, v13, v7, vcc
	v_cmp_gt_i32_e32 vcc, 1, v11
	v_and_b32_e32 v10, 7, v7
	v_lshrrev_b32_e32 v7, 2, v7
	v_cndmask_b32_e32 v8, v15, v8, vcc
	v_cmp_lt_i32_e32 vcc, 5, v10
	v_and_b32_e32 v12, 7, v8
	v_lshrrev_b32_e32 v8, 2, v8
	v_cndmask_b32_e64 v13, 0, 1, vcc
	v_cmp_eq_u32_e32 vcc, 3, v10
	s_nop 1
	v_cndmask_b32_e64 v10, 0, 1, vcc
	v_cmp_lt_i32_e32 vcc, 5, v12
	v_or_b32_e32 v10, v10, v13
	v_add_u32_e32 v7, v7, v10
	v_cndmask_b32_e64 v14, 0, 1, vcc
	v_cmp_eq_u32_e32 vcc, 3, v12
	s_nop 1
	v_cndmask_b32_e64 v12, 0, 1, vcc
	v_or_b32_e32 v12, v12, v14
	v_cmp_gt_i32_e32 vcc, 31, v9
	v_add_u32_e32 v8, v8, v12
	s_nop 0
	v_cndmask_b32_e32 v7, v6, v7, vcc
	v_cmp_gt_i32_e32 vcc, 31, v11
	s_nop 1
	v_cndmask_b32_e32 v6, v6, v8, vcc
	v_cmp_eq_u32_e32 vcc, s2, v9
	s_nop 1
	v_cndmask_b32_e32 v2, v7, v2, vcc
	v_cmp_eq_u32_e32 vcc, s2, v11
	v_and_or_b32 v2, v3, s3, v2
	s_nop 0
	v_cndmask_b32_e32 v4, v6, v4, vcc
	v_and_or_b32 v3, v5, s3, v4
	s_branch .LBB72_618
.LBB72_614:
	s_mov_b64 s[0:1], -1
                                        ; implicit-def: $vgpr3
                                        ; implicit-def: $vgpr2
	s_branch .LBB72_637
.LBB72_615:
	s_mov_b64 s[0:1], -1
                                        ; implicit-def: $vgpr3
                                        ; implicit-def: $vgpr2
	s_branch .LBB72_624
.LBB72_616:
	s_mov_b64 s[0:1], -1
                                        ; implicit-def: $vgpr3
                                        ; implicit-def: $vgpr2
	s_branch .LBB72_621
.LBB72_617:
	s_mov_b64 s[0:1], -1
                                        ; implicit-def: $vgpr3
                                        ; implicit-def: $vgpr2
.LBB72_618:
	s_andn2_b64 vcc, exec, s[0:1]
	s_cbranch_vccnz .LBB72_620
; %bb.619:
	global_load_dwordx2 v[2:3], v[0:1], off
	s_waitcnt vmcnt(0)
	v_cvt_f16_f32_e32 v2, v2
	v_cvt_f16_f32_e32 v3, v3
.LBB72_620:
	s_mov_b64 s[0:1], 0
.LBB72_621:
	s_andn2_b64 vcc, exec, s[0:1]
	s_cbranch_vccnz .LBB72_623
; %bb.622:
	global_load_dword v2, v[0:1], off
	s_waitcnt vmcnt(0)
	v_lshrrev_b32_e32 v3, 16, v2
.LBB72_623:
	s_mov_b64 s[0:1], 0
.LBB72_624:
	s_andn2_b64 vcc, exec, s[0:1]
	s_cbranch_vccnz .LBB72_636
; %bb.625:
	s_cmp_lt_i32 s6, 6
	s_cbranch_scc1 .LBB72_628
; %bb.626:
	s_cmp_gt_i32 s6, 6
	s_cbranch_scc0 .LBB72_629
; %bb.627:
	global_load_dwordx2 v[2:3], v[0:1], off
	s_movk_i32 s0, 0x1ff
	s_movk_i32 s1, 0xffe
	v_mov_b32_e32 v4, 0x7c00
	v_mov_b32_e32 v5, 0x7e00
	s_movk_i32 s2, 0x40f
	s_mov_b32 s3, 0x8000
	s_waitcnt vmcnt(0)
	v_and_or_b32 v2, v3, s0, v2
	v_cmp_ne_u32_e32 vcc, 0, v2
	v_lshrrev_b32_e32 v6, 8, v3
	v_bfe_u32 v7, v3, 20, 11
	v_cndmask_b32_e64 v2, 0, 1, vcc
	v_sub_u32_e32 v8, 0x3f1, v7
	v_and_or_b32 v2, v6, s1, v2
	v_add_u32_e32 v7, 0xfffffc10, v7
	v_med3_i32 v6, v8, 0, 13
	v_or_b32_e32 v8, 0x1000, v2
	v_cmp_ne_u32_e32 vcc, 0, v2
	v_lshl_or_b32 v9, v7, 12, v2
	v_lshrrev_b32_e32 v3, 16, v3
	v_cndmask_b32_e32 v2, v4, v5, vcc
	v_lshrrev_b32_e32 v5, v6, v8
	v_lshlrev_b32_e32 v6, v6, v5
	v_cmp_ne_u32_e32 vcc, v6, v8
	s_mov_b64 s[0:1], 0
	s_nop 0
	v_cndmask_b32_e64 v6, 0, 1, vcc
	v_or_b32_e32 v5, v5, v6
	v_cmp_gt_i32_e32 vcc, 1, v7
	s_nop 1
	v_cndmask_b32_e32 v5, v9, v5, vcc
	v_and_b32_e32 v6, 7, v5
	v_cmp_lt_i32_e32 vcc, 5, v6
	v_lshrrev_b32_e32 v5, 2, v5
	s_nop 0
	v_cndmask_b32_e64 v8, 0, 1, vcc
	v_cmp_eq_u32_e32 vcc, 3, v6
	s_nop 1
	v_cndmask_b32_e64 v6, 0, 1, vcc
	v_or_b32_e32 v6, v6, v8
	v_add_u32_e32 v5, v5, v6
	v_cmp_gt_i32_e32 vcc, 31, v7
	s_nop 1
	v_cndmask_b32_e32 v4, v4, v5, vcc
	v_cmp_eq_u32_e32 vcc, s2, v7
	s_nop 1
	v_cndmask_b32_e32 v2, v4, v2, vcc
	v_and_or_b32 v2, v3, s3, v2
	s_branch .LBB72_630
.LBB72_628:
	s_mov_b64 s[0:1], -1
                                        ; implicit-def: $vgpr2
	s_branch .LBB72_633
.LBB72_629:
	s_mov_b64 s[0:1], -1
                                        ; implicit-def: $vgpr2
.LBB72_630:
	s_andn2_b64 vcc, exec, s[0:1]
	s_cbranch_vccnz .LBB72_632
; %bb.631:
	global_load_dword v2, v[0:1], off
	s_waitcnt vmcnt(0)
	v_cvt_f16_f32_e32 v2, v2
.LBB72_632:
	s_mov_b64 s[0:1], 0
.LBB72_633:
	s_andn2_b64 vcc, exec, s[0:1]
	s_cbranch_vccnz .LBB72_635
; %bb.634:
	global_load_ushort v2, v[0:1], off
.LBB72_635:
	v_mov_b32_e32 v3, 0
.LBB72_636:
	s_mov_b64 s[0:1], 0
.LBB72_637:
	s_andn2_b64 vcc, exec, s[0:1]
	s_cbranch_vccnz .LBB72_658
; %bb.638:
	s_cmp_lt_i32 s6, 2
	s_cbranch_scc1 .LBB72_642
; %bb.639:
	s_cmp_lt_i32 s6, 3
	s_cbranch_scc1 .LBB72_643
; %bb.640:
	s_cmp_gt_i32 s6, 3
	s_cbranch_scc0 .LBB72_644
; %bb.641:
	global_load_dwordx2 v[2:3], v[0:1], off
	s_mov_b64 s[0:1], 0
	s_waitcnt vmcnt(0)
	v_xor_b32_e32 v5, v2, v3
	v_ffbh_i32_e32 v4, v3
	v_ashrrev_i32_e32 v5, 31, v5
	v_add_u32_e32 v4, -1, v4
	v_add_u32_e32 v5, 32, v5
	v_min_u32_e32 v4, v4, v5
	v_lshlrev_b64 v[2:3], v4, v[2:3]
	v_min_u32_e32 v2, 1, v2
	v_or_b32_e32 v2, v3, v2
	v_cvt_f32_i32_e32 v2, v2
	v_sub_u32_e32 v3, 32, v4
	v_ldexp_f32 v2, v2, v3
	v_cvt_f16_f32_e32 v2, v2
	s_branch .LBB72_645
.LBB72_642:
	s_mov_b64 s[0:1], -1
                                        ; implicit-def: $vgpr2
	s_branch .LBB72_651
.LBB72_643:
	s_mov_b64 s[0:1], -1
                                        ; implicit-def: $vgpr2
	s_branch .LBB72_648
.LBB72_644:
	s_mov_b64 s[0:1], -1
                                        ; implicit-def: $vgpr2
.LBB72_645:
	s_andn2_b64 vcc, exec, s[0:1]
	s_cbranch_vccnz .LBB72_647
; %bb.646:
	global_load_dword v2, v[0:1], off
	s_waitcnt vmcnt(0)
	v_cvt_f32_i32_e32 v2, v2
	v_cvt_f16_f32_e32 v2, v2
.LBB72_647:
	s_mov_b64 s[0:1], 0
.LBB72_648:
	s_andn2_b64 vcc, exec, s[0:1]
	s_cbranch_vccnz .LBB72_650
; %bb.649:
	global_load_ushort v2, v[0:1], off
	s_waitcnt vmcnt(0)
	v_cvt_f16_i16_e32 v2, v2
.LBB72_650:
	s_mov_b64 s[0:1], 0
.LBB72_651:
	s_andn2_b64 vcc, exec, s[0:1]
	s_cbranch_vccnz .LBB72_657
; %bb.652:
	s_cmp_gt_i32 s6, 0
	s_cbranch_scc0 .LBB72_654
; %bb.653:
	global_load_sbyte v2, v[0:1], off
	s_mov_b64 s[0:1], 0
	s_waitcnt vmcnt(0)
	v_cvt_f16_i16_e32 v2, v2
	s_branch .LBB72_655
.LBB72_654:
	s_mov_b64 s[0:1], -1
                                        ; implicit-def: $vgpr2
.LBB72_655:
	s_andn2_b64 vcc, exec, s[0:1]
	s_cbranch_vccnz .LBB72_657
; %bb.656:
	global_load_ubyte v0, v[0:1], off
	s_waitcnt vmcnt(0)
	v_cvt_f16_u16_e32 v2, v0
.LBB72_657:
	v_mov_b32_e32 v3, 0
.LBB72_658:
	s_mov_b64 s[0:1], -1
.LBB72_659:
	s_andn2_b64 vcc, exec, s[0:1]
	s_cbranch_vccnz .LBB72_667
; %bb.660:
	s_waitcnt vmcnt(0)
	v_cvt_f32_f16_e32 v0, v2
	v_cvt_f32_f16_e32 v1, v3
	s_getpc_b64 s[0:1]
	s_add_u32 s0, s0, _ZN16c10_complex_math3expIfEEN3c107complexIT_EERKS4_@rel32@lo+4
	s_addc_u32 s1, s1, _ZN16c10_complex_math3expIfEEN3c107complexIT_EERKS4_@rel32@hi+12
	s_swappc_b64 s[30:31], s[0:1]
	v_cvt_f16_f32_e32 v2, v1
	v_cvt_f16_f32_e32 v4, v0
	s_and_b32 s8, s33, 0xff
	s_cmp_lt_i32 s8, 11
	v_lshlrev_b32_e32 v0, 16, v2
	v_or_b32_e32 v5, v0, v4
	v_mul_lo_u32 v0, v21, s18
	v_ashrrev_i32_e32 v1, 31, v0
	v_lshl_add_u64 v[0:1], s[20:21], 0, v[0:1]
	s_cbranch_scc1 .LBB72_668
; %bb.661:
	s_and_b32 s9, 0xffff, s8
	s_cmp_gt_i32 s9, 25
	s_cbranch_scc0 .LBB72_669
; %bb.662:
	s_cmp_gt_i32 s9, 28
	s_cbranch_scc0 .LBB72_670
; %bb.663:
	;; [unrolled: 3-line block ×4, first 2 shown]
	s_mov_b64 s[4:5], 0
	s_mov_b64 s[0:1], -1
	s_cmp_eq_u32 s9, 46
	s_mov_b64 s[2:3], 0
	s_cbranch_scc0 .LBB72_673
; %bb.666:
	v_cvt_f32_f16_e32 v6, v2
	v_cvt_f32_f16_e32 v3, v4
	s_movk_i32 s0, 0x7fff
	v_cmp_o_f16_e32 vcc, v2, v2
	v_bfe_u32 v8, v6, 16, 1
	v_bfe_u32 v7, v3, 16, 1
	v_add3_u32 v6, v6, v8, s0
	v_add3_u32 v3, v3, v7, s0
	v_and_b32_e32 v6, 0xffff0000, v6
	v_mov_b32_e32 v7, 0x7fc00000
	v_cndmask_b32_e32 v6, v7, v6, vcc
	v_cmp_o_f16_e32 vcc, v4, v4
	v_mov_b32_e32 v7, 0x7fc0
	s_mov_b64 s[2:3], -1
	v_cndmask_b32_sdwa v3, v7, v3, vcc dst_sel:DWORD dst_unused:UNUSED_PAD src0_sel:DWORD src1_sel:WORD_1
	v_or_b32_e32 v3, v6, v3
	global_store_dword v[0:1], v3, off
	s_mov_b64 s[0:1], 0
	s_branch .LBB72_673
.LBB72_667:
	s_mov_b64 s[4:5], 0
                                        ; implicit-def: $vgpr21
	s_mov_b64 s[0:1], s[40:41]
	s_branch .LBB72_784
.LBB72_668:
	s_mov_b64 s[4:5], -1
	s_mov_b64 s[2:3], 0
	s_mov_b64 s[0:1], s[40:41]
	s_branch .LBB72_742
.LBB72_669:
	s_mov_b64 s[4:5], -1
	s_mov_b64 s[2:3], 0
	s_mov_b64 s[0:1], s[40:41]
	s_branch .LBB72_700
.LBB72_670:
	s_mov_b64 s[4:5], -1
	s_mov_b64 s[2:3], 0
	s_mov_b64 s[0:1], s[40:41]
	s_branch .LBB72_683
.LBB72_671:
	s_mov_b64 s[4:5], -1
	s_mov_b64 s[2:3], 0
	s_mov_b64 s[0:1], s[40:41]
	s_branch .LBB72_679
.LBB72_672:
	s_mov_b64 s[4:5], -1
	s_mov_b64 s[2:3], 0
	s_mov_b64 s[0:1], s[40:41]
.LBB72_673:
	s_and_b64 vcc, exec, s[4:5]
	s_cbranch_vccz .LBB72_678
; %bb.674:
	s_cmp_eq_u32 s9, 44
	s_mov_b64 s[0:1], -1
	s_cbranch_scc0 .LBB72_678
; %bb.675:
	v_cvt_f32_f16_e32 v3, v4
	s_movk_i32 s0, 0xff
	v_mov_b32_e32 v7, 0xff
	v_bfe_u32 v6, v3, 23, 8
	v_cmp_ne_u32_e32 vcc, s0, v6
	s_and_saveexec_b64 s[2:3], vcc
; %bb.676:
	s_mov_b32 s0, 0x3fffff
	v_lshrrev_b32_e32 v7, 23, v3
	v_and_b32_e32 v8, 0x400000, v3
	v_and_or_b32 v3, v3, s0, v6
	v_cmp_ne_u32_e32 vcc, 0, v8
	v_cmp_ne_u32_e64 s[0:1], 0, v3
	s_and_b64 s[0:1], vcc, s[0:1]
	s_nop 0
	v_cndmask_b32_e64 v3, 0, 1, s[0:1]
	v_add_u32_e32 v7, v7, v3
; %bb.677:
	s_or_b64 exec, exec, s[2:3]
	s_mov_b64 s[2:3], -1
	s_mov_b64 s[0:1], 0
	global_store_byte v[0:1], v7, off
.LBB72_678:
	s_mov_b64 s[4:5], 0
.LBB72_679:
	s_and_b64 vcc, exec, s[4:5]
	s_cbranch_vccz .LBB72_682
; %bb.680:
	s_cmp_eq_u32 s9, 29
	s_mov_b64 s[0:1], -1
	s_cbranch_scc0 .LBB72_682
; %bb.681:
	v_cvt_f32_f16_e32 v3, v4
	v_mov_b32_e32 v7, 0
	s_mov_b64 s[2:3], -1
	s_mov_b64 s[0:1], 0
	v_cvt_u32_f32_e32 v6, v3
	s_mov_b64 s[4:5], 0
	global_store_dwordx2 v[0:1], v[6:7], off
	s_branch .LBB72_683
.LBB72_682:
	s_mov_b64 s[4:5], 0
.LBB72_683:
	s_and_b64 vcc, exec, s[4:5]
	s_cbranch_vccz .LBB72_699
; %bb.684:
	s_cmp_lt_i32 s9, 27
	s_mov_b64 s[2:3], -1
	s_cbranch_scc1 .LBB72_690
; %bb.685:
	s_cmp_gt_i32 s9, 27
	s_cbranch_scc0 .LBB72_687
; %bb.686:
	v_cvt_f32_f16_e32 v3, v4
	s_mov_b64 s[2:3], 0
	v_cvt_u32_f32_e32 v3, v3
	global_store_dword v[0:1], v3, off
.LBB72_687:
	s_andn2_b64 vcc, exec, s[2:3]
	s_cbranch_vccnz .LBB72_689
; %bb.688:
	v_cvt_u16_f16_e32 v3, v4
	global_store_short v[0:1], v3, off
.LBB72_689:
	s_mov_b64 s[2:3], 0
.LBB72_690:
	s_andn2_b64 vcc, exec, s[2:3]
	s_cbranch_vccnz .LBB72_698
; %bb.691:
	v_cvt_f32_f16_e32 v3, v4
	s_mov_b32 s2, 0x43800000
	v_mov_b32_e32 v7, 0x80
	v_and_b32_e32 v6, 0x7fffffff, v3
	v_cmp_gt_u32_e32 vcc, s2, v6
	s_and_saveexec_b64 s[2:3], vcc
	s_cbranch_execz .LBB72_697
; %bb.692:
	s_mov_b32 s4, 0x3bffffff
	v_cmp_lt_u32_e32 vcc, s4, v6
	s_mov_b64 s[4:5], 0
                                        ; implicit-def: $vgpr6
	s_and_saveexec_b64 s[6:7], vcc
	s_xor_b64 s[6:7], exec, s[6:7]
	s_cbranch_execz .LBB72_798
; %bb.693:
	v_bfe_u32 v6, v3, 20, 1
	s_mov_b32 s10, 0x487ffff
	v_add3_u32 v6, v3, v6, s10
	s_mov_b64 s[4:5], exec
	v_lshrrev_b32_e32 v6, 20, v6
	s_andn2_saveexec_b64 s[6:7], s[6:7]
	s_cbranch_execnz .LBB72_799
.LBB72_694:
	s_or_b64 exec, exec, s[6:7]
	v_mov_b32_e32 v7, 0
	s_and_saveexec_b64 s[6:7], s[4:5]
.LBB72_695:
	v_lshrrev_b32_e32 v3, 24, v3
	s_movk_i32 s4, 0x80
	v_and_or_b32 v7, v3, s4, v6
.LBB72_696:
	s_or_b64 exec, exec, s[6:7]
.LBB72_697:
	s_or_b64 exec, exec, s[2:3]
	global_store_byte v[0:1], v7, off
.LBB72_698:
	s_mov_b64 s[2:3], -1
.LBB72_699:
	s_mov_b64 s[4:5], 0
.LBB72_700:
	s_and_b64 vcc, exec, s[4:5]
	s_cbranch_vccz .LBB72_741
; %bb.701:
	s_cmp_gt_i32 s9, 22
	s_mov_b64 s[4:5], -1
	s_cbranch_scc0 .LBB72_733
; %bb.702:
	s_cmp_lt_i32 s9, 24
	s_mov_b64 s[2:3], -1
	s_cbranch_scc1 .LBB72_722
; %bb.703:
	s_cmp_gt_i32 s9, 24
	s_cbranch_scc0 .LBB72_711
; %bb.704:
	v_cvt_f32_f16_e32 v3, v4
	s_mov_b32 s2, 0x47800000
	v_mov_b32_e32 v7, 0x80
	v_and_b32_e32 v6, 0x7fffffff, v3
	v_cmp_gt_u32_e32 vcc, s2, v6
	s_and_saveexec_b64 s[2:3], vcc
	s_cbranch_execz .LBB72_710
; %bb.705:
	s_mov_b32 s4, 0x37ffffff
	v_cmp_lt_u32_e32 vcc, s4, v6
	s_mov_b64 s[4:5], 0
                                        ; implicit-def: $vgpr6
	s_and_saveexec_b64 s[6:7], vcc
	s_xor_b64 s[6:7], exec, s[6:7]
	s_cbranch_execz .LBB72_801
; %bb.706:
	v_bfe_u32 v6, v3, 21, 1
	s_mov_b32 s10, 0x88fffff
	v_add3_u32 v6, v3, v6, s10
	s_mov_b64 s[4:5], exec
	v_lshrrev_b32_e32 v6, 21, v6
	s_andn2_saveexec_b64 s[6:7], s[6:7]
	s_cbranch_execnz .LBB72_802
.LBB72_707:
	s_or_b64 exec, exec, s[6:7]
	v_mov_b32_e32 v7, 0
	s_and_saveexec_b64 s[6:7], s[4:5]
.LBB72_708:
	v_lshrrev_b32_e32 v3, 24, v3
	s_movk_i32 s4, 0x80
	v_and_or_b32 v7, v3, s4, v6
.LBB72_709:
	s_or_b64 exec, exec, s[6:7]
.LBB72_710:
	s_or_b64 exec, exec, s[2:3]
	s_mov_b64 s[2:3], 0
	global_store_byte v[0:1], v7, off
.LBB72_711:
	s_and_b64 vcc, exec, s[2:3]
	s_cbranch_vccz .LBB72_721
; %bb.712:
	v_cvt_f32_f16_e32 v3, v4
	s_mov_b32 s2, 0x43f00000
                                        ; implicit-def: $vgpr6
	v_and_b32_e32 v7, 0x7fffffff, v3
	v_cmp_gt_u32_e32 vcc, s2, v7
	s_and_saveexec_b64 s[2:3], vcc
	s_xor_b64 s[2:3], exec, s[2:3]
	s_cbranch_execz .LBB72_718
; %bb.713:
	s_mov_b32 s4, 0x3c7fffff
	v_cmp_lt_u32_e32 vcc, s4, v7
                                        ; implicit-def: $vgpr6
	s_and_saveexec_b64 s[4:5], vcc
	s_xor_b64 s[4:5], exec, s[4:5]
; %bb.714:
	v_bfe_u32 v6, v3, 20, 1
	s_mov_b32 s6, 0x407ffff
	v_add3_u32 v6, v3, v6, s6
	v_lshrrev_b32_e32 v7, 20, v6
	v_and_b32_e32 v6, 0xff00000, v6
	s_mov_b32 s6, 0x7f00000
	v_mov_b32_e32 v8, 0x7e
	v_cmp_ne_u32_e32 vcc, s6, v6
	s_nop 1
	v_cndmask_b32_e32 v6, v8, v7, vcc
; %bb.715:
	s_andn2_saveexec_b64 s[4:5], s[4:5]
; %bb.716:
	s_mov_b32 s6, 0x46800000
	v_add_f32_e64 v6, |v3|, s6
; %bb.717:
	s_or_b64 exec, exec, s[4:5]
                                        ; implicit-def: $vgpr7
.LBB72_718:
	s_andn2_saveexec_b64 s[2:3], s[2:3]
; %bb.719:
	s_mov_b32 s4, 0x7f800000
	v_mov_b32_e32 v6, 0x7e
	v_mov_b32_e32 v8, 0x7f
	v_cmp_lt_u32_e32 vcc, s4, v7
	s_nop 1
	v_cndmask_b32_e32 v6, v6, v8, vcc
; %bb.720:
	s_or_b64 exec, exec, s[2:3]
	v_lshrrev_b32_e32 v3, 24, v3
	s_movk_i32 s2, 0x80
	v_and_or_b32 v3, v3, s2, v6
	global_store_byte v[0:1], v3, off
.LBB72_721:
	s_mov_b64 s[2:3], 0
.LBB72_722:
	s_andn2_b64 vcc, exec, s[2:3]
	s_cbranch_vccnz .LBB72_732
; %bb.723:
	v_cvt_f32_f16_e32 v3, v4
	s_mov_b32 s2, 0x47800000
                                        ; implicit-def: $vgpr6
	v_and_b32_e32 v7, 0x7fffffff, v3
	v_cmp_gt_u32_e32 vcc, s2, v7
	s_and_saveexec_b64 s[2:3], vcc
	s_xor_b64 s[2:3], exec, s[2:3]
	s_cbranch_execz .LBB72_729
; %bb.724:
	s_mov_b32 s4, 0x387fffff
	v_cmp_lt_u32_e32 vcc, s4, v7
                                        ; implicit-def: $vgpr6
	s_and_saveexec_b64 s[4:5], vcc
	s_xor_b64 s[4:5], exec, s[4:5]
; %bb.725:
	v_bfe_u32 v6, v3, 21, 1
	s_mov_b32 s6, 0x80fffff
	v_add3_u32 v6, v3, v6, s6
	v_lshrrev_b32_e32 v6, 21, v6
; %bb.726:
	s_andn2_saveexec_b64 s[4:5], s[4:5]
; %bb.727:
	s_mov_b32 s6, 0x43000000
	v_add_f32_e64 v6, |v3|, s6
; %bb.728:
	s_or_b64 exec, exec, s[4:5]
                                        ; implicit-def: $vgpr7
.LBB72_729:
	s_andn2_saveexec_b64 s[2:3], s[2:3]
; %bb.730:
	s_mov_b32 s4, 0x7f800000
	v_mov_b32_e32 v6, 0x7c
	v_mov_b32_e32 v8, 0x7f
	v_cmp_lt_u32_e32 vcc, s4, v7
	s_nop 1
	v_cndmask_b32_e32 v6, v6, v8, vcc
; %bb.731:
	s_or_b64 exec, exec, s[2:3]
	v_lshrrev_b32_e32 v3, 24, v3
	s_movk_i32 s2, 0x80
	v_and_or_b32 v3, v3, s2, v6
	global_store_byte v[0:1], v3, off
.LBB72_732:
	s_mov_b64 s[4:5], 0
	s_mov_b64 s[2:3], -1
.LBB72_733:
	s_andn2_b64 vcc, exec, s[4:5]
	s_cbranch_vccnz .LBB72_741
; %bb.734:
	s_cmp_gt_i32 s9, 14
	s_mov_b64 s[4:5], -1
	s_cbranch_scc0 .LBB72_738
; %bb.735:
	s_cmp_eq_u32 s9, 15
	s_mov_b64 s[0:1], -1
	s_cbranch_scc0 .LBB72_737
; %bb.736:
	v_cvt_f32_f16_e32 v3, v4
	s_movk_i32 s0, 0x7fff
	v_cmp_o_f16_e32 vcc, v4, v4
	v_mov_b32_e32 v6, 0x7fc0
	v_bfe_u32 v7, v3, 16, 1
	v_add3_u32 v3, v3, v7, s0
	v_cndmask_b32_sdwa v3, v6, v3, vcc dst_sel:DWORD dst_unused:UNUSED_PAD src0_sel:DWORD src1_sel:WORD_1
	global_store_short v[0:1], v3, off
	s_mov_b64 s[2:3], -1
	s_mov_b64 s[0:1], 0
.LBB72_737:
	s_mov_b64 s[4:5], 0
.LBB72_738:
	s_and_b64 vcc, exec, s[4:5]
	s_cbranch_vccz .LBB72_741
; %bb.739:
	s_cmp_eq_u32 s9, 11
	s_mov_b64 s[0:1], -1
	s_cbranch_scc0 .LBB72_741
; %bb.740:
	v_and_b32_e32 v3, 0x7fff7fff, v5
	v_cmp_ne_u32_e32 vcc, 0, v3
	s_mov_b64 s[2:3], -1
	s_mov_b64 s[0:1], 0
	v_cndmask_b32_e64 v3, 0, 1, vcc
	global_store_byte v[0:1], v3, off
.LBB72_741:
	s_mov_b64 s[4:5], 0
.LBB72_742:
	s_and_b64 vcc, exec, s[4:5]
	s_cbranch_vccz .LBB72_781
; %bb.743:
	s_and_b32 s4, 0xffff, s8
	s_cmp_lt_i32 s4, 5
	s_mov_b64 s[2:3], -1
	s_cbranch_scc1 .LBB72_764
; %bb.744:
	s_cmp_lt_i32 s4, 8
	s_cbranch_scc1 .LBB72_754
; %bb.745:
	s_cmp_lt_i32 s4, 9
	s_cbranch_scc1 .LBB72_751
; %bb.746:
	v_cvt_f32_f16_e32 v3, v2
	s_cmp_gt_i32 s4, 9
	s_cbranch_scc0 .LBB72_748
; %bb.747:
	v_cvt_f32_f16_e32 v2, v4
	v_cvt_f64_f32_e32 v[8:9], v3
	s_mov_b64 s[2:3], 0
	v_cvt_f64_f32_e32 v[6:7], v2
	global_store_dwordx4 v[0:1], v[6:9], off
.LBB72_748:
	s_andn2_b64 vcc, exec, s[2:3]
	s_cbranch_vccnz .LBB72_750
; %bb.749:
	v_cvt_f32_f16_e32 v2, v4
	global_store_dwordx2 v[0:1], v[2:3], off
.LBB72_750:
	s_mov_b64 s[2:3], 0
.LBB72_751:
	s_andn2_b64 vcc, exec, s[2:3]
	s_cbranch_vccnz .LBB72_753
; %bb.752:
	global_store_dword v[0:1], v5, off
.LBB72_753:
	s_mov_b64 s[2:3], 0
.LBB72_754:
	s_andn2_b64 vcc, exec, s[2:3]
	s_cbranch_vccnz .LBB72_763
; %bb.755:
	s_cmp_lt_i32 s4, 6
	s_mov_b64 s[2:3], -1
	s_cbranch_scc1 .LBB72_761
; %bb.756:
	s_cmp_gt_i32 s4, 6
	s_cbranch_scc0 .LBB72_758
; %bb.757:
	v_cvt_f32_f16_e32 v2, v4
	s_mov_b64 s[2:3], 0
	v_cvt_f64_f32_e32 v[2:3], v2
	global_store_dwordx2 v[0:1], v[2:3], off
.LBB72_758:
	s_andn2_b64 vcc, exec, s[2:3]
	s_cbranch_vccnz .LBB72_760
; %bb.759:
	v_cvt_f32_f16_e32 v2, v4
	global_store_dword v[0:1], v2, off
.LBB72_760:
	s_mov_b64 s[2:3], 0
.LBB72_761:
	s_andn2_b64 vcc, exec, s[2:3]
	s_cbranch_vccnz .LBB72_763
; %bb.762:
	global_store_short v[0:1], v4, off
.LBB72_763:
	s_mov_b64 s[2:3], 0
.LBB72_764:
	s_andn2_b64 vcc, exec, s[2:3]
	s_cbranch_vccnz .LBB72_780
; %bb.765:
	s_cmp_lt_i32 s4, 2
	s_mov_b64 s[2:3], -1
	s_cbranch_scc1 .LBB72_775
; %bb.766:
	s_cmp_lt_i32 s4, 3
	s_cbranch_scc1 .LBB72_772
; %bb.767:
	s_cmp_gt_i32 s4, 3
	s_cbranch_scc0 .LBB72_769
; %bb.768:
	v_cvt_f32_f16_e32 v2, v4
	s_mov_b64 s[2:3], 0
	v_cvt_i32_f32_e32 v2, v2
	v_ashrrev_i32_e32 v3, 31, v2
	global_store_dwordx2 v[0:1], v[2:3], off
.LBB72_769:
	s_andn2_b64 vcc, exec, s[2:3]
	s_cbranch_vccnz .LBB72_771
; %bb.770:
	v_cvt_f32_f16_e32 v2, v4
	v_cvt_i32_f32_e32 v2, v2
	global_store_dword v[0:1], v2, off
.LBB72_771:
	s_mov_b64 s[2:3], 0
.LBB72_772:
	s_andn2_b64 vcc, exec, s[2:3]
	s_cbranch_vccnz .LBB72_774
; %bb.773:
	v_cvt_i16_f16_e32 v2, v4
	global_store_short v[0:1], v2, off
.LBB72_774:
	s_mov_b64 s[2:3], 0
.LBB72_775:
	s_andn2_b64 vcc, exec, s[2:3]
	s_cbranch_vccnz .LBB72_780
; %bb.776:
	s_cmp_gt_i32 s4, 0
	s_mov_b64 s[2:3], -1
	s_cbranch_scc0 .LBB72_778
; %bb.777:
	v_cvt_i16_f16_e32 v2, v4
	s_mov_b64 s[2:3], 0
	global_store_byte v[0:1], v2, off
.LBB72_778:
	s_andn2_b64 vcc, exec, s[2:3]
	s_cbranch_vccnz .LBB72_780
; %bb.779:
	v_cvt_f32_f16_e32 v2, v4
	v_cvt_i32_f32_e32 v2, v2
	global_store_byte v[0:1], v2, off
.LBB72_780:
	s_mov_b64 s[2:3], -1
.LBB72_781:
	s_andn2_b64 vcc, exec, s[2:3]
	s_cbranch_vccnz .LBB72_783
; %bb.782:
	v_add_u32_e32 v21, 0x80, v21
	s_mov_b64 s[4:5], -1
	s_branch .LBB72_784
.LBB72_783:
	s_mov_b64 s[4:5], 0
                                        ; implicit-def: $vgpr21
.LBB72_784:
	s_andn2_b64 s[2:3], s[40:41], exec
	s_and_b64 s[0:1], s[0:1], exec
	s_or_b64 s[2:3], s[2:3], s[0:1]
	s_andn2_b64 s[0:1], s[38:39], exec
	s_and_b64 s[6:7], s[46:47], exec
	s_or_b64 s[0:1], s[0:1], s[6:7]
	s_orn2_b64 s[10:11], s[4:5], exec
.LBB72_785:
	s_or_b64 exec, exec, s[44:45]
	s_mov_b64 s[8:9], 0
	s_mov_b64 s[12:13], 0
	;; [unrolled: 1-line block ×3, first 2 shown]
                                        ; implicit-def: $vgpr0_vgpr1
                                        ; implicit-def: $vgpr5
                                        ; implicit-def: $vgpr2
	s_and_saveexec_b64 s[4:5], s[10:11]
	s_cbranch_execz .LBB72_873
; %bb.786:
	v_cmp_gt_i32_e32 vcc, s49, v21
	s_mov_b64 s[10:11], 0
	s_mov_b64 s[14:15], s[0:1]
	s_mov_b64 s[16:17], 0
                                        ; implicit-def: $vgpr0_vgpr1
                                        ; implicit-def: $vgpr5
                                        ; implicit-def: $vgpr2
	s_and_saveexec_b64 s[6:7], vcc
	s_cbranch_execz .LBB72_872
; %bb.787:
	v_mul_lo_u32 v0, v21, s19
	v_ashrrev_i32_e32 v1, 31, v0
	s_and_b32 s30, 0xffff, s48
	s_cmp_lt_i32 s30, 11
	v_lshl_add_u64 v[0:1], s[22:23], 0, v[0:1]
	s_cbranch_scc1 .LBB72_794
; %bb.788:
	s_cmp_gt_i32 s30, 25
	s_cbranch_scc0 .LBB72_795
; %bb.789:
	s_cmp_gt_i32 s30, 28
	s_cbranch_scc0 .LBB72_796
	;; [unrolled: 3-line block ×4, first 2 shown]
; %bb.792:
	s_cmp_eq_u32 s30, 46
	s_mov_b64 s[14:15], 0
	s_cbranch_scc0 .LBB72_803
; %bb.793:
	global_load_dword v2, v[0:1], off
	s_mov_b64 s[12:13], -1
	s_waitcnt vmcnt(0)
	v_and_b32_e32 v3, 0xffff0000, v2
	v_lshlrev_b32_e32 v2, 16, v2
	v_cvt_f16_f32_e32 v2, v2
	v_cvt_f16_f32_e32 v5, v3
	s_branch .LBB72_805
.LBB72_794:
	s_mov_b64 s[14:15], -1
                                        ; implicit-def: $vgpr5
                                        ; implicit-def: $vgpr2
	s_mov_b64 s[8:9], s[0:1]
	s_branch .LBB72_871
.LBB72_795:
	s_mov_b64 s[14:15], -1
	s_mov_b64 s[8:9], s[0:1]
                                        ; implicit-def: $vgpr5
                                        ; implicit-def: $vgpr2
	s_branch .LBB72_836
.LBB72_796:
	s_mov_b64 s[14:15], -1
	s_mov_b64 s[8:9], s[0:1]
                                        ; implicit-def: $vgpr5
                                        ; implicit-def: $vgpr2
	s_branch .LBB72_817
.LBB72_797:
	s_mov_b64 s[14:15], -1
	s_mov_b64 s[8:9], s[0:1]
                                        ; implicit-def: $vgpr5
                                        ; implicit-def: $vgpr2
	s_branch .LBB72_811
.LBB72_798:
	s_andn2_saveexec_b64 s[6:7], s[6:7]
	s_cbranch_execz .LBB72_694
.LBB72_799:
	s_mov_b32 s10, 0x46000000
	v_add_f32_e64 v6, |v3|, s10
	v_and_b32_e32 v6, 0xff, v6
	v_cmp_ne_u32_e32 vcc, 0, v6
	s_andn2_b64 s[4:5], s[4:5], exec
	s_and_b64 s[10:11], vcc, exec
	s_or_b64 s[4:5], s[4:5], s[10:11]
	s_or_b64 exec, exec, s[6:7]
	v_mov_b32_e32 v7, 0
	s_and_saveexec_b64 s[6:7], s[4:5]
	s_cbranch_execnz .LBB72_695
	s_branch .LBB72_696
.LBB72_800:
	s_mov_b64 s[14:15], -1
	s_mov_b64 s[8:9], s[0:1]
	s_branch .LBB72_804
.LBB72_801:
	s_andn2_saveexec_b64 s[6:7], s[6:7]
	s_cbranch_execz .LBB72_707
.LBB72_802:
	s_mov_b32 s10, 0x42800000
	v_add_f32_e64 v6, |v3|, s10
	v_and_b32_e32 v6, 0xff, v6
	v_cmp_ne_u32_e32 vcc, 0, v6
	s_andn2_b64 s[4:5], s[4:5], exec
	s_and_b64 s[10:11], vcc, exec
	s_or_b64 s[4:5], s[4:5], s[10:11]
	s_or_b64 exec, exec, s[6:7]
	v_mov_b32_e32 v7, 0
	s_and_saveexec_b64 s[6:7], s[4:5]
	s_cbranch_execnz .LBB72_708
	s_branch .LBB72_709
.LBB72_803:
	s_mov_b64 s[8:9], -1
.LBB72_804:
                                        ; implicit-def: $vgpr5
                                        ; implicit-def: $vgpr2
.LBB72_805:
	s_and_b64 vcc, exec, s[14:15]
	s_cbranch_vccz .LBB72_810
; %bb.806:
	s_cmp_eq_u32 s30, 44
	s_cbranch_scc0 .LBB72_808
; %bb.807:
	global_load_ubyte v2, v[0:1], off
	s_movk_i32 s12, 0xff
	v_mov_b32_e32 v4, 0x7e00
	s_mov_b64 s[8:9], 0
	s_waitcnt vmcnt(0)
	v_lshlrev_b32_e32 v3, 23, v2
	v_cvt_f16_f32_e32 v3, v3
	v_cmp_ne_u32_e32 vcc, s12, v2
	s_mov_b64 s[12:13], -1
	s_nop 0
	v_cndmask_b32_e32 v3, v4, v3, vcc
	v_cmp_ne_u32_e32 vcc, 0, v2
	s_nop 1
	v_cndmask_b32_e32 v2, 0, v3, vcc
	s_branch .LBB72_809
.LBB72_808:
	s_mov_b64 s[8:9], -1
                                        ; implicit-def: $vgpr2
.LBB72_809:
	v_mov_b32_e32 v5, 0
.LBB72_810:
	s_mov_b64 s[14:15], 0
.LBB72_811:
	s_and_b64 vcc, exec, s[14:15]
	s_cbranch_vccz .LBB72_816
; %bb.812:
	s_cmp_eq_u32 s30, 29
	s_cbranch_scc0 .LBB72_814
; %bb.813:
	global_load_dwordx2 v[2:3], v[0:1], off
	s_mov_b64 s[8:9], 0
	s_mov_b64 s[12:13], -1
	s_waitcnt vmcnt(0)
	v_ffbh_u32_e32 v4, v3
	v_min_u32_e32 v4, 32, v4
	v_lshlrev_b64 v[2:3], v4, v[2:3]
	v_min_u32_e32 v2, 1, v2
	v_or_b32_e32 v2, v3, v2
	v_cvt_f32_u32_e32 v2, v2
	v_sub_u32_e32 v3, 32, v4
	v_ldexp_f32 v2, v2, v3
	v_cvt_f16_f32_e32 v2, v2
	s_branch .LBB72_815
.LBB72_814:
	s_mov_b64 s[8:9], -1
                                        ; implicit-def: $vgpr2
.LBB72_815:
	v_mov_b32_e32 v5, 0
.LBB72_816:
	s_mov_b64 s[14:15], 0
.LBB72_817:
	s_and_b64 vcc, exec, s[14:15]
	s_cbranch_vccz .LBB72_835
; %bb.818:
	s_cmp_lt_i32 s30, 27
	s_cbranch_scc1 .LBB72_821
; %bb.819:
	s_cmp_gt_i32 s30, 27
	s_cbranch_scc0 .LBB72_822
; %bb.820:
	global_load_dword v2, v[0:1], off
	s_mov_b64 s[12:13], 0
	s_waitcnt vmcnt(0)
	v_cvt_f32_u32_e32 v2, v2
	v_cvt_f16_f32_e32 v2, v2
	s_branch .LBB72_823
.LBB72_821:
	s_mov_b64 s[12:13], -1
                                        ; implicit-def: $vgpr2
	s_branch .LBB72_826
.LBB72_822:
	s_mov_b64 s[12:13], -1
                                        ; implicit-def: $vgpr2
.LBB72_823:
	s_andn2_b64 vcc, exec, s[12:13]
	s_cbranch_vccnz .LBB72_825
; %bb.824:
	global_load_ushort v2, v[0:1], off
	s_waitcnt vmcnt(0)
	v_cvt_f16_u16_e32 v2, v2
.LBB72_825:
	s_mov_b64 s[12:13], 0
.LBB72_826:
	s_andn2_b64 vcc, exec, s[12:13]
	s_cbranch_vccnz .LBB72_834
; %bb.827:
	global_load_ubyte v3, v[0:1], off
	s_movk_i32 s12, 0x7f
	s_waitcnt vmcnt(0)
	v_cmp_lt_i16_e32 vcc, s12, v3
	s_mov_b64 s[12:13], 0
	s_and_saveexec_b64 s[14:15], vcc
	s_xor_b64 s[14:15], exec, s[14:15]
	s_cbranch_execz .LBB72_848
; %bb.828:
	s_movk_i32 s12, 0x80
	v_cmp_eq_u16_e32 vcc, s12, v3
	s_mov_b64 s[12:13], -1
	s_and_saveexec_b64 s[16:17], vcc
; %bb.829:
	s_xor_b64 s[12:13], exec, -1
; %bb.830:
	s_or_b64 exec, exec, s[16:17]
	s_and_b64 s[12:13], s[12:13], exec
	s_or_saveexec_b64 s[14:15], s[14:15]
	v_mov_b32_e32 v2, 0x7e00
	s_xor_b64 exec, exec, s[14:15]
	s_cbranch_execnz .LBB72_849
.LBB72_831:
	s_or_b64 exec, exec, s[14:15]
	s_and_saveexec_b64 s[14:15], s[12:13]
	s_cbranch_execz .LBB72_833
.LBB72_832:
	v_lshlrev_b32_e32 v2, 24, v3
	v_and_b32_e32 v3, 0xffff, v3
	v_and_b32_e32 v4, 7, v3
	v_ffbh_u32_e32 v6, v4
	v_min_u32_e32 v6, 32, v6
	v_subrev_u32_e32 v7, 28, v6
	v_bfe_u32 v5, v3, 3, 4
	v_lshlrev_b32_e32 v3, v7, v3
	v_sub_u32_e32 v6, 29, v6
	v_and_b32_e32 v3, 7, v3
	v_cmp_eq_u32_e32 vcc, 0, v5
	v_and_b32_e32 v2, 0x80000000, v2
	s_nop 0
	v_cndmask_b32_e32 v5, v5, v6, vcc
	v_cndmask_b32_e32 v3, v4, v3, vcc
	v_mov_b32_e32 v4, 0x3b800000
	v_lshlrev_b32_e32 v3, 20, v3
	v_lshl_add_u32 v4, v5, 23, v4
	v_or3_b32 v2, v2, v4, v3
	v_cvt_f16_f32_e32 v2, v2
.LBB72_833:
	s_or_b64 exec, exec, s[14:15]
.LBB72_834:
	s_mov_b64 s[12:13], -1
	v_mov_b32_e32 v5, 0
.LBB72_835:
	s_mov_b64 s[14:15], 0
.LBB72_836:
	s_and_b64 vcc, exec, s[14:15]
	s_cbranch_vccz .LBB72_870
; %bb.837:
	s_cmp_gt_i32 s30, 22
	s_cbranch_scc0 .LBB72_847
; %bb.838:
	s_cmp_lt_i32 s30, 24
	s_cbranch_scc1 .LBB72_850
; %bb.839:
	s_cmp_gt_i32 s30, 24
	s_cbranch_scc0 .LBB72_851
; %bb.840:
	global_load_ubyte v3, v[0:1], off
	s_movk_i32 s10, 0x7f
	s_waitcnt vmcnt(0)
	v_cmp_lt_i16_e32 vcc, s10, v3
	s_mov_b64 s[10:11], 0
	s_and_saveexec_b64 s[12:13], vcc
	s_xor_b64 s[12:13], exec, s[12:13]
	s_cbranch_execz .LBB72_863
; %bb.841:
	s_movk_i32 s10, 0x80
	v_cmp_eq_u16_e32 vcc, s10, v3
	s_mov_b64 s[10:11], -1
	s_and_saveexec_b64 s[14:15], vcc
; %bb.842:
	s_xor_b64 s[10:11], exec, -1
; %bb.843:
	s_or_b64 exec, exec, s[14:15]
	s_and_b64 s[10:11], s[10:11], exec
	s_or_saveexec_b64 s[12:13], s[12:13]
	v_mov_b32_e32 v2, 0x7e00
	s_xor_b64 exec, exec, s[12:13]
	s_cbranch_execnz .LBB72_864
.LBB72_844:
	s_or_b64 exec, exec, s[12:13]
	s_and_saveexec_b64 s[12:13], s[10:11]
	s_cbranch_execz .LBB72_846
.LBB72_845:
	v_lshlrev_b32_e32 v2, 24, v3
	v_and_b32_e32 v3, 0xffff, v3
	v_and_b32_e32 v4, 3, v3
	v_ffbh_u32_e32 v6, v4
	v_min_u32_e32 v6, 32, v6
	v_subrev_u32_e32 v7, 29, v6
	v_bfe_u32 v5, v3, 2, 5
	v_lshlrev_b32_e32 v3, v7, v3
	v_sub_u32_e32 v6, 30, v6
	v_and_b32_e32 v3, 3, v3
	v_cmp_eq_u32_e32 vcc, 0, v5
	v_and_b32_e32 v2, 0x80000000, v2
	s_nop 0
	v_cndmask_b32_e32 v5, v5, v6, vcc
	v_cndmask_b32_e32 v3, v4, v3, vcc
	v_mov_b32_e32 v4, 0x37800000
	v_lshlrev_b32_e32 v3, 21, v3
	v_lshl_add_u32 v4, v5, 23, v4
	v_or3_b32 v2, v2, v4, v3
	v_cvt_f16_f32_e32 v2, v2
.LBB72_846:
	s_or_b64 exec, exec, s[12:13]
	s_mov_b64 s[10:11], 0
	s_branch .LBB72_852
.LBB72_847:
	s_mov_b64 s[10:11], -1
                                        ; implicit-def: $vgpr2
	s_branch .LBB72_858
.LBB72_848:
	s_or_saveexec_b64 s[14:15], s[14:15]
	v_mov_b32_e32 v2, 0x7e00
	s_xor_b64 exec, exec, s[14:15]
	s_cbranch_execz .LBB72_831
.LBB72_849:
	v_cmp_ne_u16_e32 vcc, 0, v3
	s_andn2_b64 s[12:13], s[12:13], exec
	s_and_b64 s[16:17], vcc, exec
	s_or_b64 s[12:13], s[12:13], s[16:17]
	v_mov_b32_e32 v2, v3
	s_or_b64 exec, exec, s[14:15]
	s_and_saveexec_b64 s[14:15], s[12:13]
	s_cbranch_execnz .LBB72_832
	s_branch .LBB72_833
.LBB72_850:
	s_mov_b64 s[10:11], -1
                                        ; implicit-def: $vgpr2
	s_branch .LBB72_855
.LBB72_851:
	s_mov_b64 s[10:11], -1
                                        ; implicit-def: $vgpr2
.LBB72_852:
	s_and_b64 vcc, exec, s[10:11]
	s_cbranch_vccz .LBB72_854
; %bb.853:
	global_load_ubyte v2, v[0:1], off
	s_mov_b32 s10, 0x7f800000
	s_waitcnt vmcnt(0)
	v_lshlrev_b32_e32 v2, 24, v2
	v_and_b32_e32 v3, 0x7f000000, v2
	v_ffbh_u32_e32 v4, v3
	v_min_u32_e32 v4, 32, v4
	v_sub_u32_e64 v4, v4, 4 clamp
	v_lshlrev_b32_e32 v6, v4, v3
	v_lshlrev_b32_e32 v4, 23, v4
	v_lshrrev_b32_e32 v6, 4, v6
	v_add_u32_e32 v5, 0x1000000, v3
	v_sub_u32_e32 v4, v6, v4
	v_ashrrev_i32_e32 v5, 8, v5
	v_add_u32_e32 v4, 0x3c000000, v4
	v_and_or_b32 v4, v5, s10, v4
	v_cmp_ne_u32_e32 vcc, 0, v3
	s_brev_b32 s10, 1
	s_nop 0
	v_cndmask_b32_e32 v3, 0, v4, vcc
	v_and_or_b32 v2, v2, s10, v3
	v_cvt_f16_f32_e32 v2, v2
.LBB72_854:
	s_mov_b64 s[10:11], 0
.LBB72_855:
	s_andn2_b64 vcc, exec, s[10:11]
	s_cbranch_vccnz .LBB72_857
; %bb.856:
	global_load_ubyte v2, v[0:1], off
	s_movk_i32 s10, 0x7f00
	s_brev_b32 s11, 16
	s_waitcnt vmcnt(0)
	v_lshlrev_b16_e32 v3, 8, v2
	v_lshlrev_b32_e32 v2, 25, v2
	v_lshrrev_b32_e32 v4, 4, v2
	v_and_or_b32 v5, v3, s10, 0.5
	v_or_b32_e32 v4, 0x70000000, v4
	v_add_f32_e32 v5, -0.5, v5
	v_mul_f32_e32 v4, 0x7800000, v4
	v_cmp_gt_u32_e32 vcc, s11, v2
	v_bfe_i32 v3, v3, 0, 16
	s_brev_b32 s10, 1
	v_cndmask_b32_e32 v2, v4, v5, vcc
	v_and_or_b32 v2, v3, s10, v2
	v_cvt_f16_f32_e32 v2, v2
.LBB72_857:
	s_mov_b64 s[10:11], 0
	s_mov_b64 s[12:13], -1
.LBB72_858:
	s_andn2_b64 vcc, exec, s[10:11]
	s_mov_b64 s[10:11], 0
	s_cbranch_vccnz .LBB72_869
; %bb.859:
	s_cmp_gt_i32 s30, 14
	s_cbranch_scc0 .LBB72_862
; %bb.860:
	s_cmp_eq_u32 s30, 15
	s_cbranch_scc0 .LBB72_865
; %bb.861:
	global_load_ushort v2, v[0:1], off
	s_mov_b64 s[8:9], 0
	s_mov_b64 s[12:13], -1
	s_waitcnt vmcnt(0)
	v_lshlrev_b32_e32 v2, 16, v2
	v_cvt_f16_f32_e32 v2, v2
	s_branch .LBB72_866
.LBB72_862:
	s_mov_b64 s[14:15], -1
                                        ; implicit-def: $vgpr2
	s_branch .LBB72_867
.LBB72_863:
	s_or_saveexec_b64 s[12:13], s[12:13]
	v_mov_b32_e32 v2, 0x7e00
	s_xor_b64 exec, exec, s[12:13]
	s_cbranch_execz .LBB72_844
.LBB72_864:
	v_cmp_ne_u16_e32 vcc, 0, v3
	s_andn2_b64 s[10:11], s[10:11], exec
	s_and_b64 s[14:15], vcc, exec
	s_or_b64 s[10:11], s[10:11], s[14:15]
	v_mov_b32_e32 v2, v3
	s_or_b64 exec, exec, s[12:13]
	s_and_saveexec_b64 s[12:13], s[10:11]
	s_cbranch_execnz .LBB72_845
	s_branch .LBB72_846
.LBB72_865:
	s_mov_b64 s[8:9], -1
                                        ; implicit-def: $vgpr2
.LBB72_866:
	s_mov_b64 s[14:15], 0
.LBB72_867:
	s_and_b64 vcc, exec, s[14:15]
	s_cbranch_vccz .LBB72_869
; %bb.868:
	s_cmp_lg_u32 s30, 11
	s_cselect_b64 s[14:15], -1, 0
	s_andn2_b64 s[8:9], s[8:9], exec
	s_and_b64 s[14:15], s[14:15], exec
	s_mov_b64 s[10:11], -1
	s_or_b64 s[8:9], s[8:9], s[14:15]
.LBB72_869:
	v_mov_b32_e32 v5, 0
.LBB72_870:
	s_mov_b64 s[14:15], 0
.LBB72_871:
	s_and_b64 s[16:17], s[12:13], exec
	s_and_b64 s[12:13], s[14:15], exec
	s_andn2_b64 s[14:15], s[0:1], exec
	s_and_b64 s[8:9], s[8:9], exec
	s_and_b64 s[10:11], s[10:11], exec
	s_or_b64 s[14:15], s[14:15], s[8:9]
.LBB72_872:
	s_or_b64 exec, exec, s[6:7]
	s_and_b64 s[8:9], s[10:11], exec
	s_andn2_b64 s[0:1], s[0:1], exec
	s_and_b64 s[10:11], s[14:15], exec
	s_and_b64 s[6:7], s[16:17], exec
	;; [unrolled: 1-line block ×3, first 2 shown]
	s_or_b64 s[0:1], s[0:1], s[10:11]
.LBB72_873:
	s_or_b64 exec, exec, s[4:5]
	s_andn2_b64 s[4:5], s[40:41], exec
	s_and_b64 s[2:3], s[2:3], exec
	s_or_b64 s[40:41], s[4:5], s[2:3]
	s_and_b64 s[2:3], s[8:9], exec
	s_andn2_b64 s[8:9], s[38:39], exec
	s_and_b64 s[0:1], s[0:1], exec
	s_and_b64 s[6:7], s[6:7], exec
	;; [unrolled: 1-line block ×3, first 2 shown]
	s_or_b64 s[38:39], s[8:9], s[0:1]
.LBB72_874:
	s_or_b64 exec, exec, s[42:43]
	s_andn2_b64 s[0:1], s[28:29], exec
	s_and_b64 s[8:9], s[40:41], exec
	s_or_b64 s[28:29], s[0:1], s[8:9]
	s_and_b64 s[0:1], s[6:7], exec
	s_and_b64 s[40:41], s[2:3], exec
	s_andn2_b64 s[2:3], s[34:35], exec
	s_and_b64 s[6:7], s[38:39], exec
	s_and_b64 s[4:5], s[4:5], exec
	s_or_b64 s[34:35], s[2:3], s[6:7]
	s_or_b64 exec, exec, s[36:37]
	s_mov_b64 s[36:37], 0
	s_and_saveexec_b64 s[2:3], s[34:35]
	s_cbranch_execz .LBB72_265
.LBB72_875:
	s_mov_b64 s[36:37], exec
	s_andn2_b64 s[40:41], s[40:41], exec
	s_trap 2
	s_or_b64 exec, exec, s[2:3]
	s_and_saveexec_b64 s[2:3], s[40:41]
	s_xor_b64 s[2:3], exec, s[2:3]
	s_cbranch_execnz .LBB72_266
.LBB72_876:
	s_or_b64 exec, exec, s[2:3]
	s_and_saveexec_b64 s[2:3], s[4:5]
	s_cbranch_execz .LBB72_924
.LBB72_877:
	s_sext_i32_i16 s4, s48
	s_cmp_lt_i32 s4, 5
	s_cbranch_scc1 .LBB72_882
; %bb.878:
	s_cmp_lt_i32 s4, 8
	s_cbranch_scc1 .LBB72_883
; %bb.879:
	s_cmp_lt_i32 s4, 9
	s_cbranch_scc1 .LBB72_884
; %bb.880:
	s_cmp_gt_i32 s4, 9
	s_cbranch_scc0 .LBB72_885
; %bb.881:
	global_load_dwordx4 v[2:5], v[0:1], off
	s_movk_i32 s4, 0x1ff
	s_movk_i32 s5, 0xffe
	v_mov_b32_e32 v6, 0x7c00
	v_mov_b32_e32 v7, 0x7e00
	s_movk_i32 s6, 0x40f
	s_mov_b32 s7, 0x8000
	s_waitcnt vmcnt(0)
	v_and_or_b32 v2, v3, s4, v2
	v_and_or_b32 v4, v5, s4, v4
	v_cmp_ne_u32_e32 vcc, 0, v2
	v_lshrrev_b32_e32 v8, 8, v3
	v_bfe_u32 v9, v3, 20, 11
	v_cndmask_b32_e64 v2, 0, 1, vcc
	v_cmp_ne_u32_e32 vcc, 0, v4
	v_lshrrev_b32_e32 v10, 8, v5
	v_bfe_u32 v11, v5, 20, 11
	v_cndmask_b32_e64 v4, 0, 1, vcc
	v_and_or_b32 v2, v8, s5, v2
	v_sub_u32_e32 v12, 0x3f1, v9
	v_add_u32_e32 v9, 0xfffffc10, v9
	v_sub_u32_e32 v13, 0x3f1, v11
	v_and_or_b32 v4, v10, s5, v4
	v_cmp_ne_u32_e32 vcc, 0, v2
	v_add_u32_e32 v11, 0xfffffc10, v11
	v_med3_i32 v8, v12, 0, 13
	v_med3_i32 v10, v13, 0, 13
	v_or_b32_e32 v12, 0x1000, v2
	v_lshl_or_b32 v13, v9, 12, v2
	v_cndmask_b32_e32 v2, v6, v7, vcc
	v_cmp_ne_u32_e32 vcc, 0, v4
	v_or_b32_e32 v14, 0x1000, v4
	v_lshl_or_b32 v15, v11, 12, v4
	v_cndmask_b32_e32 v4, v6, v7, vcc
	v_lshrrev_b32_e32 v7, v8, v12
	v_lshrrev_b32_e32 v16, v10, v14
	v_lshlrev_b32_e32 v8, v8, v7
	v_lshlrev_b32_e32 v10, v10, v16
	v_cmp_ne_u32_e32 vcc, v8, v12
	v_lshrrev_b32_e32 v3, 16, v3
	v_lshrrev_b32_e32 v5, 16, v5
	v_cndmask_b32_e64 v8, 0, 1, vcc
	v_cmp_ne_u32_e32 vcc, v10, v14
	v_or_b32_e32 v7, v7, v8
	s_mov_b64 s[4:5], 0
	v_cndmask_b32_e64 v10, 0, 1, vcc
	v_cmp_gt_i32_e32 vcc, 1, v9
	v_or_b32_e32 v8, v16, v10
	s_nop 0
	v_cndmask_b32_e32 v7, v13, v7, vcc
	v_cmp_gt_i32_e32 vcc, 1, v11
	v_and_b32_e32 v10, 7, v7
	v_lshrrev_b32_e32 v7, 2, v7
	v_cndmask_b32_e32 v8, v15, v8, vcc
	v_cmp_lt_i32_e32 vcc, 5, v10
	v_and_b32_e32 v12, 7, v8
	v_lshrrev_b32_e32 v8, 2, v8
	v_cndmask_b32_e64 v13, 0, 1, vcc
	v_cmp_eq_u32_e32 vcc, 3, v10
	s_nop 1
	v_cndmask_b32_e64 v10, 0, 1, vcc
	v_cmp_lt_i32_e32 vcc, 5, v12
	v_or_b32_e32 v10, v10, v13
	v_add_u32_e32 v7, v7, v10
	v_cndmask_b32_e64 v14, 0, 1, vcc
	v_cmp_eq_u32_e32 vcc, 3, v12
	s_nop 1
	v_cndmask_b32_e64 v12, 0, 1, vcc
	v_or_b32_e32 v12, v12, v14
	v_cmp_gt_i32_e32 vcc, 31, v9
	v_add_u32_e32 v8, v8, v12
	s_nop 0
	v_cndmask_b32_e32 v7, v6, v7, vcc
	v_cmp_gt_i32_e32 vcc, 31, v11
	s_nop 1
	v_cndmask_b32_e32 v6, v6, v8, vcc
	v_cmp_eq_u32_e32 vcc, s6, v9
	s_nop 1
	v_cndmask_b32_e32 v2, v7, v2, vcc
	v_cmp_eq_u32_e32 vcc, s6, v11
	v_and_or_b32 v2, v3, s7, v2
	s_nop 0
	v_cndmask_b32_e32 v4, v6, v4, vcc
	v_and_or_b32 v5, v5, s7, v4
	s_branch .LBB72_886
.LBB72_882:
                                        ; implicit-def: $vgpr5
                                        ; implicit-def: $vgpr2
	s_branch .LBB72_904
.LBB72_883:
                                        ; implicit-def: $vgpr5
                                        ; implicit-def: $vgpr2
	s_branch .LBB72_892
.LBB72_884:
	s_mov_b64 s[4:5], -1
                                        ; implicit-def: $vgpr5
                                        ; implicit-def: $vgpr2
	s_branch .LBB72_889
.LBB72_885:
	s_mov_b64 s[4:5], -1
                                        ; implicit-def: $vgpr5
                                        ; implicit-def: $vgpr2
.LBB72_886:
	s_andn2_b64 vcc, exec, s[4:5]
	s_cbranch_vccnz .LBB72_888
; %bb.887:
	global_load_dwordx2 v[2:3], v[0:1], off
	s_waitcnt vmcnt(0)
	v_cvt_f16_f32_e32 v2, v2
	v_cvt_f16_f32_e32 v5, v3
.LBB72_888:
	s_mov_b64 s[4:5], 0
.LBB72_889:
	s_andn2_b64 vcc, exec, s[4:5]
	s_cbranch_vccnz .LBB72_891
; %bb.890:
	global_load_dword v2, v[0:1], off
	s_waitcnt vmcnt(0)
	v_lshrrev_b32_e32 v5, 16, v2
.LBB72_891:
	s_cbranch_execnz .LBB72_903
.LBB72_892:
	s_sext_i32_i16 s4, s48
	s_cmp_lt_i32 s4, 6
	s_cbranch_scc1 .LBB72_895
; %bb.893:
	s_cmp_gt_i32 s4, 6
	s_cbranch_scc0 .LBB72_896
; %bb.894:
	global_load_dwordx2 v[2:3], v[0:1], off
	s_movk_i32 s4, 0x1ff
	s_movk_i32 s5, 0xffe
	v_mov_b32_e32 v4, 0x7c00
	v_mov_b32_e32 v5, 0x7e00
	s_movk_i32 s6, 0x40f
	s_mov_b32 s7, 0x8000
	s_waitcnt vmcnt(0)
	v_and_or_b32 v2, v3, s4, v2
	v_cmp_ne_u32_e32 vcc, 0, v2
	v_lshrrev_b32_e32 v6, 8, v3
	v_bfe_u32 v7, v3, 20, 11
	v_cndmask_b32_e64 v2, 0, 1, vcc
	v_sub_u32_e32 v8, 0x3f1, v7
	v_and_or_b32 v2, v6, s5, v2
	v_add_u32_e32 v7, 0xfffffc10, v7
	v_med3_i32 v6, v8, 0, 13
	v_or_b32_e32 v8, 0x1000, v2
	v_cmp_ne_u32_e32 vcc, 0, v2
	v_lshl_or_b32 v9, v7, 12, v2
	v_lshrrev_b32_e32 v3, 16, v3
	v_cndmask_b32_e32 v2, v4, v5, vcc
	v_lshrrev_b32_e32 v5, v6, v8
	v_lshlrev_b32_e32 v6, v6, v5
	v_cmp_ne_u32_e32 vcc, v6, v8
	s_mov_b64 s[4:5], 0
	s_nop 0
	v_cndmask_b32_e64 v6, 0, 1, vcc
	v_or_b32_e32 v5, v5, v6
	v_cmp_gt_i32_e32 vcc, 1, v7
	s_nop 1
	v_cndmask_b32_e32 v5, v9, v5, vcc
	v_and_b32_e32 v6, 7, v5
	v_cmp_lt_i32_e32 vcc, 5, v6
	v_lshrrev_b32_e32 v5, 2, v5
	s_nop 0
	v_cndmask_b32_e64 v8, 0, 1, vcc
	v_cmp_eq_u32_e32 vcc, 3, v6
	s_nop 1
	v_cndmask_b32_e64 v6, 0, 1, vcc
	v_or_b32_e32 v6, v6, v8
	v_add_u32_e32 v5, v5, v6
	v_cmp_gt_i32_e32 vcc, 31, v7
	s_nop 1
	v_cndmask_b32_e32 v4, v4, v5, vcc
	v_cmp_eq_u32_e32 vcc, s6, v7
	s_nop 1
	v_cndmask_b32_e32 v2, v4, v2, vcc
	v_and_or_b32 v2, v3, s7, v2
	s_branch .LBB72_897
.LBB72_895:
	s_mov_b64 s[4:5], -1
                                        ; implicit-def: $vgpr2
	s_branch .LBB72_900
.LBB72_896:
	s_mov_b64 s[4:5], -1
                                        ; implicit-def: $vgpr2
.LBB72_897:
	s_andn2_b64 vcc, exec, s[4:5]
	s_cbranch_vccnz .LBB72_899
; %bb.898:
	global_load_dword v2, v[0:1], off
	s_waitcnt vmcnt(0)
	v_cvt_f16_f32_e32 v2, v2
.LBB72_899:
	s_mov_b64 s[4:5], 0
.LBB72_900:
	s_andn2_b64 vcc, exec, s[4:5]
	s_cbranch_vccnz .LBB72_902
; %bb.901:
	global_load_ushort v2, v[0:1], off
.LBB72_902:
	v_mov_b32_e32 v5, 0
.LBB72_903:
	s_cbranch_execnz .LBB72_923
.LBB72_904:
	s_sext_i32_i16 s4, s48
	s_cmp_lt_i32 s4, 2
	s_cbranch_scc1 .LBB72_908
; %bb.905:
	s_cmp_lt_i32 s4, 3
	s_cbranch_scc1 .LBB72_909
; %bb.906:
	s_cmp_gt_i32 s4, 3
	s_cbranch_scc0 .LBB72_910
; %bb.907:
	global_load_dwordx2 v[2:3], v[0:1], off
	s_mov_b64 s[4:5], 0
	s_waitcnt vmcnt(0)
	v_xor_b32_e32 v5, v2, v3
	v_ffbh_i32_e32 v4, v3
	v_ashrrev_i32_e32 v5, 31, v5
	v_add_u32_e32 v4, -1, v4
	v_add_u32_e32 v5, 32, v5
	v_min_u32_e32 v4, v4, v5
	v_lshlrev_b64 v[2:3], v4, v[2:3]
	v_min_u32_e32 v2, 1, v2
	v_or_b32_e32 v2, v3, v2
	v_cvt_f32_i32_e32 v2, v2
	v_sub_u32_e32 v3, 32, v4
	v_ldexp_f32 v2, v2, v3
	v_cvt_f16_f32_e32 v2, v2
	s_branch .LBB72_911
.LBB72_908:
                                        ; implicit-def: $vgpr2
	s_branch .LBB72_917
.LBB72_909:
	s_mov_b64 s[4:5], -1
                                        ; implicit-def: $vgpr2
	s_branch .LBB72_914
.LBB72_910:
	s_mov_b64 s[4:5], -1
                                        ; implicit-def: $vgpr2
.LBB72_911:
	s_andn2_b64 vcc, exec, s[4:5]
	s_cbranch_vccnz .LBB72_913
; %bb.912:
	global_load_dword v2, v[0:1], off
	s_waitcnt vmcnt(0)
	v_cvt_f32_i32_e32 v2, v2
	v_cvt_f16_f32_e32 v2, v2
.LBB72_913:
	s_mov_b64 s[4:5], 0
.LBB72_914:
	s_andn2_b64 vcc, exec, s[4:5]
	s_cbranch_vccnz .LBB72_916
; %bb.915:
	global_load_ushort v2, v[0:1], off
	s_waitcnt vmcnt(0)
	v_cvt_f16_i16_e32 v2, v2
.LBB72_916:
	s_cbranch_execnz .LBB72_922
.LBB72_917:
	s_sext_i32_i16 s4, s48
	s_cmp_gt_i32 s4, 0
	s_cbranch_scc0 .LBB72_919
; %bb.918:
	global_load_sbyte v2, v[0:1], off
	s_mov_b64 s[4:5], 0
	s_waitcnt vmcnt(0)
	v_cvt_f16_i16_e32 v2, v2
	s_branch .LBB72_920
.LBB72_919:
	s_mov_b64 s[4:5], -1
                                        ; implicit-def: $vgpr2
.LBB72_920:
	s_andn2_b64 vcc, exec, s[4:5]
	s_cbranch_vccnz .LBB72_922
; %bb.921:
	global_load_ubyte v0, v[0:1], off
	s_waitcnt vmcnt(0)
	v_cvt_f16_u16_e32 v2, v0
.LBB72_922:
	v_mov_b32_e32 v5, 0
.LBB72_923:
	s_or_b64 s[0:1], s[0:1], exec
.LBB72_924:
	s_or_b64 exec, exec, s[2:3]
	s_mov_b64 s[4:5], 0
	s_mov_b64 s[2:3], 0
                                        ; implicit-def: $sgpr10
                                        ; implicit-def: $vgpr0_vgpr1
                                        ; implicit-def: $vgpr6
                                        ; implicit-def: $vgpr3
                                        ; implicit-def: $vgpr4
	s_and_saveexec_b64 s[34:35], s[0:1]
	s_cbranch_execz .LBB72_942
; %bb.925:
	s_waitcnt vmcnt(0)
	v_cvt_f32_f16_e32 v0, v2
	v_cvt_f32_f16_e32 v1, v5
	s_getpc_b64 s[0:1]
	s_add_u32 s0, s0, _ZN16c10_complex_math3expIfEEN3c107complexIT_EERKS4_@rel32@lo+4
	s_addc_u32 s1, s1, _ZN16c10_complex_math3expIfEEN3c107complexIT_EERKS4_@rel32@hi+12
	s_swappc_b64 s[30:31], s[0:1]
	v_cvt_f16_f32_e32 v3, v1
	v_cvt_f16_f32_e32 v4, v0
	v_mul_lo_u32 v0, v21, s18
	v_ashrrev_i32_e32 v1, 31, v0
	s_and_b32 s10, s33, 0xff
	v_lshlrev_b32_e32 v2, 16, v3
	s_cmp_lt_i32 s10, 11
	v_lshl_add_u64 v[0:1], s[20:21], 0, v[0:1]
	s_cbranch_scc1 .LBB72_945
; %bb.926:
	s_and_b32 s11, 0xffff, s10
	s_mov_b64 s[4:5], -1
	s_cmp_gt_i32 s11, 25
	s_mov_b64 s[0:1], s[28:29]
	s_cbranch_scc0 .LBB72_963
; %bb.927:
	s_mov_b64 s[2:3], -1
	s_cmp_gt_i32 s11, 28
	s_mov_b64 s[0:1], s[28:29]
	s_cbranch_scc0 .LBB72_947
; %bb.928:
	s_cmp_gt_i32 s11, 43
	s_mov_b64 s[0:1], s[28:29]
	s_cbranch_scc0 .LBB72_939
; %bb.929:
	;; [unrolled: 4-line block ×3, first 2 shown]
	s_cmp_eq_u32 s11, 46
	s_mov_b64 s[0:1], -1
	s_cbranch_scc0 .LBB72_932
; %bb.931:
	v_cvt_f32_f16_e32 v6, v3
	v_cvt_f32_f16_e32 v5, v4
	s_movk_i32 s0, 0x7fff
	v_cmp_o_f16_e32 vcc, v3, v3
	v_bfe_u32 v8, v6, 16, 1
	v_bfe_u32 v7, v5, 16, 1
	v_add3_u32 v6, v6, v8, s0
	v_add3_u32 v5, v5, v7, s0
	v_and_b32_e32 v6, 0xffff0000, v6
	v_mov_b32_e32 v7, 0x7fc00000
	v_cndmask_b32_e32 v6, v7, v6, vcc
	v_cmp_o_f16_e32 vcc, v4, v4
	v_mov_b32_e32 v7, 0x7fc0
	s_mov_b64 s[0:1], 0
	v_cndmask_b32_sdwa v5, v7, v5, vcc dst_sel:DWORD dst_unused:UNUSED_PAD src0_sel:DWORD src1_sel:WORD_1
	v_or_b32_e32 v5, v6, v5
	global_store_dword v[0:1], v5, off
.LBB72_932:
	s_mov_b64 s[2:3], 0
.LBB72_933:
	s_and_b64 vcc, exec, s[2:3]
	s_cbranch_vccz .LBB72_938
; %bb.934:
	s_cmp_eq_u32 s11, 44
	s_mov_b64 s[0:1], -1
	s_cbranch_scc0 .LBB72_938
; %bb.935:
	v_cvt_f32_f16_e32 v5, v4
	s_movk_i32 s0, 0xff
	v_mov_b32_e32 v7, 0xff
	v_bfe_u32 v6, v5, 23, 8
	v_cmp_ne_u32_e32 vcc, s0, v6
	s_and_saveexec_b64 s[2:3], vcc
; %bb.936:
	s_mov_b32 s0, 0x3fffff
	v_lshrrev_b32_e32 v7, 23, v5
	v_and_b32_e32 v8, 0x400000, v5
	v_and_or_b32 v5, v5, s0, v6
	v_cmp_ne_u32_e32 vcc, 0, v8
	v_cmp_ne_u32_e64 s[0:1], 0, v5
	s_and_b64 s[0:1], vcc, s[0:1]
	s_nop 0
	v_cndmask_b32_e64 v5, 0, 1, s[0:1]
	v_add_u32_e32 v7, v7, v5
; %bb.937:
	s_or_b64 exec, exec, s[2:3]
	s_mov_b64 s[0:1], 0
	global_store_byte v[0:1], v7, off
.LBB72_938:
	s_mov_b64 s[2:3], 0
.LBB72_939:
	s_and_b64 vcc, exec, s[2:3]
	s_cbranch_vccz .LBB72_946
; %bb.940:
	s_cmp_eq_u32 s11, 29
	s_mov_b64 s[0:1], -1
	s_cbranch_scc0 .LBB72_946
; %bb.941:
	v_cvt_f32_f16_e32 v5, v4
	v_mov_b32_e32 v7, 0
	s_mov_b64 s[0:1], 0
	s_mov_b64 s[2:3], 0
	v_cvt_u32_f32_e32 v6, v5
	global_store_dwordx2 v[0:1], v[6:7], off
	s_branch .LBB72_947
.LBB72_942:
	s_or_b64 exec, exec, s[34:35]
	s_and_saveexec_b64 s[0:1], s[28:29]
	s_cbranch_execnz .LBB72_1005
.LBB72_943:
	s_or_b64 exec, exec, s[0:1]
	s_and_saveexec_b64 s[0:1], s[4:5]
	s_xor_b64 s[0:1], exec, s[0:1]
	s_cbranch_execz .LBB72_1006
.LBB72_944:
	s_waitcnt vmcnt(0)
	v_and_b32_e32 v2, 0x7fff7fff, v6
	v_cmp_ne_u32_e32 vcc, 0, v2
	s_nop 1
	v_cndmask_b32_e64 v2, 0, 1, vcc
	global_store_byte v[0:1], v2, off
	s_or_b64 exec, exec, s[0:1]
	s_and_saveexec_b64 s[0:1], s[2:3]
	s_xor_b64 s[0:1], exec, s[0:1]
	s_cbranch_execz .LBB72_1044
	s_branch .LBB72_1007
.LBB72_945:
	s_mov_b64 s[4:5], 0
	s_mov_b64 s[2:3], -1
	s_mov_b64 s[0:1], s[28:29]
	s_branch .LBB72_1004
.LBB72_946:
	s_mov_b64 s[2:3], 0
.LBB72_947:
	s_and_b64 vcc, exec, s[2:3]
	s_cbranch_vccz .LBB72_962
; %bb.948:
	s_cmp_lt_i32 s11, 27
	s_mov_b64 s[2:3], -1
	s_cbranch_scc1 .LBB72_954
; %bb.949:
	s_cmp_gt_i32 s11, 27
	s_cbranch_scc0 .LBB72_951
; %bb.950:
	v_cvt_f32_f16_e32 v5, v4
	s_mov_b64 s[2:3], 0
	v_cvt_u32_f32_e32 v5, v5
	global_store_dword v[0:1], v5, off
.LBB72_951:
	s_andn2_b64 vcc, exec, s[2:3]
	s_cbranch_vccnz .LBB72_953
; %bb.952:
	v_cvt_u16_f16_e32 v5, v4
	global_store_short v[0:1], v5, off
.LBB72_953:
	s_mov_b64 s[2:3], 0
.LBB72_954:
	s_andn2_b64 vcc, exec, s[2:3]
	s_cbranch_vccnz .LBB72_962
; %bb.955:
	v_cvt_f32_f16_e32 v5, v4
	s_mov_b32 s2, 0x43800000
	v_mov_b32_e32 v7, 0x80
	v_and_b32_e32 v6, 0x7fffffff, v5
	v_cmp_gt_u32_e32 vcc, s2, v6
	s_and_saveexec_b64 s[2:3], vcc
	s_cbranch_execz .LBB72_961
; %bb.956:
	s_mov_b32 s4, 0x3bffffff
	v_cmp_lt_u32_e32 vcc, s4, v6
	s_mov_b64 s[4:5], 0
                                        ; implicit-def: $vgpr6
	s_and_saveexec_b64 s[6:7], vcc
	s_xor_b64 s[6:7], exec, s[6:7]
	s_cbranch_execz .LBB72_1059
; %bb.957:
	v_bfe_u32 v6, v5, 20, 1
	s_mov_b32 s8, 0x487ffff
	v_add3_u32 v6, v5, v6, s8
	s_mov_b64 s[4:5], exec
	v_lshrrev_b32_e32 v6, 20, v6
	s_andn2_saveexec_b64 s[6:7], s[6:7]
	s_cbranch_execnz .LBB72_1060
.LBB72_958:
	s_or_b64 exec, exec, s[6:7]
	v_mov_b32_e32 v7, 0
	s_and_saveexec_b64 s[6:7], s[4:5]
.LBB72_959:
	v_lshrrev_b32_e32 v5, 24, v5
	s_movk_i32 s4, 0x80
	v_and_or_b32 v7, v5, s4, v6
.LBB72_960:
	s_or_b64 exec, exec, s[6:7]
.LBB72_961:
	s_or_b64 exec, exec, s[2:3]
	global_store_byte v[0:1], v7, off
.LBB72_962:
	s_mov_b64 s[4:5], 0
.LBB72_963:
	s_mov_b64 s[2:3], 0
	s_and_b64 vcc, exec, s[4:5]
	s_cbranch_vccz .LBB72_1003
; %bb.964:
	s_cmp_gt_i32 s11, 22
	s_mov_b64 s[4:5], -1
	s_cbranch_scc0 .LBB72_996
; %bb.965:
	s_cmp_lt_i32 s11, 24
	s_cbranch_scc1 .LBB72_985
; %bb.966:
	s_cmp_gt_i32 s11, 24
	s_cbranch_scc0 .LBB72_974
; %bb.967:
	v_cvt_f32_f16_e32 v5, v4
	s_mov_b32 s4, 0x47800000
	v_mov_b32_e32 v7, 0x80
	v_and_b32_e32 v6, 0x7fffffff, v5
	v_cmp_gt_u32_e32 vcc, s4, v6
	s_and_saveexec_b64 s[4:5], vcc
	s_cbranch_execz .LBB72_973
; %bb.968:
	s_mov_b32 s6, 0x37ffffff
	v_cmp_lt_u32_e32 vcc, s6, v6
	s_mov_b64 s[6:7], 0
                                        ; implicit-def: $vgpr6
	s_and_saveexec_b64 s[8:9], vcc
	s_xor_b64 s[8:9], exec, s[8:9]
	s_cbranch_execz .LBB72_1189
; %bb.969:
	v_bfe_u32 v6, v5, 21, 1
	s_mov_b32 s12, 0x88fffff
	v_add3_u32 v6, v5, v6, s12
	s_mov_b64 s[6:7], exec
	v_lshrrev_b32_e32 v6, 21, v6
	s_andn2_saveexec_b64 s[8:9], s[8:9]
	s_cbranch_execnz .LBB72_1190
.LBB72_970:
	s_or_b64 exec, exec, s[8:9]
	v_mov_b32_e32 v7, 0
	s_and_saveexec_b64 s[8:9], s[6:7]
.LBB72_971:
	v_lshrrev_b32_e32 v5, 24, v5
	s_movk_i32 s6, 0x80
	v_and_or_b32 v7, v5, s6, v6
.LBB72_972:
	s_or_b64 exec, exec, s[8:9]
.LBB72_973:
	s_or_b64 exec, exec, s[4:5]
	s_mov_b64 s[4:5], 0
	global_store_byte v[0:1], v7, off
.LBB72_974:
	s_and_b64 vcc, exec, s[4:5]
	s_cbranch_vccz .LBB72_984
; %bb.975:
	v_cvt_f32_f16_e32 v5, v4
	s_mov_b32 s4, 0x43f00000
                                        ; implicit-def: $vgpr6
	v_and_b32_e32 v7, 0x7fffffff, v5
	v_cmp_gt_u32_e32 vcc, s4, v7
	s_and_saveexec_b64 s[4:5], vcc
	s_xor_b64 s[4:5], exec, s[4:5]
	s_cbranch_execz .LBB72_981
; %bb.976:
	s_mov_b32 s6, 0x3c7fffff
	v_cmp_lt_u32_e32 vcc, s6, v7
                                        ; implicit-def: $vgpr6
	s_and_saveexec_b64 s[6:7], vcc
	s_xor_b64 s[6:7], exec, s[6:7]
; %bb.977:
	v_bfe_u32 v6, v5, 20, 1
	s_mov_b32 s8, 0x407ffff
	v_add3_u32 v6, v5, v6, s8
	v_lshrrev_b32_e32 v7, 20, v6
	v_and_b32_e32 v6, 0xff00000, v6
	s_mov_b32 s8, 0x7f00000
	v_mov_b32_e32 v8, 0x7e
	v_cmp_ne_u32_e32 vcc, s8, v6
	s_nop 1
	v_cndmask_b32_e32 v6, v8, v7, vcc
; %bb.978:
	s_andn2_saveexec_b64 s[6:7], s[6:7]
; %bb.979:
	s_mov_b32 s8, 0x46800000
	v_add_f32_e64 v6, |v5|, s8
; %bb.980:
	s_or_b64 exec, exec, s[6:7]
                                        ; implicit-def: $vgpr7
.LBB72_981:
	s_andn2_saveexec_b64 s[4:5], s[4:5]
; %bb.982:
	s_mov_b32 s6, 0x7f800000
	v_mov_b32_e32 v6, 0x7e
	v_mov_b32_e32 v8, 0x7f
	v_cmp_lt_u32_e32 vcc, s6, v7
	s_nop 1
	v_cndmask_b32_e32 v6, v6, v8, vcc
; %bb.983:
	s_or_b64 exec, exec, s[4:5]
	v_lshrrev_b32_e32 v5, 24, v5
	s_movk_i32 s4, 0x80
	v_and_or_b32 v5, v5, s4, v6
	global_store_byte v[0:1], v5, off
.LBB72_984:
	s_mov_b64 s[4:5], 0
.LBB72_985:
	s_andn2_b64 vcc, exec, s[4:5]
	s_cbranch_vccnz .LBB72_995
; %bb.986:
	v_cvt_f32_f16_e32 v5, v4
	s_mov_b32 s4, 0x47800000
                                        ; implicit-def: $vgpr6
	v_and_b32_e32 v7, 0x7fffffff, v5
	v_cmp_gt_u32_e32 vcc, s4, v7
	s_and_saveexec_b64 s[4:5], vcc
	s_xor_b64 s[4:5], exec, s[4:5]
	s_cbranch_execz .LBB72_992
; %bb.987:
	s_mov_b32 s6, 0x387fffff
	v_cmp_lt_u32_e32 vcc, s6, v7
                                        ; implicit-def: $vgpr6
	s_and_saveexec_b64 s[6:7], vcc
	s_xor_b64 s[6:7], exec, s[6:7]
; %bb.988:
	v_bfe_u32 v6, v5, 21, 1
	s_mov_b32 s8, 0x80fffff
	v_add3_u32 v6, v5, v6, s8
	v_lshrrev_b32_e32 v6, 21, v6
; %bb.989:
	s_andn2_saveexec_b64 s[6:7], s[6:7]
; %bb.990:
	s_mov_b32 s8, 0x43000000
	v_add_f32_e64 v6, |v5|, s8
; %bb.991:
	s_or_b64 exec, exec, s[6:7]
                                        ; implicit-def: $vgpr7
.LBB72_992:
	s_andn2_saveexec_b64 s[4:5], s[4:5]
; %bb.993:
	s_mov_b32 s6, 0x7f800000
	v_mov_b32_e32 v6, 0x7c
	v_mov_b32_e32 v8, 0x7f
	v_cmp_lt_u32_e32 vcc, s6, v7
	s_nop 1
	v_cndmask_b32_e32 v6, v6, v8, vcc
; %bb.994:
	s_or_b64 exec, exec, s[4:5]
	v_lshrrev_b32_e32 v5, 24, v5
	s_movk_i32 s4, 0x80
	v_and_or_b32 v5, v5, s4, v6
	global_store_byte v[0:1], v5, off
.LBB72_995:
	s_mov_b64 s[4:5], 0
.LBB72_996:
	s_andn2_b64 vcc, exec, s[4:5]
	s_mov_b64 s[4:5], 0
	s_cbranch_vccnz .LBB72_1004
; %bb.997:
	s_cmp_gt_i32 s11, 14
	s_mov_b64 s[6:7], -1
	s_cbranch_scc0 .LBB72_1001
; %bb.998:
	s_cmp_eq_u32 s11, 15
	s_mov_b64 s[0:1], -1
	s_cbranch_scc0 .LBB72_1000
; %bb.999:
	v_cvt_f32_f16_e32 v5, v4
	s_movk_i32 s0, 0x7fff
	v_cmp_o_f16_e32 vcc, v4, v4
	v_mov_b32_e32 v6, 0x7fc0
	v_bfe_u32 v7, v5, 16, 1
	v_add3_u32 v5, v5, v7, s0
	v_cndmask_b32_sdwa v5, v6, v5, vcc dst_sel:DWORD dst_unused:UNUSED_PAD src0_sel:DWORD src1_sel:WORD_1
	global_store_short v[0:1], v5, off
	s_mov_b64 s[0:1], 0
.LBB72_1000:
	s_mov_b64 s[6:7], 0
.LBB72_1001:
	s_and_b64 vcc, exec, s[6:7]
	s_cbranch_vccz .LBB72_1004
; %bb.1002:
	s_cmp_lg_u32 s11, 11
	s_cselect_b64 s[6:7], -1, 0
	s_andn2_b64 s[0:1], s[0:1], exec
	s_and_b64 s[6:7], s[6:7], exec
	s_mov_b64 s[4:5], -1
	s_or_b64 s[0:1], s[0:1], s[6:7]
	s_branch .LBB72_1004
.LBB72_1003:
	s_mov_b64 s[4:5], 0
.LBB72_1004:
	s_andn2_b64 s[6:7], s[28:29], exec
	s_and_b64 s[0:1], s[0:1], exec
	v_or_b32_e32 v6, v2, v4
	s_and_b64 s[2:3], s[2:3], exec
	s_and_b64 s[4:5], s[4:5], exec
	s_or_b64 s[28:29], s[6:7], s[0:1]
	s_or_b64 exec, exec, s[34:35]
	s_and_saveexec_b64 s[0:1], s[28:29]
	s_cbranch_execz .LBB72_943
.LBB72_1005:
	s_or_b64 s[36:37], s[36:37], exec
	s_andn2_b64 s[4:5], s[4:5], exec
	s_trap 2
	s_or_b64 exec, exec, s[0:1]
	s_and_saveexec_b64 s[0:1], s[4:5]
	s_xor_b64 s[0:1], exec, s[0:1]
	s_cbranch_execnz .LBB72_944
.LBB72_1006:
	s_or_b64 exec, exec, s[0:1]
	s_and_saveexec_b64 s[0:1], s[2:3]
	s_xor_b64 s[0:1], exec, s[0:1]
	s_cbranch_execz .LBB72_1044
.LBB72_1007:
	s_sext_i32_i16 s4, s10
	s_cmp_lt_i32 s4, 5
	s_mov_b64 s[2:3], -1
	s_cbranch_scc1 .LBB72_1028
; %bb.1008:
	s_cmp_lt_i32 s4, 8
	s_cbranch_scc1 .LBB72_1018
; %bb.1009:
	s_cmp_lt_i32 s4, 9
	s_cbranch_scc1 .LBB72_1015
; %bb.1010:
	v_cvt_f32_f16_e32 v3, v3
	s_cmp_gt_i32 s4, 9
	s_cbranch_scc0 .LBB72_1012
; %bb.1011:
	s_waitcnt vmcnt(0)
	v_cvt_f32_f16_e32 v2, v4
	v_cvt_f64_f32_e32 v[10:11], v3
	s_mov_b64 s[2:3], 0
	v_cvt_f64_f32_e32 v[8:9], v2
	global_store_dwordx4 v[0:1], v[8:11], off
.LBB72_1012:
	s_andn2_b64 vcc, exec, s[2:3]
	s_cbranch_vccnz .LBB72_1014
; %bb.1013:
	s_waitcnt vmcnt(0)
	v_cvt_f32_f16_e32 v2, v4
	global_store_dwordx2 v[0:1], v[2:3], off
.LBB72_1014:
	s_mov_b64 s[2:3], 0
.LBB72_1015:
	s_andn2_b64 vcc, exec, s[2:3]
	s_cbranch_vccnz .LBB72_1017
; %bb.1016:
	global_store_dword v[0:1], v6, off
.LBB72_1017:
	s_mov_b64 s[2:3], 0
.LBB72_1018:
	s_andn2_b64 vcc, exec, s[2:3]
	s_cbranch_vccnz .LBB72_1027
; %bb.1019:
	s_sext_i32_i16 s4, s10
	s_cmp_lt_i32 s4, 6
	s_mov_b64 s[2:3], -1
	s_cbranch_scc1 .LBB72_1025
; %bb.1020:
	s_cmp_gt_i32 s4, 6
	s_cbranch_scc0 .LBB72_1022
; %bb.1021:
	s_waitcnt vmcnt(0)
	v_cvt_f32_f16_e32 v2, v4
	s_mov_b64 s[2:3], 0
	v_cvt_f64_f32_e32 v[2:3], v2
	global_store_dwordx2 v[0:1], v[2:3], off
.LBB72_1022:
	s_andn2_b64 vcc, exec, s[2:3]
	s_cbranch_vccnz .LBB72_1024
; %bb.1023:
	s_waitcnt vmcnt(0)
	v_cvt_f32_f16_e32 v2, v4
	global_store_dword v[0:1], v2, off
.LBB72_1024:
	s_mov_b64 s[2:3], 0
.LBB72_1025:
	s_andn2_b64 vcc, exec, s[2:3]
	s_cbranch_vccnz .LBB72_1027
; %bb.1026:
	global_store_short v[0:1], v4, off
.LBB72_1027:
	s_mov_b64 s[2:3], 0
.LBB72_1028:
	s_andn2_b64 vcc, exec, s[2:3]
	s_cbranch_vccnz .LBB72_1044
; %bb.1029:
	s_sext_i32_i16 s4, s10
	s_cmp_lt_i32 s4, 2
	s_mov_b64 s[2:3], -1
	s_cbranch_scc1 .LBB72_1039
; %bb.1030:
	s_cmp_lt_i32 s4, 3
	s_cbranch_scc1 .LBB72_1036
; %bb.1031:
	s_cmp_gt_i32 s4, 3
	s_cbranch_scc0 .LBB72_1033
; %bb.1032:
	s_waitcnt vmcnt(0)
	v_cvt_f32_f16_e32 v2, v4
	s_mov_b64 s[2:3], 0
	v_cvt_i32_f32_e32 v2, v2
	v_ashrrev_i32_e32 v3, 31, v2
	global_store_dwordx2 v[0:1], v[2:3], off
.LBB72_1033:
	s_andn2_b64 vcc, exec, s[2:3]
	s_cbranch_vccnz .LBB72_1035
; %bb.1034:
	s_waitcnt vmcnt(0)
	v_cvt_f32_f16_e32 v2, v4
	v_cvt_i32_f32_e32 v2, v2
	global_store_dword v[0:1], v2, off
.LBB72_1035:
	s_mov_b64 s[2:3], 0
.LBB72_1036:
	s_andn2_b64 vcc, exec, s[2:3]
	s_cbranch_vccnz .LBB72_1038
; %bb.1037:
	s_waitcnt vmcnt(0)
	v_cvt_i16_f16_e32 v2, v4
	global_store_short v[0:1], v2, off
.LBB72_1038:
	s_mov_b64 s[2:3], 0
.LBB72_1039:
	s_andn2_b64 vcc, exec, s[2:3]
	s_cbranch_vccnz .LBB72_1044
; %bb.1040:
	s_sext_i32_i16 s2, s10
	s_cmp_gt_i32 s2, 0
	s_mov_b64 s[2:3], -1
	s_cbranch_scc0 .LBB72_1042
; %bb.1041:
	s_waitcnt vmcnt(0)
	v_cvt_i16_f16_e32 v2, v4
	s_mov_b64 s[2:3], 0
	global_store_byte v[0:1], v2, off
.LBB72_1042:
	s_andn2_b64 vcc, exec, s[2:3]
	s_cbranch_vccnz .LBB72_1044
; %bb.1043:
	s_waitcnt vmcnt(0)
	v_cvt_f32_f16_e32 v2, v4
	v_cvt_i32_f32_e32 v2, v2
	global_store_byte v[0:1], v2, off
.LBB72_1044:
	s_or_b64 exec, exec, s[0:1]
	s_and_b64 s[28:29], s[36:37], exec
                                        ; implicit-def: $vgpr21
.LBB72_1045:
	s_or_saveexec_b64 s[26:27], s[26:27]
	s_mov_b64 s[0:1], 0
                                        ; implicit-def: $sgpr36
                                        ; implicit-def: $vgpr0_vgpr1
                                        ; implicit-def: $vgpr5
                                        ; implicit-def: $vgpr2
                                        ; implicit-def: $vgpr4
	s_xor_b64 exec, exec, s[26:27]
	s_cbranch_execz .LBB72_2013
; %bb.1046:
	v_mul_lo_u32 v0, s19, v21
	v_ashrrev_i32_e32 v1, 31, v0
	s_and_b32 s10, 0xffff, s48
	s_cmp_lt_i32 s10, 11
	s_waitcnt vmcnt(0)
	v_lshl_add_u64 v[2:3], s[22:23], 0, v[0:1]
	s_cbranch_scc1 .LBB72_1053
; %bb.1047:
	s_cmp_gt_i32 s10, 25
	s_mov_b64 s[2:3], 0
	s_cbranch_scc0 .LBB72_1055
; %bb.1048:
	s_cmp_gt_i32 s10, 28
	s_cbranch_scc0 .LBB72_1056
; %bb.1049:
	s_cmp_gt_i32 s10, 43
	;; [unrolled: 3-line block ×3, first 2 shown]
	s_cbranch_scc0 .LBB72_1058
; %bb.1051:
	s_cmp_eq_u32 s10, 46
	s_mov_b64 s[6:7], 0
	s_cbranch_scc0 .LBB72_1061
; %bb.1052:
	global_load_dword v1, v[2:3], off
	s_mov_b64 s[4:5], -1
	s_waitcnt vmcnt(0)
	v_and_b32_e32 v5, 0xffff0000, v1
	v_lshlrev_b32_e32 v1, 16, v1
	v_cvt_f16_f32_e32 v4, v1
	v_cvt_f16_f32_e32 v5, v5
	s_branch .LBB72_1062
.LBB72_1053:
	s_mov_b64 s[4:5], 0
                                        ; implicit-def: $vgpr5
                                        ; implicit-def: $vgpr4
	s_mov_b64 s[34:35], s[28:29]
	s_cbranch_execnz .LBB72_1128
.LBB72_1054:
	s_andn2_b64 vcc, exec, s[4:5]
	s_cbranch_vccz .LBB72_1175
	s_branch .LBB72_2011
.LBB72_1055:
	s_mov_b64 s[4:5], 0
                                        ; implicit-def: $vgpr5
                                        ; implicit-def: $vgpr4
	s_cbranch_execnz .LBB72_1092
	s_branch .LBB72_1124
.LBB72_1056:
	s_mov_b64 s[4:5], 0
                                        ; implicit-def: $vgpr5
                                        ; implicit-def: $vgpr4
	s_cbranch_execnz .LBB72_1074
	s_branch .LBB72_1091
.LBB72_1057:
	s_mov_b64 s[6:7], -1
	s_mov_b64 s[4:5], 0
                                        ; implicit-def: $vgpr5
                                        ; implicit-def: $vgpr4
	s_branch .LBB72_1068
.LBB72_1058:
	s_mov_b64 s[6:7], -1
	s_mov_b64 s[4:5], 0
                                        ; implicit-def: $vgpr5
                                        ; implicit-def: $vgpr4
	s_branch .LBB72_1062
.LBB72_1059:
	s_andn2_saveexec_b64 s[6:7], s[6:7]
	s_cbranch_execz .LBB72_958
.LBB72_1060:
	s_mov_b32 s8, 0x46000000
	v_add_f32_e64 v6, |v5|, s8
	v_and_b32_e32 v6, 0xff, v6
	v_cmp_ne_u32_e32 vcc, 0, v6
	s_andn2_b64 s[4:5], s[4:5], exec
	s_and_b64 s[8:9], vcc, exec
	s_or_b64 s[4:5], s[4:5], s[8:9]
	s_or_b64 exec, exec, s[6:7]
	v_mov_b32_e32 v7, 0
	s_and_saveexec_b64 s[6:7], s[4:5]
	s_cbranch_execnz .LBB72_959
	s_branch .LBB72_960
.LBB72_1061:
	s_mov_b64 s[0:1], -1
                                        ; implicit-def: $vgpr5
                                        ; implicit-def: $vgpr4
	s_mov_b64 s[4:5], 0
.LBB72_1062:
	s_and_b64 vcc, exec, s[6:7]
	s_cbranch_vccz .LBB72_1067
; %bb.1063:
	s_cmp_eq_u32 s10, 44
	s_cbranch_scc0 .LBB72_1065
; %bb.1064:
	global_load_ubyte v1, v[2:3], off
	s_movk_i32 s4, 0xff
	v_mov_b32_e32 v5, 0x7e00
	s_mov_b64 s[0:1], 0
	s_waitcnt vmcnt(0)
	v_lshlrev_b32_e32 v4, 23, v1
	v_cvt_f16_f32_e32 v4, v4
	v_cmp_ne_u32_e32 vcc, s4, v1
	s_mov_b64 s[4:5], -1
	s_nop 0
	v_cndmask_b32_e32 v4, v5, v4, vcc
	v_cmp_ne_u32_e32 vcc, 0, v1
	s_nop 1
	v_cndmask_b32_e32 v4, 0, v4, vcc
	s_branch .LBB72_1066
.LBB72_1065:
	s_mov_b64 s[0:1], -1
                                        ; implicit-def: $vgpr4
.LBB72_1066:
	v_mov_b32_e32 v5, 0
.LBB72_1067:
	s_mov_b64 s[6:7], 0
.LBB72_1068:
	s_and_b64 vcc, exec, s[6:7]
	s_cbranch_vccz .LBB72_1073
; %bb.1069:
	s_cmp_eq_u32 s10, 29
	s_cbranch_scc0 .LBB72_1071
; %bb.1070:
	global_load_dwordx2 v[4:5], v[2:3], off
	s_mov_b64 s[0:1], 0
	s_mov_b64 s[4:5], -1
	s_waitcnt vmcnt(0)
	v_ffbh_u32_e32 v1, v5
	v_min_u32_e32 v1, 32, v1
	v_lshlrev_b64 v[4:5], v1, v[4:5]
	v_min_u32_e32 v4, 1, v4
	v_or_b32_e32 v4, v5, v4
	v_cvt_f32_u32_e32 v4, v4
	v_sub_u32_e32 v1, 32, v1
	v_ldexp_f32 v1, v4, v1
	v_cvt_f16_f32_e32 v4, v1
	s_branch .LBB72_1072
.LBB72_1071:
	s_mov_b64 s[0:1], -1
                                        ; implicit-def: $vgpr4
.LBB72_1072:
	v_mov_b32_e32 v5, 0
.LBB72_1073:
	s_branch .LBB72_1091
.LBB72_1074:
	s_cmp_lt_i32 s10, 27
	s_cbranch_scc1 .LBB72_1077
; %bb.1075:
	s_cmp_gt_i32 s10, 27
	s_cbranch_scc0 .LBB72_1078
; %bb.1076:
	global_load_dword v1, v[2:3], off
	s_mov_b64 s[4:5], 0
	s_waitcnt vmcnt(0)
	v_cvt_f32_u32_e32 v1, v1
	v_cvt_f16_f32_e32 v4, v1
	s_branch .LBB72_1079
.LBB72_1077:
	s_mov_b64 s[4:5], -1
                                        ; implicit-def: $vgpr4
	s_branch .LBB72_1082
.LBB72_1078:
	s_mov_b64 s[4:5], -1
                                        ; implicit-def: $vgpr4
.LBB72_1079:
	s_andn2_b64 vcc, exec, s[4:5]
	s_cbranch_vccnz .LBB72_1081
; %bb.1080:
	global_load_ushort v1, v[2:3], off
	s_waitcnt vmcnt(0)
	v_cvt_f16_u16_e32 v4, v1
.LBB72_1081:
	s_mov_b64 s[4:5], 0
.LBB72_1082:
	s_andn2_b64 vcc, exec, s[4:5]
	s_cbranch_vccnz .LBB72_1090
; %bb.1083:
	global_load_ubyte v1, v[2:3], off
	s_movk_i32 s4, 0x7f
	s_waitcnt vmcnt(0)
	v_cmp_lt_i16_e32 vcc, s4, v1
	s_mov_b64 s[4:5], 0
	s_and_saveexec_b64 s[6:7], vcc
	s_xor_b64 s[6:7], exec, s[6:7]
	s_cbranch_execz .LBB72_1103
; %bb.1084:
	s_movk_i32 s4, 0x80
	v_cmp_eq_u16_e32 vcc, s4, v1
	s_mov_b64 s[4:5], -1
	s_and_saveexec_b64 s[8:9], vcc
; %bb.1085:
	s_xor_b64 s[4:5], exec, -1
; %bb.1086:
	s_or_b64 exec, exec, s[8:9]
	s_and_b64 s[4:5], s[4:5], exec
	s_or_saveexec_b64 s[6:7], s[6:7]
	v_mov_b32_e32 v4, 0x7e00
	s_xor_b64 exec, exec, s[6:7]
	s_cbranch_execnz .LBB72_1104
.LBB72_1087:
	s_or_b64 exec, exec, s[6:7]
	s_and_saveexec_b64 s[6:7], s[4:5]
	s_cbranch_execz .LBB72_1089
.LBB72_1088:
	v_lshlrev_b32_e32 v4, 24, v1
	v_and_b32_e32 v1, 0xffff, v1
	v_and_b32_e32 v5, 7, v1
	v_ffbh_u32_e32 v7, v5
	v_min_u32_e32 v7, 32, v7
	v_subrev_u32_e32 v8, 28, v7
	v_bfe_u32 v6, v1, 3, 4
	v_lshlrev_b32_e32 v1, v8, v1
	v_sub_u32_e32 v7, 29, v7
	v_and_b32_e32 v1, 7, v1
	v_cmp_eq_u32_e32 vcc, 0, v6
	v_and_b32_e32 v4, 0x80000000, v4
	s_nop 0
	v_cndmask_b32_e32 v6, v6, v7, vcc
	v_cndmask_b32_e32 v1, v5, v1, vcc
	v_mov_b32_e32 v5, 0x3b800000
	v_lshlrev_b32_e32 v1, 20, v1
	v_lshl_add_u32 v5, v6, 23, v5
	v_or3_b32 v1, v4, v5, v1
	v_cvt_f16_f32_e32 v4, v1
.LBB72_1089:
	s_or_b64 exec, exec, s[6:7]
.LBB72_1090:
	s_mov_b64 s[4:5], -1
	v_mov_b32_e32 v5, 0
.LBB72_1091:
	s_branch .LBB72_1124
.LBB72_1092:
	s_cmp_gt_i32 s10, 22
	s_cbranch_scc0 .LBB72_1102
; %bb.1093:
	s_cmp_lt_i32 s10, 24
	s_cbranch_scc1 .LBB72_1105
; %bb.1094:
	s_cmp_gt_i32 s10, 24
	s_cbranch_scc0 .LBB72_1106
; %bb.1095:
	global_load_ubyte v1, v[2:3], off
	s_movk_i32 s2, 0x7f
	s_waitcnt vmcnt(0)
	v_cmp_lt_i16_e32 vcc, s2, v1
	s_mov_b64 s[2:3], 0
	s_and_saveexec_b64 s[4:5], vcc
	s_xor_b64 s[4:5], exec, s[4:5]
	s_cbranch_execz .LBB72_1117
; %bb.1096:
	s_movk_i32 s2, 0x80
	v_cmp_eq_u16_e32 vcc, s2, v1
	s_mov_b64 s[2:3], -1
	s_and_saveexec_b64 s[6:7], vcc
; %bb.1097:
	s_xor_b64 s[2:3], exec, -1
; %bb.1098:
	s_or_b64 exec, exec, s[6:7]
	s_and_b64 s[2:3], s[2:3], exec
	s_or_saveexec_b64 s[4:5], s[4:5]
	v_mov_b32_e32 v4, 0x7e00
	s_xor_b64 exec, exec, s[4:5]
	s_cbranch_execnz .LBB72_1118
.LBB72_1099:
	s_or_b64 exec, exec, s[4:5]
	s_and_saveexec_b64 s[4:5], s[2:3]
	s_cbranch_execz .LBB72_1101
.LBB72_1100:
	v_lshlrev_b32_e32 v4, 24, v1
	v_and_b32_e32 v1, 0xffff, v1
	v_and_b32_e32 v5, 3, v1
	v_ffbh_u32_e32 v7, v5
	v_min_u32_e32 v7, 32, v7
	v_subrev_u32_e32 v8, 29, v7
	v_bfe_u32 v6, v1, 2, 5
	v_lshlrev_b32_e32 v1, v8, v1
	v_sub_u32_e32 v7, 30, v7
	v_and_b32_e32 v1, 3, v1
	v_cmp_eq_u32_e32 vcc, 0, v6
	v_and_b32_e32 v4, 0x80000000, v4
	s_nop 0
	v_cndmask_b32_e32 v6, v6, v7, vcc
	v_cndmask_b32_e32 v1, v5, v1, vcc
	v_mov_b32_e32 v5, 0x37800000
	v_lshlrev_b32_e32 v1, 21, v1
	v_lshl_add_u32 v5, v6, 23, v5
	v_or3_b32 v1, v4, v5, v1
	v_cvt_f16_f32_e32 v4, v1
.LBB72_1101:
	s_or_b64 exec, exec, s[4:5]
	s_mov_b64 s[2:3], 0
	s_branch .LBB72_1107
.LBB72_1102:
                                        ; implicit-def: $vgpr4
	s_mov_b64 s[2:3], 0
	s_branch .LBB72_1113
.LBB72_1103:
	s_or_saveexec_b64 s[6:7], s[6:7]
	v_mov_b32_e32 v4, 0x7e00
	s_xor_b64 exec, exec, s[6:7]
	s_cbranch_execz .LBB72_1087
.LBB72_1104:
	v_cmp_ne_u16_e32 vcc, 0, v1
	s_andn2_b64 s[4:5], s[4:5], exec
	s_and_b64 s[8:9], vcc, exec
	s_or_b64 s[4:5], s[4:5], s[8:9]
	v_mov_b32_e32 v4, v1
	s_or_b64 exec, exec, s[6:7]
	s_and_saveexec_b64 s[6:7], s[4:5]
	s_cbranch_execnz .LBB72_1088
	s_branch .LBB72_1089
.LBB72_1105:
	s_mov_b64 s[2:3], -1
                                        ; implicit-def: $vgpr4
	s_branch .LBB72_1110
.LBB72_1106:
	s_mov_b64 s[2:3], -1
                                        ; implicit-def: $vgpr4
.LBB72_1107:
	s_and_b64 vcc, exec, s[2:3]
	s_cbranch_vccz .LBB72_1109
; %bb.1108:
	global_load_ubyte v1, v[2:3], off
	s_mov_b32 s2, 0x7f800000
	s_waitcnt vmcnt(0)
	v_lshlrev_b32_e32 v1, 24, v1
	v_and_b32_e32 v4, 0x7f000000, v1
	v_ffbh_u32_e32 v5, v4
	v_min_u32_e32 v5, 32, v5
	v_sub_u32_e64 v5, v5, 4 clamp
	v_lshlrev_b32_e32 v7, v5, v4
	v_lshlrev_b32_e32 v5, 23, v5
	v_lshrrev_b32_e32 v7, 4, v7
	v_add_u32_e32 v6, 0x1000000, v4
	v_sub_u32_e32 v5, v7, v5
	v_ashrrev_i32_e32 v6, 8, v6
	v_add_u32_e32 v5, 0x3c000000, v5
	v_and_or_b32 v5, v6, s2, v5
	v_cmp_ne_u32_e32 vcc, 0, v4
	s_brev_b32 s2, 1
	s_nop 0
	v_cndmask_b32_e32 v4, 0, v5, vcc
	v_and_or_b32 v1, v1, s2, v4
	v_cvt_f16_f32_e32 v4, v1
.LBB72_1109:
	s_mov_b64 s[2:3], 0
.LBB72_1110:
	s_andn2_b64 vcc, exec, s[2:3]
	s_cbranch_vccnz .LBB72_1112
; %bb.1111:
	global_load_ubyte v1, v[2:3], off
	s_movk_i32 s2, 0x7f00
	s_brev_b32 s3, 16
	s_waitcnt vmcnt(0)
	v_lshlrev_b16_e32 v4, 8, v1
	v_lshlrev_b32_e32 v1, 25, v1
	v_lshrrev_b32_e32 v5, 4, v1
	v_and_or_b32 v6, v4, s2, 0.5
	v_or_b32_e32 v5, 0x70000000, v5
	v_add_f32_e32 v6, -0.5, v6
	v_mul_f32_e32 v5, 0x7800000, v5
	v_cmp_gt_u32_e32 vcc, s3, v1
	v_bfe_i32 v4, v4, 0, 16
	s_brev_b32 s2, 1
	v_cndmask_b32_e32 v1, v5, v6, vcc
	v_and_or_b32 v1, v4, s2, v1
	v_cvt_f16_f32_e32 v4, v1
.LBB72_1112:
	s_mov_b64 s[4:5], -1
	s_mov_b64 s[2:3], 0
	s_cbranch_execnz .LBB72_1123
.LBB72_1113:
	s_cmp_gt_i32 s10, 14
	s_cbranch_scc0 .LBB72_1116
; %bb.1114:
	s_cmp_eq_u32 s10, 15
	s_cbranch_scc0 .LBB72_1119
; %bb.1115:
	global_load_ushort v1, v[2:3], off
	s_mov_b64 s[0:1], 0
	s_mov_b64 s[4:5], -1
	s_waitcnt vmcnt(0)
	v_lshlrev_b32_e32 v1, 16, v1
	v_cvt_f16_f32_e32 v4, v1
	s_branch .LBB72_1120
.LBB72_1116:
	s_mov_b64 s[6:7], -1
                                        ; implicit-def: $vgpr4
	s_branch .LBB72_1121
.LBB72_1117:
	s_or_saveexec_b64 s[4:5], s[4:5]
	v_mov_b32_e32 v4, 0x7e00
	s_xor_b64 exec, exec, s[4:5]
	s_cbranch_execz .LBB72_1099
.LBB72_1118:
	v_cmp_ne_u16_e32 vcc, 0, v1
	s_andn2_b64 s[2:3], s[2:3], exec
	s_and_b64 s[6:7], vcc, exec
	s_or_b64 s[2:3], s[2:3], s[6:7]
	v_mov_b32_e32 v4, v1
	s_or_b64 exec, exec, s[4:5]
	s_and_saveexec_b64 s[4:5], s[2:3]
	s_cbranch_execnz .LBB72_1100
	s_branch .LBB72_1101
.LBB72_1119:
	s_mov_b64 s[0:1], -1
                                        ; implicit-def: $vgpr4
.LBB72_1120:
	s_mov_b64 s[6:7], 0
.LBB72_1121:
	s_and_b64 vcc, exec, s[6:7]
	s_cbranch_vccz .LBB72_1123
; %bb.1122:
	s_cmp_lg_u32 s10, 11
	s_mov_b64 s[2:3], -1
	s_cselect_b64 s[0:1], -1, 0
.LBB72_1123:
	v_mov_b32_e32 v5, 0
.LBB72_1124:
	s_and_b64 vcc, exec, s[0:1]
	s_mov_b64 s[34:35], s[28:29]
	s_cbranch_vccnz .LBB72_1187
; %bb.1125:
	s_andn2_b64 vcc, exec, s[2:3]
	s_cbranch_vccnz .LBB72_1127
.LBB72_1126:
	global_load_ubyte v1, v[2:3], off
	v_mov_b32_e32 v4, 0x3c00
	v_mov_b32_e32 v5, 0
	s_mov_b64 s[4:5], -1
	s_waitcnt vmcnt(0)
	v_cmp_ne_u16_e32 vcc, 0, v1
	s_nop 1
	v_cndmask_b32_e32 v4, 0, v4, vcc
.LBB72_1127:
	s_branch .LBB72_1054
.LBB72_1128:
	s_cmp_lt_i32 s10, 5
	s_cbranch_scc1 .LBB72_1133
; %bb.1129:
	s_cmp_lt_i32 s10, 8
	s_cbranch_scc1 .LBB72_1135
; %bb.1130:
	;; [unrolled: 3-line block ×3, first 2 shown]
	s_cmp_gt_i32 s10, 9
	s_cbranch_scc0 .LBB72_1137
; %bb.1132:
	global_load_dwordx4 v[4:7], v[2:3], off
	s_movk_i32 s0, 0x1ff
	s_movk_i32 s1, 0xffe
	v_mov_b32_e32 v1, 0x7c00
	v_mov_b32_e32 v8, 0x7e00
	s_movk_i32 s2, 0x40f
	s_mov_b32 s3, 0x8000
	s_waitcnt vmcnt(0)
	v_and_or_b32 v4, v5, s0, v4
	v_and_or_b32 v6, v7, s0, v6
	v_cmp_ne_u32_e32 vcc, 0, v4
	v_lshrrev_b32_e32 v9, 8, v5
	v_bfe_u32 v10, v5, 20, 11
	v_cndmask_b32_e64 v4, 0, 1, vcc
	v_cmp_ne_u32_e32 vcc, 0, v6
	v_lshrrev_b32_e32 v11, 8, v7
	v_bfe_u32 v12, v7, 20, 11
	v_cndmask_b32_e64 v6, 0, 1, vcc
	v_and_or_b32 v4, v9, s1, v4
	v_sub_u32_e32 v13, 0x3f1, v10
	v_add_u32_e32 v10, 0xfffffc10, v10
	v_sub_u32_e32 v14, 0x3f1, v12
	v_and_or_b32 v6, v11, s1, v6
	v_cmp_ne_u32_e32 vcc, 0, v4
	v_add_u32_e32 v12, 0xfffffc10, v12
	v_med3_i32 v9, v13, 0, 13
	v_med3_i32 v11, v14, 0, 13
	v_or_b32_e32 v13, 0x1000, v4
	v_lshl_or_b32 v14, v10, 12, v4
	v_cndmask_b32_e32 v4, v1, v8, vcc
	v_cmp_ne_u32_e32 vcc, 0, v6
	v_or_b32_e32 v15, 0x1000, v6
	v_lshl_or_b32 v16, v12, 12, v6
	v_cndmask_b32_e32 v6, v1, v8, vcc
	v_lshrrev_b32_e32 v8, v9, v13
	v_lshrrev_b32_e32 v17, v11, v15
	v_lshlrev_b32_e32 v9, v9, v8
	v_lshlrev_b32_e32 v11, v11, v17
	v_cmp_ne_u32_e32 vcc, v9, v13
	v_lshrrev_b32_e32 v5, 16, v5
	v_lshrrev_b32_e32 v7, 16, v7
	v_cndmask_b32_e64 v9, 0, 1, vcc
	v_cmp_ne_u32_e32 vcc, v11, v15
	v_or_b32_e32 v8, v8, v9
	s_mov_b64 s[0:1], 0
	v_cndmask_b32_e64 v11, 0, 1, vcc
	v_cmp_gt_i32_e32 vcc, 1, v10
	v_or_b32_e32 v9, v17, v11
	s_nop 0
	v_cndmask_b32_e32 v8, v14, v8, vcc
	v_cmp_gt_i32_e32 vcc, 1, v12
	v_and_b32_e32 v11, 7, v8
	v_lshrrev_b32_e32 v8, 2, v8
	v_cndmask_b32_e32 v9, v16, v9, vcc
	v_cmp_lt_i32_e32 vcc, 5, v11
	v_and_b32_e32 v13, 7, v9
	v_lshrrev_b32_e32 v9, 2, v9
	v_cndmask_b32_e64 v14, 0, 1, vcc
	v_cmp_eq_u32_e32 vcc, 3, v11
	s_nop 1
	v_cndmask_b32_e64 v11, 0, 1, vcc
	v_cmp_lt_i32_e32 vcc, 5, v13
	v_or_b32_e32 v11, v11, v14
	v_add_u32_e32 v8, v8, v11
	v_cndmask_b32_e64 v15, 0, 1, vcc
	v_cmp_eq_u32_e32 vcc, 3, v13
	s_nop 1
	v_cndmask_b32_e64 v13, 0, 1, vcc
	v_or_b32_e32 v13, v13, v15
	v_cmp_gt_i32_e32 vcc, 31, v10
	v_add_u32_e32 v9, v9, v13
	s_nop 0
	v_cndmask_b32_e32 v8, v1, v8, vcc
	v_cmp_gt_i32_e32 vcc, 31, v12
	s_nop 1
	v_cndmask_b32_e32 v1, v1, v9, vcc
	v_cmp_eq_u32_e32 vcc, s2, v10
	s_nop 1
	v_cndmask_b32_e32 v4, v8, v4, vcc
	v_cmp_eq_u32_e32 vcc, s2, v12
	v_and_or_b32 v4, v5, s3, v4
	s_nop 0
	v_cndmask_b32_e32 v1, v1, v6, vcc
	v_and_or_b32 v5, v7, s3, v1
	s_branch .LBB72_1138
.LBB72_1133:
                                        ; implicit-def: $vgpr5
                                        ; implicit-def: $vgpr4
	s_branch .LBB72_1156
.LBB72_1134:
	s_branch .LBB72_1175
.LBB72_1135:
                                        ; implicit-def: $vgpr5
                                        ; implicit-def: $vgpr4
	s_branch .LBB72_1144
.LBB72_1136:
	s_mov_b64 s[0:1], -1
                                        ; implicit-def: $vgpr5
                                        ; implicit-def: $vgpr4
	s_branch .LBB72_1141
.LBB72_1137:
	s_mov_b64 s[0:1], -1
                                        ; implicit-def: $vgpr5
                                        ; implicit-def: $vgpr4
.LBB72_1138:
	s_andn2_b64 vcc, exec, s[0:1]
	s_cbranch_vccnz .LBB72_1140
; %bb.1139:
	global_load_dwordx2 v[4:5], v[2:3], off
	s_waitcnt vmcnt(0)
	v_cvt_f16_f32_e32 v4, v4
	v_cvt_f16_f32_e32 v5, v5
.LBB72_1140:
	s_mov_b64 s[0:1], 0
.LBB72_1141:
	s_andn2_b64 vcc, exec, s[0:1]
	s_cbranch_vccnz .LBB72_1143
; %bb.1142:
	global_load_dword v4, v[2:3], off
	s_waitcnt vmcnt(0)
	v_lshrrev_b32_e32 v5, 16, v4
.LBB72_1143:
	s_cbranch_execnz .LBB72_1155
.LBB72_1144:
	s_cmp_lt_i32 s10, 6
	s_cbranch_scc1 .LBB72_1147
; %bb.1145:
	s_cmp_gt_i32 s10, 6
	s_cbranch_scc0 .LBB72_1148
; %bb.1146:
	global_load_dwordx2 v[4:5], v[2:3], off
	s_movk_i32 s0, 0x1ff
	s_movk_i32 s1, 0xffe
	v_mov_b32_e32 v1, 0x7c00
	v_mov_b32_e32 v6, 0x7e00
	s_movk_i32 s2, 0x40f
	s_mov_b32 s3, 0x8000
	s_waitcnt vmcnt(0)
	v_and_or_b32 v4, v5, s0, v4
	v_cmp_ne_u32_e32 vcc, 0, v4
	v_lshrrev_b32_e32 v7, 8, v5
	v_bfe_u32 v8, v5, 20, 11
	v_cndmask_b32_e64 v4, 0, 1, vcc
	v_sub_u32_e32 v9, 0x3f1, v8
	v_and_or_b32 v4, v7, s1, v4
	v_add_u32_e32 v8, 0xfffffc10, v8
	v_med3_i32 v7, v9, 0, 13
	v_or_b32_e32 v9, 0x1000, v4
	v_cmp_ne_u32_e32 vcc, 0, v4
	v_lshl_or_b32 v10, v8, 12, v4
	v_lshrrev_b32_e32 v5, 16, v5
	v_cndmask_b32_e32 v4, v1, v6, vcc
	v_lshrrev_b32_e32 v6, v7, v9
	v_lshlrev_b32_e32 v7, v7, v6
	v_cmp_ne_u32_e32 vcc, v7, v9
	s_mov_b64 s[0:1], 0
	s_nop 0
	v_cndmask_b32_e64 v7, 0, 1, vcc
	v_or_b32_e32 v6, v6, v7
	v_cmp_gt_i32_e32 vcc, 1, v8
	s_nop 1
	v_cndmask_b32_e32 v6, v10, v6, vcc
	v_and_b32_e32 v7, 7, v6
	v_cmp_lt_i32_e32 vcc, 5, v7
	v_lshrrev_b32_e32 v6, 2, v6
	s_nop 0
	v_cndmask_b32_e64 v9, 0, 1, vcc
	v_cmp_eq_u32_e32 vcc, 3, v7
	s_nop 1
	v_cndmask_b32_e64 v7, 0, 1, vcc
	v_or_b32_e32 v7, v7, v9
	v_add_u32_e32 v6, v6, v7
	v_cmp_gt_i32_e32 vcc, 31, v8
	s_nop 1
	v_cndmask_b32_e32 v1, v1, v6, vcc
	v_cmp_eq_u32_e32 vcc, s2, v8
	s_nop 1
	v_cndmask_b32_e32 v1, v1, v4, vcc
	v_and_or_b32 v4, v5, s3, v1
	s_branch .LBB72_1149
.LBB72_1147:
	s_mov_b64 s[0:1], -1
                                        ; implicit-def: $vgpr4
	s_branch .LBB72_1152
.LBB72_1148:
	s_mov_b64 s[0:1], -1
                                        ; implicit-def: $vgpr4
.LBB72_1149:
	s_andn2_b64 vcc, exec, s[0:1]
	s_cbranch_vccnz .LBB72_1151
; %bb.1150:
	global_load_dword v1, v[2:3], off
	s_waitcnt vmcnt(0)
	v_cvt_f16_f32_e32 v4, v1
.LBB72_1151:
	s_mov_b64 s[0:1], 0
.LBB72_1152:
	s_andn2_b64 vcc, exec, s[0:1]
	s_cbranch_vccnz .LBB72_1154
; %bb.1153:
	global_load_ushort v4, v[2:3], off
.LBB72_1154:
	v_mov_b32_e32 v5, 0
.LBB72_1155:
	s_cbranch_execnz .LBB72_1134
.LBB72_1156:
	s_cmp_lt_i32 s10, 2
	s_cbranch_scc1 .LBB72_1160
; %bb.1157:
	s_cmp_lt_i32 s10, 3
	s_cbranch_scc1 .LBB72_1161
; %bb.1158:
	s_cmp_gt_i32 s10, 3
	s_cbranch_scc0 .LBB72_1162
; %bb.1159:
	global_load_dwordx2 v[4:5], v[2:3], off
	s_mov_b64 s[0:1], 0
	s_waitcnt vmcnt(0)
	v_xor_b32_e32 v6, v4, v5
	v_ffbh_i32_e32 v1, v5
	v_ashrrev_i32_e32 v6, 31, v6
	v_add_u32_e32 v1, -1, v1
	v_add_u32_e32 v6, 32, v6
	v_min_u32_e32 v1, v1, v6
	v_lshlrev_b64 v[4:5], v1, v[4:5]
	v_min_u32_e32 v4, 1, v4
	v_or_b32_e32 v4, v5, v4
	v_cvt_f32_i32_e32 v4, v4
	v_sub_u32_e32 v1, 32, v1
	v_ldexp_f32 v1, v4, v1
	v_cvt_f16_f32_e32 v4, v1
	s_branch .LBB72_1163
.LBB72_1160:
                                        ; implicit-def: $vgpr4
	s_branch .LBB72_1169
.LBB72_1161:
	s_mov_b64 s[0:1], -1
                                        ; implicit-def: $vgpr4
	s_branch .LBB72_1166
.LBB72_1162:
	s_mov_b64 s[0:1], -1
                                        ; implicit-def: $vgpr4
.LBB72_1163:
	s_andn2_b64 vcc, exec, s[0:1]
	s_cbranch_vccnz .LBB72_1165
; %bb.1164:
	global_load_dword v1, v[2:3], off
	s_waitcnt vmcnt(0)
	v_cvt_f32_i32_e32 v1, v1
	v_cvt_f16_f32_e32 v4, v1
.LBB72_1165:
	s_mov_b64 s[0:1], 0
.LBB72_1166:
	s_andn2_b64 vcc, exec, s[0:1]
	s_cbranch_vccnz .LBB72_1168
; %bb.1167:
	global_load_ushort v1, v[2:3], off
	s_waitcnt vmcnt(0)
	v_cvt_f16_i16_e32 v4, v1
.LBB72_1168:
	s_cbranch_execnz .LBB72_1174
.LBB72_1169:
	s_cmp_gt_i32 s10, 0
	s_cbranch_scc0 .LBB72_1171
; %bb.1170:
	global_load_sbyte v1, v[2:3], off
	s_mov_b64 s[0:1], 0
	s_waitcnt vmcnt(0)
	v_cvt_f16_i16_e32 v4, v1
	s_branch .LBB72_1172
.LBB72_1171:
	s_mov_b64 s[0:1], -1
                                        ; implicit-def: $vgpr4
.LBB72_1172:
	s_andn2_b64 vcc, exec, s[0:1]
	s_cbranch_vccnz .LBB72_1174
; %bb.1173:
	global_load_ubyte v1, v[2:3], off
	s_waitcnt vmcnt(0)
	v_cvt_f16_u16_e32 v4, v1
.LBB72_1174:
	v_mov_b32_e32 v5, 0
.LBB72_1175:
	s_lshl_b32 s11, s19, 7
	v_add_u32_e32 v0, s11, v0
	v_ashrrev_i32_e32 v1, 31, v0
	s_cmp_lt_i32 s10, 11
	v_lshl_add_u64 v[2:3], s[22:23], 0, v[0:1]
	s_cbranch_scc1 .LBB72_1182
; %bb.1176:
	s_cmp_gt_i32 s10, 25
	s_mov_b64 s[2:3], 0
	s_cbranch_scc0 .LBB72_1184
; %bb.1177:
	s_cmp_gt_i32 s10, 28
	s_cbranch_scc0 .LBB72_1185
; %bb.1178:
	s_cmp_gt_i32 s10, 43
	;; [unrolled: 3-line block ×3, first 2 shown]
	s_cbranch_scc0 .LBB72_1188
; %bb.1180:
	s_cmp_eq_u32 s10, 46
	s_mov_b64 s[6:7], 0
	s_cbranch_scc0 .LBB72_1191
; %bb.1181:
	global_load_dword v1, v[2:3], off
	s_mov_b64 s[0:1], 0
	s_mov_b64 s[4:5], -1
	s_waitcnt vmcnt(0)
	v_and_b32_e32 v6, 0xffff0000, v1
	v_lshlrev_b32_e32 v1, 16, v1
	v_cvt_f16_f32_e32 v24, v1
	v_cvt_f16_f32_e32 v26, v6
	s_branch .LBB72_1192
.LBB72_1182:
	s_mov_b64 s[4:5], 0
                                        ; implicit-def: $vgpr26
                                        ; implicit-def: $vgpr24
	s_cbranch_execnz .LBB72_1260
.LBB72_1183:
	s_andn2_b64 vcc, exec, s[4:5]
	s_cbranch_vccnz .LBB72_2011
	s_branch .LBB72_1309
.LBB72_1184:
	s_mov_b64 s[4:5], 0
	s_mov_b64 s[0:1], 0
                                        ; implicit-def: $vgpr26
                                        ; implicit-def: $vgpr24
	s_cbranch_execnz .LBB72_1223
	s_branch .LBB72_1256
.LBB72_1185:
	s_mov_b64 s[6:7], -1
	s_mov_b64 s[4:5], 0
	s_mov_b64 s[0:1], 0
                                        ; implicit-def: $vgpr26
                                        ; implicit-def: $vgpr24
	s_branch .LBB72_1204
.LBB72_1186:
	s_mov_b64 s[6:7], -1
	s_mov_b64 s[4:5], 0
	s_mov_b64 s[0:1], 0
                                        ; implicit-def: $vgpr26
                                        ; implicit-def: $vgpr24
	s_branch .LBB72_1198
.LBB72_1187:
	s_trap 2
	s_or_b64 s[34:35], s[28:29], exec
	s_cbranch_execz .LBB72_1126
	s_branch .LBB72_1127
.LBB72_1188:
	s_mov_b64 s[6:7], -1
	s_mov_b64 s[4:5], 0
	s_mov_b64 s[0:1], 0
                                        ; implicit-def: $vgpr26
                                        ; implicit-def: $vgpr24
	s_branch .LBB72_1192
.LBB72_1189:
	s_andn2_saveexec_b64 s[8:9], s[8:9]
	s_cbranch_execz .LBB72_970
.LBB72_1190:
	s_mov_b32 s12, 0x42800000
	v_add_f32_e64 v6, |v5|, s12
	v_and_b32_e32 v6, 0xff, v6
	v_cmp_ne_u32_e32 vcc, 0, v6
	s_andn2_b64 s[6:7], s[6:7], exec
	s_and_b64 s[12:13], vcc, exec
	s_or_b64 s[6:7], s[6:7], s[12:13]
	s_or_b64 exec, exec, s[8:9]
	v_mov_b32_e32 v7, 0
	s_and_saveexec_b64 s[8:9], s[6:7]
	s_cbranch_execnz .LBB72_971
	s_branch .LBB72_972
.LBB72_1191:
	s_mov_b64 s[0:1], -1
                                        ; implicit-def: $vgpr26
                                        ; implicit-def: $vgpr24
	s_mov_b64 s[4:5], 0
.LBB72_1192:
	s_and_b64 vcc, exec, s[6:7]
	s_cbranch_vccz .LBB72_1197
; %bb.1193:
	s_cmp_eq_u32 s10, 44
	s_cbranch_scc0 .LBB72_1195
; %bb.1194:
	global_load_ubyte v1, v[2:3], off
	s_movk_i32 s4, 0xff
	v_mov_b32_e32 v7, 0x7e00
	s_mov_b64 s[0:1], 0
	s_waitcnt vmcnt(0)
	v_lshlrev_b32_e32 v6, 23, v1
	v_cvt_f16_f32_e32 v6, v6
	v_cmp_ne_u32_e32 vcc, s4, v1
	s_mov_b64 s[4:5], -1
	s_nop 0
	v_cndmask_b32_e32 v6, v7, v6, vcc
	v_cmp_ne_u32_e32 vcc, 0, v1
	s_nop 1
	v_cndmask_b32_e32 v24, 0, v6, vcc
	s_branch .LBB72_1196
.LBB72_1195:
	s_mov_b64 s[0:1], -1
                                        ; implicit-def: $vgpr24
.LBB72_1196:
	v_mov_b32_e32 v26, 0
.LBB72_1197:
	s_mov_b64 s[6:7], 0
.LBB72_1198:
	s_and_b64 vcc, exec, s[6:7]
	s_cbranch_vccz .LBB72_1203
; %bb.1199:
	s_cmp_eq_u32 s10, 29
	s_cbranch_scc0 .LBB72_1201
; %bb.1200:
	global_load_dwordx2 v[6:7], v[2:3], off
	s_mov_b64 s[0:1], 0
	s_mov_b64 s[4:5], -1
	s_waitcnt vmcnt(0)
	v_ffbh_u32_e32 v1, v7
	v_min_u32_e32 v1, 32, v1
	v_lshlrev_b64 v[6:7], v1, v[6:7]
	v_min_u32_e32 v6, 1, v6
	v_or_b32_e32 v6, v7, v6
	v_cvt_f32_u32_e32 v6, v6
	v_sub_u32_e32 v1, 32, v1
	v_ldexp_f32 v1, v6, v1
	v_cvt_f16_f32_e32 v24, v1
	s_branch .LBB72_1202
.LBB72_1201:
	s_mov_b64 s[0:1], -1
                                        ; implicit-def: $vgpr24
.LBB72_1202:
	v_mov_b32_e32 v26, 0
.LBB72_1203:
	s_mov_b64 s[6:7], 0
.LBB72_1204:
	s_and_b64 vcc, exec, s[6:7]
	s_cbranch_vccz .LBB72_1222
; %bb.1205:
	s_cmp_lt_i32 s10, 27
	s_cbranch_scc1 .LBB72_1208
; %bb.1206:
	s_cmp_gt_i32 s10, 27
	s_cbranch_scc0 .LBB72_1209
; %bb.1207:
	global_load_dword v1, v[2:3], off
	s_mov_b64 s[4:5], 0
	s_waitcnt vmcnt(0)
	v_cvt_f32_u32_e32 v1, v1
	v_cvt_f16_f32_e32 v24, v1
	s_branch .LBB72_1210
.LBB72_1208:
	s_mov_b64 s[4:5], -1
                                        ; implicit-def: $vgpr24
	s_branch .LBB72_1213
.LBB72_1209:
	s_mov_b64 s[4:5], -1
                                        ; implicit-def: $vgpr24
.LBB72_1210:
	s_andn2_b64 vcc, exec, s[4:5]
	s_cbranch_vccnz .LBB72_1212
; %bb.1211:
	global_load_ushort v1, v[2:3], off
	s_waitcnt vmcnt(0)
	v_cvt_f16_u16_e32 v24, v1
.LBB72_1212:
	s_mov_b64 s[4:5], 0
.LBB72_1213:
	s_andn2_b64 vcc, exec, s[4:5]
	s_cbranch_vccnz .LBB72_1221
; %bb.1214:
	global_load_ubyte v1, v[2:3], off
	s_movk_i32 s4, 0x7f
	s_waitcnt vmcnt(0)
	v_cmp_lt_i16_e32 vcc, s4, v1
	s_mov_b64 s[4:5], 0
	s_and_saveexec_b64 s[6:7], vcc
	s_xor_b64 s[6:7], exec, s[6:7]
	s_cbranch_execz .LBB72_1234
; %bb.1215:
	s_movk_i32 s4, 0x80
	v_cmp_eq_u16_e32 vcc, s4, v1
	s_mov_b64 s[4:5], -1
	s_and_saveexec_b64 s[8:9], vcc
; %bb.1216:
	s_xor_b64 s[4:5], exec, -1
; %bb.1217:
	s_or_b64 exec, exec, s[8:9]
	s_and_b64 s[4:5], s[4:5], exec
	s_or_saveexec_b64 s[6:7], s[6:7]
	v_mov_b32_e32 v24, 0x7e00
	s_xor_b64 exec, exec, s[6:7]
	s_cbranch_execnz .LBB72_1235
.LBB72_1218:
	s_or_b64 exec, exec, s[6:7]
	s_and_saveexec_b64 s[6:7], s[4:5]
	s_cbranch_execz .LBB72_1220
.LBB72_1219:
	v_lshlrev_b32_e32 v6, 24, v1
	v_and_b32_e32 v1, 0xffff, v1
	v_and_b32_e32 v7, 7, v1
	v_ffbh_u32_e32 v9, v7
	v_min_u32_e32 v9, 32, v9
	v_subrev_u32_e32 v10, 28, v9
	v_bfe_u32 v8, v1, 3, 4
	v_lshlrev_b32_e32 v1, v10, v1
	v_sub_u32_e32 v9, 29, v9
	v_and_b32_e32 v1, 7, v1
	v_cmp_eq_u32_e32 vcc, 0, v8
	v_and_b32_e32 v6, 0x80000000, v6
	s_nop 0
	v_cndmask_b32_e32 v8, v8, v9, vcc
	v_cndmask_b32_e32 v1, v7, v1, vcc
	v_mov_b32_e32 v7, 0x3b800000
	v_lshlrev_b32_e32 v1, 20, v1
	v_lshl_add_u32 v7, v8, 23, v7
	v_or3_b32 v1, v6, v7, v1
	v_cvt_f16_f32_e32 v24, v1
.LBB72_1220:
	s_or_b64 exec, exec, s[6:7]
.LBB72_1221:
	s_mov_b64 s[4:5], -1
	v_mov_b32_e32 v26, 0
.LBB72_1222:
	s_branch .LBB72_1256
.LBB72_1223:
	s_cmp_gt_i32 s10, 22
	s_cbranch_scc0 .LBB72_1233
; %bb.1224:
	s_cmp_lt_i32 s10, 24
	s_cbranch_scc1 .LBB72_1236
; %bb.1225:
	s_cmp_gt_i32 s10, 24
	s_cbranch_scc0 .LBB72_1237
; %bb.1226:
	global_load_ubyte v1, v[2:3], off
	s_movk_i32 s2, 0x7f
	s_waitcnt vmcnt(0)
	v_cmp_lt_i16_e32 vcc, s2, v1
	s_mov_b64 s[2:3], 0
	s_and_saveexec_b64 s[4:5], vcc
	s_xor_b64 s[4:5], exec, s[4:5]
	s_cbranch_execz .LBB72_1249
; %bb.1227:
	s_movk_i32 s2, 0x80
	v_cmp_eq_u16_e32 vcc, s2, v1
	s_mov_b64 s[2:3], -1
	s_and_saveexec_b64 s[6:7], vcc
; %bb.1228:
	s_xor_b64 s[2:3], exec, -1
; %bb.1229:
	s_or_b64 exec, exec, s[6:7]
	s_and_b64 s[2:3], s[2:3], exec
	s_or_saveexec_b64 s[4:5], s[4:5]
	v_mov_b32_e32 v24, 0x7e00
	s_xor_b64 exec, exec, s[4:5]
	s_cbranch_execnz .LBB72_1250
.LBB72_1230:
	s_or_b64 exec, exec, s[4:5]
	s_and_saveexec_b64 s[4:5], s[2:3]
	s_cbranch_execz .LBB72_1232
.LBB72_1231:
	v_lshlrev_b32_e32 v6, 24, v1
	v_and_b32_e32 v1, 0xffff, v1
	v_and_b32_e32 v7, 3, v1
	v_ffbh_u32_e32 v9, v7
	v_min_u32_e32 v9, 32, v9
	v_subrev_u32_e32 v10, 29, v9
	v_bfe_u32 v8, v1, 2, 5
	v_lshlrev_b32_e32 v1, v10, v1
	v_sub_u32_e32 v9, 30, v9
	v_and_b32_e32 v1, 3, v1
	v_cmp_eq_u32_e32 vcc, 0, v8
	v_and_b32_e32 v6, 0x80000000, v6
	s_nop 0
	v_cndmask_b32_e32 v8, v8, v9, vcc
	v_cndmask_b32_e32 v1, v7, v1, vcc
	v_mov_b32_e32 v7, 0x37800000
	v_lshlrev_b32_e32 v1, 21, v1
	v_lshl_add_u32 v7, v8, 23, v7
	v_or3_b32 v1, v6, v7, v1
	v_cvt_f16_f32_e32 v24, v1
.LBB72_1232:
	s_or_b64 exec, exec, s[4:5]
	s_mov_b64 s[2:3], 0
	s_branch .LBB72_1238
.LBB72_1233:
	s_mov_b64 s[2:3], -1
                                        ; implicit-def: $vgpr24
	s_branch .LBB72_1244
.LBB72_1234:
	s_or_saveexec_b64 s[6:7], s[6:7]
	v_mov_b32_e32 v24, 0x7e00
	s_xor_b64 exec, exec, s[6:7]
	s_cbranch_execz .LBB72_1218
.LBB72_1235:
	v_cmp_ne_u16_e32 vcc, 0, v1
	s_andn2_b64 s[4:5], s[4:5], exec
	s_and_b64 s[8:9], vcc, exec
	s_or_b64 s[4:5], s[4:5], s[8:9]
	v_mov_b32_e32 v24, v1
	s_or_b64 exec, exec, s[6:7]
	s_and_saveexec_b64 s[6:7], s[4:5]
	s_cbranch_execnz .LBB72_1219
	s_branch .LBB72_1220
.LBB72_1236:
	s_mov_b64 s[2:3], -1
                                        ; implicit-def: $vgpr24
	s_branch .LBB72_1241
.LBB72_1237:
	s_mov_b64 s[2:3], -1
                                        ; implicit-def: $vgpr24
.LBB72_1238:
	s_and_b64 vcc, exec, s[2:3]
	s_cbranch_vccz .LBB72_1240
; %bb.1239:
	global_load_ubyte v1, v[2:3], off
	s_mov_b32 s2, 0x7f800000
	s_waitcnt vmcnt(0)
	v_lshlrev_b32_e32 v1, 24, v1
	v_and_b32_e32 v6, 0x7f000000, v1
	v_ffbh_u32_e32 v7, v6
	v_min_u32_e32 v7, 32, v7
	v_sub_u32_e64 v7, v7, 4 clamp
	v_lshlrev_b32_e32 v9, v7, v6
	v_lshlrev_b32_e32 v7, 23, v7
	v_lshrrev_b32_e32 v9, 4, v9
	v_add_u32_e32 v8, 0x1000000, v6
	v_sub_u32_e32 v7, v9, v7
	v_ashrrev_i32_e32 v8, 8, v8
	v_add_u32_e32 v7, 0x3c000000, v7
	v_and_or_b32 v7, v8, s2, v7
	v_cmp_ne_u32_e32 vcc, 0, v6
	s_brev_b32 s2, 1
	s_nop 0
	v_cndmask_b32_e32 v6, 0, v7, vcc
	v_and_or_b32 v1, v1, s2, v6
	v_cvt_f16_f32_e32 v24, v1
.LBB72_1240:
	s_mov_b64 s[2:3], 0
.LBB72_1241:
	s_andn2_b64 vcc, exec, s[2:3]
	s_cbranch_vccnz .LBB72_1243
; %bb.1242:
	global_load_ubyte v1, v[2:3], off
	s_movk_i32 s2, 0x7f00
	s_brev_b32 s3, 16
	s_waitcnt vmcnt(0)
	v_lshlrev_b16_e32 v6, 8, v1
	v_lshlrev_b32_e32 v1, 25, v1
	v_lshrrev_b32_e32 v7, 4, v1
	v_and_or_b32 v8, v6, s2, 0.5
	v_or_b32_e32 v7, 0x70000000, v7
	v_add_f32_e32 v8, -0.5, v8
	v_mul_f32_e32 v7, 0x7800000, v7
	v_cmp_gt_u32_e32 vcc, s3, v1
	v_bfe_i32 v6, v6, 0, 16
	s_brev_b32 s2, 1
	v_cndmask_b32_e32 v1, v7, v8, vcc
	v_and_or_b32 v1, v6, s2, v1
	v_cvt_f16_f32_e32 v24, v1
.LBB72_1243:
	s_mov_b64 s[2:3], 0
	s_mov_b64 s[4:5], -1
.LBB72_1244:
	s_andn2_b64 vcc, exec, s[2:3]
	s_mov_b64 s[2:3], 0
	s_cbranch_vccnz .LBB72_1255
; %bb.1245:
	s_cmp_gt_i32 s10, 14
	s_cbranch_scc0 .LBB72_1248
; %bb.1246:
	s_cmp_eq_u32 s10, 15
	s_cbranch_scc0 .LBB72_1251
; %bb.1247:
	global_load_ushort v1, v[2:3], off
	s_mov_b64 s[0:1], 0
	s_mov_b64 s[4:5], -1
	s_waitcnt vmcnt(0)
	v_lshlrev_b32_e32 v1, 16, v1
	v_cvt_f16_f32_e32 v24, v1
	s_branch .LBB72_1252
.LBB72_1248:
	s_mov_b64 s[6:7], -1
                                        ; implicit-def: $vgpr24
	s_branch .LBB72_1253
.LBB72_1249:
	s_or_saveexec_b64 s[4:5], s[4:5]
	v_mov_b32_e32 v24, 0x7e00
	s_xor_b64 exec, exec, s[4:5]
	s_cbranch_execz .LBB72_1230
.LBB72_1250:
	v_cmp_ne_u16_e32 vcc, 0, v1
	s_andn2_b64 s[2:3], s[2:3], exec
	s_and_b64 s[6:7], vcc, exec
	s_or_b64 s[2:3], s[2:3], s[6:7]
	v_mov_b32_e32 v24, v1
	s_or_b64 exec, exec, s[4:5]
	s_and_saveexec_b64 s[4:5], s[2:3]
	s_cbranch_execnz .LBB72_1231
	s_branch .LBB72_1232
.LBB72_1251:
	s_mov_b64 s[0:1], -1
                                        ; implicit-def: $vgpr24
.LBB72_1252:
	s_mov_b64 s[6:7], 0
.LBB72_1253:
	s_and_b64 vcc, exec, s[6:7]
	s_cbranch_vccz .LBB72_1255
; %bb.1254:
	s_cmp_lg_u32 s10, 11
	s_mov_b64 s[2:3], -1
	s_cselect_b64 s[0:1], -1, 0
.LBB72_1255:
	v_mov_b32_e32 v26, 0
.LBB72_1256:
	s_and_b64 vcc, exec, s[0:1]
	s_cbranch_vccnz .LBB72_1333
; %bb.1257:
	s_andn2_b64 vcc, exec, s[2:3]
	s_cbranch_vccnz .LBB72_1259
.LBB72_1258:
	global_load_ubyte v1, v[2:3], off
	v_mov_b32_e32 v6, 0x3c00
	v_mov_b32_e32 v26, 0
	s_mov_b64 s[4:5], -1
	s_waitcnt vmcnt(0)
	v_cmp_ne_u16_e32 vcc, 0, v1
	s_nop 1
	v_cndmask_b32_e32 v24, 0, v6, vcc
.LBB72_1259:
	s_branch .LBB72_1183
.LBB72_1260:
	s_cmp_lt_i32 s10, 5
	s_cbranch_scc1 .LBB72_1265
; %bb.1261:
	s_cmp_lt_i32 s10, 8
	s_cbranch_scc1 .LBB72_1267
; %bb.1262:
	;; [unrolled: 3-line block ×3, first 2 shown]
	s_cmp_gt_i32 s10, 9
	s_cbranch_scc0 .LBB72_1269
; %bb.1264:
	global_load_dwordx4 v[6:9], v[2:3], off
	s_movk_i32 s0, 0x1ff
	s_movk_i32 s1, 0xffe
	v_mov_b32_e32 v1, 0x7c00
	v_mov_b32_e32 v10, 0x7e00
	s_movk_i32 s2, 0x40f
	s_mov_b32 s3, 0x8000
	s_waitcnt vmcnt(0)
	v_and_or_b32 v6, v7, s0, v6
	v_and_or_b32 v8, v9, s0, v8
	v_cmp_ne_u32_e32 vcc, 0, v6
	v_lshrrev_b32_e32 v11, 8, v7
	v_bfe_u32 v12, v7, 20, 11
	v_cndmask_b32_e64 v6, 0, 1, vcc
	v_cmp_ne_u32_e32 vcc, 0, v8
	v_lshrrev_b32_e32 v13, 8, v9
	v_bfe_u32 v14, v9, 20, 11
	v_cndmask_b32_e64 v8, 0, 1, vcc
	v_and_or_b32 v6, v11, s1, v6
	v_sub_u32_e32 v15, 0x3f1, v12
	v_add_u32_e32 v12, 0xfffffc10, v12
	v_sub_u32_e32 v16, 0x3f1, v14
	v_and_or_b32 v8, v13, s1, v8
	v_cmp_ne_u32_e32 vcc, 0, v6
	v_add_u32_e32 v14, 0xfffffc10, v14
	v_med3_i32 v11, v15, 0, 13
	v_med3_i32 v13, v16, 0, 13
	v_or_b32_e32 v15, 0x1000, v6
	v_lshl_or_b32 v16, v12, 12, v6
	v_cndmask_b32_e32 v6, v1, v10, vcc
	v_cmp_ne_u32_e32 vcc, 0, v8
	v_or_b32_e32 v17, 0x1000, v8
	v_lshl_or_b32 v18, v14, 12, v8
	v_cndmask_b32_e32 v8, v1, v10, vcc
	v_lshrrev_b32_e32 v10, v11, v15
	v_lshrrev_b32_e32 v19, v13, v17
	v_lshlrev_b32_e32 v11, v11, v10
	v_lshlrev_b32_e32 v13, v13, v19
	v_cmp_ne_u32_e32 vcc, v11, v15
	v_lshrrev_b32_e32 v7, 16, v7
	v_lshrrev_b32_e32 v9, 16, v9
	v_cndmask_b32_e64 v11, 0, 1, vcc
	v_cmp_ne_u32_e32 vcc, v13, v17
	v_or_b32_e32 v10, v10, v11
	s_mov_b64 s[0:1], 0
	v_cndmask_b32_e64 v13, 0, 1, vcc
	v_cmp_gt_i32_e32 vcc, 1, v12
	v_or_b32_e32 v11, v19, v13
	s_nop 0
	v_cndmask_b32_e32 v10, v16, v10, vcc
	v_cmp_gt_i32_e32 vcc, 1, v14
	v_and_b32_e32 v13, 7, v10
	v_lshrrev_b32_e32 v10, 2, v10
	v_cndmask_b32_e32 v11, v18, v11, vcc
	v_cmp_lt_i32_e32 vcc, 5, v13
	v_and_b32_e32 v15, 7, v11
	v_lshrrev_b32_e32 v11, 2, v11
	v_cndmask_b32_e64 v16, 0, 1, vcc
	v_cmp_eq_u32_e32 vcc, 3, v13
	s_nop 1
	v_cndmask_b32_e64 v13, 0, 1, vcc
	v_cmp_lt_i32_e32 vcc, 5, v15
	v_or_b32_e32 v13, v13, v16
	v_add_u32_e32 v10, v10, v13
	v_cndmask_b32_e64 v17, 0, 1, vcc
	v_cmp_eq_u32_e32 vcc, 3, v15
	s_nop 1
	v_cndmask_b32_e64 v15, 0, 1, vcc
	v_or_b32_e32 v15, v15, v17
	v_cmp_gt_i32_e32 vcc, 31, v12
	v_add_u32_e32 v11, v11, v15
	s_nop 0
	v_cndmask_b32_e32 v10, v1, v10, vcc
	v_cmp_gt_i32_e32 vcc, 31, v14
	s_nop 1
	v_cndmask_b32_e32 v1, v1, v11, vcc
	v_cmp_eq_u32_e32 vcc, s2, v12
	s_nop 1
	v_cndmask_b32_e32 v6, v10, v6, vcc
	v_cmp_eq_u32_e32 vcc, s2, v14
	v_and_or_b32 v24, v7, s3, v6
	s_nop 0
	v_cndmask_b32_e32 v1, v1, v8, vcc
	v_and_or_b32 v26, v9, s3, v1
	s_branch .LBB72_1270
.LBB72_1265:
                                        ; implicit-def: $vgpr26
                                        ; implicit-def: $vgpr24
	s_branch .LBB72_1289
.LBB72_1266:
	s_branch .LBB72_1309
.LBB72_1267:
	s_mov_b64 s[0:1], -1
                                        ; implicit-def: $vgpr26
                                        ; implicit-def: $vgpr24
	s_branch .LBB72_1276
.LBB72_1268:
	s_mov_b64 s[0:1], -1
                                        ; implicit-def: $vgpr26
                                        ; implicit-def: $vgpr24
	s_branch .LBB72_1273
.LBB72_1269:
	s_mov_b64 s[0:1], -1
                                        ; implicit-def: $vgpr26
                                        ; implicit-def: $vgpr24
.LBB72_1270:
	s_andn2_b64 vcc, exec, s[0:1]
	s_cbranch_vccnz .LBB72_1272
; %bb.1271:
	global_load_dwordx2 v[6:7], v[2:3], off
	s_waitcnt vmcnt(0)
	v_cvt_f16_f32_e32 v24, v6
	v_cvt_f16_f32_e32 v26, v7
.LBB72_1272:
	s_mov_b64 s[0:1], 0
.LBB72_1273:
	s_andn2_b64 vcc, exec, s[0:1]
	s_cbranch_vccnz .LBB72_1275
; %bb.1274:
	global_load_dword v24, v[2:3], off
	s_waitcnt vmcnt(0)
	v_lshrrev_b32_e32 v26, 16, v24
.LBB72_1275:
	s_mov_b64 s[0:1], 0
.LBB72_1276:
	s_andn2_b64 vcc, exec, s[0:1]
	s_cbranch_vccnz .LBB72_1288
; %bb.1277:
	s_cmp_lt_i32 s10, 6
	s_cbranch_scc1 .LBB72_1280
; %bb.1278:
	s_cmp_gt_i32 s10, 6
	s_cbranch_scc0 .LBB72_1281
; %bb.1279:
	global_load_dwordx2 v[6:7], v[2:3], off
	s_movk_i32 s0, 0x1ff
	s_movk_i32 s1, 0xffe
	v_mov_b32_e32 v1, 0x7c00
	v_mov_b32_e32 v8, 0x7e00
	s_movk_i32 s2, 0x40f
	s_mov_b32 s3, 0x8000
	s_waitcnt vmcnt(0)
	v_and_or_b32 v6, v7, s0, v6
	v_cmp_ne_u32_e32 vcc, 0, v6
	v_lshrrev_b32_e32 v9, 8, v7
	v_bfe_u32 v10, v7, 20, 11
	v_cndmask_b32_e64 v6, 0, 1, vcc
	v_sub_u32_e32 v11, 0x3f1, v10
	v_and_or_b32 v6, v9, s1, v6
	v_add_u32_e32 v10, 0xfffffc10, v10
	v_med3_i32 v9, v11, 0, 13
	v_or_b32_e32 v11, 0x1000, v6
	v_cmp_ne_u32_e32 vcc, 0, v6
	v_lshl_or_b32 v12, v10, 12, v6
	v_lshrrev_b32_e32 v7, 16, v7
	v_cndmask_b32_e32 v6, v1, v8, vcc
	v_lshrrev_b32_e32 v8, v9, v11
	v_lshlrev_b32_e32 v9, v9, v8
	v_cmp_ne_u32_e32 vcc, v9, v11
	s_mov_b64 s[0:1], 0
	s_nop 0
	v_cndmask_b32_e64 v9, 0, 1, vcc
	v_or_b32_e32 v8, v8, v9
	v_cmp_gt_i32_e32 vcc, 1, v10
	s_nop 1
	v_cndmask_b32_e32 v8, v12, v8, vcc
	v_and_b32_e32 v9, 7, v8
	v_cmp_lt_i32_e32 vcc, 5, v9
	v_lshrrev_b32_e32 v8, 2, v8
	s_nop 0
	v_cndmask_b32_e64 v11, 0, 1, vcc
	v_cmp_eq_u32_e32 vcc, 3, v9
	s_nop 1
	v_cndmask_b32_e64 v9, 0, 1, vcc
	v_or_b32_e32 v9, v9, v11
	v_add_u32_e32 v8, v8, v9
	v_cmp_gt_i32_e32 vcc, 31, v10
	s_nop 1
	v_cndmask_b32_e32 v1, v1, v8, vcc
	v_cmp_eq_u32_e32 vcc, s2, v10
	s_nop 1
	v_cndmask_b32_e32 v1, v1, v6, vcc
	v_and_or_b32 v24, v7, s3, v1
	s_branch .LBB72_1282
.LBB72_1280:
	s_mov_b64 s[0:1], -1
                                        ; implicit-def: $vgpr24
	s_branch .LBB72_1285
.LBB72_1281:
	s_mov_b64 s[0:1], -1
                                        ; implicit-def: $vgpr24
.LBB72_1282:
	s_andn2_b64 vcc, exec, s[0:1]
	s_cbranch_vccnz .LBB72_1284
; %bb.1283:
	global_load_dword v1, v[2:3], off
	s_waitcnt vmcnt(0)
	v_cvt_f16_f32_e32 v24, v1
.LBB72_1284:
	s_mov_b64 s[0:1], 0
.LBB72_1285:
	s_andn2_b64 vcc, exec, s[0:1]
	s_cbranch_vccnz .LBB72_1287
; %bb.1286:
	global_load_ushort v24, v[2:3], off
.LBB72_1287:
	v_mov_b32_e32 v26, 0
.LBB72_1288:
	s_cbranch_execnz .LBB72_1266
.LBB72_1289:
	s_cmp_lt_i32 s10, 2
	s_cbranch_scc1 .LBB72_1293
; %bb.1290:
	s_cmp_lt_i32 s10, 3
	s_cbranch_scc1 .LBB72_1294
; %bb.1291:
	s_cmp_gt_i32 s10, 3
	s_cbranch_scc0 .LBB72_1295
; %bb.1292:
	global_load_dwordx2 v[6:7], v[2:3], off
	s_mov_b64 s[0:1], 0
	s_waitcnt vmcnt(0)
	v_xor_b32_e32 v8, v6, v7
	v_ffbh_i32_e32 v1, v7
	v_ashrrev_i32_e32 v8, 31, v8
	v_add_u32_e32 v1, -1, v1
	v_add_u32_e32 v8, 32, v8
	v_min_u32_e32 v1, v1, v8
	v_lshlrev_b64 v[6:7], v1, v[6:7]
	v_min_u32_e32 v6, 1, v6
	v_or_b32_e32 v6, v7, v6
	v_cvt_f32_i32_e32 v6, v6
	v_sub_u32_e32 v1, 32, v1
	v_ldexp_f32 v1, v6, v1
	v_cvt_f16_f32_e32 v24, v1
	s_branch .LBB72_1296
.LBB72_1293:
	s_mov_b64 s[0:1], -1
                                        ; implicit-def: $vgpr24
	s_branch .LBB72_1302
.LBB72_1294:
	s_mov_b64 s[0:1], -1
                                        ; implicit-def: $vgpr24
	s_branch .LBB72_1299
.LBB72_1295:
	s_mov_b64 s[0:1], -1
                                        ; implicit-def: $vgpr24
.LBB72_1296:
	s_andn2_b64 vcc, exec, s[0:1]
	s_cbranch_vccnz .LBB72_1298
; %bb.1297:
	global_load_dword v1, v[2:3], off
	s_waitcnt vmcnt(0)
	v_cvt_f32_i32_e32 v1, v1
	v_cvt_f16_f32_e32 v24, v1
.LBB72_1298:
	s_mov_b64 s[0:1], 0
.LBB72_1299:
	s_andn2_b64 vcc, exec, s[0:1]
	s_cbranch_vccnz .LBB72_1301
; %bb.1300:
	global_load_ushort v1, v[2:3], off
	s_waitcnt vmcnt(0)
	v_cvt_f16_i16_e32 v24, v1
.LBB72_1301:
	s_mov_b64 s[0:1], 0
.LBB72_1302:
	s_andn2_b64 vcc, exec, s[0:1]
	s_cbranch_vccnz .LBB72_1308
; %bb.1303:
	s_cmp_gt_i32 s10, 0
	s_cbranch_scc0 .LBB72_1305
; %bb.1304:
	global_load_sbyte v1, v[2:3], off
	s_mov_b64 s[0:1], 0
	s_waitcnt vmcnt(0)
	v_cvt_f16_i16_e32 v24, v1
	s_branch .LBB72_1306
.LBB72_1305:
	s_mov_b64 s[0:1], -1
                                        ; implicit-def: $vgpr24
.LBB72_1306:
	s_andn2_b64 vcc, exec, s[0:1]
	s_cbranch_vccnz .LBB72_1308
; %bb.1307:
	global_load_ubyte v1, v[2:3], off
	s_waitcnt vmcnt(0)
	v_cvt_f16_u16_e32 v24, v1
.LBB72_1308:
	v_mov_b32_e32 v26, 0
.LBB72_1309:
	v_add_u32_e32 v0, s11, v0
	v_ashrrev_i32_e32 v1, 31, v0
	s_cmp_lt_i32 s10, 11
	v_lshl_add_u64 v[2:3], s[22:23], 0, v[0:1]
	s_cbranch_scc1 .LBB72_1316
; %bb.1310:
	s_cmp_gt_i32 s10, 25
	s_mov_b64 s[2:3], 0
	s_cbranch_scc0 .LBB72_1318
; %bb.1311:
	s_cmp_gt_i32 s10, 28
	s_cbranch_scc0 .LBB72_1329
; %bb.1312:
	s_cmp_gt_i32 s10, 43
	;; [unrolled: 3-line block ×3, first 2 shown]
	s_cbranch_scc0 .LBB72_1334
; %bb.1314:
	s_cmp_eq_u32 s10, 46
	s_mov_b64 s[6:7], 0
	s_cbranch_scc0 .LBB72_1388
; %bb.1315:
	global_load_dword v1, v[2:3], off
	s_mov_b64 s[0:1], 0
	s_mov_b64 s[4:5], -1
	s_waitcnt vmcnt(0)
	v_and_b32_e32 v6, 0xffff0000, v1
	v_lshlrev_b32_e32 v1, 16, v1
	v_cvt_f16_f32_e32 v25, v1
	v_cvt_f16_f32_e32 v28, v6
	s_branch .LBB72_1389
.LBB72_1316:
	s_mov_b64 s[4:5], 0
                                        ; implicit-def: $vgpr28
                                        ; implicit-def: $vgpr25
	s_cbranch_execnz .LBB72_1323
.LBB72_1317:
	s_andn2_b64 vcc, exec, s[4:5]
	s_cbranch_vccnz .LBB72_2011
	s_branch .LBB72_1377
.LBB72_1318:
	s_mov_b64 s[4:5], 0
	s_mov_b64 s[0:1], 0
                                        ; implicit-def: $vgpr28
                                        ; implicit-def: $vgpr25
	s_cbranch_execnz .LBB72_1421
.LBB72_1319:
	s_and_b64 vcc, exec, s[0:1]
	s_cbranch_vccnz .LBB72_1454
.LBB72_1320:
	s_andn2_b64 vcc, exec, s[2:3]
	s_cbranch_vccnz .LBB72_1322
.LBB72_1321:
	global_load_ubyte v1, v[2:3], off
	v_mov_b32_e32 v6, 0x3c00
	v_mov_b32_e32 v28, 0
	s_mov_b64 s[4:5], -1
	s_waitcnt vmcnt(0)
	v_cmp_ne_u16_e32 vcc, 0, v1
	s_nop 1
	v_cndmask_b32_e32 v25, 0, v6, vcc
.LBB72_1322:
	s_branch .LBB72_1317
.LBB72_1323:
	s_cmp_lt_i32 s10, 5
	s_cbranch_scc1 .LBB72_1328
; %bb.1324:
	s_cmp_lt_i32 s10, 8
	s_cbranch_scc1 .LBB72_1330
; %bb.1325:
	;; [unrolled: 3-line block ×3, first 2 shown]
	s_cmp_gt_i32 s10, 9
	s_cbranch_scc0 .LBB72_1335
; %bb.1327:
	global_load_dwordx4 v[6:9], v[2:3], off
	s_movk_i32 s0, 0x1ff
	s_movk_i32 s1, 0xffe
	v_mov_b32_e32 v1, 0x7c00
	v_mov_b32_e32 v10, 0x7e00
	s_movk_i32 s2, 0x40f
	s_mov_b32 s3, 0x8000
	s_waitcnt vmcnt(0)
	v_and_or_b32 v6, v7, s0, v6
	v_and_or_b32 v8, v9, s0, v8
	v_cmp_ne_u32_e32 vcc, 0, v6
	v_lshrrev_b32_e32 v11, 8, v7
	v_bfe_u32 v12, v7, 20, 11
	v_cndmask_b32_e64 v6, 0, 1, vcc
	v_cmp_ne_u32_e32 vcc, 0, v8
	v_lshrrev_b32_e32 v13, 8, v9
	v_bfe_u32 v14, v9, 20, 11
	v_cndmask_b32_e64 v8, 0, 1, vcc
	v_and_or_b32 v6, v11, s1, v6
	v_sub_u32_e32 v15, 0x3f1, v12
	v_add_u32_e32 v12, 0xfffffc10, v12
	v_sub_u32_e32 v16, 0x3f1, v14
	v_and_or_b32 v8, v13, s1, v8
	v_cmp_ne_u32_e32 vcc, 0, v6
	v_add_u32_e32 v14, 0xfffffc10, v14
	v_med3_i32 v11, v15, 0, 13
	v_med3_i32 v13, v16, 0, 13
	v_or_b32_e32 v15, 0x1000, v6
	v_lshl_or_b32 v16, v12, 12, v6
	v_cndmask_b32_e32 v6, v1, v10, vcc
	v_cmp_ne_u32_e32 vcc, 0, v8
	v_or_b32_e32 v17, 0x1000, v8
	v_lshl_or_b32 v18, v14, 12, v8
	v_cndmask_b32_e32 v8, v1, v10, vcc
	v_lshrrev_b32_e32 v10, v11, v15
	v_lshrrev_b32_e32 v19, v13, v17
	v_lshlrev_b32_e32 v11, v11, v10
	v_lshlrev_b32_e32 v13, v13, v19
	v_cmp_ne_u32_e32 vcc, v11, v15
	v_lshrrev_b32_e32 v7, 16, v7
	v_lshrrev_b32_e32 v9, 16, v9
	v_cndmask_b32_e64 v11, 0, 1, vcc
	v_cmp_ne_u32_e32 vcc, v13, v17
	v_or_b32_e32 v10, v10, v11
	s_mov_b64 s[0:1], 0
	v_cndmask_b32_e64 v13, 0, 1, vcc
	v_cmp_gt_i32_e32 vcc, 1, v12
	v_or_b32_e32 v11, v19, v13
	s_nop 0
	v_cndmask_b32_e32 v10, v16, v10, vcc
	v_cmp_gt_i32_e32 vcc, 1, v14
	v_and_b32_e32 v13, 7, v10
	v_lshrrev_b32_e32 v10, 2, v10
	v_cndmask_b32_e32 v11, v18, v11, vcc
	v_cmp_lt_i32_e32 vcc, 5, v13
	v_and_b32_e32 v15, 7, v11
	v_lshrrev_b32_e32 v11, 2, v11
	v_cndmask_b32_e64 v16, 0, 1, vcc
	v_cmp_eq_u32_e32 vcc, 3, v13
	s_nop 1
	v_cndmask_b32_e64 v13, 0, 1, vcc
	v_cmp_lt_i32_e32 vcc, 5, v15
	v_or_b32_e32 v13, v13, v16
	v_add_u32_e32 v10, v10, v13
	v_cndmask_b32_e64 v17, 0, 1, vcc
	v_cmp_eq_u32_e32 vcc, 3, v15
	s_nop 1
	v_cndmask_b32_e64 v15, 0, 1, vcc
	v_or_b32_e32 v15, v15, v17
	v_cmp_gt_i32_e32 vcc, 31, v12
	v_add_u32_e32 v11, v11, v15
	s_nop 0
	v_cndmask_b32_e32 v10, v1, v10, vcc
	v_cmp_gt_i32_e32 vcc, 31, v14
	s_nop 1
	v_cndmask_b32_e32 v1, v1, v11, vcc
	v_cmp_eq_u32_e32 vcc, s2, v12
	s_nop 1
	v_cndmask_b32_e32 v6, v10, v6, vcc
	v_cmp_eq_u32_e32 vcc, s2, v14
	v_and_or_b32 v25, v7, s3, v6
	s_nop 0
	v_cndmask_b32_e32 v1, v1, v8, vcc
	v_and_or_b32 v28, v9, s3, v1
	s_branch .LBB72_1336
.LBB72_1328:
	s_mov_b64 s[0:1], -1
                                        ; implicit-def: $vgpr28
                                        ; implicit-def: $vgpr25
	s_branch .LBB72_1355
.LBB72_1329:
	s_mov_b64 s[6:7], -1
	s_mov_b64 s[4:5], 0
	s_mov_b64 s[0:1], 0
                                        ; implicit-def: $vgpr28
                                        ; implicit-def: $vgpr25
	s_branch .LBB72_1402
.LBB72_1330:
	s_mov_b64 s[0:1], -1
                                        ; implicit-def: $vgpr28
                                        ; implicit-def: $vgpr25
	s_branch .LBB72_1342
.LBB72_1331:
	s_mov_b64 s[6:7], -1
	s_mov_b64 s[4:5], 0
	s_mov_b64 s[0:1], 0
                                        ; implicit-def: $vgpr28
                                        ; implicit-def: $vgpr25
	s_branch .LBB72_1396
.LBB72_1332:
	s_mov_b64 s[0:1], -1
                                        ; implicit-def: $vgpr28
                                        ; implicit-def: $vgpr25
	s_branch .LBB72_1339
.LBB72_1333:
	s_trap 2
	s_or_b64 s[34:35], s[34:35], exec
	s_cbranch_execz .LBB72_1258
	s_branch .LBB72_1259
.LBB72_1334:
	s_mov_b64 s[6:7], -1
	s_mov_b64 s[4:5], 0
	s_mov_b64 s[0:1], 0
                                        ; implicit-def: $vgpr28
                                        ; implicit-def: $vgpr25
	s_branch .LBB72_1389
.LBB72_1335:
	s_mov_b64 s[0:1], -1
                                        ; implicit-def: $vgpr28
                                        ; implicit-def: $vgpr25
.LBB72_1336:
	s_andn2_b64 vcc, exec, s[0:1]
	s_cbranch_vccnz .LBB72_1338
; %bb.1337:
	global_load_dwordx2 v[6:7], v[2:3], off
	s_waitcnt vmcnt(0)
	v_cvt_f16_f32_e32 v25, v6
	v_cvt_f16_f32_e32 v28, v7
.LBB72_1338:
	s_mov_b64 s[0:1], 0
.LBB72_1339:
	s_andn2_b64 vcc, exec, s[0:1]
	s_cbranch_vccnz .LBB72_1341
; %bb.1340:
	global_load_dword v25, v[2:3], off
	s_waitcnt vmcnt(0)
	v_lshrrev_b32_e32 v28, 16, v25
.LBB72_1341:
	s_mov_b64 s[0:1], 0
.LBB72_1342:
	s_andn2_b64 vcc, exec, s[0:1]
	s_cbranch_vccnz .LBB72_1354
; %bb.1343:
	s_cmp_lt_i32 s10, 6
	s_cbranch_scc1 .LBB72_1346
; %bb.1344:
	s_cmp_gt_i32 s10, 6
	s_cbranch_scc0 .LBB72_1347
; %bb.1345:
	global_load_dwordx2 v[6:7], v[2:3], off
	s_movk_i32 s0, 0x1ff
	s_movk_i32 s1, 0xffe
	v_mov_b32_e32 v1, 0x7c00
	v_mov_b32_e32 v8, 0x7e00
	s_movk_i32 s2, 0x40f
	s_mov_b32 s3, 0x8000
	s_waitcnt vmcnt(0)
	v_and_or_b32 v6, v7, s0, v6
	v_cmp_ne_u32_e32 vcc, 0, v6
	v_lshrrev_b32_e32 v9, 8, v7
	v_bfe_u32 v10, v7, 20, 11
	v_cndmask_b32_e64 v6, 0, 1, vcc
	v_sub_u32_e32 v11, 0x3f1, v10
	v_and_or_b32 v6, v9, s1, v6
	v_add_u32_e32 v10, 0xfffffc10, v10
	v_med3_i32 v9, v11, 0, 13
	v_or_b32_e32 v11, 0x1000, v6
	v_cmp_ne_u32_e32 vcc, 0, v6
	v_lshl_or_b32 v12, v10, 12, v6
	v_lshrrev_b32_e32 v7, 16, v7
	v_cndmask_b32_e32 v6, v1, v8, vcc
	v_lshrrev_b32_e32 v8, v9, v11
	v_lshlrev_b32_e32 v9, v9, v8
	v_cmp_ne_u32_e32 vcc, v9, v11
	s_mov_b64 s[0:1], 0
	s_nop 0
	v_cndmask_b32_e64 v9, 0, 1, vcc
	v_or_b32_e32 v8, v8, v9
	v_cmp_gt_i32_e32 vcc, 1, v10
	s_nop 1
	v_cndmask_b32_e32 v8, v12, v8, vcc
	v_and_b32_e32 v9, 7, v8
	v_cmp_lt_i32_e32 vcc, 5, v9
	v_lshrrev_b32_e32 v8, 2, v8
	s_nop 0
	v_cndmask_b32_e64 v11, 0, 1, vcc
	v_cmp_eq_u32_e32 vcc, 3, v9
	s_nop 1
	v_cndmask_b32_e64 v9, 0, 1, vcc
	v_or_b32_e32 v9, v9, v11
	v_add_u32_e32 v8, v8, v9
	v_cmp_gt_i32_e32 vcc, 31, v10
	s_nop 1
	v_cndmask_b32_e32 v1, v1, v8, vcc
	v_cmp_eq_u32_e32 vcc, s2, v10
	s_nop 1
	v_cndmask_b32_e32 v1, v1, v6, vcc
	v_and_or_b32 v25, v7, s3, v1
	s_branch .LBB72_1348
.LBB72_1346:
	s_mov_b64 s[0:1], -1
                                        ; implicit-def: $vgpr25
	s_branch .LBB72_1351
.LBB72_1347:
	s_mov_b64 s[0:1], -1
                                        ; implicit-def: $vgpr25
.LBB72_1348:
	s_andn2_b64 vcc, exec, s[0:1]
	s_cbranch_vccnz .LBB72_1350
; %bb.1349:
	global_load_dword v1, v[2:3], off
	s_waitcnt vmcnt(0)
	v_cvt_f16_f32_e32 v25, v1
.LBB72_1350:
	s_mov_b64 s[0:1], 0
.LBB72_1351:
	s_andn2_b64 vcc, exec, s[0:1]
	s_cbranch_vccnz .LBB72_1353
; %bb.1352:
	global_load_ushort v25, v[2:3], off
.LBB72_1353:
	v_mov_b32_e32 v28, 0
.LBB72_1354:
	s_mov_b64 s[0:1], 0
.LBB72_1355:
	s_andn2_b64 vcc, exec, s[0:1]
	s_cbranch_vccnz .LBB72_1376
; %bb.1356:
	s_cmp_lt_i32 s10, 2
	s_cbranch_scc1 .LBB72_1360
; %bb.1357:
	s_cmp_lt_i32 s10, 3
	s_cbranch_scc1 .LBB72_1361
; %bb.1358:
	s_cmp_gt_i32 s10, 3
	s_cbranch_scc0 .LBB72_1362
; %bb.1359:
	global_load_dwordx2 v[6:7], v[2:3], off
	s_mov_b64 s[0:1], 0
	s_waitcnt vmcnt(0)
	v_xor_b32_e32 v8, v6, v7
	v_ffbh_i32_e32 v1, v7
	v_ashrrev_i32_e32 v8, 31, v8
	v_add_u32_e32 v1, -1, v1
	v_add_u32_e32 v8, 32, v8
	v_min_u32_e32 v1, v1, v8
	v_lshlrev_b64 v[6:7], v1, v[6:7]
	v_min_u32_e32 v6, 1, v6
	v_or_b32_e32 v6, v7, v6
	v_cvt_f32_i32_e32 v6, v6
	v_sub_u32_e32 v1, 32, v1
	v_ldexp_f32 v1, v6, v1
	v_cvt_f16_f32_e32 v25, v1
	s_branch .LBB72_1363
.LBB72_1360:
	s_mov_b64 s[0:1], -1
                                        ; implicit-def: $vgpr25
	s_branch .LBB72_1369
.LBB72_1361:
	s_mov_b64 s[0:1], -1
                                        ; implicit-def: $vgpr25
	s_branch .LBB72_1366
.LBB72_1362:
	s_mov_b64 s[0:1], -1
                                        ; implicit-def: $vgpr25
.LBB72_1363:
	s_andn2_b64 vcc, exec, s[0:1]
	s_cbranch_vccnz .LBB72_1365
; %bb.1364:
	global_load_dword v1, v[2:3], off
	s_waitcnt vmcnt(0)
	v_cvt_f32_i32_e32 v1, v1
	v_cvt_f16_f32_e32 v25, v1
.LBB72_1365:
	s_mov_b64 s[0:1], 0
.LBB72_1366:
	s_andn2_b64 vcc, exec, s[0:1]
	s_cbranch_vccnz .LBB72_1368
; %bb.1367:
	global_load_ushort v1, v[2:3], off
	s_waitcnt vmcnt(0)
	v_cvt_f16_i16_e32 v25, v1
.LBB72_1368:
	s_mov_b64 s[0:1], 0
.LBB72_1369:
	s_andn2_b64 vcc, exec, s[0:1]
	s_cbranch_vccnz .LBB72_1375
; %bb.1370:
	s_cmp_gt_i32 s10, 0
	s_cbranch_scc0 .LBB72_1372
; %bb.1371:
	global_load_sbyte v1, v[2:3], off
	s_mov_b64 s[0:1], 0
	s_waitcnt vmcnt(0)
	v_cvt_f16_i16_e32 v25, v1
	s_branch .LBB72_1373
.LBB72_1372:
	s_mov_b64 s[0:1], -1
                                        ; implicit-def: $vgpr25
.LBB72_1373:
	s_andn2_b64 vcc, exec, s[0:1]
	s_cbranch_vccnz .LBB72_1375
; %bb.1374:
	global_load_ubyte v1, v[2:3], off
	s_waitcnt vmcnt(0)
	v_cvt_f16_u16_e32 v25, v1
.LBB72_1375:
	v_mov_b32_e32 v28, 0
.LBB72_1376:
.LBB72_1377:
	v_add_u32_e32 v0, s11, v0
	v_ashrrev_i32_e32 v1, 31, v0
	s_cmp_lt_i32 s10, 11
	v_lshl_add_u64 v[0:1], s[22:23], 0, v[0:1]
	s_cbranch_scc1 .LBB72_1384
; %bb.1378:
	s_cmp_gt_i32 s10, 25
	s_mov_b64 s[2:3], 0
	s_cbranch_scc0 .LBB72_1385
; %bb.1379:
	s_cmp_gt_i32 s10, 28
	s_cbranch_scc0 .LBB72_1386
; %bb.1380:
	s_cmp_gt_i32 s10, 43
	;; [unrolled: 3-line block ×3, first 2 shown]
	s_cbranch_scc0 .LBB72_1392
; %bb.1382:
	s_cmp_eq_u32 s10, 46
	s_mov_b64 s[6:7], 0
	s_cbranch_scc0 .LBB72_1455
; %bb.1383:
	global_load_dword v2, v[0:1], off
	s_mov_b64 s[0:1], 0
	s_mov_b64 s[4:5], -1
	s_waitcnt vmcnt(0)
	v_and_b32_e32 v3, 0xffff0000, v2
	v_lshlrev_b32_e32 v2, 16, v2
	v_cvt_f16_f32_e32 v27, v2
	v_cvt_f16_f32_e32 v29, v3
	s_branch .LBB72_1456
.LBB72_1384:
	s_mov_b64 s[0:1], -1
	s_mov_b64 s[4:5], 0
                                        ; implicit-def: $vgpr29
                                        ; implicit-def: $vgpr27
	s_branch .LBB72_1502
.LBB72_1385:
	s_mov_b64 s[6:7], -1
	s_mov_b64 s[4:5], 0
	s_mov_b64 s[0:1], 0
                                        ; implicit-def: $vgpr29
                                        ; implicit-def: $vgpr27
	s_branch .LBB72_1487
.LBB72_1386:
	s_mov_b64 s[6:7], -1
	s_mov_b64 s[4:5], 0
	s_mov_b64 s[0:1], 0
                                        ; implicit-def: $vgpr29
                                        ; implicit-def: $vgpr27
	s_branch .LBB72_1468
.LBB72_1387:
	s_mov_b64 s[6:7], -1
	s_mov_b64 s[4:5], 0
	s_mov_b64 s[0:1], 0
                                        ; implicit-def: $vgpr29
                                        ; implicit-def: $vgpr27
	s_branch .LBB72_1462
.LBB72_1388:
	s_mov_b64 s[0:1], -1
                                        ; implicit-def: $vgpr28
                                        ; implicit-def: $vgpr25
	s_mov_b64 s[4:5], 0
.LBB72_1389:
	s_and_b64 vcc, exec, s[6:7]
	s_cbranch_vccz .LBB72_1395
; %bb.1390:
	s_cmp_eq_u32 s10, 44
	s_cbranch_scc0 .LBB72_1393
; %bb.1391:
	global_load_ubyte v1, v[2:3], off
	s_movk_i32 s4, 0xff
	v_mov_b32_e32 v7, 0x7e00
	s_mov_b64 s[0:1], 0
	s_waitcnt vmcnt(0)
	v_lshlrev_b32_e32 v6, 23, v1
	v_cvt_f16_f32_e32 v6, v6
	v_cmp_ne_u32_e32 vcc, s4, v1
	s_mov_b64 s[4:5], -1
	s_nop 0
	v_cndmask_b32_e32 v6, v7, v6, vcc
	v_cmp_ne_u32_e32 vcc, 0, v1
	s_nop 1
	v_cndmask_b32_e32 v25, 0, v6, vcc
	s_branch .LBB72_1394
.LBB72_1392:
	s_mov_b64 s[6:7], -1
	s_mov_b64 s[4:5], 0
	s_mov_b64 s[0:1], 0
                                        ; implicit-def: $vgpr29
                                        ; implicit-def: $vgpr27
	s_branch .LBB72_1456
.LBB72_1393:
	s_mov_b64 s[0:1], -1
                                        ; implicit-def: $vgpr25
.LBB72_1394:
	v_mov_b32_e32 v28, 0
.LBB72_1395:
	s_mov_b64 s[6:7], 0
.LBB72_1396:
	s_and_b64 vcc, exec, s[6:7]
	s_cbranch_vccz .LBB72_1401
; %bb.1397:
	s_cmp_eq_u32 s10, 29
	s_cbranch_scc0 .LBB72_1399
; %bb.1398:
	global_load_dwordx2 v[6:7], v[2:3], off
	s_mov_b64 s[0:1], 0
	s_mov_b64 s[4:5], -1
	s_waitcnt vmcnt(0)
	v_ffbh_u32_e32 v1, v7
	v_min_u32_e32 v1, 32, v1
	v_lshlrev_b64 v[6:7], v1, v[6:7]
	v_min_u32_e32 v6, 1, v6
	v_or_b32_e32 v6, v7, v6
	v_cvt_f32_u32_e32 v6, v6
	v_sub_u32_e32 v1, 32, v1
	v_ldexp_f32 v1, v6, v1
	v_cvt_f16_f32_e32 v25, v1
	s_branch .LBB72_1400
.LBB72_1399:
	s_mov_b64 s[0:1], -1
                                        ; implicit-def: $vgpr25
.LBB72_1400:
	v_mov_b32_e32 v28, 0
.LBB72_1401:
	s_mov_b64 s[6:7], 0
.LBB72_1402:
	s_and_b64 vcc, exec, s[6:7]
	s_cbranch_vccz .LBB72_1420
; %bb.1403:
	s_cmp_lt_i32 s10, 27
	s_cbranch_scc1 .LBB72_1406
; %bb.1404:
	s_cmp_gt_i32 s10, 27
	s_cbranch_scc0 .LBB72_1407
; %bb.1405:
	global_load_dword v1, v[2:3], off
	s_mov_b64 s[4:5], 0
	s_waitcnt vmcnt(0)
	v_cvt_f32_u32_e32 v1, v1
	v_cvt_f16_f32_e32 v25, v1
	s_branch .LBB72_1408
.LBB72_1406:
	s_mov_b64 s[4:5], -1
                                        ; implicit-def: $vgpr25
	s_branch .LBB72_1411
.LBB72_1407:
	s_mov_b64 s[4:5], -1
                                        ; implicit-def: $vgpr25
.LBB72_1408:
	s_andn2_b64 vcc, exec, s[4:5]
	s_cbranch_vccnz .LBB72_1410
; %bb.1409:
	global_load_ushort v1, v[2:3], off
	s_waitcnt vmcnt(0)
	v_cvt_f16_u16_e32 v25, v1
.LBB72_1410:
	s_mov_b64 s[4:5], 0
.LBB72_1411:
	s_andn2_b64 vcc, exec, s[4:5]
	s_cbranch_vccnz .LBB72_1419
; %bb.1412:
	global_load_ubyte v1, v[2:3], off
	s_movk_i32 s4, 0x7f
	s_waitcnt vmcnt(0)
	v_cmp_lt_i16_e32 vcc, s4, v1
	s_mov_b64 s[4:5], 0
	s_and_saveexec_b64 s[6:7], vcc
	s_xor_b64 s[6:7], exec, s[6:7]
	s_cbranch_execz .LBB72_1432
; %bb.1413:
	s_movk_i32 s4, 0x80
	v_cmp_eq_u16_e32 vcc, s4, v1
	s_mov_b64 s[4:5], -1
	s_and_saveexec_b64 s[8:9], vcc
; %bb.1414:
	s_xor_b64 s[4:5], exec, -1
; %bb.1415:
	s_or_b64 exec, exec, s[8:9]
	s_and_b64 s[4:5], s[4:5], exec
	s_or_saveexec_b64 s[6:7], s[6:7]
	v_mov_b32_e32 v25, 0x7e00
	s_xor_b64 exec, exec, s[6:7]
	s_cbranch_execnz .LBB72_1433
.LBB72_1416:
	s_or_b64 exec, exec, s[6:7]
	s_and_saveexec_b64 s[6:7], s[4:5]
	s_cbranch_execz .LBB72_1418
.LBB72_1417:
	v_lshlrev_b32_e32 v6, 24, v1
	v_and_b32_e32 v1, 0xffff, v1
	v_and_b32_e32 v7, 7, v1
	v_ffbh_u32_e32 v9, v7
	v_min_u32_e32 v9, 32, v9
	v_subrev_u32_e32 v10, 28, v9
	v_bfe_u32 v8, v1, 3, 4
	v_lshlrev_b32_e32 v1, v10, v1
	v_sub_u32_e32 v9, 29, v9
	v_and_b32_e32 v1, 7, v1
	v_cmp_eq_u32_e32 vcc, 0, v8
	v_and_b32_e32 v6, 0x80000000, v6
	s_nop 0
	v_cndmask_b32_e32 v8, v8, v9, vcc
	v_cndmask_b32_e32 v1, v7, v1, vcc
	v_mov_b32_e32 v7, 0x3b800000
	v_lshlrev_b32_e32 v1, 20, v1
	v_lshl_add_u32 v7, v8, 23, v7
	v_or3_b32 v1, v6, v7, v1
	v_cvt_f16_f32_e32 v25, v1
.LBB72_1418:
	s_or_b64 exec, exec, s[6:7]
.LBB72_1419:
	s_mov_b64 s[4:5], -1
	v_mov_b32_e32 v28, 0
.LBB72_1420:
	s_branch .LBB72_1319
.LBB72_1421:
	s_cmp_gt_i32 s10, 22
	s_cbranch_scc0 .LBB72_1431
; %bb.1422:
	s_cmp_lt_i32 s10, 24
	s_cbranch_scc1 .LBB72_1434
; %bb.1423:
	s_cmp_gt_i32 s10, 24
	s_cbranch_scc0 .LBB72_1435
; %bb.1424:
	global_load_ubyte v1, v[2:3], off
	s_movk_i32 s2, 0x7f
	s_waitcnt vmcnt(0)
	v_cmp_lt_i16_e32 vcc, s2, v1
	s_mov_b64 s[2:3], 0
	s_and_saveexec_b64 s[4:5], vcc
	s_xor_b64 s[4:5], exec, s[4:5]
	s_cbranch_execz .LBB72_1447
; %bb.1425:
	s_movk_i32 s2, 0x80
	v_cmp_eq_u16_e32 vcc, s2, v1
	s_mov_b64 s[2:3], -1
	s_and_saveexec_b64 s[6:7], vcc
; %bb.1426:
	s_xor_b64 s[2:3], exec, -1
; %bb.1427:
	s_or_b64 exec, exec, s[6:7]
	s_and_b64 s[2:3], s[2:3], exec
	s_or_saveexec_b64 s[4:5], s[4:5]
	v_mov_b32_e32 v25, 0x7e00
	s_xor_b64 exec, exec, s[4:5]
	s_cbranch_execnz .LBB72_1448
.LBB72_1428:
	s_or_b64 exec, exec, s[4:5]
	s_and_saveexec_b64 s[4:5], s[2:3]
	s_cbranch_execz .LBB72_1430
.LBB72_1429:
	v_lshlrev_b32_e32 v6, 24, v1
	v_and_b32_e32 v1, 0xffff, v1
	v_and_b32_e32 v7, 3, v1
	v_ffbh_u32_e32 v9, v7
	v_min_u32_e32 v9, 32, v9
	v_subrev_u32_e32 v10, 29, v9
	v_bfe_u32 v8, v1, 2, 5
	v_lshlrev_b32_e32 v1, v10, v1
	v_sub_u32_e32 v9, 30, v9
	v_and_b32_e32 v1, 3, v1
	v_cmp_eq_u32_e32 vcc, 0, v8
	v_and_b32_e32 v6, 0x80000000, v6
	s_nop 0
	v_cndmask_b32_e32 v8, v8, v9, vcc
	v_cndmask_b32_e32 v1, v7, v1, vcc
	v_mov_b32_e32 v7, 0x37800000
	v_lshlrev_b32_e32 v1, 21, v1
	v_lshl_add_u32 v7, v8, 23, v7
	v_or3_b32 v1, v6, v7, v1
	v_cvt_f16_f32_e32 v25, v1
.LBB72_1430:
	s_or_b64 exec, exec, s[4:5]
	s_mov_b64 s[2:3], 0
	s_branch .LBB72_1436
.LBB72_1431:
	s_mov_b64 s[2:3], -1
                                        ; implicit-def: $vgpr25
	s_branch .LBB72_1442
.LBB72_1432:
	s_or_saveexec_b64 s[6:7], s[6:7]
	v_mov_b32_e32 v25, 0x7e00
	s_xor_b64 exec, exec, s[6:7]
	s_cbranch_execz .LBB72_1416
.LBB72_1433:
	v_cmp_ne_u16_e32 vcc, 0, v1
	s_andn2_b64 s[4:5], s[4:5], exec
	s_and_b64 s[8:9], vcc, exec
	s_or_b64 s[4:5], s[4:5], s[8:9]
	v_mov_b32_e32 v25, v1
	s_or_b64 exec, exec, s[6:7]
	s_and_saveexec_b64 s[6:7], s[4:5]
	s_cbranch_execnz .LBB72_1417
	s_branch .LBB72_1418
.LBB72_1434:
	s_mov_b64 s[2:3], -1
                                        ; implicit-def: $vgpr25
	s_branch .LBB72_1439
.LBB72_1435:
	s_mov_b64 s[2:3], -1
                                        ; implicit-def: $vgpr25
.LBB72_1436:
	s_and_b64 vcc, exec, s[2:3]
	s_cbranch_vccz .LBB72_1438
; %bb.1437:
	global_load_ubyte v1, v[2:3], off
	s_mov_b32 s2, 0x7f800000
	s_waitcnt vmcnt(0)
	v_lshlrev_b32_e32 v1, 24, v1
	v_and_b32_e32 v6, 0x7f000000, v1
	v_ffbh_u32_e32 v7, v6
	v_min_u32_e32 v7, 32, v7
	v_sub_u32_e64 v7, v7, 4 clamp
	v_lshlrev_b32_e32 v9, v7, v6
	v_lshlrev_b32_e32 v7, 23, v7
	v_lshrrev_b32_e32 v9, 4, v9
	v_add_u32_e32 v8, 0x1000000, v6
	v_sub_u32_e32 v7, v9, v7
	v_ashrrev_i32_e32 v8, 8, v8
	v_add_u32_e32 v7, 0x3c000000, v7
	v_and_or_b32 v7, v8, s2, v7
	v_cmp_ne_u32_e32 vcc, 0, v6
	s_brev_b32 s2, 1
	s_nop 0
	v_cndmask_b32_e32 v6, 0, v7, vcc
	v_and_or_b32 v1, v1, s2, v6
	v_cvt_f16_f32_e32 v25, v1
.LBB72_1438:
	s_mov_b64 s[2:3], 0
.LBB72_1439:
	s_andn2_b64 vcc, exec, s[2:3]
	s_cbranch_vccnz .LBB72_1441
; %bb.1440:
	global_load_ubyte v1, v[2:3], off
	s_movk_i32 s2, 0x7f00
	s_brev_b32 s3, 16
	s_waitcnt vmcnt(0)
	v_lshlrev_b16_e32 v6, 8, v1
	v_lshlrev_b32_e32 v1, 25, v1
	v_lshrrev_b32_e32 v7, 4, v1
	v_and_or_b32 v8, v6, s2, 0.5
	v_or_b32_e32 v7, 0x70000000, v7
	v_add_f32_e32 v8, -0.5, v8
	v_mul_f32_e32 v7, 0x7800000, v7
	v_cmp_gt_u32_e32 vcc, s3, v1
	v_bfe_i32 v6, v6, 0, 16
	s_brev_b32 s2, 1
	v_cndmask_b32_e32 v1, v7, v8, vcc
	v_and_or_b32 v1, v6, s2, v1
	v_cvt_f16_f32_e32 v25, v1
.LBB72_1441:
	s_mov_b64 s[2:3], 0
	s_mov_b64 s[4:5], -1
.LBB72_1442:
	s_andn2_b64 vcc, exec, s[2:3]
	s_mov_b64 s[2:3], 0
	s_cbranch_vccnz .LBB72_1453
; %bb.1443:
	s_cmp_gt_i32 s10, 14
	s_cbranch_scc0 .LBB72_1446
; %bb.1444:
	s_cmp_eq_u32 s10, 15
	s_cbranch_scc0 .LBB72_1449
; %bb.1445:
	global_load_ushort v1, v[2:3], off
	s_mov_b64 s[0:1], 0
	s_mov_b64 s[4:5], -1
	s_waitcnt vmcnt(0)
	v_lshlrev_b32_e32 v1, 16, v1
	v_cvt_f16_f32_e32 v25, v1
	s_branch .LBB72_1450
.LBB72_1446:
	s_mov_b64 s[6:7], -1
                                        ; implicit-def: $vgpr25
	s_branch .LBB72_1451
.LBB72_1447:
	s_or_saveexec_b64 s[4:5], s[4:5]
	v_mov_b32_e32 v25, 0x7e00
	s_xor_b64 exec, exec, s[4:5]
	s_cbranch_execz .LBB72_1428
.LBB72_1448:
	v_cmp_ne_u16_e32 vcc, 0, v1
	s_andn2_b64 s[2:3], s[2:3], exec
	s_and_b64 s[6:7], vcc, exec
	s_or_b64 s[2:3], s[2:3], s[6:7]
	v_mov_b32_e32 v25, v1
	s_or_b64 exec, exec, s[4:5]
	s_and_saveexec_b64 s[4:5], s[2:3]
	s_cbranch_execnz .LBB72_1429
	s_branch .LBB72_1430
.LBB72_1449:
	s_mov_b64 s[0:1], -1
                                        ; implicit-def: $vgpr25
.LBB72_1450:
	s_mov_b64 s[6:7], 0
.LBB72_1451:
	s_and_b64 vcc, exec, s[6:7]
	s_cbranch_vccz .LBB72_1453
; %bb.1452:
	s_cmp_lg_u32 s10, 11
	s_mov_b64 s[2:3], -1
	s_cselect_b64 s[0:1], -1, 0
.LBB72_1453:
	v_mov_b32_e32 v28, 0
	s_and_b64 vcc, exec, s[0:1]
	s_cbranch_vccz .LBB72_1320
.LBB72_1454:
	s_trap 2
	s_or_b64 s[34:35], s[34:35], exec
	s_cbranch_execz .LBB72_1321
	s_branch .LBB72_1322
.LBB72_1455:
	s_mov_b64 s[0:1], -1
                                        ; implicit-def: $vgpr29
                                        ; implicit-def: $vgpr27
	s_mov_b64 s[4:5], 0
.LBB72_1456:
	s_and_b64 vcc, exec, s[6:7]
	s_cbranch_vccz .LBB72_1461
; %bb.1457:
	s_cmp_eq_u32 s10, 44
	s_cbranch_scc0 .LBB72_1459
; %bb.1458:
	global_load_ubyte v2, v[0:1], off
	s_movk_i32 s4, 0xff
	v_mov_b32_e32 v6, 0x7e00
	s_mov_b64 s[0:1], 0
	s_waitcnt vmcnt(0)
	v_lshlrev_b32_e32 v3, 23, v2
	v_cvt_f16_f32_e32 v3, v3
	v_cmp_ne_u32_e32 vcc, s4, v2
	s_mov_b64 s[4:5], -1
	s_nop 0
	v_cndmask_b32_e32 v3, v6, v3, vcc
	v_cmp_ne_u32_e32 vcc, 0, v2
	s_nop 1
	v_cndmask_b32_e32 v27, 0, v3, vcc
	s_branch .LBB72_1460
.LBB72_1459:
	s_mov_b64 s[0:1], -1
                                        ; implicit-def: $vgpr27
.LBB72_1460:
	v_mov_b32_e32 v29, 0
.LBB72_1461:
	s_mov_b64 s[6:7], 0
.LBB72_1462:
	s_and_b64 vcc, exec, s[6:7]
	s_cbranch_vccz .LBB72_1467
; %bb.1463:
	s_cmp_eq_u32 s10, 29
	s_cbranch_scc0 .LBB72_1465
; %bb.1464:
	global_load_dwordx2 v[2:3], v[0:1], off
	s_mov_b64 s[0:1], 0
	s_mov_b64 s[4:5], -1
	s_waitcnt vmcnt(0)
	v_ffbh_u32_e32 v6, v3
	v_min_u32_e32 v6, 32, v6
	v_lshlrev_b64 v[2:3], v6, v[2:3]
	v_min_u32_e32 v2, 1, v2
	v_or_b32_e32 v2, v3, v2
	v_cvt_f32_u32_e32 v2, v2
	v_sub_u32_e32 v3, 32, v6
	v_ldexp_f32 v2, v2, v3
	v_cvt_f16_f32_e32 v27, v2
	s_branch .LBB72_1466
.LBB72_1465:
	s_mov_b64 s[0:1], -1
                                        ; implicit-def: $vgpr27
.LBB72_1466:
	v_mov_b32_e32 v29, 0
.LBB72_1467:
	s_mov_b64 s[6:7], 0
.LBB72_1468:
	s_and_b64 vcc, exec, s[6:7]
	s_cbranch_vccz .LBB72_1486
; %bb.1469:
	s_cmp_lt_i32 s10, 27
	s_cbranch_scc1 .LBB72_1472
; %bb.1470:
	s_cmp_gt_i32 s10, 27
	s_cbranch_scc0 .LBB72_1473
; %bb.1471:
	global_load_dword v2, v[0:1], off
	s_mov_b64 s[4:5], 0
	s_waitcnt vmcnt(0)
	v_cvt_f32_u32_e32 v2, v2
	v_cvt_f16_f32_e32 v27, v2
	s_branch .LBB72_1474
.LBB72_1472:
	s_mov_b64 s[4:5], -1
                                        ; implicit-def: $vgpr27
	s_branch .LBB72_1477
.LBB72_1473:
	s_mov_b64 s[4:5], -1
                                        ; implicit-def: $vgpr27
.LBB72_1474:
	s_andn2_b64 vcc, exec, s[4:5]
	s_cbranch_vccnz .LBB72_1476
; %bb.1475:
	global_load_ushort v2, v[0:1], off
	s_waitcnt vmcnt(0)
	v_cvt_f16_u16_e32 v27, v2
.LBB72_1476:
	s_mov_b64 s[4:5], 0
.LBB72_1477:
	s_andn2_b64 vcc, exec, s[4:5]
	s_cbranch_vccnz .LBB72_1485
; %bb.1478:
	global_load_ubyte v2, v[0:1], off
	s_movk_i32 s4, 0x7f
	s_waitcnt vmcnt(0)
	v_cmp_lt_i16_e32 vcc, s4, v2
	s_mov_b64 s[4:5], 0
	s_and_saveexec_b64 s[6:7], vcc
	s_xor_b64 s[6:7], exec, s[6:7]
	s_cbranch_execz .LBB72_1511
; %bb.1479:
	s_movk_i32 s4, 0x80
	v_cmp_eq_u16_e32 vcc, s4, v2
	s_mov_b64 s[4:5], -1
	s_and_saveexec_b64 s[8:9], vcc
; %bb.1480:
	s_xor_b64 s[4:5], exec, -1
; %bb.1481:
	s_or_b64 exec, exec, s[8:9]
	s_and_b64 s[4:5], s[4:5], exec
	s_or_saveexec_b64 s[6:7], s[6:7]
	v_mov_b32_e32 v27, 0x7e00
	s_xor_b64 exec, exec, s[6:7]
	s_cbranch_execnz .LBB72_1512
.LBB72_1482:
	s_or_b64 exec, exec, s[6:7]
	s_and_saveexec_b64 s[6:7], s[4:5]
	s_cbranch_execz .LBB72_1484
.LBB72_1483:
	v_lshlrev_b32_e32 v3, 24, v2
	v_and_b32_e32 v2, 0xffff, v2
	v_and_b32_e32 v6, 7, v2
	v_ffbh_u32_e32 v8, v6
	v_min_u32_e32 v8, 32, v8
	v_subrev_u32_e32 v9, 28, v8
	v_bfe_u32 v7, v2, 3, 4
	v_lshlrev_b32_e32 v2, v9, v2
	v_sub_u32_e32 v8, 29, v8
	v_and_b32_e32 v2, 7, v2
	v_cmp_eq_u32_e32 vcc, 0, v7
	v_and_b32_e32 v3, 0x80000000, v3
	s_nop 0
	v_cndmask_b32_e32 v7, v7, v8, vcc
	v_cndmask_b32_e32 v2, v6, v2, vcc
	v_mov_b32_e32 v6, 0x3b800000
	v_lshlrev_b32_e32 v2, 20, v2
	v_lshl_add_u32 v6, v7, 23, v6
	v_or3_b32 v2, v3, v6, v2
	v_cvt_f16_f32_e32 v27, v2
.LBB72_1484:
	s_or_b64 exec, exec, s[6:7]
.LBB72_1485:
	s_mov_b64 s[4:5], -1
	v_mov_b32_e32 v29, 0
.LBB72_1486:
	s_mov_b64 s[6:7], 0
.LBB72_1487:
	s_and_b64 vcc, exec, s[6:7]
	s_cbranch_vccz .LBB72_1498
; %bb.1488:
	s_cmp_gt_i32 s10, 22
	s_cbranch_scc0 .LBB72_1509
; %bb.1489:
	s_cmp_lt_i32 s10, 24
	s_cbranch_scc1 .LBB72_1513
; %bb.1490:
	s_cmp_gt_i32 s10, 24
	s_cbranch_scc0 .LBB72_1515
; %bb.1491:
	global_load_ubyte v2, v[0:1], off
	s_movk_i32 s2, 0x7f
	s_waitcnt vmcnt(0)
	v_cmp_lt_i16_e32 vcc, s2, v2
	s_mov_b64 s[2:3], 0
	s_and_saveexec_b64 s[4:5], vcc
	s_xor_b64 s[4:5], exec, s[4:5]
	s_cbranch_execz .LBB72_1527
; %bb.1492:
	s_movk_i32 s2, 0x80
	v_cmp_eq_u16_e32 vcc, s2, v2
	s_mov_b64 s[2:3], -1
	s_and_saveexec_b64 s[6:7], vcc
; %bb.1493:
	s_xor_b64 s[2:3], exec, -1
; %bb.1494:
	s_or_b64 exec, exec, s[6:7]
	s_and_b64 s[2:3], s[2:3], exec
	s_or_saveexec_b64 s[4:5], s[4:5]
	v_mov_b32_e32 v27, 0x7e00
	s_xor_b64 exec, exec, s[4:5]
	s_cbranch_execnz .LBB72_1528
.LBB72_1495:
	s_or_b64 exec, exec, s[4:5]
	s_and_saveexec_b64 s[4:5], s[2:3]
	s_cbranch_execz .LBB72_1497
.LBB72_1496:
	v_lshlrev_b32_e32 v3, 24, v2
	v_and_b32_e32 v2, 0xffff, v2
	v_and_b32_e32 v6, 3, v2
	v_ffbh_u32_e32 v8, v6
	v_min_u32_e32 v8, 32, v8
	v_subrev_u32_e32 v9, 29, v8
	v_bfe_u32 v7, v2, 2, 5
	v_lshlrev_b32_e32 v2, v9, v2
	v_sub_u32_e32 v8, 30, v8
	v_and_b32_e32 v2, 3, v2
	v_cmp_eq_u32_e32 vcc, 0, v7
	v_and_b32_e32 v3, 0x80000000, v3
	s_nop 0
	v_cndmask_b32_e32 v7, v7, v8, vcc
	v_cndmask_b32_e32 v2, v6, v2, vcc
	v_mov_b32_e32 v6, 0x37800000
	v_lshlrev_b32_e32 v2, 21, v2
	v_lshl_add_u32 v6, v7, 23, v6
	v_or3_b32 v2, v3, v6, v2
	v_cvt_f16_f32_e32 v27, v2
.LBB72_1497:
	s_or_b64 exec, exec, s[4:5]
	s_mov_b64 s[2:3], 0
	s_branch .LBB72_1516
.LBB72_1498:
	s_and_b64 vcc, exec, s[0:1]
	s_cbranch_vccnz .LBB72_1546
.LBB72_1499:
	s_andn2_b64 vcc, exec, s[2:3]
	s_cbranch_vccnz .LBB72_1501
.LBB72_1500:
	global_load_ubyte v2, v[0:1], off
	v_mov_b32_e32 v3, 0x3c00
	v_mov_b32_e32 v29, 0
	s_mov_b64 s[4:5], -1
	s_waitcnt vmcnt(0)
	v_cmp_ne_u16_e32 vcc, 0, v2
	s_nop 1
	v_cndmask_b32_e32 v27, 0, v3, vcc
.LBB72_1501:
	s_mov_b64 s[0:1], 0
.LBB72_1502:
	s_and_b64 vcc, exec, s[0:1]
	s_cbranch_vccz .LBB72_1577
; %bb.1503:
	s_cmp_lt_i32 s10, 5
	s_cbranch_scc1 .LBB72_1508
; %bb.1504:
	s_cmp_lt_i32 s10, 8
	s_cbranch_scc1 .LBB72_1510
	;; [unrolled: 3-line block ×3, first 2 shown]
; %bb.1506:
	s_cmp_gt_i32 s10, 9
	s_cbranch_scc0 .LBB72_1529
; %bb.1507:
	global_load_dwordx4 v[6:9], v[0:1], off
	s_movk_i32 s0, 0x1ff
	s_movk_i32 s1, 0xffe
	v_mov_b32_e32 v2, 0x7c00
	v_mov_b32_e32 v3, 0x7e00
	s_movk_i32 s2, 0x40f
	s_mov_b32 s3, 0x8000
	s_waitcnt vmcnt(0)
	v_and_or_b32 v6, v7, s0, v6
	v_and_or_b32 v8, v9, s0, v8
	v_cmp_ne_u32_e32 vcc, 0, v6
	v_lshrrev_b32_e32 v10, 8, v7
	v_bfe_u32 v11, v7, 20, 11
	v_cndmask_b32_e64 v6, 0, 1, vcc
	v_cmp_ne_u32_e32 vcc, 0, v8
	v_lshrrev_b32_e32 v12, 8, v9
	v_bfe_u32 v13, v9, 20, 11
	v_sub_u32_e32 v14, 0x3f1, v11
	v_cndmask_b32_e64 v8, 0, 1, vcc
	v_and_or_b32 v6, v10, s1, v6
	v_add_u32_e32 v11, 0xfffffc10, v11
	v_sub_u32_e32 v15, 0x3f1, v13
	v_add_u32_e32 v13, 0xfffffc10, v13
	v_med3_i32 v10, v14, 0, 13
	v_and_or_b32 v8, v12, s1, v8
	v_or_b32_e32 v14, 0x1000, v6
	v_cmp_ne_u32_e32 vcc, 0, v6
	v_med3_i32 v12, v15, 0, 13
	v_lshl_or_b32 v15, v11, 12, v6
	v_cndmask_b32_e32 v6, v2, v3, vcc
	v_or_b32_e32 v16, 0x1000, v8
	v_lshl_or_b32 v17, v13, 12, v8
	v_cmp_ne_u32_e32 vcc, 0, v8
	v_lshrrev_b32_e32 v8, v10, v14
	v_lshrrev_b32_e32 v18, v12, v16
	v_lshlrev_b32_e32 v10, v10, v8
	v_cndmask_b32_e32 v3, v2, v3, vcc
	v_lshlrev_b32_e32 v12, v12, v18
	v_cmp_ne_u32_e32 vcc, v10, v14
	v_lshrrev_b32_e32 v7, 16, v7
	v_lshrrev_b32_e32 v9, 16, v9
	v_cndmask_b32_e64 v10, 0, 1, vcc
	v_cmp_ne_u32_e32 vcc, v12, v16
	v_or_b32_e32 v8, v8, v10
	s_mov_b64 s[0:1], 0
	v_cndmask_b32_e64 v12, 0, 1, vcc
	v_cmp_gt_i32_e32 vcc, 1, v11
	v_or_b32_e32 v10, v18, v12
	s_nop 0
	v_cndmask_b32_e32 v8, v15, v8, vcc
	v_cmp_gt_i32_e32 vcc, 1, v13
	v_and_b32_e32 v12, 7, v8
	v_lshrrev_b32_e32 v8, 2, v8
	v_cndmask_b32_e32 v10, v17, v10, vcc
	v_cmp_lt_i32_e32 vcc, 5, v12
	v_and_b32_e32 v14, 7, v10
	v_lshrrev_b32_e32 v10, 2, v10
	v_cndmask_b32_e64 v15, 0, 1, vcc
	v_cmp_eq_u32_e32 vcc, 3, v12
	s_nop 1
	v_cndmask_b32_e64 v12, 0, 1, vcc
	v_cmp_lt_i32_e32 vcc, 5, v14
	v_or_b32_e32 v12, v12, v15
	v_add_u32_e32 v8, v8, v12
	v_cndmask_b32_e64 v16, 0, 1, vcc
	v_cmp_eq_u32_e32 vcc, 3, v14
	s_nop 1
	v_cndmask_b32_e64 v14, 0, 1, vcc
	v_or_b32_e32 v14, v14, v16
	v_cmp_gt_i32_e32 vcc, 31, v11
	v_add_u32_e32 v10, v10, v14
	s_nop 0
	v_cndmask_b32_e32 v8, v2, v8, vcc
	v_cmp_gt_i32_e32 vcc, 31, v13
	s_nop 1
	v_cndmask_b32_e32 v2, v2, v10, vcc
	v_cmp_eq_u32_e32 vcc, s2, v11
	s_nop 1
	v_cndmask_b32_e32 v6, v8, v6, vcc
	v_cmp_eq_u32_e32 vcc, s2, v13
	v_and_or_b32 v27, v7, s3, v6
	s_nop 0
	v_cndmask_b32_e32 v2, v2, v3, vcc
	v_and_or_b32 v29, v9, s3, v2
	s_branch .LBB72_1530
.LBB72_1508:
	s_mov_b64 s[0:1], -1
                                        ; implicit-def: $vgpr29
                                        ; implicit-def: $vgpr27
	s_branch .LBB72_1555
.LBB72_1509:
	s_mov_b64 s[2:3], -1
                                        ; implicit-def: $vgpr27
	s_branch .LBB72_1522
.LBB72_1510:
	s_mov_b64 s[0:1], -1
                                        ; implicit-def: $vgpr29
                                        ; implicit-def: $vgpr27
	s_branch .LBB72_1536
.LBB72_1511:
	s_or_saveexec_b64 s[6:7], s[6:7]
	v_mov_b32_e32 v27, 0x7e00
	s_xor_b64 exec, exec, s[6:7]
	s_cbranch_execz .LBB72_1482
.LBB72_1512:
	v_cmp_ne_u16_e32 vcc, 0, v2
	s_andn2_b64 s[4:5], s[4:5], exec
	s_and_b64 s[8:9], vcc, exec
	s_or_b64 s[4:5], s[4:5], s[8:9]
	v_mov_b32_e32 v27, v2
	s_or_b64 exec, exec, s[6:7]
	s_and_saveexec_b64 s[6:7], s[4:5]
	s_cbranch_execnz .LBB72_1483
	s_branch .LBB72_1484
.LBB72_1513:
	s_mov_b64 s[2:3], -1
                                        ; implicit-def: $vgpr27
	s_branch .LBB72_1519
.LBB72_1514:
	s_mov_b64 s[0:1], -1
                                        ; implicit-def: $vgpr29
                                        ; implicit-def: $vgpr27
	s_branch .LBB72_1533
.LBB72_1515:
	s_mov_b64 s[2:3], -1
                                        ; implicit-def: $vgpr27
.LBB72_1516:
	s_and_b64 vcc, exec, s[2:3]
	s_cbranch_vccz .LBB72_1518
; %bb.1517:
	global_load_ubyte v2, v[0:1], off
	s_mov_b32 s2, 0x7f800000
	s_waitcnt vmcnt(0)
	v_lshlrev_b32_e32 v2, 24, v2
	v_and_b32_e32 v3, 0x7f000000, v2
	v_ffbh_u32_e32 v6, v3
	v_min_u32_e32 v6, 32, v6
	v_sub_u32_e64 v6, v6, 4 clamp
	v_lshlrev_b32_e32 v8, v6, v3
	v_lshlrev_b32_e32 v6, 23, v6
	v_lshrrev_b32_e32 v8, 4, v8
	v_add_u32_e32 v7, 0x1000000, v3
	v_sub_u32_e32 v6, v8, v6
	v_ashrrev_i32_e32 v7, 8, v7
	v_add_u32_e32 v6, 0x3c000000, v6
	v_and_or_b32 v6, v7, s2, v6
	v_cmp_ne_u32_e32 vcc, 0, v3
	s_brev_b32 s2, 1
	s_nop 0
	v_cndmask_b32_e32 v3, 0, v6, vcc
	v_and_or_b32 v2, v2, s2, v3
	v_cvt_f16_f32_e32 v27, v2
.LBB72_1518:
	s_mov_b64 s[2:3], 0
.LBB72_1519:
	s_andn2_b64 vcc, exec, s[2:3]
	s_cbranch_vccnz .LBB72_1521
; %bb.1520:
	global_load_ubyte v2, v[0:1], off
	s_movk_i32 s2, 0x7f00
	s_brev_b32 s3, 16
	s_waitcnt vmcnt(0)
	v_lshlrev_b16_e32 v3, 8, v2
	v_lshlrev_b32_e32 v2, 25, v2
	v_lshrrev_b32_e32 v6, 4, v2
	v_and_or_b32 v7, v3, s2, 0.5
	v_or_b32_e32 v6, 0x70000000, v6
	v_add_f32_e32 v7, -0.5, v7
	v_mul_f32_e32 v6, 0x7800000, v6
	v_cmp_gt_u32_e32 vcc, s3, v2
	v_bfe_i32 v3, v3, 0, 16
	s_brev_b32 s2, 1
	v_cndmask_b32_e32 v2, v6, v7, vcc
	v_and_or_b32 v2, v3, s2, v2
	v_cvt_f16_f32_e32 v27, v2
.LBB72_1521:
	s_mov_b64 s[2:3], 0
	s_mov_b64 s[4:5], -1
.LBB72_1522:
	s_andn2_b64 vcc, exec, s[2:3]
	s_mov_b64 s[2:3], 0
	s_cbranch_vccnz .LBB72_1545
; %bb.1523:
	s_cmp_gt_i32 s10, 14
	s_cbranch_scc0 .LBB72_1526
; %bb.1524:
	s_cmp_eq_u32 s10, 15
	s_cbranch_scc0 .LBB72_1541
; %bb.1525:
	global_load_ushort v2, v[0:1], off
	s_mov_b64 s[0:1], 0
	s_mov_b64 s[4:5], -1
	s_waitcnt vmcnt(0)
	v_lshlrev_b32_e32 v2, 16, v2
	v_cvt_f16_f32_e32 v27, v2
	s_branch .LBB72_1542
.LBB72_1526:
	s_mov_b64 s[6:7], -1
                                        ; implicit-def: $vgpr27
	s_branch .LBB72_1543
.LBB72_1527:
	s_or_saveexec_b64 s[4:5], s[4:5]
	v_mov_b32_e32 v27, 0x7e00
	s_xor_b64 exec, exec, s[4:5]
	s_cbranch_execz .LBB72_1495
.LBB72_1528:
	v_cmp_ne_u16_e32 vcc, 0, v2
	s_andn2_b64 s[2:3], s[2:3], exec
	s_and_b64 s[6:7], vcc, exec
	s_or_b64 s[2:3], s[2:3], s[6:7]
	v_mov_b32_e32 v27, v2
	s_or_b64 exec, exec, s[4:5]
	s_and_saveexec_b64 s[4:5], s[2:3]
	s_cbranch_execnz .LBB72_1496
	s_branch .LBB72_1497
.LBB72_1529:
	s_mov_b64 s[0:1], -1
                                        ; implicit-def: $vgpr29
                                        ; implicit-def: $vgpr27
.LBB72_1530:
	s_andn2_b64 vcc, exec, s[0:1]
	s_cbranch_vccnz .LBB72_1532
; %bb.1531:
	global_load_dwordx2 v[2:3], v[0:1], off
	s_waitcnt vmcnt(0)
	v_cvt_f16_f32_e32 v27, v2
	v_cvt_f16_f32_e32 v29, v3
.LBB72_1532:
	s_mov_b64 s[0:1], 0
.LBB72_1533:
	s_andn2_b64 vcc, exec, s[0:1]
	s_cbranch_vccnz .LBB72_1535
; %bb.1534:
	global_load_dword v27, v[0:1], off
	s_waitcnt vmcnt(0)
	v_lshrrev_b32_e32 v29, 16, v27
.LBB72_1535:
	s_mov_b64 s[0:1], 0
.LBB72_1536:
	s_andn2_b64 vcc, exec, s[0:1]
	s_cbranch_vccnz .LBB72_1554
; %bb.1537:
	s_cmp_lt_i32 s10, 6
	s_cbranch_scc1 .LBB72_1540
; %bb.1538:
	s_cmp_gt_i32 s10, 6
	s_cbranch_scc0 .LBB72_1547
; %bb.1539:
	global_load_dwordx2 v[2:3], v[0:1], off
	s_movk_i32 s0, 0x1ff
	s_movk_i32 s1, 0xffe
	v_mov_b32_e32 v6, 0x7c00
	v_mov_b32_e32 v7, 0x7e00
	s_movk_i32 s2, 0x40f
	s_mov_b32 s3, 0x8000
	s_waitcnt vmcnt(0)
	v_and_or_b32 v2, v3, s0, v2
	v_cmp_ne_u32_e32 vcc, 0, v2
	v_lshrrev_b32_e32 v8, 8, v3
	v_bfe_u32 v9, v3, 20, 11
	v_cndmask_b32_e64 v2, 0, 1, vcc
	v_sub_u32_e32 v10, 0x3f1, v9
	v_and_or_b32 v2, v8, s1, v2
	v_add_u32_e32 v9, 0xfffffc10, v9
	v_med3_i32 v8, v10, 0, 13
	v_or_b32_e32 v10, 0x1000, v2
	v_cmp_ne_u32_e32 vcc, 0, v2
	v_lshl_or_b32 v11, v9, 12, v2
	v_lshrrev_b32_e32 v3, 16, v3
	v_cndmask_b32_e32 v2, v6, v7, vcc
	v_lshrrev_b32_e32 v7, v8, v10
	v_lshlrev_b32_e32 v8, v8, v7
	v_cmp_ne_u32_e32 vcc, v8, v10
	s_mov_b64 s[0:1], 0
	s_nop 0
	v_cndmask_b32_e64 v8, 0, 1, vcc
	v_or_b32_e32 v7, v7, v8
	v_cmp_gt_i32_e32 vcc, 1, v9
	s_nop 1
	v_cndmask_b32_e32 v7, v11, v7, vcc
	v_and_b32_e32 v8, 7, v7
	v_cmp_lt_i32_e32 vcc, 5, v8
	v_lshrrev_b32_e32 v7, 2, v7
	s_nop 0
	v_cndmask_b32_e64 v10, 0, 1, vcc
	v_cmp_eq_u32_e32 vcc, 3, v8
	s_nop 1
	v_cndmask_b32_e64 v8, 0, 1, vcc
	v_or_b32_e32 v8, v8, v10
	v_add_u32_e32 v7, v7, v8
	v_cmp_gt_i32_e32 vcc, 31, v9
	s_nop 1
	v_cndmask_b32_e32 v6, v6, v7, vcc
	v_cmp_eq_u32_e32 vcc, s2, v9
	s_nop 1
	v_cndmask_b32_e32 v2, v6, v2, vcc
	v_and_or_b32 v27, v3, s3, v2
	s_branch .LBB72_1548
.LBB72_1540:
	s_mov_b64 s[0:1], -1
                                        ; implicit-def: $vgpr27
	s_branch .LBB72_1551
.LBB72_1541:
	s_mov_b64 s[0:1], -1
                                        ; implicit-def: $vgpr27
.LBB72_1542:
	s_mov_b64 s[6:7], 0
.LBB72_1543:
	s_and_b64 vcc, exec, s[6:7]
	s_cbranch_vccz .LBB72_1545
; %bb.1544:
	s_cmp_lg_u32 s10, 11
	s_mov_b64 s[2:3], -1
	s_cselect_b64 s[0:1], -1, 0
.LBB72_1545:
	v_mov_b32_e32 v29, 0
	s_and_b64 vcc, exec, s[0:1]
	s_cbranch_vccz .LBB72_1499
.LBB72_1546:
	s_trap 2
	s_or_b64 s[34:35], s[34:35], exec
	s_cbranch_execz .LBB72_1500
	s_branch .LBB72_1501
.LBB72_1547:
	s_mov_b64 s[0:1], -1
                                        ; implicit-def: $vgpr27
.LBB72_1548:
	s_andn2_b64 vcc, exec, s[0:1]
	s_cbranch_vccnz .LBB72_1550
; %bb.1549:
	global_load_dword v2, v[0:1], off
	s_waitcnt vmcnt(0)
	v_cvt_f16_f32_e32 v27, v2
.LBB72_1550:
	s_mov_b64 s[0:1], 0
.LBB72_1551:
	s_andn2_b64 vcc, exec, s[0:1]
	s_cbranch_vccnz .LBB72_1553
; %bb.1552:
	global_load_ushort v27, v[0:1], off
.LBB72_1553:
	v_mov_b32_e32 v29, 0
.LBB72_1554:
	s_mov_b64 s[0:1], 0
.LBB72_1555:
	s_andn2_b64 vcc, exec, s[0:1]
	s_cbranch_vccnz .LBB72_1576
; %bb.1556:
	s_cmp_lt_i32 s10, 2
	s_cbranch_scc1 .LBB72_1560
; %bb.1557:
	s_cmp_lt_i32 s10, 3
	s_cbranch_scc1 .LBB72_1561
; %bb.1558:
	s_cmp_gt_i32 s10, 3
	s_cbranch_scc0 .LBB72_1562
; %bb.1559:
	global_load_dwordx2 v[2:3], v[0:1], off
	s_mov_b64 s[0:1], 0
	s_waitcnt vmcnt(0)
	v_xor_b32_e32 v7, v2, v3
	v_ffbh_i32_e32 v6, v3
	v_ashrrev_i32_e32 v7, 31, v7
	v_add_u32_e32 v6, -1, v6
	v_add_u32_e32 v7, 32, v7
	v_min_u32_e32 v6, v6, v7
	v_lshlrev_b64 v[2:3], v6, v[2:3]
	v_min_u32_e32 v2, 1, v2
	v_or_b32_e32 v2, v3, v2
	v_cvt_f32_i32_e32 v2, v2
	v_sub_u32_e32 v3, 32, v6
	v_ldexp_f32 v2, v2, v3
	v_cvt_f16_f32_e32 v27, v2
	s_branch .LBB72_1563
.LBB72_1560:
	s_mov_b64 s[0:1], -1
                                        ; implicit-def: $vgpr27
	s_branch .LBB72_1569
.LBB72_1561:
	s_mov_b64 s[0:1], -1
                                        ; implicit-def: $vgpr27
	s_branch .LBB72_1566
.LBB72_1562:
	s_mov_b64 s[0:1], -1
                                        ; implicit-def: $vgpr27
.LBB72_1563:
	s_andn2_b64 vcc, exec, s[0:1]
	s_cbranch_vccnz .LBB72_1565
; %bb.1564:
	global_load_dword v2, v[0:1], off
	s_waitcnt vmcnt(0)
	v_cvt_f32_i32_e32 v2, v2
	v_cvt_f16_f32_e32 v27, v2
.LBB72_1565:
	s_mov_b64 s[0:1], 0
.LBB72_1566:
	s_andn2_b64 vcc, exec, s[0:1]
	s_cbranch_vccnz .LBB72_1568
; %bb.1567:
	global_load_ushort v2, v[0:1], off
	s_waitcnt vmcnt(0)
	v_cvt_f16_i16_e32 v27, v2
.LBB72_1568:
	s_mov_b64 s[0:1], 0
.LBB72_1569:
	s_andn2_b64 vcc, exec, s[0:1]
	s_cbranch_vccnz .LBB72_1575
; %bb.1570:
	s_cmp_gt_i32 s10, 0
	s_cbranch_scc0 .LBB72_1572
; %bb.1571:
	global_load_sbyte v2, v[0:1], off
	s_mov_b64 s[0:1], 0
	s_waitcnt vmcnt(0)
	v_cvt_f16_i16_e32 v27, v2
	s_branch .LBB72_1573
.LBB72_1572:
	s_mov_b64 s[0:1], -1
                                        ; implicit-def: $vgpr27
.LBB72_1573:
	s_andn2_b64 vcc, exec, s[0:1]
	s_cbranch_vccnz .LBB72_1575
; %bb.1574:
	global_load_ubyte v0, v[0:1], off
	s_waitcnt vmcnt(0)
	v_cvt_f16_u16_e32 v27, v0
.LBB72_1575:
	v_mov_b32_e32 v29, 0
.LBB72_1576:
	s_mov_b64 s[4:5], -1
.LBB72_1577:
	s_andn2_b64 vcc, exec, s[4:5]
	s_cbranch_vccnz .LBB72_2011
; %bb.1578:
	s_waitcnt vmcnt(0)
	v_cvt_f32_f16_e32 v0, v4
	v_cvt_f32_f16_e32 v1, v5
	s_getpc_b64 s[0:1]
	s_add_u32 s0, s0, _ZN16c10_complex_math3expIfEEN3c107complexIT_EERKS4_@rel32@lo+4
	s_addc_u32 s1, s1, _ZN16c10_complex_math3expIfEEN3c107complexIT_EERKS4_@rel32@hi+12
	s_swappc_b64 s[30:31], s[0:1]
	v_cvt_f16_f32_e32 v2, v1
	v_cvt_f16_f32_e32 v4, v0
	v_mul_lo_u32 v22, s18, v21
	v_ashrrev_i32_e32 v23, 31, v22
	v_lshlrev_b32_e32 v0, 16, v2
	s_and_b32 s36, s33, 0xff
	v_or_b32_e32 v5, v0, v4
	s_cmp_lt_i32 s36, 11
	v_lshl_add_u64 v[0:1], s[20:21], 0, v[22:23]
	s_cbranch_scc1 .LBB72_1656
; %bb.1579:
	s_and_b32 s10, 0xffff, s36
	s_mov_b64 s[6:7], -1
	s_mov_b64 s[2:3], 0
	s_cmp_gt_i32 s10, 25
	s_mov_b64 s[4:5], 0
	s_mov_b64 s[0:1], 0
	s_cbranch_scc0 .LBB72_1612
; %bb.1580:
	s_cmp_gt_i32 s10, 28
	s_cbranch_scc0 .LBB72_1595
; %bb.1581:
	s_cmp_gt_i32 s10, 43
	;; [unrolled: 3-line block ×3, first 2 shown]
	s_cbranch_scc0 .LBB72_1585
; %bb.1583:
	s_mov_b64 s[0:1], -1
	s_mov_b64 s[6:7], 0
	s_cmp_eq_u32 s10, 46
	s_cbranch_scc0 .LBB72_1585
; %bb.1584:
	v_cvt_f32_f16_e32 v6, v2
	v_cvt_f32_f16_e32 v3, v4
	s_movk_i32 s0, 0x7fff
	v_cmp_o_f16_e32 vcc, v2, v2
	v_bfe_u32 v8, v6, 16, 1
	v_bfe_u32 v7, v3, 16, 1
	v_add3_u32 v6, v6, v8, s0
	v_add3_u32 v3, v3, v7, s0
	v_and_b32_e32 v6, 0xffff0000, v6
	v_mov_b32_e32 v7, 0x7fc00000
	v_cndmask_b32_e32 v6, v7, v6, vcc
	v_cmp_o_f16_e32 vcc, v4, v4
	v_mov_b32_e32 v7, 0x7fc0
	s_mov_b64 s[0:1], 0
	v_cndmask_b32_sdwa v3, v7, v3, vcc dst_sel:DWORD dst_unused:UNUSED_PAD src0_sel:DWORD src1_sel:WORD_1
	v_or_b32_e32 v3, v6, v3
	global_store_dword v[0:1], v3, off
	s_mov_b64 s[4:5], -1
.LBB72_1585:
	s_and_b64 vcc, exec, s[6:7]
	s_cbranch_vccz .LBB72_1590
; %bb.1586:
	s_cmp_eq_u32 s10, 44
	s_mov_b64 s[0:1], -1
	s_cbranch_scc0 .LBB72_1590
; %bb.1587:
	v_cvt_f32_f16_e32 v3, v4
	s_movk_i32 s0, 0xff
	v_mov_b32_e32 v7, 0xff
	v_bfe_u32 v6, v3, 23, 8
	v_cmp_ne_u32_e32 vcc, s0, v6
	s_and_saveexec_b64 s[4:5], vcc
; %bb.1588:
	s_mov_b32 s0, 0x3fffff
	v_lshrrev_b32_e32 v7, 23, v3
	v_and_b32_e32 v8, 0x400000, v3
	v_and_or_b32 v3, v3, s0, v6
	v_cmp_ne_u32_e32 vcc, 0, v8
	v_cmp_ne_u32_e64 s[0:1], 0, v3
	s_and_b64 s[0:1], vcc, s[0:1]
	s_nop 0
	v_cndmask_b32_e64 v3, 0, 1, s[0:1]
	v_add_u32_e32 v7, v7, v3
; %bb.1589:
	s_or_b64 exec, exec, s[4:5]
	s_mov_b64 s[0:1], 0
	s_mov_b64 s[4:5], -1
	global_store_byte v[0:1], v7, off
.LBB72_1590:
	s_mov_b64 s[6:7], 0
.LBB72_1591:
	s_and_b64 vcc, exec, s[6:7]
	s_cbranch_vccz .LBB72_1594
; %bb.1592:
	s_cmp_eq_u32 s10, 29
	s_mov_b64 s[0:1], -1
	s_cbranch_scc0 .LBB72_1594
; %bb.1593:
	v_cvt_f32_f16_e32 v3, v4
	v_mov_b32_e32 v7, 0
	s_mov_b64 s[0:1], 0
	s_mov_b64 s[4:5], -1
	v_cvt_u32_f32_e32 v6, v3
	global_store_dwordx2 v[0:1], v[6:7], off
.LBB72_1594:
	s_mov_b64 s[6:7], 0
.LBB72_1595:
	s_and_b64 vcc, exec, s[6:7]
	s_cbranch_vccz .LBB72_1611
; %bb.1596:
	s_cmp_lt_i32 s10, 27
	s_mov_b64 s[4:5], -1
	s_cbranch_scc1 .LBB72_1602
; %bb.1597:
	s_cmp_gt_i32 s10, 27
	s_cbranch_scc0 .LBB72_1599
; %bb.1598:
	v_cvt_f32_f16_e32 v3, v4
	s_mov_b64 s[4:5], 0
	v_cvt_u32_f32_e32 v3, v3
	global_store_dword v[0:1], v3, off
.LBB72_1599:
	s_andn2_b64 vcc, exec, s[4:5]
	s_cbranch_vccnz .LBB72_1601
; %bb.1600:
	v_cvt_u16_f16_e32 v3, v4
	global_store_short v[0:1], v3, off
.LBB72_1601:
	s_mov_b64 s[4:5], 0
.LBB72_1602:
	s_andn2_b64 vcc, exec, s[4:5]
	s_cbranch_vccnz .LBB72_1610
; %bb.1603:
	v_cvt_f32_f16_e32 v3, v4
	s_mov_b32 s4, 0x43800000
	v_mov_b32_e32 v7, 0x80
	v_and_b32_e32 v6, 0x7fffffff, v3
	v_cmp_gt_u32_e32 vcc, s4, v6
	s_and_saveexec_b64 s[4:5], vcc
	s_cbranch_execz .LBB72_1609
; %bb.1604:
	s_mov_b32 s6, 0x3bffffff
	v_cmp_lt_u32_e32 vcc, s6, v6
	s_mov_b64 s[6:7], 0
                                        ; implicit-def: $vgpr6
	s_and_saveexec_b64 s[8:9], vcc
	s_xor_b64 s[8:9], exec, s[8:9]
	s_cbranch_execz .LBB72_2058
; %bb.1605:
	v_bfe_u32 v6, v3, 20, 1
	s_mov_b32 s11, 0x487ffff
	v_add3_u32 v6, v3, v6, s11
	s_mov_b64 s[6:7], exec
	v_lshrrev_b32_e32 v6, 20, v6
	s_andn2_saveexec_b64 s[8:9], s[8:9]
	s_cbranch_execnz .LBB72_2059
.LBB72_1606:
	s_or_b64 exec, exec, s[8:9]
	v_mov_b32_e32 v7, 0
	s_and_saveexec_b64 s[8:9], s[6:7]
.LBB72_1607:
	v_lshrrev_b32_e32 v3, 24, v3
	s_movk_i32 s6, 0x80
	v_and_or_b32 v7, v3, s6, v6
.LBB72_1608:
	s_or_b64 exec, exec, s[8:9]
.LBB72_1609:
	s_or_b64 exec, exec, s[4:5]
	global_store_byte v[0:1], v7, off
.LBB72_1610:
	s_mov_b64 s[4:5], -1
.LBB72_1611:
	s_mov_b64 s[6:7], 0
.LBB72_1612:
	s_and_b64 vcc, exec, s[6:7]
	s_cbranch_vccz .LBB72_1652
; %bb.1613:
	s_cmp_gt_i32 s10, 22
	s_mov_b64 s[2:3], -1
	s_cbranch_scc0 .LBB72_1645
; %bb.1614:
	s_cmp_lt_i32 s10, 24
	s_cbranch_scc1 .LBB72_1634
; %bb.1615:
	s_cmp_gt_i32 s10, 24
	s_cbranch_scc0 .LBB72_1623
; %bb.1616:
	v_cvt_f32_f16_e32 v3, v4
	s_mov_b32 s2, 0x47800000
	v_mov_b32_e32 v7, 0x80
	v_and_b32_e32 v6, 0x7fffffff, v3
	v_cmp_gt_u32_e32 vcc, s2, v6
	s_and_saveexec_b64 s[2:3], vcc
	s_cbranch_execz .LBB72_1622
; %bb.1617:
	s_mov_b32 s4, 0x37ffffff
	v_cmp_lt_u32_e32 vcc, s4, v6
	s_mov_b64 s[4:5], 0
                                        ; implicit-def: $vgpr6
	s_and_saveexec_b64 s[6:7], vcc
	s_xor_b64 s[6:7], exec, s[6:7]
	s_cbranch_execz .LBB72_2061
; %bb.1618:
	v_bfe_u32 v6, v3, 21, 1
	s_mov_b32 s8, 0x88fffff
	v_add3_u32 v6, v3, v6, s8
	s_mov_b64 s[4:5], exec
	v_lshrrev_b32_e32 v6, 21, v6
	s_andn2_saveexec_b64 s[6:7], s[6:7]
	s_cbranch_execnz .LBB72_2062
.LBB72_1619:
	s_or_b64 exec, exec, s[6:7]
	v_mov_b32_e32 v7, 0
	s_and_saveexec_b64 s[6:7], s[4:5]
.LBB72_1620:
	v_lshrrev_b32_e32 v3, 24, v3
	s_movk_i32 s4, 0x80
	v_and_or_b32 v7, v3, s4, v6
.LBB72_1621:
	s_or_b64 exec, exec, s[6:7]
.LBB72_1622:
	s_or_b64 exec, exec, s[2:3]
	s_mov_b64 s[2:3], 0
	global_store_byte v[0:1], v7, off
.LBB72_1623:
	s_and_b64 vcc, exec, s[2:3]
	s_cbranch_vccz .LBB72_1633
; %bb.1624:
	v_cvt_f32_f16_e32 v3, v4
	s_mov_b32 s2, 0x43f00000
                                        ; implicit-def: $vgpr6
	v_and_b32_e32 v7, 0x7fffffff, v3
	v_cmp_gt_u32_e32 vcc, s2, v7
	s_and_saveexec_b64 s[2:3], vcc
	s_xor_b64 s[2:3], exec, s[2:3]
	s_cbranch_execz .LBB72_1630
; %bb.1625:
	s_mov_b32 s4, 0x3c7fffff
	v_cmp_lt_u32_e32 vcc, s4, v7
                                        ; implicit-def: $vgpr6
	s_and_saveexec_b64 s[4:5], vcc
	s_xor_b64 s[4:5], exec, s[4:5]
; %bb.1626:
	v_bfe_u32 v6, v3, 20, 1
	s_mov_b32 s6, 0x407ffff
	v_add3_u32 v6, v3, v6, s6
	v_lshrrev_b32_e32 v7, 20, v6
	v_and_b32_e32 v6, 0xff00000, v6
	s_mov_b32 s6, 0x7f00000
	v_mov_b32_e32 v8, 0x7e
	v_cmp_ne_u32_e32 vcc, s6, v6
	s_nop 1
	v_cndmask_b32_e32 v6, v8, v7, vcc
; %bb.1627:
	s_andn2_saveexec_b64 s[4:5], s[4:5]
; %bb.1628:
	s_mov_b32 s6, 0x46800000
	v_add_f32_e64 v6, |v3|, s6
; %bb.1629:
	s_or_b64 exec, exec, s[4:5]
                                        ; implicit-def: $vgpr7
.LBB72_1630:
	s_andn2_saveexec_b64 s[2:3], s[2:3]
; %bb.1631:
	s_mov_b32 s4, 0x7f800000
	v_mov_b32_e32 v6, 0x7e
	v_mov_b32_e32 v8, 0x7f
	v_cmp_lt_u32_e32 vcc, s4, v7
	s_nop 1
	v_cndmask_b32_e32 v6, v6, v8, vcc
; %bb.1632:
	s_or_b64 exec, exec, s[2:3]
	v_lshrrev_b32_e32 v3, 24, v3
	s_movk_i32 s2, 0x80
	v_and_or_b32 v3, v3, s2, v6
	global_store_byte v[0:1], v3, off
.LBB72_1633:
	s_mov_b64 s[2:3], 0
.LBB72_1634:
	s_andn2_b64 vcc, exec, s[2:3]
	s_cbranch_vccnz .LBB72_1644
; %bb.1635:
	v_cvt_f32_f16_e32 v3, v4
	s_mov_b32 s2, 0x47800000
                                        ; implicit-def: $vgpr6
	v_and_b32_e32 v7, 0x7fffffff, v3
	v_cmp_gt_u32_e32 vcc, s2, v7
	s_and_saveexec_b64 s[2:3], vcc
	s_xor_b64 s[2:3], exec, s[2:3]
	s_cbranch_execz .LBB72_1641
; %bb.1636:
	s_mov_b32 s4, 0x387fffff
	v_cmp_lt_u32_e32 vcc, s4, v7
                                        ; implicit-def: $vgpr6
	s_and_saveexec_b64 s[4:5], vcc
	s_xor_b64 s[4:5], exec, s[4:5]
; %bb.1637:
	v_bfe_u32 v6, v3, 21, 1
	s_mov_b32 s6, 0x80fffff
	v_add3_u32 v6, v3, v6, s6
	v_lshrrev_b32_e32 v6, 21, v6
; %bb.1638:
	s_andn2_saveexec_b64 s[4:5], s[4:5]
; %bb.1639:
	s_mov_b32 s6, 0x43000000
	v_add_f32_e64 v6, |v3|, s6
; %bb.1640:
	s_or_b64 exec, exec, s[4:5]
                                        ; implicit-def: $vgpr7
.LBB72_1641:
	s_andn2_saveexec_b64 s[2:3], s[2:3]
; %bb.1642:
	s_mov_b32 s4, 0x7f800000
	v_mov_b32_e32 v6, 0x7c
	v_mov_b32_e32 v8, 0x7f
	v_cmp_lt_u32_e32 vcc, s4, v7
	s_nop 1
	v_cndmask_b32_e32 v6, v6, v8, vcc
; %bb.1643:
	s_or_b64 exec, exec, s[2:3]
	v_lshrrev_b32_e32 v3, 24, v3
	s_movk_i32 s2, 0x80
	v_and_or_b32 v3, v3, s2, v6
	global_store_byte v[0:1], v3, off
.LBB72_1644:
	s_mov_b64 s[2:3], 0
	s_mov_b64 s[4:5], -1
.LBB72_1645:
	s_andn2_b64 vcc, exec, s[2:3]
	s_mov_b64 s[2:3], 0
	s_cbranch_vccnz .LBB72_1652
; %bb.1646:
	s_cmp_gt_i32 s10, 14
	s_mov_b64 s[6:7], -1
	s_cbranch_scc0 .LBB72_1650
; %bb.1647:
	s_cmp_eq_u32 s10, 15
	s_mov_b64 s[0:1], -1
	s_cbranch_scc0 .LBB72_1649
; %bb.1648:
	v_cvt_f32_f16_e32 v3, v4
	s_movk_i32 s0, 0x7fff
	v_cmp_o_f16_e32 vcc, v4, v4
	v_mov_b32_e32 v6, 0x7fc0
	v_bfe_u32 v7, v3, 16, 1
	v_add3_u32 v3, v3, v7, s0
	v_cndmask_b32_sdwa v3, v6, v3, vcc dst_sel:DWORD dst_unused:UNUSED_PAD src0_sel:DWORD src1_sel:WORD_1
	global_store_short v[0:1], v3, off
	s_mov_b64 s[0:1], 0
	s_mov_b64 s[4:5], -1
.LBB72_1649:
	s_mov_b64 s[6:7], 0
.LBB72_1650:
	s_and_b64 vcc, exec, s[6:7]
	s_cbranch_vccz .LBB72_1652
; %bb.1651:
	s_cmp_lg_u32 s10, 11
	s_mov_b64 s[2:3], -1
	s_cselect_b64 s[0:1], -1, 0
.LBB72_1652:
	s_and_b64 vcc, exec, s[0:1]
	s_cbranch_vccnz .LBB72_2060
; %bb.1653:
	s_andn2_b64 vcc, exec, s[2:3]
	s_cbranch_vccnz .LBB72_1655
.LBB72_1654:
	v_and_b32_e32 v3, 0x7fff7fff, v5
	v_cmp_ne_u32_e32 vcc, 0, v3
	s_mov_b64 s[4:5], -1
	s_nop 0
	v_cndmask_b32_e64 v3, 0, 1, vcc
	global_store_byte v[0:1], v3, off
.LBB72_1655:
	s_mov_b64 s[0:1], 0
	s_branch .LBB72_1657
.LBB72_1656:
	s_mov_b64 s[0:1], -1
	s_mov_b64 s[4:5], 0
.LBB72_1657:
	s_and_b64 vcc, exec, s[0:1]
	s_cbranch_vccz .LBB72_1696
; %bb.1658:
	s_and_b32 s2, 0xffff, s36
	s_cmp_lt_i32 s2, 5
	s_mov_b64 s[0:1], -1
	s_cbranch_scc1 .LBB72_1679
; %bb.1659:
	s_cmp_lt_i32 s2, 8
	s_cbranch_scc1 .LBB72_1669
; %bb.1660:
	s_cmp_lt_i32 s2, 9
	s_cbranch_scc1 .LBB72_1666
; %bb.1661:
	v_cvt_f32_f16_e32 v3, v2
	s_cmp_gt_i32 s2, 9
	s_cbranch_scc0 .LBB72_1663
; %bb.1662:
	v_cvt_f32_f16_e32 v2, v4
	v_cvt_f64_f32_e32 v[8:9], v3
	s_mov_b64 s[0:1], 0
	v_cvt_f64_f32_e32 v[6:7], v2
	global_store_dwordx4 v[0:1], v[6:9], off
.LBB72_1663:
	s_andn2_b64 vcc, exec, s[0:1]
	s_cbranch_vccnz .LBB72_1665
; %bb.1664:
	v_cvt_f32_f16_e32 v2, v4
	global_store_dwordx2 v[0:1], v[2:3], off
.LBB72_1665:
	s_mov_b64 s[0:1], 0
.LBB72_1666:
	s_andn2_b64 vcc, exec, s[0:1]
	s_cbranch_vccnz .LBB72_1668
; %bb.1667:
	global_store_dword v[0:1], v5, off
.LBB72_1668:
	s_mov_b64 s[0:1], 0
.LBB72_1669:
	s_andn2_b64 vcc, exec, s[0:1]
	s_cbranch_vccnz .LBB72_1678
; %bb.1670:
	s_cmp_lt_i32 s2, 6
	s_mov_b64 s[0:1], -1
	s_cbranch_scc1 .LBB72_1676
; %bb.1671:
	s_cmp_gt_i32 s2, 6
	s_cbranch_scc0 .LBB72_1673
; %bb.1672:
	v_cvt_f32_f16_e32 v2, v4
	s_mov_b64 s[0:1], 0
	v_cvt_f64_f32_e32 v[2:3], v2
	global_store_dwordx2 v[0:1], v[2:3], off
.LBB72_1673:
	s_andn2_b64 vcc, exec, s[0:1]
	s_cbranch_vccnz .LBB72_1675
; %bb.1674:
	v_cvt_f32_f16_e32 v2, v4
	global_store_dword v[0:1], v2, off
.LBB72_1675:
	s_mov_b64 s[0:1], 0
.LBB72_1676:
	s_andn2_b64 vcc, exec, s[0:1]
	s_cbranch_vccnz .LBB72_1678
; %bb.1677:
	global_store_short v[0:1], v4, off
.LBB72_1678:
	s_mov_b64 s[0:1], 0
.LBB72_1679:
	s_andn2_b64 vcc, exec, s[0:1]
	s_cbranch_vccnz .LBB72_1695
; %bb.1680:
	s_cmp_lt_i32 s2, 2
	s_mov_b64 s[0:1], -1
	s_cbranch_scc1 .LBB72_1690
; %bb.1681:
	s_cmp_lt_i32 s2, 3
	s_cbranch_scc1 .LBB72_1687
; %bb.1682:
	s_cmp_gt_i32 s2, 3
	s_cbranch_scc0 .LBB72_1684
; %bb.1683:
	v_cvt_f32_f16_e32 v2, v4
	s_mov_b64 s[0:1], 0
	v_cvt_i32_f32_e32 v2, v2
	v_ashrrev_i32_e32 v3, 31, v2
	global_store_dwordx2 v[0:1], v[2:3], off
.LBB72_1684:
	s_andn2_b64 vcc, exec, s[0:1]
	s_cbranch_vccnz .LBB72_1686
; %bb.1685:
	v_cvt_f32_f16_e32 v2, v4
	v_cvt_i32_f32_e32 v2, v2
	global_store_dword v[0:1], v2, off
.LBB72_1686:
	s_mov_b64 s[0:1], 0
.LBB72_1687:
	s_andn2_b64 vcc, exec, s[0:1]
	s_cbranch_vccnz .LBB72_1689
; %bb.1688:
	v_cvt_i16_f16_e32 v2, v4
	global_store_short v[0:1], v2, off
.LBB72_1689:
	s_mov_b64 s[0:1], 0
.LBB72_1690:
	s_andn2_b64 vcc, exec, s[0:1]
	s_cbranch_vccnz .LBB72_1695
; %bb.1691:
	s_cmp_gt_i32 s2, 0
	s_mov_b64 s[0:1], -1
	s_cbranch_scc0 .LBB72_1693
; %bb.1692:
	v_cvt_i16_f16_e32 v2, v4
	global_store_byte v[0:1], v2, off
	s_mov_b64 s[0:1], 0
.LBB72_1693:
	s_andn2_b64 vcc, exec, s[0:1]
	s_cbranch_vccnz .LBB72_1695
; %bb.1694:
	v_cvt_f32_f16_e32 v2, v4
	v_cvt_i32_f32_e32 v2, v2
	global_store_byte v[0:1], v2, off
.LBB72_1695:
	s_mov_b64 s[4:5], -1
.LBB72_1696:
	s_andn2_b64 vcc, exec, s[4:5]
	s_cbranch_vccnz .LBB72_2011
; %bb.1697:
	v_cvt_f32_f16_e32 v0, v24
	v_cvt_f32_f16_e32 v1, v26
	s_getpc_b64 s[0:1]
	s_add_u32 s0, s0, _ZN16c10_complex_math3expIfEEN3c107complexIT_EERKS4_@rel32@lo+4
	s_addc_u32 s1, s1, _ZN16c10_complex_math3expIfEEN3c107complexIT_EERKS4_@rel32@hi+12
	s_swappc_b64 s[30:31], s[0:1]
	v_cvt_f16_f32_e32 v2, v1
	v_cvt_f16_f32_e32 v4, v0
	s_lshl_b32 s18, s18, 7
	v_add_u32_e32 v22, s18, v22
	v_lshlrev_b32_e32 v0, 16, v2
	v_ashrrev_i32_e32 v23, 31, v22
	v_or_b32_e32 v5, v0, v4
	s_cmp_lt_i32 s36, 11
	v_lshl_add_u64 v[0:1], s[20:21], 0, v[22:23]
	s_cbranch_scc1 .LBB72_1775
; %bb.1698:
	s_and_b32 s10, 0xffff, s36
	s_mov_b64 s[6:7], -1
	s_mov_b64 s[2:3], 0
	s_cmp_gt_i32 s10, 25
	s_mov_b64 s[4:5], 0
	s_mov_b64 s[0:1], 0
	s_cbranch_scc0 .LBB72_1731
; %bb.1699:
	s_cmp_gt_i32 s10, 28
	s_cbranch_scc0 .LBB72_1714
; %bb.1700:
	s_cmp_gt_i32 s10, 43
	;; [unrolled: 3-line block ×3, first 2 shown]
	s_cbranch_scc0 .LBB72_1704
; %bb.1702:
	s_mov_b64 s[0:1], -1
	s_mov_b64 s[6:7], 0
	s_cmp_eq_u32 s10, 46
	s_cbranch_scc0 .LBB72_1704
; %bb.1703:
	v_cvt_f32_f16_e32 v6, v2
	v_cvt_f32_f16_e32 v3, v4
	s_movk_i32 s0, 0x7fff
	v_cmp_o_f16_e32 vcc, v2, v2
	v_bfe_u32 v8, v6, 16, 1
	v_bfe_u32 v7, v3, 16, 1
	v_add3_u32 v6, v6, v8, s0
	v_add3_u32 v3, v3, v7, s0
	v_and_b32_e32 v6, 0xffff0000, v6
	v_mov_b32_e32 v7, 0x7fc00000
	v_cndmask_b32_e32 v6, v7, v6, vcc
	v_cmp_o_f16_e32 vcc, v4, v4
	v_mov_b32_e32 v7, 0x7fc0
	s_mov_b64 s[0:1], 0
	v_cndmask_b32_sdwa v3, v7, v3, vcc dst_sel:DWORD dst_unused:UNUSED_PAD src0_sel:DWORD src1_sel:WORD_1
	v_or_b32_e32 v3, v6, v3
	global_store_dword v[0:1], v3, off
	s_mov_b64 s[4:5], -1
.LBB72_1704:
	s_and_b64 vcc, exec, s[6:7]
	s_cbranch_vccz .LBB72_1709
; %bb.1705:
	s_cmp_eq_u32 s10, 44
	s_mov_b64 s[0:1], -1
	s_cbranch_scc0 .LBB72_1709
; %bb.1706:
	v_cvt_f32_f16_e32 v3, v4
	s_movk_i32 s0, 0xff
	v_mov_b32_e32 v7, 0xff
	v_bfe_u32 v6, v3, 23, 8
	v_cmp_ne_u32_e32 vcc, s0, v6
	s_and_saveexec_b64 s[4:5], vcc
; %bb.1707:
	s_mov_b32 s0, 0x3fffff
	v_lshrrev_b32_e32 v7, 23, v3
	v_and_b32_e32 v8, 0x400000, v3
	v_and_or_b32 v3, v3, s0, v6
	v_cmp_ne_u32_e32 vcc, 0, v8
	v_cmp_ne_u32_e64 s[0:1], 0, v3
	s_and_b64 s[0:1], vcc, s[0:1]
	s_nop 0
	v_cndmask_b32_e64 v3, 0, 1, s[0:1]
	v_add_u32_e32 v7, v7, v3
; %bb.1708:
	s_or_b64 exec, exec, s[4:5]
	s_mov_b64 s[0:1], 0
	s_mov_b64 s[4:5], -1
	global_store_byte v[0:1], v7, off
.LBB72_1709:
	s_mov_b64 s[6:7], 0
.LBB72_1710:
	s_and_b64 vcc, exec, s[6:7]
	s_cbranch_vccz .LBB72_1713
; %bb.1711:
	s_cmp_eq_u32 s10, 29
	s_mov_b64 s[0:1], -1
	s_cbranch_scc0 .LBB72_1713
; %bb.1712:
	v_cvt_f32_f16_e32 v3, v4
	v_mov_b32_e32 v7, 0
	s_mov_b64 s[0:1], 0
	s_mov_b64 s[4:5], -1
	v_cvt_u32_f32_e32 v6, v3
	global_store_dwordx2 v[0:1], v[6:7], off
.LBB72_1713:
	s_mov_b64 s[6:7], 0
.LBB72_1714:
	s_and_b64 vcc, exec, s[6:7]
	s_cbranch_vccz .LBB72_1730
; %bb.1715:
	s_cmp_lt_i32 s10, 27
	s_mov_b64 s[4:5], -1
	s_cbranch_scc1 .LBB72_1721
; %bb.1716:
	s_cmp_gt_i32 s10, 27
	s_cbranch_scc0 .LBB72_1718
; %bb.1717:
	v_cvt_f32_f16_e32 v3, v4
	s_mov_b64 s[4:5], 0
	v_cvt_u32_f32_e32 v3, v3
	global_store_dword v[0:1], v3, off
.LBB72_1718:
	s_andn2_b64 vcc, exec, s[4:5]
	s_cbranch_vccnz .LBB72_1720
; %bb.1719:
	v_cvt_u16_f16_e32 v3, v4
	global_store_short v[0:1], v3, off
.LBB72_1720:
	s_mov_b64 s[4:5], 0
.LBB72_1721:
	s_andn2_b64 vcc, exec, s[4:5]
	s_cbranch_vccnz .LBB72_1729
; %bb.1722:
	v_cvt_f32_f16_e32 v3, v4
	s_mov_b32 s4, 0x43800000
	v_mov_b32_e32 v7, 0x80
	v_and_b32_e32 v6, 0x7fffffff, v3
	v_cmp_gt_u32_e32 vcc, s4, v6
	s_and_saveexec_b64 s[4:5], vcc
	s_cbranch_execz .LBB72_1728
; %bb.1723:
	s_mov_b32 s6, 0x3bffffff
	v_cmp_lt_u32_e32 vcc, s6, v6
	s_mov_b64 s[6:7], 0
                                        ; implicit-def: $vgpr6
	s_and_saveexec_b64 s[8:9], vcc
	s_xor_b64 s[8:9], exec, s[8:9]
	s_cbranch_execz .LBB72_2063
; %bb.1724:
	v_bfe_u32 v6, v3, 20, 1
	s_mov_b32 s11, 0x487ffff
	v_add3_u32 v6, v3, v6, s11
	s_mov_b64 s[6:7], exec
	v_lshrrev_b32_e32 v6, 20, v6
	s_andn2_saveexec_b64 s[8:9], s[8:9]
	s_cbranch_execnz .LBB72_2064
.LBB72_1725:
	s_or_b64 exec, exec, s[8:9]
	v_mov_b32_e32 v7, 0
	s_and_saveexec_b64 s[8:9], s[6:7]
.LBB72_1726:
	v_lshrrev_b32_e32 v3, 24, v3
	s_movk_i32 s6, 0x80
	v_and_or_b32 v7, v3, s6, v6
.LBB72_1727:
	s_or_b64 exec, exec, s[8:9]
.LBB72_1728:
	s_or_b64 exec, exec, s[4:5]
	global_store_byte v[0:1], v7, off
.LBB72_1729:
	s_mov_b64 s[4:5], -1
.LBB72_1730:
	s_mov_b64 s[6:7], 0
.LBB72_1731:
	s_and_b64 vcc, exec, s[6:7]
	s_cbranch_vccz .LBB72_1771
; %bb.1732:
	s_cmp_gt_i32 s10, 22
	s_mov_b64 s[2:3], -1
	s_cbranch_scc0 .LBB72_1764
; %bb.1733:
	s_cmp_lt_i32 s10, 24
	s_cbranch_scc1 .LBB72_1753
; %bb.1734:
	s_cmp_gt_i32 s10, 24
	s_cbranch_scc0 .LBB72_1742
; %bb.1735:
	v_cvt_f32_f16_e32 v3, v4
	s_mov_b32 s2, 0x47800000
	v_mov_b32_e32 v7, 0x80
	v_and_b32_e32 v6, 0x7fffffff, v3
	v_cmp_gt_u32_e32 vcc, s2, v6
	s_and_saveexec_b64 s[2:3], vcc
	s_cbranch_execz .LBB72_1741
; %bb.1736:
	s_mov_b32 s4, 0x37ffffff
	v_cmp_lt_u32_e32 vcc, s4, v6
	s_mov_b64 s[4:5], 0
                                        ; implicit-def: $vgpr6
	s_and_saveexec_b64 s[6:7], vcc
	s_xor_b64 s[6:7], exec, s[6:7]
	s_cbranch_execz .LBB72_2066
; %bb.1737:
	v_bfe_u32 v6, v3, 21, 1
	s_mov_b32 s8, 0x88fffff
	v_add3_u32 v6, v3, v6, s8
	s_mov_b64 s[4:5], exec
	v_lshrrev_b32_e32 v6, 21, v6
	s_andn2_saveexec_b64 s[6:7], s[6:7]
	s_cbranch_execnz .LBB72_2067
.LBB72_1738:
	s_or_b64 exec, exec, s[6:7]
	v_mov_b32_e32 v7, 0
	s_and_saveexec_b64 s[6:7], s[4:5]
.LBB72_1739:
	v_lshrrev_b32_e32 v3, 24, v3
	s_movk_i32 s4, 0x80
	v_and_or_b32 v7, v3, s4, v6
.LBB72_1740:
	s_or_b64 exec, exec, s[6:7]
.LBB72_1741:
	s_or_b64 exec, exec, s[2:3]
	s_mov_b64 s[2:3], 0
	global_store_byte v[0:1], v7, off
.LBB72_1742:
	s_and_b64 vcc, exec, s[2:3]
	s_cbranch_vccz .LBB72_1752
; %bb.1743:
	v_cvt_f32_f16_e32 v3, v4
	s_mov_b32 s2, 0x43f00000
                                        ; implicit-def: $vgpr6
	v_and_b32_e32 v7, 0x7fffffff, v3
	v_cmp_gt_u32_e32 vcc, s2, v7
	s_and_saveexec_b64 s[2:3], vcc
	s_xor_b64 s[2:3], exec, s[2:3]
	s_cbranch_execz .LBB72_1749
; %bb.1744:
	s_mov_b32 s4, 0x3c7fffff
	v_cmp_lt_u32_e32 vcc, s4, v7
                                        ; implicit-def: $vgpr6
	s_and_saveexec_b64 s[4:5], vcc
	s_xor_b64 s[4:5], exec, s[4:5]
; %bb.1745:
	v_bfe_u32 v6, v3, 20, 1
	s_mov_b32 s6, 0x407ffff
	v_add3_u32 v6, v3, v6, s6
	v_lshrrev_b32_e32 v7, 20, v6
	v_and_b32_e32 v6, 0xff00000, v6
	s_mov_b32 s6, 0x7f00000
	v_mov_b32_e32 v8, 0x7e
	v_cmp_ne_u32_e32 vcc, s6, v6
	s_nop 1
	v_cndmask_b32_e32 v6, v8, v7, vcc
; %bb.1746:
	s_andn2_saveexec_b64 s[4:5], s[4:5]
; %bb.1747:
	s_mov_b32 s6, 0x46800000
	v_add_f32_e64 v6, |v3|, s6
; %bb.1748:
	s_or_b64 exec, exec, s[4:5]
                                        ; implicit-def: $vgpr7
.LBB72_1749:
	s_andn2_saveexec_b64 s[2:3], s[2:3]
; %bb.1750:
	s_mov_b32 s4, 0x7f800000
	v_mov_b32_e32 v6, 0x7e
	v_mov_b32_e32 v8, 0x7f
	v_cmp_lt_u32_e32 vcc, s4, v7
	s_nop 1
	v_cndmask_b32_e32 v6, v6, v8, vcc
; %bb.1751:
	s_or_b64 exec, exec, s[2:3]
	v_lshrrev_b32_e32 v3, 24, v3
	s_movk_i32 s2, 0x80
	v_and_or_b32 v3, v3, s2, v6
	global_store_byte v[0:1], v3, off
.LBB72_1752:
	s_mov_b64 s[2:3], 0
.LBB72_1753:
	s_andn2_b64 vcc, exec, s[2:3]
	s_cbranch_vccnz .LBB72_1763
; %bb.1754:
	v_cvt_f32_f16_e32 v3, v4
	s_mov_b32 s2, 0x47800000
                                        ; implicit-def: $vgpr6
	v_and_b32_e32 v7, 0x7fffffff, v3
	v_cmp_gt_u32_e32 vcc, s2, v7
	s_and_saveexec_b64 s[2:3], vcc
	s_xor_b64 s[2:3], exec, s[2:3]
	s_cbranch_execz .LBB72_1760
; %bb.1755:
	s_mov_b32 s4, 0x387fffff
	v_cmp_lt_u32_e32 vcc, s4, v7
                                        ; implicit-def: $vgpr6
	s_and_saveexec_b64 s[4:5], vcc
	s_xor_b64 s[4:5], exec, s[4:5]
; %bb.1756:
	v_bfe_u32 v6, v3, 21, 1
	s_mov_b32 s6, 0x80fffff
	v_add3_u32 v6, v3, v6, s6
	v_lshrrev_b32_e32 v6, 21, v6
; %bb.1757:
	s_andn2_saveexec_b64 s[4:5], s[4:5]
; %bb.1758:
	s_mov_b32 s6, 0x43000000
	v_add_f32_e64 v6, |v3|, s6
; %bb.1759:
	s_or_b64 exec, exec, s[4:5]
                                        ; implicit-def: $vgpr7
.LBB72_1760:
	s_andn2_saveexec_b64 s[2:3], s[2:3]
; %bb.1761:
	s_mov_b32 s4, 0x7f800000
	v_mov_b32_e32 v6, 0x7c
	v_mov_b32_e32 v8, 0x7f
	v_cmp_lt_u32_e32 vcc, s4, v7
	s_nop 1
	v_cndmask_b32_e32 v6, v6, v8, vcc
; %bb.1762:
	s_or_b64 exec, exec, s[2:3]
	v_lshrrev_b32_e32 v3, 24, v3
	s_movk_i32 s2, 0x80
	v_and_or_b32 v3, v3, s2, v6
	global_store_byte v[0:1], v3, off
.LBB72_1763:
	s_mov_b64 s[2:3], 0
	s_mov_b64 s[4:5], -1
.LBB72_1764:
	s_andn2_b64 vcc, exec, s[2:3]
	s_mov_b64 s[2:3], 0
	s_cbranch_vccnz .LBB72_1771
; %bb.1765:
	s_cmp_gt_i32 s10, 14
	s_mov_b64 s[6:7], -1
	s_cbranch_scc0 .LBB72_1769
; %bb.1766:
	s_cmp_eq_u32 s10, 15
	s_mov_b64 s[0:1], -1
	s_cbranch_scc0 .LBB72_1768
; %bb.1767:
	v_cvt_f32_f16_e32 v3, v4
	s_movk_i32 s0, 0x7fff
	v_cmp_o_f16_e32 vcc, v4, v4
	v_mov_b32_e32 v6, 0x7fc0
	v_bfe_u32 v7, v3, 16, 1
	v_add3_u32 v3, v3, v7, s0
	v_cndmask_b32_sdwa v3, v6, v3, vcc dst_sel:DWORD dst_unused:UNUSED_PAD src0_sel:DWORD src1_sel:WORD_1
	global_store_short v[0:1], v3, off
	s_mov_b64 s[0:1], 0
	s_mov_b64 s[4:5], -1
.LBB72_1768:
	s_mov_b64 s[6:7], 0
.LBB72_1769:
	s_and_b64 vcc, exec, s[6:7]
	s_cbranch_vccz .LBB72_1771
; %bb.1770:
	s_cmp_lg_u32 s10, 11
	s_mov_b64 s[2:3], -1
	s_cselect_b64 s[0:1], -1, 0
.LBB72_1771:
	s_and_b64 vcc, exec, s[0:1]
	s_cbranch_vccnz .LBB72_2065
; %bb.1772:
	s_andn2_b64 vcc, exec, s[2:3]
	s_cbranch_vccnz .LBB72_1774
.LBB72_1773:
	v_and_b32_e32 v3, 0x7fff7fff, v5
	v_cmp_ne_u32_e32 vcc, 0, v3
	s_mov_b64 s[4:5], -1
	s_nop 0
	v_cndmask_b32_e64 v3, 0, 1, vcc
	global_store_byte v[0:1], v3, off
.LBB72_1774:
	s_mov_b64 s[0:1], 0
	s_branch .LBB72_1776
.LBB72_1775:
	s_mov_b64 s[0:1], -1
	s_mov_b64 s[4:5], 0
.LBB72_1776:
	s_and_b64 vcc, exec, s[0:1]
	s_cbranch_vccz .LBB72_1815
; %bb.1777:
	s_and_b32 s2, 0xffff, s36
	s_cmp_lt_i32 s2, 5
	s_mov_b64 s[0:1], -1
	s_cbranch_scc1 .LBB72_1798
; %bb.1778:
	s_cmp_lt_i32 s2, 8
	s_cbranch_scc1 .LBB72_1788
; %bb.1779:
	s_cmp_lt_i32 s2, 9
	s_cbranch_scc1 .LBB72_1785
; %bb.1780:
	v_cvt_f32_f16_e32 v3, v2
	s_cmp_gt_i32 s2, 9
	s_cbranch_scc0 .LBB72_1782
; %bb.1781:
	v_cvt_f32_f16_e32 v2, v4
	v_cvt_f64_f32_e32 v[8:9], v3
	s_mov_b64 s[0:1], 0
	v_cvt_f64_f32_e32 v[6:7], v2
	global_store_dwordx4 v[0:1], v[6:9], off
.LBB72_1782:
	s_andn2_b64 vcc, exec, s[0:1]
	s_cbranch_vccnz .LBB72_1784
; %bb.1783:
	v_cvt_f32_f16_e32 v2, v4
	global_store_dwordx2 v[0:1], v[2:3], off
.LBB72_1784:
	s_mov_b64 s[0:1], 0
.LBB72_1785:
	s_andn2_b64 vcc, exec, s[0:1]
	s_cbranch_vccnz .LBB72_1787
; %bb.1786:
	global_store_dword v[0:1], v5, off
.LBB72_1787:
	s_mov_b64 s[0:1], 0
.LBB72_1788:
	s_andn2_b64 vcc, exec, s[0:1]
	s_cbranch_vccnz .LBB72_1797
; %bb.1789:
	s_cmp_lt_i32 s2, 6
	s_mov_b64 s[0:1], -1
	s_cbranch_scc1 .LBB72_1795
; %bb.1790:
	s_cmp_gt_i32 s2, 6
	s_cbranch_scc0 .LBB72_1792
; %bb.1791:
	v_cvt_f32_f16_e32 v2, v4
	s_mov_b64 s[0:1], 0
	v_cvt_f64_f32_e32 v[2:3], v2
	global_store_dwordx2 v[0:1], v[2:3], off
.LBB72_1792:
	s_andn2_b64 vcc, exec, s[0:1]
	s_cbranch_vccnz .LBB72_1794
; %bb.1793:
	v_cvt_f32_f16_e32 v2, v4
	global_store_dword v[0:1], v2, off
.LBB72_1794:
	s_mov_b64 s[0:1], 0
.LBB72_1795:
	s_andn2_b64 vcc, exec, s[0:1]
	s_cbranch_vccnz .LBB72_1797
; %bb.1796:
	global_store_short v[0:1], v4, off
.LBB72_1797:
	s_mov_b64 s[0:1], 0
.LBB72_1798:
	s_andn2_b64 vcc, exec, s[0:1]
	s_cbranch_vccnz .LBB72_1814
; %bb.1799:
	s_cmp_lt_i32 s2, 2
	s_mov_b64 s[0:1], -1
	s_cbranch_scc1 .LBB72_1809
; %bb.1800:
	s_cmp_lt_i32 s2, 3
	s_cbranch_scc1 .LBB72_1806
; %bb.1801:
	s_cmp_gt_i32 s2, 3
	s_cbranch_scc0 .LBB72_1803
; %bb.1802:
	v_cvt_f32_f16_e32 v2, v4
	s_mov_b64 s[0:1], 0
	v_cvt_i32_f32_e32 v2, v2
	v_ashrrev_i32_e32 v3, 31, v2
	global_store_dwordx2 v[0:1], v[2:3], off
.LBB72_1803:
	s_andn2_b64 vcc, exec, s[0:1]
	s_cbranch_vccnz .LBB72_1805
; %bb.1804:
	v_cvt_f32_f16_e32 v2, v4
	v_cvt_i32_f32_e32 v2, v2
	global_store_dword v[0:1], v2, off
.LBB72_1805:
	s_mov_b64 s[0:1], 0
.LBB72_1806:
	s_andn2_b64 vcc, exec, s[0:1]
	s_cbranch_vccnz .LBB72_1808
; %bb.1807:
	v_cvt_i16_f16_e32 v2, v4
	global_store_short v[0:1], v2, off
.LBB72_1808:
	s_mov_b64 s[0:1], 0
.LBB72_1809:
	s_andn2_b64 vcc, exec, s[0:1]
	s_cbranch_vccnz .LBB72_1814
; %bb.1810:
	s_cmp_gt_i32 s2, 0
	s_mov_b64 s[0:1], -1
	s_cbranch_scc0 .LBB72_1812
; %bb.1811:
	v_cvt_i16_f16_e32 v2, v4
	global_store_byte v[0:1], v2, off
	s_mov_b64 s[0:1], 0
.LBB72_1812:
	s_andn2_b64 vcc, exec, s[0:1]
	s_cbranch_vccnz .LBB72_1814
; %bb.1813:
	v_cvt_f32_f16_e32 v2, v4
	v_cvt_i32_f32_e32 v2, v2
	global_store_byte v[0:1], v2, off
.LBB72_1814:
	s_mov_b64 s[4:5], -1
.LBB72_1815:
	s_andn2_b64 vcc, exec, s[4:5]
	s_cbranch_vccnz .LBB72_2011
; %bb.1816:
	v_cvt_f32_f16_e32 v0, v25
	v_cvt_f32_f16_e32 v1, v28
	s_getpc_b64 s[0:1]
	s_add_u32 s0, s0, _ZN16c10_complex_math3expIfEEN3c107complexIT_EERKS4_@rel32@lo+4
	s_addc_u32 s1, s1, _ZN16c10_complex_math3expIfEEN3c107complexIT_EERKS4_@rel32@hi+12
	s_swappc_b64 s[30:31], s[0:1]
	v_cvt_f16_f32_e32 v2, v1
	v_cvt_f16_f32_e32 v4, v0
	v_add_u32_e32 v22, s18, v22
	v_ashrrev_i32_e32 v23, 31, v22
	v_lshlrev_b32_e32 v0, 16, v2
	v_or_b32_e32 v5, v0, v4
	s_cmp_lt_i32 s36, 11
	v_lshl_add_u64 v[0:1], s[20:21], 0, v[22:23]
	s_cbranch_scc1 .LBB72_1894
; %bb.1817:
	s_and_b32 s10, 0xffff, s36
	s_mov_b64 s[6:7], -1
	s_mov_b64 s[2:3], 0
	s_cmp_gt_i32 s10, 25
	s_mov_b64 s[4:5], 0
	s_mov_b64 s[0:1], 0
	s_cbranch_scc0 .LBB72_1850
; %bb.1818:
	s_cmp_gt_i32 s10, 28
	s_cbranch_scc0 .LBB72_1833
; %bb.1819:
	s_cmp_gt_i32 s10, 43
	;; [unrolled: 3-line block ×3, first 2 shown]
	s_cbranch_scc0 .LBB72_1823
; %bb.1821:
	s_mov_b64 s[0:1], -1
	s_mov_b64 s[6:7], 0
	s_cmp_eq_u32 s10, 46
	s_cbranch_scc0 .LBB72_1823
; %bb.1822:
	v_cvt_f32_f16_e32 v6, v2
	v_cvt_f32_f16_e32 v3, v4
	s_movk_i32 s0, 0x7fff
	v_cmp_o_f16_e32 vcc, v2, v2
	v_bfe_u32 v8, v6, 16, 1
	v_bfe_u32 v7, v3, 16, 1
	v_add3_u32 v6, v6, v8, s0
	v_add3_u32 v3, v3, v7, s0
	v_and_b32_e32 v6, 0xffff0000, v6
	v_mov_b32_e32 v7, 0x7fc00000
	v_cndmask_b32_e32 v6, v7, v6, vcc
	v_cmp_o_f16_e32 vcc, v4, v4
	v_mov_b32_e32 v7, 0x7fc0
	s_mov_b64 s[0:1], 0
	v_cndmask_b32_sdwa v3, v7, v3, vcc dst_sel:DWORD dst_unused:UNUSED_PAD src0_sel:DWORD src1_sel:WORD_1
	v_or_b32_e32 v3, v6, v3
	global_store_dword v[0:1], v3, off
	s_mov_b64 s[4:5], -1
.LBB72_1823:
	s_and_b64 vcc, exec, s[6:7]
	s_cbranch_vccz .LBB72_1828
; %bb.1824:
	s_cmp_eq_u32 s10, 44
	s_mov_b64 s[0:1], -1
	s_cbranch_scc0 .LBB72_1828
; %bb.1825:
	v_cvt_f32_f16_e32 v3, v4
	s_movk_i32 s0, 0xff
	v_mov_b32_e32 v7, 0xff
	v_bfe_u32 v6, v3, 23, 8
	v_cmp_ne_u32_e32 vcc, s0, v6
	s_and_saveexec_b64 s[4:5], vcc
; %bb.1826:
	s_mov_b32 s0, 0x3fffff
	v_lshrrev_b32_e32 v7, 23, v3
	v_and_b32_e32 v8, 0x400000, v3
	v_and_or_b32 v3, v3, s0, v6
	v_cmp_ne_u32_e32 vcc, 0, v8
	v_cmp_ne_u32_e64 s[0:1], 0, v3
	s_and_b64 s[0:1], vcc, s[0:1]
	s_nop 0
	v_cndmask_b32_e64 v3, 0, 1, s[0:1]
	v_add_u32_e32 v7, v7, v3
; %bb.1827:
	s_or_b64 exec, exec, s[4:5]
	s_mov_b64 s[0:1], 0
	s_mov_b64 s[4:5], -1
	global_store_byte v[0:1], v7, off
.LBB72_1828:
	s_mov_b64 s[6:7], 0
.LBB72_1829:
	s_and_b64 vcc, exec, s[6:7]
	s_cbranch_vccz .LBB72_1832
; %bb.1830:
	s_cmp_eq_u32 s10, 29
	s_mov_b64 s[0:1], -1
	s_cbranch_scc0 .LBB72_1832
; %bb.1831:
	v_cvt_f32_f16_e32 v3, v4
	v_mov_b32_e32 v7, 0
	s_mov_b64 s[0:1], 0
	s_mov_b64 s[4:5], -1
	v_cvt_u32_f32_e32 v6, v3
	global_store_dwordx2 v[0:1], v[6:7], off
.LBB72_1832:
	s_mov_b64 s[6:7], 0
.LBB72_1833:
	s_and_b64 vcc, exec, s[6:7]
	s_cbranch_vccz .LBB72_1849
; %bb.1834:
	s_cmp_lt_i32 s10, 27
	s_mov_b64 s[4:5], -1
	s_cbranch_scc1 .LBB72_1840
; %bb.1835:
	s_cmp_gt_i32 s10, 27
	s_cbranch_scc0 .LBB72_1837
; %bb.1836:
	v_cvt_f32_f16_e32 v3, v4
	s_mov_b64 s[4:5], 0
	v_cvt_u32_f32_e32 v3, v3
	global_store_dword v[0:1], v3, off
.LBB72_1837:
	s_andn2_b64 vcc, exec, s[4:5]
	s_cbranch_vccnz .LBB72_1839
; %bb.1838:
	v_cvt_u16_f16_e32 v3, v4
	global_store_short v[0:1], v3, off
.LBB72_1839:
	s_mov_b64 s[4:5], 0
.LBB72_1840:
	s_andn2_b64 vcc, exec, s[4:5]
	s_cbranch_vccnz .LBB72_1848
; %bb.1841:
	v_cvt_f32_f16_e32 v3, v4
	s_mov_b32 s4, 0x43800000
	v_mov_b32_e32 v7, 0x80
	v_and_b32_e32 v6, 0x7fffffff, v3
	v_cmp_gt_u32_e32 vcc, s4, v6
	s_and_saveexec_b64 s[4:5], vcc
	s_cbranch_execz .LBB72_1847
; %bb.1842:
	s_mov_b32 s6, 0x3bffffff
	v_cmp_lt_u32_e32 vcc, s6, v6
	s_mov_b64 s[6:7], 0
                                        ; implicit-def: $vgpr6
	s_and_saveexec_b64 s[8:9], vcc
	s_xor_b64 s[8:9], exec, s[8:9]
	s_cbranch_execz .LBB72_2068
; %bb.1843:
	v_bfe_u32 v6, v3, 20, 1
	s_mov_b32 s11, 0x487ffff
	v_add3_u32 v6, v3, v6, s11
	s_mov_b64 s[6:7], exec
	v_lshrrev_b32_e32 v6, 20, v6
	s_andn2_saveexec_b64 s[8:9], s[8:9]
	s_cbranch_execnz .LBB72_2069
.LBB72_1844:
	s_or_b64 exec, exec, s[8:9]
	v_mov_b32_e32 v7, 0
	s_and_saveexec_b64 s[8:9], s[6:7]
.LBB72_1845:
	v_lshrrev_b32_e32 v3, 24, v3
	s_movk_i32 s6, 0x80
	v_and_or_b32 v7, v3, s6, v6
.LBB72_1846:
	s_or_b64 exec, exec, s[8:9]
.LBB72_1847:
	s_or_b64 exec, exec, s[4:5]
	global_store_byte v[0:1], v7, off
.LBB72_1848:
	s_mov_b64 s[4:5], -1
.LBB72_1849:
	s_mov_b64 s[6:7], 0
.LBB72_1850:
	s_and_b64 vcc, exec, s[6:7]
	s_cbranch_vccz .LBB72_1890
; %bb.1851:
	s_cmp_gt_i32 s10, 22
	s_mov_b64 s[2:3], -1
	s_cbranch_scc0 .LBB72_1883
; %bb.1852:
	s_cmp_lt_i32 s10, 24
	s_cbranch_scc1 .LBB72_1872
; %bb.1853:
	s_cmp_gt_i32 s10, 24
	s_cbranch_scc0 .LBB72_1861
; %bb.1854:
	v_cvt_f32_f16_e32 v3, v4
	s_mov_b32 s2, 0x47800000
	v_mov_b32_e32 v7, 0x80
	v_and_b32_e32 v6, 0x7fffffff, v3
	v_cmp_gt_u32_e32 vcc, s2, v6
	s_and_saveexec_b64 s[2:3], vcc
	s_cbranch_execz .LBB72_1860
; %bb.1855:
	s_mov_b32 s4, 0x37ffffff
	v_cmp_lt_u32_e32 vcc, s4, v6
	s_mov_b64 s[4:5], 0
                                        ; implicit-def: $vgpr6
	s_and_saveexec_b64 s[6:7], vcc
	s_xor_b64 s[6:7], exec, s[6:7]
	s_cbranch_execz .LBB72_2071
; %bb.1856:
	v_bfe_u32 v6, v3, 21, 1
	s_mov_b32 s8, 0x88fffff
	v_add3_u32 v6, v3, v6, s8
	s_mov_b64 s[4:5], exec
	v_lshrrev_b32_e32 v6, 21, v6
	s_andn2_saveexec_b64 s[6:7], s[6:7]
	s_cbranch_execnz .LBB72_2072
.LBB72_1857:
	s_or_b64 exec, exec, s[6:7]
	v_mov_b32_e32 v7, 0
	s_and_saveexec_b64 s[6:7], s[4:5]
.LBB72_1858:
	v_lshrrev_b32_e32 v3, 24, v3
	s_movk_i32 s4, 0x80
	v_and_or_b32 v7, v3, s4, v6
.LBB72_1859:
	s_or_b64 exec, exec, s[6:7]
.LBB72_1860:
	s_or_b64 exec, exec, s[2:3]
	s_mov_b64 s[2:3], 0
	global_store_byte v[0:1], v7, off
.LBB72_1861:
	s_and_b64 vcc, exec, s[2:3]
	s_cbranch_vccz .LBB72_1871
; %bb.1862:
	v_cvt_f32_f16_e32 v3, v4
	s_mov_b32 s2, 0x43f00000
                                        ; implicit-def: $vgpr6
	v_and_b32_e32 v7, 0x7fffffff, v3
	v_cmp_gt_u32_e32 vcc, s2, v7
	s_and_saveexec_b64 s[2:3], vcc
	s_xor_b64 s[2:3], exec, s[2:3]
	s_cbranch_execz .LBB72_1868
; %bb.1863:
	s_mov_b32 s4, 0x3c7fffff
	v_cmp_lt_u32_e32 vcc, s4, v7
                                        ; implicit-def: $vgpr6
	s_and_saveexec_b64 s[4:5], vcc
	s_xor_b64 s[4:5], exec, s[4:5]
; %bb.1864:
	v_bfe_u32 v6, v3, 20, 1
	s_mov_b32 s6, 0x407ffff
	v_add3_u32 v6, v3, v6, s6
	v_lshrrev_b32_e32 v7, 20, v6
	v_and_b32_e32 v6, 0xff00000, v6
	s_mov_b32 s6, 0x7f00000
	v_mov_b32_e32 v8, 0x7e
	v_cmp_ne_u32_e32 vcc, s6, v6
	s_nop 1
	v_cndmask_b32_e32 v6, v8, v7, vcc
; %bb.1865:
	s_andn2_saveexec_b64 s[4:5], s[4:5]
; %bb.1866:
	s_mov_b32 s6, 0x46800000
	v_add_f32_e64 v6, |v3|, s6
; %bb.1867:
	s_or_b64 exec, exec, s[4:5]
                                        ; implicit-def: $vgpr7
.LBB72_1868:
	s_andn2_saveexec_b64 s[2:3], s[2:3]
; %bb.1869:
	s_mov_b32 s4, 0x7f800000
	v_mov_b32_e32 v6, 0x7e
	v_mov_b32_e32 v8, 0x7f
	v_cmp_lt_u32_e32 vcc, s4, v7
	s_nop 1
	v_cndmask_b32_e32 v6, v6, v8, vcc
; %bb.1870:
	s_or_b64 exec, exec, s[2:3]
	v_lshrrev_b32_e32 v3, 24, v3
	s_movk_i32 s2, 0x80
	v_and_or_b32 v3, v3, s2, v6
	global_store_byte v[0:1], v3, off
.LBB72_1871:
	s_mov_b64 s[2:3], 0
.LBB72_1872:
	s_andn2_b64 vcc, exec, s[2:3]
	s_cbranch_vccnz .LBB72_1882
; %bb.1873:
	v_cvt_f32_f16_e32 v3, v4
	s_mov_b32 s2, 0x47800000
                                        ; implicit-def: $vgpr6
	v_and_b32_e32 v7, 0x7fffffff, v3
	v_cmp_gt_u32_e32 vcc, s2, v7
	s_and_saveexec_b64 s[2:3], vcc
	s_xor_b64 s[2:3], exec, s[2:3]
	s_cbranch_execz .LBB72_1879
; %bb.1874:
	s_mov_b32 s4, 0x387fffff
	v_cmp_lt_u32_e32 vcc, s4, v7
                                        ; implicit-def: $vgpr6
	s_and_saveexec_b64 s[4:5], vcc
	s_xor_b64 s[4:5], exec, s[4:5]
; %bb.1875:
	v_bfe_u32 v6, v3, 21, 1
	s_mov_b32 s6, 0x80fffff
	v_add3_u32 v6, v3, v6, s6
	v_lshrrev_b32_e32 v6, 21, v6
; %bb.1876:
	s_andn2_saveexec_b64 s[4:5], s[4:5]
; %bb.1877:
	s_mov_b32 s6, 0x43000000
	v_add_f32_e64 v6, |v3|, s6
; %bb.1878:
	s_or_b64 exec, exec, s[4:5]
                                        ; implicit-def: $vgpr7
.LBB72_1879:
	s_andn2_saveexec_b64 s[2:3], s[2:3]
; %bb.1880:
	s_mov_b32 s4, 0x7f800000
	v_mov_b32_e32 v6, 0x7c
	v_mov_b32_e32 v8, 0x7f
	v_cmp_lt_u32_e32 vcc, s4, v7
	s_nop 1
	v_cndmask_b32_e32 v6, v6, v8, vcc
; %bb.1881:
	s_or_b64 exec, exec, s[2:3]
	v_lshrrev_b32_e32 v3, 24, v3
	s_movk_i32 s2, 0x80
	v_and_or_b32 v3, v3, s2, v6
	global_store_byte v[0:1], v3, off
.LBB72_1882:
	s_mov_b64 s[2:3], 0
	s_mov_b64 s[4:5], -1
.LBB72_1883:
	s_andn2_b64 vcc, exec, s[2:3]
	s_mov_b64 s[2:3], 0
	s_cbranch_vccnz .LBB72_1890
; %bb.1884:
	s_cmp_gt_i32 s10, 14
	s_mov_b64 s[6:7], -1
	s_cbranch_scc0 .LBB72_1888
; %bb.1885:
	s_cmp_eq_u32 s10, 15
	s_mov_b64 s[0:1], -1
	s_cbranch_scc0 .LBB72_1887
; %bb.1886:
	v_cvt_f32_f16_e32 v3, v4
	s_movk_i32 s0, 0x7fff
	v_cmp_o_f16_e32 vcc, v4, v4
	v_mov_b32_e32 v6, 0x7fc0
	v_bfe_u32 v7, v3, 16, 1
	v_add3_u32 v3, v3, v7, s0
	v_cndmask_b32_sdwa v3, v6, v3, vcc dst_sel:DWORD dst_unused:UNUSED_PAD src0_sel:DWORD src1_sel:WORD_1
	global_store_short v[0:1], v3, off
	s_mov_b64 s[0:1], 0
	s_mov_b64 s[4:5], -1
.LBB72_1887:
	s_mov_b64 s[6:7], 0
.LBB72_1888:
	s_and_b64 vcc, exec, s[6:7]
	s_cbranch_vccz .LBB72_1890
; %bb.1889:
	s_cmp_lg_u32 s10, 11
	s_mov_b64 s[2:3], -1
	s_cselect_b64 s[0:1], -1, 0
.LBB72_1890:
	s_and_b64 vcc, exec, s[0:1]
	s_cbranch_vccnz .LBB72_2070
; %bb.1891:
	s_andn2_b64 vcc, exec, s[2:3]
	s_cbranch_vccnz .LBB72_1893
.LBB72_1892:
	v_and_b32_e32 v3, 0x7fff7fff, v5
	v_cmp_ne_u32_e32 vcc, 0, v3
	s_mov_b64 s[4:5], -1
	s_nop 0
	v_cndmask_b32_e64 v3, 0, 1, vcc
	global_store_byte v[0:1], v3, off
.LBB72_1893:
	s_mov_b64 s[0:1], 0
	s_branch .LBB72_1895
.LBB72_1894:
	s_mov_b64 s[0:1], -1
	s_mov_b64 s[4:5], 0
.LBB72_1895:
	s_and_b64 vcc, exec, s[0:1]
	s_cbranch_vccz .LBB72_1934
; %bb.1896:
	s_and_b32 s2, 0xffff, s36
	s_cmp_lt_i32 s2, 5
	s_mov_b64 s[0:1], -1
	s_cbranch_scc1 .LBB72_1917
; %bb.1897:
	s_cmp_lt_i32 s2, 8
	s_cbranch_scc1 .LBB72_1907
; %bb.1898:
	s_cmp_lt_i32 s2, 9
	s_cbranch_scc1 .LBB72_1904
; %bb.1899:
	v_cvt_f32_f16_e32 v3, v2
	s_cmp_gt_i32 s2, 9
	s_cbranch_scc0 .LBB72_1901
; %bb.1900:
	v_cvt_f32_f16_e32 v2, v4
	v_cvt_f64_f32_e32 v[8:9], v3
	s_mov_b64 s[0:1], 0
	v_cvt_f64_f32_e32 v[6:7], v2
	global_store_dwordx4 v[0:1], v[6:9], off
.LBB72_1901:
	s_andn2_b64 vcc, exec, s[0:1]
	s_cbranch_vccnz .LBB72_1903
; %bb.1902:
	v_cvt_f32_f16_e32 v2, v4
	global_store_dwordx2 v[0:1], v[2:3], off
.LBB72_1903:
	s_mov_b64 s[0:1], 0
.LBB72_1904:
	s_andn2_b64 vcc, exec, s[0:1]
	s_cbranch_vccnz .LBB72_1906
; %bb.1905:
	global_store_dword v[0:1], v5, off
.LBB72_1906:
	s_mov_b64 s[0:1], 0
.LBB72_1907:
	s_andn2_b64 vcc, exec, s[0:1]
	s_cbranch_vccnz .LBB72_1916
; %bb.1908:
	s_cmp_lt_i32 s2, 6
	s_mov_b64 s[0:1], -1
	s_cbranch_scc1 .LBB72_1914
; %bb.1909:
	s_cmp_gt_i32 s2, 6
	s_cbranch_scc0 .LBB72_1911
; %bb.1910:
	v_cvt_f32_f16_e32 v2, v4
	s_mov_b64 s[0:1], 0
	v_cvt_f64_f32_e32 v[2:3], v2
	global_store_dwordx2 v[0:1], v[2:3], off
.LBB72_1911:
	s_andn2_b64 vcc, exec, s[0:1]
	s_cbranch_vccnz .LBB72_1913
; %bb.1912:
	v_cvt_f32_f16_e32 v2, v4
	global_store_dword v[0:1], v2, off
.LBB72_1913:
	s_mov_b64 s[0:1], 0
.LBB72_1914:
	s_andn2_b64 vcc, exec, s[0:1]
	s_cbranch_vccnz .LBB72_1916
; %bb.1915:
	global_store_short v[0:1], v4, off
.LBB72_1916:
	s_mov_b64 s[0:1], 0
.LBB72_1917:
	s_andn2_b64 vcc, exec, s[0:1]
	s_cbranch_vccnz .LBB72_1933
; %bb.1918:
	s_cmp_lt_i32 s2, 2
	s_mov_b64 s[0:1], -1
	s_cbranch_scc1 .LBB72_1928
; %bb.1919:
	s_cmp_lt_i32 s2, 3
	s_cbranch_scc1 .LBB72_1925
; %bb.1920:
	s_cmp_gt_i32 s2, 3
	s_cbranch_scc0 .LBB72_1922
; %bb.1921:
	v_cvt_f32_f16_e32 v2, v4
	s_mov_b64 s[0:1], 0
	v_cvt_i32_f32_e32 v2, v2
	v_ashrrev_i32_e32 v3, 31, v2
	global_store_dwordx2 v[0:1], v[2:3], off
.LBB72_1922:
	s_andn2_b64 vcc, exec, s[0:1]
	s_cbranch_vccnz .LBB72_1924
; %bb.1923:
	v_cvt_f32_f16_e32 v2, v4
	v_cvt_i32_f32_e32 v2, v2
	global_store_dword v[0:1], v2, off
.LBB72_1924:
	s_mov_b64 s[0:1], 0
.LBB72_1925:
	s_andn2_b64 vcc, exec, s[0:1]
	s_cbranch_vccnz .LBB72_1927
; %bb.1926:
	v_cvt_i16_f16_e32 v2, v4
	global_store_short v[0:1], v2, off
.LBB72_1927:
	s_mov_b64 s[0:1], 0
.LBB72_1928:
	s_andn2_b64 vcc, exec, s[0:1]
	s_cbranch_vccnz .LBB72_1933
; %bb.1929:
	s_cmp_gt_i32 s2, 0
	s_mov_b64 s[0:1], -1
	s_cbranch_scc0 .LBB72_1931
; %bb.1930:
	v_cvt_i16_f16_e32 v2, v4
	global_store_byte v[0:1], v2, off
	s_mov_b64 s[0:1], 0
.LBB72_1931:
	s_andn2_b64 vcc, exec, s[0:1]
	s_cbranch_vccnz .LBB72_1933
; %bb.1932:
	v_cvt_f32_f16_e32 v2, v4
	v_cvt_i32_f32_e32 v2, v2
	global_store_byte v[0:1], v2, off
.LBB72_1933:
	s_mov_b64 s[4:5], -1
.LBB72_1934:
	s_andn2_b64 vcc, exec, s[4:5]
	s_cbranch_vccnz .LBB72_2011
; %bb.1935:
	v_cvt_f32_f16_e32 v0, v27
	v_cvt_f32_f16_e32 v1, v29
	s_getpc_b64 s[0:1]
	s_add_u32 s0, s0, _ZN16c10_complex_math3expIfEEN3c107complexIT_EERKS4_@rel32@lo+4
	s_addc_u32 s1, s1, _ZN16c10_complex_math3expIfEEN3c107complexIT_EERKS4_@rel32@hi+12
	s_swappc_b64 s[30:31], s[0:1]
	v_cvt_f16_f32_e32 v2, v1
	v_cvt_f16_f32_e32 v4, v0
	v_add_u32_e32 v0, s18, v22
	v_ashrrev_i32_e32 v1, 31, v0
	v_lshlrev_b32_e32 v3, 16, v2
	s_cmp_lt_i32 s36, 11
	v_lshl_add_u64 v[0:1], s[20:21], 0, v[0:1]
	s_cbranch_scc1 .LBB72_2056
; %bb.1936:
	s_and_b32 s10, 0xffff, s36
	s_mov_b64 s[4:5], -1
	s_mov_b64 s[2:3], 0
	s_cmp_gt_i32 s10, 25
	s_mov_b64 s[0:1], 0
	s_cbranch_scc0 .LBB72_1969
; %bb.1937:
	s_cmp_gt_i32 s10, 28
	s_cbranch_scc0 .LBB72_1953
; %bb.1938:
	s_cmp_gt_i32 s10, 43
	s_cbranch_scc0 .LBB72_1949
; %bb.1939:
	s_cmp_gt_i32 s10, 45
	s_cbranch_scc0 .LBB72_1943
; %bb.1940:
	s_cmp_eq_u32 s10, 46
	s_mov_b64 s[0:1], -1
	s_cbranch_scc0 .LBB72_1942
; %bb.1941:
	v_cvt_f32_f16_e32 v6, v2
	v_cvt_f32_f16_e32 v5, v4
	s_movk_i32 s0, 0x7fff
	v_cmp_o_f16_e32 vcc, v2, v2
	v_bfe_u32 v8, v6, 16, 1
	v_bfe_u32 v7, v5, 16, 1
	v_add3_u32 v6, v6, v8, s0
	v_add3_u32 v5, v5, v7, s0
	v_and_b32_e32 v6, 0xffff0000, v6
	v_mov_b32_e32 v7, 0x7fc00000
	v_cndmask_b32_e32 v6, v7, v6, vcc
	v_cmp_o_f16_e32 vcc, v4, v4
	v_mov_b32_e32 v7, 0x7fc0
	s_mov_b64 s[0:1], 0
	v_cndmask_b32_sdwa v5, v7, v5, vcc dst_sel:DWORD dst_unused:UNUSED_PAD src0_sel:DWORD src1_sel:WORD_1
	v_or_b32_e32 v5, v6, v5
	global_store_dword v[0:1], v5, off
.LBB72_1942:
	s_mov_b64 s[4:5], 0
.LBB72_1943:
	s_and_b64 vcc, exec, s[4:5]
	s_cbranch_vccz .LBB72_1948
; %bb.1944:
	s_cmp_eq_u32 s10, 44
	s_mov_b64 s[0:1], -1
	s_cbranch_scc0 .LBB72_1948
; %bb.1945:
	v_cvt_f32_f16_e32 v5, v4
	s_movk_i32 s0, 0xff
	v_mov_b32_e32 v7, 0xff
	v_bfe_u32 v6, v5, 23, 8
	v_cmp_ne_u32_e32 vcc, s0, v6
	s_and_saveexec_b64 s[4:5], vcc
; %bb.1946:
	s_mov_b32 s0, 0x3fffff
	v_lshrrev_b32_e32 v7, 23, v5
	v_and_b32_e32 v8, 0x400000, v5
	v_and_or_b32 v5, v5, s0, v6
	v_cmp_ne_u32_e32 vcc, 0, v8
	v_cmp_ne_u32_e64 s[0:1], 0, v5
	s_and_b64 s[0:1], vcc, s[0:1]
	s_nop 0
	v_cndmask_b32_e64 v5, 0, 1, s[0:1]
	v_add_u32_e32 v7, v7, v5
; %bb.1947:
	s_or_b64 exec, exec, s[4:5]
	s_mov_b64 s[0:1], 0
	global_store_byte v[0:1], v7, off
.LBB72_1948:
	s_mov_b64 s[4:5], 0
.LBB72_1949:
	s_and_b64 vcc, exec, s[4:5]
	s_cbranch_vccz .LBB72_1952
; %bb.1950:
	s_cmp_eq_u32 s10, 29
	s_mov_b64 s[0:1], -1
	s_cbranch_scc0 .LBB72_1952
; %bb.1951:
	v_cvt_f32_f16_e32 v5, v4
	v_mov_b32_e32 v7, 0
	s_mov_b64 s[0:1], 0
	v_cvt_u32_f32_e32 v6, v5
	global_store_dwordx2 v[0:1], v[6:7], off
.LBB72_1952:
	s_mov_b64 s[4:5], 0
.LBB72_1953:
	s_and_b64 vcc, exec, s[4:5]
	s_cbranch_vccz .LBB72_1968
; %bb.1954:
	s_cmp_lt_i32 s10, 27
	s_mov_b64 s[4:5], -1
	s_cbranch_scc1 .LBB72_1960
; %bb.1955:
	s_cmp_gt_i32 s10, 27
	s_cbranch_scc0 .LBB72_1957
; %bb.1956:
	v_cvt_f32_f16_e32 v5, v4
	s_mov_b64 s[4:5], 0
	v_cvt_u32_f32_e32 v5, v5
	global_store_dword v[0:1], v5, off
.LBB72_1957:
	s_andn2_b64 vcc, exec, s[4:5]
	s_cbranch_vccnz .LBB72_1959
; %bb.1958:
	v_cvt_u16_f16_e32 v5, v4
	global_store_short v[0:1], v5, off
.LBB72_1959:
	s_mov_b64 s[4:5], 0
.LBB72_1960:
	s_andn2_b64 vcc, exec, s[4:5]
	s_cbranch_vccnz .LBB72_1968
; %bb.1961:
	v_cvt_f32_f16_e32 v5, v4
	s_mov_b32 s4, 0x43800000
	v_mov_b32_e32 v7, 0x80
	v_and_b32_e32 v6, 0x7fffffff, v5
	v_cmp_gt_u32_e32 vcc, s4, v6
	s_and_saveexec_b64 s[4:5], vcc
	s_cbranch_execz .LBB72_1967
; %bb.1962:
	s_mov_b32 s6, 0x3bffffff
	v_cmp_lt_u32_e32 vcc, s6, v6
	s_mov_b64 s[6:7], 0
                                        ; implicit-def: $vgpr6
	s_and_saveexec_b64 s[8:9], vcc
	s_xor_b64 s[8:9], exec, s[8:9]
	s_cbranch_execz .LBB72_2073
; %bb.1963:
	v_bfe_u32 v6, v5, 20, 1
	s_mov_b32 s11, 0x487ffff
	v_add3_u32 v6, v5, v6, s11
	s_mov_b64 s[6:7], exec
	v_lshrrev_b32_e32 v6, 20, v6
	s_andn2_saveexec_b64 s[8:9], s[8:9]
	s_cbranch_execnz .LBB72_2074
.LBB72_1964:
	s_or_b64 exec, exec, s[8:9]
	v_mov_b32_e32 v7, 0
	s_and_saveexec_b64 s[8:9], s[6:7]
.LBB72_1965:
	v_lshrrev_b32_e32 v5, 24, v5
	s_movk_i32 s6, 0x80
	v_and_or_b32 v7, v5, s6, v6
.LBB72_1966:
	s_or_b64 exec, exec, s[8:9]
.LBB72_1967:
	s_or_b64 exec, exec, s[4:5]
	global_store_byte v[0:1], v7, off
.LBB72_1968:
	s_mov_b64 s[4:5], 0
.LBB72_1969:
	s_and_b64 vcc, exec, s[4:5]
	s_cbranch_vccz .LBB72_2009
; %bb.1970:
	s_cmp_gt_i32 s10, 22
	s_mov_b64 s[2:3], -1
	s_cbranch_scc0 .LBB72_2002
; %bb.1971:
	s_cmp_lt_i32 s10, 24
	s_cbranch_scc1 .LBB72_1991
; %bb.1972:
	s_cmp_gt_i32 s10, 24
	s_cbranch_scc0 .LBB72_1980
; %bb.1973:
	v_cvt_f32_f16_e32 v5, v4
	s_mov_b32 s2, 0x47800000
	v_mov_b32_e32 v7, 0x80
	v_and_b32_e32 v6, 0x7fffffff, v5
	v_cmp_gt_u32_e32 vcc, s2, v6
	s_and_saveexec_b64 s[2:3], vcc
	s_cbranch_execz .LBB72_1979
; %bb.1974:
	s_mov_b32 s4, 0x37ffffff
	v_cmp_lt_u32_e32 vcc, s4, v6
	s_mov_b64 s[4:5], 0
                                        ; implicit-def: $vgpr6
	s_and_saveexec_b64 s[6:7], vcc
	s_xor_b64 s[6:7], exec, s[6:7]
	s_cbranch_execz .LBB72_2076
; %bb.1975:
	v_bfe_u32 v6, v5, 21, 1
	s_mov_b32 s8, 0x88fffff
	v_add3_u32 v6, v5, v6, s8
	s_mov_b64 s[4:5], exec
	v_lshrrev_b32_e32 v6, 21, v6
	s_andn2_saveexec_b64 s[6:7], s[6:7]
	s_cbranch_execnz .LBB72_2077
.LBB72_1976:
	s_or_b64 exec, exec, s[6:7]
	v_mov_b32_e32 v7, 0
	s_and_saveexec_b64 s[6:7], s[4:5]
.LBB72_1977:
	v_lshrrev_b32_e32 v5, 24, v5
	s_movk_i32 s4, 0x80
	v_and_or_b32 v7, v5, s4, v6
.LBB72_1978:
	s_or_b64 exec, exec, s[6:7]
.LBB72_1979:
	s_or_b64 exec, exec, s[2:3]
	s_mov_b64 s[2:3], 0
	global_store_byte v[0:1], v7, off
.LBB72_1980:
	s_and_b64 vcc, exec, s[2:3]
	s_cbranch_vccz .LBB72_1990
; %bb.1981:
	v_cvt_f32_f16_e32 v5, v4
	s_mov_b32 s2, 0x43f00000
                                        ; implicit-def: $vgpr6
	v_and_b32_e32 v7, 0x7fffffff, v5
	v_cmp_gt_u32_e32 vcc, s2, v7
	s_and_saveexec_b64 s[2:3], vcc
	s_xor_b64 s[2:3], exec, s[2:3]
	s_cbranch_execz .LBB72_1987
; %bb.1982:
	s_mov_b32 s4, 0x3c7fffff
	v_cmp_lt_u32_e32 vcc, s4, v7
                                        ; implicit-def: $vgpr6
	s_and_saveexec_b64 s[4:5], vcc
	s_xor_b64 s[4:5], exec, s[4:5]
; %bb.1983:
	v_bfe_u32 v6, v5, 20, 1
	s_mov_b32 s6, 0x407ffff
	v_add3_u32 v6, v5, v6, s6
	v_lshrrev_b32_e32 v7, 20, v6
	v_and_b32_e32 v6, 0xff00000, v6
	s_mov_b32 s6, 0x7f00000
	v_mov_b32_e32 v8, 0x7e
	v_cmp_ne_u32_e32 vcc, s6, v6
	s_nop 1
	v_cndmask_b32_e32 v6, v8, v7, vcc
; %bb.1984:
	s_andn2_saveexec_b64 s[4:5], s[4:5]
; %bb.1985:
	s_mov_b32 s6, 0x46800000
	v_add_f32_e64 v6, |v5|, s6
; %bb.1986:
	s_or_b64 exec, exec, s[4:5]
                                        ; implicit-def: $vgpr7
.LBB72_1987:
	s_andn2_saveexec_b64 s[2:3], s[2:3]
; %bb.1988:
	s_mov_b32 s4, 0x7f800000
	v_mov_b32_e32 v6, 0x7e
	v_mov_b32_e32 v8, 0x7f
	v_cmp_lt_u32_e32 vcc, s4, v7
	s_nop 1
	v_cndmask_b32_e32 v6, v6, v8, vcc
; %bb.1989:
	s_or_b64 exec, exec, s[2:3]
	v_lshrrev_b32_e32 v5, 24, v5
	s_movk_i32 s2, 0x80
	v_and_or_b32 v5, v5, s2, v6
	global_store_byte v[0:1], v5, off
.LBB72_1990:
	s_mov_b64 s[2:3], 0
.LBB72_1991:
	s_andn2_b64 vcc, exec, s[2:3]
	s_cbranch_vccnz .LBB72_2001
; %bb.1992:
	v_cvt_f32_f16_e32 v5, v4
	s_mov_b32 s2, 0x47800000
                                        ; implicit-def: $vgpr6
	v_and_b32_e32 v7, 0x7fffffff, v5
	v_cmp_gt_u32_e32 vcc, s2, v7
	s_and_saveexec_b64 s[2:3], vcc
	s_xor_b64 s[2:3], exec, s[2:3]
	s_cbranch_execz .LBB72_1998
; %bb.1993:
	s_mov_b32 s4, 0x387fffff
	v_cmp_lt_u32_e32 vcc, s4, v7
                                        ; implicit-def: $vgpr6
	s_and_saveexec_b64 s[4:5], vcc
	s_xor_b64 s[4:5], exec, s[4:5]
; %bb.1994:
	v_bfe_u32 v6, v5, 21, 1
	s_mov_b32 s6, 0x80fffff
	v_add3_u32 v6, v5, v6, s6
	v_lshrrev_b32_e32 v6, 21, v6
; %bb.1995:
	s_andn2_saveexec_b64 s[4:5], s[4:5]
; %bb.1996:
	s_mov_b32 s6, 0x43000000
	v_add_f32_e64 v6, |v5|, s6
; %bb.1997:
	s_or_b64 exec, exec, s[4:5]
                                        ; implicit-def: $vgpr7
.LBB72_1998:
	s_andn2_saveexec_b64 s[2:3], s[2:3]
; %bb.1999:
	s_mov_b32 s4, 0x7f800000
	v_mov_b32_e32 v6, 0x7c
	v_mov_b32_e32 v8, 0x7f
	v_cmp_lt_u32_e32 vcc, s4, v7
	s_nop 1
	v_cndmask_b32_e32 v6, v6, v8, vcc
; %bb.2000:
	s_or_b64 exec, exec, s[2:3]
	v_lshrrev_b32_e32 v5, 24, v5
	s_movk_i32 s2, 0x80
	v_and_or_b32 v5, v5, s2, v6
	global_store_byte v[0:1], v5, off
.LBB72_2001:
	s_mov_b64 s[2:3], 0
.LBB72_2002:
	s_andn2_b64 vcc, exec, s[2:3]
	s_mov_b64 s[2:3], 0
	s_cbranch_vccnz .LBB72_2009
; %bb.2003:
	s_cmp_gt_i32 s10, 14
	s_mov_b64 s[4:5], -1
	s_cbranch_scc0 .LBB72_2007
; %bb.2004:
	s_cmp_eq_u32 s10, 15
	s_mov_b64 s[0:1], -1
	s_cbranch_scc0 .LBB72_2006
; %bb.2005:
	v_cvt_f32_f16_e32 v5, v4
	s_movk_i32 s0, 0x7fff
	v_cmp_o_f16_e32 vcc, v4, v4
	v_mov_b32_e32 v6, 0x7fc0
	v_bfe_u32 v7, v5, 16, 1
	v_add3_u32 v5, v5, v7, s0
	v_cndmask_b32_sdwa v5, v6, v5, vcc dst_sel:DWORD dst_unused:UNUSED_PAD src0_sel:DWORD src1_sel:WORD_1
	global_store_short v[0:1], v5, off
	s_mov_b64 s[0:1], 0
.LBB72_2006:
	s_mov_b64 s[4:5], 0
.LBB72_2007:
	s_and_b64 vcc, exec, s[4:5]
	s_cbranch_vccz .LBB72_2009
; %bb.2008:
	s_cmp_lg_u32 s10, 11
	s_mov_b64 s[2:3], -1
	s_cselect_b64 s[0:1], -1, 0
.LBB72_2009:
	s_and_b64 vcc, exec, s[0:1]
	s_cbranch_vccnz .LBB72_2075
.LBB72_2010:
	s_mov_b64 s[0:1], 0
	s_branch .LBB72_2057
.LBB72_2011:
	s_mov_b64 s[0:1], 0
	s_mov_b64 s[2:3], 0
                                        ; implicit-def: $sgpr36
                                        ; implicit-def: $vgpr0_vgpr1
                                        ; implicit-def: $vgpr5
                                        ; implicit-def: $vgpr2
                                        ; implicit-def: $vgpr4
.LBB72_2012:
	s_and_b64 s[24:25], s[2:3], exec
	s_andn2_b64 s[2:3], s[28:29], exec
	s_and_b64 s[4:5], s[34:35], exec
	s_and_b64 s[0:1], s[0:1], exec
	s_or_b64 s[28:29], s[2:3], s[4:5]
.LBB72_2013:
	s_or_b64 exec, exec, s[26:27]
	s_and_saveexec_b64 s[2:3], s[28:29]
	s_cbranch_execz .LBB72_2016
; %bb.2014:
	; divergent unreachable
	s_or_b64 exec, exec, s[2:3]
	s_and_saveexec_b64 s[2:3], s[24:25]
	s_xor_b64 s[2:3], exec, s[2:3]
	s_cbranch_execnz .LBB72_2017
.LBB72_2015:
	s_or_b64 exec, exec, s[2:3]
	s_and_saveexec_b64 s[2:3], s[0:1]
	s_cbranch_execnz .LBB72_2018
	s_branch .LBB72_2055
.LBB72_2016:
	s_or_b64 exec, exec, s[2:3]
	s_and_saveexec_b64 s[2:3], s[24:25]
	s_xor_b64 s[2:3], exec, s[2:3]
	s_cbranch_execz .LBB72_2015
.LBB72_2017:
	v_and_b32_e32 v3, 0x7fff7fff, v5
	v_cmp_ne_u32_e32 vcc, 0, v3
	s_nop 1
	v_cndmask_b32_e64 v3, 0, 1, vcc
	global_store_byte v[0:1], v3, off
	s_or_b64 exec, exec, s[2:3]
	s_and_saveexec_b64 s[2:3], s[0:1]
	s_cbranch_execz .LBB72_2055
.LBB72_2018:
	s_sext_i32_i16 s2, s36
	s_cmp_lt_i32 s2, 5
	s_mov_b64 s[0:1], -1
	s_cbranch_scc1 .LBB72_2039
; %bb.2019:
	s_cmp_lt_i32 s2, 8
	s_cbranch_scc1 .LBB72_2029
; %bb.2020:
	s_cmp_lt_i32 s2, 9
	s_cbranch_scc1 .LBB72_2026
; %bb.2021:
	s_waitcnt vmcnt(0)
	v_cvt_f32_f16_e32 v3, v2
	s_cmp_gt_i32 s2, 9
	s_cbranch_scc0 .LBB72_2023
; %bb.2022:
	v_cvt_f32_f16_e32 v2, v4
	v_cvt_f64_f32_e32 v[8:9], v3
	s_mov_b64 s[0:1], 0
	v_cvt_f64_f32_e32 v[6:7], v2
	global_store_dwordx4 v[0:1], v[6:9], off
.LBB72_2023:
	s_andn2_b64 vcc, exec, s[0:1]
	s_cbranch_vccnz .LBB72_2025
; %bb.2024:
	v_cvt_f32_f16_e32 v2, v4
	global_store_dwordx2 v[0:1], v[2:3], off
.LBB72_2025:
	s_mov_b64 s[0:1], 0
.LBB72_2026:
	s_andn2_b64 vcc, exec, s[0:1]
	s_cbranch_vccnz .LBB72_2028
; %bb.2027:
	global_store_dword v[0:1], v5, off
.LBB72_2028:
	s_mov_b64 s[0:1], 0
.LBB72_2029:
	s_andn2_b64 vcc, exec, s[0:1]
	s_cbranch_vccnz .LBB72_2038
; %bb.2030:
	s_sext_i32_i16 s2, s36
	s_cmp_lt_i32 s2, 6
	s_mov_b64 s[0:1], -1
	s_cbranch_scc1 .LBB72_2036
; %bb.2031:
	s_cmp_gt_i32 s2, 6
	s_cbranch_scc0 .LBB72_2033
; %bb.2032:
	s_waitcnt vmcnt(0)
	v_cvt_f32_f16_e32 v2, v4
	s_mov_b64 s[0:1], 0
	v_cvt_f64_f32_e32 v[2:3], v2
	global_store_dwordx2 v[0:1], v[2:3], off
.LBB72_2033:
	s_andn2_b64 vcc, exec, s[0:1]
	s_cbranch_vccnz .LBB72_2035
; %bb.2034:
	s_waitcnt vmcnt(0)
	v_cvt_f32_f16_e32 v2, v4
	global_store_dword v[0:1], v2, off
.LBB72_2035:
	s_mov_b64 s[0:1], 0
.LBB72_2036:
	s_andn2_b64 vcc, exec, s[0:1]
	s_cbranch_vccnz .LBB72_2038
; %bb.2037:
	s_waitcnt vmcnt(0)
	global_store_short v[0:1], v4, off
.LBB72_2038:
	s_mov_b64 s[0:1], 0
.LBB72_2039:
	s_andn2_b64 vcc, exec, s[0:1]
	s_cbranch_vccnz .LBB72_2055
; %bb.2040:
	s_sext_i32_i16 s2, s36
	s_cmp_lt_i32 s2, 2
	s_mov_b64 s[0:1], -1
	s_cbranch_scc1 .LBB72_2050
; %bb.2041:
	s_cmp_lt_i32 s2, 3
	s_cbranch_scc1 .LBB72_2047
; %bb.2042:
	s_cmp_gt_i32 s2, 3
	s_cbranch_scc0 .LBB72_2044
; %bb.2043:
	s_waitcnt vmcnt(0)
	v_cvt_f32_f16_e32 v2, v4
	s_mov_b64 s[0:1], 0
	v_cvt_i32_f32_e32 v2, v2
	v_ashrrev_i32_e32 v3, 31, v2
	global_store_dwordx2 v[0:1], v[2:3], off
.LBB72_2044:
	s_andn2_b64 vcc, exec, s[0:1]
	s_cbranch_vccnz .LBB72_2046
; %bb.2045:
	s_waitcnt vmcnt(0)
	v_cvt_f32_f16_e32 v2, v4
	v_cvt_i32_f32_e32 v2, v2
	global_store_dword v[0:1], v2, off
.LBB72_2046:
	s_mov_b64 s[0:1], 0
.LBB72_2047:
	s_andn2_b64 vcc, exec, s[0:1]
	s_cbranch_vccnz .LBB72_2049
; %bb.2048:
	s_waitcnt vmcnt(0)
	v_cvt_i16_f16_e32 v2, v4
	global_store_short v[0:1], v2, off
.LBB72_2049:
	s_mov_b64 s[0:1], 0
.LBB72_2050:
	s_andn2_b64 vcc, exec, s[0:1]
	s_cbranch_vccnz .LBB72_2055
; %bb.2051:
	s_sext_i32_i16 s0, s36
	s_cmp_gt_i32 s0, 0
	s_mov_b64 s[0:1], -1
	s_cbranch_scc0 .LBB72_2053
; %bb.2052:
	s_waitcnt vmcnt(0)
	v_cvt_i16_f16_e32 v2, v4
	global_store_byte v[0:1], v2, off
	s_mov_b64 s[0:1], 0
.LBB72_2053:
	s_andn2_b64 vcc, exec, s[0:1]
	s_cbranch_vccnz .LBB72_2055
; %bb.2054:
	s_waitcnt vmcnt(0)
	v_cvt_f32_f16_e32 v2, v4
	v_cvt_i32_f32_e32 v2, v2
	global_store_byte v[0:1], v2, off
	s_endpgm
.LBB72_2055:
	s_endpgm
.LBB72_2056:
	s_mov_b64 s[2:3], 0
	s_mov_b64 s[0:1], -1
.LBB72_2057:
	v_or_b32_e32 v5, v3, v4
	s_branch .LBB72_2012
.LBB72_2058:
	s_andn2_saveexec_b64 s[8:9], s[8:9]
	s_cbranch_execz .LBB72_1606
.LBB72_2059:
	s_mov_b32 s11, 0x46000000
	v_add_f32_e64 v6, |v3|, s11
	v_and_b32_e32 v6, 0xff, v6
	v_cmp_ne_u32_e32 vcc, 0, v6
	s_andn2_b64 s[6:7], s[6:7], exec
	s_and_b64 s[12:13], vcc, exec
	s_or_b64 s[6:7], s[6:7], s[12:13]
	s_or_b64 exec, exec, s[8:9]
	v_mov_b32_e32 v7, 0
	s_and_saveexec_b64 s[8:9], s[6:7]
	s_cbranch_execnz .LBB72_1607
	s_branch .LBB72_1608
.LBB72_2060:
	s_trap 2
	s_or_b64 s[34:35], s[34:35], exec
	s_cbranch_execz .LBB72_1654
	s_branch .LBB72_1655
.LBB72_2061:
	s_andn2_saveexec_b64 s[6:7], s[6:7]
	s_cbranch_execz .LBB72_1619
.LBB72_2062:
	s_mov_b32 s8, 0x42800000
	v_add_f32_e64 v6, |v3|, s8
	v_and_b32_e32 v6, 0xff, v6
	v_cmp_ne_u32_e32 vcc, 0, v6
	s_andn2_b64 s[4:5], s[4:5], exec
	s_and_b64 s[8:9], vcc, exec
	s_or_b64 s[4:5], s[4:5], s[8:9]
	s_or_b64 exec, exec, s[6:7]
	v_mov_b32_e32 v7, 0
	s_and_saveexec_b64 s[6:7], s[4:5]
	s_cbranch_execnz .LBB72_1620
	s_branch .LBB72_1621
.LBB72_2063:
	s_andn2_saveexec_b64 s[8:9], s[8:9]
	s_cbranch_execz .LBB72_1725
.LBB72_2064:
	s_mov_b32 s11, 0x46000000
	v_add_f32_e64 v6, |v3|, s11
	v_and_b32_e32 v6, 0xff, v6
	v_cmp_ne_u32_e32 vcc, 0, v6
	s_andn2_b64 s[6:7], s[6:7], exec
	s_and_b64 s[12:13], vcc, exec
	s_or_b64 s[6:7], s[6:7], s[12:13]
	s_or_b64 exec, exec, s[8:9]
	v_mov_b32_e32 v7, 0
	s_and_saveexec_b64 s[8:9], s[6:7]
	s_cbranch_execnz .LBB72_1726
	s_branch .LBB72_1727
.LBB72_2065:
	s_trap 2
	s_or_b64 s[34:35], s[34:35], exec
	s_cbranch_execz .LBB72_1773
	s_branch .LBB72_1774
.LBB72_2066:
	s_andn2_saveexec_b64 s[6:7], s[6:7]
	s_cbranch_execz .LBB72_1738
.LBB72_2067:
	s_mov_b32 s8, 0x42800000
	v_add_f32_e64 v6, |v3|, s8
	v_and_b32_e32 v6, 0xff, v6
	v_cmp_ne_u32_e32 vcc, 0, v6
	s_andn2_b64 s[4:5], s[4:5], exec
	s_and_b64 s[8:9], vcc, exec
	s_or_b64 s[4:5], s[4:5], s[8:9]
	s_or_b64 exec, exec, s[6:7]
	v_mov_b32_e32 v7, 0
	s_and_saveexec_b64 s[6:7], s[4:5]
	s_cbranch_execnz .LBB72_1739
	s_branch .LBB72_1740
.LBB72_2068:
	s_andn2_saveexec_b64 s[8:9], s[8:9]
	s_cbranch_execz .LBB72_1844
.LBB72_2069:
	s_mov_b32 s11, 0x46000000
	v_add_f32_e64 v6, |v3|, s11
	v_and_b32_e32 v6, 0xff, v6
	v_cmp_ne_u32_e32 vcc, 0, v6
	s_andn2_b64 s[6:7], s[6:7], exec
	s_and_b64 s[12:13], vcc, exec
	s_or_b64 s[6:7], s[6:7], s[12:13]
	s_or_b64 exec, exec, s[8:9]
	v_mov_b32_e32 v7, 0
	s_and_saveexec_b64 s[8:9], s[6:7]
	s_cbranch_execnz .LBB72_1845
	s_branch .LBB72_1846
.LBB72_2070:
	s_trap 2
	s_or_b64 s[34:35], s[34:35], exec
	s_cbranch_execz .LBB72_1892
	s_branch .LBB72_1893
.LBB72_2071:
	s_andn2_saveexec_b64 s[6:7], s[6:7]
	s_cbranch_execz .LBB72_1857
.LBB72_2072:
	s_mov_b32 s8, 0x42800000
	v_add_f32_e64 v6, |v3|, s8
	v_and_b32_e32 v6, 0xff, v6
	v_cmp_ne_u32_e32 vcc, 0, v6
	s_andn2_b64 s[4:5], s[4:5], exec
	s_and_b64 s[8:9], vcc, exec
	s_or_b64 s[4:5], s[4:5], s[8:9]
	s_or_b64 exec, exec, s[6:7]
	v_mov_b32_e32 v7, 0
	s_and_saveexec_b64 s[6:7], s[4:5]
	s_cbranch_execnz .LBB72_1858
	s_branch .LBB72_1859
.LBB72_2073:
	s_andn2_saveexec_b64 s[8:9], s[8:9]
	s_cbranch_execz .LBB72_1964
.LBB72_2074:
	s_mov_b32 s11, 0x46000000
	v_add_f32_e64 v6, |v5|, s11
	v_and_b32_e32 v6, 0xff, v6
	v_cmp_ne_u32_e32 vcc, 0, v6
	s_andn2_b64 s[6:7], s[6:7], exec
	s_and_b64 s[12:13], vcc, exec
	s_or_b64 s[6:7], s[6:7], s[12:13]
	s_or_b64 exec, exec, s[8:9]
	v_mov_b32_e32 v7, 0
	s_and_saveexec_b64 s[8:9], s[6:7]
	s_cbranch_execnz .LBB72_1965
	s_branch .LBB72_1966
.LBB72_2075:
	s_mov_b64 s[2:3], 0
	s_or_b64 s[34:35], s[34:35], exec
	s_trap 2
	s_branch .LBB72_2010
.LBB72_2076:
	s_andn2_saveexec_b64 s[6:7], s[6:7]
	s_cbranch_execz .LBB72_1976
.LBB72_2077:
	s_mov_b32 s8, 0x42800000
	v_add_f32_e64 v6, |v5|, s8
	v_and_b32_e32 v6, 0xff, v6
	v_cmp_ne_u32_e32 vcc, 0, v6
	s_andn2_b64 s[4:5], s[4:5], exec
	s_and_b64 s[8:9], vcc, exec
	s_or_b64 s[4:5], s[4:5], s[8:9]
	s_or_b64 exec, exec, s[6:7]
	v_mov_b32_e32 v7, 0
	s_and_saveexec_b64 s[6:7], s[4:5]
	s_cbranch_execnz .LBB72_1977
	s_branch .LBB72_1978
	.section	.rodata,"a",@progbits
	.p2align	6, 0x0
	.amdhsa_kernel _ZN2at6native32elementwise_kernel_manual_unrollILi128ELi4EZNS0_15gpu_kernel_implIZZZNS0_15exp_kernel_cudaERNS_18TensorIteratorBaseEENKUlvE_clEvENKUlvE1_clEvEUlN3c107complexINS7_4HalfEEEE_EEvS4_RKT_EUlibE_EEviT1_
		.amdhsa_group_segment_fixed_size 0
		.amdhsa_private_segment_fixed_size 0
		.amdhsa_kernarg_size 40
		.amdhsa_user_sgpr_count 2
		.amdhsa_user_sgpr_dispatch_ptr 0
		.amdhsa_user_sgpr_queue_ptr 0
		.amdhsa_user_sgpr_kernarg_segment_ptr 1
		.amdhsa_user_sgpr_dispatch_id 0
		.amdhsa_user_sgpr_kernarg_preload_length 0
		.amdhsa_user_sgpr_kernarg_preload_offset 0
		.amdhsa_user_sgpr_private_segment_size 0
		.amdhsa_uses_dynamic_stack 0
		.amdhsa_enable_private_segment 0
		.amdhsa_system_sgpr_workgroup_id_x 1
		.amdhsa_system_sgpr_workgroup_id_y 0
		.amdhsa_system_sgpr_workgroup_id_z 0
		.amdhsa_system_sgpr_workgroup_info 0
		.amdhsa_system_vgpr_workitem_id 0
		.amdhsa_next_free_vgpr 30
		.amdhsa_next_free_sgpr 50
		.amdhsa_accum_offset 32
		.amdhsa_reserve_vcc 1
		.amdhsa_float_round_mode_32 0
		.amdhsa_float_round_mode_16_64 0
		.amdhsa_float_denorm_mode_32 3
		.amdhsa_float_denorm_mode_16_64 3
		.amdhsa_dx10_clamp 1
		.amdhsa_ieee_mode 1
		.amdhsa_fp16_overflow 0
		.amdhsa_tg_split 0
		.amdhsa_exception_fp_ieee_invalid_op 0
		.amdhsa_exception_fp_denorm_src 0
		.amdhsa_exception_fp_ieee_div_zero 0
		.amdhsa_exception_fp_ieee_overflow 0
		.amdhsa_exception_fp_ieee_underflow 0
		.amdhsa_exception_fp_ieee_inexact 0
		.amdhsa_exception_int_div_zero 0
	.end_amdhsa_kernel
	.section	.text._ZN2at6native32elementwise_kernel_manual_unrollILi128ELi4EZNS0_15gpu_kernel_implIZZZNS0_15exp_kernel_cudaERNS_18TensorIteratorBaseEENKUlvE_clEvENKUlvE1_clEvEUlN3c107complexINS7_4HalfEEEE_EEvS4_RKT_EUlibE_EEviT1_,"axG",@progbits,_ZN2at6native32elementwise_kernel_manual_unrollILi128ELi4EZNS0_15gpu_kernel_implIZZZNS0_15exp_kernel_cudaERNS_18TensorIteratorBaseEENKUlvE_clEvENKUlvE1_clEvEUlN3c107complexINS7_4HalfEEEE_EEvS4_RKT_EUlibE_EEviT1_,comdat
.Lfunc_end72:
	.size	_ZN2at6native32elementwise_kernel_manual_unrollILi128ELi4EZNS0_15gpu_kernel_implIZZZNS0_15exp_kernel_cudaERNS_18TensorIteratorBaseEENKUlvE_clEvENKUlvE1_clEvEUlN3c107complexINS7_4HalfEEEE_EEvS4_RKT_EUlibE_EEviT1_, .Lfunc_end72-_ZN2at6native32elementwise_kernel_manual_unrollILi128ELi4EZNS0_15gpu_kernel_implIZZZNS0_15exp_kernel_cudaERNS_18TensorIteratorBaseEENKUlvE_clEvENKUlvE1_clEvEUlN3c107complexINS7_4HalfEEEE_EEvS4_RKT_EUlibE_EEviT1_
                                        ; -- End function
	.set _ZN2at6native32elementwise_kernel_manual_unrollILi128ELi4EZNS0_15gpu_kernel_implIZZZNS0_15exp_kernel_cudaERNS_18TensorIteratorBaseEENKUlvE_clEvENKUlvE1_clEvEUlN3c107complexINS7_4HalfEEEE_EEvS4_RKT_EUlibE_EEviT1_.num_vgpr, max(30, .L_ZN16c10_complex_math3expIfEEN3c107complexIT_EERKS4_.num_vgpr)
	.set _ZN2at6native32elementwise_kernel_manual_unrollILi128ELi4EZNS0_15gpu_kernel_implIZZZNS0_15exp_kernel_cudaERNS_18TensorIteratorBaseEENKUlvE_clEvENKUlvE1_clEvEUlN3c107complexINS7_4HalfEEEE_EEvS4_RKT_EUlibE_EEviT1_.num_agpr, max(0, .L_ZN16c10_complex_math3expIfEEN3c107complexIT_EERKS4_.num_agpr)
	.set _ZN2at6native32elementwise_kernel_manual_unrollILi128ELi4EZNS0_15gpu_kernel_implIZZZNS0_15exp_kernel_cudaERNS_18TensorIteratorBaseEENKUlvE_clEvENKUlvE1_clEvEUlN3c107complexINS7_4HalfEEEE_EEvS4_RKT_EUlibE_EEviT1_.numbered_sgpr, max(50, .L_ZN16c10_complex_math3expIfEEN3c107complexIT_EERKS4_.numbered_sgpr)
	.set _ZN2at6native32elementwise_kernel_manual_unrollILi128ELi4EZNS0_15gpu_kernel_implIZZZNS0_15exp_kernel_cudaERNS_18TensorIteratorBaseEENKUlvE_clEvENKUlvE1_clEvEUlN3c107complexINS7_4HalfEEEE_EEvS4_RKT_EUlibE_EEviT1_.num_named_barrier, max(0, .L_ZN16c10_complex_math3expIfEEN3c107complexIT_EERKS4_.num_named_barrier)
	.set _ZN2at6native32elementwise_kernel_manual_unrollILi128ELi4EZNS0_15gpu_kernel_implIZZZNS0_15exp_kernel_cudaERNS_18TensorIteratorBaseEENKUlvE_clEvENKUlvE1_clEvEUlN3c107complexINS7_4HalfEEEE_EEvS4_RKT_EUlibE_EEviT1_.private_seg_size, 0+max(.L_ZN16c10_complex_math3expIfEEN3c107complexIT_EERKS4_.private_seg_size)
	.set _ZN2at6native32elementwise_kernel_manual_unrollILi128ELi4EZNS0_15gpu_kernel_implIZZZNS0_15exp_kernel_cudaERNS_18TensorIteratorBaseEENKUlvE_clEvENKUlvE1_clEvEUlN3c107complexINS7_4HalfEEEE_EEvS4_RKT_EUlibE_EEviT1_.uses_vcc, or(1, .L_ZN16c10_complex_math3expIfEEN3c107complexIT_EERKS4_.uses_vcc)
	.set _ZN2at6native32elementwise_kernel_manual_unrollILi128ELi4EZNS0_15gpu_kernel_implIZZZNS0_15exp_kernel_cudaERNS_18TensorIteratorBaseEENKUlvE_clEvENKUlvE1_clEvEUlN3c107complexINS7_4HalfEEEE_EEvS4_RKT_EUlibE_EEviT1_.uses_flat_scratch, or(0, .L_ZN16c10_complex_math3expIfEEN3c107complexIT_EERKS4_.uses_flat_scratch)
	.set _ZN2at6native32elementwise_kernel_manual_unrollILi128ELi4EZNS0_15gpu_kernel_implIZZZNS0_15exp_kernel_cudaERNS_18TensorIteratorBaseEENKUlvE_clEvENKUlvE1_clEvEUlN3c107complexINS7_4HalfEEEE_EEvS4_RKT_EUlibE_EEviT1_.has_dyn_sized_stack, or(0, .L_ZN16c10_complex_math3expIfEEN3c107complexIT_EERKS4_.has_dyn_sized_stack)
	.set _ZN2at6native32elementwise_kernel_manual_unrollILi128ELi4EZNS0_15gpu_kernel_implIZZZNS0_15exp_kernel_cudaERNS_18TensorIteratorBaseEENKUlvE_clEvENKUlvE1_clEvEUlN3c107complexINS7_4HalfEEEE_EEvS4_RKT_EUlibE_EEviT1_.has_recursion, or(0, .L_ZN16c10_complex_math3expIfEEN3c107complexIT_EERKS4_.has_recursion)
	.set _ZN2at6native32elementwise_kernel_manual_unrollILi128ELi4EZNS0_15gpu_kernel_implIZZZNS0_15exp_kernel_cudaERNS_18TensorIteratorBaseEENKUlvE_clEvENKUlvE1_clEvEUlN3c107complexINS7_4HalfEEEE_EEvS4_RKT_EUlibE_EEviT1_.has_indirect_call, or(0, .L_ZN16c10_complex_math3expIfEEN3c107complexIT_EERKS4_.has_indirect_call)
	.section	.AMDGPU.csdata,"",@progbits
; Kernel info:
; codeLenInByte = 38768
; TotalNumSgprs: 56
; NumVgprs: 30
; NumAgprs: 0
; TotalNumVgprs: 30
; ScratchSize: 0
; MemoryBound: 0
; FloatMode: 240
; IeeeMode: 1
; LDSByteSize: 0 bytes/workgroup (compile time only)
; SGPRBlocks: 6
; VGPRBlocks: 3
; NumSGPRsForWavesPerEU: 56
; NumVGPRsForWavesPerEU: 30
; AccumOffset: 32
; Occupancy: 8
; WaveLimiterHint : 0
; COMPUTE_PGM_RSRC2:SCRATCH_EN: 0
; COMPUTE_PGM_RSRC2:USER_SGPR: 2
; COMPUTE_PGM_RSRC2:TRAP_HANDLER: 0
; COMPUTE_PGM_RSRC2:TGID_X_EN: 1
; COMPUTE_PGM_RSRC2:TGID_Y_EN: 0
; COMPUTE_PGM_RSRC2:TGID_Z_EN: 0
; COMPUTE_PGM_RSRC2:TIDIG_COMP_CNT: 0
; COMPUTE_PGM_RSRC3_GFX90A:ACCUM_OFFSET: 7
; COMPUTE_PGM_RSRC3_GFX90A:TG_SPLIT: 0
	.section	.text._ZN2at6native32elementwise_kernel_manual_unrollILi128ELi4EZNS0_15gpu_kernel_implIZZZNS0_15exp_kernel_cudaERNS_18TensorIteratorBaseEENKUlvE_clEvENKUlvE1_clEvEUlN3c107complexINS7_4HalfEEEE_EEvS4_RKT_EUlibE0_EEviT1_,"axG",@progbits,_ZN2at6native32elementwise_kernel_manual_unrollILi128ELi4EZNS0_15gpu_kernel_implIZZZNS0_15exp_kernel_cudaERNS_18TensorIteratorBaseEENKUlvE_clEvENKUlvE1_clEvEUlN3c107complexINS7_4HalfEEEE_EEvS4_RKT_EUlibE0_EEviT1_,comdat
	.globl	_ZN2at6native32elementwise_kernel_manual_unrollILi128ELi4EZNS0_15gpu_kernel_implIZZZNS0_15exp_kernel_cudaERNS_18TensorIteratorBaseEENKUlvE_clEvENKUlvE1_clEvEUlN3c107complexINS7_4HalfEEEE_EEvS4_RKT_EUlibE0_EEviT1_ ; -- Begin function _ZN2at6native32elementwise_kernel_manual_unrollILi128ELi4EZNS0_15gpu_kernel_implIZZZNS0_15exp_kernel_cudaERNS_18TensorIteratorBaseEENKUlvE_clEvENKUlvE1_clEvEUlN3c107complexINS7_4HalfEEEE_EEvS4_RKT_EUlibE0_EEviT1_
	.p2align	8
	.type	_ZN2at6native32elementwise_kernel_manual_unrollILi128ELi4EZNS0_15gpu_kernel_implIZZZNS0_15exp_kernel_cudaERNS_18TensorIteratorBaseEENKUlvE_clEvENKUlvE1_clEvEUlN3c107complexINS7_4HalfEEEE_EEvS4_RKT_EUlibE0_EEviT1_,@function
_ZN2at6native32elementwise_kernel_manual_unrollILi128ELi4EZNS0_15gpu_kernel_implIZZZNS0_15exp_kernel_cudaERNS_18TensorIteratorBaseEENKUlvE_clEvENKUlvE1_clEvEUlN3c107complexINS7_4HalfEEEE_EEvS4_RKT_EUlibE0_EEviT1_: ; @_ZN2at6native32elementwise_kernel_manual_unrollILi128ELi4EZNS0_15gpu_kernel_implIZZZNS0_15exp_kernel_cudaERNS_18TensorIteratorBaseEENKUlvE_clEvENKUlvE1_clEvEUlN3c107complexINS7_4HalfEEEE_EEvS4_RKT_EUlibE0_EEviT1_
; %bb.0:
	s_load_dword s70, s[0:1], 0x0
	s_load_dword s33, s[0:1], 0x8
	s_mov_b64 s[18:19], s[0:1]
	s_add_u32 s34, s18, 8
	s_addc_u32 s35, s19, 0
	v_lshl_or_b32 v21, s2, 9, v0
	s_waitcnt lgkmcnt(0)
	s_add_i32 s72, s33, -1
	v_or_b32_e32 v8, 0x180, v21
	s_cmp_gt_u32 s72, 1
	v_cmp_le_i32_e32 vcc, s70, v8
	s_cselect_b64 s[42:43], -1, 0
	s_mov_b64 s[40:41], 0
	s_mov_b64 s[28:29], 0
	s_mov_b32 s32, 0
	s_and_saveexec_b64 s[0:1], vcc
	s_xor_b64 s[44:45], exec, s[0:1]
	s_cbranch_execz .LBB73_1109
; %bb.1:
	v_mov_b32_e32 v0, 0
	global_load_ushort v0, v0, s[34:35] offset:345
	s_load_dwordx4 s[36:39], s[34:35], 0x4
	s_load_dwordx2 s[46:47], s[34:35], 0x14
	s_load_dwordx4 s[24:27], s[34:35], 0xc4
	s_load_dwordx4 s[20:23], s[34:35], 0x148
	s_cmp_lg_u32 s33, 0
	s_cselect_b64 s[52:53], -1, 0
	s_add_u32 s50, s34, 0xc4
	s_addc_u32 s51, s35, 0
	s_min_u32 s75, s72, 15
	s_cmp_gt_u32 s33, 1
	s_cselect_b64 s[48:49], -1, 0
	v_cmp_gt_i32_e32 vcc, s70, v21
	s_mov_b64 s[2:3], -1
	s_mov_b64 s[62:63], 0
	s_mov_b64 s[56:57], 0
	;; [unrolled: 1-line block ×3, first 2 shown]
	s_waitcnt vmcnt(0)
	v_readfirstlane_b32 s73, v0
	s_and_b32 s0, 0xffff, s73
	s_lshr_b32 s74, s0, 8
	s_and_saveexec_b64 s[58:59], vcc
	s_cbranch_execz .LBB73_271
; %bb.2:
	s_andn2_b64 vcc, exec, s[42:43]
	s_cbranch_vccnz .LBB73_8
; %bb.3:
	s_andn2_b64 vcc, exec, s[52:53]
	s_cbranch_vccnz .LBB73_9
; %bb.4:
	s_add_i32 s57, s75, 1
	s_cmp_eq_u32 s72, 2
	s_cbranch_scc1 .LBB73_10
; %bb.5:
	s_and_b32 s56, s57, 28
	s_mov_b32 s60, 0
	v_mov_b32_e32 v22, 0
	v_mov_b32_e32 v0, 0
	s_mov_b64 s[16:17], s[34:35]
	s_mov_b64 s[54:55], s[50:51]
	v_mov_b32_e32 v2, v21
.LBB73_6:                               ; =>This Inner Loop Header: Depth=1
	s_load_dwordx8 s[8:15], s[16:17], 0x4
	s_load_dwordx4 s[28:31], s[16:17], 0x24
	s_load_dwordx8 s[0:7], s[54:55], 0x0
	s_add_u32 s16, s16, 48
	s_addc_u32 s17, s17, 0
	s_waitcnt lgkmcnt(0)
	v_mul_hi_u32 v1, s9, v2
	v_add_u32_e32 v1, v2, v1
	v_lshrrev_b32_e32 v1, s10, v1
	v_mul_lo_u32 v3, v1, s8
	v_mul_hi_u32 v4, s12, v1
	v_sub_u32_e32 v2, v2, v3
	v_add_u32_e32 v3, v1, v4
	v_lshrrev_b32_e32 v3, s13, v3
	v_mul_lo_u32 v5, v3, s11
	v_mul_hi_u32 v6, s15, v3
	v_sub_u32_e32 v1, v1, v5
	v_add_u32_e32 v5, v3, v6
	v_mul_lo_u32 v4, v2, s1
	v_mul_lo_u32 v2, v2, s0
	;; [unrolled: 1-line block ×4, first 2 shown]
	v_lshrrev_b32_e32 v5, s28, v5
	v_add3_u32 v1, v2, v22, v1
	v_add3_u32 v0, v4, v0, v6
	v_mul_lo_u32 v2, v5, s14
	v_mul_hi_u32 v4, s30, v5
	v_sub_u32_e32 v2, v3, v2
	v_add_u32_e32 v3, v5, v4
	v_mul_lo_u32 v4, v2, s4
	v_mul_lo_u32 v6, v2, s5
	v_lshrrev_b32_e32 v2, s31, v3
	s_add_i32 s60, s60, 4
	v_mul_lo_u32 v3, v2, s29
	s_add_u32 s54, s54, 32
	v_sub_u32_e32 v3, v5, v3
	s_addc_u32 s55, s55, 0
	v_mul_lo_u32 v5, v3, s6
	v_mul_lo_u32 v3, v3, s7
	s_cmp_lg_u32 s56, s60
	v_add3_u32 v0, v6, v0, v3
	v_add3_u32 v22, v4, v1, v5
	s_cbranch_scc1 .LBB73_6
; %bb.7:
	v_mov_b32_e32 v1, v0
	s_branch .LBB73_11
.LBB73_8:
                                        ; implicit-def: $vgpr0
                                        ; implicit-def: $vgpr22
	s_branch .LBB73_15
.LBB73_9:
	v_mov_b32_e32 v0, 0
	v_mov_b32_e32 v22, 0
	s_branch .LBB73_14
.LBB73_10:
	v_mov_b32_e32 v22, 0
	s_mov_b32 s56, 0
	v_mov_b32_e32 v1, v22
                                        ; implicit-def: $vgpr0
	v_mov_b32_e32 v2, v21
.LBB73_11:
	s_and_b32 s4, s57, 3
	s_cmp_eq_u32 s4, 0
	s_cbranch_scc1 .LBB73_14
; %bb.12:
	s_lshl_b32 s0, s56, 3
	s_add_u32 s0, s34, s0
	s_addc_u32 s1, s35, 0
	s_add_u32 s0, s0, 0xc4
	s_addc_u32 s1, s1, 0
	s_mul_i32 s2, s56, 12
	s_add_u32 s2, s34, s2
	s_addc_u32 s3, s35, 0
.LBB73_13:                              ; =>This Inner Loop Header: Depth=1
	s_load_dwordx2 s[6:7], s[2:3], 0x4
	s_load_dword s5, s[2:3], 0xc
	s_load_dwordx2 s[8:9], s[0:1], 0x0
	v_mov_b32_e32 v0, v1
	s_add_u32 s2, s2, 12
	s_waitcnt lgkmcnt(0)
	v_mul_hi_u32 v1, s7, v2
	v_add_u32_e32 v1, v2, v1
	v_lshrrev_b32_e32 v1, s5, v1
	s_addc_u32 s3, s3, 0
	v_mul_lo_u32 v3, v1, s6
	s_add_u32 s0, s0, 8
	v_sub_u32_e32 v3, v2, v3
	s_addc_u32 s1, s1, 0
	s_add_i32 s4, s4, -1
	v_mov_b32_e32 v2, v1
	v_mad_u64_u32 v[0:1], s[6:7], v3, s9, v[0:1]
	s_cmp_lg_u32 s4, 0
	v_mad_u64_u32 v[22:23], s[6:7], v3, s8, v[22:23]
	v_mov_b32_e32 v1, v0
	s_cbranch_scc1 .LBB73_13
.LBB73_14:
	s_cbranch_execnz .LBB73_17
.LBB73_15:
	s_waitcnt lgkmcnt(0)
	v_mul_hi_u32 v0, s37, v21
	v_add_u32_e32 v0, v21, v0
	v_lshrrev_b32_e32 v1, s38, v0
	v_mul_lo_u32 v0, v1, s36
	v_sub_u32_e32 v2, v21, v0
	v_mul_lo_u32 v0, v2, s25
	s_andn2_b64 vcc, exec, s[48:49]
	v_mul_lo_u32 v22, v2, s24
	s_cbranch_vccnz .LBB73_17
; %bb.16:
	v_mul_hi_u32 v2, s46, v1
	v_add_u32_e32 v2, v1, v2
	v_lshrrev_b32_e32 v2, s47, v2
	v_mul_lo_u32 v2, v2, s39
	v_sub_u32_e32 v1, v1, v2
	v_mad_u64_u32 v[22:23], s[0:1], v1, s26, v[22:23]
	v_mad_u64_u32 v[0:1], s[0:1], v1, s27, v[0:1]
.LBB73_17:
	v_mov_b32_e32 v1, 0
	s_and_b32 s6, 0xffff, s74
	s_cmp_lt_i32 s6, 11
	s_waitcnt lgkmcnt(0)
	v_lshl_add_u64 v[0:1], s[22:23], 0, v[0:1]
	s_cbranch_scc1 .LBB73_24
; %bb.18:
	s_cmp_gt_i32 s6, 25
	s_cbranch_scc0 .LBB73_33
; %bb.19:
	s_cmp_gt_i32 s6, 28
	s_cbranch_scc0 .LBB73_36
	;; [unrolled: 3-line block ×4, first 2 shown]
; %bb.22:
	s_cmp_eq_u32 s6, 46
	s_mov_b64 s[2:3], 0
	s_cbranch_scc0 .LBB73_42
; %bb.23:
	global_load_dword v2, v[0:1], off
	s_mov_b64 s[0:1], -1
	s_mov_b64 s[28:29], 0
	s_waitcnt vmcnt(0)
	v_and_b32_e32 v3, 0xffff0000, v2
	v_lshlrev_b32_e32 v2, 16, v2
	v_cvt_f16_f32_e32 v2, v2
	v_cvt_f16_f32_e32 v3, v3
	s_branch .LBB73_44
.LBB73_24:
	s_mov_b64 s[28:29], 0
                                        ; implicit-def: $vgpr3
                                        ; implicit-def: $vgpr2
	s_mov_b64 s[0:1], 0
	s_cbranch_execnz .LBB73_219
.LBB73_25:
	s_andn2_b64 vcc, exec, s[0:1]
	s_cbranch_vccnz .LBB73_268
.LBB73_26:
	s_waitcnt vmcnt(0)
	v_cvt_f32_f16_e32 v0, v2
	v_cvt_f32_f16_e32 v1, v3
	s_getpc_b64 s[0:1]
	s_add_u32 s0, s0, _ZN16c10_complex_math3expIfEEN3c107complexIT_EERKS4_@rel32@lo+4
	s_addc_u32 s1, s1, _ZN16c10_complex_math3expIfEEN3c107complexIT_EERKS4_@rel32@hi+12
	s_swappc_b64 s[30:31], s[0:1]
	v_cvt_f16_f32_e32 v2, v1
	v_cvt_f16_f32_e32 v4, v0
	v_mov_b32_e32 v23, 0
	s_and_b32 s8, s73, 0xff
	v_lshlrev_b32_e32 v0, 16, v2
	v_or_b32_e32 v5, v0, v4
	s_cmp_lt_i32 s8, 11
	v_lshl_add_u64 v[0:1], s[20:21], 0, v[22:23]
	s_cbranch_scc1 .LBB73_34
; %bb.27:
	s_and_b32 s9, 0xffff, s8
	s_cmp_gt_i32 s9, 25
	s_cbranch_scc0 .LBB73_37
; %bb.28:
	s_cmp_gt_i32 s9, 28
	s_cbranch_scc0 .LBB73_39
; %bb.29:
	;; [unrolled: 3-line block ×4, first 2 shown]
	s_mov_b64 s[4:5], 0
	s_mov_b64 s[0:1], -1
	s_cmp_eq_u32 s9, 46
	s_mov_b64 s[2:3], 0
	s_cbranch_scc0 .LBB73_48
; %bb.32:
	v_cvt_f32_f16_e32 v6, v2
	v_cvt_f32_f16_e32 v3, v4
	s_movk_i32 s0, 0x7fff
	v_cmp_o_f16_e32 vcc, v2, v2
	v_bfe_u32 v8, v6, 16, 1
	v_bfe_u32 v7, v3, 16, 1
	v_add3_u32 v6, v6, v8, s0
	v_add3_u32 v3, v3, v7, s0
	v_and_b32_e32 v6, 0xffff0000, v6
	v_mov_b32_e32 v7, 0x7fc00000
	v_cndmask_b32_e32 v6, v7, v6, vcc
	v_cmp_o_f16_e32 vcc, v4, v4
	v_mov_b32_e32 v7, 0x7fc0
	s_mov_b64 s[2:3], -1
	v_cndmask_b32_sdwa v3, v7, v3, vcc dst_sel:DWORD dst_unused:UNUSED_PAD src0_sel:DWORD src1_sel:WORD_1
	v_or_b32_e32 v3, v6, v3
	global_store_dword v[0:1], v3, off
	s_mov_b64 s[0:1], 0
	s_branch .LBB73_48
.LBB73_33:
	s_mov_b64 s[28:29], 0
	s_mov_b64 s[0:1], 0
                                        ; implicit-def: $vgpr3
                                        ; implicit-def: $vgpr2
	s_cbranch_execnz .LBB73_184
	s_branch .LBB73_218
.LBB73_34:
	s_mov_b64 s[0:1], 0
	s_mov_b64 s[2:3], 0
	s_cbranch_execnz .LBB73_117
.LBB73_35:
	s_andn2_b64 vcc, exec, s[2:3]
	s_cbranch_vccnz .LBB73_269
	s_branch .LBB73_155
.LBB73_36:
	s_mov_b64 s[2:3], -1
	s_mov_b64 s[28:29], 0
	s_mov_b64 s[0:1], 0
                                        ; implicit-def: $vgpr3
                                        ; implicit-def: $vgpr2
	s_branch .LBB73_165
.LBB73_37:
	s_mov_b64 s[4:5], -1
	s_mov_b64 s[0:1], 0
	s_mov_b64 s[2:3], 0
	s_branch .LBB73_75
.LBB73_38:
	s_mov_b64 s[2:3], -1
	s_mov_b64 s[28:29], 0
	s_mov_b64 s[0:1], 0
                                        ; implicit-def: $vgpr3
                                        ; implicit-def: $vgpr2
	s_branch .LBB73_159
.LBB73_39:
	s_mov_b64 s[4:5], -1
	s_mov_b64 s[0:1], 0
	s_mov_b64 s[2:3], 0
	s_branch .LBB73_58
.LBB73_40:
	s_mov_b64 s[2:3], -1
	s_mov_b64 s[28:29], 0
	s_branch .LBB73_43
.LBB73_41:
	s_mov_b64 s[4:5], -1
	s_mov_b64 s[0:1], 0
	s_mov_b64 s[2:3], 0
	s_branch .LBB73_54
.LBB73_42:
	s_mov_b64 s[28:29], -1
.LBB73_43:
	s_mov_b64 s[0:1], 0
                                        ; implicit-def: $vgpr3
                                        ; implicit-def: $vgpr2
.LBB73_44:
	s_and_b64 vcc, exec, s[2:3]
	s_cbranch_vccz .LBB73_158
; %bb.45:
	s_cmp_eq_u32 s6, 44
	s_cbranch_scc0 .LBB73_156
; %bb.46:
	global_load_ubyte v2, v[0:1], off
	s_movk_i32 s2, 0xff
	v_mov_b32_e32 v4, 0x7e00
	s_mov_b64 s[0:1], -1
	s_mov_b64 s[28:29], 0
	s_waitcnt vmcnt(0)
	v_lshlrev_b32_e32 v3, 23, v2
	v_cvt_f16_f32_e32 v3, v3
	v_cmp_ne_u32_e32 vcc, s2, v2
	s_nop 1
	v_cndmask_b32_e32 v3, v4, v3, vcc
	v_cmp_ne_u32_e32 vcc, 0, v2
	s_nop 1
	v_cndmask_b32_e32 v2, 0, v3, vcc
	s_branch .LBB73_157
.LBB73_47:
	s_mov_b64 s[4:5], -1
	s_mov_b64 s[0:1], 0
	s_mov_b64 s[2:3], 0
.LBB73_48:
	s_and_b64 vcc, exec, s[4:5]
	s_cbranch_vccz .LBB73_53
; %bb.49:
	s_cmp_eq_u32 s9, 44
	s_mov_b64 s[0:1], -1
	s_cbranch_scc0 .LBB73_53
; %bb.50:
	v_cvt_f32_f16_e32 v3, v4
	s_movk_i32 s0, 0xff
	v_mov_b32_e32 v7, 0xff
	v_bfe_u32 v6, v3, 23, 8
	v_cmp_ne_u32_e32 vcc, s0, v6
	s_and_saveexec_b64 s[2:3], vcc
; %bb.51:
	s_mov_b32 s0, 0x3fffff
	v_lshrrev_b32_e32 v7, 23, v3
	v_and_b32_e32 v8, 0x400000, v3
	v_and_or_b32 v3, v3, s0, v6
	v_cmp_ne_u32_e32 vcc, 0, v8
	v_cmp_ne_u32_e64 s[0:1], 0, v3
	s_and_b64 s[0:1], vcc, s[0:1]
	s_nop 0
	v_cndmask_b32_e64 v3, 0, 1, s[0:1]
	v_add_u32_e32 v7, v7, v3
; %bb.52:
	s_or_b64 exec, exec, s[2:3]
	s_mov_b64 s[2:3], -1
	s_mov_b64 s[0:1], 0
	global_store_byte v[0:1], v7, off
.LBB73_53:
	s_mov_b64 s[4:5], 0
.LBB73_54:
	s_and_b64 vcc, exec, s[4:5]
	s_cbranch_vccz .LBB73_57
; %bb.55:
	s_cmp_eq_u32 s9, 29
	s_mov_b64 s[0:1], -1
	s_cbranch_scc0 .LBB73_57
; %bb.56:
	v_cvt_f32_f16_e32 v3, v4
	v_mov_b32_e32 v7, 0
	s_mov_b64 s[2:3], -1
	s_mov_b64 s[0:1], 0
	v_cvt_u32_f32_e32 v6, v3
	s_mov_b64 s[4:5], 0
	global_store_dwordx2 v[0:1], v[6:7], off
	s_branch .LBB73_58
.LBB73_57:
	s_mov_b64 s[4:5], 0
.LBB73_58:
	s_and_b64 vcc, exec, s[4:5]
	s_cbranch_vccz .LBB73_74
; %bb.59:
	s_cmp_lt_i32 s9, 27
	s_mov_b64 s[2:3], -1
	s_cbranch_scc1 .LBB73_65
; %bb.60:
	s_cmp_gt_i32 s9, 27
	s_cbranch_scc0 .LBB73_62
; %bb.61:
	v_cvt_f32_f16_e32 v3, v4
	s_mov_b64 s[2:3], 0
	v_cvt_u32_f32_e32 v3, v3
	global_store_dword v[0:1], v3, off
.LBB73_62:
	s_andn2_b64 vcc, exec, s[2:3]
	s_cbranch_vccnz .LBB73_64
; %bb.63:
	v_cvt_u16_f16_e32 v3, v4
	global_store_short v[0:1], v3, off
.LBB73_64:
	s_mov_b64 s[2:3], 0
.LBB73_65:
	s_andn2_b64 vcc, exec, s[2:3]
	s_cbranch_vccnz .LBB73_73
; %bb.66:
	v_cvt_f32_f16_e32 v3, v4
	s_mov_b32 s2, 0x43800000
	v_mov_b32_e32 v7, 0x80
	v_and_b32_e32 v6, 0x7fffffff, v3
	v_cmp_gt_u32_e32 vcc, s2, v6
	s_and_saveexec_b64 s[2:3], vcc
	s_cbranch_execz .LBB73_72
; %bb.67:
	s_mov_b32 s4, 0x3bffffff
	v_cmp_lt_u32_e32 vcc, s4, v6
	s_mov_b64 s[4:5], 0
                                        ; implicit-def: $vgpr6
	s_and_saveexec_b64 s[6:7], vcc
	s_xor_b64 s[6:7], exec, s[6:7]
	s_cbranch_execz .LBB73_313
; %bb.68:
	v_bfe_u32 v6, v3, 20, 1
	s_mov_b32 s10, 0x487ffff
	v_add3_u32 v6, v3, v6, s10
	s_mov_b64 s[4:5], exec
	v_lshrrev_b32_e32 v6, 20, v6
	s_andn2_saveexec_b64 s[6:7], s[6:7]
	s_cbranch_execnz .LBB73_314
.LBB73_69:
	s_or_b64 exec, exec, s[6:7]
	v_mov_b32_e32 v7, 0
	s_and_saveexec_b64 s[6:7], s[4:5]
.LBB73_70:
	v_lshrrev_b32_e32 v3, 24, v3
	s_movk_i32 s4, 0x80
	v_and_or_b32 v7, v3, s4, v6
.LBB73_71:
	s_or_b64 exec, exec, s[6:7]
.LBB73_72:
	s_or_b64 exec, exec, s[2:3]
	global_store_byte v[0:1], v7, off
.LBB73_73:
	s_mov_b64 s[2:3], -1
.LBB73_74:
	s_mov_b64 s[4:5], 0
.LBB73_75:
	s_and_b64 vcc, exec, s[4:5]
	s_cbranch_vccz .LBB73_116
; %bb.76:
	s_cmp_gt_i32 s9, 22
	s_mov_b64 s[4:5], -1
	s_cbranch_scc0 .LBB73_108
; %bb.77:
	s_cmp_lt_i32 s9, 24
	s_mov_b64 s[2:3], -1
	s_cbranch_scc1 .LBB73_97
; %bb.78:
	s_cmp_gt_i32 s9, 24
	s_cbranch_scc0 .LBB73_86
; %bb.79:
	v_cvt_f32_f16_e32 v3, v4
	s_mov_b32 s2, 0x47800000
	v_mov_b32_e32 v7, 0x80
	v_and_b32_e32 v6, 0x7fffffff, v3
	v_cmp_gt_u32_e32 vcc, s2, v6
	s_and_saveexec_b64 s[2:3], vcc
	s_cbranch_execz .LBB73_85
; %bb.80:
	s_mov_b32 s4, 0x37ffffff
	v_cmp_lt_u32_e32 vcc, s4, v6
	s_mov_b64 s[4:5], 0
                                        ; implicit-def: $vgpr6
	s_and_saveexec_b64 s[6:7], vcc
	s_xor_b64 s[6:7], exec, s[6:7]
	s_cbranch_execz .LBB73_317
; %bb.81:
	v_bfe_u32 v6, v3, 21, 1
	s_mov_b32 s10, 0x88fffff
	v_add3_u32 v6, v3, v6, s10
	s_mov_b64 s[4:5], exec
	v_lshrrev_b32_e32 v6, 21, v6
	s_andn2_saveexec_b64 s[6:7], s[6:7]
	s_cbranch_execnz .LBB73_318
.LBB73_82:
	s_or_b64 exec, exec, s[6:7]
	v_mov_b32_e32 v7, 0
	s_and_saveexec_b64 s[6:7], s[4:5]
.LBB73_83:
	v_lshrrev_b32_e32 v3, 24, v3
	s_movk_i32 s4, 0x80
	v_and_or_b32 v7, v3, s4, v6
.LBB73_84:
	s_or_b64 exec, exec, s[6:7]
.LBB73_85:
	s_or_b64 exec, exec, s[2:3]
	s_mov_b64 s[2:3], 0
	global_store_byte v[0:1], v7, off
.LBB73_86:
	s_and_b64 vcc, exec, s[2:3]
	s_cbranch_vccz .LBB73_96
; %bb.87:
	v_cvt_f32_f16_e32 v3, v4
	s_mov_b32 s2, 0x43f00000
                                        ; implicit-def: $vgpr6
	v_and_b32_e32 v7, 0x7fffffff, v3
	v_cmp_gt_u32_e32 vcc, s2, v7
	s_and_saveexec_b64 s[2:3], vcc
	s_xor_b64 s[2:3], exec, s[2:3]
	s_cbranch_execz .LBB73_93
; %bb.88:
	s_mov_b32 s4, 0x3c7fffff
	v_cmp_lt_u32_e32 vcc, s4, v7
                                        ; implicit-def: $vgpr6
	s_and_saveexec_b64 s[4:5], vcc
	s_xor_b64 s[4:5], exec, s[4:5]
; %bb.89:
	v_bfe_u32 v6, v3, 20, 1
	s_mov_b32 s6, 0x407ffff
	v_add3_u32 v6, v3, v6, s6
	v_lshrrev_b32_e32 v7, 20, v6
	v_and_b32_e32 v6, 0xff00000, v6
	s_mov_b32 s6, 0x7f00000
	v_mov_b32_e32 v8, 0x7e
	v_cmp_ne_u32_e32 vcc, s6, v6
	s_nop 1
	v_cndmask_b32_e32 v6, v8, v7, vcc
; %bb.90:
	s_andn2_saveexec_b64 s[4:5], s[4:5]
; %bb.91:
	s_mov_b32 s6, 0x46800000
	v_add_f32_e64 v6, |v3|, s6
; %bb.92:
	s_or_b64 exec, exec, s[4:5]
                                        ; implicit-def: $vgpr7
.LBB73_93:
	s_andn2_saveexec_b64 s[2:3], s[2:3]
; %bb.94:
	s_mov_b32 s4, 0x7f800000
	v_mov_b32_e32 v6, 0x7e
	v_mov_b32_e32 v8, 0x7f
	v_cmp_lt_u32_e32 vcc, s4, v7
	s_nop 1
	v_cndmask_b32_e32 v6, v6, v8, vcc
; %bb.95:
	s_or_b64 exec, exec, s[2:3]
	v_lshrrev_b32_e32 v3, 24, v3
	s_movk_i32 s2, 0x80
	v_and_or_b32 v3, v3, s2, v6
	global_store_byte v[0:1], v3, off
.LBB73_96:
	s_mov_b64 s[2:3], 0
.LBB73_97:
	s_andn2_b64 vcc, exec, s[2:3]
	s_cbranch_vccnz .LBB73_107
; %bb.98:
	v_cvt_f32_f16_e32 v3, v4
	s_mov_b32 s2, 0x47800000
                                        ; implicit-def: $vgpr6
	v_and_b32_e32 v7, 0x7fffffff, v3
	v_cmp_gt_u32_e32 vcc, s2, v7
	s_and_saveexec_b64 s[2:3], vcc
	s_xor_b64 s[2:3], exec, s[2:3]
	s_cbranch_execz .LBB73_104
; %bb.99:
	s_mov_b32 s4, 0x387fffff
	v_cmp_lt_u32_e32 vcc, s4, v7
                                        ; implicit-def: $vgpr6
	s_and_saveexec_b64 s[4:5], vcc
	s_xor_b64 s[4:5], exec, s[4:5]
; %bb.100:
	v_bfe_u32 v6, v3, 21, 1
	s_mov_b32 s6, 0x80fffff
	v_add3_u32 v6, v3, v6, s6
	v_lshrrev_b32_e32 v6, 21, v6
; %bb.101:
	s_andn2_saveexec_b64 s[4:5], s[4:5]
; %bb.102:
	s_mov_b32 s6, 0x43000000
	v_add_f32_e64 v6, |v3|, s6
; %bb.103:
	s_or_b64 exec, exec, s[4:5]
                                        ; implicit-def: $vgpr7
.LBB73_104:
	s_andn2_saveexec_b64 s[2:3], s[2:3]
; %bb.105:
	s_mov_b32 s4, 0x7f800000
	v_mov_b32_e32 v6, 0x7c
	v_mov_b32_e32 v8, 0x7f
	v_cmp_lt_u32_e32 vcc, s4, v7
	s_nop 1
	v_cndmask_b32_e32 v6, v6, v8, vcc
; %bb.106:
	s_or_b64 exec, exec, s[2:3]
	v_lshrrev_b32_e32 v3, 24, v3
	s_movk_i32 s2, 0x80
	v_and_or_b32 v3, v3, s2, v6
	global_store_byte v[0:1], v3, off
.LBB73_107:
	s_mov_b64 s[4:5], 0
	s_mov_b64 s[2:3], -1
.LBB73_108:
	s_andn2_b64 vcc, exec, s[4:5]
	s_cbranch_vccnz .LBB73_116
; %bb.109:
	s_cmp_gt_i32 s9, 14
	s_mov_b64 s[4:5], -1
	s_cbranch_scc0 .LBB73_113
; %bb.110:
	s_cmp_eq_u32 s9, 15
	s_mov_b64 s[0:1], -1
	s_cbranch_scc0 .LBB73_112
; %bb.111:
	v_cvt_f32_f16_e32 v3, v4
	s_movk_i32 s0, 0x7fff
	v_cmp_o_f16_e32 vcc, v4, v4
	v_mov_b32_e32 v6, 0x7fc0
	v_bfe_u32 v7, v3, 16, 1
	v_add3_u32 v3, v3, v7, s0
	v_cndmask_b32_sdwa v3, v6, v3, vcc dst_sel:DWORD dst_unused:UNUSED_PAD src0_sel:DWORD src1_sel:WORD_1
	global_store_short v[0:1], v3, off
	s_mov_b64 s[2:3], -1
	s_mov_b64 s[0:1], 0
.LBB73_112:
	s_mov_b64 s[4:5], 0
.LBB73_113:
	s_and_b64 vcc, exec, s[4:5]
	s_cbranch_vccz .LBB73_116
; %bb.114:
	s_cmp_eq_u32 s9, 11
	s_mov_b64 s[0:1], -1
	s_cbranch_scc0 .LBB73_116
; %bb.115:
	v_and_b32_e32 v3, 0x7fff7fff, v5
	v_cmp_ne_u32_e32 vcc, 0, v3
	s_mov_b64 s[2:3], -1
	s_mov_b64 s[0:1], 0
	v_cndmask_b32_e64 v3, 0, 1, vcc
	global_store_byte v[0:1], v3, off
.LBB73_116:
	s_branch .LBB73_35
.LBB73_117:
	s_and_b32 s4, 0xffff, s8
	s_cmp_lt_i32 s4, 5
	s_mov_b64 s[2:3], -1
	s_cbranch_scc1 .LBB73_138
; %bb.118:
	s_cmp_lt_i32 s4, 8
	s_cbranch_scc1 .LBB73_128
; %bb.119:
	s_cmp_lt_i32 s4, 9
	s_cbranch_scc1 .LBB73_125
; %bb.120:
	v_cvt_f32_f16_e32 v3, v2
	s_cmp_gt_i32 s4, 9
	s_cbranch_scc0 .LBB73_122
; %bb.121:
	v_cvt_f32_f16_e32 v2, v4
	v_cvt_f64_f32_e32 v[8:9], v3
	s_mov_b64 s[2:3], 0
	v_cvt_f64_f32_e32 v[6:7], v2
	global_store_dwordx4 v[0:1], v[6:9], off
.LBB73_122:
	s_andn2_b64 vcc, exec, s[2:3]
	s_cbranch_vccnz .LBB73_124
; %bb.123:
	v_cvt_f32_f16_e32 v2, v4
	global_store_dwordx2 v[0:1], v[2:3], off
.LBB73_124:
	s_mov_b64 s[2:3], 0
.LBB73_125:
	s_andn2_b64 vcc, exec, s[2:3]
	s_cbranch_vccnz .LBB73_127
; %bb.126:
	global_store_dword v[0:1], v5, off
.LBB73_127:
	s_mov_b64 s[2:3], 0
.LBB73_128:
	s_andn2_b64 vcc, exec, s[2:3]
	s_cbranch_vccnz .LBB73_137
; %bb.129:
	s_cmp_lt_i32 s4, 6
	s_mov_b64 s[2:3], -1
	s_cbranch_scc1 .LBB73_135
; %bb.130:
	s_cmp_gt_i32 s4, 6
	s_cbranch_scc0 .LBB73_132
; %bb.131:
	v_cvt_f32_f16_e32 v2, v4
	s_mov_b64 s[2:3], 0
	v_cvt_f64_f32_e32 v[2:3], v2
	global_store_dwordx2 v[0:1], v[2:3], off
.LBB73_132:
	s_andn2_b64 vcc, exec, s[2:3]
	s_cbranch_vccnz .LBB73_134
; %bb.133:
	v_cvt_f32_f16_e32 v2, v4
	global_store_dword v[0:1], v2, off
.LBB73_134:
	s_mov_b64 s[2:3], 0
.LBB73_135:
	s_andn2_b64 vcc, exec, s[2:3]
	s_cbranch_vccnz .LBB73_137
; %bb.136:
	global_store_short v[0:1], v4, off
.LBB73_137:
	s_mov_b64 s[2:3], 0
.LBB73_138:
	s_andn2_b64 vcc, exec, s[2:3]
	s_cbranch_vccnz .LBB73_154
; %bb.139:
	s_cmp_lt_i32 s4, 2
	s_mov_b64 s[2:3], -1
	s_cbranch_scc1 .LBB73_149
; %bb.140:
	s_cmp_lt_i32 s4, 3
	s_cbranch_scc1 .LBB73_146
; %bb.141:
	s_cmp_gt_i32 s4, 3
	s_cbranch_scc0 .LBB73_143
; %bb.142:
	v_cvt_f32_f16_e32 v2, v4
	s_mov_b64 s[2:3], 0
	v_cvt_i32_f32_e32 v2, v2
	v_ashrrev_i32_e32 v3, 31, v2
	global_store_dwordx2 v[0:1], v[2:3], off
.LBB73_143:
	s_andn2_b64 vcc, exec, s[2:3]
	s_cbranch_vccnz .LBB73_145
; %bb.144:
	v_cvt_f32_f16_e32 v2, v4
	v_cvt_i32_f32_e32 v2, v2
	global_store_dword v[0:1], v2, off
.LBB73_145:
	s_mov_b64 s[2:3], 0
.LBB73_146:
	s_andn2_b64 vcc, exec, s[2:3]
	s_cbranch_vccnz .LBB73_148
; %bb.147:
	v_cvt_i16_f16_e32 v2, v4
	global_store_short v[0:1], v2, off
.LBB73_148:
	s_mov_b64 s[2:3], 0
.LBB73_149:
	s_andn2_b64 vcc, exec, s[2:3]
	s_cbranch_vccnz .LBB73_154
; %bb.150:
	s_cmp_gt_i32 s4, 0
	s_mov_b64 s[2:3], -1
	s_cbranch_scc0 .LBB73_152
; %bb.151:
	v_cvt_i16_f16_e32 v2, v4
	global_store_byte v[0:1], v2, off
	s_mov_b64 s[2:3], 0
.LBB73_152:
	s_andn2_b64 vcc, exec, s[2:3]
	s_cbranch_vccnz .LBB73_154
; %bb.153:
	v_cvt_f32_f16_e32 v2, v4
	v_cvt_i32_f32_e32 v2, v2
	global_store_byte v[0:1], v2, off
.LBB73_154:
.LBB73_155:
	v_add_u32_e32 v21, 0x80, v21
	s_mov_b64 s[2:3], -1
	s_branch .LBB73_270
.LBB73_156:
	s_mov_b64 s[28:29], -1
                                        ; implicit-def: $vgpr2
.LBB73_157:
	v_mov_b32_e32 v3, 0
.LBB73_158:
	s_mov_b64 s[2:3], 0
.LBB73_159:
	s_and_b64 vcc, exec, s[2:3]
	s_cbranch_vccz .LBB73_164
; %bb.160:
	s_cmp_eq_u32 s6, 29
	s_cbranch_scc0 .LBB73_162
; %bb.161:
	global_load_dwordx2 v[2:3], v[0:1], off
	s_mov_b64 s[0:1], -1
	s_mov_b64 s[28:29], 0
	s_waitcnt vmcnt(0)
	v_ffbh_u32_e32 v4, v3
	v_min_u32_e32 v4, 32, v4
	v_lshlrev_b64 v[2:3], v4, v[2:3]
	v_min_u32_e32 v2, 1, v2
	v_or_b32_e32 v2, v3, v2
	v_cvt_f32_u32_e32 v2, v2
	v_sub_u32_e32 v3, 32, v4
	v_ldexp_f32 v2, v2, v3
	v_cvt_f16_f32_e32 v2, v2
	s_branch .LBB73_163
.LBB73_162:
	s_mov_b64 s[28:29], -1
                                        ; implicit-def: $vgpr2
.LBB73_163:
	v_mov_b32_e32 v3, 0
.LBB73_164:
	s_mov_b64 s[2:3], 0
.LBB73_165:
	s_and_b64 vcc, exec, s[2:3]
	s_cbranch_vccz .LBB73_183
; %bb.166:
	s_cmp_lt_i32 s6, 27
	s_cbranch_scc1 .LBB73_169
; %bb.167:
	s_cmp_gt_i32 s6, 27
	s_cbranch_scc0 .LBB73_170
; %bb.168:
	global_load_dword v2, v[0:1], off
	s_mov_b64 s[0:1], 0
	s_waitcnt vmcnt(0)
	v_cvt_f32_u32_e32 v2, v2
	v_cvt_f16_f32_e32 v2, v2
	s_branch .LBB73_171
.LBB73_169:
	s_mov_b64 s[0:1], -1
                                        ; implicit-def: $vgpr2
	s_branch .LBB73_174
.LBB73_170:
	s_mov_b64 s[0:1], -1
                                        ; implicit-def: $vgpr2
.LBB73_171:
	s_andn2_b64 vcc, exec, s[0:1]
	s_cbranch_vccnz .LBB73_173
; %bb.172:
	global_load_ushort v2, v[0:1], off
	s_waitcnt vmcnt(0)
	v_cvt_f16_u16_e32 v2, v2
.LBB73_173:
	s_mov_b64 s[0:1], 0
.LBB73_174:
	s_andn2_b64 vcc, exec, s[0:1]
	s_cbranch_vccnz .LBB73_182
; %bb.175:
	global_load_ubyte v3, v[0:1], off
	s_movk_i32 s0, 0x7f
	s_waitcnt vmcnt(0)
	v_cmp_lt_i16_e32 vcc, s0, v3
	s_mov_b64 s[0:1], 0
	s_and_saveexec_b64 s[2:3], vcc
	s_xor_b64 s[2:3], exec, s[2:3]
	s_cbranch_execz .LBB73_195
; %bb.176:
	s_movk_i32 s0, 0x80
	v_cmp_eq_u16_e32 vcc, s0, v3
	s_mov_b64 s[0:1], -1
	s_and_saveexec_b64 s[4:5], vcc
; %bb.177:
	s_xor_b64 s[0:1], exec, -1
; %bb.178:
	s_or_b64 exec, exec, s[4:5]
	s_and_b64 s[0:1], s[0:1], exec
	s_or_saveexec_b64 s[2:3], s[2:3]
	v_mov_b32_e32 v2, 0x7e00
	s_xor_b64 exec, exec, s[2:3]
	s_cbranch_execnz .LBB73_196
.LBB73_179:
	s_or_b64 exec, exec, s[2:3]
	s_and_saveexec_b64 s[2:3], s[0:1]
	s_cbranch_execz .LBB73_181
.LBB73_180:
	v_lshlrev_b32_e32 v2, 24, v3
	v_and_b32_e32 v3, 0xffff, v3
	v_and_b32_e32 v4, 7, v3
	v_ffbh_u32_e32 v6, v4
	v_min_u32_e32 v6, 32, v6
	v_subrev_u32_e32 v7, 28, v6
	v_bfe_u32 v5, v3, 3, 4
	v_lshlrev_b32_e32 v3, v7, v3
	v_sub_u32_e32 v6, 29, v6
	v_and_b32_e32 v3, 7, v3
	v_cmp_eq_u32_e32 vcc, 0, v5
	v_and_b32_e32 v2, 0x80000000, v2
	s_nop 0
	v_cndmask_b32_e32 v5, v5, v6, vcc
	v_cndmask_b32_e32 v3, v4, v3, vcc
	v_mov_b32_e32 v4, 0x3b800000
	v_lshlrev_b32_e32 v3, 20, v3
	v_lshl_add_u32 v4, v5, 23, v4
	v_or3_b32 v2, v2, v4, v3
	v_cvt_f16_f32_e32 v2, v2
.LBB73_181:
	s_or_b64 exec, exec, s[2:3]
.LBB73_182:
	s_mov_b64 s[0:1], -1
	v_mov_b32_e32 v3, 0
.LBB73_183:
	s_branch .LBB73_218
.LBB73_184:
	s_cmp_gt_i32 s6, 22
	s_cbranch_scc0 .LBB73_194
; %bb.185:
	s_cmp_lt_i32 s6, 24
	s_cbranch_scc1 .LBB73_197
; %bb.186:
	s_cmp_gt_i32 s6, 24
	s_cbranch_scc0 .LBB73_198
; %bb.187:
	global_load_ubyte v3, v[0:1], off
	s_movk_i32 s0, 0x7f
	s_waitcnt vmcnt(0)
	v_cmp_lt_i16_e32 vcc, s0, v3
	s_mov_b64 s[0:1], 0
	s_and_saveexec_b64 s[2:3], vcc
	s_xor_b64 s[2:3], exec, s[2:3]
	s_cbranch_execz .LBB73_209
; %bb.188:
	s_movk_i32 s0, 0x80
	v_cmp_eq_u16_e32 vcc, s0, v3
	s_mov_b64 s[0:1], -1
	s_and_saveexec_b64 s[4:5], vcc
; %bb.189:
	s_xor_b64 s[0:1], exec, -1
; %bb.190:
	s_or_b64 exec, exec, s[4:5]
	s_and_b64 s[0:1], s[0:1], exec
	s_or_saveexec_b64 s[2:3], s[2:3]
	v_mov_b32_e32 v2, 0x7e00
	s_xor_b64 exec, exec, s[2:3]
	s_cbranch_execnz .LBB73_210
.LBB73_191:
	s_or_b64 exec, exec, s[2:3]
	s_and_saveexec_b64 s[2:3], s[0:1]
	s_cbranch_execz .LBB73_193
.LBB73_192:
	v_lshlrev_b32_e32 v2, 24, v3
	v_and_b32_e32 v3, 0xffff, v3
	v_and_b32_e32 v4, 3, v3
	v_ffbh_u32_e32 v6, v4
	v_min_u32_e32 v6, 32, v6
	v_subrev_u32_e32 v7, 29, v6
	v_bfe_u32 v5, v3, 2, 5
	v_lshlrev_b32_e32 v3, v7, v3
	v_sub_u32_e32 v6, 30, v6
	v_and_b32_e32 v3, 3, v3
	v_cmp_eq_u32_e32 vcc, 0, v5
	v_and_b32_e32 v2, 0x80000000, v2
	s_nop 0
	v_cndmask_b32_e32 v5, v5, v6, vcc
	v_cndmask_b32_e32 v3, v4, v3, vcc
	v_mov_b32_e32 v4, 0x37800000
	v_lshlrev_b32_e32 v3, 21, v3
	v_lshl_add_u32 v4, v5, 23, v4
	v_or3_b32 v2, v2, v4, v3
	v_cvt_f16_f32_e32 v2, v2
.LBB73_193:
	s_or_b64 exec, exec, s[2:3]
	s_mov_b64 s[0:1], 0
	s_branch .LBB73_199
.LBB73_194:
                                        ; implicit-def: $vgpr2
	s_branch .LBB73_205
.LBB73_195:
	s_or_saveexec_b64 s[2:3], s[2:3]
	v_mov_b32_e32 v2, 0x7e00
	s_xor_b64 exec, exec, s[2:3]
	s_cbranch_execz .LBB73_179
.LBB73_196:
	v_cmp_ne_u16_e32 vcc, 0, v3
	s_andn2_b64 s[0:1], s[0:1], exec
	s_and_b64 s[4:5], vcc, exec
	s_or_b64 s[0:1], s[0:1], s[4:5]
	v_mov_b32_e32 v2, v3
	s_or_b64 exec, exec, s[2:3]
	s_and_saveexec_b64 s[2:3], s[0:1]
	s_cbranch_execnz .LBB73_180
	s_branch .LBB73_181
.LBB73_197:
	s_mov_b64 s[0:1], -1
                                        ; implicit-def: $vgpr2
	s_branch .LBB73_202
.LBB73_198:
	s_mov_b64 s[0:1], -1
                                        ; implicit-def: $vgpr2
.LBB73_199:
	s_and_b64 vcc, exec, s[0:1]
	s_cbranch_vccz .LBB73_201
; %bb.200:
	global_load_ubyte v2, v[0:1], off
	s_mov_b32 s0, 0x7f800000
	s_waitcnt vmcnt(0)
	v_lshlrev_b32_e32 v2, 24, v2
	v_and_b32_e32 v3, 0x7f000000, v2
	v_ffbh_u32_e32 v4, v3
	v_min_u32_e32 v4, 32, v4
	v_sub_u32_e64 v4, v4, 4 clamp
	v_lshlrev_b32_e32 v6, v4, v3
	v_lshlrev_b32_e32 v4, 23, v4
	v_lshrrev_b32_e32 v6, 4, v6
	v_add_u32_e32 v5, 0x1000000, v3
	v_sub_u32_e32 v4, v6, v4
	v_ashrrev_i32_e32 v5, 8, v5
	v_add_u32_e32 v4, 0x3c000000, v4
	v_and_or_b32 v4, v5, s0, v4
	v_cmp_ne_u32_e32 vcc, 0, v3
	s_brev_b32 s0, 1
	s_nop 0
	v_cndmask_b32_e32 v3, 0, v4, vcc
	v_and_or_b32 v2, v2, s0, v3
	v_cvt_f16_f32_e32 v2, v2
.LBB73_201:
	s_mov_b64 s[0:1], 0
.LBB73_202:
	s_andn2_b64 vcc, exec, s[0:1]
	s_cbranch_vccnz .LBB73_204
; %bb.203:
	global_load_ubyte v2, v[0:1], off
	s_movk_i32 s0, 0x7f00
	s_brev_b32 s1, 16
	s_waitcnt vmcnt(0)
	v_lshlrev_b16_e32 v3, 8, v2
	v_lshlrev_b32_e32 v2, 25, v2
	v_lshrrev_b32_e32 v4, 4, v2
	v_and_or_b32 v5, v3, s0, 0.5
	v_or_b32_e32 v4, 0x70000000, v4
	v_add_f32_e32 v5, -0.5, v5
	v_mul_f32_e32 v4, 0x7800000, v4
	v_cmp_gt_u32_e32 vcc, s1, v2
	v_bfe_i32 v3, v3, 0, 16
	s_brev_b32 s0, 1
	v_cndmask_b32_e32 v2, v4, v5, vcc
	v_and_or_b32 v2, v3, s0, v2
	v_cvt_f16_f32_e32 v2, v2
.LBB73_204:
	s_mov_b64 s[0:1], -1
	s_cbranch_execnz .LBB73_217
.LBB73_205:
	s_cmp_gt_i32 s6, 14
	s_cbranch_scc0 .LBB73_208
; %bb.206:
	s_cmp_eq_u32 s6, 15
	s_cbranch_scc0 .LBB73_211
; %bb.207:
	global_load_ushort v2, v[0:1], off
	s_mov_b64 s[0:1], -1
	s_mov_b64 s[28:29], 0
	s_waitcnt vmcnt(0)
	v_lshlrev_b32_e32 v2, 16, v2
	v_cvt_f16_f32_e32 v2, v2
	s_branch .LBB73_212
.LBB73_208:
	s_mov_b64 s[2:3], -1
                                        ; implicit-def: $vgpr2
	s_branch .LBB73_213
.LBB73_209:
	s_or_saveexec_b64 s[2:3], s[2:3]
	v_mov_b32_e32 v2, 0x7e00
	s_xor_b64 exec, exec, s[2:3]
	s_cbranch_execz .LBB73_191
.LBB73_210:
	v_cmp_ne_u16_e32 vcc, 0, v3
	s_andn2_b64 s[0:1], s[0:1], exec
	s_and_b64 s[4:5], vcc, exec
	s_or_b64 s[0:1], s[0:1], s[4:5]
	v_mov_b32_e32 v2, v3
	s_or_b64 exec, exec, s[2:3]
	s_and_saveexec_b64 s[2:3], s[0:1]
	s_cbranch_execnz .LBB73_192
	s_branch .LBB73_193
.LBB73_211:
	s_mov_b64 s[28:29], -1
                                        ; implicit-def: $vgpr2
.LBB73_212:
	s_mov_b64 s[2:3], 0
.LBB73_213:
	s_and_b64 vcc, exec, s[2:3]
	s_cbranch_vccz .LBB73_217
; %bb.214:
	s_cmp_eq_u32 s6, 11
	s_cbranch_scc0 .LBB73_216
; %bb.215:
	global_load_ubyte v2, v[0:1], off
	v_mov_b32_e32 v3, 0x3c00
	s_mov_b64 s[0:1], -1
	s_mov_b64 s[28:29], 0
	s_waitcnt vmcnt(0)
	v_cmp_ne_u16_e32 vcc, 0, v2
	s_nop 1
	v_cndmask_b32_e32 v2, 0, v3, vcc
	s_branch .LBB73_217
.LBB73_216:
	s_mov_b64 s[28:29], -1
                                        ; implicit-def: $vgpr2
.LBB73_217:
	v_mov_b32_e32 v3, 0
.LBB73_218:
	s_branch .LBB73_25
.LBB73_219:
	s_cmp_lt_i32 s6, 5
	s_cbranch_scc1 .LBB73_224
; %bb.220:
	s_cmp_lt_i32 s6, 8
	s_cbranch_scc1 .LBB73_225
; %bb.221:
	;; [unrolled: 3-line block ×3, first 2 shown]
	s_cmp_gt_i32 s6, 9
	s_cbranch_scc0 .LBB73_227
; %bb.223:
	global_load_dwordx4 v[2:5], v[0:1], off
	s_movk_i32 s0, 0x1ff
	s_movk_i32 s1, 0xffe
	v_mov_b32_e32 v6, 0x7c00
	v_mov_b32_e32 v7, 0x7e00
	s_movk_i32 s2, 0x40f
	s_mov_b32 s3, 0x8000
	s_waitcnt vmcnt(0)
	v_and_or_b32 v2, v3, s0, v2
	v_and_or_b32 v4, v5, s0, v4
	v_cmp_ne_u32_e32 vcc, 0, v2
	v_lshrrev_b32_e32 v8, 8, v3
	v_bfe_u32 v9, v3, 20, 11
	v_cndmask_b32_e64 v2, 0, 1, vcc
	v_cmp_ne_u32_e32 vcc, 0, v4
	v_lshrrev_b32_e32 v10, 8, v5
	v_bfe_u32 v11, v5, 20, 11
	v_cndmask_b32_e64 v4, 0, 1, vcc
	v_and_or_b32 v2, v8, s1, v2
	v_sub_u32_e32 v12, 0x3f1, v9
	v_add_u32_e32 v9, 0xfffffc10, v9
	v_sub_u32_e32 v13, 0x3f1, v11
	v_and_or_b32 v4, v10, s1, v4
	v_cmp_ne_u32_e32 vcc, 0, v2
	v_add_u32_e32 v11, 0xfffffc10, v11
	v_med3_i32 v8, v12, 0, 13
	v_med3_i32 v10, v13, 0, 13
	v_or_b32_e32 v12, 0x1000, v2
	v_lshl_or_b32 v13, v9, 12, v2
	v_cndmask_b32_e32 v2, v6, v7, vcc
	v_cmp_ne_u32_e32 vcc, 0, v4
	v_or_b32_e32 v14, 0x1000, v4
	v_lshl_or_b32 v15, v11, 12, v4
	v_cndmask_b32_e32 v4, v6, v7, vcc
	v_lshrrev_b32_e32 v7, v8, v12
	v_lshrrev_b32_e32 v16, v10, v14
	v_lshlrev_b32_e32 v8, v8, v7
	v_lshlrev_b32_e32 v10, v10, v16
	v_cmp_ne_u32_e32 vcc, v8, v12
	v_lshrrev_b32_e32 v3, 16, v3
	v_lshrrev_b32_e32 v5, 16, v5
	v_cndmask_b32_e64 v8, 0, 1, vcc
	v_cmp_ne_u32_e32 vcc, v10, v14
	v_or_b32_e32 v7, v7, v8
	s_mov_b64 s[0:1], 0
	v_cndmask_b32_e64 v10, 0, 1, vcc
	v_cmp_gt_i32_e32 vcc, 1, v9
	v_or_b32_e32 v8, v16, v10
	s_nop 0
	v_cndmask_b32_e32 v7, v13, v7, vcc
	v_cmp_gt_i32_e32 vcc, 1, v11
	v_and_b32_e32 v10, 7, v7
	v_lshrrev_b32_e32 v7, 2, v7
	v_cndmask_b32_e32 v8, v15, v8, vcc
	v_cmp_lt_i32_e32 vcc, 5, v10
	v_and_b32_e32 v12, 7, v8
	v_lshrrev_b32_e32 v8, 2, v8
	v_cndmask_b32_e64 v13, 0, 1, vcc
	v_cmp_eq_u32_e32 vcc, 3, v10
	s_nop 1
	v_cndmask_b32_e64 v10, 0, 1, vcc
	v_cmp_lt_i32_e32 vcc, 5, v12
	v_or_b32_e32 v10, v10, v13
	v_add_u32_e32 v7, v7, v10
	v_cndmask_b32_e64 v14, 0, 1, vcc
	v_cmp_eq_u32_e32 vcc, 3, v12
	s_nop 1
	v_cndmask_b32_e64 v12, 0, 1, vcc
	v_or_b32_e32 v12, v12, v14
	v_cmp_gt_i32_e32 vcc, 31, v9
	v_add_u32_e32 v8, v8, v12
	s_nop 0
	v_cndmask_b32_e32 v7, v6, v7, vcc
	v_cmp_gt_i32_e32 vcc, 31, v11
	s_nop 1
	v_cndmask_b32_e32 v6, v6, v8, vcc
	v_cmp_eq_u32_e32 vcc, s2, v9
	s_nop 1
	v_cndmask_b32_e32 v2, v7, v2, vcc
	v_cmp_eq_u32_e32 vcc, s2, v11
	v_and_or_b32 v2, v3, s3, v2
	s_nop 0
	v_cndmask_b32_e32 v4, v6, v4, vcc
	v_and_or_b32 v3, v5, s3, v4
	s_branch .LBB73_228
.LBB73_224:
                                        ; implicit-def: $vgpr3
                                        ; implicit-def: $vgpr2
	s_branch .LBB73_247
.LBB73_225:
	s_mov_b64 s[0:1], -1
                                        ; implicit-def: $vgpr3
                                        ; implicit-def: $vgpr2
	s_branch .LBB73_234
.LBB73_226:
	s_mov_b64 s[0:1], -1
                                        ; implicit-def: $vgpr3
                                        ; implicit-def: $vgpr2
	s_branch .LBB73_231
.LBB73_227:
	s_mov_b64 s[0:1], -1
                                        ; implicit-def: $vgpr3
                                        ; implicit-def: $vgpr2
.LBB73_228:
	s_andn2_b64 vcc, exec, s[0:1]
	s_cbranch_vccnz .LBB73_230
; %bb.229:
	global_load_dwordx2 v[2:3], v[0:1], off
	s_waitcnt vmcnt(0)
	v_cvt_f16_f32_e32 v2, v2
	v_cvt_f16_f32_e32 v3, v3
.LBB73_230:
	s_mov_b64 s[0:1], 0
.LBB73_231:
	s_andn2_b64 vcc, exec, s[0:1]
	s_cbranch_vccnz .LBB73_233
; %bb.232:
	global_load_dword v2, v[0:1], off
	s_waitcnt vmcnt(0)
	v_lshrrev_b32_e32 v3, 16, v2
.LBB73_233:
	s_mov_b64 s[0:1], 0
.LBB73_234:
	s_andn2_b64 vcc, exec, s[0:1]
	s_cbranch_vccnz .LBB73_246
; %bb.235:
	s_cmp_lt_i32 s6, 6
	s_cbranch_scc1 .LBB73_238
; %bb.236:
	s_cmp_gt_i32 s6, 6
	s_cbranch_scc0 .LBB73_239
; %bb.237:
	global_load_dwordx2 v[2:3], v[0:1], off
	s_movk_i32 s0, 0x1ff
	s_movk_i32 s1, 0xffe
	v_mov_b32_e32 v4, 0x7c00
	v_mov_b32_e32 v5, 0x7e00
	s_movk_i32 s2, 0x40f
	s_mov_b32 s3, 0x8000
	s_waitcnt vmcnt(0)
	v_and_or_b32 v2, v3, s0, v2
	v_cmp_ne_u32_e32 vcc, 0, v2
	v_lshrrev_b32_e32 v6, 8, v3
	v_bfe_u32 v7, v3, 20, 11
	v_cndmask_b32_e64 v2, 0, 1, vcc
	v_sub_u32_e32 v8, 0x3f1, v7
	v_and_or_b32 v2, v6, s1, v2
	v_add_u32_e32 v7, 0xfffffc10, v7
	v_med3_i32 v6, v8, 0, 13
	v_or_b32_e32 v8, 0x1000, v2
	v_cmp_ne_u32_e32 vcc, 0, v2
	v_lshl_or_b32 v9, v7, 12, v2
	v_lshrrev_b32_e32 v3, 16, v3
	v_cndmask_b32_e32 v2, v4, v5, vcc
	v_lshrrev_b32_e32 v5, v6, v8
	v_lshlrev_b32_e32 v6, v6, v5
	v_cmp_ne_u32_e32 vcc, v6, v8
	s_mov_b64 s[0:1], 0
	s_nop 0
	v_cndmask_b32_e64 v6, 0, 1, vcc
	v_or_b32_e32 v5, v5, v6
	v_cmp_gt_i32_e32 vcc, 1, v7
	s_nop 1
	v_cndmask_b32_e32 v5, v9, v5, vcc
	v_and_b32_e32 v6, 7, v5
	v_cmp_lt_i32_e32 vcc, 5, v6
	v_lshrrev_b32_e32 v5, 2, v5
	s_nop 0
	v_cndmask_b32_e64 v8, 0, 1, vcc
	v_cmp_eq_u32_e32 vcc, 3, v6
	s_nop 1
	v_cndmask_b32_e64 v6, 0, 1, vcc
	v_or_b32_e32 v6, v6, v8
	v_add_u32_e32 v5, v5, v6
	v_cmp_gt_i32_e32 vcc, 31, v7
	s_nop 1
	v_cndmask_b32_e32 v4, v4, v5, vcc
	v_cmp_eq_u32_e32 vcc, s2, v7
	s_nop 1
	v_cndmask_b32_e32 v2, v4, v2, vcc
	v_and_or_b32 v2, v3, s3, v2
	s_branch .LBB73_240
.LBB73_238:
	s_mov_b64 s[0:1], -1
                                        ; implicit-def: $vgpr2
	s_branch .LBB73_243
.LBB73_239:
	s_mov_b64 s[0:1], -1
                                        ; implicit-def: $vgpr2
.LBB73_240:
	s_andn2_b64 vcc, exec, s[0:1]
	s_cbranch_vccnz .LBB73_242
; %bb.241:
	global_load_dword v2, v[0:1], off
	s_waitcnt vmcnt(0)
	v_cvt_f16_f32_e32 v2, v2
.LBB73_242:
	s_mov_b64 s[0:1], 0
.LBB73_243:
	s_andn2_b64 vcc, exec, s[0:1]
	s_cbranch_vccnz .LBB73_245
; %bb.244:
	global_load_ushort v2, v[0:1], off
.LBB73_245:
	v_mov_b32_e32 v3, 0
.LBB73_246:
	s_cbranch_execnz .LBB73_267
.LBB73_247:
	s_cmp_lt_i32 s6, 2
	s_cbranch_scc1 .LBB73_251
; %bb.248:
	s_cmp_lt_i32 s6, 3
	s_cbranch_scc1 .LBB73_252
; %bb.249:
	s_cmp_gt_i32 s6, 3
	s_cbranch_scc0 .LBB73_253
; %bb.250:
	global_load_dwordx2 v[2:3], v[0:1], off
	s_mov_b64 s[0:1], 0
	s_waitcnt vmcnt(0)
	v_xor_b32_e32 v5, v2, v3
	v_ffbh_i32_e32 v4, v3
	v_ashrrev_i32_e32 v5, 31, v5
	v_add_u32_e32 v4, -1, v4
	v_add_u32_e32 v5, 32, v5
	v_min_u32_e32 v4, v4, v5
	v_lshlrev_b64 v[2:3], v4, v[2:3]
	v_min_u32_e32 v2, 1, v2
	v_or_b32_e32 v2, v3, v2
	v_cvt_f32_i32_e32 v2, v2
	v_sub_u32_e32 v3, 32, v4
	v_ldexp_f32 v2, v2, v3
	v_cvt_f16_f32_e32 v2, v2
	s_branch .LBB73_254
.LBB73_251:
	s_mov_b64 s[0:1], -1
                                        ; implicit-def: $vgpr2
	s_branch .LBB73_260
.LBB73_252:
	s_mov_b64 s[0:1], -1
                                        ; implicit-def: $vgpr2
	s_branch .LBB73_257
.LBB73_253:
	s_mov_b64 s[0:1], -1
                                        ; implicit-def: $vgpr2
.LBB73_254:
	s_andn2_b64 vcc, exec, s[0:1]
	s_cbranch_vccnz .LBB73_256
; %bb.255:
	global_load_dword v2, v[0:1], off
	s_waitcnt vmcnt(0)
	v_cvt_f32_i32_e32 v2, v2
	v_cvt_f16_f32_e32 v2, v2
.LBB73_256:
	s_mov_b64 s[0:1], 0
.LBB73_257:
	s_andn2_b64 vcc, exec, s[0:1]
	s_cbranch_vccnz .LBB73_259
; %bb.258:
	global_load_ushort v2, v[0:1], off
	s_waitcnt vmcnt(0)
	v_cvt_f16_i16_e32 v2, v2
.LBB73_259:
	s_mov_b64 s[0:1], 0
.LBB73_260:
	s_andn2_b64 vcc, exec, s[0:1]
	s_cbranch_vccnz .LBB73_266
; %bb.261:
	s_cmp_gt_i32 s6, 0
	s_cbranch_scc0 .LBB73_263
; %bb.262:
	global_load_sbyte v2, v[0:1], off
	s_mov_b64 s[0:1], 0
	s_waitcnt vmcnt(0)
	v_cvt_f16_i16_e32 v2, v2
	s_branch .LBB73_264
.LBB73_263:
	s_mov_b64 s[0:1], -1
                                        ; implicit-def: $vgpr2
.LBB73_264:
	s_andn2_b64 vcc, exec, s[0:1]
	s_cbranch_vccnz .LBB73_266
; %bb.265:
	global_load_ubyte v0, v[0:1], off
	s_waitcnt vmcnt(0)
	v_cvt_f16_u16_e32 v2, v0
.LBB73_266:
	v_mov_b32_e32 v3, 0
.LBB73_267:
	s_branch .LBB73_26
.LBB73_268:
	s_mov_b64 s[0:1], 0
.LBB73_269:
	s_mov_b64 s[2:3], 0
                                        ; implicit-def: $vgpr21
.LBB73_270:
	s_and_b64 s[54:55], s[0:1], exec
	s_and_b64 s[56:57], s[28:29], exec
	s_orn2_b64 s[2:3], s[2:3], exec
.LBB73_271:
	s_or_b64 exec, exec, s[58:59]
	s_mov_b64 s[4:5], 0
	s_mov_b64 s[0:1], 0
                                        ; implicit-def: $vgpr0_vgpr1
                                        ; implicit-def: $vgpr22
                                        ; implicit-def: $vgpr5
                                        ; implicit-def: $vgpr3
	s_and_saveexec_b64 s[58:59], s[2:3]
	s_cbranch_execz .LBB73_279
; %bb.272:
	v_cmp_gt_i32_e32 vcc, s70, v21
	s_mov_b64 s[0:1], -1
	s_mov_b64 s[60:61], s[56:57]
	s_mov_b64 s[62:63], s[54:55]
	s_and_saveexec_b64 s[64:65], vcc
	s_cbranch_execz .LBB73_553
; %bb.273:
	s_andn2_b64 vcc, exec, s[42:43]
	s_cbranch_vccnz .LBB73_282
; %bb.274:
	s_andn2_b64 vcc, exec, s[52:53]
	s_cbranch_vccnz .LBB73_283
; %bb.275:
	s_add_i32 s63, s75, 1
	s_cmp_eq_u32 s72, 2
	s_cbranch_scc1 .LBB73_284
; %bb.276:
	s_and_b32 s62, s63, 28
	s_mov_b32 s66, 0
	v_mov_b32_e32 v22, 0
	v_mov_b32_e32 v0, 0
	s_mov_b64 s[16:17], s[34:35]
	s_mov_b64 s[60:61], s[50:51]
	s_waitcnt vmcnt(0)
	v_mov_b32_e32 v2, v21
.LBB73_277:                             ; =>This Inner Loop Header: Depth=1
	s_load_dwordx8 s[8:15], s[16:17], 0x4
	s_load_dwordx4 s[28:31], s[16:17], 0x24
	s_load_dwordx8 s[0:7], s[60:61], 0x0
	s_add_u32 s16, s16, 48
	s_addc_u32 s17, s17, 0
	s_waitcnt lgkmcnt(0)
	v_mul_hi_u32 v1, s9, v2
	v_add_u32_e32 v1, v2, v1
	v_lshrrev_b32_e32 v1, s10, v1
	v_mul_lo_u32 v3, v1, s8
	v_mul_hi_u32 v4, s12, v1
	v_sub_u32_e32 v2, v2, v3
	v_add_u32_e32 v3, v1, v4
	v_lshrrev_b32_e32 v3, s13, v3
	v_mul_lo_u32 v5, v3, s11
	v_mul_hi_u32 v6, s15, v3
	v_sub_u32_e32 v1, v1, v5
	v_add_u32_e32 v5, v3, v6
	v_mul_lo_u32 v4, v2, s1
	v_mul_lo_u32 v2, v2, s0
	;; [unrolled: 1-line block ×4, first 2 shown]
	v_lshrrev_b32_e32 v5, s28, v5
	v_add3_u32 v1, v2, v22, v1
	v_add3_u32 v0, v4, v0, v6
	v_mul_lo_u32 v2, v5, s14
	v_mul_hi_u32 v4, s30, v5
	v_sub_u32_e32 v2, v3, v2
	v_add_u32_e32 v3, v5, v4
	v_mul_lo_u32 v4, v2, s4
	v_mul_lo_u32 v6, v2, s5
	v_lshrrev_b32_e32 v2, s31, v3
	s_add_i32 s66, s66, 4
	v_mul_lo_u32 v3, v2, s29
	s_add_u32 s60, s60, 32
	v_sub_u32_e32 v3, v5, v3
	s_addc_u32 s61, s61, 0
	v_mul_lo_u32 v5, v3, s6
	v_mul_lo_u32 v3, v3, s7
	s_cmp_eq_u32 s62, s66
	v_add3_u32 v0, v6, v0, v3
	v_add3_u32 v22, v4, v1, v5
	s_cbranch_scc0 .LBB73_277
; %bb.278:
	v_mov_b32_e32 v1, v0
	s_branch .LBB73_285
.LBB73_279:
	s_or_b64 exec, exec, s[58:59]
	s_waitcnt lgkmcnt(0)
	s_mov_b64 s[22:23], 0
	s_and_saveexec_b64 s[2:3], s[56:57]
	s_cbranch_execnz .LBB73_939
.LBB73_280:
	s_or_b64 exec, exec, s[2:3]
	s_and_saveexec_b64 s[2:3], s[62:63]
	s_xor_b64 s[2:3], exec, s[2:3]
	s_cbranch_execz .LBB73_940
.LBB73_281:
	global_load_ubyte v2, v[0:1], off
	v_mov_b32_e32 v3, 0x3c00
	v_mov_b32_e32 v5, 0
	s_or_b64 s[0:1], s[0:1], exec
	s_waitcnt vmcnt(0)
	v_cmp_ne_u16_e32 vcc, 0, v2
	s_nop 1
	v_cndmask_b32_e32 v3, 0, v3, vcc
	s_or_b64 exec, exec, s[2:3]
	s_and_saveexec_b64 s[2:3], s[4:5]
	s_cbranch_execz .LBB73_988
	s_branch .LBB73_941
.LBB73_282:
                                        ; implicit-def: $vgpr0
                                        ; implicit-def: $vgpr22
	s_andn2_b64 vcc, exec, s[0:1]
	s_cbranch_vccz .LBB73_289
	s_branch .LBB73_291
.LBB73_283:
	v_mov_b32_e32 v0, 0
	v_mov_b32_e32 v22, 0
	s_branch .LBB73_288
.LBB73_284:
	v_mov_b32_e32 v22, 0
	s_mov_b32 s62, 0
	v_mov_b32_e32 v1, v22
                                        ; implicit-def: $vgpr0
	s_waitcnt vmcnt(0)
	v_mov_b32_e32 v2, v21
.LBB73_285:
	s_and_b32 s4, s63, 3
	s_cmp_eq_u32 s4, 0
	s_cbranch_scc1 .LBB73_288
; %bb.286:
	s_lshl_b32 s0, s62, 3
	s_add_u32 s0, s34, s0
	s_addc_u32 s1, s35, 0
	s_add_u32 s0, s0, 0xc4
	s_addc_u32 s1, s1, 0
	s_mul_i32 s2, s62, 12
	s_add_u32 s2, s34, s2
	s_addc_u32 s3, s35, 0
.LBB73_287:                             ; =>This Inner Loop Header: Depth=1
	s_load_dwordx2 s[6:7], s[2:3], 0x4
	s_load_dword s5, s[2:3], 0xc
	s_load_dwordx2 s[8:9], s[0:1], 0x0
	v_mov_b32_e32 v0, v1
	s_add_u32 s2, s2, 12
	s_waitcnt lgkmcnt(0)
	v_mul_hi_u32 v1, s7, v2
	v_add_u32_e32 v1, v2, v1
	v_lshrrev_b32_e32 v1, s5, v1
	s_addc_u32 s3, s3, 0
	v_mul_lo_u32 v3, v1, s6
	s_add_u32 s0, s0, 8
	v_sub_u32_e32 v3, v2, v3
	s_addc_u32 s1, s1, 0
	s_add_i32 s4, s4, -1
	v_mov_b32_e32 v2, v1
	v_mad_u64_u32 v[0:1], s[6:7], v3, s9, v[0:1]
	s_cmp_lg_u32 s4, 0
	v_mad_u64_u32 v[22:23], s[6:7], v3, s8, v[22:23]
	v_mov_b32_e32 v1, v0
	s_cbranch_scc1 .LBB73_287
.LBB73_288:
	s_cbranch_execnz .LBB73_291
.LBB73_289:
	s_waitcnt lgkmcnt(0)
	v_mul_hi_u32 v0, s37, v21
	v_add_u32_e32 v0, v21, v0
	v_lshrrev_b32_e32 v1, s38, v0
	v_mul_lo_u32 v0, v1, s36
	s_waitcnt vmcnt(0)
	v_sub_u32_e32 v2, v21, v0
	v_mul_lo_u32 v0, v2, s25
	s_andn2_b64 vcc, exec, s[48:49]
	v_mul_lo_u32 v22, v2, s24
	s_cbranch_vccnz .LBB73_291
; %bb.290:
	v_mul_hi_u32 v2, s46, v1
	v_add_u32_e32 v2, v1, v2
	v_lshrrev_b32_e32 v2, s47, v2
	v_mul_lo_u32 v2, v2, s39
	v_sub_u32_e32 v1, v1, v2
	v_mad_u64_u32 v[22:23], s[0:1], v1, s26, v[22:23]
	v_mad_u64_u32 v[0:1], s[0:1], v1, s27, v[0:1]
.LBB73_291:
	v_mov_b32_e32 v1, 0
	s_and_b32 s6, 0xffff, s74
	s_cmp_lt_i32 s6, 11
	s_waitcnt lgkmcnt(0)
	v_lshl_add_u64 v[0:1], s[22:23], 0, v[0:1]
	s_cbranch_scc1 .LBB73_298
; %bb.292:
	s_cmp_gt_i32 s6, 25
	s_cbranch_scc0 .LBB73_307
; %bb.293:
	s_cmp_gt_i32 s6, 28
	s_cbranch_scc0 .LBB73_309
	;; [unrolled: 3-line block ×4, first 2 shown]
; %bb.296:
	s_cmp_eq_u32 s6, 46
	s_mov_b64 s[2:3], 0
	s_cbranch_scc0 .LBB73_319
; %bb.297:
	global_load_dword v2, v[0:1], off
	s_mov_b64 s[0:1], -1
	s_mov_b64 s[28:29], 0
	s_waitcnt vmcnt(0)
	v_and_b32_e32 v3, 0xffff0000, v2
	v_lshlrev_b32_e32 v2, 16, v2
	v_cvt_f16_f32_e32 v2, v2
	v_cvt_f16_f32_e32 v3, v3
	s_branch .LBB73_320
.LBB73_298:
	s_mov_b64 s[0:1], 0
                                        ; implicit-def: $vgpr3
                                        ; implicit-def: $vgpr2
	s_mov_b64 s[28:29], s[56:57]
	s_cbranch_execnz .LBB73_500
.LBB73_299:
	s_andn2_b64 vcc, exec, s[0:1]
	s_cbranch_vccnz .LBB73_550
.LBB73_300:
	s_waitcnt vmcnt(0)
	v_cvt_f32_f16_e32 v0, v2
	v_cvt_f32_f16_e32 v1, v3
	s_getpc_b64 s[0:1]
	s_add_u32 s0, s0, _ZN16c10_complex_math3expIfEEN3c107complexIT_EERKS4_@rel32@lo+4
	s_addc_u32 s1, s1, _ZN16c10_complex_math3expIfEEN3c107complexIT_EERKS4_@rel32@hi+12
	s_swappc_b64 s[30:31], s[0:1]
	v_cvt_f16_f32_e32 v2, v1
	v_cvt_f16_f32_e32 v4, v0
	v_mov_b32_e32 v23, 0
	s_and_b32 s8, s73, 0xff
	v_lshlrev_b32_e32 v0, 16, v2
	v_or_b32_e32 v5, v0, v4
	s_cmp_lt_i32 s8, 11
	v_lshl_add_u64 v[0:1], s[20:21], 0, v[22:23]
	s_cbranch_scc1 .LBB73_308
; %bb.301:
	s_and_b32 s9, 0xffff, s8
	s_cmp_gt_i32 s9, 25
	s_cbranch_scc0 .LBB73_310
; %bb.302:
	s_cmp_gt_i32 s9, 28
	s_cbranch_scc0 .LBB73_312
; %bb.303:
	;; [unrolled: 3-line block ×4, first 2 shown]
	s_mov_b64 s[4:5], 0
	s_mov_b64 s[0:1], -1
	s_cmp_eq_u32 s9, 46
	s_mov_b64 s[2:3], 0
	s_cbranch_scc0 .LBB73_324
; %bb.306:
	v_cvt_f32_f16_e32 v6, v2
	v_cvt_f32_f16_e32 v3, v4
	s_movk_i32 s0, 0x7fff
	v_cmp_o_f16_e32 vcc, v2, v2
	v_bfe_u32 v8, v6, 16, 1
	v_bfe_u32 v7, v3, 16, 1
	v_add3_u32 v6, v6, v8, s0
	v_add3_u32 v3, v3, v7, s0
	v_and_b32_e32 v6, 0xffff0000, v6
	v_mov_b32_e32 v7, 0x7fc00000
	v_cndmask_b32_e32 v6, v7, v6, vcc
	v_cmp_o_f16_e32 vcc, v4, v4
	v_mov_b32_e32 v7, 0x7fc0
	s_mov_b64 s[2:3], -1
	v_cndmask_b32_sdwa v3, v7, v3, vcc dst_sel:DWORD dst_unused:UNUSED_PAD src0_sel:DWORD src1_sel:WORD_1
	v_or_b32_e32 v3, v6, v3
	global_store_dword v[0:1], v3, off
	s_mov_b64 s[0:1], 0
	s_branch .LBB73_324
.LBB73_307:
	s_mov_b64 s[2:3], -1
	s_mov_b64 s[0:1], 0
	s_mov_b64 s[28:29], s[56:57]
                                        ; implicit-def: $vgpr3
                                        ; implicit-def: $vgpr2
	s_branch .LBB73_463
.LBB73_308:
	s_mov_b64 s[4:5], -1
	s_mov_b64 s[2:3], 0
	s_mov_b64 s[0:1], s[54:55]
	s_branch .LBB73_393
.LBB73_309:
	s_mov_b64 s[2:3], -1
	s_mov_b64 s[0:1], 0
	s_mov_b64 s[28:29], s[56:57]
                                        ; implicit-def: $vgpr3
                                        ; implicit-def: $vgpr2
	s_branch .LBB73_444
.LBB73_310:
	s_mov_b64 s[4:5], -1
	s_mov_b64 s[2:3], 0
	s_mov_b64 s[0:1], s[54:55]
	s_branch .LBB73_351
.LBB73_311:
	s_mov_b64 s[2:3], -1
	s_mov_b64 s[0:1], 0
	s_mov_b64 s[28:29], s[56:57]
                                        ; implicit-def: $vgpr3
                                        ; implicit-def: $vgpr2
	s_branch .LBB73_438
.LBB73_312:
	s_mov_b64 s[4:5], -1
	s_mov_b64 s[2:3], 0
	s_mov_b64 s[0:1], s[54:55]
	s_branch .LBB73_334
.LBB73_313:
	s_andn2_saveexec_b64 s[6:7], s[6:7]
	s_cbranch_execz .LBB73_69
.LBB73_314:
	s_mov_b32 s10, 0x46000000
	v_add_f32_e64 v6, |v3|, s10
	v_and_b32_e32 v6, 0xff, v6
	v_cmp_ne_u32_e32 vcc, 0, v6
	s_andn2_b64 s[4:5], s[4:5], exec
	s_and_b64 s[10:11], vcc, exec
	s_or_b64 s[4:5], s[4:5], s[10:11]
	s_or_b64 exec, exec, s[6:7]
	v_mov_b32_e32 v7, 0
	s_and_saveexec_b64 s[6:7], s[4:5]
	s_cbranch_execnz .LBB73_70
	s_branch .LBB73_71
.LBB73_315:
	s_mov_b64 s[2:3], -1
	s_mov_b64 s[0:1], 0
	s_mov_b64 s[28:29], s[56:57]
                                        ; implicit-def: $vgpr3
                                        ; implicit-def: $vgpr2
	s_branch .LBB73_320
.LBB73_316:
	s_mov_b64 s[4:5], -1
	s_mov_b64 s[2:3], 0
	s_mov_b64 s[0:1], s[54:55]
	s_branch .LBB73_330
.LBB73_317:
	s_andn2_saveexec_b64 s[6:7], s[6:7]
	s_cbranch_execz .LBB73_82
.LBB73_318:
	s_mov_b32 s10, 0x42800000
	v_add_f32_e64 v6, |v3|, s10
	v_and_b32_e32 v6, 0xff, v6
	v_cmp_ne_u32_e32 vcc, 0, v6
	s_andn2_b64 s[4:5], s[4:5], exec
	s_and_b64 s[10:11], vcc, exec
	s_or_b64 s[4:5], s[4:5], s[10:11]
	s_or_b64 exec, exec, s[6:7]
	v_mov_b32_e32 v7, 0
	s_and_saveexec_b64 s[6:7], s[4:5]
	s_cbranch_execnz .LBB73_83
	s_branch .LBB73_84
.LBB73_319:
	s_mov_b64 s[28:29], -1
                                        ; implicit-def: $vgpr3
                                        ; implicit-def: $vgpr2
	s_mov_b64 s[0:1], 0
.LBB73_320:
	s_and_b64 vcc, exec, s[2:3]
	s_cbranch_vccz .LBB73_437
; %bb.321:
	s_cmp_eq_u32 s6, 44
	s_cbranch_scc0 .LBB73_435
; %bb.322:
	global_load_ubyte v2, v[0:1], off
	s_movk_i32 s2, 0xff
	v_mov_b32_e32 v4, 0x7e00
	s_mov_b64 s[0:1], -1
	s_mov_b64 s[28:29], 0
	s_waitcnt vmcnt(0)
	v_lshlrev_b32_e32 v3, 23, v2
	v_cvt_f16_f32_e32 v3, v3
	v_cmp_ne_u32_e32 vcc, s2, v2
	s_nop 1
	v_cndmask_b32_e32 v3, v4, v3, vcc
	v_cmp_ne_u32_e32 vcc, 0, v2
	s_nop 1
	v_cndmask_b32_e32 v2, 0, v3, vcc
	s_branch .LBB73_436
.LBB73_323:
	s_mov_b64 s[4:5], -1
	s_mov_b64 s[2:3], 0
	s_mov_b64 s[0:1], s[54:55]
.LBB73_324:
	s_and_b64 vcc, exec, s[4:5]
	s_cbranch_vccz .LBB73_329
; %bb.325:
	s_cmp_eq_u32 s9, 44
	s_mov_b64 s[0:1], -1
	s_cbranch_scc0 .LBB73_329
; %bb.326:
	v_cvt_f32_f16_e32 v3, v4
	s_movk_i32 s0, 0xff
	v_mov_b32_e32 v7, 0xff
	v_bfe_u32 v6, v3, 23, 8
	v_cmp_ne_u32_e32 vcc, s0, v6
	s_and_saveexec_b64 s[2:3], vcc
; %bb.327:
	s_mov_b32 s0, 0x3fffff
	v_lshrrev_b32_e32 v7, 23, v3
	v_and_b32_e32 v8, 0x400000, v3
	v_and_or_b32 v3, v3, s0, v6
	v_cmp_ne_u32_e32 vcc, 0, v8
	v_cmp_ne_u32_e64 s[0:1], 0, v3
	s_and_b64 s[0:1], vcc, s[0:1]
	s_nop 0
	v_cndmask_b32_e64 v3, 0, 1, s[0:1]
	v_add_u32_e32 v7, v7, v3
; %bb.328:
	s_or_b64 exec, exec, s[2:3]
	s_mov_b64 s[2:3], -1
	s_mov_b64 s[0:1], 0
	global_store_byte v[0:1], v7, off
.LBB73_329:
	s_mov_b64 s[4:5], 0
.LBB73_330:
	s_and_b64 vcc, exec, s[4:5]
	s_cbranch_vccz .LBB73_333
; %bb.331:
	s_cmp_eq_u32 s9, 29
	s_mov_b64 s[0:1], -1
	s_cbranch_scc0 .LBB73_333
; %bb.332:
	v_cvt_f32_f16_e32 v3, v4
	v_mov_b32_e32 v7, 0
	s_mov_b64 s[2:3], -1
	s_mov_b64 s[0:1], 0
	v_cvt_u32_f32_e32 v6, v3
	s_mov_b64 s[4:5], 0
	global_store_dwordx2 v[0:1], v[6:7], off
	s_branch .LBB73_334
.LBB73_333:
	s_mov_b64 s[4:5], 0
.LBB73_334:
	s_and_b64 vcc, exec, s[4:5]
	s_cbranch_vccz .LBB73_350
; %bb.335:
	s_cmp_lt_i32 s9, 27
	s_mov_b64 s[2:3], -1
	s_cbranch_scc1 .LBB73_341
; %bb.336:
	s_cmp_gt_i32 s9, 27
	s_cbranch_scc0 .LBB73_338
; %bb.337:
	v_cvt_f32_f16_e32 v3, v4
	s_mov_b64 s[2:3], 0
	v_cvt_u32_f32_e32 v3, v3
	global_store_dword v[0:1], v3, off
.LBB73_338:
	s_andn2_b64 vcc, exec, s[2:3]
	s_cbranch_vccnz .LBB73_340
; %bb.339:
	v_cvt_u16_f16_e32 v3, v4
	global_store_short v[0:1], v3, off
.LBB73_340:
	s_mov_b64 s[2:3], 0
.LBB73_341:
	s_andn2_b64 vcc, exec, s[2:3]
	s_cbranch_vccnz .LBB73_349
; %bb.342:
	v_cvt_f32_f16_e32 v3, v4
	s_mov_b32 s2, 0x43800000
	v_mov_b32_e32 v7, 0x80
	v_and_b32_e32 v6, 0x7fffffff, v3
	v_cmp_gt_u32_e32 vcc, s2, v6
	s_and_saveexec_b64 s[2:3], vcc
	s_cbranch_execz .LBB73_348
; %bb.343:
	s_mov_b32 s4, 0x3bffffff
	v_cmp_lt_u32_e32 vcc, s4, v6
	s_mov_b64 s[4:5], 0
                                        ; implicit-def: $vgpr6
	s_and_saveexec_b64 s[6:7], vcc
	s_xor_b64 s[6:7], exec, s[6:7]
	s_cbranch_execz .LBB73_582
; %bb.344:
	v_bfe_u32 v6, v3, 20, 1
	s_mov_b32 s10, 0x487ffff
	v_add3_u32 v6, v3, v6, s10
	s_mov_b64 s[4:5], exec
	v_lshrrev_b32_e32 v6, 20, v6
	s_andn2_saveexec_b64 s[6:7], s[6:7]
	s_cbranch_execnz .LBB73_583
.LBB73_345:
	s_or_b64 exec, exec, s[6:7]
	v_mov_b32_e32 v7, 0
	s_and_saveexec_b64 s[6:7], s[4:5]
.LBB73_346:
	v_lshrrev_b32_e32 v3, 24, v3
	s_movk_i32 s4, 0x80
	v_and_or_b32 v7, v3, s4, v6
.LBB73_347:
	s_or_b64 exec, exec, s[6:7]
.LBB73_348:
	s_or_b64 exec, exec, s[2:3]
	global_store_byte v[0:1], v7, off
.LBB73_349:
	s_mov_b64 s[2:3], -1
.LBB73_350:
	s_mov_b64 s[4:5], 0
.LBB73_351:
	s_and_b64 vcc, exec, s[4:5]
	s_cbranch_vccz .LBB73_392
; %bb.352:
	s_cmp_gt_i32 s9, 22
	s_mov_b64 s[4:5], -1
	s_cbranch_scc0 .LBB73_384
; %bb.353:
	s_cmp_lt_i32 s9, 24
	s_mov_b64 s[2:3], -1
	s_cbranch_scc1 .LBB73_373
; %bb.354:
	s_cmp_gt_i32 s9, 24
	s_cbranch_scc0 .LBB73_362
; %bb.355:
	v_cvt_f32_f16_e32 v3, v4
	s_mov_b32 s2, 0x47800000
	v_mov_b32_e32 v7, 0x80
	v_and_b32_e32 v6, 0x7fffffff, v3
	v_cmp_gt_u32_e32 vcc, s2, v6
	s_and_saveexec_b64 s[2:3], vcc
	s_cbranch_execz .LBB73_361
; %bb.356:
	s_mov_b32 s4, 0x37ffffff
	v_cmp_lt_u32_e32 vcc, s4, v6
	s_mov_b64 s[4:5], 0
                                        ; implicit-def: $vgpr6
	s_and_saveexec_b64 s[6:7], vcc
	s_xor_b64 s[6:7], exec, s[6:7]
	s_cbranch_execz .LBB73_585
; %bb.357:
	v_bfe_u32 v6, v3, 21, 1
	s_mov_b32 s10, 0x88fffff
	v_add3_u32 v6, v3, v6, s10
	s_mov_b64 s[4:5], exec
	v_lshrrev_b32_e32 v6, 21, v6
	s_andn2_saveexec_b64 s[6:7], s[6:7]
	s_cbranch_execnz .LBB73_586
.LBB73_358:
	s_or_b64 exec, exec, s[6:7]
	v_mov_b32_e32 v7, 0
	s_and_saveexec_b64 s[6:7], s[4:5]
.LBB73_359:
	v_lshrrev_b32_e32 v3, 24, v3
	s_movk_i32 s4, 0x80
	v_and_or_b32 v7, v3, s4, v6
.LBB73_360:
	s_or_b64 exec, exec, s[6:7]
.LBB73_361:
	s_or_b64 exec, exec, s[2:3]
	s_mov_b64 s[2:3], 0
	global_store_byte v[0:1], v7, off
.LBB73_362:
	s_and_b64 vcc, exec, s[2:3]
	s_cbranch_vccz .LBB73_372
; %bb.363:
	v_cvt_f32_f16_e32 v3, v4
	s_mov_b32 s2, 0x43f00000
                                        ; implicit-def: $vgpr6
	v_and_b32_e32 v7, 0x7fffffff, v3
	v_cmp_gt_u32_e32 vcc, s2, v7
	s_and_saveexec_b64 s[2:3], vcc
	s_xor_b64 s[2:3], exec, s[2:3]
	s_cbranch_execz .LBB73_369
; %bb.364:
	s_mov_b32 s4, 0x3c7fffff
	v_cmp_lt_u32_e32 vcc, s4, v7
                                        ; implicit-def: $vgpr6
	s_and_saveexec_b64 s[4:5], vcc
	s_xor_b64 s[4:5], exec, s[4:5]
; %bb.365:
	v_bfe_u32 v6, v3, 20, 1
	s_mov_b32 s6, 0x407ffff
	v_add3_u32 v6, v3, v6, s6
	v_lshrrev_b32_e32 v7, 20, v6
	v_and_b32_e32 v6, 0xff00000, v6
	s_mov_b32 s6, 0x7f00000
	v_mov_b32_e32 v8, 0x7e
	v_cmp_ne_u32_e32 vcc, s6, v6
	s_nop 1
	v_cndmask_b32_e32 v6, v8, v7, vcc
; %bb.366:
	s_andn2_saveexec_b64 s[4:5], s[4:5]
; %bb.367:
	s_mov_b32 s6, 0x46800000
	v_add_f32_e64 v6, |v3|, s6
; %bb.368:
	s_or_b64 exec, exec, s[4:5]
                                        ; implicit-def: $vgpr7
.LBB73_369:
	s_andn2_saveexec_b64 s[2:3], s[2:3]
; %bb.370:
	s_mov_b32 s4, 0x7f800000
	v_mov_b32_e32 v6, 0x7e
	v_mov_b32_e32 v8, 0x7f
	v_cmp_lt_u32_e32 vcc, s4, v7
	s_nop 1
	v_cndmask_b32_e32 v6, v6, v8, vcc
; %bb.371:
	s_or_b64 exec, exec, s[2:3]
	v_lshrrev_b32_e32 v3, 24, v3
	s_movk_i32 s2, 0x80
	v_and_or_b32 v3, v3, s2, v6
	global_store_byte v[0:1], v3, off
.LBB73_372:
	s_mov_b64 s[2:3], 0
.LBB73_373:
	s_andn2_b64 vcc, exec, s[2:3]
	s_cbranch_vccnz .LBB73_383
; %bb.374:
	v_cvt_f32_f16_e32 v3, v4
	s_mov_b32 s2, 0x47800000
                                        ; implicit-def: $vgpr6
	v_and_b32_e32 v7, 0x7fffffff, v3
	v_cmp_gt_u32_e32 vcc, s2, v7
	s_and_saveexec_b64 s[2:3], vcc
	s_xor_b64 s[2:3], exec, s[2:3]
	s_cbranch_execz .LBB73_380
; %bb.375:
	s_mov_b32 s4, 0x387fffff
	v_cmp_lt_u32_e32 vcc, s4, v7
                                        ; implicit-def: $vgpr6
	s_and_saveexec_b64 s[4:5], vcc
	s_xor_b64 s[4:5], exec, s[4:5]
; %bb.376:
	v_bfe_u32 v6, v3, 21, 1
	s_mov_b32 s6, 0x80fffff
	v_add3_u32 v6, v3, v6, s6
	v_lshrrev_b32_e32 v6, 21, v6
; %bb.377:
	s_andn2_saveexec_b64 s[4:5], s[4:5]
; %bb.378:
	s_mov_b32 s6, 0x43000000
	v_add_f32_e64 v6, |v3|, s6
; %bb.379:
	s_or_b64 exec, exec, s[4:5]
                                        ; implicit-def: $vgpr7
.LBB73_380:
	s_andn2_saveexec_b64 s[2:3], s[2:3]
; %bb.381:
	s_mov_b32 s4, 0x7f800000
	v_mov_b32_e32 v6, 0x7c
	v_mov_b32_e32 v8, 0x7f
	v_cmp_lt_u32_e32 vcc, s4, v7
	s_nop 1
	v_cndmask_b32_e32 v6, v6, v8, vcc
; %bb.382:
	s_or_b64 exec, exec, s[2:3]
	v_lshrrev_b32_e32 v3, 24, v3
	s_movk_i32 s2, 0x80
	v_and_or_b32 v3, v3, s2, v6
	global_store_byte v[0:1], v3, off
.LBB73_383:
	s_mov_b64 s[4:5], 0
	s_mov_b64 s[2:3], -1
.LBB73_384:
	s_andn2_b64 vcc, exec, s[4:5]
	s_cbranch_vccnz .LBB73_392
; %bb.385:
	s_cmp_gt_i32 s9, 14
	s_mov_b64 s[4:5], -1
	s_cbranch_scc0 .LBB73_389
; %bb.386:
	s_cmp_eq_u32 s9, 15
	s_mov_b64 s[0:1], -1
	s_cbranch_scc0 .LBB73_388
; %bb.387:
	v_cvt_f32_f16_e32 v3, v4
	s_movk_i32 s0, 0x7fff
	v_cmp_o_f16_e32 vcc, v4, v4
	v_mov_b32_e32 v6, 0x7fc0
	v_bfe_u32 v7, v3, 16, 1
	v_add3_u32 v3, v3, v7, s0
	v_cndmask_b32_sdwa v3, v6, v3, vcc dst_sel:DWORD dst_unused:UNUSED_PAD src0_sel:DWORD src1_sel:WORD_1
	global_store_short v[0:1], v3, off
	s_mov_b64 s[2:3], -1
	s_mov_b64 s[0:1], 0
.LBB73_388:
	s_mov_b64 s[4:5], 0
.LBB73_389:
	s_and_b64 vcc, exec, s[4:5]
	s_cbranch_vccz .LBB73_392
; %bb.390:
	s_cmp_eq_u32 s9, 11
	s_mov_b64 s[0:1], -1
	s_cbranch_scc0 .LBB73_392
; %bb.391:
	v_and_b32_e32 v3, 0x7fff7fff, v5
	v_cmp_ne_u32_e32 vcc, 0, v3
	s_mov_b64 s[2:3], -1
	s_mov_b64 s[0:1], 0
	v_cndmask_b32_e64 v3, 0, 1, vcc
	global_store_byte v[0:1], v3, off
.LBB73_392:
	s_mov_b64 s[4:5], 0
.LBB73_393:
	s_and_b64 vcc, exec, s[4:5]
	s_cbranch_vccz .LBB73_432
; %bb.394:
	s_and_b32 s4, 0xffff, s8
	s_cmp_lt_i32 s4, 5
	s_mov_b64 s[2:3], -1
	s_cbranch_scc1 .LBB73_415
; %bb.395:
	s_cmp_lt_i32 s4, 8
	s_cbranch_scc1 .LBB73_405
; %bb.396:
	s_cmp_lt_i32 s4, 9
	s_cbranch_scc1 .LBB73_402
; %bb.397:
	v_cvt_f32_f16_e32 v3, v2
	s_cmp_gt_i32 s4, 9
	s_cbranch_scc0 .LBB73_399
; %bb.398:
	v_cvt_f32_f16_e32 v2, v4
	v_cvt_f64_f32_e32 v[8:9], v3
	s_mov_b64 s[2:3], 0
	v_cvt_f64_f32_e32 v[6:7], v2
	global_store_dwordx4 v[0:1], v[6:9], off
.LBB73_399:
	s_andn2_b64 vcc, exec, s[2:3]
	s_cbranch_vccnz .LBB73_401
; %bb.400:
	v_cvt_f32_f16_e32 v2, v4
	global_store_dwordx2 v[0:1], v[2:3], off
.LBB73_401:
	s_mov_b64 s[2:3], 0
.LBB73_402:
	s_andn2_b64 vcc, exec, s[2:3]
	s_cbranch_vccnz .LBB73_404
; %bb.403:
	global_store_dword v[0:1], v5, off
.LBB73_404:
	s_mov_b64 s[2:3], 0
.LBB73_405:
	s_andn2_b64 vcc, exec, s[2:3]
	s_cbranch_vccnz .LBB73_414
; %bb.406:
	s_cmp_lt_i32 s4, 6
	s_mov_b64 s[2:3], -1
	s_cbranch_scc1 .LBB73_412
; %bb.407:
	s_cmp_gt_i32 s4, 6
	s_cbranch_scc0 .LBB73_409
; %bb.408:
	v_cvt_f32_f16_e32 v2, v4
	s_mov_b64 s[2:3], 0
	v_cvt_f64_f32_e32 v[2:3], v2
	global_store_dwordx2 v[0:1], v[2:3], off
.LBB73_409:
	s_andn2_b64 vcc, exec, s[2:3]
	s_cbranch_vccnz .LBB73_411
; %bb.410:
	v_cvt_f32_f16_e32 v2, v4
	global_store_dword v[0:1], v2, off
.LBB73_411:
	s_mov_b64 s[2:3], 0
.LBB73_412:
	s_andn2_b64 vcc, exec, s[2:3]
	s_cbranch_vccnz .LBB73_414
; %bb.413:
	global_store_short v[0:1], v4, off
.LBB73_414:
	s_mov_b64 s[2:3], 0
.LBB73_415:
	s_andn2_b64 vcc, exec, s[2:3]
	s_cbranch_vccnz .LBB73_431
; %bb.416:
	s_cmp_lt_i32 s4, 2
	s_mov_b64 s[2:3], -1
	s_cbranch_scc1 .LBB73_426
; %bb.417:
	s_cmp_lt_i32 s4, 3
	s_cbranch_scc1 .LBB73_423
; %bb.418:
	s_cmp_gt_i32 s4, 3
	s_cbranch_scc0 .LBB73_420
; %bb.419:
	v_cvt_f32_f16_e32 v2, v4
	s_mov_b64 s[2:3], 0
	v_cvt_i32_f32_e32 v2, v2
	v_ashrrev_i32_e32 v3, 31, v2
	global_store_dwordx2 v[0:1], v[2:3], off
.LBB73_420:
	s_andn2_b64 vcc, exec, s[2:3]
	s_cbranch_vccnz .LBB73_422
; %bb.421:
	v_cvt_f32_f16_e32 v2, v4
	v_cvt_i32_f32_e32 v2, v2
	global_store_dword v[0:1], v2, off
.LBB73_422:
	s_mov_b64 s[2:3], 0
.LBB73_423:
	s_andn2_b64 vcc, exec, s[2:3]
	s_cbranch_vccnz .LBB73_425
; %bb.424:
	v_cvt_i16_f16_e32 v2, v4
	global_store_short v[0:1], v2, off
.LBB73_425:
	s_mov_b64 s[2:3], 0
.LBB73_426:
	s_andn2_b64 vcc, exec, s[2:3]
	s_cbranch_vccnz .LBB73_431
; %bb.427:
	s_cmp_gt_i32 s4, 0
	s_mov_b64 s[2:3], -1
	s_cbranch_scc0 .LBB73_429
; %bb.428:
	v_cvt_i16_f16_e32 v2, v4
	s_mov_b64 s[2:3], 0
	global_store_byte v[0:1], v2, off
.LBB73_429:
	s_andn2_b64 vcc, exec, s[2:3]
	s_cbranch_vccnz .LBB73_431
; %bb.430:
	v_cvt_f32_f16_e32 v2, v4
	v_cvt_i32_f32_e32 v2, v2
	global_store_byte v[0:1], v2, off
.LBB73_431:
	s_mov_b64 s[2:3], -1
.LBB73_432:
	s_andn2_b64 vcc, exec, s[2:3]
	s_cbranch_vccnz .LBB73_434
; %bb.433:
	v_add_u32_e32 v21, 0x80, v21
	s_mov_b64 s[2:3], -1
	s_branch .LBB73_552
.LBB73_434:
	s_mov_b64 s[2:3], 0
	s_branch .LBB73_551
.LBB73_435:
	s_mov_b64 s[28:29], -1
                                        ; implicit-def: $vgpr2
.LBB73_436:
	v_mov_b32_e32 v3, 0
.LBB73_437:
	s_mov_b64 s[2:3], 0
.LBB73_438:
	s_and_b64 vcc, exec, s[2:3]
	s_cbranch_vccz .LBB73_443
; %bb.439:
	s_cmp_eq_u32 s6, 29
	s_cbranch_scc0 .LBB73_441
; %bb.440:
	global_load_dwordx2 v[2:3], v[0:1], off
	s_mov_b64 s[0:1], -1
	s_mov_b64 s[28:29], 0
	s_waitcnt vmcnt(0)
	v_ffbh_u32_e32 v4, v3
	v_min_u32_e32 v4, 32, v4
	v_lshlrev_b64 v[2:3], v4, v[2:3]
	v_min_u32_e32 v2, 1, v2
	v_or_b32_e32 v2, v3, v2
	v_cvt_f32_u32_e32 v2, v2
	v_sub_u32_e32 v3, 32, v4
	v_ldexp_f32 v2, v2, v3
	v_cvt_f16_f32_e32 v2, v2
	s_branch .LBB73_442
.LBB73_441:
	s_mov_b64 s[28:29], -1
                                        ; implicit-def: $vgpr2
.LBB73_442:
	v_mov_b32_e32 v3, 0
.LBB73_443:
	s_mov_b64 s[2:3], 0
.LBB73_444:
	s_and_b64 vcc, exec, s[2:3]
	s_cbranch_vccz .LBB73_462
; %bb.445:
	s_cmp_lt_i32 s6, 27
	s_cbranch_scc1 .LBB73_448
; %bb.446:
	s_cmp_gt_i32 s6, 27
	s_cbranch_scc0 .LBB73_449
; %bb.447:
	global_load_dword v2, v[0:1], off
	s_mov_b64 s[0:1], 0
	s_waitcnt vmcnt(0)
	v_cvt_f32_u32_e32 v2, v2
	v_cvt_f16_f32_e32 v2, v2
	s_branch .LBB73_450
.LBB73_448:
	s_mov_b64 s[0:1], -1
                                        ; implicit-def: $vgpr2
	s_branch .LBB73_453
.LBB73_449:
	s_mov_b64 s[0:1], -1
                                        ; implicit-def: $vgpr2
.LBB73_450:
	s_andn2_b64 vcc, exec, s[0:1]
	s_cbranch_vccnz .LBB73_452
; %bb.451:
	global_load_ushort v2, v[0:1], off
	s_waitcnt vmcnt(0)
	v_cvt_f16_u16_e32 v2, v2
.LBB73_452:
	s_mov_b64 s[0:1], 0
.LBB73_453:
	s_andn2_b64 vcc, exec, s[0:1]
	s_cbranch_vccnz .LBB73_461
; %bb.454:
	global_load_ubyte v3, v[0:1], off
	s_movk_i32 s0, 0x7f
	s_waitcnt vmcnt(0)
	v_cmp_lt_i16_e32 vcc, s0, v3
	s_mov_b64 s[0:1], 0
	s_and_saveexec_b64 s[2:3], vcc
	s_xor_b64 s[2:3], exec, s[2:3]
	s_cbranch_execz .LBB73_475
; %bb.455:
	s_movk_i32 s0, 0x80
	v_cmp_eq_u16_e32 vcc, s0, v3
	s_mov_b64 s[0:1], -1
	s_and_saveexec_b64 s[4:5], vcc
; %bb.456:
	s_xor_b64 s[0:1], exec, -1
; %bb.457:
	s_or_b64 exec, exec, s[4:5]
	s_and_b64 s[0:1], s[0:1], exec
	s_or_saveexec_b64 s[2:3], s[2:3]
	v_mov_b32_e32 v2, 0x7e00
	s_xor_b64 exec, exec, s[2:3]
	s_cbranch_execnz .LBB73_476
.LBB73_458:
	s_or_b64 exec, exec, s[2:3]
	s_and_saveexec_b64 s[2:3], s[0:1]
	s_cbranch_execz .LBB73_460
.LBB73_459:
	v_lshlrev_b32_e32 v2, 24, v3
	v_and_b32_e32 v3, 0xffff, v3
	v_and_b32_e32 v4, 7, v3
	v_ffbh_u32_e32 v6, v4
	v_min_u32_e32 v6, 32, v6
	v_subrev_u32_e32 v7, 28, v6
	v_bfe_u32 v5, v3, 3, 4
	v_lshlrev_b32_e32 v3, v7, v3
	v_sub_u32_e32 v6, 29, v6
	v_and_b32_e32 v3, 7, v3
	v_cmp_eq_u32_e32 vcc, 0, v5
	v_and_b32_e32 v2, 0x80000000, v2
	s_nop 0
	v_cndmask_b32_e32 v5, v5, v6, vcc
	v_cndmask_b32_e32 v3, v4, v3, vcc
	v_mov_b32_e32 v4, 0x3b800000
	v_lshlrev_b32_e32 v3, 20, v3
	v_lshl_add_u32 v4, v5, 23, v4
	v_or3_b32 v2, v2, v4, v3
	v_cvt_f16_f32_e32 v2, v2
.LBB73_460:
	s_or_b64 exec, exec, s[2:3]
.LBB73_461:
	s_mov_b64 s[0:1], -1
	v_mov_b32_e32 v3, 0
.LBB73_462:
	s_mov_b64 s[2:3], 0
.LBB73_463:
	s_and_b64 vcc, exec, s[2:3]
	s_cbranch_vccz .LBB73_499
; %bb.464:
	s_cmp_gt_i32 s6, 22
	s_cbranch_scc0 .LBB73_474
; %bb.465:
	s_cmp_lt_i32 s6, 24
	s_cbranch_scc1 .LBB73_477
; %bb.466:
	s_cmp_gt_i32 s6, 24
	s_cbranch_scc0 .LBB73_478
; %bb.467:
	global_load_ubyte v3, v[0:1], off
	s_movk_i32 s0, 0x7f
	s_waitcnt vmcnt(0)
	v_cmp_lt_i16_e32 vcc, s0, v3
	s_mov_b64 s[0:1], 0
	s_and_saveexec_b64 s[2:3], vcc
	s_xor_b64 s[2:3], exec, s[2:3]
	s_cbranch_execz .LBB73_490
; %bb.468:
	s_movk_i32 s0, 0x80
	v_cmp_eq_u16_e32 vcc, s0, v3
	s_mov_b64 s[0:1], -1
	s_and_saveexec_b64 s[4:5], vcc
; %bb.469:
	s_xor_b64 s[0:1], exec, -1
; %bb.470:
	s_or_b64 exec, exec, s[4:5]
	s_and_b64 s[0:1], s[0:1], exec
	s_or_saveexec_b64 s[2:3], s[2:3]
	v_mov_b32_e32 v2, 0x7e00
	s_xor_b64 exec, exec, s[2:3]
	s_cbranch_execnz .LBB73_491
.LBB73_471:
	s_or_b64 exec, exec, s[2:3]
	s_and_saveexec_b64 s[2:3], s[0:1]
	s_cbranch_execz .LBB73_473
.LBB73_472:
	v_lshlrev_b32_e32 v2, 24, v3
	v_and_b32_e32 v3, 0xffff, v3
	v_and_b32_e32 v4, 3, v3
	v_ffbh_u32_e32 v6, v4
	v_min_u32_e32 v6, 32, v6
	v_subrev_u32_e32 v7, 29, v6
	v_bfe_u32 v5, v3, 2, 5
	v_lshlrev_b32_e32 v3, v7, v3
	v_sub_u32_e32 v6, 30, v6
	v_and_b32_e32 v3, 3, v3
	v_cmp_eq_u32_e32 vcc, 0, v5
	v_and_b32_e32 v2, 0x80000000, v2
	s_nop 0
	v_cndmask_b32_e32 v5, v5, v6, vcc
	v_cndmask_b32_e32 v3, v4, v3, vcc
	v_mov_b32_e32 v4, 0x37800000
	v_lshlrev_b32_e32 v3, 21, v3
	v_lshl_add_u32 v4, v5, 23, v4
	v_or3_b32 v2, v2, v4, v3
	v_cvt_f16_f32_e32 v2, v2
.LBB73_473:
	s_or_b64 exec, exec, s[2:3]
	s_mov_b64 s[0:1], 0
	s_branch .LBB73_479
.LBB73_474:
	s_mov_b64 s[2:3], -1
                                        ; implicit-def: $vgpr2
	s_branch .LBB73_485
.LBB73_475:
	s_or_saveexec_b64 s[2:3], s[2:3]
	v_mov_b32_e32 v2, 0x7e00
	s_xor_b64 exec, exec, s[2:3]
	s_cbranch_execz .LBB73_458
.LBB73_476:
	v_cmp_ne_u16_e32 vcc, 0, v3
	s_andn2_b64 s[0:1], s[0:1], exec
	s_and_b64 s[4:5], vcc, exec
	s_or_b64 s[0:1], s[0:1], s[4:5]
	v_mov_b32_e32 v2, v3
	s_or_b64 exec, exec, s[2:3]
	s_and_saveexec_b64 s[2:3], s[0:1]
	s_cbranch_execnz .LBB73_459
	s_branch .LBB73_460
.LBB73_477:
	s_mov_b64 s[0:1], -1
                                        ; implicit-def: $vgpr2
	s_branch .LBB73_482
.LBB73_478:
	s_mov_b64 s[0:1], -1
                                        ; implicit-def: $vgpr2
.LBB73_479:
	s_and_b64 vcc, exec, s[0:1]
	s_cbranch_vccz .LBB73_481
; %bb.480:
	global_load_ubyte v2, v[0:1], off
	s_mov_b32 s0, 0x7f800000
	s_waitcnt vmcnt(0)
	v_lshlrev_b32_e32 v2, 24, v2
	v_and_b32_e32 v3, 0x7f000000, v2
	v_ffbh_u32_e32 v4, v3
	v_min_u32_e32 v4, 32, v4
	v_sub_u32_e64 v4, v4, 4 clamp
	v_lshlrev_b32_e32 v6, v4, v3
	v_lshlrev_b32_e32 v4, 23, v4
	v_lshrrev_b32_e32 v6, 4, v6
	v_add_u32_e32 v5, 0x1000000, v3
	v_sub_u32_e32 v4, v6, v4
	v_ashrrev_i32_e32 v5, 8, v5
	v_add_u32_e32 v4, 0x3c000000, v4
	v_and_or_b32 v4, v5, s0, v4
	v_cmp_ne_u32_e32 vcc, 0, v3
	s_brev_b32 s0, 1
	s_nop 0
	v_cndmask_b32_e32 v3, 0, v4, vcc
	v_and_or_b32 v2, v2, s0, v3
	v_cvt_f16_f32_e32 v2, v2
.LBB73_481:
	s_mov_b64 s[0:1], 0
.LBB73_482:
	s_andn2_b64 vcc, exec, s[0:1]
	s_cbranch_vccnz .LBB73_484
; %bb.483:
	global_load_ubyte v2, v[0:1], off
	s_movk_i32 s0, 0x7f00
	s_brev_b32 s1, 16
	s_waitcnt vmcnt(0)
	v_lshlrev_b16_e32 v3, 8, v2
	v_lshlrev_b32_e32 v2, 25, v2
	v_lshrrev_b32_e32 v4, 4, v2
	v_and_or_b32 v5, v3, s0, 0.5
	v_or_b32_e32 v4, 0x70000000, v4
	v_add_f32_e32 v5, -0.5, v5
	v_mul_f32_e32 v4, 0x7800000, v4
	v_cmp_gt_u32_e32 vcc, s1, v2
	v_bfe_i32 v3, v3, 0, 16
	s_brev_b32 s0, 1
	v_cndmask_b32_e32 v2, v4, v5, vcc
	v_and_or_b32 v2, v3, s0, v2
	v_cvt_f16_f32_e32 v2, v2
.LBB73_484:
	s_mov_b64 s[2:3], 0
	s_mov_b64 s[0:1], -1
.LBB73_485:
	s_andn2_b64 vcc, exec, s[2:3]
	s_cbranch_vccnz .LBB73_498
; %bb.486:
	s_cmp_gt_i32 s6, 14
	s_cbranch_scc0 .LBB73_489
; %bb.487:
	s_cmp_eq_u32 s6, 15
	s_cbranch_scc0 .LBB73_492
; %bb.488:
	global_load_ushort v2, v[0:1], off
	s_mov_b64 s[0:1], -1
	s_mov_b64 s[28:29], 0
	s_waitcnt vmcnt(0)
	v_lshlrev_b32_e32 v2, 16, v2
	v_cvt_f16_f32_e32 v2, v2
	s_branch .LBB73_493
.LBB73_489:
	s_mov_b64 s[2:3], -1
                                        ; implicit-def: $vgpr2
	s_branch .LBB73_494
.LBB73_490:
	s_or_saveexec_b64 s[2:3], s[2:3]
	v_mov_b32_e32 v2, 0x7e00
	s_xor_b64 exec, exec, s[2:3]
	s_cbranch_execz .LBB73_471
.LBB73_491:
	v_cmp_ne_u16_e32 vcc, 0, v3
	s_andn2_b64 s[0:1], s[0:1], exec
	s_and_b64 s[4:5], vcc, exec
	s_or_b64 s[0:1], s[0:1], s[4:5]
	v_mov_b32_e32 v2, v3
	s_or_b64 exec, exec, s[2:3]
	s_and_saveexec_b64 s[2:3], s[0:1]
	s_cbranch_execnz .LBB73_472
	s_branch .LBB73_473
.LBB73_492:
	s_mov_b64 s[28:29], -1
                                        ; implicit-def: $vgpr2
.LBB73_493:
	s_mov_b64 s[2:3], 0
.LBB73_494:
	s_and_b64 vcc, exec, s[2:3]
	s_cbranch_vccz .LBB73_498
; %bb.495:
	s_cmp_eq_u32 s6, 11
	s_cbranch_scc0 .LBB73_497
; %bb.496:
	global_load_ubyte v2, v[0:1], off
	v_mov_b32_e32 v3, 0x3c00
	s_mov_b64 s[0:1], -1
	s_mov_b64 s[28:29], 0
	s_waitcnt vmcnt(0)
	v_cmp_ne_u16_e32 vcc, 0, v2
	s_nop 1
	v_cndmask_b32_e32 v2, 0, v3, vcc
	s_branch .LBB73_498
.LBB73_497:
	s_mov_b64 s[28:29], -1
                                        ; implicit-def: $vgpr2
.LBB73_498:
	v_mov_b32_e32 v3, 0
.LBB73_499:
	s_branch .LBB73_299
.LBB73_500:
	s_cmp_lt_i32 s6, 5
	s_cbranch_scc1 .LBB73_505
; %bb.501:
	s_cmp_lt_i32 s6, 8
	s_cbranch_scc1 .LBB73_506
; %bb.502:
	;; [unrolled: 3-line block ×3, first 2 shown]
	s_cmp_gt_i32 s6, 9
	s_cbranch_scc0 .LBB73_508
; %bb.504:
	global_load_dwordx4 v[2:5], v[0:1], off
	s_movk_i32 s0, 0x1ff
	s_movk_i32 s1, 0xffe
	v_mov_b32_e32 v6, 0x7c00
	v_mov_b32_e32 v7, 0x7e00
	s_movk_i32 s2, 0x40f
	s_mov_b32 s3, 0x8000
	s_waitcnt vmcnt(0)
	v_and_or_b32 v2, v3, s0, v2
	v_and_or_b32 v4, v5, s0, v4
	v_cmp_ne_u32_e32 vcc, 0, v2
	v_lshrrev_b32_e32 v8, 8, v3
	v_bfe_u32 v9, v3, 20, 11
	v_cndmask_b32_e64 v2, 0, 1, vcc
	v_cmp_ne_u32_e32 vcc, 0, v4
	v_lshrrev_b32_e32 v10, 8, v5
	v_bfe_u32 v11, v5, 20, 11
	v_cndmask_b32_e64 v4, 0, 1, vcc
	v_and_or_b32 v2, v8, s1, v2
	v_sub_u32_e32 v12, 0x3f1, v9
	v_add_u32_e32 v9, 0xfffffc10, v9
	v_sub_u32_e32 v13, 0x3f1, v11
	v_and_or_b32 v4, v10, s1, v4
	v_cmp_ne_u32_e32 vcc, 0, v2
	v_add_u32_e32 v11, 0xfffffc10, v11
	v_med3_i32 v8, v12, 0, 13
	v_med3_i32 v10, v13, 0, 13
	v_or_b32_e32 v12, 0x1000, v2
	v_lshl_or_b32 v13, v9, 12, v2
	v_cndmask_b32_e32 v2, v6, v7, vcc
	v_cmp_ne_u32_e32 vcc, 0, v4
	v_or_b32_e32 v14, 0x1000, v4
	v_lshl_or_b32 v15, v11, 12, v4
	v_cndmask_b32_e32 v4, v6, v7, vcc
	v_lshrrev_b32_e32 v7, v8, v12
	v_lshrrev_b32_e32 v16, v10, v14
	v_lshlrev_b32_e32 v8, v8, v7
	v_lshlrev_b32_e32 v10, v10, v16
	v_cmp_ne_u32_e32 vcc, v8, v12
	v_lshrrev_b32_e32 v3, 16, v3
	v_lshrrev_b32_e32 v5, 16, v5
	v_cndmask_b32_e64 v8, 0, 1, vcc
	v_cmp_ne_u32_e32 vcc, v10, v14
	v_or_b32_e32 v7, v7, v8
	s_mov_b64 s[0:1], 0
	v_cndmask_b32_e64 v10, 0, 1, vcc
	v_cmp_gt_i32_e32 vcc, 1, v9
	v_or_b32_e32 v8, v16, v10
	s_nop 0
	v_cndmask_b32_e32 v7, v13, v7, vcc
	v_cmp_gt_i32_e32 vcc, 1, v11
	v_and_b32_e32 v10, 7, v7
	v_lshrrev_b32_e32 v7, 2, v7
	v_cndmask_b32_e32 v8, v15, v8, vcc
	v_cmp_lt_i32_e32 vcc, 5, v10
	v_and_b32_e32 v12, 7, v8
	v_lshrrev_b32_e32 v8, 2, v8
	v_cndmask_b32_e64 v13, 0, 1, vcc
	v_cmp_eq_u32_e32 vcc, 3, v10
	s_nop 1
	v_cndmask_b32_e64 v10, 0, 1, vcc
	v_cmp_lt_i32_e32 vcc, 5, v12
	v_or_b32_e32 v10, v10, v13
	v_add_u32_e32 v7, v7, v10
	v_cndmask_b32_e64 v14, 0, 1, vcc
	v_cmp_eq_u32_e32 vcc, 3, v12
	s_nop 1
	v_cndmask_b32_e64 v12, 0, 1, vcc
	v_or_b32_e32 v12, v12, v14
	v_cmp_gt_i32_e32 vcc, 31, v9
	v_add_u32_e32 v8, v8, v12
	s_nop 0
	v_cndmask_b32_e32 v7, v6, v7, vcc
	v_cmp_gt_i32_e32 vcc, 31, v11
	s_nop 1
	v_cndmask_b32_e32 v6, v6, v8, vcc
	v_cmp_eq_u32_e32 vcc, s2, v9
	s_nop 1
	v_cndmask_b32_e32 v2, v7, v2, vcc
	v_cmp_eq_u32_e32 vcc, s2, v11
	v_and_or_b32 v2, v3, s3, v2
	s_nop 0
	v_cndmask_b32_e32 v4, v6, v4, vcc
	v_and_or_b32 v3, v5, s3, v4
	s_branch .LBB73_509
.LBB73_505:
	s_mov_b64 s[0:1], -1
                                        ; implicit-def: $vgpr3
                                        ; implicit-def: $vgpr2
	s_branch .LBB73_528
.LBB73_506:
	s_mov_b64 s[0:1], -1
                                        ; implicit-def: $vgpr3
                                        ; implicit-def: $vgpr2
	s_branch .LBB73_515
.LBB73_507:
	s_mov_b64 s[0:1], -1
                                        ; implicit-def: $vgpr3
                                        ; implicit-def: $vgpr2
	s_branch .LBB73_512
.LBB73_508:
	s_mov_b64 s[0:1], -1
                                        ; implicit-def: $vgpr3
                                        ; implicit-def: $vgpr2
.LBB73_509:
	s_andn2_b64 vcc, exec, s[0:1]
	s_cbranch_vccnz .LBB73_511
; %bb.510:
	global_load_dwordx2 v[2:3], v[0:1], off
	s_waitcnt vmcnt(0)
	v_cvt_f16_f32_e32 v2, v2
	v_cvt_f16_f32_e32 v3, v3
.LBB73_511:
	s_mov_b64 s[0:1], 0
.LBB73_512:
	s_andn2_b64 vcc, exec, s[0:1]
	s_cbranch_vccnz .LBB73_514
; %bb.513:
	global_load_dword v2, v[0:1], off
	s_waitcnt vmcnt(0)
	v_lshrrev_b32_e32 v3, 16, v2
.LBB73_514:
	s_mov_b64 s[0:1], 0
.LBB73_515:
	s_andn2_b64 vcc, exec, s[0:1]
	s_cbranch_vccnz .LBB73_527
; %bb.516:
	s_cmp_lt_i32 s6, 6
	s_cbranch_scc1 .LBB73_519
; %bb.517:
	s_cmp_gt_i32 s6, 6
	s_cbranch_scc0 .LBB73_520
; %bb.518:
	global_load_dwordx2 v[2:3], v[0:1], off
	s_movk_i32 s0, 0x1ff
	s_movk_i32 s1, 0xffe
	v_mov_b32_e32 v4, 0x7c00
	v_mov_b32_e32 v5, 0x7e00
	s_movk_i32 s2, 0x40f
	s_mov_b32 s3, 0x8000
	s_waitcnt vmcnt(0)
	v_and_or_b32 v2, v3, s0, v2
	v_cmp_ne_u32_e32 vcc, 0, v2
	v_lshrrev_b32_e32 v6, 8, v3
	v_bfe_u32 v7, v3, 20, 11
	v_cndmask_b32_e64 v2, 0, 1, vcc
	v_sub_u32_e32 v8, 0x3f1, v7
	v_and_or_b32 v2, v6, s1, v2
	v_add_u32_e32 v7, 0xfffffc10, v7
	v_med3_i32 v6, v8, 0, 13
	v_or_b32_e32 v8, 0x1000, v2
	v_cmp_ne_u32_e32 vcc, 0, v2
	v_lshl_or_b32 v9, v7, 12, v2
	v_lshrrev_b32_e32 v3, 16, v3
	v_cndmask_b32_e32 v2, v4, v5, vcc
	v_lshrrev_b32_e32 v5, v6, v8
	v_lshlrev_b32_e32 v6, v6, v5
	v_cmp_ne_u32_e32 vcc, v6, v8
	s_mov_b64 s[0:1], 0
	s_nop 0
	v_cndmask_b32_e64 v6, 0, 1, vcc
	v_or_b32_e32 v5, v5, v6
	v_cmp_gt_i32_e32 vcc, 1, v7
	s_nop 1
	v_cndmask_b32_e32 v5, v9, v5, vcc
	v_and_b32_e32 v6, 7, v5
	v_cmp_lt_i32_e32 vcc, 5, v6
	v_lshrrev_b32_e32 v5, 2, v5
	s_nop 0
	v_cndmask_b32_e64 v8, 0, 1, vcc
	v_cmp_eq_u32_e32 vcc, 3, v6
	s_nop 1
	v_cndmask_b32_e64 v6, 0, 1, vcc
	v_or_b32_e32 v6, v6, v8
	v_add_u32_e32 v5, v5, v6
	v_cmp_gt_i32_e32 vcc, 31, v7
	s_nop 1
	v_cndmask_b32_e32 v4, v4, v5, vcc
	v_cmp_eq_u32_e32 vcc, s2, v7
	s_nop 1
	v_cndmask_b32_e32 v2, v4, v2, vcc
	v_and_or_b32 v2, v3, s3, v2
	s_branch .LBB73_521
.LBB73_519:
	s_mov_b64 s[0:1], -1
                                        ; implicit-def: $vgpr2
	s_branch .LBB73_524
.LBB73_520:
	s_mov_b64 s[0:1], -1
                                        ; implicit-def: $vgpr2
.LBB73_521:
	s_andn2_b64 vcc, exec, s[0:1]
	s_cbranch_vccnz .LBB73_523
; %bb.522:
	global_load_dword v2, v[0:1], off
	s_waitcnt vmcnt(0)
	v_cvt_f16_f32_e32 v2, v2
.LBB73_523:
	s_mov_b64 s[0:1], 0
.LBB73_524:
	s_andn2_b64 vcc, exec, s[0:1]
	s_cbranch_vccnz .LBB73_526
; %bb.525:
	global_load_ushort v2, v[0:1], off
.LBB73_526:
	v_mov_b32_e32 v3, 0
.LBB73_527:
	s_mov_b64 s[0:1], 0
.LBB73_528:
	s_andn2_b64 vcc, exec, s[0:1]
	s_cbranch_vccnz .LBB73_549
; %bb.529:
	s_cmp_lt_i32 s6, 2
	s_cbranch_scc1 .LBB73_533
; %bb.530:
	s_cmp_lt_i32 s6, 3
	s_cbranch_scc1 .LBB73_534
; %bb.531:
	s_cmp_gt_i32 s6, 3
	s_cbranch_scc0 .LBB73_535
; %bb.532:
	global_load_dwordx2 v[2:3], v[0:1], off
	s_mov_b64 s[0:1], 0
	s_waitcnt vmcnt(0)
	v_xor_b32_e32 v5, v2, v3
	v_ffbh_i32_e32 v4, v3
	v_ashrrev_i32_e32 v5, 31, v5
	v_add_u32_e32 v4, -1, v4
	v_add_u32_e32 v5, 32, v5
	v_min_u32_e32 v4, v4, v5
	v_lshlrev_b64 v[2:3], v4, v[2:3]
	v_min_u32_e32 v2, 1, v2
	v_or_b32_e32 v2, v3, v2
	v_cvt_f32_i32_e32 v2, v2
	v_sub_u32_e32 v3, 32, v4
	v_ldexp_f32 v2, v2, v3
	v_cvt_f16_f32_e32 v2, v2
	s_branch .LBB73_536
.LBB73_533:
	s_mov_b64 s[0:1], -1
                                        ; implicit-def: $vgpr2
	s_branch .LBB73_542
.LBB73_534:
	s_mov_b64 s[0:1], -1
                                        ; implicit-def: $vgpr2
	s_branch .LBB73_539
.LBB73_535:
	s_mov_b64 s[0:1], -1
                                        ; implicit-def: $vgpr2
.LBB73_536:
	s_andn2_b64 vcc, exec, s[0:1]
	s_cbranch_vccnz .LBB73_538
; %bb.537:
	global_load_dword v2, v[0:1], off
	s_waitcnt vmcnt(0)
	v_cvt_f32_i32_e32 v2, v2
	v_cvt_f16_f32_e32 v2, v2
.LBB73_538:
	s_mov_b64 s[0:1], 0
.LBB73_539:
	s_andn2_b64 vcc, exec, s[0:1]
	s_cbranch_vccnz .LBB73_541
; %bb.540:
	global_load_ushort v2, v[0:1], off
	s_waitcnt vmcnt(0)
	v_cvt_f16_i16_e32 v2, v2
.LBB73_541:
	s_mov_b64 s[0:1], 0
.LBB73_542:
	s_andn2_b64 vcc, exec, s[0:1]
	s_cbranch_vccnz .LBB73_548
; %bb.543:
	s_cmp_gt_i32 s6, 0
	s_cbranch_scc0 .LBB73_545
; %bb.544:
	global_load_sbyte v2, v[0:1], off
	s_mov_b64 s[0:1], 0
	s_waitcnt vmcnt(0)
	v_cvt_f16_i16_e32 v2, v2
	s_branch .LBB73_546
.LBB73_545:
	s_mov_b64 s[0:1], -1
                                        ; implicit-def: $vgpr2
.LBB73_546:
	s_andn2_b64 vcc, exec, s[0:1]
	s_cbranch_vccnz .LBB73_548
; %bb.547:
	global_load_ubyte v0, v[0:1], off
	s_waitcnt vmcnt(0)
	v_cvt_f16_u16_e32 v2, v0
.LBB73_548:
	v_mov_b32_e32 v3, 0
.LBB73_549:
	s_branch .LBB73_300
.LBB73_550:
	s_mov_b64 s[2:3], 0
	s_mov_b64 s[0:1], s[54:55]
.LBB73_551:
                                        ; implicit-def: $vgpr21
.LBB73_552:
	s_andn2_b64 s[4:5], s[54:55], exec
	s_and_b64 s[0:1], s[0:1], exec
	s_or_b64 s[62:63], s[4:5], s[0:1]
	s_andn2_b64 s[0:1], s[56:57], exec
	s_and_b64 s[4:5], s[28:29], exec
	s_or_b64 s[60:61], s[0:1], s[4:5]
	s_orn2_b64 s[0:1], s[2:3], exec
.LBB73_553:
	s_or_b64 exec, exec, s[64:65]
	s_mov_b64 s[2:3], 0
	s_mov_b64 s[4:5], 0
	;; [unrolled: 1-line block ×3, first 2 shown]
                                        ; implicit-def: $vgpr0_vgpr1
                                        ; implicit-def: $vgpr22
                                        ; implicit-def: $vgpr5
                                        ; implicit-def: $vgpr3
	s_and_saveexec_b64 s[64:65], s[0:1]
	s_cbranch_execz .LBB73_938
; %bb.554:
	v_cmp_gt_i32_e32 vcc, s70, v21
	s_mov_b64 s[2:3], -1
	s_mov_b64 s[16:17], s[60:61]
	s_mov_b64 s[68:69], s[62:63]
	s_and_saveexec_b64 s[66:67], vcc
	s_cbranch_execz .LBB73_834
; %bb.555:
	s_andn2_b64 vcc, exec, s[42:43]
	s_cbranch_vccnz .LBB73_561
; %bb.556:
	s_andn2_b64 vcc, exec, s[52:53]
	s_cbranch_vccnz .LBB73_562
; %bb.557:
	s_add_i32 s76, s75, 1
	s_cmp_eq_u32 s72, 2
	s_cbranch_scc1 .LBB73_563
; %bb.558:
	s_and_b32 s71, s76, 28
	s_mov_b32 s77, 0
	v_mov_b32_e32 v22, 0
	v_mov_b32_e32 v0, 0
	s_mov_b64 s[16:17], s[34:35]
	s_mov_b64 s[68:69], s[50:51]
	s_waitcnt vmcnt(0)
	v_mov_b32_e32 v2, v21
.LBB73_559:                             ; =>This Inner Loop Header: Depth=1
	s_load_dwordx8 s[8:15], s[16:17], 0x4
	s_load_dwordx4 s[28:31], s[16:17], 0x24
	s_load_dwordx8 s[0:7], s[68:69], 0x0
	s_add_u32 s16, s16, 48
	s_addc_u32 s17, s17, 0
	s_waitcnt lgkmcnt(0)
	v_mul_hi_u32 v1, s9, v2
	v_add_u32_e32 v1, v2, v1
	v_lshrrev_b32_e32 v1, s10, v1
	v_mul_lo_u32 v3, v1, s8
	v_mul_hi_u32 v4, s12, v1
	v_sub_u32_e32 v2, v2, v3
	v_add_u32_e32 v3, v1, v4
	v_lshrrev_b32_e32 v3, s13, v3
	v_mul_lo_u32 v5, v3, s11
	v_mul_hi_u32 v6, s15, v3
	v_sub_u32_e32 v1, v1, v5
	v_add_u32_e32 v5, v3, v6
	v_mul_lo_u32 v4, v2, s1
	v_mul_lo_u32 v2, v2, s0
	;; [unrolled: 1-line block ×4, first 2 shown]
	v_lshrrev_b32_e32 v5, s28, v5
	v_add3_u32 v1, v2, v22, v1
	v_add3_u32 v0, v4, v0, v6
	v_mul_lo_u32 v2, v5, s14
	v_mul_hi_u32 v4, s30, v5
	v_sub_u32_e32 v2, v3, v2
	v_add_u32_e32 v3, v5, v4
	v_mul_lo_u32 v4, v2, s4
	v_mul_lo_u32 v6, v2, s5
	v_lshrrev_b32_e32 v2, s31, v3
	s_add_i32 s77, s77, 4
	v_mul_lo_u32 v3, v2, s29
	s_add_u32 s68, s68, 32
	v_sub_u32_e32 v3, v5, v3
	s_addc_u32 s69, s69, 0
	v_mul_lo_u32 v5, v3, s6
	v_mul_lo_u32 v3, v3, s7
	s_cmp_eq_u32 s71, s77
	v_add3_u32 v0, v6, v0, v3
	v_add3_u32 v22, v4, v1, v5
	s_cbranch_scc0 .LBB73_559
; %bb.560:
	v_mov_b32_e32 v1, v0
	s_branch .LBB73_564
.LBB73_561:
	s_mov_b64 s[0:1], -1
                                        ; implicit-def: $vgpr0
                                        ; implicit-def: $vgpr22
	s_branch .LBB73_568
.LBB73_562:
	v_mov_b32_e32 v0, 0
	v_mov_b32_e32 v22, 0
	s_branch .LBB73_567
.LBB73_563:
	v_mov_b32_e32 v22, 0
	s_mov_b32 s71, 0
	v_mov_b32_e32 v1, v22
                                        ; implicit-def: $vgpr0
	s_waitcnt vmcnt(0)
	v_mov_b32_e32 v2, v21
.LBB73_564:
	s_and_b32 s4, s76, 3
	s_cmp_eq_u32 s4, 0
	s_cbranch_scc1 .LBB73_567
; %bb.565:
	s_lshl_b32 s0, s71, 3
	s_add_u32 s0, s34, s0
	s_addc_u32 s1, s35, 0
	s_add_u32 s0, s0, 0xc4
	s_addc_u32 s1, s1, 0
	s_mul_i32 s2, s71, 12
	s_add_u32 s2, s34, s2
	s_addc_u32 s3, s35, 0
.LBB73_566:                             ; =>This Inner Loop Header: Depth=1
	s_load_dwordx2 s[6:7], s[2:3], 0x4
	s_load_dword s5, s[2:3], 0xc
	s_load_dwordx2 s[8:9], s[0:1], 0x0
	v_mov_b32_e32 v0, v1
	s_add_u32 s2, s2, 12
	s_waitcnt lgkmcnt(0)
	v_mul_hi_u32 v1, s7, v2
	v_add_u32_e32 v1, v2, v1
	v_lshrrev_b32_e32 v1, s5, v1
	s_addc_u32 s3, s3, 0
	v_mul_lo_u32 v3, v1, s6
	s_add_u32 s0, s0, 8
	v_sub_u32_e32 v3, v2, v3
	s_addc_u32 s1, s1, 0
	s_add_i32 s4, s4, -1
	v_mov_b32_e32 v2, v1
	v_mad_u64_u32 v[0:1], s[6:7], v3, s9, v[0:1]
	s_cmp_lg_u32 s4, 0
	v_mad_u64_u32 v[22:23], s[6:7], v3, s8, v[22:23]
	v_mov_b32_e32 v1, v0
	s_cbranch_scc1 .LBB73_566
.LBB73_567:
	s_mov_b64 s[0:1], 0
.LBB73_568:
	s_andn2_b64 vcc, exec, s[0:1]
	s_cbranch_vccnz .LBB73_571
; %bb.569:
	s_waitcnt lgkmcnt(0)
	v_mul_hi_u32 v0, s37, v21
	v_add_u32_e32 v0, v21, v0
	v_lshrrev_b32_e32 v1, s38, v0
	v_mul_lo_u32 v0, v1, s36
	s_waitcnt vmcnt(0)
	v_sub_u32_e32 v2, v21, v0
	v_mul_lo_u32 v0, v2, s25
	s_andn2_b64 vcc, exec, s[48:49]
	v_mul_lo_u32 v22, v2, s24
	s_cbranch_vccnz .LBB73_571
; %bb.570:
	v_mul_hi_u32 v2, s46, v1
	v_add_u32_e32 v2, v1, v2
	v_lshrrev_b32_e32 v2, s47, v2
	v_mul_lo_u32 v2, v2, s39
	v_sub_u32_e32 v1, v1, v2
	v_mad_u64_u32 v[22:23], s[0:1], v1, s26, v[22:23]
	v_mad_u64_u32 v[0:1], s[0:1], v1, s27, v[0:1]
.LBB73_571:
	v_mov_b32_e32 v1, 0
	s_and_b32 s6, 0xffff, s74
	s_cmp_lt_i32 s6, 11
	s_waitcnt lgkmcnt(0)
	v_lshl_add_u64 v[0:1], s[22:23], 0, v[0:1]
	s_cbranch_scc1 .LBB73_578
; %bb.572:
	s_cmp_gt_i32 s6, 25
	s_cbranch_scc0 .LBB73_579
; %bb.573:
	s_cmp_gt_i32 s6, 28
	s_cbranch_scc0 .LBB73_580
	;; [unrolled: 3-line block ×4, first 2 shown]
; %bb.576:
	s_cmp_eq_u32 s6, 46
	s_mov_b64 s[2:3], 0
	s_cbranch_scc0 .LBB73_587
; %bb.577:
	global_load_dword v2, v[0:1], off
	s_mov_b64 s[0:1], -1
	s_mov_b64 s[28:29], 0
	s_waitcnt vmcnt(0)
	v_and_b32_e32 v3, 0xffff0000, v2
	v_lshlrev_b32_e32 v2, 16, v2
	v_cvt_f16_f32_e32 v2, v2
	v_cvt_f16_f32_e32 v3, v3
	s_branch .LBB73_588
.LBB73_578:
	s_mov_b64 s[2:3], -1
	s_mov_b64 s[0:1], 0
                                        ; implicit-def: $vgpr3
                                        ; implicit-def: $vgpr2
	s_mov_b64 s[28:29], s[60:61]
	s_branch .LBB73_656
.LBB73_579:
	s_mov_b64 s[2:3], -1
	s_mov_b64 s[0:1], 0
	s_mov_b64 s[28:29], s[60:61]
                                        ; implicit-def: $vgpr3
                                        ; implicit-def: $vgpr2
	s_branch .LBB73_619
.LBB73_580:
	s_mov_b64 s[2:3], -1
	s_mov_b64 s[0:1], 0
	s_mov_b64 s[28:29], s[60:61]
                                        ; implicit-def: $vgpr3
                                        ; implicit-def: $vgpr2
	s_branch .LBB73_600
.LBB73_581:
	s_mov_b64 s[2:3], -1
	s_mov_b64 s[0:1], 0
	s_mov_b64 s[28:29], s[60:61]
                                        ; implicit-def: $vgpr3
                                        ; implicit-def: $vgpr2
	s_branch .LBB73_594
.LBB73_582:
	s_andn2_saveexec_b64 s[6:7], s[6:7]
	s_cbranch_execz .LBB73_345
.LBB73_583:
	s_mov_b32 s10, 0x46000000
	v_add_f32_e64 v6, |v3|, s10
	v_and_b32_e32 v6, 0xff, v6
	v_cmp_ne_u32_e32 vcc, 0, v6
	s_andn2_b64 s[4:5], s[4:5], exec
	s_and_b64 s[10:11], vcc, exec
	s_or_b64 s[4:5], s[4:5], s[10:11]
	s_or_b64 exec, exec, s[6:7]
	v_mov_b32_e32 v7, 0
	s_and_saveexec_b64 s[6:7], s[4:5]
	s_cbranch_execnz .LBB73_346
	s_branch .LBB73_347
.LBB73_584:
	s_mov_b64 s[2:3], -1
	s_mov_b64 s[0:1], 0
	s_mov_b64 s[28:29], s[60:61]
                                        ; implicit-def: $vgpr3
                                        ; implicit-def: $vgpr2
	s_branch .LBB73_588
.LBB73_585:
	s_andn2_saveexec_b64 s[6:7], s[6:7]
	s_cbranch_execz .LBB73_358
.LBB73_586:
	s_mov_b32 s10, 0x42800000
	v_add_f32_e64 v6, |v3|, s10
	v_and_b32_e32 v6, 0xff, v6
	v_cmp_ne_u32_e32 vcc, 0, v6
	s_andn2_b64 s[4:5], s[4:5], exec
	s_and_b64 s[10:11], vcc, exec
	s_or_b64 s[4:5], s[4:5], s[10:11]
	s_or_b64 exec, exec, s[6:7]
	v_mov_b32_e32 v7, 0
	s_and_saveexec_b64 s[6:7], s[4:5]
	s_cbranch_execnz .LBB73_359
	s_branch .LBB73_360
.LBB73_587:
	s_mov_b64 s[28:29], -1
                                        ; implicit-def: $vgpr3
                                        ; implicit-def: $vgpr2
	s_mov_b64 s[0:1], 0
.LBB73_588:
	s_and_b64 vcc, exec, s[2:3]
	s_cbranch_vccz .LBB73_593
; %bb.589:
	s_cmp_eq_u32 s6, 44
	s_cbranch_scc0 .LBB73_591
; %bb.590:
	global_load_ubyte v2, v[0:1], off
	s_movk_i32 s2, 0xff
	v_mov_b32_e32 v4, 0x7e00
	s_mov_b64 s[0:1], -1
	s_mov_b64 s[28:29], 0
	s_waitcnt vmcnt(0)
	v_lshlrev_b32_e32 v3, 23, v2
	v_cvt_f16_f32_e32 v3, v3
	v_cmp_ne_u32_e32 vcc, s2, v2
	s_nop 1
	v_cndmask_b32_e32 v3, v4, v3, vcc
	v_cmp_ne_u32_e32 vcc, 0, v2
	s_nop 1
	v_cndmask_b32_e32 v2, 0, v3, vcc
	s_branch .LBB73_592
.LBB73_591:
	s_mov_b64 s[28:29], -1
                                        ; implicit-def: $vgpr2
.LBB73_592:
	v_mov_b32_e32 v3, 0
.LBB73_593:
	s_mov_b64 s[2:3], 0
.LBB73_594:
	s_and_b64 vcc, exec, s[2:3]
	s_cbranch_vccz .LBB73_599
; %bb.595:
	s_cmp_eq_u32 s6, 29
	s_cbranch_scc0 .LBB73_597
; %bb.596:
	global_load_dwordx2 v[2:3], v[0:1], off
	s_mov_b64 s[0:1], -1
	s_mov_b64 s[28:29], 0
	s_waitcnt vmcnt(0)
	v_ffbh_u32_e32 v4, v3
	v_min_u32_e32 v4, 32, v4
	v_lshlrev_b64 v[2:3], v4, v[2:3]
	v_min_u32_e32 v2, 1, v2
	v_or_b32_e32 v2, v3, v2
	v_cvt_f32_u32_e32 v2, v2
	v_sub_u32_e32 v3, 32, v4
	v_ldexp_f32 v2, v2, v3
	v_cvt_f16_f32_e32 v2, v2
	s_branch .LBB73_598
.LBB73_597:
	s_mov_b64 s[28:29], -1
                                        ; implicit-def: $vgpr2
.LBB73_598:
	v_mov_b32_e32 v3, 0
.LBB73_599:
	s_mov_b64 s[2:3], 0
.LBB73_600:
	s_and_b64 vcc, exec, s[2:3]
	s_cbranch_vccz .LBB73_618
; %bb.601:
	s_cmp_lt_i32 s6, 27
	s_cbranch_scc1 .LBB73_604
; %bb.602:
	s_cmp_gt_i32 s6, 27
	s_cbranch_scc0 .LBB73_605
; %bb.603:
	global_load_dword v2, v[0:1], off
	s_mov_b64 s[0:1], 0
	s_waitcnt vmcnt(0)
	v_cvt_f32_u32_e32 v2, v2
	v_cvt_f16_f32_e32 v2, v2
	s_branch .LBB73_606
.LBB73_604:
	s_mov_b64 s[0:1], -1
                                        ; implicit-def: $vgpr2
	s_branch .LBB73_609
.LBB73_605:
	s_mov_b64 s[0:1], -1
                                        ; implicit-def: $vgpr2
.LBB73_606:
	s_andn2_b64 vcc, exec, s[0:1]
	s_cbranch_vccnz .LBB73_608
; %bb.607:
	global_load_ushort v2, v[0:1], off
	s_waitcnt vmcnt(0)
	v_cvt_f16_u16_e32 v2, v2
.LBB73_608:
	s_mov_b64 s[0:1], 0
.LBB73_609:
	s_andn2_b64 vcc, exec, s[0:1]
	s_cbranch_vccnz .LBB73_617
; %bb.610:
	global_load_ubyte v3, v[0:1], off
	s_movk_i32 s0, 0x7f
	s_waitcnt vmcnt(0)
	v_cmp_lt_i16_e32 vcc, s0, v3
	s_mov_b64 s[0:1], 0
	s_and_saveexec_b64 s[2:3], vcc
	s_xor_b64 s[2:3], exec, s[2:3]
	s_cbranch_execz .LBB73_631
; %bb.611:
	s_movk_i32 s0, 0x80
	v_cmp_eq_u16_e32 vcc, s0, v3
	s_mov_b64 s[0:1], -1
	s_and_saveexec_b64 s[4:5], vcc
; %bb.612:
	s_xor_b64 s[0:1], exec, -1
; %bb.613:
	s_or_b64 exec, exec, s[4:5]
	s_and_b64 s[0:1], s[0:1], exec
	s_or_saveexec_b64 s[2:3], s[2:3]
	v_mov_b32_e32 v2, 0x7e00
	s_xor_b64 exec, exec, s[2:3]
	s_cbranch_execnz .LBB73_632
.LBB73_614:
	s_or_b64 exec, exec, s[2:3]
	s_and_saveexec_b64 s[2:3], s[0:1]
	s_cbranch_execz .LBB73_616
.LBB73_615:
	v_lshlrev_b32_e32 v2, 24, v3
	v_and_b32_e32 v3, 0xffff, v3
	v_and_b32_e32 v4, 7, v3
	v_ffbh_u32_e32 v6, v4
	v_min_u32_e32 v6, 32, v6
	v_subrev_u32_e32 v7, 28, v6
	v_bfe_u32 v5, v3, 3, 4
	v_lshlrev_b32_e32 v3, v7, v3
	v_sub_u32_e32 v6, 29, v6
	v_and_b32_e32 v3, 7, v3
	v_cmp_eq_u32_e32 vcc, 0, v5
	v_and_b32_e32 v2, 0x80000000, v2
	s_nop 0
	v_cndmask_b32_e32 v5, v5, v6, vcc
	v_cndmask_b32_e32 v3, v4, v3, vcc
	v_mov_b32_e32 v4, 0x3b800000
	v_lshlrev_b32_e32 v3, 20, v3
	v_lshl_add_u32 v4, v5, 23, v4
	v_or3_b32 v2, v2, v4, v3
	v_cvt_f16_f32_e32 v2, v2
.LBB73_616:
	s_or_b64 exec, exec, s[2:3]
.LBB73_617:
	s_mov_b64 s[0:1], -1
	v_mov_b32_e32 v3, 0
.LBB73_618:
	s_mov_b64 s[2:3], 0
.LBB73_619:
	s_and_b64 vcc, exec, s[2:3]
	s_cbranch_vccz .LBB73_655
; %bb.620:
	s_cmp_gt_i32 s6, 22
	s_cbranch_scc0 .LBB73_630
; %bb.621:
	s_cmp_lt_i32 s6, 24
	s_cbranch_scc1 .LBB73_633
; %bb.622:
	s_cmp_gt_i32 s6, 24
	s_cbranch_scc0 .LBB73_634
; %bb.623:
	global_load_ubyte v3, v[0:1], off
	s_movk_i32 s0, 0x7f
	s_waitcnt vmcnt(0)
	v_cmp_lt_i16_e32 vcc, s0, v3
	s_mov_b64 s[0:1], 0
	s_and_saveexec_b64 s[2:3], vcc
	s_xor_b64 s[2:3], exec, s[2:3]
	s_cbranch_execz .LBB73_646
; %bb.624:
	s_movk_i32 s0, 0x80
	v_cmp_eq_u16_e32 vcc, s0, v3
	s_mov_b64 s[0:1], -1
	s_and_saveexec_b64 s[4:5], vcc
; %bb.625:
	s_xor_b64 s[0:1], exec, -1
; %bb.626:
	s_or_b64 exec, exec, s[4:5]
	s_and_b64 s[0:1], s[0:1], exec
	s_or_saveexec_b64 s[2:3], s[2:3]
	v_mov_b32_e32 v2, 0x7e00
	s_xor_b64 exec, exec, s[2:3]
	s_cbranch_execnz .LBB73_647
.LBB73_627:
	s_or_b64 exec, exec, s[2:3]
	s_and_saveexec_b64 s[2:3], s[0:1]
	s_cbranch_execz .LBB73_629
.LBB73_628:
	v_lshlrev_b32_e32 v2, 24, v3
	v_and_b32_e32 v3, 0xffff, v3
	v_and_b32_e32 v4, 3, v3
	v_ffbh_u32_e32 v6, v4
	v_min_u32_e32 v6, 32, v6
	v_subrev_u32_e32 v7, 29, v6
	v_bfe_u32 v5, v3, 2, 5
	v_lshlrev_b32_e32 v3, v7, v3
	v_sub_u32_e32 v6, 30, v6
	v_and_b32_e32 v3, 3, v3
	v_cmp_eq_u32_e32 vcc, 0, v5
	v_and_b32_e32 v2, 0x80000000, v2
	s_nop 0
	v_cndmask_b32_e32 v5, v5, v6, vcc
	v_cndmask_b32_e32 v3, v4, v3, vcc
	v_mov_b32_e32 v4, 0x37800000
	v_lshlrev_b32_e32 v3, 21, v3
	v_lshl_add_u32 v4, v5, 23, v4
	v_or3_b32 v2, v2, v4, v3
	v_cvt_f16_f32_e32 v2, v2
.LBB73_629:
	s_or_b64 exec, exec, s[2:3]
	s_mov_b64 s[0:1], 0
	s_branch .LBB73_635
.LBB73_630:
	s_mov_b64 s[2:3], -1
                                        ; implicit-def: $vgpr2
	s_branch .LBB73_641
.LBB73_631:
	s_or_saveexec_b64 s[2:3], s[2:3]
	v_mov_b32_e32 v2, 0x7e00
	s_xor_b64 exec, exec, s[2:3]
	s_cbranch_execz .LBB73_614
.LBB73_632:
	v_cmp_ne_u16_e32 vcc, 0, v3
	s_andn2_b64 s[0:1], s[0:1], exec
	s_and_b64 s[4:5], vcc, exec
	s_or_b64 s[0:1], s[0:1], s[4:5]
	v_mov_b32_e32 v2, v3
	s_or_b64 exec, exec, s[2:3]
	s_and_saveexec_b64 s[2:3], s[0:1]
	s_cbranch_execnz .LBB73_615
	s_branch .LBB73_616
.LBB73_633:
	s_mov_b64 s[0:1], -1
                                        ; implicit-def: $vgpr2
	s_branch .LBB73_638
.LBB73_634:
	s_mov_b64 s[0:1], -1
                                        ; implicit-def: $vgpr2
.LBB73_635:
	s_and_b64 vcc, exec, s[0:1]
	s_cbranch_vccz .LBB73_637
; %bb.636:
	global_load_ubyte v2, v[0:1], off
	s_mov_b32 s0, 0x7f800000
	s_waitcnt vmcnt(0)
	v_lshlrev_b32_e32 v2, 24, v2
	v_and_b32_e32 v3, 0x7f000000, v2
	v_ffbh_u32_e32 v4, v3
	v_min_u32_e32 v4, 32, v4
	v_sub_u32_e64 v4, v4, 4 clamp
	v_lshlrev_b32_e32 v6, v4, v3
	v_lshlrev_b32_e32 v4, 23, v4
	v_lshrrev_b32_e32 v6, 4, v6
	v_add_u32_e32 v5, 0x1000000, v3
	v_sub_u32_e32 v4, v6, v4
	v_ashrrev_i32_e32 v5, 8, v5
	v_add_u32_e32 v4, 0x3c000000, v4
	v_and_or_b32 v4, v5, s0, v4
	v_cmp_ne_u32_e32 vcc, 0, v3
	s_brev_b32 s0, 1
	s_nop 0
	v_cndmask_b32_e32 v3, 0, v4, vcc
	v_and_or_b32 v2, v2, s0, v3
	v_cvt_f16_f32_e32 v2, v2
.LBB73_637:
	s_mov_b64 s[0:1], 0
.LBB73_638:
	s_andn2_b64 vcc, exec, s[0:1]
	s_cbranch_vccnz .LBB73_640
; %bb.639:
	global_load_ubyte v2, v[0:1], off
	s_movk_i32 s0, 0x7f00
	s_brev_b32 s1, 16
	s_waitcnt vmcnt(0)
	v_lshlrev_b16_e32 v3, 8, v2
	v_lshlrev_b32_e32 v2, 25, v2
	v_lshrrev_b32_e32 v4, 4, v2
	v_and_or_b32 v5, v3, s0, 0.5
	v_or_b32_e32 v4, 0x70000000, v4
	v_add_f32_e32 v5, -0.5, v5
	v_mul_f32_e32 v4, 0x7800000, v4
	v_cmp_gt_u32_e32 vcc, s1, v2
	v_bfe_i32 v3, v3, 0, 16
	s_brev_b32 s0, 1
	v_cndmask_b32_e32 v2, v4, v5, vcc
	v_and_or_b32 v2, v3, s0, v2
	v_cvt_f16_f32_e32 v2, v2
.LBB73_640:
	s_mov_b64 s[2:3], 0
	s_mov_b64 s[0:1], -1
.LBB73_641:
	s_andn2_b64 vcc, exec, s[2:3]
	s_cbranch_vccnz .LBB73_654
; %bb.642:
	s_cmp_gt_i32 s6, 14
	s_cbranch_scc0 .LBB73_645
; %bb.643:
	s_cmp_eq_u32 s6, 15
	s_cbranch_scc0 .LBB73_648
; %bb.644:
	global_load_ushort v2, v[0:1], off
	s_mov_b64 s[0:1], -1
	s_mov_b64 s[28:29], 0
	s_waitcnt vmcnt(0)
	v_lshlrev_b32_e32 v2, 16, v2
	v_cvt_f16_f32_e32 v2, v2
	s_branch .LBB73_649
.LBB73_645:
	s_mov_b64 s[2:3], -1
                                        ; implicit-def: $vgpr2
	s_branch .LBB73_650
.LBB73_646:
	s_or_saveexec_b64 s[2:3], s[2:3]
	v_mov_b32_e32 v2, 0x7e00
	s_xor_b64 exec, exec, s[2:3]
	s_cbranch_execz .LBB73_627
.LBB73_647:
	v_cmp_ne_u16_e32 vcc, 0, v3
	s_andn2_b64 s[0:1], s[0:1], exec
	s_and_b64 s[4:5], vcc, exec
	s_or_b64 s[0:1], s[0:1], s[4:5]
	v_mov_b32_e32 v2, v3
	s_or_b64 exec, exec, s[2:3]
	s_and_saveexec_b64 s[2:3], s[0:1]
	s_cbranch_execnz .LBB73_628
	s_branch .LBB73_629
.LBB73_648:
	s_mov_b64 s[28:29], -1
                                        ; implicit-def: $vgpr2
.LBB73_649:
	s_mov_b64 s[2:3], 0
.LBB73_650:
	s_and_b64 vcc, exec, s[2:3]
	s_cbranch_vccz .LBB73_654
; %bb.651:
	s_cmp_eq_u32 s6, 11
	s_cbranch_scc0 .LBB73_653
; %bb.652:
	global_load_ubyte v2, v[0:1], off
	v_mov_b32_e32 v3, 0x3c00
	s_mov_b64 s[0:1], -1
	s_mov_b64 s[28:29], 0
	s_waitcnt vmcnt(0)
	v_cmp_ne_u16_e32 vcc, 0, v2
	s_nop 1
	v_cndmask_b32_e32 v2, 0, v3, vcc
	s_branch .LBB73_654
.LBB73_653:
	s_mov_b64 s[28:29], -1
                                        ; implicit-def: $vgpr2
.LBB73_654:
	v_mov_b32_e32 v3, 0
.LBB73_655:
	s_mov_b64 s[2:3], 0
.LBB73_656:
	s_and_b64 vcc, exec, s[2:3]
	s_cbranch_vccz .LBB73_707
; %bb.657:
	s_cmp_lt_i32 s6, 5
	s_cbranch_scc1 .LBB73_662
; %bb.658:
	s_cmp_lt_i32 s6, 8
	s_cbranch_scc1 .LBB73_663
	;; [unrolled: 3-line block ×3, first 2 shown]
; %bb.660:
	s_cmp_gt_i32 s6, 9
	s_cbranch_scc0 .LBB73_665
; %bb.661:
	global_load_dwordx4 v[2:5], v[0:1], off
	s_movk_i32 s0, 0x1ff
	s_movk_i32 s1, 0xffe
	v_mov_b32_e32 v6, 0x7c00
	v_mov_b32_e32 v7, 0x7e00
	s_movk_i32 s2, 0x40f
	s_mov_b32 s3, 0x8000
	s_waitcnt vmcnt(0)
	v_and_or_b32 v2, v3, s0, v2
	v_and_or_b32 v4, v5, s0, v4
	v_cmp_ne_u32_e32 vcc, 0, v2
	v_lshrrev_b32_e32 v8, 8, v3
	v_bfe_u32 v9, v3, 20, 11
	v_cndmask_b32_e64 v2, 0, 1, vcc
	v_cmp_ne_u32_e32 vcc, 0, v4
	v_lshrrev_b32_e32 v10, 8, v5
	v_bfe_u32 v11, v5, 20, 11
	v_cndmask_b32_e64 v4, 0, 1, vcc
	v_and_or_b32 v2, v8, s1, v2
	v_sub_u32_e32 v12, 0x3f1, v9
	v_add_u32_e32 v9, 0xfffffc10, v9
	v_sub_u32_e32 v13, 0x3f1, v11
	v_and_or_b32 v4, v10, s1, v4
	v_cmp_ne_u32_e32 vcc, 0, v2
	v_add_u32_e32 v11, 0xfffffc10, v11
	v_med3_i32 v8, v12, 0, 13
	v_med3_i32 v10, v13, 0, 13
	v_or_b32_e32 v12, 0x1000, v2
	v_lshl_or_b32 v13, v9, 12, v2
	v_cndmask_b32_e32 v2, v6, v7, vcc
	v_cmp_ne_u32_e32 vcc, 0, v4
	v_or_b32_e32 v14, 0x1000, v4
	v_lshl_or_b32 v15, v11, 12, v4
	v_cndmask_b32_e32 v4, v6, v7, vcc
	v_lshrrev_b32_e32 v7, v8, v12
	v_lshrrev_b32_e32 v16, v10, v14
	v_lshlrev_b32_e32 v8, v8, v7
	v_lshlrev_b32_e32 v10, v10, v16
	v_cmp_ne_u32_e32 vcc, v8, v12
	v_lshrrev_b32_e32 v3, 16, v3
	v_lshrrev_b32_e32 v5, 16, v5
	v_cndmask_b32_e64 v8, 0, 1, vcc
	v_cmp_ne_u32_e32 vcc, v10, v14
	v_or_b32_e32 v7, v7, v8
	s_mov_b64 s[0:1], 0
	v_cndmask_b32_e64 v10, 0, 1, vcc
	v_cmp_gt_i32_e32 vcc, 1, v9
	v_or_b32_e32 v8, v16, v10
	s_nop 0
	v_cndmask_b32_e32 v7, v13, v7, vcc
	v_cmp_gt_i32_e32 vcc, 1, v11
	v_and_b32_e32 v10, 7, v7
	v_lshrrev_b32_e32 v7, 2, v7
	v_cndmask_b32_e32 v8, v15, v8, vcc
	v_cmp_lt_i32_e32 vcc, 5, v10
	v_and_b32_e32 v12, 7, v8
	v_lshrrev_b32_e32 v8, 2, v8
	v_cndmask_b32_e64 v13, 0, 1, vcc
	v_cmp_eq_u32_e32 vcc, 3, v10
	s_nop 1
	v_cndmask_b32_e64 v10, 0, 1, vcc
	v_cmp_lt_i32_e32 vcc, 5, v12
	v_or_b32_e32 v10, v10, v13
	v_add_u32_e32 v7, v7, v10
	v_cndmask_b32_e64 v14, 0, 1, vcc
	v_cmp_eq_u32_e32 vcc, 3, v12
	s_nop 1
	v_cndmask_b32_e64 v12, 0, 1, vcc
	v_or_b32_e32 v12, v12, v14
	v_cmp_gt_i32_e32 vcc, 31, v9
	v_add_u32_e32 v8, v8, v12
	s_nop 0
	v_cndmask_b32_e32 v7, v6, v7, vcc
	v_cmp_gt_i32_e32 vcc, 31, v11
	s_nop 1
	v_cndmask_b32_e32 v6, v6, v8, vcc
	v_cmp_eq_u32_e32 vcc, s2, v9
	s_nop 1
	v_cndmask_b32_e32 v2, v7, v2, vcc
	v_cmp_eq_u32_e32 vcc, s2, v11
	v_and_or_b32 v2, v3, s3, v2
	s_nop 0
	v_cndmask_b32_e32 v4, v6, v4, vcc
	v_and_or_b32 v3, v5, s3, v4
	s_branch .LBB73_666
.LBB73_662:
	s_mov_b64 s[0:1], -1
                                        ; implicit-def: $vgpr3
                                        ; implicit-def: $vgpr2
	s_branch .LBB73_685
.LBB73_663:
	s_mov_b64 s[0:1], -1
                                        ; implicit-def: $vgpr3
                                        ; implicit-def: $vgpr2
	s_branch .LBB73_672
.LBB73_664:
	s_mov_b64 s[0:1], -1
                                        ; implicit-def: $vgpr3
                                        ; implicit-def: $vgpr2
	s_branch .LBB73_669
.LBB73_665:
	s_mov_b64 s[0:1], -1
                                        ; implicit-def: $vgpr3
                                        ; implicit-def: $vgpr2
.LBB73_666:
	s_andn2_b64 vcc, exec, s[0:1]
	s_cbranch_vccnz .LBB73_668
; %bb.667:
	global_load_dwordx2 v[2:3], v[0:1], off
	s_waitcnt vmcnt(0)
	v_cvt_f16_f32_e32 v2, v2
	v_cvt_f16_f32_e32 v3, v3
.LBB73_668:
	s_mov_b64 s[0:1], 0
.LBB73_669:
	s_andn2_b64 vcc, exec, s[0:1]
	s_cbranch_vccnz .LBB73_671
; %bb.670:
	global_load_dword v2, v[0:1], off
	s_waitcnt vmcnt(0)
	v_lshrrev_b32_e32 v3, 16, v2
.LBB73_671:
	s_mov_b64 s[0:1], 0
.LBB73_672:
	s_andn2_b64 vcc, exec, s[0:1]
	s_cbranch_vccnz .LBB73_684
; %bb.673:
	s_cmp_lt_i32 s6, 6
	s_cbranch_scc1 .LBB73_676
; %bb.674:
	s_cmp_gt_i32 s6, 6
	s_cbranch_scc0 .LBB73_677
; %bb.675:
	global_load_dwordx2 v[2:3], v[0:1], off
	s_movk_i32 s0, 0x1ff
	s_movk_i32 s1, 0xffe
	v_mov_b32_e32 v4, 0x7c00
	v_mov_b32_e32 v5, 0x7e00
	s_movk_i32 s2, 0x40f
	s_mov_b32 s3, 0x8000
	s_waitcnt vmcnt(0)
	v_and_or_b32 v2, v3, s0, v2
	v_cmp_ne_u32_e32 vcc, 0, v2
	v_lshrrev_b32_e32 v6, 8, v3
	v_bfe_u32 v7, v3, 20, 11
	v_cndmask_b32_e64 v2, 0, 1, vcc
	v_sub_u32_e32 v8, 0x3f1, v7
	v_and_or_b32 v2, v6, s1, v2
	v_add_u32_e32 v7, 0xfffffc10, v7
	v_med3_i32 v6, v8, 0, 13
	v_or_b32_e32 v8, 0x1000, v2
	v_cmp_ne_u32_e32 vcc, 0, v2
	v_lshl_or_b32 v9, v7, 12, v2
	v_lshrrev_b32_e32 v3, 16, v3
	v_cndmask_b32_e32 v2, v4, v5, vcc
	v_lshrrev_b32_e32 v5, v6, v8
	v_lshlrev_b32_e32 v6, v6, v5
	v_cmp_ne_u32_e32 vcc, v6, v8
	s_mov_b64 s[0:1], 0
	s_nop 0
	v_cndmask_b32_e64 v6, 0, 1, vcc
	v_or_b32_e32 v5, v5, v6
	v_cmp_gt_i32_e32 vcc, 1, v7
	s_nop 1
	v_cndmask_b32_e32 v5, v9, v5, vcc
	v_and_b32_e32 v6, 7, v5
	v_cmp_lt_i32_e32 vcc, 5, v6
	v_lshrrev_b32_e32 v5, 2, v5
	s_nop 0
	v_cndmask_b32_e64 v8, 0, 1, vcc
	v_cmp_eq_u32_e32 vcc, 3, v6
	s_nop 1
	v_cndmask_b32_e64 v6, 0, 1, vcc
	v_or_b32_e32 v6, v6, v8
	v_add_u32_e32 v5, v5, v6
	v_cmp_gt_i32_e32 vcc, 31, v7
	s_nop 1
	v_cndmask_b32_e32 v4, v4, v5, vcc
	v_cmp_eq_u32_e32 vcc, s2, v7
	s_nop 1
	v_cndmask_b32_e32 v2, v4, v2, vcc
	v_and_or_b32 v2, v3, s3, v2
	s_branch .LBB73_678
.LBB73_676:
	s_mov_b64 s[0:1], -1
                                        ; implicit-def: $vgpr2
	s_branch .LBB73_681
.LBB73_677:
	s_mov_b64 s[0:1], -1
                                        ; implicit-def: $vgpr2
.LBB73_678:
	s_andn2_b64 vcc, exec, s[0:1]
	s_cbranch_vccnz .LBB73_680
; %bb.679:
	global_load_dword v2, v[0:1], off
	s_waitcnt vmcnt(0)
	v_cvt_f16_f32_e32 v2, v2
.LBB73_680:
	s_mov_b64 s[0:1], 0
.LBB73_681:
	s_andn2_b64 vcc, exec, s[0:1]
	s_cbranch_vccnz .LBB73_683
; %bb.682:
	global_load_ushort v2, v[0:1], off
.LBB73_683:
	v_mov_b32_e32 v3, 0
.LBB73_684:
	s_mov_b64 s[0:1], 0
.LBB73_685:
	s_andn2_b64 vcc, exec, s[0:1]
	s_cbranch_vccnz .LBB73_706
; %bb.686:
	s_cmp_lt_i32 s6, 2
	s_cbranch_scc1 .LBB73_690
; %bb.687:
	s_cmp_lt_i32 s6, 3
	s_cbranch_scc1 .LBB73_691
; %bb.688:
	s_cmp_gt_i32 s6, 3
	s_cbranch_scc0 .LBB73_692
; %bb.689:
	global_load_dwordx2 v[2:3], v[0:1], off
	s_mov_b64 s[0:1], 0
	s_waitcnt vmcnt(0)
	v_xor_b32_e32 v5, v2, v3
	v_ffbh_i32_e32 v4, v3
	v_ashrrev_i32_e32 v5, 31, v5
	v_add_u32_e32 v4, -1, v4
	v_add_u32_e32 v5, 32, v5
	v_min_u32_e32 v4, v4, v5
	v_lshlrev_b64 v[2:3], v4, v[2:3]
	v_min_u32_e32 v2, 1, v2
	v_or_b32_e32 v2, v3, v2
	v_cvt_f32_i32_e32 v2, v2
	v_sub_u32_e32 v3, 32, v4
	v_ldexp_f32 v2, v2, v3
	v_cvt_f16_f32_e32 v2, v2
	s_branch .LBB73_693
.LBB73_690:
	s_mov_b64 s[0:1], -1
                                        ; implicit-def: $vgpr2
	s_branch .LBB73_699
.LBB73_691:
	s_mov_b64 s[0:1], -1
                                        ; implicit-def: $vgpr2
	s_branch .LBB73_696
.LBB73_692:
	s_mov_b64 s[0:1], -1
                                        ; implicit-def: $vgpr2
.LBB73_693:
	s_andn2_b64 vcc, exec, s[0:1]
	s_cbranch_vccnz .LBB73_695
; %bb.694:
	global_load_dword v2, v[0:1], off
	s_waitcnt vmcnt(0)
	v_cvt_f32_i32_e32 v2, v2
	v_cvt_f16_f32_e32 v2, v2
.LBB73_695:
	s_mov_b64 s[0:1], 0
.LBB73_696:
	s_andn2_b64 vcc, exec, s[0:1]
	s_cbranch_vccnz .LBB73_698
; %bb.697:
	global_load_ushort v2, v[0:1], off
	s_waitcnt vmcnt(0)
	v_cvt_f16_i16_e32 v2, v2
.LBB73_698:
	s_mov_b64 s[0:1], 0
.LBB73_699:
	s_andn2_b64 vcc, exec, s[0:1]
	s_cbranch_vccnz .LBB73_705
; %bb.700:
	s_cmp_gt_i32 s6, 0
	s_cbranch_scc0 .LBB73_702
; %bb.701:
	global_load_sbyte v2, v[0:1], off
	s_mov_b64 s[0:1], 0
	s_waitcnt vmcnt(0)
	v_cvt_f16_i16_e32 v2, v2
	s_branch .LBB73_703
.LBB73_702:
	s_mov_b64 s[0:1], -1
                                        ; implicit-def: $vgpr2
.LBB73_703:
	s_andn2_b64 vcc, exec, s[0:1]
	s_cbranch_vccnz .LBB73_705
; %bb.704:
	global_load_ubyte v0, v[0:1], off
	s_waitcnt vmcnt(0)
	v_cvt_f16_u16_e32 v2, v0
.LBB73_705:
	v_mov_b32_e32 v3, 0
.LBB73_706:
	s_mov_b64 s[0:1], -1
.LBB73_707:
	s_andn2_b64 vcc, exec, s[0:1]
	s_cbranch_vccnz .LBB73_715
; %bb.708:
	s_waitcnt vmcnt(0)
	v_cvt_f32_f16_e32 v0, v2
	v_cvt_f32_f16_e32 v1, v3
	s_getpc_b64 s[0:1]
	s_add_u32 s0, s0, _ZN16c10_complex_math3expIfEEN3c107complexIT_EERKS4_@rel32@lo+4
	s_addc_u32 s1, s1, _ZN16c10_complex_math3expIfEEN3c107complexIT_EERKS4_@rel32@hi+12
	s_swappc_b64 s[30:31], s[0:1]
	v_cvt_f16_f32_e32 v2, v1
	v_cvt_f16_f32_e32 v4, v0
	v_mov_b32_e32 v23, 0
	s_and_b32 s8, s73, 0xff
	v_lshlrev_b32_e32 v0, 16, v2
	v_or_b32_e32 v5, v0, v4
	s_cmp_lt_i32 s8, 11
	v_lshl_add_u64 v[0:1], s[20:21], 0, v[22:23]
	s_cbranch_scc1 .LBB73_716
; %bb.709:
	s_and_b32 s9, 0xffff, s8
	s_cmp_gt_i32 s9, 25
	s_cbranch_scc0 .LBB73_717
; %bb.710:
	s_cmp_gt_i32 s9, 28
	s_cbranch_scc0 .LBB73_718
; %bb.711:
	;; [unrolled: 3-line block ×4, first 2 shown]
	s_mov_b64 s[4:5], 0
	s_mov_b64 s[0:1], -1
	s_cmp_eq_u32 s9, 46
	s_mov_b64 s[2:3], 0
	s_cbranch_scc0 .LBB73_721
; %bb.714:
	v_cvt_f32_f16_e32 v6, v2
	v_cvt_f32_f16_e32 v3, v4
	s_movk_i32 s0, 0x7fff
	v_cmp_o_f16_e32 vcc, v2, v2
	v_bfe_u32 v8, v6, 16, 1
	v_bfe_u32 v7, v3, 16, 1
	v_add3_u32 v6, v6, v8, s0
	v_add3_u32 v3, v3, v7, s0
	v_and_b32_e32 v6, 0xffff0000, v6
	v_mov_b32_e32 v7, 0x7fc00000
	v_cndmask_b32_e32 v6, v7, v6, vcc
	v_cmp_o_f16_e32 vcc, v4, v4
	v_mov_b32_e32 v7, 0x7fc0
	s_mov_b64 s[2:3], -1
	v_cndmask_b32_sdwa v3, v7, v3, vcc dst_sel:DWORD dst_unused:UNUSED_PAD src0_sel:DWORD src1_sel:WORD_1
	v_or_b32_e32 v3, v6, v3
	global_store_dword v[0:1], v3, off
	s_mov_b64 s[0:1], 0
	s_branch .LBB73_721
.LBB73_715:
	s_mov_b64 s[2:3], 0
	s_mov_b64 s[0:1], s[62:63]
	s_branch .LBB73_832
.LBB73_716:
	s_mov_b64 s[4:5], -1
	s_mov_b64 s[2:3], 0
	s_mov_b64 s[0:1], s[62:63]
	s_branch .LBB73_790
.LBB73_717:
	s_mov_b64 s[4:5], -1
	s_mov_b64 s[2:3], 0
	s_mov_b64 s[0:1], s[62:63]
	s_branch .LBB73_748
.LBB73_718:
	s_mov_b64 s[4:5], -1
	s_mov_b64 s[2:3], 0
	s_mov_b64 s[0:1], s[62:63]
	s_branch .LBB73_731
.LBB73_719:
	s_mov_b64 s[4:5], -1
	s_mov_b64 s[2:3], 0
	s_mov_b64 s[0:1], s[62:63]
	s_branch .LBB73_727
.LBB73_720:
	s_mov_b64 s[4:5], -1
	s_mov_b64 s[2:3], 0
	s_mov_b64 s[0:1], s[62:63]
.LBB73_721:
	s_and_b64 vcc, exec, s[4:5]
	s_cbranch_vccz .LBB73_726
; %bb.722:
	s_cmp_eq_u32 s9, 44
	s_mov_b64 s[0:1], -1
	s_cbranch_scc0 .LBB73_726
; %bb.723:
	v_cvt_f32_f16_e32 v3, v4
	s_movk_i32 s0, 0xff
	v_mov_b32_e32 v7, 0xff
	v_bfe_u32 v6, v3, 23, 8
	v_cmp_ne_u32_e32 vcc, s0, v6
	s_and_saveexec_b64 s[2:3], vcc
; %bb.724:
	s_mov_b32 s0, 0x3fffff
	v_lshrrev_b32_e32 v7, 23, v3
	v_and_b32_e32 v8, 0x400000, v3
	v_and_or_b32 v3, v3, s0, v6
	v_cmp_ne_u32_e32 vcc, 0, v8
	v_cmp_ne_u32_e64 s[0:1], 0, v3
	s_and_b64 s[0:1], vcc, s[0:1]
	s_nop 0
	v_cndmask_b32_e64 v3, 0, 1, s[0:1]
	v_add_u32_e32 v7, v7, v3
; %bb.725:
	s_or_b64 exec, exec, s[2:3]
	s_mov_b64 s[2:3], -1
	s_mov_b64 s[0:1], 0
	global_store_byte v[0:1], v7, off
.LBB73_726:
	s_mov_b64 s[4:5], 0
.LBB73_727:
	s_and_b64 vcc, exec, s[4:5]
	s_cbranch_vccz .LBB73_730
; %bb.728:
	s_cmp_eq_u32 s9, 29
	s_mov_b64 s[0:1], -1
	s_cbranch_scc0 .LBB73_730
; %bb.729:
	v_cvt_f32_f16_e32 v3, v4
	v_mov_b32_e32 v7, 0
	s_mov_b64 s[2:3], -1
	s_mov_b64 s[0:1], 0
	v_cvt_u32_f32_e32 v6, v3
	s_mov_b64 s[4:5], 0
	global_store_dwordx2 v[0:1], v[6:7], off
	s_branch .LBB73_731
.LBB73_730:
	s_mov_b64 s[4:5], 0
.LBB73_731:
	s_and_b64 vcc, exec, s[4:5]
	s_cbranch_vccz .LBB73_747
; %bb.732:
	s_cmp_lt_i32 s9, 27
	s_mov_b64 s[2:3], -1
	s_cbranch_scc1 .LBB73_738
; %bb.733:
	s_cmp_gt_i32 s9, 27
	s_cbranch_scc0 .LBB73_735
; %bb.734:
	v_cvt_f32_f16_e32 v3, v4
	s_mov_b64 s[2:3], 0
	v_cvt_u32_f32_e32 v3, v3
	global_store_dword v[0:1], v3, off
.LBB73_735:
	s_andn2_b64 vcc, exec, s[2:3]
	s_cbranch_vccnz .LBB73_737
; %bb.736:
	v_cvt_u16_f16_e32 v3, v4
	global_store_short v[0:1], v3, off
.LBB73_737:
	s_mov_b64 s[2:3], 0
.LBB73_738:
	s_andn2_b64 vcc, exec, s[2:3]
	s_cbranch_vccnz .LBB73_746
; %bb.739:
	v_cvt_f32_f16_e32 v3, v4
	s_mov_b32 s2, 0x43800000
	v_mov_b32_e32 v7, 0x80
	v_and_b32_e32 v6, 0x7fffffff, v3
	v_cmp_gt_u32_e32 vcc, s2, v6
	s_and_saveexec_b64 s[2:3], vcc
	s_cbranch_execz .LBB73_745
; %bb.740:
	s_mov_b32 s4, 0x3bffffff
	v_cmp_lt_u32_e32 vcc, s4, v6
	s_mov_b64 s[4:5], 0
                                        ; implicit-def: $vgpr6
	s_and_saveexec_b64 s[6:7], vcc
	s_xor_b64 s[6:7], exec, s[6:7]
	s_cbranch_execz .LBB73_863
; %bb.741:
	v_bfe_u32 v6, v3, 20, 1
	s_mov_b32 s10, 0x487ffff
	v_add3_u32 v6, v3, v6, s10
	s_mov_b64 s[4:5], exec
	v_lshrrev_b32_e32 v6, 20, v6
	s_andn2_saveexec_b64 s[6:7], s[6:7]
	s_cbranch_execnz .LBB73_864
.LBB73_742:
	s_or_b64 exec, exec, s[6:7]
	v_mov_b32_e32 v7, 0
	s_and_saveexec_b64 s[6:7], s[4:5]
.LBB73_743:
	v_lshrrev_b32_e32 v3, 24, v3
	s_movk_i32 s4, 0x80
	v_and_or_b32 v7, v3, s4, v6
.LBB73_744:
	s_or_b64 exec, exec, s[6:7]
.LBB73_745:
	s_or_b64 exec, exec, s[2:3]
	global_store_byte v[0:1], v7, off
.LBB73_746:
	s_mov_b64 s[2:3], -1
.LBB73_747:
	s_mov_b64 s[4:5], 0
.LBB73_748:
	s_and_b64 vcc, exec, s[4:5]
	s_cbranch_vccz .LBB73_789
; %bb.749:
	s_cmp_gt_i32 s9, 22
	s_mov_b64 s[4:5], -1
	s_cbranch_scc0 .LBB73_781
; %bb.750:
	s_cmp_lt_i32 s9, 24
	s_mov_b64 s[2:3], -1
	s_cbranch_scc1 .LBB73_770
; %bb.751:
	s_cmp_gt_i32 s9, 24
	s_cbranch_scc0 .LBB73_759
; %bb.752:
	v_cvt_f32_f16_e32 v3, v4
	s_mov_b32 s2, 0x47800000
	v_mov_b32_e32 v7, 0x80
	v_and_b32_e32 v6, 0x7fffffff, v3
	v_cmp_gt_u32_e32 vcc, s2, v6
	s_and_saveexec_b64 s[2:3], vcc
	s_cbranch_execz .LBB73_758
; %bb.753:
	s_mov_b32 s4, 0x37ffffff
	v_cmp_lt_u32_e32 vcc, s4, v6
	s_mov_b64 s[4:5], 0
                                        ; implicit-def: $vgpr6
	s_and_saveexec_b64 s[6:7], vcc
	s_xor_b64 s[6:7], exec, s[6:7]
	s_cbranch_execz .LBB73_866
; %bb.754:
	v_bfe_u32 v6, v3, 21, 1
	s_mov_b32 s10, 0x88fffff
	v_add3_u32 v6, v3, v6, s10
	s_mov_b64 s[4:5], exec
	v_lshrrev_b32_e32 v6, 21, v6
	s_andn2_saveexec_b64 s[6:7], s[6:7]
	s_cbranch_execnz .LBB73_867
.LBB73_755:
	s_or_b64 exec, exec, s[6:7]
	v_mov_b32_e32 v7, 0
	s_and_saveexec_b64 s[6:7], s[4:5]
.LBB73_756:
	v_lshrrev_b32_e32 v3, 24, v3
	s_movk_i32 s4, 0x80
	v_and_or_b32 v7, v3, s4, v6
.LBB73_757:
	s_or_b64 exec, exec, s[6:7]
.LBB73_758:
	s_or_b64 exec, exec, s[2:3]
	s_mov_b64 s[2:3], 0
	global_store_byte v[0:1], v7, off
.LBB73_759:
	s_and_b64 vcc, exec, s[2:3]
	s_cbranch_vccz .LBB73_769
; %bb.760:
	v_cvt_f32_f16_e32 v3, v4
	s_mov_b32 s2, 0x43f00000
                                        ; implicit-def: $vgpr6
	v_and_b32_e32 v7, 0x7fffffff, v3
	v_cmp_gt_u32_e32 vcc, s2, v7
	s_and_saveexec_b64 s[2:3], vcc
	s_xor_b64 s[2:3], exec, s[2:3]
	s_cbranch_execz .LBB73_766
; %bb.761:
	s_mov_b32 s4, 0x3c7fffff
	v_cmp_lt_u32_e32 vcc, s4, v7
                                        ; implicit-def: $vgpr6
	s_and_saveexec_b64 s[4:5], vcc
	s_xor_b64 s[4:5], exec, s[4:5]
; %bb.762:
	v_bfe_u32 v6, v3, 20, 1
	s_mov_b32 s6, 0x407ffff
	v_add3_u32 v6, v3, v6, s6
	v_lshrrev_b32_e32 v7, 20, v6
	v_and_b32_e32 v6, 0xff00000, v6
	s_mov_b32 s6, 0x7f00000
	v_mov_b32_e32 v8, 0x7e
	v_cmp_ne_u32_e32 vcc, s6, v6
	s_nop 1
	v_cndmask_b32_e32 v6, v8, v7, vcc
; %bb.763:
	s_andn2_saveexec_b64 s[4:5], s[4:5]
; %bb.764:
	s_mov_b32 s6, 0x46800000
	v_add_f32_e64 v6, |v3|, s6
; %bb.765:
	s_or_b64 exec, exec, s[4:5]
                                        ; implicit-def: $vgpr7
.LBB73_766:
	s_andn2_saveexec_b64 s[2:3], s[2:3]
; %bb.767:
	s_mov_b32 s4, 0x7f800000
	v_mov_b32_e32 v6, 0x7e
	v_mov_b32_e32 v8, 0x7f
	v_cmp_lt_u32_e32 vcc, s4, v7
	s_nop 1
	v_cndmask_b32_e32 v6, v6, v8, vcc
; %bb.768:
	s_or_b64 exec, exec, s[2:3]
	v_lshrrev_b32_e32 v3, 24, v3
	s_movk_i32 s2, 0x80
	v_and_or_b32 v3, v3, s2, v6
	global_store_byte v[0:1], v3, off
.LBB73_769:
	s_mov_b64 s[2:3], 0
.LBB73_770:
	s_andn2_b64 vcc, exec, s[2:3]
	s_cbranch_vccnz .LBB73_780
; %bb.771:
	v_cvt_f32_f16_e32 v3, v4
	s_mov_b32 s2, 0x47800000
                                        ; implicit-def: $vgpr6
	v_and_b32_e32 v7, 0x7fffffff, v3
	v_cmp_gt_u32_e32 vcc, s2, v7
	s_and_saveexec_b64 s[2:3], vcc
	s_xor_b64 s[2:3], exec, s[2:3]
	s_cbranch_execz .LBB73_777
; %bb.772:
	s_mov_b32 s4, 0x387fffff
	v_cmp_lt_u32_e32 vcc, s4, v7
                                        ; implicit-def: $vgpr6
	s_and_saveexec_b64 s[4:5], vcc
	s_xor_b64 s[4:5], exec, s[4:5]
; %bb.773:
	v_bfe_u32 v6, v3, 21, 1
	s_mov_b32 s6, 0x80fffff
	v_add3_u32 v6, v3, v6, s6
	v_lshrrev_b32_e32 v6, 21, v6
; %bb.774:
	s_andn2_saveexec_b64 s[4:5], s[4:5]
; %bb.775:
	s_mov_b32 s6, 0x43000000
	v_add_f32_e64 v6, |v3|, s6
; %bb.776:
	s_or_b64 exec, exec, s[4:5]
                                        ; implicit-def: $vgpr7
.LBB73_777:
	s_andn2_saveexec_b64 s[2:3], s[2:3]
; %bb.778:
	s_mov_b32 s4, 0x7f800000
	v_mov_b32_e32 v6, 0x7c
	v_mov_b32_e32 v8, 0x7f
	v_cmp_lt_u32_e32 vcc, s4, v7
	s_nop 1
	v_cndmask_b32_e32 v6, v6, v8, vcc
; %bb.779:
	s_or_b64 exec, exec, s[2:3]
	v_lshrrev_b32_e32 v3, 24, v3
	s_movk_i32 s2, 0x80
	v_and_or_b32 v3, v3, s2, v6
	global_store_byte v[0:1], v3, off
.LBB73_780:
	s_mov_b64 s[4:5], 0
	s_mov_b64 s[2:3], -1
.LBB73_781:
	s_andn2_b64 vcc, exec, s[4:5]
	s_cbranch_vccnz .LBB73_789
; %bb.782:
	s_cmp_gt_i32 s9, 14
	s_mov_b64 s[4:5], -1
	s_cbranch_scc0 .LBB73_786
; %bb.783:
	s_cmp_eq_u32 s9, 15
	s_mov_b64 s[0:1], -1
	s_cbranch_scc0 .LBB73_785
; %bb.784:
	v_cvt_f32_f16_e32 v3, v4
	s_movk_i32 s0, 0x7fff
	v_cmp_o_f16_e32 vcc, v4, v4
	v_mov_b32_e32 v6, 0x7fc0
	v_bfe_u32 v7, v3, 16, 1
	v_add3_u32 v3, v3, v7, s0
	v_cndmask_b32_sdwa v3, v6, v3, vcc dst_sel:DWORD dst_unused:UNUSED_PAD src0_sel:DWORD src1_sel:WORD_1
	global_store_short v[0:1], v3, off
	s_mov_b64 s[2:3], -1
	s_mov_b64 s[0:1], 0
.LBB73_785:
	s_mov_b64 s[4:5], 0
.LBB73_786:
	s_and_b64 vcc, exec, s[4:5]
	s_cbranch_vccz .LBB73_789
; %bb.787:
	s_cmp_eq_u32 s9, 11
	s_mov_b64 s[0:1], -1
	s_cbranch_scc0 .LBB73_789
; %bb.788:
	v_and_b32_e32 v3, 0x7fff7fff, v5
	v_cmp_ne_u32_e32 vcc, 0, v3
	s_mov_b64 s[2:3], -1
	s_mov_b64 s[0:1], 0
	v_cndmask_b32_e64 v3, 0, 1, vcc
	global_store_byte v[0:1], v3, off
.LBB73_789:
	s_mov_b64 s[4:5], 0
.LBB73_790:
	s_and_b64 vcc, exec, s[4:5]
	s_cbranch_vccz .LBB73_829
; %bb.791:
	s_and_b32 s4, 0xffff, s8
	s_cmp_lt_i32 s4, 5
	s_mov_b64 s[2:3], -1
	s_cbranch_scc1 .LBB73_812
; %bb.792:
	s_cmp_lt_i32 s4, 8
	s_cbranch_scc1 .LBB73_802
; %bb.793:
	s_cmp_lt_i32 s4, 9
	s_cbranch_scc1 .LBB73_799
; %bb.794:
	v_cvt_f32_f16_e32 v3, v2
	s_cmp_gt_i32 s4, 9
	s_cbranch_scc0 .LBB73_796
; %bb.795:
	v_cvt_f32_f16_e32 v2, v4
	v_cvt_f64_f32_e32 v[8:9], v3
	s_mov_b64 s[2:3], 0
	v_cvt_f64_f32_e32 v[6:7], v2
	global_store_dwordx4 v[0:1], v[6:9], off
.LBB73_796:
	s_andn2_b64 vcc, exec, s[2:3]
	s_cbranch_vccnz .LBB73_798
; %bb.797:
	v_cvt_f32_f16_e32 v2, v4
	global_store_dwordx2 v[0:1], v[2:3], off
.LBB73_798:
	s_mov_b64 s[2:3], 0
.LBB73_799:
	s_andn2_b64 vcc, exec, s[2:3]
	s_cbranch_vccnz .LBB73_801
; %bb.800:
	global_store_dword v[0:1], v5, off
.LBB73_801:
	s_mov_b64 s[2:3], 0
.LBB73_802:
	s_andn2_b64 vcc, exec, s[2:3]
	s_cbranch_vccnz .LBB73_811
; %bb.803:
	s_cmp_lt_i32 s4, 6
	s_mov_b64 s[2:3], -1
	s_cbranch_scc1 .LBB73_809
; %bb.804:
	s_cmp_gt_i32 s4, 6
	s_cbranch_scc0 .LBB73_806
; %bb.805:
	v_cvt_f32_f16_e32 v2, v4
	s_mov_b64 s[2:3], 0
	v_cvt_f64_f32_e32 v[2:3], v2
	global_store_dwordx2 v[0:1], v[2:3], off
.LBB73_806:
	s_andn2_b64 vcc, exec, s[2:3]
	s_cbranch_vccnz .LBB73_808
; %bb.807:
	v_cvt_f32_f16_e32 v2, v4
	global_store_dword v[0:1], v2, off
.LBB73_808:
	s_mov_b64 s[2:3], 0
.LBB73_809:
	s_andn2_b64 vcc, exec, s[2:3]
	s_cbranch_vccnz .LBB73_811
; %bb.810:
	global_store_short v[0:1], v4, off
.LBB73_811:
	s_mov_b64 s[2:3], 0
.LBB73_812:
	s_andn2_b64 vcc, exec, s[2:3]
	s_cbranch_vccnz .LBB73_828
; %bb.813:
	s_cmp_lt_i32 s4, 2
	s_mov_b64 s[2:3], -1
	s_cbranch_scc1 .LBB73_823
; %bb.814:
	s_cmp_lt_i32 s4, 3
	s_cbranch_scc1 .LBB73_820
; %bb.815:
	s_cmp_gt_i32 s4, 3
	s_cbranch_scc0 .LBB73_817
; %bb.816:
	v_cvt_f32_f16_e32 v2, v4
	s_mov_b64 s[2:3], 0
	v_cvt_i32_f32_e32 v2, v2
	v_ashrrev_i32_e32 v3, 31, v2
	global_store_dwordx2 v[0:1], v[2:3], off
.LBB73_817:
	s_andn2_b64 vcc, exec, s[2:3]
	s_cbranch_vccnz .LBB73_819
; %bb.818:
	v_cvt_f32_f16_e32 v2, v4
	v_cvt_i32_f32_e32 v2, v2
	global_store_dword v[0:1], v2, off
.LBB73_819:
	s_mov_b64 s[2:3], 0
.LBB73_820:
	s_andn2_b64 vcc, exec, s[2:3]
	s_cbranch_vccnz .LBB73_822
; %bb.821:
	v_cvt_i16_f16_e32 v2, v4
	global_store_short v[0:1], v2, off
.LBB73_822:
	s_mov_b64 s[2:3], 0
.LBB73_823:
	s_andn2_b64 vcc, exec, s[2:3]
	s_cbranch_vccnz .LBB73_828
; %bb.824:
	s_cmp_gt_i32 s4, 0
	s_mov_b64 s[2:3], -1
	s_cbranch_scc0 .LBB73_826
; %bb.825:
	v_cvt_i16_f16_e32 v2, v4
	s_mov_b64 s[2:3], 0
	global_store_byte v[0:1], v2, off
.LBB73_826:
	s_andn2_b64 vcc, exec, s[2:3]
	s_cbranch_vccnz .LBB73_828
; %bb.827:
	v_cvt_f32_f16_e32 v2, v4
	v_cvt_i32_f32_e32 v2, v2
	global_store_byte v[0:1], v2, off
.LBB73_828:
	s_mov_b64 s[2:3], -1
.LBB73_829:
	s_andn2_b64 vcc, exec, s[2:3]
	s_cbranch_vccnz .LBB73_831
; %bb.830:
	v_add_u32_e32 v21, 0x80, v21
	s_mov_b64 s[2:3], -1
	s_branch .LBB73_833
.LBB73_831:
	s_mov_b64 s[2:3], 0
.LBB73_832:
                                        ; implicit-def: $vgpr21
.LBB73_833:
	s_andn2_b64 s[4:5], s[62:63], exec
	s_and_b64 s[0:1], s[0:1], exec
	s_or_b64 s[68:69], s[4:5], s[0:1]
	s_andn2_b64 s[0:1], s[60:61], exec
	s_and_b64 s[4:5], s[28:29], exec
	s_or_b64 s[16:17], s[0:1], s[4:5]
	s_orn2_b64 s[2:3], s[2:3], exec
.LBB73_834:
	s_or_b64 exec, exec, s[66:67]
	s_mov_b64 s[0:1], 0
	s_mov_b64 s[4:5], 0
	;; [unrolled: 1-line block ×3, first 2 shown]
                                        ; implicit-def: $vgpr0_vgpr1
                                        ; implicit-def: $vgpr22
                                        ; implicit-def: $vgpr5
                                        ; implicit-def: $vgpr3
	s_and_saveexec_b64 s[66:67], s[2:3]
	s_cbranch_execz .LBB73_937
; %bb.835:
	v_cmp_gt_i32_e32 vcc, s70, v21
	s_mov_b64 s[2:3], 0
	s_mov_b64 s[8:9], s[16:17]
                                        ; implicit-def: $vgpr0_vgpr1
                                        ; implicit-def: $vgpr22
                                        ; implicit-def: $vgpr5
                                        ; implicit-def: $vgpr3
	s_and_saveexec_b64 s[70:71], vcc
	s_cbranch_execz .LBB73_936
; %bb.836:
	s_andn2_b64 vcc, exec, s[42:43]
	s_cbranch_vccnz .LBB73_842
; %bb.837:
	s_andn2_b64 vcc, exec, s[52:53]
	s_cbranch_vccnz .LBB73_843
; %bb.838:
	s_add_i32 s76, s75, 1
	s_cmp_eq_u32 s72, 2
	s_cbranch_scc1 .LBB73_844
; %bb.839:
	s_and_b32 s75, s76, 28
	s_mov_b32 s77, 0
	v_mov_b32_e32 v22, 0
	v_mov_b32_e32 v0, 0
	s_mov_b64 s[52:53], s[34:35]
	s_waitcnt vmcnt(0)
	v_mov_b32_e32 v2, v21
.LBB73_840:                             ; =>This Inner Loop Header: Depth=1
	s_load_dwordx8 s[8:15], s[52:53], 0x4
	s_load_dwordx4 s[28:31], s[52:53], 0x24
	s_load_dwordx8 s[0:7], s[50:51], 0x0
	s_add_u32 s52, s52, 48
	s_addc_u32 s53, s53, 0
	s_waitcnt lgkmcnt(0)
	v_mul_hi_u32 v1, s9, v2
	v_add_u32_e32 v1, v2, v1
	v_lshrrev_b32_e32 v1, s10, v1
	v_mul_lo_u32 v3, v1, s8
	v_mul_hi_u32 v4, s12, v1
	v_sub_u32_e32 v2, v2, v3
	v_add_u32_e32 v3, v1, v4
	v_lshrrev_b32_e32 v3, s13, v3
	v_mul_lo_u32 v5, v3, s11
	v_mul_hi_u32 v6, s15, v3
	v_sub_u32_e32 v1, v1, v5
	v_add_u32_e32 v5, v3, v6
	v_mul_lo_u32 v4, v2, s1
	v_mul_lo_u32 v2, v2, s0
	;; [unrolled: 1-line block ×4, first 2 shown]
	v_lshrrev_b32_e32 v5, s28, v5
	v_add3_u32 v1, v2, v22, v1
	v_add3_u32 v0, v4, v0, v6
	v_mul_lo_u32 v2, v5, s14
	v_mul_hi_u32 v4, s30, v5
	v_sub_u32_e32 v2, v3, v2
	v_add_u32_e32 v3, v5, v4
	v_mul_lo_u32 v4, v2, s4
	v_mul_lo_u32 v6, v2, s5
	v_lshrrev_b32_e32 v2, s31, v3
	s_add_i32 s77, s77, 4
	v_mul_lo_u32 v3, v2, s29
	s_add_u32 s50, s50, 32
	v_sub_u32_e32 v3, v5, v3
	s_addc_u32 s51, s51, 0
	v_mul_lo_u32 v5, v3, s6
	v_mul_lo_u32 v3, v3, s7
	s_cmp_eq_u32 s75, s77
	v_add3_u32 v0, v6, v0, v3
	v_add3_u32 v22, v4, v1, v5
	s_cbranch_scc0 .LBB73_840
; %bb.841:
	v_mov_b32_e32 v1, v0
	s_branch .LBB73_845
.LBB73_842:
	s_mov_b64 s[0:1], -1
                                        ; implicit-def: $vgpr0
                                        ; implicit-def: $vgpr22
	s_branch .LBB73_849
.LBB73_843:
	v_mov_b32_e32 v0, 0
	v_mov_b32_e32 v22, 0
	s_branch .LBB73_848
.LBB73_844:
	v_mov_b32_e32 v22, 0
	s_mov_b32 s75, 0
	v_mov_b32_e32 v1, v22
                                        ; implicit-def: $vgpr0
	s_waitcnt vmcnt(0)
	v_mov_b32_e32 v2, v21
.LBB73_845:
	s_and_b32 s4, s76, 3
	s_cmp_eq_u32 s4, 0
	s_cbranch_scc1 .LBB73_848
; %bb.846:
	s_lshl_b32 s0, s75, 3
	s_add_u32 s0, s34, s0
	s_addc_u32 s1, s35, 0
	s_add_u32 s0, s0, 0xc4
	s_addc_u32 s1, s1, 0
	s_mul_i32 s2, s75, 12
	s_add_u32 s2, s34, s2
	s_addc_u32 s3, s35, 0
.LBB73_847:                             ; =>This Inner Loop Header: Depth=1
	s_load_dwordx2 s[6:7], s[2:3], 0x4
	s_load_dword s5, s[2:3], 0xc
	s_load_dwordx2 s[8:9], s[0:1], 0x0
	v_mov_b32_e32 v0, v1
	s_add_u32 s2, s2, 12
	s_waitcnt lgkmcnt(0)
	v_mul_hi_u32 v1, s7, v2
	v_add_u32_e32 v1, v2, v1
	v_lshrrev_b32_e32 v1, s5, v1
	s_addc_u32 s3, s3, 0
	v_mul_lo_u32 v3, v1, s6
	s_add_u32 s0, s0, 8
	v_sub_u32_e32 v3, v2, v3
	s_addc_u32 s1, s1, 0
	s_add_i32 s4, s4, -1
	v_mov_b32_e32 v2, v1
	v_mad_u64_u32 v[0:1], s[6:7], v3, s9, v[0:1]
	s_cmp_lg_u32 s4, 0
	v_mad_u64_u32 v[22:23], s[6:7], v3, s8, v[22:23]
	v_mov_b32_e32 v1, v0
	s_cbranch_scc1 .LBB73_847
.LBB73_848:
	s_mov_b64 s[0:1], 0
.LBB73_849:
	s_andn2_b64 vcc, exec, s[0:1]
	s_cbranch_vccnz .LBB73_852
; %bb.850:
	s_waitcnt lgkmcnt(0)
	v_mul_hi_u32 v0, s37, v21
	v_add_u32_e32 v0, v21, v0
	v_lshrrev_b32_e32 v1, s38, v0
	v_mul_lo_u32 v0, v1, s36
	s_waitcnt vmcnt(0)
	v_sub_u32_e32 v2, v21, v0
	v_mul_lo_u32 v0, v2, s25
	s_andn2_b64 vcc, exec, s[48:49]
	v_mul_lo_u32 v22, v2, s24
	s_cbranch_vccnz .LBB73_852
; %bb.851:
	v_mul_hi_u32 v2, s46, v1
	v_add_u32_e32 v2, v1, v2
	v_lshrrev_b32_e32 v2, s47, v2
	v_mul_lo_u32 v2, v2, s39
	v_sub_u32_e32 v1, v1, v2
	v_mad_u64_u32 v[22:23], s[0:1], v1, s26, v[22:23]
	v_mad_u64_u32 v[0:1], s[0:1], v1, s27, v[0:1]
.LBB73_852:
	v_mov_b32_e32 v1, 0
	s_and_b32 s10, 0xffff, s74
	s_cmp_lt_i32 s10, 11
	s_waitcnt lgkmcnt(0)
	v_lshl_add_u64 v[0:1], s[22:23], 0, v[0:1]
	s_cbranch_scc1 .LBB73_859
; %bb.853:
	s_cmp_gt_i32 s10, 25
	s_mov_b64 s[2:3], 0
	s_cbranch_scc0 .LBB73_860
; %bb.854:
	s_cmp_gt_i32 s10, 28
	s_cbranch_scc0 .LBB73_861
; %bb.855:
	s_cmp_gt_i32 s10, 43
	;; [unrolled: 3-line block ×3, first 2 shown]
	s_cbranch_scc0 .LBB73_865
; %bb.857:
	s_cmp_eq_u32 s10, 46
	s_mov_b64 s[6:7], 0
	s_cbranch_scc0 .LBB73_868
; %bb.858:
	global_load_dword v2, v[0:1], off
	s_mov_b64 s[0:1], 0
	s_mov_b64 s[4:5], -1
	s_waitcnt vmcnt(0)
	v_and_b32_e32 v4, 0xffff0000, v2
	v_lshlrev_b32_e32 v2, 16, v2
	v_cvt_f16_f32_e32 v3, v2
	v_cvt_f16_f32_e32 v5, v4
	s_branch .LBB73_869
.LBB73_859:
	s_mov_b64 s[8:9], -1
	s_mov_b64 s[4:5], 0
	s_mov_b64 s[2:3], 0
	;; [unrolled: 1-line block ×3, first 2 shown]
                                        ; implicit-def: $vgpr5
                                        ; implicit-def: $vgpr3
	s_branch .LBB73_935
.LBB73_860:
	s_mov_b64 s[6:7], -1
	s_mov_b64 s[4:5], 0
	s_mov_b64 s[0:1], s[16:17]
                                        ; implicit-def: $vgpr5
                                        ; implicit-def: $vgpr3
	s_branch .LBB73_900
.LBB73_861:
	s_mov_b64 s[6:7], -1
	s_mov_b64 s[4:5], 0
	s_mov_b64 s[0:1], s[16:17]
                                        ; implicit-def: $vgpr5
                                        ; implicit-def: $vgpr3
	s_branch .LBB73_881
.LBB73_862:
	s_mov_b64 s[6:7], -1
	s_mov_b64 s[4:5], 0
	s_mov_b64 s[0:1], s[16:17]
                                        ; implicit-def: $vgpr5
                                        ; implicit-def: $vgpr3
	s_branch .LBB73_875
.LBB73_863:
	s_andn2_saveexec_b64 s[6:7], s[6:7]
	s_cbranch_execz .LBB73_742
.LBB73_864:
	s_mov_b32 s10, 0x46000000
	v_add_f32_e64 v6, |v3|, s10
	v_and_b32_e32 v6, 0xff, v6
	v_cmp_ne_u32_e32 vcc, 0, v6
	s_andn2_b64 s[4:5], s[4:5], exec
	s_and_b64 s[10:11], vcc, exec
	s_or_b64 s[4:5], s[4:5], s[10:11]
	s_or_b64 exec, exec, s[6:7]
	v_mov_b32_e32 v7, 0
	s_and_saveexec_b64 s[6:7], s[4:5]
	s_cbranch_execnz .LBB73_743
	s_branch .LBB73_744
.LBB73_865:
	s_mov_b64 s[6:7], -1
	s_mov_b64 s[4:5], 0
	s_mov_b64 s[0:1], s[16:17]
                                        ; implicit-def: $vgpr5
                                        ; implicit-def: $vgpr3
	s_branch .LBB73_869
.LBB73_866:
	s_andn2_saveexec_b64 s[6:7], s[6:7]
	s_cbranch_execz .LBB73_755
.LBB73_867:
	s_mov_b32 s10, 0x42800000
	v_add_f32_e64 v6, |v3|, s10
	v_and_b32_e32 v6, 0xff, v6
	v_cmp_ne_u32_e32 vcc, 0, v6
	s_andn2_b64 s[4:5], s[4:5], exec
	s_and_b64 s[10:11], vcc, exec
	s_or_b64 s[4:5], s[4:5], s[10:11]
	s_or_b64 exec, exec, s[6:7]
	v_mov_b32_e32 v7, 0
	s_and_saveexec_b64 s[6:7], s[4:5]
	s_cbranch_execnz .LBB73_756
	s_branch .LBB73_757
.LBB73_868:
	s_mov_b64 s[0:1], -1
                                        ; implicit-def: $vgpr5
                                        ; implicit-def: $vgpr3
	s_mov_b64 s[4:5], 0
.LBB73_869:
	s_and_b64 vcc, exec, s[6:7]
	s_cbranch_vccz .LBB73_874
; %bb.870:
	s_cmp_eq_u32 s10, 44
	s_cbranch_scc0 .LBB73_872
; %bb.871:
	global_load_ubyte v2, v[0:1], off
	s_movk_i32 s4, 0xff
	v_mov_b32_e32 v4, 0x7e00
	s_mov_b64 s[0:1], 0
	s_waitcnt vmcnt(0)
	v_lshlrev_b32_e32 v3, 23, v2
	v_cvt_f16_f32_e32 v3, v3
	v_cmp_ne_u32_e32 vcc, s4, v2
	s_mov_b64 s[4:5], -1
	s_nop 0
	v_cndmask_b32_e32 v3, v4, v3, vcc
	v_cmp_ne_u32_e32 vcc, 0, v2
	s_nop 1
	v_cndmask_b32_e32 v3, 0, v3, vcc
	s_branch .LBB73_873
.LBB73_872:
	s_mov_b64 s[0:1], -1
                                        ; implicit-def: $vgpr3
.LBB73_873:
	v_mov_b32_e32 v5, 0
.LBB73_874:
	s_mov_b64 s[6:7], 0
.LBB73_875:
	s_and_b64 vcc, exec, s[6:7]
	s_cbranch_vccz .LBB73_880
; %bb.876:
	s_cmp_eq_u32 s10, 29
	s_cbranch_scc0 .LBB73_878
; %bb.877:
	global_load_dwordx2 v[2:3], v[0:1], off
	s_mov_b64 s[0:1], 0
	s_mov_b64 s[4:5], -1
	s_waitcnt vmcnt(0)
	v_ffbh_u32_e32 v4, v3
	v_min_u32_e32 v4, 32, v4
	v_lshlrev_b64 v[2:3], v4, v[2:3]
	v_min_u32_e32 v2, 1, v2
	v_or_b32_e32 v2, v3, v2
	v_cvt_f32_u32_e32 v2, v2
	v_sub_u32_e32 v3, 32, v4
	v_ldexp_f32 v2, v2, v3
	v_cvt_f16_f32_e32 v3, v2
	s_branch .LBB73_879
.LBB73_878:
	s_mov_b64 s[0:1], -1
                                        ; implicit-def: $vgpr3
.LBB73_879:
	v_mov_b32_e32 v5, 0
.LBB73_880:
	s_mov_b64 s[6:7], 0
.LBB73_881:
	s_and_b64 vcc, exec, s[6:7]
	s_cbranch_vccz .LBB73_899
; %bb.882:
	s_cmp_lt_i32 s10, 27
	s_cbranch_scc1 .LBB73_885
; %bb.883:
	s_cmp_gt_i32 s10, 27
	s_cbranch_scc0 .LBB73_886
; %bb.884:
	global_load_dword v2, v[0:1], off
	s_mov_b64 s[4:5], 0
	s_waitcnt vmcnt(0)
	v_cvt_f32_u32_e32 v2, v2
	v_cvt_f16_f32_e32 v3, v2
	s_branch .LBB73_887
.LBB73_885:
	s_mov_b64 s[4:5], -1
                                        ; implicit-def: $vgpr3
	s_branch .LBB73_890
.LBB73_886:
	s_mov_b64 s[4:5], -1
                                        ; implicit-def: $vgpr3
.LBB73_887:
	s_andn2_b64 vcc, exec, s[4:5]
	s_cbranch_vccnz .LBB73_889
; %bb.888:
	global_load_ushort v2, v[0:1], off
	s_waitcnt vmcnt(0)
	v_cvt_f16_u16_e32 v3, v2
.LBB73_889:
	s_mov_b64 s[4:5], 0
.LBB73_890:
	s_andn2_b64 vcc, exec, s[4:5]
	s_cbranch_vccnz .LBB73_898
; %bb.891:
	global_load_ubyte v2, v[0:1], off
	s_movk_i32 s4, 0x7f
	s_waitcnt vmcnt(0)
	v_cmp_lt_i16_e32 vcc, s4, v2
	s_mov_b64 s[4:5], 0
	s_and_saveexec_b64 s[6:7], vcc
	s_xor_b64 s[6:7], exec, s[6:7]
	s_cbranch_execz .LBB73_912
; %bb.892:
	s_movk_i32 s4, 0x80
	v_cmp_eq_u16_e32 vcc, s4, v2
	s_mov_b64 s[4:5], -1
	s_and_saveexec_b64 s[8:9], vcc
; %bb.893:
	s_xor_b64 s[4:5], exec, -1
; %bb.894:
	s_or_b64 exec, exec, s[8:9]
	s_and_b64 s[4:5], s[4:5], exec
	s_or_saveexec_b64 s[6:7], s[6:7]
	v_mov_b32_e32 v3, 0x7e00
	s_xor_b64 exec, exec, s[6:7]
	s_cbranch_execnz .LBB73_913
.LBB73_895:
	s_or_b64 exec, exec, s[6:7]
	s_and_saveexec_b64 s[6:7], s[4:5]
	s_cbranch_execz .LBB73_897
.LBB73_896:
	v_lshlrev_b32_e32 v3, 24, v2
	v_and_b32_e32 v2, 0xffff, v2
	v_and_b32_e32 v4, 7, v2
	v_ffbh_u32_e32 v6, v4
	v_min_u32_e32 v6, 32, v6
	v_subrev_u32_e32 v7, 28, v6
	v_bfe_u32 v5, v2, 3, 4
	v_lshlrev_b32_e32 v2, v7, v2
	v_sub_u32_e32 v6, 29, v6
	v_and_b32_e32 v2, 7, v2
	v_cmp_eq_u32_e32 vcc, 0, v5
	v_and_b32_e32 v3, 0x80000000, v3
	s_nop 0
	v_cndmask_b32_e32 v5, v5, v6, vcc
	v_cndmask_b32_e32 v2, v4, v2, vcc
	v_mov_b32_e32 v4, 0x3b800000
	v_lshlrev_b32_e32 v2, 20, v2
	v_lshl_add_u32 v4, v5, 23, v4
	v_or3_b32 v2, v3, v4, v2
	v_cvt_f16_f32_e32 v3, v2
.LBB73_897:
	s_or_b64 exec, exec, s[6:7]
.LBB73_898:
	s_mov_b64 s[4:5], -1
	v_mov_b32_e32 v5, 0
.LBB73_899:
	s_mov_b64 s[6:7], 0
.LBB73_900:
	s_and_b64 vcc, exec, s[6:7]
	s_cbranch_vccz .LBB73_934
; %bb.901:
	s_cmp_gt_i32 s10, 22
	s_cbranch_scc0 .LBB73_911
; %bb.902:
	s_cmp_lt_i32 s10, 24
	s_cbranch_scc1 .LBB73_914
; %bb.903:
	s_cmp_gt_i32 s10, 24
	s_cbranch_scc0 .LBB73_915
; %bb.904:
	global_load_ubyte v2, v[0:1], off
	s_movk_i32 s2, 0x7f
	s_waitcnt vmcnt(0)
	v_cmp_lt_i16_e32 vcc, s2, v2
	s_mov_b64 s[2:3], 0
	s_and_saveexec_b64 s[4:5], vcc
	s_xor_b64 s[4:5], exec, s[4:5]
	s_cbranch_execz .LBB73_927
; %bb.905:
	s_movk_i32 s2, 0x80
	v_cmp_eq_u16_e32 vcc, s2, v2
	s_mov_b64 s[2:3], -1
	s_and_saveexec_b64 s[6:7], vcc
; %bb.906:
	s_xor_b64 s[2:3], exec, -1
; %bb.907:
	s_or_b64 exec, exec, s[6:7]
	s_and_b64 s[2:3], s[2:3], exec
	s_or_saveexec_b64 s[4:5], s[4:5]
	v_mov_b32_e32 v3, 0x7e00
	s_xor_b64 exec, exec, s[4:5]
	s_cbranch_execnz .LBB73_928
.LBB73_908:
	s_or_b64 exec, exec, s[4:5]
	s_and_saveexec_b64 s[4:5], s[2:3]
	s_cbranch_execz .LBB73_910
.LBB73_909:
	v_lshlrev_b32_e32 v3, 24, v2
	v_and_b32_e32 v2, 0xffff, v2
	v_and_b32_e32 v4, 3, v2
	v_ffbh_u32_e32 v6, v4
	v_min_u32_e32 v6, 32, v6
	v_subrev_u32_e32 v7, 29, v6
	v_bfe_u32 v5, v2, 2, 5
	v_lshlrev_b32_e32 v2, v7, v2
	v_sub_u32_e32 v6, 30, v6
	v_and_b32_e32 v2, 3, v2
	v_cmp_eq_u32_e32 vcc, 0, v5
	v_and_b32_e32 v3, 0x80000000, v3
	s_nop 0
	v_cndmask_b32_e32 v5, v5, v6, vcc
	v_cndmask_b32_e32 v2, v4, v2, vcc
	v_mov_b32_e32 v4, 0x37800000
	v_lshlrev_b32_e32 v2, 21, v2
	v_lshl_add_u32 v4, v5, 23, v4
	v_or3_b32 v2, v3, v4, v2
	v_cvt_f16_f32_e32 v3, v2
.LBB73_910:
	s_or_b64 exec, exec, s[4:5]
	s_mov_b64 s[2:3], 0
	s_branch .LBB73_916
.LBB73_911:
	s_mov_b64 s[2:3], -1
                                        ; implicit-def: $vgpr3
	s_branch .LBB73_922
.LBB73_912:
	s_or_saveexec_b64 s[6:7], s[6:7]
	v_mov_b32_e32 v3, 0x7e00
	s_xor_b64 exec, exec, s[6:7]
	s_cbranch_execz .LBB73_895
.LBB73_913:
	v_cmp_ne_u16_e32 vcc, 0, v2
	s_andn2_b64 s[4:5], s[4:5], exec
	s_and_b64 s[8:9], vcc, exec
	s_or_b64 s[4:5], s[4:5], s[8:9]
	v_mov_b32_e32 v3, v2
	s_or_b64 exec, exec, s[6:7]
	s_and_saveexec_b64 s[6:7], s[4:5]
	s_cbranch_execnz .LBB73_896
	s_branch .LBB73_897
.LBB73_914:
	s_mov_b64 s[2:3], -1
                                        ; implicit-def: $vgpr3
	s_branch .LBB73_919
.LBB73_915:
	s_mov_b64 s[2:3], -1
                                        ; implicit-def: $vgpr3
.LBB73_916:
	s_and_b64 vcc, exec, s[2:3]
	s_cbranch_vccz .LBB73_918
; %bb.917:
	global_load_ubyte v2, v[0:1], off
	s_mov_b32 s2, 0x7f800000
	s_waitcnt vmcnt(0)
	v_lshlrev_b32_e32 v2, 24, v2
	v_and_b32_e32 v3, 0x7f000000, v2
	v_ffbh_u32_e32 v4, v3
	v_min_u32_e32 v4, 32, v4
	v_sub_u32_e64 v4, v4, 4 clamp
	v_lshlrev_b32_e32 v6, v4, v3
	v_lshlrev_b32_e32 v4, 23, v4
	v_lshrrev_b32_e32 v6, 4, v6
	v_add_u32_e32 v5, 0x1000000, v3
	v_sub_u32_e32 v4, v6, v4
	v_ashrrev_i32_e32 v5, 8, v5
	v_add_u32_e32 v4, 0x3c000000, v4
	v_and_or_b32 v4, v5, s2, v4
	v_cmp_ne_u32_e32 vcc, 0, v3
	s_brev_b32 s2, 1
	s_nop 0
	v_cndmask_b32_e32 v3, 0, v4, vcc
	v_and_or_b32 v2, v2, s2, v3
	v_cvt_f16_f32_e32 v3, v2
.LBB73_918:
	s_mov_b64 s[2:3], 0
.LBB73_919:
	s_andn2_b64 vcc, exec, s[2:3]
	s_cbranch_vccnz .LBB73_921
; %bb.920:
	global_load_ubyte v2, v[0:1], off
	s_movk_i32 s2, 0x7f00
	s_brev_b32 s3, 16
	s_waitcnt vmcnt(0)
	v_lshlrev_b16_e32 v3, 8, v2
	v_lshlrev_b32_e32 v2, 25, v2
	v_lshrrev_b32_e32 v4, 4, v2
	v_and_or_b32 v5, v3, s2, 0.5
	v_or_b32_e32 v4, 0x70000000, v4
	v_add_f32_e32 v5, -0.5, v5
	v_mul_f32_e32 v4, 0x7800000, v4
	v_cmp_gt_u32_e32 vcc, s3, v2
	v_bfe_i32 v3, v3, 0, 16
	s_brev_b32 s2, 1
	v_cndmask_b32_e32 v2, v4, v5, vcc
	v_and_or_b32 v2, v3, s2, v2
	v_cvt_f16_f32_e32 v3, v2
.LBB73_921:
	s_mov_b64 s[2:3], 0
	s_mov_b64 s[4:5], -1
.LBB73_922:
	s_andn2_b64 vcc, exec, s[2:3]
	s_mov_b64 s[2:3], 0
	s_cbranch_vccnz .LBB73_933
; %bb.923:
	s_cmp_gt_i32 s10, 14
	s_cbranch_scc0 .LBB73_926
; %bb.924:
	s_cmp_eq_u32 s10, 15
	s_cbranch_scc0 .LBB73_929
; %bb.925:
	global_load_ushort v2, v[0:1], off
	s_mov_b64 s[0:1], 0
	s_mov_b64 s[4:5], -1
	s_waitcnt vmcnt(0)
	v_lshlrev_b32_e32 v2, 16, v2
	v_cvt_f16_f32_e32 v3, v2
	s_branch .LBB73_930
.LBB73_926:
	s_mov_b64 s[6:7], -1
                                        ; implicit-def: $vgpr3
	s_branch .LBB73_931
.LBB73_927:
	s_or_saveexec_b64 s[4:5], s[4:5]
	v_mov_b32_e32 v3, 0x7e00
	s_xor_b64 exec, exec, s[4:5]
	s_cbranch_execz .LBB73_908
.LBB73_928:
	v_cmp_ne_u16_e32 vcc, 0, v2
	s_andn2_b64 s[2:3], s[2:3], exec
	s_and_b64 s[6:7], vcc, exec
	s_or_b64 s[2:3], s[2:3], s[6:7]
	v_mov_b32_e32 v3, v2
	s_or_b64 exec, exec, s[4:5]
	s_and_saveexec_b64 s[4:5], s[2:3]
	s_cbranch_execnz .LBB73_909
	s_branch .LBB73_910
.LBB73_929:
	s_mov_b64 s[0:1], -1
                                        ; implicit-def: $vgpr3
.LBB73_930:
	s_mov_b64 s[6:7], 0
.LBB73_931:
	s_and_b64 vcc, exec, s[6:7]
	s_cbranch_vccz .LBB73_933
; %bb.932:
	s_cmp_lg_u32 s10, 11
	s_cselect_b64 s[6:7], -1, 0
	s_andn2_b64 s[0:1], s[0:1], exec
	s_and_b64 s[6:7], s[6:7], exec
	s_mov_b64 s[2:3], -1
	s_or_b64 s[0:1], s[0:1], s[6:7]
.LBB73_933:
	v_mov_b32_e32 v5, 0
.LBB73_934:
	s_mov_b64 s[8:9], 0
.LBB73_935:
	s_and_b64 s[6:7], s[4:5], exec
	s_and_b64 s[4:5], s[8:9], exec
	s_andn2_b64 s[8:9], s[16:17], exec
	s_and_b64 s[0:1], s[0:1], exec
	s_and_b64 s[2:3], s[2:3], exec
	s_or_b64 s[8:9], s[8:9], s[0:1]
.LBB73_936:
	s_or_b64 exec, exec, s[70:71]
	s_and_b64 s[0:1], s[2:3], exec
	s_andn2_b64 s[2:3], s[16:17], exec
	s_and_b64 s[8:9], s[8:9], exec
	s_and_b64 s[6:7], s[6:7], exec
	;; [unrolled: 1-line block ×3, first 2 shown]
	s_or_b64 s[16:17], s[2:3], s[8:9]
.LBB73_937:
	s_or_b64 exec, exec, s[66:67]
	s_andn2_b64 s[2:3], s[62:63], exec
	s_and_b64 s[8:9], s[68:69], exec
	s_or_b64 s[62:63], s[2:3], s[8:9]
	s_and_b64 s[2:3], s[0:1], exec
	s_andn2_b64 s[0:1], s[60:61], exec
	s_and_b64 s[8:9], s[16:17], exec
	s_and_b64 s[6:7], s[6:7], exec
	;; [unrolled: 1-line block ×3, first 2 shown]
	s_or_b64 s[60:61], s[0:1], s[8:9]
.LBB73_938:
	s_or_b64 exec, exec, s[64:65]
	s_andn2_b64 s[0:1], s[54:55], exec
	s_and_b64 s[8:9], s[62:63], exec
	s_or_b64 s[54:55], s[0:1], s[8:9]
	s_and_b64 s[0:1], s[6:7], exec
	s_and_b64 s[62:63], s[2:3], exec
	s_andn2_b64 s[2:3], s[56:57], exec
	s_and_b64 s[6:7], s[60:61], exec
	s_and_b64 s[4:5], s[4:5], exec
	s_or_b64 s[56:57], s[2:3], s[6:7]
	s_or_b64 exec, exec, s[58:59]
	s_waitcnt lgkmcnt(0)
	s_mov_b64 s[22:23], 0
	s_and_saveexec_b64 s[2:3], s[56:57]
	s_cbranch_execz .LBB73_280
.LBB73_939:
	s_mov_b64 s[22:23], exec
	s_andn2_b64 s[62:63], s[62:63], exec
	s_trap 2
	s_or_b64 exec, exec, s[2:3]
	s_and_saveexec_b64 s[2:3], s[62:63]
	s_xor_b64 s[2:3], exec, s[2:3]
	s_cbranch_execnz .LBB73_281
.LBB73_940:
	s_or_b64 exec, exec, s[2:3]
	s_and_saveexec_b64 s[2:3], s[4:5]
	s_cbranch_execz .LBB73_988
.LBB73_941:
	s_sext_i32_i16 s4, s74
	s_cmp_lt_i32 s4, 5
	s_cbranch_scc1 .LBB73_946
; %bb.942:
	s_cmp_lt_i32 s4, 8
	s_cbranch_scc1 .LBB73_947
; %bb.943:
	;; [unrolled: 3-line block ×3, first 2 shown]
	s_cmp_gt_i32 s4, 9
	s_cbranch_scc0 .LBB73_949
; %bb.945:
	global_load_dwordx4 v[2:5], v[0:1], off
	s_movk_i32 s4, 0x1ff
	s_movk_i32 s5, 0xffe
	v_mov_b32_e32 v6, 0x7c00
	v_mov_b32_e32 v7, 0x7e00
	s_movk_i32 s6, 0x40f
	s_mov_b32 s7, 0x8000
	s_waitcnt vmcnt(0)
	v_and_or_b32 v2, v3, s4, v2
	v_and_or_b32 v4, v5, s4, v4
	v_cmp_ne_u32_e32 vcc, 0, v2
	v_lshrrev_b32_e32 v8, 8, v3
	v_bfe_u32 v9, v3, 20, 11
	v_cndmask_b32_e64 v2, 0, 1, vcc
	v_cmp_ne_u32_e32 vcc, 0, v4
	v_lshrrev_b32_e32 v10, 8, v5
	v_bfe_u32 v11, v5, 20, 11
	v_cndmask_b32_e64 v4, 0, 1, vcc
	v_and_or_b32 v2, v8, s5, v2
	v_sub_u32_e32 v12, 0x3f1, v9
	v_add_u32_e32 v9, 0xfffffc10, v9
	v_sub_u32_e32 v13, 0x3f1, v11
	v_and_or_b32 v4, v10, s5, v4
	v_cmp_ne_u32_e32 vcc, 0, v2
	v_add_u32_e32 v11, 0xfffffc10, v11
	v_med3_i32 v8, v12, 0, 13
	v_med3_i32 v10, v13, 0, 13
	v_or_b32_e32 v12, 0x1000, v2
	v_lshl_or_b32 v13, v9, 12, v2
	v_cndmask_b32_e32 v2, v6, v7, vcc
	v_cmp_ne_u32_e32 vcc, 0, v4
	v_or_b32_e32 v14, 0x1000, v4
	v_lshl_or_b32 v15, v11, 12, v4
	v_cndmask_b32_e32 v4, v6, v7, vcc
	v_lshrrev_b32_e32 v7, v8, v12
	v_lshrrev_b32_e32 v16, v10, v14
	v_lshlrev_b32_e32 v8, v8, v7
	v_lshlrev_b32_e32 v10, v10, v16
	v_cmp_ne_u32_e32 vcc, v8, v12
	v_lshrrev_b32_e32 v3, 16, v3
	v_lshrrev_b32_e32 v5, 16, v5
	v_cndmask_b32_e64 v8, 0, 1, vcc
	v_cmp_ne_u32_e32 vcc, v10, v14
	v_or_b32_e32 v7, v7, v8
	s_mov_b64 s[4:5], 0
	v_cndmask_b32_e64 v10, 0, 1, vcc
	v_cmp_gt_i32_e32 vcc, 1, v9
	v_or_b32_e32 v8, v16, v10
	s_nop 0
	v_cndmask_b32_e32 v7, v13, v7, vcc
	v_cmp_gt_i32_e32 vcc, 1, v11
	v_and_b32_e32 v10, 7, v7
	v_lshrrev_b32_e32 v7, 2, v7
	v_cndmask_b32_e32 v8, v15, v8, vcc
	v_cmp_lt_i32_e32 vcc, 5, v10
	v_and_b32_e32 v12, 7, v8
	v_lshrrev_b32_e32 v8, 2, v8
	v_cndmask_b32_e64 v13, 0, 1, vcc
	v_cmp_eq_u32_e32 vcc, 3, v10
	s_nop 1
	v_cndmask_b32_e64 v10, 0, 1, vcc
	v_cmp_lt_i32_e32 vcc, 5, v12
	v_or_b32_e32 v10, v10, v13
	v_add_u32_e32 v7, v7, v10
	v_cndmask_b32_e64 v14, 0, 1, vcc
	v_cmp_eq_u32_e32 vcc, 3, v12
	s_nop 1
	v_cndmask_b32_e64 v12, 0, 1, vcc
	v_or_b32_e32 v12, v12, v14
	v_cmp_gt_i32_e32 vcc, 31, v9
	v_add_u32_e32 v8, v8, v12
	s_nop 0
	v_cndmask_b32_e32 v7, v6, v7, vcc
	v_cmp_gt_i32_e32 vcc, 31, v11
	s_nop 1
	v_cndmask_b32_e32 v6, v6, v8, vcc
	v_cmp_eq_u32_e32 vcc, s6, v9
	s_nop 1
	v_cndmask_b32_e32 v2, v7, v2, vcc
	v_cmp_eq_u32_e32 vcc, s6, v11
	v_and_or_b32 v3, v3, s7, v2
	s_nop 0
	v_cndmask_b32_e32 v4, v6, v4, vcc
	v_and_or_b32 v5, v5, s7, v4
	s_branch .LBB73_950
.LBB73_946:
                                        ; implicit-def: $vgpr5
                                        ; implicit-def: $vgpr3
	s_branch .LBB73_968
.LBB73_947:
                                        ; implicit-def: $vgpr5
                                        ; implicit-def: $vgpr3
	s_branch .LBB73_956
.LBB73_948:
	s_mov_b64 s[4:5], -1
                                        ; implicit-def: $vgpr5
                                        ; implicit-def: $vgpr3
	s_branch .LBB73_953
.LBB73_949:
	s_mov_b64 s[4:5], -1
                                        ; implicit-def: $vgpr5
                                        ; implicit-def: $vgpr3
.LBB73_950:
	s_andn2_b64 vcc, exec, s[4:5]
	s_cbranch_vccnz .LBB73_952
; %bb.951:
	global_load_dwordx2 v[4:5], v[0:1], off
	s_waitcnt vmcnt(0)
	v_cvt_f16_f32_e32 v3, v4
	v_cvt_f16_f32_e32 v5, v5
.LBB73_952:
	s_mov_b64 s[4:5], 0
.LBB73_953:
	s_andn2_b64 vcc, exec, s[4:5]
	s_cbranch_vccnz .LBB73_955
; %bb.954:
	global_load_dword v3, v[0:1], off
	s_waitcnt vmcnt(0)
	v_lshrrev_b32_e32 v5, 16, v3
.LBB73_955:
	s_cbranch_execnz .LBB73_967
.LBB73_956:
	s_sext_i32_i16 s4, s74
	s_cmp_lt_i32 s4, 6
	s_cbranch_scc1 .LBB73_959
; %bb.957:
	s_cmp_gt_i32 s4, 6
	s_cbranch_scc0 .LBB73_960
; %bb.958:
	global_load_dwordx2 v[2:3], v[0:1], off
	s_movk_i32 s4, 0x1ff
	s_movk_i32 s5, 0xffe
	v_mov_b32_e32 v4, 0x7c00
	v_mov_b32_e32 v5, 0x7e00
	s_movk_i32 s6, 0x40f
	s_mov_b32 s7, 0x8000
	s_waitcnt vmcnt(0)
	v_and_or_b32 v2, v3, s4, v2
	v_cmp_ne_u32_e32 vcc, 0, v2
	v_lshrrev_b32_e32 v6, 8, v3
	v_bfe_u32 v7, v3, 20, 11
	v_cndmask_b32_e64 v2, 0, 1, vcc
	v_sub_u32_e32 v8, 0x3f1, v7
	v_and_or_b32 v2, v6, s5, v2
	v_add_u32_e32 v7, 0xfffffc10, v7
	v_med3_i32 v6, v8, 0, 13
	v_or_b32_e32 v8, 0x1000, v2
	v_cmp_ne_u32_e32 vcc, 0, v2
	v_lshl_or_b32 v9, v7, 12, v2
	v_lshrrev_b32_e32 v3, 16, v3
	v_cndmask_b32_e32 v2, v4, v5, vcc
	v_lshrrev_b32_e32 v5, v6, v8
	v_lshlrev_b32_e32 v6, v6, v5
	v_cmp_ne_u32_e32 vcc, v6, v8
	s_mov_b64 s[4:5], 0
	s_nop 0
	v_cndmask_b32_e64 v6, 0, 1, vcc
	v_or_b32_e32 v5, v5, v6
	v_cmp_gt_i32_e32 vcc, 1, v7
	s_nop 1
	v_cndmask_b32_e32 v5, v9, v5, vcc
	v_and_b32_e32 v6, 7, v5
	v_cmp_lt_i32_e32 vcc, 5, v6
	v_lshrrev_b32_e32 v5, 2, v5
	s_nop 0
	v_cndmask_b32_e64 v8, 0, 1, vcc
	v_cmp_eq_u32_e32 vcc, 3, v6
	s_nop 1
	v_cndmask_b32_e64 v6, 0, 1, vcc
	v_or_b32_e32 v6, v6, v8
	v_add_u32_e32 v5, v5, v6
	v_cmp_gt_i32_e32 vcc, 31, v7
	s_nop 1
	v_cndmask_b32_e32 v4, v4, v5, vcc
	v_cmp_eq_u32_e32 vcc, s6, v7
	s_nop 1
	v_cndmask_b32_e32 v2, v4, v2, vcc
	v_and_or_b32 v3, v3, s7, v2
	s_branch .LBB73_961
.LBB73_959:
	s_mov_b64 s[4:5], -1
                                        ; implicit-def: $vgpr3
	s_branch .LBB73_964
.LBB73_960:
	s_mov_b64 s[4:5], -1
                                        ; implicit-def: $vgpr3
.LBB73_961:
	s_andn2_b64 vcc, exec, s[4:5]
	s_cbranch_vccnz .LBB73_963
; %bb.962:
	global_load_dword v2, v[0:1], off
	s_waitcnt vmcnt(0)
	v_cvt_f16_f32_e32 v3, v2
.LBB73_963:
	s_mov_b64 s[4:5], 0
.LBB73_964:
	s_andn2_b64 vcc, exec, s[4:5]
	s_cbranch_vccnz .LBB73_966
; %bb.965:
	global_load_ushort v3, v[0:1], off
.LBB73_966:
	v_mov_b32_e32 v5, 0
.LBB73_967:
	s_cbranch_execnz .LBB73_987
.LBB73_968:
	s_sext_i32_i16 s4, s74
	s_cmp_lt_i32 s4, 2
	s_cbranch_scc1 .LBB73_972
; %bb.969:
	s_cmp_lt_i32 s4, 3
	s_cbranch_scc1 .LBB73_973
; %bb.970:
	s_cmp_gt_i32 s4, 3
	s_cbranch_scc0 .LBB73_974
; %bb.971:
	global_load_dwordx2 v[2:3], v[0:1], off
	s_mov_b64 s[4:5], 0
	s_waitcnt vmcnt(0)
	v_xor_b32_e32 v5, v2, v3
	v_ffbh_i32_e32 v4, v3
	v_ashrrev_i32_e32 v5, 31, v5
	v_add_u32_e32 v4, -1, v4
	v_add_u32_e32 v5, 32, v5
	v_min_u32_e32 v4, v4, v5
	v_lshlrev_b64 v[2:3], v4, v[2:3]
	v_min_u32_e32 v2, 1, v2
	v_or_b32_e32 v2, v3, v2
	v_cvt_f32_i32_e32 v2, v2
	v_sub_u32_e32 v3, 32, v4
	v_ldexp_f32 v2, v2, v3
	v_cvt_f16_f32_e32 v3, v2
	s_branch .LBB73_975
.LBB73_972:
                                        ; implicit-def: $vgpr3
	s_branch .LBB73_981
.LBB73_973:
	s_mov_b64 s[4:5], -1
                                        ; implicit-def: $vgpr3
	s_branch .LBB73_978
.LBB73_974:
	s_mov_b64 s[4:5], -1
                                        ; implicit-def: $vgpr3
.LBB73_975:
	s_andn2_b64 vcc, exec, s[4:5]
	s_cbranch_vccnz .LBB73_977
; %bb.976:
	global_load_dword v2, v[0:1], off
	s_waitcnt vmcnt(0)
	v_cvt_f32_i32_e32 v2, v2
	v_cvt_f16_f32_e32 v3, v2
.LBB73_977:
	s_mov_b64 s[4:5], 0
.LBB73_978:
	s_andn2_b64 vcc, exec, s[4:5]
	s_cbranch_vccnz .LBB73_980
; %bb.979:
	global_load_ushort v2, v[0:1], off
	s_waitcnt vmcnt(0)
	v_cvt_f16_i16_e32 v3, v2
.LBB73_980:
	s_cbranch_execnz .LBB73_986
.LBB73_981:
	s_sext_i32_i16 s4, s74
	s_cmp_gt_i32 s4, 0
	s_cbranch_scc0 .LBB73_983
; %bb.982:
	global_load_sbyte v2, v[0:1], off
	s_mov_b64 s[4:5], 0
	s_waitcnt vmcnt(0)
	v_cvt_f16_i16_e32 v3, v2
	s_branch .LBB73_984
.LBB73_983:
	s_mov_b64 s[4:5], -1
                                        ; implicit-def: $vgpr3
.LBB73_984:
	s_andn2_b64 vcc, exec, s[4:5]
	s_cbranch_vccnz .LBB73_986
; %bb.985:
	global_load_ubyte v0, v[0:1], off
	s_waitcnt vmcnt(0)
	v_cvt_f16_u16_e32 v3, v0
.LBB73_986:
	v_mov_b32_e32 v5, 0
.LBB73_987:
	s_or_b64 s[0:1], s[0:1], exec
.LBB73_988:
	s_or_b64 exec, exec, s[2:3]
	s_mov_b64 s[4:5], 0
	s_mov_b64 s[2:3], 0
                                        ; implicit-def: $sgpr10
                                        ; implicit-def: $vgpr0_vgpr1
                                        ; implicit-def: $vgpr6
                                        ; implicit-def: $vgpr4
                                        ; implicit-def: $vgpr2
	s_and_saveexec_b64 s[24:25], s[0:1]
	s_cbranch_execz .LBB73_1006
; %bb.989:
	s_waitcnt vmcnt(0)
	v_cvt_f32_f16_e32 v0, v3
	v_cvt_f32_f16_e32 v1, v5
	s_getpc_b64 s[0:1]
	s_add_u32 s0, s0, _ZN16c10_complex_math3expIfEEN3c107complexIT_EERKS4_@rel32@lo+4
	s_addc_u32 s1, s1, _ZN16c10_complex_math3expIfEEN3c107complexIT_EERKS4_@rel32@hi+12
	s_swappc_b64 s[30:31], s[0:1]
	v_cvt_f16_f32_e32 v4, v1
	v_cvt_f16_f32_e32 v2, v0
	v_mov_b32_e32 v23, 0
	s_and_b32 s10, s73, 0xff
	v_lshlrev_b32_e32 v3, 16, v4
	s_cmp_lt_i32 s10, 11
	v_lshl_add_u64 v[0:1], s[20:21], 0, v[22:23]
	s_cbranch_scc1 .LBB73_1009
; %bb.990:
	s_and_b32 s11, 0xffff, s10
	s_mov_b64 s[4:5], -1
	s_cmp_gt_i32 s11, 25
	s_mov_b64 s[0:1], s[54:55]
	s_cbranch_scc0 .LBB73_1027
; %bb.991:
	s_mov_b64 s[2:3], -1
	s_cmp_gt_i32 s11, 28
	s_mov_b64 s[0:1], s[54:55]
	s_cbranch_scc0 .LBB73_1011
; %bb.992:
	s_cmp_gt_i32 s11, 43
	s_mov_b64 s[0:1], s[54:55]
	s_cbranch_scc0 .LBB73_1003
; %bb.993:
	;; [unrolled: 4-line block ×3, first 2 shown]
	s_cmp_eq_u32 s11, 46
	s_mov_b64 s[0:1], -1
	s_cbranch_scc0 .LBB73_996
; %bb.995:
	v_cvt_f32_f16_e32 v6, v4
	v_cvt_f32_f16_e32 v5, v2
	s_movk_i32 s0, 0x7fff
	v_cmp_o_f16_e32 vcc, v4, v4
	v_bfe_u32 v8, v6, 16, 1
	v_bfe_u32 v7, v5, 16, 1
	v_add3_u32 v6, v6, v8, s0
	v_add3_u32 v5, v5, v7, s0
	v_and_b32_e32 v6, 0xffff0000, v6
	v_mov_b32_e32 v7, 0x7fc00000
	v_cndmask_b32_e32 v6, v7, v6, vcc
	v_cmp_o_f16_e32 vcc, v2, v2
	v_mov_b32_e32 v7, 0x7fc0
	s_mov_b64 s[0:1], 0
	v_cndmask_b32_sdwa v5, v7, v5, vcc dst_sel:DWORD dst_unused:UNUSED_PAD src0_sel:DWORD src1_sel:WORD_1
	v_or_b32_e32 v5, v6, v5
	global_store_dword v[0:1], v5, off
.LBB73_996:
	s_mov_b64 s[2:3], 0
.LBB73_997:
	s_and_b64 vcc, exec, s[2:3]
	s_cbranch_vccz .LBB73_1002
; %bb.998:
	s_cmp_eq_u32 s11, 44
	s_mov_b64 s[0:1], -1
	s_cbranch_scc0 .LBB73_1002
; %bb.999:
	v_cvt_f32_f16_e32 v5, v2
	s_movk_i32 s0, 0xff
	v_mov_b32_e32 v7, 0xff
	v_bfe_u32 v6, v5, 23, 8
	v_cmp_ne_u32_e32 vcc, s0, v6
	s_and_saveexec_b64 s[2:3], vcc
; %bb.1000:
	s_mov_b32 s0, 0x3fffff
	v_lshrrev_b32_e32 v7, 23, v5
	v_and_b32_e32 v8, 0x400000, v5
	v_and_or_b32 v5, v5, s0, v6
	v_cmp_ne_u32_e32 vcc, 0, v8
	v_cmp_ne_u32_e64 s[0:1], 0, v5
	s_and_b64 s[0:1], vcc, s[0:1]
	s_nop 0
	v_cndmask_b32_e64 v5, 0, 1, s[0:1]
	v_add_u32_e32 v7, v7, v5
; %bb.1001:
	s_or_b64 exec, exec, s[2:3]
	s_mov_b64 s[0:1], 0
	global_store_byte v[0:1], v7, off
.LBB73_1002:
	s_mov_b64 s[2:3], 0
.LBB73_1003:
	s_and_b64 vcc, exec, s[2:3]
	s_cbranch_vccz .LBB73_1010
; %bb.1004:
	s_cmp_eq_u32 s11, 29
	s_mov_b64 s[0:1], -1
	s_cbranch_scc0 .LBB73_1010
; %bb.1005:
	v_cvt_f32_f16_e32 v5, v2
	v_mov_b32_e32 v7, 0
	s_mov_b64 s[0:1], 0
	s_mov_b64 s[2:3], 0
	v_cvt_u32_f32_e32 v6, v5
	global_store_dwordx2 v[0:1], v[6:7], off
	s_branch .LBB73_1011
.LBB73_1006:
	s_or_b64 exec, exec, s[24:25]
	s_and_saveexec_b64 s[0:1], s[54:55]
	s_cbranch_execnz .LBB73_1069
.LBB73_1007:
	s_or_b64 exec, exec, s[0:1]
	s_and_saveexec_b64 s[0:1], s[4:5]
	s_xor_b64 s[0:1], exec, s[0:1]
	s_cbranch_execz .LBB73_1070
.LBB73_1008:
	s_waitcnt vmcnt(0)
	v_and_b32_e32 v3, 0x7fff7fff, v6
	v_cmp_ne_u32_e32 vcc, 0, v3
	s_nop 1
	v_cndmask_b32_e64 v3, 0, 1, vcc
	global_store_byte v[0:1], v3, off
	s_or_b64 exec, exec, s[0:1]
	s_and_saveexec_b64 s[0:1], s[2:3]
	s_xor_b64 s[0:1], exec, s[0:1]
	s_cbranch_execz .LBB73_1108
	s_branch .LBB73_1071
.LBB73_1009:
	s_mov_b64 s[4:5], 0
	s_mov_b64 s[2:3], -1
	s_mov_b64 s[0:1], s[54:55]
	s_branch .LBB73_1068
.LBB73_1010:
	s_mov_b64 s[2:3], 0
.LBB73_1011:
	s_and_b64 vcc, exec, s[2:3]
	s_cbranch_vccz .LBB73_1026
; %bb.1012:
	s_cmp_lt_i32 s11, 27
	s_mov_b64 s[2:3], -1
	s_cbranch_scc1 .LBB73_1018
; %bb.1013:
	s_cmp_gt_i32 s11, 27
	s_cbranch_scc0 .LBB73_1015
; %bb.1014:
	v_cvt_f32_f16_e32 v5, v2
	s_mov_b64 s[2:3], 0
	v_cvt_u32_f32_e32 v5, v5
	global_store_dword v[0:1], v5, off
.LBB73_1015:
	s_andn2_b64 vcc, exec, s[2:3]
	s_cbranch_vccnz .LBB73_1017
; %bb.1016:
	v_cvt_u16_f16_e32 v5, v2
	global_store_short v[0:1], v5, off
.LBB73_1017:
	s_mov_b64 s[2:3], 0
.LBB73_1018:
	s_andn2_b64 vcc, exec, s[2:3]
	s_cbranch_vccnz .LBB73_1026
; %bb.1019:
	v_cvt_f32_f16_e32 v5, v2
	s_mov_b32 s2, 0x43800000
	v_mov_b32_e32 v7, 0x80
	v_and_b32_e32 v6, 0x7fffffff, v5
	v_cmp_gt_u32_e32 vcc, s2, v6
	s_and_saveexec_b64 s[2:3], vcc
	s_cbranch_execz .LBB73_1025
; %bb.1020:
	s_mov_b32 s4, 0x3bffffff
	v_cmp_lt_u32_e32 vcc, s4, v6
	s_mov_b64 s[4:5], 0
                                        ; implicit-def: $vgpr6
	s_and_saveexec_b64 s[6:7], vcc
	s_xor_b64 s[6:7], exec, s[6:7]
	s_cbranch_execz .LBB73_1179
; %bb.1021:
	v_bfe_u32 v6, v5, 20, 1
	s_mov_b32 s8, 0x487ffff
	v_add3_u32 v6, v5, v6, s8
	s_mov_b64 s[4:5], exec
	v_lshrrev_b32_e32 v6, 20, v6
	s_andn2_saveexec_b64 s[6:7], s[6:7]
	s_cbranch_execnz .LBB73_1180
.LBB73_1022:
	s_or_b64 exec, exec, s[6:7]
	v_mov_b32_e32 v7, 0
	s_and_saveexec_b64 s[6:7], s[4:5]
.LBB73_1023:
	v_lshrrev_b32_e32 v5, 24, v5
	s_movk_i32 s4, 0x80
	v_and_or_b32 v7, v5, s4, v6
.LBB73_1024:
	s_or_b64 exec, exec, s[6:7]
.LBB73_1025:
	s_or_b64 exec, exec, s[2:3]
	global_store_byte v[0:1], v7, off
.LBB73_1026:
	s_mov_b64 s[4:5], 0
.LBB73_1027:
	s_mov_b64 s[2:3], 0
	s_and_b64 vcc, exec, s[4:5]
	s_cbranch_vccz .LBB73_1067
; %bb.1028:
	s_cmp_gt_i32 s11, 22
	s_mov_b64 s[4:5], -1
	s_cbranch_scc0 .LBB73_1060
; %bb.1029:
	s_cmp_lt_i32 s11, 24
	s_cbranch_scc1 .LBB73_1049
; %bb.1030:
	s_cmp_gt_i32 s11, 24
	s_cbranch_scc0 .LBB73_1038
; %bb.1031:
	v_cvt_f32_f16_e32 v5, v2
	s_mov_b32 s4, 0x47800000
	v_mov_b32_e32 v7, 0x80
	v_and_b32_e32 v6, 0x7fffffff, v5
	v_cmp_gt_u32_e32 vcc, s4, v6
	s_and_saveexec_b64 s[4:5], vcc
	s_cbranch_execz .LBB73_1037
; %bb.1032:
	s_mov_b32 s6, 0x37ffffff
	v_cmp_lt_u32_e32 vcc, s6, v6
	s_mov_b64 s[6:7], 0
                                        ; implicit-def: $vgpr6
	s_and_saveexec_b64 s[8:9], vcc
	s_xor_b64 s[8:9], exec, s[8:9]
	s_cbranch_execz .LBB73_1309
; %bb.1033:
	v_bfe_u32 v6, v5, 21, 1
	s_mov_b32 s12, 0x88fffff
	v_add3_u32 v6, v5, v6, s12
	s_mov_b64 s[6:7], exec
	v_lshrrev_b32_e32 v6, 21, v6
	s_andn2_saveexec_b64 s[8:9], s[8:9]
	s_cbranch_execnz .LBB73_1310
.LBB73_1034:
	s_or_b64 exec, exec, s[8:9]
	v_mov_b32_e32 v7, 0
	s_and_saveexec_b64 s[8:9], s[6:7]
.LBB73_1035:
	v_lshrrev_b32_e32 v5, 24, v5
	s_movk_i32 s6, 0x80
	v_and_or_b32 v7, v5, s6, v6
.LBB73_1036:
	s_or_b64 exec, exec, s[8:9]
.LBB73_1037:
	s_or_b64 exec, exec, s[4:5]
	s_mov_b64 s[4:5], 0
	global_store_byte v[0:1], v7, off
.LBB73_1038:
	s_and_b64 vcc, exec, s[4:5]
	s_cbranch_vccz .LBB73_1048
; %bb.1039:
	v_cvt_f32_f16_e32 v5, v2
	s_mov_b32 s4, 0x43f00000
                                        ; implicit-def: $vgpr6
	v_and_b32_e32 v7, 0x7fffffff, v5
	v_cmp_gt_u32_e32 vcc, s4, v7
	s_and_saveexec_b64 s[4:5], vcc
	s_xor_b64 s[4:5], exec, s[4:5]
	s_cbranch_execz .LBB73_1045
; %bb.1040:
	s_mov_b32 s6, 0x3c7fffff
	v_cmp_lt_u32_e32 vcc, s6, v7
                                        ; implicit-def: $vgpr6
	s_and_saveexec_b64 s[6:7], vcc
	s_xor_b64 s[6:7], exec, s[6:7]
; %bb.1041:
	v_bfe_u32 v6, v5, 20, 1
	s_mov_b32 s8, 0x407ffff
	v_add3_u32 v6, v5, v6, s8
	v_lshrrev_b32_e32 v7, 20, v6
	v_and_b32_e32 v6, 0xff00000, v6
	s_mov_b32 s8, 0x7f00000
	v_mov_b32_e32 v8, 0x7e
	v_cmp_ne_u32_e32 vcc, s8, v6
	s_nop 1
	v_cndmask_b32_e32 v6, v8, v7, vcc
; %bb.1042:
	s_andn2_saveexec_b64 s[6:7], s[6:7]
; %bb.1043:
	s_mov_b32 s8, 0x46800000
	v_add_f32_e64 v6, |v5|, s8
; %bb.1044:
	s_or_b64 exec, exec, s[6:7]
                                        ; implicit-def: $vgpr7
.LBB73_1045:
	s_andn2_saveexec_b64 s[4:5], s[4:5]
; %bb.1046:
	s_mov_b32 s6, 0x7f800000
	v_mov_b32_e32 v6, 0x7e
	v_mov_b32_e32 v8, 0x7f
	v_cmp_lt_u32_e32 vcc, s6, v7
	s_nop 1
	v_cndmask_b32_e32 v6, v6, v8, vcc
; %bb.1047:
	s_or_b64 exec, exec, s[4:5]
	v_lshrrev_b32_e32 v5, 24, v5
	s_movk_i32 s4, 0x80
	v_and_or_b32 v5, v5, s4, v6
	global_store_byte v[0:1], v5, off
.LBB73_1048:
	s_mov_b64 s[4:5], 0
.LBB73_1049:
	s_andn2_b64 vcc, exec, s[4:5]
	s_cbranch_vccnz .LBB73_1059
; %bb.1050:
	v_cvt_f32_f16_e32 v5, v2
	s_mov_b32 s4, 0x47800000
                                        ; implicit-def: $vgpr6
	v_and_b32_e32 v7, 0x7fffffff, v5
	v_cmp_gt_u32_e32 vcc, s4, v7
	s_and_saveexec_b64 s[4:5], vcc
	s_xor_b64 s[4:5], exec, s[4:5]
	s_cbranch_execz .LBB73_1056
; %bb.1051:
	s_mov_b32 s6, 0x387fffff
	v_cmp_lt_u32_e32 vcc, s6, v7
                                        ; implicit-def: $vgpr6
	s_and_saveexec_b64 s[6:7], vcc
	s_xor_b64 s[6:7], exec, s[6:7]
; %bb.1052:
	v_bfe_u32 v6, v5, 21, 1
	s_mov_b32 s8, 0x80fffff
	v_add3_u32 v6, v5, v6, s8
	v_lshrrev_b32_e32 v6, 21, v6
; %bb.1053:
	s_andn2_saveexec_b64 s[6:7], s[6:7]
; %bb.1054:
	s_mov_b32 s8, 0x43000000
	v_add_f32_e64 v6, |v5|, s8
; %bb.1055:
	s_or_b64 exec, exec, s[6:7]
                                        ; implicit-def: $vgpr7
.LBB73_1056:
	s_andn2_saveexec_b64 s[4:5], s[4:5]
; %bb.1057:
	s_mov_b32 s6, 0x7f800000
	v_mov_b32_e32 v6, 0x7c
	v_mov_b32_e32 v8, 0x7f
	v_cmp_lt_u32_e32 vcc, s6, v7
	s_nop 1
	v_cndmask_b32_e32 v6, v6, v8, vcc
; %bb.1058:
	s_or_b64 exec, exec, s[4:5]
	v_lshrrev_b32_e32 v5, 24, v5
	s_movk_i32 s4, 0x80
	v_and_or_b32 v5, v5, s4, v6
	global_store_byte v[0:1], v5, off
.LBB73_1059:
	s_mov_b64 s[4:5], 0
.LBB73_1060:
	s_andn2_b64 vcc, exec, s[4:5]
	s_mov_b64 s[4:5], 0
	s_cbranch_vccnz .LBB73_1068
; %bb.1061:
	s_cmp_gt_i32 s11, 14
	s_mov_b64 s[6:7], -1
	s_cbranch_scc0 .LBB73_1065
; %bb.1062:
	s_cmp_eq_u32 s11, 15
	s_mov_b64 s[0:1], -1
	s_cbranch_scc0 .LBB73_1064
; %bb.1063:
	v_cvt_f32_f16_e32 v5, v2
	s_movk_i32 s0, 0x7fff
	v_cmp_o_f16_e32 vcc, v2, v2
	v_mov_b32_e32 v6, 0x7fc0
	v_bfe_u32 v7, v5, 16, 1
	v_add3_u32 v5, v5, v7, s0
	v_cndmask_b32_sdwa v5, v6, v5, vcc dst_sel:DWORD dst_unused:UNUSED_PAD src0_sel:DWORD src1_sel:WORD_1
	global_store_short v[0:1], v5, off
	s_mov_b64 s[0:1], 0
.LBB73_1064:
	s_mov_b64 s[6:7], 0
.LBB73_1065:
	s_and_b64 vcc, exec, s[6:7]
	s_cbranch_vccz .LBB73_1068
; %bb.1066:
	s_cmp_lg_u32 s11, 11
	s_cselect_b64 s[6:7], -1, 0
	s_andn2_b64 s[0:1], s[0:1], exec
	s_and_b64 s[6:7], s[6:7], exec
	s_mov_b64 s[4:5], -1
	s_or_b64 s[0:1], s[0:1], s[6:7]
	s_branch .LBB73_1068
.LBB73_1067:
	s_mov_b64 s[4:5], 0
.LBB73_1068:
	s_andn2_b64 s[6:7], s[54:55], exec
	s_and_b64 s[0:1], s[0:1], exec
	v_or_b32_e32 v6, v3, v2
	s_and_b64 s[2:3], s[2:3], exec
	s_and_b64 s[4:5], s[4:5], exec
	s_or_b64 s[54:55], s[6:7], s[0:1]
	s_or_b64 exec, exec, s[24:25]
	s_and_saveexec_b64 s[0:1], s[54:55]
	s_cbranch_execz .LBB73_1007
.LBB73_1069:
	s_or_b64 s[22:23], s[22:23], exec
	s_andn2_b64 s[4:5], s[4:5], exec
	s_trap 2
	s_or_b64 exec, exec, s[0:1]
	s_and_saveexec_b64 s[0:1], s[4:5]
	s_xor_b64 s[0:1], exec, s[0:1]
	s_cbranch_execnz .LBB73_1008
.LBB73_1070:
	s_or_b64 exec, exec, s[0:1]
	s_and_saveexec_b64 s[0:1], s[2:3]
	s_xor_b64 s[0:1], exec, s[0:1]
	s_cbranch_execz .LBB73_1108
.LBB73_1071:
	s_sext_i32_i16 s4, s10
	s_cmp_lt_i32 s4, 5
	s_mov_b64 s[2:3], -1
	s_cbranch_scc1 .LBB73_1092
; %bb.1072:
	s_cmp_lt_i32 s4, 8
	s_cbranch_scc1 .LBB73_1082
; %bb.1073:
	s_cmp_lt_i32 s4, 9
	s_cbranch_scc1 .LBB73_1079
; %bb.1074:
	s_cmp_gt_i32 s4, 9
	s_cbranch_scc0 .LBB73_1076
; %bb.1075:
	s_waitcnt vmcnt(0)
	v_cvt_f32_f16_e32 v3, v2
	v_cvt_f32_f16_e32 v5, v4
	s_mov_b64 s[2:3], 0
	v_cvt_f64_f32_e32 v[8:9], v3
	v_cvt_f64_f32_e32 v[10:11], v5
	global_store_dwordx4 v[0:1], v[8:11], off
.LBB73_1076:
	s_andn2_b64 vcc, exec, s[2:3]
	s_cbranch_vccnz .LBB73_1078
; %bb.1077:
	s_waitcnt vmcnt(0)
	v_cvt_f32_f16_e32 v8, v2
	v_cvt_f32_f16_e32 v9, v4
	global_store_dwordx2 v[0:1], v[8:9], off
.LBB73_1078:
	s_mov_b64 s[2:3], 0
.LBB73_1079:
	s_andn2_b64 vcc, exec, s[2:3]
	s_cbranch_vccnz .LBB73_1081
; %bb.1080:
	global_store_dword v[0:1], v6, off
.LBB73_1081:
	s_mov_b64 s[2:3], 0
.LBB73_1082:
	s_andn2_b64 vcc, exec, s[2:3]
	s_cbranch_vccnz .LBB73_1091
; %bb.1083:
	s_sext_i32_i16 s4, s10
	s_cmp_lt_i32 s4, 6
	s_mov_b64 s[2:3], -1
	s_cbranch_scc1 .LBB73_1089
; %bb.1084:
	s_cmp_gt_i32 s4, 6
	s_cbranch_scc0 .LBB73_1086
; %bb.1085:
	s_waitcnt vmcnt(0)
	v_cvt_f32_f16_e32 v3, v2
	s_mov_b64 s[2:3], 0
	v_cvt_f64_f32_e32 v[4:5], v3
	global_store_dwordx2 v[0:1], v[4:5], off
.LBB73_1086:
	s_andn2_b64 vcc, exec, s[2:3]
	s_cbranch_vccnz .LBB73_1088
; %bb.1087:
	s_waitcnt vmcnt(0)
	v_cvt_f32_f16_e32 v3, v2
	global_store_dword v[0:1], v3, off
.LBB73_1088:
	s_mov_b64 s[2:3], 0
.LBB73_1089:
	s_andn2_b64 vcc, exec, s[2:3]
	s_cbranch_vccnz .LBB73_1091
; %bb.1090:
	s_waitcnt vmcnt(0)
	global_store_short v[0:1], v2, off
.LBB73_1091:
	s_mov_b64 s[2:3], 0
.LBB73_1092:
	s_andn2_b64 vcc, exec, s[2:3]
	s_cbranch_vccnz .LBB73_1108
; %bb.1093:
	s_sext_i32_i16 s4, s10
	s_cmp_lt_i32 s4, 2
	s_mov_b64 s[2:3], -1
	s_cbranch_scc1 .LBB73_1103
; %bb.1094:
	s_cmp_lt_i32 s4, 3
	s_cbranch_scc1 .LBB73_1100
; %bb.1095:
	s_cmp_gt_i32 s4, 3
	s_cbranch_scc0 .LBB73_1097
; %bb.1096:
	s_waitcnt vmcnt(0)
	v_cvt_f32_f16_e32 v3, v2
	s_mov_b64 s[2:3], 0
	v_cvt_i32_f32_e32 v4, v3
	v_ashrrev_i32_e32 v5, 31, v4
	global_store_dwordx2 v[0:1], v[4:5], off
.LBB73_1097:
	s_andn2_b64 vcc, exec, s[2:3]
	s_cbranch_vccnz .LBB73_1099
; %bb.1098:
	s_waitcnt vmcnt(0)
	v_cvt_f32_f16_e32 v3, v2
	v_cvt_i32_f32_e32 v3, v3
	global_store_dword v[0:1], v3, off
.LBB73_1099:
	s_mov_b64 s[2:3], 0
.LBB73_1100:
	s_andn2_b64 vcc, exec, s[2:3]
	s_cbranch_vccnz .LBB73_1102
; %bb.1101:
	s_waitcnt vmcnt(0)
	v_cvt_i16_f16_e32 v3, v2
	global_store_short v[0:1], v3, off
.LBB73_1102:
	s_mov_b64 s[2:3], 0
.LBB73_1103:
	s_andn2_b64 vcc, exec, s[2:3]
	s_cbranch_vccnz .LBB73_1108
; %bb.1104:
	s_sext_i32_i16 s2, s10
	s_cmp_gt_i32 s2, 0
	s_mov_b64 s[2:3], -1
	s_cbranch_scc0 .LBB73_1106
; %bb.1105:
	s_waitcnt vmcnt(0)
	v_cvt_i16_f16_e32 v3, v2
	s_mov_b64 s[2:3], 0
	global_store_byte v[0:1], v3, off
.LBB73_1106:
	s_andn2_b64 vcc, exec, s[2:3]
	s_cbranch_vccnz .LBB73_1108
; %bb.1107:
	s_waitcnt vmcnt(0)
	v_cvt_f32_f16_e32 v2, v2
	v_cvt_i32_f32_e32 v2, v2
	global_store_byte v[0:1], v2, off
.LBB73_1108:
	s_or_b64 exec, exec, s[0:1]
	s_and_b64 s[28:29], s[22:23], exec
                                        ; implicit-def: $vgpr8
                                        ; implicit-def: $vgpr21
.LBB73_1109:
	s_or_saveexec_b64 s[36:37], s[44:45]
	s_mov_b64 s[0:1], 0
                                        ; implicit-def: $vgpr0_vgpr1
                                        ; implicit-def: $sgpr22
                                        ; implicit-def: $vgpr4
                                        ; implicit-def: $vgpr3
                                        ; implicit-def: $vgpr2
	s_xor_b64 exec, exec, s[36:37]
	s_cbranch_execz .LBB73_2133
; %bb.1110:
	v_cndmask_b32_e64 v0, 0, 1, s[42:43]
	v_cmp_ne_u32_e64 s[0:1], 1, v0
	s_andn2_b64 vcc, exec, s[42:43]
	s_cbranch_vccnz .LBB73_1116
; %bb.1111:
	s_cmp_lg_u32 s33, 0
	s_mov_b32 s30, 0
	s_cbranch_scc0 .LBB73_1117
; %bb.1112:
	s_min_u32 s31, s72, 15
	s_add_i32 s31, s31, 1
	s_cmp_eq_u32 s72, 2
	s_cbranch_scc1 .LBB73_1118
; %bb.1113:
	s_and_b32 s30, s31, 28
	s_add_u32 s2, s34, 0xc4
	s_addc_u32 s3, s35, 0
	s_mov_b32 s38, 0
	v_mov_b32_e32 v28, 0
	v_mov_b32_e32 v6, 0
	s_mov_b64 s[16:17], s[34:35]
	v_mov_b32_e32 v0, v21
.LBB73_1114:                            ; =>This Inner Loop Header: Depth=1
	s_load_dwordx8 s[20:27], s[16:17], 0x4
	s_load_dwordx4 s[12:15], s[16:17], 0x24
	s_load_dwordx8 s[4:11], s[2:3], 0x0
	s_add_u32 s16, s16, 48
	s_addc_u32 s17, s17, 0
	s_waitcnt lgkmcnt(0)
	v_mul_hi_u32 v1, s21, v0
	v_add_u32_e32 v1, v0, v1
	v_lshrrev_b32_e32 v1, s22, v1
	s_waitcnt vmcnt(0)
	v_mul_lo_u32 v2, v1, s20
	v_mul_hi_u32 v3, s24, v1
	v_sub_u32_e32 v0, v0, v2
	v_add_u32_e32 v2, v1, v3
	v_lshrrev_b32_e32 v2, s25, v2
	v_mul_lo_u32 v4, v2, s23
	v_mul_hi_u32 v5, s27, v2
	v_sub_u32_e32 v1, v1, v4
	v_add_u32_e32 v4, v2, v5
	v_mul_lo_u32 v3, v0, s5
	v_mul_lo_u32 v0, v0, s4
	;; [unrolled: 1-line block ×4, first 2 shown]
	v_lshrrev_b32_e32 v4, s12, v4
	v_add3_u32 v1, v0, v28, v1
	v_add3_u32 v3, v3, v6, v5
	v_mul_lo_u32 v0, v4, s26
	v_mul_hi_u32 v5, s14, v4
	v_sub_u32_e32 v0, v2, v0
	v_add_u32_e32 v2, v4, v5
	v_mul_lo_u32 v5, v0, s8
	v_mul_lo_u32 v6, v0, s9
	v_lshrrev_b32_e32 v0, s15, v2
	s_add_i32 s38, s38, 4
	v_mul_lo_u32 v2, v0, s13
	s_add_u32 s2, s2, 32
	v_sub_u32_e32 v2, v4, v2
	s_addc_u32 s3, s3, 0
	v_mul_lo_u32 v4, v2, s10
	v_mul_lo_u32 v2, v2, s11
	s_cmp_lg_u32 s30, s38
	v_add3_u32 v6, v6, v3, v2
	v_add3_u32 v28, v5, v1, v4
	s_cbranch_scc1 .LBB73_1114
; %bb.1115:
	v_mov_b32_e32 v1, v6
	s_and_b32 s6, s31, 3
	s_cmp_eq_u32 s6, 0
	s_cbranch_scc0 .LBB73_1119
	s_branch .LBB73_1121
.LBB73_1116:
                                        ; implicit-def: $vgpr6
                                        ; implicit-def: $vgpr28
	s_branch .LBB73_1122
.LBB73_1117:
	v_mov_b32_e32 v6, 0
	v_mov_b32_e32 v28, 0
	s_branch .LBB73_1121
.LBB73_1118:
	v_mov_b32_e32 v28, 0
                                        ; implicit-def: $vgpr6
	v_mov_b32_e32 v1, v28
	v_mov_b32_e32 v0, v21
	s_and_b32 s6, s31, 3
	s_cmp_eq_u32 s6, 0
	s_cbranch_scc1 .LBB73_1121
.LBB73_1119:
	s_lshl_b32 s2, s30, 3
	s_add_u32 s2, s34, s2
	s_addc_u32 s3, s35, 0
	s_add_u32 s2, s2, 0xc4
	s_addc_u32 s3, s3, 0
	s_mul_i32 s4, s30, 12
	s_add_u32 s4, s34, s4
	s_addc_u32 s5, s35, 0
.LBB73_1120:                            ; =>This Inner Loop Header: Depth=1
	s_load_dwordx2 s[8:9], s[4:5], 0x4
	s_load_dword s7, s[4:5], 0xc
	s_load_dwordx2 s[10:11], s[2:3], 0x0
	s_waitcnt vmcnt(0)
	v_mov_b32_e32 v2, v1
	s_add_u32 s4, s4, 12
	s_waitcnt lgkmcnt(0)
	v_mul_hi_u32 v1, s9, v0
	v_add_u32_e32 v1, v0, v1
	v_lshrrev_b32_e32 v1, s7, v1
	s_addc_u32 s5, s5, 0
	v_mul_lo_u32 v3, v1, s8
	s_add_u32 s2, s2, 8
	v_sub_u32_e32 v3, v0, v3
	s_addc_u32 s3, s3, 0
	s_add_i32 s6, s6, -1
	v_mad_u64_u32 v[6:7], s[8:9], v3, s11, v[2:3]
	s_cmp_lg_u32 s6, 0
	v_mov_b32_e32 v0, v1
	v_mad_u64_u32 v[28:29], s[8:9], v3, s10, v[28:29]
	v_mov_b32_e32 v1, v6
	s_cbranch_scc1 .LBB73_1120
.LBB73_1121:
	s_cbranch_execnz .LBB73_1124
.LBB73_1122:
	s_load_dwordx4 s[4:7], s[34:35], 0x4
	s_load_dwordx2 s[2:3], s[34:35], 0xc4
	s_cmp_lt_u32 s33, 2
	s_waitcnt lgkmcnt(0)
	v_mul_hi_u32 v0, s5, v21
	v_add_u32_e32 v0, v21, v0
	v_lshrrev_b32_e32 v0, s6, v0
	v_mul_lo_u32 v1, v0, s4
	v_sub_u32_e32 v1, v21, v1
	v_mul_lo_u32 v6, v1, s3
	v_mul_lo_u32 v28, v1, s2
	s_cbranch_scc1 .LBB73_1124
; %bb.1123:
	s_load_dwordx4 s[4:7], s[34:35], 0x10
	s_load_dwordx2 s[2:3], s[34:35], 0xcc
	s_waitcnt lgkmcnt(0)
	v_mul_hi_u32 v1, s5, v0
	v_add_u32_e32 v1, v0, v1
	v_lshrrev_b32_e32 v1, s6, v1
	v_mul_lo_u32 v1, v1, s4
	v_sub_u32_e32 v0, v0, v1
	v_mad_u64_u32 v[28:29], s[4:5], v0, s2, v[28:29]
	v_mad_u64_u32 v[6:7], s[2:3], v0, s3, v[6:7]
.LBB73_1124:
	s_and_b64 vcc, exec, s[0:1]
	v_add_u32_e32 v0, 0x80, v21
	s_cbranch_vccnz .LBB73_1130
; %bb.1125:
	s_cmp_lg_u32 s33, 0
	s_mov_b32 s30, 0
	s_cbranch_scc0 .LBB73_1131
; %bb.1126:
	s_min_u32 s31, s72, 15
	s_add_i32 s31, s31, 1
	s_cmp_eq_u32 s72, 2
	s_cbranch_scc1 .LBB73_1132
; %bb.1127:
	s_and_b32 s30, s31, 28
	s_add_u32 s2, s34, 0xc4
	s_addc_u32 s3, s35, 0
	s_mov_b32 s38, 0
	v_mov_b32_e32 v26, 0
	v_mov_b32_e32 v4, 0
	s_mov_b64 s[16:17], s[34:35]
	s_waitcnt vmcnt(0)
	v_mov_b32_e32 v2, v0
.LBB73_1128:                            ; =>This Inner Loop Header: Depth=1
	s_load_dwordx8 s[20:27], s[16:17], 0x4
	s_load_dwordx4 s[12:15], s[16:17], 0x24
	s_load_dwordx8 s[4:11], s[2:3], 0x0
	s_add_u32 s16, s16, 48
	s_addc_u32 s17, s17, 0
	s_waitcnt lgkmcnt(0)
	v_mul_hi_u32 v1, s21, v2
	v_add_u32_e32 v1, v2, v1
	v_lshrrev_b32_e32 v1, s22, v1
	v_mul_lo_u32 v3, v1, s20
	v_mul_hi_u32 v5, s24, v1
	v_sub_u32_e32 v2, v2, v3
	v_add_u32_e32 v3, v1, v5
	v_lshrrev_b32_e32 v3, s25, v3
	v_mul_lo_u32 v7, v3, s23
	v_mul_hi_u32 v9, s27, v3
	v_sub_u32_e32 v1, v1, v7
	v_add_u32_e32 v7, v3, v9
	v_mul_lo_u32 v5, v2, s5
	v_mul_lo_u32 v2, v2, s4
	;; [unrolled: 1-line block ×4, first 2 shown]
	v_lshrrev_b32_e32 v7, s12, v7
	v_add3_u32 v1, v2, v26, v1
	v_add3_u32 v4, v5, v4, v9
	v_mul_lo_u32 v2, v7, s26
	v_mul_hi_u32 v5, s14, v7
	v_sub_u32_e32 v2, v3, v2
	v_add_u32_e32 v3, v7, v5
	v_mul_lo_u32 v5, v2, s8
	v_mul_lo_u32 v9, v2, s9
	v_lshrrev_b32_e32 v2, s15, v3
	s_add_i32 s38, s38, 4
	v_mul_lo_u32 v3, v2, s13
	s_add_u32 s2, s2, 32
	v_sub_u32_e32 v3, v7, v3
	s_addc_u32 s3, s3, 0
	v_mul_lo_u32 v7, v3, s10
	v_mul_lo_u32 v3, v3, s11
	s_cmp_lg_u32 s30, s38
	v_add3_u32 v4, v9, v4, v3
	v_add3_u32 v26, v5, v1, v7
	s_cbranch_scc1 .LBB73_1128
; %bb.1129:
	v_mov_b32_e32 v1, v4
	s_and_b32 s6, s31, 3
	s_cmp_eq_u32 s6, 0
	s_cbranch_scc0 .LBB73_1133
	s_branch .LBB73_1135
.LBB73_1130:
                                        ; implicit-def: $vgpr4
                                        ; implicit-def: $vgpr26
	s_branch .LBB73_1136
.LBB73_1131:
	v_mov_b32_e32 v4, 0
	v_mov_b32_e32 v26, 0
	s_branch .LBB73_1135
.LBB73_1132:
	v_mov_b32_e32 v26, 0
                                        ; implicit-def: $vgpr4
	v_mov_b32_e32 v1, v26
	s_waitcnt vmcnt(0)
	v_mov_b32_e32 v2, v0
	s_and_b32 s6, s31, 3
	s_cmp_eq_u32 s6, 0
	s_cbranch_scc1 .LBB73_1135
.LBB73_1133:
	s_lshl_b32 s2, s30, 3
	s_add_u32 s2, s34, s2
	s_addc_u32 s3, s35, 0
	s_add_u32 s2, s2, 0xc4
	s_addc_u32 s3, s3, 0
	s_mul_i32 s4, s30, 12
	s_add_u32 s4, s34, s4
	s_addc_u32 s5, s35, 0
.LBB73_1134:                            ; =>This Inner Loop Header: Depth=1
	s_load_dwordx2 s[8:9], s[4:5], 0x4
	s_load_dword s7, s[4:5], 0xc
	s_load_dwordx2 s[10:11], s[2:3], 0x0
	v_mov_b32_e32 v4, v1
	s_add_u32 s4, s4, 12
	s_waitcnt lgkmcnt(0)
	v_mul_hi_u32 v1, s9, v2
	v_add_u32_e32 v1, v2, v1
	v_lshrrev_b32_e32 v1, s7, v1
	s_addc_u32 s5, s5, 0
	v_mul_lo_u32 v3, v1, s8
	s_add_u32 s2, s2, 8
	v_sub_u32_e32 v3, v2, v3
	s_addc_u32 s3, s3, 0
	s_add_i32 s6, s6, -1
	v_mad_u64_u32 v[4:5], s[8:9], v3, s11, v[4:5]
	s_cmp_lg_u32 s6, 0
	v_mov_b32_e32 v2, v1
	v_mad_u64_u32 v[26:27], s[8:9], v3, s10, v[26:27]
	v_mov_b32_e32 v1, v4
	s_cbranch_scc1 .LBB73_1134
.LBB73_1135:
	s_cbranch_execnz .LBB73_1138
.LBB73_1136:
	s_load_dwordx4 s[4:7], s[34:35], 0x4
	s_load_dwordx2 s[2:3], s[34:35], 0xc4
	s_cmp_lt_u32 s33, 2
	s_waitcnt lgkmcnt(0)
	v_mul_hi_u32 v1, s5, v0
	v_add_u32_e32 v1, v0, v1
	v_lshrrev_b32_e32 v1, s6, v1
	s_waitcnt vmcnt(0)
	v_mul_lo_u32 v2, v1, s4
	v_sub_u32_e32 v0, v0, v2
	v_mul_lo_u32 v4, v0, s3
	v_mul_lo_u32 v26, v0, s2
	s_cbranch_scc1 .LBB73_1138
; %bb.1137:
	s_load_dwordx4 s[4:7], s[34:35], 0x10
	s_load_dwordx2 s[2:3], s[34:35], 0xcc
	s_waitcnt lgkmcnt(0)
	v_mul_hi_u32 v0, s5, v1
	v_add_u32_e32 v0, v1, v0
	v_lshrrev_b32_e32 v0, s6, v0
	v_mul_lo_u32 v0, v0, s4
	v_sub_u32_e32 v0, v1, v0
	v_mad_u64_u32 v[26:27], s[4:5], v0, s2, v[26:27]
	v_mad_u64_u32 v[4:5], s[2:3], v0, s3, v[4:5]
.LBB73_1138:
	s_and_b64 vcc, exec, s[0:1]
	v_add_u32_e32 v0, 0x100, v21
	s_cbranch_vccnz .LBB73_1144
; %bb.1139:
	s_cmp_lg_u32 s33, 0
	s_mov_b32 s30, 0
	s_cbranch_scc0 .LBB73_1145
; %bb.1140:
	s_min_u32 s31, s72, 15
	s_add_i32 s31, s31, 1
	s_cmp_eq_u32 s72, 2
	s_cbranch_scc1 .LBB73_1146
; %bb.1141:
	s_and_b32 s30, s31, 28
	s_add_u32 s2, s34, 0xc4
	s_addc_u32 s3, s35, 0
	s_mov_b32 s38, 0
	v_mov_b32_e32 v24, 0
	s_waitcnt vmcnt(0)
	v_mov_b32_e32 v2, 0
	s_mov_b64 s[16:17], s[34:35]
	v_mov_b32_e32 v5, v0
.LBB73_1142:                            ; =>This Inner Loop Header: Depth=1
	s_load_dwordx8 s[20:27], s[16:17], 0x4
	s_load_dwordx4 s[12:15], s[16:17], 0x24
	s_load_dwordx8 s[4:11], s[2:3], 0x0
	s_add_u32 s16, s16, 48
	s_addc_u32 s17, s17, 0
	s_waitcnt lgkmcnt(0)
	v_mul_hi_u32 v1, s21, v5
	v_add_u32_e32 v1, v5, v1
	v_lshrrev_b32_e32 v1, s22, v1
	v_mul_lo_u32 v3, v1, s20
	v_mul_hi_u32 v7, s24, v1
	v_sub_u32_e32 v3, v5, v3
	v_add_u32_e32 v5, v1, v7
	v_lshrrev_b32_e32 v5, s25, v5
	v_mul_lo_u32 v9, v5, s23
	v_mul_hi_u32 v10, s27, v5
	v_sub_u32_e32 v1, v1, v9
	v_add_u32_e32 v9, v5, v10
	v_mul_lo_u32 v7, v3, s5
	v_mul_lo_u32 v3, v3, s4
	;; [unrolled: 1-line block ×4, first 2 shown]
	v_lshrrev_b32_e32 v9, s12, v9
	v_add3_u32 v1, v3, v24, v1
	v_add3_u32 v2, v7, v2, v10
	v_mul_lo_u32 v3, v9, s26
	v_mul_hi_u32 v7, s14, v9
	v_sub_u32_e32 v3, v5, v3
	v_add_u32_e32 v5, v9, v7
	v_lshrrev_b32_e32 v5, s15, v5
	s_add_i32 s38, s38, 4
	v_mul_lo_u32 v10, v5, s13
	s_add_u32 s2, s2, 32
	v_sub_u32_e32 v9, v9, v10
	s_addc_u32 s3, s3, 0
	v_mul_lo_u32 v7, v3, s8
	v_mul_lo_u32 v3, v3, s9
	;; [unrolled: 1-line block ×4, first 2 shown]
	s_cmp_lg_u32 s30, s38
	v_add3_u32 v2, v3, v2, v9
	v_add3_u32 v24, v7, v1, v10
	s_cbranch_scc1 .LBB73_1142
; %bb.1143:
	v_mov_b32_e32 v1, v2
	s_and_b32 s6, s31, 3
	s_cmp_eq_u32 s6, 0
	s_cbranch_scc0 .LBB73_1147
	s_branch .LBB73_1149
.LBB73_1144:
                                        ; implicit-def: $vgpr2
                                        ; implicit-def: $vgpr24
	s_branch .LBB73_1150
.LBB73_1145:
	s_waitcnt vmcnt(0)
	v_mov_b32_e32 v2, 0
	v_mov_b32_e32 v24, 0
	s_branch .LBB73_1149
.LBB73_1146:
	v_mov_b32_e32 v24, 0
                                        ; implicit-def: $vgpr2
	v_mov_b32_e32 v1, v24
	v_mov_b32_e32 v5, v0
	s_and_b32 s6, s31, 3
	s_cmp_eq_u32 s6, 0
	s_cbranch_scc1 .LBB73_1149
.LBB73_1147:
	s_lshl_b32 s2, s30, 3
	s_add_u32 s2, s34, s2
	s_addc_u32 s3, s35, 0
	s_add_u32 s2, s2, 0xc4
	s_addc_u32 s3, s3, 0
	s_mul_i32 s4, s30, 12
	s_add_u32 s4, s34, s4
	s_addc_u32 s5, s35, 0
.LBB73_1148:                            ; =>This Inner Loop Header: Depth=1
	s_load_dwordx2 s[8:9], s[4:5], 0x4
	s_load_dword s7, s[4:5], 0xc
	s_load_dwordx2 s[10:11], s[2:3], 0x0
	s_waitcnt vmcnt(0)
	v_mov_b32_e32 v2, v1
	s_add_u32 s4, s4, 12
	s_waitcnt lgkmcnt(0)
	v_mul_hi_u32 v1, s9, v5
	v_add_u32_e32 v1, v5, v1
	v_lshrrev_b32_e32 v1, s7, v1
	s_addc_u32 s5, s5, 0
	v_mul_lo_u32 v3, v1, s8
	s_add_u32 s2, s2, 8
	v_sub_u32_e32 v7, v5, v3
	s_addc_u32 s3, s3, 0
	s_add_i32 s6, s6, -1
	v_mad_u64_u32 v[2:3], s[8:9], v7, s11, v[2:3]
	s_cmp_lg_u32 s6, 0
	v_mov_b32_e32 v5, v1
	v_mad_u64_u32 v[24:25], s[8:9], v7, s10, v[24:25]
	v_mov_b32_e32 v1, v2
	s_cbranch_scc1 .LBB73_1148
.LBB73_1149:
	s_cbranch_execnz .LBB73_1152
.LBB73_1150:
	s_load_dwordx4 s[4:7], s[34:35], 0x4
	s_load_dwordx2 s[2:3], s[34:35], 0xc4
	s_cmp_lt_u32 s33, 2
	s_waitcnt lgkmcnt(0)
	v_mul_hi_u32 v1, s5, v0
	v_add_u32_e32 v1, v0, v1
	v_lshrrev_b32_e32 v1, s6, v1
	s_waitcnt vmcnt(0)
	v_mul_lo_u32 v2, v1, s4
	v_sub_u32_e32 v0, v0, v2
	v_mul_lo_u32 v2, v0, s3
	v_mul_lo_u32 v24, v0, s2
	s_cbranch_scc1 .LBB73_1152
; %bb.1151:
	s_load_dwordx4 s[4:7], s[34:35], 0x10
	s_load_dwordx2 s[2:3], s[34:35], 0xcc
	s_waitcnt lgkmcnt(0)
	v_mul_hi_u32 v0, s5, v1
	v_add_u32_e32 v0, v1, v0
	v_lshrrev_b32_e32 v0, s6, v0
	v_mul_lo_u32 v0, v0, s4
	v_sub_u32_e32 v0, v1, v0
	v_mad_u64_u32 v[24:25], s[4:5], v0, s2, v[24:25]
	v_mad_u64_u32 v[2:3], s[2:3], v0, s3, v[2:3]
.LBB73_1152:
	s_and_b64 vcc, exec, s[0:1]
	s_cbranch_vccnz .LBB73_1158
; %bb.1153:
	s_cmp_lg_u32 s33, 0
	s_mov_b32 s26, 0
	s_cbranch_scc0 .LBB73_1159
; %bb.1154:
	s_min_u32 s27, s72, 15
	s_add_i32 s27, s27, 1
	s_cmp_eq_u32 s72, 2
	s_cbranch_scc1 .LBB73_1160
; %bb.1155:
	s_and_b32 s26, s27, 28
	s_add_u32 s16, s34, 0xc4
	s_addc_u32 s17, s35, 0
	s_mov_b32 s30, 0
	v_mov_b32_e32 v22, 0
	v_mov_b32_e32 v0, 0
	s_mov_b64 s[24:25], s[34:35]
	s_waitcnt vmcnt(0)
	v_mov_b32_e32 v3, v8
.LBB73_1156:                            ; =>This Inner Loop Header: Depth=1
	s_load_dwordx8 s[8:15], s[24:25], 0x4
	s_load_dwordx4 s[20:23], s[24:25], 0x24
	s_load_dwordx8 s[0:7], s[16:17], 0x0
	s_add_u32 s24, s24, 48
	s_addc_u32 s25, s25, 0
	s_waitcnt lgkmcnt(0)
	v_mul_hi_u32 v1, s9, v3
	v_add_u32_e32 v1, v3, v1
	v_lshrrev_b32_e32 v1, s10, v1
	v_mul_lo_u32 v5, v1, s8
	v_mul_hi_u32 v7, s12, v1
	v_sub_u32_e32 v3, v3, v5
	v_add_u32_e32 v5, v1, v7
	v_lshrrev_b32_e32 v5, s13, v5
	v_mul_lo_u32 v9, v5, s11
	v_mul_hi_u32 v10, s15, v5
	v_sub_u32_e32 v1, v1, v9
	v_add_u32_e32 v9, v5, v10
	v_mul_lo_u32 v7, v3, s1
	v_mul_lo_u32 v3, v3, s0
	;; [unrolled: 1-line block ×4, first 2 shown]
	v_lshrrev_b32_e32 v9, s20, v9
	v_add3_u32 v1, v3, v22, v1
	v_add3_u32 v0, v7, v0, v10
	v_mul_lo_u32 v3, v9, s14
	v_mul_hi_u32 v7, s22, v9
	v_sub_u32_e32 v3, v5, v3
	v_add_u32_e32 v5, v9, v7
	v_mul_lo_u32 v7, v3, s4
	v_mul_lo_u32 v10, v3, s5
	v_lshrrev_b32_e32 v3, s23, v5
	s_add_i32 s30, s30, 4
	v_mul_lo_u32 v5, v3, s21
	s_add_u32 s16, s16, 32
	v_sub_u32_e32 v5, v9, v5
	s_addc_u32 s17, s17, 0
	v_mul_lo_u32 v9, v5, s6
	v_mul_lo_u32 v5, v5, s7
	s_cmp_lg_u32 s26, s30
	v_add3_u32 v0, v10, v0, v5
	v_add3_u32 v22, v7, v1, v9
	s_cbranch_scc1 .LBB73_1156
; %bb.1157:
	v_mov_b32_e32 v1, v0
	s_and_b32 s4, s27, 3
	s_cmp_eq_u32 s4, 0
	s_cbranch_scc0 .LBB73_1161
	s_branch .LBB73_1163
.LBB73_1158:
                                        ; implicit-def: $vgpr0
                                        ; implicit-def: $vgpr22
	s_branch .LBB73_1164
.LBB73_1159:
	v_mov_b32_e32 v0, 0
	v_mov_b32_e32 v22, 0
	s_branch .LBB73_1163
.LBB73_1160:
	v_mov_b32_e32 v22, 0
                                        ; implicit-def: $vgpr0
	v_mov_b32_e32 v1, v22
	s_waitcnt vmcnt(0)
	v_mov_b32_e32 v3, v8
	s_and_b32 s4, s27, 3
	s_cmp_eq_u32 s4, 0
	s_cbranch_scc1 .LBB73_1163
.LBB73_1161:
	s_lshl_b32 s0, s26, 3
	s_add_u32 s0, s34, s0
	s_addc_u32 s1, s35, 0
	s_add_u32 s0, s0, 0xc4
	s_addc_u32 s1, s1, 0
	s_mul_i32 s2, s26, 12
	s_add_u32 s2, s34, s2
	s_addc_u32 s3, s35, 0
.LBB73_1162:                            ; =>This Inner Loop Header: Depth=1
	s_load_dwordx2 s[6:7], s[2:3], 0x4
	s_load_dword s5, s[2:3], 0xc
	s_load_dwordx2 s[8:9], s[0:1], 0x0
	v_mov_b32_e32 v0, v1
	s_add_u32 s2, s2, 12
	s_waitcnt lgkmcnt(0)
	v_mul_hi_u32 v1, s7, v3
	v_add_u32_e32 v1, v3, v1
	v_lshrrev_b32_e32 v1, s5, v1
	s_addc_u32 s3, s3, 0
	v_mul_lo_u32 v5, v1, s6
	s_add_u32 s0, s0, 8
	v_sub_u32_e32 v5, v3, v5
	s_addc_u32 s1, s1, 0
	s_add_i32 s4, s4, -1
	v_mov_b32_e32 v3, v1
	v_mad_u64_u32 v[0:1], s[6:7], v5, s9, v[0:1]
	s_cmp_lg_u32 s4, 0
	v_mad_u64_u32 v[22:23], s[6:7], v5, s8, v[22:23]
	v_mov_b32_e32 v1, v0
	s_cbranch_scc1 .LBB73_1162
.LBB73_1163:
	s_cbranch_execnz .LBB73_1166
.LBB73_1164:
	s_load_dwordx4 s[0:3], s[34:35], 0x4
	s_load_dwordx2 s[4:5], s[34:35], 0xc4
	s_cmp_lt_u32 s33, 2
	s_waitcnt lgkmcnt(0)
	v_mul_hi_u32 v0, s1, v8
	v_add_u32_e32 v0, v8, v0
	v_lshrrev_b32_e32 v1, s2, v0
	v_mul_lo_u32 v0, v1, s0
	s_waitcnt vmcnt(0)
	v_sub_u32_e32 v3, v8, v0
	v_mul_lo_u32 v0, v3, s5
	v_mul_lo_u32 v22, v3, s4
	s_cbranch_scc1 .LBB73_1166
; %bb.1165:
	s_load_dwordx4 s[0:3], s[34:35], 0x10
	s_load_dwordx2 s[4:5], s[34:35], 0xcc
	s_waitcnt lgkmcnt(0)
	v_mul_hi_u32 v3, s1, v1
	v_add_u32_e32 v3, v1, v3
	v_lshrrev_b32_e32 v3, s2, v3
	v_mul_lo_u32 v3, v3, s0
	v_sub_u32_e32 v1, v1, v3
	v_mad_u64_u32 v[22:23], s[0:1], v1, s4, v[22:23]
	v_mad_u64_u32 v[0:1], s[0:1], v1, s5, v[0:1]
.LBB73_1166:
	s_load_dword s24, s[18:19], 0x160
	s_load_dwordx4 s[20:23], s[34:35], 0x148
	v_mov_b32_e32 v7, 0
	s_waitcnt lgkmcnt(0)
	s_bfe_u32 s10, s24, 0x80010
	s_cmp_lt_i32 s10, 11
	v_lshl_add_u64 v[6:7], s[22:23], 0, v[6:7]
	s_cbranch_scc1 .LBB73_1173
; %bb.1167:
	s_and_b32 s11, 0xffff, s10
	s_cmp_gt_i32 s11, 25
	s_mov_b64 s[2:3], 0
	s_cbranch_scc0 .LBB73_1175
; %bb.1168:
	s_cmp_gt_i32 s11, 28
	s_cbranch_scc0 .LBB73_1176
; %bb.1169:
	s_cmp_gt_i32 s11, 43
	;; [unrolled: 3-line block ×3, first 2 shown]
	s_cbranch_scc0 .LBB73_1178
; %bb.1171:
	s_cmp_eq_u32 s11, 46
	s_mov_b64 s[6:7], 0
	s_cbranch_scc0 .LBB73_1181
; %bb.1172:
	global_load_dword v1, v[6:7], off
	s_mov_b64 s[0:1], 0
	s_mov_b64 s[4:5], -1
	s_waitcnt vmcnt(0)
	v_and_b32_e32 v3, 0xffff0000, v1
	v_lshlrev_b32_e32 v1, 16, v1
	v_cvt_f16_f32_e32 v8, v1
	v_cvt_f16_f32_e32 v9, v3
	s_branch .LBB73_1182
.LBB73_1173:
	s_mov_b64 s[4:5], 0
                                        ; implicit-def: $vgpr9
                                        ; implicit-def: $vgpr8
	s_mov_b64 s[18:19], s[28:29]
	s_cbranch_execnz .LBB73_1248
.LBB73_1174:
	s_andn2_b64 vcc, exec, s[4:5]
	s_cbranch_vccz .LBB73_1295
	s_branch .LBB73_2131
.LBB73_1175:
	s_mov_b64 s[4:5], 0
	s_mov_b64 s[0:1], 0
                                        ; implicit-def: $vgpr9
                                        ; implicit-def: $vgpr8
	s_cbranch_execnz .LBB73_1212
	s_branch .LBB73_1244
.LBB73_1176:
	s_mov_b64 s[4:5], 0
	s_mov_b64 s[0:1], 0
                                        ; implicit-def: $vgpr9
                                        ; implicit-def: $vgpr8
	s_cbranch_execnz .LBB73_1194
	s_branch .LBB73_1211
.LBB73_1177:
	s_mov_b64 s[6:7], -1
	s_mov_b64 s[4:5], 0
	s_mov_b64 s[0:1], 0
                                        ; implicit-def: $vgpr9
                                        ; implicit-def: $vgpr8
	s_branch .LBB73_1188
.LBB73_1178:
	s_mov_b64 s[6:7], -1
	s_mov_b64 s[4:5], 0
	s_mov_b64 s[0:1], 0
                                        ; implicit-def: $vgpr9
                                        ; implicit-def: $vgpr8
	s_branch .LBB73_1182
.LBB73_1179:
	s_andn2_saveexec_b64 s[6:7], s[6:7]
	s_cbranch_execz .LBB73_1022
.LBB73_1180:
	s_mov_b32 s8, 0x46000000
	v_add_f32_e64 v6, |v5|, s8
	v_and_b32_e32 v6, 0xff, v6
	v_cmp_ne_u32_e32 vcc, 0, v6
	s_andn2_b64 s[4:5], s[4:5], exec
	s_and_b64 s[8:9], vcc, exec
	s_or_b64 s[4:5], s[4:5], s[8:9]
	s_or_b64 exec, exec, s[6:7]
	v_mov_b32_e32 v7, 0
	s_and_saveexec_b64 s[6:7], s[4:5]
	s_cbranch_execnz .LBB73_1023
	s_branch .LBB73_1024
.LBB73_1181:
	s_mov_b64 s[0:1], -1
                                        ; implicit-def: $vgpr9
                                        ; implicit-def: $vgpr8
	s_mov_b64 s[4:5], 0
.LBB73_1182:
	s_and_b64 vcc, exec, s[6:7]
	s_cbranch_vccz .LBB73_1187
; %bb.1183:
	s_cmp_eq_u32 s11, 44
	s_cbranch_scc0 .LBB73_1185
; %bb.1184:
	global_load_ubyte v1, v[6:7], off
	s_movk_i32 s4, 0xff
	v_mov_b32_e32 v5, 0x7e00
	s_mov_b64 s[0:1], 0
	s_waitcnt vmcnt(0)
	v_lshlrev_b32_e32 v3, 23, v1
	v_cvt_f16_f32_e32 v3, v3
	v_cmp_ne_u32_e32 vcc, s4, v1
	s_mov_b64 s[4:5], -1
	s_nop 0
	v_cndmask_b32_e32 v3, v5, v3, vcc
	v_cmp_ne_u32_e32 vcc, 0, v1
	s_nop 1
	v_cndmask_b32_e32 v8, 0, v3, vcc
	s_branch .LBB73_1186
.LBB73_1185:
	s_mov_b64 s[0:1], -1
                                        ; implicit-def: $vgpr8
.LBB73_1186:
	v_mov_b32_e32 v9, 0
.LBB73_1187:
	s_mov_b64 s[6:7], 0
.LBB73_1188:
	s_and_b64 vcc, exec, s[6:7]
	s_cbranch_vccz .LBB73_1193
; %bb.1189:
	s_cmp_eq_u32 s11, 29
	s_cbranch_scc0 .LBB73_1191
; %bb.1190:
	global_load_dwordx2 v[8:9], v[6:7], off
	s_mov_b64 s[0:1], 0
	s_mov_b64 s[4:5], -1
	s_waitcnt vmcnt(0)
	v_ffbh_u32_e32 v1, v9
	v_min_u32_e32 v1, 32, v1
	v_lshlrev_b64 v[8:9], v1, v[8:9]
	v_min_u32_e32 v3, 1, v8
	v_or_b32_e32 v3, v9, v3
	v_cvt_f32_u32_e32 v3, v3
	v_sub_u32_e32 v1, 32, v1
	v_ldexp_f32 v1, v3, v1
	v_cvt_f16_f32_e32 v8, v1
	s_branch .LBB73_1192
.LBB73_1191:
	s_mov_b64 s[0:1], -1
                                        ; implicit-def: $vgpr8
.LBB73_1192:
	v_mov_b32_e32 v9, 0
.LBB73_1193:
	s_branch .LBB73_1211
.LBB73_1194:
	s_cmp_lt_i32 s11, 27
	s_cbranch_scc1 .LBB73_1197
; %bb.1195:
	s_cmp_gt_i32 s11, 27
	s_cbranch_scc0 .LBB73_1198
; %bb.1196:
	global_load_dword v1, v[6:7], off
	s_mov_b64 s[4:5], 0
	s_waitcnt vmcnt(0)
	v_cvt_f32_u32_e32 v1, v1
	v_cvt_f16_f32_e32 v8, v1
	s_branch .LBB73_1199
.LBB73_1197:
	s_mov_b64 s[4:5], -1
                                        ; implicit-def: $vgpr8
	s_branch .LBB73_1202
.LBB73_1198:
	s_mov_b64 s[4:5], -1
                                        ; implicit-def: $vgpr8
.LBB73_1199:
	s_andn2_b64 vcc, exec, s[4:5]
	s_cbranch_vccnz .LBB73_1201
; %bb.1200:
	global_load_ushort v1, v[6:7], off
	s_waitcnt vmcnt(0)
	v_cvt_f16_u16_e32 v8, v1
.LBB73_1201:
	s_mov_b64 s[4:5], 0
.LBB73_1202:
	s_andn2_b64 vcc, exec, s[4:5]
	s_cbranch_vccnz .LBB73_1210
; %bb.1203:
	global_load_ubyte v1, v[6:7], off
	s_movk_i32 s4, 0x7f
	s_waitcnt vmcnt(0)
	v_cmp_lt_i16_e32 vcc, s4, v1
	s_mov_b64 s[4:5], 0
	s_and_saveexec_b64 s[6:7], vcc
	s_xor_b64 s[6:7], exec, s[6:7]
	s_cbranch_execz .LBB73_1223
; %bb.1204:
	s_movk_i32 s4, 0x80
	v_cmp_eq_u16_e32 vcc, s4, v1
	s_mov_b64 s[4:5], -1
	s_and_saveexec_b64 s[8:9], vcc
; %bb.1205:
	s_xor_b64 s[4:5], exec, -1
; %bb.1206:
	s_or_b64 exec, exec, s[8:9]
	s_and_b64 s[4:5], s[4:5], exec
	s_or_saveexec_b64 s[6:7], s[6:7]
	v_mov_b32_e32 v8, 0x7e00
	s_xor_b64 exec, exec, s[6:7]
	s_cbranch_execnz .LBB73_1224
.LBB73_1207:
	s_or_b64 exec, exec, s[6:7]
	s_and_saveexec_b64 s[6:7], s[4:5]
	s_cbranch_execz .LBB73_1209
.LBB73_1208:
	v_lshlrev_b32_e32 v3, 24, v1
	v_and_b32_e32 v1, 0xffff, v1
	v_and_b32_e32 v5, 7, v1
	v_ffbh_u32_e32 v9, v5
	v_min_u32_e32 v9, 32, v9
	v_subrev_u32_e32 v10, 28, v9
	v_bfe_u32 v8, v1, 3, 4
	v_lshlrev_b32_e32 v1, v10, v1
	v_sub_u32_e32 v9, 29, v9
	v_and_b32_e32 v1, 7, v1
	v_cmp_eq_u32_e32 vcc, 0, v8
	v_and_b32_e32 v3, 0x80000000, v3
	s_nop 0
	v_cndmask_b32_e32 v8, v8, v9, vcc
	v_cndmask_b32_e32 v1, v5, v1, vcc
	v_mov_b32_e32 v5, 0x3b800000
	v_lshlrev_b32_e32 v1, 20, v1
	v_lshl_add_u32 v5, v8, 23, v5
	v_or3_b32 v1, v3, v5, v1
	v_cvt_f16_f32_e32 v8, v1
.LBB73_1209:
	s_or_b64 exec, exec, s[6:7]
.LBB73_1210:
	s_mov_b64 s[4:5], -1
	v_mov_b32_e32 v9, 0
.LBB73_1211:
	s_branch .LBB73_1244
.LBB73_1212:
	s_cmp_gt_i32 s11, 22
	s_cbranch_scc0 .LBB73_1222
; %bb.1213:
	s_cmp_lt_i32 s11, 24
	s_cbranch_scc1 .LBB73_1225
; %bb.1214:
	s_cmp_gt_i32 s11, 24
	s_cbranch_scc0 .LBB73_1226
; %bb.1215:
	global_load_ubyte v1, v[6:7], off
	s_movk_i32 s2, 0x7f
	s_waitcnt vmcnt(0)
	v_cmp_lt_i16_e32 vcc, s2, v1
	s_mov_b64 s[2:3], 0
	s_and_saveexec_b64 s[4:5], vcc
	s_xor_b64 s[4:5], exec, s[4:5]
	s_cbranch_execz .LBB73_1237
; %bb.1216:
	s_movk_i32 s2, 0x80
	v_cmp_eq_u16_e32 vcc, s2, v1
	s_mov_b64 s[2:3], -1
	s_and_saveexec_b64 s[6:7], vcc
; %bb.1217:
	s_xor_b64 s[2:3], exec, -1
; %bb.1218:
	s_or_b64 exec, exec, s[6:7]
	s_and_b64 s[2:3], s[2:3], exec
	s_or_saveexec_b64 s[4:5], s[4:5]
	v_mov_b32_e32 v8, 0x7e00
	s_xor_b64 exec, exec, s[4:5]
	s_cbranch_execnz .LBB73_1238
.LBB73_1219:
	s_or_b64 exec, exec, s[4:5]
	s_and_saveexec_b64 s[4:5], s[2:3]
	s_cbranch_execz .LBB73_1221
.LBB73_1220:
	v_lshlrev_b32_e32 v3, 24, v1
	v_and_b32_e32 v1, 0xffff, v1
	v_and_b32_e32 v5, 3, v1
	v_ffbh_u32_e32 v9, v5
	v_min_u32_e32 v9, 32, v9
	v_subrev_u32_e32 v10, 29, v9
	v_bfe_u32 v8, v1, 2, 5
	v_lshlrev_b32_e32 v1, v10, v1
	v_sub_u32_e32 v9, 30, v9
	v_and_b32_e32 v1, 3, v1
	v_cmp_eq_u32_e32 vcc, 0, v8
	v_and_b32_e32 v3, 0x80000000, v3
	s_nop 0
	v_cndmask_b32_e32 v8, v8, v9, vcc
	v_cndmask_b32_e32 v1, v5, v1, vcc
	v_mov_b32_e32 v5, 0x37800000
	v_lshlrev_b32_e32 v1, 21, v1
	v_lshl_add_u32 v5, v8, 23, v5
	v_or3_b32 v1, v3, v5, v1
	v_cvt_f16_f32_e32 v8, v1
.LBB73_1221:
	s_or_b64 exec, exec, s[4:5]
	s_mov_b64 s[2:3], 0
	s_branch .LBB73_1227
.LBB73_1222:
                                        ; implicit-def: $vgpr8
	s_mov_b64 s[2:3], 0
	s_branch .LBB73_1233
.LBB73_1223:
	s_or_saveexec_b64 s[6:7], s[6:7]
	v_mov_b32_e32 v8, 0x7e00
	s_xor_b64 exec, exec, s[6:7]
	s_cbranch_execz .LBB73_1207
.LBB73_1224:
	v_cmp_ne_u16_e32 vcc, 0, v1
	s_andn2_b64 s[4:5], s[4:5], exec
	s_and_b64 s[8:9], vcc, exec
	s_or_b64 s[4:5], s[4:5], s[8:9]
	v_mov_b32_e32 v8, v1
	s_or_b64 exec, exec, s[6:7]
	s_and_saveexec_b64 s[6:7], s[4:5]
	s_cbranch_execnz .LBB73_1208
	s_branch .LBB73_1209
.LBB73_1225:
	s_mov_b64 s[2:3], -1
                                        ; implicit-def: $vgpr8
	s_branch .LBB73_1230
.LBB73_1226:
	s_mov_b64 s[2:3], -1
                                        ; implicit-def: $vgpr8
.LBB73_1227:
	s_and_b64 vcc, exec, s[2:3]
	s_cbranch_vccz .LBB73_1229
; %bb.1228:
	global_load_ubyte v1, v[6:7], off
	s_mov_b32 s2, 0x7f800000
	s_waitcnt vmcnt(0)
	v_lshlrev_b32_e32 v1, 24, v1
	v_and_b32_e32 v3, 0x7f000000, v1
	v_ffbh_u32_e32 v5, v3
	v_min_u32_e32 v5, 32, v5
	v_sub_u32_e64 v5, v5, 4 clamp
	v_lshlrev_b32_e32 v9, v5, v3
	v_lshlrev_b32_e32 v5, 23, v5
	v_lshrrev_b32_e32 v9, 4, v9
	v_add_u32_e32 v8, 0x1000000, v3
	v_sub_u32_e32 v5, v9, v5
	v_ashrrev_i32_e32 v8, 8, v8
	v_add_u32_e32 v5, 0x3c000000, v5
	v_and_or_b32 v5, v8, s2, v5
	v_cmp_ne_u32_e32 vcc, 0, v3
	s_brev_b32 s2, 1
	s_nop 0
	v_cndmask_b32_e32 v3, 0, v5, vcc
	v_and_or_b32 v1, v1, s2, v3
	v_cvt_f16_f32_e32 v8, v1
.LBB73_1229:
	s_mov_b64 s[2:3], 0
.LBB73_1230:
	s_andn2_b64 vcc, exec, s[2:3]
	s_cbranch_vccnz .LBB73_1232
; %bb.1231:
	global_load_ubyte v1, v[6:7], off
	s_movk_i32 s2, 0x7f00
	s_brev_b32 s3, 16
	s_waitcnt vmcnt(0)
	v_lshlrev_b16_e32 v3, 8, v1
	v_lshlrev_b32_e32 v1, 25, v1
	v_lshrrev_b32_e32 v5, 4, v1
	v_and_or_b32 v8, v3, s2, 0.5
	v_or_b32_e32 v5, 0x70000000, v5
	v_add_f32_e32 v8, -0.5, v8
	v_mul_f32_e32 v5, 0x7800000, v5
	v_cmp_gt_u32_e32 vcc, s3, v1
	v_bfe_i32 v3, v3, 0, 16
	s_brev_b32 s2, 1
	v_cndmask_b32_e32 v1, v5, v8, vcc
	v_and_or_b32 v1, v3, s2, v1
	v_cvt_f16_f32_e32 v8, v1
.LBB73_1232:
	s_mov_b64 s[4:5], -1
	s_mov_b64 s[2:3], 0
	s_cbranch_execnz .LBB73_1243
.LBB73_1233:
	s_cmp_gt_i32 s11, 14
	s_cbranch_scc0 .LBB73_1236
; %bb.1234:
	s_cmp_eq_u32 s11, 15
	s_cbranch_scc0 .LBB73_1239
; %bb.1235:
	global_load_ushort v1, v[6:7], off
	s_mov_b64 s[0:1], 0
	s_mov_b64 s[4:5], -1
	s_waitcnt vmcnt(0)
	v_lshlrev_b32_e32 v1, 16, v1
	v_cvt_f16_f32_e32 v8, v1
	s_branch .LBB73_1240
.LBB73_1236:
	s_mov_b64 s[6:7], -1
                                        ; implicit-def: $vgpr8
	s_branch .LBB73_1241
.LBB73_1237:
	s_or_saveexec_b64 s[4:5], s[4:5]
	v_mov_b32_e32 v8, 0x7e00
	s_xor_b64 exec, exec, s[4:5]
	s_cbranch_execz .LBB73_1219
.LBB73_1238:
	v_cmp_ne_u16_e32 vcc, 0, v1
	s_andn2_b64 s[2:3], s[2:3], exec
	s_and_b64 s[6:7], vcc, exec
	s_or_b64 s[2:3], s[2:3], s[6:7]
	v_mov_b32_e32 v8, v1
	s_or_b64 exec, exec, s[4:5]
	s_and_saveexec_b64 s[4:5], s[2:3]
	s_cbranch_execnz .LBB73_1220
	s_branch .LBB73_1221
.LBB73_1239:
	s_mov_b64 s[0:1], -1
                                        ; implicit-def: $vgpr8
.LBB73_1240:
	s_mov_b64 s[6:7], 0
.LBB73_1241:
	s_and_b64 vcc, exec, s[6:7]
	s_cbranch_vccz .LBB73_1243
; %bb.1242:
	s_cmp_lg_u32 s11, 11
	s_mov_b64 s[2:3], -1
	s_cselect_b64 s[0:1], -1, 0
.LBB73_1243:
	v_mov_b32_e32 v9, 0
.LBB73_1244:
	s_and_b64 vcc, exec, s[0:1]
	s_mov_b64 s[18:19], s[28:29]
	s_cbranch_vccnz .LBB73_1307
; %bb.1245:
	s_andn2_b64 vcc, exec, s[2:3]
	s_cbranch_vccnz .LBB73_1247
.LBB73_1246:
	global_load_ubyte v1, v[6:7], off
	s_waitcnt vmcnt(1)
	v_mov_b32_e32 v3, 0x3c00
	v_mov_b32_e32 v9, 0
	s_mov_b64 s[4:5], -1
	s_waitcnt vmcnt(0)
	v_cmp_ne_u16_e32 vcc, 0, v1
	s_nop 1
	v_cndmask_b32_e32 v8, 0, v3, vcc
.LBB73_1247:
	s_branch .LBB73_1174
.LBB73_1248:
	s_and_b32 s2, 0xffff, s10
	s_cmp_lt_i32 s2, 5
	s_cbranch_scc1 .LBB73_1253
; %bb.1249:
	s_cmp_lt_i32 s2, 8
	s_cbranch_scc1 .LBB73_1255
; %bb.1250:
	;; [unrolled: 3-line block ×3, first 2 shown]
	s_cmp_gt_i32 s2, 9
	s_cbranch_scc0 .LBB73_1257
; %bb.1252:
	global_load_dwordx4 v[8:11], v[6:7], off
	s_movk_i32 s0, 0x1ff
	s_movk_i32 s1, 0xffe
	v_mov_b32_e32 v1, 0x7c00
	s_waitcnt vmcnt(1)
	v_mov_b32_e32 v3, 0x7e00
	s_movk_i32 s3, 0x40f
	s_mov_b32 s4, 0x8000
	s_waitcnt vmcnt(0)
	v_and_or_b32 v5, v9, s0, v8
	v_and_or_b32 v10, v11, s0, v10
	v_cmp_ne_u32_e32 vcc, 0, v5
	v_lshrrev_b32_e32 v8, 8, v9
	v_bfe_u32 v12, v9, 20, 11
	v_cndmask_b32_e64 v5, 0, 1, vcc
	v_cmp_ne_u32_e32 vcc, 0, v10
	v_lshrrev_b32_e32 v13, 8, v11
	v_bfe_u32 v14, v11, 20, 11
	v_sub_u32_e32 v15, 0x3f1, v12
	v_cndmask_b32_e64 v10, 0, 1, vcc
	v_and_or_b32 v5, v8, s1, v5
	v_add_u32_e32 v12, 0xfffffc10, v12
	v_sub_u32_e32 v16, 0x3f1, v14
	v_add_u32_e32 v14, 0xfffffc10, v14
	v_med3_i32 v8, v15, 0, 13
	v_and_or_b32 v10, v13, s1, v10
	v_or_b32_e32 v15, 0x1000, v5
	v_cmp_ne_u32_e32 vcc, 0, v5
	v_med3_i32 v13, v16, 0, 13
	v_lshl_or_b32 v16, v12, 12, v5
	v_cndmask_b32_e32 v5, v1, v3, vcc
	v_or_b32_e32 v17, 0x1000, v10
	v_lshl_or_b32 v18, v14, 12, v10
	v_cmp_ne_u32_e32 vcc, 0, v10
	v_lshrrev_b32_e32 v10, v8, v15
	v_lshrrev_b32_e32 v19, v13, v17
	v_lshlrev_b32_e32 v8, v8, v10
	v_cndmask_b32_e32 v3, v1, v3, vcc
	v_lshlrev_b32_e32 v13, v13, v19
	v_cmp_ne_u32_e32 vcc, v8, v15
	v_lshrrev_b32_e32 v9, 16, v9
	v_lshrrev_b32_e32 v11, 16, v11
	v_cndmask_b32_e64 v8, 0, 1, vcc
	v_cmp_ne_u32_e32 vcc, v13, v17
	v_or_b32_e32 v8, v10, v8
	s_mov_b64 s[0:1], 0
	v_cndmask_b32_e64 v13, 0, 1, vcc
	v_cmp_gt_i32_e32 vcc, 1, v12
	v_or_b32_e32 v10, v19, v13
	s_nop 0
	v_cndmask_b32_e32 v8, v16, v8, vcc
	v_cmp_gt_i32_e32 vcc, 1, v14
	v_and_b32_e32 v13, 7, v8
	v_lshrrev_b32_e32 v8, 2, v8
	v_cndmask_b32_e32 v10, v18, v10, vcc
	v_cmp_lt_i32_e32 vcc, 5, v13
	v_and_b32_e32 v15, 7, v10
	v_lshrrev_b32_e32 v10, 2, v10
	v_cndmask_b32_e64 v16, 0, 1, vcc
	v_cmp_eq_u32_e32 vcc, 3, v13
	s_nop 1
	v_cndmask_b32_e64 v13, 0, 1, vcc
	v_cmp_lt_i32_e32 vcc, 5, v15
	v_or_b32_e32 v13, v13, v16
	v_add_u32_e32 v8, v8, v13
	v_cndmask_b32_e64 v17, 0, 1, vcc
	v_cmp_eq_u32_e32 vcc, 3, v15
	s_nop 1
	v_cndmask_b32_e64 v15, 0, 1, vcc
	v_or_b32_e32 v15, v15, v17
	v_cmp_gt_i32_e32 vcc, 31, v12
	v_add_u32_e32 v10, v10, v15
	s_nop 0
	v_cndmask_b32_e32 v8, v1, v8, vcc
	v_cmp_gt_i32_e32 vcc, 31, v14
	s_nop 1
	v_cndmask_b32_e32 v1, v1, v10, vcc
	v_cmp_eq_u32_e32 vcc, s3, v12
	s_nop 1
	v_cndmask_b32_e32 v5, v8, v5, vcc
	v_cmp_eq_u32_e32 vcc, s3, v14
	v_and_or_b32 v8, v9, s4, v5
	s_nop 0
	v_cndmask_b32_e32 v1, v1, v3, vcc
	v_and_or_b32 v9, v11, s4, v1
	s_branch .LBB73_1258
.LBB73_1253:
                                        ; implicit-def: $vgpr9
                                        ; implicit-def: $vgpr8
	s_branch .LBB73_1276
.LBB73_1254:
	s_branch .LBB73_1295
.LBB73_1255:
                                        ; implicit-def: $vgpr9
                                        ; implicit-def: $vgpr8
	s_branch .LBB73_1264
.LBB73_1256:
	s_mov_b64 s[0:1], -1
                                        ; implicit-def: $vgpr9
                                        ; implicit-def: $vgpr8
	s_branch .LBB73_1261
.LBB73_1257:
	s_mov_b64 s[0:1], -1
                                        ; implicit-def: $vgpr9
                                        ; implicit-def: $vgpr8
.LBB73_1258:
	s_andn2_b64 vcc, exec, s[0:1]
	s_cbranch_vccnz .LBB73_1260
; %bb.1259:
	global_load_dwordx2 v[8:9], v[6:7], off
	s_waitcnt vmcnt(0)
	v_cvt_f16_f32_e32 v8, v8
	v_cvt_f16_f32_e32 v9, v9
.LBB73_1260:
	s_mov_b64 s[0:1], 0
.LBB73_1261:
	s_andn2_b64 vcc, exec, s[0:1]
	s_cbranch_vccnz .LBB73_1263
; %bb.1262:
	global_load_dword v8, v[6:7], off
	s_waitcnt vmcnt(0)
	v_lshrrev_b32_e32 v9, 16, v8
.LBB73_1263:
	s_cbranch_execnz .LBB73_1275
.LBB73_1264:
	s_cmp_lt_i32 s2, 6
	s_cbranch_scc1 .LBB73_1267
; %bb.1265:
	s_cmp_gt_i32 s2, 6
	s_cbranch_scc0 .LBB73_1268
; %bb.1266:
	global_load_dwordx2 v[8:9], v[6:7], off
	s_movk_i32 s0, 0x1ff
	s_movk_i32 s1, 0xffe
	v_mov_b32_e32 v1, 0x7c00
	s_waitcnt vmcnt(1)
	v_mov_b32_e32 v3, 0x7e00
	s_movk_i32 s3, 0x40f
	s_mov_b32 s4, 0x8000
	s_waitcnt vmcnt(0)
	v_and_or_b32 v5, v9, s0, v8
	v_cmp_ne_u32_e32 vcc, 0, v5
	v_lshrrev_b32_e32 v8, 8, v9
	v_bfe_u32 v10, v9, 20, 11
	v_cndmask_b32_e64 v5, 0, 1, vcc
	v_sub_u32_e32 v11, 0x3f1, v10
	v_and_or_b32 v5, v8, s1, v5
	v_add_u32_e32 v10, 0xfffffc10, v10
	v_med3_i32 v8, v11, 0, 13
	v_or_b32_e32 v11, 0x1000, v5
	v_lshl_or_b32 v12, v10, 12, v5
	v_cmp_ne_u32_e32 vcc, 0, v5
	v_lshrrev_b32_e32 v5, v8, v11
	v_lshlrev_b32_e32 v8, v8, v5
	v_cndmask_b32_e32 v3, v1, v3, vcc
	v_cmp_ne_u32_e32 vcc, v8, v11
	v_lshrrev_b32_e32 v9, 16, v9
	s_mov_b64 s[0:1], 0
	v_cndmask_b32_e64 v8, 0, 1, vcc
	v_or_b32_e32 v5, v5, v8
	v_cmp_gt_i32_e32 vcc, 1, v10
	s_nop 1
	v_cndmask_b32_e32 v5, v12, v5, vcc
	v_and_b32_e32 v8, 7, v5
	v_cmp_lt_i32_e32 vcc, 5, v8
	v_lshrrev_b32_e32 v5, 2, v5
	s_nop 0
	v_cndmask_b32_e64 v11, 0, 1, vcc
	v_cmp_eq_u32_e32 vcc, 3, v8
	s_nop 1
	v_cndmask_b32_e64 v8, 0, 1, vcc
	v_or_b32_e32 v8, v8, v11
	v_add_u32_e32 v5, v5, v8
	v_cmp_gt_i32_e32 vcc, 31, v10
	s_nop 1
	v_cndmask_b32_e32 v1, v1, v5, vcc
	v_cmp_eq_u32_e32 vcc, s3, v10
	s_nop 1
	v_cndmask_b32_e32 v1, v1, v3, vcc
	v_and_or_b32 v8, v9, s4, v1
	s_branch .LBB73_1269
.LBB73_1267:
	s_mov_b64 s[0:1], -1
                                        ; implicit-def: $vgpr8
	s_branch .LBB73_1272
.LBB73_1268:
	s_mov_b64 s[0:1], -1
                                        ; implicit-def: $vgpr8
.LBB73_1269:
	s_andn2_b64 vcc, exec, s[0:1]
	s_cbranch_vccnz .LBB73_1271
; %bb.1270:
	global_load_dword v1, v[6:7], off
	s_waitcnt vmcnt(0)
	v_cvt_f16_f32_e32 v8, v1
.LBB73_1271:
	s_mov_b64 s[0:1], 0
.LBB73_1272:
	s_andn2_b64 vcc, exec, s[0:1]
	s_cbranch_vccnz .LBB73_1274
; %bb.1273:
	global_load_ushort v8, v[6:7], off
.LBB73_1274:
	v_mov_b32_e32 v9, 0
.LBB73_1275:
	s_cbranch_execnz .LBB73_1254
.LBB73_1276:
	s_cmp_lt_i32 s2, 2
	s_cbranch_scc1 .LBB73_1280
; %bb.1277:
	s_cmp_lt_i32 s2, 3
	s_cbranch_scc1 .LBB73_1281
; %bb.1278:
	s_cmp_gt_i32 s2, 3
	s_cbranch_scc0 .LBB73_1282
; %bb.1279:
	global_load_dwordx2 v[8:9], v[6:7], off
	s_mov_b64 s[0:1], 0
	s_waitcnt vmcnt(0)
	v_xor_b32_e32 v3, v8, v9
	v_ffbh_i32_e32 v1, v9
	v_ashrrev_i32_e32 v3, 31, v3
	v_add_u32_e32 v1, -1, v1
	v_add_u32_e32 v3, 32, v3
	v_min_u32_e32 v1, v1, v3
	v_lshlrev_b64 v[8:9], v1, v[8:9]
	v_min_u32_e32 v3, 1, v8
	v_or_b32_e32 v3, v9, v3
	v_cvt_f32_i32_e32 v3, v3
	v_sub_u32_e32 v1, 32, v1
	v_ldexp_f32 v1, v3, v1
	v_cvt_f16_f32_e32 v8, v1
	s_branch .LBB73_1283
.LBB73_1280:
                                        ; implicit-def: $vgpr8
	s_branch .LBB73_1289
.LBB73_1281:
	s_mov_b64 s[0:1], -1
                                        ; implicit-def: $vgpr8
	s_branch .LBB73_1286
.LBB73_1282:
	s_mov_b64 s[0:1], -1
                                        ; implicit-def: $vgpr8
.LBB73_1283:
	s_andn2_b64 vcc, exec, s[0:1]
	s_cbranch_vccnz .LBB73_1285
; %bb.1284:
	global_load_dword v1, v[6:7], off
	s_waitcnt vmcnt(0)
	v_cvt_f32_i32_e32 v1, v1
	v_cvt_f16_f32_e32 v8, v1
.LBB73_1285:
	s_mov_b64 s[0:1], 0
.LBB73_1286:
	s_andn2_b64 vcc, exec, s[0:1]
	s_cbranch_vccnz .LBB73_1288
; %bb.1287:
	global_load_ushort v1, v[6:7], off
	s_waitcnt vmcnt(0)
	v_cvt_f16_i16_e32 v8, v1
.LBB73_1288:
	s_cbranch_execnz .LBB73_1294
.LBB73_1289:
	s_cmp_gt_i32 s2, 0
	s_cbranch_scc0 .LBB73_1291
; %bb.1290:
	global_load_sbyte v1, v[6:7], off
	s_mov_b64 s[0:1], 0
	s_waitcnt vmcnt(0)
	v_cvt_f16_i16_e32 v8, v1
	s_branch .LBB73_1292
.LBB73_1291:
	s_mov_b64 s[0:1], -1
                                        ; implicit-def: $vgpr8
.LBB73_1292:
	s_andn2_b64 vcc, exec, s[0:1]
	s_cbranch_vccnz .LBB73_1294
; %bb.1293:
	global_load_ubyte v1, v[6:7], off
	s_waitcnt vmcnt(0)
	v_cvt_f16_u16_e32 v8, v1
.LBB73_1294:
	v_mov_b32_e32 v9, 0
.LBB73_1295:
	s_lshr_b32 s0, s24, 16
	v_mov_b32_e32 v5, 0
	s_and_b32 s10, s0, 0xff
	s_cmp_lt_i32 s10, 11
	v_lshl_add_u64 v[4:5], s[22:23], 0, v[4:5]
	s_cbranch_scc1 .LBB73_1302
; %bb.1296:
	s_and_b32 s11, 0xffff, s10
	s_cmp_gt_i32 s11, 25
	s_mov_b64 s[2:3], 0
	s_cbranch_scc0 .LBB73_1304
; %bb.1297:
	s_cmp_gt_i32 s11, 28
	s_cbranch_scc0 .LBB73_1305
; %bb.1298:
	s_cmp_gt_i32 s11, 43
	s_cbranch_scc0 .LBB73_1306
; %bb.1299:
	s_cmp_gt_i32 s11, 45
	s_cbranch_scc0 .LBB73_1308
; %bb.1300:
	s_cmp_eq_u32 s11, 46
	s_mov_b64 s[6:7], 0
	s_cbranch_scc0 .LBB73_1311
; %bb.1301:
	global_load_dword v1, v[4:5], off
	s_mov_b64 s[0:1], 0
	s_mov_b64 s[4:5], -1
	s_waitcnt vmcnt(0)
	v_and_b32_e32 v3, 0xffff0000, v1
	v_lshlrev_b32_e32 v1, 16, v1
	v_cvt_f16_f32_e32 v21, v1
	v_cvt_f16_f32_e32 v25, v3
	s_branch .LBB73_1312
.LBB73_1302:
	s_mov_b64 s[4:5], 0
                                        ; implicit-def: $vgpr25
                                        ; implicit-def: $vgpr21
	s_cbranch_execnz .LBB73_1380
.LBB73_1303:
	s_andn2_b64 vcc, exec, s[4:5]
	s_cbranch_vccnz .LBB73_2131
	s_branch .LBB73_1429
.LBB73_1304:
	s_mov_b64 s[4:5], 0
	s_mov_b64 s[0:1], 0
                                        ; implicit-def: $vgpr25
                                        ; implicit-def: $vgpr21
	s_cbranch_execnz .LBB73_1343
	s_branch .LBB73_1376
.LBB73_1305:
	s_mov_b64 s[6:7], -1
	s_mov_b64 s[4:5], 0
	s_mov_b64 s[0:1], 0
                                        ; implicit-def: $vgpr25
                                        ; implicit-def: $vgpr21
	s_branch .LBB73_1324
.LBB73_1306:
	s_mov_b64 s[6:7], -1
	s_mov_b64 s[4:5], 0
	s_mov_b64 s[0:1], 0
                                        ; implicit-def: $vgpr25
                                        ; implicit-def: $vgpr21
	s_branch .LBB73_1318
.LBB73_1307:
	s_trap 2
	s_or_b64 s[18:19], s[28:29], exec
	s_cbranch_execz .LBB73_1246
	s_branch .LBB73_1247
.LBB73_1308:
	s_mov_b64 s[6:7], -1
	s_mov_b64 s[4:5], 0
	s_mov_b64 s[0:1], 0
                                        ; implicit-def: $vgpr25
                                        ; implicit-def: $vgpr21
	s_branch .LBB73_1312
.LBB73_1309:
	s_andn2_saveexec_b64 s[8:9], s[8:9]
	s_cbranch_execz .LBB73_1034
.LBB73_1310:
	s_mov_b32 s12, 0x42800000
	v_add_f32_e64 v6, |v5|, s12
	v_and_b32_e32 v6, 0xff, v6
	v_cmp_ne_u32_e32 vcc, 0, v6
	s_andn2_b64 s[6:7], s[6:7], exec
	s_and_b64 s[12:13], vcc, exec
	s_or_b64 s[6:7], s[6:7], s[12:13]
	s_or_b64 exec, exec, s[8:9]
	v_mov_b32_e32 v7, 0
	s_and_saveexec_b64 s[8:9], s[6:7]
	s_cbranch_execnz .LBB73_1035
	s_branch .LBB73_1036
.LBB73_1311:
	s_mov_b64 s[0:1], -1
                                        ; implicit-def: $vgpr25
                                        ; implicit-def: $vgpr21
	s_mov_b64 s[4:5], 0
.LBB73_1312:
	s_and_b64 vcc, exec, s[6:7]
	s_cbranch_vccz .LBB73_1317
; %bb.1313:
	s_cmp_eq_u32 s11, 44
	s_cbranch_scc0 .LBB73_1315
; %bb.1314:
	global_load_ubyte v1, v[4:5], off
	s_movk_i32 s4, 0xff
	v_mov_b32_e32 v6, 0x7e00
	s_mov_b64 s[0:1], 0
	s_waitcnt vmcnt(0)
	v_lshlrev_b32_e32 v3, 23, v1
	v_cvt_f16_f32_e32 v3, v3
	v_cmp_ne_u32_e32 vcc, s4, v1
	s_mov_b64 s[4:5], -1
	s_nop 0
	v_cndmask_b32_e32 v3, v6, v3, vcc
	v_cmp_ne_u32_e32 vcc, 0, v1
	s_nop 1
	v_cndmask_b32_e32 v21, 0, v3, vcc
	s_branch .LBB73_1316
.LBB73_1315:
	s_mov_b64 s[0:1], -1
                                        ; implicit-def: $vgpr21
.LBB73_1316:
	v_mov_b32_e32 v25, 0
.LBB73_1317:
	s_mov_b64 s[6:7], 0
.LBB73_1318:
	s_and_b64 vcc, exec, s[6:7]
	s_cbranch_vccz .LBB73_1323
; %bb.1319:
	s_cmp_eq_u32 s11, 29
	s_cbranch_scc0 .LBB73_1321
; %bb.1320:
	global_load_dwordx2 v[6:7], v[4:5], off
	s_mov_b64 s[0:1], 0
	s_mov_b64 s[4:5], -1
	s_waitcnt vmcnt(0)
	v_ffbh_u32_e32 v1, v7
	v_min_u32_e32 v1, 32, v1
	v_lshlrev_b64 v[6:7], v1, v[6:7]
	v_min_u32_e32 v3, 1, v6
	v_or_b32_e32 v3, v7, v3
	v_cvt_f32_u32_e32 v3, v3
	v_sub_u32_e32 v1, 32, v1
	v_ldexp_f32 v1, v3, v1
	v_cvt_f16_f32_e32 v21, v1
	s_branch .LBB73_1322
.LBB73_1321:
	s_mov_b64 s[0:1], -1
                                        ; implicit-def: $vgpr21
.LBB73_1322:
	v_mov_b32_e32 v25, 0
.LBB73_1323:
	s_mov_b64 s[6:7], 0
.LBB73_1324:
	s_and_b64 vcc, exec, s[6:7]
	s_cbranch_vccz .LBB73_1342
; %bb.1325:
	s_cmp_lt_i32 s11, 27
	s_cbranch_scc1 .LBB73_1328
; %bb.1326:
	s_cmp_gt_i32 s11, 27
	s_cbranch_scc0 .LBB73_1329
; %bb.1327:
	global_load_dword v1, v[4:5], off
	s_mov_b64 s[4:5], 0
	s_waitcnt vmcnt(0)
	v_cvt_f32_u32_e32 v1, v1
	v_cvt_f16_f32_e32 v21, v1
	s_branch .LBB73_1330
.LBB73_1328:
	s_mov_b64 s[4:5], -1
                                        ; implicit-def: $vgpr21
	s_branch .LBB73_1333
.LBB73_1329:
	s_mov_b64 s[4:5], -1
                                        ; implicit-def: $vgpr21
.LBB73_1330:
	s_andn2_b64 vcc, exec, s[4:5]
	s_cbranch_vccnz .LBB73_1332
; %bb.1331:
	global_load_ushort v1, v[4:5], off
	s_waitcnt vmcnt(0)
	v_cvt_f16_u16_e32 v21, v1
.LBB73_1332:
	s_mov_b64 s[4:5], 0
.LBB73_1333:
	s_andn2_b64 vcc, exec, s[4:5]
	s_cbranch_vccnz .LBB73_1341
; %bb.1334:
	global_load_ubyte v1, v[4:5], off
	s_movk_i32 s4, 0x7f
	s_waitcnt vmcnt(0)
	v_cmp_lt_i16_e32 vcc, s4, v1
	s_mov_b64 s[4:5], 0
	s_and_saveexec_b64 s[6:7], vcc
	s_xor_b64 s[6:7], exec, s[6:7]
	s_cbranch_execz .LBB73_1354
; %bb.1335:
	s_movk_i32 s4, 0x80
	v_cmp_eq_u16_e32 vcc, s4, v1
	s_mov_b64 s[4:5], -1
	s_and_saveexec_b64 s[8:9], vcc
; %bb.1336:
	s_xor_b64 s[4:5], exec, -1
; %bb.1337:
	s_or_b64 exec, exec, s[8:9]
	s_and_b64 s[4:5], s[4:5], exec
	s_or_saveexec_b64 s[6:7], s[6:7]
	v_mov_b32_e32 v21, 0x7e00
	s_xor_b64 exec, exec, s[6:7]
	s_cbranch_execnz .LBB73_1355
.LBB73_1338:
	s_or_b64 exec, exec, s[6:7]
	s_and_saveexec_b64 s[6:7], s[4:5]
	s_cbranch_execz .LBB73_1340
.LBB73_1339:
	v_lshlrev_b32_e32 v3, 24, v1
	v_and_b32_e32 v1, 0xffff, v1
	v_and_b32_e32 v6, 7, v1
	v_ffbh_u32_e32 v10, v6
	v_min_u32_e32 v10, 32, v10
	v_subrev_u32_e32 v11, 28, v10
	v_bfe_u32 v7, v1, 3, 4
	v_lshlrev_b32_e32 v1, v11, v1
	v_sub_u32_e32 v10, 29, v10
	v_and_b32_e32 v1, 7, v1
	v_cmp_eq_u32_e32 vcc, 0, v7
	v_and_b32_e32 v3, 0x80000000, v3
	s_nop 0
	v_cndmask_b32_e32 v7, v7, v10, vcc
	v_cndmask_b32_e32 v1, v6, v1, vcc
	v_mov_b32_e32 v6, 0x3b800000
	v_lshlrev_b32_e32 v1, 20, v1
	v_lshl_add_u32 v6, v7, 23, v6
	v_or3_b32 v1, v3, v6, v1
	v_cvt_f16_f32_e32 v21, v1
.LBB73_1340:
	s_or_b64 exec, exec, s[6:7]
.LBB73_1341:
	s_mov_b64 s[4:5], -1
	v_mov_b32_e32 v25, 0
.LBB73_1342:
	s_branch .LBB73_1376
.LBB73_1343:
	s_cmp_gt_i32 s11, 22
	s_cbranch_scc0 .LBB73_1353
; %bb.1344:
	s_cmp_lt_i32 s11, 24
	s_cbranch_scc1 .LBB73_1356
; %bb.1345:
	s_cmp_gt_i32 s11, 24
	s_cbranch_scc0 .LBB73_1357
; %bb.1346:
	global_load_ubyte v1, v[4:5], off
	s_movk_i32 s2, 0x7f
	s_waitcnt vmcnt(0)
	v_cmp_lt_i16_e32 vcc, s2, v1
	s_mov_b64 s[2:3], 0
	s_and_saveexec_b64 s[4:5], vcc
	s_xor_b64 s[4:5], exec, s[4:5]
	s_cbranch_execz .LBB73_1369
; %bb.1347:
	s_movk_i32 s2, 0x80
	v_cmp_eq_u16_e32 vcc, s2, v1
	s_mov_b64 s[2:3], -1
	s_and_saveexec_b64 s[6:7], vcc
; %bb.1348:
	s_xor_b64 s[2:3], exec, -1
; %bb.1349:
	s_or_b64 exec, exec, s[6:7]
	s_and_b64 s[2:3], s[2:3], exec
	s_or_saveexec_b64 s[4:5], s[4:5]
	v_mov_b32_e32 v21, 0x7e00
	s_xor_b64 exec, exec, s[4:5]
	s_cbranch_execnz .LBB73_1370
.LBB73_1350:
	s_or_b64 exec, exec, s[4:5]
	s_and_saveexec_b64 s[4:5], s[2:3]
	s_cbranch_execz .LBB73_1352
.LBB73_1351:
	v_lshlrev_b32_e32 v3, 24, v1
	v_and_b32_e32 v1, 0xffff, v1
	v_and_b32_e32 v6, 3, v1
	v_ffbh_u32_e32 v10, v6
	v_min_u32_e32 v10, 32, v10
	v_subrev_u32_e32 v11, 29, v10
	v_bfe_u32 v7, v1, 2, 5
	v_lshlrev_b32_e32 v1, v11, v1
	v_sub_u32_e32 v10, 30, v10
	v_and_b32_e32 v1, 3, v1
	v_cmp_eq_u32_e32 vcc, 0, v7
	v_and_b32_e32 v3, 0x80000000, v3
	s_nop 0
	v_cndmask_b32_e32 v7, v7, v10, vcc
	v_cndmask_b32_e32 v1, v6, v1, vcc
	v_mov_b32_e32 v6, 0x37800000
	v_lshlrev_b32_e32 v1, 21, v1
	v_lshl_add_u32 v6, v7, 23, v6
	v_or3_b32 v1, v3, v6, v1
	v_cvt_f16_f32_e32 v21, v1
.LBB73_1352:
	s_or_b64 exec, exec, s[4:5]
	s_mov_b64 s[2:3], 0
	s_branch .LBB73_1358
.LBB73_1353:
	s_mov_b64 s[2:3], -1
                                        ; implicit-def: $vgpr21
	s_branch .LBB73_1364
.LBB73_1354:
	s_or_saveexec_b64 s[6:7], s[6:7]
	v_mov_b32_e32 v21, 0x7e00
	s_xor_b64 exec, exec, s[6:7]
	s_cbranch_execz .LBB73_1338
.LBB73_1355:
	v_cmp_ne_u16_e32 vcc, 0, v1
	s_andn2_b64 s[4:5], s[4:5], exec
	s_and_b64 s[8:9], vcc, exec
	s_or_b64 s[4:5], s[4:5], s[8:9]
	v_mov_b32_e32 v21, v1
	s_or_b64 exec, exec, s[6:7]
	s_and_saveexec_b64 s[6:7], s[4:5]
	s_cbranch_execnz .LBB73_1339
	s_branch .LBB73_1340
.LBB73_1356:
	s_mov_b64 s[2:3], -1
                                        ; implicit-def: $vgpr21
	s_branch .LBB73_1361
.LBB73_1357:
	s_mov_b64 s[2:3], -1
                                        ; implicit-def: $vgpr21
.LBB73_1358:
	s_and_b64 vcc, exec, s[2:3]
	s_cbranch_vccz .LBB73_1360
; %bb.1359:
	global_load_ubyte v1, v[4:5], off
	s_mov_b32 s2, 0x7f800000
	s_waitcnt vmcnt(0)
	v_lshlrev_b32_e32 v1, 24, v1
	v_and_b32_e32 v3, 0x7f000000, v1
	v_ffbh_u32_e32 v6, v3
	v_min_u32_e32 v6, 32, v6
	v_sub_u32_e64 v6, v6, 4 clamp
	v_lshlrev_b32_e32 v10, v6, v3
	v_lshlrev_b32_e32 v6, 23, v6
	v_lshrrev_b32_e32 v10, 4, v10
	v_add_u32_e32 v7, 0x1000000, v3
	v_sub_u32_e32 v6, v10, v6
	v_ashrrev_i32_e32 v7, 8, v7
	v_add_u32_e32 v6, 0x3c000000, v6
	v_and_or_b32 v6, v7, s2, v6
	v_cmp_ne_u32_e32 vcc, 0, v3
	s_brev_b32 s2, 1
	s_nop 0
	v_cndmask_b32_e32 v3, 0, v6, vcc
	v_and_or_b32 v1, v1, s2, v3
	v_cvt_f16_f32_e32 v21, v1
.LBB73_1360:
	s_mov_b64 s[2:3], 0
.LBB73_1361:
	s_andn2_b64 vcc, exec, s[2:3]
	s_cbranch_vccnz .LBB73_1363
; %bb.1362:
	global_load_ubyte v1, v[4:5], off
	s_movk_i32 s2, 0x7f00
	s_brev_b32 s3, 16
	s_waitcnt vmcnt(0)
	v_lshlrev_b16_e32 v3, 8, v1
	v_lshlrev_b32_e32 v1, 25, v1
	v_lshrrev_b32_e32 v6, 4, v1
	v_and_or_b32 v7, v3, s2, 0.5
	v_or_b32_e32 v6, 0x70000000, v6
	v_add_f32_e32 v7, -0.5, v7
	v_mul_f32_e32 v6, 0x7800000, v6
	v_cmp_gt_u32_e32 vcc, s3, v1
	v_bfe_i32 v3, v3, 0, 16
	s_brev_b32 s2, 1
	v_cndmask_b32_e32 v1, v6, v7, vcc
	v_and_or_b32 v1, v3, s2, v1
	v_cvt_f16_f32_e32 v21, v1
.LBB73_1363:
	s_mov_b64 s[2:3], 0
	s_mov_b64 s[4:5], -1
.LBB73_1364:
	s_andn2_b64 vcc, exec, s[2:3]
	s_mov_b64 s[2:3], 0
	s_cbranch_vccnz .LBB73_1375
; %bb.1365:
	s_cmp_gt_i32 s11, 14
	s_cbranch_scc0 .LBB73_1368
; %bb.1366:
	s_cmp_eq_u32 s11, 15
	s_cbranch_scc0 .LBB73_1371
; %bb.1367:
	global_load_ushort v1, v[4:5], off
	s_mov_b64 s[0:1], 0
	s_mov_b64 s[4:5], -1
	s_waitcnt vmcnt(0)
	v_lshlrev_b32_e32 v1, 16, v1
	v_cvt_f16_f32_e32 v21, v1
	s_branch .LBB73_1372
.LBB73_1368:
	s_mov_b64 s[6:7], -1
                                        ; implicit-def: $vgpr21
	s_branch .LBB73_1373
.LBB73_1369:
	s_or_saveexec_b64 s[4:5], s[4:5]
	v_mov_b32_e32 v21, 0x7e00
	s_xor_b64 exec, exec, s[4:5]
	s_cbranch_execz .LBB73_1350
.LBB73_1370:
	v_cmp_ne_u16_e32 vcc, 0, v1
	s_andn2_b64 s[2:3], s[2:3], exec
	s_and_b64 s[6:7], vcc, exec
	s_or_b64 s[2:3], s[2:3], s[6:7]
	v_mov_b32_e32 v21, v1
	s_or_b64 exec, exec, s[4:5]
	s_and_saveexec_b64 s[4:5], s[2:3]
	s_cbranch_execnz .LBB73_1351
	s_branch .LBB73_1352
.LBB73_1371:
	s_mov_b64 s[0:1], -1
                                        ; implicit-def: $vgpr21
.LBB73_1372:
	s_mov_b64 s[6:7], 0
.LBB73_1373:
	s_and_b64 vcc, exec, s[6:7]
	s_cbranch_vccz .LBB73_1375
; %bb.1374:
	s_cmp_lg_u32 s11, 11
	s_mov_b64 s[2:3], -1
	s_cselect_b64 s[0:1], -1, 0
.LBB73_1375:
	v_mov_b32_e32 v25, 0
.LBB73_1376:
	s_and_b64 vcc, exec, s[0:1]
	s_cbranch_vccnz .LBB73_1453
; %bb.1377:
	s_andn2_b64 vcc, exec, s[2:3]
	s_cbranch_vccnz .LBB73_1379
.LBB73_1378:
	global_load_ubyte v1, v[4:5], off
	s_waitcnt vmcnt(1)
	v_mov_b32_e32 v3, 0x3c00
	v_mov_b32_e32 v25, 0
	s_mov_b64 s[4:5], -1
	s_waitcnt vmcnt(0)
	v_cmp_ne_u16_e32 vcc, 0, v1
	s_nop 1
	v_cndmask_b32_e32 v21, 0, v3, vcc
.LBB73_1379:
	s_branch .LBB73_1303
.LBB73_1380:
	s_and_b32 s2, 0xffff, s10
	s_cmp_lt_i32 s2, 5
	s_cbranch_scc1 .LBB73_1385
; %bb.1381:
	s_cmp_lt_i32 s2, 8
	s_cbranch_scc1 .LBB73_1387
; %bb.1382:
	;; [unrolled: 3-line block ×3, first 2 shown]
	s_cmp_gt_i32 s2, 9
	s_cbranch_scc0 .LBB73_1389
; %bb.1384:
	global_load_dwordx4 v[10:13], v[4:5], off
	s_movk_i32 s0, 0x1ff
	s_movk_i32 s1, 0xffe
	v_mov_b32_e32 v1, 0x7c00
	s_waitcnt vmcnt(1)
	v_mov_b32_e32 v3, 0x7e00
	s_movk_i32 s3, 0x40f
	s_mov_b32 s4, 0x8000
	s_waitcnt vmcnt(0)
	v_and_or_b32 v6, v11, s0, v10
	v_and_or_b32 v12, v13, s0, v12
	v_cmp_ne_u32_e32 vcc, 0, v6
	v_lshrrev_b32_e32 v7, 8, v11
	v_bfe_u32 v10, v11, 20, 11
	v_cndmask_b32_e64 v6, 0, 1, vcc
	v_cmp_ne_u32_e32 vcc, 0, v12
	v_lshrrev_b32_e32 v14, 8, v13
	v_bfe_u32 v15, v13, 20, 11
	v_sub_u32_e32 v16, 0x3f1, v10
	v_cndmask_b32_e64 v12, 0, 1, vcc
	v_and_or_b32 v6, v7, s1, v6
	v_add_u32_e32 v10, 0xfffffc10, v10
	v_sub_u32_e32 v17, 0x3f1, v15
	v_add_u32_e32 v15, 0xfffffc10, v15
	v_med3_i32 v7, v16, 0, 13
	v_and_or_b32 v12, v14, s1, v12
	v_or_b32_e32 v16, 0x1000, v6
	v_cmp_ne_u32_e32 vcc, 0, v6
	v_med3_i32 v14, v17, 0, 13
	v_lshl_or_b32 v17, v10, 12, v6
	v_cndmask_b32_e32 v6, v1, v3, vcc
	v_or_b32_e32 v18, 0x1000, v12
	v_lshl_or_b32 v19, v15, 12, v12
	v_cmp_ne_u32_e32 vcc, 0, v12
	v_lshrrev_b32_e32 v12, v7, v16
	v_lshrrev_b32_e32 v20, v14, v18
	v_lshlrev_b32_e32 v7, v7, v12
	v_cndmask_b32_e32 v3, v1, v3, vcc
	v_lshlrev_b32_e32 v14, v14, v20
	v_cmp_ne_u32_e32 vcc, v7, v16
	v_lshrrev_b32_e32 v11, 16, v11
	v_lshrrev_b32_e32 v13, 16, v13
	v_cndmask_b32_e64 v7, 0, 1, vcc
	v_cmp_ne_u32_e32 vcc, v14, v18
	v_or_b32_e32 v7, v12, v7
	s_mov_b64 s[0:1], 0
	v_cndmask_b32_e64 v14, 0, 1, vcc
	v_cmp_gt_i32_e32 vcc, 1, v10
	v_or_b32_e32 v12, v20, v14
	s_nop 0
	v_cndmask_b32_e32 v7, v17, v7, vcc
	v_cmp_gt_i32_e32 vcc, 1, v15
	v_and_b32_e32 v14, 7, v7
	v_lshrrev_b32_e32 v7, 2, v7
	v_cndmask_b32_e32 v12, v19, v12, vcc
	v_cmp_lt_i32_e32 vcc, 5, v14
	v_and_b32_e32 v16, 7, v12
	v_lshrrev_b32_e32 v12, 2, v12
	v_cndmask_b32_e64 v17, 0, 1, vcc
	v_cmp_eq_u32_e32 vcc, 3, v14
	s_nop 1
	v_cndmask_b32_e64 v14, 0, 1, vcc
	v_cmp_lt_i32_e32 vcc, 5, v16
	v_or_b32_e32 v14, v14, v17
	v_add_u32_e32 v7, v7, v14
	v_cndmask_b32_e64 v18, 0, 1, vcc
	v_cmp_eq_u32_e32 vcc, 3, v16
	s_nop 1
	v_cndmask_b32_e64 v16, 0, 1, vcc
	v_or_b32_e32 v16, v16, v18
	v_cmp_gt_i32_e32 vcc, 31, v10
	v_add_u32_e32 v12, v12, v16
	s_nop 0
	v_cndmask_b32_e32 v7, v1, v7, vcc
	v_cmp_gt_i32_e32 vcc, 31, v15
	s_nop 1
	v_cndmask_b32_e32 v1, v1, v12, vcc
	v_cmp_eq_u32_e32 vcc, s3, v10
	s_nop 1
	v_cndmask_b32_e32 v6, v7, v6, vcc
	v_cmp_eq_u32_e32 vcc, s3, v15
	v_and_or_b32 v21, v11, s4, v6
	s_nop 0
	v_cndmask_b32_e32 v1, v1, v3, vcc
	v_and_or_b32 v25, v13, s4, v1
	s_branch .LBB73_1390
.LBB73_1385:
                                        ; implicit-def: $vgpr25
                                        ; implicit-def: $vgpr21
	s_branch .LBB73_1409
.LBB73_1386:
	s_branch .LBB73_1429
.LBB73_1387:
	s_mov_b64 s[0:1], -1
                                        ; implicit-def: $vgpr25
                                        ; implicit-def: $vgpr21
	s_branch .LBB73_1396
.LBB73_1388:
	s_mov_b64 s[0:1], -1
                                        ; implicit-def: $vgpr25
                                        ; implicit-def: $vgpr21
	s_branch .LBB73_1393
.LBB73_1389:
	s_mov_b64 s[0:1], -1
                                        ; implicit-def: $vgpr25
                                        ; implicit-def: $vgpr21
.LBB73_1390:
	s_andn2_b64 vcc, exec, s[0:1]
	s_cbranch_vccnz .LBB73_1392
; %bb.1391:
	global_load_dwordx2 v[6:7], v[4:5], off
	s_waitcnt vmcnt(0)
	v_cvt_f16_f32_e32 v21, v6
	v_cvt_f16_f32_e32 v25, v7
.LBB73_1392:
	s_mov_b64 s[0:1], 0
.LBB73_1393:
	s_andn2_b64 vcc, exec, s[0:1]
	s_cbranch_vccnz .LBB73_1395
; %bb.1394:
	global_load_dword v21, v[4:5], off
	s_waitcnt vmcnt(0)
	v_lshrrev_b32_e32 v25, 16, v21
.LBB73_1395:
	s_mov_b64 s[0:1], 0
.LBB73_1396:
	s_andn2_b64 vcc, exec, s[0:1]
	s_cbranch_vccnz .LBB73_1408
; %bb.1397:
	s_cmp_lt_i32 s2, 6
	s_cbranch_scc1 .LBB73_1400
; %bb.1398:
	s_cmp_gt_i32 s2, 6
	s_cbranch_scc0 .LBB73_1401
; %bb.1399:
	global_load_dwordx2 v[6:7], v[4:5], off
	s_movk_i32 s0, 0x1ff
	s_movk_i32 s1, 0xffe
	v_mov_b32_e32 v1, 0x7c00
	s_waitcnt vmcnt(1)
	v_mov_b32_e32 v3, 0x7e00
	s_movk_i32 s3, 0x40f
	s_mov_b32 s4, 0x8000
	s_waitcnt vmcnt(0)
	v_and_or_b32 v6, v7, s0, v6
	v_cmp_ne_u32_e32 vcc, 0, v6
	v_lshrrev_b32_e32 v10, 8, v7
	v_bfe_u32 v11, v7, 20, 11
	v_cndmask_b32_e64 v6, 0, 1, vcc
	v_sub_u32_e32 v12, 0x3f1, v11
	v_and_or_b32 v6, v10, s1, v6
	v_add_u32_e32 v11, 0xfffffc10, v11
	v_med3_i32 v10, v12, 0, 13
	v_or_b32_e32 v12, 0x1000, v6
	v_lshl_or_b32 v13, v11, 12, v6
	v_cmp_ne_u32_e32 vcc, 0, v6
	v_lshrrev_b32_e32 v6, v10, v12
	v_lshlrev_b32_e32 v10, v10, v6
	v_cndmask_b32_e32 v3, v1, v3, vcc
	v_cmp_ne_u32_e32 vcc, v10, v12
	v_lshrrev_b32_e32 v7, 16, v7
	s_mov_b64 s[0:1], 0
	v_cndmask_b32_e64 v10, 0, 1, vcc
	v_or_b32_e32 v6, v6, v10
	v_cmp_gt_i32_e32 vcc, 1, v11
	s_nop 1
	v_cndmask_b32_e32 v6, v13, v6, vcc
	v_and_b32_e32 v10, 7, v6
	v_cmp_lt_i32_e32 vcc, 5, v10
	v_lshrrev_b32_e32 v6, 2, v6
	s_nop 0
	v_cndmask_b32_e64 v12, 0, 1, vcc
	v_cmp_eq_u32_e32 vcc, 3, v10
	s_nop 1
	v_cndmask_b32_e64 v10, 0, 1, vcc
	v_or_b32_e32 v10, v10, v12
	v_add_u32_e32 v6, v6, v10
	v_cmp_gt_i32_e32 vcc, 31, v11
	s_nop 1
	v_cndmask_b32_e32 v1, v1, v6, vcc
	v_cmp_eq_u32_e32 vcc, s3, v11
	s_nop 1
	v_cndmask_b32_e32 v1, v1, v3, vcc
	v_and_or_b32 v21, v7, s4, v1
	s_branch .LBB73_1402
.LBB73_1400:
	s_mov_b64 s[0:1], -1
                                        ; implicit-def: $vgpr21
	s_branch .LBB73_1405
.LBB73_1401:
	s_mov_b64 s[0:1], -1
                                        ; implicit-def: $vgpr21
.LBB73_1402:
	s_andn2_b64 vcc, exec, s[0:1]
	s_cbranch_vccnz .LBB73_1404
; %bb.1403:
	global_load_dword v1, v[4:5], off
	s_waitcnt vmcnt(0)
	v_cvt_f16_f32_e32 v21, v1
.LBB73_1404:
	s_mov_b64 s[0:1], 0
.LBB73_1405:
	s_andn2_b64 vcc, exec, s[0:1]
	s_cbranch_vccnz .LBB73_1407
; %bb.1406:
	global_load_ushort v21, v[4:5], off
.LBB73_1407:
	v_mov_b32_e32 v25, 0
.LBB73_1408:
	s_cbranch_execnz .LBB73_1386
.LBB73_1409:
	s_cmp_lt_i32 s2, 2
	s_cbranch_scc1 .LBB73_1413
; %bb.1410:
	s_cmp_lt_i32 s2, 3
	s_cbranch_scc1 .LBB73_1414
; %bb.1411:
	s_cmp_gt_i32 s2, 3
	s_cbranch_scc0 .LBB73_1415
; %bb.1412:
	global_load_dwordx2 v[6:7], v[4:5], off
	s_mov_b64 s[0:1], 0
	s_waitcnt vmcnt(0)
	v_xor_b32_e32 v3, v6, v7
	v_ffbh_i32_e32 v1, v7
	v_ashrrev_i32_e32 v3, 31, v3
	v_add_u32_e32 v1, -1, v1
	v_add_u32_e32 v3, 32, v3
	v_min_u32_e32 v1, v1, v3
	v_lshlrev_b64 v[6:7], v1, v[6:7]
	v_min_u32_e32 v3, 1, v6
	v_or_b32_e32 v3, v7, v3
	v_cvt_f32_i32_e32 v3, v3
	v_sub_u32_e32 v1, 32, v1
	v_ldexp_f32 v1, v3, v1
	v_cvt_f16_f32_e32 v21, v1
	s_branch .LBB73_1416
.LBB73_1413:
	s_mov_b64 s[0:1], -1
                                        ; implicit-def: $vgpr21
	s_branch .LBB73_1422
.LBB73_1414:
	s_mov_b64 s[0:1], -1
                                        ; implicit-def: $vgpr21
	s_branch .LBB73_1419
.LBB73_1415:
	s_mov_b64 s[0:1], -1
                                        ; implicit-def: $vgpr21
.LBB73_1416:
	s_andn2_b64 vcc, exec, s[0:1]
	s_cbranch_vccnz .LBB73_1418
; %bb.1417:
	global_load_dword v1, v[4:5], off
	s_waitcnt vmcnt(0)
	v_cvt_f32_i32_e32 v1, v1
	v_cvt_f16_f32_e32 v21, v1
.LBB73_1418:
	s_mov_b64 s[0:1], 0
.LBB73_1419:
	s_andn2_b64 vcc, exec, s[0:1]
	s_cbranch_vccnz .LBB73_1421
; %bb.1420:
	global_load_ushort v1, v[4:5], off
	s_waitcnt vmcnt(0)
	v_cvt_f16_i16_e32 v21, v1
.LBB73_1421:
	s_mov_b64 s[0:1], 0
.LBB73_1422:
	s_andn2_b64 vcc, exec, s[0:1]
	s_cbranch_vccnz .LBB73_1428
; %bb.1423:
	s_cmp_gt_i32 s2, 0
	s_cbranch_scc0 .LBB73_1425
; %bb.1424:
	global_load_sbyte v1, v[4:5], off
	s_mov_b64 s[0:1], 0
	s_waitcnt vmcnt(0)
	v_cvt_f16_i16_e32 v21, v1
	s_branch .LBB73_1426
.LBB73_1425:
	s_mov_b64 s[0:1], -1
                                        ; implicit-def: $vgpr21
.LBB73_1426:
	s_andn2_b64 vcc, exec, s[0:1]
	s_cbranch_vccnz .LBB73_1428
; %bb.1427:
	global_load_ubyte v1, v[4:5], off
	s_waitcnt vmcnt(0)
	v_cvt_f16_u16_e32 v21, v1
.LBB73_1428:
	v_mov_b32_e32 v25, 0
.LBB73_1429:
	s_waitcnt vmcnt(0)
	v_mov_b32_e32 v3, 0
	s_cmp_lt_i32 s10, 11
	v_lshl_add_u64 v[2:3], s[22:23], 0, v[2:3]
	s_cbranch_scc1 .LBB73_1436
; %bb.1430:
	s_and_b32 s11, 0xffff, s10
	s_cmp_gt_i32 s11, 25
	s_mov_b64 s[2:3], 0
	s_cbranch_scc0 .LBB73_1438
; %bb.1431:
	s_cmp_gt_i32 s11, 28
	s_cbranch_scc0 .LBB73_1449
; %bb.1432:
	s_cmp_gt_i32 s11, 43
	;; [unrolled: 3-line block ×3, first 2 shown]
	s_cbranch_scc0 .LBB73_1454
; %bb.1434:
	s_cmp_eq_u32 s11, 46
	s_mov_b64 s[6:7], 0
	s_cbranch_scc0 .LBB73_1508
; %bb.1435:
	global_load_dword v1, v[2:3], off
	s_mov_b64 s[0:1], 0
	s_mov_b64 s[4:5], -1
	s_waitcnt vmcnt(0)
	v_and_b32_e32 v4, 0xffff0000, v1
	v_lshlrev_b32_e32 v1, 16, v1
	v_cvt_f16_f32_e32 v23, v1
	v_cvt_f16_f32_e32 v31, v4
	s_branch .LBB73_1509
.LBB73_1436:
	s_mov_b64 s[4:5], 0
                                        ; implicit-def: $vgpr31
                                        ; implicit-def: $vgpr23
	s_cbranch_execnz .LBB73_1443
.LBB73_1437:
	s_andn2_b64 vcc, exec, s[4:5]
	s_cbranch_vccnz .LBB73_2131
	s_branch .LBB73_1497
.LBB73_1438:
	s_mov_b64 s[4:5], 0
	s_mov_b64 s[0:1], 0
                                        ; implicit-def: $vgpr31
                                        ; implicit-def: $vgpr23
	s_cbranch_execnz .LBB73_1541
.LBB73_1439:
	s_and_b64 vcc, exec, s[0:1]
	s_cbranch_vccnz .LBB73_1574
.LBB73_1440:
	s_andn2_b64 vcc, exec, s[2:3]
	s_cbranch_vccnz .LBB73_1442
.LBB73_1441:
	global_load_ubyte v1, v[2:3], off
	v_mov_b32_e32 v4, 0x3c00
	v_mov_b32_e32 v31, 0
	s_mov_b64 s[4:5], -1
	s_waitcnt vmcnt(0)
	v_cmp_ne_u16_e32 vcc, 0, v1
	s_nop 1
	v_cndmask_b32_e32 v23, 0, v4, vcc
.LBB73_1442:
	s_branch .LBB73_1437
.LBB73_1443:
	s_and_b32 s2, 0xffff, s10
	s_cmp_lt_i32 s2, 5
	s_cbranch_scc1 .LBB73_1448
; %bb.1444:
	s_cmp_lt_i32 s2, 8
	s_cbranch_scc1 .LBB73_1450
; %bb.1445:
	;; [unrolled: 3-line block ×3, first 2 shown]
	s_cmp_gt_i32 s2, 9
	s_cbranch_scc0 .LBB73_1455
; %bb.1447:
	global_load_dwordx4 v[4:7], v[2:3], off
	s_movk_i32 s0, 0x1ff
	s_movk_i32 s1, 0xffe
	v_mov_b32_e32 v1, 0x7c00
	v_mov_b32_e32 v10, 0x7e00
	s_movk_i32 s3, 0x40f
	s_mov_b32 s4, 0x8000
	s_waitcnt vmcnt(0)
	v_and_or_b32 v4, v5, s0, v4
	v_and_or_b32 v6, v7, s0, v6
	v_cmp_ne_u32_e32 vcc, 0, v4
	v_lshrrev_b32_e32 v11, 8, v5
	v_bfe_u32 v12, v5, 20, 11
	v_cndmask_b32_e64 v4, 0, 1, vcc
	v_cmp_ne_u32_e32 vcc, 0, v6
	v_lshrrev_b32_e32 v13, 8, v7
	v_bfe_u32 v14, v7, 20, 11
	v_cndmask_b32_e64 v6, 0, 1, vcc
	v_and_or_b32 v4, v11, s1, v4
	v_sub_u32_e32 v15, 0x3f1, v12
	v_add_u32_e32 v12, 0xfffffc10, v12
	v_sub_u32_e32 v16, 0x3f1, v14
	v_and_or_b32 v6, v13, s1, v6
	v_cmp_ne_u32_e32 vcc, 0, v4
	v_add_u32_e32 v14, 0xfffffc10, v14
	v_med3_i32 v11, v15, 0, 13
	v_med3_i32 v13, v16, 0, 13
	v_or_b32_e32 v15, 0x1000, v4
	v_lshl_or_b32 v16, v12, 12, v4
	v_cndmask_b32_e32 v4, v1, v10, vcc
	v_cmp_ne_u32_e32 vcc, 0, v6
	v_or_b32_e32 v17, 0x1000, v6
	v_lshl_or_b32 v18, v14, 12, v6
	v_cndmask_b32_e32 v6, v1, v10, vcc
	v_lshrrev_b32_e32 v10, v11, v15
	v_lshrrev_b32_e32 v19, v13, v17
	v_lshlrev_b32_e32 v11, v11, v10
	v_lshlrev_b32_e32 v13, v13, v19
	v_cmp_ne_u32_e32 vcc, v11, v15
	v_lshrrev_b32_e32 v5, 16, v5
	v_lshrrev_b32_e32 v7, 16, v7
	v_cndmask_b32_e64 v11, 0, 1, vcc
	v_cmp_ne_u32_e32 vcc, v13, v17
	v_or_b32_e32 v10, v10, v11
	s_mov_b64 s[0:1], 0
	v_cndmask_b32_e64 v13, 0, 1, vcc
	v_cmp_gt_i32_e32 vcc, 1, v12
	v_or_b32_e32 v11, v19, v13
	s_nop 0
	v_cndmask_b32_e32 v10, v16, v10, vcc
	v_cmp_gt_i32_e32 vcc, 1, v14
	v_and_b32_e32 v13, 7, v10
	v_lshrrev_b32_e32 v10, 2, v10
	v_cndmask_b32_e32 v11, v18, v11, vcc
	v_cmp_lt_i32_e32 vcc, 5, v13
	v_and_b32_e32 v15, 7, v11
	v_lshrrev_b32_e32 v11, 2, v11
	v_cndmask_b32_e64 v16, 0, 1, vcc
	v_cmp_eq_u32_e32 vcc, 3, v13
	s_nop 1
	v_cndmask_b32_e64 v13, 0, 1, vcc
	v_cmp_lt_i32_e32 vcc, 5, v15
	v_or_b32_e32 v13, v13, v16
	v_add_u32_e32 v10, v10, v13
	v_cndmask_b32_e64 v17, 0, 1, vcc
	v_cmp_eq_u32_e32 vcc, 3, v15
	s_nop 1
	v_cndmask_b32_e64 v15, 0, 1, vcc
	v_or_b32_e32 v15, v15, v17
	v_cmp_gt_i32_e32 vcc, 31, v12
	v_add_u32_e32 v11, v11, v15
	s_nop 0
	v_cndmask_b32_e32 v10, v1, v10, vcc
	v_cmp_gt_i32_e32 vcc, 31, v14
	s_nop 1
	v_cndmask_b32_e32 v1, v1, v11, vcc
	v_cmp_eq_u32_e32 vcc, s3, v12
	s_nop 1
	v_cndmask_b32_e32 v4, v10, v4, vcc
	v_cmp_eq_u32_e32 vcc, s3, v14
	v_and_or_b32 v23, v5, s4, v4
	s_nop 0
	v_cndmask_b32_e32 v1, v1, v6, vcc
	v_and_or_b32 v31, v7, s4, v1
	s_branch .LBB73_1456
.LBB73_1448:
	s_mov_b64 s[0:1], -1
                                        ; implicit-def: $vgpr31
                                        ; implicit-def: $vgpr23
	s_branch .LBB73_1475
.LBB73_1449:
	s_mov_b64 s[6:7], -1
	s_mov_b64 s[4:5], 0
	s_mov_b64 s[0:1], 0
                                        ; implicit-def: $vgpr31
                                        ; implicit-def: $vgpr23
	s_branch .LBB73_1522
.LBB73_1450:
	s_mov_b64 s[0:1], -1
                                        ; implicit-def: $vgpr31
                                        ; implicit-def: $vgpr23
	s_branch .LBB73_1462
.LBB73_1451:
	s_mov_b64 s[6:7], -1
	s_mov_b64 s[4:5], 0
	s_mov_b64 s[0:1], 0
                                        ; implicit-def: $vgpr31
                                        ; implicit-def: $vgpr23
	s_branch .LBB73_1516
.LBB73_1452:
	s_mov_b64 s[0:1], -1
                                        ; implicit-def: $vgpr31
                                        ; implicit-def: $vgpr23
	s_branch .LBB73_1459
.LBB73_1453:
	s_trap 2
	s_or_b64 s[18:19], s[18:19], exec
	s_cbranch_execz .LBB73_1378
	s_branch .LBB73_1379
.LBB73_1454:
	s_mov_b64 s[6:7], -1
	s_mov_b64 s[4:5], 0
	s_mov_b64 s[0:1], 0
                                        ; implicit-def: $vgpr31
                                        ; implicit-def: $vgpr23
	s_branch .LBB73_1509
.LBB73_1455:
	s_mov_b64 s[0:1], -1
                                        ; implicit-def: $vgpr31
                                        ; implicit-def: $vgpr23
.LBB73_1456:
	s_andn2_b64 vcc, exec, s[0:1]
	s_cbranch_vccnz .LBB73_1458
; %bb.1457:
	global_load_dwordx2 v[4:5], v[2:3], off
	s_waitcnt vmcnt(0)
	v_cvt_f16_f32_e32 v23, v4
	v_cvt_f16_f32_e32 v31, v5
.LBB73_1458:
	s_mov_b64 s[0:1], 0
.LBB73_1459:
	s_andn2_b64 vcc, exec, s[0:1]
	s_cbranch_vccnz .LBB73_1461
; %bb.1460:
	global_load_dword v23, v[2:3], off
	s_waitcnt vmcnt(0)
	v_lshrrev_b32_e32 v31, 16, v23
.LBB73_1461:
	s_mov_b64 s[0:1], 0
.LBB73_1462:
	s_andn2_b64 vcc, exec, s[0:1]
	s_cbranch_vccnz .LBB73_1474
; %bb.1463:
	s_cmp_lt_i32 s2, 6
	s_cbranch_scc1 .LBB73_1466
; %bb.1464:
	s_cmp_gt_i32 s2, 6
	s_cbranch_scc0 .LBB73_1467
; %bb.1465:
	global_load_dwordx2 v[4:5], v[2:3], off
	s_movk_i32 s0, 0x1ff
	s_movk_i32 s1, 0xffe
	v_mov_b32_e32 v1, 0x7c00
	v_mov_b32_e32 v6, 0x7e00
	s_movk_i32 s3, 0x40f
	s_mov_b32 s4, 0x8000
	s_waitcnt vmcnt(0)
	v_and_or_b32 v4, v5, s0, v4
	v_cmp_ne_u32_e32 vcc, 0, v4
	v_lshrrev_b32_e32 v7, 8, v5
	v_bfe_u32 v10, v5, 20, 11
	v_cndmask_b32_e64 v4, 0, 1, vcc
	v_sub_u32_e32 v11, 0x3f1, v10
	v_and_or_b32 v4, v7, s1, v4
	v_add_u32_e32 v10, 0xfffffc10, v10
	v_med3_i32 v7, v11, 0, 13
	v_or_b32_e32 v11, 0x1000, v4
	v_cmp_ne_u32_e32 vcc, 0, v4
	v_lshl_or_b32 v12, v10, 12, v4
	v_lshrrev_b32_e32 v5, 16, v5
	v_cndmask_b32_e32 v4, v1, v6, vcc
	v_lshrrev_b32_e32 v6, v7, v11
	v_lshlrev_b32_e32 v7, v7, v6
	v_cmp_ne_u32_e32 vcc, v7, v11
	s_mov_b64 s[0:1], 0
	s_nop 0
	v_cndmask_b32_e64 v7, 0, 1, vcc
	v_or_b32_e32 v6, v6, v7
	v_cmp_gt_i32_e32 vcc, 1, v10
	s_nop 1
	v_cndmask_b32_e32 v6, v12, v6, vcc
	v_and_b32_e32 v7, 7, v6
	v_cmp_lt_i32_e32 vcc, 5, v7
	v_lshrrev_b32_e32 v6, 2, v6
	s_nop 0
	v_cndmask_b32_e64 v11, 0, 1, vcc
	v_cmp_eq_u32_e32 vcc, 3, v7
	s_nop 1
	v_cndmask_b32_e64 v7, 0, 1, vcc
	v_or_b32_e32 v7, v7, v11
	v_add_u32_e32 v6, v6, v7
	v_cmp_gt_i32_e32 vcc, 31, v10
	s_nop 1
	v_cndmask_b32_e32 v1, v1, v6, vcc
	v_cmp_eq_u32_e32 vcc, s3, v10
	s_nop 1
	v_cndmask_b32_e32 v1, v1, v4, vcc
	v_and_or_b32 v23, v5, s4, v1
	s_branch .LBB73_1468
.LBB73_1466:
	s_mov_b64 s[0:1], -1
                                        ; implicit-def: $vgpr23
	s_branch .LBB73_1471
.LBB73_1467:
	s_mov_b64 s[0:1], -1
                                        ; implicit-def: $vgpr23
.LBB73_1468:
	s_andn2_b64 vcc, exec, s[0:1]
	s_cbranch_vccnz .LBB73_1470
; %bb.1469:
	global_load_dword v1, v[2:3], off
	s_waitcnt vmcnt(0)
	v_cvt_f16_f32_e32 v23, v1
.LBB73_1470:
	s_mov_b64 s[0:1], 0
.LBB73_1471:
	s_andn2_b64 vcc, exec, s[0:1]
	s_cbranch_vccnz .LBB73_1473
; %bb.1472:
	global_load_ushort v23, v[2:3], off
.LBB73_1473:
	v_mov_b32_e32 v31, 0
.LBB73_1474:
	s_mov_b64 s[0:1], 0
.LBB73_1475:
	s_andn2_b64 vcc, exec, s[0:1]
	s_cbranch_vccnz .LBB73_1496
; %bb.1476:
	s_cmp_lt_i32 s2, 2
	s_cbranch_scc1 .LBB73_1480
; %bb.1477:
	s_cmp_lt_i32 s2, 3
	s_cbranch_scc1 .LBB73_1481
; %bb.1478:
	s_cmp_gt_i32 s2, 3
	s_cbranch_scc0 .LBB73_1482
; %bb.1479:
	global_load_dwordx2 v[4:5], v[2:3], off
	s_mov_b64 s[0:1], 0
	s_waitcnt vmcnt(0)
	v_xor_b32_e32 v6, v4, v5
	v_ffbh_i32_e32 v1, v5
	v_ashrrev_i32_e32 v6, 31, v6
	v_add_u32_e32 v1, -1, v1
	v_add_u32_e32 v6, 32, v6
	v_min_u32_e32 v1, v1, v6
	v_lshlrev_b64 v[4:5], v1, v[4:5]
	v_min_u32_e32 v4, 1, v4
	v_or_b32_e32 v4, v5, v4
	v_cvt_f32_i32_e32 v4, v4
	v_sub_u32_e32 v1, 32, v1
	v_ldexp_f32 v1, v4, v1
	v_cvt_f16_f32_e32 v23, v1
	s_branch .LBB73_1483
.LBB73_1480:
	s_mov_b64 s[0:1], -1
                                        ; implicit-def: $vgpr23
	s_branch .LBB73_1489
.LBB73_1481:
	s_mov_b64 s[0:1], -1
                                        ; implicit-def: $vgpr23
	s_branch .LBB73_1486
.LBB73_1482:
	s_mov_b64 s[0:1], -1
                                        ; implicit-def: $vgpr23
.LBB73_1483:
	s_andn2_b64 vcc, exec, s[0:1]
	s_cbranch_vccnz .LBB73_1485
; %bb.1484:
	global_load_dword v1, v[2:3], off
	s_waitcnt vmcnt(0)
	v_cvt_f32_i32_e32 v1, v1
	v_cvt_f16_f32_e32 v23, v1
.LBB73_1485:
	s_mov_b64 s[0:1], 0
.LBB73_1486:
	s_andn2_b64 vcc, exec, s[0:1]
	s_cbranch_vccnz .LBB73_1488
; %bb.1487:
	global_load_ushort v1, v[2:3], off
	s_waitcnt vmcnt(0)
	v_cvt_f16_i16_e32 v23, v1
.LBB73_1488:
	s_mov_b64 s[0:1], 0
.LBB73_1489:
	s_andn2_b64 vcc, exec, s[0:1]
	s_cbranch_vccnz .LBB73_1495
; %bb.1490:
	s_cmp_gt_i32 s2, 0
	s_cbranch_scc0 .LBB73_1492
; %bb.1491:
	global_load_sbyte v1, v[2:3], off
	s_mov_b64 s[0:1], 0
	s_waitcnt vmcnt(0)
	v_cvt_f16_i16_e32 v23, v1
	s_branch .LBB73_1493
.LBB73_1492:
	s_mov_b64 s[0:1], -1
                                        ; implicit-def: $vgpr23
.LBB73_1493:
	s_andn2_b64 vcc, exec, s[0:1]
	s_cbranch_vccnz .LBB73_1495
; %bb.1494:
	global_load_ubyte v1, v[2:3], off
	s_waitcnt vmcnt(0)
	v_cvt_f16_u16_e32 v23, v1
.LBB73_1495:
	v_mov_b32_e32 v31, 0
.LBB73_1496:
.LBB73_1497:
	v_mov_b32_e32 v1, 0
	s_cmp_lt_i32 s10, 11
	v_lshl_add_u64 v[0:1], s[22:23], 0, v[0:1]
	s_cbranch_scc1 .LBB73_1504
; %bb.1498:
	s_and_b32 s11, 0xffff, s10
	s_cmp_gt_i32 s11, 25
	s_mov_b64 s[2:3], 0
	s_cbranch_scc0 .LBB73_1505
; %bb.1499:
	s_cmp_gt_i32 s11, 28
	s_cbranch_scc0 .LBB73_1506
; %bb.1500:
	s_cmp_gt_i32 s11, 43
	;; [unrolled: 3-line block ×3, first 2 shown]
	s_cbranch_scc0 .LBB73_1512
; %bb.1502:
	s_cmp_eq_u32 s11, 46
	s_mov_b64 s[6:7], 0
	s_cbranch_scc0 .LBB73_1575
; %bb.1503:
	global_load_dword v2, v[0:1], off
	s_mov_b64 s[0:1], 0
	s_mov_b64 s[4:5], -1
	s_waitcnt vmcnt(0)
	v_and_b32_e32 v3, 0xffff0000, v2
	v_lshlrev_b32_e32 v2, 16, v2
	v_cvt_f16_f32_e32 v30, v2
	v_cvt_f16_f32_e32 v32, v3
	s_branch .LBB73_1576
.LBB73_1504:
	s_mov_b64 s[0:1], -1
	s_mov_b64 s[4:5], 0
                                        ; implicit-def: $vgpr32
                                        ; implicit-def: $vgpr30
	s_branch .LBB73_1622
.LBB73_1505:
	s_mov_b64 s[6:7], -1
	s_mov_b64 s[4:5], 0
	s_mov_b64 s[0:1], 0
                                        ; implicit-def: $vgpr32
                                        ; implicit-def: $vgpr30
	s_branch .LBB73_1607
.LBB73_1506:
	s_mov_b64 s[6:7], -1
	s_mov_b64 s[4:5], 0
	s_mov_b64 s[0:1], 0
                                        ; implicit-def: $vgpr32
                                        ; implicit-def: $vgpr30
	s_branch .LBB73_1588
.LBB73_1507:
	s_mov_b64 s[6:7], -1
	s_mov_b64 s[4:5], 0
	s_mov_b64 s[0:1], 0
                                        ; implicit-def: $vgpr32
                                        ; implicit-def: $vgpr30
	s_branch .LBB73_1582
.LBB73_1508:
	s_mov_b64 s[0:1], -1
                                        ; implicit-def: $vgpr31
                                        ; implicit-def: $vgpr23
	s_mov_b64 s[4:5], 0
.LBB73_1509:
	s_and_b64 vcc, exec, s[6:7]
	s_cbranch_vccz .LBB73_1515
; %bb.1510:
	s_cmp_eq_u32 s11, 44
	s_cbranch_scc0 .LBB73_1513
; %bb.1511:
	global_load_ubyte v1, v[2:3], off
	s_movk_i32 s4, 0xff
	v_mov_b32_e32 v5, 0x7e00
	s_mov_b64 s[0:1], 0
	s_waitcnt vmcnt(0)
	v_lshlrev_b32_e32 v4, 23, v1
	v_cvt_f16_f32_e32 v4, v4
	v_cmp_ne_u32_e32 vcc, s4, v1
	s_mov_b64 s[4:5], -1
	s_nop 0
	v_cndmask_b32_e32 v4, v5, v4, vcc
	v_cmp_ne_u32_e32 vcc, 0, v1
	s_nop 1
	v_cndmask_b32_e32 v23, 0, v4, vcc
	s_branch .LBB73_1514
.LBB73_1512:
	s_mov_b64 s[6:7], -1
	s_mov_b64 s[4:5], 0
	s_mov_b64 s[0:1], 0
                                        ; implicit-def: $vgpr32
                                        ; implicit-def: $vgpr30
	s_branch .LBB73_1576
.LBB73_1513:
	s_mov_b64 s[0:1], -1
                                        ; implicit-def: $vgpr23
.LBB73_1514:
	v_mov_b32_e32 v31, 0
.LBB73_1515:
	s_mov_b64 s[6:7], 0
.LBB73_1516:
	s_and_b64 vcc, exec, s[6:7]
	s_cbranch_vccz .LBB73_1521
; %bb.1517:
	s_cmp_eq_u32 s11, 29
	s_cbranch_scc0 .LBB73_1519
; %bb.1518:
	global_load_dwordx2 v[4:5], v[2:3], off
	s_mov_b64 s[0:1], 0
	s_mov_b64 s[4:5], -1
	s_waitcnt vmcnt(0)
	v_ffbh_u32_e32 v1, v5
	v_min_u32_e32 v1, 32, v1
	v_lshlrev_b64 v[4:5], v1, v[4:5]
	v_min_u32_e32 v4, 1, v4
	v_or_b32_e32 v4, v5, v4
	v_cvt_f32_u32_e32 v4, v4
	v_sub_u32_e32 v1, 32, v1
	v_ldexp_f32 v1, v4, v1
	v_cvt_f16_f32_e32 v23, v1
	s_branch .LBB73_1520
.LBB73_1519:
	s_mov_b64 s[0:1], -1
                                        ; implicit-def: $vgpr23
.LBB73_1520:
	v_mov_b32_e32 v31, 0
.LBB73_1521:
	s_mov_b64 s[6:7], 0
.LBB73_1522:
	s_and_b64 vcc, exec, s[6:7]
	s_cbranch_vccz .LBB73_1540
; %bb.1523:
	s_cmp_lt_i32 s11, 27
	s_cbranch_scc1 .LBB73_1526
; %bb.1524:
	s_cmp_gt_i32 s11, 27
	s_cbranch_scc0 .LBB73_1527
; %bb.1525:
	global_load_dword v1, v[2:3], off
	s_mov_b64 s[4:5], 0
	s_waitcnt vmcnt(0)
	v_cvt_f32_u32_e32 v1, v1
	v_cvt_f16_f32_e32 v23, v1
	s_branch .LBB73_1528
.LBB73_1526:
	s_mov_b64 s[4:5], -1
                                        ; implicit-def: $vgpr23
	s_branch .LBB73_1531
.LBB73_1527:
	s_mov_b64 s[4:5], -1
                                        ; implicit-def: $vgpr23
.LBB73_1528:
	s_andn2_b64 vcc, exec, s[4:5]
	s_cbranch_vccnz .LBB73_1530
; %bb.1529:
	global_load_ushort v1, v[2:3], off
	s_waitcnt vmcnt(0)
	v_cvt_f16_u16_e32 v23, v1
.LBB73_1530:
	s_mov_b64 s[4:5], 0
.LBB73_1531:
	s_andn2_b64 vcc, exec, s[4:5]
	s_cbranch_vccnz .LBB73_1539
; %bb.1532:
	global_load_ubyte v1, v[2:3], off
	s_movk_i32 s4, 0x7f
	s_waitcnt vmcnt(0)
	v_cmp_lt_i16_e32 vcc, s4, v1
	s_mov_b64 s[4:5], 0
	s_and_saveexec_b64 s[6:7], vcc
	s_xor_b64 s[6:7], exec, s[6:7]
	s_cbranch_execz .LBB73_1552
; %bb.1533:
	s_movk_i32 s4, 0x80
	v_cmp_eq_u16_e32 vcc, s4, v1
	s_mov_b64 s[4:5], -1
	s_and_saveexec_b64 s[8:9], vcc
; %bb.1534:
	s_xor_b64 s[4:5], exec, -1
; %bb.1535:
	s_or_b64 exec, exec, s[8:9]
	s_and_b64 s[4:5], s[4:5], exec
	s_or_saveexec_b64 s[6:7], s[6:7]
	v_mov_b32_e32 v23, 0x7e00
	s_xor_b64 exec, exec, s[6:7]
	s_cbranch_execnz .LBB73_1553
.LBB73_1536:
	s_or_b64 exec, exec, s[6:7]
	s_and_saveexec_b64 s[6:7], s[4:5]
	s_cbranch_execz .LBB73_1538
.LBB73_1537:
	v_lshlrev_b32_e32 v4, 24, v1
	v_and_b32_e32 v1, 0xffff, v1
	v_and_b32_e32 v5, 7, v1
	v_ffbh_u32_e32 v7, v5
	v_min_u32_e32 v7, 32, v7
	v_subrev_u32_e32 v10, 28, v7
	v_bfe_u32 v6, v1, 3, 4
	v_lshlrev_b32_e32 v1, v10, v1
	v_sub_u32_e32 v7, 29, v7
	v_and_b32_e32 v1, 7, v1
	v_cmp_eq_u32_e32 vcc, 0, v6
	v_and_b32_e32 v4, 0x80000000, v4
	s_nop 0
	v_cndmask_b32_e32 v6, v6, v7, vcc
	v_cndmask_b32_e32 v1, v5, v1, vcc
	v_mov_b32_e32 v5, 0x3b800000
	v_lshlrev_b32_e32 v1, 20, v1
	v_lshl_add_u32 v5, v6, 23, v5
	v_or3_b32 v1, v4, v5, v1
	v_cvt_f16_f32_e32 v23, v1
.LBB73_1538:
	s_or_b64 exec, exec, s[6:7]
.LBB73_1539:
	s_mov_b64 s[4:5], -1
	v_mov_b32_e32 v31, 0
.LBB73_1540:
	s_branch .LBB73_1439
.LBB73_1541:
	s_cmp_gt_i32 s11, 22
	s_cbranch_scc0 .LBB73_1551
; %bb.1542:
	s_cmp_lt_i32 s11, 24
	s_cbranch_scc1 .LBB73_1554
; %bb.1543:
	s_cmp_gt_i32 s11, 24
	s_cbranch_scc0 .LBB73_1555
; %bb.1544:
	global_load_ubyte v1, v[2:3], off
	s_movk_i32 s2, 0x7f
	s_waitcnt vmcnt(0)
	v_cmp_lt_i16_e32 vcc, s2, v1
	s_mov_b64 s[2:3], 0
	s_and_saveexec_b64 s[4:5], vcc
	s_xor_b64 s[4:5], exec, s[4:5]
	s_cbranch_execz .LBB73_1567
; %bb.1545:
	s_movk_i32 s2, 0x80
	v_cmp_eq_u16_e32 vcc, s2, v1
	s_mov_b64 s[2:3], -1
	s_and_saveexec_b64 s[6:7], vcc
; %bb.1546:
	s_xor_b64 s[2:3], exec, -1
; %bb.1547:
	s_or_b64 exec, exec, s[6:7]
	s_and_b64 s[2:3], s[2:3], exec
	s_or_saveexec_b64 s[4:5], s[4:5]
	v_mov_b32_e32 v23, 0x7e00
	s_xor_b64 exec, exec, s[4:5]
	s_cbranch_execnz .LBB73_1568
.LBB73_1548:
	s_or_b64 exec, exec, s[4:5]
	s_and_saveexec_b64 s[4:5], s[2:3]
	s_cbranch_execz .LBB73_1550
.LBB73_1549:
	v_lshlrev_b32_e32 v4, 24, v1
	v_and_b32_e32 v1, 0xffff, v1
	v_and_b32_e32 v5, 3, v1
	v_ffbh_u32_e32 v7, v5
	v_min_u32_e32 v7, 32, v7
	v_subrev_u32_e32 v10, 29, v7
	v_bfe_u32 v6, v1, 2, 5
	v_lshlrev_b32_e32 v1, v10, v1
	v_sub_u32_e32 v7, 30, v7
	v_and_b32_e32 v1, 3, v1
	v_cmp_eq_u32_e32 vcc, 0, v6
	v_and_b32_e32 v4, 0x80000000, v4
	s_nop 0
	v_cndmask_b32_e32 v6, v6, v7, vcc
	v_cndmask_b32_e32 v1, v5, v1, vcc
	v_mov_b32_e32 v5, 0x37800000
	v_lshlrev_b32_e32 v1, 21, v1
	v_lshl_add_u32 v5, v6, 23, v5
	v_or3_b32 v1, v4, v5, v1
	v_cvt_f16_f32_e32 v23, v1
.LBB73_1550:
	s_or_b64 exec, exec, s[4:5]
	s_mov_b64 s[2:3], 0
	s_branch .LBB73_1556
.LBB73_1551:
	s_mov_b64 s[2:3], -1
                                        ; implicit-def: $vgpr23
	s_branch .LBB73_1562
.LBB73_1552:
	s_or_saveexec_b64 s[6:7], s[6:7]
	v_mov_b32_e32 v23, 0x7e00
	s_xor_b64 exec, exec, s[6:7]
	s_cbranch_execz .LBB73_1536
.LBB73_1553:
	v_cmp_ne_u16_e32 vcc, 0, v1
	s_andn2_b64 s[4:5], s[4:5], exec
	s_and_b64 s[8:9], vcc, exec
	s_or_b64 s[4:5], s[4:5], s[8:9]
	v_mov_b32_e32 v23, v1
	s_or_b64 exec, exec, s[6:7]
	s_and_saveexec_b64 s[6:7], s[4:5]
	s_cbranch_execnz .LBB73_1537
	s_branch .LBB73_1538
.LBB73_1554:
	s_mov_b64 s[2:3], -1
                                        ; implicit-def: $vgpr23
	s_branch .LBB73_1559
.LBB73_1555:
	s_mov_b64 s[2:3], -1
                                        ; implicit-def: $vgpr23
.LBB73_1556:
	s_and_b64 vcc, exec, s[2:3]
	s_cbranch_vccz .LBB73_1558
; %bb.1557:
	global_load_ubyte v1, v[2:3], off
	s_mov_b32 s2, 0x7f800000
	s_waitcnt vmcnt(0)
	v_lshlrev_b32_e32 v1, 24, v1
	v_and_b32_e32 v4, 0x7f000000, v1
	v_ffbh_u32_e32 v5, v4
	v_min_u32_e32 v5, 32, v5
	v_sub_u32_e64 v5, v5, 4 clamp
	v_lshlrev_b32_e32 v7, v5, v4
	v_lshlrev_b32_e32 v5, 23, v5
	v_lshrrev_b32_e32 v7, 4, v7
	v_add_u32_e32 v6, 0x1000000, v4
	v_sub_u32_e32 v5, v7, v5
	v_ashrrev_i32_e32 v6, 8, v6
	v_add_u32_e32 v5, 0x3c000000, v5
	v_and_or_b32 v5, v6, s2, v5
	v_cmp_ne_u32_e32 vcc, 0, v4
	s_brev_b32 s2, 1
	s_nop 0
	v_cndmask_b32_e32 v4, 0, v5, vcc
	v_and_or_b32 v1, v1, s2, v4
	v_cvt_f16_f32_e32 v23, v1
.LBB73_1558:
	s_mov_b64 s[2:3], 0
.LBB73_1559:
	s_andn2_b64 vcc, exec, s[2:3]
	s_cbranch_vccnz .LBB73_1561
; %bb.1560:
	global_load_ubyte v1, v[2:3], off
	s_movk_i32 s2, 0x7f00
	s_brev_b32 s3, 16
	s_waitcnt vmcnt(0)
	v_lshlrev_b16_e32 v4, 8, v1
	v_lshlrev_b32_e32 v1, 25, v1
	v_lshrrev_b32_e32 v5, 4, v1
	v_and_or_b32 v6, v4, s2, 0.5
	v_or_b32_e32 v5, 0x70000000, v5
	v_add_f32_e32 v6, -0.5, v6
	v_mul_f32_e32 v5, 0x7800000, v5
	v_cmp_gt_u32_e32 vcc, s3, v1
	v_bfe_i32 v4, v4, 0, 16
	s_brev_b32 s2, 1
	v_cndmask_b32_e32 v1, v5, v6, vcc
	v_and_or_b32 v1, v4, s2, v1
	v_cvt_f16_f32_e32 v23, v1
.LBB73_1561:
	s_mov_b64 s[2:3], 0
	s_mov_b64 s[4:5], -1
.LBB73_1562:
	s_andn2_b64 vcc, exec, s[2:3]
	s_mov_b64 s[2:3], 0
	s_cbranch_vccnz .LBB73_1573
; %bb.1563:
	s_cmp_gt_i32 s11, 14
	s_cbranch_scc0 .LBB73_1566
; %bb.1564:
	s_cmp_eq_u32 s11, 15
	s_cbranch_scc0 .LBB73_1569
; %bb.1565:
	global_load_ushort v1, v[2:3], off
	s_mov_b64 s[0:1], 0
	s_mov_b64 s[4:5], -1
	s_waitcnt vmcnt(0)
	v_lshlrev_b32_e32 v1, 16, v1
	v_cvt_f16_f32_e32 v23, v1
	s_branch .LBB73_1570
.LBB73_1566:
	s_mov_b64 s[6:7], -1
                                        ; implicit-def: $vgpr23
	s_branch .LBB73_1571
.LBB73_1567:
	s_or_saveexec_b64 s[4:5], s[4:5]
	v_mov_b32_e32 v23, 0x7e00
	s_xor_b64 exec, exec, s[4:5]
	s_cbranch_execz .LBB73_1548
.LBB73_1568:
	v_cmp_ne_u16_e32 vcc, 0, v1
	s_andn2_b64 s[2:3], s[2:3], exec
	s_and_b64 s[6:7], vcc, exec
	s_or_b64 s[2:3], s[2:3], s[6:7]
	v_mov_b32_e32 v23, v1
	s_or_b64 exec, exec, s[4:5]
	s_and_saveexec_b64 s[4:5], s[2:3]
	s_cbranch_execnz .LBB73_1549
	s_branch .LBB73_1550
.LBB73_1569:
	s_mov_b64 s[0:1], -1
                                        ; implicit-def: $vgpr23
.LBB73_1570:
	s_mov_b64 s[6:7], 0
.LBB73_1571:
	s_and_b64 vcc, exec, s[6:7]
	s_cbranch_vccz .LBB73_1573
; %bb.1572:
	s_cmp_lg_u32 s11, 11
	s_mov_b64 s[2:3], -1
	s_cselect_b64 s[0:1], -1, 0
.LBB73_1573:
	v_mov_b32_e32 v31, 0
	s_and_b64 vcc, exec, s[0:1]
	s_cbranch_vccz .LBB73_1440
.LBB73_1574:
	s_trap 2
	s_or_b64 s[18:19], s[18:19], exec
	s_cbranch_execz .LBB73_1441
	s_branch .LBB73_1442
.LBB73_1575:
	s_mov_b64 s[0:1], -1
                                        ; implicit-def: $vgpr32
                                        ; implicit-def: $vgpr30
	s_mov_b64 s[4:5], 0
.LBB73_1576:
	s_and_b64 vcc, exec, s[6:7]
	s_cbranch_vccz .LBB73_1581
; %bb.1577:
	s_cmp_eq_u32 s11, 44
	s_cbranch_scc0 .LBB73_1579
; %bb.1578:
	global_load_ubyte v2, v[0:1], off
	s_movk_i32 s4, 0xff
	v_mov_b32_e32 v4, 0x7e00
	s_mov_b64 s[0:1], 0
	s_waitcnt vmcnt(0)
	v_lshlrev_b32_e32 v3, 23, v2
	v_cvt_f16_f32_e32 v3, v3
	v_cmp_ne_u32_e32 vcc, s4, v2
	s_mov_b64 s[4:5], -1
	s_nop 0
	v_cndmask_b32_e32 v3, v4, v3, vcc
	v_cmp_ne_u32_e32 vcc, 0, v2
	s_nop 1
	v_cndmask_b32_e32 v30, 0, v3, vcc
	s_branch .LBB73_1580
.LBB73_1579:
	s_mov_b64 s[0:1], -1
                                        ; implicit-def: $vgpr30
.LBB73_1580:
	v_mov_b32_e32 v32, 0
.LBB73_1581:
	s_mov_b64 s[6:7], 0
.LBB73_1582:
	s_and_b64 vcc, exec, s[6:7]
	s_cbranch_vccz .LBB73_1587
; %bb.1583:
	s_cmp_eq_u32 s11, 29
	s_cbranch_scc0 .LBB73_1585
; %bb.1584:
	global_load_dwordx2 v[2:3], v[0:1], off
	s_mov_b64 s[0:1], 0
	s_mov_b64 s[4:5], -1
	s_waitcnt vmcnt(0)
	v_ffbh_u32_e32 v4, v3
	v_min_u32_e32 v4, 32, v4
	v_lshlrev_b64 v[2:3], v4, v[2:3]
	v_min_u32_e32 v2, 1, v2
	v_or_b32_e32 v2, v3, v2
	v_cvt_f32_u32_e32 v2, v2
	v_sub_u32_e32 v3, 32, v4
	v_ldexp_f32 v2, v2, v3
	v_cvt_f16_f32_e32 v30, v2
	s_branch .LBB73_1586
.LBB73_1585:
	s_mov_b64 s[0:1], -1
                                        ; implicit-def: $vgpr30
.LBB73_1586:
	v_mov_b32_e32 v32, 0
.LBB73_1587:
	s_mov_b64 s[6:7], 0
.LBB73_1588:
	s_and_b64 vcc, exec, s[6:7]
	s_cbranch_vccz .LBB73_1606
; %bb.1589:
	s_cmp_lt_i32 s11, 27
	s_cbranch_scc1 .LBB73_1592
; %bb.1590:
	s_cmp_gt_i32 s11, 27
	s_cbranch_scc0 .LBB73_1593
; %bb.1591:
	global_load_dword v2, v[0:1], off
	s_mov_b64 s[4:5], 0
	s_waitcnt vmcnt(0)
	v_cvt_f32_u32_e32 v2, v2
	v_cvt_f16_f32_e32 v30, v2
	s_branch .LBB73_1594
.LBB73_1592:
	s_mov_b64 s[4:5], -1
                                        ; implicit-def: $vgpr30
	s_branch .LBB73_1597
.LBB73_1593:
	s_mov_b64 s[4:5], -1
                                        ; implicit-def: $vgpr30
.LBB73_1594:
	s_andn2_b64 vcc, exec, s[4:5]
	s_cbranch_vccnz .LBB73_1596
; %bb.1595:
	global_load_ushort v2, v[0:1], off
	s_waitcnt vmcnt(0)
	v_cvt_f16_u16_e32 v30, v2
.LBB73_1596:
	s_mov_b64 s[4:5], 0
.LBB73_1597:
	s_andn2_b64 vcc, exec, s[4:5]
	s_cbranch_vccnz .LBB73_1605
; %bb.1598:
	global_load_ubyte v2, v[0:1], off
	s_movk_i32 s4, 0x7f
	s_waitcnt vmcnt(0)
	v_cmp_lt_i16_e32 vcc, s4, v2
	s_mov_b64 s[4:5], 0
	s_and_saveexec_b64 s[6:7], vcc
	s_xor_b64 s[6:7], exec, s[6:7]
	s_cbranch_execz .LBB73_1631
; %bb.1599:
	s_movk_i32 s4, 0x80
	v_cmp_eq_u16_e32 vcc, s4, v2
	s_mov_b64 s[4:5], -1
	s_and_saveexec_b64 s[8:9], vcc
; %bb.1600:
	s_xor_b64 s[4:5], exec, -1
; %bb.1601:
	s_or_b64 exec, exec, s[8:9]
	s_and_b64 s[4:5], s[4:5], exec
	s_or_saveexec_b64 s[6:7], s[6:7]
	v_mov_b32_e32 v30, 0x7e00
	s_xor_b64 exec, exec, s[6:7]
	s_cbranch_execnz .LBB73_1632
.LBB73_1602:
	s_or_b64 exec, exec, s[6:7]
	s_and_saveexec_b64 s[6:7], s[4:5]
	s_cbranch_execz .LBB73_1604
.LBB73_1603:
	v_lshlrev_b32_e32 v3, 24, v2
	v_and_b32_e32 v2, 0xffff, v2
	v_and_b32_e32 v4, 7, v2
	v_ffbh_u32_e32 v6, v4
	v_min_u32_e32 v6, 32, v6
	v_subrev_u32_e32 v7, 28, v6
	v_bfe_u32 v5, v2, 3, 4
	v_lshlrev_b32_e32 v2, v7, v2
	v_sub_u32_e32 v6, 29, v6
	v_and_b32_e32 v2, 7, v2
	v_cmp_eq_u32_e32 vcc, 0, v5
	v_and_b32_e32 v3, 0x80000000, v3
	s_nop 0
	v_cndmask_b32_e32 v5, v5, v6, vcc
	v_cndmask_b32_e32 v2, v4, v2, vcc
	v_mov_b32_e32 v4, 0x3b800000
	v_lshlrev_b32_e32 v2, 20, v2
	v_lshl_add_u32 v4, v5, 23, v4
	v_or3_b32 v2, v3, v4, v2
	v_cvt_f16_f32_e32 v30, v2
.LBB73_1604:
	s_or_b64 exec, exec, s[6:7]
.LBB73_1605:
	s_mov_b64 s[4:5], -1
	v_mov_b32_e32 v32, 0
.LBB73_1606:
	s_mov_b64 s[6:7], 0
.LBB73_1607:
	s_and_b64 vcc, exec, s[6:7]
	s_cbranch_vccz .LBB73_1618
; %bb.1608:
	s_cmp_gt_i32 s11, 22
	s_cbranch_scc0 .LBB73_1629
; %bb.1609:
	s_cmp_lt_i32 s11, 24
	s_cbranch_scc1 .LBB73_1633
; %bb.1610:
	s_cmp_gt_i32 s11, 24
	s_cbranch_scc0 .LBB73_1635
; %bb.1611:
	global_load_ubyte v2, v[0:1], off
	s_movk_i32 s2, 0x7f
	s_waitcnt vmcnt(0)
	v_cmp_lt_i16_e32 vcc, s2, v2
	s_mov_b64 s[2:3], 0
	s_and_saveexec_b64 s[4:5], vcc
	s_xor_b64 s[4:5], exec, s[4:5]
	s_cbranch_execz .LBB73_1647
; %bb.1612:
	s_movk_i32 s2, 0x80
	v_cmp_eq_u16_e32 vcc, s2, v2
	s_mov_b64 s[2:3], -1
	s_and_saveexec_b64 s[6:7], vcc
; %bb.1613:
	s_xor_b64 s[2:3], exec, -1
; %bb.1614:
	s_or_b64 exec, exec, s[6:7]
	s_and_b64 s[2:3], s[2:3], exec
	s_or_saveexec_b64 s[4:5], s[4:5]
	v_mov_b32_e32 v30, 0x7e00
	s_xor_b64 exec, exec, s[4:5]
	s_cbranch_execnz .LBB73_1648
.LBB73_1615:
	s_or_b64 exec, exec, s[4:5]
	s_and_saveexec_b64 s[4:5], s[2:3]
	s_cbranch_execz .LBB73_1617
.LBB73_1616:
	v_lshlrev_b32_e32 v3, 24, v2
	v_and_b32_e32 v2, 0xffff, v2
	v_and_b32_e32 v4, 3, v2
	v_ffbh_u32_e32 v6, v4
	v_min_u32_e32 v6, 32, v6
	v_subrev_u32_e32 v7, 29, v6
	v_bfe_u32 v5, v2, 2, 5
	v_lshlrev_b32_e32 v2, v7, v2
	v_sub_u32_e32 v6, 30, v6
	v_and_b32_e32 v2, 3, v2
	v_cmp_eq_u32_e32 vcc, 0, v5
	v_and_b32_e32 v3, 0x80000000, v3
	s_nop 0
	v_cndmask_b32_e32 v5, v5, v6, vcc
	v_cndmask_b32_e32 v2, v4, v2, vcc
	v_mov_b32_e32 v4, 0x37800000
	v_lshlrev_b32_e32 v2, 21, v2
	v_lshl_add_u32 v4, v5, 23, v4
	v_or3_b32 v2, v3, v4, v2
	v_cvt_f16_f32_e32 v30, v2
.LBB73_1617:
	s_or_b64 exec, exec, s[4:5]
	s_mov_b64 s[2:3], 0
	s_branch .LBB73_1636
.LBB73_1618:
	s_and_b64 vcc, exec, s[0:1]
	s_cbranch_vccnz .LBB73_1666
.LBB73_1619:
	s_andn2_b64 vcc, exec, s[2:3]
	s_cbranch_vccnz .LBB73_1621
.LBB73_1620:
	global_load_ubyte v2, v[0:1], off
	v_mov_b32_e32 v3, 0x3c00
	v_mov_b32_e32 v32, 0
	s_mov_b64 s[4:5], -1
	s_waitcnt vmcnt(0)
	v_cmp_ne_u16_e32 vcc, 0, v2
	s_nop 1
	v_cndmask_b32_e32 v30, 0, v3, vcc
.LBB73_1621:
	s_mov_b64 s[0:1], 0
.LBB73_1622:
	s_and_b64 vcc, exec, s[0:1]
	s_cbranch_vccz .LBB73_1697
; %bb.1623:
	s_and_b32 s2, 0xffff, s10
	s_cmp_lt_i32 s2, 5
	s_cbranch_scc1 .LBB73_1628
; %bb.1624:
	s_cmp_lt_i32 s2, 8
	s_cbranch_scc1 .LBB73_1630
; %bb.1625:
	;; [unrolled: 3-line block ×3, first 2 shown]
	s_cmp_gt_i32 s2, 9
	s_cbranch_scc0 .LBB73_1649
; %bb.1627:
	global_load_dwordx4 v[2:5], v[0:1], off
	s_movk_i32 s0, 0x1ff
	s_movk_i32 s1, 0xffe
	v_mov_b32_e32 v6, 0x7c00
	v_mov_b32_e32 v7, 0x7e00
	s_movk_i32 s3, 0x40f
	s_mov_b32 s4, 0x8000
	s_waitcnt vmcnt(0)
	v_and_or_b32 v2, v3, s0, v2
	v_and_or_b32 v4, v5, s0, v4
	v_cmp_ne_u32_e32 vcc, 0, v2
	v_lshrrev_b32_e32 v10, 8, v3
	v_bfe_u32 v11, v3, 20, 11
	v_cndmask_b32_e64 v2, 0, 1, vcc
	v_cmp_ne_u32_e32 vcc, 0, v4
	v_lshrrev_b32_e32 v12, 8, v5
	v_bfe_u32 v13, v5, 20, 11
	v_cndmask_b32_e64 v4, 0, 1, vcc
	v_and_or_b32 v2, v10, s1, v2
	v_sub_u32_e32 v14, 0x3f1, v11
	v_add_u32_e32 v11, 0xfffffc10, v11
	v_sub_u32_e32 v15, 0x3f1, v13
	v_and_or_b32 v4, v12, s1, v4
	v_cmp_ne_u32_e32 vcc, 0, v2
	v_add_u32_e32 v13, 0xfffffc10, v13
	v_med3_i32 v10, v14, 0, 13
	v_med3_i32 v12, v15, 0, 13
	v_or_b32_e32 v14, 0x1000, v2
	v_lshl_or_b32 v15, v11, 12, v2
	v_cndmask_b32_e32 v2, v6, v7, vcc
	v_cmp_ne_u32_e32 vcc, 0, v4
	v_or_b32_e32 v16, 0x1000, v4
	v_lshl_or_b32 v17, v13, 12, v4
	v_cndmask_b32_e32 v4, v6, v7, vcc
	v_lshrrev_b32_e32 v7, v10, v14
	v_lshrrev_b32_e32 v18, v12, v16
	v_lshlrev_b32_e32 v10, v10, v7
	v_lshlrev_b32_e32 v12, v12, v18
	v_cmp_ne_u32_e32 vcc, v10, v14
	v_lshrrev_b32_e32 v3, 16, v3
	v_lshrrev_b32_e32 v5, 16, v5
	v_cndmask_b32_e64 v10, 0, 1, vcc
	v_cmp_ne_u32_e32 vcc, v12, v16
	v_or_b32_e32 v7, v7, v10
	s_mov_b64 s[0:1], 0
	v_cndmask_b32_e64 v12, 0, 1, vcc
	v_cmp_gt_i32_e32 vcc, 1, v11
	v_or_b32_e32 v10, v18, v12
	s_nop 0
	v_cndmask_b32_e32 v7, v15, v7, vcc
	v_cmp_gt_i32_e32 vcc, 1, v13
	v_and_b32_e32 v12, 7, v7
	v_lshrrev_b32_e32 v7, 2, v7
	v_cndmask_b32_e32 v10, v17, v10, vcc
	v_cmp_lt_i32_e32 vcc, 5, v12
	v_and_b32_e32 v14, 7, v10
	v_lshrrev_b32_e32 v10, 2, v10
	v_cndmask_b32_e64 v15, 0, 1, vcc
	v_cmp_eq_u32_e32 vcc, 3, v12
	s_nop 1
	v_cndmask_b32_e64 v12, 0, 1, vcc
	v_cmp_lt_i32_e32 vcc, 5, v14
	v_or_b32_e32 v12, v12, v15
	v_add_u32_e32 v7, v7, v12
	v_cndmask_b32_e64 v16, 0, 1, vcc
	v_cmp_eq_u32_e32 vcc, 3, v14
	s_nop 1
	v_cndmask_b32_e64 v14, 0, 1, vcc
	v_or_b32_e32 v14, v14, v16
	v_cmp_gt_i32_e32 vcc, 31, v11
	v_add_u32_e32 v10, v10, v14
	s_nop 0
	v_cndmask_b32_e32 v7, v6, v7, vcc
	v_cmp_gt_i32_e32 vcc, 31, v13
	s_nop 1
	v_cndmask_b32_e32 v6, v6, v10, vcc
	v_cmp_eq_u32_e32 vcc, s3, v11
	s_nop 1
	v_cndmask_b32_e32 v2, v7, v2, vcc
	v_cmp_eq_u32_e32 vcc, s3, v13
	v_and_or_b32 v30, v3, s4, v2
	s_nop 0
	v_cndmask_b32_e32 v4, v6, v4, vcc
	v_and_or_b32 v32, v5, s4, v4
	s_branch .LBB73_1650
.LBB73_1628:
	s_mov_b64 s[0:1], -1
                                        ; implicit-def: $vgpr32
                                        ; implicit-def: $vgpr30
	s_branch .LBB73_1675
.LBB73_1629:
	s_mov_b64 s[2:3], -1
                                        ; implicit-def: $vgpr30
	s_branch .LBB73_1642
.LBB73_1630:
	s_mov_b64 s[0:1], -1
                                        ; implicit-def: $vgpr32
                                        ; implicit-def: $vgpr30
	s_branch .LBB73_1656
.LBB73_1631:
	s_or_saveexec_b64 s[6:7], s[6:7]
	v_mov_b32_e32 v30, 0x7e00
	s_xor_b64 exec, exec, s[6:7]
	s_cbranch_execz .LBB73_1602
.LBB73_1632:
	v_cmp_ne_u16_e32 vcc, 0, v2
	s_andn2_b64 s[4:5], s[4:5], exec
	s_and_b64 s[8:9], vcc, exec
	s_or_b64 s[4:5], s[4:5], s[8:9]
	v_mov_b32_e32 v30, v2
	s_or_b64 exec, exec, s[6:7]
	s_and_saveexec_b64 s[6:7], s[4:5]
	s_cbranch_execnz .LBB73_1603
	s_branch .LBB73_1604
.LBB73_1633:
	s_mov_b64 s[2:3], -1
                                        ; implicit-def: $vgpr30
	s_branch .LBB73_1639
.LBB73_1634:
	s_mov_b64 s[0:1], -1
                                        ; implicit-def: $vgpr32
                                        ; implicit-def: $vgpr30
	s_branch .LBB73_1653
.LBB73_1635:
	s_mov_b64 s[2:3], -1
                                        ; implicit-def: $vgpr30
.LBB73_1636:
	s_and_b64 vcc, exec, s[2:3]
	s_cbranch_vccz .LBB73_1638
; %bb.1637:
	global_load_ubyte v2, v[0:1], off
	s_mov_b32 s2, 0x7f800000
	s_waitcnt vmcnt(0)
	v_lshlrev_b32_e32 v2, 24, v2
	v_and_b32_e32 v3, 0x7f000000, v2
	v_ffbh_u32_e32 v4, v3
	v_min_u32_e32 v4, 32, v4
	v_sub_u32_e64 v4, v4, 4 clamp
	v_lshlrev_b32_e32 v6, v4, v3
	v_lshlrev_b32_e32 v4, 23, v4
	v_lshrrev_b32_e32 v6, 4, v6
	v_add_u32_e32 v5, 0x1000000, v3
	v_sub_u32_e32 v4, v6, v4
	v_ashrrev_i32_e32 v5, 8, v5
	v_add_u32_e32 v4, 0x3c000000, v4
	v_and_or_b32 v4, v5, s2, v4
	v_cmp_ne_u32_e32 vcc, 0, v3
	s_brev_b32 s2, 1
	s_nop 0
	v_cndmask_b32_e32 v3, 0, v4, vcc
	v_and_or_b32 v2, v2, s2, v3
	v_cvt_f16_f32_e32 v30, v2
.LBB73_1638:
	s_mov_b64 s[2:3], 0
.LBB73_1639:
	s_andn2_b64 vcc, exec, s[2:3]
	s_cbranch_vccnz .LBB73_1641
; %bb.1640:
	global_load_ubyte v2, v[0:1], off
	s_movk_i32 s2, 0x7f00
	s_brev_b32 s3, 16
	s_waitcnt vmcnt(0)
	v_lshlrev_b16_e32 v3, 8, v2
	v_lshlrev_b32_e32 v2, 25, v2
	v_lshrrev_b32_e32 v4, 4, v2
	v_and_or_b32 v5, v3, s2, 0.5
	v_or_b32_e32 v4, 0x70000000, v4
	v_add_f32_e32 v5, -0.5, v5
	v_mul_f32_e32 v4, 0x7800000, v4
	v_cmp_gt_u32_e32 vcc, s3, v2
	v_bfe_i32 v3, v3, 0, 16
	s_brev_b32 s2, 1
	v_cndmask_b32_e32 v2, v4, v5, vcc
	v_and_or_b32 v2, v3, s2, v2
	v_cvt_f16_f32_e32 v30, v2
.LBB73_1641:
	s_mov_b64 s[2:3], 0
	s_mov_b64 s[4:5], -1
.LBB73_1642:
	s_andn2_b64 vcc, exec, s[2:3]
	s_mov_b64 s[2:3], 0
	s_cbranch_vccnz .LBB73_1665
; %bb.1643:
	s_cmp_gt_i32 s11, 14
	s_cbranch_scc0 .LBB73_1646
; %bb.1644:
	s_cmp_eq_u32 s11, 15
	s_cbranch_scc0 .LBB73_1661
; %bb.1645:
	global_load_ushort v2, v[0:1], off
	s_mov_b64 s[0:1], 0
	s_mov_b64 s[4:5], -1
	s_waitcnt vmcnt(0)
	v_lshlrev_b32_e32 v2, 16, v2
	v_cvt_f16_f32_e32 v30, v2
	s_branch .LBB73_1662
.LBB73_1646:
	s_mov_b64 s[6:7], -1
                                        ; implicit-def: $vgpr30
	s_branch .LBB73_1663
.LBB73_1647:
	s_or_saveexec_b64 s[4:5], s[4:5]
	v_mov_b32_e32 v30, 0x7e00
	s_xor_b64 exec, exec, s[4:5]
	s_cbranch_execz .LBB73_1615
.LBB73_1648:
	v_cmp_ne_u16_e32 vcc, 0, v2
	s_andn2_b64 s[2:3], s[2:3], exec
	s_and_b64 s[6:7], vcc, exec
	s_or_b64 s[2:3], s[2:3], s[6:7]
	v_mov_b32_e32 v30, v2
	s_or_b64 exec, exec, s[4:5]
	s_and_saveexec_b64 s[4:5], s[2:3]
	s_cbranch_execnz .LBB73_1616
	s_branch .LBB73_1617
.LBB73_1649:
	s_mov_b64 s[0:1], -1
                                        ; implicit-def: $vgpr32
                                        ; implicit-def: $vgpr30
.LBB73_1650:
	s_andn2_b64 vcc, exec, s[0:1]
	s_cbranch_vccnz .LBB73_1652
; %bb.1651:
	global_load_dwordx2 v[2:3], v[0:1], off
	s_waitcnt vmcnt(0)
	v_cvt_f16_f32_e32 v30, v2
	v_cvt_f16_f32_e32 v32, v3
.LBB73_1652:
	s_mov_b64 s[0:1], 0
.LBB73_1653:
	s_andn2_b64 vcc, exec, s[0:1]
	s_cbranch_vccnz .LBB73_1655
; %bb.1654:
	global_load_dword v30, v[0:1], off
	s_waitcnt vmcnt(0)
	v_lshrrev_b32_e32 v32, 16, v30
.LBB73_1655:
	s_mov_b64 s[0:1], 0
.LBB73_1656:
	s_andn2_b64 vcc, exec, s[0:1]
	s_cbranch_vccnz .LBB73_1674
; %bb.1657:
	s_cmp_lt_i32 s2, 6
	s_cbranch_scc1 .LBB73_1660
; %bb.1658:
	s_cmp_gt_i32 s2, 6
	s_cbranch_scc0 .LBB73_1667
; %bb.1659:
	global_load_dwordx2 v[2:3], v[0:1], off
	s_movk_i32 s0, 0x1ff
	s_movk_i32 s1, 0xffe
	v_mov_b32_e32 v4, 0x7c00
	v_mov_b32_e32 v5, 0x7e00
	s_movk_i32 s3, 0x40f
	s_mov_b32 s4, 0x8000
	s_waitcnt vmcnt(0)
	v_and_or_b32 v2, v3, s0, v2
	v_cmp_ne_u32_e32 vcc, 0, v2
	v_lshrrev_b32_e32 v6, 8, v3
	v_bfe_u32 v7, v3, 20, 11
	v_cndmask_b32_e64 v2, 0, 1, vcc
	v_sub_u32_e32 v10, 0x3f1, v7
	v_and_or_b32 v2, v6, s1, v2
	v_add_u32_e32 v7, 0xfffffc10, v7
	v_med3_i32 v6, v10, 0, 13
	v_or_b32_e32 v10, 0x1000, v2
	v_cmp_ne_u32_e32 vcc, 0, v2
	v_lshl_or_b32 v11, v7, 12, v2
	v_lshrrev_b32_e32 v3, 16, v3
	v_cndmask_b32_e32 v2, v4, v5, vcc
	v_lshrrev_b32_e32 v5, v6, v10
	v_lshlrev_b32_e32 v6, v6, v5
	v_cmp_ne_u32_e32 vcc, v6, v10
	s_mov_b64 s[0:1], 0
	s_nop 0
	v_cndmask_b32_e64 v6, 0, 1, vcc
	v_or_b32_e32 v5, v5, v6
	v_cmp_gt_i32_e32 vcc, 1, v7
	s_nop 1
	v_cndmask_b32_e32 v5, v11, v5, vcc
	v_and_b32_e32 v6, 7, v5
	v_cmp_lt_i32_e32 vcc, 5, v6
	v_lshrrev_b32_e32 v5, 2, v5
	s_nop 0
	v_cndmask_b32_e64 v10, 0, 1, vcc
	v_cmp_eq_u32_e32 vcc, 3, v6
	s_nop 1
	v_cndmask_b32_e64 v6, 0, 1, vcc
	v_or_b32_e32 v6, v6, v10
	v_add_u32_e32 v5, v5, v6
	v_cmp_gt_i32_e32 vcc, 31, v7
	s_nop 1
	v_cndmask_b32_e32 v4, v4, v5, vcc
	v_cmp_eq_u32_e32 vcc, s3, v7
	s_nop 1
	v_cndmask_b32_e32 v2, v4, v2, vcc
	v_and_or_b32 v30, v3, s4, v2
	s_branch .LBB73_1668
.LBB73_1660:
	s_mov_b64 s[0:1], -1
                                        ; implicit-def: $vgpr30
	s_branch .LBB73_1671
.LBB73_1661:
	s_mov_b64 s[0:1], -1
                                        ; implicit-def: $vgpr30
.LBB73_1662:
	s_mov_b64 s[6:7], 0
.LBB73_1663:
	s_and_b64 vcc, exec, s[6:7]
	s_cbranch_vccz .LBB73_1665
; %bb.1664:
	s_cmp_lg_u32 s11, 11
	s_mov_b64 s[2:3], -1
	s_cselect_b64 s[0:1], -1, 0
.LBB73_1665:
	v_mov_b32_e32 v32, 0
	s_and_b64 vcc, exec, s[0:1]
	s_cbranch_vccz .LBB73_1619
.LBB73_1666:
	s_trap 2
	s_or_b64 s[18:19], s[18:19], exec
	s_cbranch_execz .LBB73_1620
	s_branch .LBB73_1621
.LBB73_1667:
	s_mov_b64 s[0:1], -1
                                        ; implicit-def: $vgpr30
.LBB73_1668:
	s_andn2_b64 vcc, exec, s[0:1]
	s_cbranch_vccnz .LBB73_1670
; %bb.1669:
	global_load_dword v2, v[0:1], off
	s_waitcnt vmcnt(0)
	v_cvt_f16_f32_e32 v30, v2
.LBB73_1670:
	s_mov_b64 s[0:1], 0
.LBB73_1671:
	s_andn2_b64 vcc, exec, s[0:1]
	s_cbranch_vccnz .LBB73_1673
; %bb.1672:
	global_load_ushort v30, v[0:1], off
.LBB73_1673:
	v_mov_b32_e32 v32, 0
.LBB73_1674:
	s_mov_b64 s[0:1], 0
.LBB73_1675:
	s_andn2_b64 vcc, exec, s[0:1]
	s_cbranch_vccnz .LBB73_1696
; %bb.1676:
	s_cmp_lt_i32 s2, 2
	s_cbranch_scc1 .LBB73_1680
; %bb.1677:
	s_cmp_lt_i32 s2, 3
	s_cbranch_scc1 .LBB73_1681
; %bb.1678:
	s_cmp_gt_i32 s2, 3
	s_cbranch_scc0 .LBB73_1682
; %bb.1679:
	global_load_dwordx2 v[2:3], v[0:1], off
	s_mov_b64 s[0:1], 0
	s_waitcnt vmcnt(0)
	v_xor_b32_e32 v5, v2, v3
	v_ffbh_i32_e32 v4, v3
	v_ashrrev_i32_e32 v5, 31, v5
	v_add_u32_e32 v4, -1, v4
	v_add_u32_e32 v5, 32, v5
	v_min_u32_e32 v4, v4, v5
	v_lshlrev_b64 v[2:3], v4, v[2:3]
	v_min_u32_e32 v2, 1, v2
	v_or_b32_e32 v2, v3, v2
	v_cvt_f32_i32_e32 v2, v2
	v_sub_u32_e32 v3, 32, v4
	v_ldexp_f32 v2, v2, v3
	v_cvt_f16_f32_e32 v30, v2
	s_branch .LBB73_1683
.LBB73_1680:
	s_mov_b64 s[0:1], -1
                                        ; implicit-def: $vgpr30
	s_branch .LBB73_1689
.LBB73_1681:
	s_mov_b64 s[0:1], -1
                                        ; implicit-def: $vgpr30
	s_branch .LBB73_1686
.LBB73_1682:
	s_mov_b64 s[0:1], -1
                                        ; implicit-def: $vgpr30
.LBB73_1683:
	s_andn2_b64 vcc, exec, s[0:1]
	s_cbranch_vccnz .LBB73_1685
; %bb.1684:
	global_load_dword v2, v[0:1], off
	s_waitcnt vmcnt(0)
	v_cvt_f32_i32_e32 v2, v2
	v_cvt_f16_f32_e32 v30, v2
.LBB73_1685:
	s_mov_b64 s[0:1], 0
.LBB73_1686:
	s_andn2_b64 vcc, exec, s[0:1]
	s_cbranch_vccnz .LBB73_1688
; %bb.1687:
	global_load_ushort v2, v[0:1], off
	s_waitcnt vmcnt(0)
	v_cvt_f16_i16_e32 v30, v2
.LBB73_1688:
	s_mov_b64 s[0:1], 0
.LBB73_1689:
	s_andn2_b64 vcc, exec, s[0:1]
	s_cbranch_vccnz .LBB73_1695
; %bb.1690:
	s_cmp_gt_i32 s2, 0
	s_cbranch_scc0 .LBB73_1692
; %bb.1691:
	global_load_sbyte v2, v[0:1], off
	s_mov_b64 s[0:1], 0
	s_waitcnt vmcnt(0)
	v_cvt_f16_i16_e32 v30, v2
	s_branch .LBB73_1693
.LBB73_1692:
	s_mov_b64 s[0:1], -1
                                        ; implicit-def: $vgpr30
.LBB73_1693:
	s_andn2_b64 vcc, exec, s[0:1]
	s_cbranch_vccnz .LBB73_1695
; %bb.1694:
	global_load_ubyte v0, v[0:1], off
	s_waitcnt vmcnt(0)
	v_cvt_f16_u16_e32 v30, v0
.LBB73_1695:
	v_mov_b32_e32 v32, 0
.LBB73_1696:
	s_mov_b64 s[4:5], -1
.LBB73_1697:
	s_andn2_b64 vcc, exec, s[4:5]
	s_cbranch_vccnz .LBB73_2131
; %bb.1698:
	v_cvt_f32_f16_e32 v0, v8
	v_cvt_f32_f16_e32 v1, v9
	s_bfe_u32 s22, s24, 0x80008
	s_getpc_b64 s[0:1]
	s_add_u32 s0, s0, _ZN16c10_complex_math3expIfEEN3c107complexIT_EERKS4_@rel32@lo+4
	s_addc_u32 s1, s1, _ZN16c10_complex_math3expIfEEN3c107complexIT_EERKS4_@rel32@hi+12
	s_swappc_b64 s[30:31], s[0:1]
	v_cvt_f16_f32_e32 v2, v1
	v_cvt_f16_f32_e32 v4, v0
	v_mov_b32_e32 v29, 0
	s_cmp_lt_i32 s22, 11
	v_lshlrev_b32_e32 v0, 16, v2
	v_or_b32_e32 v5, v0, v4
	v_lshl_add_u64 v[0:1], s[20:21], 0, v[28:29]
	s_cbranch_scc1 .LBB73_1776
; %bb.1699:
	s_and_b32 s10, 0xffff, s22
	s_mov_b64 s[6:7], -1
	s_mov_b64 s[2:3], 0
	s_cmp_gt_i32 s10, 25
	s_mov_b64 s[4:5], 0
	s_mov_b64 s[0:1], 0
	s_cbranch_scc0 .LBB73_1732
; %bb.1700:
	s_cmp_gt_i32 s10, 28
	s_cbranch_scc0 .LBB73_1715
; %bb.1701:
	s_cmp_gt_i32 s10, 43
	;; [unrolled: 3-line block ×3, first 2 shown]
	s_cbranch_scc0 .LBB73_1705
; %bb.1703:
	s_mov_b64 s[0:1], -1
	s_mov_b64 s[6:7], 0
	s_cmp_eq_u32 s10, 46
	s_cbranch_scc0 .LBB73_1705
; %bb.1704:
	v_cvt_f32_f16_e32 v6, v2
	v_cvt_f32_f16_e32 v3, v4
	s_movk_i32 s0, 0x7fff
	v_cmp_o_f16_e32 vcc, v2, v2
	v_bfe_u32 v8, v6, 16, 1
	v_bfe_u32 v7, v3, 16, 1
	v_add3_u32 v6, v6, v8, s0
	v_add3_u32 v3, v3, v7, s0
	v_and_b32_e32 v6, 0xffff0000, v6
	v_mov_b32_e32 v7, 0x7fc00000
	v_cndmask_b32_e32 v6, v7, v6, vcc
	v_cmp_o_f16_e32 vcc, v4, v4
	v_mov_b32_e32 v7, 0x7fc0
	s_mov_b64 s[0:1], 0
	v_cndmask_b32_sdwa v3, v7, v3, vcc dst_sel:DWORD dst_unused:UNUSED_PAD src0_sel:DWORD src1_sel:WORD_1
	v_or_b32_e32 v3, v6, v3
	global_store_dword v[0:1], v3, off
	s_mov_b64 s[4:5], -1
.LBB73_1705:
	s_and_b64 vcc, exec, s[6:7]
	s_cbranch_vccz .LBB73_1710
; %bb.1706:
	s_cmp_eq_u32 s10, 44
	s_mov_b64 s[0:1], -1
	s_cbranch_scc0 .LBB73_1710
; %bb.1707:
	v_cvt_f32_f16_e32 v3, v4
	s_movk_i32 s0, 0xff
	v_mov_b32_e32 v7, 0xff
	v_bfe_u32 v6, v3, 23, 8
	v_cmp_ne_u32_e32 vcc, s0, v6
	s_and_saveexec_b64 s[4:5], vcc
; %bb.1708:
	s_mov_b32 s0, 0x3fffff
	v_lshrrev_b32_e32 v7, 23, v3
	v_and_b32_e32 v8, 0x400000, v3
	v_and_or_b32 v3, v3, s0, v6
	v_cmp_ne_u32_e32 vcc, 0, v8
	v_cmp_ne_u32_e64 s[0:1], 0, v3
	s_and_b64 s[0:1], vcc, s[0:1]
	s_nop 0
	v_cndmask_b32_e64 v3, 0, 1, s[0:1]
	v_add_u32_e32 v7, v7, v3
; %bb.1709:
	s_or_b64 exec, exec, s[4:5]
	s_mov_b64 s[0:1], 0
	s_mov_b64 s[4:5], -1
	global_store_byte v[0:1], v7, off
.LBB73_1710:
	s_mov_b64 s[6:7], 0
.LBB73_1711:
	s_and_b64 vcc, exec, s[6:7]
	s_cbranch_vccz .LBB73_1714
; %bb.1712:
	s_cmp_eq_u32 s10, 29
	s_mov_b64 s[0:1], -1
	s_cbranch_scc0 .LBB73_1714
; %bb.1713:
	v_cvt_f32_f16_e32 v3, v4
	v_mov_b32_e32 v7, 0
	s_mov_b64 s[0:1], 0
	s_mov_b64 s[4:5], -1
	v_cvt_u32_f32_e32 v6, v3
	global_store_dwordx2 v[0:1], v[6:7], off
.LBB73_1714:
	s_mov_b64 s[6:7], 0
.LBB73_1715:
	s_and_b64 vcc, exec, s[6:7]
	s_cbranch_vccz .LBB73_1731
; %bb.1716:
	s_cmp_lt_i32 s10, 27
	s_mov_b64 s[4:5], -1
	s_cbranch_scc1 .LBB73_1722
; %bb.1717:
	s_cmp_gt_i32 s10, 27
	s_cbranch_scc0 .LBB73_1719
; %bb.1718:
	v_cvt_f32_f16_e32 v3, v4
	s_mov_b64 s[4:5], 0
	v_cvt_u32_f32_e32 v3, v3
	global_store_dword v[0:1], v3, off
.LBB73_1719:
	s_andn2_b64 vcc, exec, s[4:5]
	s_cbranch_vccnz .LBB73_1721
; %bb.1720:
	v_cvt_u16_f16_e32 v3, v4
	global_store_short v[0:1], v3, off
.LBB73_1721:
	s_mov_b64 s[4:5], 0
.LBB73_1722:
	s_andn2_b64 vcc, exec, s[4:5]
	s_cbranch_vccnz .LBB73_1730
; %bb.1723:
	v_cvt_f32_f16_e32 v3, v4
	s_mov_b32 s4, 0x43800000
	v_mov_b32_e32 v7, 0x80
	v_and_b32_e32 v6, 0x7fffffff, v3
	v_cmp_gt_u32_e32 vcc, s4, v6
	s_and_saveexec_b64 s[4:5], vcc
	s_cbranch_execz .LBB73_1729
; %bb.1724:
	s_mov_b32 s6, 0x3bffffff
	v_cmp_lt_u32_e32 vcc, s6, v6
	s_mov_b64 s[6:7], 0
                                        ; implicit-def: $vgpr6
	s_and_saveexec_b64 s[8:9], vcc
	s_xor_b64 s[8:9], exec, s[8:9]
	s_cbranch_execz .LBB73_2178
; %bb.1725:
	v_bfe_u32 v6, v3, 20, 1
	s_mov_b32 s11, 0x487ffff
	v_add3_u32 v6, v3, v6, s11
	s_mov_b64 s[6:7], exec
	v_lshrrev_b32_e32 v6, 20, v6
	s_andn2_saveexec_b64 s[8:9], s[8:9]
	s_cbranch_execnz .LBB73_2179
.LBB73_1726:
	s_or_b64 exec, exec, s[8:9]
	v_mov_b32_e32 v7, 0
	s_and_saveexec_b64 s[8:9], s[6:7]
.LBB73_1727:
	v_lshrrev_b32_e32 v3, 24, v3
	s_movk_i32 s6, 0x80
	v_and_or_b32 v7, v3, s6, v6
.LBB73_1728:
	s_or_b64 exec, exec, s[8:9]
.LBB73_1729:
	s_or_b64 exec, exec, s[4:5]
	global_store_byte v[0:1], v7, off
.LBB73_1730:
	s_mov_b64 s[4:5], -1
.LBB73_1731:
	s_mov_b64 s[6:7], 0
.LBB73_1732:
	s_and_b64 vcc, exec, s[6:7]
	s_cbranch_vccz .LBB73_1772
; %bb.1733:
	s_cmp_gt_i32 s10, 22
	s_mov_b64 s[2:3], -1
	s_cbranch_scc0 .LBB73_1765
; %bb.1734:
	s_cmp_lt_i32 s10, 24
	s_cbranch_scc1 .LBB73_1754
; %bb.1735:
	s_cmp_gt_i32 s10, 24
	s_cbranch_scc0 .LBB73_1743
; %bb.1736:
	v_cvt_f32_f16_e32 v3, v4
	s_mov_b32 s2, 0x47800000
	v_mov_b32_e32 v7, 0x80
	v_and_b32_e32 v6, 0x7fffffff, v3
	v_cmp_gt_u32_e32 vcc, s2, v6
	s_and_saveexec_b64 s[2:3], vcc
	s_cbranch_execz .LBB73_1742
; %bb.1737:
	s_mov_b32 s4, 0x37ffffff
	v_cmp_lt_u32_e32 vcc, s4, v6
	s_mov_b64 s[4:5], 0
                                        ; implicit-def: $vgpr6
	s_and_saveexec_b64 s[6:7], vcc
	s_xor_b64 s[6:7], exec, s[6:7]
	s_cbranch_execz .LBB73_2181
; %bb.1738:
	v_bfe_u32 v6, v3, 21, 1
	s_mov_b32 s8, 0x88fffff
	v_add3_u32 v6, v3, v6, s8
	s_mov_b64 s[4:5], exec
	v_lshrrev_b32_e32 v6, 21, v6
	s_andn2_saveexec_b64 s[6:7], s[6:7]
	s_cbranch_execnz .LBB73_2182
.LBB73_1739:
	s_or_b64 exec, exec, s[6:7]
	v_mov_b32_e32 v7, 0
	s_and_saveexec_b64 s[6:7], s[4:5]
.LBB73_1740:
	v_lshrrev_b32_e32 v3, 24, v3
	s_movk_i32 s4, 0x80
	v_and_or_b32 v7, v3, s4, v6
.LBB73_1741:
	s_or_b64 exec, exec, s[6:7]
.LBB73_1742:
	s_or_b64 exec, exec, s[2:3]
	s_mov_b64 s[2:3], 0
	global_store_byte v[0:1], v7, off
.LBB73_1743:
	s_and_b64 vcc, exec, s[2:3]
	s_cbranch_vccz .LBB73_1753
; %bb.1744:
	v_cvt_f32_f16_e32 v3, v4
	s_mov_b32 s2, 0x43f00000
                                        ; implicit-def: $vgpr6
	v_and_b32_e32 v7, 0x7fffffff, v3
	v_cmp_gt_u32_e32 vcc, s2, v7
	s_and_saveexec_b64 s[2:3], vcc
	s_xor_b64 s[2:3], exec, s[2:3]
	s_cbranch_execz .LBB73_1750
; %bb.1745:
	s_mov_b32 s4, 0x3c7fffff
	v_cmp_lt_u32_e32 vcc, s4, v7
                                        ; implicit-def: $vgpr6
	s_and_saveexec_b64 s[4:5], vcc
	s_xor_b64 s[4:5], exec, s[4:5]
; %bb.1746:
	v_bfe_u32 v6, v3, 20, 1
	s_mov_b32 s6, 0x407ffff
	v_add3_u32 v6, v3, v6, s6
	v_lshrrev_b32_e32 v7, 20, v6
	v_and_b32_e32 v6, 0xff00000, v6
	s_mov_b32 s6, 0x7f00000
	v_mov_b32_e32 v8, 0x7e
	v_cmp_ne_u32_e32 vcc, s6, v6
	s_nop 1
	v_cndmask_b32_e32 v6, v8, v7, vcc
; %bb.1747:
	s_andn2_saveexec_b64 s[4:5], s[4:5]
; %bb.1748:
	s_mov_b32 s6, 0x46800000
	v_add_f32_e64 v6, |v3|, s6
; %bb.1749:
	s_or_b64 exec, exec, s[4:5]
                                        ; implicit-def: $vgpr7
.LBB73_1750:
	s_andn2_saveexec_b64 s[2:3], s[2:3]
; %bb.1751:
	s_mov_b32 s4, 0x7f800000
	v_mov_b32_e32 v6, 0x7e
	v_mov_b32_e32 v8, 0x7f
	v_cmp_lt_u32_e32 vcc, s4, v7
	s_nop 1
	v_cndmask_b32_e32 v6, v6, v8, vcc
; %bb.1752:
	s_or_b64 exec, exec, s[2:3]
	v_lshrrev_b32_e32 v3, 24, v3
	s_movk_i32 s2, 0x80
	v_and_or_b32 v3, v3, s2, v6
	global_store_byte v[0:1], v3, off
.LBB73_1753:
	s_mov_b64 s[2:3], 0
.LBB73_1754:
	s_andn2_b64 vcc, exec, s[2:3]
	s_cbranch_vccnz .LBB73_1764
; %bb.1755:
	v_cvt_f32_f16_e32 v3, v4
	s_mov_b32 s2, 0x47800000
                                        ; implicit-def: $vgpr6
	v_and_b32_e32 v7, 0x7fffffff, v3
	v_cmp_gt_u32_e32 vcc, s2, v7
	s_and_saveexec_b64 s[2:3], vcc
	s_xor_b64 s[2:3], exec, s[2:3]
	s_cbranch_execz .LBB73_1761
; %bb.1756:
	s_mov_b32 s4, 0x387fffff
	v_cmp_lt_u32_e32 vcc, s4, v7
                                        ; implicit-def: $vgpr6
	s_and_saveexec_b64 s[4:5], vcc
	s_xor_b64 s[4:5], exec, s[4:5]
; %bb.1757:
	v_bfe_u32 v6, v3, 21, 1
	s_mov_b32 s6, 0x80fffff
	v_add3_u32 v6, v3, v6, s6
	v_lshrrev_b32_e32 v6, 21, v6
; %bb.1758:
	s_andn2_saveexec_b64 s[4:5], s[4:5]
; %bb.1759:
	s_mov_b32 s6, 0x43000000
	v_add_f32_e64 v6, |v3|, s6
; %bb.1760:
	s_or_b64 exec, exec, s[4:5]
                                        ; implicit-def: $vgpr7
.LBB73_1761:
	s_andn2_saveexec_b64 s[2:3], s[2:3]
; %bb.1762:
	s_mov_b32 s4, 0x7f800000
	v_mov_b32_e32 v6, 0x7c
	v_mov_b32_e32 v8, 0x7f
	v_cmp_lt_u32_e32 vcc, s4, v7
	s_nop 1
	v_cndmask_b32_e32 v6, v6, v8, vcc
; %bb.1763:
	s_or_b64 exec, exec, s[2:3]
	v_lshrrev_b32_e32 v3, 24, v3
	s_movk_i32 s2, 0x80
	v_and_or_b32 v3, v3, s2, v6
	global_store_byte v[0:1], v3, off
.LBB73_1764:
	s_mov_b64 s[2:3], 0
	s_mov_b64 s[4:5], -1
.LBB73_1765:
	s_andn2_b64 vcc, exec, s[2:3]
	s_mov_b64 s[2:3], 0
	s_cbranch_vccnz .LBB73_1772
; %bb.1766:
	s_cmp_gt_i32 s10, 14
	s_mov_b64 s[6:7], -1
	s_cbranch_scc0 .LBB73_1770
; %bb.1767:
	s_cmp_eq_u32 s10, 15
	s_mov_b64 s[0:1], -1
	s_cbranch_scc0 .LBB73_1769
; %bb.1768:
	v_cvt_f32_f16_e32 v3, v4
	s_movk_i32 s0, 0x7fff
	v_cmp_o_f16_e32 vcc, v4, v4
	v_mov_b32_e32 v6, 0x7fc0
	v_bfe_u32 v7, v3, 16, 1
	v_add3_u32 v3, v3, v7, s0
	v_cndmask_b32_sdwa v3, v6, v3, vcc dst_sel:DWORD dst_unused:UNUSED_PAD src0_sel:DWORD src1_sel:WORD_1
	global_store_short v[0:1], v3, off
	s_mov_b64 s[0:1], 0
	s_mov_b64 s[4:5], -1
.LBB73_1769:
	s_mov_b64 s[6:7], 0
.LBB73_1770:
	s_and_b64 vcc, exec, s[6:7]
	s_cbranch_vccz .LBB73_1772
; %bb.1771:
	s_cmp_lg_u32 s10, 11
	s_mov_b64 s[2:3], -1
	s_cselect_b64 s[0:1], -1, 0
.LBB73_1772:
	s_and_b64 vcc, exec, s[0:1]
	s_cbranch_vccnz .LBB73_2180
; %bb.1773:
	s_andn2_b64 vcc, exec, s[2:3]
	s_cbranch_vccnz .LBB73_1775
.LBB73_1774:
	v_and_b32_e32 v3, 0x7fff7fff, v5
	v_cmp_ne_u32_e32 vcc, 0, v3
	s_mov_b64 s[4:5], -1
	s_nop 0
	v_cndmask_b32_e64 v3, 0, 1, vcc
	global_store_byte v[0:1], v3, off
.LBB73_1775:
	s_mov_b64 s[0:1], 0
	s_branch .LBB73_1777
.LBB73_1776:
	s_mov_b64 s[0:1], -1
	s_mov_b64 s[4:5], 0
.LBB73_1777:
	s_and_b64 vcc, exec, s[0:1]
	s_cbranch_vccz .LBB73_1816
; %bb.1778:
	s_and_b32 s2, 0xffff, s22
	s_cmp_lt_i32 s2, 5
	s_mov_b64 s[0:1], -1
	s_cbranch_scc1 .LBB73_1799
; %bb.1779:
	s_cmp_lt_i32 s2, 8
	s_cbranch_scc1 .LBB73_1789
; %bb.1780:
	s_cmp_lt_i32 s2, 9
	s_cbranch_scc1 .LBB73_1786
; %bb.1781:
	v_cvt_f32_f16_e32 v3, v2
	s_cmp_gt_i32 s2, 9
	s_cbranch_scc0 .LBB73_1783
; %bb.1782:
	v_cvt_f32_f16_e32 v2, v4
	v_cvt_f64_f32_e32 v[8:9], v3
	s_mov_b64 s[0:1], 0
	v_cvt_f64_f32_e32 v[6:7], v2
	global_store_dwordx4 v[0:1], v[6:9], off
.LBB73_1783:
	s_andn2_b64 vcc, exec, s[0:1]
	s_cbranch_vccnz .LBB73_1785
; %bb.1784:
	v_cvt_f32_f16_e32 v2, v4
	global_store_dwordx2 v[0:1], v[2:3], off
.LBB73_1785:
	s_mov_b64 s[0:1], 0
.LBB73_1786:
	s_andn2_b64 vcc, exec, s[0:1]
	s_cbranch_vccnz .LBB73_1788
; %bb.1787:
	global_store_dword v[0:1], v5, off
.LBB73_1788:
	s_mov_b64 s[0:1], 0
.LBB73_1789:
	s_andn2_b64 vcc, exec, s[0:1]
	s_cbranch_vccnz .LBB73_1798
; %bb.1790:
	s_cmp_lt_i32 s2, 6
	s_mov_b64 s[0:1], -1
	s_cbranch_scc1 .LBB73_1796
; %bb.1791:
	s_cmp_gt_i32 s2, 6
	s_cbranch_scc0 .LBB73_1793
; %bb.1792:
	v_cvt_f32_f16_e32 v2, v4
	s_mov_b64 s[0:1], 0
	v_cvt_f64_f32_e32 v[2:3], v2
	global_store_dwordx2 v[0:1], v[2:3], off
.LBB73_1793:
	s_andn2_b64 vcc, exec, s[0:1]
	s_cbranch_vccnz .LBB73_1795
; %bb.1794:
	v_cvt_f32_f16_e32 v2, v4
	global_store_dword v[0:1], v2, off
.LBB73_1795:
	s_mov_b64 s[0:1], 0
.LBB73_1796:
	s_andn2_b64 vcc, exec, s[0:1]
	s_cbranch_vccnz .LBB73_1798
; %bb.1797:
	global_store_short v[0:1], v4, off
.LBB73_1798:
	s_mov_b64 s[0:1], 0
.LBB73_1799:
	s_andn2_b64 vcc, exec, s[0:1]
	s_cbranch_vccnz .LBB73_1815
; %bb.1800:
	s_cmp_lt_i32 s2, 2
	s_mov_b64 s[0:1], -1
	s_cbranch_scc1 .LBB73_1810
; %bb.1801:
	s_cmp_lt_i32 s2, 3
	s_cbranch_scc1 .LBB73_1807
; %bb.1802:
	s_cmp_gt_i32 s2, 3
	s_cbranch_scc0 .LBB73_1804
; %bb.1803:
	v_cvt_f32_f16_e32 v2, v4
	s_mov_b64 s[0:1], 0
	v_cvt_i32_f32_e32 v2, v2
	v_ashrrev_i32_e32 v3, 31, v2
	global_store_dwordx2 v[0:1], v[2:3], off
.LBB73_1804:
	s_andn2_b64 vcc, exec, s[0:1]
	s_cbranch_vccnz .LBB73_1806
; %bb.1805:
	v_cvt_f32_f16_e32 v2, v4
	v_cvt_i32_f32_e32 v2, v2
	global_store_dword v[0:1], v2, off
.LBB73_1806:
	s_mov_b64 s[0:1], 0
.LBB73_1807:
	s_andn2_b64 vcc, exec, s[0:1]
	s_cbranch_vccnz .LBB73_1809
; %bb.1808:
	v_cvt_i16_f16_e32 v2, v4
	global_store_short v[0:1], v2, off
.LBB73_1809:
	s_mov_b64 s[0:1], 0
.LBB73_1810:
	s_andn2_b64 vcc, exec, s[0:1]
	s_cbranch_vccnz .LBB73_1815
; %bb.1811:
	s_cmp_gt_i32 s2, 0
	s_mov_b64 s[0:1], -1
	s_cbranch_scc0 .LBB73_1813
; %bb.1812:
	v_cvt_i16_f16_e32 v2, v4
	global_store_byte v[0:1], v2, off
	s_mov_b64 s[0:1], 0
.LBB73_1813:
	s_andn2_b64 vcc, exec, s[0:1]
	s_cbranch_vccnz .LBB73_1815
; %bb.1814:
	v_cvt_f32_f16_e32 v2, v4
	v_cvt_i32_f32_e32 v2, v2
	global_store_byte v[0:1], v2, off
.LBB73_1815:
	s_mov_b64 s[4:5], -1
.LBB73_1816:
	s_andn2_b64 vcc, exec, s[4:5]
	s_cbranch_vccnz .LBB73_2131
; %bb.1817:
	v_cvt_f32_f16_e32 v0, v21
	v_cvt_f32_f16_e32 v1, v25
	s_lshr_b32 s0, s24, 8
	s_and_b32 s22, s0, 0xff
	s_getpc_b64 s[0:1]
	s_add_u32 s0, s0, _ZN16c10_complex_math3expIfEEN3c107complexIT_EERKS4_@rel32@lo+4
	s_addc_u32 s1, s1, _ZN16c10_complex_math3expIfEEN3c107complexIT_EERKS4_@rel32@hi+12
	s_swappc_b64 s[30:31], s[0:1]
	v_cvt_f16_f32_e32 v4, v1
	v_cvt_f16_f32_e32 v2, v0
	v_mov_b32_e32 v27, 0
	s_cmp_lt_i32 s22, 11
	v_lshlrev_b32_e32 v0, 16, v4
	v_or_b32_e32 v3, v0, v2
	v_lshl_add_u64 v[0:1], s[20:21], 0, v[26:27]
	s_cbranch_scc1 .LBB73_1895
; %bb.1818:
	s_and_b32 s10, 0xffff, s22
	s_mov_b64 s[6:7], -1
	s_mov_b64 s[2:3], 0
	s_cmp_gt_i32 s10, 25
	s_mov_b64 s[4:5], 0
	s_mov_b64 s[0:1], 0
	s_cbranch_scc0 .LBB73_1851
; %bb.1819:
	s_cmp_gt_i32 s10, 28
	s_cbranch_scc0 .LBB73_1834
; %bb.1820:
	s_cmp_gt_i32 s10, 43
	;; [unrolled: 3-line block ×3, first 2 shown]
	s_cbranch_scc0 .LBB73_1824
; %bb.1822:
	s_mov_b64 s[0:1], -1
	s_mov_b64 s[6:7], 0
	s_cmp_eq_u32 s10, 46
	s_cbranch_scc0 .LBB73_1824
; %bb.1823:
	v_cvt_f32_f16_e32 v6, v4
	v_cvt_f32_f16_e32 v5, v2
	s_movk_i32 s0, 0x7fff
	v_cmp_o_f16_e32 vcc, v4, v4
	v_bfe_u32 v8, v6, 16, 1
	v_bfe_u32 v7, v5, 16, 1
	v_add3_u32 v6, v6, v8, s0
	v_add3_u32 v5, v5, v7, s0
	v_and_b32_e32 v6, 0xffff0000, v6
	v_mov_b32_e32 v7, 0x7fc00000
	v_cndmask_b32_e32 v6, v7, v6, vcc
	v_cmp_o_f16_e32 vcc, v2, v2
	v_mov_b32_e32 v7, 0x7fc0
	s_mov_b64 s[0:1], 0
	v_cndmask_b32_sdwa v5, v7, v5, vcc dst_sel:DWORD dst_unused:UNUSED_PAD src0_sel:DWORD src1_sel:WORD_1
	v_or_b32_e32 v5, v6, v5
	global_store_dword v[0:1], v5, off
	s_mov_b64 s[4:5], -1
.LBB73_1824:
	s_and_b64 vcc, exec, s[6:7]
	s_cbranch_vccz .LBB73_1829
; %bb.1825:
	s_cmp_eq_u32 s10, 44
	s_mov_b64 s[0:1], -1
	s_cbranch_scc0 .LBB73_1829
; %bb.1826:
	v_cvt_f32_f16_e32 v5, v2
	s_movk_i32 s0, 0xff
	v_mov_b32_e32 v7, 0xff
	v_bfe_u32 v6, v5, 23, 8
	v_cmp_ne_u32_e32 vcc, s0, v6
	s_and_saveexec_b64 s[4:5], vcc
; %bb.1827:
	s_mov_b32 s0, 0x3fffff
	v_lshrrev_b32_e32 v7, 23, v5
	v_and_b32_e32 v8, 0x400000, v5
	v_and_or_b32 v5, v5, s0, v6
	v_cmp_ne_u32_e32 vcc, 0, v8
	v_cmp_ne_u32_e64 s[0:1], 0, v5
	s_and_b64 s[0:1], vcc, s[0:1]
	s_nop 0
	v_cndmask_b32_e64 v5, 0, 1, s[0:1]
	v_add_u32_e32 v7, v7, v5
; %bb.1828:
	s_or_b64 exec, exec, s[4:5]
	s_mov_b64 s[0:1], 0
	s_mov_b64 s[4:5], -1
	global_store_byte v[0:1], v7, off
.LBB73_1829:
	s_mov_b64 s[6:7], 0
.LBB73_1830:
	s_and_b64 vcc, exec, s[6:7]
	s_cbranch_vccz .LBB73_1833
; %bb.1831:
	s_cmp_eq_u32 s10, 29
	s_mov_b64 s[0:1], -1
	s_cbranch_scc0 .LBB73_1833
; %bb.1832:
	v_cvt_f32_f16_e32 v5, v2
	v_mov_b32_e32 v7, 0
	s_mov_b64 s[0:1], 0
	s_mov_b64 s[4:5], -1
	v_cvt_u32_f32_e32 v6, v5
	global_store_dwordx2 v[0:1], v[6:7], off
.LBB73_1833:
	s_mov_b64 s[6:7], 0
.LBB73_1834:
	s_and_b64 vcc, exec, s[6:7]
	s_cbranch_vccz .LBB73_1850
; %bb.1835:
	s_cmp_lt_i32 s10, 27
	s_mov_b64 s[4:5], -1
	s_cbranch_scc1 .LBB73_1841
; %bb.1836:
	s_cmp_gt_i32 s10, 27
	s_cbranch_scc0 .LBB73_1838
; %bb.1837:
	v_cvt_f32_f16_e32 v5, v2
	s_mov_b64 s[4:5], 0
	v_cvt_u32_f32_e32 v5, v5
	global_store_dword v[0:1], v5, off
.LBB73_1838:
	s_andn2_b64 vcc, exec, s[4:5]
	s_cbranch_vccnz .LBB73_1840
; %bb.1839:
	v_cvt_u16_f16_e32 v5, v2
	global_store_short v[0:1], v5, off
.LBB73_1840:
	s_mov_b64 s[4:5], 0
.LBB73_1841:
	s_andn2_b64 vcc, exec, s[4:5]
	s_cbranch_vccnz .LBB73_1849
; %bb.1842:
	v_cvt_f32_f16_e32 v5, v2
	s_mov_b32 s4, 0x43800000
	v_mov_b32_e32 v7, 0x80
	v_and_b32_e32 v6, 0x7fffffff, v5
	v_cmp_gt_u32_e32 vcc, s4, v6
	s_and_saveexec_b64 s[4:5], vcc
	s_cbranch_execz .LBB73_1848
; %bb.1843:
	s_mov_b32 s6, 0x3bffffff
	v_cmp_lt_u32_e32 vcc, s6, v6
	s_mov_b64 s[6:7], 0
                                        ; implicit-def: $vgpr6
	s_and_saveexec_b64 s[8:9], vcc
	s_xor_b64 s[8:9], exec, s[8:9]
	s_cbranch_execz .LBB73_2183
; %bb.1844:
	v_bfe_u32 v6, v5, 20, 1
	s_mov_b32 s11, 0x487ffff
	v_add3_u32 v6, v5, v6, s11
	s_mov_b64 s[6:7], exec
	v_lshrrev_b32_e32 v6, 20, v6
	s_andn2_saveexec_b64 s[8:9], s[8:9]
	s_cbranch_execnz .LBB73_2184
.LBB73_1845:
	s_or_b64 exec, exec, s[8:9]
	v_mov_b32_e32 v7, 0
	s_and_saveexec_b64 s[8:9], s[6:7]
.LBB73_1846:
	v_lshrrev_b32_e32 v5, 24, v5
	s_movk_i32 s6, 0x80
	v_and_or_b32 v7, v5, s6, v6
.LBB73_1847:
	s_or_b64 exec, exec, s[8:9]
.LBB73_1848:
	s_or_b64 exec, exec, s[4:5]
	global_store_byte v[0:1], v7, off
.LBB73_1849:
	s_mov_b64 s[4:5], -1
.LBB73_1850:
	s_mov_b64 s[6:7], 0
.LBB73_1851:
	s_and_b64 vcc, exec, s[6:7]
	s_cbranch_vccz .LBB73_1891
; %bb.1852:
	s_cmp_gt_i32 s10, 22
	s_mov_b64 s[2:3], -1
	s_cbranch_scc0 .LBB73_1884
; %bb.1853:
	s_cmp_lt_i32 s10, 24
	s_cbranch_scc1 .LBB73_1873
; %bb.1854:
	s_cmp_gt_i32 s10, 24
	s_cbranch_scc0 .LBB73_1862
; %bb.1855:
	v_cvt_f32_f16_e32 v5, v2
	s_mov_b32 s2, 0x47800000
	v_mov_b32_e32 v7, 0x80
	v_and_b32_e32 v6, 0x7fffffff, v5
	v_cmp_gt_u32_e32 vcc, s2, v6
	s_and_saveexec_b64 s[2:3], vcc
	s_cbranch_execz .LBB73_1861
; %bb.1856:
	s_mov_b32 s4, 0x37ffffff
	v_cmp_lt_u32_e32 vcc, s4, v6
	s_mov_b64 s[4:5], 0
                                        ; implicit-def: $vgpr6
	s_and_saveexec_b64 s[6:7], vcc
	s_xor_b64 s[6:7], exec, s[6:7]
	s_cbranch_execz .LBB73_2186
; %bb.1857:
	v_bfe_u32 v6, v5, 21, 1
	s_mov_b32 s8, 0x88fffff
	v_add3_u32 v6, v5, v6, s8
	s_mov_b64 s[4:5], exec
	v_lshrrev_b32_e32 v6, 21, v6
	s_andn2_saveexec_b64 s[6:7], s[6:7]
	s_cbranch_execnz .LBB73_2187
.LBB73_1858:
	s_or_b64 exec, exec, s[6:7]
	v_mov_b32_e32 v7, 0
	s_and_saveexec_b64 s[6:7], s[4:5]
.LBB73_1859:
	v_lshrrev_b32_e32 v5, 24, v5
	s_movk_i32 s4, 0x80
	v_and_or_b32 v7, v5, s4, v6
.LBB73_1860:
	s_or_b64 exec, exec, s[6:7]
.LBB73_1861:
	s_or_b64 exec, exec, s[2:3]
	s_mov_b64 s[2:3], 0
	global_store_byte v[0:1], v7, off
.LBB73_1862:
	s_and_b64 vcc, exec, s[2:3]
	s_cbranch_vccz .LBB73_1872
; %bb.1863:
	v_cvt_f32_f16_e32 v5, v2
	s_mov_b32 s2, 0x43f00000
                                        ; implicit-def: $vgpr6
	v_and_b32_e32 v7, 0x7fffffff, v5
	v_cmp_gt_u32_e32 vcc, s2, v7
	s_and_saveexec_b64 s[2:3], vcc
	s_xor_b64 s[2:3], exec, s[2:3]
	s_cbranch_execz .LBB73_1869
; %bb.1864:
	s_mov_b32 s4, 0x3c7fffff
	v_cmp_lt_u32_e32 vcc, s4, v7
                                        ; implicit-def: $vgpr6
	s_and_saveexec_b64 s[4:5], vcc
	s_xor_b64 s[4:5], exec, s[4:5]
; %bb.1865:
	v_bfe_u32 v6, v5, 20, 1
	s_mov_b32 s6, 0x407ffff
	v_add3_u32 v6, v5, v6, s6
	v_lshrrev_b32_e32 v7, 20, v6
	v_and_b32_e32 v6, 0xff00000, v6
	s_mov_b32 s6, 0x7f00000
	v_mov_b32_e32 v8, 0x7e
	v_cmp_ne_u32_e32 vcc, s6, v6
	s_nop 1
	v_cndmask_b32_e32 v6, v8, v7, vcc
; %bb.1866:
	s_andn2_saveexec_b64 s[4:5], s[4:5]
; %bb.1867:
	s_mov_b32 s6, 0x46800000
	v_add_f32_e64 v6, |v5|, s6
; %bb.1868:
	s_or_b64 exec, exec, s[4:5]
                                        ; implicit-def: $vgpr7
.LBB73_1869:
	s_andn2_saveexec_b64 s[2:3], s[2:3]
; %bb.1870:
	s_mov_b32 s4, 0x7f800000
	v_mov_b32_e32 v6, 0x7e
	v_mov_b32_e32 v8, 0x7f
	v_cmp_lt_u32_e32 vcc, s4, v7
	s_nop 1
	v_cndmask_b32_e32 v6, v6, v8, vcc
; %bb.1871:
	s_or_b64 exec, exec, s[2:3]
	v_lshrrev_b32_e32 v5, 24, v5
	s_movk_i32 s2, 0x80
	v_and_or_b32 v5, v5, s2, v6
	global_store_byte v[0:1], v5, off
.LBB73_1872:
	s_mov_b64 s[2:3], 0
.LBB73_1873:
	s_andn2_b64 vcc, exec, s[2:3]
	s_cbranch_vccnz .LBB73_1883
; %bb.1874:
	v_cvt_f32_f16_e32 v5, v2
	s_mov_b32 s2, 0x47800000
                                        ; implicit-def: $vgpr6
	v_and_b32_e32 v7, 0x7fffffff, v5
	v_cmp_gt_u32_e32 vcc, s2, v7
	s_and_saveexec_b64 s[2:3], vcc
	s_xor_b64 s[2:3], exec, s[2:3]
	s_cbranch_execz .LBB73_1880
; %bb.1875:
	s_mov_b32 s4, 0x387fffff
	v_cmp_lt_u32_e32 vcc, s4, v7
                                        ; implicit-def: $vgpr6
	s_and_saveexec_b64 s[4:5], vcc
	s_xor_b64 s[4:5], exec, s[4:5]
; %bb.1876:
	v_bfe_u32 v6, v5, 21, 1
	s_mov_b32 s6, 0x80fffff
	v_add3_u32 v6, v5, v6, s6
	v_lshrrev_b32_e32 v6, 21, v6
; %bb.1877:
	s_andn2_saveexec_b64 s[4:5], s[4:5]
; %bb.1878:
	s_mov_b32 s6, 0x43000000
	v_add_f32_e64 v6, |v5|, s6
; %bb.1879:
	s_or_b64 exec, exec, s[4:5]
                                        ; implicit-def: $vgpr7
.LBB73_1880:
	s_andn2_saveexec_b64 s[2:3], s[2:3]
; %bb.1881:
	s_mov_b32 s4, 0x7f800000
	v_mov_b32_e32 v6, 0x7c
	v_mov_b32_e32 v8, 0x7f
	v_cmp_lt_u32_e32 vcc, s4, v7
	s_nop 1
	v_cndmask_b32_e32 v6, v6, v8, vcc
; %bb.1882:
	s_or_b64 exec, exec, s[2:3]
	v_lshrrev_b32_e32 v5, 24, v5
	s_movk_i32 s2, 0x80
	v_and_or_b32 v5, v5, s2, v6
	global_store_byte v[0:1], v5, off
.LBB73_1883:
	s_mov_b64 s[2:3], 0
	s_mov_b64 s[4:5], -1
.LBB73_1884:
	s_andn2_b64 vcc, exec, s[2:3]
	s_mov_b64 s[2:3], 0
	s_cbranch_vccnz .LBB73_1891
; %bb.1885:
	s_cmp_gt_i32 s10, 14
	s_mov_b64 s[6:7], -1
	s_cbranch_scc0 .LBB73_1889
; %bb.1886:
	s_cmp_eq_u32 s10, 15
	s_mov_b64 s[0:1], -1
	s_cbranch_scc0 .LBB73_1888
; %bb.1887:
	v_cvt_f32_f16_e32 v5, v2
	s_movk_i32 s0, 0x7fff
	v_cmp_o_f16_e32 vcc, v2, v2
	v_mov_b32_e32 v6, 0x7fc0
	v_bfe_u32 v7, v5, 16, 1
	v_add3_u32 v5, v5, v7, s0
	v_cndmask_b32_sdwa v5, v6, v5, vcc dst_sel:DWORD dst_unused:UNUSED_PAD src0_sel:DWORD src1_sel:WORD_1
	global_store_short v[0:1], v5, off
	s_mov_b64 s[0:1], 0
	s_mov_b64 s[4:5], -1
.LBB73_1888:
	s_mov_b64 s[6:7], 0
.LBB73_1889:
	s_and_b64 vcc, exec, s[6:7]
	s_cbranch_vccz .LBB73_1891
; %bb.1890:
	s_cmp_lg_u32 s10, 11
	s_mov_b64 s[2:3], -1
	s_cselect_b64 s[0:1], -1, 0
.LBB73_1891:
	s_and_b64 vcc, exec, s[0:1]
	s_cbranch_vccnz .LBB73_2185
; %bb.1892:
	s_andn2_b64 vcc, exec, s[2:3]
	s_cbranch_vccnz .LBB73_1894
.LBB73_1893:
	v_and_b32_e32 v5, 0x7fff7fff, v3
	v_cmp_ne_u32_e32 vcc, 0, v5
	s_mov_b64 s[4:5], -1
	s_nop 0
	v_cndmask_b32_e64 v5, 0, 1, vcc
	global_store_byte v[0:1], v5, off
.LBB73_1894:
	s_mov_b64 s[0:1], 0
	s_branch .LBB73_1896
.LBB73_1895:
	s_mov_b64 s[0:1], -1
	s_mov_b64 s[4:5], 0
.LBB73_1896:
	s_and_b64 vcc, exec, s[0:1]
	s_cbranch_vccz .LBB73_1935
; %bb.1897:
	s_and_b32 s2, 0xffff, s22
	s_cmp_lt_i32 s2, 5
	s_mov_b64 s[0:1], -1
	s_cbranch_scc1 .LBB73_1918
; %bb.1898:
	s_cmp_lt_i32 s2, 8
	s_cbranch_scc1 .LBB73_1908
; %bb.1899:
	s_cmp_lt_i32 s2, 9
	s_cbranch_scc1 .LBB73_1905
; %bb.1900:
	s_cmp_gt_i32 s2, 9
	s_cbranch_scc0 .LBB73_1902
; %bb.1901:
	v_cvt_f32_f16_e32 v5, v2
	v_cvt_f32_f16_e32 v8, v4
	s_mov_b64 s[0:1], 0
	v_cvt_f64_f32_e32 v[6:7], v5
	v_cvt_f64_f32_e32 v[8:9], v8
	global_store_dwordx4 v[0:1], v[6:9], off
.LBB73_1902:
	s_andn2_b64 vcc, exec, s[0:1]
	s_cbranch_vccnz .LBB73_1904
; %bb.1903:
	v_cvt_f32_f16_e32 v6, v2
	v_cvt_f32_f16_e32 v7, v4
	global_store_dwordx2 v[0:1], v[6:7], off
.LBB73_1904:
	s_mov_b64 s[0:1], 0
.LBB73_1905:
	s_andn2_b64 vcc, exec, s[0:1]
	s_cbranch_vccnz .LBB73_1907
; %bb.1906:
	global_store_dword v[0:1], v3, off
.LBB73_1907:
	s_mov_b64 s[0:1], 0
.LBB73_1908:
	s_andn2_b64 vcc, exec, s[0:1]
	s_cbranch_vccnz .LBB73_1917
; %bb.1909:
	s_cmp_lt_i32 s2, 6
	s_mov_b64 s[0:1], -1
	s_cbranch_scc1 .LBB73_1915
; %bb.1910:
	s_cmp_gt_i32 s2, 6
	s_cbranch_scc0 .LBB73_1912
; %bb.1911:
	v_cvt_f32_f16_e32 v3, v2
	s_mov_b64 s[0:1], 0
	v_cvt_f64_f32_e32 v[4:5], v3
	global_store_dwordx2 v[0:1], v[4:5], off
.LBB73_1912:
	s_andn2_b64 vcc, exec, s[0:1]
	s_cbranch_vccnz .LBB73_1914
; %bb.1913:
	v_cvt_f32_f16_e32 v3, v2
	global_store_dword v[0:1], v3, off
.LBB73_1914:
	s_mov_b64 s[0:1], 0
.LBB73_1915:
	s_andn2_b64 vcc, exec, s[0:1]
	s_cbranch_vccnz .LBB73_1917
; %bb.1916:
	global_store_short v[0:1], v2, off
.LBB73_1917:
	s_mov_b64 s[0:1], 0
.LBB73_1918:
	s_andn2_b64 vcc, exec, s[0:1]
	s_cbranch_vccnz .LBB73_1934
; %bb.1919:
	s_cmp_lt_i32 s2, 2
	s_mov_b64 s[0:1], -1
	s_cbranch_scc1 .LBB73_1929
; %bb.1920:
	s_cmp_lt_i32 s2, 3
	s_cbranch_scc1 .LBB73_1926
; %bb.1921:
	s_cmp_gt_i32 s2, 3
	s_cbranch_scc0 .LBB73_1923
; %bb.1922:
	v_cvt_f32_f16_e32 v3, v2
	s_mov_b64 s[0:1], 0
	v_cvt_i32_f32_e32 v4, v3
	v_ashrrev_i32_e32 v5, 31, v4
	global_store_dwordx2 v[0:1], v[4:5], off
.LBB73_1923:
	s_andn2_b64 vcc, exec, s[0:1]
	s_cbranch_vccnz .LBB73_1925
; %bb.1924:
	v_cvt_f32_f16_e32 v3, v2
	v_cvt_i32_f32_e32 v3, v3
	global_store_dword v[0:1], v3, off
.LBB73_1925:
	s_mov_b64 s[0:1], 0
.LBB73_1926:
	s_andn2_b64 vcc, exec, s[0:1]
	s_cbranch_vccnz .LBB73_1928
; %bb.1927:
	v_cvt_i16_f16_e32 v3, v2
	global_store_short v[0:1], v3, off
.LBB73_1928:
	s_mov_b64 s[0:1], 0
.LBB73_1929:
	s_andn2_b64 vcc, exec, s[0:1]
	s_cbranch_vccnz .LBB73_1934
; %bb.1930:
	s_cmp_gt_i32 s2, 0
	s_mov_b64 s[0:1], -1
	s_cbranch_scc0 .LBB73_1932
; %bb.1931:
	v_cvt_i16_f16_e32 v3, v2
	global_store_byte v[0:1], v3, off
	s_mov_b64 s[0:1], 0
.LBB73_1932:
	s_andn2_b64 vcc, exec, s[0:1]
	s_cbranch_vccnz .LBB73_1934
; %bb.1933:
	v_cvt_f32_f16_e32 v2, v2
	v_cvt_i32_f32_e32 v2, v2
	global_store_byte v[0:1], v2, off
.LBB73_1934:
	s_mov_b64 s[4:5], -1
.LBB73_1935:
	s_andn2_b64 vcc, exec, s[4:5]
	s_cbranch_vccnz .LBB73_2131
; %bb.1936:
	v_cvt_f32_f16_e32 v0, v23
	v_cvt_f32_f16_e32 v1, v31
	s_getpc_b64 s[0:1]
	s_add_u32 s0, s0, _ZN16c10_complex_math3expIfEEN3c107complexIT_EERKS4_@rel32@lo+4
	s_addc_u32 s1, s1, _ZN16c10_complex_math3expIfEEN3c107complexIT_EERKS4_@rel32@hi+12
	s_swappc_b64 s[30:31], s[0:1]
	v_cvt_f16_f32_e32 v2, v1
	v_cvt_f16_f32_e32 v4, v0
	v_mov_b32_e32 v25, 0
	s_cmp_lt_i32 s22, 11
	v_lshlrev_b32_e32 v0, 16, v2
	v_or_b32_e32 v5, v0, v4
	v_lshl_add_u64 v[0:1], s[20:21], 0, v[24:25]
	s_cbranch_scc1 .LBB73_2014
; %bb.1937:
	s_and_b32 s10, 0xffff, s22
	s_mov_b64 s[6:7], -1
	s_mov_b64 s[2:3], 0
	s_cmp_gt_i32 s10, 25
	s_mov_b64 s[4:5], 0
	s_mov_b64 s[0:1], 0
	s_cbranch_scc0 .LBB73_1970
; %bb.1938:
	s_cmp_gt_i32 s10, 28
	s_cbranch_scc0 .LBB73_1953
; %bb.1939:
	s_cmp_gt_i32 s10, 43
	s_cbranch_scc0 .LBB73_1949
; %bb.1940:
	s_cmp_gt_i32 s10, 45
	s_cbranch_scc0 .LBB73_1943
; %bb.1941:
	s_mov_b64 s[0:1], -1
	s_mov_b64 s[6:7], 0
	s_cmp_eq_u32 s10, 46
	s_cbranch_scc0 .LBB73_1943
; %bb.1942:
	v_cvt_f32_f16_e32 v6, v2
	v_cvt_f32_f16_e32 v3, v4
	s_movk_i32 s0, 0x7fff
	v_cmp_o_f16_e32 vcc, v2, v2
	v_bfe_u32 v8, v6, 16, 1
	v_bfe_u32 v7, v3, 16, 1
	v_add3_u32 v6, v6, v8, s0
	v_add3_u32 v3, v3, v7, s0
	v_and_b32_e32 v6, 0xffff0000, v6
	v_mov_b32_e32 v7, 0x7fc00000
	v_cndmask_b32_e32 v6, v7, v6, vcc
	v_cmp_o_f16_e32 vcc, v4, v4
	v_mov_b32_e32 v7, 0x7fc0
	s_mov_b64 s[0:1], 0
	v_cndmask_b32_sdwa v3, v7, v3, vcc dst_sel:DWORD dst_unused:UNUSED_PAD src0_sel:DWORD src1_sel:WORD_1
	v_or_b32_e32 v3, v6, v3
	global_store_dword v[0:1], v3, off
	s_mov_b64 s[4:5], -1
.LBB73_1943:
	s_and_b64 vcc, exec, s[6:7]
	s_cbranch_vccz .LBB73_1948
; %bb.1944:
	s_cmp_eq_u32 s10, 44
	s_mov_b64 s[0:1], -1
	s_cbranch_scc0 .LBB73_1948
; %bb.1945:
	v_cvt_f32_f16_e32 v3, v4
	s_movk_i32 s0, 0xff
	v_mov_b32_e32 v7, 0xff
	v_bfe_u32 v6, v3, 23, 8
	v_cmp_ne_u32_e32 vcc, s0, v6
	s_and_saveexec_b64 s[4:5], vcc
; %bb.1946:
	s_mov_b32 s0, 0x3fffff
	v_lshrrev_b32_e32 v7, 23, v3
	v_and_b32_e32 v8, 0x400000, v3
	v_and_or_b32 v3, v3, s0, v6
	v_cmp_ne_u32_e32 vcc, 0, v8
	v_cmp_ne_u32_e64 s[0:1], 0, v3
	s_and_b64 s[0:1], vcc, s[0:1]
	s_nop 0
	v_cndmask_b32_e64 v3, 0, 1, s[0:1]
	v_add_u32_e32 v7, v7, v3
; %bb.1947:
	s_or_b64 exec, exec, s[4:5]
	s_mov_b64 s[0:1], 0
	s_mov_b64 s[4:5], -1
	global_store_byte v[0:1], v7, off
.LBB73_1948:
	s_mov_b64 s[6:7], 0
.LBB73_1949:
	s_and_b64 vcc, exec, s[6:7]
	s_cbranch_vccz .LBB73_1952
; %bb.1950:
	s_cmp_eq_u32 s10, 29
	s_mov_b64 s[0:1], -1
	s_cbranch_scc0 .LBB73_1952
; %bb.1951:
	v_cvt_f32_f16_e32 v3, v4
	v_mov_b32_e32 v7, 0
	s_mov_b64 s[0:1], 0
	s_mov_b64 s[4:5], -1
	v_cvt_u32_f32_e32 v6, v3
	global_store_dwordx2 v[0:1], v[6:7], off
.LBB73_1952:
	s_mov_b64 s[6:7], 0
.LBB73_1953:
	s_and_b64 vcc, exec, s[6:7]
	s_cbranch_vccz .LBB73_1969
; %bb.1954:
	s_cmp_lt_i32 s10, 27
	s_mov_b64 s[4:5], -1
	s_cbranch_scc1 .LBB73_1960
; %bb.1955:
	s_cmp_gt_i32 s10, 27
	s_cbranch_scc0 .LBB73_1957
; %bb.1956:
	v_cvt_f32_f16_e32 v3, v4
	s_mov_b64 s[4:5], 0
	v_cvt_u32_f32_e32 v3, v3
	global_store_dword v[0:1], v3, off
.LBB73_1957:
	s_andn2_b64 vcc, exec, s[4:5]
	s_cbranch_vccnz .LBB73_1959
; %bb.1958:
	v_cvt_u16_f16_e32 v3, v4
	global_store_short v[0:1], v3, off
.LBB73_1959:
	s_mov_b64 s[4:5], 0
.LBB73_1960:
	s_andn2_b64 vcc, exec, s[4:5]
	s_cbranch_vccnz .LBB73_1968
; %bb.1961:
	v_cvt_f32_f16_e32 v3, v4
	s_mov_b32 s4, 0x43800000
	v_mov_b32_e32 v7, 0x80
	v_and_b32_e32 v6, 0x7fffffff, v3
	v_cmp_gt_u32_e32 vcc, s4, v6
	s_and_saveexec_b64 s[4:5], vcc
	s_cbranch_execz .LBB73_1967
; %bb.1962:
	s_mov_b32 s6, 0x3bffffff
	v_cmp_lt_u32_e32 vcc, s6, v6
	s_mov_b64 s[6:7], 0
                                        ; implicit-def: $vgpr6
	s_and_saveexec_b64 s[8:9], vcc
	s_xor_b64 s[8:9], exec, s[8:9]
	s_cbranch_execz .LBB73_2188
; %bb.1963:
	v_bfe_u32 v6, v3, 20, 1
	s_mov_b32 s11, 0x487ffff
	v_add3_u32 v6, v3, v6, s11
	s_mov_b64 s[6:7], exec
	v_lshrrev_b32_e32 v6, 20, v6
	s_andn2_saveexec_b64 s[8:9], s[8:9]
	s_cbranch_execnz .LBB73_2189
.LBB73_1964:
	s_or_b64 exec, exec, s[8:9]
	v_mov_b32_e32 v7, 0
	s_and_saveexec_b64 s[8:9], s[6:7]
.LBB73_1965:
	v_lshrrev_b32_e32 v3, 24, v3
	s_movk_i32 s6, 0x80
	v_and_or_b32 v7, v3, s6, v6
.LBB73_1966:
	s_or_b64 exec, exec, s[8:9]
.LBB73_1967:
	s_or_b64 exec, exec, s[4:5]
	global_store_byte v[0:1], v7, off
.LBB73_1968:
	s_mov_b64 s[4:5], -1
.LBB73_1969:
	s_mov_b64 s[6:7], 0
.LBB73_1970:
	s_and_b64 vcc, exec, s[6:7]
	s_cbranch_vccz .LBB73_2010
; %bb.1971:
	s_cmp_gt_i32 s10, 22
	s_mov_b64 s[2:3], -1
	s_cbranch_scc0 .LBB73_2003
; %bb.1972:
	s_cmp_lt_i32 s10, 24
	s_cbranch_scc1 .LBB73_1992
; %bb.1973:
	s_cmp_gt_i32 s10, 24
	s_cbranch_scc0 .LBB73_1981
; %bb.1974:
	v_cvt_f32_f16_e32 v3, v4
	s_mov_b32 s2, 0x47800000
	v_mov_b32_e32 v7, 0x80
	v_and_b32_e32 v6, 0x7fffffff, v3
	v_cmp_gt_u32_e32 vcc, s2, v6
	s_and_saveexec_b64 s[2:3], vcc
	s_cbranch_execz .LBB73_1980
; %bb.1975:
	s_mov_b32 s4, 0x37ffffff
	v_cmp_lt_u32_e32 vcc, s4, v6
	s_mov_b64 s[4:5], 0
                                        ; implicit-def: $vgpr6
	s_and_saveexec_b64 s[6:7], vcc
	s_xor_b64 s[6:7], exec, s[6:7]
	s_cbranch_execz .LBB73_2191
; %bb.1976:
	v_bfe_u32 v6, v3, 21, 1
	s_mov_b32 s8, 0x88fffff
	v_add3_u32 v6, v3, v6, s8
	s_mov_b64 s[4:5], exec
	v_lshrrev_b32_e32 v6, 21, v6
	s_andn2_saveexec_b64 s[6:7], s[6:7]
	s_cbranch_execnz .LBB73_2192
.LBB73_1977:
	s_or_b64 exec, exec, s[6:7]
	v_mov_b32_e32 v7, 0
	s_and_saveexec_b64 s[6:7], s[4:5]
.LBB73_1978:
	v_lshrrev_b32_e32 v3, 24, v3
	s_movk_i32 s4, 0x80
	v_and_or_b32 v7, v3, s4, v6
.LBB73_1979:
	s_or_b64 exec, exec, s[6:7]
.LBB73_1980:
	s_or_b64 exec, exec, s[2:3]
	s_mov_b64 s[2:3], 0
	global_store_byte v[0:1], v7, off
.LBB73_1981:
	s_and_b64 vcc, exec, s[2:3]
	s_cbranch_vccz .LBB73_1991
; %bb.1982:
	v_cvt_f32_f16_e32 v3, v4
	s_mov_b32 s2, 0x43f00000
                                        ; implicit-def: $vgpr6
	v_and_b32_e32 v7, 0x7fffffff, v3
	v_cmp_gt_u32_e32 vcc, s2, v7
	s_and_saveexec_b64 s[2:3], vcc
	s_xor_b64 s[2:3], exec, s[2:3]
	s_cbranch_execz .LBB73_1988
; %bb.1983:
	s_mov_b32 s4, 0x3c7fffff
	v_cmp_lt_u32_e32 vcc, s4, v7
                                        ; implicit-def: $vgpr6
	s_and_saveexec_b64 s[4:5], vcc
	s_xor_b64 s[4:5], exec, s[4:5]
; %bb.1984:
	v_bfe_u32 v6, v3, 20, 1
	s_mov_b32 s6, 0x407ffff
	v_add3_u32 v6, v3, v6, s6
	v_lshrrev_b32_e32 v7, 20, v6
	v_and_b32_e32 v6, 0xff00000, v6
	s_mov_b32 s6, 0x7f00000
	v_mov_b32_e32 v8, 0x7e
	v_cmp_ne_u32_e32 vcc, s6, v6
	s_nop 1
	v_cndmask_b32_e32 v6, v8, v7, vcc
; %bb.1985:
	s_andn2_saveexec_b64 s[4:5], s[4:5]
; %bb.1986:
	s_mov_b32 s6, 0x46800000
	v_add_f32_e64 v6, |v3|, s6
; %bb.1987:
	s_or_b64 exec, exec, s[4:5]
                                        ; implicit-def: $vgpr7
.LBB73_1988:
	s_andn2_saveexec_b64 s[2:3], s[2:3]
; %bb.1989:
	s_mov_b32 s4, 0x7f800000
	v_mov_b32_e32 v6, 0x7e
	v_mov_b32_e32 v8, 0x7f
	v_cmp_lt_u32_e32 vcc, s4, v7
	s_nop 1
	v_cndmask_b32_e32 v6, v6, v8, vcc
; %bb.1990:
	s_or_b64 exec, exec, s[2:3]
	v_lshrrev_b32_e32 v3, 24, v3
	s_movk_i32 s2, 0x80
	v_and_or_b32 v3, v3, s2, v6
	global_store_byte v[0:1], v3, off
.LBB73_1991:
	s_mov_b64 s[2:3], 0
.LBB73_1992:
	s_andn2_b64 vcc, exec, s[2:3]
	s_cbranch_vccnz .LBB73_2002
; %bb.1993:
	v_cvt_f32_f16_e32 v3, v4
	s_mov_b32 s2, 0x47800000
                                        ; implicit-def: $vgpr6
	v_and_b32_e32 v7, 0x7fffffff, v3
	v_cmp_gt_u32_e32 vcc, s2, v7
	s_and_saveexec_b64 s[2:3], vcc
	s_xor_b64 s[2:3], exec, s[2:3]
	s_cbranch_execz .LBB73_1999
; %bb.1994:
	s_mov_b32 s4, 0x387fffff
	v_cmp_lt_u32_e32 vcc, s4, v7
                                        ; implicit-def: $vgpr6
	s_and_saveexec_b64 s[4:5], vcc
	s_xor_b64 s[4:5], exec, s[4:5]
; %bb.1995:
	v_bfe_u32 v6, v3, 21, 1
	s_mov_b32 s6, 0x80fffff
	v_add3_u32 v6, v3, v6, s6
	v_lshrrev_b32_e32 v6, 21, v6
; %bb.1996:
	s_andn2_saveexec_b64 s[4:5], s[4:5]
; %bb.1997:
	s_mov_b32 s6, 0x43000000
	v_add_f32_e64 v6, |v3|, s6
; %bb.1998:
	s_or_b64 exec, exec, s[4:5]
                                        ; implicit-def: $vgpr7
.LBB73_1999:
	s_andn2_saveexec_b64 s[2:3], s[2:3]
; %bb.2000:
	s_mov_b32 s4, 0x7f800000
	v_mov_b32_e32 v6, 0x7c
	v_mov_b32_e32 v8, 0x7f
	v_cmp_lt_u32_e32 vcc, s4, v7
	s_nop 1
	v_cndmask_b32_e32 v6, v6, v8, vcc
; %bb.2001:
	s_or_b64 exec, exec, s[2:3]
	v_lshrrev_b32_e32 v3, 24, v3
	s_movk_i32 s2, 0x80
	v_and_or_b32 v3, v3, s2, v6
	global_store_byte v[0:1], v3, off
.LBB73_2002:
	s_mov_b64 s[2:3], 0
	s_mov_b64 s[4:5], -1
.LBB73_2003:
	s_andn2_b64 vcc, exec, s[2:3]
	s_mov_b64 s[2:3], 0
	s_cbranch_vccnz .LBB73_2010
; %bb.2004:
	s_cmp_gt_i32 s10, 14
	s_mov_b64 s[6:7], -1
	s_cbranch_scc0 .LBB73_2008
; %bb.2005:
	s_cmp_eq_u32 s10, 15
	s_mov_b64 s[0:1], -1
	s_cbranch_scc0 .LBB73_2007
; %bb.2006:
	v_cvt_f32_f16_e32 v3, v4
	s_movk_i32 s0, 0x7fff
	v_cmp_o_f16_e32 vcc, v4, v4
	v_mov_b32_e32 v6, 0x7fc0
	v_bfe_u32 v7, v3, 16, 1
	v_add3_u32 v3, v3, v7, s0
	v_cndmask_b32_sdwa v3, v6, v3, vcc dst_sel:DWORD dst_unused:UNUSED_PAD src0_sel:DWORD src1_sel:WORD_1
	global_store_short v[0:1], v3, off
	s_mov_b64 s[0:1], 0
	s_mov_b64 s[4:5], -1
.LBB73_2007:
	s_mov_b64 s[6:7], 0
.LBB73_2008:
	s_and_b64 vcc, exec, s[6:7]
	s_cbranch_vccz .LBB73_2010
; %bb.2009:
	s_cmp_lg_u32 s10, 11
	s_mov_b64 s[2:3], -1
	s_cselect_b64 s[0:1], -1, 0
.LBB73_2010:
	s_and_b64 vcc, exec, s[0:1]
	s_cbranch_vccnz .LBB73_2190
; %bb.2011:
	s_andn2_b64 vcc, exec, s[2:3]
	s_cbranch_vccnz .LBB73_2013
.LBB73_2012:
	v_and_b32_e32 v3, 0x7fff7fff, v5
	v_cmp_ne_u32_e32 vcc, 0, v3
	s_mov_b64 s[4:5], -1
	s_nop 0
	v_cndmask_b32_e64 v3, 0, 1, vcc
	global_store_byte v[0:1], v3, off
.LBB73_2013:
	s_mov_b64 s[0:1], 0
	s_branch .LBB73_2015
.LBB73_2014:
	s_mov_b64 s[0:1], -1
	s_mov_b64 s[4:5], 0
.LBB73_2015:
	s_and_b64 vcc, exec, s[0:1]
	s_cbranch_vccz .LBB73_2054
; %bb.2016:
	s_and_b32 s2, 0xffff, s22
	s_cmp_lt_i32 s2, 5
	s_mov_b64 s[0:1], -1
	s_cbranch_scc1 .LBB73_2037
; %bb.2017:
	s_cmp_lt_i32 s2, 8
	s_cbranch_scc1 .LBB73_2027
; %bb.2018:
	s_cmp_lt_i32 s2, 9
	s_cbranch_scc1 .LBB73_2024
; %bb.2019:
	v_cvt_f32_f16_e32 v3, v2
	s_cmp_gt_i32 s2, 9
	s_cbranch_scc0 .LBB73_2021
; %bb.2020:
	v_cvt_f32_f16_e32 v2, v4
	v_cvt_f64_f32_e32 v[8:9], v3
	s_mov_b64 s[0:1], 0
	v_cvt_f64_f32_e32 v[6:7], v2
	global_store_dwordx4 v[0:1], v[6:9], off
.LBB73_2021:
	s_andn2_b64 vcc, exec, s[0:1]
	s_cbranch_vccnz .LBB73_2023
; %bb.2022:
	v_cvt_f32_f16_e32 v2, v4
	global_store_dwordx2 v[0:1], v[2:3], off
.LBB73_2023:
	s_mov_b64 s[0:1], 0
.LBB73_2024:
	s_andn2_b64 vcc, exec, s[0:1]
	s_cbranch_vccnz .LBB73_2026
; %bb.2025:
	global_store_dword v[0:1], v5, off
.LBB73_2026:
	s_mov_b64 s[0:1], 0
.LBB73_2027:
	s_andn2_b64 vcc, exec, s[0:1]
	s_cbranch_vccnz .LBB73_2036
; %bb.2028:
	s_cmp_lt_i32 s2, 6
	s_mov_b64 s[0:1], -1
	s_cbranch_scc1 .LBB73_2034
; %bb.2029:
	s_cmp_gt_i32 s2, 6
	s_cbranch_scc0 .LBB73_2031
; %bb.2030:
	v_cvt_f32_f16_e32 v2, v4
	s_mov_b64 s[0:1], 0
	v_cvt_f64_f32_e32 v[2:3], v2
	global_store_dwordx2 v[0:1], v[2:3], off
.LBB73_2031:
	s_andn2_b64 vcc, exec, s[0:1]
	s_cbranch_vccnz .LBB73_2033
; %bb.2032:
	v_cvt_f32_f16_e32 v2, v4
	global_store_dword v[0:1], v2, off
.LBB73_2033:
	s_mov_b64 s[0:1], 0
.LBB73_2034:
	s_andn2_b64 vcc, exec, s[0:1]
	s_cbranch_vccnz .LBB73_2036
; %bb.2035:
	global_store_short v[0:1], v4, off
.LBB73_2036:
	s_mov_b64 s[0:1], 0
.LBB73_2037:
	s_andn2_b64 vcc, exec, s[0:1]
	s_cbranch_vccnz .LBB73_2053
; %bb.2038:
	s_cmp_lt_i32 s2, 2
	s_mov_b64 s[0:1], -1
	s_cbranch_scc1 .LBB73_2048
; %bb.2039:
	s_cmp_lt_i32 s2, 3
	s_cbranch_scc1 .LBB73_2045
; %bb.2040:
	s_cmp_gt_i32 s2, 3
	s_cbranch_scc0 .LBB73_2042
; %bb.2041:
	v_cvt_f32_f16_e32 v2, v4
	s_mov_b64 s[0:1], 0
	v_cvt_i32_f32_e32 v2, v2
	v_ashrrev_i32_e32 v3, 31, v2
	global_store_dwordx2 v[0:1], v[2:3], off
.LBB73_2042:
	s_andn2_b64 vcc, exec, s[0:1]
	s_cbranch_vccnz .LBB73_2044
; %bb.2043:
	v_cvt_f32_f16_e32 v2, v4
	v_cvt_i32_f32_e32 v2, v2
	global_store_dword v[0:1], v2, off
.LBB73_2044:
	s_mov_b64 s[0:1], 0
.LBB73_2045:
	s_andn2_b64 vcc, exec, s[0:1]
	s_cbranch_vccnz .LBB73_2047
; %bb.2046:
	v_cvt_i16_f16_e32 v2, v4
	global_store_short v[0:1], v2, off
.LBB73_2047:
	s_mov_b64 s[0:1], 0
.LBB73_2048:
	s_andn2_b64 vcc, exec, s[0:1]
	s_cbranch_vccnz .LBB73_2053
; %bb.2049:
	s_cmp_gt_i32 s2, 0
	s_mov_b64 s[0:1], -1
	s_cbranch_scc0 .LBB73_2051
; %bb.2050:
	v_cvt_i16_f16_e32 v2, v4
	global_store_byte v[0:1], v2, off
	s_mov_b64 s[0:1], 0
.LBB73_2051:
	s_andn2_b64 vcc, exec, s[0:1]
	s_cbranch_vccnz .LBB73_2053
; %bb.2052:
	v_cvt_f32_f16_e32 v2, v4
	v_cvt_i32_f32_e32 v2, v2
	global_store_byte v[0:1], v2, off
.LBB73_2053:
	s_mov_b64 s[4:5], -1
.LBB73_2054:
	s_andn2_b64 vcc, exec, s[4:5]
	s_cbranch_vccnz .LBB73_2131
; %bb.2055:
	v_cvt_f32_f16_e32 v0, v30
	v_cvt_f32_f16_e32 v1, v32
	s_getpc_b64 s[0:1]
	s_add_u32 s0, s0, _ZN16c10_complex_math3expIfEEN3c107complexIT_EERKS4_@rel32@lo+4
	s_addc_u32 s1, s1, _ZN16c10_complex_math3expIfEEN3c107complexIT_EERKS4_@rel32@hi+12
	s_swappc_b64 s[30:31], s[0:1]
	v_cvt_f16_f32_e32 v3, v1
	v_cvt_f16_f32_e32 v2, v0
	v_mov_b32_e32 v23, 0
	s_cmp_lt_i32 s22, 11
	v_lshlrev_b32_e32 v4, 16, v3
	v_lshl_add_u64 v[0:1], s[20:21], 0, v[22:23]
	s_cbranch_scc1 .LBB73_2176
; %bb.2056:
	s_and_b32 s10, 0xffff, s22
	s_mov_b64 s[4:5], -1
	s_mov_b64 s[2:3], 0
	s_cmp_gt_i32 s10, 25
	s_mov_b64 s[0:1], 0
	s_cbranch_scc0 .LBB73_2089
; %bb.2057:
	s_cmp_gt_i32 s10, 28
	s_cbranch_scc0 .LBB73_2073
; %bb.2058:
	s_cmp_gt_i32 s10, 43
	s_cbranch_scc0 .LBB73_2069
; %bb.2059:
	s_cmp_gt_i32 s10, 45
	s_cbranch_scc0 .LBB73_2063
; %bb.2060:
	s_cmp_eq_u32 s10, 46
	s_mov_b64 s[0:1], -1
	s_cbranch_scc0 .LBB73_2062
; %bb.2061:
	v_cvt_f32_f16_e32 v6, v3
	v_cvt_f32_f16_e32 v5, v2
	s_movk_i32 s0, 0x7fff
	v_cmp_o_f16_e32 vcc, v3, v3
	v_bfe_u32 v8, v6, 16, 1
	v_bfe_u32 v7, v5, 16, 1
	v_add3_u32 v6, v6, v8, s0
	v_add3_u32 v5, v5, v7, s0
	v_and_b32_e32 v6, 0xffff0000, v6
	v_mov_b32_e32 v7, 0x7fc00000
	v_cndmask_b32_e32 v6, v7, v6, vcc
	v_cmp_o_f16_e32 vcc, v2, v2
	v_mov_b32_e32 v7, 0x7fc0
	s_mov_b64 s[0:1], 0
	v_cndmask_b32_sdwa v5, v7, v5, vcc dst_sel:DWORD dst_unused:UNUSED_PAD src0_sel:DWORD src1_sel:WORD_1
	v_or_b32_e32 v5, v6, v5
	global_store_dword v[0:1], v5, off
.LBB73_2062:
	s_mov_b64 s[4:5], 0
.LBB73_2063:
	s_and_b64 vcc, exec, s[4:5]
	s_cbranch_vccz .LBB73_2068
; %bb.2064:
	s_cmp_eq_u32 s10, 44
	s_mov_b64 s[0:1], -1
	s_cbranch_scc0 .LBB73_2068
; %bb.2065:
	v_cvt_f32_f16_e32 v5, v2
	s_movk_i32 s0, 0xff
	v_mov_b32_e32 v7, 0xff
	v_bfe_u32 v6, v5, 23, 8
	v_cmp_ne_u32_e32 vcc, s0, v6
	s_and_saveexec_b64 s[4:5], vcc
; %bb.2066:
	s_mov_b32 s0, 0x3fffff
	v_lshrrev_b32_e32 v7, 23, v5
	v_and_b32_e32 v8, 0x400000, v5
	v_and_or_b32 v5, v5, s0, v6
	v_cmp_ne_u32_e32 vcc, 0, v8
	v_cmp_ne_u32_e64 s[0:1], 0, v5
	s_and_b64 s[0:1], vcc, s[0:1]
	s_nop 0
	v_cndmask_b32_e64 v5, 0, 1, s[0:1]
	v_add_u32_e32 v7, v7, v5
; %bb.2067:
	s_or_b64 exec, exec, s[4:5]
	s_mov_b64 s[0:1], 0
	global_store_byte v[0:1], v7, off
.LBB73_2068:
	s_mov_b64 s[4:5], 0
.LBB73_2069:
	s_and_b64 vcc, exec, s[4:5]
	s_cbranch_vccz .LBB73_2072
; %bb.2070:
	s_cmp_eq_u32 s10, 29
	s_mov_b64 s[0:1], -1
	s_cbranch_scc0 .LBB73_2072
; %bb.2071:
	v_cvt_f32_f16_e32 v5, v2
	v_mov_b32_e32 v7, 0
	s_mov_b64 s[0:1], 0
	v_cvt_u32_f32_e32 v6, v5
	global_store_dwordx2 v[0:1], v[6:7], off
.LBB73_2072:
	s_mov_b64 s[4:5], 0
.LBB73_2073:
	s_and_b64 vcc, exec, s[4:5]
	s_cbranch_vccz .LBB73_2088
; %bb.2074:
	s_cmp_lt_i32 s10, 27
	s_mov_b64 s[4:5], -1
	s_cbranch_scc1 .LBB73_2080
; %bb.2075:
	s_cmp_gt_i32 s10, 27
	s_cbranch_scc0 .LBB73_2077
; %bb.2076:
	v_cvt_f32_f16_e32 v5, v2
	s_mov_b64 s[4:5], 0
	v_cvt_u32_f32_e32 v5, v5
	global_store_dword v[0:1], v5, off
.LBB73_2077:
	s_andn2_b64 vcc, exec, s[4:5]
	s_cbranch_vccnz .LBB73_2079
; %bb.2078:
	v_cvt_u16_f16_e32 v5, v2
	global_store_short v[0:1], v5, off
.LBB73_2079:
	s_mov_b64 s[4:5], 0
.LBB73_2080:
	s_andn2_b64 vcc, exec, s[4:5]
	s_cbranch_vccnz .LBB73_2088
; %bb.2081:
	v_cvt_f32_f16_e32 v5, v2
	s_mov_b32 s4, 0x43800000
	v_mov_b32_e32 v7, 0x80
	v_and_b32_e32 v6, 0x7fffffff, v5
	v_cmp_gt_u32_e32 vcc, s4, v6
	s_and_saveexec_b64 s[4:5], vcc
	s_cbranch_execz .LBB73_2087
; %bb.2082:
	s_mov_b32 s6, 0x3bffffff
	v_cmp_lt_u32_e32 vcc, s6, v6
	s_mov_b64 s[6:7], 0
                                        ; implicit-def: $vgpr6
	s_and_saveexec_b64 s[8:9], vcc
	s_xor_b64 s[8:9], exec, s[8:9]
	s_cbranch_execz .LBB73_2193
; %bb.2083:
	v_bfe_u32 v6, v5, 20, 1
	s_mov_b32 s11, 0x487ffff
	v_add3_u32 v6, v5, v6, s11
	s_mov_b64 s[6:7], exec
	v_lshrrev_b32_e32 v6, 20, v6
	s_andn2_saveexec_b64 s[8:9], s[8:9]
	s_cbranch_execnz .LBB73_2194
.LBB73_2084:
	s_or_b64 exec, exec, s[8:9]
	v_mov_b32_e32 v7, 0
	s_and_saveexec_b64 s[8:9], s[6:7]
.LBB73_2085:
	v_lshrrev_b32_e32 v5, 24, v5
	s_movk_i32 s6, 0x80
	v_and_or_b32 v7, v5, s6, v6
.LBB73_2086:
	s_or_b64 exec, exec, s[8:9]
.LBB73_2087:
	s_or_b64 exec, exec, s[4:5]
	global_store_byte v[0:1], v7, off
.LBB73_2088:
	s_mov_b64 s[4:5], 0
.LBB73_2089:
	s_and_b64 vcc, exec, s[4:5]
	s_cbranch_vccz .LBB73_2129
; %bb.2090:
	s_cmp_gt_i32 s10, 22
	s_mov_b64 s[2:3], -1
	s_cbranch_scc0 .LBB73_2122
; %bb.2091:
	s_cmp_lt_i32 s10, 24
	s_cbranch_scc1 .LBB73_2111
; %bb.2092:
	s_cmp_gt_i32 s10, 24
	s_cbranch_scc0 .LBB73_2100
; %bb.2093:
	v_cvt_f32_f16_e32 v5, v2
	s_mov_b32 s2, 0x47800000
	v_mov_b32_e32 v7, 0x80
	v_and_b32_e32 v6, 0x7fffffff, v5
	v_cmp_gt_u32_e32 vcc, s2, v6
	s_and_saveexec_b64 s[2:3], vcc
	s_cbranch_execz .LBB73_2099
; %bb.2094:
	s_mov_b32 s4, 0x37ffffff
	v_cmp_lt_u32_e32 vcc, s4, v6
	s_mov_b64 s[4:5], 0
                                        ; implicit-def: $vgpr6
	s_and_saveexec_b64 s[6:7], vcc
	s_xor_b64 s[6:7], exec, s[6:7]
	s_cbranch_execz .LBB73_2196
; %bb.2095:
	v_bfe_u32 v6, v5, 21, 1
	s_mov_b32 s8, 0x88fffff
	v_add3_u32 v6, v5, v6, s8
	s_mov_b64 s[4:5], exec
	v_lshrrev_b32_e32 v6, 21, v6
	s_andn2_saveexec_b64 s[6:7], s[6:7]
	s_cbranch_execnz .LBB73_2197
.LBB73_2096:
	s_or_b64 exec, exec, s[6:7]
	v_mov_b32_e32 v7, 0
	s_and_saveexec_b64 s[6:7], s[4:5]
.LBB73_2097:
	v_lshrrev_b32_e32 v5, 24, v5
	s_movk_i32 s4, 0x80
	v_and_or_b32 v7, v5, s4, v6
.LBB73_2098:
	s_or_b64 exec, exec, s[6:7]
.LBB73_2099:
	s_or_b64 exec, exec, s[2:3]
	s_mov_b64 s[2:3], 0
	global_store_byte v[0:1], v7, off
.LBB73_2100:
	s_and_b64 vcc, exec, s[2:3]
	s_cbranch_vccz .LBB73_2110
; %bb.2101:
	v_cvt_f32_f16_e32 v5, v2
	s_mov_b32 s2, 0x43f00000
                                        ; implicit-def: $vgpr6
	v_and_b32_e32 v7, 0x7fffffff, v5
	v_cmp_gt_u32_e32 vcc, s2, v7
	s_and_saveexec_b64 s[2:3], vcc
	s_xor_b64 s[2:3], exec, s[2:3]
	s_cbranch_execz .LBB73_2107
; %bb.2102:
	s_mov_b32 s4, 0x3c7fffff
	v_cmp_lt_u32_e32 vcc, s4, v7
                                        ; implicit-def: $vgpr6
	s_and_saveexec_b64 s[4:5], vcc
	s_xor_b64 s[4:5], exec, s[4:5]
; %bb.2103:
	v_bfe_u32 v6, v5, 20, 1
	s_mov_b32 s6, 0x407ffff
	v_add3_u32 v6, v5, v6, s6
	v_lshrrev_b32_e32 v7, 20, v6
	v_and_b32_e32 v6, 0xff00000, v6
	s_mov_b32 s6, 0x7f00000
	v_mov_b32_e32 v8, 0x7e
	v_cmp_ne_u32_e32 vcc, s6, v6
	s_nop 1
	v_cndmask_b32_e32 v6, v8, v7, vcc
; %bb.2104:
	s_andn2_saveexec_b64 s[4:5], s[4:5]
; %bb.2105:
	s_mov_b32 s6, 0x46800000
	v_add_f32_e64 v6, |v5|, s6
; %bb.2106:
	s_or_b64 exec, exec, s[4:5]
                                        ; implicit-def: $vgpr7
.LBB73_2107:
	s_andn2_saveexec_b64 s[2:3], s[2:3]
; %bb.2108:
	s_mov_b32 s4, 0x7f800000
	v_mov_b32_e32 v6, 0x7e
	v_mov_b32_e32 v8, 0x7f
	v_cmp_lt_u32_e32 vcc, s4, v7
	s_nop 1
	v_cndmask_b32_e32 v6, v6, v8, vcc
; %bb.2109:
	s_or_b64 exec, exec, s[2:3]
	v_lshrrev_b32_e32 v5, 24, v5
	s_movk_i32 s2, 0x80
	v_and_or_b32 v5, v5, s2, v6
	global_store_byte v[0:1], v5, off
.LBB73_2110:
	s_mov_b64 s[2:3], 0
.LBB73_2111:
	s_andn2_b64 vcc, exec, s[2:3]
	s_cbranch_vccnz .LBB73_2121
; %bb.2112:
	v_cvt_f32_f16_e32 v5, v2
	s_mov_b32 s2, 0x47800000
                                        ; implicit-def: $vgpr6
	v_and_b32_e32 v7, 0x7fffffff, v5
	v_cmp_gt_u32_e32 vcc, s2, v7
	s_and_saveexec_b64 s[2:3], vcc
	s_xor_b64 s[2:3], exec, s[2:3]
	s_cbranch_execz .LBB73_2118
; %bb.2113:
	s_mov_b32 s4, 0x387fffff
	v_cmp_lt_u32_e32 vcc, s4, v7
                                        ; implicit-def: $vgpr6
	s_and_saveexec_b64 s[4:5], vcc
	s_xor_b64 s[4:5], exec, s[4:5]
; %bb.2114:
	v_bfe_u32 v6, v5, 21, 1
	s_mov_b32 s6, 0x80fffff
	v_add3_u32 v6, v5, v6, s6
	v_lshrrev_b32_e32 v6, 21, v6
; %bb.2115:
	s_andn2_saveexec_b64 s[4:5], s[4:5]
; %bb.2116:
	s_mov_b32 s6, 0x43000000
	v_add_f32_e64 v6, |v5|, s6
; %bb.2117:
	s_or_b64 exec, exec, s[4:5]
                                        ; implicit-def: $vgpr7
.LBB73_2118:
	s_andn2_saveexec_b64 s[2:3], s[2:3]
; %bb.2119:
	s_mov_b32 s4, 0x7f800000
	v_mov_b32_e32 v6, 0x7c
	v_mov_b32_e32 v8, 0x7f
	v_cmp_lt_u32_e32 vcc, s4, v7
	s_nop 1
	v_cndmask_b32_e32 v6, v6, v8, vcc
; %bb.2120:
	s_or_b64 exec, exec, s[2:3]
	v_lshrrev_b32_e32 v5, 24, v5
	s_movk_i32 s2, 0x80
	v_and_or_b32 v5, v5, s2, v6
	global_store_byte v[0:1], v5, off
.LBB73_2121:
	s_mov_b64 s[2:3], 0
.LBB73_2122:
	s_andn2_b64 vcc, exec, s[2:3]
	s_mov_b64 s[2:3], 0
	s_cbranch_vccnz .LBB73_2129
; %bb.2123:
	s_cmp_gt_i32 s10, 14
	s_mov_b64 s[4:5], -1
	s_cbranch_scc0 .LBB73_2127
; %bb.2124:
	s_cmp_eq_u32 s10, 15
	s_mov_b64 s[0:1], -1
	s_cbranch_scc0 .LBB73_2126
; %bb.2125:
	v_cvt_f32_f16_e32 v5, v2
	s_movk_i32 s0, 0x7fff
	v_cmp_o_f16_e32 vcc, v2, v2
	v_mov_b32_e32 v6, 0x7fc0
	v_bfe_u32 v7, v5, 16, 1
	v_add3_u32 v5, v5, v7, s0
	v_cndmask_b32_sdwa v5, v6, v5, vcc dst_sel:DWORD dst_unused:UNUSED_PAD src0_sel:DWORD src1_sel:WORD_1
	global_store_short v[0:1], v5, off
	s_mov_b64 s[0:1], 0
.LBB73_2126:
	s_mov_b64 s[4:5], 0
.LBB73_2127:
	s_and_b64 vcc, exec, s[4:5]
	s_cbranch_vccz .LBB73_2129
; %bb.2128:
	s_cmp_lg_u32 s10, 11
	s_mov_b64 s[2:3], -1
	s_cselect_b64 s[0:1], -1, 0
.LBB73_2129:
	s_and_b64 vcc, exec, s[0:1]
	s_cbranch_vccnz .LBB73_2195
.LBB73_2130:
	s_mov_b64 s[0:1], 0
	s_branch .LBB73_2177
.LBB73_2131:
	s_mov_b64 s[0:1], 0
	s_mov_b64 s[2:3], 0
                                        ; implicit-def: $vgpr0_vgpr1
                                        ; implicit-def: $sgpr22
                                        ; implicit-def: $vgpr4
                                        ; implicit-def: $vgpr3
                                        ; implicit-def: $vgpr2
.LBB73_2132:
	s_and_b64 s[40:41], s[2:3], exec
	s_andn2_b64 s[2:3], s[28:29], exec
	s_and_b64 s[4:5], s[18:19], exec
	s_and_b64 s[0:1], s[0:1], exec
	s_or_b64 s[28:29], s[2:3], s[4:5]
.LBB73_2133:
	s_or_b64 exec, exec, s[36:37]
	s_and_saveexec_b64 s[2:3], s[28:29]
	s_cbranch_execz .LBB73_2136
; %bb.2134:
	; divergent unreachable
	s_or_b64 exec, exec, s[2:3]
	s_and_saveexec_b64 s[2:3], s[40:41]
	s_xor_b64 s[2:3], exec, s[2:3]
	s_cbranch_execnz .LBB73_2137
.LBB73_2135:
	s_or_b64 exec, exec, s[2:3]
	s_and_saveexec_b64 s[2:3], s[0:1]
	s_cbranch_execnz .LBB73_2138
	s_branch .LBB73_2175
.LBB73_2136:
	s_or_b64 exec, exec, s[2:3]
	s_and_saveexec_b64 s[2:3], s[40:41]
	s_xor_b64 s[2:3], exec, s[2:3]
	s_cbranch_execz .LBB73_2135
.LBB73_2137:
	v_and_b32_e32 v5, 0x7fff7fff, v4
	v_cmp_ne_u32_e32 vcc, 0, v5
	s_nop 1
	v_cndmask_b32_e64 v5, 0, 1, vcc
	global_store_byte v[0:1], v5, off
	s_or_b64 exec, exec, s[2:3]
	s_and_saveexec_b64 s[2:3], s[0:1]
	s_cbranch_execz .LBB73_2175
.LBB73_2138:
	s_sext_i32_i16 s2, s22
	s_cmp_lt_i32 s2, 5
	s_mov_b64 s[0:1], -1
	s_cbranch_scc1 .LBB73_2159
; %bb.2139:
	s_cmp_lt_i32 s2, 8
	s_cbranch_scc1 .LBB73_2149
; %bb.2140:
	s_cmp_lt_i32 s2, 9
	s_cbranch_scc1 .LBB73_2146
; %bb.2141:
	s_cmp_gt_i32 s2, 9
	s_cbranch_scc0 .LBB73_2143
; %bb.2142:
	s_waitcnt vmcnt(0)
	v_cvt_f32_f16_e32 v5, v2
	v_cvt_f32_f16_e32 v8, v3
	s_mov_b64 s[0:1], 0
	v_cvt_f64_f32_e32 v[6:7], v5
	v_cvt_f64_f32_e32 v[8:9], v8
	global_store_dwordx4 v[0:1], v[6:9], off
.LBB73_2143:
	s_andn2_b64 vcc, exec, s[0:1]
	s_cbranch_vccnz .LBB73_2145
; %bb.2144:
	s_waitcnt vmcnt(0)
	v_cvt_f32_f16_e32 v6, v2
	v_cvt_f32_f16_e32 v7, v3
	global_store_dwordx2 v[0:1], v[6:7], off
.LBB73_2145:
	s_mov_b64 s[0:1], 0
.LBB73_2146:
	s_andn2_b64 vcc, exec, s[0:1]
	s_cbranch_vccnz .LBB73_2148
; %bb.2147:
	global_store_dword v[0:1], v4, off
.LBB73_2148:
	s_mov_b64 s[0:1], 0
.LBB73_2149:
	s_andn2_b64 vcc, exec, s[0:1]
	s_cbranch_vccnz .LBB73_2158
; %bb.2150:
	s_sext_i32_i16 s2, s22
	s_cmp_lt_i32 s2, 6
	s_mov_b64 s[0:1], -1
	s_cbranch_scc1 .LBB73_2156
; %bb.2151:
	s_cmp_gt_i32 s2, 6
	s_cbranch_scc0 .LBB73_2153
; %bb.2152:
	s_waitcnt vmcnt(0)
	v_cvt_f32_f16_e32 v3, v2
	s_mov_b64 s[0:1], 0
	v_cvt_f64_f32_e32 v[4:5], v3
	global_store_dwordx2 v[0:1], v[4:5], off
.LBB73_2153:
	s_andn2_b64 vcc, exec, s[0:1]
	s_cbranch_vccnz .LBB73_2155
; %bb.2154:
	s_waitcnt vmcnt(0)
	v_cvt_f32_f16_e32 v3, v2
	global_store_dword v[0:1], v3, off
.LBB73_2155:
	s_mov_b64 s[0:1], 0
.LBB73_2156:
	s_andn2_b64 vcc, exec, s[0:1]
	s_cbranch_vccnz .LBB73_2158
; %bb.2157:
	s_waitcnt vmcnt(0)
	global_store_short v[0:1], v2, off
.LBB73_2158:
	s_mov_b64 s[0:1], 0
.LBB73_2159:
	s_andn2_b64 vcc, exec, s[0:1]
	s_cbranch_vccnz .LBB73_2175
; %bb.2160:
	s_sext_i32_i16 s2, s22
	s_cmp_lt_i32 s2, 2
	s_mov_b64 s[0:1], -1
	s_cbranch_scc1 .LBB73_2170
; %bb.2161:
	s_cmp_lt_i32 s2, 3
	s_cbranch_scc1 .LBB73_2167
; %bb.2162:
	s_cmp_gt_i32 s2, 3
	s_cbranch_scc0 .LBB73_2164
; %bb.2163:
	s_waitcnt vmcnt(0)
	v_cvt_f32_f16_e32 v3, v2
	s_mov_b64 s[0:1], 0
	v_cvt_i32_f32_e32 v4, v3
	v_ashrrev_i32_e32 v5, 31, v4
	global_store_dwordx2 v[0:1], v[4:5], off
.LBB73_2164:
	s_andn2_b64 vcc, exec, s[0:1]
	s_cbranch_vccnz .LBB73_2166
; %bb.2165:
	s_waitcnt vmcnt(0)
	v_cvt_f32_f16_e32 v3, v2
	v_cvt_i32_f32_e32 v3, v3
	global_store_dword v[0:1], v3, off
.LBB73_2166:
	s_mov_b64 s[0:1], 0
.LBB73_2167:
	s_andn2_b64 vcc, exec, s[0:1]
	s_cbranch_vccnz .LBB73_2169
; %bb.2168:
	s_waitcnt vmcnt(0)
	v_cvt_i16_f16_e32 v3, v2
	global_store_short v[0:1], v3, off
.LBB73_2169:
	s_mov_b64 s[0:1], 0
.LBB73_2170:
	s_andn2_b64 vcc, exec, s[0:1]
	s_cbranch_vccnz .LBB73_2175
; %bb.2171:
	s_sext_i32_i16 s0, s22
	s_cmp_gt_i32 s0, 0
	s_mov_b64 s[0:1], -1
	s_cbranch_scc0 .LBB73_2173
; %bb.2172:
	s_waitcnt vmcnt(0)
	v_cvt_i16_f16_e32 v3, v2
	global_store_byte v[0:1], v3, off
	s_mov_b64 s[0:1], 0
.LBB73_2173:
	s_andn2_b64 vcc, exec, s[0:1]
	s_cbranch_vccnz .LBB73_2175
; %bb.2174:
	s_waitcnt vmcnt(0)
	v_cvt_f32_f16_e32 v2, v2
	v_cvt_i32_f32_e32 v2, v2
	global_store_byte v[0:1], v2, off
	s_endpgm
.LBB73_2175:
	s_endpgm
.LBB73_2176:
	s_mov_b64 s[2:3], 0
	s_mov_b64 s[0:1], -1
.LBB73_2177:
	v_or_b32_e32 v4, v4, v2
	s_branch .LBB73_2132
.LBB73_2178:
	s_andn2_saveexec_b64 s[8:9], s[8:9]
	s_cbranch_execz .LBB73_1726
.LBB73_2179:
	s_mov_b32 s11, 0x46000000
	v_add_f32_e64 v6, |v3|, s11
	v_and_b32_e32 v6, 0xff, v6
	v_cmp_ne_u32_e32 vcc, 0, v6
	s_andn2_b64 s[6:7], s[6:7], exec
	s_and_b64 s[12:13], vcc, exec
	s_or_b64 s[6:7], s[6:7], s[12:13]
	s_or_b64 exec, exec, s[8:9]
	v_mov_b32_e32 v7, 0
	s_and_saveexec_b64 s[8:9], s[6:7]
	s_cbranch_execnz .LBB73_1727
	s_branch .LBB73_1728
.LBB73_2180:
	s_trap 2
	s_or_b64 s[18:19], s[18:19], exec
	s_cbranch_execz .LBB73_1774
	s_branch .LBB73_1775
.LBB73_2181:
	s_andn2_saveexec_b64 s[6:7], s[6:7]
	s_cbranch_execz .LBB73_1739
.LBB73_2182:
	s_mov_b32 s8, 0x42800000
	v_add_f32_e64 v6, |v3|, s8
	v_and_b32_e32 v6, 0xff, v6
	v_cmp_ne_u32_e32 vcc, 0, v6
	s_andn2_b64 s[4:5], s[4:5], exec
	s_and_b64 s[8:9], vcc, exec
	s_or_b64 s[4:5], s[4:5], s[8:9]
	s_or_b64 exec, exec, s[6:7]
	v_mov_b32_e32 v7, 0
	s_and_saveexec_b64 s[6:7], s[4:5]
	s_cbranch_execnz .LBB73_1740
	s_branch .LBB73_1741
.LBB73_2183:
	s_andn2_saveexec_b64 s[8:9], s[8:9]
	s_cbranch_execz .LBB73_1845
.LBB73_2184:
	s_mov_b32 s11, 0x46000000
	v_add_f32_e64 v6, |v5|, s11
	v_and_b32_e32 v6, 0xff, v6
	v_cmp_ne_u32_e32 vcc, 0, v6
	s_andn2_b64 s[6:7], s[6:7], exec
	s_and_b64 s[12:13], vcc, exec
	s_or_b64 s[6:7], s[6:7], s[12:13]
	s_or_b64 exec, exec, s[8:9]
	v_mov_b32_e32 v7, 0
	s_and_saveexec_b64 s[8:9], s[6:7]
	s_cbranch_execnz .LBB73_1846
	s_branch .LBB73_1847
.LBB73_2185:
	s_trap 2
	s_or_b64 s[18:19], s[18:19], exec
	s_cbranch_execz .LBB73_1893
	s_branch .LBB73_1894
.LBB73_2186:
	s_andn2_saveexec_b64 s[6:7], s[6:7]
	s_cbranch_execz .LBB73_1858
.LBB73_2187:
	s_mov_b32 s8, 0x42800000
	v_add_f32_e64 v6, |v5|, s8
	v_and_b32_e32 v6, 0xff, v6
	v_cmp_ne_u32_e32 vcc, 0, v6
	s_andn2_b64 s[4:5], s[4:5], exec
	s_and_b64 s[8:9], vcc, exec
	s_or_b64 s[4:5], s[4:5], s[8:9]
	s_or_b64 exec, exec, s[6:7]
	v_mov_b32_e32 v7, 0
	s_and_saveexec_b64 s[6:7], s[4:5]
	s_cbranch_execnz .LBB73_1859
	s_branch .LBB73_1860
.LBB73_2188:
	s_andn2_saveexec_b64 s[8:9], s[8:9]
	s_cbranch_execz .LBB73_1964
.LBB73_2189:
	s_mov_b32 s11, 0x46000000
	v_add_f32_e64 v6, |v3|, s11
	v_and_b32_e32 v6, 0xff, v6
	v_cmp_ne_u32_e32 vcc, 0, v6
	s_andn2_b64 s[6:7], s[6:7], exec
	s_and_b64 s[12:13], vcc, exec
	s_or_b64 s[6:7], s[6:7], s[12:13]
	s_or_b64 exec, exec, s[8:9]
	v_mov_b32_e32 v7, 0
	s_and_saveexec_b64 s[8:9], s[6:7]
	s_cbranch_execnz .LBB73_1965
	s_branch .LBB73_1966
.LBB73_2190:
	s_trap 2
	s_or_b64 s[18:19], s[18:19], exec
	s_cbranch_execz .LBB73_2012
	s_branch .LBB73_2013
.LBB73_2191:
	s_andn2_saveexec_b64 s[6:7], s[6:7]
	s_cbranch_execz .LBB73_1977
.LBB73_2192:
	s_mov_b32 s8, 0x42800000
	v_add_f32_e64 v6, |v3|, s8
	v_and_b32_e32 v6, 0xff, v6
	v_cmp_ne_u32_e32 vcc, 0, v6
	s_andn2_b64 s[4:5], s[4:5], exec
	s_and_b64 s[8:9], vcc, exec
	s_or_b64 s[4:5], s[4:5], s[8:9]
	s_or_b64 exec, exec, s[6:7]
	v_mov_b32_e32 v7, 0
	s_and_saveexec_b64 s[6:7], s[4:5]
	s_cbranch_execnz .LBB73_1978
	s_branch .LBB73_1979
.LBB73_2193:
	s_andn2_saveexec_b64 s[8:9], s[8:9]
	s_cbranch_execz .LBB73_2084
.LBB73_2194:
	s_mov_b32 s11, 0x46000000
	v_add_f32_e64 v6, |v5|, s11
	v_and_b32_e32 v6, 0xff, v6
	v_cmp_ne_u32_e32 vcc, 0, v6
	s_andn2_b64 s[6:7], s[6:7], exec
	s_and_b64 s[12:13], vcc, exec
	s_or_b64 s[6:7], s[6:7], s[12:13]
	s_or_b64 exec, exec, s[8:9]
	v_mov_b32_e32 v7, 0
	s_and_saveexec_b64 s[8:9], s[6:7]
	s_cbranch_execnz .LBB73_2085
	s_branch .LBB73_2086
.LBB73_2195:
	s_mov_b64 s[2:3], 0
	s_or_b64 s[18:19], s[18:19], exec
	s_trap 2
	s_branch .LBB73_2130
.LBB73_2196:
	s_andn2_saveexec_b64 s[6:7], s[6:7]
	s_cbranch_execz .LBB73_2096
.LBB73_2197:
	s_mov_b32 s8, 0x42800000
	v_add_f32_e64 v6, |v5|, s8
	v_and_b32_e32 v6, 0xff, v6
	v_cmp_ne_u32_e32 vcc, 0, v6
	s_andn2_b64 s[4:5], s[4:5], exec
	s_and_b64 s[8:9], vcc, exec
	s_or_b64 s[4:5], s[4:5], s[8:9]
	s_or_b64 exec, exec, s[6:7]
	v_mov_b32_e32 v7, 0
	s_and_saveexec_b64 s[6:7], s[4:5]
	s_cbranch_execnz .LBB73_2097
	s_branch .LBB73_2098
	.section	.rodata,"a",@progbits
	.p2align	6, 0x0
	.amdhsa_kernel _ZN2at6native32elementwise_kernel_manual_unrollILi128ELi4EZNS0_15gpu_kernel_implIZZZNS0_15exp_kernel_cudaERNS_18TensorIteratorBaseEENKUlvE_clEvENKUlvE1_clEvEUlN3c107complexINS7_4HalfEEEE_EEvS4_RKT_EUlibE0_EEviT1_
		.amdhsa_group_segment_fixed_size 0
		.amdhsa_private_segment_fixed_size 0
		.amdhsa_kernarg_size 360
		.amdhsa_user_sgpr_count 2
		.amdhsa_user_sgpr_dispatch_ptr 0
		.amdhsa_user_sgpr_queue_ptr 0
		.amdhsa_user_sgpr_kernarg_segment_ptr 1
		.amdhsa_user_sgpr_dispatch_id 0
		.amdhsa_user_sgpr_kernarg_preload_length 0
		.amdhsa_user_sgpr_kernarg_preload_offset 0
		.amdhsa_user_sgpr_private_segment_size 0
		.amdhsa_uses_dynamic_stack 0
		.amdhsa_enable_private_segment 0
		.amdhsa_system_sgpr_workgroup_id_x 1
		.amdhsa_system_sgpr_workgroup_id_y 0
		.amdhsa_system_sgpr_workgroup_id_z 0
		.amdhsa_system_sgpr_workgroup_info 0
		.amdhsa_system_vgpr_workitem_id 0
		.amdhsa_next_free_vgpr 33
		.amdhsa_next_free_sgpr 78
		.amdhsa_accum_offset 36
		.amdhsa_reserve_vcc 1
		.amdhsa_float_round_mode_32 0
		.amdhsa_float_round_mode_16_64 0
		.amdhsa_float_denorm_mode_32 3
		.amdhsa_float_denorm_mode_16_64 3
		.amdhsa_dx10_clamp 1
		.amdhsa_ieee_mode 1
		.amdhsa_fp16_overflow 0
		.amdhsa_tg_split 0
		.amdhsa_exception_fp_ieee_invalid_op 0
		.amdhsa_exception_fp_denorm_src 0
		.amdhsa_exception_fp_ieee_div_zero 0
		.amdhsa_exception_fp_ieee_overflow 0
		.amdhsa_exception_fp_ieee_underflow 0
		.amdhsa_exception_fp_ieee_inexact 0
		.amdhsa_exception_int_div_zero 0
	.end_amdhsa_kernel
	.section	.text._ZN2at6native32elementwise_kernel_manual_unrollILi128ELi4EZNS0_15gpu_kernel_implIZZZNS0_15exp_kernel_cudaERNS_18TensorIteratorBaseEENKUlvE_clEvENKUlvE1_clEvEUlN3c107complexINS7_4HalfEEEE_EEvS4_RKT_EUlibE0_EEviT1_,"axG",@progbits,_ZN2at6native32elementwise_kernel_manual_unrollILi128ELi4EZNS0_15gpu_kernel_implIZZZNS0_15exp_kernel_cudaERNS_18TensorIteratorBaseEENKUlvE_clEvENKUlvE1_clEvEUlN3c107complexINS7_4HalfEEEE_EEvS4_RKT_EUlibE0_EEviT1_,comdat
.Lfunc_end73:
	.size	_ZN2at6native32elementwise_kernel_manual_unrollILi128ELi4EZNS0_15gpu_kernel_implIZZZNS0_15exp_kernel_cudaERNS_18TensorIteratorBaseEENKUlvE_clEvENKUlvE1_clEvEUlN3c107complexINS7_4HalfEEEE_EEvS4_RKT_EUlibE0_EEviT1_, .Lfunc_end73-_ZN2at6native32elementwise_kernel_manual_unrollILi128ELi4EZNS0_15gpu_kernel_implIZZZNS0_15exp_kernel_cudaERNS_18TensorIteratorBaseEENKUlvE_clEvENKUlvE1_clEvEUlN3c107complexINS7_4HalfEEEE_EEvS4_RKT_EUlibE0_EEviT1_
                                        ; -- End function
	.set _ZN2at6native32elementwise_kernel_manual_unrollILi128ELi4EZNS0_15gpu_kernel_implIZZZNS0_15exp_kernel_cudaERNS_18TensorIteratorBaseEENKUlvE_clEvENKUlvE1_clEvEUlN3c107complexINS7_4HalfEEEE_EEvS4_RKT_EUlibE0_EEviT1_.num_vgpr, max(33, .L_ZN16c10_complex_math3expIfEEN3c107complexIT_EERKS4_.num_vgpr)
	.set _ZN2at6native32elementwise_kernel_manual_unrollILi128ELi4EZNS0_15gpu_kernel_implIZZZNS0_15exp_kernel_cudaERNS_18TensorIteratorBaseEENKUlvE_clEvENKUlvE1_clEvEUlN3c107complexINS7_4HalfEEEE_EEvS4_RKT_EUlibE0_EEviT1_.num_agpr, max(0, .L_ZN16c10_complex_math3expIfEEN3c107complexIT_EERKS4_.num_agpr)
	.set _ZN2at6native32elementwise_kernel_manual_unrollILi128ELi4EZNS0_15gpu_kernel_implIZZZNS0_15exp_kernel_cudaERNS_18TensorIteratorBaseEENKUlvE_clEvENKUlvE1_clEvEUlN3c107complexINS7_4HalfEEEE_EEvS4_RKT_EUlibE0_EEviT1_.numbered_sgpr, max(78, .L_ZN16c10_complex_math3expIfEEN3c107complexIT_EERKS4_.numbered_sgpr)
	.set _ZN2at6native32elementwise_kernel_manual_unrollILi128ELi4EZNS0_15gpu_kernel_implIZZZNS0_15exp_kernel_cudaERNS_18TensorIteratorBaseEENKUlvE_clEvENKUlvE1_clEvEUlN3c107complexINS7_4HalfEEEE_EEvS4_RKT_EUlibE0_EEviT1_.num_named_barrier, max(0, .L_ZN16c10_complex_math3expIfEEN3c107complexIT_EERKS4_.num_named_barrier)
	.set _ZN2at6native32elementwise_kernel_manual_unrollILi128ELi4EZNS0_15gpu_kernel_implIZZZNS0_15exp_kernel_cudaERNS_18TensorIteratorBaseEENKUlvE_clEvENKUlvE1_clEvEUlN3c107complexINS7_4HalfEEEE_EEvS4_RKT_EUlibE0_EEviT1_.private_seg_size, 0+max(.L_ZN16c10_complex_math3expIfEEN3c107complexIT_EERKS4_.private_seg_size)
	.set _ZN2at6native32elementwise_kernel_manual_unrollILi128ELi4EZNS0_15gpu_kernel_implIZZZNS0_15exp_kernel_cudaERNS_18TensorIteratorBaseEENKUlvE_clEvENKUlvE1_clEvEUlN3c107complexINS7_4HalfEEEE_EEvS4_RKT_EUlibE0_EEviT1_.uses_vcc, or(1, .L_ZN16c10_complex_math3expIfEEN3c107complexIT_EERKS4_.uses_vcc)
	.set _ZN2at6native32elementwise_kernel_manual_unrollILi128ELi4EZNS0_15gpu_kernel_implIZZZNS0_15exp_kernel_cudaERNS_18TensorIteratorBaseEENKUlvE_clEvENKUlvE1_clEvEUlN3c107complexINS7_4HalfEEEE_EEvS4_RKT_EUlibE0_EEviT1_.uses_flat_scratch, or(0, .L_ZN16c10_complex_math3expIfEEN3c107complexIT_EERKS4_.uses_flat_scratch)
	.set _ZN2at6native32elementwise_kernel_manual_unrollILi128ELi4EZNS0_15gpu_kernel_implIZZZNS0_15exp_kernel_cudaERNS_18TensorIteratorBaseEENKUlvE_clEvENKUlvE1_clEvEUlN3c107complexINS7_4HalfEEEE_EEvS4_RKT_EUlibE0_EEviT1_.has_dyn_sized_stack, or(0, .L_ZN16c10_complex_math3expIfEEN3c107complexIT_EERKS4_.has_dyn_sized_stack)
	.set _ZN2at6native32elementwise_kernel_manual_unrollILi128ELi4EZNS0_15gpu_kernel_implIZZZNS0_15exp_kernel_cudaERNS_18TensorIteratorBaseEENKUlvE_clEvENKUlvE1_clEvEUlN3c107complexINS7_4HalfEEEE_EEvS4_RKT_EUlibE0_EEviT1_.has_recursion, or(0, .L_ZN16c10_complex_math3expIfEEN3c107complexIT_EERKS4_.has_recursion)
	.set _ZN2at6native32elementwise_kernel_manual_unrollILi128ELi4EZNS0_15gpu_kernel_implIZZZNS0_15exp_kernel_cudaERNS_18TensorIteratorBaseEENKUlvE_clEvENKUlvE1_clEvEUlN3c107complexINS7_4HalfEEEE_EEvS4_RKT_EUlibE0_EEviT1_.has_indirect_call, or(0, .L_ZN16c10_complex_math3expIfEEN3c107complexIT_EERKS4_.has_indirect_call)
	.section	.AMDGPU.csdata,"",@progbits
; Kernel info:
; codeLenInByte = 44360
; TotalNumSgprs: 84
; NumVgprs: 33
; NumAgprs: 0
; TotalNumVgprs: 33
; ScratchSize: 0
; MemoryBound: 0
; FloatMode: 240
; IeeeMode: 1
; LDSByteSize: 0 bytes/workgroup (compile time only)
; SGPRBlocks: 10
; VGPRBlocks: 4
; NumSGPRsForWavesPerEU: 84
; NumVGPRsForWavesPerEU: 33
; AccumOffset: 36
; Occupancy: 8
; WaveLimiterHint : 1
; COMPUTE_PGM_RSRC2:SCRATCH_EN: 0
; COMPUTE_PGM_RSRC2:USER_SGPR: 2
; COMPUTE_PGM_RSRC2:TRAP_HANDLER: 0
; COMPUTE_PGM_RSRC2:TGID_X_EN: 1
; COMPUTE_PGM_RSRC2:TGID_Y_EN: 0
; COMPUTE_PGM_RSRC2:TGID_Z_EN: 0
; COMPUTE_PGM_RSRC2:TIDIG_COMP_CNT: 0
; COMPUTE_PGM_RSRC3_GFX90A:ACCUM_OFFSET: 8
; COMPUTE_PGM_RSRC3_GFX90A:TG_SPLIT: 0
	.section	.text._ZN2at6native29vectorized_elementwise_kernelILi16EZZZNS0_15exp_kernel_cudaERNS_18TensorIteratorBaseEENKUlvE0_clEvENKUlvE_clEvEUldE_St5arrayIPcLm2EEEEviT0_T1_,"axG",@progbits,_ZN2at6native29vectorized_elementwise_kernelILi16EZZZNS0_15exp_kernel_cudaERNS_18TensorIteratorBaseEENKUlvE0_clEvENKUlvE_clEvEUldE_St5arrayIPcLm2EEEEviT0_T1_,comdat
	.globl	_ZN2at6native29vectorized_elementwise_kernelILi16EZZZNS0_15exp_kernel_cudaERNS_18TensorIteratorBaseEENKUlvE0_clEvENKUlvE_clEvEUldE_St5arrayIPcLm2EEEEviT0_T1_ ; -- Begin function _ZN2at6native29vectorized_elementwise_kernelILi16EZZZNS0_15exp_kernel_cudaERNS_18TensorIteratorBaseEENKUlvE0_clEvENKUlvE_clEvEUldE_St5arrayIPcLm2EEEEviT0_T1_
	.p2align	8
	.type	_ZN2at6native29vectorized_elementwise_kernelILi16EZZZNS0_15exp_kernel_cudaERNS_18TensorIteratorBaseEENKUlvE0_clEvENKUlvE_clEvEUldE_St5arrayIPcLm2EEEEviT0_T1_,@function
_ZN2at6native29vectorized_elementwise_kernelILi16EZZZNS0_15exp_kernel_cudaERNS_18TensorIteratorBaseEENKUlvE0_clEvENKUlvE_clEvEUldE_St5arrayIPcLm2EEEEviT0_T1_: ; @_ZN2at6native29vectorized_elementwise_kernelILi16EZZZNS0_15exp_kernel_cudaERNS_18TensorIteratorBaseEENKUlvE0_clEvENKUlvE_clEvEUldE_St5arrayIPcLm2EEEEviT0_T1_
; %bb.0:
	s_load_dword s3, s[0:1], 0x0
	s_load_dwordx4 s[4:7], s[0:1], 0x8
	s_lshl_b32 s8, s2, 10
	s_mov_b64 s[0:1], -1
	s_waitcnt lgkmcnt(0)
	s_sub_i32 s33, s3, s8
	s_cmpk_gt_i32 s33, 0x3ff
	s_cbranch_scc0 .LBB74_2
; %bb.1:
	s_ashr_i32 s9, s8, 31
	s_lshl_b64 s[10:11], s[8:9], 3
	s_add_u32 s0, s6, s10
	s_addc_u32 s1, s7, s11
	v_lshlrev_b32_e32 v1, 5, v0
	global_load_dwordx4 v[2:5], v1, s[0:1]
	global_load_dwordx4 v[6:9], v1, s[0:1] offset:16
	s_mov_b32 s36, 0x652b82fe
	s_mov_b32 s37, 0x3ff71547
	s_mov_b32 s34, 0xfefa39ef
	s_mov_b32 s35, 0xbfe62e42
	s_mov_b32 s12, 0x3b39803f
	s_mov_b32 s0, 0xfca7ab0c
	s_mov_b32 s13, 0xbc7abc9e
	s_mov_b32 s1, 0x3e928af3
	s_mov_b32 s14, 0x6a5dcb37
	s_mov_b32 s15, 0x3e5ade15
	s_mov_b32 s16, 0x623fde64
	v_mov_b64_e32 v[10:11], s[0:1]
	s_mov_b32 s17, 0x3ec71dee
	s_mov_b32 s18, 0x7c89e6b0
	;; [unrolled: 1-line block ×19, first 2 shown]
	v_mov_b32_e32 v24, 0x7ff00000
	s_waitcnt vmcnt(1)
	v_mul_f64 v[12:13], v[2:3], s[36:37]
	v_mul_f64 v[14:15], v[4:5], s[36:37]
	v_rndne_f64_e32 v[12:13], v[12:13]
	v_rndne_f64_e32 v[14:15], v[14:15]
	v_fma_f64 v[18:19], s[34:35], v[12:13], v[2:3]
	v_fma_f64 v[20:21], s[34:35], v[14:15], v[4:5]
	v_fmac_f64_e32 v[18:19], s[12:13], v[12:13]
	s_waitcnt vmcnt(0)
	v_mul_f64 v[16:17], v[6:7], s[36:37]
	v_cvt_i32_f64_e32 v25, v[12:13]
	v_fmac_f64_e32 v[20:21], s[12:13], v[14:15]
	v_fma_f64 v[12:13], s[14:15], v[18:19], v[10:11]
	v_rndne_f64_e32 v[16:17], v[16:17]
	v_cvt_i32_f64_e32 v26, v[14:15]
	v_fma_f64 v[14:15], s[14:15], v[20:21], v[10:11]
	v_fma_f64 v[12:13], v[18:19], v[12:13], s[16:17]
	;; [unrolled: 1-line block ×5, first 2 shown]
	v_fmac_f64_e32 v[22:23], s[12:13], v[16:17]
	v_fma_f64 v[14:15], v[20:21], v[14:15], s[18:19]
	v_fma_f64 v[12:13], v[18:19], v[12:13], s[20:21]
	v_cvt_i32_f64_e32 v27, v[16:17]
	v_fma_f64 v[16:17], s[14:15], v[22:23], v[10:11]
	v_fma_f64 v[14:15], v[20:21], v[14:15], s[20:21]
	;; [unrolled: 1-line block ×17, first 2 shown]
	v_fma_f64 v[12:13], v[18:19], v[12:13], 1.0
	v_fma_f64 v[16:17], v[22:23], v[16:17], s[26:27]
	v_fma_f64 v[14:15], v[20:21], v[14:15], 1.0
	v_fma_f64 v[12:13], v[18:19], v[12:13], 1.0
	v_fma_f64 v[16:17], v[22:23], v[16:17], s[28:29]
	v_fma_f64 v[14:15], v[20:21], v[14:15], 1.0
	v_ldexp_f64 v[12:13], v[12:13], v25
	v_cmp_nlt_f64_e32 vcc, s[38:39], v[2:3]
	v_cmp_ngt_f64_e64 s[2:3], s[40:41], v[2:3]
	v_fma_f64 v[16:17], v[22:23], v[16:17], s[30:31]
	v_ldexp_f64 v[14:15], v[14:15], v26
	v_cndmask_b32_e32 v13, v24, v13, vcc
	v_cmp_nlt_f64_e64 s[0:1], s[38:39], v[4:5]
	s_and_b64 vcc, s[2:3], vcc
	v_fma_f64 v[16:17], v[22:23], v[16:17], 1.0
	v_cndmask_b32_e64 v15, v24, v15, s[0:1]
	v_cndmask_b32_e32 v2, 0, v12, vcc
	v_cmp_ngt_f64_e32 vcc, s[40:41], v[4:5]
	v_fma_f64 v[16:17], v[22:23], v[16:17], 1.0
	v_ldexp_f64 v[16:17], v[16:17], v27
	v_cndmask_b32_e32 v5, 0, v15, vcc
	s_and_b64 vcc, vcc, s[0:1]
	v_cndmask_b32_e32 v4, 0, v14, vcc
	v_cmp_nlt_f64_e32 vcc, s[38:39], v[6:7]
	v_cmp_ngt_f64_e64 s[0:1], s[40:41], v[6:7]
	v_cndmask_b32_e64 v3, 0, v13, s[2:3]
	v_cndmask_b32_e32 v12, v24, v17, vcc
	v_cndmask_b32_e64 v7, 0, v12, s[0:1]
	v_mul_f64 v[12:13], v[8:9], s[36:37]
	v_rndne_f64_e32 v[12:13], v[12:13]
	v_fma_f64 v[14:15], s[34:35], v[12:13], v[8:9]
	v_fmac_f64_e32 v[14:15], s[12:13], v[12:13]
	v_fmac_f64_e32 v[10:11], s[14:15], v[14:15]
	v_fma_f64 v[10:11], v[14:15], v[10:11], s[16:17]
	v_fma_f64 v[10:11], v[14:15], v[10:11], s[18:19]
	;; [unrolled: 1-line block ×8, first 2 shown]
	v_fma_f64 v[10:11], v[14:15], v[10:11], 1.0
	s_and_b64 vcc, s[0:1], vcc
	v_fma_f64 v[10:11], v[14:15], v[10:11], 1.0
	v_cvt_i32_f64_e32 v12, v[12:13]
	v_cndmask_b32_e32 v6, 0, v16, vcc
	v_ldexp_f64 v[10:11], v[10:11], v12
	v_cmp_nlt_f64_e32 vcc, s[38:39], v[8:9]
	v_cmp_ngt_f64_e64 s[0:1], s[40:41], v[8:9]
	s_nop 0
	v_cndmask_b32_e32 v11, v24, v11, vcc
	s_and_b64 vcc, s[0:1], vcc
	v_cndmask_b32_e64 v9, 0, v11, s[0:1]
	s_add_u32 s0, s4, s10
	s_addc_u32 s1, s5, s11
	v_cndmask_b32_e32 v8, 0, v10, vcc
	global_store_dwordx4 v1, v[2:5], s[0:1]
	global_store_dwordx4 v1, v[6:9], s[0:1] offset:16
	s_mov_b64 s[0:1], 0
.LBB74_2:
	s_andn2_b64 vcc, exec, s[0:1]
	s_cbranch_vccnz .LBB74_23
; %bb.3:
	v_cmp_gt_i32_e32 vcc, s33, v0
	v_mov_b64_e32 v[16:17], 0
	v_or_b32_e32 v10, s8, v0
	v_mov_b64_e32 v[18:19], 0
	v_mov_b32_e32 v1, v0
	s_and_saveexec_b64 s[0:1], vcc
	s_cbranch_execz .LBB74_5
; %bb.4:
	v_mov_b32_e32 v11, 0
	v_lshl_add_u64 v[2:3], v[10:11], 3, s[6:7]
	global_load_dwordx2 v[18:19], v[2:3], off
	v_or_b32_e32 v1, 0x100, v0
.LBB74_5:
	s_or_b64 exec, exec, s[0:1]
	v_cmp_gt_i32_e64 s[0:1], s33, v1
	s_and_saveexec_b64 s[2:3], s[0:1]
	s_cbranch_execz .LBB74_7
; %bb.6:
	v_add_u32_e32 v2, s8, v1
	v_mov_b32_e32 v3, 0
	v_lshl_add_u64 v[2:3], v[2:3], 3, s[6:7]
	global_load_dwordx2 v[16:17], v[2:3], off
	v_add_u32_e32 v1, 0x100, v1
.LBB74_7:
	s_or_b64 exec, exec, s[2:3]
	v_cmp_gt_i32_e64 s[0:1], s33, v1
	v_mov_b64_e32 v[12:13], 0
	v_mov_b64_e32 v[14:15], 0
	s_and_saveexec_b64 s[2:3], s[0:1]
	s_cbranch_execz .LBB74_9
; %bb.8:
	v_add_u32_e32 v2, s8, v1
	v_mov_b32_e32 v3, 0
	v_lshl_add_u64 v[2:3], v[2:3], 3, s[6:7]
	global_load_dwordx2 v[14:15], v[2:3], off
	v_add_u32_e32 v1, 0x100, v1
.LBB74_9:
	s_or_b64 exec, exec, s[2:3]
	v_cmp_gt_i32_e64 s[0:1], s33, v1
	s_and_saveexec_b64 s[2:3], s[0:1]
	s_cbranch_execz .LBB74_11
; %bb.10:
	v_add_u32_e32 v2, s8, v1
	v_mov_b32_e32 v3, 0
	v_lshl_add_u64 v[2:3], v[2:3], 3, s[6:7]
	global_load_dwordx2 v[12:13], v[2:3], off
.LBB74_11:
	s_or_b64 exec, exec, s[2:3]
	v_mov_b32_e32 v2, 0
	v_mov_b32_e32 v3, v2
	;; [unrolled: 1-line block ×8, first 2 shown]
	s_and_saveexec_b64 s[6:7], vcc
	s_cbranch_execz .LBB74_13
; %bb.12:
	s_mov_b32 s0, 0x652b82fe
	s_mov_b32 s1, 0x3ff71547
	s_waitcnt vmcnt(0)
	v_mul_f64 v[4:5], v[18:19], s[0:1]
	s_mov_b32 s0, 0xfefa39ef
	v_rndne_f64_e32 v[4:5], v[4:5]
	s_mov_b32 s1, 0xbfe62e42
	v_fma_f64 v[6:7], s[0:1], v[4:5], v[18:19]
	s_mov_b32 s0, 0x3b39803f
	s_mov_b32 s1, 0xbc7abc9e
	v_fmac_f64_e32 v[6:7], s[0:1], v[4:5]
	s_mov_b32 s0, 0x6a5dcb37
	v_mov_b32_e32 v8, 0xfca7ab0c
	v_mov_b32_e32 v9, 0x3e928af3
	s_mov_b32 s1, 0x3e5ade15
	v_fmac_f64_e32 v[8:9], s[0:1], v[6:7]
	v_mov_b32_e32 v20, 0x623fde64
	v_mov_b32_e32 v21, 0x3ec71dee
	v_fmac_f64_e32 v[20:21], v[6:7], v[8:9]
	v_mov_b32_e32 v8, 0x7c89e6b0
	v_mov_b32_e32 v9, 0x3efa0199
	;; [unrolled: 3-line block ×8, first 2 shown]
	v_fmac_f64_e32 v[8:9], v[6:7], v[20:21]
	v_fma_f64 v[8:9], v[6:7], v[8:9], 1.0
	s_mov_b32 s0, 0
	s_mov_b32 s2, 0
	v_fma_f64 v[6:7], v[6:7], v[8:9], 1.0
	v_cvt_i32_f64_e32 v1, v[4:5]
	s_mov_b32 s1, 0x40900000
	s_mov_b32 s3, 0xc090cc00
	v_ldexp_f64 v[4:5], v[6:7], v1
	v_mov_b32_e32 v1, 0x7ff00000
	v_cmp_nlt_f64_e64 s[0:1], s[0:1], v[18:19]
	v_cmp_ngt_f64_e64 s[2:3], s[2:3], v[18:19]
	v_mov_b32_e32 v20, v2
	v_cndmask_b32_e64 v1, v1, v5, s[0:1]
	s_and_b64 s[0:1], s[2:3], s[0:1]
	v_cndmask_b32_e64 v19, 0, v1, s[2:3]
	v_cndmask_b32_e64 v18, 0, v4, s[0:1]
	v_mov_b32_e32 v21, v2
	v_mov_b32_e32 v22, v2
	;; [unrolled: 1-line block ×5, first 2 shown]
	v_mov_b64_e32 v[2:3], v[18:19]
	v_mov_b64_e32 v[4:5], v[20:21]
	;; [unrolled: 1-line block ×4, first 2 shown]
.LBB74_13:
	s_or_b64 exec, exec, s[6:7]
	v_or_b32_e32 v1, 0x100, v0
	v_cmp_gt_i32_e64 s[0:1], s33, v1
	s_and_saveexec_b64 s[6:7], s[0:1]
	s_cbranch_execz .LBB74_15
; %bb.14:
	s_mov_b32 s0, 0x652b82fe
	s_mov_b32 s1, 0x3ff71547
	s_waitcnt vmcnt(0)
	v_mul_f64 v[4:5], v[16:17], s[0:1]
	s_mov_b32 s0, 0xfefa39ef
	v_rndne_f64_e32 v[4:5], v[4:5]
	s_mov_b32 s1, 0xbfe62e42
	v_fma_f64 v[18:19], s[0:1], v[4:5], v[16:17]
	s_mov_b32 s0, 0x3b39803f
	s_mov_b32 s1, 0xbc7abc9e
	v_fmac_f64_e32 v[18:19], s[0:1], v[4:5]
	s_mov_b32 s0, 0x6a5dcb37
	v_mov_b32_e32 v20, 0xfca7ab0c
	v_mov_b32_e32 v21, 0x3e928af3
	s_mov_b32 s1, 0x3e5ade15
	v_fmac_f64_e32 v[20:21], s[0:1], v[18:19]
	v_mov_b32_e32 v22, 0x623fde64
	v_mov_b32_e32 v23, 0x3ec71dee
	v_fmac_f64_e32 v[22:23], v[18:19], v[20:21]
	v_mov_b32_e32 v20, 0x7c89e6b0
	v_mov_b32_e32 v21, 0x3efa0199
	;; [unrolled: 3-line block ×8, first 2 shown]
	v_fmac_f64_e32 v[20:21], v[18:19], v[22:23]
	v_fma_f64 v[20:21], v[18:19], v[20:21], 1.0
	s_mov_b32 s0, 0
	s_mov_b32 s2, 0
	v_fma_f64 v[18:19], v[18:19], v[20:21], 1.0
	v_cvt_i32_f64_e32 v4, v[4:5]
	s_mov_b32 s1, 0x40900000
	s_mov_b32 s3, 0xc090cc00
	v_ldexp_f64 v[4:5], v[18:19], v4
	v_mov_b32_e32 v11, 0x7ff00000
	v_cmp_nlt_f64_e64 s[0:1], s[0:1], v[16:17]
	v_cmp_ngt_f64_e64 s[2:3], s[2:3], v[16:17]
	s_nop 0
	v_cndmask_b32_e64 v5, v11, v5, s[0:1]
	s_and_b64 s[0:1], s[2:3], s[0:1]
	v_cndmask_b32_e64 v5, 0, v5, s[2:3]
	v_cndmask_b32_e64 v4, 0, v4, s[0:1]
.LBB74_15:
	s_or_b64 exec, exec, s[6:7]
	v_or_b32_e32 v11, 0x200, v0
	v_cmp_gt_i32_e64 s[0:1], s33, v11
	s_and_saveexec_b64 s[6:7], s[0:1]
	s_cbranch_execz .LBB74_17
; %bb.16:
	s_mov_b32 s0, 0x652b82fe
	s_mov_b32 s1, 0x3ff71547
	s_waitcnt vmcnt(0)
	v_mul_f64 v[6:7], v[14:15], s[0:1]
	s_mov_b32 s0, 0xfefa39ef
	v_rndne_f64_e32 v[6:7], v[6:7]
	s_mov_b32 s1, 0xbfe62e42
	v_fma_f64 v[16:17], s[0:1], v[6:7], v[14:15]
	s_mov_b32 s0, 0x3b39803f
	s_mov_b32 s1, 0xbc7abc9e
	v_fmac_f64_e32 v[16:17], s[0:1], v[6:7]
	s_mov_b32 s0, 0x6a5dcb37
	v_mov_b32_e32 v18, 0xfca7ab0c
	v_mov_b32_e32 v19, 0x3e928af3
	s_mov_b32 s1, 0x3e5ade15
	v_fmac_f64_e32 v[18:19], s[0:1], v[16:17]
	v_mov_b32_e32 v20, 0x623fde64
	v_mov_b32_e32 v21, 0x3ec71dee
	v_fmac_f64_e32 v[20:21], v[16:17], v[18:19]
	v_mov_b32_e32 v18, 0x7c89e6b0
	v_mov_b32_e32 v19, 0x3efa0199
	;; [unrolled: 3-line block ×8, first 2 shown]
	v_fmac_f64_e32 v[18:19], v[16:17], v[20:21]
	v_fma_f64 v[18:19], v[16:17], v[18:19], 1.0
	s_mov_b32 s0, 0
	s_mov_b32 s2, 0
	v_fma_f64 v[16:17], v[16:17], v[18:19], 1.0
	v_cvt_i32_f64_e32 v6, v[6:7]
	s_mov_b32 s1, 0x40900000
	s_mov_b32 s3, 0xc090cc00
	v_ldexp_f64 v[6:7], v[16:17], v6
	v_mov_b32_e32 v11, 0x7ff00000
	v_cmp_nlt_f64_e64 s[0:1], s[0:1], v[14:15]
	v_cmp_ngt_f64_e64 s[2:3], s[2:3], v[14:15]
	s_nop 0
	v_cndmask_b32_e64 v7, v11, v7, s[0:1]
	s_and_b64 s[0:1], s[2:3], s[0:1]
	v_cndmask_b32_e64 v7, 0, v7, s[2:3]
	v_cndmask_b32_e64 v6, 0, v6, s[0:1]
.LBB74_17:
	s_or_b64 exec, exec, s[6:7]
	v_or_b32_e32 v11, 0x300, v0
	v_cmp_gt_i32_e64 s[0:1], s33, v11
	s_and_saveexec_b64 s[6:7], s[0:1]
	s_cbranch_execnz .LBB74_24
; %bb.18:
	s_or_b64 exec, exec, s[6:7]
	s_and_saveexec_b64 s[0:1], vcc
	s_xor_b64 s[0:1], exec, s[0:1]
	s_cbranch_execnz .LBB74_25
.LBB74_19:
	s_or_b64 exec, exec, s[0:1]
	v_cmp_gt_i32_e32 vcc, s33, v0
	s_and_saveexec_b64 s[0:1], vcc
	s_cbranch_execnz .LBB74_26
.LBB74_20:
	s_or_b64 exec, exec, s[0:1]
	v_cmp_gt_i32_e32 vcc, s33, v0
	s_and_saveexec_b64 s[0:1], vcc
	s_cbranch_execnz .LBB74_27
.LBB74_21:
	s_or_b64 exec, exec, s[0:1]
	v_cmp_gt_i32_e32 vcc, s33, v0
	s_and_saveexec_b64 s[0:1], vcc
	s_cbranch_execz .LBB74_23
.LBB74_22:
	v_add_u32_e32 v0, s8, v0
	v_mov_b32_e32 v1, 0
	v_lshl_add_u64 v[0:1], v[0:1], 3, s[4:5]
	global_store_dwordx2 v[0:1], v[8:9], off
.LBB74_23:
	s_endpgm
.LBB74_24:
	s_mov_b32 s0, 0x652b82fe
	s_mov_b32 s1, 0x3ff71547
	s_waitcnt vmcnt(0)
	v_mul_f64 v[8:9], v[12:13], s[0:1]
	s_mov_b32 s0, 0xfefa39ef
	v_rndne_f64_e32 v[8:9], v[8:9]
	s_mov_b32 s1, 0xbfe62e42
	v_fma_f64 v[14:15], s[0:1], v[8:9], v[12:13]
	s_mov_b32 s0, 0x3b39803f
	s_mov_b32 s1, 0xbc7abc9e
	v_fmac_f64_e32 v[14:15], s[0:1], v[8:9]
	s_mov_b32 s0, 0x6a5dcb37
	v_mov_b32_e32 v16, 0xfca7ab0c
	v_mov_b32_e32 v17, 0x3e928af3
	s_mov_b32 s1, 0x3e5ade15
	v_fmac_f64_e32 v[16:17], s[0:1], v[14:15]
	v_mov_b32_e32 v18, 0x623fde64
	v_mov_b32_e32 v19, 0x3ec71dee
	v_fmac_f64_e32 v[18:19], v[14:15], v[16:17]
	v_mov_b32_e32 v16, 0x7c89e6b0
	v_mov_b32_e32 v17, 0x3efa0199
	;; [unrolled: 3-line block ×8, first 2 shown]
	v_fmac_f64_e32 v[16:17], v[14:15], v[18:19]
	v_fma_f64 v[16:17], v[14:15], v[16:17], 1.0
	s_mov_b32 s0, 0
	s_mov_b32 s2, 0
	v_fma_f64 v[14:15], v[14:15], v[16:17], 1.0
	v_cvt_i32_f64_e32 v8, v[8:9]
	s_mov_b32 s1, 0x40900000
	s_mov_b32 s3, 0xc090cc00
	v_ldexp_f64 v[8:9], v[14:15], v8
	v_mov_b32_e32 v11, 0x7ff00000
	v_cmp_nlt_f64_e64 s[0:1], s[0:1], v[12:13]
	v_cmp_ngt_f64_e64 s[2:3], s[2:3], v[12:13]
	s_nop 0
	v_cndmask_b32_e64 v9, v11, v9, s[0:1]
	s_and_b64 s[0:1], s[2:3], s[0:1]
	v_cndmask_b32_e64 v9, 0, v9, s[2:3]
	v_cndmask_b32_e64 v8, 0, v8, s[0:1]
	s_or_b64 exec, exec, s[6:7]
	s_and_saveexec_b64 s[0:1], vcc
	s_xor_b64 s[0:1], exec, s[0:1]
	s_cbranch_execz .LBB74_19
.LBB74_25:
	v_mov_b32_e32 v11, 0
	v_lshl_add_u64 v[10:11], v[10:11], 3, s[4:5]
	v_mov_b32_e32 v0, v1
	global_store_dwordx2 v[10:11], v[2:3], off
	s_or_b64 exec, exec, s[0:1]
	v_cmp_gt_i32_e32 vcc, s33, v0
	s_and_saveexec_b64 s[0:1], vcc
	s_cbranch_execz .LBB74_20
.LBB74_26:
	v_add_u32_e32 v2, s8, v0
	v_mov_b32_e32 v3, 0
	v_lshl_add_u64 v[2:3], v[2:3], 3, s[4:5]
	v_add_u32_e32 v0, 0x100, v0
	global_store_dwordx2 v[2:3], v[4:5], off
	s_or_b64 exec, exec, s[0:1]
	v_cmp_gt_i32_e32 vcc, s33, v0
	s_and_saveexec_b64 s[0:1], vcc
	s_cbranch_execz .LBB74_21
.LBB74_27:
	v_add_u32_e32 v2, s8, v0
	v_mov_b32_e32 v3, 0
	v_lshl_add_u64 v[2:3], v[2:3], 3, s[4:5]
	v_add_u32_e32 v0, 0x100, v0
	global_store_dwordx2 v[2:3], v[6:7], off
	s_or_b64 exec, exec, s[0:1]
	v_cmp_gt_i32_e32 vcc, s33, v0
	s_and_saveexec_b64 s[0:1], vcc
	s_cbranch_execnz .LBB74_22
	s_branch .LBB74_23
	.section	.rodata,"a",@progbits
	.p2align	6, 0x0
	.amdhsa_kernel _ZN2at6native29vectorized_elementwise_kernelILi16EZZZNS0_15exp_kernel_cudaERNS_18TensorIteratorBaseEENKUlvE0_clEvENKUlvE_clEvEUldE_St5arrayIPcLm2EEEEviT0_T1_
		.amdhsa_group_segment_fixed_size 0
		.amdhsa_private_segment_fixed_size 0
		.amdhsa_kernarg_size 24
		.amdhsa_user_sgpr_count 2
		.amdhsa_user_sgpr_dispatch_ptr 0
		.amdhsa_user_sgpr_queue_ptr 0
		.amdhsa_user_sgpr_kernarg_segment_ptr 1
		.amdhsa_user_sgpr_dispatch_id 0
		.amdhsa_user_sgpr_kernarg_preload_length 0
		.amdhsa_user_sgpr_kernarg_preload_offset 0
		.amdhsa_user_sgpr_private_segment_size 0
		.amdhsa_uses_dynamic_stack 0
		.amdhsa_enable_private_segment 0
		.amdhsa_system_sgpr_workgroup_id_x 1
		.amdhsa_system_sgpr_workgroup_id_y 0
		.amdhsa_system_sgpr_workgroup_id_z 0
		.amdhsa_system_sgpr_workgroup_info 0
		.amdhsa_system_vgpr_workitem_id 0
		.amdhsa_next_free_vgpr 28
		.amdhsa_next_free_sgpr 42
		.amdhsa_accum_offset 28
		.amdhsa_reserve_vcc 1
		.amdhsa_float_round_mode_32 0
		.amdhsa_float_round_mode_16_64 0
		.amdhsa_float_denorm_mode_32 3
		.amdhsa_float_denorm_mode_16_64 3
		.amdhsa_dx10_clamp 1
		.amdhsa_ieee_mode 1
		.amdhsa_fp16_overflow 0
		.amdhsa_tg_split 0
		.amdhsa_exception_fp_ieee_invalid_op 0
		.amdhsa_exception_fp_denorm_src 0
		.amdhsa_exception_fp_ieee_div_zero 0
		.amdhsa_exception_fp_ieee_overflow 0
		.amdhsa_exception_fp_ieee_underflow 0
		.amdhsa_exception_fp_ieee_inexact 0
		.amdhsa_exception_int_div_zero 0
	.end_amdhsa_kernel
	.section	.text._ZN2at6native29vectorized_elementwise_kernelILi16EZZZNS0_15exp_kernel_cudaERNS_18TensorIteratorBaseEENKUlvE0_clEvENKUlvE_clEvEUldE_St5arrayIPcLm2EEEEviT0_T1_,"axG",@progbits,_ZN2at6native29vectorized_elementwise_kernelILi16EZZZNS0_15exp_kernel_cudaERNS_18TensorIteratorBaseEENKUlvE0_clEvENKUlvE_clEvEUldE_St5arrayIPcLm2EEEEviT0_T1_,comdat
.Lfunc_end74:
	.size	_ZN2at6native29vectorized_elementwise_kernelILi16EZZZNS0_15exp_kernel_cudaERNS_18TensorIteratorBaseEENKUlvE0_clEvENKUlvE_clEvEUldE_St5arrayIPcLm2EEEEviT0_T1_, .Lfunc_end74-_ZN2at6native29vectorized_elementwise_kernelILi16EZZZNS0_15exp_kernel_cudaERNS_18TensorIteratorBaseEENKUlvE0_clEvENKUlvE_clEvEUldE_St5arrayIPcLm2EEEEviT0_T1_
                                        ; -- End function
	.set _ZN2at6native29vectorized_elementwise_kernelILi16EZZZNS0_15exp_kernel_cudaERNS_18TensorIteratorBaseEENKUlvE0_clEvENKUlvE_clEvEUldE_St5arrayIPcLm2EEEEviT0_T1_.num_vgpr, 28
	.set _ZN2at6native29vectorized_elementwise_kernelILi16EZZZNS0_15exp_kernel_cudaERNS_18TensorIteratorBaseEENKUlvE0_clEvENKUlvE_clEvEUldE_St5arrayIPcLm2EEEEviT0_T1_.num_agpr, 0
	.set _ZN2at6native29vectorized_elementwise_kernelILi16EZZZNS0_15exp_kernel_cudaERNS_18TensorIteratorBaseEENKUlvE0_clEvENKUlvE_clEvEUldE_St5arrayIPcLm2EEEEviT0_T1_.numbered_sgpr, 42
	.set _ZN2at6native29vectorized_elementwise_kernelILi16EZZZNS0_15exp_kernel_cudaERNS_18TensorIteratorBaseEENKUlvE0_clEvENKUlvE_clEvEUldE_St5arrayIPcLm2EEEEviT0_T1_.num_named_barrier, 0
	.set _ZN2at6native29vectorized_elementwise_kernelILi16EZZZNS0_15exp_kernel_cudaERNS_18TensorIteratorBaseEENKUlvE0_clEvENKUlvE_clEvEUldE_St5arrayIPcLm2EEEEviT0_T1_.private_seg_size, 0
	.set _ZN2at6native29vectorized_elementwise_kernelILi16EZZZNS0_15exp_kernel_cudaERNS_18TensorIteratorBaseEENKUlvE0_clEvENKUlvE_clEvEUldE_St5arrayIPcLm2EEEEviT0_T1_.uses_vcc, 1
	.set _ZN2at6native29vectorized_elementwise_kernelILi16EZZZNS0_15exp_kernel_cudaERNS_18TensorIteratorBaseEENKUlvE0_clEvENKUlvE_clEvEUldE_St5arrayIPcLm2EEEEviT0_T1_.uses_flat_scratch, 0
	.set _ZN2at6native29vectorized_elementwise_kernelILi16EZZZNS0_15exp_kernel_cudaERNS_18TensorIteratorBaseEENKUlvE0_clEvENKUlvE_clEvEUldE_St5arrayIPcLm2EEEEviT0_T1_.has_dyn_sized_stack, 0
	.set _ZN2at6native29vectorized_elementwise_kernelILi16EZZZNS0_15exp_kernel_cudaERNS_18TensorIteratorBaseEENKUlvE0_clEvENKUlvE_clEvEUldE_St5arrayIPcLm2EEEEviT0_T1_.has_recursion, 0
	.set _ZN2at6native29vectorized_elementwise_kernelILi16EZZZNS0_15exp_kernel_cudaERNS_18TensorIteratorBaseEENKUlvE0_clEvENKUlvE_clEvEUldE_St5arrayIPcLm2EEEEviT0_T1_.has_indirect_call, 0
	.section	.AMDGPU.csdata,"",@progbits
; Kernel info:
; codeLenInByte = 3112
; TotalNumSgprs: 48
; NumVgprs: 28
; NumAgprs: 0
; TotalNumVgprs: 28
; ScratchSize: 0
; MemoryBound: 0
; FloatMode: 240
; IeeeMode: 1
; LDSByteSize: 0 bytes/workgroup (compile time only)
; SGPRBlocks: 5
; VGPRBlocks: 3
; NumSGPRsForWavesPerEU: 48
; NumVGPRsForWavesPerEU: 28
; AccumOffset: 28
; Occupancy: 8
; WaveLimiterHint : 0
; COMPUTE_PGM_RSRC2:SCRATCH_EN: 0
; COMPUTE_PGM_RSRC2:USER_SGPR: 2
; COMPUTE_PGM_RSRC2:TRAP_HANDLER: 0
; COMPUTE_PGM_RSRC2:TGID_X_EN: 1
; COMPUTE_PGM_RSRC2:TGID_Y_EN: 0
; COMPUTE_PGM_RSRC2:TGID_Z_EN: 0
; COMPUTE_PGM_RSRC2:TIDIG_COMP_CNT: 0
; COMPUTE_PGM_RSRC3_GFX90A:ACCUM_OFFSET: 6
; COMPUTE_PGM_RSRC3_GFX90A:TG_SPLIT: 0
	.section	.text._ZN2at6native29vectorized_elementwise_kernelILi8EZZZNS0_15exp_kernel_cudaERNS_18TensorIteratorBaseEENKUlvE0_clEvENKUlvE_clEvEUldE_St5arrayIPcLm2EEEEviT0_T1_,"axG",@progbits,_ZN2at6native29vectorized_elementwise_kernelILi8EZZZNS0_15exp_kernel_cudaERNS_18TensorIteratorBaseEENKUlvE0_clEvENKUlvE_clEvEUldE_St5arrayIPcLm2EEEEviT0_T1_,comdat
	.globl	_ZN2at6native29vectorized_elementwise_kernelILi8EZZZNS0_15exp_kernel_cudaERNS_18TensorIteratorBaseEENKUlvE0_clEvENKUlvE_clEvEUldE_St5arrayIPcLm2EEEEviT0_T1_ ; -- Begin function _ZN2at6native29vectorized_elementwise_kernelILi8EZZZNS0_15exp_kernel_cudaERNS_18TensorIteratorBaseEENKUlvE0_clEvENKUlvE_clEvEUldE_St5arrayIPcLm2EEEEviT0_T1_
	.p2align	8
	.type	_ZN2at6native29vectorized_elementwise_kernelILi8EZZZNS0_15exp_kernel_cudaERNS_18TensorIteratorBaseEENKUlvE0_clEvENKUlvE_clEvEUldE_St5arrayIPcLm2EEEEviT0_T1_,@function
_ZN2at6native29vectorized_elementwise_kernelILi8EZZZNS0_15exp_kernel_cudaERNS_18TensorIteratorBaseEENKUlvE0_clEvENKUlvE_clEvEUldE_St5arrayIPcLm2EEEEviT0_T1_: ; @_ZN2at6native29vectorized_elementwise_kernelILi8EZZZNS0_15exp_kernel_cudaERNS_18TensorIteratorBaseEENKUlvE0_clEvENKUlvE_clEvEUldE_St5arrayIPcLm2EEEEviT0_T1_
; %bb.0:
	s_load_dword s3, s[0:1], 0x0
	s_load_dwordx4 s[4:7], s[0:1], 0x8
	s_lshl_b32 s8, s2, 10
	s_mov_b64 s[0:1], -1
	s_waitcnt lgkmcnt(0)
	s_sub_i32 s33, s3, s8
	s_cmpk_gt_i32 s33, 0x3ff
	s_cbranch_scc0 .LBB75_2
; %bb.1:
	s_ashr_i32 s9, s8, 31
	s_lshl_b64 s[10:11], s[8:9], 3
	s_add_u32 s0, s6, s10
	s_addc_u32 s1, s7, s11
	v_lshlrev_b32_e32 v1, 5, v0
	global_load_dwordx4 v[2:5], v1, s[0:1]
	global_load_dwordx4 v[6:9], v1, s[0:1] offset:16
	s_mov_b32 s36, 0x652b82fe
	s_mov_b32 s37, 0x3ff71547
	;; [unrolled: 1-line block ×11, first 2 shown]
	v_mov_b64_e32 v[10:11], s[0:1]
	s_mov_b32 s17, 0x3ec71dee
	s_mov_b32 s18, 0x7c89e6b0
	;; [unrolled: 1-line block ×19, first 2 shown]
	v_mov_b32_e32 v24, 0x7ff00000
	s_waitcnt vmcnt(1)
	v_mul_f64 v[12:13], v[2:3], s[36:37]
	v_mul_f64 v[14:15], v[4:5], s[36:37]
	v_rndne_f64_e32 v[12:13], v[12:13]
	v_rndne_f64_e32 v[14:15], v[14:15]
	v_fma_f64 v[18:19], s[34:35], v[12:13], v[2:3]
	v_fma_f64 v[20:21], s[34:35], v[14:15], v[4:5]
	v_fmac_f64_e32 v[18:19], s[12:13], v[12:13]
	s_waitcnt vmcnt(0)
	v_mul_f64 v[16:17], v[6:7], s[36:37]
	v_cvt_i32_f64_e32 v25, v[12:13]
	v_fmac_f64_e32 v[20:21], s[12:13], v[14:15]
	v_fma_f64 v[12:13], s[14:15], v[18:19], v[10:11]
	v_rndne_f64_e32 v[16:17], v[16:17]
	v_cvt_i32_f64_e32 v26, v[14:15]
	v_fma_f64 v[14:15], s[14:15], v[20:21], v[10:11]
	v_fma_f64 v[12:13], v[18:19], v[12:13], s[16:17]
	;; [unrolled: 1-line block ×5, first 2 shown]
	v_fmac_f64_e32 v[22:23], s[12:13], v[16:17]
	v_fma_f64 v[14:15], v[20:21], v[14:15], s[18:19]
	v_fma_f64 v[12:13], v[18:19], v[12:13], s[20:21]
	v_cvt_i32_f64_e32 v27, v[16:17]
	v_fma_f64 v[16:17], s[14:15], v[22:23], v[10:11]
	v_fma_f64 v[14:15], v[20:21], v[14:15], s[20:21]
	;; [unrolled: 1-line block ×17, first 2 shown]
	v_fma_f64 v[12:13], v[18:19], v[12:13], 1.0
	v_fma_f64 v[16:17], v[22:23], v[16:17], s[26:27]
	v_fma_f64 v[14:15], v[20:21], v[14:15], 1.0
	v_fma_f64 v[12:13], v[18:19], v[12:13], 1.0
	v_fma_f64 v[16:17], v[22:23], v[16:17], s[28:29]
	v_fma_f64 v[14:15], v[20:21], v[14:15], 1.0
	v_ldexp_f64 v[12:13], v[12:13], v25
	v_cmp_nlt_f64_e32 vcc, s[38:39], v[2:3]
	v_cmp_ngt_f64_e64 s[2:3], s[40:41], v[2:3]
	v_fma_f64 v[16:17], v[22:23], v[16:17], s[30:31]
	v_ldexp_f64 v[14:15], v[14:15], v26
	v_cndmask_b32_e32 v13, v24, v13, vcc
	v_cmp_nlt_f64_e64 s[0:1], s[38:39], v[4:5]
	s_and_b64 vcc, s[2:3], vcc
	v_fma_f64 v[16:17], v[22:23], v[16:17], 1.0
	v_cndmask_b32_e64 v15, v24, v15, s[0:1]
	v_cndmask_b32_e32 v2, 0, v12, vcc
	v_cmp_ngt_f64_e32 vcc, s[40:41], v[4:5]
	v_fma_f64 v[16:17], v[22:23], v[16:17], 1.0
	v_ldexp_f64 v[16:17], v[16:17], v27
	v_cndmask_b32_e32 v5, 0, v15, vcc
	s_and_b64 vcc, vcc, s[0:1]
	v_cndmask_b32_e32 v4, 0, v14, vcc
	v_cmp_nlt_f64_e32 vcc, s[38:39], v[6:7]
	v_cmp_ngt_f64_e64 s[0:1], s[40:41], v[6:7]
	v_cndmask_b32_e64 v3, 0, v13, s[2:3]
	v_cndmask_b32_e32 v12, v24, v17, vcc
	v_cndmask_b32_e64 v7, 0, v12, s[0:1]
	v_mul_f64 v[12:13], v[8:9], s[36:37]
	v_rndne_f64_e32 v[12:13], v[12:13]
	v_fma_f64 v[14:15], s[34:35], v[12:13], v[8:9]
	v_fmac_f64_e32 v[14:15], s[12:13], v[12:13]
	v_fmac_f64_e32 v[10:11], s[14:15], v[14:15]
	v_fma_f64 v[10:11], v[14:15], v[10:11], s[16:17]
	v_fma_f64 v[10:11], v[14:15], v[10:11], s[18:19]
	;; [unrolled: 1-line block ×8, first 2 shown]
	v_fma_f64 v[10:11], v[14:15], v[10:11], 1.0
	s_and_b64 vcc, s[0:1], vcc
	v_fma_f64 v[10:11], v[14:15], v[10:11], 1.0
	v_cvt_i32_f64_e32 v12, v[12:13]
	v_cndmask_b32_e32 v6, 0, v16, vcc
	v_ldexp_f64 v[10:11], v[10:11], v12
	v_cmp_nlt_f64_e32 vcc, s[38:39], v[8:9]
	v_cmp_ngt_f64_e64 s[0:1], s[40:41], v[8:9]
	s_nop 0
	v_cndmask_b32_e32 v11, v24, v11, vcc
	s_and_b64 vcc, s[0:1], vcc
	v_cndmask_b32_e64 v9, 0, v11, s[0:1]
	s_add_u32 s0, s4, s10
	s_addc_u32 s1, s5, s11
	v_cndmask_b32_e32 v8, 0, v10, vcc
	global_store_dwordx4 v1, v[2:5], s[0:1]
	global_store_dwordx4 v1, v[6:9], s[0:1] offset:16
	s_mov_b64 s[0:1], 0
.LBB75_2:
	s_andn2_b64 vcc, exec, s[0:1]
	s_cbranch_vccnz .LBB75_23
; %bb.3:
	v_cmp_gt_i32_e32 vcc, s33, v0
	v_mov_b64_e32 v[16:17], 0
	v_or_b32_e32 v10, s8, v0
	v_mov_b64_e32 v[18:19], 0
	v_mov_b32_e32 v1, v0
	s_and_saveexec_b64 s[0:1], vcc
	s_cbranch_execz .LBB75_5
; %bb.4:
	v_mov_b32_e32 v11, 0
	v_lshl_add_u64 v[2:3], v[10:11], 3, s[6:7]
	global_load_dwordx2 v[18:19], v[2:3], off
	v_or_b32_e32 v1, 0x100, v0
.LBB75_5:
	s_or_b64 exec, exec, s[0:1]
	v_cmp_gt_i32_e64 s[0:1], s33, v1
	s_and_saveexec_b64 s[2:3], s[0:1]
	s_cbranch_execz .LBB75_7
; %bb.6:
	v_add_u32_e32 v2, s8, v1
	v_mov_b32_e32 v3, 0
	v_lshl_add_u64 v[2:3], v[2:3], 3, s[6:7]
	global_load_dwordx2 v[16:17], v[2:3], off
	v_add_u32_e32 v1, 0x100, v1
.LBB75_7:
	s_or_b64 exec, exec, s[2:3]
	v_cmp_gt_i32_e64 s[0:1], s33, v1
	v_mov_b64_e32 v[12:13], 0
	v_mov_b64_e32 v[14:15], 0
	s_and_saveexec_b64 s[2:3], s[0:1]
	s_cbranch_execz .LBB75_9
; %bb.8:
	v_add_u32_e32 v2, s8, v1
	v_mov_b32_e32 v3, 0
	v_lshl_add_u64 v[2:3], v[2:3], 3, s[6:7]
	global_load_dwordx2 v[14:15], v[2:3], off
	v_add_u32_e32 v1, 0x100, v1
.LBB75_9:
	s_or_b64 exec, exec, s[2:3]
	v_cmp_gt_i32_e64 s[0:1], s33, v1
	s_and_saveexec_b64 s[2:3], s[0:1]
	s_cbranch_execz .LBB75_11
; %bb.10:
	v_add_u32_e32 v2, s8, v1
	v_mov_b32_e32 v3, 0
	v_lshl_add_u64 v[2:3], v[2:3], 3, s[6:7]
	global_load_dwordx2 v[12:13], v[2:3], off
.LBB75_11:
	s_or_b64 exec, exec, s[2:3]
	v_mov_b32_e32 v2, 0
	v_mov_b32_e32 v3, v2
	v_mov_b32_e32 v4, v2
	v_mov_b32_e32 v5, v2
	v_mov_b32_e32 v6, v2
	v_mov_b32_e32 v7, v2
	v_mov_b32_e32 v8, v2
	v_mov_b32_e32 v9, v2
	s_and_saveexec_b64 s[6:7], vcc
	s_cbranch_execz .LBB75_13
; %bb.12:
	s_mov_b32 s0, 0x652b82fe
	s_mov_b32 s1, 0x3ff71547
	s_waitcnt vmcnt(0)
	v_mul_f64 v[4:5], v[18:19], s[0:1]
	s_mov_b32 s0, 0xfefa39ef
	v_rndne_f64_e32 v[4:5], v[4:5]
	s_mov_b32 s1, 0xbfe62e42
	v_fma_f64 v[6:7], s[0:1], v[4:5], v[18:19]
	s_mov_b32 s0, 0x3b39803f
	s_mov_b32 s1, 0xbc7abc9e
	v_fmac_f64_e32 v[6:7], s[0:1], v[4:5]
	s_mov_b32 s0, 0x6a5dcb37
	v_mov_b32_e32 v8, 0xfca7ab0c
	v_mov_b32_e32 v9, 0x3e928af3
	s_mov_b32 s1, 0x3e5ade15
	v_fmac_f64_e32 v[8:9], s[0:1], v[6:7]
	v_mov_b32_e32 v20, 0x623fde64
	v_mov_b32_e32 v21, 0x3ec71dee
	v_fmac_f64_e32 v[20:21], v[6:7], v[8:9]
	v_mov_b32_e32 v8, 0x7c89e6b0
	v_mov_b32_e32 v9, 0x3efa0199
	;; [unrolled: 3-line block ×8, first 2 shown]
	v_fmac_f64_e32 v[8:9], v[6:7], v[20:21]
	v_fma_f64 v[8:9], v[6:7], v[8:9], 1.0
	s_mov_b32 s0, 0
	s_mov_b32 s2, 0
	v_fma_f64 v[6:7], v[6:7], v[8:9], 1.0
	v_cvt_i32_f64_e32 v1, v[4:5]
	s_mov_b32 s1, 0x40900000
	s_mov_b32 s3, 0xc090cc00
	v_ldexp_f64 v[4:5], v[6:7], v1
	v_mov_b32_e32 v1, 0x7ff00000
	v_cmp_nlt_f64_e64 s[0:1], s[0:1], v[18:19]
	v_cmp_ngt_f64_e64 s[2:3], s[2:3], v[18:19]
	v_mov_b32_e32 v20, v2
	v_cndmask_b32_e64 v1, v1, v5, s[0:1]
	s_and_b64 s[0:1], s[2:3], s[0:1]
	v_cndmask_b32_e64 v19, 0, v1, s[2:3]
	v_cndmask_b32_e64 v18, 0, v4, s[0:1]
	v_mov_b32_e32 v21, v2
	v_mov_b32_e32 v22, v2
	v_mov_b32_e32 v23, v2
	v_mov_b32_e32 v24, v2
	v_mov_b32_e32 v25, v2
	v_mov_b64_e32 v[2:3], v[18:19]
	v_mov_b64_e32 v[4:5], v[20:21]
	;; [unrolled: 1-line block ×4, first 2 shown]
.LBB75_13:
	s_or_b64 exec, exec, s[6:7]
	v_or_b32_e32 v1, 0x100, v0
	v_cmp_gt_i32_e64 s[0:1], s33, v1
	s_and_saveexec_b64 s[6:7], s[0:1]
	s_cbranch_execz .LBB75_15
; %bb.14:
	s_mov_b32 s0, 0x652b82fe
	s_mov_b32 s1, 0x3ff71547
	s_waitcnt vmcnt(0)
	v_mul_f64 v[4:5], v[16:17], s[0:1]
	s_mov_b32 s0, 0xfefa39ef
	v_rndne_f64_e32 v[4:5], v[4:5]
	s_mov_b32 s1, 0xbfe62e42
	v_fma_f64 v[18:19], s[0:1], v[4:5], v[16:17]
	s_mov_b32 s0, 0x3b39803f
	s_mov_b32 s1, 0xbc7abc9e
	v_fmac_f64_e32 v[18:19], s[0:1], v[4:5]
	s_mov_b32 s0, 0x6a5dcb37
	v_mov_b32_e32 v20, 0xfca7ab0c
	v_mov_b32_e32 v21, 0x3e928af3
	s_mov_b32 s1, 0x3e5ade15
	v_fmac_f64_e32 v[20:21], s[0:1], v[18:19]
	v_mov_b32_e32 v22, 0x623fde64
	v_mov_b32_e32 v23, 0x3ec71dee
	v_fmac_f64_e32 v[22:23], v[18:19], v[20:21]
	v_mov_b32_e32 v20, 0x7c89e6b0
	v_mov_b32_e32 v21, 0x3efa0199
	;; [unrolled: 3-line block ×8, first 2 shown]
	v_fmac_f64_e32 v[20:21], v[18:19], v[22:23]
	v_fma_f64 v[20:21], v[18:19], v[20:21], 1.0
	s_mov_b32 s0, 0
	s_mov_b32 s2, 0
	v_fma_f64 v[18:19], v[18:19], v[20:21], 1.0
	v_cvt_i32_f64_e32 v4, v[4:5]
	s_mov_b32 s1, 0x40900000
	s_mov_b32 s3, 0xc090cc00
	v_ldexp_f64 v[4:5], v[18:19], v4
	v_mov_b32_e32 v11, 0x7ff00000
	v_cmp_nlt_f64_e64 s[0:1], s[0:1], v[16:17]
	v_cmp_ngt_f64_e64 s[2:3], s[2:3], v[16:17]
	s_nop 0
	v_cndmask_b32_e64 v5, v11, v5, s[0:1]
	s_and_b64 s[0:1], s[2:3], s[0:1]
	v_cndmask_b32_e64 v5, 0, v5, s[2:3]
	v_cndmask_b32_e64 v4, 0, v4, s[0:1]
.LBB75_15:
	s_or_b64 exec, exec, s[6:7]
	v_or_b32_e32 v11, 0x200, v0
	v_cmp_gt_i32_e64 s[0:1], s33, v11
	s_and_saveexec_b64 s[6:7], s[0:1]
	s_cbranch_execz .LBB75_17
; %bb.16:
	s_mov_b32 s0, 0x652b82fe
	s_mov_b32 s1, 0x3ff71547
	s_waitcnt vmcnt(0)
	v_mul_f64 v[6:7], v[14:15], s[0:1]
	s_mov_b32 s0, 0xfefa39ef
	v_rndne_f64_e32 v[6:7], v[6:7]
	s_mov_b32 s1, 0xbfe62e42
	v_fma_f64 v[16:17], s[0:1], v[6:7], v[14:15]
	s_mov_b32 s0, 0x3b39803f
	s_mov_b32 s1, 0xbc7abc9e
	v_fmac_f64_e32 v[16:17], s[0:1], v[6:7]
	s_mov_b32 s0, 0x6a5dcb37
	v_mov_b32_e32 v18, 0xfca7ab0c
	v_mov_b32_e32 v19, 0x3e928af3
	s_mov_b32 s1, 0x3e5ade15
	v_fmac_f64_e32 v[18:19], s[0:1], v[16:17]
	v_mov_b32_e32 v20, 0x623fde64
	v_mov_b32_e32 v21, 0x3ec71dee
	v_fmac_f64_e32 v[20:21], v[16:17], v[18:19]
	v_mov_b32_e32 v18, 0x7c89e6b0
	v_mov_b32_e32 v19, 0x3efa0199
	;; [unrolled: 3-line block ×8, first 2 shown]
	v_fmac_f64_e32 v[18:19], v[16:17], v[20:21]
	v_fma_f64 v[18:19], v[16:17], v[18:19], 1.0
	s_mov_b32 s0, 0
	s_mov_b32 s2, 0
	v_fma_f64 v[16:17], v[16:17], v[18:19], 1.0
	v_cvt_i32_f64_e32 v6, v[6:7]
	s_mov_b32 s1, 0x40900000
	s_mov_b32 s3, 0xc090cc00
	v_ldexp_f64 v[6:7], v[16:17], v6
	v_mov_b32_e32 v11, 0x7ff00000
	v_cmp_nlt_f64_e64 s[0:1], s[0:1], v[14:15]
	v_cmp_ngt_f64_e64 s[2:3], s[2:3], v[14:15]
	s_nop 0
	v_cndmask_b32_e64 v7, v11, v7, s[0:1]
	s_and_b64 s[0:1], s[2:3], s[0:1]
	v_cndmask_b32_e64 v7, 0, v7, s[2:3]
	v_cndmask_b32_e64 v6, 0, v6, s[0:1]
.LBB75_17:
	s_or_b64 exec, exec, s[6:7]
	v_or_b32_e32 v11, 0x300, v0
	v_cmp_gt_i32_e64 s[0:1], s33, v11
	s_and_saveexec_b64 s[6:7], s[0:1]
	s_cbranch_execnz .LBB75_24
; %bb.18:
	s_or_b64 exec, exec, s[6:7]
	s_and_saveexec_b64 s[0:1], vcc
	s_xor_b64 s[0:1], exec, s[0:1]
	s_cbranch_execnz .LBB75_25
.LBB75_19:
	s_or_b64 exec, exec, s[0:1]
	v_cmp_gt_i32_e32 vcc, s33, v0
	s_and_saveexec_b64 s[0:1], vcc
	s_cbranch_execnz .LBB75_26
.LBB75_20:
	s_or_b64 exec, exec, s[0:1]
	v_cmp_gt_i32_e32 vcc, s33, v0
	s_and_saveexec_b64 s[0:1], vcc
	s_cbranch_execnz .LBB75_27
.LBB75_21:
	s_or_b64 exec, exec, s[0:1]
	v_cmp_gt_i32_e32 vcc, s33, v0
	s_and_saveexec_b64 s[0:1], vcc
	s_cbranch_execz .LBB75_23
.LBB75_22:
	v_add_u32_e32 v0, s8, v0
	v_mov_b32_e32 v1, 0
	v_lshl_add_u64 v[0:1], v[0:1], 3, s[4:5]
	global_store_dwordx2 v[0:1], v[8:9], off
.LBB75_23:
	s_endpgm
.LBB75_24:
	s_mov_b32 s0, 0x652b82fe
	s_mov_b32 s1, 0x3ff71547
	s_waitcnt vmcnt(0)
	v_mul_f64 v[8:9], v[12:13], s[0:1]
	s_mov_b32 s0, 0xfefa39ef
	v_rndne_f64_e32 v[8:9], v[8:9]
	s_mov_b32 s1, 0xbfe62e42
	v_fma_f64 v[14:15], s[0:1], v[8:9], v[12:13]
	s_mov_b32 s0, 0x3b39803f
	s_mov_b32 s1, 0xbc7abc9e
	v_fmac_f64_e32 v[14:15], s[0:1], v[8:9]
	s_mov_b32 s0, 0x6a5dcb37
	v_mov_b32_e32 v16, 0xfca7ab0c
	v_mov_b32_e32 v17, 0x3e928af3
	s_mov_b32 s1, 0x3e5ade15
	v_fmac_f64_e32 v[16:17], s[0:1], v[14:15]
	v_mov_b32_e32 v18, 0x623fde64
	v_mov_b32_e32 v19, 0x3ec71dee
	v_fmac_f64_e32 v[18:19], v[14:15], v[16:17]
	v_mov_b32_e32 v16, 0x7c89e6b0
	v_mov_b32_e32 v17, 0x3efa0199
	;; [unrolled: 3-line block ×8, first 2 shown]
	v_fmac_f64_e32 v[16:17], v[14:15], v[18:19]
	v_fma_f64 v[16:17], v[14:15], v[16:17], 1.0
	s_mov_b32 s0, 0
	s_mov_b32 s2, 0
	v_fma_f64 v[14:15], v[14:15], v[16:17], 1.0
	v_cvt_i32_f64_e32 v8, v[8:9]
	s_mov_b32 s1, 0x40900000
	s_mov_b32 s3, 0xc090cc00
	v_ldexp_f64 v[8:9], v[14:15], v8
	v_mov_b32_e32 v11, 0x7ff00000
	v_cmp_nlt_f64_e64 s[0:1], s[0:1], v[12:13]
	v_cmp_ngt_f64_e64 s[2:3], s[2:3], v[12:13]
	s_nop 0
	v_cndmask_b32_e64 v9, v11, v9, s[0:1]
	s_and_b64 s[0:1], s[2:3], s[0:1]
	v_cndmask_b32_e64 v9, 0, v9, s[2:3]
	v_cndmask_b32_e64 v8, 0, v8, s[0:1]
	s_or_b64 exec, exec, s[6:7]
	s_and_saveexec_b64 s[0:1], vcc
	s_xor_b64 s[0:1], exec, s[0:1]
	s_cbranch_execz .LBB75_19
.LBB75_25:
	v_mov_b32_e32 v11, 0
	v_lshl_add_u64 v[10:11], v[10:11], 3, s[4:5]
	v_mov_b32_e32 v0, v1
	global_store_dwordx2 v[10:11], v[2:3], off
	s_or_b64 exec, exec, s[0:1]
	v_cmp_gt_i32_e32 vcc, s33, v0
	s_and_saveexec_b64 s[0:1], vcc
	s_cbranch_execz .LBB75_20
.LBB75_26:
	v_add_u32_e32 v2, s8, v0
	v_mov_b32_e32 v3, 0
	v_lshl_add_u64 v[2:3], v[2:3], 3, s[4:5]
	v_add_u32_e32 v0, 0x100, v0
	global_store_dwordx2 v[2:3], v[4:5], off
	s_or_b64 exec, exec, s[0:1]
	v_cmp_gt_i32_e32 vcc, s33, v0
	s_and_saveexec_b64 s[0:1], vcc
	s_cbranch_execz .LBB75_21
.LBB75_27:
	v_add_u32_e32 v2, s8, v0
	v_mov_b32_e32 v3, 0
	v_lshl_add_u64 v[2:3], v[2:3], 3, s[4:5]
	v_add_u32_e32 v0, 0x100, v0
	global_store_dwordx2 v[2:3], v[6:7], off
	s_or_b64 exec, exec, s[0:1]
	v_cmp_gt_i32_e32 vcc, s33, v0
	s_and_saveexec_b64 s[0:1], vcc
	s_cbranch_execnz .LBB75_22
	s_branch .LBB75_23
	.section	.rodata,"a",@progbits
	.p2align	6, 0x0
	.amdhsa_kernel _ZN2at6native29vectorized_elementwise_kernelILi8EZZZNS0_15exp_kernel_cudaERNS_18TensorIteratorBaseEENKUlvE0_clEvENKUlvE_clEvEUldE_St5arrayIPcLm2EEEEviT0_T1_
		.amdhsa_group_segment_fixed_size 0
		.amdhsa_private_segment_fixed_size 0
		.amdhsa_kernarg_size 24
		.amdhsa_user_sgpr_count 2
		.amdhsa_user_sgpr_dispatch_ptr 0
		.amdhsa_user_sgpr_queue_ptr 0
		.amdhsa_user_sgpr_kernarg_segment_ptr 1
		.amdhsa_user_sgpr_dispatch_id 0
		.amdhsa_user_sgpr_kernarg_preload_length 0
		.amdhsa_user_sgpr_kernarg_preload_offset 0
		.amdhsa_user_sgpr_private_segment_size 0
		.amdhsa_uses_dynamic_stack 0
		.amdhsa_enable_private_segment 0
		.amdhsa_system_sgpr_workgroup_id_x 1
		.amdhsa_system_sgpr_workgroup_id_y 0
		.amdhsa_system_sgpr_workgroup_id_z 0
		.amdhsa_system_sgpr_workgroup_info 0
		.amdhsa_system_vgpr_workitem_id 0
		.amdhsa_next_free_vgpr 28
		.amdhsa_next_free_sgpr 42
		.amdhsa_accum_offset 28
		.amdhsa_reserve_vcc 1
		.amdhsa_float_round_mode_32 0
		.amdhsa_float_round_mode_16_64 0
		.amdhsa_float_denorm_mode_32 3
		.amdhsa_float_denorm_mode_16_64 3
		.amdhsa_dx10_clamp 1
		.amdhsa_ieee_mode 1
		.amdhsa_fp16_overflow 0
		.amdhsa_tg_split 0
		.amdhsa_exception_fp_ieee_invalid_op 0
		.amdhsa_exception_fp_denorm_src 0
		.amdhsa_exception_fp_ieee_div_zero 0
		.amdhsa_exception_fp_ieee_overflow 0
		.amdhsa_exception_fp_ieee_underflow 0
		.amdhsa_exception_fp_ieee_inexact 0
		.amdhsa_exception_int_div_zero 0
	.end_amdhsa_kernel
	.section	.text._ZN2at6native29vectorized_elementwise_kernelILi8EZZZNS0_15exp_kernel_cudaERNS_18TensorIteratorBaseEENKUlvE0_clEvENKUlvE_clEvEUldE_St5arrayIPcLm2EEEEviT0_T1_,"axG",@progbits,_ZN2at6native29vectorized_elementwise_kernelILi8EZZZNS0_15exp_kernel_cudaERNS_18TensorIteratorBaseEENKUlvE0_clEvENKUlvE_clEvEUldE_St5arrayIPcLm2EEEEviT0_T1_,comdat
.Lfunc_end75:
	.size	_ZN2at6native29vectorized_elementwise_kernelILi8EZZZNS0_15exp_kernel_cudaERNS_18TensorIteratorBaseEENKUlvE0_clEvENKUlvE_clEvEUldE_St5arrayIPcLm2EEEEviT0_T1_, .Lfunc_end75-_ZN2at6native29vectorized_elementwise_kernelILi8EZZZNS0_15exp_kernel_cudaERNS_18TensorIteratorBaseEENKUlvE0_clEvENKUlvE_clEvEUldE_St5arrayIPcLm2EEEEviT0_T1_
                                        ; -- End function
	.set _ZN2at6native29vectorized_elementwise_kernelILi8EZZZNS0_15exp_kernel_cudaERNS_18TensorIteratorBaseEENKUlvE0_clEvENKUlvE_clEvEUldE_St5arrayIPcLm2EEEEviT0_T1_.num_vgpr, 28
	.set _ZN2at6native29vectorized_elementwise_kernelILi8EZZZNS0_15exp_kernel_cudaERNS_18TensorIteratorBaseEENKUlvE0_clEvENKUlvE_clEvEUldE_St5arrayIPcLm2EEEEviT0_T1_.num_agpr, 0
	.set _ZN2at6native29vectorized_elementwise_kernelILi8EZZZNS0_15exp_kernel_cudaERNS_18TensorIteratorBaseEENKUlvE0_clEvENKUlvE_clEvEUldE_St5arrayIPcLm2EEEEviT0_T1_.numbered_sgpr, 42
	.set _ZN2at6native29vectorized_elementwise_kernelILi8EZZZNS0_15exp_kernel_cudaERNS_18TensorIteratorBaseEENKUlvE0_clEvENKUlvE_clEvEUldE_St5arrayIPcLm2EEEEviT0_T1_.num_named_barrier, 0
	.set _ZN2at6native29vectorized_elementwise_kernelILi8EZZZNS0_15exp_kernel_cudaERNS_18TensorIteratorBaseEENKUlvE0_clEvENKUlvE_clEvEUldE_St5arrayIPcLm2EEEEviT0_T1_.private_seg_size, 0
	.set _ZN2at6native29vectorized_elementwise_kernelILi8EZZZNS0_15exp_kernel_cudaERNS_18TensorIteratorBaseEENKUlvE0_clEvENKUlvE_clEvEUldE_St5arrayIPcLm2EEEEviT0_T1_.uses_vcc, 1
	.set _ZN2at6native29vectorized_elementwise_kernelILi8EZZZNS0_15exp_kernel_cudaERNS_18TensorIteratorBaseEENKUlvE0_clEvENKUlvE_clEvEUldE_St5arrayIPcLm2EEEEviT0_T1_.uses_flat_scratch, 0
	.set _ZN2at6native29vectorized_elementwise_kernelILi8EZZZNS0_15exp_kernel_cudaERNS_18TensorIteratorBaseEENKUlvE0_clEvENKUlvE_clEvEUldE_St5arrayIPcLm2EEEEviT0_T1_.has_dyn_sized_stack, 0
	.set _ZN2at6native29vectorized_elementwise_kernelILi8EZZZNS0_15exp_kernel_cudaERNS_18TensorIteratorBaseEENKUlvE0_clEvENKUlvE_clEvEUldE_St5arrayIPcLm2EEEEviT0_T1_.has_recursion, 0
	.set _ZN2at6native29vectorized_elementwise_kernelILi8EZZZNS0_15exp_kernel_cudaERNS_18TensorIteratorBaseEENKUlvE0_clEvENKUlvE_clEvEUldE_St5arrayIPcLm2EEEEviT0_T1_.has_indirect_call, 0
	.section	.AMDGPU.csdata,"",@progbits
; Kernel info:
; codeLenInByte = 3112
; TotalNumSgprs: 48
; NumVgprs: 28
; NumAgprs: 0
; TotalNumVgprs: 28
; ScratchSize: 0
; MemoryBound: 0
; FloatMode: 240
; IeeeMode: 1
; LDSByteSize: 0 bytes/workgroup (compile time only)
; SGPRBlocks: 5
; VGPRBlocks: 3
; NumSGPRsForWavesPerEU: 48
; NumVGPRsForWavesPerEU: 28
; AccumOffset: 28
; Occupancy: 8
; WaveLimiterHint : 0
; COMPUTE_PGM_RSRC2:SCRATCH_EN: 0
; COMPUTE_PGM_RSRC2:USER_SGPR: 2
; COMPUTE_PGM_RSRC2:TRAP_HANDLER: 0
; COMPUTE_PGM_RSRC2:TGID_X_EN: 1
; COMPUTE_PGM_RSRC2:TGID_Y_EN: 0
; COMPUTE_PGM_RSRC2:TGID_Z_EN: 0
; COMPUTE_PGM_RSRC2:TIDIG_COMP_CNT: 0
; COMPUTE_PGM_RSRC3_GFX90A:ACCUM_OFFSET: 6
; COMPUTE_PGM_RSRC3_GFX90A:TG_SPLIT: 0
	.section	.text._ZN2at6native29vectorized_elementwise_kernelILi4EZZZNS0_15exp_kernel_cudaERNS_18TensorIteratorBaseEENKUlvE0_clEvENKUlvE_clEvEUldE_St5arrayIPcLm2EEEEviT0_T1_,"axG",@progbits,_ZN2at6native29vectorized_elementwise_kernelILi4EZZZNS0_15exp_kernel_cudaERNS_18TensorIteratorBaseEENKUlvE0_clEvENKUlvE_clEvEUldE_St5arrayIPcLm2EEEEviT0_T1_,comdat
	.globl	_ZN2at6native29vectorized_elementwise_kernelILi4EZZZNS0_15exp_kernel_cudaERNS_18TensorIteratorBaseEENKUlvE0_clEvENKUlvE_clEvEUldE_St5arrayIPcLm2EEEEviT0_T1_ ; -- Begin function _ZN2at6native29vectorized_elementwise_kernelILi4EZZZNS0_15exp_kernel_cudaERNS_18TensorIteratorBaseEENKUlvE0_clEvENKUlvE_clEvEUldE_St5arrayIPcLm2EEEEviT0_T1_
	.p2align	8
	.type	_ZN2at6native29vectorized_elementwise_kernelILi4EZZZNS0_15exp_kernel_cudaERNS_18TensorIteratorBaseEENKUlvE0_clEvENKUlvE_clEvEUldE_St5arrayIPcLm2EEEEviT0_T1_,@function
_ZN2at6native29vectorized_elementwise_kernelILi4EZZZNS0_15exp_kernel_cudaERNS_18TensorIteratorBaseEENKUlvE0_clEvENKUlvE_clEvEUldE_St5arrayIPcLm2EEEEviT0_T1_: ; @_ZN2at6native29vectorized_elementwise_kernelILi4EZZZNS0_15exp_kernel_cudaERNS_18TensorIteratorBaseEENKUlvE0_clEvENKUlvE_clEvEUldE_St5arrayIPcLm2EEEEviT0_T1_
; %bb.0:
	s_load_dword s3, s[0:1], 0x0
	s_load_dwordx4 s[4:7], s[0:1], 0x8
	s_lshl_b32 s8, s2, 10
	s_mov_b64 s[0:1], -1
	s_waitcnt lgkmcnt(0)
	s_sub_i32 s33, s3, s8
	s_cmpk_gt_i32 s33, 0x3ff
	s_cbranch_scc0 .LBB76_2
; %bb.1:
	s_ashr_i32 s9, s8, 31
	s_lshl_b64 s[10:11], s[8:9], 3
	s_add_u32 s0, s6, s10
	s_addc_u32 s1, s7, s11
	v_lshlrev_b32_e32 v1, 5, v0
	global_load_dwordx4 v[2:5], v1, s[0:1]
	global_load_dwordx4 v[6:9], v1, s[0:1] offset:16
	s_mov_b32 s36, 0x652b82fe
	s_mov_b32 s37, 0x3ff71547
	;; [unrolled: 1-line block ×11, first 2 shown]
	v_mov_b64_e32 v[10:11], s[0:1]
	s_mov_b32 s17, 0x3ec71dee
	s_mov_b32 s18, 0x7c89e6b0
	s_mov_b32 s19, 0x3efa0199
	s_mov_b32 s20, 0x14761f6e
	s_mov_b32 s21, 0x3f2a01a0
	s_mov_b32 s22, 0x1852b7b0
	s_mov_b32 s23, 0x3f56c16c
	s_mov_b32 s24, 0x11122322
	s_mov_b32 s25, 0x3f811111
	s_mov_b32 s26, 0x555502a1
	s_mov_b32 s27, 0x3fa55555
	s_mov_b32 s28, 0x55555511
	s_mov_b32 s29, 0x3fc55555
	s_mov_b32 s30, 11
	s_mov_b32 s31, 0x3fe00000
	s_mov_b32 s38, 0
	s_mov_b32 s40, 0
	s_mov_b32 s39, 0x40900000
	s_mov_b32 s41, 0xc090cc00
	v_mov_b32_e32 v24, 0x7ff00000
	s_waitcnt vmcnt(1)
	v_mul_f64 v[12:13], v[2:3], s[36:37]
	v_mul_f64 v[14:15], v[4:5], s[36:37]
	v_rndne_f64_e32 v[12:13], v[12:13]
	v_rndne_f64_e32 v[14:15], v[14:15]
	v_fma_f64 v[18:19], s[34:35], v[12:13], v[2:3]
	v_fma_f64 v[20:21], s[34:35], v[14:15], v[4:5]
	v_fmac_f64_e32 v[18:19], s[12:13], v[12:13]
	s_waitcnt vmcnt(0)
	v_mul_f64 v[16:17], v[6:7], s[36:37]
	v_cvt_i32_f64_e32 v25, v[12:13]
	v_fmac_f64_e32 v[20:21], s[12:13], v[14:15]
	v_fma_f64 v[12:13], s[14:15], v[18:19], v[10:11]
	v_rndne_f64_e32 v[16:17], v[16:17]
	v_cvt_i32_f64_e32 v26, v[14:15]
	v_fma_f64 v[14:15], s[14:15], v[20:21], v[10:11]
	v_fma_f64 v[12:13], v[18:19], v[12:13], s[16:17]
	;; [unrolled: 1-line block ×5, first 2 shown]
	v_fmac_f64_e32 v[22:23], s[12:13], v[16:17]
	v_fma_f64 v[14:15], v[20:21], v[14:15], s[18:19]
	v_fma_f64 v[12:13], v[18:19], v[12:13], s[20:21]
	v_cvt_i32_f64_e32 v27, v[16:17]
	v_fma_f64 v[16:17], s[14:15], v[22:23], v[10:11]
	v_fma_f64 v[14:15], v[20:21], v[14:15], s[20:21]
	;; [unrolled: 1-line block ×17, first 2 shown]
	v_fma_f64 v[12:13], v[18:19], v[12:13], 1.0
	v_fma_f64 v[16:17], v[22:23], v[16:17], s[26:27]
	v_fma_f64 v[14:15], v[20:21], v[14:15], 1.0
	v_fma_f64 v[12:13], v[18:19], v[12:13], 1.0
	v_fma_f64 v[16:17], v[22:23], v[16:17], s[28:29]
	v_fma_f64 v[14:15], v[20:21], v[14:15], 1.0
	v_ldexp_f64 v[12:13], v[12:13], v25
	v_cmp_nlt_f64_e32 vcc, s[38:39], v[2:3]
	v_cmp_ngt_f64_e64 s[2:3], s[40:41], v[2:3]
	v_fma_f64 v[16:17], v[22:23], v[16:17], s[30:31]
	v_ldexp_f64 v[14:15], v[14:15], v26
	v_cndmask_b32_e32 v13, v24, v13, vcc
	v_cmp_nlt_f64_e64 s[0:1], s[38:39], v[4:5]
	s_and_b64 vcc, s[2:3], vcc
	v_fma_f64 v[16:17], v[22:23], v[16:17], 1.0
	v_cndmask_b32_e64 v15, v24, v15, s[0:1]
	v_cndmask_b32_e32 v2, 0, v12, vcc
	v_cmp_ngt_f64_e32 vcc, s[40:41], v[4:5]
	v_fma_f64 v[16:17], v[22:23], v[16:17], 1.0
	v_ldexp_f64 v[16:17], v[16:17], v27
	v_cndmask_b32_e32 v5, 0, v15, vcc
	s_and_b64 vcc, vcc, s[0:1]
	v_cndmask_b32_e32 v4, 0, v14, vcc
	v_cmp_nlt_f64_e32 vcc, s[38:39], v[6:7]
	v_cmp_ngt_f64_e64 s[0:1], s[40:41], v[6:7]
	v_cndmask_b32_e64 v3, 0, v13, s[2:3]
	v_cndmask_b32_e32 v12, v24, v17, vcc
	v_cndmask_b32_e64 v7, 0, v12, s[0:1]
	v_mul_f64 v[12:13], v[8:9], s[36:37]
	v_rndne_f64_e32 v[12:13], v[12:13]
	v_fma_f64 v[14:15], s[34:35], v[12:13], v[8:9]
	v_fmac_f64_e32 v[14:15], s[12:13], v[12:13]
	v_fmac_f64_e32 v[10:11], s[14:15], v[14:15]
	v_fma_f64 v[10:11], v[14:15], v[10:11], s[16:17]
	v_fma_f64 v[10:11], v[14:15], v[10:11], s[18:19]
	;; [unrolled: 1-line block ×8, first 2 shown]
	v_fma_f64 v[10:11], v[14:15], v[10:11], 1.0
	s_and_b64 vcc, s[0:1], vcc
	v_fma_f64 v[10:11], v[14:15], v[10:11], 1.0
	v_cvt_i32_f64_e32 v12, v[12:13]
	v_cndmask_b32_e32 v6, 0, v16, vcc
	v_ldexp_f64 v[10:11], v[10:11], v12
	v_cmp_nlt_f64_e32 vcc, s[38:39], v[8:9]
	v_cmp_ngt_f64_e64 s[0:1], s[40:41], v[8:9]
	s_nop 0
	v_cndmask_b32_e32 v11, v24, v11, vcc
	s_and_b64 vcc, s[0:1], vcc
	v_cndmask_b32_e64 v9, 0, v11, s[0:1]
	s_add_u32 s0, s4, s10
	s_addc_u32 s1, s5, s11
	v_cndmask_b32_e32 v8, 0, v10, vcc
	global_store_dwordx4 v1, v[2:5], s[0:1]
	global_store_dwordx4 v1, v[6:9], s[0:1] offset:16
	s_mov_b64 s[0:1], 0
.LBB76_2:
	s_andn2_b64 vcc, exec, s[0:1]
	s_cbranch_vccnz .LBB76_23
; %bb.3:
	v_cmp_gt_i32_e32 vcc, s33, v0
	v_mov_b64_e32 v[16:17], 0
	v_or_b32_e32 v10, s8, v0
	v_mov_b64_e32 v[18:19], 0
	v_mov_b32_e32 v1, v0
	s_and_saveexec_b64 s[0:1], vcc
	s_cbranch_execz .LBB76_5
; %bb.4:
	v_mov_b32_e32 v11, 0
	v_lshl_add_u64 v[2:3], v[10:11], 3, s[6:7]
	global_load_dwordx2 v[18:19], v[2:3], off
	v_or_b32_e32 v1, 0x100, v0
.LBB76_5:
	s_or_b64 exec, exec, s[0:1]
	v_cmp_gt_i32_e64 s[0:1], s33, v1
	s_and_saveexec_b64 s[2:3], s[0:1]
	s_cbranch_execz .LBB76_7
; %bb.6:
	v_add_u32_e32 v2, s8, v1
	v_mov_b32_e32 v3, 0
	v_lshl_add_u64 v[2:3], v[2:3], 3, s[6:7]
	global_load_dwordx2 v[16:17], v[2:3], off
	v_add_u32_e32 v1, 0x100, v1
.LBB76_7:
	s_or_b64 exec, exec, s[2:3]
	v_cmp_gt_i32_e64 s[0:1], s33, v1
	v_mov_b64_e32 v[12:13], 0
	v_mov_b64_e32 v[14:15], 0
	s_and_saveexec_b64 s[2:3], s[0:1]
	s_cbranch_execz .LBB76_9
; %bb.8:
	v_add_u32_e32 v2, s8, v1
	v_mov_b32_e32 v3, 0
	v_lshl_add_u64 v[2:3], v[2:3], 3, s[6:7]
	global_load_dwordx2 v[14:15], v[2:3], off
	v_add_u32_e32 v1, 0x100, v1
.LBB76_9:
	s_or_b64 exec, exec, s[2:3]
	v_cmp_gt_i32_e64 s[0:1], s33, v1
	s_and_saveexec_b64 s[2:3], s[0:1]
	s_cbranch_execz .LBB76_11
; %bb.10:
	v_add_u32_e32 v2, s8, v1
	v_mov_b32_e32 v3, 0
	v_lshl_add_u64 v[2:3], v[2:3], 3, s[6:7]
	global_load_dwordx2 v[12:13], v[2:3], off
.LBB76_11:
	s_or_b64 exec, exec, s[2:3]
	v_mov_b32_e32 v2, 0
	v_mov_b32_e32 v3, v2
	;; [unrolled: 1-line block ×8, first 2 shown]
	s_and_saveexec_b64 s[6:7], vcc
	s_cbranch_execz .LBB76_13
; %bb.12:
	s_mov_b32 s0, 0x652b82fe
	s_mov_b32 s1, 0x3ff71547
	s_waitcnt vmcnt(0)
	v_mul_f64 v[4:5], v[18:19], s[0:1]
	s_mov_b32 s0, 0xfefa39ef
	v_rndne_f64_e32 v[4:5], v[4:5]
	s_mov_b32 s1, 0xbfe62e42
	v_fma_f64 v[6:7], s[0:1], v[4:5], v[18:19]
	s_mov_b32 s0, 0x3b39803f
	s_mov_b32 s1, 0xbc7abc9e
	v_fmac_f64_e32 v[6:7], s[0:1], v[4:5]
	s_mov_b32 s0, 0x6a5dcb37
	v_mov_b32_e32 v8, 0xfca7ab0c
	v_mov_b32_e32 v9, 0x3e928af3
	s_mov_b32 s1, 0x3e5ade15
	v_fmac_f64_e32 v[8:9], s[0:1], v[6:7]
	v_mov_b32_e32 v20, 0x623fde64
	v_mov_b32_e32 v21, 0x3ec71dee
	v_fmac_f64_e32 v[20:21], v[6:7], v[8:9]
	v_mov_b32_e32 v8, 0x7c89e6b0
	v_mov_b32_e32 v9, 0x3efa0199
	;; [unrolled: 3-line block ×8, first 2 shown]
	v_fmac_f64_e32 v[8:9], v[6:7], v[20:21]
	v_fma_f64 v[8:9], v[6:7], v[8:9], 1.0
	s_mov_b32 s0, 0
	s_mov_b32 s2, 0
	v_fma_f64 v[6:7], v[6:7], v[8:9], 1.0
	v_cvt_i32_f64_e32 v1, v[4:5]
	s_mov_b32 s1, 0x40900000
	s_mov_b32 s3, 0xc090cc00
	v_ldexp_f64 v[4:5], v[6:7], v1
	v_mov_b32_e32 v1, 0x7ff00000
	v_cmp_nlt_f64_e64 s[0:1], s[0:1], v[18:19]
	v_cmp_ngt_f64_e64 s[2:3], s[2:3], v[18:19]
	v_mov_b32_e32 v20, v2
	v_cndmask_b32_e64 v1, v1, v5, s[0:1]
	s_and_b64 s[0:1], s[2:3], s[0:1]
	v_cndmask_b32_e64 v19, 0, v1, s[2:3]
	v_cndmask_b32_e64 v18, 0, v4, s[0:1]
	v_mov_b32_e32 v21, v2
	v_mov_b32_e32 v22, v2
	;; [unrolled: 1-line block ×5, first 2 shown]
	v_mov_b64_e32 v[2:3], v[18:19]
	v_mov_b64_e32 v[4:5], v[20:21]
	;; [unrolled: 1-line block ×4, first 2 shown]
.LBB76_13:
	s_or_b64 exec, exec, s[6:7]
	v_or_b32_e32 v1, 0x100, v0
	v_cmp_gt_i32_e64 s[0:1], s33, v1
	s_and_saveexec_b64 s[6:7], s[0:1]
	s_cbranch_execz .LBB76_15
; %bb.14:
	s_mov_b32 s0, 0x652b82fe
	s_mov_b32 s1, 0x3ff71547
	s_waitcnt vmcnt(0)
	v_mul_f64 v[4:5], v[16:17], s[0:1]
	s_mov_b32 s0, 0xfefa39ef
	v_rndne_f64_e32 v[4:5], v[4:5]
	s_mov_b32 s1, 0xbfe62e42
	v_fma_f64 v[18:19], s[0:1], v[4:5], v[16:17]
	s_mov_b32 s0, 0x3b39803f
	s_mov_b32 s1, 0xbc7abc9e
	v_fmac_f64_e32 v[18:19], s[0:1], v[4:5]
	s_mov_b32 s0, 0x6a5dcb37
	v_mov_b32_e32 v20, 0xfca7ab0c
	v_mov_b32_e32 v21, 0x3e928af3
	s_mov_b32 s1, 0x3e5ade15
	v_fmac_f64_e32 v[20:21], s[0:1], v[18:19]
	v_mov_b32_e32 v22, 0x623fde64
	v_mov_b32_e32 v23, 0x3ec71dee
	v_fmac_f64_e32 v[22:23], v[18:19], v[20:21]
	v_mov_b32_e32 v20, 0x7c89e6b0
	v_mov_b32_e32 v21, 0x3efa0199
	;; [unrolled: 3-line block ×8, first 2 shown]
	v_fmac_f64_e32 v[20:21], v[18:19], v[22:23]
	v_fma_f64 v[20:21], v[18:19], v[20:21], 1.0
	s_mov_b32 s0, 0
	s_mov_b32 s2, 0
	v_fma_f64 v[18:19], v[18:19], v[20:21], 1.0
	v_cvt_i32_f64_e32 v4, v[4:5]
	s_mov_b32 s1, 0x40900000
	s_mov_b32 s3, 0xc090cc00
	v_ldexp_f64 v[4:5], v[18:19], v4
	v_mov_b32_e32 v11, 0x7ff00000
	v_cmp_nlt_f64_e64 s[0:1], s[0:1], v[16:17]
	v_cmp_ngt_f64_e64 s[2:3], s[2:3], v[16:17]
	s_nop 0
	v_cndmask_b32_e64 v5, v11, v5, s[0:1]
	s_and_b64 s[0:1], s[2:3], s[0:1]
	v_cndmask_b32_e64 v5, 0, v5, s[2:3]
	v_cndmask_b32_e64 v4, 0, v4, s[0:1]
.LBB76_15:
	s_or_b64 exec, exec, s[6:7]
	v_or_b32_e32 v11, 0x200, v0
	v_cmp_gt_i32_e64 s[0:1], s33, v11
	s_and_saveexec_b64 s[6:7], s[0:1]
	s_cbranch_execz .LBB76_17
; %bb.16:
	s_mov_b32 s0, 0x652b82fe
	s_mov_b32 s1, 0x3ff71547
	s_waitcnt vmcnt(0)
	v_mul_f64 v[6:7], v[14:15], s[0:1]
	s_mov_b32 s0, 0xfefa39ef
	v_rndne_f64_e32 v[6:7], v[6:7]
	s_mov_b32 s1, 0xbfe62e42
	v_fma_f64 v[16:17], s[0:1], v[6:7], v[14:15]
	s_mov_b32 s0, 0x3b39803f
	s_mov_b32 s1, 0xbc7abc9e
	v_fmac_f64_e32 v[16:17], s[0:1], v[6:7]
	s_mov_b32 s0, 0x6a5dcb37
	v_mov_b32_e32 v18, 0xfca7ab0c
	v_mov_b32_e32 v19, 0x3e928af3
	s_mov_b32 s1, 0x3e5ade15
	v_fmac_f64_e32 v[18:19], s[0:1], v[16:17]
	v_mov_b32_e32 v20, 0x623fde64
	v_mov_b32_e32 v21, 0x3ec71dee
	v_fmac_f64_e32 v[20:21], v[16:17], v[18:19]
	v_mov_b32_e32 v18, 0x7c89e6b0
	v_mov_b32_e32 v19, 0x3efa0199
	;; [unrolled: 3-line block ×8, first 2 shown]
	v_fmac_f64_e32 v[18:19], v[16:17], v[20:21]
	v_fma_f64 v[18:19], v[16:17], v[18:19], 1.0
	s_mov_b32 s0, 0
	s_mov_b32 s2, 0
	v_fma_f64 v[16:17], v[16:17], v[18:19], 1.0
	v_cvt_i32_f64_e32 v6, v[6:7]
	s_mov_b32 s1, 0x40900000
	s_mov_b32 s3, 0xc090cc00
	v_ldexp_f64 v[6:7], v[16:17], v6
	v_mov_b32_e32 v11, 0x7ff00000
	v_cmp_nlt_f64_e64 s[0:1], s[0:1], v[14:15]
	v_cmp_ngt_f64_e64 s[2:3], s[2:3], v[14:15]
	s_nop 0
	v_cndmask_b32_e64 v7, v11, v7, s[0:1]
	s_and_b64 s[0:1], s[2:3], s[0:1]
	v_cndmask_b32_e64 v7, 0, v7, s[2:3]
	v_cndmask_b32_e64 v6, 0, v6, s[0:1]
.LBB76_17:
	s_or_b64 exec, exec, s[6:7]
	v_or_b32_e32 v11, 0x300, v0
	v_cmp_gt_i32_e64 s[0:1], s33, v11
	s_and_saveexec_b64 s[6:7], s[0:1]
	s_cbranch_execnz .LBB76_24
; %bb.18:
	s_or_b64 exec, exec, s[6:7]
	s_and_saveexec_b64 s[0:1], vcc
	s_xor_b64 s[0:1], exec, s[0:1]
	s_cbranch_execnz .LBB76_25
.LBB76_19:
	s_or_b64 exec, exec, s[0:1]
	v_cmp_gt_i32_e32 vcc, s33, v0
	s_and_saveexec_b64 s[0:1], vcc
	s_cbranch_execnz .LBB76_26
.LBB76_20:
	s_or_b64 exec, exec, s[0:1]
	v_cmp_gt_i32_e32 vcc, s33, v0
	s_and_saveexec_b64 s[0:1], vcc
	s_cbranch_execnz .LBB76_27
.LBB76_21:
	s_or_b64 exec, exec, s[0:1]
	v_cmp_gt_i32_e32 vcc, s33, v0
	s_and_saveexec_b64 s[0:1], vcc
	s_cbranch_execz .LBB76_23
.LBB76_22:
	v_add_u32_e32 v0, s8, v0
	v_mov_b32_e32 v1, 0
	v_lshl_add_u64 v[0:1], v[0:1], 3, s[4:5]
	global_store_dwordx2 v[0:1], v[8:9], off
.LBB76_23:
	s_endpgm
.LBB76_24:
	s_mov_b32 s0, 0x652b82fe
	s_mov_b32 s1, 0x3ff71547
	s_waitcnt vmcnt(0)
	v_mul_f64 v[8:9], v[12:13], s[0:1]
	s_mov_b32 s0, 0xfefa39ef
	v_rndne_f64_e32 v[8:9], v[8:9]
	s_mov_b32 s1, 0xbfe62e42
	v_fma_f64 v[14:15], s[0:1], v[8:9], v[12:13]
	s_mov_b32 s0, 0x3b39803f
	s_mov_b32 s1, 0xbc7abc9e
	v_fmac_f64_e32 v[14:15], s[0:1], v[8:9]
	s_mov_b32 s0, 0x6a5dcb37
	v_mov_b32_e32 v16, 0xfca7ab0c
	v_mov_b32_e32 v17, 0x3e928af3
	s_mov_b32 s1, 0x3e5ade15
	v_fmac_f64_e32 v[16:17], s[0:1], v[14:15]
	v_mov_b32_e32 v18, 0x623fde64
	v_mov_b32_e32 v19, 0x3ec71dee
	v_fmac_f64_e32 v[18:19], v[14:15], v[16:17]
	v_mov_b32_e32 v16, 0x7c89e6b0
	v_mov_b32_e32 v17, 0x3efa0199
	;; [unrolled: 3-line block ×8, first 2 shown]
	v_fmac_f64_e32 v[16:17], v[14:15], v[18:19]
	v_fma_f64 v[16:17], v[14:15], v[16:17], 1.0
	s_mov_b32 s0, 0
	s_mov_b32 s2, 0
	v_fma_f64 v[14:15], v[14:15], v[16:17], 1.0
	v_cvt_i32_f64_e32 v8, v[8:9]
	s_mov_b32 s1, 0x40900000
	s_mov_b32 s3, 0xc090cc00
	v_ldexp_f64 v[8:9], v[14:15], v8
	v_mov_b32_e32 v11, 0x7ff00000
	v_cmp_nlt_f64_e64 s[0:1], s[0:1], v[12:13]
	v_cmp_ngt_f64_e64 s[2:3], s[2:3], v[12:13]
	s_nop 0
	v_cndmask_b32_e64 v9, v11, v9, s[0:1]
	s_and_b64 s[0:1], s[2:3], s[0:1]
	v_cndmask_b32_e64 v9, 0, v9, s[2:3]
	v_cndmask_b32_e64 v8, 0, v8, s[0:1]
	s_or_b64 exec, exec, s[6:7]
	s_and_saveexec_b64 s[0:1], vcc
	s_xor_b64 s[0:1], exec, s[0:1]
	s_cbranch_execz .LBB76_19
.LBB76_25:
	v_mov_b32_e32 v11, 0
	v_lshl_add_u64 v[10:11], v[10:11], 3, s[4:5]
	v_mov_b32_e32 v0, v1
	global_store_dwordx2 v[10:11], v[2:3], off
	s_or_b64 exec, exec, s[0:1]
	v_cmp_gt_i32_e32 vcc, s33, v0
	s_and_saveexec_b64 s[0:1], vcc
	s_cbranch_execz .LBB76_20
.LBB76_26:
	v_add_u32_e32 v2, s8, v0
	v_mov_b32_e32 v3, 0
	v_lshl_add_u64 v[2:3], v[2:3], 3, s[4:5]
	v_add_u32_e32 v0, 0x100, v0
	global_store_dwordx2 v[2:3], v[4:5], off
	s_or_b64 exec, exec, s[0:1]
	v_cmp_gt_i32_e32 vcc, s33, v0
	s_and_saveexec_b64 s[0:1], vcc
	s_cbranch_execz .LBB76_21
.LBB76_27:
	v_add_u32_e32 v2, s8, v0
	v_mov_b32_e32 v3, 0
	v_lshl_add_u64 v[2:3], v[2:3], 3, s[4:5]
	v_add_u32_e32 v0, 0x100, v0
	global_store_dwordx2 v[2:3], v[6:7], off
	s_or_b64 exec, exec, s[0:1]
	v_cmp_gt_i32_e32 vcc, s33, v0
	s_and_saveexec_b64 s[0:1], vcc
	s_cbranch_execnz .LBB76_22
	s_branch .LBB76_23
	.section	.rodata,"a",@progbits
	.p2align	6, 0x0
	.amdhsa_kernel _ZN2at6native29vectorized_elementwise_kernelILi4EZZZNS0_15exp_kernel_cudaERNS_18TensorIteratorBaseEENKUlvE0_clEvENKUlvE_clEvEUldE_St5arrayIPcLm2EEEEviT0_T1_
		.amdhsa_group_segment_fixed_size 0
		.amdhsa_private_segment_fixed_size 0
		.amdhsa_kernarg_size 24
		.amdhsa_user_sgpr_count 2
		.amdhsa_user_sgpr_dispatch_ptr 0
		.amdhsa_user_sgpr_queue_ptr 0
		.amdhsa_user_sgpr_kernarg_segment_ptr 1
		.amdhsa_user_sgpr_dispatch_id 0
		.amdhsa_user_sgpr_kernarg_preload_length 0
		.amdhsa_user_sgpr_kernarg_preload_offset 0
		.amdhsa_user_sgpr_private_segment_size 0
		.amdhsa_uses_dynamic_stack 0
		.amdhsa_enable_private_segment 0
		.amdhsa_system_sgpr_workgroup_id_x 1
		.amdhsa_system_sgpr_workgroup_id_y 0
		.amdhsa_system_sgpr_workgroup_id_z 0
		.amdhsa_system_sgpr_workgroup_info 0
		.amdhsa_system_vgpr_workitem_id 0
		.amdhsa_next_free_vgpr 28
		.amdhsa_next_free_sgpr 42
		.amdhsa_accum_offset 28
		.amdhsa_reserve_vcc 1
		.amdhsa_float_round_mode_32 0
		.amdhsa_float_round_mode_16_64 0
		.amdhsa_float_denorm_mode_32 3
		.amdhsa_float_denorm_mode_16_64 3
		.amdhsa_dx10_clamp 1
		.amdhsa_ieee_mode 1
		.amdhsa_fp16_overflow 0
		.amdhsa_tg_split 0
		.amdhsa_exception_fp_ieee_invalid_op 0
		.amdhsa_exception_fp_denorm_src 0
		.amdhsa_exception_fp_ieee_div_zero 0
		.amdhsa_exception_fp_ieee_overflow 0
		.amdhsa_exception_fp_ieee_underflow 0
		.amdhsa_exception_fp_ieee_inexact 0
		.amdhsa_exception_int_div_zero 0
	.end_amdhsa_kernel
	.section	.text._ZN2at6native29vectorized_elementwise_kernelILi4EZZZNS0_15exp_kernel_cudaERNS_18TensorIteratorBaseEENKUlvE0_clEvENKUlvE_clEvEUldE_St5arrayIPcLm2EEEEviT0_T1_,"axG",@progbits,_ZN2at6native29vectorized_elementwise_kernelILi4EZZZNS0_15exp_kernel_cudaERNS_18TensorIteratorBaseEENKUlvE0_clEvENKUlvE_clEvEUldE_St5arrayIPcLm2EEEEviT0_T1_,comdat
.Lfunc_end76:
	.size	_ZN2at6native29vectorized_elementwise_kernelILi4EZZZNS0_15exp_kernel_cudaERNS_18TensorIteratorBaseEENKUlvE0_clEvENKUlvE_clEvEUldE_St5arrayIPcLm2EEEEviT0_T1_, .Lfunc_end76-_ZN2at6native29vectorized_elementwise_kernelILi4EZZZNS0_15exp_kernel_cudaERNS_18TensorIteratorBaseEENKUlvE0_clEvENKUlvE_clEvEUldE_St5arrayIPcLm2EEEEviT0_T1_
                                        ; -- End function
	.set _ZN2at6native29vectorized_elementwise_kernelILi4EZZZNS0_15exp_kernel_cudaERNS_18TensorIteratorBaseEENKUlvE0_clEvENKUlvE_clEvEUldE_St5arrayIPcLm2EEEEviT0_T1_.num_vgpr, 28
	.set _ZN2at6native29vectorized_elementwise_kernelILi4EZZZNS0_15exp_kernel_cudaERNS_18TensorIteratorBaseEENKUlvE0_clEvENKUlvE_clEvEUldE_St5arrayIPcLm2EEEEviT0_T1_.num_agpr, 0
	.set _ZN2at6native29vectorized_elementwise_kernelILi4EZZZNS0_15exp_kernel_cudaERNS_18TensorIteratorBaseEENKUlvE0_clEvENKUlvE_clEvEUldE_St5arrayIPcLm2EEEEviT0_T1_.numbered_sgpr, 42
	.set _ZN2at6native29vectorized_elementwise_kernelILi4EZZZNS0_15exp_kernel_cudaERNS_18TensorIteratorBaseEENKUlvE0_clEvENKUlvE_clEvEUldE_St5arrayIPcLm2EEEEviT0_T1_.num_named_barrier, 0
	.set _ZN2at6native29vectorized_elementwise_kernelILi4EZZZNS0_15exp_kernel_cudaERNS_18TensorIteratorBaseEENKUlvE0_clEvENKUlvE_clEvEUldE_St5arrayIPcLm2EEEEviT0_T1_.private_seg_size, 0
	.set _ZN2at6native29vectorized_elementwise_kernelILi4EZZZNS0_15exp_kernel_cudaERNS_18TensorIteratorBaseEENKUlvE0_clEvENKUlvE_clEvEUldE_St5arrayIPcLm2EEEEviT0_T1_.uses_vcc, 1
	.set _ZN2at6native29vectorized_elementwise_kernelILi4EZZZNS0_15exp_kernel_cudaERNS_18TensorIteratorBaseEENKUlvE0_clEvENKUlvE_clEvEUldE_St5arrayIPcLm2EEEEviT0_T1_.uses_flat_scratch, 0
	.set _ZN2at6native29vectorized_elementwise_kernelILi4EZZZNS0_15exp_kernel_cudaERNS_18TensorIteratorBaseEENKUlvE0_clEvENKUlvE_clEvEUldE_St5arrayIPcLm2EEEEviT0_T1_.has_dyn_sized_stack, 0
	.set _ZN2at6native29vectorized_elementwise_kernelILi4EZZZNS0_15exp_kernel_cudaERNS_18TensorIteratorBaseEENKUlvE0_clEvENKUlvE_clEvEUldE_St5arrayIPcLm2EEEEviT0_T1_.has_recursion, 0
	.set _ZN2at6native29vectorized_elementwise_kernelILi4EZZZNS0_15exp_kernel_cudaERNS_18TensorIteratorBaseEENKUlvE0_clEvENKUlvE_clEvEUldE_St5arrayIPcLm2EEEEviT0_T1_.has_indirect_call, 0
	.section	.AMDGPU.csdata,"",@progbits
; Kernel info:
; codeLenInByte = 3112
; TotalNumSgprs: 48
; NumVgprs: 28
; NumAgprs: 0
; TotalNumVgprs: 28
; ScratchSize: 0
; MemoryBound: 0
; FloatMode: 240
; IeeeMode: 1
; LDSByteSize: 0 bytes/workgroup (compile time only)
; SGPRBlocks: 5
; VGPRBlocks: 3
; NumSGPRsForWavesPerEU: 48
; NumVGPRsForWavesPerEU: 28
; AccumOffset: 28
; Occupancy: 8
; WaveLimiterHint : 0
; COMPUTE_PGM_RSRC2:SCRATCH_EN: 0
; COMPUTE_PGM_RSRC2:USER_SGPR: 2
; COMPUTE_PGM_RSRC2:TRAP_HANDLER: 0
; COMPUTE_PGM_RSRC2:TGID_X_EN: 1
; COMPUTE_PGM_RSRC2:TGID_Y_EN: 0
; COMPUTE_PGM_RSRC2:TGID_Z_EN: 0
; COMPUTE_PGM_RSRC2:TIDIG_COMP_CNT: 0
; COMPUTE_PGM_RSRC3_GFX90A:ACCUM_OFFSET: 6
; COMPUTE_PGM_RSRC3_GFX90A:TG_SPLIT: 0
	.section	.text._ZN2at6native29vectorized_elementwise_kernelILi2EZZZNS0_15exp_kernel_cudaERNS_18TensorIteratorBaseEENKUlvE0_clEvENKUlvE_clEvEUldE_St5arrayIPcLm2EEEEviT0_T1_,"axG",@progbits,_ZN2at6native29vectorized_elementwise_kernelILi2EZZZNS0_15exp_kernel_cudaERNS_18TensorIteratorBaseEENKUlvE0_clEvENKUlvE_clEvEUldE_St5arrayIPcLm2EEEEviT0_T1_,comdat
	.globl	_ZN2at6native29vectorized_elementwise_kernelILi2EZZZNS0_15exp_kernel_cudaERNS_18TensorIteratorBaseEENKUlvE0_clEvENKUlvE_clEvEUldE_St5arrayIPcLm2EEEEviT0_T1_ ; -- Begin function _ZN2at6native29vectorized_elementwise_kernelILi2EZZZNS0_15exp_kernel_cudaERNS_18TensorIteratorBaseEENKUlvE0_clEvENKUlvE_clEvEUldE_St5arrayIPcLm2EEEEviT0_T1_
	.p2align	8
	.type	_ZN2at6native29vectorized_elementwise_kernelILi2EZZZNS0_15exp_kernel_cudaERNS_18TensorIteratorBaseEENKUlvE0_clEvENKUlvE_clEvEUldE_St5arrayIPcLm2EEEEviT0_T1_,@function
_ZN2at6native29vectorized_elementwise_kernelILi2EZZZNS0_15exp_kernel_cudaERNS_18TensorIteratorBaseEENKUlvE0_clEvENKUlvE_clEvEUldE_St5arrayIPcLm2EEEEviT0_T1_: ; @_ZN2at6native29vectorized_elementwise_kernelILi2EZZZNS0_15exp_kernel_cudaERNS_18TensorIteratorBaseEENKUlvE0_clEvENKUlvE_clEvEUldE_St5arrayIPcLm2EEEEviT0_T1_
; %bb.0:
	s_load_dword s3, s[0:1], 0x0
	s_load_dwordx4 s[4:7], s[0:1], 0x8
	s_lshl_b32 s8, s2, 10
	s_mov_b64 s[0:1], -1
	s_waitcnt lgkmcnt(0)
	s_sub_i32 s33, s3, s8
	s_cmpk_gt_i32 s33, 0x3ff
	s_cbranch_scc0 .LBB77_2
; %bb.1:
	s_ashr_i32 s9, s8, 31
	s_lshl_b64 s[10:11], s[8:9], 3
	s_add_u32 s0, s6, s10
	s_addc_u32 s1, s7, s11
	v_lshlrev_b32_e32 v10, 4, v0
	global_load_dwordx4 v[2:5], v10, s[0:1]
	v_mov_b32_e32 v11, 0
	v_lshl_add_u64 v[6:7], s[0:1], 0, v[10:11]
	v_add_co_u32_e32 v6, vcc, 0x1000, v6
	s_mov_b32 s36, 0x652b82fe
	s_nop 0
	v_addc_co_u32_e32 v7, vcc, 0, v7, vcc
	global_load_dwordx4 v[6:9], v[6:7], off
	s_mov_b32 s37, 0x3ff71547
	s_mov_b32 s34, 0xfefa39ef
	;; [unrolled: 1-line block ×10, first 2 shown]
	v_mov_b64_e32 v[12:13], s[0:1]
	s_mov_b32 s17, 0x3ec71dee
	s_mov_b32 s18, 0x7c89e6b0
	;; [unrolled: 1-line block ×19, first 2 shown]
	v_mov_b32_e32 v1, 0x7ff00000
	s_waitcnt vmcnt(1)
	v_mul_f64 v[14:15], v[2:3], s[36:37]
	v_mul_f64 v[16:17], v[4:5], s[36:37]
	v_rndne_f64_e32 v[14:15], v[14:15]
	v_rndne_f64_e32 v[16:17], v[16:17]
	v_fma_f64 v[18:19], s[34:35], v[14:15], v[2:3]
	v_fma_f64 v[20:21], s[34:35], v[16:17], v[4:5]
	v_fmac_f64_e32 v[18:19], s[12:13], v[14:15]
	v_cvt_i32_f64_e32 v29, v[16:17]
	v_fmac_f64_e32 v[20:21], s[12:13], v[16:17]
	v_fma_f64 v[16:17], s[14:15], v[18:19], v[12:13]
	v_fma_f64 v[16:17], v[18:19], v[16:17], s[16:17]
	;; [unrolled: 1-line block ×3, first 2 shown]
	v_cvt_i32_f64_e32 v28, v[14:15]
	s_waitcnt vmcnt(0)
	v_mul_f64 v[14:15], v[6:7], s[36:37]
	v_fma_f64 v[16:17], v[18:19], v[16:17], s[20:21]
	v_fma_f64 v[22:23], s[14:15], v[20:21], v[12:13]
	v_rndne_f64_e32 v[14:15], v[14:15]
	v_fma_f64 v[16:17], v[18:19], v[16:17], s[22:23]
	v_fma_f64 v[22:23], v[20:21], v[22:23], s[16:17]
	;; [unrolled: 1-line block ×5, first 2 shown]
	v_fmac_f64_e32 v[24:25], s[12:13], v[14:15]
	v_fma_f64 v[16:17], v[18:19], v[16:17], s[26:27]
	v_fma_f64 v[22:23], v[20:21], v[22:23], s[20:21]
	v_fma_f64 v[26:27], s[14:15], v[24:25], v[12:13]
	v_fma_f64 v[16:17], v[18:19], v[16:17], s[28:29]
	v_fma_f64 v[22:23], v[20:21], v[22:23], s[22:23]
	v_fma_f64 v[26:27], v[24:25], v[26:27], s[16:17]
	v_fma_f64 v[16:17], v[18:19], v[16:17], s[30:31]
	v_fma_f64 v[22:23], v[20:21], v[22:23], s[24:25]
	v_fma_f64 v[26:27], v[24:25], v[26:27], s[18:19]
	v_fma_f64 v[16:17], v[18:19], v[16:17], 1.0
	v_fma_f64 v[22:23], v[20:21], v[22:23], s[26:27]
	v_fma_f64 v[26:27], v[24:25], v[26:27], s[20:21]
	v_fma_f64 v[16:17], v[18:19], v[16:17], 1.0
	v_fma_f64 v[22:23], v[20:21], v[22:23], s[28:29]
	v_fma_f64 v[26:27], v[24:25], v[26:27], s[22:23]
	v_ldexp_f64 v[16:17], v[16:17], v28
	v_cmp_nlt_f64_e32 vcc, s[38:39], v[2:3]
	v_cmp_ngt_f64_e64 s[2:3], s[40:41], v[2:3]
	v_fma_f64 v[22:23], v[20:21], v[22:23], s[30:31]
	v_fma_f64 v[26:27], v[24:25], v[26:27], s[24:25]
	v_cndmask_b32_e32 v17, v1, v17, vcc
	s_and_b64 vcc, s[2:3], vcc
	v_fma_f64 v[22:23], v[20:21], v[22:23], 1.0
	v_cndmask_b32_e64 v3, 0, v17, s[2:3]
	v_cndmask_b32_e32 v2, 0, v16, vcc
	v_fma_f64 v[16:17], v[24:25], v[26:27], s[26:27]
	v_fma_f64 v[18:19], v[20:21], v[22:23], 1.0
	v_fma_f64 v[16:17], v[24:25], v[16:17], s[28:29]
	v_ldexp_f64 v[18:19], v[18:19], v29
	v_cmp_nlt_f64_e64 s[0:1], s[38:39], v[4:5]
	v_fma_f64 v[16:17], v[24:25], v[16:17], s[30:31]
	v_cmp_ngt_f64_e32 vcc, s[40:41], v[4:5]
	v_cndmask_b32_e64 v19, v1, v19, s[0:1]
	v_fma_f64 v[16:17], v[24:25], v[16:17], 1.0
	v_cndmask_b32_e32 v5, 0, v19, vcc
	s_and_b64 vcc, vcc, s[0:1]
	v_fma_f64 v[16:17], v[24:25], v[16:17], 1.0
	v_cvt_i32_f64_e32 v14, v[14:15]
	v_cndmask_b32_e32 v4, 0, v18, vcc
	v_ldexp_f64 v[14:15], v[16:17], v14
	v_cmp_nlt_f64_e32 vcc, s[38:39], v[6:7]
	v_cmp_ngt_f64_e64 s[0:1], s[40:41], v[6:7]
	s_nop 0
	v_cndmask_b32_e32 v15, v1, v15, vcc
	s_and_b64 vcc, s[0:1], vcc
	v_cndmask_b32_e64 v7, 0, v15, s[0:1]
	v_cndmask_b32_e32 v6, 0, v14, vcc
	v_mul_f64 v[14:15], v[8:9], s[36:37]
	v_rndne_f64_e32 v[14:15], v[14:15]
	v_fma_f64 v[16:17], s[34:35], v[14:15], v[8:9]
	v_fmac_f64_e32 v[16:17], s[12:13], v[14:15]
	v_fmac_f64_e32 v[12:13], s[14:15], v[16:17]
	v_fma_f64 v[12:13], v[16:17], v[12:13], s[16:17]
	v_fma_f64 v[12:13], v[16:17], v[12:13], s[18:19]
	;; [unrolled: 1-line block ×8, first 2 shown]
	v_fma_f64 v[12:13], v[16:17], v[12:13], 1.0
	v_fma_f64 v[12:13], v[16:17], v[12:13], 1.0
	v_cvt_i32_f64_e32 v14, v[14:15]
	v_ldexp_f64 v[12:13], v[12:13], v14
	v_cmp_nlt_f64_e32 vcc, s[38:39], v[8:9]
	v_cmp_ngt_f64_e64 s[0:1], s[40:41], v[8:9]
	s_nop 0
	v_cndmask_b32_e32 v1, v1, v13, vcc
	s_and_b64 vcc, s[0:1], vcc
	v_cndmask_b32_e64 v9, 0, v1, s[0:1]
	s_add_u32 s0, s4, s10
	s_addc_u32 s1, s5, s11
	v_cndmask_b32_e32 v8, 0, v12, vcc
	v_lshl_add_u64 v[12:13], s[0:1], 0, v[10:11]
	global_store_dwordx4 v10, v[2:5], s[0:1]
	s_mov_b64 s[0:1], 0
	s_nop 0
	v_add_co_u32_e32 v2, vcc, 0x1000, v12
	s_nop 1
	v_addc_co_u32_e32 v3, vcc, 0, v13, vcc
	global_store_dwordx4 v[2:3], v[6:9], off
.LBB77_2:
	s_andn2_b64 vcc, exec, s[0:1]
	s_cbranch_vccnz .LBB77_23
; %bb.3:
	v_cmp_gt_i32_e32 vcc, s33, v0
	v_mov_b64_e32 v[16:17], 0
	v_or_b32_e32 v10, s8, v0
	v_mov_b64_e32 v[18:19], 0
	v_mov_b32_e32 v1, v0
	s_and_saveexec_b64 s[0:1], vcc
	s_cbranch_execz .LBB77_5
; %bb.4:
	v_mov_b32_e32 v11, 0
	v_lshl_add_u64 v[2:3], v[10:11], 3, s[6:7]
	global_load_dwordx2 v[18:19], v[2:3], off
	v_or_b32_e32 v1, 0x100, v0
.LBB77_5:
	s_or_b64 exec, exec, s[0:1]
	v_cmp_gt_i32_e64 s[0:1], s33, v1
	s_and_saveexec_b64 s[2:3], s[0:1]
	s_cbranch_execz .LBB77_7
; %bb.6:
	v_add_u32_e32 v2, s8, v1
	v_mov_b32_e32 v3, 0
	v_lshl_add_u64 v[2:3], v[2:3], 3, s[6:7]
	global_load_dwordx2 v[16:17], v[2:3], off
	v_add_u32_e32 v1, 0x100, v1
.LBB77_7:
	s_or_b64 exec, exec, s[2:3]
	v_cmp_gt_i32_e64 s[0:1], s33, v1
	v_mov_b64_e32 v[12:13], 0
	v_mov_b64_e32 v[14:15], 0
	s_and_saveexec_b64 s[2:3], s[0:1]
	s_cbranch_execz .LBB77_9
; %bb.8:
	v_add_u32_e32 v2, s8, v1
	v_mov_b32_e32 v3, 0
	v_lshl_add_u64 v[2:3], v[2:3], 3, s[6:7]
	global_load_dwordx2 v[14:15], v[2:3], off
	v_add_u32_e32 v1, 0x100, v1
.LBB77_9:
	s_or_b64 exec, exec, s[2:3]
	v_cmp_gt_i32_e64 s[0:1], s33, v1
	s_and_saveexec_b64 s[2:3], s[0:1]
	s_cbranch_execz .LBB77_11
; %bb.10:
	v_add_u32_e32 v2, s8, v1
	v_mov_b32_e32 v3, 0
	v_lshl_add_u64 v[2:3], v[2:3], 3, s[6:7]
	global_load_dwordx2 v[12:13], v[2:3], off
.LBB77_11:
	s_or_b64 exec, exec, s[2:3]
	v_mov_b32_e32 v2, 0
	v_mov_b32_e32 v3, v2
	v_mov_b32_e32 v4, v2
	v_mov_b32_e32 v5, v2
	v_mov_b32_e32 v6, v2
	v_mov_b32_e32 v7, v2
	v_mov_b32_e32 v8, v2
	v_mov_b32_e32 v9, v2
	s_and_saveexec_b64 s[6:7], vcc
	s_cbranch_execz .LBB77_13
; %bb.12:
	s_mov_b32 s0, 0x652b82fe
	s_mov_b32 s1, 0x3ff71547
	s_waitcnt vmcnt(0)
	v_mul_f64 v[4:5], v[18:19], s[0:1]
	s_mov_b32 s0, 0xfefa39ef
	v_rndne_f64_e32 v[4:5], v[4:5]
	s_mov_b32 s1, 0xbfe62e42
	v_fma_f64 v[6:7], s[0:1], v[4:5], v[18:19]
	s_mov_b32 s0, 0x3b39803f
	s_mov_b32 s1, 0xbc7abc9e
	v_fmac_f64_e32 v[6:7], s[0:1], v[4:5]
	s_mov_b32 s0, 0x6a5dcb37
	v_mov_b32_e32 v8, 0xfca7ab0c
	v_mov_b32_e32 v9, 0x3e928af3
	s_mov_b32 s1, 0x3e5ade15
	v_fmac_f64_e32 v[8:9], s[0:1], v[6:7]
	v_mov_b32_e32 v20, 0x623fde64
	v_mov_b32_e32 v21, 0x3ec71dee
	v_fmac_f64_e32 v[20:21], v[6:7], v[8:9]
	v_mov_b32_e32 v8, 0x7c89e6b0
	v_mov_b32_e32 v9, 0x3efa0199
	;; [unrolled: 3-line block ×8, first 2 shown]
	v_fmac_f64_e32 v[8:9], v[6:7], v[20:21]
	v_fma_f64 v[8:9], v[6:7], v[8:9], 1.0
	s_mov_b32 s0, 0
	s_mov_b32 s2, 0
	v_fma_f64 v[6:7], v[6:7], v[8:9], 1.0
	v_cvt_i32_f64_e32 v1, v[4:5]
	s_mov_b32 s1, 0x40900000
	s_mov_b32 s3, 0xc090cc00
	v_ldexp_f64 v[4:5], v[6:7], v1
	v_mov_b32_e32 v1, 0x7ff00000
	v_cmp_nlt_f64_e64 s[0:1], s[0:1], v[18:19]
	v_cmp_ngt_f64_e64 s[2:3], s[2:3], v[18:19]
	v_mov_b32_e32 v20, v2
	v_cndmask_b32_e64 v1, v1, v5, s[0:1]
	s_and_b64 s[0:1], s[2:3], s[0:1]
	v_cndmask_b32_e64 v19, 0, v1, s[2:3]
	v_cndmask_b32_e64 v18, 0, v4, s[0:1]
	v_mov_b32_e32 v21, v2
	v_mov_b32_e32 v22, v2
	;; [unrolled: 1-line block ×5, first 2 shown]
	v_mov_b64_e32 v[2:3], v[18:19]
	v_mov_b64_e32 v[4:5], v[20:21]
	;; [unrolled: 1-line block ×4, first 2 shown]
.LBB77_13:
	s_or_b64 exec, exec, s[6:7]
	v_or_b32_e32 v1, 0x100, v0
	v_cmp_gt_i32_e64 s[0:1], s33, v1
	s_and_saveexec_b64 s[6:7], s[0:1]
	s_cbranch_execz .LBB77_15
; %bb.14:
	s_mov_b32 s0, 0x652b82fe
	s_mov_b32 s1, 0x3ff71547
	s_waitcnt vmcnt(0)
	v_mul_f64 v[4:5], v[16:17], s[0:1]
	s_mov_b32 s0, 0xfefa39ef
	v_rndne_f64_e32 v[4:5], v[4:5]
	s_mov_b32 s1, 0xbfe62e42
	v_fma_f64 v[18:19], s[0:1], v[4:5], v[16:17]
	s_mov_b32 s0, 0x3b39803f
	s_mov_b32 s1, 0xbc7abc9e
	v_fmac_f64_e32 v[18:19], s[0:1], v[4:5]
	s_mov_b32 s0, 0x6a5dcb37
	v_mov_b32_e32 v20, 0xfca7ab0c
	v_mov_b32_e32 v21, 0x3e928af3
	s_mov_b32 s1, 0x3e5ade15
	v_fmac_f64_e32 v[20:21], s[0:1], v[18:19]
	v_mov_b32_e32 v22, 0x623fde64
	v_mov_b32_e32 v23, 0x3ec71dee
	v_fmac_f64_e32 v[22:23], v[18:19], v[20:21]
	v_mov_b32_e32 v20, 0x7c89e6b0
	v_mov_b32_e32 v21, 0x3efa0199
	;; [unrolled: 3-line block ×8, first 2 shown]
	v_fmac_f64_e32 v[20:21], v[18:19], v[22:23]
	v_fma_f64 v[20:21], v[18:19], v[20:21], 1.0
	s_mov_b32 s0, 0
	s_mov_b32 s2, 0
	v_fma_f64 v[18:19], v[18:19], v[20:21], 1.0
	v_cvt_i32_f64_e32 v4, v[4:5]
	s_mov_b32 s1, 0x40900000
	s_mov_b32 s3, 0xc090cc00
	v_ldexp_f64 v[4:5], v[18:19], v4
	v_mov_b32_e32 v11, 0x7ff00000
	v_cmp_nlt_f64_e64 s[0:1], s[0:1], v[16:17]
	v_cmp_ngt_f64_e64 s[2:3], s[2:3], v[16:17]
	s_nop 0
	v_cndmask_b32_e64 v5, v11, v5, s[0:1]
	s_and_b64 s[0:1], s[2:3], s[0:1]
	v_cndmask_b32_e64 v5, 0, v5, s[2:3]
	v_cndmask_b32_e64 v4, 0, v4, s[0:1]
.LBB77_15:
	s_or_b64 exec, exec, s[6:7]
	v_or_b32_e32 v11, 0x200, v0
	v_cmp_gt_i32_e64 s[0:1], s33, v11
	s_and_saveexec_b64 s[6:7], s[0:1]
	s_cbranch_execz .LBB77_17
; %bb.16:
	s_mov_b32 s0, 0x652b82fe
	s_mov_b32 s1, 0x3ff71547
	s_waitcnt vmcnt(0)
	v_mul_f64 v[6:7], v[14:15], s[0:1]
	s_mov_b32 s0, 0xfefa39ef
	v_rndne_f64_e32 v[6:7], v[6:7]
	s_mov_b32 s1, 0xbfe62e42
	v_fma_f64 v[16:17], s[0:1], v[6:7], v[14:15]
	s_mov_b32 s0, 0x3b39803f
	s_mov_b32 s1, 0xbc7abc9e
	v_fmac_f64_e32 v[16:17], s[0:1], v[6:7]
	s_mov_b32 s0, 0x6a5dcb37
	v_mov_b32_e32 v18, 0xfca7ab0c
	v_mov_b32_e32 v19, 0x3e928af3
	s_mov_b32 s1, 0x3e5ade15
	v_fmac_f64_e32 v[18:19], s[0:1], v[16:17]
	v_mov_b32_e32 v20, 0x623fde64
	v_mov_b32_e32 v21, 0x3ec71dee
	v_fmac_f64_e32 v[20:21], v[16:17], v[18:19]
	v_mov_b32_e32 v18, 0x7c89e6b0
	v_mov_b32_e32 v19, 0x3efa0199
	;; [unrolled: 3-line block ×8, first 2 shown]
	v_fmac_f64_e32 v[18:19], v[16:17], v[20:21]
	v_fma_f64 v[18:19], v[16:17], v[18:19], 1.0
	s_mov_b32 s0, 0
	s_mov_b32 s2, 0
	v_fma_f64 v[16:17], v[16:17], v[18:19], 1.0
	v_cvt_i32_f64_e32 v6, v[6:7]
	s_mov_b32 s1, 0x40900000
	s_mov_b32 s3, 0xc090cc00
	v_ldexp_f64 v[6:7], v[16:17], v6
	v_mov_b32_e32 v11, 0x7ff00000
	v_cmp_nlt_f64_e64 s[0:1], s[0:1], v[14:15]
	v_cmp_ngt_f64_e64 s[2:3], s[2:3], v[14:15]
	s_nop 0
	v_cndmask_b32_e64 v7, v11, v7, s[0:1]
	s_and_b64 s[0:1], s[2:3], s[0:1]
	v_cndmask_b32_e64 v7, 0, v7, s[2:3]
	v_cndmask_b32_e64 v6, 0, v6, s[0:1]
.LBB77_17:
	s_or_b64 exec, exec, s[6:7]
	v_or_b32_e32 v11, 0x300, v0
	v_cmp_gt_i32_e64 s[0:1], s33, v11
	s_and_saveexec_b64 s[6:7], s[0:1]
	s_cbranch_execnz .LBB77_24
; %bb.18:
	s_or_b64 exec, exec, s[6:7]
	s_and_saveexec_b64 s[0:1], vcc
	s_xor_b64 s[0:1], exec, s[0:1]
	s_cbranch_execnz .LBB77_25
.LBB77_19:
	s_or_b64 exec, exec, s[0:1]
	v_cmp_gt_i32_e32 vcc, s33, v0
	s_and_saveexec_b64 s[0:1], vcc
	s_cbranch_execnz .LBB77_26
.LBB77_20:
	s_or_b64 exec, exec, s[0:1]
	v_cmp_gt_i32_e32 vcc, s33, v0
	s_and_saveexec_b64 s[0:1], vcc
	s_cbranch_execnz .LBB77_27
.LBB77_21:
	s_or_b64 exec, exec, s[0:1]
	v_cmp_gt_i32_e32 vcc, s33, v0
	s_and_saveexec_b64 s[0:1], vcc
	s_cbranch_execz .LBB77_23
.LBB77_22:
	v_add_u32_e32 v0, s8, v0
	v_mov_b32_e32 v1, 0
	v_lshl_add_u64 v[0:1], v[0:1], 3, s[4:5]
	global_store_dwordx2 v[0:1], v[8:9], off
.LBB77_23:
	s_endpgm
.LBB77_24:
	s_mov_b32 s0, 0x652b82fe
	s_mov_b32 s1, 0x3ff71547
	s_waitcnt vmcnt(0)
	v_mul_f64 v[8:9], v[12:13], s[0:1]
	s_mov_b32 s0, 0xfefa39ef
	v_rndne_f64_e32 v[8:9], v[8:9]
	s_mov_b32 s1, 0xbfe62e42
	v_fma_f64 v[14:15], s[0:1], v[8:9], v[12:13]
	s_mov_b32 s0, 0x3b39803f
	s_mov_b32 s1, 0xbc7abc9e
	v_fmac_f64_e32 v[14:15], s[0:1], v[8:9]
	s_mov_b32 s0, 0x6a5dcb37
	v_mov_b32_e32 v16, 0xfca7ab0c
	v_mov_b32_e32 v17, 0x3e928af3
	s_mov_b32 s1, 0x3e5ade15
	v_fmac_f64_e32 v[16:17], s[0:1], v[14:15]
	v_mov_b32_e32 v18, 0x623fde64
	v_mov_b32_e32 v19, 0x3ec71dee
	v_fmac_f64_e32 v[18:19], v[14:15], v[16:17]
	v_mov_b32_e32 v16, 0x7c89e6b0
	v_mov_b32_e32 v17, 0x3efa0199
	;; [unrolled: 3-line block ×8, first 2 shown]
	v_fmac_f64_e32 v[16:17], v[14:15], v[18:19]
	v_fma_f64 v[16:17], v[14:15], v[16:17], 1.0
	s_mov_b32 s0, 0
	s_mov_b32 s2, 0
	v_fma_f64 v[14:15], v[14:15], v[16:17], 1.0
	v_cvt_i32_f64_e32 v8, v[8:9]
	s_mov_b32 s1, 0x40900000
	s_mov_b32 s3, 0xc090cc00
	v_ldexp_f64 v[8:9], v[14:15], v8
	v_mov_b32_e32 v11, 0x7ff00000
	v_cmp_nlt_f64_e64 s[0:1], s[0:1], v[12:13]
	v_cmp_ngt_f64_e64 s[2:3], s[2:3], v[12:13]
	s_nop 0
	v_cndmask_b32_e64 v9, v11, v9, s[0:1]
	s_and_b64 s[0:1], s[2:3], s[0:1]
	v_cndmask_b32_e64 v9, 0, v9, s[2:3]
	v_cndmask_b32_e64 v8, 0, v8, s[0:1]
	s_or_b64 exec, exec, s[6:7]
	s_and_saveexec_b64 s[0:1], vcc
	s_xor_b64 s[0:1], exec, s[0:1]
	s_cbranch_execz .LBB77_19
.LBB77_25:
	v_mov_b32_e32 v11, 0
	v_lshl_add_u64 v[10:11], v[10:11], 3, s[4:5]
	v_mov_b32_e32 v0, v1
	global_store_dwordx2 v[10:11], v[2:3], off
	s_or_b64 exec, exec, s[0:1]
	v_cmp_gt_i32_e32 vcc, s33, v0
	s_and_saveexec_b64 s[0:1], vcc
	s_cbranch_execz .LBB77_20
.LBB77_26:
	v_add_u32_e32 v2, s8, v0
	v_mov_b32_e32 v3, 0
	v_lshl_add_u64 v[2:3], v[2:3], 3, s[4:5]
	v_add_u32_e32 v0, 0x100, v0
	global_store_dwordx2 v[2:3], v[4:5], off
	s_or_b64 exec, exec, s[0:1]
	v_cmp_gt_i32_e32 vcc, s33, v0
	s_and_saveexec_b64 s[0:1], vcc
	s_cbranch_execz .LBB77_21
.LBB77_27:
	v_add_u32_e32 v2, s8, v0
	v_mov_b32_e32 v3, 0
	v_lshl_add_u64 v[2:3], v[2:3], 3, s[4:5]
	v_add_u32_e32 v0, 0x100, v0
	global_store_dwordx2 v[2:3], v[6:7], off
	s_or_b64 exec, exec, s[0:1]
	v_cmp_gt_i32_e32 vcc, s33, v0
	s_and_saveexec_b64 s[0:1], vcc
	s_cbranch_execnz .LBB77_22
	s_branch .LBB77_23
	.section	.rodata,"a",@progbits
	.p2align	6, 0x0
	.amdhsa_kernel _ZN2at6native29vectorized_elementwise_kernelILi2EZZZNS0_15exp_kernel_cudaERNS_18TensorIteratorBaseEENKUlvE0_clEvENKUlvE_clEvEUldE_St5arrayIPcLm2EEEEviT0_T1_
		.amdhsa_group_segment_fixed_size 0
		.amdhsa_private_segment_fixed_size 0
		.amdhsa_kernarg_size 24
		.amdhsa_user_sgpr_count 2
		.amdhsa_user_sgpr_dispatch_ptr 0
		.amdhsa_user_sgpr_queue_ptr 0
		.amdhsa_user_sgpr_kernarg_segment_ptr 1
		.amdhsa_user_sgpr_dispatch_id 0
		.amdhsa_user_sgpr_kernarg_preload_length 0
		.amdhsa_user_sgpr_kernarg_preload_offset 0
		.amdhsa_user_sgpr_private_segment_size 0
		.amdhsa_uses_dynamic_stack 0
		.amdhsa_enable_private_segment 0
		.amdhsa_system_sgpr_workgroup_id_x 1
		.amdhsa_system_sgpr_workgroup_id_y 0
		.amdhsa_system_sgpr_workgroup_id_z 0
		.amdhsa_system_sgpr_workgroup_info 0
		.amdhsa_system_vgpr_workitem_id 0
		.amdhsa_next_free_vgpr 30
		.amdhsa_next_free_sgpr 42
		.amdhsa_accum_offset 32
		.amdhsa_reserve_vcc 1
		.amdhsa_float_round_mode_32 0
		.amdhsa_float_round_mode_16_64 0
		.amdhsa_float_denorm_mode_32 3
		.amdhsa_float_denorm_mode_16_64 3
		.amdhsa_dx10_clamp 1
		.amdhsa_ieee_mode 1
		.amdhsa_fp16_overflow 0
		.amdhsa_tg_split 0
		.amdhsa_exception_fp_ieee_invalid_op 0
		.amdhsa_exception_fp_denorm_src 0
		.amdhsa_exception_fp_ieee_div_zero 0
		.amdhsa_exception_fp_ieee_overflow 0
		.amdhsa_exception_fp_ieee_underflow 0
		.amdhsa_exception_fp_ieee_inexact 0
		.amdhsa_exception_int_div_zero 0
	.end_amdhsa_kernel
	.section	.text._ZN2at6native29vectorized_elementwise_kernelILi2EZZZNS0_15exp_kernel_cudaERNS_18TensorIteratorBaseEENKUlvE0_clEvENKUlvE_clEvEUldE_St5arrayIPcLm2EEEEviT0_T1_,"axG",@progbits,_ZN2at6native29vectorized_elementwise_kernelILi2EZZZNS0_15exp_kernel_cudaERNS_18TensorIteratorBaseEENKUlvE0_clEvENKUlvE_clEvEUldE_St5arrayIPcLm2EEEEviT0_T1_,comdat
.Lfunc_end77:
	.size	_ZN2at6native29vectorized_elementwise_kernelILi2EZZZNS0_15exp_kernel_cudaERNS_18TensorIteratorBaseEENKUlvE0_clEvENKUlvE_clEvEUldE_St5arrayIPcLm2EEEEviT0_T1_, .Lfunc_end77-_ZN2at6native29vectorized_elementwise_kernelILi2EZZZNS0_15exp_kernel_cudaERNS_18TensorIteratorBaseEENKUlvE0_clEvENKUlvE_clEvEUldE_St5arrayIPcLm2EEEEviT0_T1_
                                        ; -- End function
	.set _ZN2at6native29vectorized_elementwise_kernelILi2EZZZNS0_15exp_kernel_cudaERNS_18TensorIteratorBaseEENKUlvE0_clEvENKUlvE_clEvEUldE_St5arrayIPcLm2EEEEviT0_T1_.num_vgpr, 30
	.set _ZN2at6native29vectorized_elementwise_kernelILi2EZZZNS0_15exp_kernel_cudaERNS_18TensorIteratorBaseEENKUlvE0_clEvENKUlvE_clEvEUldE_St5arrayIPcLm2EEEEviT0_T1_.num_agpr, 0
	.set _ZN2at6native29vectorized_elementwise_kernelILi2EZZZNS0_15exp_kernel_cudaERNS_18TensorIteratorBaseEENKUlvE0_clEvENKUlvE_clEvEUldE_St5arrayIPcLm2EEEEviT0_T1_.numbered_sgpr, 42
	.set _ZN2at6native29vectorized_elementwise_kernelILi2EZZZNS0_15exp_kernel_cudaERNS_18TensorIteratorBaseEENKUlvE0_clEvENKUlvE_clEvEUldE_St5arrayIPcLm2EEEEviT0_T1_.num_named_barrier, 0
	.set _ZN2at6native29vectorized_elementwise_kernelILi2EZZZNS0_15exp_kernel_cudaERNS_18TensorIteratorBaseEENKUlvE0_clEvENKUlvE_clEvEUldE_St5arrayIPcLm2EEEEviT0_T1_.private_seg_size, 0
	.set _ZN2at6native29vectorized_elementwise_kernelILi2EZZZNS0_15exp_kernel_cudaERNS_18TensorIteratorBaseEENKUlvE0_clEvENKUlvE_clEvEUldE_St5arrayIPcLm2EEEEviT0_T1_.uses_vcc, 1
	.set _ZN2at6native29vectorized_elementwise_kernelILi2EZZZNS0_15exp_kernel_cudaERNS_18TensorIteratorBaseEENKUlvE0_clEvENKUlvE_clEvEUldE_St5arrayIPcLm2EEEEviT0_T1_.uses_flat_scratch, 0
	.set _ZN2at6native29vectorized_elementwise_kernelILi2EZZZNS0_15exp_kernel_cudaERNS_18TensorIteratorBaseEENKUlvE0_clEvENKUlvE_clEvEUldE_St5arrayIPcLm2EEEEviT0_T1_.has_dyn_sized_stack, 0
	.set _ZN2at6native29vectorized_elementwise_kernelILi2EZZZNS0_15exp_kernel_cudaERNS_18TensorIteratorBaseEENKUlvE0_clEvENKUlvE_clEvEUldE_St5arrayIPcLm2EEEEviT0_T1_.has_recursion, 0
	.set _ZN2at6native29vectorized_elementwise_kernelILi2EZZZNS0_15exp_kernel_cudaERNS_18TensorIteratorBaseEENKUlvE0_clEvENKUlvE_clEvEUldE_St5arrayIPcLm2EEEEviT0_T1_.has_indirect_call, 0
	.section	.AMDGPU.csdata,"",@progbits
; Kernel info:
; codeLenInByte = 3172
; TotalNumSgprs: 48
; NumVgprs: 30
; NumAgprs: 0
; TotalNumVgprs: 30
; ScratchSize: 0
; MemoryBound: 0
; FloatMode: 240
; IeeeMode: 1
; LDSByteSize: 0 bytes/workgroup (compile time only)
; SGPRBlocks: 5
; VGPRBlocks: 3
; NumSGPRsForWavesPerEU: 48
; NumVGPRsForWavesPerEU: 30
; AccumOffset: 32
; Occupancy: 8
; WaveLimiterHint : 1
; COMPUTE_PGM_RSRC2:SCRATCH_EN: 0
; COMPUTE_PGM_RSRC2:USER_SGPR: 2
; COMPUTE_PGM_RSRC2:TRAP_HANDLER: 0
; COMPUTE_PGM_RSRC2:TGID_X_EN: 1
; COMPUTE_PGM_RSRC2:TGID_Y_EN: 0
; COMPUTE_PGM_RSRC2:TGID_Z_EN: 0
; COMPUTE_PGM_RSRC2:TIDIG_COMP_CNT: 0
; COMPUTE_PGM_RSRC3_GFX90A:ACCUM_OFFSET: 7
; COMPUTE_PGM_RSRC3_GFX90A:TG_SPLIT: 0
	.section	.text._ZN2at6native27unrolled_elementwise_kernelIZZZNS0_15exp_kernel_cudaERNS_18TensorIteratorBaseEENKUlvE0_clEvENKUlvE_clEvEUldE_St5arrayIPcLm2EELi4E23TrivialOffsetCalculatorILi1EjESB_NS0_6memory15LoadWithoutCastENSC_16StoreWithoutCastEEEviT_T0_T2_T3_T4_T5_,"axG",@progbits,_ZN2at6native27unrolled_elementwise_kernelIZZZNS0_15exp_kernel_cudaERNS_18TensorIteratorBaseEENKUlvE0_clEvENKUlvE_clEvEUldE_St5arrayIPcLm2EELi4E23TrivialOffsetCalculatorILi1EjESB_NS0_6memory15LoadWithoutCastENSC_16StoreWithoutCastEEEviT_T0_T2_T3_T4_T5_,comdat
	.globl	_ZN2at6native27unrolled_elementwise_kernelIZZZNS0_15exp_kernel_cudaERNS_18TensorIteratorBaseEENKUlvE0_clEvENKUlvE_clEvEUldE_St5arrayIPcLm2EELi4E23TrivialOffsetCalculatorILi1EjESB_NS0_6memory15LoadWithoutCastENSC_16StoreWithoutCastEEEviT_T0_T2_T3_T4_T5_ ; -- Begin function _ZN2at6native27unrolled_elementwise_kernelIZZZNS0_15exp_kernel_cudaERNS_18TensorIteratorBaseEENKUlvE0_clEvENKUlvE_clEvEUldE_St5arrayIPcLm2EELi4E23TrivialOffsetCalculatorILi1EjESB_NS0_6memory15LoadWithoutCastENSC_16StoreWithoutCastEEEviT_T0_T2_T3_T4_T5_
	.p2align	8
	.type	_ZN2at6native27unrolled_elementwise_kernelIZZZNS0_15exp_kernel_cudaERNS_18TensorIteratorBaseEENKUlvE0_clEvENKUlvE_clEvEUldE_St5arrayIPcLm2EELi4E23TrivialOffsetCalculatorILi1EjESB_NS0_6memory15LoadWithoutCastENSC_16StoreWithoutCastEEEviT_T0_T2_T3_T4_T5_,@function
_ZN2at6native27unrolled_elementwise_kernelIZZZNS0_15exp_kernel_cudaERNS_18TensorIteratorBaseEENKUlvE0_clEvENKUlvE_clEvEUldE_St5arrayIPcLm2EELi4E23TrivialOffsetCalculatorILi1EjESB_NS0_6memory15LoadWithoutCastENSC_16StoreWithoutCastEEEviT_T0_T2_T3_T4_T5_: ; @_ZN2at6native27unrolled_elementwise_kernelIZZZNS0_15exp_kernel_cudaERNS_18TensorIteratorBaseEENKUlvE0_clEvENKUlvE_clEvEUldE_St5arrayIPcLm2EELi4E23TrivialOffsetCalculatorILi1EjESB_NS0_6memory15LoadWithoutCastENSC_16StoreWithoutCastEEEviT_T0_T2_T3_T4_T5_
; %bb.0:
	s_load_dword s3, s[0:1], 0x0
	s_load_dwordx4 s[4:7], s[0:1], 0x8
	s_lshl_b32 s8, s2, 10
	v_mov_b64_e32 v[16:17], 0
	v_or_b32_e32 v10, s8, v0
	s_waitcnt lgkmcnt(0)
	s_sub_i32 s9, s3, s8
	v_cmp_gt_i32_e32 vcc, s9, v0
	v_mov_b64_e32 v[18:19], 0
	v_mov_b32_e32 v1, v0
	s_and_saveexec_b64 s[0:1], vcc
	s_cbranch_execz .LBB78_2
; %bb.1:
	v_mov_b32_e32 v11, 0
	v_lshl_add_u64 v[2:3], v[10:11], 3, s[6:7]
	global_load_dwordx2 v[18:19], v[2:3], off
	v_or_b32_e32 v1, 0x100, v0
.LBB78_2:
	s_or_b64 exec, exec, s[0:1]
	v_cmp_gt_i32_e64 s[0:1], s9, v1
	s_and_saveexec_b64 s[2:3], s[0:1]
	s_cbranch_execz .LBB78_4
; %bb.3:
	v_add_u32_e32 v2, s8, v1
	v_mov_b32_e32 v3, 0
	v_lshl_add_u64 v[2:3], v[2:3], 3, s[6:7]
	global_load_dwordx2 v[16:17], v[2:3], off
	v_add_u32_e32 v1, 0x100, v1
.LBB78_4:
	s_or_b64 exec, exec, s[2:3]
	v_cmp_gt_i32_e64 s[0:1], s9, v1
	v_mov_b64_e32 v[12:13], 0
	v_mov_b64_e32 v[14:15], 0
	s_and_saveexec_b64 s[2:3], s[0:1]
	s_cbranch_execz .LBB78_6
; %bb.5:
	v_add_u32_e32 v2, s8, v1
	v_mov_b32_e32 v3, 0
	v_lshl_add_u64 v[2:3], v[2:3], 3, s[6:7]
	global_load_dwordx2 v[14:15], v[2:3], off
	v_add_u32_e32 v1, 0x100, v1
.LBB78_6:
	s_or_b64 exec, exec, s[2:3]
	v_cmp_gt_i32_e64 s[0:1], s9, v1
	s_and_saveexec_b64 s[2:3], s[0:1]
	s_cbranch_execz .LBB78_8
; %bb.7:
	v_add_u32_e32 v2, s8, v1
	v_mov_b32_e32 v3, 0
	v_lshl_add_u64 v[2:3], v[2:3], 3, s[6:7]
	global_load_dwordx2 v[12:13], v[2:3], off
.LBB78_8:
	s_or_b64 exec, exec, s[2:3]
	v_mov_b32_e32 v2, 0
	v_mov_b32_e32 v3, v2
	;; [unrolled: 1-line block ×8, first 2 shown]
	s_and_saveexec_b64 s[6:7], vcc
	s_cbranch_execz .LBB78_10
; %bb.9:
	s_mov_b32 s0, 0x652b82fe
	s_mov_b32 s1, 0x3ff71547
	s_waitcnt vmcnt(0)
	v_mul_f64 v[4:5], v[18:19], s[0:1]
	s_mov_b32 s0, 0xfefa39ef
	v_rndne_f64_e32 v[4:5], v[4:5]
	s_mov_b32 s1, 0xbfe62e42
	v_fma_f64 v[6:7], s[0:1], v[4:5], v[18:19]
	s_mov_b32 s0, 0x3b39803f
	s_mov_b32 s1, 0xbc7abc9e
	v_fmac_f64_e32 v[6:7], s[0:1], v[4:5]
	s_mov_b32 s0, 0x6a5dcb37
	v_mov_b32_e32 v8, 0xfca7ab0c
	v_mov_b32_e32 v9, 0x3e928af3
	s_mov_b32 s1, 0x3e5ade15
	v_fmac_f64_e32 v[8:9], s[0:1], v[6:7]
	v_mov_b32_e32 v20, 0x623fde64
	v_mov_b32_e32 v21, 0x3ec71dee
	v_fmac_f64_e32 v[20:21], v[6:7], v[8:9]
	v_mov_b32_e32 v8, 0x7c89e6b0
	v_mov_b32_e32 v9, 0x3efa0199
	;; [unrolled: 3-line block ×8, first 2 shown]
	v_fmac_f64_e32 v[8:9], v[6:7], v[20:21]
	v_fma_f64 v[8:9], v[6:7], v[8:9], 1.0
	s_mov_b32 s0, 0
	s_mov_b32 s2, 0
	v_fma_f64 v[6:7], v[6:7], v[8:9], 1.0
	v_cvt_i32_f64_e32 v1, v[4:5]
	s_mov_b32 s1, 0x40900000
	s_mov_b32 s3, 0xc090cc00
	v_ldexp_f64 v[4:5], v[6:7], v1
	v_mov_b32_e32 v1, 0x7ff00000
	v_cmp_nlt_f64_e64 s[0:1], s[0:1], v[18:19]
	v_cmp_ngt_f64_e64 s[2:3], s[2:3], v[18:19]
	v_mov_b32_e32 v20, v2
	v_cndmask_b32_e64 v1, v1, v5, s[0:1]
	s_and_b64 s[0:1], s[2:3], s[0:1]
	v_cndmask_b32_e64 v19, 0, v1, s[2:3]
	v_cndmask_b32_e64 v18, 0, v4, s[0:1]
	v_mov_b32_e32 v21, v2
	v_mov_b32_e32 v22, v2
	;; [unrolled: 1-line block ×5, first 2 shown]
	v_mov_b64_e32 v[2:3], v[18:19]
	v_mov_b64_e32 v[4:5], v[20:21]
	;; [unrolled: 1-line block ×4, first 2 shown]
.LBB78_10:
	s_or_b64 exec, exec, s[6:7]
	v_or_b32_e32 v1, 0x100, v0
	v_cmp_gt_i32_e64 s[0:1], s9, v1
	s_and_saveexec_b64 s[6:7], s[0:1]
	s_cbranch_execz .LBB78_12
; %bb.11:
	s_mov_b32 s0, 0x652b82fe
	s_mov_b32 s1, 0x3ff71547
	s_waitcnt vmcnt(0)
	v_mul_f64 v[4:5], v[16:17], s[0:1]
	s_mov_b32 s0, 0xfefa39ef
	v_rndne_f64_e32 v[4:5], v[4:5]
	s_mov_b32 s1, 0xbfe62e42
	v_fma_f64 v[18:19], s[0:1], v[4:5], v[16:17]
	s_mov_b32 s0, 0x3b39803f
	s_mov_b32 s1, 0xbc7abc9e
	v_fmac_f64_e32 v[18:19], s[0:1], v[4:5]
	s_mov_b32 s0, 0x6a5dcb37
	v_mov_b32_e32 v20, 0xfca7ab0c
	v_mov_b32_e32 v21, 0x3e928af3
	s_mov_b32 s1, 0x3e5ade15
	v_fmac_f64_e32 v[20:21], s[0:1], v[18:19]
	v_mov_b32_e32 v22, 0x623fde64
	v_mov_b32_e32 v23, 0x3ec71dee
	v_fmac_f64_e32 v[22:23], v[18:19], v[20:21]
	v_mov_b32_e32 v20, 0x7c89e6b0
	v_mov_b32_e32 v21, 0x3efa0199
	;; [unrolled: 3-line block ×8, first 2 shown]
	v_fmac_f64_e32 v[20:21], v[18:19], v[22:23]
	v_fma_f64 v[20:21], v[18:19], v[20:21], 1.0
	s_mov_b32 s0, 0
	s_mov_b32 s2, 0
	v_fma_f64 v[18:19], v[18:19], v[20:21], 1.0
	v_cvt_i32_f64_e32 v4, v[4:5]
	s_mov_b32 s1, 0x40900000
	s_mov_b32 s3, 0xc090cc00
	v_ldexp_f64 v[4:5], v[18:19], v4
	v_mov_b32_e32 v11, 0x7ff00000
	v_cmp_nlt_f64_e64 s[0:1], s[0:1], v[16:17]
	v_cmp_ngt_f64_e64 s[2:3], s[2:3], v[16:17]
	s_nop 0
	v_cndmask_b32_e64 v5, v11, v5, s[0:1]
	s_and_b64 s[0:1], s[2:3], s[0:1]
	v_cndmask_b32_e64 v5, 0, v5, s[2:3]
	v_cndmask_b32_e64 v4, 0, v4, s[0:1]
.LBB78_12:
	s_or_b64 exec, exec, s[6:7]
	v_or_b32_e32 v11, 0x200, v0
	v_cmp_gt_i32_e64 s[0:1], s9, v11
	s_and_saveexec_b64 s[6:7], s[0:1]
	s_cbranch_execz .LBB78_14
; %bb.13:
	s_mov_b32 s0, 0x652b82fe
	s_mov_b32 s1, 0x3ff71547
	s_waitcnt vmcnt(0)
	v_mul_f64 v[6:7], v[14:15], s[0:1]
	s_mov_b32 s0, 0xfefa39ef
	v_rndne_f64_e32 v[6:7], v[6:7]
	s_mov_b32 s1, 0xbfe62e42
	v_fma_f64 v[16:17], s[0:1], v[6:7], v[14:15]
	s_mov_b32 s0, 0x3b39803f
	s_mov_b32 s1, 0xbc7abc9e
	v_fmac_f64_e32 v[16:17], s[0:1], v[6:7]
	s_mov_b32 s0, 0x6a5dcb37
	v_mov_b32_e32 v18, 0xfca7ab0c
	v_mov_b32_e32 v19, 0x3e928af3
	s_mov_b32 s1, 0x3e5ade15
	v_fmac_f64_e32 v[18:19], s[0:1], v[16:17]
	v_mov_b32_e32 v20, 0x623fde64
	v_mov_b32_e32 v21, 0x3ec71dee
	v_fmac_f64_e32 v[20:21], v[16:17], v[18:19]
	v_mov_b32_e32 v18, 0x7c89e6b0
	v_mov_b32_e32 v19, 0x3efa0199
	v_fmac_f64_e32 v[18:19], v[16:17], v[20:21]
	v_mov_b32_e32 v20, 0x14761f6e
	v_mov_b32_e32 v21, 0x3f2a01a0
	v_fmac_f64_e32 v[20:21], v[16:17], v[18:19]
	v_mov_b32_e32 v18, 0x1852b7b0
	v_mov_b32_e32 v19, 0x3f56c16c
	v_fmac_f64_e32 v[18:19], v[16:17], v[20:21]
	v_mov_b32_e32 v20, 0x11122322
	v_mov_b32_e32 v21, 0x3f811111
	v_fmac_f64_e32 v[20:21], v[16:17], v[18:19]
	v_mov_b32_e32 v18, 0x555502a1
	v_mov_b32_e32 v19, 0x3fa55555
	v_fmac_f64_e32 v[18:19], v[16:17], v[20:21]
	v_mov_b32_e32 v20, 0x55555511
	v_mov_b32_e32 v21, 0x3fc55555
	v_fmac_f64_e32 v[20:21], v[16:17], v[18:19]
	v_mov_b32_e32 v18, 11
	v_mov_b32_e32 v19, 0x3fe00000
	v_fmac_f64_e32 v[18:19], v[16:17], v[20:21]
	v_fma_f64 v[18:19], v[16:17], v[18:19], 1.0
	s_mov_b32 s0, 0
	s_mov_b32 s2, 0
	v_fma_f64 v[16:17], v[16:17], v[18:19], 1.0
	v_cvt_i32_f64_e32 v6, v[6:7]
	s_mov_b32 s1, 0x40900000
	s_mov_b32 s3, 0xc090cc00
	v_ldexp_f64 v[6:7], v[16:17], v6
	v_mov_b32_e32 v11, 0x7ff00000
	v_cmp_nlt_f64_e64 s[0:1], s[0:1], v[14:15]
	v_cmp_ngt_f64_e64 s[2:3], s[2:3], v[14:15]
	s_nop 0
	v_cndmask_b32_e64 v7, v11, v7, s[0:1]
	s_and_b64 s[0:1], s[2:3], s[0:1]
	v_cndmask_b32_e64 v7, 0, v7, s[2:3]
	v_cndmask_b32_e64 v6, 0, v6, s[0:1]
.LBB78_14:
	s_or_b64 exec, exec, s[6:7]
	v_or_b32_e32 v11, 0x300, v0
	v_cmp_gt_i32_e64 s[0:1], s9, v11
	s_and_saveexec_b64 s[6:7], s[0:1]
	s_cbranch_execnz .LBB78_20
; %bb.15:
	s_or_b64 exec, exec, s[6:7]
	s_and_saveexec_b64 s[0:1], vcc
	s_xor_b64 s[0:1], exec, s[0:1]
	s_cbranch_execnz .LBB78_21
.LBB78_16:
	s_or_b64 exec, exec, s[0:1]
	v_cmp_gt_i32_e32 vcc, s9, v0
	s_and_saveexec_b64 s[0:1], vcc
	s_cbranch_execnz .LBB78_22
.LBB78_17:
	s_or_b64 exec, exec, s[0:1]
	v_cmp_gt_i32_e32 vcc, s9, v0
	s_and_saveexec_b64 s[0:1], vcc
	s_cbranch_execnz .LBB78_23
.LBB78_18:
	s_or_b64 exec, exec, s[0:1]
	v_cmp_gt_i32_e32 vcc, s9, v0
	s_and_saveexec_b64 s[0:1], vcc
	s_cbranch_execnz .LBB78_24
.LBB78_19:
	s_endpgm
.LBB78_20:
	s_mov_b32 s0, 0x652b82fe
	s_mov_b32 s1, 0x3ff71547
	s_waitcnt vmcnt(0)
	v_mul_f64 v[8:9], v[12:13], s[0:1]
	s_mov_b32 s0, 0xfefa39ef
	v_rndne_f64_e32 v[8:9], v[8:9]
	s_mov_b32 s1, 0xbfe62e42
	v_fma_f64 v[14:15], s[0:1], v[8:9], v[12:13]
	s_mov_b32 s0, 0x3b39803f
	s_mov_b32 s1, 0xbc7abc9e
	v_fmac_f64_e32 v[14:15], s[0:1], v[8:9]
	s_mov_b32 s0, 0x6a5dcb37
	v_mov_b32_e32 v16, 0xfca7ab0c
	v_mov_b32_e32 v17, 0x3e928af3
	s_mov_b32 s1, 0x3e5ade15
	v_fmac_f64_e32 v[16:17], s[0:1], v[14:15]
	v_mov_b32_e32 v18, 0x623fde64
	v_mov_b32_e32 v19, 0x3ec71dee
	v_fmac_f64_e32 v[18:19], v[14:15], v[16:17]
	v_mov_b32_e32 v16, 0x7c89e6b0
	v_mov_b32_e32 v17, 0x3efa0199
	;; [unrolled: 3-line block ×8, first 2 shown]
	v_fmac_f64_e32 v[16:17], v[14:15], v[18:19]
	v_fma_f64 v[16:17], v[14:15], v[16:17], 1.0
	s_mov_b32 s0, 0
	s_mov_b32 s2, 0
	v_fma_f64 v[14:15], v[14:15], v[16:17], 1.0
	v_cvt_i32_f64_e32 v8, v[8:9]
	s_mov_b32 s1, 0x40900000
	s_mov_b32 s3, 0xc090cc00
	v_ldexp_f64 v[8:9], v[14:15], v8
	v_mov_b32_e32 v11, 0x7ff00000
	v_cmp_nlt_f64_e64 s[0:1], s[0:1], v[12:13]
	v_cmp_ngt_f64_e64 s[2:3], s[2:3], v[12:13]
	s_nop 0
	v_cndmask_b32_e64 v9, v11, v9, s[0:1]
	s_and_b64 s[0:1], s[2:3], s[0:1]
	v_cndmask_b32_e64 v9, 0, v9, s[2:3]
	v_cndmask_b32_e64 v8, 0, v8, s[0:1]
	s_or_b64 exec, exec, s[6:7]
	s_and_saveexec_b64 s[0:1], vcc
	s_xor_b64 s[0:1], exec, s[0:1]
	s_cbranch_execz .LBB78_16
.LBB78_21:
	v_mov_b32_e32 v11, 0
	v_lshl_add_u64 v[10:11], v[10:11], 3, s[4:5]
	v_mov_b32_e32 v0, v1
	global_store_dwordx2 v[10:11], v[2:3], off
	s_or_b64 exec, exec, s[0:1]
	v_cmp_gt_i32_e32 vcc, s9, v0
	s_and_saveexec_b64 s[0:1], vcc
	s_cbranch_execz .LBB78_17
.LBB78_22:
	v_add_u32_e32 v2, 0x100, v0
	v_add_u32_e32 v0, s8, v0
	v_mov_b32_e32 v1, 0
	v_lshl_add_u64 v[0:1], v[0:1], 3, s[4:5]
	global_store_dwordx2 v[0:1], v[4:5], off
	v_mov_b32_e32 v0, v2
	s_or_b64 exec, exec, s[0:1]
	v_cmp_gt_i32_e32 vcc, s9, v0
	s_and_saveexec_b64 s[0:1], vcc
	s_cbranch_execz .LBB78_18
.LBB78_23:
	v_add_u32_e32 v2, 0x100, v0
	v_add_u32_e32 v0, s8, v0
	v_mov_b32_e32 v1, 0
	v_lshl_add_u64 v[0:1], v[0:1], 3, s[4:5]
	global_store_dwordx2 v[0:1], v[6:7], off
	v_mov_b32_e32 v0, v2
	s_or_b64 exec, exec, s[0:1]
	v_cmp_gt_i32_e32 vcc, s9, v0
	s_and_saveexec_b64 s[0:1], vcc
	s_cbranch_execz .LBB78_19
.LBB78_24:
	v_add_u32_e32 v0, s8, v0
	v_mov_b32_e32 v1, 0
	v_lshl_add_u64 v[0:1], v[0:1], 3, s[4:5]
	global_store_dwordx2 v[0:1], v[8:9], off
	s_endpgm
	.section	.rodata,"a",@progbits
	.p2align	6, 0x0
	.amdhsa_kernel _ZN2at6native27unrolled_elementwise_kernelIZZZNS0_15exp_kernel_cudaERNS_18TensorIteratorBaseEENKUlvE0_clEvENKUlvE_clEvEUldE_St5arrayIPcLm2EELi4E23TrivialOffsetCalculatorILi1EjESB_NS0_6memory15LoadWithoutCastENSC_16StoreWithoutCastEEEviT_T0_T2_T3_T4_T5_
		.amdhsa_group_segment_fixed_size 0
		.amdhsa_private_segment_fixed_size 0
		.amdhsa_kernarg_size 28
		.amdhsa_user_sgpr_count 2
		.amdhsa_user_sgpr_dispatch_ptr 0
		.amdhsa_user_sgpr_queue_ptr 0
		.amdhsa_user_sgpr_kernarg_segment_ptr 1
		.amdhsa_user_sgpr_dispatch_id 0
		.amdhsa_user_sgpr_kernarg_preload_length 0
		.amdhsa_user_sgpr_kernarg_preload_offset 0
		.amdhsa_user_sgpr_private_segment_size 0
		.amdhsa_uses_dynamic_stack 0
		.amdhsa_enable_private_segment 0
		.amdhsa_system_sgpr_workgroup_id_x 1
		.amdhsa_system_sgpr_workgroup_id_y 0
		.amdhsa_system_sgpr_workgroup_id_z 0
		.amdhsa_system_sgpr_workgroup_info 0
		.amdhsa_system_vgpr_workitem_id 0
		.amdhsa_next_free_vgpr 26
		.amdhsa_next_free_sgpr 10
		.amdhsa_accum_offset 28
		.amdhsa_reserve_vcc 1
		.amdhsa_float_round_mode_32 0
		.amdhsa_float_round_mode_16_64 0
		.amdhsa_float_denorm_mode_32 3
		.amdhsa_float_denorm_mode_16_64 3
		.amdhsa_dx10_clamp 1
		.amdhsa_ieee_mode 1
		.amdhsa_fp16_overflow 0
		.amdhsa_tg_split 0
		.amdhsa_exception_fp_ieee_invalid_op 0
		.amdhsa_exception_fp_denorm_src 0
		.amdhsa_exception_fp_ieee_div_zero 0
		.amdhsa_exception_fp_ieee_overflow 0
		.amdhsa_exception_fp_ieee_underflow 0
		.amdhsa_exception_fp_ieee_inexact 0
		.amdhsa_exception_int_div_zero 0
	.end_amdhsa_kernel
	.section	.text._ZN2at6native27unrolled_elementwise_kernelIZZZNS0_15exp_kernel_cudaERNS_18TensorIteratorBaseEENKUlvE0_clEvENKUlvE_clEvEUldE_St5arrayIPcLm2EELi4E23TrivialOffsetCalculatorILi1EjESB_NS0_6memory15LoadWithoutCastENSC_16StoreWithoutCastEEEviT_T0_T2_T3_T4_T5_,"axG",@progbits,_ZN2at6native27unrolled_elementwise_kernelIZZZNS0_15exp_kernel_cudaERNS_18TensorIteratorBaseEENKUlvE0_clEvENKUlvE_clEvEUldE_St5arrayIPcLm2EELi4E23TrivialOffsetCalculatorILi1EjESB_NS0_6memory15LoadWithoutCastENSC_16StoreWithoutCastEEEviT_T0_T2_T3_T4_T5_,comdat
.Lfunc_end78:
	.size	_ZN2at6native27unrolled_elementwise_kernelIZZZNS0_15exp_kernel_cudaERNS_18TensorIteratorBaseEENKUlvE0_clEvENKUlvE_clEvEUldE_St5arrayIPcLm2EELi4E23TrivialOffsetCalculatorILi1EjESB_NS0_6memory15LoadWithoutCastENSC_16StoreWithoutCastEEEviT_T0_T2_T3_T4_T5_, .Lfunc_end78-_ZN2at6native27unrolled_elementwise_kernelIZZZNS0_15exp_kernel_cudaERNS_18TensorIteratorBaseEENKUlvE0_clEvENKUlvE_clEvEUldE_St5arrayIPcLm2EELi4E23TrivialOffsetCalculatorILi1EjESB_NS0_6memory15LoadWithoutCastENSC_16StoreWithoutCastEEEviT_T0_T2_T3_T4_T5_
                                        ; -- End function
	.set _ZN2at6native27unrolled_elementwise_kernelIZZZNS0_15exp_kernel_cudaERNS_18TensorIteratorBaseEENKUlvE0_clEvENKUlvE_clEvEUldE_St5arrayIPcLm2EELi4E23TrivialOffsetCalculatorILi1EjESB_NS0_6memory15LoadWithoutCastENSC_16StoreWithoutCastEEEviT_T0_T2_T3_T4_T5_.num_vgpr, 26
	.set _ZN2at6native27unrolled_elementwise_kernelIZZZNS0_15exp_kernel_cudaERNS_18TensorIteratorBaseEENKUlvE0_clEvENKUlvE_clEvEUldE_St5arrayIPcLm2EELi4E23TrivialOffsetCalculatorILi1EjESB_NS0_6memory15LoadWithoutCastENSC_16StoreWithoutCastEEEviT_T0_T2_T3_T4_T5_.num_agpr, 0
	.set _ZN2at6native27unrolled_elementwise_kernelIZZZNS0_15exp_kernel_cudaERNS_18TensorIteratorBaseEENKUlvE0_clEvENKUlvE_clEvEUldE_St5arrayIPcLm2EELi4E23TrivialOffsetCalculatorILi1EjESB_NS0_6memory15LoadWithoutCastENSC_16StoreWithoutCastEEEviT_T0_T2_T3_T4_T5_.numbered_sgpr, 10
	.set _ZN2at6native27unrolled_elementwise_kernelIZZZNS0_15exp_kernel_cudaERNS_18TensorIteratorBaseEENKUlvE0_clEvENKUlvE_clEvEUldE_St5arrayIPcLm2EELi4E23TrivialOffsetCalculatorILi1EjESB_NS0_6memory15LoadWithoutCastENSC_16StoreWithoutCastEEEviT_T0_T2_T3_T4_T5_.num_named_barrier, 0
	.set _ZN2at6native27unrolled_elementwise_kernelIZZZNS0_15exp_kernel_cudaERNS_18TensorIteratorBaseEENKUlvE0_clEvENKUlvE_clEvEUldE_St5arrayIPcLm2EELi4E23TrivialOffsetCalculatorILi1EjESB_NS0_6memory15LoadWithoutCastENSC_16StoreWithoutCastEEEviT_T0_T2_T3_T4_T5_.private_seg_size, 0
	.set _ZN2at6native27unrolled_elementwise_kernelIZZZNS0_15exp_kernel_cudaERNS_18TensorIteratorBaseEENKUlvE0_clEvENKUlvE_clEvEUldE_St5arrayIPcLm2EELi4E23TrivialOffsetCalculatorILi1EjESB_NS0_6memory15LoadWithoutCastENSC_16StoreWithoutCastEEEviT_T0_T2_T3_T4_T5_.uses_vcc, 1
	.set _ZN2at6native27unrolled_elementwise_kernelIZZZNS0_15exp_kernel_cudaERNS_18TensorIteratorBaseEENKUlvE0_clEvENKUlvE_clEvEUldE_St5arrayIPcLm2EELi4E23TrivialOffsetCalculatorILi1EjESB_NS0_6memory15LoadWithoutCastENSC_16StoreWithoutCastEEEviT_T0_T2_T3_T4_T5_.uses_flat_scratch, 0
	.set _ZN2at6native27unrolled_elementwise_kernelIZZZNS0_15exp_kernel_cudaERNS_18TensorIteratorBaseEENKUlvE0_clEvENKUlvE_clEvEUldE_St5arrayIPcLm2EELi4E23TrivialOffsetCalculatorILi1EjESB_NS0_6memory15LoadWithoutCastENSC_16StoreWithoutCastEEEviT_T0_T2_T3_T4_T5_.has_dyn_sized_stack, 0
	.set _ZN2at6native27unrolled_elementwise_kernelIZZZNS0_15exp_kernel_cudaERNS_18TensorIteratorBaseEENKUlvE0_clEvENKUlvE_clEvEUldE_St5arrayIPcLm2EELi4E23TrivialOffsetCalculatorILi1EjESB_NS0_6memory15LoadWithoutCastENSC_16StoreWithoutCastEEEviT_T0_T2_T3_T4_T5_.has_recursion, 0
	.set _ZN2at6native27unrolled_elementwise_kernelIZZZNS0_15exp_kernel_cudaERNS_18TensorIteratorBaseEENKUlvE0_clEvENKUlvE_clEvEUldE_St5arrayIPcLm2EELi4E23TrivialOffsetCalculatorILi1EjESB_NS0_6memory15LoadWithoutCastENSC_16StoreWithoutCastEEEviT_T0_T2_T3_T4_T5_.has_indirect_call, 0
	.section	.AMDGPU.csdata,"",@progbits
; Kernel info:
; codeLenInByte = 2164
; TotalNumSgprs: 16
; NumVgprs: 26
; NumAgprs: 0
; TotalNumVgprs: 26
; ScratchSize: 0
; MemoryBound: 0
; FloatMode: 240
; IeeeMode: 1
; LDSByteSize: 0 bytes/workgroup (compile time only)
; SGPRBlocks: 1
; VGPRBlocks: 3
; NumSGPRsForWavesPerEU: 16
; NumVGPRsForWavesPerEU: 26
; AccumOffset: 28
; Occupancy: 8
; WaveLimiterHint : 0
; COMPUTE_PGM_RSRC2:SCRATCH_EN: 0
; COMPUTE_PGM_RSRC2:USER_SGPR: 2
; COMPUTE_PGM_RSRC2:TRAP_HANDLER: 0
; COMPUTE_PGM_RSRC2:TGID_X_EN: 1
; COMPUTE_PGM_RSRC2:TGID_Y_EN: 0
; COMPUTE_PGM_RSRC2:TGID_Z_EN: 0
; COMPUTE_PGM_RSRC2:TIDIG_COMP_CNT: 0
; COMPUTE_PGM_RSRC3_GFX90A:ACCUM_OFFSET: 6
; COMPUTE_PGM_RSRC3_GFX90A:TG_SPLIT: 0
	.section	.text._ZN2at6native32elementwise_kernel_manual_unrollILi128ELi4EZNS0_22gpu_kernel_impl_nocastIZZZNS0_15exp_kernel_cudaERNS_18TensorIteratorBaseEENKUlvE0_clEvENKUlvE_clEvEUldE_EEvS4_RKT_EUlibE_EEviT1_,"axG",@progbits,_ZN2at6native32elementwise_kernel_manual_unrollILi128ELi4EZNS0_22gpu_kernel_impl_nocastIZZZNS0_15exp_kernel_cudaERNS_18TensorIteratorBaseEENKUlvE0_clEvENKUlvE_clEvEUldE_EEvS4_RKT_EUlibE_EEviT1_,comdat
	.globl	_ZN2at6native32elementwise_kernel_manual_unrollILi128ELi4EZNS0_22gpu_kernel_impl_nocastIZZZNS0_15exp_kernel_cudaERNS_18TensorIteratorBaseEENKUlvE0_clEvENKUlvE_clEvEUldE_EEvS4_RKT_EUlibE_EEviT1_ ; -- Begin function _ZN2at6native32elementwise_kernel_manual_unrollILi128ELi4EZNS0_22gpu_kernel_impl_nocastIZZZNS0_15exp_kernel_cudaERNS_18TensorIteratorBaseEENKUlvE0_clEvENKUlvE_clEvEUldE_EEvS4_RKT_EUlibE_EEviT1_
	.p2align	8
	.type	_ZN2at6native32elementwise_kernel_manual_unrollILi128ELi4EZNS0_22gpu_kernel_impl_nocastIZZZNS0_15exp_kernel_cudaERNS_18TensorIteratorBaseEENKUlvE0_clEvENKUlvE_clEvEUldE_EEvS4_RKT_EUlibE_EEviT1_,@function
_ZN2at6native32elementwise_kernel_manual_unrollILi128ELi4EZNS0_22gpu_kernel_impl_nocastIZZZNS0_15exp_kernel_cudaERNS_18TensorIteratorBaseEENKUlvE0_clEvENKUlvE_clEvEUldE_EEvS4_RKT_EUlibE_EEviT1_: ; @_ZN2at6native32elementwise_kernel_manual_unrollILi128ELi4EZNS0_22gpu_kernel_impl_nocastIZZZNS0_15exp_kernel_cudaERNS_18TensorIteratorBaseEENKUlvE0_clEvENKUlvE_clEvEUldE_EEvS4_RKT_EUlibE_EEviT1_
; %bb.0:
	s_load_dword s55, s[0:1], 0x0
	s_load_dword s33, s[0:1], 0x8
	s_add_u32 s34, s0, 8
	s_addc_u32 s35, s1, 0
	v_lshl_or_b32 v8, s2, 9, v0
	v_or_b32_e32 v16, 0x180, v8
	s_waitcnt lgkmcnt(0)
	s_add_i32 s54, s33, -1
	s_cmp_gt_u32 s54, 1
	v_cmp_le_i32_e32 vcc, s55, v16
	s_cselect_b64 s[36:37], -1, 0
	s_and_saveexec_b64 s[0:1], vcc
	s_xor_b64 s[38:39], exec, s[0:1]
	s_cbranch_execz .LBB79_8
; %bb.1:
	s_load_dwordx4 s[24:27], s[34:35], 0x4
	s_load_dwordx2 s[40:41], s[34:35], 0x14
	s_load_dwordx4 s[20:23], s[34:35], 0xc4
	s_load_dwordx4 s[16:19], s[34:35], 0x148
	s_cmp_lg_u32 s33, 0
	s_cselect_b64 s[46:47], -1, 0
	s_add_u32 s44, s34, 0xc4
	s_addc_u32 s45, s35, 0
	s_min_u32 s56, s54, 15
	s_cmp_gt_u32 s33, 1
	s_cselect_b64 s[42:43], -1, 0
	v_cmp_gt_i32_e32 vcc, s55, v8
	s_and_saveexec_b64 s[48:49], vcc
	s_cbranch_execz .LBB79_15
; %bb.2:
	s_andn2_b64 vcc, exec, s[36:37]
	s_cbranch_vccnz .LBB79_23
; %bb.3:
	s_andn2_b64 vcc, exec, s[46:47]
	s_cbranch_vccnz .LBB79_75
; %bb.4:
	s_add_i32 s58, s56, 1
	s_cmp_eq_u32 s54, 2
	s_cbranch_scc1 .LBB79_77
; %bb.5:
	s_and_b32 s57, s58, 28
	s_mov_b32 s59, 0
	v_mov_b32_e32 v0, 0
	v_mov_b32_e32 v2, 0
	s_mov_b64 s[50:51], s[34:35]
	s_mov_b64 s[52:53], s[44:45]
	v_mov_b32_e32 v4, v8
.LBB79_6:                               ; =>This Inner Loop Header: Depth=1
	s_load_dwordx8 s[8:15], s[50:51], 0x4
	s_load_dwordx4 s[28:31], s[50:51], 0x24
	s_load_dwordx8 s[0:7], s[52:53], 0x0
	s_add_u32 s50, s50, 48
	s_addc_u32 s51, s51, 0
	s_waitcnt lgkmcnt(0)
	v_mul_hi_u32 v1, s9, v4
	v_add_u32_e32 v1, v4, v1
	v_lshrrev_b32_e32 v1, s10, v1
	v_mul_lo_u32 v3, v1, s8
	v_mul_hi_u32 v5, s12, v1
	v_sub_u32_e32 v3, v4, v3
	v_add_u32_e32 v4, v1, v5
	v_lshrrev_b32_e32 v4, s13, v4
	v_mul_lo_u32 v6, v4, s11
	v_mul_hi_u32 v7, s15, v4
	v_sub_u32_e32 v1, v1, v6
	v_add_u32_e32 v6, v4, v7
	v_mul_lo_u32 v5, v3, s1
	v_mul_lo_u32 v3, v3, s0
	;; [unrolled: 1-line block ×4, first 2 shown]
	v_lshrrev_b32_e32 v6, s28, v6
	v_add3_u32 v0, v3, v0, v1
	v_mul_hi_u32 v3, s30, v6
	v_add3_u32 v1, v5, v2, v7
	v_mul_lo_u32 v2, v6, s14
	v_add_u32_e32 v3, v6, v3
	v_sub_u32_e32 v2, v4, v2
	v_lshrrev_b32_e32 v4, s31, v3
	s_add_i32 s59, s59, 4
	v_mul_lo_u32 v3, v4, s29
	s_add_u32 s52, s52, 32
	v_sub_u32_e32 v3, v6, v3
	s_addc_u32 s53, s53, 0
	v_mul_lo_u32 v5, v2, s4
	v_mul_lo_u32 v2, v2, s5
	;; [unrolled: 1-line block ×4, first 2 shown]
	s_cmp_lg_u32 s57, s59
	v_add3_u32 v2, v2, v1, v3
	v_add3_u32 v0, v5, v0, v6
	s_cbranch_scc1 .LBB79_6
; %bb.7:
	v_mov_b32_e32 v1, v2
	s_branch .LBB79_78
.LBB79_8:
	s_andn2_saveexec_b64 s[0:1], s[38:39]
	s_cbranch_execz .LBB79_104
.LBB79_9:
	v_cndmask_b32_e64 v0, 0, 1, s[36:37]
	v_cmp_ne_u32_e64 s[0:1], 1, v0
	s_andn2_b64 vcc, exec, s[36:37]
	s_cbranch_vccnz .LBB79_22
; %bb.10:
	s_cmp_lg_u32 s33, 0
	s_waitcnt lgkmcnt(0)
	s_mov_b32 s26, 0
	s_cbranch_scc0 .LBB79_25
; %bb.11:
	s_min_u32 s27, s54, 15
	s_add_i32 s27, s27, 1
	s_cmp_eq_u32 s54, 2
	s_cbranch_scc1 .LBB79_26
; %bb.12:
	s_and_b32 s26, s27, 28
	s_add_u32 s2, s34, 0xc4
	s_addc_u32 s3, s35, 0
	s_mov_b32 s28, 0
	v_mov_b32_e32 v0, 0
	v_mov_b32_e32 v2, 0
	s_mov_b64 s[24:25], s[34:35]
	v_mov_b32_e32 v4, v8
.LBB79_13:                              ; =>This Inner Loop Header: Depth=1
	s_load_dwordx8 s[12:19], s[24:25], 0x4
	s_load_dwordx4 s[20:23], s[24:25], 0x24
	s_load_dwordx8 s[4:11], s[2:3], 0x0
	s_add_u32 s24, s24, 48
	s_addc_u32 s25, s25, 0
	s_waitcnt lgkmcnt(0)
	v_mul_hi_u32 v1, s13, v4
	v_add_u32_e32 v1, v4, v1
	v_lshrrev_b32_e32 v1, s14, v1
	v_mul_lo_u32 v3, v1, s12
	v_mul_hi_u32 v5, s16, v1
	v_sub_u32_e32 v3, v4, v3
	v_add_u32_e32 v4, v1, v5
	v_lshrrev_b32_e32 v4, s17, v4
	v_mul_lo_u32 v6, v4, s15
	v_mul_hi_u32 v7, s19, v4
	v_sub_u32_e32 v1, v1, v6
	v_add_u32_e32 v6, v4, v7
	v_mul_lo_u32 v5, v3, s5
	v_mul_lo_u32 v3, v3, s4
	;; [unrolled: 1-line block ×4, first 2 shown]
	v_lshrrev_b32_e32 v6, s20, v6
	v_add3_u32 v0, v3, v0, v1
	v_mul_hi_u32 v3, s22, v6
	v_add3_u32 v1, v5, v2, v7
	v_mul_lo_u32 v2, v6, s18
	v_add_u32_e32 v3, v6, v3
	v_sub_u32_e32 v2, v4, v2
	v_lshrrev_b32_e32 v4, s23, v3
	s_add_i32 s28, s28, 4
	v_mul_lo_u32 v3, v4, s21
	s_add_u32 s2, s2, 32
	v_sub_u32_e32 v3, v6, v3
	s_addc_u32 s3, s3, 0
	v_mul_lo_u32 v5, v2, s8
	v_mul_lo_u32 v2, v2, s9
	;; [unrolled: 1-line block ×4, first 2 shown]
	s_cmp_lg_u32 s26, s28
	v_add3_u32 v2, v2, v1, v3
	v_add3_u32 v0, v5, v0, v6
	s_cbranch_scc1 .LBB79_13
; %bb.14:
	v_mov_b32_e32 v1, v2
	s_and_b32 s6, s27, 3
	s_cmp_eq_u32 s6, 0
	s_cbranch_scc0 .LBB79_27
	s_branch .LBB79_29
.LBB79_15:
	s_or_b64 exec, exec, s[48:49]
	v_cmp_gt_i32_e32 vcc, s55, v8
	s_and_saveexec_b64 s[48:49], vcc
	s_cbranch_execz .LBB79_85
.LBB79_16:
	s_andn2_b64 vcc, exec, s[36:37]
	s_cbranch_vccnz .LBB79_24
; %bb.17:
	s_andn2_b64 vcc, exec, s[46:47]
	s_cbranch_vccnz .LBB79_76
; %bb.18:
	s_add_i32 s58, s56, 1
	s_cmp_eq_u32 s54, 2
	s_cbranch_scc1 .LBB79_94
; %bb.19:
	s_and_b32 s57, s58, 28
	s_mov_b32 s59, 0
	v_mov_b32_e32 v0, 0
	v_mov_b32_e32 v2, 0
	s_mov_b64 s[50:51], s[34:35]
	s_mov_b64 s[52:53], s[44:45]
	v_mov_b32_e32 v4, v8
.LBB79_20:                              ; =>This Inner Loop Header: Depth=1
	s_load_dwordx8 s[8:15], s[50:51], 0x4
	s_load_dwordx4 s[28:31], s[50:51], 0x24
	s_load_dwordx8 s[0:7], s[52:53], 0x0
	s_add_u32 s50, s50, 48
	s_addc_u32 s51, s51, 0
	s_waitcnt lgkmcnt(0)
	v_mul_hi_u32 v1, s9, v4
	v_add_u32_e32 v1, v4, v1
	v_lshrrev_b32_e32 v1, s10, v1
	v_mul_lo_u32 v3, v1, s8
	v_mul_hi_u32 v5, s12, v1
	v_sub_u32_e32 v3, v4, v3
	v_add_u32_e32 v4, v1, v5
	v_lshrrev_b32_e32 v4, s13, v4
	v_mul_lo_u32 v6, v4, s11
	v_mul_hi_u32 v7, s15, v4
	v_sub_u32_e32 v1, v1, v6
	v_add_u32_e32 v6, v4, v7
	v_mul_lo_u32 v5, v3, s1
	v_mul_lo_u32 v3, v3, s0
	;; [unrolled: 1-line block ×4, first 2 shown]
	v_lshrrev_b32_e32 v6, s28, v6
	v_add3_u32 v0, v3, v0, v1
	v_mul_hi_u32 v3, s30, v6
	v_add3_u32 v1, v5, v2, v7
	v_mul_lo_u32 v2, v6, s14
	v_add_u32_e32 v3, v6, v3
	v_sub_u32_e32 v2, v4, v2
	v_lshrrev_b32_e32 v4, s31, v3
	s_add_i32 s59, s59, 4
	v_mul_lo_u32 v3, v4, s29
	s_add_u32 s52, s52, 32
	v_sub_u32_e32 v3, v6, v3
	s_addc_u32 s53, s53, 0
	v_mul_lo_u32 v5, v2, s4
	v_mul_lo_u32 v2, v2, s5
	;; [unrolled: 1-line block ×4, first 2 shown]
	s_cmp_eq_u32 s57, s59
	v_add3_u32 v2, v2, v1, v3
	v_add3_u32 v0, v5, v0, v6
	s_cbranch_scc0 .LBB79_20
; %bb.21:
	v_mov_b32_e32 v1, v2
	s_branch .LBB79_95
.LBB79_22:
                                        ; implicit-def: $vgpr2
                                        ; implicit-def: $vgpr0
	s_branch .LBB79_30
.LBB79_23:
                                        ; implicit-def: $vgpr2
                                        ; implicit-def: $vgpr0
	s_branch .LBB79_82
.LBB79_24:
                                        ; implicit-def: $vgpr2
                                        ; implicit-def: $vgpr0
	s_branch .LBB79_99
.LBB79_25:
	v_mov_b32_e32 v2, 0
	v_mov_b32_e32 v0, 0
	s_branch .LBB79_29
.LBB79_26:
	v_mov_b32_e32 v0, 0
                                        ; implicit-def: $vgpr2
	v_mov_b32_e32 v1, v0
	v_mov_b32_e32 v4, v8
	s_and_b32 s6, s27, 3
	s_cmp_eq_u32 s6, 0
	s_cbranch_scc1 .LBB79_29
.LBB79_27:
	s_lshl_b32 s2, s26, 3
	s_add_u32 s2, s34, s2
	s_addc_u32 s3, s35, 0
	s_add_u32 s2, s2, 0xc4
	s_addc_u32 s3, s3, 0
	s_mul_i32 s4, s26, 12
	s_add_u32 s4, s34, s4
	s_addc_u32 s5, s35, 0
.LBB79_28:                              ; =>This Inner Loop Header: Depth=1
	s_load_dwordx2 s[8:9], s[4:5], 0x4
	s_load_dword s7, s[4:5], 0xc
	s_load_dwordx2 s[10:11], s[2:3], 0x0
	v_mov_b32_e32 v2, v1
	s_add_u32 s4, s4, 12
	s_waitcnt lgkmcnt(0)
	v_mul_hi_u32 v1, s9, v4
	v_add_u32_e32 v1, v4, v1
	v_lshrrev_b32_e32 v1, s7, v1
	s_addc_u32 s5, s5, 0
	v_mul_lo_u32 v3, v1, s8
	s_add_u32 s2, s2, 8
	v_sub_u32_e32 v5, v4, v3
	s_addc_u32 s3, s3, 0
	s_add_i32 s6, s6, -1
	v_mov_b32_e32 v4, v1
	v_mad_u64_u32 v[2:3], s[8:9], v5, s11, v[2:3]
	v_mad_u64_u32 v[0:1], s[8:9], v5, s10, v[0:1]
	s_cmp_lg_u32 s6, 0
	v_mov_b32_e32 v1, v2
	s_cbranch_scc1 .LBB79_28
.LBB79_29:
	s_cbranch_execnz .LBB79_32
.LBB79_30:
	s_load_dwordx4 s[4:7], s[34:35], 0x4
	s_load_dwordx2 s[2:3], s[34:35], 0xc4
	s_cmp_lt_u32 s33, 2
	s_waitcnt lgkmcnt(0)
	v_mul_hi_u32 v0, s5, v8
	v_add_u32_e32 v0, v8, v0
	v_lshrrev_b32_e32 v1, s6, v0
	v_mul_lo_u32 v0, v1, s4
	v_sub_u32_e32 v0, v8, v0
	v_mul_lo_u32 v2, v0, s3
	v_mul_lo_u32 v0, v0, s2
	s_cbranch_scc1 .LBB79_32
; %bb.31:
	s_load_dwordx4 s[4:7], s[34:35], 0x10
	s_load_dwordx2 s[2:3], s[34:35], 0xcc
	s_waitcnt lgkmcnt(0)
	v_mul_hi_u32 v3, s5, v1
	v_add_u32_e32 v3, v1, v3
	v_lshrrev_b32_e32 v3, s6, v3
	v_mul_lo_u32 v3, v3, s4
	v_sub_u32_e32 v3, v1, v3
	v_mad_u64_u32 v[0:1], s[4:5], v3, s2, v[0:1]
	v_mad_u64_u32 v[2:3], s[2:3], v3, s3, v[2:3]
.LBB79_32:
	s_and_b64 vcc, exec, s[0:1]
	v_add_u32_e32 v3, 0x80, v8
	s_cbranch_vccnz .LBB79_38
; %bb.33:
	s_cmp_lg_u32 s33, 0
	s_waitcnt lgkmcnt(0)
	s_mov_b32 s26, 0
	s_cbranch_scc0 .LBB79_39
; %bb.34:
	s_min_u32 s27, s54, 15
	s_add_i32 s27, s27, 1
	s_cmp_eq_u32 s54, 2
	s_cbranch_scc1 .LBB79_40
; %bb.35:
	s_and_b32 s26, s27, 28
	s_add_u32 s2, s34, 0xc4
	s_addc_u32 s3, s35, 0
	s_mov_b32 s28, 0
	v_mov_b32_e32 v4, 0
	v_mov_b32_e32 v6, 0
	s_mov_b64 s[24:25], s[34:35]
	v_mov_b32_e32 v9, v3
.LBB79_36:                              ; =>This Inner Loop Header: Depth=1
	s_load_dwordx8 s[12:19], s[24:25], 0x4
	s_load_dwordx4 s[20:23], s[24:25], 0x24
	s_load_dwordx8 s[4:11], s[2:3], 0x0
	s_add_u32 s24, s24, 48
	s_addc_u32 s25, s25, 0
	s_waitcnt lgkmcnt(0)
	v_mul_hi_u32 v1, s13, v9
	v_add_u32_e32 v1, v9, v1
	v_lshrrev_b32_e32 v1, s14, v1
	v_mul_hi_u32 v7, s16, v1
	v_add_u32_e32 v7, v1, v7
	v_lshrrev_b32_e32 v7, s17, v7
	v_mul_lo_u32 v5, v1, s12
	v_mul_lo_u32 v10, v7, s15
	v_mul_hi_u32 v11, s19, v7
	v_sub_u32_e32 v5, v9, v5
	v_sub_u32_e32 v1, v1, v10
	v_add_u32_e32 v10, v7, v11
	v_mul_lo_u32 v9, v5, s5
	v_mul_lo_u32 v5, v5, s4
	;; [unrolled: 1-line block ×4, first 2 shown]
	v_lshrrev_b32_e32 v10, s20, v10
	v_add3_u32 v1, v5, v4, v1
	v_add3_u32 v4, v9, v6, v11
	v_mul_hi_u32 v6, s22, v10
	v_add_u32_e32 v6, v10, v6
	v_lshrrev_b32_e32 v9, s23, v6
	s_add_i32 s28, s28, 4
	v_mul_lo_u32 v5, v10, s18
	v_mul_lo_u32 v6, v9, s21
	s_add_u32 s2, s2, 32
	v_sub_u32_e32 v5, v7, v5
	v_sub_u32_e32 v6, v10, v6
	s_addc_u32 s3, s3, 0
	v_mul_lo_u32 v7, v5, s8
	v_mul_lo_u32 v5, v5, s9
	;; [unrolled: 1-line block ×4, first 2 shown]
	s_cmp_lg_u32 s26, s28
	v_add3_u32 v6, v5, v4, v6
	v_add3_u32 v4, v7, v1, v10
	s_cbranch_scc1 .LBB79_36
; %bb.37:
	v_mov_b32_e32 v1, v6
	s_and_b32 s6, s27, 3
	s_cmp_eq_u32 s6, 0
	s_cbranch_scc0 .LBB79_41
	s_branch .LBB79_43
.LBB79_38:
                                        ; implicit-def: $vgpr6
                                        ; implicit-def: $vgpr4
	s_branch .LBB79_44
.LBB79_39:
	v_mov_b32_e32 v6, 0
	v_mov_b32_e32 v4, 0
	s_branch .LBB79_43
.LBB79_40:
	v_mov_b32_e32 v4, 0
                                        ; implicit-def: $vgpr6
	v_mov_b32_e32 v1, v4
	v_mov_b32_e32 v9, v3
	s_and_b32 s6, s27, 3
	s_cmp_eq_u32 s6, 0
	s_cbranch_scc1 .LBB79_43
.LBB79_41:
	s_lshl_b32 s2, s26, 3
	s_add_u32 s2, s34, s2
	s_addc_u32 s3, s35, 0
	s_add_u32 s2, s2, 0xc4
	s_addc_u32 s3, s3, 0
	s_mul_i32 s4, s26, 12
	s_add_u32 s4, s34, s4
	s_addc_u32 s5, s35, 0
.LBB79_42:                              ; =>This Inner Loop Header: Depth=1
	s_load_dwordx2 s[8:9], s[4:5], 0x4
	s_load_dword s7, s[4:5], 0xc
	s_load_dwordx2 s[10:11], s[2:3], 0x0
	v_mov_b32_e32 v6, v1
	s_add_u32 s4, s4, 12
	s_waitcnt lgkmcnt(0)
	v_mul_hi_u32 v1, s9, v9
	v_add_u32_e32 v1, v9, v1
	v_lshrrev_b32_e32 v1, s7, v1
	s_addc_u32 s5, s5, 0
	v_mul_lo_u32 v5, v1, s8
	s_add_u32 s2, s2, 8
	v_sub_u32_e32 v5, v9, v5
	s_addc_u32 s3, s3, 0
	s_add_i32 s6, s6, -1
	v_mad_u64_u32 v[6:7], s[8:9], v5, s11, v[6:7]
	s_cmp_lg_u32 s6, 0
	v_mov_b32_e32 v9, v1
	v_mad_u64_u32 v[4:5], s[8:9], v5, s10, v[4:5]
	v_mov_b32_e32 v1, v6
	s_cbranch_scc1 .LBB79_42
.LBB79_43:
	s_cbranch_execnz .LBB79_46
.LBB79_44:
	s_load_dwordx4 s[4:7], s[34:35], 0x4
	s_load_dwordx2 s[2:3], s[34:35], 0xc4
	s_cmp_lt_u32 s33, 2
	s_waitcnt lgkmcnt(0)
	v_mul_hi_u32 v1, s5, v3
	v_add_u32_e32 v1, v3, v1
	v_lshrrev_b32_e32 v1, s6, v1
	v_mul_lo_u32 v4, v1, s4
	v_sub_u32_e32 v3, v3, v4
	v_mul_lo_u32 v6, v3, s3
	v_mul_lo_u32 v4, v3, s2
	s_cbranch_scc1 .LBB79_46
; %bb.45:
	s_load_dwordx4 s[4:7], s[34:35], 0x10
	s_load_dwordx2 s[2:3], s[34:35], 0xcc
	s_waitcnt lgkmcnt(0)
	v_mul_hi_u32 v3, s5, v1
	v_add_u32_e32 v3, v1, v3
	v_lshrrev_b32_e32 v3, s6, v3
	v_mul_lo_u32 v3, v3, s4
	v_sub_u32_e32 v1, v1, v3
	v_mad_u64_u32 v[4:5], s[4:5], v1, s2, v[4:5]
	v_mad_u64_u32 v[6:7], s[2:3], v1, s3, v[6:7]
.LBB79_46:
	s_and_b64 vcc, exec, s[0:1]
	v_add_u32_e32 v3, 0x100, v8
	s_cbranch_vccnz .LBB79_52
; %bb.47:
	s_cmp_lg_u32 s33, 0
	s_waitcnt lgkmcnt(0)
	s_mov_b32 s26, 0
	s_cbranch_scc0 .LBB79_53
; %bb.48:
	s_min_u32 s27, s54, 15
	s_add_i32 s27, s27, 1
	s_cmp_eq_u32 s54, 2
	s_cbranch_scc1 .LBB79_54
; %bb.49:
	s_and_b32 s26, s27, 28
	s_add_u32 s2, s34, 0xc4
	s_addc_u32 s3, s35, 0
	s_mov_b32 s28, 0
	v_mov_b32_e32 v8, 0
	v_mov_b32_e32 v10, 0
	s_mov_b64 s[24:25], s[34:35]
	v_mov_b32_e32 v5, v3
.LBB79_50:                              ; =>This Inner Loop Header: Depth=1
	s_load_dwordx8 s[12:19], s[24:25], 0x4
	s_load_dwordx4 s[20:23], s[24:25], 0x24
	s_load_dwordx8 s[4:11], s[2:3], 0x0
	s_add_u32 s24, s24, 48
	s_addc_u32 s25, s25, 0
	s_waitcnt lgkmcnt(0)
	v_mul_hi_u32 v1, s13, v5
	v_add_u32_e32 v1, v5, v1
	v_lshrrev_b32_e32 v1, s14, v1
	v_mul_lo_u32 v7, v1, s12
	v_mul_hi_u32 v9, s16, v1
	v_sub_u32_e32 v5, v5, v7
	v_add_u32_e32 v7, v1, v9
	v_lshrrev_b32_e32 v7, s17, v7
	v_mul_lo_u32 v11, v7, s15
	v_mul_hi_u32 v12, s19, v7
	v_sub_u32_e32 v1, v1, v11
	v_add_u32_e32 v11, v7, v12
	v_mul_lo_u32 v9, v5, s5
	v_mul_lo_u32 v5, v5, s4
	;; [unrolled: 1-line block ×4, first 2 shown]
	v_lshrrev_b32_e32 v11, s20, v11
	v_add3_u32 v1, v5, v8, v1
	v_add3_u32 v8, v9, v10, v12
	v_mul_lo_u32 v5, v11, s18
	v_mul_hi_u32 v9, s22, v11
	v_sub_u32_e32 v5, v7, v5
	v_add_u32_e32 v7, v11, v9
	v_mul_lo_u32 v9, v5, s8
	v_mul_lo_u32 v10, v5, s9
	v_lshrrev_b32_e32 v5, s23, v7
	s_add_i32 s28, s28, 4
	v_mul_lo_u32 v7, v5, s21
	s_add_u32 s2, s2, 32
	v_sub_u32_e32 v7, v11, v7
	s_addc_u32 s3, s3, 0
	v_mul_lo_u32 v11, v7, s10
	v_mul_lo_u32 v7, v7, s11
	s_cmp_lg_u32 s26, s28
	v_add3_u32 v10, v10, v8, v7
	v_add3_u32 v8, v9, v1, v11
	s_cbranch_scc1 .LBB79_50
; %bb.51:
	v_mov_b32_e32 v1, v10
	s_and_b32 s6, s27, 3
	s_cmp_eq_u32 s6, 0
	s_cbranch_scc0 .LBB79_55
	s_branch .LBB79_57
.LBB79_52:
                                        ; implicit-def: $vgpr10
                                        ; implicit-def: $vgpr8
	s_branch .LBB79_58
.LBB79_53:
	v_mov_b32_e32 v10, 0
	v_mov_b32_e32 v8, 0
	s_branch .LBB79_57
.LBB79_54:
	v_mov_b32_e32 v8, 0
                                        ; implicit-def: $vgpr10
	v_mov_b32_e32 v1, v8
	v_mov_b32_e32 v5, v3
	s_and_b32 s6, s27, 3
	s_cmp_eq_u32 s6, 0
	s_cbranch_scc1 .LBB79_57
.LBB79_55:
	s_lshl_b32 s2, s26, 3
	s_add_u32 s2, s34, s2
	s_addc_u32 s3, s35, 0
	s_add_u32 s2, s2, 0xc4
	s_addc_u32 s3, s3, 0
	s_mul_i32 s4, s26, 12
	s_add_u32 s4, s34, s4
	s_addc_u32 s5, s35, 0
.LBB79_56:                              ; =>This Inner Loop Header: Depth=1
	s_load_dwordx2 s[8:9], s[4:5], 0x4
	s_load_dword s7, s[4:5], 0xc
	s_load_dwordx2 s[10:11], s[2:3], 0x0
	v_mov_b32_e32 v10, v1
	s_add_u32 s4, s4, 12
	s_waitcnt lgkmcnt(0)
	v_mul_hi_u32 v1, s9, v5
	v_add_u32_e32 v1, v5, v1
	v_lshrrev_b32_e32 v1, s7, v1
	s_addc_u32 s5, s5, 0
	v_mul_lo_u32 v7, v1, s8
	s_add_u32 s2, s2, 8
	v_sub_u32_e32 v7, v5, v7
	s_addc_u32 s3, s3, 0
	s_add_i32 s6, s6, -1
	v_mad_u64_u32 v[10:11], s[8:9], v7, s11, v[10:11]
	s_cmp_lg_u32 s6, 0
	v_mov_b32_e32 v5, v1
	v_mad_u64_u32 v[8:9], s[8:9], v7, s10, v[8:9]
	v_mov_b32_e32 v1, v10
	s_cbranch_scc1 .LBB79_56
.LBB79_57:
	s_cbranch_execnz .LBB79_60
.LBB79_58:
	s_load_dwordx4 s[4:7], s[34:35], 0x4
	s_load_dwordx2 s[2:3], s[34:35], 0xc4
	s_cmp_lt_u32 s33, 2
	s_waitcnt lgkmcnt(0)
	v_mul_hi_u32 v1, s5, v3
	v_add_u32_e32 v1, v3, v1
	v_lshrrev_b32_e32 v1, s6, v1
	v_mul_lo_u32 v5, v1, s4
	v_sub_u32_e32 v3, v3, v5
	v_mul_lo_u32 v10, v3, s3
	v_mul_lo_u32 v8, v3, s2
	s_cbranch_scc1 .LBB79_60
; %bb.59:
	s_load_dwordx4 s[4:7], s[34:35], 0x10
	s_load_dwordx2 s[2:3], s[34:35], 0xcc
	s_waitcnt lgkmcnt(0)
	v_mul_hi_u32 v3, s5, v1
	v_add_u32_e32 v3, v1, v3
	v_lshrrev_b32_e32 v3, s6, v3
	v_mul_lo_u32 v3, v3, s4
	v_sub_u32_e32 v1, v1, v3
	v_mad_u64_u32 v[8:9], s[4:5], v1, s2, v[8:9]
	v_mad_u64_u32 v[10:11], s[2:3], v1, s3, v[10:11]
.LBB79_60:
	s_and_b64 vcc, exec, s[0:1]
	s_cbranch_vccnz .LBB79_66
; %bb.61:
	s_cmp_lg_u32 s33, 0
	s_waitcnt lgkmcnt(0)
	s_mov_b32 s24, 0
	s_cbranch_scc0 .LBB79_67
; %bb.62:
	s_min_u32 s25, s54, 15
	s_add_i32 s25, s25, 1
	s_cmp_eq_u32 s54, 2
	s_cbranch_scc1 .LBB79_68
; %bb.63:
	s_and_b32 s24, s25, 28
	s_add_u32 s20, s34, 0xc4
	s_addc_u32 s21, s35, 0
	s_mov_b32 s26, 0
	v_mov_b32_e32 v12, 0
	v_mov_b32_e32 v14, 0
	s_mov_b64 s[22:23], s[34:35]
	v_mov_b32_e32 v3, v16
.LBB79_64:                              ; =>This Inner Loop Header: Depth=1
	s_load_dwordx8 s[8:15], s[22:23], 0x4
	s_load_dwordx4 s[16:19], s[22:23], 0x24
	s_load_dwordx8 s[0:7], s[20:21], 0x0
	s_add_u32 s22, s22, 48
	s_addc_u32 s23, s23, 0
	s_waitcnt lgkmcnt(0)
	v_mul_hi_u32 v1, s9, v3
	v_add_u32_e32 v1, v3, v1
	v_lshrrev_b32_e32 v1, s10, v1
	v_mul_lo_u32 v5, v1, s8
	v_mul_hi_u32 v7, s12, v1
	v_sub_u32_e32 v3, v3, v5
	v_add_u32_e32 v5, v1, v7
	v_lshrrev_b32_e32 v5, s13, v5
	v_mul_lo_u32 v9, v5, s11
	v_mul_hi_u32 v11, s15, v5
	v_sub_u32_e32 v1, v1, v9
	v_add_u32_e32 v9, v5, v11
	v_mul_lo_u32 v7, v3, s1
	v_mul_lo_u32 v3, v3, s0
	v_mul_lo_u32 v11, v1, s3
	v_mul_lo_u32 v1, v1, s2
	v_lshrrev_b32_e32 v9, s16, v9
	v_add3_u32 v1, v3, v12, v1
	v_add3_u32 v7, v7, v14, v11
	v_mul_lo_u32 v3, v9, s14
	v_mul_hi_u32 v11, s18, v9
	v_sub_u32_e32 v3, v5, v3
	v_add_u32_e32 v5, v9, v11
	v_mul_lo_u32 v11, v3, s4
	v_mul_lo_u32 v12, v3, s5
	v_lshrrev_b32_e32 v3, s19, v5
	s_add_i32 s26, s26, 4
	v_mul_lo_u32 v5, v3, s17
	s_add_u32 s20, s20, 32
	v_sub_u32_e32 v5, v9, v5
	s_addc_u32 s21, s21, 0
	v_mul_lo_u32 v9, v5, s6
	v_mul_lo_u32 v5, v5, s7
	s_cmp_lg_u32 s24, s26
	v_add3_u32 v14, v12, v7, v5
	v_add3_u32 v12, v11, v1, v9
	s_cbranch_scc1 .LBB79_64
; %bb.65:
	v_mov_b32_e32 v1, v14
	s_and_b32 s4, s25, 3
	s_cmp_eq_u32 s4, 0
	s_cbranch_scc0 .LBB79_69
	s_branch .LBB79_71
.LBB79_66:
                                        ; implicit-def: $vgpr14
                                        ; implicit-def: $vgpr12
	s_branch .LBB79_72
.LBB79_67:
	v_mov_b32_e32 v14, 0
	v_mov_b32_e32 v12, 0
	s_branch .LBB79_71
.LBB79_68:
	v_mov_b32_e32 v12, 0
                                        ; implicit-def: $vgpr14
	v_mov_b32_e32 v1, v12
	v_mov_b32_e32 v3, v16
	s_and_b32 s4, s25, 3
	s_cmp_eq_u32 s4, 0
	s_cbranch_scc1 .LBB79_71
.LBB79_69:
	s_lshl_b32 s0, s24, 3
	s_add_u32 s0, s34, s0
	s_addc_u32 s1, s35, 0
	s_add_u32 s0, s0, 0xc4
	s_addc_u32 s1, s1, 0
	s_mul_i32 s2, s24, 12
	s_add_u32 s2, s34, s2
	s_addc_u32 s3, s35, 0
.LBB79_70:                              ; =>This Inner Loop Header: Depth=1
	s_load_dwordx2 s[6:7], s[2:3], 0x4
	s_load_dword s5, s[2:3], 0xc
	s_load_dwordx2 s[8:9], s[0:1], 0x0
	v_mov_b32_e32 v14, v1
	s_add_u32 s2, s2, 12
	s_waitcnt lgkmcnt(0)
	v_mul_hi_u32 v1, s7, v3
	v_add_u32_e32 v1, v3, v1
	v_lshrrev_b32_e32 v1, s5, v1
	s_addc_u32 s3, s3, 0
	v_mul_lo_u32 v5, v1, s6
	s_add_u32 s0, s0, 8
	v_sub_u32_e32 v5, v3, v5
	s_addc_u32 s1, s1, 0
	s_add_i32 s4, s4, -1
	v_mad_u64_u32 v[14:15], s[6:7], v5, s9, v[14:15]
	s_cmp_lg_u32 s4, 0
	v_mov_b32_e32 v3, v1
	v_mad_u64_u32 v[12:13], s[6:7], v5, s8, v[12:13]
	v_mov_b32_e32 v1, v14
	s_cbranch_scc1 .LBB79_70
.LBB79_71:
	s_cbranch_execnz .LBB79_74
.LBB79_72:
	s_load_dwordx4 s[0:3], s[34:35], 0x4
	s_load_dwordx2 s[4:5], s[34:35], 0xc4
	s_cmp_lt_u32 s33, 2
	s_waitcnt lgkmcnt(0)
	v_mul_hi_u32 v1, s1, v16
	v_add_u32_e32 v1, v16, v1
	v_lshrrev_b32_e32 v1, s2, v1
	v_mul_lo_u32 v3, v1, s0
	v_sub_u32_e32 v3, v16, v3
	v_mul_lo_u32 v14, v3, s5
	v_mul_lo_u32 v12, v3, s4
	s_cbranch_scc1 .LBB79_74
; %bb.73:
	s_load_dwordx4 s[0:3], s[34:35], 0x10
	s_load_dwordx2 s[4:5], s[34:35], 0xcc
	s_waitcnt lgkmcnt(0)
	v_mul_hi_u32 v3, s1, v1
	v_add_u32_e32 v3, v1, v3
	v_lshrrev_b32_e32 v3, s2, v3
	v_mul_lo_u32 v3, v3, s0
	v_sub_u32_e32 v1, v1, v3
	v_mad_u64_u32 v[12:13], s[0:1], v1, s4, v[12:13]
	v_mad_u64_u32 v[14:15], s[0:1], v1, s5, v[14:15]
.LBB79_74:
	s_load_dwordx4 s[8:11], s[34:35], 0x148
	s_mov_b32 s28, 0x652b82fe
	s_mov_b32 s29, 0x3ff71547
	s_waitcnt lgkmcnt(0)
	s_mov_b32 s26, 0xfefa39ef
	s_mov_b32 s27, 0xbfe62e42
	global_load_dwordx2 v[16:17], v2, s[10:11]
	global_load_dwordx2 v[18:19], v6, s[10:11]
	;; [unrolled: 1-line block ×3, first 2 shown]
	s_mov_b32 s6, 0x3b39803f
	global_load_dwordx2 v[2:3], v14, s[10:11]
	s_mov_b32 s0, 0xfca7ab0c
	s_mov_b32 s7, 0xbc7abc9e
	;; [unrolled: 1-line block ×6, first 2 shown]
	v_mov_b64_e32 v[6:7], s[0:1]
	s_mov_b32 s15, 0x3ec71dee
	s_mov_b32 s16, 0x7c89e6b0
	;; [unrolled: 1-line block ×19, first 2 shown]
	v_mov_b32_e32 v1, 0x7ff00000
	s_waitcnt vmcnt(3)
	v_mul_f64 v[10:11], v[16:17], s[28:29]
	s_waitcnt vmcnt(2)
	v_mul_f64 v[14:15], v[18:19], s[28:29]
	v_rndne_f64_e32 v[10:11], v[10:11]
	v_rndne_f64_e32 v[14:15], v[14:15]
	v_fma_f64 v[24:25], s[26:27], v[10:11], v[16:17]
	v_fma_f64 v[26:27], s[26:27], v[14:15], v[18:19]
	v_fmac_f64_e32 v[24:25], s[6:7], v[10:11]
	v_cvt_i32_f64_e32 v5, v[10:11]
	v_fmac_f64_e32 v[26:27], s[6:7], v[14:15]
	v_fma_f64 v[10:11], s[12:13], v[24:25], v[6:7]
	v_cvt_i32_f64_e32 v9, v[14:15]
	v_fma_f64 v[14:15], s[12:13], v[26:27], v[6:7]
	v_fma_f64 v[10:11], v[24:25], v[10:11], s[14:15]
	;; [unrolled: 1-line block ×17, first 2 shown]
	v_fma_f64 v[10:11], v[24:25], v[10:11], 1.0
	s_waitcnt vmcnt(1)
	v_mul_f64 v[22:23], v[20:21], s[28:29]
	v_fma_f64 v[14:15], v[26:27], v[14:15], 1.0
	v_fma_f64 v[10:11], v[24:25], v[10:11], 1.0
	v_rndne_f64_e32 v[22:23], v[22:23]
	v_fma_f64 v[14:15], v[26:27], v[14:15], 1.0
	v_ldexp_f64 v[10:11], v[10:11], v5
	v_cmp_nlt_f64_e32 vcc, s[34:35], v[16:17]
	v_cmp_ngt_f64_e64 s[4:5], s[36:37], v[16:17]
	v_fma_f64 v[28:29], s[26:27], v[22:23], v[20:21]
	v_ldexp_f64 v[14:15], v[14:15], v9
	v_cndmask_b32_e32 v5, v1, v11, vcc
	v_cmp_nlt_f64_e64 s[0:1], s[34:35], v[18:19]
	s_and_b64 vcc, s[4:5], vcc
	v_fmac_f64_e32 v[28:29], s[6:7], v[22:23]
	v_cndmask_b32_e64 v9, v1, v15, s[0:1]
	v_cndmask_b32_e32 v10, 0, v10, vcc
	v_cmp_ngt_f64_e32 vcc, s[36:37], v[18:19]
	s_waitcnt vmcnt(0)
	v_mul_f64 v[18:19], v[2:3], s[28:29]
	v_cvt_i32_f64_e32 v13, v[22:23]
	v_fma_f64 v[22:23], s[12:13], v[28:29], v[6:7]
	v_cndmask_b32_e32 v15, 0, v9, vcc
	s_and_b64 vcc, vcc, s[0:1]
	v_rndne_f64_e32 v[18:19], v[18:19]
	v_fma_f64 v[22:23], v[28:29], v[22:23], s[14:15]
	v_cmp_nlt_f64_e64 s[2:3], s[34:35], v[20:21]
	v_cndmask_b32_e32 v14, 0, v14, vcc
	v_cmp_ngt_f64_e32 vcc, s[36:37], v[20:21]
	v_fma_f64 v[20:21], s[26:27], v[18:19], v[2:3]
	v_fma_f64 v[22:23], v[28:29], v[22:23], s[16:17]
	v_fmac_f64_e32 v[20:21], s[6:7], v[18:19]
	v_fma_f64 v[22:23], v[28:29], v[22:23], s[18:19]
	v_fmac_f64_e32 v[6:7], s[12:13], v[20:21]
	v_fma_f64 v[22:23], v[28:29], v[22:23], s[20:21]
	v_fma_f64 v[6:7], v[20:21], v[6:7], s[14:15]
	;; [unrolled: 1-line block ×10, first 2 shown]
	v_fma_f64 v[22:23], v[28:29], v[22:23], 1.0
	v_fma_f64 v[6:7], v[20:21], v[6:7], s[24:25]
	v_fma_f64 v[22:23], v[28:29], v[22:23], 1.0
	v_fma_f64 v[6:7], v[20:21], v[6:7], s[10:11]
	v_ldexp_f64 v[22:23], v[22:23], v13
	v_fma_f64 v[6:7], v[20:21], v[6:7], s[30:31]
	v_cndmask_b32_e64 v13, v1, v23, s[2:3]
	v_fma_f64 v[6:7], v[20:21], v[6:7], 1.0
	v_cndmask_b32_e64 v11, 0, v5, s[4:5]
	v_cndmask_b32_e32 v17, 0, v13, vcc
	s_and_b64 vcc, vcc, s[2:3]
	v_fma_f64 v[6:7], v[20:21], v[6:7], 1.0
	v_cvt_i32_f64_e32 v5, v[18:19]
	v_cndmask_b32_e32 v16, 0, v22, vcc
	v_ldexp_f64 v[6:7], v[6:7], v5
	v_cmp_nlt_f64_e32 vcc, s[34:35], v[2:3]
	v_cmp_ngt_f64_e64 s[0:1], s[36:37], v[2:3]
	s_nop 0
	v_cndmask_b32_e32 v1, v1, v7, vcc
	s_and_b64 vcc, s[0:1], vcc
	v_cndmask_b32_e64 v3, 0, v1, s[0:1]
	v_cndmask_b32_e32 v2, 0, v6, vcc
	global_store_dwordx2 v0, v[10:11], s[8:9]
	global_store_dwordx2 v4, v[14:15], s[8:9]
	global_store_dwordx2 v8, v[16:17], s[8:9]
	global_store_dwordx2 v12, v[2:3], s[8:9]
	s_endpgm
.LBB79_75:
	v_mov_b32_e32 v2, 0
	v_mov_b32_e32 v0, 0
	s_branch .LBB79_81
.LBB79_76:
	v_mov_b32_e32 v2, 0
	v_mov_b32_e32 v0, 0
	s_branch .LBB79_98
.LBB79_77:
	v_mov_b32_e32 v0, 0
	s_mov_b32 s57, 0
	v_mov_b32_e32 v1, v0
                                        ; implicit-def: $vgpr2
	v_mov_b32_e32 v4, v8
.LBB79_78:
	s_and_b32 s4, s58, 3
	s_cmp_eq_u32 s4, 0
	s_cbranch_scc1 .LBB79_81
; %bb.79:
	s_lshl_b32 s0, s57, 3
	s_add_u32 s0, s34, s0
	s_addc_u32 s1, s35, 0
	s_add_u32 s0, s0, 0xc4
	s_addc_u32 s1, s1, 0
	s_mul_i32 s2, s57, 12
	s_add_u32 s2, s34, s2
	s_addc_u32 s3, s35, 0
.LBB79_80:                              ; =>This Inner Loop Header: Depth=1
	s_load_dwordx2 s[6:7], s[2:3], 0x4
	s_load_dword s5, s[2:3], 0xc
	s_load_dwordx2 s[8:9], s[0:1], 0x0
	v_mov_b32_e32 v2, v1
	s_add_u32 s2, s2, 12
	s_waitcnt lgkmcnt(0)
	v_mul_hi_u32 v1, s7, v4
	v_add_u32_e32 v1, v4, v1
	v_lshrrev_b32_e32 v1, s5, v1
	s_addc_u32 s3, s3, 0
	v_mul_lo_u32 v3, v1, s6
	s_add_u32 s0, s0, 8
	v_sub_u32_e32 v5, v4, v3
	s_addc_u32 s1, s1, 0
	s_add_i32 s4, s4, -1
	v_mov_b32_e32 v4, v1
	v_mad_u64_u32 v[2:3], s[6:7], v5, s9, v[2:3]
	v_mad_u64_u32 v[0:1], s[6:7], v5, s8, v[0:1]
	s_cmp_lg_u32 s4, 0
	v_mov_b32_e32 v1, v2
	s_cbranch_scc1 .LBB79_80
.LBB79_81:
	s_cbranch_execnz .LBB79_84
.LBB79_82:
	s_waitcnt lgkmcnt(0)
	v_mul_hi_u32 v0, s25, v8
	v_add_u32_e32 v0, v8, v0
	v_lshrrev_b32_e32 v1, s26, v0
	v_mul_lo_u32 v0, v1, s24
	v_sub_u32_e32 v0, v8, v0
	v_mul_lo_u32 v2, v0, s21
	s_andn2_b64 vcc, exec, s[42:43]
	v_mul_lo_u32 v0, v0, s20
	s_cbranch_vccnz .LBB79_84
; %bb.83:
	v_mul_hi_u32 v3, s40, v1
	v_add_u32_e32 v3, v1, v3
	v_lshrrev_b32_e32 v3, s41, v3
	v_mul_lo_u32 v3, v3, s27
	v_sub_u32_e32 v3, v1, v3
	v_mad_u64_u32 v[0:1], s[0:1], v3, s22, v[0:1]
	v_mad_u64_u32 v[2:3], s[0:1], v3, s23, v[2:3]
.LBB79_84:
	s_waitcnt lgkmcnt(0)
	global_load_dwordx2 v[2:3], v2, s[18:19]
	s_mov_b32 s0, 0x652b82fe
	s_mov_b32 s1, 0x3ff71547
	;; [unrolled: 1-line block ×7, first 2 shown]
	v_mov_b32_e32 v4, 0xfca7ab0c
	v_mov_b32_e32 v5, 0x3e928af3
	s_mov_b32 s7, 0x3e5ade15
	v_mov_b32_e32 v6, 0x623fde64
	v_mov_b32_e32 v7, 0x3ec71dee
	;; [unrolled: 1-line block ×16, first 2 shown]
	s_mov_b32 s8, 0
	s_mov_b32 s10, 0
	;; [unrolled: 1-line block ×4, first 2 shown]
	v_mov_b32_e32 v1, 0x7ff00000
	v_add_u32_e32 v8, 0x80, v8
	s_waitcnt vmcnt(0)
	v_mul_f64 v[24:25], v[2:3], s[0:1]
	v_rndne_f64_e32 v[24:25], v[24:25]
	v_fma_f64 v[26:27], s[2:3], v[24:25], v[2:3]
	v_fmac_f64_e32 v[26:27], s[4:5], v[24:25]
	v_fmac_f64_e32 v[4:5], s[6:7], v[26:27]
	;; [unrolled: 1-line block ×10, first 2 shown]
	v_fma_f64 v[4:5], v[26:27], v[22:23], 1.0
	v_cvt_i32_f64_e32 v9, v[24:25]
	v_fma_f64 v[4:5], v[26:27], v[4:5], 1.0
	v_ldexp_f64 v[4:5], v[4:5], v9
	v_cmp_nlt_f64_e32 vcc, s[8:9], v[2:3]
	v_cmp_ngt_f64_e64 s[0:1], s[10:11], v[2:3]
	s_nop 0
	v_cndmask_b32_e32 v1, v1, v5, vcc
	s_and_b64 vcc, s[0:1], vcc
	v_cndmask_b32_e64 v3, 0, v1, s[0:1]
	v_cndmask_b32_e32 v2, 0, v4, vcc
	global_store_dwordx2 v0, v[2:3], s[16:17]
	s_or_b64 exec, exec, s[48:49]
	v_cmp_gt_i32_e32 vcc, s55, v8
	s_and_saveexec_b64 s[48:49], vcc
	s_cbranch_execnz .LBB79_16
.LBB79_85:
	s_or_b64 exec, exec, s[48:49]
	v_cmp_gt_i32_e32 vcc, s55, v8
	s_and_saveexec_b64 s[48:49], vcc
	s_cbranch_execz .LBB79_102
.LBB79_86:
	s_andn2_b64 vcc, exec, s[36:37]
	s_cbranch_vccnz .LBB79_92
; %bb.87:
	s_andn2_b64 vcc, exec, s[46:47]
	s_cbranch_vccnz .LBB79_93
; %bb.88:
	s_add_i32 s58, s56, 1
	s_cmp_eq_u32 s54, 2
	s_cbranch_scc1 .LBB79_105
; %bb.89:
	s_and_b32 s57, s58, 28
	s_mov_b32 s59, 0
	v_mov_b32_e32 v0, 0
	v_mov_b32_e32 v2, 0
	s_mov_b64 s[50:51], s[34:35]
	s_mov_b64 s[52:53], s[44:45]
	v_mov_b32_e32 v4, v8
.LBB79_90:                              ; =>This Inner Loop Header: Depth=1
	s_load_dwordx8 s[8:15], s[50:51], 0x4
	s_load_dwordx4 s[28:31], s[50:51], 0x24
	s_load_dwordx8 s[0:7], s[52:53], 0x0
	s_add_u32 s50, s50, 48
	s_addc_u32 s51, s51, 0
	s_waitcnt lgkmcnt(0)
	v_mul_hi_u32 v1, s9, v4
	v_add_u32_e32 v1, v4, v1
	v_lshrrev_b32_e32 v1, s10, v1
	v_mul_lo_u32 v3, v1, s8
	v_mul_hi_u32 v5, s12, v1
	v_sub_u32_e32 v3, v4, v3
	v_add_u32_e32 v4, v1, v5
	v_lshrrev_b32_e32 v4, s13, v4
	v_mul_lo_u32 v6, v4, s11
	v_mul_hi_u32 v7, s15, v4
	v_sub_u32_e32 v1, v1, v6
	v_add_u32_e32 v6, v4, v7
	v_mul_lo_u32 v5, v3, s1
	v_mul_lo_u32 v3, v3, s0
	;; [unrolled: 1-line block ×4, first 2 shown]
	v_lshrrev_b32_e32 v6, s28, v6
	v_add3_u32 v0, v3, v0, v1
	v_mul_hi_u32 v3, s30, v6
	v_add3_u32 v1, v5, v2, v7
	v_mul_lo_u32 v2, v6, s14
	v_add_u32_e32 v3, v6, v3
	v_sub_u32_e32 v2, v4, v2
	v_lshrrev_b32_e32 v4, s31, v3
	s_add_i32 s59, s59, 4
	v_mul_lo_u32 v3, v4, s29
	s_add_u32 s52, s52, 32
	v_sub_u32_e32 v3, v6, v3
	s_addc_u32 s53, s53, 0
	v_mul_lo_u32 v5, v2, s4
	v_mul_lo_u32 v2, v2, s5
	;; [unrolled: 1-line block ×4, first 2 shown]
	s_cmp_eq_u32 s57, s59
	v_add3_u32 v2, v2, v1, v3
	v_add3_u32 v0, v5, v0, v6
	s_cbranch_scc0 .LBB79_90
; %bb.91:
	v_mov_b32_e32 v1, v2
	s_branch .LBB79_106
.LBB79_92:
                                        ; implicit-def: $vgpr2
                                        ; implicit-def: $vgpr0
	s_branch .LBB79_110
.LBB79_93:
	v_mov_b32_e32 v2, 0
	v_mov_b32_e32 v0, 0
	s_branch .LBB79_109
.LBB79_94:
	v_mov_b32_e32 v0, 0
	s_mov_b32 s57, 0
	v_mov_b32_e32 v1, v0
                                        ; implicit-def: $vgpr2
	v_mov_b32_e32 v4, v8
.LBB79_95:
	s_and_b32 s4, s58, 3
	s_cmp_eq_u32 s4, 0
	s_cbranch_scc1 .LBB79_98
; %bb.96:
	s_lshl_b32 s0, s57, 3
	s_add_u32 s0, s34, s0
	s_addc_u32 s1, s35, 0
	s_add_u32 s0, s0, 0xc4
	s_addc_u32 s1, s1, 0
	s_mul_i32 s2, s57, 12
	s_add_u32 s2, s34, s2
	s_addc_u32 s3, s35, 0
.LBB79_97:                              ; =>This Inner Loop Header: Depth=1
	s_load_dwordx2 s[6:7], s[2:3], 0x4
	s_load_dword s5, s[2:3], 0xc
	s_load_dwordx2 s[8:9], s[0:1], 0x0
	v_mov_b32_e32 v2, v1
	s_add_u32 s2, s2, 12
	s_waitcnt lgkmcnt(0)
	v_mul_hi_u32 v1, s7, v4
	v_add_u32_e32 v1, v4, v1
	v_lshrrev_b32_e32 v1, s5, v1
	s_addc_u32 s3, s3, 0
	v_mul_lo_u32 v3, v1, s6
	s_add_u32 s0, s0, 8
	v_sub_u32_e32 v5, v4, v3
	s_addc_u32 s1, s1, 0
	s_add_i32 s4, s4, -1
	v_mov_b32_e32 v4, v1
	v_mad_u64_u32 v[2:3], s[6:7], v5, s9, v[2:3]
	v_mad_u64_u32 v[0:1], s[6:7], v5, s8, v[0:1]
	s_cmp_lg_u32 s4, 0
	v_mov_b32_e32 v1, v2
	s_cbranch_scc1 .LBB79_97
.LBB79_98:
	s_cbranch_execnz .LBB79_101
.LBB79_99:
	s_waitcnt lgkmcnt(0)
	v_mul_hi_u32 v0, s25, v8
	v_add_u32_e32 v0, v8, v0
	v_lshrrev_b32_e32 v1, s26, v0
	v_mul_lo_u32 v0, v1, s24
	v_sub_u32_e32 v0, v8, v0
	v_mul_lo_u32 v2, v0, s21
	s_andn2_b64 vcc, exec, s[42:43]
	v_mul_lo_u32 v0, v0, s20
	s_cbranch_vccnz .LBB79_101
; %bb.100:
	v_mul_hi_u32 v3, s40, v1
	v_add_u32_e32 v3, v1, v3
	v_lshrrev_b32_e32 v3, s41, v3
	v_mul_lo_u32 v3, v3, s27
	v_sub_u32_e32 v3, v1, v3
	v_mad_u64_u32 v[0:1], s[0:1], v3, s22, v[0:1]
	v_mad_u64_u32 v[2:3], s[0:1], v3, s23, v[2:3]
.LBB79_101:
	s_waitcnt lgkmcnt(0)
	global_load_dwordx2 v[2:3], v2, s[18:19]
	s_mov_b32 s0, 0x652b82fe
	s_mov_b32 s1, 0x3ff71547
	;; [unrolled: 1-line block ×7, first 2 shown]
	v_mov_b32_e32 v4, 0xfca7ab0c
	v_mov_b32_e32 v5, 0x3e928af3
	s_mov_b32 s7, 0x3e5ade15
	v_mov_b32_e32 v6, 0x623fde64
	v_mov_b32_e32 v7, 0x3ec71dee
	;; [unrolled: 1-line block ×16, first 2 shown]
	s_mov_b32 s8, 0
	s_mov_b32 s10, 0
	;; [unrolled: 1-line block ×4, first 2 shown]
	v_mov_b32_e32 v1, 0x7ff00000
	v_add_u32_e32 v8, 0x80, v8
	s_waitcnt vmcnt(0)
	v_mul_f64 v[24:25], v[2:3], s[0:1]
	v_rndne_f64_e32 v[24:25], v[24:25]
	v_fma_f64 v[26:27], s[2:3], v[24:25], v[2:3]
	v_fmac_f64_e32 v[26:27], s[4:5], v[24:25]
	v_fmac_f64_e32 v[4:5], s[6:7], v[26:27]
	;; [unrolled: 1-line block ×10, first 2 shown]
	v_fma_f64 v[4:5], v[26:27], v[22:23], 1.0
	v_cvt_i32_f64_e32 v9, v[24:25]
	v_fma_f64 v[4:5], v[26:27], v[4:5], 1.0
	v_ldexp_f64 v[4:5], v[4:5], v9
	v_cmp_nlt_f64_e32 vcc, s[8:9], v[2:3]
	v_cmp_ngt_f64_e64 s[0:1], s[10:11], v[2:3]
	s_nop 0
	v_cndmask_b32_e32 v1, v1, v5, vcc
	s_and_b64 vcc, s[0:1], vcc
	v_cndmask_b32_e64 v3, 0, v1, s[0:1]
	v_cndmask_b32_e32 v2, 0, v4, vcc
	global_store_dwordx2 v0, v[2:3], s[16:17]
	s_or_b64 exec, exec, s[48:49]
	v_cmp_gt_i32_e32 vcc, s55, v8
	s_and_saveexec_b64 s[48:49], vcc
	s_cbranch_execnz .LBB79_86
.LBB79_102:
	s_or_b64 exec, exec, s[48:49]
	v_cmp_gt_i32_e32 vcc, s55, v8
	s_and_saveexec_b64 s[48:49], vcc
	s_cbranch_execnz .LBB79_113
.LBB79_103:
	s_or_b64 exec, exec, s[48:49]
                                        ; implicit-def: $vgpr16
                                        ; implicit-def: $vgpr8
	s_andn2_saveexec_b64 s[0:1], s[38:39]
	s_cbranch_execnz .LBB79_9
.LBB79_104:
	s_endpgm
.LBB79_105:
	v_mov_b32_e32 v0, 0
	s_mov_b32 s57, 0
	v_mov_b32_e32 v1, v0
                                        ; implicit-def: $vgpr2
	v_mov_b32_e32 v4, v8
.LBB79_106:
	s_and_b32 s4, s58, 3
	s_cmp_eq_u32 s4, 0
	s_cbranch_scc1 .LBB79_109
; %bb.107:
	s_lshl_b32 s0, s57, 3
	s_add_u32 s0, s34, s0
	s_addc_u32 s1, s35, 0
	s_add_u32 s0, s0, 0xc4
	s_addc_u32 s1, s1, 0
	s_mul_i32 s2, s57, 12
	s_add_u32 s2, s34, s2
	s_addc_u32 s3, s35, 0
.LBB79_108:                             ; =>This Inner Loop Header: Depth=1
	s_load_dwordx2 s[6:7], s[2:3], 0x4
	s_load_dword s5, s[2:3], 0xc
	s_load_dwordx2 s[8:9], s[0:1], 0x0
	v_mov_b32_e32 v2, v1
	s_add_u32 s2, s2, 12
	s_waitcnt lgkmcnt(0)
	v_mul_hi_u32 v1, s7, v4
	v_add_u32_e32 v1, v4, v1
	v_lshrrev_b32_e32 v1, s5, v1
	s_addc_u32 s3, s3, 0
	v_mul_lo_u32 v3, v1, s6
	s_add_u32 s0, s0, 8
	v_sub_u32_e32 v5, v4, v3
	s_addc_u32 s1, s1, 0
	s_add_i32 s4, s4, -1
	v_mov_b32_e32 v4, v1
	v_mad_u64_u32 v[2:3], s[6:7], v5, s9, v[2:3]
	v_mad_u64_u32 v[0:1], s[6:7], v5, s8, v[0:1]
	s_cmp_lg_u32 s4, 0
	v_mov_b32_e32 v1, v2
	s_cbranch_scc1 .LBB79_108
.LBB79_109:
	s_cbranch_execnz .LBB79_112
.LBB79_110:
	s_waitcnt lgkmcnt(0)
	v_mul_hi_u32 v0, s25, v8
	v_add_u32_e32 v0, v8, v0
	v_lshrrev_b32_e32 v1, s26, v0
	v_mul_lo_u32 v0, v1, s24
	v_sub_u32_e32 v0, v8, v0
	v_mul_lo_u32 v2, v0, s21
	s_andn2_b64 vcc, exec, s[42:43]
	v_mul_lo_u32 v0, v0, s20
	s_cbranch_vccnz .LBB79_112
; %bb.111:
	v_mul_hi_u32 v3, s40, v1
	v_add_u32_e32 v3, v1, v3
	v_lshrrev_b32_e32 v3, s41, v3
	v_mul_lo_u32 v3, v3, s27
	v_sub_u32_e32 v3, v1, v3
	v_mad_u64_u32 v[0:1], s[0:1], v3, s22, v[0:1]
	v_mad_u64_u32 v[2:3], s[0:1], v3, s23, v[2:3]
.LBB79_112:
	s_waitcnt lgkmcnt(0)
	global_load_dwordx2 v[2:3], v2, s[18:19]
	s_mov_b32 s0, 0x652b82fe
	s_mov_b32 s1, 0x3ff71547
	;; [unrolled: 1-line block ×7, first 2 shown]
	v_mov_b32_e32 v4, 0xfca7ab0c
	v_mov_b32_e32 v5, 0x3e928af3
	s_mov_b32 s7, 0x3e5ade15
	v_mov_b32_e32 v6, 0x623fde64
	v_mov_b32_e32 v7, 0x3ec71dee
	;; [unrolled: 1-line block ×16, first 2 shown]
	s_mov_b32 s8, 0
	s_mov_b32 s10, 0
	;; [unrolled: 1-line block ×4, first 2 shown]
	v_mov_b32_e32 v1, 0x7ff00000
	v_add_u32_e32 v8, 0x80, v8
	s_waitcnt vmcnt(0)
	v_mul_f64 v[24:25], v[2:3], s[0:1]
	v_rndne_f64_e32 v[24:25], v[24:25]
	v_fma_f64 v[26:27], s[2:3], v[24:25], v[2:3]
	v_fmac_f64_e32 v[26:27], s[4:5], v[24:25]
	v_fmac_f64_e32 v[4:5], s[6:7], v[26:27]
	;; [unrolled: 1-line block ×10, first 2 shown]
	v_fma_f64 v[4:5], v[26:27], v[22:23], 1.0
	v_cvt_i32_f64_e32 v9, v[24:25]
	v_fma_f64 v[4:5], v[26:27], v[4:5], 1.0
	v_ldexp_f64 v[4:5], v[4:5], v9
	v_cmp_nlt_f64_e32 vcc, s[8:9], v[2:3]
	v_cmp_ngt_f64_e64 s[0:1], s[10:11], v[2:3]
	s_nop 0
	v_cndmask_b32_e32 v1, v1, v5, vcc
	s_and_b64 vcc, s[0:1], vcc
	v_cndmask_b32_e64 v3, 0, v1, s[0:1]
	v_cndmask_b32_e32 v2, 0, v4, vcc
	global_store_dwordx2 v0, v[2:3], s[16:17]
	s_or_b64 exec, exec, s[48:49]
	v_cmp_gt_i32_e32 vcc, s55, v8
	s_and_saveexec_b64 s[48:49], vcc
	s_cbranch_execz .LBB79_103
.LBB79_113:
	s_andn2_b64 vcc, exec, s[36:37]
	s_cbranch_vccnz .LBB79_119
; %bb.114:
	s_andn2_b64 vcc, exec, s[46:47]
	s_cbranch_vccnz .LBB79_120
; %bb.115:
	s_add_i32 s56, s56, 1
	s_cmp_eq_u32 s54, 2
	s_cbranch_scc1 .LBB79_121
; %bb.116:
	s_and_b32 s50, s56, 28
	s_mov_b32 s51, 0
	v_mov_b32_e32 v0, 0
	v_mov_b32_e32 v2, 0
	s_mov_b64 s[46:47], s[34:35]
	v_mov_b32_e32 v4, v8
.LBB79_117:                             ; =>This Inner Loop Header: Depth=1
	s_load_dwordx8 s[8:15], s[46:47], 0x4
	s_load_dwordx4 s[28:31], s[46:47], 0x24
	s_load_dwordx8 s[0:7], s[44:45], 0x0
	s_add_u32 s46, s46, 48
	s_addc_u32 s47, s47, 0
	s_waitcnt lgkmcnt(0)
	v_mul_hi_u32 v1, s9, v4
	v_add_u32_e32 v1, v4, v1
	v_lshrrev_b32_e32 v1, s10, v1
	v_mul_lo_u32 v3, v1, s8
	v_mul_hi_u32 v5, s12, v1
	v_sub_u32_e32 v3, v4, v3
	v_add_u32_e32 v4, v1, v5
	v_lshrrev_b32_e32 v4, s13, v4
	v_mul_lo_u32 v6, v4, s11
	v_mul_hi_u32 v7, s15, v4
	v_sub_u32_e32 v1, v1, v6
	v_add_u32_e32 v6, v4, v7
	v_mul_lo_u32 v5, v3, s1
	v_mul_lo_u32 v3, v3, s0
	;; [unrolled: 1-line block ×4, first 2 shown]
	v_lshrrev_b32_e32 v6, s28, v6
	v_add3_u32 v0, v3, v0, v1
	v_mul_hi_u32 v3, s30, v6
	v_add3_u32 v1, v5, v2, v7
	v_mul_lo_u32 v2, v6, s14
	v_add_u32_e32 v3, v6, v3
	v_sub_u32_e32 v2, v4, v2
	v_lshrrev_b32_e32 v4, s31, v3
	s_add_i32 s51, s51, 4
	v_mul_lo_u32 v3, v4, s29
	s_add_u32 s44, s44, 32
	v_sub_u32_e32 v3, v6, v3
	s_addc_u32 s45, s45, 0
	v_mul_lo_u32 v5, v2, s4
	v_mul_lo_u32 v2, v2, s5
	;; [unrolled: 1-line block ×4, first 2 shown]
	s_cmp_eq_u32 s50, s51
	v_add3_u32 v2, v2, v1, v3
	v_add3_u32 v0, v5, v0, v6
	s_cbranch_scc0 .LBB79_117
; %bb.118:
	v_mov_b32_e32 v1, v2
	s_branch .LBB79_122
.LBB79_119:
                                        ; implicit-def: $vgpr2
                                        ; implicit-def: $vgpr0
	s_branch .LBB79_126
.LBB79_120:
	v_mov_b32_e32 v2, 0
	v_mov_b32_e32 v0, 0
	s_branch .LBB79_125
.LBB79_121:
	v_mov_b32_e32 v0, 0
	s_mov_b32 s50, 0
	v_mov_b32_e32 v1, v0
                                        ; implicit-def: $vgpr2
	v_mov_b32_e32 v4, v8
.LBB79_122:
	s_and_b32 s4, s56, 3
	s_cmp_eq_u32 s4, 0
	s_cbranch_scc1 .LBB79_125
; %bb.123:
	s_lshl_b32 s0, s50, 3
	s_add_u32 s0, s34, s0
	s_addc_u32 s1, s35, 0
	s_add_u32 s0, s0, 0xc4
	s_addc_u32 s1, s1, 0
	s_mul_i32 s2, s50, 12
	s_add_u32 s2, s34, s2
	s_addc_u32 s3, s35, 0
.LBB79_124:                             ; =>This Inner Loop Header: Depth=1
	s_load_dwordx2 s[6:7], s[2:3], 0x4
	s_load_dword s5, s[2:3], 0xc
	s_load_dwordx2 s[8:9], s[0:1], 0x0
	v_mov_b32_e32 v2, v1
	s_add_u32 s2, s2, 12
	s_waitcnt lgkmcnt(0)
	v_mul_hi_u32 v1, s7, v4
	v_add_u32_e32 v1, v4, v1
	v_lshrrev_b32_e32 v1, s5, v1
	s_addc_u32 s3, s3, 0
	v_mul_lo_u32 v3, v1, s6
	s_add_u32 s0, s0, 8
	v_sub_u32_e32 v5, v4, v3
	s_addc_u32 s1, s1, 0
	s_add_i32 s4, s4, -1
	v_mov_b32_e32 v4, v1
	v_mad_u64_u32 v[2:3], s[6:7], v5, s9, v[2:3]
	v_mad_u64_u32 v[0:1], s[6:7], v5, s8, v[0:1]
	s_cmp_lg_u32 s4, 0
	v_mov_b32_e32 v1, v2
	s_cbranch_scc1 .LBB79_124
.LBB79_125:
	s_cbranch_execnz .LBB79_128
.LBB79_126:
	s_waitcnt lgkmcnt(0)
	v_mul_hi_u32 v0, s25, v8
	v_add_u32_e32 v0, v8, v0
	v_lshrrev_b32_e32 v1, s26, v0
	v_mul_lo_u32 v0, v1, s24
	v_sub_u32_e32 v0, v8, v0
	v_mul_lo_u32 v2, v0, s21
	s_andn2_b64 vcc, exec, s[42:43]
	v_mul_lo_u32 v0, v0, s20
	s_cbranch_vccnz .LBB79_128
; %bb.127:
	v_mul_hi_u32 v3, s40, v1
	v_add_u32_e32 v3, v1, v3
	v_lshrrev_b32_e32 v3, s41, v3
	v_mul_lo_u32 v3, v3, s27
	v_sub_u32_e32 v3, v1, v3
	v_mad_u64_u32 v[0:1], s[0:1], v3, s22, v[0:1]
	v_mad_u64_u32 v[2:3], s[0:1], v3, s23, v[2:3]
.LBB79_128:
	s_waitcnt lgkmcnt(0)
	global_load_dwordx2 v[2:3], v2, s[18:19]
	s_mov_b32 s0, 0x652b82fe
	s_mov_b32 s1, 0x3ff71547
	;; [unrolled: 1-line block ×7, first 2 shown]
	v_mov_b32_e32 v4, 0xfca7ab0c
	v_mov_b32_e32 v5, 0x3e928af3
	s_mov_b32 s7, 0x3e5ade15
	v_mov_b32_e32 v6, 0x623fde64
	v_mov_b32_e32 v7, 0x3ec71dee
	;; [unrolled: 1-line block ×16, first 2 shown]
	s_mov_b32 s8, 0
	s_mov_b32 s10, 0
	s_mov_b32 s9, 0x40900000
	s_mov_b32 s11, 0xc090cc00
	v_mov_b32_e32 v1, 0x7ff00000
	s_waitcnt vmcnt(0)
	v_mul_f64 v[22:23], v[2:3], s[0:1]
	v_rndne_f64_e32 v[22:23], v[22:23]
	v_fma_f64 v[24:25], s[2:3], v[22:23], v[2:3]
	v_fmac_f64_e32 v[24:25], s[4:5], v[22:23]
	v_fmac_f64_e32 v[4:5], s[6:7], v[24:25]
	;; [unrolled: 1-line block ×10, first 2 shown]
	v_fma_f64 v[4:5], v[24:25], v[20:21], 1.0
	v_cvt_i32_f64_e32 v26, v[22:23]
	v_fma_f64 v[4:5], v[24:25], v[4:5], 1.0
	v_ldexp_f64 v[4:5], v[4:5], v26
	v_cmp_nlt_f64_e32 vcc, s[8:9], v[2:3]
	v_cmp_ngt_f64_e64 s[0:1], s[10:11], v[2:3]
	s_nop 0
	v_cndmask_b32_e32 v1, v1, v5, vcc
	s_and_b64 vcc, s[0:1], vcc
	v_cndmask_b32_e64 v3, 0, v1, s[0:1]
	v_cndmask_b32_e32 v2, 0, v4, vcc
	global_store_dwordx2 v0, v[2:3], s[16:17]
	s_or_b64 exec, exec, s[48:49]
                                        ; implicit-def: $vgpr16
                                        ; implicit-def: $vgpr8
	s_andn2_saveexec_b64 s[0:1], s[38:39]
	s_cbranch_execz .LBB79_104
	s_branch .LBB79_9
	.section	.rodata,"a",@progbits
	.p2align	6, 0x0
	.amdhsa_kernel _ZN2at6native32elementwise_kernel_manual_unrollILi128ELi4EZNS0_22gpu_kernel_impl_nocastIZZZNS0_15exp_kernel_cudaERNS_18TensorIteratorBaseEENKUlvE0_clEvENKUlvE_clEvEUldE_EEvS4_RKT_EUlibE_EEviT1_
		.amdhsa_group_segment_fixed_size 0
		.amdhsa_private_segment_fixed_size 0
		.amdhsa_kernarg_size 360
		.amdhsa_user_sgpr_count 2
		.amdhsa_user_sgpr_dispatch_ptr 0
		.amdhsa_user_sgpr_queue_ptr 0
		.amdhsa_user_sgpr_kernarg_segment_ptr 1
		.amdhsa_user_sgpr_dispatch_id 0
		.amdhsa_user_sgpr_kernarg_preload_length 0
		.amdhsa_user_sgpr_kernarg_preload_offset 0
		.amdhsa_user_sgpr_private_segment_size 0
		.amdhsa_uses_dynamic_stack 0
		.amdhsa_enable_private_segment 0
		.amdhsa_system_sgpr_workgroup_id_x 1
		.amdhsa_system_sgpr_workgroup_id_y 0
		.amdhsa_system_sgpr_workgroup_id_z 0
		.amdhsa_system_sgpr_workgroup_info 0
		.amdhsa_system_vgpr_workitem_id 0
		.amdhsa_next_free_vgpr 30
		.amdhsa_next_free_sgpr 60
		.amdhsa_accum_offset 32
		.amdhsa_reserve_vcc 1
		.amdhsa_float_round_mode_32 0
		.amdhsa_float_round_mode_16_64 0
		.amdhsa_float_denorm_mode_32 3
		.amdhsa_float_denorm_mode_16_64 3
		.amdhsa_dx10_clamp 1
		.amdhsa_ieee_mode 1
		.amdhsa_fp16_overflow 0
		.amdhsa_tg_split 0
		.amdhsa_exception_fp_ieee_invalid_op 0
		.amdhsa_exception_fp_denorm_src 0
		.amdhsa_exception_fp_ieee_div_zero 0
		.amdhsa_exception_fp_ieee_overflow 0
		.amdhsa_exception_fp_ieee_underflow 0
		.amdhsa_exception_fp_ieee_inexact 0
		.amdhsa_exception_int_div_zero 0
	.end_amdhsa_kernel
	.section	.text._ZN2at6native32elementwise_kernel_manual_unrollILi128ELi4EZNS0_22gpu_kernel_impl_nocastIZZZNS0_15exp_kernel_cudaERNS_18TensorIteratorBaseEENKUlvE0_clEvENKUlvE_clEvEUldE_EEvS4_RKT_EUlibE_EEviT1_,"axG",@progbits,_ZN2at6native32elementwise_kernel_manual_unrollILi128ELi4EZNS0_22gpu_kernel_impl_nocastIZZZNS0_15exp_kernel_cudaERNS_18TensorIteratorBaseEENKUlvE0_clEvENKUlvE_clEvEUldE_EEvS4_RKT_EUlibE_EEviT1_,comdat
.Lfunc_end79:
	.size	_ZN2at6native32elementwise_kernel_manual_unrollILi128ELi4EZNS0_22gpu_kernel_impl_nocastIZZZNS0_15exp_kernel_cudaERNS_18TensorIteratorBaseEENKUlvE0_clEvENKUlvE_clEvEUldE_EEvS4_RKT_EUlibE_EEviT1_, .Lfunc_end79-_ZN2at6native32elementwise_kernel_manual_unrollILi128ELi4EZNS0_22gpu_kernel_impl_nocastIZZZNS0_15exp_kernel_cudaERNS_18TensorIteratorBaseEENKUlvE0_clEvENKUlvE_clEvEUldE_EEvS4_RKT_EUlibE_EEviT1_
                                        ; -- End function
	.set _ZN2at6native32elementwise_kernel_manual_unrollILi128ELi4EZNS0_22gpu_kernel_impl_nocastIZZZNS0_15exp_kernel_cudaERNS_18TensorIteratorBaseEENKUlvE0_clEvENKUlvE_clEvEUldE_EEvS4_RKT_EUlibE_EEviT1_.num_vgpr, 30
	.set _ZN2at6native32elementwise_kernel_manual_unrollILi128ELi4EZNS0_22gpu_kernel_impl_nocastIZZZNS0_15exp_kernel_cudaERNS_18TensorIteratorBaseEENKUlvE0_clEvENKUlvE_clEvEUldE_EEvS4_RKT_EUlibE_EEviT1_.num_agpr, 0
	.set _ZN2at6native32elementwise_kernel_manual_unrollILi128ELi4EZNS0_22gpu_kernel_impl_nocastIZZZNS0_15exp_kernel_cudaERNS_18TensorIteratorBaseEENKUlvE0_clEvENKUlvE_clEvEUldE_EEvS4_RKT_EUlibE_EEviT1_.numbered_sgpr, 60
	.set _ZN2at6native32elementwise_kernel_manual_unrollILi128ELi4EZNS0_22gpu_kernel_impl_nocastIZZZNS0_15exp_kernel_cudaERNS_18TensorIteratorBaseEENKUlvE0_clEvENKUlvE_clEvEUldE_EEvS4_RKT_EUlibE_EEviT1_.num_named_barrier, 0
	.set _ZN2at6native32elementwise_kernel_manual_unrollILi128ELi4EZNS0_22gpu_kernel_impl_nocastIZZZNS0_15exp_kernel_cudaERNS_18TensorIteratorBaseEENKUlvE0_clEvENKUlvE_clEvEUldE_EEvS4_RKT_EUlibE_EEviT1_.private_seg_size, 0
	.set _ZN2at6native32elementwise_kernel_manual_unrollILi128ELi4EZNS0_22gpu_kernel_impl_nocastIZZZNS0_15exp_kernel_cudaERNS_18TensorIteratorBaseEENKUlvE0_clEvENKUlvE_clEvEUldE_EEvS4_RKT_EUlibE_EEviT1_.uses_vcc, 1
	.set _ZN2at6native32elementwise_kernel_manual_unrollILi128ELi4EZNS0_22gpu_kernel_impl_nocastIZZZNS0_15exp_kernel_cudaERNS_18TensorIteratorBaseEENKUlvE0_clEvENKUlvE_clEvEUldE_EEvS4_RKT_EUlibE_EEviT1_.uses_flat_scratch, 0
	.set _ZN2at6native32elementwise_kernel_manual_unrollILi128ELi4EZNS0_22gpu_kernel_impl_nocastIZZZNS0_15exp_kernel_cudaERNS_18TensorIteratorBaseEENKUlvE0_clEvENKUlvE_clEvEUldE_EEvS4_RKT_EUlibE_EEviT1_.has_dyn_sized_stack, 0
	.set _ZN2at6native32elementwise_kernel_manual_unrollILi128ELi4EZNS0_22gpu_kernel_impl_nocastIZZZNS0_15exp_kernel_cudaERNS_18TensorIteratorBaseEENKUlvE0_clEvENKUlvE_clEvEUldE_EEvS4_RKT_EUlibE_EEviT1_.has_recursion, 0
	.set _ZN2at6native32elementwise_kernel_manual_unrollILi128ELi4EZNS0_22gpu_kernel_impl_nocastIZZZNS0_15exp_kernel_cudaERNS_18TensorIteratorBaseEENKUlvE0_clEvENKUlvE_clEvEUldE_EEvS4_RKT_EUlibE_EEviT1_.has_indirect_call, 0
	.section	.AMDGPU.csdata,"",@progbits
; Kernel info:
; codeLenInByte = 8080
; TotalNumSgprs: 66
; NumVgprs: 30
; NumAgprs: 0
; TotalNumVgprs: 30
; ScratchSize: 0
; MemoryBound: 0
; FloatMode: 240
; IeeeMode: 1
; LDSByteSize: 0 bytes/workgroup (compile time only)
; SGPRBlocks: 8
; VGPRBlocks: 3
; NumSGPRsForWavesPerEU: 66
; NumVGPRsForWavesPerEU: 30
; AccumOffset: 32
; Occupancy: 8
; WaveLimiterHint : 1
; COMPUTE_PGM_RSRC2:SCRATCH_EN: 0
; COMPUTE_PGM_RSRC2:USER_SGPR: 2
; COMPUTE_PGM_RSRC2:TRAP_HANDLER: 0
; COMPUTE_PGM_RSRC2:TGID_X_EN: 1
; COMPUTE_PGM_RSRC2:TGID_Y_EN: 0
; COMPUTE_PGM_RSRC2:TGID_Z_EN: 0
; COMPUTE_PGM_RSRC2:TIDIG_COMP_CNT: 0
; COMPUTE_PGM_RSRC3_GFX90A:ACCUM_OFFSET: 7
; COMPUTE_PGM_RSRC3_GFX90A:TG_SPLIT: 0
	.section	.text._ZN2at6native32elementwise_kernel_manual_unrollILi128ELi4EZNS0_15gpu_kernel_implIZZZNS0_15exp_kernel_cudaERNS_18TensorIteratorBaseEENKUlvE0_clEvENKUlvE_clEvEUldE_EEvS4_RKT_EUlibE_EEviT1_,"axG",@progbits,_ZN2at6native32elementwise_kernel_manual_unrollILi128ELi4EZNS0_15gpu_kernel_implIZZZNS0_15exp_kernel_cudaERNS_18TensorIteratorBaseEENKUlvE0_clEvENKUlvE_clEvEUldE_EEvS4_RKT_EUlibE_EEviT1_,comdat
	.globl	_ZN2at6native32elementwise_kernel_manual_unrollILi128ELi4EZNS0_15gpu_kernel_implIZZZNS0_15exp_kernel_cudaERNS_18TensorIteratorBaseEENKUlvE0_clEvENKUlvE_clEvEUldE_EEvS4_RKT_EUlibE_EEviT1_ ; -- Begin function _ZN2at6native32elementwise_kernel_manual_unrollILi128ELi4EZNS0_15gpu_kernel_implIZZZNS0_15exp_kernel_cudaERNS_18TensorIteratorBaseEENKUlvE0_clEvENKUlvE_clEvEUldE_EEvS4_RKT_EUlibE_EEviT1_
	.p2align	8
	.type	_ZN2at6native32elementwise_kernel_manual_unrollILi128ELi4EZNS0_15gpu_kernel_implIZZZNS0_15exp_kernel_cudaERNS_18TensorIteratorBaseEENKUlvE0_clEvENKUlvE_clEvEUldE_EEvS4_RKT_EUlibE_EEviT1_,@function
_ZN2at6native32elementwise_kernel_manual_unrollILi128ELi4EZNS0_15gpu_kernel_implIZZZNS0_15exp_kernel_cudaERNS_18TensorIteratorBaseEENKUlvE0_clEvENKUlvE_clEvEUldE_EEvS4_RKT_EUlibE_EEviT1_: ; @_ZN2at6native32elementwise_kernel_manual_unrollILi128ELi4EZNS0_15gpu_kernel_implIZZZNS0_15exp_kernel_cudaERNS_18TensorIteratorBaseEENKUlvE0_clEvENKUlvE_clEvEUldE_EEvS4_RKT_EUlibE_EEviT1_
; %bb.0:
	v_mov_b32_e32 v1, 0
	global_load_ushort v1, v1, s[0:1] offset:33
	s_load_dwordx4 s[4:7], s[0:1], 0x8
	s_load_dwordx2 s[8:9], s[0:1], 0x18
	s_load_dword s38, s[0:1], 0x0
	v_lshl_or_b32 v10, s2, 9, v0
	v_or_b32_e32 v0, 0x180, v10
	s_mov_b64 s[10:11], 0
	s_mov_b64 s[12:13], 0
	s_waitcnt lgkmcnt(0)
	v_cmp_le_i32_e32 vcc, s38, v0
	s_waitcnt vmcnt(0)
	v_readfirstlane_b32 s33, v1
	s_and_b32 s0, 0xffff, s33
	s_lshr_b32 s42, s0, 8
	s_and_saveexec_b64 s[0:1], vcc
	s_xor_b64 s[2:3], exec, s[0:1]
	s_cbranch_execz .LBB80_1027
; %bb.1:
	v_cmp_gt_i32_e32 vcc, s38, v10
	s_mov_b64 s[18:19], -1
	s_mov_b64 s[20:21], 0
	s_mov_b64 s[14:15], 0
	s_and_saveexec_b64 s[16:17], vcc
	s_cbranch_execz .LBB80_252
; %bb.2:
	v_mul_lo_u32 v0, v10, s9
	v_ashrrev_i32_e32 v1, 31, v0
	s_and_b32 s22, 0xffff, s42
	s_cmp_lt_i32 s22, 11
	v_lshl_add_u64 v[0:1], s[6:7], 0, v[0:1]
	s_cbranch_scc1 .LBB80_9
; %bb.3:
	s_cmp_gt_i32 s22, 25
	s_cbranch_scc0 .LBB80_18
; %bb.4:
	s_cmp_gt_i32 s22, 28
	s_cbranch_scc0 .LBB80_22
	;; [unrolled: 3-line block ×4, first 2 shown]
; %bb.7:
	s_cmp_eq_u32 s22, 46
	s_cbranch_scc0 .LBB80_28
; %bb.8:
	global_load_dword v2, v[0:1], off
	s_mov_b64 s[0:1], -1
	s_waitcnt vmcnt(0)
	v_lshlrev_b32_e32 v2, 16, v2
	v_cvt_f64_f32_e32 v[2:3], v2
	s_branch .LBB80_30
.LBB80_9:
                                        ; implicit-def: $vgpr2_vgpr3
	s_mov_b64 s[0:1], 0
	s_cbranch_execnz .LBB80_203
.LBB80_10:
	s_andn2_b64 vcc, exec, s[0:1]
	s_cbranch_vccnz .LBB80_250
.LBB80_11:
	s_mov_b32 s0, 0x652b82fe
	s_mov_b32 s1, 0x3ff71547
	s_waitcnt vmcnt(0)
	v_mul_f64 v[0:1], v[2:3], s[0:1]
	s_mov_b32 s0, 0xfefa39ef
	v_rndne_f64_e32 v[0:1], v[0:1]
	s_mov_b32 s1, 0xbfe62e42
	v_fma_f64 v[4:5], s[0:1], v[0:1], v[2:3]
	s_mov_b32 s0, 0x3b39803f
	s_mov_b32 s1, 0xbc7abc9e
	v_fmac_f64_e32 v[4:5], s[0:1], v[0:1]
	s_mov_b32 s0, 0x6a5dcb37
	v_mov_b32_e32 v6, 0xfca7ab0c
	v_mov_b32_e32 v7, 0x3e928af3
	s_mov_b32 s1, 0x3e5ade15
	v_fmac_f64_e32 v[6:7], s[0:1], v[4:5]
	v_mov_b32_e32 v8, 0x623fde64
	v_mov_b32_e32 v9, 0x3ec71dee
	v_fmac_f64_e32 v[8:9], v[4:5], v[6:7]
	v_mov_b32_e32 v6, 0x7c89e6b0
	v_mov_b32_e32 v7, 0x3efa0199
	;; [unrolled: 3-line block ×8, first 2 shown]
	s_mov_b32 s0, 0
	v_fmac_f64_e32 v[6:7], v[4:5], v[8:9]
	s_mov_b32 s1, 0x40900000
	v_fma_f64 v[6:7], v[4:5], v[6:7], 1.0
	v_cmp_nlt_f64_e32 vcc, s[0:1], v[2:3]
	s_mov_b32 s0, 0
	v_fma_f64 v[4:5], v[4:5], v[6:7], 1.0
	v_cvt_i32_f64_e32 v0, v[0:1]
	s_mov_b32 s1, 0xc090cc00
	v_ldexp_f64 v[0:1], v[4:5], v0
	v_mov_b32_e32 v4, 0x7ff00000
	v_cmp_ngt_f64_e64 s[0:1], s[0:1], v[2:3]
	v_mul_lo_u32 v2, v10, s8
	v_cndmask_b32_e32 v1, v4, v1, vcc
	s_and_b64 vcc, s[0:1], vcc
	v_ashrrev_i32_e32 v3, 31, v2
	s_and_b32 s24, s33, 0xff
	v_cndmask_b32_e64 v1, 0, v1, s[0:1]
	v_cndmask_b32_e32 v0, 0, v0, vcc
	s_cmp_lt_i32 s24, 11
	v_lshl_add_u64 v[4:5], s[4:5], 0, v[2:3]
	s_cbranch_scc1 .LBB80_19
; %bb.12:
	s_and_b32 s25, 0xffff, s24
	s_cmp_gt_i32 s25, 25
	s_cbranch_scc0 .LBB80_23
; %bb.13:
	s_cmp_gt_i32 s25, 28
	s_cbranch_scc0 .LBB80_25
; %bb.14:
	;; [unrolled: 3-line block ×4, first 2 shown]
	s_mov_b64 s[18:19], 0
	s_mov_b64 s[0:1], -1
	s_cmp_eq_u32 s25, 46
	s_mov_b64 s[12:13], 0
	s_cbranch_scc0 .LBB80_34
; %bb.17:
	v_cvt_f32_f64_e32 v2, v[0:1]
	v_bfe_u32 v3, v2, 16, 1
	s_movk_i32 s0, 0x7fff
	v_add3_u32 v3, v2, v3, s0
	v_cmp_o_f32_e32 vcc, v2, v2
	v_mov_b32_e32 v2, 0x7fc0
	s_mov_b64 s[12:13], -1
	v_cndmask_b32_sdwa v2, v2, v3, vcc dst_sel:DWORD dst_unused:UNUSED_PAD src0_sel:DWORD src1_sel:WORD_1
	global_store_dword v[4:5], v2, off
	s_mov_b64 s[0:1], 0
	s_branch .LBB80_34
.LBB80_18:
	s_mov_b64 s[0:1], 0
                                        ; implicit-def: $vgpr2_vgpr3
	s_cbranch_execnz .LBB80_170
	s_branch .LBB80_202
.LBB80_19:
	s_mov_b64 s[0:1], 0
	s_mov_b64 s[12:13], 0
	s_cbranch_execnz .LBB80_103
.LBB80_20:
	s_andn2_b64 vcc, exec, s[12:13]
	s_cbranch_vccnz .LBB80_141
.LBB80_21:
	v_add_u32_e32 v10, 0x80, v10
	s_mov_b64 s[18:19], -1
	s_branch .LBB80_251
.LBB80_22:
	s_mov_b64 s[12:13], -1
	s_mov_b64 s[0:1], 0
                                        ; implicit-def: $vgpr2_vgpr3
	s_branch .LBB80_149
.LBB80_23:
	s_mov_b64 s[18:19], -1
	s_mov_b64 s[0:1], 0
	s_mov_b64 s[12:13], 0
	s_branch .LBB80_61
.LBB80_24:
	s_mov_b64 s[12:13], -1
	s_mov_b64 s[0:1], 0
                                        ; implicit-def: $vgpr2_vgpr3
	s_branch .LBB80_144
.LBB80_25:
	s_mov_b64 s[18:19], -1
	s_mov_b64 s[0:1], 0
	s_mov_b64 s[12:13], 0
	s_branch .LBB80_44
.LBB80_26:
	s_mov_b64 s[12:13], -1
	s_branch .LBB80_29
.LBB80_27:
	s_mov_b64 s[18:19], -1
	s_mov_b64 s[0:1], 0
	s_mov_b64 s[12:13], 0
	s_branch .LBB80_40
.LBB80_28:
	s_mov_b64 s[14:15], -1
.LBB80_29:
	s_mov_b64 s[0:1], 0
                                        ; implicit-def: $vgpr2_vgpr3
.LBB80_30:
	s_and_b64 vcc, exec, s[12:13]
	s_cbranch_vccz .LBB80_143
; %bb.31:
	s_cmp_eq_u32 s22, 44
	s_cbranch_scc0 .LBB80_142
; %bb.32:
	global_load_ubyte v4, v[0:1], off
	s_movk_i32 s12, 0xff
	v_bfrev_b32_e32 v5, 4
	v_mov_b32_e32 v6, 0x7ff80000
	v_bfrev_b32_e32 v7, 28
	s_mov_b64 s[0:1], -1
	s_mov_b64 s[14:15], 0
	s_waitcnt vmcnt(0)
	v_lshlrev_b32_e32 v2, 23, v4
	v_cvt_f64_f32_e32 v[2:3], v2
	v_cmp_ne_u32_e32 vcc, s12, v4
	s_nop 1
	v_cndmask_b32_e32 v2, v5, v2, vcc
	v_cndmask_b32_e32 v3, v6, v3, vcc
	v_cmp_ne_u32_e32 vcc, 0, v4
	s_nop 1
	v_cndmask_b32_e32 v3, v7, v3, vcc
	v_cndmask_b32_e32 v2, 0, v2, vcc
	s_branch .LBB80_143
.LBB80_33:
	s_mov_b64 s[18:19], -1
	s_mov_b64 s[0:1], 0
	s_mov_b64 s[12:13], 0
.LBB80_34:
	s_and_b64 vcc, exec, s[18:19]
	s_cbranch_vccz .LBB80_39
; %bb.35:
	s_cmp_eq_u32 s25, 44
	s_mov_b64 s[0:1], -1
	s_cbranch_scc0 .LBB80_39
; %bb.36:
	v_cvt_f32_f64_e32 v2, v[0:1]
	v_bfe_u32 v3, v2, 23, 8
	s_movk_i32 s0, 0xff
	v_cmp_ne_u32_e32 vcc, s0, v3
	v_mov_b32_e32 v6, 0xff
	s_and_saveexec_b64 s[12:13], vcc
; %bb.37:
	s_mov_b32 s0, 0x3fffff
	v_lshrrev_b32_e32 v6, 23, v2
	v_and_b32_e32 v7, 0x400000, v2
	v_and_or_b32 v2, v2, s0, v3
	v_cmp_ne_u32_e32 vcc, 0, v7
	v_cmp_ne_u32_e64 s[0:1], 0, v2
	s_and_b64 s[0:1], vcc, s[0:1]
	s_nop 0
	v_cndmask_b32_e64 v2, 0, 1, s[0:1]
	v_add_u32_e32 v6, v6, v2
; %bb.38:
	s_or_b64 exec, exec, s[12:13]
	s_mov_b64 s[12:13], -1
	s_mov_b64 s[0:1], 0
	global_store_byte v[4:5], v6, off
.LBB80_39:
	s_mov_b64 s[18:19], 0
.LBB80_40:
	s_and_b64 vcc, exec, s[18:19]
	s_cbranch_vccz .LBB80_43
; %bb.41:
	s_cmp_eq_u32 s25, 29
	s_mov_b64 s[0:1], -1
	s_cbranch_scc0 .LBB80_43
; %bb.42:
	v_trunc_f64_e32 v[2:3], v[0:1]
	s_movk_i32 s0, 0xffe0
	v_ldexp_f64 v[6:7], v[2:3], s0
	v_floor_f64_e32 v[6:7], v[6:7]
	v_fmac_f64_e32 v[2:3], 0xc1f00000, v[6:7]
	v_cvt_u32_f64_e32 v9, v[6:7]
	v_cvt_u32_f64_e32 v8, v[2:3]
	global_store_dwordx2 v[4:5], v[8:9], off
	s_mov_b64 s[12:13], -1
	s_mov_b64 s[0:1], 0
.LBB80_43:
	s_mov_b64 s[18:19], 0
.LBB80_44:
	s_and_b64 vcc, exec, s[18:19]
	s_cbranch_vccz .LBB80_60
; %bb.45:
	s_cmp_lt_i32 s25, 27
	s_mov_b64 s[12:13], -1
	s_cbranch_scc1 .LBB80_51
; %bb.46:
	s_cmp_gt_i32 s25, 27
	v_cvt_u32_f64_e32 v2, v[0:1]
	s_cbranch_scc0 .LBB80_48
; %bb.47:
	s_mov_b64 s[12:13], 0
	global_store_dword v[4:5], v2, off
.LBB80_48:
	s_andn2_b64 vcc, exec, s[12:13]
	s_cbranch_vccnz .LBB80_50
; %bb.49:
	global_store_short v[4:5], v2, off
.LBB80_50:
	s_mov_b64 s[12:13], 0
.LBB80_51:
	s_andn2_b64 vcc, exec, s[12:13]
	s_cbranch_vccnz .LBB80_59
; %bb.52:
	v_cvt_f32_f64_e32 v2, v[0:1]
	v_and_b32_e32 v3, 0x7fffffff, v2
	s_mov_b32 s12, 0x43800000
	v_cmp_gt_u32_e32 vcc, s12, v3
	v_mov_b32_e32 v6, 0x80
	s_and_saveexec_b64 s[12:13], vcc
	s_cbranch_execz .LBB80_58
; %bb.53:
	s_mov_b32 s18, 0x3bffffff
	v_cmp_lt_u32_e32 vcc, s18, v3
	s_mov_b64 s[18:19], 0
                                        ; implicit-def: $vgpr3
	s_and_saveexec_b64 s[22:23], vcc
	s_xor_b64 s[22:23], exec, s[22:23]
	s_cbranch_execz .LBB80_279
; %bb.54:
	v_bfe_u32 v3, v2, 20, 1
	s_mov_b32 s26, 0x487ffff
	v_add3_u32 v3, v2, v3, s26
	s_mov_b64 s[18:19], exec
	v_lshrrev_b32_e32 v3, 20, v3
	s_andn2_saveexec_b64 s[22:23], s[22:23]
	s_cbranch_execnz .LBB80_280
.LBB80_55:
	s_or_b64 exec, exec, s[22:23]
	v_mov_b32_e32 v6, 0
	s_and_saveexec_b64 s[22:23], s[18:19]
.LBB80_56:
	v_lshrrev_b32_e32 v2, 24, v2
	s_movk_i32 s18, 0x80
	v_and_or_b32 v6, v2, s18, v3
.LBB80_57:
	s_or_b64 exec, exec, s[22:23]
.LBB80_58:
	s_or_b64 exec, exec, s[12:13]
	global_store_byte v[4:5], v6, off
.LBB80_59:
	s_mov_b64 s[12:13], -1
.LBB80_60:
	s_mov_b64 s[18:19], 0
.LBB80_61:
	s_and_b64 vcc, exec, s[18:19]
	s_cbranch_vccz .LBB80_102
; %bb.62:
	s_cmp_gt_i32 s25, 22
	s_mov_b64 s[18:19], -1
	s_cbranch_scc0 .LBB80_94
; %bb.63:
	s_cmp_lt_i32 s25, 24
	s_mov_b64 s[12:13], -1
	s_cbranch_scc1 .LBB80_83
; %bb.64:
	s_cmp_gt_i32 s25, 24
	s_cbranch_scc0 .LBB80_72
; %bb.65:
	v_cvt_f32_f64_e32 v2, v[0:1]
	v_and_b32_e32 v3, 0x7fffffff, v2
	s_mov_b32 s12, 0x47800000
	v_cmp_gt_u32_e32 vcc, s12, v3
	v_mov_b32_e32 v6, 0x80
	s_and_saveexec_b64 s[12:13], vcc
	s_cbranch_execz .LBB80_71
; %bb.66:
	s_mov_b32 s18, 0x37ffffff
	v_cmp_lt_u32_e32 vcc, s18, v3
	s_mov_b64 s[18:19], 0
                                        ; implicit-def: $vgpr3
	s_and_saveexec_b64 s[22:23], vcc
	s_xor_b64 s[22:23], exec, s[22:23]
	s_cbranch_execz .LBB80_283
; %bb.67:
	v_bfe_u32 v3, v2, 21, 1
	s_mov_b32 s26, 0x88fffff
	v_add3_u32 v3, v2, v3, s26
	s_mov_b64 s[18:19], exec
	v_lshrrev_b32_e32 v3, 21, v3
	s_andn2_saveexec_b64 s[22:23], s[22:23]
	s_cbranch_execnz .LBB80_284
.LBB80_68:
	s_or_b64 exec, exec, s[22:23]
	v_mov_b32_e32 v6, 0
	s_and_saveexec_b64 s[22:23], s[18:19]
.LBB80_69:
	v_lshrrev_b32_e32 v2, 24, v2
	s_movk_i32 s18, 0x80
	v_and_or_b32 v6, v2, s18, v3
.LBB80_70:
	s_or_b64 exec, exec, s[22:23]
.LBB80_71:
	s_or_b64 exec, exec, s[12:13]
	s_mov_b64 s[12:13], 0
	global_store_byte v[4:5], v6, off
.LBB80_72:
	s_and_b64 vcc, exec, s[12:13]
	s_cbranch_vccz .LBB80_82
; %bb.73:
	v_cvt_f32_f64_e32 v2, v[0:1]
	v_and_b32_e32 v6, 0x7fffffff, v2
	s_mov_b32 s12, 0x43f00000
	v_cmp_gt_u32_e32 vcc, s12, v6
                                        ; implicit-def: $vgpr3
	s_and_saveexec_b64 s[12:13], vcc
	s_xor_b64 s[12:13], exec, s[12:13]
	s_cbranch_execz .LBB80_79
; %bb.74:
	s_mov_b32 s18, 0x3c7fffff
	v_cmp_lt_u32_e32 vcc, s18, v6
                                        ; implicit-def: $vgpr3
	s_and_saveexec_b64 s[18:19], vcc
	s_xor_b64 s[18:19], exec, s[18:19]
; %bb.75:
	v_bfe_u32 v3, v2, 20, 1
	s_mov_b32 s22, 0x407ffff
	v_add3_u32 v3, v2, v3, s22
	v_lshrrev_b32_e32 v6, 20, v3
	v_and_b32_e32 v3, 0xff00000, v3
	s_mov_b32 s22, 0x7f00000
	v_mov_b32_e32 v7, 0x7e
	v_cmp_ne_u32_e32 vcc, s22, v3
	s_nop 1
	v_cndmask_b32_e32 v3, v7, v6, vcc
; %bb.76:
	s_andn2_saveexec_b64 s[18:19], s[18:19]
; %bb.77:
	s_mov_b32 s22, 0x46800000
	v_add_f32_e64 v3, |v2|, s22
; %bb.78:
	s_or_b64 exec, exec, s[18:19]
                                        ; implicit-def: $vgpr6
.LBB80_79:
	s_andn2_saveexec_b64 s[12:13], s[12:13]
; %bb.80:
	s_mov_b32 s18, 0x7f800000
	v_mov_b32_e32 v3, 0x7e
	v_mov_b32_e32 v7, 0x7f
	v_cmp_lt_u32_e32 vcc, s18, v6
	s_nop 1
	v_cndmask_b32_e32 v3, v3, v7, vcc
; %bb.81:
	s_or_b64 exec, exec, s[12:13]
	v_lshrrev_b32_e32 v2, 24, v2
	s_movk_i32 s12, 0x80
	v_and_or_b32 v2, v2, s12, v3
	global_store_byte v[4:5], v2, off
.LBB80_82:
	s_mov_b64 s[12:13], 0
.LBB80_83:
	s_andn2_b64 vcc, exec, s[12:13]
	s_cbranch_vccnz .LBB80_93
; %bb.84:
	v_cvt_f32_f64_e32 v2, v[0:1]
	v_and_b32_e32 v6, 0x7fffffff, v2
	s_mov_b32 s12, 0x47800000
	v_cmp_gt_u32_e32 vcc, s12, v6
                                        ; implicit-def: $vgpr3
	s_and_saveexec_b64 s[12:13], vcc
	s_xor_b64 s[12:13], exec, s[12:13]
	s_cbranch_execz .LBB80_90
; %bb.85:
	s_mov_b32 s18, 0x387fffff
	v_cmp_lt_u32_e32 vcc, s18, v6
                                        ; implicit-def: $vgpr3
	s_and_saveexec_b64 s[18:19], vcc
	s_xor_b64 s[18:19], exec, s[18:19]
; %bb.86:
	v_bfe_u32 v3, v2, 21, 1
	s_mov_b32 s22, 0x80fffff
	v_add3_u32 v3, v2, v3, s22
	v_lshrrev_b32_e32 v3, 21, v3
; %bb.87:
	s_andn2_saveexec_b64 s[18:19], s[18:19]
; %bb.88:
	s_mov_b32 s22, 0x43000000
	v_add_f32_e64 v3, |v2|, s22
; %bb.89:
	s_or_b64 exec, exec, s[18:19]
                                        ; implicit-def: $vgpr6
.LBB80_90:
	s_andn2_saveexec_b64 s[12:13], s[12:13]
; %bb.91:
	s_mov_b32 s18, 0x7f800000
	v_mov_b32_e32 v3, 0x7c
	v_mov_b32_e32 v7, 0x7f
	v_cmp_lt_u32_e32 vcc, s18, v6
	s_nop 1
	v_cndmask_b32_e32 v3, v3, v7, vcc
; %bb.92:
	s_or_b64 exec, exec, s[12:13]
	v_lshrrev_b32_e32 v2, 24, v2
	s_movk_i32 s12, 0x80
	v_and_or_b32 v2, v2, s12, v3
	global_store_byte v[4:5], v2, off
.LBB80_93:
	s_mov_b64 s[18:19], 0
	s_mov_b64 s[12:13], -1
.LBB80_94:
	s_andn2_b64 vcc, exec, s[18:19]
	s_cbranch_vccnz .LBB80_102
; %bb.95:
	s_cmp_gt_i32 s25, 14
	s_mov_b64 s[18:19], -1
	s_cbranch_scc0 .LBB80_99
; %bb.96:
	s_cmp_eq_u32 s25, 15
	s_mov_b64 s[0:1], -1
	s_cbranch_scc0 .LBB80_98
; %bb.97:
	v_cvt_f32_f64_e32 v2, v[0:1]
	v_bfe_u32 v3, v2, 16, 1
	s_movk_i32 s0, 0x7fff
	v_add3_u32 v3, v2, v3, s0
	v_cmp_o_f32_e32 vcc, v2, v2
	v_mov_b32_e32 v2, 0x7fc0
	s_mov_b64 s[12:13], -1
	v_cndmask_b32_sdwa v2, v2, v3, vcc dst_sel:DWORD dst_unused:UNUSED_PAD src0_sel:DWORD src1_sel:WORD_1
	global_store_short v[4:5], v2, off
	s_mov_b64 s[0:1], 0
.LBB80_98:
	s_mov_b64 s[18:19], 0
.LBB80_99:
	s_and_b64 vcc, exec, s[18:19]
	s_cbranch_vccz .LBB80_102
; %bb.100:
	s_cmp_eq_u32 s25, 11
	s_mov_b64 s[0:1], -1
	s_cbranch_scc0 .LBB80_102
; %bb.101:
	v_cmp_neq_f64_e32 vcc, 0, v[0:1]
	s_mov_b64 s[0:1], 0
	s_mov_b64 s[12:13], -1
	v_cndmask_b32_e64 v2, 0, 1, vcc
	global_store_byte v[4:5], v2, off
.LBB80_102:
	s_branch .LBB80_20
.LBB80_103:
	s_and_b32 s18, 0xffff, s24
	s_cmp_lt_i32 s18, 5
	s_mov_b64 s[12:13], -1
	s_cbranch_scc1 .LBB80_124
; %bb.104:
	s_cmp_lt_i32 s18, 8
	s_cbranch_scc1 .LBB80_114
; %bb.105:
	s_cmp_lt_i32 s18, 9
	s_cbranch_scc1 .LBB80_111
; %bb.106:
	s_cmp_gt_i32 s18, 9
	s_cbranch_scc0 .LBB80_108
; %bb.107:
	v_mov_b32_e32 v2, 0
	v_mov_b32_e32 v3, v2
	global_store_dwordx4 v[4:5], v[0:3], off
	s_mov_b64 s[12:13], 0
.LBB80_108:
	s_andn2_b64 vcc, exec, s[12:13]
	s_cbranch_vccnz .LBB80_110
; %bb.109:
	v_cvt_f32_f64_e32 v2, v[0:1]
	v_mov_b32_e32 v3, 0
	global_store_dwordx2 v[4:5], v[2:3], off
.LBB80_110:
	s_mov_b64 s[12:13], 0
.LBB80_111:
	s_andn2_b64 vcc, exec, s[12:13]
	s_cbranch_vccnz .LBB80_113
; %bb.112:
	s_movk_i32 s12, 0x1ff
	v_and_or_b32 v2, v1, s12, v0
	v_cmp_ne_u32_e32 vcc, 0, v2
	v_lshrrev_b32_e32 v3, 8, v1
	s_movk_i32 s12, 0xffe
	v_cndmask_b32_e64 v2, 0, 1, vcc
	v_bfe_u32 v6, v1, 20, 11
	v_and_or_b32 v2, v3, s12, v2
	v_sub_u32_e32 v7, 0x3f1, v6
	v_or_b32_e32 v3, 0x1000, v2
	v_med3_i32 v7, v7, 0, 13
	v_lshrrev_b32_e32 v8, v7, v3
	v_lshlrev_b32_e32 v7, v7, v8
	v_cmp_ne_u32_e32 vcc, v7, v3
	v_add_u32_e32 v6, 0xfffffc10, v6
	v_lshl_or_b32 v7, v6, 12, v2
	v_cndmask_b32_e64 v3, 0, 1, vcc
	v_or_b32_e32 v3, v8, v3
	v_cmp_gt_i32_e32 vcc, 1, v6
	s_movk_i32 s12, 0x40f
	s_nop 0
	v_cndmask_b32_e32 v3, v7, v3, vcc
	v_and_b32_e32 v7, 7, v3
	v_cmp_lt_i32_e32 vcc, 5, v7
	v_lshrrev_b32_e32 v3, 2, v3
	s_nop 0
	v_cndmask_b32_e64 v8, 0, 1, vcc
	v_cmp_eq_u32_e32 vcc, 3, v7
	s_nop 1
	v_cndmask_b32_e64 v7, 0, 1, vcc
	v_or_b32_e32 v7, v7, v8
	v_add_u32_e32 v3, v3, v7
	v_mov_b32_e32 v7, 0x7c00
	v_cmp_gt_i32_e32 vcc, 31, v6
	v_mov_b32_e32 v8, 0x7e00
	s_nop 0
	v_cndmask_b32_e32 v3, v7, v3, vcc
	v_cmp_ne_u32_e32 vcc, 0, v2
	s_nop 1
	v_cndmask_b32_e32 v2, v7, v8, vcc
	v_cmp_eq_u32_e32 vcc, s12, v6
	s_mov_b32 s12, 0x8000
	s_nop 0
	v_cndmask_b32_e32 v2, v3, v2, vcc
	v_and_b32_sdwa v3, v1, s12 dst_sel:DWORD dst_unused:UNUSED_PAD src0_sel:WORD_1 src1_sel:DWORD
	s_mov_b32 s12, 0xffff
	v_bitop3_b32 v2, v3, s12, v2 bitop3:0xc8
	global_store_dword v[4:5], v2, off
.LBB80_113:
	s_mov_b64 s[12:13], 0
.LBB80_114:
	s_andn2_b64 vcc, exec, s[12:13]
	s_cbranch_vccnz .LBB80_123
; %bb.115:
	s_cmp_lt_i32 s18, 6
	s_mov_b64 s[12:13], -1
	s_cbranch_scc1 .LBB80_121
; %bb.116:
	s_cmp_gt_i32 s18, 6
	s_cbranch_scc0 .LBB80_118
; %bb.117:
	global_store_dwordx2 v[4:5], v[0:1], off
	s_mov_b64 s[12:13], 0
.LBB80_118:
	s_andn2_b64 vcc, exec, s[12:13]
	s_cbranch_vccnz .LBB80_120
; %bb.119:
	v_cvt_f32_f64_e32 v2, v[0:1]
	global_store_dword v[4:5], v2, off
.LBB80_120:
	s_mov_b64 s[12:13], 0
.LBB80_121:
	s_andn2_b64 vcc, exec, s[12:13]
	s_cbranch_vccnz .LBB80_123
; %bb.122:
	s_movk_i32 s12, 0x1ff
	v_and_or_b32 v2, v1, s12, v0
	v_cmp_ne_u32_e32 vcc, 0, v2
	v_lshrrev_b32_e32 v3, 8, v1
	s_movk_i32 s12, 0xffe
	v_cndmask_b32_e64 v2, 0, 1, vcc
	v_bfe_u32 v6, v1, 20, 11
	v_and_or_b32 v2, v3, s12, v2
	v_sub_u32_e32 v7, 0x3f1, v6
	v_or_b32_e32 v3, 0x1000, v2
	v_med3_i32 v7, v7, 0, 13
	v_lshrrev_b32_e32 v8, v7, v3
	v_lshlrev_b32_e32 v7, v7, v8
	v_cmp_ne_u32_e32 vcc, v7, v3
	v_add_u32_e32 v6, 0xfffffc10, v6
	v_lshl_or_b32 v7, v6, 12, v2
	v_cndmask_b32_e64 v3, 0, 1, vcc
	v_or_b32_e32 v3, v8, v3
	v_cmp_gt_i32_e32 vcc, 1, v6
	s_movk_i32 s12, 0x40f
	s_nop 0
	v_cndmask_b32_e32 v3, v7, v3, vcc
	v_and_b32_e32 v7, 7, v3
	v_cmp_lt_i32_e32 vcc, 5, v7
	v_lshrrev_b32_e32 v3, 2, v3
	s_nop 0
	v_cndmask_b32_e64 v8, 0, 1, vcc
	v_cmp_eq_u32_e32 vcc, 3, v7
	s_nop 1
	v_cndmask_b32_e64 v7, 0, 1, vcc
	v_or_b32_e32 v7, v7, v8
	v_add_u32_e32 v3, v3, v7
	v_mov_b32_e32 v7, 0x7c00
	v_cmp_gt_i32_e32 vcc, 31, v6
	v_mov_b32_e32 v8, 0x7e00
	s_nop 0
	v_cndmask_b32_e32 v3, v7, v3, vcc
	v_cmp_ne_u32_e32 vcc, 0, v2
	s_nop 1
	v_cndmask_b32_e32 v2, v7, v8, vcc
	v_cmp_eq_u32_e32 vcc, s12, v6
	s_mov_b32 s12, 0x8000
	s_nop 0
	v_cndmask_b32_e32 v2, v3, v2, vcc
	v_lshrrev_b32_e32 v3, 16, v1
	v_and_or_b32 v2, v3, s12, v2
	global_store_short v[4:5], v2, off
.LBB80_123:
	s_mov_b64 s[12:13], 0
.LBB80_124:
	s_andn2_b64 vcc, exec, s[12:13]
	s_cbranch_vccnz .LBB80_140
; %bb.125:
	s_cmp_lt_i32 s18, 2
	s_mov_b64 s[12:13], -1
	s_cbranch_scc1 .LBB80_135
; %bb.126:
	s_cmp_lt_i32 s18, 3
	s_cbranch_scc1 .LBB80_132
; %bb.127:
	s_cmp_gt_i32 s18, 3
	s_cbranch_scc0 .LBB80_129
; %bb.128:
	v_trunc_f64_e32 v[2:3], v[0:1]
	s_movk_i32 s12, 0xffe0
	v_ldexp_f64 v[6:7], v[2:3], s12
	v_floor_f64_e32 v[6:7], v[6:7]
	v_fmac_f64_e32 v[2:3], 0xc1f00000, v[6:7]
	v_cvt_i32_f64_e32 v9, v[6:7]
	v_cvt_u32_f64_e32 v8, v[2:3]
	global_store_dwordx2 v[4:5], v[8:9], off
	s_mov_b64 s[12:13], 0
.LBB80_129:
	s_andn2_b64 vcc, exec, s[12:13]
	s_cbranch_vccnz .LBB80_131
; %bb.130:
	v_cvt_i32_f64_e32 v2, v[0:1]
	global_store_dword v[4:5], v2, off
.LBB80_131:
	s_mov_b64 s[12:13], 0
.LBB80_132:
	s_andn2_b64 vcc, exec, s[12:13]
	s_cbranch_vccnz .LBB80_134
; %bb.133:
	v_cvt_i32_f64_e32 v2, v[0:1]
	global_store_short v[4:5], v2, off
.LBB80_134:
	s_mov_b64 s[12:13], 0
.LBB80_135:
	s_andn2_b64 vcc, exec, s[12:13]
	s_cbranch_vccnz .LBB80_140
; %bb.136:
	s_cmp_gt_i32 s18, 0
	s_mov_b64 s[12:13], -1
	s_cbranch_scc0 .LBB80_138
; %bb.137:
	v_cvt_i32_f64_e32 v2, v[0:1]
	global_store_byte v[4:5], v2, off
	s_mov_b64 s[12:13], 0
.LBB80_138:
	s_andn2_b64 vcc, exec, s[12:13]
	s_cbranch_vccnz .LBB80_140
; %bb.139:
	v_trunc_f64_e32 v[0:1], v[0:1]
	s_movk_i32 s12, 0xffe0
	v_ldexp_f64 v[2:3], v[0:1], s12
	v_floor_f64_e32 v[2:3], v[2:3]
	v_fmac_f64_e32 v[0:1], 0xc1f00000, v[2:3]
	v_cvt_u32_f64_e32 v0, v[0:1]
	global_store_byte v[4:5], v0, off
.LBB80_140:
	s_branch .LBB80_21
.LBB80_141:
	s_mov_b64 s[18:19], 0
                                        ; implicit-def: $vgpr10
	s_branch .LBB80_251
.LBB80_142:
	s_mov_b64 s[14:15], -1
                                        ; implicit-def: $vgpr2_vgpr3
.LBB80_143:
	s_mov_b64 s[12:13], 0
.LBB80_144:
	s_and_b64 vcc, exec, s[12:13]
	s_cbranch_vccz .LBB80_148
; %bb.145:
	s_cmp_eq_u32 s22, 29
	s_cbranch_scc0 .LBB80_147
; %bb.146:
	global_load_dwordx2 v[2:3], v[0:1], off
	s_mov_b64 s[0:1], -1
	s_mov_b64 s[14:15], 0
	s_mov_b64 s[12:13], 0
	s_waitcnt vmcnt(0)
	v_cvt_f64_u32_e32 v[4:5], v3
	v_cvt_f64_u32_e32 v[2:3], v2
	v_ldexp_f64 v[4:5], v[4:5], 32
	v_add_f64 v[2:3], v[4:5], v[2:3]
	s_branch .LBB80_149
.LBB80_147:
	s_mov_b64 s[14:15], -1
                                        ; implicit-def: $vgpr2_vgpr3
.LBB80_148:
	s_mov_b64 s[12:13], 0
.LBB80_149:
	s_and_b64 vcc, exec, s[12:13]
	s_cbranch_vccz .LBB80_169
; %bb.150:
	s_cmp_lt_i32 s22, 27
	s_cbranch_scc1 .LBB80_153
; %bb.151:
	s_cmp_gt_i32 s22, 27
	s_cbranch_scc0 .LBB80_154
; %bb.152:
	global_load_dword v2, v[0:1], off
	s_mov_b64 s[0:1], 0
	s_waitcnt vmcnt(0)
	v_cvt_f64_u32_e32 v[2:3], v2
	s_branch .LBB80_155
.LBB80_153:
	s_mov_b64 s[0:1], -1
                                        ; implicit-def: $vgpr2_vgpr3
	s_branch .LBB80_158
.LBB80_154:
	s_mov_b64 s[0:1], -1
                                        ; implicit-def: $vgpr2_vgpr3
.LBB80_155:
	s_andn2_b64 vcc, exec, s[0:1]
	s_cbranch_vccnz .LBB80_157
; %bb.156:
	global_load_ushort v2, v[0:1], off
	s_waitcnt vmcnt(0)
	v_cvt_f64_u32_e32 v[2:3], v2
.LBB80_157:
	s_mov_b64 s[0:1], 0
.LBB80_158:
	s_andn2_b64 vcc, exec, s[0:1]
	s_cbranch_vccnz .LBB80_168
; %bb.159:
	global_load_ubyte v4, v[0:1], off
	s_movk_i32 s0, 0x7f
	s_waitcnt vmcnt(0)
	v_cmp_lt_i16_e32 vcc, s0, v4
	s_mov_b64 s[0:1], 0
	s_and_saveexec_b64 s[12:13], vcc
	s_xor_b64 s[12:13], exec, s[12:13]
	s_cbranch_execz .LBB80_163
; %bb.160:
	s_movk_i32 s0, 0x80
	v_cmp_eq_u16_e32 vcc, s0, v4
	s_mov_b64 s[0:1], -1
	s_and_saveexec_b64 s[18:19], vcc
; %bb.161:
	s_xor_b64 s[0:1], exec, -1
; %bb.162:
	s_or_b64 exec, exec, s[18:19]
	s_and_b64 s[0:1], s[0:1], exec
.LBB80_163:
	s_or_saveexec_b64 s[12:13], s[12:13]
	v_bfrev_b32_e32 v2, 4
	v_mov_b32_e32 v3, 0x7ff80000
	s_xor_b64 exec, exec, s[12:13]
; %bb.164:
	v_cmp_ne_u16_e32 vcc, 0, v4
	s_andn2_b64 s[0:1], s[0:1], exec
	s_and_b64 s[18:19], vcc, exec
	v_mov_b64_e32 v[2:3], 0
	s_or_b64 s[0:1], s[0:1], s[18:19]
; %bb.165:
	s_or_b64 exec, exec, s[12:13]
	s_and_saveexec_b64 s[12:13], s[0:1]
	s_cbranch_execz .LBB80_167
; %bb.166:
	v_and_b32_e32 v3, 0xffff, v4
	v_lshlrev_b32_e32 v2, 24, v4
	v_and_b32_e32 v4, 7, v3
	v_ffbh_u32_e32 v6, v4
	v_min_u32_e32 v6, 32, v6
	v_subrev_u32_e32 v7, 28, v6
	v_bfe_u32 v5, v3, 3, 4
	v_lshlrev_b32_e32 v3, v7, v3
	v_sub_u32_e32 v6, 29, v6
	v_and_b32_e32 v3, 7, v3
	v_cmp_eq_u32_e32 vcc, 0, v5
	v_and_b32_e32 v2, 0x80000000, v2
	s_nop 0
	v_cndmask_b32_e32 v5, v5, v6, vcc
	v_cndmask_b32_e32 v3, v4, v3, vcc
	v_mov_b32_e32 v4, 0x3b800000
	v_lshlrev_b32_e32 v3, 20, v3
	v_lshl_add_u32 v4, v5, 23, v4
	v_or3_b32 v2, v2, v4, v3
	v_cvt_f64_f32_e32 v[2:3], v2
.LBB80_167:
	s_or_b64 exec, exec, s[12:13]
.LBB80_168:
	s_mov_b64 s[0:1], -1
.LBB80_169:
	s_branch .LBB80_202
.LBB80_170:
	s_cmp_gt_i32 s22, 22
	s_cbranch_scc0 .LBB80_182
; %bb.171:
	s_cmp_lt_i32 s22, 24
	s_cbranch_scc1 .LBB80_183
; %bb.172:
	s_cmp_gt_i32 s22, 24
	s_cbranch_scc0 .LBB80_184
; %bb.173:
	global_load_ubyte v4, v[0:1], off
	s_movk_i32 s0, 0x7f
	s_waitcnt vmcnt(0)
	v_cmp_lt_i16_e32 vcc, s0, v4
	s_mov_b64 s[0:1], 0
	s_and_saveexec_b64 s[12:13], vcc
	s_xor_b64 s[12:13], exec, s[12:13]
	s_cbranch_execz .LBB80_177
; %bb.174:
	s_movk_i32 s0, 0x80
	v_cmp_eq_u16_e32 vcc, s0, v4
	s_mov_b64 s[0:1], -1
	s_and_saveexec_b64 s[18:19], vcc
; %bb.175:
	s_xor_b64 s[0:1], exec, -1
; %bb.176:
	s_or_b64 exec, exec, s[18:19]
	s_and_b64 s[0:1], s[0:1], exec
.LBB80_177:
	s_or_saveexec_b64 s[12:13], s[12:13]
	v_bfrev_b32_e32 v2, 4
	v_mov_b32_e32 v3, 0x7ff80000
	s_xor_b64 exec, exec, s[12:13]
; %bb.178:
	v_cmp_ne_u16_e32 vcc, 0, v4
	s_andn2_b64 s[0:1], s[0:1], exec
	s_and_b64 s[18:19], vcc, exec
	v_mov_b64_e32 v[2:3], 0
	s_or_b64 s[0:1], s[0:1], s[18:19]
; %bb.179:
	s_or_b64 exec, exec, s[12:13]
	s_and_saveexec_b64 s[12:13], s[0:1]
	s_cbranch_execz .LBB80_181
; %bb.180:
	v_and_b32_e32 v3, 0xffff, v4
	v_lshlrev_b32_e32 v2, 24, v4
	v_and_b32_e32 v4, 3, v3
	v_ffbh_u32_e32 v6, v4
	v_min_u32_e32 v6, 32, v6
	v_subrev_u32_e32 v7, 29, v6
	v_bfe_u32 v5, v3, 2, 5
	v_lshlrev_b32_e32 v3, v7, v3
	v_sub_u32_e32 v6, 30, v6
	v_and_b32_e32 v3, 3, v3
	v_cmp_eq_u32_e32 vcc, 0, v5
	v_and_b32_e32 v2, 0x80000000, v2
	s_nop 0
	v_cndmask_b32_e32 v5, v5, v6, vcc
	v_cndmask_b32_e32 v3, v4, v3, vcc
	v_mov_b32_e32 v4, 0x37800000
	v_lshlrev_b32_e32 v3, 21, v3
	v_lshl_add_u32 v4, v5, 23, v4
	v_or3_b32 v2, v2, v4, v3
	v_cvt_f64_f32_e32 v[2:3], v2
.LBB80_181:
	s_or_b64 exec, exec, s[12:13]
	s_mov_b64 s[0:1], 0
	s_branch .LBB80_185
.LBB80_182:
	s_mov_b64 s[12:13], -1
                                        ; implicit-def: $vgpr2_vgpr3
	s_branch .LBB80_191
.LBB80_183:
	s_mov_b64 s[0:1], -1
                                        ; implicit-def: $vgpr2_vgpr3
	s_branch .LBB80_188
.LBB80_184:
	s_mov_b64 s[0:1], -1
                                        ; implicit-def: $vgpr2_vgpr3
.LBB80_185:
	s_and_b64 vcc, exec, s[0:1]
	s_cbranch_vccz .LBB80_187
; %bb.186:
	global_load_ubyte v2, v[0:1], off
	s_mov_b32 s0, 0x7f800000
	s_waitcnt vmcnt(0)
	v_lshlrev_b32_e32 v2, 24, v2
	v_and_b32_e32 v3, 0x7f000000, v2
	v_ffbh_u32_e32 v4, v3
	v_min_u32_e32 v4, 32, v4
	v_sub_u32_e64 v4, v4, 4 clamp
	v_lshlrev_b32_e32 v6, v4, v3
	v_lshlrev_b32_e32 v4, 23, v4
	v_lshrrev_b32_e32 v6, 4, v6
	v_add_u32_e32 v5, 0x1000000, v3
	v_sub_u32_e32 v4, v6, v4
	v_ashrrev_i32_e32 v5, 8, v5
	v_add_u32_e32 v4, 0x3c000000, v4
	v_and_or_b32 v4, v5, s0, v4
	v_cmp_ne_u32_e32 vcc, 0, v3
	s_brev_b32 s0, 1
	s_nop 0
	v_cndmask_b32_e32 v3, 0, v4, vcc
	v_and_or_b32 v2, v2, s0, v3
	v_cvt_f64_f32_e32 v[2:3], v2
.LBB80_187:
	s_mov_b64 s[0:1], 0
.LBB80_188:
	s_andn2_b64 vcc, exec, s[0:1]
	s_cbranch_vccnz .LBB80_190
; %bb.189:
	global_load_ubyte v2, v[0:1], off
	s_movk_i32 s0, 0x7f00
	s_brev_b32 s1, 16
	s_waitcnt vmcnt(0)
	v_lshlrev_b16_e32 v3, 8, v2
	v_lshlrev_b32_e32 v2, 25, v2
	v_lshrrev_b32_e32 v4, 4, v2
	v_and_or_b32 v5, v3, s0, 0.5
	v_or_b32_e32 v4, 0x70000000, v4
	v_add_f32_e32 v5, -0.5, v5
	v_mul_f32_e32 v4, 0x7800000, v4
	v_cmp_gt_u32_e32 vcc, s1, v2
	v_bfe_i32 v3, v3, 0, 16
	s_brev_b32 s0, 1
	v_cndmask_b32_e32 v2, v4, v5, vcc
	v_and_or_b32 v2, v3, s0, v2
	v_cvt_f64_f32_e32 v[2:3], v2
.LBB80_190:
	s_mov_b64 s[12:13], 0
	s_mov_b64 s[0:1], -1
.LBB80_191:
	s_andn2_b64 vcc, exec, s[12:13]
	s_cbranch_vccnz .LBB80_202
; %bb.192:
	s_cmp_gt_i32 s22, 14
	s_cbranch_scc0 .LBB80_195
; %bb.193:
	s_cmp_eq_u32 s22, 15
	s_cbranch_scc0 .LBB80_196
; %bb.194:
	global_load_ushort v2, v[0:1], off
	s_mov_b64 s[0:1], -1
	s_mov_b64 s[14:15], 0
	s_waitcnt vmcnt(0)
	v_lshlrev_b32_e32 v2, 16, v2
	v_cvt_f64_f32_e32 v[2:3], v2
	s_branch .LBB80_197
.LBB80_195:
	s_mov_b64 s[12:13], -1
                                        ; implicit-def: $vgpr2_vgpr3
	s_branch .LBB80_198
.LBB80_196:
	s_mov_b64 s[14:15], -1
                                        ; implicit-def: $vgpr2_vgpr3
.LBB80_197:
	s_mov_b64 s[12:13], 0
.LBB80_198:
	s_and_b64 vcc, exec, s[12:13]
	s_cbranch_vccz .LBB80_202
; %bb.199:
	s_cmp_eq_u32 s22, 11
	s_cbranch_scc0 .LBB80_201
; %bb.200:
	global_load_ubyte v3, v[0:1], off
	v_mov_b32_e32 v4, 0x3ff00000
	v_mov_b32_e32 v2, 0
	s_mov_b64 s[0:1], -1
	s_mov_b64 s[14:15], 0
	s_waitcnt vmcnt(0)
	v_cmp_ne_u16_e32 vcc, 0, v3
	s_nop 1
	v_cndmask_b32_e32 v3, 0, v4, vcc
	s_branch .LBB80_202
.LBB80_201:
	s_mov_b64 s[14:15], -1
                                        ; implicit-def: $vgpr2_vgpr3
.LBB80_202:
	s_branch .LBB80_10
.LBB80_203:
	s_cmp_lt_i32 s22, 5
	s_cbranch_scc1 .LBB80_208
; %bb.204:
	s_cmp_lt_i32 s22, 8
	s_cbranch_scc1 .LBB80_209
; %bb.205:
	;; [unrolled: 3-line block ×3, first 2 shown]
	s_cmp_gt_i32 s22, 9
	s_cbranch_scc0 .LBB80_211
; %bb.207:
	global_load_dwordx2 v[2:3], v[0:1], off
	s_mov_b64 s[0:1], 0
	s_branch .LBB80_212
.LBB80_208:
                                        ; implicit-def: $vgpr2_vgpr3
	s_branch .LBB80_230
.LBB80_209:
	s_mov_b64 s[0:1], -1
                                        ; implicit-def: $vgpr2_vgpr3
	s_branch .LBB80_218
.LBB80_210:
	s_mov_b64 s[0:1], -1
                                        ; implicit-def: $vgpr2_vgpr3
	s_branch .LBB80_215
.LBB80_211:
	s_mov_b64 s[0:1], -1
                                        ; implicit-def: $vgpr2_vgpr3
.LBB80_212:
	s_andn2_b64 vcc, exec, s[0:1]
	s_cbranch_vccnz .LBB80_214
; %bb.213:
	global_load_dword v2, v[0:1], off
	s_waitcnt vmcnt(0)
	v_cvt_f64_f32_e32 v[2:3], v2
.LBB80_214:
	s_mov_b64 s[0:1], 0
.LBB80_215:
	s_andn2_b64 vcc, exec, s[0:1]
	s_cbranch_vccnz .LBB80_217
; %bb.216:
	global_load_dword v2, v[0:1], off
	s_waitcnt vmcnt(0)
	v_cvt_f32_f16_e32 v2, v2
	v_cvt_f64_f32_e32 v[2:3], v2
.LBB80_217:
	s_mov_b64 s[0:1], 0
.LBB80_218:
	s_andn2_b64 vcc, exec, s[0:1]
	s_cbranch_vccnz .LBB80_229
; %bb.219:
	s_cmp_lt_i32 s22, 6
	s_cbranch_scc1 .LBB80_222
; %bb.220:
	s_cmp_gt_i32 s22, 6
	s_cbranch_scc0 .LBB80_223
; %bb.221:
	global_load_dwordx2 v[2:3], v[0:1], off
	s_mov_b64 s[0:1], 0
	s_branch .LBB80_224
.LBB80_222:
	s_mov_b64 s[0:1], -1
                                        ; implicit-def: $vgpr2_vgpr3
	s_branch .LBB80_227
.LBB80_223:
	s_mov_b64 s[0:1], -1
                                        ; implicit-def: $vgpr2_vgpr3
.LBB80_224:
	s_andn2_b64 vcc, exec, s[0:1]
	s_cbranch_vccnz .LBB80_226
; %bb.225:
	global_load_dword v2, v[0:1], off
	s_waitcnt vmcnt(0)
	v_cvt_f64_f32_e32 v[2:3], v2
.LBB80_226:
	s_mov_b64 s[0:1], 0
.LBB80_227:
	s_andn2_b64 vcc, exec, s[0:1]
	s_cbranch_vccnz .LBB80_229
; %bb.228:
	global_load_ushort v2, v[0:1], off
	s_waitcnt vmcnt(0)
	v_cvt_f32_f16_e32 v2, v2
	v_cvt_f64_f32_e32 v[2:3], v2
.LBB80_229:
	s_cbranch_execnz .LBB80_249
.LBB80_230:
	s_cmp_lt_i32 s22, 2
	s_cbranch_scc1 .LBB80_234
; %bb.231:
	s_cmp_lt_i32 s22, 3
	s_cbranch_scc1 .LBB80_235
; %bb.232:
	s_cmp_gt_i32 s22, 3
	s_cbranch_scc0 .LBB80_236
; %bb.233:
	global_load_dwordx2 v[2:3], v[0:1], off
	s_mov_b64 s[0:1], 0
	s_waitcnt vmcnt(0)
	v_cvt_f64_i32_e32 v[4:5], v3
	v_cvt_f64_u32_e32 v[2:3], v2
	v_ldexp_f64 v[4:5], v[4:5], 32
	v_add_f64 v[2:3], v[4:5], v[2:3]
	s_branch .LBB80_237
.LBB80_234:
	s_mov_b64 s[0:1], -1
                                        ; implicit-def: $vgpr2_vgpr3
	s_branch .LBB80_243
.LBB80_235:
	s_mov_b64 s[0:1], -1
                                        ; implicit-def: $vgpr2_vgpr3
	s_branch .LBB80_240
.LBB80_236:
	s_mov_b64 s[0:1], -1
                                        ; implicit-def: $vgpr2_vgpr3
.LBB80_237:
	s_andn2_b64 vcc, exec, s[0:1]
	s_cbranch_vccnz .LBB80_239
; %bb.238:
	global_load_dword v2, v[0:1], off
	s_waitcnt vmcnt(0)
	v_cvt_f64_i32_e32 v[2:3], v2
.LBB80_239:
	s_mov_b64 s[0:1], 0
.LBB80_240:
	s_andn2_b64 vcc, exec, s[0:1]
	s_cbranch_vccnz .LBB80_242
; %bb.241:
	global_load_sshort v2, v[0:1], off
	s_waitcnt vmcnt(0)
	v_cvt_f64_i32_e32 v[2:3], v2
.LBB80_242:
	s_mov_b64 s[0:1], 0
.LBB80_243:
	s_andn2_b64 vcc, exec, s[0:1]
	s_cbranch_vccnz .LBB80_249
; %bb.244:
	s_cmp_gt_i32 s22, 0
	s_cbranch_scc0 .LBB80_246
; %bb.245:
	global_load_sbyte v2, v[0:1], off
	s_mov_b64 s[0:1], 0
	s_waitcnt vmcnt(0)
	v_cvt_f64_i32_e32 v[2:3], v2
	s_branch .LBB80_247
.LBB80_246:
	s_mov_b64 s[0:1], -1
                                        ; implicit-def: $vgpr2_vgpr3
.LBB80_247:
	s_andn2_b64 vcc, exec, s[0:1]
	s_cbranch_vccnz .LBB80_249
; %bb.248:
	global_load_ubyte v0, v[0:1], off
	s_waitcnt vmcnt(0)
	v_cvt_f64_u32_e32 v[2:3], v0
.LBB80_249:
	s_branch .LBB80_11
.LBB80_250:
	s_mov_b64 s[0:1], 0
                                        ; implicit-def: $vgpr10
	s_mov_b64 s[18:19], 0
.LBB80_251:
	s_and_b64 s[12:13], s[0:1], exec
	s_and_b64 s[14:15], s[14:15], exec
	s_orn2_b64 s[18:19], s[18:19], exec
.LBB80_252:
	s_or_b64 exec, exec, s[16:17]
	s_mov_b64 s[22:23], 0
	s_mov_b64 s[0:1], 0
                                        ; implicit-def: $vgpr0_vgpr1
                                        ; implicit-def: $vgpr2_vgpr3
	s_and_saveexec_b64 s[16:17], s[18:19]
	s_cbranch_execz .LBB80_261
; %bb.253:
	v_cmp_gt_i32_e32 vcc, s38, v10
	s_mov_b64 s[0:1], -1
	s_mov_b64 s[18:19], s[14:15]
	s_mov_b64 s[20:21], s[12:13]
	s_and_saveexec_b64 s[22:23], vcc
	s_cbranch_execz .LBB80_513
; %bb.254:
	v_mul_lo_u32 v0, v10, s9
	v_ashrrev_i32_e32 v1, 31, v0
	s_and_b32 s26, 0xffff, s42
	s_cmp_lt_i32 s26, 11
	v_lshl_add_u64 v[0:1], s[6:7], 0, v[0:1]
	s_cbranch_scc1 .LBB80_264
; %bb.255:
	s_cmp_gt_i32 s26, 25
	s_cbranch_scc0 .LBB80_273
; %bb.256:
	s_cmp_gt_i32 s26, 28
	s_cbranch_scc0 .LBB80_275
	;; [unrolled: 3-line block ×4, first 2 shown]
; %bb.259:
	s_cmp_eq_u32 s26, 46
	s_mov_b64 s[20:21], 0
	s_cbranch_scc0 .LBB80_285
; %bb.260:
	global_load_dword v2, v[0:1], off
	s_mov_b64 s[18:19], 0
	s_waitcnt vmcnt(0)
	v_lshlrev_b32_e32 v2, 16, v2
	v_cvt_f64_f32_e32 v[2:3], v2
	s_branch .LBB80_286
.LBB80_261:
	s_or_b64 exec, exec, s[16:17]
	s_mov_b64 s[16:17], 0
	s_and_saveexec_b64 s[18:19], s[14:15]
	s_cbranch_execnz .LBB80_859
.LBB80_262:
	s_or_b64 exec, exec, s[18:19]
	s_and_saveexec_b64 s[14:15], s[20:21]
	s_xor_b64 s[14:15], exec, s[14:15]
	s_cbranch_execz .LBB80_860
.LBB80_263:
	global_load_ubyte v3, v[0:1], off
	v_mov_b32_e32 v4, 0x3ff00000
	s_waitcnt vmcnt(1)
	v_mov_b32_e32 v2, 0
	s_or_b64 s[0:1], s[0:1], exec
	s_waitcnt vmcnt(0)
	v_cmp_ne_u16_e32 vcc, 0, v3
	s_nop 1
	v_cndmask_b32_e32 v3, 0, v4, vcc
	s_or_b64 exec, exec, s[14:15]
	s_and_saveexec_b64 s[14:15], s[22:23]
	s_cbranch_execz .LBB80_906
	s_branch .LBB80_861
.LBB80_264:
	s_mov_b64 s[0:1], 0
                                        ; implicit-def: $vgpr2_vgpr3
	s_mov_b64 s[18:19], s[14:15]
	s_cbranch_execnz .LBB80_463
.LBB80_265:
	s_andn2_b64 vcc, exec, s[0:1]
	s_cbranch_vccnz .LBB80_511
.LBB80_266:
	s_mov_b32 s0, 0x652b82fe
	s_mov_b32 s1, 0x3ff71547
	s_waitcnt vmcnt(0)
	v_mul_f64 v[0:1], v[2:3], s[0:1]
	s_mov_b32 s0, 0xfefa39ef
	v_rndne_f64_e32 v[0:1], v[0:1]
	s_mov_b32 s1, 0xbfe62e42
	v_fma_f64 v[4:5], s[0:1], v[0:1], v[2:3]
	s_mov_b32 s0, 0x3b39803f
	s_mov_b32 s1, 0xbc7abc9e
	v_fmac_f64_e32 v[4:5], s[0:1], v[0:1]
	s_mov_b32 s0, 0x6a5dcb37
	v_mov_b32_e32 v6, 0xfca7ab0c
	v_mov_b32_e32 v7, 0x3e928af3
	s_mov_b32 s1, 0x3e5ade15
	v_fmac_f64_e32 v[6:7], s[0:1], v[4:5]
	v_mov_b32_e32 v8, 0x623fde64
	v_mov_b32_e32 v9, 0x3ec71dee
	v_fmac_f64_e32 v[8:9], v[4:5], v[6:7]
	v_mov_b32_e32 v6, 0x7c89e6b0
	v_mov_b32_e32 v7, 0x3efa0199
	;; [unrolled: 3-line block ×8, first 2 shown]
	s_mov_b32 s0, 0
	v_fmac_f64_e32 v[6:7], v[4:5], v[8:9]
	s_mov_b32 s1, 0x40900000
	v_fma_f64 v[6:7], v[4:5], v[6:7], 1.0
	v_cmp_nlt_f64_e32 vcc, s[0:1], v[2:3]
	s_mov_b32 s0, 0
	v_fma_f64 v[4:5], v[4:5], v[6:7], 1.0
	v_cvt_i32_f64_e32 v0, v[0:1]
	s_mov_b32 s1, 0xc090cc00
	v_ldexp_f64 v[0:1], v[4:5], v0
	v_mov_b32_e32 v4, 0x7ff00000
	v_cmp_ngt_f64_e64 s[0:1], s[0:1], v[2:3]
	v_mul_lo_u32 v2, v10, s8
	v_cndmask_b32_e32 v1, v4, v1, vcc
	s_and_b64 vcc, s[0:1], vcc
	v_ashrrev_i32_e32 v3, 31, v2
	s_and_b32 s28, s33, 0xff
	v_cndmask_b32_e64 v1, 0, v1, s[0:1]
	v_cndmask_b32_e32 v0, 0, v0, vcc
	s_cmp_lt_i32 s28, 11
	v_lshl_add_u64 v[4:5], s[4:5], 0, v[2:3]
	s_cbranch_scc1 .LBB80_274
; %bb.267:
	s_and_b32 s29, 0xffff, s28
	s_cmp_gt_i32 s29, 25
	s_cbranch_scc0 .LBB80_276
; %bb.268:
	s_cmp_gt_i32 s29, 28
	s_cbranch_scc0 .LBB80_278
; %bb.269:
	;; [unrolled: 3-line block ×4, first 2 shown]
	s_mov_b64 s[24:25], 0
	s_mov_b64 s[0:1], -1
	s_cmp_eq_u32 s29, 46
	s_mov_b64 s[20:21], 0
	s_cbranch_scc0 .LBB80_290
; %bb.272:
	v_cvt_f32_f64_e32 v2, v[0:1]
	v_bfe_u32 v3, v2, 16, 1
	s_movk_i32 s0, 0x7fff
	v_add3_u32 v3, v2, v3, s0
	v_cmp_o_f32_e32 vcc, v2, v2
	v_mov_b32_e32 v2, 0x7fc0
	s_mov_b64 s[20:21], -1
	v_cndmask_b32_sdwa v2, v2, v3, vcc dst_sel:DWORD dst_unused:UNUSED_PAD src0_sel:DWORD src1_sel:WORD_1
	global_store_dword v[4:5], v2, off
	s_mov_b64 s[0:1], 0
	s_branch .LBB80_290
.LBB80_273:
	s_mov_b64 s[20:21], -1
	s_mov_b64 s[0:1], 0
	s_mov_b64 s[18:19], s[14:15]
                                        ; implicit-def: $vgpr2_vgpr3
	s_branch .LBB80_429
.LBB80_274:
	s_mov_b64 s[24:25], -1
	s_mov_b64 s[20:21], 0
	s_mov_b64 s[0:1], s[12:13]
	s_branch .LBB80_359
.LBB80_275:
	s_mov_b64 s[20:21], -1
	s_mov_b64 s[0:1], 0
	s_mov_b64 s[18:19], s[14:15]
                                        ; implicit-def: $vgpr2_vgpr3
	s_branch .LBB80_408
.LBB80_276:
	s_mov_b64 s[24:25], -1
	s_mov_b64 s[20:21], 0
	s_mov_b64 s[0:1], s[12:13]
	s_branch .LBB80_317
.LBB80_277:
	s_mov_b64 s[20:21], -1
	s_mov_b64 s[0:1], 0
	s_mov_b64 s[18:19], s[14:15]
                                        ; implicit-def: $vgpr2_vgpr3
	s_branch .LBB80_403
.LBB80_278:
	s_mov_b64 s[24:25], -1
	s_mov_b64 s[20:21], 0
	s_mov_b64 s[0:1], s[12:13]
	s_branch .LBB80_300
.LBB80_279:
	s_andn2_saveexec_b64 s[22:23], s[22:23]
	s_cbranch_execz .LBB80_55
.LBB80_280:
	s_mov_b32 s26, 0x46000000
	v_add_f32_e64 v3, |v2|, s26
	v_and_b32_e32 v3, 0xff, v3
	v_cmp_ne_u32_e32 vcc, 0, v3
	s_andn2_b64 s[18:19], s[18:19], exec
	s_and_b64 s[26:27], vcc, exec
	s_or_b64 s[18:19], s[18:19], s[26:27]
	s_or_b64 exec, exec, s[22:23]
	v_mov_b32_e32 v6, 0
	s_and_saveexec_b64 s[22:23], s[18:19]
	s_cbranch_execnz .LBB80_56
	s_branch .LBB80_57
.LBB80_281:
	s_mov_b64 s[20:21], -1
	s_mov_b64 s[0:1], 0
	s_mov_b64 s[18:19], s[14:15]
                                        ; implicit-def: $vgpr2_vgpr3
	s_branch .LBB80_286
.LBB80_282:
	s_mov_b64 s[24:25], -1
	s_mov_b64 s[20:21], 0
	s_mov_b64 s[0:1], s[12:13]
	s_branch .LBB80_296
.LBB80_283:
	s_andn2_saveexec_b64 s[22:23], s[22:23]
	s_cbranch_execz .LBB80_68
.LBB80_284:
	s_mov_b32 s26, 0x42800000
	v_add_f32_e64 v3, |v2|, s26
	v_and_b32_e32 v3, 0xff, v3
	v_cmp_ne_u32_e32 vcc, 0, v3
	s_andn2_b64 s[18:19], s[18:19], exec
	s_and_b64 s[26:27], vcc, exec
	s_or_b64 s[18:19], s[18:19], s[26:27]
	s_or_b64 exec, exec, s[22:23]
	v_mov_b32_e32 v6, 0
	s_and_saveexec_b64 s[22:23], s[18:19]
	s_cbranch_execnz .LBB80_69
	s_branch .LBB80_70
.LBB80_285:
	s_mov_b64 s[18:19], -1
                                        ; implicit-def: $vgpr2_vgpr3
	s_mov_b64 s[0:1], 0
.LBB80_286:
	s_and_b64 vcc, exec, s[20:21]
	s_cbranch_vccz .LBB80_402
; %bb.287:
	s_cmp_eq_u32 s26, 44
	s_cbranch_scc0 .LBB80_401
; %bb.288:
	global_load_ubyte v4, v[0:1], off
	s_movk_i32 s18, 0xff
	v_bfrev_b32_e32 v5, 4
	v_mov_b32_e32 v6, 0x7ff80000
	v_bfrev_b32_e32 v7, 28
	s_mov_b64 s[0:1], -1
	s_waitcnt vmcnt(0)
	v_lshlrev_b32_e32 v2, 23, v4
	v_cvt_f64_f32_e32 v[2:3], v2
	v_cmp_ne_u32_e32 vcc, s18, v4
	s_mov_b64 s[18:19], 0
	s_nop 0
	v_cndmask_b32_e32 v2, v5, v2, vcc
	v_cndmask_b32_e32 v3, v6, v3, vcc
	v_cmp_ne_u32_e32 vcc, 0, v4
	s_nop 1
	v_cndmask_b32_e32 v3, v7, v3, vcc
	v_cndmask_b32_e32 v2, 0, v2, vcc
	s_branch .LBB80_402
.LBB80_289:
	s_mov_b64 s[24:25], -1
	s_mov_b64 s[20:21], 0
	s_mov_b64 s[0:1], s[12:13]
.LBB80_290:
	s_and_b64 vcc, exec, s[24:25]
	s_cbranch_vccz .LBB80_295
; %bb.291:
	s_cmp_eq_u32 s29, 44
	s_mov_b64 s[0:1], -1
	s_cbranch_scc0 .LBB80_295
; %bb.292:
	v_cvt_f32_f64_e32 v2, v[0:1]
	v_bfe_u32 v3, v2, 23, 8
	s_movk_i32 s0, 0xff
	v_cmp_ne_u32_e32 vcc, s0, v3
	v_mov_b32_e32 v6, 0xff
	s_and_saveexec_b64 s[20:21], vcc
; %bb.293:
	s_mov_b32 s0, 0x3fffff
	v_lshrrev_b32_e32 v6, 23, v2
	v_and_b32_e32 v7, 0x400000, v2
	v_and_or_b32 v2, v2, s0, v3
	v_cmp_ne_u32_e32 vcc, 0, v7
	v_cmp_ne_u32_e64 s[0:1], 0, v2
	s_and_b64 s[0:1], vcc, s[0:1]
	s_nop 0
	v_cndmask_b32_e64 v2, 0, 1, s[0:1]
	v_add_u32_e32 v6, v6, v2
; %bb.294:
	s_or_b64 exec, exec, s[20:21]
	s_mov_b64 s[20:21], -1
	s_mov_b64 s[0:1], 0
	global_store_byte v[4:5], v6, off
.LBB80_295:
	s_mov_b64 s[24:25], 0
.LBB80_296:
	s_and_b64 vcc, exec, s[24:25]
	s_cbranch_vccz .LBB80_299
; %bb.297:
	s_cmp_eq_u32 s29, 29
	s_mov_b64 s[0:1], -1
	s_cbranch_scc0 .LBB80_299
; %bb.298:
	v_trunc_f64_e32 v[2:3], v[0:1]
	s_movk_i32 s0, 0xffe0
	v_ldexp_f64 v[6:7], v[2:3], s0
	v_floor_f64_e32 v[6:7], v[6:7]
	v_fmac_f64_e32 v[2:3], 0xc1f00000, v[6:7]
	v_cvt_u32_f64_e32 v9, v[6:7]
	v_cvt_u32_f64_e32 v8, v[2:3]
	global_store_dwordx2 v[4:5], v[8:9], off
	s_mov_b64 s[20:21], -1
	s_mov_b64 s[0:1], 0
.LBB80_299:
	s_mov_b64 s[24:25], 0
.LBB80_300:
	s_and_b64 vcc, exec, s[24:25]
	s_cbranch_vccz .LBB80_316
; %bb.301:
	s_cmp_lt_i32 s29, 27
	s_mov_b64 s[20:21], -1
	s_cbranch_scc1 .LBB80_307
; %bb.302:
	s_cmp_gt_i32 s29, 27
	v_cvt_u32_f64_e32 v2, v[0:1]
	s_cbranch_scc0 .LBB80_304
; %bb.303:
	s_mov_b64 s[20:21], 0
	global_store_dword v[4:5], v2, off
.LBB80_304:
	s_andn2_b64 vcc, exec, s[20:21]
	s_cbranch_vccnz .LBB80_306
; %bb.305:
	global_store_short v[4:5], v2, off
.LBB80_306:
	s_mov_b64 s[20:21], 0
.LBB80_307:
	s_andn2_b64 vcc, exec, s[20:21]
	s_cbranch_vccnz .LBB80_315
; %bb.308:
	v_cvt_f32_f64_e32 v2, v[0:1]
	v_and_b32_e32 v3, 0x7fffffff, v2
	s_mov_b32 s20, 0x43800000
	v_cmp_gt_u32_e32 vcc, s20, v3
	v_mov_b32_e32 v6, 0x80
	s_and_saveexec_b64 s[20:21], vcc
	s_cbranch_execz .LBB80_314
; %bb.309:
	s_mov_b32 s24, 0x3bffffff
	v_cmp_lt_u32_e32 vcc, s24, v3
	s_mov_b64 s[24:25], 0
                                        ; implicit-def: $vgpr3
	s_and_saveexec_b64 s[26:27], vcc
	s_xor_b64 s[26:27], exec, s[26:27]
	s_cbranch_execz .LBB80_526
; %bb.310:
	v_bfe_u32 v3, v2, 20, 1
	s_mov_b32 s30, 0x487ffff
	v_add3_u32 v3, v2, v3, s30
	s_mov_b64 s[24:25], exec
	v_lshrrev_b32_e32 v3, 20, v3
	s_andn2_saveexec_b64 s[26:27], s[26:27]
	s_cbranch_execnz .LBB80_527
.LBB80_311:
	s_or_b64 exec, exec, s[26:27]
	v_mov_b32_e32 v6, 0
	s_and_saveexec_b64 s[26:27], s[24:25]
.LBB80_312:
	v_lshrrev_b32_e32 v2, 24, v2
	s_movk_i32 s24, 0x80
	v_and_or_b32 v6, v2, s24, v3
.LBB80_313:
	s_or_b64 exec, exec, s[26:27]
.LBB80_314:
	s_or_b64 exec, exec, s[20:21]
	global_store_byte v[4:5], v6, off
.LBB80_315:
	s_mov_b64 s[20:21], -1
.LBB80_316:
	s_mov_b64 s[24:25], 0
.LBB80_317:
	s_and_b64 vcc, exec, s[24:25]
	s_cbranch_vccz .LBB80_358
; %bb.318:
	s_cmp_gt_i32 s29, 22
	s_mov_b64 s[24:25], -1
	s_cbranch_scc0 .LBB80_350
; %bb.319:
	s_cmp_lt_i32 s29, 24
	s_mov_b64 s[20:21], -1
	s_cbranch_scc1 .LBB80_339
; %bb.320:
	s_cmp_gt_i32 s29, 24
	s_cbranch_scc0 .LBB80_328
; %bb.321:
	v_cvt_f32_f64_e32 v2, v[0:1]
	v_and_b32_e32 v3, 0x7fffffff, v2
	s_mov_b32 s20, 0x47800000
	v_cmp_gt_u32_e32 vcc, s20, v3
	v_mov_b32_e32 v6, 0x80
	s_and_saveexec_b64 s[20:21], vcc
	s_cbranch_execz .LBB80_327
; %bb.322:
	s_mov_b32 s24, 0x37ffffff
	v_cmp_lt_u32_e32 vcc, s24, v3
	s_mov_b64 s[24:25], 0
                                        ; implicit-def: $vgpr3
	s_and_saveexec_b64 s[26:27], vcc
	s_xor_b64 s[26:27], exec, s[26:27]
	s_cbranch_execz .LBB80_529
; %bb.323:
	v_bfe_u32 v3, v2, 21, 1
	s_mov_b32 s30, 0x88fffff
	v_add3_u32 v3, v2, v3, s30
	s_mov_b64 s[24:25], exec
	v_lshrrev_b32_e32 v3, 21, v3
	s_andn2_saveexec_b64 s[26:27], s[26:27]
	s_cbranch_execnz .LBB80_530
.LBB80_324:
	s_or_b64 exec, exec, s[26:27]
	v_mov_b32_e32 v6, 0
	s_and_saveexec_b64 s[26:27], s[24:25]
.LBB80_325:
	v_lshrrev_b32_e32 v2, 24, v2
	s_movk_i32 s24, 0x80
	v_and_or_b32 v6, v2, s24, v3
.LBB80_326:
	s_or_b64 exec, exec, s[26:27]
.LBB80_327:
	s_or_b64 exec, exec, s[20:21]
	s_mov_b64 s[20:21], 0
	global_store_byte v[4:5], v6, off
.LBB80_328:
	s_and_b64 vcc, exec, s[20:21]
	s_cbranch_vccz .LBB80_338
; %bb.329:
	v_cvt_f32_f64_e32 v2, v[0:1]
	v_and_b32_e32 v6, 0x7fffffff, v2
	s_mov_b32 s20, 0x43f00000
	v_cmp_gt_u32_e32 vcc, s20, v6
                                        ; implicit-def: $vgpr3
	s_and_saveexec_b64 s[20:21], vcc
	s_xor_b64 s[20:21], exec, s[20:21]
	s_cbranch_execz .LBB80_335
; %bb.330:
	s_mov_b32 s24, 0x3c7fffff
	v_cmp_lt_u32_e32 vcc, s24, v6
                                        ; implicit-def: $vgpr3
	s_and_saveexec_b64 s[24:25], vcc
	s_xor_b64 s[24:25], exec, s[24:25]
; %bb.331:
	v_bfe_u32 v3, v2, 20, 1
	s_mov_b32 s26, 0x407ffff
	v_add3_u32 v3, v2, v3, s26
	v_lshrrev_b32_e32 v6, 20, v3
	v_and_b32_e32 v3, 0xff00000, v3
	s_mov_b32 s26, 0x7f00000
	v_mov_b32_e32 v7, 0x7e
	v_cmp_ne_u32_e32 vcc, s26, v3
	s_nop 1
	v_cndmask_b32_e32 v3, v7, v6, vcc
; %bb.332:
	s_andn2_saveexec_b64 s[24:25], s[24:25]
; %bb.333:
	s_mov_b32 s26, 0x46800000
	v_add_f32_e64 v3, |v2|, s26
; %bb.334:
	s_or_b64 exec, exec, s[24:25]
                                        ; implicit-def: $vgpr6
.LBB80_335:
	s_andn2_saveexec_b64 s[20:21], s[20:21]
; %bb.336:
	s_mov_b32 s24, 0x7f800000
	v_mov_b32_e32 v3, 0x7e
	v_mov_b32_e32 v7, 0x7f
	v_cmp_lt_u32_e32 vcc, s24, v6
	s_nop 1
	v_cndmask_b32_e32 v3, v3, v7, vcc
; %bb.337:
	s_or_b64 exec, exec, s[20:21]
	v_lshrrev_b32_e32 v2, 24, v2
	s_movk_i32 s20, 0x80
	v_and_or_b32 v2, v2, s20, v3
	global_store_byte v[4:5], v2, off
.LBB80_338:
	s_mov_b64 s[20:21], 0
.LBB80_339:
	s_andn2_b64 vcc, exec, s[20:21]
	s_cbranch_vccnz .LBB80_349
; %bb.340:
	v_cvt_f32_f64_e32 v2, v[0:1]
	v_and_b32_e32 v6, 0x7fffffff, v2
	s_mov_b32 s20, 0x47800000
	v_cmp_gt_u32_e32 vcc, s20, v6
                                        ; implicit-def: $vgpr3
	s_and_saveexec_b64 s[20:21], vcc
	s_xor_b64 s[20:21], exec, s[20:21]
	s_cbranch_execz .LBB80_346
; %bb.341:
	s_mov_b32 s24, 0x387fffff
	v_cmp_lt_u32_e32 vcc, s24, v6
                                        ; implicit-def: $vgpr3
	s_and_saveexec_b64 s[24:25], vcc
	s_xor_b64 s[24:25], exec, s[24:25]
; %bb.342:
	v_bfe_u32 v3, v2, 21, 1
	s_mov_b32 s26, 0x80fffff
	v_add3_u32 v3, v2, v3, s26
	v_lshrrev_b32_e32 v3, 21, v3
; %bb.343:
	s_andn2_saveexec_b64 s[24:25], s[24:25]
; %bb.344:
	s_mov_b32 s26, 0x43000000
	v_add_f32_e64 v3, |v2|, s26
; %bb.345:
	s_or_b64 exec, exec, s[24:25]
                                        ; implicit-def: $vgpr6
.LBB80_346:
	s_andn2_saveexec_b64 s[20:21], s[20:21]
; %bb.347:
	s_mov_b32 s24, 0x7f800000
	v_mov_b32_e32 v3, 0x7c
	v_mov_b32_e32 v7, 0x7f
	v_cmp_lt_u32_e32 vcc, s24, v6
	s_nop 1
	v_cndmask_b32_e32 v3, v3, v7, vcc
; %bb.348:
	s_or_b64 exec, exec, s[20:21]
	v_lshrrev_b32_e32 v2, 24, v2
	s_movk_i32 s20, 0x80
	v_and_or_b32 v2, v2, s20, v3
	global_store_byte v[4:5], v2, off
.LBB80_349:
	s_mov_b64 s[24:25], 0
	s_mov_b64 s[20:21], -1
.LBB80_350:
	s_andn2_b64 vcc, exec, s[24:25]
	s_cbranch_vccnz .LBB80_358
; %bb.351:
	s_cmp_gt_i32 s29, 14
	s_mov_b64 s[24:25], -1
	s_cbranch_scc0 .LBB80_355
; %bb.352:
	s_cmp_eq_u32 s29, 15
	s_mov_b64 s[0:1], -1
	s_cbranch_scc0 .LBB80_354
; %bb.353:
	v_cvt_f32_f64_e32 v2, v[0:1]
	v_bfe_u32 v3, v2, 16, 1
	s_movk_i32 s0, 0x7fff
	v_add3_u32 v3, v2, v3, s0
	v_cmp_o_f32_e32 vcc, v2, v2
	v_mov_b32_e32 v2, 0x7fc0
	s_mov_b64 s[20:21], -1
	v_cndmask_b32_sdwa v2, v2, v3, vcc dst_sel:DWORD dst_unused:UNUSED_PAD src0_sel:DWORD src1_sel:WORD_1
	global_store_short v[4:5], v2, off
	s_mov_b64 s[0:1], 0
.LBB80_354:
	s_mov_b64 s[24:25], 0
.LBB80_355:
	s_and_b64 vcc, exec, s[24:25]
	s_cbranch_vccz .LBB80_358
; %bb.356:
	s_cmp_eq_u32 s29, 11
	s_mov_b64 s[0:1], -1
	s_cbranch_scc0 .LBB80_358
; %bb.357:
	v_cmp_neq_f64_e32 vcc, 0, v[0:1]
	s_mov_b64 s[0:1], 0
	s_mov_b64 s[20:21], -1
	v_cndmask_b32_e64 v2, 0, 1, vcc
	global_store_byte v[4:5], v2, off
.LBB80_358:
	s_mov_b64 s[24:25], 0
.LBB80_359:
	s_and_b64 vcc, exec, s[24:25]
	s_cbranch_vccz .LBB80_398
; %bb.360:
	s_and_b32 s24, 0xffff, s28
	s_cmp_lt_i32 s24, 5
	s_mov_b64 s[20:21], -1
	s_cbranch_scc1 .LBB80_381
; %bb.361:
	s_cmp_lt_i32 s24, 8
	s_cbranch_scc1 .LBB80_371
; %bb.362:
	s_cmp_lt_i32 s24, 9
	s_cbranch_scc1 .LBB80_368
; %bb.363:
	s_cmp_gt_i32 s24, 9
	s_cbranch_scc0 .LBB80_365
; %bb.364:
	v_mov_b32_e32 v2, 0
	v_mov_b32_e32 v3, v2
	s_mov_b64 s[20:21], 0
	global_store_dwordx4 v[4:5], v[0:3], off
.LBB80_365:
	s_andn2_b64 vcc, exec, s[20:21]
	s_cbranch_vccnz .LBB80_367
; %bb.366:
	v_cvt_f32_f64_e32 v2, v[0:1]
	v_mov_b32_e32 v3, 0
	global_store_dwordx2 v[4:5], v[2:3], off
.LBB80_367:
	s_mov_b64 s[20:21], 0
.LBB80_368:
	s_andn2_b64 vcc, exec, s[20:21]
	s_cbranch_vccnz .LBB80_370
; %bb.369:
	s_movk_i32 s20, 0x1ff
	v_and_or_b32 v2, v1, s20, v0
	v_cmp_ne_u32_e32 vcc, 0, v2
	v_lshrrev_b32_e32 v3, 8, v1
	s_movk_i32 s20, 0xffe
	v_cndmask_b32_e64 v2, 0, 1, vcc
	v_bfe_u32 v6, v1, 20, 11
	v_and_or_b32 v2, v3, s20, v2
	v_sub_u32_e32 v7, 0x3f1, v6
	v_or_b32_e32 v3, 0x1000, v2
	v_med3_i32 v7, v7, 0, 13
	v_lshrrev_b32_e32 v8, v7, v3
	v_lshlrev_b32_e32 v7, v7, v8
	v_cmp_ne_u32_e32 vcc, v7, v3
	v_add_u32_e32 v6, 0xfffffc10, v6
	v_lshl_or_b32 v7, v6, 12, v2
	v_cndmask_b32_e64 v3, 0, 1, vcc
	v_or_b32_e32 v3, v8, v3
	v_cmp_gt_i32_e32 vcc, 1, v6
	s_movk_i32 s20, 0x40f
	s_nop 0
	v_cndmask_b32_e32 v3, v7, v3, vcc
	v_and_b32_e32 v7, 7, v3
	v_cmp_lt_i32_e32 vcc, 5, v7
	v_lshrrev_b32_e32 v3, 2, v3
	s_nop 0
	v_cndmask_b32_e64 v8, 0, 1, vcc
	v_cmp_eq_u32_e32 vcc, 3, v7
	s_nop 1
	v_cndmask_b32_e64 v7, 0, 1, vcc
	v_or_b32_e32 v7, v7, v8
	v_add_u32_e32 v3, v3, v7
	v_mov_b32_e32 v7, 0x7c00
	v_cmp_gt_i32_e32 vcc, 31, v6
	v_mov_b32_e32 v8, 0x7e00
	s_nop 0
	v_cndmask_b32_e32 v3, v7, v3, vcc
	v_cmp_ne_u32_e32 vcc, 0, v2
	s_nop 1
	v_cndmask_b32_e32 v2, v7, v8, vcc
	v_cmp_eq_u32_e32 vcc, s20, v6
	s_mov_b32 s20, 0x8000
	s_nop 0
	v_cndmask_b32_e32 v2, v3, v2, vcc
	v_and_b32_sdwa v3, v1, s20 dst_sel:DWORD dst_unused:UNUSED_PAD src0_sel:WORD_1 src1_sel:DWORD
	s_mov_b32 s20, 0xffff
	v_bitop3_b32 v2, v3, s20, v2 bitop3:0xc8
	global_store_dword v[4:5], v2, off
.LBB80_370:
	s_mov_b64 s[20:21], 0
.LBB80_371:
	s_andn2_b64 vcc, exec, s[20:21]
	s_cbranch_vccnz .LBB80_380
; %bb.372:
	s_cmp_lt_i32 s24, 6
	s_mov_b64 s[20:21], -1
	s_cbranch_scc1 .LBB80_378
; %bb.373:
	s_cmp_gt_i32 s24, 6
	s_cbranch_scc0 .LBB80_375
; %bb.374:
	s_mov_b64 s[20:21], 0
	global_store_dwordx2 v[4:5], v[0:1], off
.LBB80_375:
	s_andn2_b64 vcc, exec, s[20:21]
	s_cbranch_vccnz .LBB80_377
; %bb.376:
	v_cvt_f32_f64_e32 v2, v[0:1]
	global_store_dword v[4:5], v2, off
.LBB80_377:
	s_mov_b64 s[20:21], 0
.LBB80_378:
	s_andn2_b64 vcc, exec, s[20:21]
	s_cbranch_vccnz .LBB80_380
; %bb.379:
	s_movk_i32 s20, 0x1ff
	v_and_or_b32 v2, v1, s20, v0
	v_cmp_ne_u32_e32 vcc, 0, v2
	v_lshrrev_b32_e32 v3, 8, v1
	s_movk_i32 s20, 0xffe
	v_cndmask_b32_e64 v2, 0, 1, vcc
	v_bfe_u32 v6, v1, 20, 11
	v_and_or_b32 v2, v3, s20, v2
	v_sub_u32_e32 v7, 0x3f1, v6
	v_or_b32_e32 v3, 0x1000, v2
	v_med3_i32 v7, v7, 0, 13
	v_lshrrev_b32_e32 v8, v7, v3
	v_lshlrev_b32_e32 v7, v7, v8
	v_cmp_ne_u32_e32 vcc, v7, v3
	v_add_u32_e32 v6, 0xfffffc10, v6
	v_lshl_or_b32 v7, v6, 12, v2
	v_cndmask_b32_e64 v3, 0, 1, vcc
	v_or_b32_e32 v3, v8, v3
	v_cmp_gt_i32_e32 vcc, 1, v6
	s_movk_i32 s20, 0x40f
	s_nop 0
	v_cndmask_b32_e32 v3, v7, v3, vcc
	v_and_b32_e32 v7, 7, v3
	v_cmp_lt_i32_e32 vcc, 5, v7
	v_lshrrev_b32_e32 v3, 2, v3
	s_nop 0
	v_cndmask_b32_e64 v8, 0, 1, vcc
	v_cmp_eq_u32_e32 vcc, 3, v7
	s_nop 1
	v_cndmask_b32_e64 v7, 0, 1, vcc
	v_or_b32_e32 v7, v7, v8
	v_add_u32_e32 v3, v3, v7
	v_mov_b32_e32 v7, 0x7c00
	v_cmp_gt_i32_e32 vcc, 31, v6
	v_mov_b32_e32 v8, 0x7e00
	s_nop 0
	v_cndmask_b32_e32 v3, v7, v3, vcc
	v_cmp_ne_u32_e32 vcc, 0, v2
	s_nop 1
	v_cndmask_b32_e32 v2, v7, v8, vcc
	v_cmp_eq_u32_e32 vcc, s20, v6
	s_mov_b32 s20, 0x8000
	s_nop 0
	v_cndmask_b32_e32 v2, v3, v2, vcc
	v_lshrrev_b32_e32 v3, 16, v1
	v_and_or_b32 v2, v3, s20, v2
	global_store_short v[4:5], v2, off
.LBB80_380:
	s_mov_b64 s[20:21], 0
.LBB80_381:
	s_andn2_b64 vcc, exec, s[20:21]
	s_cbranch_vccnz .LBB80_397
; %bb.382:
	s_cmp_lt_i32 s24, 2
	s_mov_b64 s[20:21], -1
	s_cbranch_scc1 .LBB80_392
; %bb.383:
	s_cmp_lt_i32 s24, 3
	s_cbranch_scc1 .LBB80_389
; %bb.384:
	s_cmp_gt_i32 s24, 3
	s_cbranch_scc0 .LBB80_386
; %bb.385:
	v_trunc_f64_e32 v[2:3], v[0:1]
	s_movk_i32 s20, 0xffe0
	v_ldexp_f64 v[6:7], v[2:3], s20
	v_floor_f64_e32 v[6:7], v[6:7]
	v_fmac_f64_e32 v[2:3], 0xc1f00000, v[6:7]
	v_cvt_i32_f64_e32 v9, v[6:7]
	v_cvt_u32_f64_e32 v8, v[2:3]
	s_mov_b64 s[20:21], 0
	global_store_dwordx2 v[4:5], v[8:9], off
.LBB80_386:
	s_andn2_b64 vcc, exec, s[20:21]
	s_cbranch_vccnz .LBB80_388
; %bb.387:
	v_cvt_i32_f64_e32 v2, v[0:1]
	global_store_dword v[4:5], v2, off
.LBB80_388:
	s_mov_b64 s[20:21], 0
.LBB80_389:
	s_andn2_b64 vcc, exec, s[20:21]
	s_cbranch_vccnz .LBB80_391
; %bb.390:
	v_cvt_i32_f64_e32 v2, v[0:1]
	global_store_short v[4:5], v2, off
.LBB80_391:
	s_mov_b64 s[20:21], 0
.LBB80_392:
	s_andn2_b64 vcc, exec, s[20:21]
	s_cbranch_vccnz .LBB80_397
; %bb.393:
	s_cmp_gt_i32 s24, 0
	s_mov_b64 s[20:21], -1
	s_cbranch_scc0 .LBB80_395
; %bb.394:
	v_cvt_i32_f64_e32 v2, v[0:1]
	s_mov_b64 s[20:21], 0
	global_store_byte v[4:5], v2, off
.LBB80_395:
	s_andn2_b64 vcc, exec, s[20:21]
	s_cbranch_vccnz .LBB80_397
; %bb.396:
	v_trunc_f64_e32 v[0:1], v[0:1]
	s_movk_i32 s20, 0xffe0
	v_ldexp_f64 v[2:3], v[0:1], s20
	v_floor_f64_e32 v[2:3], v[2:3]
	v_fmac_f64_e32 v[0:1], 0xc1f00000, v[2:3]
	v_cvt_u32_f64_e32 v0, v[0:1]
	global_store_byte v[4:5], v0, off
.LBB80_397:
	s_mov_b64 s[20:21], -1
.LBB80_398:
	s_andn2_b64 vcc, exec, s[20:21]
	s_cbranch_vccnz .LBB80_400
; %bb.399:
	v_add_u32_e32 v10, 0x80, v10
	s_mov_b64 s[24:25], -1
	s_branch .LBB80_512
.LBB80_400:
	s_mov_b64 s[24:25], 0
                                        ; implicit-def: $vgpr10
	s_branch .LBB80_512
.LBB80_401:
	s_mov_b64 s[18:19], -1
                                        ; implicit-def: $vgpr2_vgpr3
.LBB80_402:
	s_mov_b64 s[20:21], 0
.LBB80_403:
	s_and_b64 vcc, exec, s[20:21]
	s_cbranch_vccz .LBB80_407
; %bb.404:
	s_cmp_eq_u32 s26, 29
	s_cbranch_scc0 .LBB80_406
; %bb.405:
	global_load_dwordx2 v[2:3], v[0:1], off
	s_mov_b64 s[0:1], -1
	s_mov_b64 s[18:19], 0
	s_mov_b64 s[20:21], 0
	s_waitcnt vmcnt(0)
	v_cvt_f64_u32_e32 v[4:5], v3
	v_cvt_f64_u32_e32 v[2:3], v2
	v_ldexp_f64 v[4:5], v[4:5], 32
	v_add_f64 v[2:3], v[4:5], v[2:3]
	s_branch .LBB80_408
.LBB80_406:
	s_mov_b64 s[18:19], -1
                                        ; implicit-def: $vgpr2_vgpr3
.LBB80_407:
	s_mov_b64 s[20:21], 0
.LBB80_408:
	s_and_b64 vcc, exec, s[20:21]
	s_cbranch_vccz .LBB80_428
; %bb.409:
	s_cmp_lt_i32 s26, 27
	s_cbranch_scc1 .LBB80_412
; %bb.410:
	s_cmp_gt_i32 s26, 27
	s_cbranch_scc0 .LBB80_413
; %bb.411:
	global_load_dword v2, v[0:1], off
	s_mov_b64 s[0:1], 0
	s_waitcnt vmcnt(0)
	v_cvt_f64_u32_e32 v[2:3], v2
	s_branch .LBB80_414
.LBB80_412:
	s_mov_b64 s[0:1], -1
                                        ; implicit-def: $vgpr2_vgpr3
	s_branch .LBB80_417
.LBB80_413:
	s_mov_b64 s[0:1], -1
                                        ; implicit-def: $vgpr2_vgpr3
.LBB80_414:
	s_andn2_b64 vcc, exec, s[0:1]
	s_cbranch_vccnz .LBB80_416
; %bb.415:
	global_load_ushort v2, v[0:1], off
	s_waitcnt vmcnt(0)
	v_cvt_f64_u32_e32 v[2:3], v2
.LBB80_416:
	s_mov_b64 s[0:1], 0
.LBB80_417:
	s_andn2_b64 vcc, exec, s[0:1]
	s_cbranch_vccnz .LBB80_427
; %bb.418:
	global_load_ubyte v4, v[0:1], off
	s_movk_i32 s0, 0x7f
	s_waitcnt vmcnt(0)
	v_cmp_lt_i16_e32 vcc, s0, v4
	s_mov_b64 s[0:1], 0
	s_and_saveexec_b64 s[20:21], vcc
	s_xor_b64 s[20:21], exec, s[20:21]
	s_cbranch_execz .LBB80_422
; %bb.419:
	s_movk_i32 s0, 0x80
	v_cmp_eq_u16_e32 vcc, s0, v4
	s_mov_b64 s[0:1], -1
	s_and_saveexec_b64 s[24:25], vcc
; %bb.420:
	s_xor_b64 s[0:1], exec, -1
; %bb.421:
	s_or_b64 exec, exec, s[24:25]
	s_and_b64 s[0:1], s[0:1], exec
.LBB80_422:
	s_or_saveexec_b64 s[20:21], s[20:21]
	v_bfrev_b32_e32 v2, 4
	v_mov_b32_e32 v3, 0x7ff80000
	s_xor_b64 exec, exec, s[20:21]
; %bb.423:
	v_cmp_ne_u16_e32 vcc, 0, v4
	s_andn2_b64 s[0:1], s[0:1], exec
	s_and_b64 s[24:25], vcc, exec
	v_mov_b64_e32 v[2:3], 0
	s_or_b64 s[0:1], s[0:1], s[24:25]
; %bb.424:
	s_or_b64 exec, exec, s[20:21]
	s_and_saveexec_b64 s[20:21], s[0:1]
	s_cbranch_execz .LBB80_426
; %bb.425:
	v_and_b32_e32 v3, 0xffff, v4
	v_lshlrev_b32_e32 v2, 24, v4
	v_and_b32_e32 v4, 7, v3
	v_ffbh_u32_e32 v6, v4
	v_min_u32_e32 v6, 32, v6
	v_subrev_u32_e32 v7, 28, v6
	v_bfe_u32 v5, v3, 3, 4
	v_lshlrev_b32_e32 v3, v7, v3
	v_sub_u32_e32 v6, 29, v6
	v_and_b32_e32 v3, 7, v3
	v_cmp_eq_u32_e32 vcc, 0, v5
	v_and_b32_e32 v2, 0x80000000, v2
	s_nop 0
	v_cndmask_b32_e32 v5, v5, v6, vcc
	v_cndmask_b32_e32 v3, v4, v3, vcc
	v_mov_b32_e32 v4, 0x3b800000
	v_lshlrev_b32_e32 v3, 20, v3
	v_lshl_add_u32 v4, v5, 23, v4
	v_or3_b32 v2, v2, v4, v3
	v_cvt_f64_f32_e32 v[2:3], v2
.LBB80_426:
	s_or_b64 exec, exec, s[20:21]
.LBB80_427:
	s_mov_b64 s[0:1], -1
.LBB80_428:
	s_mov_b64 s[20:21], 0
.LBB80_429:
	s_and_b64 vcc, exec, s[20:21]
	s_cbranch_vccz .LBB80_462
; %bb.430:
	s_cmp_gt_i32 s26, 22
	s_cbranch_scc0 .LBB80_442
; %bb.431:
	s_cmp_lt_i32 s26, 24
	s_cbranch_scc1 .LBB80_443
; %bb.432:
	s_cmp_gt_i32 s26, 24
	s_cbranch_scc0 .LBB80_444
; %bb.433:
	global_load_ubyte v4, v[0:1], off
	s_movk_i32 s0, 0x7f
	s_waitcnt vmcnt(0)
	v_cmp_lt_i16_e32 vcc, s0, v4
	s_mov_b64 s[0:1], 0
	s_and_saveexec_b64 s[20:21], vcc
	s_xor_b64 s[20:21], exec, s[20:21]
	s_cbranch_execz .LBB80_437
; %bb.434:
	s_movk_i32 s0, 0x80
	v_cmp_eq_u16_e32 vcc, s0, v4
	s_mov_b64 s[0:1], -1
	s_and_saveexec_b64 s[24:25], vcc
; %bb.435:
	s_xor_b64 s[0:1], exec, -1
; %bb.436:
	s_or_b64 exec, exec, s[24:25]
	s_and_b64 s[0:1], s[0:1], exec
.LBB80_437:
	s_or_saveexec_b64 s[20:21], s[20:21]
	v_bfrev_b32_e32 v2, 4
	v_mov_b32_e32 v3, 0x7ff80000
	s_xor_b64 exec, exec, s[20:21]
; %bb.438:
	v_cmp_ne_u16_e32 vcc, 0, v4
	s_andn2_b64 s[0:1], s[0:1], exec
	s_and_b64 s[24:25], vcc, exec
	v_mov_b64_e32 v[2:3], 0
	s_or_b64 s[0:1], s[0:1], s[24:25]
; %bb.439:
	s_or_b64 exec, exec, s[20:21]
	s_and_saveexec_b64 s[20:21], s[0:1]
	s_cbranch_execz .LBB80_441
; %bb.440:
	v_and_b32_e32 v3, 0xffff, v4
	v_lshlrev_b32_e32 v2, 24, v4
	v_and_b32_e32 v4, 3, v3
	v_ffbh_u32_e32 v6, v4
	v_min_u32_e32 v6, 32, v6
	v_subrev_u32_e32 v7, 29, v6
	v_bfe_u32 v5, v3, 2, 5
	v_lshlrev_b32_e32 v3, v7, v3
	v_sub_u32_e32 v6, 30, v6
	v_and_b32_e32 v3, 3, v3
	v_cmp_eq_u32_e32 vcc, 0, v5
	v_and_b32_e32 v2, 0x80000000, v2
	s_nop 0
	v_cndmask_b32_e32 v5, v5, v6, vcc
	v_cndmask_b32_e32 v3, v4, v3, vcc
	v_mov_b32_e32 v4, 0x37800000
	v_lshlrev_b32_e32 v3, 21, v3
	v_lshl_add_u32 v4, v5, 23, v4
	v_or3_b32 v2, v2, v4, v3
	v_cvt_f64_f32_e32 v[2:3], v2
.LBB80_441:
	s_or_b64 exec, exec, s[20:21]
	s_mov_b64 s[0:1], 0
	s_branch .LBB80_445
.LBB80_442:
	s_mov_b64 s[20:21], -1
                                        ; implicit-def: $vgpr2_vgpr3
	s_branch .LBB80_451
.LBB80_443:
	s_mov_b64 s[0:1], -1
                                        ; implicit-def: $vgpr2_vgpr3
	s_branch .LBB80_448
.LBB80_444:
	s_mov_b64 s[0:1], -1
                                        ; implicit-def: $vgpr2_vgpr3
.LBB80_445:
	s_and_b64 vcc, exec, s[0:1]
	s_cbranch_vccz .LBB80_447
; %bb.446:
	global_load_ubyte v2, v[0:1], off
	s_mov_b32 s0, 0x7f800000
	s_waitcnt vmcnt(0)
	v_lshlrev_b32_e32 v2, 24, v2
	v_and_b32_e32 v3, 0x7f000000, v2
	v_ffbh_u32_e32 v4, v3
	v_min_u32_e32 v4, 32, v4
	v_sub_u32_e64 v4, v4, 4 clamp
	v_lshlrev_b32_e32 v6, v4, v3
	v_lshlrev_b32_e32 v4, 23, v4
	v_lshrrev_b32_e32 v6, 4, v6
	v_add_u32_e32 v5, 0x1000000, v3
	v_sub_u32_e32 v4, v6, v4
	v_ashrrev_i32_e32 v5, 8, v5
	v_add_u32_e32 v4, 0x3c000000, v4
	v_and_or_b32 v4, v5, s0, v4
	v_cmp_ne_u32_e32 vcc, 0, v3
	s_brev_b32 s0, 1
	s_nop 0
	v_cndmask_b32_e32 v3, 0, v4, vcc
	v_and_or_b32 v2, v2, s0, v3
	v_cvt_f64_f32_e32 v[2:3], v2
.LBB80_447:
	s_mov_b64 s[0:1], 0
.LBB80_448:
	s_andn2_b64 vcc, exec, s[0:1]
	s_cbranch_vccnz .LBB80_450
; %bb.449:
	global_load_ubyte v2, v[0:1], off
	s_movk_i32 s0, 0x7f00
	s_brev_b32 s1, 16
	s_waitcnt vmcnt(0)
	v_lshlrev_b16_e32 v3, 8, v2
	v_lshlrev_b32_e32 v2, 25, v2
	v_lshrrev_b32_e32 v4, 4, v2
	v_and_or_b32 v5, v3, s0, 0.5
	v_or_b32_e32 v4, 0x70000000, v4
	v_add_f32_e32 v5, -0.5, v5
	v_mul_f32_e32 v4, 0x7800000, v4
	v_cmp_gt_u32_e32 vcc, s1, v2
	v_bfe_i32 v3, v3, 0, 16
	s_brev_b32 s0, 1
	v_cndmask_b32_e32 v2, v4, v5, vcc
	v_and_or_b32 v2, v3, s0, v2
	v_cvt_f64_f32_e32 v[2:3], v2
.LBB80_450:
	s_mov_b64 s[20:21], 0
	s_mov_b64 s[0:1], -1
.LBB80_451:
	s_andn2_b64 vcc, exec, s[20:21]
	s_cbranch_vccnz .LBB80_462
; %bb.452:
	s_cmp_gt_i32 s26, 14
	s_cbranch_scc0 .LBB80_455
; %bb.453:
	s_cmp_eq_u32 s26, 15
	s_cbranch_scc0 .LBB80_456
; %bb.454:
	global_load_ushort v2, v[0:1], off
	s_mov_b64 s[0:1], -1
	s_mov_b64 s[18:19], 0
	s_waitcnt vmcnt(0)
	v_lshlrev_b32_e32 v2, 16, v2
	v_cvt_f64_f32_e32 v[2:3], v2
	s_branch .LBB80_457
.LBB80_455:
	s_mov_b64 s[20:21], -1
                                        ; implicit-def: $vgpr2_vgpr3
	s_branch .LBB80_458
.LBB80_456:
	s_mov_b64 s[18:19], -1
                                        ; implicit-def: $vgpr2_vgpr3
.LBB80_457:
	s_mov_b64 s[20:21], 0
.LBB80_458:
	s_and_b64 vcc, exec, s[20:21]
	s_cbranch_vccz .LBB80_462
; %bb.459:
	s_cmp_eq_u32 s26, 11
	s_cbranch_scc0 .LBB80_461
; %bb.460:
	global_load_ubyte v3, v[0:1], off
	v_mov_b32_e32 v4, 0x3ff00000
	s_waitcnt vmcnt(1)
	v_mov_b32_e32 v2, 0
	s_mov_b64 s[0:1], -1
	s_mov_b64 s[18:19], 0
	s_waitcnt vmcnt(0)
	v_cmp_ne_u16_e32 vcc, 0, v3
	s_nop 1
	v_cndmask_b32_e32 v3, 0, v4, vcc
	s_branch .LBB80_462
.LBB80_461:
	s_mov_b64 s[18:19], -1
                                        ; implicit-def: $vgpr2_vgpr3
.LBB80_462:
	s_branch .LBB80_265
.LBB80_463:
	s_cmp_lt_i32 s26, 5
	s_cbranch_scc1 .LBB80_468
; %bb.464:
	s_cmp_lt_i32 s26, 8
	s_cbranch_scc1 .LBB80_469
; %bb.465:
	;; [unrolled: 3-line block ×3, first 2 shown]
	s_cmp_gt_i32 s26, 9
	s_cbranch_scc0 .LBB80_471
; %bb.467:
	global_load_dwordx2 v[2:3], v[0:1], off
	s_mov_b64 s[0:1], 0
	s_branch .LBB80_472
.LBB80_468:
	s_mov_b64 s[0:1], -1
                                        ; implicit-def: $vgpr2_vgpr3
	s_branch .LBB80_490
.LBB80_469:
	s_mov_b64 s[0:1], -1
                                        ; implicit-def: $vgpr2_vgpr3
	s_branch .LBB80_478
.LBB80_470:
	s_mov_b64 s[0:1], -1
                                        ; implicit-def: $vgpr2_vgpr3
	s_branch .LBB80_475
.LBB80_471:
	s_mov_b64 s[0:1], -1
                                        ; implicit-def: $vgpr2_vgpr3
.LBB80_472:
	s_andn2_b64 vcc, exec, s[0:1]
	s_cbranch_vccnz .LBB80_474
; %bb.473:
	global_load_dword v2, v[0:1], off
	s_waitcnt vmcnt(0)
	v_cvt_f64_f32_e32 v[2:3], v2
.LBB80_474:
	s_mov_b64 s[0:1], 0
.LBB80_475:
	s_andn2_b64 vcc, exec, s[0:1]
	s_cbranch_vccnz .LBB80_477
; %bb.476:
	global_load_dword v2, v[0:1], off
	s_waitcnt vmcnt(0)
	v_cvt_f32_f16_e32 v2, v2
	v_cvt_f64_f32_e32 v[2:3], v2
.LBB80_477:
	s_mov_b64 s[0:1], 0
.LBB80_478:
	s_andn2_b64 vcc, exec, s[0:1]
	s_cbranch_vccnz .LBB80_489
; %bb.479:
	s_cmp_lt_i32 s26, 6
	s_cbranch_scc1 .LBB80_482
; %bb.480:
	s_cmp_gt_i32 s26, 6
	s_cbranch_scc0 .LBB80_483
; %bb.481:
	global_load_dwordx2 v[2:3], v[0:1], off
	s_mov_b64 s[0:1], 0
	s_branch .LBB80_484
.LBB80_482:
	s_mov_b64 s[0:1], -1
                                        ; implicit-def: $vgpr2_vgpr3
	s_branch .LBB80_487
.LBB80_483:
	s_mov_b64 s[0:1], -1
                                        ; implicit-def: $vgpr2_vgpr3
.LBB80_484:
	s_andn2_b64 vcc, exec, s[0:1]
	s_cbranch_vccnz .LBB80_486
; %bb.485:
	global_load_dword v2, v[0:1], off
	s_waitcnt vmcnt(0)
	v_cvt_f64_f32_e32 v[2:3], v2
.LBB80_486:
	s_mov_b64 s[0:1], 0
.LBB80_487:
	s_andn2_b64 vcc, exec, s[0:1]
	s_cbranch_vccnz .LBB80_489
; %bb.488:
	global_load_ushort v2, v[0:1], off
	s_waitcnt vmcnt(0)
	v_cvt_f32_f16_e32 v2, v2
	v_cvt_f64_f32_e32 v[2:3], v2
.LBB80_489:
	s_mov_b64 s[0:1], 0
.LBB80_490:
	s_andn2_b64 vcc, exec, s[0:1]
	s_cbranch_vccnz .LBB80_510
; %bb.491:
	s_cmp_lt_i32 s26, 2
	s_cbranch_scc1 .LBB80_495
; %bb.492:
	s_cmp_lt_i32 s26, 3
	s_cbranch_scc1 .LBB80_496
; %bb.493:
	s_cmp_gt_i32 s26, 3
	s_cbranch_scc0 .LBB80_497
; %bb.494:
	global_load_dwordx2 v[2:3], v[0:1], off
	s_mov_b64 s[0:1], 0
	s_waitcnt vmcnt(0)
	v_cvt_f64_i32_e32 v[4:5], v3
	v_cvt_f64_u32_e32 v[2:3], v2
	v_ldexp_f64 v[4:5], v[4:5], 32
	v_add_f64 v[2:3], v[4:5], v[2:3]
	s_branch .LBB80_498
.LBB80_495:
	s_mov_b64 s[0:1], -1
                                        ; implicit-def: $vgpr2_vgpr3
	s_branch .LBB80_504
.LBB80_496:
	s_mov_b64 s[0:1], -1
                                        ; implicit-def: $vgpr2_vgpr3
	s_branch .LBB80_501
.LBB80_497:
	s_mov_b64 s[0:1], -1
                                        ; implicit-def: $vgpr2_vgpr3
.LBB80_498:
	s_andn2_b64 vcc, exec, s[0:1]
	s_cbranch_vccnz .LBB80_500
; %bb.499:
	global_load_dword v2, v[0:1], off
	s_waitcnt vmcnt(0)
	v_cvt_f64_i32_e32 v[2:3], v2
.LBB80_500:
	s_mov_b64 s[0:1], 0
.LBB80_501:
	s_andn2_b64 vcc, exec, s[0:1]
	s_cbranch_vccnz .LBB80_503
; %bb.502:
	global_load_sshort v2, v[0:1], off
	s_waitcnt vmcnt(0)
	v_cvt_f64_i32_e32 v[2:3], v2
.LBB80_503:
	s_mov_b64 s[0:1], 0
.LBB80_504:
	s_andn2_b64 vcc, exec, s[0:1]
	s_cbranch_vccnz .LBB80_510
; %bb.505:
	s_cmp_gt_i32 s26, 0
	s_cbranch_scc0 .LBB80_507
; %bb.506:
	global_load_sbyte v2, v[0:1], off
	s_mov_b64 s[0:1], 0
	s_waitcnt vmcnt(0)
	v_cvt_f64_i32_e32 v[2:3], v2
	s_branch .LBB80_508
.LBB80_507:
	s_mov_b64 s[0:1], -1
                                        ; implicit-def: $vgpr2_vgpr3
.LBB80_508:
	s_andn2_b64 vcc, exec, s[0:1]
	s_cbranch_vccnz .LBB80_510
; %bb.509:
	global_load_ubyte v0, v[0:1], off
	s_waitcnt vmcnt(0)
	v_cvt_f64_u32_e32 v[2:3], v0
.LBB80_510:
	s_branch .LBB80_266
.LBB80_511:
	s_mov_b64 s[24:25], 0
                                        ; implicit-def: $vgpr10
	s_mov_b64 s[0:1], s[12:13]
.LBB80_512:
	s_andn2_b64 s[20:21], s[12:13], exec
	s_and_b64 s[0:1], s[0:1], exec
	s_or_b64 s[20:21], s[20:21], s[0:1]
	s_andn2_b64 s[0:1], s[14:15], exec
	s_and_b64 s[18:19], s[18:19], exec
	s_or_b64 s[18:19], s[0:1], s[18:19]
	s_orn2_b64 s[0:1], s[24:25], exec
.LBB80_513:
	s_or_b64 exec, exec, s[22:23]
	s_mov_b64 s[24:25], 0
	s_mov_b64 s[26:27], 0
	;; [unrolled: 1-line block ×3, first 2 shown]
                                        ; implicit-def: $vgpr0_vgpr1
                                        ; implicit-def: $vgpr2_vgpr3
	s_and_saveexec_b64 s[22:23], s[0:1]
	s_cbranch_execz .LBB80_858
; %bb.514:
	v_cmp_gt_i32_e32 vcc, s38, v10
	s_mov_b64 s[34:35], -1
	s_mov_b64 s[0:1], s[18:19]
	s_mov_b64 s[28:29], s[20:21]
	s_and_saveexec_b64 s[24:25], vcc
	s_cbranch_execz .LBB80_772
; %bb.515:
	v_mul_lo_u32 v0, v10, s9
	v_ashrrev_i32_e32 v1, 31, v0
	s_and_b32 s34, 0xffff, s42
	s_cmp_lt_i32 s34, 11
	v_lshl_add_u64 v[0:1], s[6:7], 0, v[0:1]
	s_cbranch_scc1 .LBB80_522
; %bb.516:
	s_cmp_gt_i32 s34, 25
	s_cbranch_scc0 .LBB80_523
; %bb.517:
	s_cmp_gt_i32 s34, 28
	s_cbranch_scc0 .LBB80_524
	;; [unrolled: 3-line block ×4, first 2 shown]
; %bb.520:
	s_cmp_eq_u32 s34, 46
	s_mov_b64 s[28:29], 0
	s_cbranch_scc0 .LBB80_531
; %bb.521:
	global_load_dword v2, v[0:1], off
	s_mov_b64 s[0:1], -1
	s_waitcnt vmcnt(0)
	v_lshlrev_b32_e32 v2, 16, v2
	v_cvt_f64_f32_e32 v[2:3], v2
	s_branch .LBB80_532
.LBB80_522:
	s_mov_b64 s[28:29], -1
	s_mov_b64 s[0:1], 0
                                        ; implicit-def: $vgpr2_vgpr3
	s_mov_b64 s[26:27], s[18:19]
	s_branch .LBB80_597
.LBB80_523:
	s_mov_b64 s[28:29], -1
	s_mov_b64 s[0:1], 0
	s_mov_b64 s[26:27], s[18:19]
                                        ; implicit-def: $vgpr2_vgpr3
	s_branch .LBB80_563
.LBB80_524:
	s_mov_b64 s[28:29], -1
	s_mov_b64 s[0:1], 0
	s_mov_b64 s[26:27], s[18:19]
                                        ; implicit-def: $vgpr2_vgpr3
	s_branch .LBB80_542
.LBB80_525:
	s_mov_b64 s[28:29], -1
	s_mov_b64 s[0:1], 0
	s_mov_b64 s[26:27], s[18:19]
                                        ; implicit-def: $vgpr2_vgpr3
	s_branch .LBB80_537
.LBB80_526:
	s_andn2_saveexec_b64 s[26:27], s[26:27]
	s_cbranch_execz .LBB80_311
.LBB80_527:
	s_mov_b32 s30, 0x46000000
	v_add_f32_e64 v3, |v2|, s30
	v_and_b32_e32 v3, 0xff, v3
	v_cmp_ne_u32_e32 vcc, 0, v3
	s_andn2_b64 s[24:25], s[24:25], exec
	s_and_b64 s[30:31], vcc, exec
	s_or_b64 s[24:25], s[24:25], s[30:31]
	s_or_b64 exec, exec, s[26:27]
	v_mov_b32_e32 v6, 0
	s_and_saveexec_b64 s[26:27], s[24:25]
	s_cbranch_execnz .LBB80_312
	s_branch .LBB80_313
.LBB80_528:
	s_mov_b64 s[28:29], -1
	s_mov_b64 s[0:1], 0
	s_mov_b64 s[26:27], s[18:19]
                                        ; implicit-def: $vgpr2_vgpr3
	s_branch .LBB80_532
.LBB80_529:
	s_andn2_saveexec_b64 s[26:27], s[26:27]
	s_cbranch_execz .LBB80_324
.LBB80_530:
	s_mov_b32 s30, 0x42800000
	v_add_f32_e64 v3, |v2|, s30
	v_and_b32_e32 v3, 0xff, v3
	v_cmp_ne_u32_e32 vcc, 0, v3
	s_andn2_b64 s[24:25], s[24:25], exec
	s_and_b64 s[30:31], vcc, exec
	s_or_b64 s[24:25], s[24:25], s[30:31]
	s_or_b64 exec, exec, s[26:27]
	v_mov_b32_e32 v6, 0
	s_and_saveexec_b64 s[26:27], s[24:25]
	s_cbranch_execnz .LBB80_325
	s_branch .LBB80_326
.LBB80_531:
	s_mov_b64 s[26:27], -1
                                        ; implicit-def: $vgpr2_vgpr3
	s_mov_b64 s[0:1], 0
.LBB80_532:
	s_and_b64 vcc, exec, s[28:29]
	s_cbranch_vccz .LBB80_536
; %bb.533:
	s_cmp_eq_u32 s34, 44
	s_cbranch_scc0 .LBB80_535
; %bb.534:
	global_load_ubyte v4, v[0:1], off
	s_movk_i32 s26, 0xff
	v_bfrev_b32_e32 v5, 4
	v_mov_b32_e32 v6, 0x7ff80000
	v_bfrev_b32_e32 v7, 28
	s_mov_b64 s[0:1], -1
	s_waitcnt vmcnt(0)
	v_lshlrev_b32_e32 v2, 23, v4
	v_cvt_f64_f32_e32 v[2:3], v2
	v_cmp_ne_u32_e32 vcc, s26, v4
	s_mov_b64 s[26:27], 0
	s_nop 0
	v_cndmask_b32_e32 v2, v5, v2, vcc
	v_cndmask_b32_e32 v3, v6, v3, vcc
	v_cmp_ne_u32_e32 vcc, 0, v4
	s_nop 1
	v_cndmask_b32_e32 v3, v7, v3, vcc
	v_cndmask_b32_e32 v2, 0, v2, vcc
	s_branch .LBB80_536
.LBB80_535:
	s_mov_b64 s[26:27], -1
                                        ; implicit-def: $vgpr2_vgpr3
.LBB80_536:
	s_mov_b64 s[28:29], 0
.LBB80_537:
	s_and_b64 vcc, exec, s[28:29]
	s_cbranch_vccz .LBB80_541
; %bb.538:
	s_cmp_eq_u32 s34, 29
	s_cbranch_scc0 .LBB80_540
; %bb.539:
	global_load_dwordx2 v[2:3], v[0:1], off
	s_mov_b64 s[0:1], -1
	s_mov_b64 s[26:27], 0
	s_mov_b64 s[28:29], 0
	s_waitcnt vmcnt(0)
	v_cvt_f64_u32_e32 v[4:5], v3
	v_cvt_f64_u32_e32 v[2:3], v2
	v_ldexp_f64 v[4:5], v[4:5], 32
	v_add_f64 v[2:3], v[4:5], v[2:3]
	s_branch .LBB80_542
.LBB80_540:
	s_mov_b64 s[26:27], -1
                                        ; implicit-def: $vgpr2_vgpr3
.LBB80_541:
	s_mov_b64 s[28:29], 0
.LBB80_542:
	s_and_b64 vcc, exec, s[28:29]
	s_cbranch_vccz .LBB80_562
; %bb.543:
	s_cmp_lt_i32 s34, 27
	s_cbranch_scc1 .LBB80_546
; %bb.544:
	s_cmp_gt_i32 s34, 27
	s_cbranch_scc0 .LBB80_547
; %bb.545:
	global_load_dword v2, v[0:1], off
	s_mov_b64 s[0:1], 0
	s_waitcnt vmcnt(0)
	v_cvt_f64_u32_e32 v[2:3], v2
	s_branch .LBB80_548
.LBB80_546:
	s_mov_b64 s[0:1], -1
                                        ; implicit-def: $vgpr2_vgpr3
	s_branch .LBB80_551
.LBB80_547:
	s_mov_b64 s[0:1], -1
                                        ; implicit-def: $vgpr2_vgpr3
.LBB80_548:
	s_andn2_b64 vcc, exec, s[0:1]
	s_cbranch_vccnz .LBB80_550
; %bb.549:
	global_load_ushort v2, v[0:1], off
	s_waitcnt vmcnt(0)
	v_cvt_f64_u32_e32 v[2:3], v2
.LBB80_550:
	s_mov_b64 s[0:1], 0
.LBB80_551:
	s_andn2_b64 vcc, exec, s[0:1]
	s_cbranch_vccnz .LBB80_561
; %bb.552:
	global_load_ubyte v4, v[0:1], off
	s_movk_i32 s0, 0x7f
	s_waitcnt vmcnt(0)
	v_cmp_lt_i16_e32 vcc, s0, v4
	s_mov_b64 s[0:1], 0
	s_and_saveexec_b64 s[28:29], vcc
	s_xor_b64 s[28:29], exec, s[28:29]
	s_cbranch_execz .LBB80_556
; %bb.553:
	s_movk_i32 s0, 0x80
	v_cmp_eq_u16_e32 vcc, s0, v4
	s_mov_b64 s[0:1], -1
	s_and_saveexec_b64 s[30:31], vcc
; %bb.554:
	s_xor_b64 s[0:1], exec, -1
; %bb.555:
	s_or_b64 exec, exec, s[30:31]
	s_and_b64 s[0:1], s[0:1], exec
.LBB80_556:
	s_or_saveexec_b64 s[28:29], s[28:29]
	v_bfrev_b32_e32 v2, 4
	v_mov_b32_e32 v3, 0x7ff80000
	s_xor_b64 exec, exec, s[28:29]
; %bb.557:
	v_cmp_ne_u16_e32 vcc, 0, v4
	s_andn2_b64 s[0:1], s[0:1], exec
	s_and_b64 s[30:31], vcc, exec
	v_mov_b64_e32 v[2:3], 0
	s_or_b64 s[0:1], s[0:1], s[30:31]
; %bb.558:
	s_or_b64 exec, exec, s[28:29]
	s_and_saveexec_b64 s[28:29], s[0:1]
	s_cbranch_execz .LBB80_560
; %bb.559:
	v_and_b32_e32 v3, 0xffff, v4
	v_lshlrev_b32_e32 v2, 24, v4
	v_and_b32_e32 v4, 7, v3
	v_ffbh_u32_e32 v6, v4
	v_min_u32_e32 v6, 32, v6
	v_subrev_u32_e32 v7, 28, v6
	v_bfe_u32 v5, v3, 3, 4
	v_lshlrev_b32_e32 v3, v7, v3
	v_sub_u32_e32 v6, 29, v6
	v_and_b32_e32 v3, 7, v3
	v_cmp_eq_u32_e32 vcc, 0, v5
	v_and_b32_e32 v2, 0x80000000, v2
	s_nop 0
	v_cndmask_b32_e32 v5, v5, v6, vcc
	v_cndmask_b32_e32 v3, v4, v3, vcc
	v_mov_b32_e32 v4, 0x3b800000
	v_lshlrev_b32_e32 v3, 20, v3
	v_lshl_add_u32 v4, v5, 23, v4
	v_or3_b32 v2, v2, v4, v3
	v_cvt_f64_f32_e32 v[2:3], v2
.LBB80_560:
	s_or_b64 exec, exec, s[28:29]
.LBB80_561:
	s_mov_b64 s[0:1], -1
.LBB80_562:
	s_mov_b64 s[28:29], 0
.LBB80_563:
	s_and_b64 vcc, exec, s[28:29]
	s_cbranch_vccz .LBB80_596
; %bb.564:
	s_cmp_gt_i32 s34, 22
	s_cbranch_scc0 .LBB80_576
; %bb.565:
	s_cmp_lt_i32 s34, 24
	s_cbranch_scc1 .LBB80_577
; %bb.566:
	s_cmp_gt_i32 s34, 24
	s_cbranch_scc0 .LBB80_578
; %bb.567:
	global_load_ubyte v4, v[0:1], off
	s_movk_i32 s0, 0x7f
	s_waitcnt vmcnt(0)
	v_cmp_lt_i16_e32 vcc, s0, v4
	s_mov_b64 s[0:1], 0
	s_and_saveexec_b64 s[28:29], vcc
	s_xor_b64 s[28:29], exec, s[28:29]
	s_cbranch_execz .LBB80_571
; %bb.568:
	s_movk_i32 s0, 0x80
	v_cmp_eq_u16_e32 vcc, s0, v4
	s_mov_b64 s[0:1], -1
	s_and_saveexec_b64 s[30:31], vcc
; %bb.569:
	s_xor_b64 s[0:1], exec, -1
; %bb.570:
	s_or_b64 exec, exec, s[30:31]
	s_and_b64 s[0:1], s[0:1], exec
.LBB80_571:
	s_or_saveexec_b64 s[28:29], s[28:29]
	v_bfrev_b32_e32 v2, 4
	v_mov_b32_e32 v3, 0x7ff80000
	s_xor_b64 exec, exec, s[28:29]
; %bb.572:
	v_cmp_ne_u16_e32 vcc, 0, v4
	s_andn2_b64 s[0:1], s[0:1], exec
	s_and_b64 s[30:31], vcc, exec
	v_mov_b64_e32 v[2:3], 0
	s_or_b64 s[0:1], s[0:1], s[30:31]
; %bb.573:
	s_or_b64 exec, exec, s[28:29]
	s_and_saveexec_b64 s[28:29], s[0:1]
	s_cbranch_execz .LBB80_575
; %bb.574:
	v_and_b32_e32 v3, 0xffff, v4
	v_lshlrev_b32_e32 v2, 24, v4
	v_and_b32_e32 v4, 3, v3
	v_ffbh_u32_e32 v6, v4
	v_min_u32_e32 v6, 32, v6
	v_subrev_u32_e32 v7, 29, v6
	v_bfe_u32 v5, v3, 2, 5
	v_lshlrev_b32_e32 v3, v7, v3
	v_sub_u32_e32 v6, 30, v6
	v_and_b32_e32 v3, 3, v3
	v_cmp_eq_u32_e32 vcc, 0, v5
	v_and_b32_e32 v2, 0x80000000, v2
	s_nop 0
	v_cndmask_b32_e32 v5, v5, v6, vcc
	v_cndmask_b32_e32 v3, v4, v3, vcc
	v_mov_b32_e32 v4, 0x37800000
	v_lshlrev_b32_e32 v3, 21, v3
	v_lshl_add_u32 v4, v5, 23, v4
	v_or3_b32 v2, v2, v4, v3
	v_cvt_f64_f32_e32 v[2:3], v2
.LBB80_575:
	s_or_b64 exec, exec, s[28:29]
	s_mov_b64 s[0:1], 0
	s_branch .LBB80_579
.LBB80_576:
	s_mov_b64 s[28:29], -1
                                        ; implicit-def: $vgpr2_vgpr3
	s_branch .LBB80_585
.LBB80_577:
	s_mov_b64 s[0:1], -1
                                        ; implicit-def: $vgpr2_vgpr3
	s_branch .LBB80_582
.LBB80_578:
	s_mov_b64 s[0:1], -1
                                        ; implicit-def: $vgpr2_vgpr3
.LBB80_579:
	s_and_b64 vcc, exec, s[0:1]
	s_cbranch_vccz .LBB80_581
; %bb.580:
	global_load_ubyte v2, v[0:1], off
	s_mov_b32 s0, 0x7f800000
	s_waitcnt vmcnt(0)
	v_lshlrev_b32_e32 v2, 24, v2
	v_and_b32_e32 v3, 0x7f000000, v2
	v_ffbh_u32_e32 v4, v3
	v_min_u32_e32 v4, 32, v4
	v_sub_u32_e64 v4, v4, 4 clamp
	v_lshlrev_b32_e32 v6, v4, v3
	v_lshlrev_b32_e32 v4, 23, v4
	v_lshrrev_b32_e32 v6, 4, v6
	v_add_u32_e32 v5, 0x1000000, v3
	v_sub_u32_e32 v4, v6, v4
	v_ashrrev_i32_e32 v5, 8, v5
	v_add_u32_e32 v4, 0x3c000000, v4
	v_and_or_b32 v4, v5, s0, v4
	v_cmp_ne_u32_e32 vcc, 0, v3
	s_brev_b32 s0, 1
	s_nop 0
	v_cndmask_b32_e32 v3, 0, v4, vcc
	v_and_or_b32 v2, v2, s0, v3
	v_cvt_f64_f32_e32 v[2:3], v2
.LBB80_581:
	s_mov_b64 s[0:1], 0
.LBB80_582:
	s_andn2_b64 vcc, exec, s[0:1]
	s_cbranch_vccnz .LBB80_584
; %bb.583:
	global_load_ubyte v2, v[0:1], off
	s_movk_i32 s0, 0x7f00
	s_brev_b32 s1, 16
	s_waitcnt vmcnt(0)
	v_lshlrev_b16_e32 v3, 8, v2
	v_lshlrev_b32_e32 v2, 25, v2
	v_lshrrev_b32_e32 v4, 4, v2
	v_and_or_b32 v5, v3, s0, 0.5
	v_or_b32_e32 v4, 0x70000000, v4
	v_add_f32_e32 v5, -0.5, v5
	v_mul_f32_e32 v4, 0x7800000, v4
	v_cmp_gt_u32_e32 vcc, s1, v2
	v_bfe_i32 v3, v3, 0, 16
	s_brev_b32 s0, 1
	v_cndmask_b32_e32 v2, v4, v5, vcc
	v_and_or_b32 v2, v3, s0, v2
	v_cvt_f64_f32_e32 v[2:3], v2
.LBB80_584:
	s_mov_b64 s[28:29], 0
	s_mov_b64 s[0:1], -1
.LBB80_585:
	s_andn2_b64 vcc, exec, s[28:29]
	s_cbranch_vccnz .LBB80_596
; %bb.586:
	s_cmp_gt_i32 s34, 14
	s_cbranch_scc0 .LBB80_589
; %bb.587:
	s_cmp_eq_u32 s34, 15
	s_cbranch_scc0 .LBB80_590
; %bb.588:
	global_load_ushort v2, v[0:1], off
	s_mov_b64 s[0:1], -1
	s_mov_b64 s[26:27], 0
	s_waitcnt vmcnt(0)
	v_lshlrev_b32_e32 v2, 16, v2
	v_cvt_f64_f32_e32 v[2:3], v2
	s_branch .LBB80_591
.LBB80_589:
	s_mov_b64 s[28:29], -1
                                        ; implicit-def: $vgpr2_vgpr3
	s_branch .LBB80_592
.LBB80_590:
	s_mov_b64 s[26:27], -1
                                        ; implicit-def: $vgpr2_vgpr3
.LBB80_591:
	s_mov_b64 s[28:29], 0
.LBB80_592:
	s_and_b64 vcc, exec, s[28:29]
	s_cbranch_vccz .LBB80_596
; %bb.593:
	s_cmp_eq_u32 s34, 11
	s_cbranch_scc0 .LBB80_595
; %bb.594:
	global_load_ubyte v3, v[0:1], off
	v_mov_b32_e32 v4, 0x3ff00000
	s_waitcnt vmcnt(1)
	v_mov_b32_e32 v2, 0
	s_mov_b64 s[0:1], -1
	s_mov_b64 s[26:27], 0
	s_waitcnt vmcnt(0)
	v_cmp_ne_u16_e32 vcc, 0, v3
	s_nop 1
	v_cndmask_b32_e32 v3, 0, v4, vcc
	s_branch .LBB80_596
.LBB80_595:
	s_mov_b64 s[26:27], -1
                                        ; implicit-def: $vgpr2_vgpr3
.LBB80_596:
	s_mov_b64 s[28:29], 0
.LBB80_597:
	s_and_b64 vcc, exec, s[28:29]
	s_cbranch_vccz .LBB80_646
; %bb.598:
	s_cmp_lt_i32 s34, 5
	s_cbranch_scc1 .LBB80_603
; %bb.599:
	s_cmp_lt_i32 s34, 8
	s_cbranch_scc1 .LBB80_604
	;; [unrolled: 3-line block ×3, first 2 shown]
; %bb.601:
	s_cmp_gt_i32 s34, 9
	s_cbranch_scc0 .LBB80_606
; %bb.602:
	global_load_dwordx2 v[2:3], v[0:1], off
	s_mov_b64 s[0:1], 0
	s_branch .LBB80_607
.LBB80_603:
	s_mov_b64 s[0:1], -1
                                        ; implicit-def: $vgpr2_vgpr3
	s_branch .LBB80_625
.LBB80_604:
	s_mov_b64 s[0:1], -1
                                        ; implicit-def: $vgpr2_vgpr3
	s_branch .LBB80_613
.LBB80_605:
	s_mov_b64 s[0:1], -1
                                        ; implicit-def: $vgpr2_vgpr3
	s_branch .LBB80_610
.LBB80_606:
	s_mov_b64 s[0:1], -1
                                        ; implicit-def: $vgpr2_vgpr3
.LBB80_607:
	s_andn2_b64 vcc, exec, s[0:1]
	s_cbranch_vccnz .LBB80_609
; %bb.608:
	global_load_dword v2, v[0:1], off
	s_waitcnt vmcnt(0)
	v_cvt_f64_f32_e32 v[2:3], v2
.LBB80_609:
	s_mov_b64 s[0:1], 0
.LBB80_610:
	s_andn2_b64 vcc, exec, s[0:1]
	s_cbranch_vccnz .LBB80_612
; %bb.611:
	global_load_dword v2, v[0:1], off
	s_waitcnt vmcnt(0)
	v_cvt_f32_f16_e32 v2, v2
	v_cvt_f64_f32_e32 v[2:3], v2
.LBB80_612:
	s_mov_b64 s[0:1], 0
.LBB80_613:
	s_andn2_b64 vcc, exec, s[0:1]
	s_cbranch_vccnz .LBB80_624
; %bb.614:
	s_cmp_lt_i32 s34, 6
	s_cbranch_scc1 .LBB80_617
; %bb.615:
	s_cmp_gt_i32 s34, 6
	s_cbranch_scc0 .LBB80_618
; %bb.616:
	global_load_dwordx2 v[2:3], v[0:1], off
	s_mov_b64 s[0:1], 0
	s_branch .LBB80_619
.LBB80_617:
	s_mov_b64 s[0:1], -1
                                        ; implicit-def: $vgpr2_vgpr3
	s_branch .LBB80_622
.LBB80_618:
	s_mov_b64 s[0:1], -1
                                        ; implicit-def: $vgpr2_vgpr3
.LBB80_619:
	s_andn2_b64 vcc, exec, s[0:1]
	s_cbranch_vccnz .LBB80_621
; %bb.620:
	global_load_dword v2, v[0:1], off
	s_waitcnt vmcnt(0)
	v_cvt_f64_f32_e32 v[2:3], v2
.LBB80_621:
	s_mov_b64 s[0:1], 0
.LBB80_622:
	s_andn2_b64 vcc, exec, s[0:1]
	s_cbranch_vccnz .LBB80_624
; %bb.623:
	global_load_ushort v2, v[0:1], off
	s_waitcnt vmcnt(0)
	v_cvt_f32_f16_e32 v2, v2
	v_cvt_f64_f32_e32 v[2:3], v2
.LBB80_624:
	s_mov_b64 s[0:1], 0
.LBB80_625:
	s_andn2_b64 vcc, exec, s[0:1]
	s_cbranch_vccnz .LBB80_645
; %bb.626:
	s_cmp_lt_i32 s34, 2
	s_cbranch_scc1 .LBB80_630
; %bb.627:
	s_cmp_lt_i32 s34, 3
	s_cbranch_scc1 .LBB80_631
; %bb.628:
	s_cmp_gt_i32 s34, 3
	s_cbranch_scc0 .LBB80_632
; %bb.629:
	global_load_dwordx2 v[2:3], v[0:1], off
	s_mov_b64 s[0:1], 0
	s_waitcnt vmcnt(0)
	v_cvt_f64_i32_e32 v[4:5], v3
	v_cvt_f64_u32_e32 v[2:3], v2
	v_ldexp_f64 v[4:5], v[4:5], 32
	v_add_f64 v[2:3], v[4:5], v[2:3]
	s_branch .LBB80_633
.LBB80_630:
	s_mov_b64 s[0:1], -1
                                        ; implicit-def: $vgpr2_vgpr3
	s_branch .LBB80_639
.LBB80_631:
	s_mov_b64 s[0:1], -1
                                        ; implicit-def: $vgpr2_vgpr3
	s_branch .LBB80_636
.LBB80_632:
	s_mov_b64 s[0:1], -1
                                        ; implicit-def: $vgpr2_vgpr3
.LBB80_633:
	s_andn2_b64 vcc, exec, s[0:1]
	s_cbranch_vccnz .LBB80_635
; %bb.634:
	global_load_dword v2, v[0:1], off
	s_waitcnt vmcnt(0)
	v_cvt_f64_i32_e32 v[2:3], v2
.LBB80_635:
	s_mov_b64 s[0:1], 0
.LBB80_636:
	s_andn2_b64 vcc, exec, s[0:1]
	s_cbranch_vccnz .LBB80_638
; %bb.637:
	global_load_sshort v2, v[0:1], off
	s_waitcnt vmcnt(0)
	v_cvt_f64_i32_e32 v[2:3], v2
.LBB80_638:
	s_mov_b64 s[0:1], 0
.LBB80_639:
	s_andn2_b64 vcc, exec, s[0:1]
	s_cbranch_vccnz .LBB80_645
; %bb.640:
	s_cmp_gt_i32 s34, 0
	s_cbranch_scc0 .LBB80_642
; %bb.641:
	global_load_sbyte v2, v[0:1], off
	s_mov_b64 s[0:1], 0
	s_waitcnt vmcnt(0)
	v_cvt_f64_i32_e32 v[2:3], v2
	s_branch .LBB80_643
.LBB80_642:
	s_mov_b64 s[0:1], -1
                                        ; implicit-def: $vgpr2_vgpr3
.LBB80_643:
	s_andn2_b64 vcc, exec, s[0:1]
	s_cbranch_vccnz .LBB80_645
; %bb.644:
	global_load_ubyte v0, v[0:1], off
	s_waitcnt vmcnt(0)
	v_cvt_f64_u32_e32 v[2:3], v0
.LBB80_645:
	s_mov_b64 s[0:1], -1
.LBB80_646:
	s_andn2_b64 vcc, exec, s[0:1]
	s_cbranch_vccnz .LBB80_654
; %bb.647:
	s_mov_b32 s0, 0x652b82fe
	s_mov_b32 s1, 0x3ff71547
	s_waitcnt vmcnt(0)
	v_mul_f64 v[0:1], v[2:3], s[0:1]
	s_mov_b32 s0, 0xfefa39ef
	v_rndne_f64_e32 v[0:1], v[0:1]
	s_mov_b32 s1, 0xbfe62e42
	v_fma_f64 v[4:5], s[0:1], v[0:1], v[2:3]
	s_mov_b32 s0, 0x3b39803f
	s_mov_b32 s1, 0xbc7abc9e
	v_fmac_f64_e32 v[4:5], s[0:1], v[0:1]
	s_mov_b32 s0, 0x6a5dcb37
	v_mov_b32_e32 v6, 0xfca7ab0c
	v_mov_b32_e32 v7, 0x3e928af3
	s_mov_b32 s1, 0x3e5ade15
	v_fmac_f64_e32 v[6:7], s[0:1], v[4:5]
	v_mov_b32_e32 v8, 0x623fde64
	v_mov_b32_e32 v9, 0x3ec71dee
	v_fmac_f64_e32 v[8:9], v[4:5], v[6:7]
	v_mov_b32_e32 v6, 0x7c89e6b0
	v_mov_b32_e32 v7, 0x3efa0199
	;; [unrolled: 3-line block ×8, first 2 shown]
	s_mov_b32 s0, 0
	v_fmac_f64_e32 v[6:7], v[4:5], v[8:9]
	s_mov_b32 s1, 0x40900000
	v_fma_f64 v[6:7], v[4:5], v[6:7], 1.0
	v_cmp_nlt_f64_e32 vcc, s[0:1], v[2:3]
	s_mov_b32 s0, 0
	v_fma_f64 v[4:5], v[4:5], v[6:7], 1.0
	v_cvt_i32_f64_e32 v0, v[0:1]
	s_mov_b32 s1, 0xc090cc00
	v_ldexp_f64 v[0:1], v[4:5], v0
	v_mov_b32_e32 v4, 0x7ff00000
	v_cmp_ngt_f64_e64 s[0:1], s[0:1], v[2:3]
	v_mul_lo_u32 v2, v10, s8
	v_cndmask_b32_e32 v1, v4, v1, vcc
	s_and_b64 vcc, s[0:1], vcc
	v_ashrrev_i32_e32 v3, 31, v2
	s_and_b32 s36, s33, 0xff
	v_cndmask_b32_e64 v1, 0, v1, s[0:1]
	v_cndmask_b32_e32 v0, 0, v0, vcc
	s_cmp_lt_i32 s36, 11
	v_lshl_add_u64 v[4:5], s[4:5], 0, v[2:3]
	s_cbranch_scc1 .LBB80_655
; %bb.648:
	s_and_b32 s37, 0xffff, s36
	s_cmp_gt_i32 s37, 25
	s_cbranch_scc0 .LBB80_656
; %bb.649:
	s_cmp_gt_i32 s37, 28
	s_cbranch_scc0 .LBB80_657
; %bb.650:
	;; [unrolled: 3-line block ×4, first 2 shown]
	s_mov_b64 s[30:31], 0
	s_mov_b64 s[0:1], -1
	s_cmp_eq_u32 s37, 46
	s_mov_b64 s[28:29], 0
	s_cbranch_scc0 .LBB80_660
; %bb.653:
	v_cvt_f32_f64_e32 v2, v[0:1]
	v_bfe_u32 v3, v2, 16, 1
	s_movk_i32 s0, 0x7fff
	v_add3_u32 v3, v2, v3, s0
	v_cmp_o_f32_e32 vcc, v2, v2
	v_mov_b32_e32 v2, 0x7fc0
	s_mov_b64 s[28:29], -1
	v_cndmask_b32_sdwa v2, v2, v3, vcc dst_sel:DWORD dst_unused:UNUSED_PAD src0_sel:DWORD src1_sel:WORD_1
	global_store_dword v[4:5], v2, off
	s_mov_b64 s[0:1], 0
	s_branch .LBB80_660
.LBB80_654:
	s_mov_b64 s[30:31], 0
                                        ; implicit-def: $vgpr10
	s_mov_b64 s[0:1], s[20:21]
	s_branch .LBB80_771
.LBB80_655:
	s_mov_b64 s[30:31], -1
	s_mov_b64 s[28:29], 0
	s_mov_b64 s[0:1], s[20:21]
	s_branch .LBB80_729
.LBB80_656:
	s_mov_b64 s[30:31], -1
	s_mov_b64 s[28:29], 0
	s_mov_b64 s[0:1], s[20:21]
	s_branch .LBB80_687
.LBB80_657:
	s_mov_b64 s[30:31], -1
	s_mov_b64 s[28:29], 0
	s_mov_b64 s[0:1], s[20:21]
	s_branch .LBB80_670
.LBB80_658:
	s_mov_b64 s[30:31], -1
	s_mov_b64 s[28:29], 0
	s_mov_b64 s[0:1], s[20:21]
	s_branch .LBB80_666
.LBB80_659:
	s_mov_b64 s[30:31], -1
	s_mov_b64 s[28:29], 0
	s_mov_b64 s[0:1], s[20:21]
.LBB80_660:
	s_and_b64 vcc, exec, s[30:31]
	s_cbranch_vccz .LBB80_665
; %bb.661:
	s_cmp_eq_u32 s37, 44
	s_mov_b64 s[0:1], -1
	s_cbranch_scc0 .LBB80_665
; %bb.662:
	v_cvt_f32_f64_e32 v2, v[0:1]
	v_bfe_u32 v3, v2, 23, 8
	s_movk_i32 s0, 0xff
	v_cmp_ne_u32_e32 vcc, s0, v3
	v_mov_b32_e32 v6, 0xff
	s_and_saveexec_b64 s[28:29], vcc
; %bb.663:
	s_mov_b32 s0, 0x3fffff
	v_lshrrev_b32_e32 v6, 23, v2
	v_and_b32_e32 v7, 0x400000, v2
	v_and_or_b32 v2, v2, s0, v3
	v_cmp_ne_u32_e32 vcc, 0, v7
	v_cmp_ne_u32_e64 s[0:1], 0, v2
	s_and_b64 s[0:1], vcc, s[0:1]
	s_nop 0
	v_cndmask_b32_e64 v2, 0, 1, s[0:1]
	v_add_u32_e32 v6, v6, v2
; %bb.664:
	s_or_b64 exec, exec, s[28:29]
	s_mov_b64 s[28:29], -1
	s_mov_b64 s[0:1], 0
	global_store_byte v[4:5], v6, off
.LBB80_665:
	s_mov_b64 s[30:31], 0
.LBB80_666:
	s_and_b64 vcc, exec, s[30:31]
	s_cbranch_vccz .LBB80_669
; %bb.667:
	s_cmp_eq_u32 s37, 29
	s_mov_b64 s[0:1], -1
	s_cbranch_scc0 .LBB80_669
; %bb.668:
	v_trunc_f64_e32 v[2:3], v[0:1]
	s_movk_i32 s0, 0xffe0
	v_ldexp_f64 v[6:7], v[2:3], s0
	v_floor_f64_e32 v[6:7], v[6:7]
	v_fmac_f64_e32 v[2:3], 0xc1f00000, v[6:7]
	v_cvt_u32_f64_e32 v9, v[6:7]
	v_cvt_u32_f64_e32 v8, v[2:3]
	global_store_dwordx2 v[4:5], v[8:9], off
	s_mov_b64 s[28:29], -1
	s_mov_b64 s[0:1], 0
.LBB80_669:
	s_mov_b64 s[30:31], 0
.LBB80_670:
	s_and_b64 vcc, exec, s[30:31]
	s_cbranch_vccz .LBB80_686
; %bb.671:
	s_cmp_lt_i32 s37, 27
	s_mov_b64 s[28:29], -1
	s_cbranch_scc1 .LBB80_677
; %bb.672:
	s_cmp_gt_i32 s37, 27
	v_cvt_u32_f64_e32 v2, v[0:1]
	s_cbranch_scc0 .LBB80_674
; %bb.673:
	s_mov_b64 s[28:29], 0
	global_store_dword v[4:5], v2, off
.LBB80_674:
	s_andn2_b64 vcc, exec, s[28:29]
	s_cbranch_vccnz .LBB80_676
; %bb.675:
	global_store_short v[4:5], v2, off
.LBB80_676:
	s_mov_b64 s[28:29], 0
.LBB80_677:
	s_andn2_b64 vcc, exec, s[28:29]
	s_cbranch_vccnz .LBB80_685
; %bb.678:
	v_cvt_f32_f64_e32 v2, v[0:1]
	v_and_b32_e32 v3, 0x7fffffff, v2
	s_mov_b32 s28, 0x43800000
	v_cmp_gt_u32_e32 vcc, s28, v3
	v_mov_b32_e32 v6, 0x80
	s_and_saveexec_b64 s[28:29], vcc
	s_cbranch_execz .LBB80_684
; %bb.679:
	s_mov_b32 s30, 0x3bffffff
	v_cmp_lt_u32_e32 vcc, s30, v3
	s_mov_b64 s[30:31], 0
                                        ; implicit-def: $vgpr3
	s_and_saveexec_b64 s[34:35], vcc
	s_xor_b64 s[34:35], exec, s[34:35]
	s_cbranch_execz .LBB80_785
; %bb.680:
	v_bfe_u32 v3, v2, 20, 1
	s_mov_b32 s39, 0x487ffff
	v_add3_u32 v3, v2, v3, s39
	s_mov_b64 s[30:31], exec
	v_lshrrev_b32_e32 v3, 20, v3
	s_andn2_saveexec_b64 s[34:35], s[34:35]
	s_cbranch_execnz .LBB80_786
.LBB80_681:
	s_or_b64 exec, exec, s[34:35]
	v_mov_b32_e32 v6, 0
	s_and_saveexec_b64 s[34:35], s[30:31]
.LBB80_682:
	v_lshrrev_b32_e32 v2, 24, v2
	s_movk_i32 s30, 0x80
	v_and_or_b32 v6, v2, s30, v3
.LBB80_683:
	s_or_b64 exec, exec, s[34:35]
.LBB80_684:
	s_or_b64 exec, exec, s[28:29]
	global_store_byte v[4:5], v6, off
.LBB80_685:
	s_mov_b64 s[28:29], -1
.LBB80_686:
	s_mov_b64 s[30:31], 0
.LBB80_687:
	s_and_b64 vcc, exec, s[30:31]
	s_cbranch_vccz .LBB80_728
; %bb.688:
	s_cmp_gt_i32 s37, 22
	s_mov_b64 s[30:31], -1
	s_cbranch_scc0 .LBB80_720
; %bb.689:
	s_cmp_lt_i32 s37, 24
	s_mov_b64 s[28:29], -1
	s_cbranch_scc1 .LBB80_709
; %bb.690:
	s_cmp_gt_i32 s37, 24
	s_cbranch_scc0 .LBB80_698
; %bb.691:
	v_cvt_f32_f64_e32 v2, v[0:1]
	v_and_b32_e32 v3, 0x7fffffff, v2
	s_mov_b32 s28, 0x47800000
	v_cmp_gt_u32_e32 vcc, s28, v3
	v_mov_b32_e32 v6, 0x80
	s_and_saveexec_b64 s[28:29], vcc
	s_cbranch_execz .LBB80_697
; %bb.692:
	s_mov_b32 s30, 0x37ffffff
	v_cmp_lt_u32_e32 vcc, s30, v3
	s_mov_b64 s[30:31], 0
                                        ; implicit-def: $vgpr3
	s_and_saveexec_b64 s[34:35], vcc
	s_xor_b64 s[34:35], exec, s[34:35]
	s_cbranch_execz .LBB80_788
; %bb.693:
	v_bfe_u32 v3, v2, 21, 1
	s_mov_b32 s39, 0x88fffff
	v_add3_u32 v3, v2, v3, s39
	s_mov_b64 s[30:31], exec
	v_lshrrev_b32_e32 v3, 21, v3
	s_andn2_saveexec_b64 s[34:35], s[34:35]
	s_cbranch_execnz .LBB80_789
.LBB80_694:
	s_or_b64 exec, exec, s[34:35]
	v_mov_b32_e32 v6, 0
	s_and_saveexec_b64 s[34:35], s[30:31]
.LBB80_695:
	v_lshrrev_b32_e32 v2, 24, v2
	s_movk_i32 s30, 0x80
	v_and_or_b32 v6, v2, s30, v3
.LBB80_696:
	s_or_b64 exec, exec, s[34:35]
.LBB80_697:
	s_or_b64 exec, exec, s[28:29]
	s_mov_b64 s[28:29], 0
	global_store_byte v[4:5], v6, off
.LBB80_698:
	s_and_b64 vcc, exec, s[28:29]
	s_cbranch_vccz .LBB80_708
; %bb.699:
	v_cvt_f32_f64_e32 v2, v[0:1]
	v_and_b32_e32 v6, 0x7fffffff, v2
	s_mov_b32 s28, 0x43f00000
	v_cmp_gt_u32_e32 vcc, s28, v6
                                        ; implicit-def: $vgpr3
	s_and_saveexec_b64 s[28:29], vcc
	s_xor_b64 s[28:29], exec, s[28:29]
	s_cbranch_execz .LBB80_705
; %bb.700:
	s_mov_b32 s30, 0x3c7fffff
	v_cmp_lt_u32_e32 vcc, s30, v6
                                        ; implicit-def: $vgpr3
	s_and_saveexec_b64 s[30:31], vcc
	s_xor_b64 s[30:31], exec, s[30:31]
; %bb.701:
	v_bfe_u32 v3, v2, 20, 1
	s_mov_b32 s34, 0x407ffff
	v_add3_u32 v3, v2, v3, s34
	v_lshrrev_b32_e32 v6, 20, v3
	v_and_b32_e32 v3, 0xff00000, v3
	s_mov_b32 s34, 0x7f00000
	v_mov_b32_e32 v7, 0x7e
	v_cmp_ne_u32_e32 vcc, s34, v3
	s_nop 1
	v_cndmask_b32_e32 v3, v7, v6, vcc
; %bb.702:
	s_andn2_saveexec_b64 s[30:31], s[30:31]
; %bb.703:
	s_mov_b32 s34, 0x46800000
	v_add_f32_e64 v3, |v2|, s34
; %bb.704:
	s_or_b64 exec, exec, s[30:31]
                                        ; implicit-def: $vgpr6
.LBB80_705:
	s_andn2_saveexec_b64 s[28:29], s[28:29]
; %bb.706:
	s_mov_b32 s30, 0x7f800000
	v_mov_b32_e32 v3, 0x7e
	v_mov_b32_e32 v7, 0x7f
	v_cmp_lt_u32_e32 vcc, s30, v6
	s_nop 1
	v_cndmask_b32_e32 v3, v3, v7, vcc
; %bb.707:
	s_or_b64 exec, exec, s[28:29]
	v_lshrrev_b32_e32 v2, 24, v2
	s_movk_i32 s28, 0x80
	v_and_or_b32 v2, v2, s28, v3
	global_store_byte v[4:5], v2, off
.LBB80_708:
	s_mov_b64 s[28:29], 0
.LBB80_709:
	s_andn2_b64 vcc, exec, s[28:29]
	s_cbranch_vccnz .LBB80_719
; %bb.710:
	v_cvt_f32_f64_e32 v2, v[0:1]
	v_and_b32_e32 v6, 0x7fffffff, v2
	s_mov_b32 s28, 0x47800000
	v_cmp_gt_u32_e32 vcc, s28, v6
                                        ; implicit-def: $vgpr3
	s_and_saveexec_b64 s[28:29], vcc
	s_xor_b64 s[28:29], exec, s[28:29]
	s_cbranch_execz .LBB80_716
; %bb.711:
	s_mov_b32 s30, 0x387fffff
	v_cmp_lt_u32_e32 vcc, s30, v6
                                        ; implicit-def: $vgpr3
	s_and_saveexec_b64 s[30:31], vcc
	s_xor_b64 s[30:31], exec, s[30:31]
; %bb.712:
	v_bfe_u32 v3, v2, 21, 1
	s_mov_b32 s34, 0x80fffff
	v_add3_u32 v3, v2, v3, s34
	v_lshrrev_b32_e32 v3, 21, v3
; %bb.713:
	s_andn2_saveexec_b64 s[30:31], s[30:31]
; %bb.714:
	s_mov_b32 s34, 0x43000000
	v_add_f32_e64 v3, |v2|, s34
; %bb.715:
	s_or_b64 exec, exec, s[30:31]
                                        ; implicit-def: $vgpr6
.LBB80_716:
	s_andn2_saveexec_b64 s[28:29], s[28:29]
; %bb.717:
	s_mov_b32 s30, 0x7f800000
	v_mov_b32_e32 v3, 0x7c
	v_mov_b32_e32 v7, 0x7f
	v_cmp_lt_u32_e32 vcc, s30, v6
	s_nop 1
	v_cndmask_b32_e32 v3, v3, v7, vcc
; %bb.718:
	s_or_b64 exec, exec, s[28:29]
	v_lshrrev_b32_e32 v2, 24, v2
	s_movk_i32 s28, 0x80
	v_and_or_b32 v2, v2, s28, v3
	global_store_byte v[4:5], v2, off
.LBB80_719:
	s_mov_b64 s[30:31], 0
	s_mov_b64 s[28:29], -1
.LBB80_720:
	s_andn2_b64 vcc, exec, s[30:31]
	s_cbranch_vccnz .LBB80_728
; %bb.721:
	s_cmp_gt_i32 s37, 14
	s_mov_b64 s[30:31], -1
	s_cbranch_scc0 .LBB80_725
; %bb.722:
	s_cmp_eq_u32 s37, 15
	s_mov_b64 s[0:1], -1
	s_cbranch_scc0 .LBB80_724
; %bb.723:
	v_cvt_f32_f64_e32 v2, v[0:1]
	v_bfe_u32 v3, v2, 16, 1
	s_movk_i32 s0, 0x7fff
	v_add3_u32 v3, v2, v3, s0
	v_cmp_o_f32_e32 vcc, v2, v2
	v_mov_b32_e32 v2, 0x7fc0
	s_mov_b64 s[28:29], -1
	v_cndmask_b32_sdwa v2, v2, v3, vcc dst_sel:DWORD dst_unused:UNUSED_PAD src0_sel:DWORD src1_sel:WORD_1
	global_store_short v[4:5], v2, off
	s_mov_b64 s[0:1], 0
.LBB80_724:
	s_mov_b64 s[30:31], 0
.LBB80_725:
	s_and_b64 vcc, exec, s[30:31]
	s_cbranch_vccz .LBB80_728
; %bb.726:
	s_cmp_eq_u32 s37, 11
	s_mov_b64 s[0:1], -1
	s_cbranch_scc0 .LBB80_728
; %bb.727:
	v_cmp_neq_f64_e32 vcc, 0, v[0:1]
	s_mov_b64 s[0:1], 0
	s_mov_b64 s[28:29], -1
	v_cndmask_b32_e64 v2, 0, 1, vcc
	global_store_byte v[4:5], v2, off
.LBB80_728:
	s_mov_b64 s[30:31], 0
.LBB80_729:
	s_and_b64 vcc, exec, s[30:31]
	s_cbranch_vccz .LBB80_768
; %bb.730:
	s_and_b32 s30, 0xffff, s36
	s_cmp_lt_i32 s30, 5
	s_mov_b64 s[28:29], -1
	s_cbranch_scc1 .LBB80_751
; %bb.731:
	s_cmp_lt_i32 s30, 8
	s_cbranch_scc1 .LBB80_741
; %bb.732:
	s_cmp_lt_i32 s30, 9
	s_cbranch_scc1 .LBB80_738
; %bb.733:
	s_cmp_gt_i32 s30, 9
	s_cbranch_scc0 .LBB80_735
; %bb.734:
	v_mov_b32_e32 v2, 0
	v_mov_b32_e32 v3, v2
	s_mov_b64 s[28:29], 0
	global_store_dwordx4 v[4:5], v[0:3], off
.LBB80_735:
	s_andn2_b64 vcc, exec, s[28:29]
	s_cbranch_vccnz .LBB80_737
; %bb.736:
	v_cvt_f32_f64_e32 v2, v[0:1]
	v_mov_b32_e32 v3, 0
	global_store_dwordx2 v[4:5], v[2:3], off
.LBB80_737:
	s_mov_b64 s[28:29], 0
.LBB80_738:
	s_andn2_b64 vcc, exec, s[28:29]
	s_cbranch_vccnz .LBB80_740
; %bb.739:
	s_movk_i32 s28, 0x1ff
	v_and_or_b32 v2, v1, s28, v0
	v_cmp_ne_u32_e32 vcc, 0, v2
	v_lshrrev_b32_e32 v3, 8, v1
	s_movk_i32 s28, 0xffe
	v_cndmask_b32_e64 v2, 0, 1, vcc
	v_bfe_u32 v6, v1, 20, 11
	v_and_or_b32 v2, v3, s28, v2
	v_sub_u32_e32 v7, 0x3f1, v6
	v_or_b32_e32 v3, 0x1000, v2
	v_med3_i32 v7, v7, 0, 13
	v_lshrrev_b32_e32 v8, v7, v3
	v_lshlrev_b32_e32 v7, v7, v8
	v_cmp_ne_u32_e32 vcc, v7, v3
	v_add_u32_e32 v6, 0xfffffc10, v6
	v_lshl_or_b32 v7, v6, 12, v2
	v_cndmask_b32_e64 v3, 0, 1, vcc
	v_or_b32_e32 v3, v8, v3
	v_cmp_gt_i32_e32 vcc, 1, v6
	s_movk_i32 s28, 0x40f
	s_nop 0
	v_cndmask_b32_e32 v3, v7, v3, vcc
	v_and_b32_e32 v7, 7, v3
	v_cmp_lt_i32_e32 vcc, 5, v7
	v_lshrrev_b32_e32 v3, 2, v3
	s_nop 0
	v_cndmask_b32_e64 v8, 0, 1, vcc
	v_cmp_eq_u32_e32 vcc, 3, v7
	s_nop 1
	v_cndmask_b32_e64 v7, 0, 1, vcc
	v_or_b32_e32 v7, v7, v8
	v_add_u32_e32 v3, v3, v7
	v_mov_b32_e32 v7, 0x7c00
	v_cmp_gt_i32_e32 vcc, 31, v6
	v_mov_b32_e32 v8, 0x7e00
	s_nop 0
	v_cndmask_b32_e32 v3, v7, v3, vcc
	v_cmp_ne_u32_e32 vcc, 0, v2
	s_nop 1
	v_cndmask_b32_e32 v2, v7, v8, vcc
	v_cmp_eq_u32_e32 vcc, s28, v6
	s_mov_b32 s28, 0x8000
	s_nop 0
	v_cndmask_b32_e32 v2, v3, v2, vcc
	v_and_b32_sdwa v3, v1, s28 dst_sel:DWORD dst_unused:UNUSED_PAD src0_sel:WORD_1 src1_sel:DWORD
	s_mov_b32 s28, 0xffff
	v_bitop3_b32 v2, v3, s28, v2 bitop3:0xc8
	global_store_dword v[4:5], v2, off
.LBB80_740:
	s_mov_b64 s[28:29], 0
.LBB80_741:
	s_andn2_b64 vcc, exec, s[28:29]
	s_cbranch_vccnz .LBB80_750
; %bb.742:
	s_cmp_lt_i32 s30, 6
	s_mov_b64 s[28:29], -1
	s_cbranch_scc1 .LBB80_748
; %bb.743:
	s_cmp_gt_i32 s30, 6
	s_cbranch_scc0 .LBB80_745
; %bb.744:
	s_mov_b64 s[28:29], 0
	global_store_dwordx2 v[4:5], v[0:1], off
.LBB80_745:
	s_andn2_b64 vcc, exec, s[28:29]
	s_cbranch_vccnz .LBB80_747
; %bb.746:
	v_cvt_f32_f64_e32 v2, v[0:1]
	global_store_dword v[4:5], v2, off
.LBB80_747:
	s_mov_b64 s[28:29], 0
.LBB80_748:
	s_andn2_b64 vcc, exec, s[28:29]
	s_cbranch_vccnz .LBB80_750
; %bb.749:
	s_movk_i32 s28, 0x1ff
	v_and_or_b32 v2, v1, s28, v0
	v_cmp_ne_u32_e32 vcc, 0, v2
	v_lshrrev_b32_e32 v3, 8, v1
	s_movk_i32 s28, 0xffe
	v_cndmask_b32_e64 v2, 0, 1, vcc
	v_bfe_u32 v6, v1, 20, 11
	v_and_or_b32 v2, v3, s28, v2
	v_sub_u32_e32 v7, 0x3f1, v6
	v_or_b32_e32 v3, 0x1000, v2
	v_med3_i32 v7, v7, 0, 13
	v_lshrrev_b32_e32 v8, v7, v3
	v_lshlrev_b32_e32 v7, v7, v8
	v_cmp_ne_u32_e32 vcc, v7, v3
	v_add_u32_e32 v6, 0xfffffc10, v6
	v_lshl_or_b32 v7, v6, 12, v2
	v_cndmask_b32_e64 v3, 0, 1, vcc
	v_or_b32_e32 v3, v8, v3
	v_cmp_gt_i32_e32 vcc, 1, v6
	s_movk_i32 s28, 0x40f
	s_nop 0
	v_cndmask_b32_e32 v3, v7, v3, vcc
	v_and_b32_e32 v7, 7, v3
	v_cmp_lt_i32_e32 vcc, 5, v7
	v_lshrrev_b32_e32 v3, 2, v3
	s_nop 0
	v_cndmask_b32_e64 v8, 0, 1, vcc
	v_cmp_eq_u32_e32 vcc, 3, v7
	s_nop 1
	v_cndmask_b32_e64 v7, 0, 1, vcc
	v_or_b32_e32 v7, v7, v8
	v_add_u32_e32 v3, v3, v7
	v_mov_b32_e32 v7, 0x7c00
	v_cmp_gt_i32_e32 vcc, 31, v6
	v_mov_b32_e32 v8, 0x7e00
	s_nop 0
	v_cndmask_b32_e32 v3, v7, v3, vcc
	v_cmp_ne_u32_e32 vcc, 0, v2
	s_nop 1
	v_cndmask_b32_e32 v2, v7, v8, vcc
	v_cmp_eq_u32_e32 vcc, s28, v6
	s_mov_b32 s28, 0x8000
	s_nop 0
	v_cndmask_b32_e32 v2, v3, v2, vcc
	v_lshrrev_b32_e32 v3, 16, v1
	v_and_or_b32 v2, v3, s28, v2
	global_store_short v[4:5], v2, off
.LBB80_750:
	s_mov_b64 s[28:29], 0
.LBB80_751:
	s_andn2_b64 vcc, exec, s[28:29]
	s_cbranch_vccnz .LBB80_767
; %bb.752:
	s_cmp_lt_i32 s30, 2
	s_mov_b64 s[28:29], -1
	s_cbranch_scc1 .LBB80_762
; %bb.753:
	s_cmp_lt_i32 s30, 3
	s_cbranch_scc1 .LBB80_759
; %bb.754:
	s_cmp_gt_i32 s30, 3
	s_cbranch_scc0 .LBB80_756
; %bb.755:
	v_trunc_f64_e32 v[2:3], v[0:1]
	s_movk_i32 s28, 0xffe0
	v_ldexp_f64 v[6:7], v[2:3], s28
	v_floor_f64_e32 v[6:7], v[6:7]
	v_fmac_f64_e32 v[2:3], 0xc1f00000, v[6:7]
	v_cvt_i32_f64_e32 v9, v[6:7]
	v_cvt_u32_f64_e32 v8, v[2:3]
	s_mov_b64 s[28:29], 0
	global_store_dwordx2 v[4:5], v[8:9], off
.LBB80_756:
	s_andn2_b64 vcc, exec, s[28:29]
	s_cbranch_vccnz .LBB80_758
; %bb.757:
	v_cvt_i32_f64_e32 v2, v[0:1]
	global_store_dword v[4:5], v2, off
.LBB80_758:
	s_mov_b64 s[28:29], 0
.LBB80_759:
	s_andn2_b64 vcc, exec, s[28:29]
	s_cbranch_vccnz .LBB80_761
; %bb.760:
	v_cvt_i32_f64_e32 v2, v[0:1]
	global_store_short v[4:5], v2, off
.LBB80_761:
	s_mov_b64 s[28:29], 0
.LBB80_762:
	s_andn2_b64 vcc, exec, s[28:29]
	s_cbranch_vccnz .LBB80_767
; %bb.763:
	s_cmp_gt_i32 s30, 0
	s_mov_b64 s[28:29], -1
	s_cbranch_scc0 .LBB80_765
; %bb.764:
	v_cvt_i32_f64_e32 v2, v[0:1]
	s_mov_b64 s[28:29], 0
	global_store_byte v[4:5], v2, off
.LBB80_765:
	s_andn2_b64 vcc, exec, s[28:29]
	s_cbranch_vccnz .LBB80_767
; %bb.766:
	v_trunc_f64_e32 v[0:1], v[0:1]
	s_movk_i32 s28, 0xffe0
	v_ldexp_f64 v[2:3], v[0:1], s28
	v_floor_f64_e32 v[2:3], v[2:3]
	v_fmac_f64_e32 v[0:1], 0xc1f00000, v[2:3]
	v_cvt_u32_f64_e32 v0, v[0:1]
	global_store_byte v[4:5], v0, off
.LBB80_767:
	s_mov_b64 s[28:29], -1
.LBB80_768:
	s_andn2_b64 vcc, exec, s[28:29]
	s_cbranch_vccnz .LBB80_770
; %bb.769:
	v_add_u32_e32 v10, 0x80, v10
	s_mov_b64 s[30:31], -1
	s_branch .LBB80_771
.LBB80_770:
	s_mov_b64 s[30:31], 0
                                        ; implicit-def: $vgpr10
.LBB80_771:
	s_andn2_b64 s[28:29], s[20:21], exec
	s_and_b64 s[0:1], s[0:1], exec
	s_or_b64 s[28:29], s[28:29], s[0:1]
	s_andn2_b64 s[0:1], s[18:19], exec
	s_and_b64 s[26:27], s[26:27], exec
	s_or_b64 s[0:1], s[0:1], s[26:27]
	s_orn2_b64 s[34:35], s[30:31], exec
.LBB80_772:
	s_or_b64 exec, exec, s[24:25]
	s_mov_b64 s[30:31], 0
	s_mov_b64 s[26:27], 0
	;; [unrolled: 1-line block ×3, first 2 shown]
                                        ; implicit-def: $vgpr0_vgpr1
                                        ; implicit-def: $vgpr2_vgpr3
	s_and_saveexec_b64 s[24:25], s[34:35]
	s_cbranch_execz .LBB80_857
; %bb.773:
	v_cmp_gt_i32_e32 vcc, s38, v10
	s_mov_b64 s[34:35], 0
	s_mov_b64 s[38:39], s[0:1]
	;; [unrolled: 1-line block ×3, first 2 shown]
                                        ; implicit-def: $vgpr0_vgpr1
                                        ; implicit-def: $vgpr2_vgpr3
	s_and_saveexec_b64 s[26:27], vcc
	s_cbranch_execz .LBB80_856
; %bb.774:
	v_mul_lo_u32 v0, v10, s9
	v_ashrrev_i32_e32 v1, 31, v0
	s_and_b32 s43, 0xffff, s42
	s_cmp_lt_i32 s43, 11
	v_lshl_add_u64 v[0:1], s[6:7], 0, v[0:1]
	s_cbranch_scc1 .LBB80_781
; %bb.775:
	s_cmp_gt_i32 s43, 25
	s_cbranch_scc0 .LBB80_782
; %bb.776:
	s_cmp_gt_i32 s43, 28
	s_cbranch_scc0 .LBB80_783
	;; [unrolled: 3-line block ×4, first 2 shown]
; %bb.779:
	s_cmp_eq_u32 s43, 46
	s_mov_b64 s[38:39], 0
	s_cbranch_scc0 .LBB80_790
; %bb.780:
	global_load_dword v2, v[0:1], off
	s_mov_b64 s[36:37], -1
	s_waitcnt vmcnt(0)
	v_lshlrev_b32_e32 v2, 16, v2
	v_cvt_f64_f32_e32 v[2:3], v2
	s_branch .LBB80_792
.LBB80_781:
	s_mov_b64 s[38:39], -1
                                        ; implicit-def: $vgpr2_vgpr3
	s_mov_b64 s[30:31], s[0:1]
	s_branch .LBB80_855
.LBB80_782:
	s_mov_b64 s[38:39], -1
	s_mov_b64 s[30:31], s[0:1]
                                        ; implicit-def: $vgpr2_vgpr3
	s_branch .LBB80_823
.LBB80_783:
	s_mov_b64 s[38:39], -1
	s_mov_b64 s[30:31], s[0:1]
                                        ; implicit-def: $vgpr2_vgpr3
	s_branch .LBB80_802
.LBB80_784:
	s_mov_b64 s[38:39], -1
	s_mov_b64 s[30:31], s[0:1]
                                        ; implicit-def: $vgpr2_vgpr3
	s_branch .LBB80_797
.LBB80_785:
	s_andn2_saveexec_b64 s[34:35], s[34:35]
	s_cbranch_execz .LBB80_681
.LBB80_786:
	s_mov_b32 s39, 0x46000000
	v_add_f32_e64 v3, |v2|, s39
	v_and_b32_e32 v3, 0xff, v3
	v_cmp_ne_u32_e32 vcc, 0, v3
	s_andn2_b64 s[30:31], s[30:31], exec
	s_and_b64 s[40:41], vcc, exec
	s_or_b64 s[30:31], s[30:31], s[40:41]
	s_or_b64 exec, exec, s[34:35]
	v_mov_b32_e32 v6, 0
	s_and_saveexec_b64 s[34:35], s[30:31]
	s_cbranch_execnz .LBB80_682
	s_branch .LBB80_683
.LBB80_787:
	s_mov_b64 s[38:39], -1
	s_mov_b64 s[30:31], s[0:1]
	s_branch .LBB80_791
.LBB80_788:
	s_andn2_saveexec_b64 s[34:35], s[34:35]
	s_cbranch_execz .LBB80_694
.LBB80_789:
	s_mov_b32 s39, 0x42800000
	v_add_f32_e64 v3, |v2|, s39
	v_and_b32_e32 v3, 0xff, v3
	v_cmp_ne_u32_e32 vcc, 0, v3
	s_andn2_b64 s[30:31], s[30:31], exec
	s_and_b64 s[40:41], vcc, exec
	s_or_b64 s[30:31], s[30:31], s[40:41]
	s_or_b64 exec, exec, s[34:35]
	v_mov_b32_e32 v6, 0
	s_and_saveexec_b64 s[34:35], s[30:31]
	s_cbranch_execnz .LBB80_695
	s_branch .LBB80_696
.LBB80_790:
	s_mov_b64 s[30:31], -1
.LBB80_791:
                                        ; implicit-def: $vgpr2_vgpr3
.LBB80_792:
	s_and_b64 vcc, exec, s[38:39]
	s_cbranch_vccz .LBB80_796
; %bb.793:
	s_cmp_eq_u32 s43, 44
	s_cbranch_scc0 .LBB80_795
; %bb.794:
	global_load_ubyte v4, v[0:1], off
	s_movk_i32 s36, 0xff
	v_bfrev_b32_e32 v5, 4
	v_mov_b32_e32 v6, 0x7ff80000
	v_bfrev_b32_e32 v7, 28
	s_mov_b64 s[30:31], 0
	s_waitcnt vmcnt(0)
	v_lshlrev_b32_e32 v2, 23, v4
	v_cvt_f64_f32_e32 v[2:3], v2
	v_cmp_ne_u32_e32 vcc, s36, v4
	s_mov_b64 s[36:37], -1
	s_nop 0
	v_cndmask_b32_e32 v2, v5, v2, vcc
	v_cndmask_b32_e32 v3, v6, v3, vcc
	v_cmp_ne_u32_e32 vcc, 0, v4
	s_nop 1
	v_cndmask_b32_e32 v3, v7, v3, vcc
	v_cndmask_b32_e32 v2, 0, v2, vcc
	s_branch .LBB80_796
.LBB80_795:
	s_mov_b64 s[30:31], -1
                                        ; implicit-def: $vgpr2_vgpr3
.LBB80_796:
	s_mov_b64 s[38:39], 0
.LBB80_797:
	s_and_b64 vcc, exec, s[38:39]
	s_cbranch_vccz .LBB80_801
; %bb.798:
	s_cmp_eq_u32 s43, 29
	s_cbranch_scc0 .LBB80_800
; %bb.799:
	global_load_dwordx2 v[2:3], v[0:1], off
	s_mov_b64 s[30:31], 0
	s_mov_b64 s[36:37], -1
	s_mov_b64 s[38:39], 0
	s_waitcnt vmcnt(0)
	v_cvt_f64_u32_e32 v[4:5], v3
	v_cvt_f64_u32_e32 v[2:3], v2
	v_ldexp_f64 v[4:5], v[4:5], 32
	v_add_f64 v[2:3], v[4:5], v[2:3]
	s_branch .LBB80_802
.LBB80_800:
	s_mov_b64 s[30:31], -1
                                        ; implicit-def: $vgpr2_vgpr3
.LBB80_801:
	s_mov_b64 s[38:39], 0
.LBB80_802:
	s_and_b64 vcc, exec, s[38:39]
	s_cbranch_vccz .LBB80_822
; %bb.803:
	s_cmp_lt_i32 s43, 27
	s_cbranch_scc1 .LBB80_806
; %bb.804:
	s_cmp_gt_i32 s43, 27
	s_cbranch_scc0 .LBB80_807
; %bb.805:
	global_load_dword v2, v[0:1], off
	s_mov_b64 s[36:37], 0
	s_waitcnt vmcnt(0)
	v_cvt_f64_u32_e32 v[2:3], v2
	s_branch .LBB80_808
.LBB80_806:
	s_mov_b64 s[36:37], -1
                                        ; implicit-def: $vgpr2_vgpr3
	s_branch .LBB80_811
.LBB80_807:
	s_mov_b64 s[36:37], -1
                                        ; implicit-def: $vgpr2_vgpr3
.LBB80_808:
	s_andn2_b64 vcc, exec, s[36:37]
	s_cbranch_vccnz .LBB80_810
; %bb.809:
	global_load_ushort v2, v[0:1], off
	s_waitcnt vmcnt(0)
	v_cvt_f64_u32_e32 v[2:3], v2
.LBB80_810:
	s_mov_b64 s[36:37], 0
.LBB80_811:
	s_andn2_b64 vcc, exec, s[36:37]
	s_cbranch_vccnz .LBB80_821
; %bb.812:
	global_load_ubyte v4, v[0:1], off
	s_movk_i32 s36, 0x7f
	s_waitcnt vmcnt(0)
	v_cmp_lt_i16_e32 vcc, s36, v4
	s_mov_b64 s[36:37], 0
	s_and_saveexec_b64 s[38:39], vcc
	s_xor_b64 s[38:39], exec, s[38:39]
	s_cbranch_execz .LBB80_816
; %bb.813:
	s_movk_i32 s36, 0x80
	v_cmp_eq_u16_e32 vcc, s36, v4
	s_mov_b64 s[36:37], -1
	s_and_saveexec_b64 s[40:41], vcc
; %bb.814:
	s_xor_b64 s[36:37], exec, -1
; %bb.815:
	s_or_b64 exec, exec, s[40:41]
	s_and_b64 s[36:37], s[36:37], exec
.LBB80_816:
	s_or_saveexec_b64 s[38:39], s[38:39]
	v_bfrev_b32_e32 v2, 4
	v_mov_b32_e32 v3, 0x7ff80000
	s_xor_b64 exec, exec, s[38:39]
; %bb.817:
	v_cmp_ne_u16_e32 vcc, 0, v4
	s_andn2_b64 s[36:37], s[36:37], exec
	s_and_b64 s[40:41], vcc, exec
	v_mov_b64_e32 v[2:3], 0
	s_or_b64 s[36:37], s[36:37], s[40:41]
; %bb.818:
	s_or_b64 exec, exec, s[38:39]
	s_and_saveexec_b64 s[38:39], s[36:37]
	s_cbranch_execz .LBB80_820
; %bb.819:
	v_and_b32_e32 v3, 0xffff, v4
	v_lshlrev_b32_e32 v2, 24, v4
	v_and_b32_e32 v4, 7, v3
	v_ffbh_u32_e32 v6, v4
	v_min_u32_e32 v6, 32, v6
	v_subrev_u32_e32 v7, 28, v6
	v_bfe_u32 v5, v3, 3, 4
	v_lshlrev_b32_e32 v3, v7, v3
	v_sub_u32_e32 v6, 29, v6
	v_and_b32_e32 v3, 7, v3
	v_cmp_eq_u32_e32 vcc, 0, v5
	v_and_b32_e32 v2, 0x80000000, v2
	s_nop 0
	v_cndmask_b32_e32 v5, v5, v6, vcc
	v_cndmask_b32_e32 v3, v4, v3, vcc
	v_mov_b32_e32 v4, 0x3b800000
	v_lshlrev_b32_e32 v3, 20, v3
	v_lshl_add_u32 v4, v5, 23, v4
	v_or3_b32 v2, v2, v4, v3
	v_cvt_f64_f32_e32 v[2:3], v2
.LBB80_820:
	s_or_b64 exec, exec, s[38:39]
.LBB80_821:
	s_mov_b64 s[36:37], -1
.LBB80_822:
	s_mov_b64 s[38:39], 0
.LBB80_823:
	s_and_b64 vcc, exec, s[38:39]
	s_cbranch_vccz .LBB80_854
; %bb.824:
	s_cmp_gt_i32 s43, 22
	s_cbranch_scc0 .LBB80_836
; %bb.825:
	s_cmp_lt_i32 s43, 24
	s_cbranch_scc1 .LBB80_837
; %bb.826:
	s_cmp_gt_i32 s43, 24
	s_cbranch_scc0 .LBB80_838
; %bb.827:
	global_load_ubyte v4, v[0:1], off
	s_movk_i32 s34, 0x7f
	s_waitcnt vmcnt(0)
	v_cmp_lt_i16_e32 vcc, s34, v4
	s_mov_b64 s[34:35], 0
	s_and_saveexec_b64 s[36:37], vcc
	s_xor_b64 s[36:37], exec, s[36:37]
	s_cbranch_execz .LBB80_831
; %bb.828:
	s_movk_i32 s34, 0x80
	v_cmp_eq_u16_e32 vcc, s34, v4
	s_mov_b64 s[34:35], -1
	s_and_saveexec_b64 s[38:39], vcc
; %bb.829:
	s_xor_b64 s[34:35], exec, -1
; %bb.830:
	s_or_b64 exec, exec, s[38:39]
	s_and_b64 s[34:35], s[34:35], exec
.LBB80_831:
	s_or_saveexec_b64 s[36:37], s[36:37]
	v_bfrev_b32_e32 v2, 4
	v_mov_b32_e32 v3, 0x7ff80000
	s_xor_b64 exec, exec, s[36:37]
; %bb.832:
	v_cmp_ne_u16_e32 vcc, 0, v4
	s_andn2_b64 s[34:35], s[34:35], exec
	s_and_b64 s[38:39], vcc, exec
	v_mov_b64_e32 v[2:3], 0
	s_or_b64 s[34:35], s[34:35], s[38:39]
; %bb.833:
	s_or_b64 exec, exec, s[36:37]
	s_and_saveexec_b64 s[36:37], s[34:35]
	s_cbranch_execz .LBB80_835
; %bb.834:
	v_and_b32_e32 v3, 0xffff, v4
	v_lshlrev_b32_e32 v2, 24, v4
	v_and_b32_e32 v4, 3, v3
	v_ffbh_u32_e32 v6, v4
	v_min_u32_e32 v6, 32, v6
	v_subrev_u32_e32 v7, 29, v6
	v_bfe_u32 v5, v3, 2, 5
	v_lshlrev_b32_e32 v3, v7, v3
	v_sub_u32_e32 v6, 30, v6
	v_and_b32_e32 v3, 3, v3
	v_cmp_eq_u32_e32 vcc, 0, v5
	v_and_b32_e32 v2, 0x80000000, v2
	s_nop 0
	v_cndmask_b32_e32 v5, v5, v6, vcc
	v_cndmask_b32_e32 v3, v4, v3, vcc
	v_mov_b32_e32 v4, 0x37800000
	v_lshlrev_b32_e32 v3, 21, v3
	v_lshl_add_u32 v4, v5, 23, v4
	v_or3_b32 v2, v2, v4, v3
	v_cvt_f64_f32_e32 v[2:3], v2
.LBB80_835:
	s_or_b64 exec, exec, s[36:37]
	s_mov_b64 s[34:35], 0
	s_branch .LBB80_839
.LBB80_836:
	s_mov_b64 s[34:35], -1
                                        ; implicit-def: $vgpr2_vgpr3
	s_branch .LBB80_845
.LBB80_837:
	s_mov_b64 s[34:35], -1
                                        ; implicit-def: $vgpr2_vgpr3
	s_branch .LBB80_842
.LBB80_838:
	s_mov_b64 s[34:35], -1
                                        ; implicit-def: $vgpr2_vgpr3
.LBB80_839:
	s_and_b64 vcc, exec, s[34:35]
	s_cbranch_vccz .LBB80_841
; %bb.840:
	global_load_ubyte v2, v[0:1], off
	s_mov_b32 s34, 0x7f800000
	s_waitcnt vmcnt(0)
	v_lshlrev_b32_e32 v2, 24, v2
	v_and_b32_e32 v3, 0x7f000000, v2
	v_ffbh_u32_e32 v4, v3
	v_min_u32_e32 v4, 32, v4
	v_sub_u32_e64 v4, v4, 4 clamp
	v_lshlrev_b32_e32 v6, v4, v3
	v_lshlrev_b32_e32 v4, 23, v4
	v_lshrrev_b32_e32 v6, 4, v6
	v_add_u32_e32 v5, 0x1000000, v3
	v_sub_u32_e32 v4, v6, v4
	v_ashrrev_i32_e32 v5, 8, v5
	v_add_u32_e32 v4, 0x3c000000, v4
	v_and_or_b32 v4, v5, s34, v4
	v_cmp_ne_u32_e32 vcc, 0, v3
	s_brev_b32 s34, 1
	s_nop 0
	v_cndmask_b32_e32 v3, 0, v4, vcc
	v_and_or_b32 v2, v2, s34, v3
	v_cvt_f64_f32_e32 v[2:3], v2
.LBB80_841:
	s_mov_b64 s[34:35], 0
.LBB80_842:
	s_andn2_b64 vcc, exec, s[34:35]
	s_cbranch_vccnz .LBB80_844
; %bb.843:
	global_load_ubyte v2, v[0:1], off
	s_movk_i32 s34, 0x7f00
	s_brev_b32 s35, 16
	s_waitcnt vmcnt(0)
	v_lshlrev_b16_e32 v3, 8, v2
	v_lshlrev_b32_e32 v2, 25, v2
	v_lshrrev_b32_e32 v4, 4, v2
	v_and_or_b32 v5, v3, s34, 0.5
	v_or_b32_e32 v4, 0x70000000, v4
	v_add_f32_e32 v5, -0.5, v5
	v_mul_f32_e32 v4, 0x7800000, v4
	v_cmp_gt_u32_e32 vcc, s35, v2
	v_bfe_i32 v3, v3, 0, 16
	s_brev_b32 s34, 1
	v_cndmask_b32_e32 v2, v4, v5, vcc
	v_and_or_b32 v2, v3, s34, v2
	v_cvt_f64_f32_e32 v[2:3], v2
.LBB80_844:
	s_mov_b64 s[34:35], 0
	s_mov_b64 s[36:37], -1
.LBB80_845:
	s_andn2_b64 vcc, exec, s[34:35]
	s_mov_b64 s[34:35], 0
	s_cbranch_vccnz .LBB80_854
; %bb.846:
	s_cmp_gt_i32 s43, 14
	s_cbranch_scc0 .LBB80_849
; %bb.847:
	s_cmp_eq_u32 s43, 15
	s_cbranch_scc0 .LBB80_850
; %bb.848:
	global_load_ushort v2, v[0:1], off
	s_mov_b64 s[30:31], 0
	s_mov_b64 s[36:37], -1
	s_waitcnt vmcnt(0)
	v_lshlrev_b32_e32 v2, 16, v2
	v_cvt_f64_f32_e32 v[2:3], v2
	s_branch .LBB80_851
.LBB80_849:
	s_mov_b64 s[38:39], -1
                                        ; implicit-def: $vgpr2_vgpr3
	s_branch .LBB80_852
.LBB80_850:
	s_mov_b64 s[30:31], -1
                                        ; implicit-def: $vgpr2_vgpr3
.LBB80_851:
	s_mov_b64 s[38:39], 0
.LBB80_852:
	s_and_b64 vcc, exec, s[38:39]
	s_cbranch_vccz .LBB80_854
; %bb.853:
	s_cmp_lg_u32 s43, 11
	s_cselect_b64 s[38:39], -1, 0
	s_andn2_b64 s[30:31], s[30:31], exec
	s_and_b64 s[38:39], s[38:39], exec
	s_mov_b64 s[34:35], -1
	s_or_b64 s[30:31], s[30:31], s[38:39]
.LBB80_854:
	s_mov_b64 s[38:39], 0
.LBB80_855:
	s_and_b64 s[40:41], s[38:39], exec
	s_andn2_b64 s[38:39], s[0:1], exec
	s_and_b64 s[30:31], s[30:31], exec
	s_and_b64 s[36:37], s[36:37], exec
	;; [unrolled: 1-line block ×3, first 2 shown]
	s_or_b64 s[38:39], s[38:39], s[30:31]
.LBB80_856:
	s_or_b64 exec, exec, s[26:27]
	s_and_b64 s[30:31], s[34:35], exec
	s_andn2_b64 s[0:1], s[0:1], exec
	s_and_b64 s[34:35], s[38:39], exec
	s_and_b64 s[36:37], s[36:37], exec
	;; [unrolled: 1-line block ×3, first 2 shown]
	s_or_b64 s[0:1], s[0:1], s[34:35]
.LBB80_857:
	s_or_b64 exec, exec, s[24:25]
	s_andn2_b64 s[20:21], s[20:21], exec
	s_and_b64 s[24:25], s[28:29], exec
	s_andn2_b64 s[18:19], s[18:19], exec
	s_and_b64 s[0:1], s[0:1], exec
	s_or_b64 s[20:21], s[20:21], s[24:25]
	s_and_b64 s[28:29], s[36:37], exec
	s_and_b64 s[26:27], s[26:27], exec
	s_and_b64 s[24:25], s[30:31], exec
	s_or_b64 s[18:19], s[18:19], s[0:1]
.LBB80_858:
	s_or_b64 exec, exec, s[22:23]
	s_andn2_b64 s[0:1], s[12:13], exec
	s_and_b64 s[12:13], s[20:21], exec
	s_andn2_b64 s[14:15], s[14:15], exec
	s_and_b64 s[18:19], s[18:19], exec
	s_or_b64 s[12:13], s[0:1], s[12:13]
	s_and_b64 s[0:1], s[28:29], exec
	s_and_b64 s[22:23], s[26:27], exec
	;; [unrolled: 1-line block ×3, first 2 shown]
	s_or_b64 s[14:15], s[14:15], s[18:19]
	s_or_b64 exec, exec, s[16:17]
	s_mov_b64 s[16:17], 0
	s_and_saveexec_b64 s[18:19], s[14:15]
	s_cbranch_execz .LBB80_262
.LBB80_859:
	s_mov_b64 s[16:17], exec
	s_andn2_b64 s[20:21], s[20:21], exec
	s_trap 2
	s_or_b64 exec, exec, s[18:19]
	s_and_saveexec_b64 s[14:15], s[20:21]
	s_xor_b64 s[14:15], exec, s[14:15]
	s_cbranch_execnz .LBB80_263
.LBB80_860:
	s_or_b64 exec, exec, s[14:15]
	s_and_saveexec_b64 s[14:15], s[22:23]
	s_cbranch_execz .LBB80_906
.LBB80_861:
	s_sext_i32_i16 s18, s42
	s_cmp_lt_i32 s18, 5
	s_cbranch_scc1 .LBB80_866
; %bb.862:
	s_cmp_lt_i32 s18, 8
	s_cbranch_scc1 .LBB80_867
; %bb.863:
	;; [unrolled: 3-line block ×3, first 2 shown]
	s_cmp_gt_i32 s18, 9
	s_cbranch_scc0 .LBB80_869
; %bb.865:
	global_load_dwordx2 v[2:3], v[0:1], off
	s_mov_b64 s[18:19], 0
	s_branch .LBB80_870
.LBB80_866:
                                        ; implicit-def: $vgpr2_vgpr3
	s_branch .LBB80_887
.LBB80_867:
                                        ; implicit-def: $vgpr2_vgpr3
	s_branch .LBB80_876
.LBB80_868:
	s_mov_b64 s[18:19], -1
                                        ; implicit-def: $vgpr2_vgpr3
	s_branch .LBB80_873
.LBB80_869:
	s_mov_b64 s[18:19], -1
                                        ; implicit-def: $vgpr2_vgpr3
.LBB80_870:
	s_andn2_b64 vcc, exec, s[18:19]
	s_cbranch_vccnz .LBB80_872
; %bb.871:
	global_load_dword v2, v[0:1], off
	s_waitcnt vmcnt(0)
	v_cvt_f64_f32_e32 v[2:3], v2
.LBB80_872:
	s_mov_b64 s[18:19], 0
.LBB80_873:
	s_andn2_b64 vcc, exec, s[18:19]
	s_cbranch_vccnz .LBB80_875
; %bb.874:
	global_load_dword v2, v[0:1], off
	s_waitcnt vmcnt(0)
	v_cvt_f32_f16_e32 v2, v2
	v_cvt_f64_f32_e32 v[2:3], v2
.LBB80_875:
	s_cbranch_execnz .LBB80_886
.LBB80_876:
	s_sext_i32_i16 s18, s42
	s_cmp_lt_i32 s18, 6
	s_cbranch_scc1 .LBB80_879
; %bb.877:
	s_cmp_gt_i32 s18, 6
	s_cbranch_scc0 .LBB80_880
; %bb.878:
	global_load_dwordx2 v[2:3], v[0:1], off
	s_mov_b64 s[18:19], 0
	s_branch .LBB80_881
.LBB80_879:
	s_mov_b64 s[18:19], -1
                                        ; implicit-def: $vgpr2_vgpr3
	s_branch .LBB80_884
.LBB80_880:
	s_mov_b64 s[18:19], -1
                                        ; implicit-def: $vgpr2_vgpr3
.LBB80_881:
	s_andn2_b64 vcc, exec, s[18:19]
	s_cbranch_vccnz .LBB80_883
; %bb.882:
	global_load_dword v2, v[0:1], off
	s_waitcnt vmcnt(0)
	v_cvt_f64_f32_e32 v[2:3], v2
.LBB80_883:
	s_mov_b64 s[18:19], 0
.LBB80_884:
	s_andn2_b64 vcc, exec, s[18:19]
	s_cbranch_vccnz .LBB80_886
; %bb.885:
	global_load_ushort v2, v[0:1], off
	s_waitcnt vmcnt(0)
	v_cvt_f32_f16_e32 v2, v2
	v_cvt_f64_f32_e32 v[2:3], v2
.LBB80_886:
	s_cbranch_execnz .LBB80_905
.LBB80_887:
	s_sext_i32_i16 s18, s42
	s_cmp_lt_i32 s18, 2
	s_cbranch_scc1 .LBB80_891
; %bb.888:
	s_cmp_lt_i32 s18, 3
	s_cbranch_scc1 .LBB80_892
; %bb.889:
	s_cmp_gt_i32 s18, 3
	s_cbranch_scc0 .LBB80_893
; %bb.890:
	global_load_dwordx2 v[2:3], v[0:1], off
	s_mov_b64 s[18:19], 0
	s_waitcnt vmcnt(0)
	v_cvt_f64_i32_e32 v[4:5], v3
	v_cvt_f64_u32_e32 v[2:3], v2
	v_ldexp_f64 v[4:5], v[4:5], 32
	v_add_f64 v[2:3], v[4:5], v[2:3]
	s_branch .LBB80_894
.LBB80_891:
                                        ; implicit-def: $vgpr2_vgpr3
	s_branch .LBB80_900
.LBB80_892:
	s_mov_b64 s[18:19], -1
                                        ; implicit-def: $vgpr2_vgpr3
	s_branch .LBB80_897
.LBB80_893:
	s_mov_b64 s[18:19], -1
                                        ; implicit-def: $vgpr2_vgpr3
.LBB80_894:
	s_andn2_b64 vcc, exec, s[18:19]
	s_cbranch_vccnz .LBB80_896
; %bb.895:
	global_load_dword v2, v[0:1], off
	s_waitcnt vmcnt(0)
	v_cvt_f64_i32_e32 v[2:3], v2
.LBB80_896:
	s_mov_b64 s[18:19], 0
.LBB80_897:
	s_andn2_b64 vcc, exec, s[18:19]
	s_cbranch_vccnz .LBB80_899
; %bb.898:
	global_load_sshort v2, v[0:1], off
	s_waitcnt vmcnt(0)
	v_cvt_f64_i32_e32 v[2:3], v2
.LBB80_899:
	s_cbranch_execnz .LBB80_905
.LBB80_900:
	s_sext_i32_i16 s18, s42
	s_cmp_gt_i32 s18, 0
	s_cbranch_scc0 .LBB80_902
; %bb.901:
	global_load_sbyte v2, v[0:1], off
	s_mov_b64 s[18:19], 0
	s_waitcnt vmcnt(0)
	v_cvt_f64_i32_e32 v[2:3], v2
	s_branch .LBB80_903
.LBB80_902:
	s_mov_b64 s[18:19], -1
                                        ; implicit-def: $vgpr2_vgpr3
.LBB80_903:
	s_andn2_b64 vcc, exec, s[18:19]
	s_cbranch_vccnz .LBB80_905
; %bb.904:
	global_load_ubyte v0, v[0:1], off
	s_waitcnt vmcnt(0)
	v_cvt_f64_u32_e32 v[2:3], v0
.LBB80_905:
	s_or_b64 s[0:1], s[0:1], exec
.LBB80_906:
	s_or_b64 exec, exec, s[14:15]
	s_mov_b64 s[20:21], 0
	s_mov_b64 s[18:19], 0
                                        ; implicit-def: $sgpr26
                                        ; implicit-def: $vgpr4_vgpr5
                                        ; implicit-def: $vgpr0_vgpr1
	s_and_saveexec_b64 s[14:15], s[0:1]
	s_cbranch_execz .LBB80_981
; %bb.907:
	s_mov_b32 s0, 0x652b82fe
	s_mov_b32 s1, 0x3ff71547
	s_waitcnt vmcnt(0)
	v_mul_f64 v[0:1], v[2:3], s[0:1]
	s_mov_b32 s0, 0xfefa39ef
	v_rndne_f64_e32 v[0:1], v[0:1]
	s_mov_b32 s1, 0xbfe62e42
	v_fma_f64 v[4:5], s[0:1], v[0:1], v[2:3]
	s_mov_b32 s0, 0x3b39803f
	s_mov_b32 s1, 0xbc7abc9e
	v_fmac_f64_e32 v[4:5], s[0:1], v[0:1]
	s_mov_b32 s0, 0x6a5dcb37
	v_mov_b32_e32 v6, 0xfca7ab0c
	v_mov_b32_e32 v7, 0x3e928af3
	s_mov_b32 s1, 0x3e5ade15
	v_fmac_f64_e32 v[6:7], s[0:1], v[4:5]
	v_mov_b32_e32 v8, 0x623fde64
	v_mov_b32_e32 v9, 0x3ec71dee
	v_fmac_f64_e32 v[8:9], v[4:5], v[6:7]
	v_mov_b32_e32 v6, 0x7c89e6b0
	v_mov_b32_e32 v7, 0x3efa0199
	v_fmac_f64_e32 v[6:7], v[4:5], v[8:9]
	v_mov_b32_e32 v8, 0x14761f6e
	v_mov_b32_e32 v9, 0x3f2a01a0
	v_fmac_f64_e32 v[8:9], v[4:5], v[6:7]
	v_mov_b32_e32 v6, 0x1852b7b0
	v_mov_b32_e32 v7, 0x3f56c16c
	v_fmac_f64_e32 v[6:7], v[4:5], v[8:9]
	v_mov_b32_e32 v8, 0x11122322
	v_mov_b32_e32 v9, 0x3f811111
	v_fmac_f64_e32 v[8:9], v[4:5], v[6:7]
	v_mov_b32_e32 v6, 0x555502a1
	v_mov_b32_e32 v7, 0x3fa55555
	v_fmac_f64_e32 v[6:7], v[4:5], v[8:9]
	v_mov_b32_e32 v8, 0x55555511
	v_mov_b32_e32 v9, 0x3fc55555
	v_fmac_f64_e32 v[8:9], v[4:5], v[6:7]
	v_mov_b32_e32 v6, 11
	v_mov_b32_e32 v7, 0x3fe00000
	s_mov_b32 s0, 0
	v_fmac_f64_e32 v[6:7], v[4:5], v[8:9]
	s_mov_b32 s1, 0x40900000
	v_fma_f64 v[6:7], v[4:5], v[6:7], 1.0
	v_cmp_nlt_f64_e32 vcc, s[0:1], v[2:3]
	s_mov_b32 s0, 0
	v_fma_f64 v[4:5], v[4:5], v[6:7], 1.0
	v_cvt_i32_f64_e32 v0, v[0:1]
	s_mov_b32 s1, 0xc090cc00
	v_ldexp_f64 v[0:1], v[4:5], v0
	v_mov_b32_e32 v4, 0x7ff00000
	v_cmp_ngt_f64_e64 s[0:1], s[0:1], v[2:3]
	v_mul_lo_u32 v2, v10, s8
	v_cndmask_b32_e32 v1, v4, v1, vcc
	s_and_b64 vcc, s[0:1], vcc
	v_ashrrev_i32_e32 v3, 31, v2
	s_and_b32 s26, s33, 0xff
	v_cndmask_b32_e64 v1, 0, v1, s[0:1]
	v_cndmask_b32_e32 v0, 0, v0, vcc
	s_cmp_lt_i32 s26, 11
	v_lshl_add_u64 v[4:5], s[4:5], 0, v[2:3]
	s_cbranch_scc1 .LBB80_984
; %bb.908:
	s_and_b32 s27, 0xffff, s26
	s_mov_b64 s[20:21], -1
	s_cmp_gt_i32 s27, 25
	s_mov_b64 s[0:1], s[12:13]
	s_cbranch_scc0 .LBB80_941
; %bb.909:
	s_mov_b64 s[18:19], -1
	s_cmp_gt_i32 s27, 28
	s_mov_b64 s[0:1], s[12:13]
	s_cbranch_scc0 .LBB80_925
; %bb.910:
	s_cmp_gt_i32 s27, 43
	s_mov_b64 s[0:1], s[12:13]
	s_cbranch_scc0 .LBB80_921
; %bb.911:
	;; [unrolled: 4-line block ×3, first 2 shown]
	s_cmp_eq_u32 s27, 46
	s_mov_b64 s[0:1], -1
	s_cbranch_scc0 .LBB80_914
; %bb.913:
	v_cvt_f32_f64_e32 v2, v[0:1]
	v_bfe_u32 v3, v2, 16, 1
	s_movk_i32 s0, 0x7fff
	v_add3_u32 v3, v2, v3, s0
	v_cmp_o_f32_e32 vcc, v2, v2
	v_mov_b32_e32 v2, 0x7fc0
	s_mov_b64 s[0:1], 0
	v_cndmask_b32_sdwa v2, v2, v3, vcc dst_sel:DWORD dst_unused:UNUSED_PAD src0_sel:DWORD src1_sel:WORD_1
	global_store_dword v[4:5], v2, off
.LBB80_914:
	s_mov_b64 s[18:19], 0
.LBB80_915:
	s_and_b64 vcc, exec, s[18:19]
	s_cbranch_vccz .LBB80_920
; %bb.916:
	s_cmp_eq_u32 s27, 44
	s_mov_b64 s[0:1], -1
	s_cbranch_scc0 .LBB80_920
; %bb.917:
	v_cvt_f32_f64_e32 v2, v[0:1]
	v_bfe_u32 v3, v2, 23, 8
	s_movk_i32 s0, 0xff
	v_cmp_ne_u32_e32 vcc, s0, v3
	v_mov_b32_e32 v6, 0xff
	s_and_saveexec_b64 s[18:19], vcc
; %bb.918:
	s_mov_b32 s0, 0x3fffff
	v_lshrrev_b32_e32 v6, 23, v2
	v_and_b32_e32 v7, 0x400000, v2
	v_and_or_b32 v2, v2, s0, v3
	v_cmp_ne_u32_e32 vcc, 0, v7
	v_cmp_ne_u32_e64 s[0:1], 0, v2
	s_and_b64 s[0:1], vcc, s[0:1]
	s_nop 0
	v_cndmask_b32_e64 v2, 0, 1, s[0:1]
	v_add_u32_e32 v6, v6, v2
; %bb.919:
	s_or_b64 exec, exec, s[18:19]
	s_mov_b64 s[0:1], 0
	global_store_byte v[4:5], v6, off
.LBB80_920:
	s_mov_b64 s[18:19], 0
.LBB80_921:
	s_and_b64 vcc, exec, s[18:19]
	s_cbranch_vccz .LBB80_924
; %bb.922:
	s_cmp_eq_u32 s27, 29
	s_mov_b64 s[0:1], -1
	s_cbranch_scc0 .LBB80_924
; %bb.923:
	v_trunc_f64_e32 v[2:3], v[0:1]
	s_movk_i32 s0, 0xffe0
	v_ldexp_f64 v[6:7], v[2:3], s0
	v_floor_f64_e32 v[6:7], v[6:7]
	v_fmac_f64_e32 v[2:3], 0xc1f00000, v[6:7]
	v_cvt_u32_f64_e32 v9, v[6:7]
	v_cvt_u32_f64_e32 v8, v[2:3]
	global_store_dwordx2 v[4:5], v[8:9], off
	s_mov_b64 s[0:1], 0
.LBB80_924:
	s_mov_b64 s[18:19], 0
.LBB80_925:
	s_and_b64 vcc, exec, s[18:19]
	s_cbranch_vccz .LBB80_940
; %bb.926:
	s_cmp_lt_i32 s27, 27
	s_mov_b64 s[18:19], -1
	s_cbranch_scc1 .LBB80_932
; %bb.927:
	s_cmp_gt_i32 s27, 27
	v_cvt_u32_f64_e32 v2, v[0:1]
	s_cbranch_scc0 .LBB80_929
; %bb.928:
	s_mov_b64 s[18:19], 0
	global_store_dword v[4:5], v2, off
.LBB80_929:
	s_andn2_b64 vcc, exec, s[18:19]
	s_cbranch_vccnz .LBB80_931
; %bb.930:
	global_store_short v[4:5], v2, off
.LBB80_931:
	s_mov_b64 s[18:19], 0
.LBB80_932:
	s_andn2_b64 vcc, exec, s[18:19]
	s_cbranch_vccnz .LBB80_940
; %bb.933:
	v_cvt_f32_f64_e32 v2, v[0:1]
	v_and_b32_e32 v3, 0x7fffffff, v2
	s_mov_b32 s18, 0x43800000
	v_cmp_gt_u32_e32 vcc, s18, v3
	v_mov_b32_e32 v6, 0x80
	s_and_saveexec_b64 s[18:19], vcc
	s_cbranch_execz .LBB80_939
; %bb.934:
	s_mov_b32 s20, 0x3bffffff
	v_cmp_lt_u32_e32 vcc, s20, v3
	s_mov_b64 s[20:21], 0
                                        ; implicit-def: $vgpr3
	s_and_saveexec_b64 s[22:23], vcc
	s_xor_b64 s[22:23], exec, s[22:23]
	s_cbranch_execz .LBB80_1041
; %bb.935:
	v_bfe_u32 v3, v2, 20, 1
	s_mov_b32 s24, 0x487ffff
	v_add3_u32 v3, v2, v3, s24
	s_mov_b64 s[20:21], exec
	v_lshrrev_b32_e32 v3, 20, v3
	s_andn2_saveexec_b64 s[22:23], s[22:23]
	s_cbranch_execnz .LBB80_1042
.LBB80_936:
	s_or_b64 exec, exec, s[22:23]
	v_mov_b32_e32 v6, 0
	s_and_saveexec_b64 s[22:23], s[20:21]
.LBB80_937:
	v_lshrrev_b32_e32 v2, 24, v2
	s_movk_i32 s20, 0x80
	v_and_or_b32 v6, v2, s20, v3
.LBB80_938:
	s_or_b64 exec, exec, s[22:23]
.LBB80_939:
	s_or_b64 exec, exec, s[18:19]
	global_store_byte v[4:5], v6, off
.LBB80_940:
	s_mov_b64 s[20:21], 0
.LBB80_941:
	s_mov_b64 s[18:19], 0
	s_and_b64 vcc, exec, s[20:21]
	s_cbranch_vccz .LBB80_985
; %bb.942:
	s_cmp_gt_i32 s27, 22
	s_mov_b64 s[20:21], -1
	s_cbranch_scc0 .LBB80_974
; %bb.943:
	s_cmp_lt_i32 s27, 24
	s_cbranch_scc1 .LBB80_963
; %bb.944:
	s_cmp_gt_i32 s27, 24
	s_cbranch_scc0 .LBB80_952
; %bb.945:
	v_cvt_f32_f64_e32 v2, v[0:1]
	v_and_b32_e32 v3, 0x7fffffff, v2
	s_mov_b32 s20, 0x47800000
	v_cmp_gt_u32_e32 vcc, s20, v3
	v_mov_b32_e32 v6, 0x80
	s_and_saveexec_b64 s[20:21], vcc
	s_cbranch_execz .LBB80_951
; %bb.946:
	s_mov_b32 s22, 0x37ffffff
	v_cmp_lt_u32_e32 vcc, s22, v3
	s_mov_b64 s[22:23], 0
                                        ; implicit-def: $vgpr3
	s_and_saveexec_b64 s[24:25], vcc
	s_xor_b64 s[24:25], exec, s[24:25]
	s_cbranch_execz .LBB80_1166
; %bb.947:
	v_bfe_u32 v3, v2, 21, 1
	s_mov_b32 s28, 0x88fffff
	v_add3_u32 v3, v2, v3, s28
	s_mov_b64 s[22:23], exec
	v_lshrrev_b32_e32 v3, 21, v3
	s_andn2_saveexec_b64 s[24:25], s[24:25]
	s_cbranch_execnz .LBB80_1167
.LBB80_948:
	s_or_b64 exec, exec, s[24:25]
	v_mov_b32_e32 v6, 0
	s_and_saveexec_b64 s[24:25], s[22:23]
.LBB80_949:
	v_lshrrev_b32_e32 v2, 24, v2
	s_movk_i32 s22, 0x80
	v_and_or_b32 v6, v2, s22, v3
.LBB80_950:
	s_or_b64 exec, exec, s[24:25]
.LBB80_951:
	s_or_b64 exec, exec, s[20:21]
	s_mov_b64 s[20:21], 0
	global_store_byte v[4:5], v6, off
.LBB80_952:
	s_and_b64 vcc, exec, s[20:21]
	s_cbranch_vccz .LBB80_962
; %bb.953:
	v_cvt_f32_f64_e32 v2, v[0:1]
	v_and_b32_e32 v6, 0x7fffffff, v2
	s_mov_b32 s20, 0x43f00000
	v_cmp_gt_u32_e32 vcc, s20, v6
                                        ; implicit-def: $vgpr3
	s_and_saveexec_b64 s[20:21], vcc
	s_xor_b64 s[20:21], exec, s[20:21]
	s_cbranch_execz .LBB80_959
; %bb.954:
	s_mov_b32 s22, 0x3c7fffff
	v_cmp_lt_u32_e32 vcc, s22, v6
                                        ; implicit-def: $vgpr3
	s_and_saveexec_b64 s[22:23], vcc
	s_xor_b64 s[22:23], exec, s[22:23]
; %bb.955:
	v_bfe_u32 v3, v2, 20, 1
	s_mov_b32 s24, 0x407ffff
	v_add3_u32 v3, v2, v3, s24
	v_lshrrev_b32_e32 v6, 20, v3
	v_and_b32_e32 v3, 0xff00000, v3
	s_mov_b32 s24, 0x7f00000
	v_mov_b32_e32 v7, 0x7e
	v_cmp_ne_u32_e32 vcc, s24, v3
	s_nop 1
	v_cndmask_b32_e32 v3, v7, v6, vcc
; %bb.956:
	s_andn2_saveexec_b64 s[22:23], s[22:23]
; %bb.957:
	s_mov_b32 s24, 0x46800000
	v_add_f32_e64 v3, |v2|, s24
; %bb.958:
	s_or_b64 exec, exec, s[22:23]
                                        ; implicit-def: $vgpr6
.LBB80_959:
	s_andn2_saveexec_b64 s[20:21], s[20:21]
; %bb.960:
	s_mov_b32 s22, 0x7f800000
	v_mov_b32_e32 v3, 0x7e
	v_mov_b32_e32 v7, 0x7f
	v_cmp_lt_u32_e32 vcc, s22, v6
	s_nop 1
	v_cndmask_b32_e32 v3, v3, v7, vcc
; %bb.961:
	s_or_b64 exec, exec, s[20:21]
	v_lshrrev_b32_e32 v2, 24, v2
	s_movk_i32 s20, 0x80
	v_and_or_b32 v2, v2, s20, v3
	global_store_byte v[4:5], v2, off
.LBB80_962:
	s_mov_b64 s[20:21], 0
.LBB80_963:
	s_andn2_b64 vcc, exec, s[20:21]
	s_cbranch_vccnz .LBB80_973
; %bb.964:
	v_cvt_f32_f64_e32 v2, v[0:1]
	v_and_b32_e32 v6, 0x7fffffff, v2
	s_mov_b32 s20, 0x47800000
	v_cmp_gt_u32_e32 vcc, s20, v6
                                        ; implicit-def: $vgpr3
	s_and_saveexec_b64 s[20:21], vcc
	s_xor_b64 s[20:21], exec, s[20:21]
	s_cbranch_execz .LBB80_970
; %bb.965:
	s_mov_b32 s22, 0x387fffff
	v_cmp_lt_u32_e32 vcc, s22, v6
                                        ; implicit-def: $vgpr3
	s_and_saveexec_b64 s[22:23], vcc
	s_xor_b64 s[22:23], exec, s[22:23]
; %bb.966:
	v_bfe_u32 v3, v2, 21, 1
	s_mov_b32 s24, 0x80fffff
	v_add3_u32 v3, v2, v3, s24
	v_lshrrev_b32_e32 v3, 21, v3
; %bb.967:
	s_andn2_saveexec_b64 s[22:23], s[22:23]
; %bb.968:
	s_mov_b32 s24, 0x43000000
	v_add_f32_e64 v3, |v2|, s24
; %bb.969:
	s_or_b64 exec, exec, s[22:23]
                                        ; implicit-def: $vgpr6
.LBB80_970:
	s_andn2_saveexec_b64 s[20:21], s[20:21]
; %bb.971:
	s_mov_b32 s22, 0x7f800000
	v_mov_b32_e32 v3, 0x7c
	v_mov_b32_e32 v7, 0x7f
	v_cmp_lt_u32_e32 vcc, s22, v6
	s_nop 1
	v_cndmask_b32_e32 v3, v3, v7, vcc
; %bb.972:
	s_or_b64 exec, exec, s[20:21]
	v_lshrrev_b32_e32 v2, 24, v2
	s_movk_i32 s20, 0x80
	v_and_or_b32 v2, v2, s20, v3
	global_store_byte v[4:5], v2, off
.LBB80_973:
	s_mov_b64 s[20:21], 0
.LBB80_974:
	s_andn2_b64 vcc, exec, s[20:21]
	s_mov_b64 s[20:21], 0
	s_cbranch_vccnz .LBB80_986
; %bb.975:
	s_cmp_gt_i32 s27, 14
	s_mov_b64 s[22:23], -1
	s_cbranch_scc0 .LBB80_979
; %bb.976:
	s_cmp_eq_u32 s27, 15
	s_mov_b64 s[0:1], -1
	s_cbranch_scc0 .LBB80_978
; %bb.977:
	v_cvt_f32_f64_e32 v2, v[0:1]
	v_bfe_u32 v3, v2, 16, 1
	s_movk_i32 s0, 0x7fff
	v_add3_u32 v3, v2, v3, s0
	v_cmp_o_f32_e32 vcc, v2, v2
	v_mov_b32_e32 v2, 0x7fc0
	s_mov_b64 s[0:1], 0
	v_cndmask_b32_sdwa v2, v2, v3, vcc dst_sel:DWORD dst_unused:UNUSED_PAD src0_sel:DWORD src1_sel:WORD_1
	global_store_short v[4:5], v2, off
.LBB80_978:
	s_mov_b64 s[22:23], 0
.LBB80_979:
	s_and_b64 vcc, exec, s[22:23]
	s_cbranch_vccz .LBB80_986
; %bb.980:
	s_cmp_lg_u32 s27, 11
	s_cselect_b64 s[22:23], -1, 0
	s_andn2_b64 s[0:1], s[0:1], exec
	s_and_b64 s[22:23], s[22:23], exec
	s_mov_b64 s[20:21], -1
	s_or_b64 s[0:1], s[0:1], s[22:23]
	s_branch .LBB80_986
.LBB80_981:
	s_or_b64 exec, exec, s[14:15]
	s_and_saveexec_b64 s[0:1], s[12:13]
	s_cbranch_execnz .LBB80_987
.LBB80_982:
	s_or_b64 exec, exec, s[0:1]
	s_and_saveexec_b64 s[0:1], s[20:21]
	s_xor_b64 s[0:1], exec, s[0:1]
	s_cbranch_execz .LBB80_988
.LBB80_983:
	v_cmp_neq_f64_e32 vcc, 0, v[0:1]
	s_waitcnt vmcnt(0)
	s_nop 0
	v_cndmask_b32_e64 v2, 0, 1, vcc
	global_store_byte v[4:5], v2, off
	s_or_b64 exec, exec, s[0:1]
	s_and_saveexec_b64 s[0:1], s[18:19]
	s_xor_b64 s[0:1], exec, s[0:1]
	s_cbranch_execz .LBB80_1026
	s_branch .LBB80_989
.LBB80_984:
	s_mov_b64 s[18:19], -1
	s_mov_b64 s[0:1], s[12:13]
	s_branch .LBB80_986
.LBB80_985:
	s_mov_b64 s[20:21], 0
.LBB80_986:
	s_andn2_b64 s[12:13], s[12:13], exec
	s_and_b64 s[0:1], s[0:1], exec
	s_and_b64 s[18:19], s[18:19], exec
	;; [unrolled: 1-line block ×3, first 2 shown]
	s_or_b64 s[12:13], s[12:13], s[0:1]
	s_or_b64 exec, exec, s[14:15]
	s_and_saveexec_b64 s[0:1], s[12:13]
	s_cbranch_execz .LBB80_982
.LBB80_987:
	s_or_b64 s[16:17], s[16:17], exec
	s_andn2_b64 s[20:21], s[20:21], exec
	s_trap 2
	s_or_b64 exec, exec, s[0:1]
	s_and_saveexec_b64 s[0:1], s[20:21]
	s_xor_b64 s[0:1], exec, s[0:1]
	s_cbranch_execnz .LBB80_983
.LBB80_988:
	s_or_b64 exec, exec, s[0:1]
	s_and_saveexec_b64 s[0:1], s[18:19]
	s_xor_b64 s[0:1], exec, s[0:1]
	s_cbranch_execz .LBB80_1026
.LBB80_989:
	s_sext_i32_i16 s14, s26
	s_cmp_lt_i32 s14, 5
	s_mov_b64 s[12:13], -1
	s_cbranch_scc1 .LBB80_1010
; %bb.990:
	s_cmp_lt_i32 s14, 8
	s_cbranch_scc1 .LBB80_1000
; %bb.991:
	s_cmp_lt_i32 s14, 9
	s_cbranch_scc1 .LBB80_997
; %bb.992:
	s_cmp_gt_i32 s14, 9
	s_cbranch_scc0 .LBB80_994
; %bb.993:
	s_waitcnt vmcnt(0)
	v_mov_b32_e32 v2, 0
	v_mov_b32_e32 v3, v2
	s_mov_b64 s[12:13], 0
	global_store_dwordx4 v[4:5], v[0:3], off
.LBB80_994:
	s_andn2_b64 vcc, exec, s[12:13]
	s_cbranch_vccnz .LBB80_996
; %bb.995:
	s_waitcnt vmcnt(0)
	v_cvt_f32_f64_e32 v2, v[0:1]
	v_mov_b32_e32 v3, 0
	global_store_dwordx2 v[4:5], v[2:3], off
.LBB80_996:
	s_mov_b64 s[12:13], 0
.LBB80_997:
	s_andn2_b64 vcc, exec, s[12:13]
	s_cbranch_vccnz .LBB80_999
; %bb.998:
	s_movk_i32 s12, 0x1ff
	s_waitcnt vmcnt(0)
	v_and_or_b32 v2, v1, s12, v0
	v_cmp_ne_u32_e32 vcc, 0, v2
	v_lshrrev_b32_e32 v3, 8, v1
	s_movk_i32 s12, 0xffe
	v_cndmask_b32_e64 v2, 0, 1, vcc
	v_bfe_u32 v6, v1, 20, 11
	v_and_or_b32 v2, v3, s12, v2
	v_sub_u32_e32 v7, 0x3f1, v6
	v_or_b32_e32 v3, 0x1000, v2
	v_med3_i32 v7, v7, 0, 13
	v_lshrrev_b32_e32 v8, v7, v3
	v_lshlrev_b32_e32 v7, v7, v8
	v_cmp_ne_u32_e32 vcc, v7, v3
	v_add_u32_e32 v6, 0xfffffc10, v6
	v_lshl_or_b32 v7, v6, 12, v2
	v_cndmask_b32_e64 v3, 0, 1, vcc
	v_or_b32_e32 v3, v8, v3
	v_cmp_gt_i32_e32 vcc, 1, v6
	s_movk_i32 s12, 0x40f
	s_nop 0
	v_cndmask_b32_e32 v3, v7, v3, vcc
	v_and_b32_e32 v7, 7, v3
	v_cmp_lt_i32_e32 vcc, 5, v7
	v_lshrrev_b32_e32 v3, 2, v3
	s_nop 0
	v_cndmask_b32_e64 v8, 0, 1, vcc
	v_cmp_eq_u32_e32 vcc, 3, v7
	s_nop 1
	v_cndmask_b32_e64 v7, 0, 1, vcc
	v_or_b32_e32 v7, v7, v8
	v_add_u32_e32 v3, v3, v7
	v_mov_b32_e32 v7, 0x7c00
	v_cmp_gt_i32_e32 vcc, 31, v6
	v_mov_b32_e32 v8, 0x7e00
	s_nop 0
	v_cndmask_b32_e32 v3, v7, v3, vcc
	v_cmp_ne_u32_e32 vcc, 0, v2
	s_nop 1
	v_cndmask_b32_e32 v2, v7, v8, vcc
	v_cmp_eq_u32_e32 vcc, s12, v6
	s_mov_b32 s12, 0x8000
	s_nop 0
	v_cndmask_b32_e32 v2, v3, v2, vcc
	v_and_b32_sdwa v3, v1, s12 dst_sel:DWORD dst_unused:UNUSED_PAD src0_sel:WORD_1 src1_sel:DWORD
	s_mov_b32 s12, 0xffff
	v_bitop3_b32 v2, v3, s12, v2 bitop3:0xc8
	global_store_dword v[4:5], v2, off
.LBB80_999:
	s_mov_b64 s[12:13], 0
.LBB80_1000:
	s_andn2_b64 vcc, exec, s[12:13]
	s_cbranch_vccnz .LBB80_1009
; %bb.1001:
	s_sext_i32_i16 s14, s26
	s_cmp_lt_i32 s14, 6
	s_mov_b64 s[12:13], -1
	s_cbranch_scc1 .LBB80_1007
; %bb.1002:
	s_cmp_gt_i32 s14, 6
	s_cbranch_scc0 .LBB80_1004
; %bb.1003:
	s_mov_b64 s[12:13], 0
	global_store_dwordx2 v[4:5], v[0:1], off
.LBB80_1004:
	s_andn2_b64 vcc, exec, s[12:13]
	s_cbranch_vccnz .LBB80_1006
; %bb.1005:
	s_waitcnt vmcnt(0)
	v_cvt_f32_f64_e32 v2, v[0:1]
	global_store_dword v[4:5], v2, off
.LBB80_1006:
	s_mov_b64 s[12:13], 0
.LBB80_1007:
	s_andn2_b64 vcc, exec, s[12:13]
	s_cbranch_vccnz .LBB80_1009
; %bb.1008:
	s_movk_i32 s12, 0x1ff
	s_waitcnt vmcnt(0)
	v_and_or_b32 v2, v1, s12, v0
	v_cmp_ne_u32_e32 vcc, 0, v2
	v_lshrrev_b32_e32 v3, 8, v1
	s_movk_i32 s12, 0xffe
	v_cndmask_b32_e64 v2, 0, 1, vcc
	v_bfe_u32 v6, v1, 20, 11
	v_and_or_b32 v2, v3, s12, v2
	v_sub_u32_e32 v7, 0x3f1, v6
	v_or_b32_e32 v3, 0x1000, v2
	v_med3_i32 v7, v7, 0, 13
	v_lshrrev_b32_e32 v8, v7, v3
	v_lshlrev_b32_e32 v7, v7, v8
	v_cmp_ne_u32_e32 vcc, v7, v3
	v_add_u32_e32 v6, 0xfffffc10, v6
	v_lshl_or_b32 v7, v6, 12, v2
	v_cndmask_b32_e64 v3, 0, 1, vcc
	v_or_b32_e32 v3, v8, v3
	v_cmp_gt_i32_e32 vcc, 1, v6
	s_movk_i32 s12, 0x40f
	s_nop 0
	v_cndmask_b32_e32 v3, v7, v3, vcc
	v_and_b32_e32 v7, 7, v3
	v_cmp_lt_i32_e32 vcc, 5, v7
	v_lshrrev_b32_e32 v3, 2, v3
	s_nop 0
	v_cndmask_b32_e64 v8, 0, 1, vcc
	v_cmp_eq_u32_e32 vcc, 3, v7
	s_nop 1
	v_cndmask_b32_e64 v7, 0, 1, vcc
	v_or_b32_e32 v7, v7, v8
	v_add_u32_e32 v3, v3, v7
	v_mov_b32_e32 v7, 0x7c00
	v_cmp_gt_i32_e32 vcc, 31, v6
	v_mov_b32_e32 v8, 0x7e00
	s_nop 0
	v_cndmask_b32_e32 v3, v7, v3, vcc
	v_cmp_ne_u32_e32 vcc, 0, v2
	s_nop 1
	v_cndmask_b32_e32 v2, v7, v8, vcc
	v_cmp_eq_u32_e32 vcc, s12, v6
	s_mov_b32 s12, 0x8000
	s_nop 0
	v_cndmask_b32_e32 v2, v3, v2, vcc
	v_lshrrev_b32_e32 v3, 16, v1
	v_and_or_b32 v2, v3, s12, v2
	global_store_short v[4:5], v2, off
.LBB80_1009:
	s_mov_b64 s[12:13], 0
.LBB80_1010:
	s_andn2_b64 vcc, exec, s[12:13]
	s_cbranch_vccnz .LBB80_1026
; %bb.1011:
	s_sext_i32_i16 s14, s26
	s_cmp_lt_i32 s14, 2
	s_mov_b64 s[12:13], -1
	s_cbranch_scc1 .LBB80_1021
; %bb.1012:
	s_cmp_lt_i32 s14, 3
	s_cbranch_scc1 .LBB80_1018
; %bb.1013:
	s_cmp_gt_i32 s14, 3
	s_cbranch_scc0 .LBB80_1015
; %bb.1014:
	s_waitcnt vmcnt(0)
	v_trunc_f64_e32 v[2:3], v[0:1]
	s_movk_i32 s12, 0xffe0
	v_ldexp_f64 v[6:7], v[2:3], s12
	v_floor_f64_e32 v[6:7], v[6:7]
	v_fmac_f64_e32 v[2:3], 0xc1f00000, v[6:7]
	v_cvt_i32_f64_e32 v9, v[6:7]
	v_cvt_u32_f64_e32 v8, v[2:3]
	s_mov_b64 s[12:13], 0
	global_store_dwordx2 v[4:5], v[8:9], off
.LBB80_1015:
	s_andn2_b64 vcc, exec, s[12:13]
	s_cbranch_vccnz .LBB80_1017
; %bb.1016:
	s_waitcnt vmcnt(0)
	v_cvt_i32_f64_e32 v2, v[0:1]
	global_store_dword v[4:5], v2, off
.LBB80_1017:
	s_mov_b64 s[12:13], 0
.LBB80_1018:
	s_andn2_b64 vcc, exec, s[12:13]
	s_cbranch_vccnz .LBB80_1020
; %bb.1019:
	s_waitcnt vmcnt(0)
	v_cvt_i32_f64_e32 v2, v[0:1]
	global_store_short v[4:5], v2, off
.LBB80_1020:
	s_mov_b64 s[12:13], 0
.LBB80_1021:
	s_andn2_b64 vcc, exec, s[12:13]
	s_cbranch_vccnz .LBB80_1026
; %bb.1022:
	s_sext_i32_i16 s12, s26
	s_cmp_gt_i32 s12, 0
	s_mov_b64 s[12:13], -1
	s_cbranch_scc0 .LBB80_1024
; %bb.1023:
	s_waitcnt vmcnt(0)
	v_cvt_i32_f64_e32 v2, v[0:1]
	s_mov_b64 s[12:13], 0
	global_store_byte v[4:5], v2, off
.LBB80_1024:
	s_andn2_b64 vcc, exec, s[12:13]
	s_cbranch_vccnz .LBB80_1026
; %bb.1025:
	v_trunc_f64_e32 v[0:1], v[0:1]
	s_movk_i32 s12, 0xffe0
	s_waitcnt vmcnt(0)
	v_ldexp_f64 v[2:3], v[0:1], s12
	v_floor_f64_e32 v[2:3], v[2:3]
	v_fmac_f64_e32 v[0:1], 0xc1f00000, v[2:3]
	v_cvt_u32_f64_e32 v0, v[0:1]
	global_store_byte v[4:5], v0, off
.LBB80_1026:
	s_or_b64 exec, exec, s[0:1]
	s_and_b64 s[12:13], s[16:17], exec
                                        ; implicit-def: $vgpr10
.LBB80_1027:
	s_or_saveexec_b64 s[2:3], s[2:3]
	s_mov_b64 s[0:1], 0
                                        ; implicit-def: $sgpr20
                                        ; implicit-def: $vgpr4_vgpr5
                                        ; implicit-def: $vgpr0_vgpr1
	s_xor_b64 exec, exec, s[2:3]
	s_cbranch_execz .LBB80_1975
; %bb.1028:
	s_waitcnt vmcnt(0)
	v_mul_lo_u32 v2, s9, v10
	v_ashrrev_i32_e32 v3, 31, v2
	s_and_b32 s22, 0xffff, s42
	s_cmp_lt_i32 s22, 11
	v_lshl_add_u64 v[4:5], s[6:7], 0, v[2:3]
	s_cbranch_scc1 .LBB80_1035
; %bb.1029:
	s_cmp_gt_i32 s22, 25
	s_cbranch_scc0 .LBB80_1037
; %bb.1030:
	s_cmp_gt_i32 s22, 28
	s_cbranch_scc0 .LBB80_1038
	;; [unrolled: 3-line block ×4, first 2 shown]
; %bb.1033:
	s_cmp_eq_u32 s22, 46
	s_mov_b64 s[14:15], 0
	s_cbranch_scc0 .LBB80_1043
; %bb.1034:
	global_load_dword v0, v[4:5], off
	s_mov_b64 s[16:17], -1
	s_waitcnt vmcnt(0)
	v_lshlrev_b32_e32 v0, 16, v0
	v_cvt_f64_f32_e32 v[0:1], v0
	s_branch .LBB80_1044
.LBB80_1035:
	s_mov_b64 s[16:17], 0
                                        ; implicit-def: $vgpr0_vgpr1
	s_mov_b64 s[14:15], s[12:13]
	s_cbranch_execnz .LBB80_1107
.LBB80_1036:
	s_andn2_b64 vcc, exec, s[16:17]
	s_cbranch_vccz .LBB80_1152
	s_branch .LBB80_1973
.LBB80_1037:
	s_mov_b64 s[16:17], 0
                                        ; implicit-def: $vgpr0_vgpr1
	s_cbranch_execnz .LBB80_1074
	s_branch .LBB80_1103
.LBB80_1038:
	s_mov_b64 s[14:15], -1
	s_mov_b64 s[16:17], 0
                                        ; implicit-def: $vgpr0_vgpr1
	s_branch .LBB80_1053
.LBB80_1039:
	s_mov_b64 s[16:17], 0
                                        ; implicit-def: $vgpr0_vgpr1
	s_cbranch_execnz .LBB80_1049
	s_branch .LBB80_1052
.LBB80_1040:
	s_mov_b64 s[14:15], -1
	s_mov_b64 s[16:17], 0
                                        ; implicit-def: $vgpr0_vgpr1
	s_branch .LBB80_1044
.LBB80_1041:
	s_andn2_saveexec_b64 s[22:23], s[22:23]
	s_cbranch_execz .LBB80_936
.LBB80_1042:
	s_mov_b32 s24, 0x46000000
	v_add_f32_e64 v3, |v2|, s24
	v_and_b32_e32 v3, 0xff, v3
	v_cmp_ne_u32_e32 vcc, 0, v3
	s_andn2_b64 s[20:21], s[20:21], exec
	s_and_b64 s[24:25], vcc, exec
	s_or_b64 s[20:21], s[20:21], s[24:25]
	s_or_b64 exec, exec, s[22:23]
	v_mov_b32_e32 v6, 0
	s_and_saveexec_b64 s[22:23], s[20:21]
	s_cbranch_execnz .LBB80_937
	s_branch .LBB80_938
.LBB80_1043:
	s_mov_b64 s[0:1], -1
                                        ; implicit-def: $vgpr0_vgpr1
	s_mov_b64 s[16:17], 0
.LBB80_1044:
	s_and_b64 vcc, exec, s[14:15]
	s_cbranch_vccz .LBB80_1047
; %bb.1045:
	s_cmp_eq_u32 s22, 44
	s_cbranch_scc0 .LBB80_1048
; %bb.1046:
	global_load_ubyte v3, v[4:5], off
	s_movk_i32 s14, 0xff
	v_bfrev_b32_e32 v6, 4
	v_mov_b32_e32 v7, 0x7ff80000
	v_bfrev_b32_e32 v8, 28
	s_mov_b64 s[0:1], 0
	s_mov_b64 s[16:17], -1
	s_waitcnt vmcnt(0)
	v_lshlrev_b32_e32 v0, 23, v3
	v_cvt_f64_f32_e32 v[0:1], v0
	v_cmp_ne_u32_e32 vcc, s14, v3
	s_nop 1
	v_cndmask_b32_e32 v0, v6, v0, vcc
	v_cndmask_b32_e32 v1, v7, v1, vcc
	v_cmp_ne_u32_e32 vcc, 0, v3
	s_nop 1
	v_cndmask_b32_e32 v1, v8, v1, vcc
	v_cndmask_b32_e32 v0, 0, v0, vcc
.LBB80_1047:
	s_branch .LBB80_1052
.LBB80_1048:
	s_mov_b64 s[0:1], -1
                                        ; implicit-def: $vgpr0_vgpr1
	s_branch .LBB80_1052
.LBB80_1049:
	s_cmp_eq_u32 s22, 29
	s_cbranch_scc0 .LBB80_1051
; %bb.1050:
	global_load_dwordx2 v[0:1], v[4:5], off
	s_mov_b64 s[0:1], 0
	s_mov_b64 s[16:17], -1
	s_mov_b64 s[14:15], 0
	s_waitcnt vmcnt(0)
	v_cvt_f64_u32_e32 v[6:7], v1
	v_cvt_f64_u32_e32 v[0:1], v0
	v_ldexp_f64 v[6:7], v[6:7], 32
	v_add_f64 v[0:1], v[6:7], v[0:1]
	s_branch .LBB80_1053
.LBB80_1051:
	s_mov_b64 s[0:1], -1
                                        ; implicit-def: $vgpr0_vgpr1
.LBB80_1052:
	s_mov_b64 s[14:15], 0
.LBB80_1053:
	s_and_b64 vcc, exec, s[14:15]
	s_cbranch_vccz .LBB80_1073
; %bb.1054:
	s_cmp_lt_i32 s22, 27
	s_cbranch_scc1 .LBB80_1057
; %bb.1055:
	s_cmp_gt_i32 s22, 27
	s_cbranch_scc0 .LBB80_1058
; %bb.1056:
	global_load_dword v0, v[4:5], off
	s_mov_b64 s[14:15], 0
	s_waitcnt vmcnt(0)
	v_cvt_f64_u32_e32 v[0:1], v0
	s_branch .LBB80_1059
.LBB80_1057:
	s_mov_b64 s[14:15], -1
                                        ; implicit-def: $vgpr0_vgpr1
	s_branch .LBB80_1062
.LBB80_1058:
	s_mov_b64 s[14:15], -1
                                        ; implicit-def: $vgpr0_vgpr1
.LBB80_1059:
	s_andn2_b64 vcc, exec, s[14:15]
	s_cbranch_vccnz .LBB80_1061
; %bb.1060:
	global_load_ushort v0, v[4:5], off
	s_waitcnt vmcnt(0)
	v_cvt_f64_u32_e32 v[0:1], v0
.LBB80_1061:
	s_mov_b64 s[14:15], 0
.LBB80_1062:
	s_andn2_b64 vcc, exec, s[14:15]
	s_cbranch_vccnz .LBB80_1072
; %bb.1063:
	global_load_ubyte v3, v[4:5], off
	s_movk_i32 s14, 0x7f
	s_waitcnt vmcnt(0)
	v_cmp_lt_i16_e32 vcc, s14, v3
	s_mov_b64 s[14:15], 0
	s_and_saveexec_b64 s[16:17], vcc
	s_xor_b64 s[16:17], exec, s[16:17]
	s_cbranch_execz .LBB80_1067
; %bb.1064:
	s_movk_i32 s14, 0x80
	v_cmp_eq_u16_e32 vcc, s14, v3
	s_mov_b64 s[14:15], -1
	s_and_saveexec_b64 s[18:19], vcc
; %bb.1065:
	s_xor_b64 s[14:15], exec, -1
; %bb.1066:
	s_or_b64 exec, exec, s[18:19]
	s_and_b64 s[14:15], s[14:15], exec
.LBB80_1067:
	s_or_saveexec_b64 s[16:17], s[16:17]
	v_bfrev_b32_e32 v0, 4
	v_mov_b32_e32 v1, 0x7ff80000
	s_xor_b64 exec, exec, s[16:17]
; %bb.1068:
	v_cmp_ne_u16_e32 vcc, 0, v3
	s_andn2_b64 s[14:15], s[14:15], exec
	s_and_b64 s[18:19], vcc, exec
	v_mov_b64_e32 v[0:1], 0
	s_or_b64 s[14:15], s[14:15], s[18:19]
; %bb.1069:
	s_or_b64 exec, exec, s[16:17]
	s_and_saveexec_b64 s[16:17], s[14:15]
	s_cbranch_execz .LBB80_1071
; %bb.1070:
	v_and_b32_e32 v1, 0xffff, v3
	v_lshlrev_b32_e32 v0, 24, v3
	v_and_b32_e32 v3, 7, v1
	v_ffbh_u32_e32 v7, v3
	v_min_u32_e32 v7, 32, v7
	v_subrev_u32_e32 v8, 28, v7
	v_bfe_u32 v6, v1, 3, 4
	v_lshlrev_b32_e32 v1, v8, v1
	v_sub_u32_e32 v7, 29, v7
	v_and_b32_e32 v1, 7, v1
	v_cmp_eq_u32_e32 vcc, 0, v6
	v_and_b32_e32 v0, 0x80000000, v0
	s_nop 0
	v_cndmask_b32_e32 v6, v6, v7, vcc
	v_cndmask_b32_e32 v1, v3, v1, vcc
	v_mov_b32_e32 v3, 0x3b800000
	v_lshlrev_b32_e32 v1, 20, v1
	v_lshl_add_u32 v3, v6, 23, v3
	v_or3_b32 v0, v0, v3, v1
	v_cvt_f64_f32_e32 v[0:1], v0
.LBB80_1071:
	s_or_b64 exec, exec, s[16:17]
.LBB80_1072:
	s_mov_b64 s[16:17], -1
.LBB80_1073:
	s_branch .LBB80_1103
.LBB80_1074:
	s_cmp_gt_i32 s22, 22
	s_cbranch_scc0 .LBB80_1086
; %bb.1075:
	s_cmp_lt_i32 s22, 24
	s_cbranch_scc1 .LBB80_1087
; %bb.1076:
	s_cmp_gt_i32 s22, 24
	s_cbranch_scc0 .LBB80_1088
; %bb.1077:
	global_load_ubyte v3, v[4:5], off
	s_movk_i32 s10, 0x7f
	s_waitcnt vmcnt(0)
	v_cmp_lt_i16_e32 vcc, s10, v3
	s_mov_b64 s[10:11], 0
	s_and_saveexec_b64 s[14:15], vcc
	s_xor_b64 s[14:15], exec, s[14:15]
	s_cbranch_execz .LBB80_1081
; %bb.1078:
	s_movk_i32 s10, 0x80
	v_cmp_eq_u16_e32 vcc, s10, v3
	s_mov_b64 s[10:11], -1
	s_and_saveexec_b64 s[16:17], vcc
; %bb.1079:
	s_xor_b64 s[10:11], exec, -1
; %bb.1080:
	s_or_b64 exec, exec, s[16:17]
	s_and_b64 s[10:11], s[10:11], exec
.LBB80_1081:
	s_or_saveexec_b64 s[14:15], s[14:15]
	v_bfrev_b32_e32 v0, 4
	v_mov_b32_e32 v1, 0x7ff80000
	s_xor_b64 exec, exec, s[14:15]
; %bb.1082:
	v_cmp_ne_u16_e32 vcc, 0, v3
	s_andn2_b64 s[10:11], s[10:11], exec
	s_and_b64 s[16:17], vcc, exec
	v_mov_b64_e32 v[0:1], 0
	s_or_b64 s[10:11], s[10:11], s[16:17]
; %bb.1083:
	s_or_b64 exec, exec, s[14:15]
	s_and_saveexec_b64 s[14:15], s[10:11]
	s_cbranch_execz .LBB80_1085
; %bb.1084:
	v_and_b32_e32 v1, 0xffff, v3
	v_lshlrev_b32_e32 v0, 24, v3
	v_and_b32_e32 v3, 3, v1
	v_ffbh_u32_e32 v7, v3
	v_min_u32_e32 v7, 32, v7
	v_subrev_u32_e32 v8, 29, v7
	v_bfe_u32 v6, v1, 2, 5
	v_lshlrev_b32_e32 v1, v8, v1
	v_sub_u32_e32 v7, 30, v7
	v_and_b32_e32 v1, 3, v1
	v_cmp_eq_u32_e32 vcc, 0, v6
	v_and_b32_e32 v0, 0x80000000, v0
	s_nop 0
	v_cndmask_b32_e32 v6, v6, v7, vcc
	v_cndmask_b32_e32 v1, v3, v1, vcc
	v_mov_b32_e32 v3, 0x37800000
	v_lshlrev_b32_e32 v1, 21, v1
	v_lshl_add_u32 v3, v6, 23, v3
	v_or3_b32 v0, v0, v3, v1
	v_cvt_f64_f32_e32 v[0:1], v0
.LBB80_1085:
	s_or_b64 exec, exec, s[14:15]
	s_mov_b64 s[10:11], 0
	s_branch .LBB80_1089
.LBB80_1086:
                                        ; implicit-def: $vgpr0_vgpr1
	s_mov_b64 s[10:11], 0
	s_branch .LBB80_1095
.LBB80_1087:
	s_mov_b64 s[10:11], -1
                                        ; implicit-def: $vgpr0_vgpr1
	s_branch .LBB80_1092
.LBB80_1088:
	s_mov_b64 s[10:11], -1
                                        ; implicit-def: $vgpr0_vgpr1
.LBB80_1089:
	s_and_b64 vcc, exec, s[10:11]
	s_cbranch_vccz .LBB80_1091
; %bb.1090:
	global_load_ubyte v0, v[4:5], off
	s_mov_b32 s10, 0x7f800000
	s_waitcnt vmcnt(0)
	v_lshlrev_b32_e32 v0, 24, v0
	v_and_b32_e32 v1, 0x7f000000, v0
	v_ffbh_u32_e32 v3, v1
	v_min_u32_e32 v3, 32, v3
	v_sub_u32_e64 v3, v3, 4 clamp
	v_lshlrev_b32_e32 v7, v3, v1
	v_lshlrev_b32_e32 v3, 23, v3
	v_lshrrev_b32_e32 v7, 4, v7
	v_add_u32_e32 v6, 0x1000000, v1
	v_sub_u32_e32 v3, v7, v3
	v_ashrrev_i32_e32 v6, 8, v6
	v_add_u32_e32 v3, 0x3c000000, v3
	v_and_or_b32 v3, v6, s10, v3
	v_cmp_ne_u32_e32 vcc, 0, v1
	s_brev_b32 s10, 1
	s_nop 0
	v_cndmask_b32_e32 v1, 0, v3, vcc
	v_and_or_b32 v0, v0, s10, v1
	v_cvt_f64_f32_e32 v[0:1], v0
.LBB80_1091:
	s_mov_b64 s[10:11], 0
.LBB80_1092:
	s_andn2_b64 vcc, exec, s[10:11]
	s_cbranch_vccnz .LBB80_1094
; %bb.1093:
	global_load_ubyte v0, v[4:5], off
	s_movk_i32 s10, 0x7f00
	s_brev_b32 s11, 16
	s_waitcnt vmcnt(0)
	v_lshlrev_b16_e32 v1, 8, v0
	v_lshlrev_b32_e32 v0, 25, v0
	v_lshrrev_b32_e32 v3, 4, v0
	v_and_or_b32 v6, v1, s10, 0.5
	v_or_b32_e32 v3, 0x70000000, v3
	v_add_f32_e32 v6, -0.5, v6
	v_mul_f32_e32 v3, 0x7800000, v3
	v_cmp_gt_u32_e32 vcc, s11, v0
	v_bfe_i32 v1, v1, 0, 16
	s_brev_b32 s10, 1
	v_cndmask_b32_e32 v0, v3, v6, vcc
	v_and_or_b32 v0, v1, s10, v0
	v_cvt_f64_f32_e32 v[0:1], v0
.LBB80_1094:
	s_mov_b64 s[16:17], -1
	s_mov_b64 s[10:11], 0
	s_cbranch_execnz .LBB80_1103
.LBB80_1095:
	s_cmp_gt_i32 s22, 14
	s_cbranch_scc0 .LBB80_1098
; %bb.1096:
	s_cmp_eq_u32 s22, 15
	s_cbranch_scc0 .LBB80_1099
; %bb.1097:
	global_load_ushort v0, v[4:5], off
	s_mov_b64 s[0:1], 0
	s_mov_b64 s[16:17], -1
	s_waitcnt vmcnt(0)
	v_lshlrev_b32_e32 v0, 16, v0
	v_cvt_f64_f32_e32 v[0:1], v0
	s_branch .LBB80_1100
.LBB80_1098:
	s_mov_b64 s[14:15], -1
                                        ; implicit-def: $vgpr0_vgpr1
	s_branch .LBB80_1101
.LBB80_1099:
	s_mov_b64 s[0:1], -1
                                        ; implicit-def: $vgpr0_vgpr1
.LBB80_1100:
	s_mov_b64 s[14:15], 0
.LBB80_1101:
	s_and_b64 vcc, exec, s[14:15]
	s_cbranch_vccz .LBB80_1103
; %bb.1102:
	s_cmp_lg_u32 s22, 11
	s_mov_b64 s[10:11], -1
	s_cselect_b64 s[0:1], -1, 0
.LBB80_1103:
	s_and_b64 vcc, exec, s[0:1]
	s_mov_b64 s[14:15], s[12:13]
	s_cbranch_vccnz .LBB80_1164
; %bb.1104:
	s_andn2_b64 vcc, exec, s[10:11]
	s_cbranch_vccnz .LBB80_1106
.LBB80_1105:
	global_load_ubyte v1, v[4:5], off
	v_mov_b32_e32 v3, 0x3ff00000
	v_mov_b32_e32 v0, 0
	s_mov_b64 s[16:17], -1
	s_waitcnt vmcnt(0)
	v_cmp_ne_u16_e32 vcc, 0, v1
	s_nop 1
	v_cndmask_b32_e32 v1, 0, v3, vcc
.LBB80_1106:
	s_branch .LBB80_1036
.LBB80_1107:
	s_cmp_lt_i32 s22, 5
	s_cbranch_scc1 .LBB80_1112
; %bb.1108:
	s_cmp_lt_i32 s22, 8
	s_cbranch_scc1 .LBB80_1113
; %bb.1109:
	;; [unrolled: 3-line block ×3, first 2 shown]
	s_cmp_gt_i32 s22, 9
	s_cbranch_scc0 .LBB80_1115
; %bb.1111:
	global_load_dwordx2 v[0:1], v[4:5], off
	s_mov_b64 s[0:1], 0
	s_branch .LBB80_1116
.LBB80_1112:
                                        ; implicit-def: $vgpr0_vgpr1
	s_branch .LBB80_1133
.LBB80_1113:
                                        ; implicit-def: $vgpr0_vgpr1
	s_branch .LBB80_1122
.LBB80_1114:
	s_mov_b64 s[0:1], -1
                                        ; implicit-def: $vgpr0_vgpr1
	s_branch .LBB80_1119
.LBB80_1115:
	s_mov_b64 s[0:1], -1
                                        ; implicit-def: $vgpr0_vgpr1
.LBB80_1116:
	s_andn2_b64 vcc, exec, s[0:1]
	s_cbranch_vccnz .LBB80_1118
; %bb.1117:
	global_load_dword v0, v[4:5], off
	s_waitcnt vmcnt(0)
	v_cvt_f64_f32_e32 v[0:1], v0
.LBB80_1118:
	s_mov_b64 s[0:1], 0
.LBB80_1119:
	s_andn2_b64 vcc, exec, s[0:1]
	s_cbranch_vccnz .LBB80_1121
; %bb.1120:
	global_load_dword v0, v[4:5], off
	s_waitcnt vmcnt(0)
	v_cvt_f32_f16_e32 v0, v0
	v_cvt_f64_f32_e32 v[0:1], v0
.LBB80_1121:
	s_cbranch_execnz .LBB80_1132
.LBB80_1122:
	s_cmp_lt_i32 s22, 6
	s_cbranch_scc1 .LBB80_1125
; %bb.1123:
	s_cmp_gt_i32 s22, 6
	s_cbranch_scc0 .LBB80_1126
; %bb.1124:
	global_load_dwordx2 v[0:1], v[4:5], off
	s_mov_b64 s[0:1], 0
	s_branch .LBB80_1127
.LBB80_1125:
	s_mov_b64 s[0:1], -1
                                        ; implicit-def: $vgpr0_vgpr1
	s_branch .LBB80_1130
.LBB80_1126:
	s_mov_b64 s[0:1], -1
                                        ; implicit-def: $vgpr0_vgpr1
.LBB80_1127:
	s_andn2_b64 vcc, exec, s[0:1]
	s_cbranch_vccnz .LBB80_1129
; %bb.1128:
	global_load_dword v0, v[4:5], off
	s_waitcnt vmcnt(0)
	v_cvt_f64_f32_e32 v[0:1], v0
.LBB80_1129:
	s_mov_b64 s[0:1], 0
.LBB80_1130:
	s_andn2_b64 vcc, exec, s[0:1]
	s_cbranch_vccnz .LBB80_1132
; %bb.1131:
	global_load_ushort v0, v[4:5], off
	s_waitcnt vmcnt(0)
	v_cvt_f32_f16_e32 v0, v0
	v_cvt_f64_f32_e32 v[0:1], v0
.LBB80_1132:
	s_cbranch_execnz .LBB80_1151
.LBB80_1133:
	s_cmp_lt_i32 s22, 2
	s_cbranch_scc1 .LBB80_1137
; %bb.1134:
	s_cmp_lt_i32 s22, 3
	s_cbranch_scc1 .LBB80_1138
; %bb.1135:
	s_cmp_gt_i32 s22, 3
	s_cbranch_scc0 .LBB80_1139
; %bb.1136:
	global_load_dwordx2 v[0:1], v[4:5], off
	s_mov_b64 s[0:1], 0
	s_waitcnt vmcnt(0)
	v_cvt_f64_i32_e32 v[6:7], v1
	v_cvt_f64_u32_e32 v[0:1], v0
	v_ldexp_f64 v[6:7], v[6:7], 32
	v_add_f64 v[0:1], v[6:7], v[0:1]
	s_branch .LBB80_1140
.LBB80_1137:
                                        ; implicit-def: $vgpr0_vgpr1
	s_branch .LBB80_1146
.LBB80_1138:
	s_mov_b64 s[0:1], -1
                                        ; implicit-def: $vgpr0_vgpr1
	s_branch .LBB80_1143
.LBB80_1139:
	s_mov_b64 s[0:1], -1
                                        ; implicit-def: $vgpr0_vgpr1
.LBB80_1140:
	s_andn2_b64 vcc, exec, s[0:1]
	s_cbranch_vccnz .LBB80_1142
; %bb.1141:
	global_load_dword v0, v[4:5], off
	s_waitcnt vmcnt(0)
	v_cvt_f64_i32_e32 v[0:1], v0
.LBB80_1142:
	s_mov_b64 s[0:1], 0
.LBB80_1143:
	s_andn2_b64 vcc, exec, s[0:1]
	s_cbranch_vccnz .LBB80_1145
; %bb.1144:
	global_load_sshort v0, v[4:5], off
	s_waitcnt vmcnt(0)
	v_cvt_f64_i32_e32 v[0:1], v0
.LBB80_1145:
	s_cbranch_execnz .LBB80_1151
.LBB80_1146:
	s_cmp_gt_i32 s22, 0
	s_cbranch_scc0 .LBB80_1148
; %bb.1147:
	global_load_sbyte v0, v[4:5], off
	s_mov_b64 s[0:1], 0
	s_waitcnt vmcnt(0)
	v_cvt_f64_i32_e32 v[0:1], v0
	s_branch .LBB80_1149
.LBB80_1148:
	s_mov_b64 s[0:1], -1
                                        ; implicit-def: $vgpr0_vgpr1
.LBB80_1149:
	s_andn2_b64 vcc, exec, s[0:1]
	s_cbranch_vccnz .LBB80_1151
; %bb.1150:
	global_load_ubyte v0, v[4:5], off
	s_waitcnt vmcnt(0)
	v_cvt_f64_u32_e32 v[0:1], v0
.LBB80_1151:
.LBB80_1152:
	s_lshl_b32 s9, s9, 7
	v_add_u32_e32 v2, s9, v2
	v_ashrrev_i32_e32 v3, 31, v2
	s_cmp_lt_i32 s22, 11
	v_lshl_add_u64 v[4:5], s[6:7], 0, v[2:3]
	s_cbranch_scc1 .LBB80_1159
; %bb.1153:
	s_cmp_gt_i32 s22, 25
	s_mov_b64 s[10:11], 0
	s_cbranch_scc0 .LBB80_1161
; %bb.1154:
	s_cmp_gt_i32 s22, 28
	s_cbranch_scc0 .LBB80_1162
; %bb.1155:
	s_cmp_gt_i32 s22, 43
	;; [unrolled: 3-line block ×3, first 2 shown]
	s_cbranch_scc0 .LBB80_1165
; %bb.1157:
	s_cmp_eq_u32 s22, 46
	s_mov_b64 s[18:19], 0
	s_cbranch_scc0 .LBB80_1168
; %bb.1158:
	global_load_dword v3, v[4:5], off
	s_mov_b64 s[0:1], 0
	s_mov_b64 s[16:17], -1
	s_waitcnt vmcnt(0)
	v_lshlrev_b32_e32 v3, 16, v3
	v_cvt_f64_f32_e32 v[8:9], v3
	s_branch .LBB80_1169
.LBB80_1159:
	s_mov_b64 s[16:17], 0
                                        ; implicit-def: $vgpr8_vgpr9
	s_cbranch_execnz .LBB80_1234
.LBB80_1160:
	s_andn2_b64 vcc, exec, s[16:17]
	s_cbranch_vccnz .LBB80_1973
	s_branch .LBB80_1281
.LBB80_1161:
	s_mov_b64 s[16:17], 0
	s_mov_b64 s[0:1], 0
                                        ; implicit-def: $vgpr8_vgpr9
	s_cbranch_execnz .LBB80_1200
	s_branch .LBB80_1230
.LBB80_1162:
	s_mov_b64 s[18:19], -1
	s_mov_b64 s[16:17], 0
	s_mov_b64 s[0:1], 0
                                        ; implicit-def: $vgpr8_vgpr9
	s_branch .LBB80_1179
.LBB80_1163:
	s_mov_b64 s[18:19], -1
	s_mov_b64 s[16:17], 0
	s_mov_b64 s[0:1], 0
                                        ; implicit-def: $vgpr8_vgpr9
	s_branch .LBB80_1174
.LBB80_1164:
	s_or_b64 s[14:15], s[12:13], exec
	s_trap 2
	s_cbranch_execz .LBB80_1105
	s_branch .LBB80_1106
.LBB80_1165:
	s_mov_b64 s[18:19], -1
	s_mov_b64 s[16:17], 0
	s_mov_b64 s[0:1], 0
                                        ; implicit-def: $vgpr8_vgpr9
	s_branch .LBB80_1169
.LBB80_1166:
	s_andn2_saveexec_b64 s[24:25], s[24:25]
	s_cbranch_execz .LBB80_948
.LBB80_1167:
	s_mov_b32 s28, 0x42800000
	v_add_f32_e64 v3, |v2|, s28
	v_and_b32_e32 v3, 0xff, v3
	v_cmp_ne_u32_e32 vcc, 0, v3
	s_andn2_b64 s[22:23], s[22:23], exec
	s_and_b64 s[28:29], vcc, exec
	s_or_b64 s[22:23], s[22:23], s[28:29]
	s_or_b64 exec, exec, s[24:25]
	v_mov_b32_e32 v6, 0
	s_and_saveexec_b64 s[24:25], s[22:23]
	s_cbranch_execnz .LBB80_949
	s_branch .LBB80_950
.LBB80_1168:
	s_mov_b64 s[0:1], -1
                                        ; implicit-def: $vgpr8_vgpr9
	s_mov_b64 s[16:17], 0
.LBB80_1169:
	s_and_b64 vcc, exec, s[18:19]
	s_cbranch_vccz .LBB80_1173
; %bb.1170:
	s_cmp_eq_u32 s22, 44
	s_cbranch_scc0 .LBB80_1172
; %bb.1171:
	global_load_ubyte v3, v[4:5], off
	s_movk_i32 s16, 0xff
	v_bfrev_b32_e32 v8, 4
	v_mov_b32_e32 v9, 0x7ff80000
	v_bfrev_b32_e32 v11, 28
	s_mov_b64 s[0:1], 0
	s_waitcnt vmcnt(0)
	v_lshlrev_b32_e32 v6, 23, v3
	v_cvt_f64_f32_e32 v[6:7], v6
	v_cmp_ne_u32_e32 vcc, s16, v3
	s_mov_b64 s[16:17], -1
	s_nop 0
	v_cndmask_b32_e32 v6, v8, v6, vcc
	v_cndmask_b32_e32 v7, v9, v7, vcc
	v_cmp_ne_u32_e32 vcc, 0, v3
	s_nop 1
	v_cndmask_b32_e32 v9, v11, v7, vcc
	v_cndmask_b32_e32 v8, 0, v6, vcc
	s_branch .LBB80_1173
.LBB80_1172:
	s_mov_b64 s[0:1], -1
                                        ; implicit-def: $vgpr8_vgpr9
.LBB80_1173:
	s_mov_b64 s[18:19], 0
.LBB80_1174:
	s_and_b64 vcc, exec, s[18:19]
	s_cbranch_vccz .LBB80_1178
; %bb.1175:
	s_cmp_eq_u32 s22, 29
	s_cbranch_scc0 .LBB80_1177
; %bb.1176:
	global_load_dwordx2 v[6:7], v[4:5], off
	s_mov_b64 s[0:1], 0
	s_mov_b64 s[16:17], -1
	s_mov_b64 s[18:19], 0
	s_waitcnt vmcnt(0)
	v_cvt_f64_u32_e32 v[8:9], v7
	v_cvt_f64_u32_e32 v[6:7], v6
	v_ldexp_f64 v[8:9], v[8:9], 32
	v_add_f64 v[8:9], v[8:9], v[6:7]
	s_branch .LBB80_1179
.LBB80_1177:
	s_mov_b64 s[0:1], -1
                                        ; implicit-def: $vgpr8_vgpr9
.LBB80_1178:
	s_mov_b64 s[18:19], 0
.LBB80_1179:
	s_and_b64 vcc, exec, s[18:19]
	s_cbranch_vccz .LBB80_1199
; %bb.1180:
	s_cmp_lt_i32 s22, 27
	s_cbranch_scc1 .LBB80_1183
; %bb.1181:
	s_cmp_gt_i32 s22, 27
	s_cbranch_scc0 .LBB80_1184
; %bb.1182:
	global_load_dword v3, v[4:5], off
	s_mov_b64 s[16:17], 0
	s_waitcnt vmcnt(0)
	v_cvt_f64_u32_e32 v[8:9], v3
	s_branch .LBB80_1185
.LBB80_1183:
	s_mov_b64 s[16:17], -1
                                        ; implicit-def: $vgpr8_vgpr9
	s_branch .LBB80_1188
.LBB80_1184:
	s_mov_b64 s[16:17], -1
                                        ; implicit-def: $vgpr8_vgpr9
.LBB80_1185:
	s_andn2_b64 vcc, exec, s[16:17]
	s_cbranch_vccnz .LBB80_1187
; %bb.1186:
	global_load_ushort v3, v[4:5], off
	s_waitcnt vmcnt(0)
	v_cvt_f64_u32_e32 v[8:9], v3
.LBB80_1187:
	s_mov_b64 s[16:17], 0
.LBB80_1188:
	s_andn2_b64 vcc, exec, s[16:17]
	s_cbranch_vccnz .LBB80_1198
; %bb.1189:
	global_load_ubyte v3, v[4:5], off
	s_movk_i32 s16, 0x7f
	s_waitcnt vmcnt(0)
	v_cmp_lt_i16_e32 vcc, s16, v3
	s_mov_b64 s[16:17], 0
	s_and_saveexec_b64 s[18:19], vcc
	s_xor_b64 s[18:19], exec, s[18:19]
	s_cbranch_execz .LBB80_1193
; %bb.1190:
	s_movk_i32 s16, 0x80
	v_cmp_eq_u16_e32 vcc, s16, v3
	s_mov_b64 s[16:17], -1
	s_and_saveexec_b64 s[20:21], vcc
; %bb.1191:
	s_xor_b64 s[16:17], exec, -1
; %bb.1192:
	s_or_b64 exec, exec, s[20:21]
	s_and_b64 s[16:17], s[16:17], exec
.LBB80_1193:
	s_or_saveexec_b64 s[18:19], s[18:19]
	v_bfrev_b32_e32 v8, 4
	v_mov_b32_e32 v9, 0x7ff80000
	s_xor_b64 exec, exec, s[18:19]
; %bb.1194:
	v_cmp_ne_u16_e32 vcc, 0, v3
	s_andn2_b64 s[16:17], s[16:17], exec
	s_and_b64 s[20:21], vcc, exec
	v_mov_b64_e32 v[8:9], 0
	s_or_b64 s[16:17], s[16:17], s[20:21]
; %bb.1195:
	s_or_b64 exec, exec, s[18:19]
	s_and_saveexec_b64 s[18:19], s[16:17]
	s_cbranch_execz .LBB80_1197
; %bb.1196:
	v_lshlrev_b32_e32 v6, 24, v3
	v_and_b32_e32 v3, 0xffff, v3
	v_and_b32_e32 v7, 7, v3
	v_ffbh_u32_e32 v9, v7
	v_min_u32_e32 v9, 32, v9
	v_subrev_u32_e32 v11, 28, v9
	v_bfe_u32 v8, v3, 3, 4
	v_lshlrev_b32_e32 v3, v11, v3
	v_sub_u32_e32 v9, 29, v9
	v_and_b32_e32 v3, 7, v3
	v_cmp_eq_u32_e32 vcc, 0, v8
	v_and_b32_e32 v6, 0x80000000, v6
	s_nop 0
	v_cndmask_b32_e32 v8, v8, v9, vcc
	v_cndmask_b32_e32 v3, v7, v3, vcc
	v_mov_b32_e32 v7, 0x3b800000
	v_lshlrev_b32_e32 v3, 20, v3
	v_lshl_add_u32 v7, v8, 23, v7
	v_or3_b32 v3, v6, v7, v3
	v_cvt_f64_f32_e32 v[8:9], v3
.LBB80_1197:
	s_or_b64 exec, exec, s[18:19]
.LBB80_1198:
	s_mov_b64 s[16:17], -1
.LBB80_1199:
	s_branch .LBB80_1230
.LBB80_1200:
	s_cmp_gt_i32 s22, 22
	s_cbranch_scc0 .LBB80_1212
; %bb.1201:
	s_cmp_lt_i32 s22, 24
	s_cbranch_scc1 .LBB80_1213
; %bb.1202:
	s_cmp_gt_i32 s22, 24
	s_cbranch_scc0 .LBB80_1214
; %bb.1203:
	global_load_ubyte v3, v[4:5], off
	s_movk_i32 s10, 0x7f
	s_waitcnt vmcnt(0)
	v_cmp_lt_i16_e32 vcc, s10, v3
	s_mov_b64 s[10:11], 0
	s_and_saveexec_b64 s[16:17], vcc
	s_xor_b64 s[16:17], exec, s[16:17]
	s_cbranch_execz .LBB80_1207
; %bb.1204:
	s_movk_i32 s10, 0x80
	v_cmp_eq_u16_e32 vcc, s10, v3
	s_mov_b64 s[10:11], -1
	s_and_saveexec_b64 s[18:19], vcc
; %bb.1205:
	s_xor_b64 s[10:11], exec, -1
; %bb.1206:
	s_or_b64 exec, exec, s[18:19]
	s_and_b64 s[10:11], s[10:11], exec
.LBB80_1207:
	s_or_saveexec_b64 s[16:17], s[16:17]
	v_bfrev_b32_e32 v8, 4
	v_mov_b32_e32 v9, 0x7ff80000
	s_xor_b64 exec, exec, s[16:17]
; %bb.1208:
	v_cmp_ne_u16_e32 vcc, 0, v3
	s_andn2_b64 s[10:11], s[10:11], exec
	s_and_b64 s[18:19], vcc, exec
	v_mov_b64_e32 v[8:9], 0
	s_or_b64 s[10:11], s[10:11], s[18:19]
; %bb.1209:
	s_or_b64 exec, exec, s[16:17]
	s_and_saveexec_b64 s[16:17], s[10:11]
	s_cbranch_execz .LBB80_1211
; %bb.1210:
	v_lshlrev_b32_e32 v6, 24, v3
	v_and_b32_e32 v3, 0xffff, v3
	v_and_b32_e32 v7, 3, v3
	v_ffbh_u32_e32 v9, v7
	v_min_u32_e32 v9, 32, v9
	v_subrev_u32_e32 v11, 29, v9
	v_bfe_u32 v8, v3, 2, 5
	v_lshlrev_b32_e32 v3, v11, v3
	v_sub_u32_e32 v9, 30, v9
	v_and_b32_e32 v3, 3, v3
	v_cmp_eq_u32_e32 vcc, 0, v8
	v_and_b32_e32 v6, 0x80000000, v6
	s_nop 0
	v_cndmask_b32_e32 v8, v8, v9, vcc
	v_cndmask_b32_e32 v3, v7, v3, vcc
	v_mov_b32_e32 v7, 0x37800000
	v_lshlrev_b32_e32 v3, 21, v3
	v_lshl_add_u32 v7, v8, 23, v7
	v_or3_b32 v3, v6, v7, v3
	v_cvt_f64_f32_e32 v[8:9], v3
.LBB80_1211:
	s_or_b64 exec, exec, s[16:17]
	s_mov_b64 s[10:11], 0
	s_branch .LBB80_1215
.LBB80_1212:
	s_mov_b64 s[10:11], -1
                                        ; implicit-def: $vgpr8_vgpr9
	s_branch .LBB80_1221
.LBB80_1213:
	s_mov_b64 s[10:11], -1
                                        ; implicit-def: $vgpr8_vgpr9
	s_branch .LBB80_1218
.LBB80_1214:
	s_mov_b64 s[10:11], -1
                                        ; implicit-def: $vgpr8_vgpr9
.LBB80_1215:
	s_and_b64 vcc, exec, s[10:11]
	s_cbranch_vccz .LBB80_1217
; %bb.1216:
	global_load_ubyte v3, v[4:5], off
	s_mov_b32 s10, 0x7f800000
	s_waitcnt vmcnt(0)
	v_lshlrev_b32_e32 v3, 24, v3
	v_and_b32_e32 v6, 0x7f000000, v3
	v_ffbh_u32_e32 v7, v6
	v_min_u32_e32 v7, 32, v7
	v_sub_u32_e64 v7, v7, 4 clamp
	v_lshlrev_b32_e32 v9, v7, v6
	v_lshlrev_b32_e32 v7, 23, v7
	v_lshrrev_b32_e32 v9, 4, v9
	v_add_u32_e32 v8, 0x1000000, v6
	v_sub_u32_e32 v7, v9, v7
	v_ashrrev_i32_e32 v8, 8, v8
	v_add_u32_e32 v7, 0x3c000000, v7
	v_and_or_b32 v7, v8, s10, v7
	v_cmp_ne_u32_e32 vcc, 0, v6
	s_brev_b32 s10, 1
	s_nop 0
	v_cndmask_b32_e32 v6, 0, v7, vcc
	v_and_or_b32 v3, v3, s10, v6
	v_cvt_f64_f32_e32 v[8:9], v3
.LBB80_1217:
	s_mov_b64 s[10:11], 0
.LBB80_1218:
	s_andn2_b64 vcc, exec, s[10:11]
	s_cbranch_vccnz .LBB80_1220
; %bb.1219:
	global_load_ubyte v3, v[4:5], off
	s_movk_i32 s10, 0x7f00
	s_brev_b32 s11, 16
	s_waitcnt vmcnt(0)
	v_lshlrev_b16_e32 v6, 8, v3
	v_lshlrev_b32_e32 v3, 25, v3
	v_lshrrev_b32_e32 v7, 4, v3
	v_and_or_b32 v8, v6, s10, 0.5
	v_or_b32_e32 v7, 0x70000000, v7
	v_add_f32_e32 v8, -0.5, v8
	v_mul_f32_e32 v7, 0x7800000, v7
	v_cmp_gt_u32_e32 vcc, s11, v3
	v_bfe_i32 v6, v6, 0, 16
	s_brev_b32 s10, 1
	v_cndmask_b32_e32 v3, v7, v8, vcc
	v_and_or_b32 v3, v6, s10, v3
	v_cvt_f64_f32_e32 v[8:9], v3
.LBB80_1220:
	s_mov_b64 s[10:11], 0
	s_mov_b64 s[16:17], -1
.LBB80_1221:
	s_andn2_b64 vcc, exec, s[10:11]
	s_mov_b64 s[10:11], 0
	s_cbranch_vccnz .LBB80_1230
; %bb.1222:
	s_cmp_gt_i32 s22, 14
	s_cbranch_scc0 .LBB80_1225
; %bb.1223:
	s_cmp_eq_u32 s22, 15
	s_cbranch_scc0 .LBB80_1226
; %bb.1224:
	global_load_ushort v3, v[4:5], off
	s_mov_b64 s[0:1], 0
	s_mov_b64 s[16:17], -1
	s_waitcnt vmcnt(0)
	v_lshlrev_b32_e32 v3, 16, v3
	v_cvt_f64_f32_e32 v[8:9], v3
	s_branch .LBB80_1227
.LBB80_1225:
	s_mov_b64 s[18:19], -1
                                        ; implicit-def: $vgpr8_vgpr9
	s_branch .LBB80_1228
.LBB80_1226:
	s_mov_b64 s[0:1], -1
                                        ; implicit-def: $vgpr8_vgpr9
.LBB80_1227:
	s_mov_b64 s[18:19], 0
.LBB80_1228:
	s_and_b64 vcc, exec, s[18:19]
	s_cbranch_vccz .LBB80_1230
; %bb.1229:
	s_cmp_lg_u32 s22, 11
	s_mov_b64 s[10:11], -1
	s_cselect_b64 s[0:1], -1, 0
.LBB80_1230:
	s_and_b64 vcc, exec, s[0:1]
	s_cbranch_vccnz .LBB80_1293
; %bb.1231:
	s_andn2_b64 vcc, exec, s[10:11]
	s_cbranch_vccnz .LBB80_1233
.LBB80_1232:
	global_load_ubyte v3, v[4:5], off
	v_mov_b32_e32 v6, 0x3ff00000
	v_mov_b32_e32 v8, 0
	s_mov_b64 s[16:17], -1
	s_waitcnt vmcnt(0)
	v_cmp_ne_u16_e32 vcc, 0, v3
	s_nop 1
	v_cndmask_b32_e32 v9, 0, v6, vcc
.LBB80_1233:
	s_branch .LBB80_1160
.LBB80_1234:
	s_cmp_lt_i32 s22, 5
	s_cbranch_scc1 .LBB80_1239
; %bb.1235:
	s_cmp_lt_i32 s22, 8
	s_cbranch_scc1 .LBB80_1240
; %bb.1236:
	;; [unrolled: 3-line block ×3, first 2 shown]
	s_cmp_gt_i32 s22, 9
	s_cbranch_scc0 .LBB80_1242
; %bb.1238:
	global_load_dwordx2 v[8:9], v[4:5], off
	s_mov_b64 s[0:1], 0
	s_branch .LBB80_1243
.LBB80_1239:
                                        ; implicit-def: $vgpr8_vgpr9
	s_branch .LBB80_1261
.LBB80_1240:
	s_mov_b64 s[0:1], -1
                                        ; implicit-def: $vgpr8_vgpr9
	s_branch .LBB80_1249
.LBB80_1241:
	s_mov_b64 s[0:1], -1
                                        ; implicit-def: $vgpr8_vgpr9
	s_branch .LBB80_1246
.LBB80_1242:
	s_mov_b64 s[0:1], -1
                                        ; implicit-def: $vgpr8_vgpr9
.LBB80_1243:
	s_andn2_b64 vcc, exec, s[0:1]
	s_cbranch_vccnz .LBB80_1245
; %bb.1244:
	global_load_dword v3, v[4:5], off
	s_waitcnt vmcnt(0)
	v_cvt_f64_f32_e32 v[8:9], v3
.LBB80_1245:
	s_mov_b64 s[0:1], 0
.LBB80_1246:
	s_andn2_b64 vcc, exec, s[0:1]
	s_cbranch_vccnz .LBB80_1248
; %bb.1247:
	global_load_dword v3, v[4:5], off
	s_waitcnt vmcnt(0)
	v_cvt_f32_f16_e32 v3, v3
	v_cvt_f64_f32_e32 v[8:9], v3
.LBB80_1248:
	s_mov_b64 s[0:1], 0
.LBB80_1249:
	s_andn2_b64 vcc, exec, s[0:1]
	s_cbranch_vccnz .LBB80_1260
; %bb.1250:
	s_cmp_lt_i32 s22, 6
	s_cbranch_scc1 .LBB80_1253
; %bb.1251:
	s_cmp_gt_i32 s22, 6
	s_cbranch_scc0 .LBB80_1254
; %bb.1252:
	global_load_dwordx2 v[8:9], v[4:5], off
	s_mov_b64 s[0:1], 0
	s_branch .LBB80_1255
.LBB80_1253:
	s_mov_b64 s[0:1], -1
                                        ; implicit-def: $vgpr8_vgpr9
	s_branch .LBB80_1258
.LBB80_1254:
	s_mov_b64 s[0:1], -1
                                        ; implicit-def: $vgpr8_vgpr9
.LBB80_1255:
	s_andn2_b64 vcc, exec, s[0:1]
	s_cbranch_vccnz .LBB80_1257
; %bb.1256:
	global_load_dword v3, v[4:5], off
	s_waitcnt vmcnt(0)
	v_cvt_f64_f32_e32 v[8:9], v3
.LBB80_1257:
	s_mov_b64 s[0:1], 0
.LBB80_1258:
	s_andn2_b64 vcc, exec, s[0:1]
	s_cbranch_vccnz .LBB80_1260
; %bb.1259:
	global_load_ushort v3, v[4:5], off
	s_waitcnt vmcnt(0)
	v_cvt_f32_f16_e32 v3, v3
	v_cvt_f64_f32_e32 v[8:9], v3
.LBB80_1260:
	s_cbranch_execnz .LBB80_1280
.LBB80_1261:
	s_cmp_lt_i32 s22, 2
	s_cbranch_scc1 .LBB80_1265
; %bb.1262:
	s_cmp_lt_i32 s22, 3
	s_cbranch_scc1 .LBB80_1266
; %bb.1263:
	s_cmp_gt_i32 s22, 3
	s_cbranch_scc0 .LBB80_1267
; %bb.1264:
	global_load_dwordx2 v[6:7], v[4:5], off
	s_mov_b64 s[0:1], 0
	s_waitcnt vmcnt(0)
	v_cvt_f64_i32_e32 v[8:9], v7
	v_cvt_f64_u32_e32 v[6:7], v6
	v_ldexp_f64 v[8:9], v[8:9], 32
	v_add_f64 v[8:9], v[8:9], v[6:7]
	s_branch .LBB80_1268
.LBB80_1265:
	s_mov_b64 s[0:1], -1
                                        ; implicit-def: $vgpr8_vgpr9
	s_branch .LBB80_1274
.LBB80_1266:
	s_mov_b64 s[0:1], -1
                                        ; implicit-def: $vgpr8_vgpr9
	s_branch .LBB80_1271
.LBB80_1267:
	s_mov_b64 s[0:1], -1
                                        ; implicit-def: $vgpr8_vgpr9
.LBB80_1268:
	s_andn2_b64 vcc, exec, s[0:1]
	s_cbranch_vccnz .LBB80_1270
; %bb.1269:
	global_load_dword v3, v[4:5], off
	s_waitcnt vmcnt(0)
	v_cvt_f64_i32_e32 v[8:9], v3
.LBB80_1270:
	s_mov_b64 s[0:1], 0
.LBB80_1271:
	s_andn2_b64 vcc, exec, s[0:1]
	s_cbranch_vccnz .LBB80_1273
; %bb.1272:
	global_load_sshort v3, v[4:5], off
	s_waitcnt vmcnt(0)
	v_cvt_f64_i32_e32 v[8:9], v3
.LBB80_1273:
	s_mov_b64 s[0:1], 0
.LBB80_1274:
	s_andn2_b64 vcc, exec, s[0:1]
	s_cbranch_vccnz .LBB80_1280
; %bb.1275:
	s_cmp_gt_i32 s22, 0
	s_cbranch_scc0 .LBB80_1277
; %bb.1276:
	global_load_sbyte v3, v[4:5], off
	s_mov_b64 s[0:1], 0
	s_waitcnt vmcnt(0)
	v_cvt_f64_i32_e32 v[8:9], v3
	s_branch .LBB80_1278
.LBB80_1277:
	s_mov_b64 s[0:1], -1
                                        ; implicit-def: $vgpr8_vgpr9
.LBB80_1278:
	s_andn2_b64 vcc, exec, s[0:1]
	s_cbranch_vccnz .LBB80_1280
; %bb.1279:
	global_load_ubyte v3, v[4:5], off
	s_waitcnt vmcnt(0)
	v_cvt_f64_u32_e32 v[8:9], v3
.LBB80_1280:
.LBB80_1281:
	v_add_u32_e32 v2, s9, v2
	v_ashrrev_i32_e32 v3, 31, v2
	s_cmp_lt_i32 s22, 11
	v_lshl_add_u64 v[4:5], s[6:7], 0, v[2:3]
	s_cbranch_scc1 .LBB80_1288
; %bb.1282:
	s_cmp_gt_i32 s22, 25
	s_mov_b64 s[10:11], 0
	s_cbranch_scc0 .LBB80_1290
; %bb.1283:
	s_cmp_gt_i32 s22, 28
	s_cbranch_scc0 .LBB80_1291
; %bb.1284:
	s_cmp_gt_i32 s22, 43
	;; [unrolled: 3-line block ×3, first 2 shown]
	s_cbranch_scc0 .LBB80_1294
; %bb.1286:
	s_cmp_eq_u32 s22, 46
	s_mov_b64 s[18:19], 0
	s_cbranch_scc0 .LBB80_1295
; %bb.1287:
	global_load_dword v3, v[4:5], off
	s_mov_b64 s[0:1], 0
	s_mov_b64 s[16:17], -1
	s_waitcnt vmcnt(0)
	v_lshlrev_b32_e32 v3, 16, v3
	v_cvt_f64_f32_e32 v[6:7], v3
	s_branch .LBB80_1296
.LBB80_1288:
	s_mov_b64 s[16:17], 0
                                        ; implicit-def: $vgpr6_vgpr7
	s_cbranch_execnz .LBB80_1362
.LBB80_1289:
	s_andn2_b64 vcc, exec, s[16:17]
	s_cbranch_vccnz .LBB80_1973
	s_branch .LBB80_1410
.LBB80_1290:
	s_mov_b64 s[18:19], -1
	s_mov_b64 s[16:17], 0
	s_mov_b64 s[0:1], 0
                                        ; implicit-def: $vgpr6_vgpr7
	s_branch .LBB80_1327
.LBB80_1291:
	s_mov_b64 s[18:19], -1
	s_mov_b64 s[16:17], 0
	s_mov_b64 s[0:1], 0
                                        ; implicit-def: $vgpr6_vgpr7
	s_branch .LBB80_1306
.LBB80_1292:
	s_mov_b64 s[18:19], -1
	s_mov_b64 s[16:17], 0
	s_mov_b64 s[0:1], 0
                                        ; implicit-def: $vgpr6_vgpr7
	s_branch .LBB80_1301
.LBB80_1293:
	s_trap 2
	s_or_b64 s[14:15], s[14:15], exec
	s_cbranch_execz .LBB80_1232
	s_branch .LBB80_1233
.LBB80_1294:
	s_mov_b64 s[18:19], -1
	s_mov_b64 s[16:17], 0
	s_mov_b64 s[0:1], 0
                                        ; implicit-def: $vgpr6_vgpr7
	s_branch .LBB80_1296
.LBB80_1295:
	s_mov_b64 s[0:1], -1
                                        ; implicit-def: $vgpr6_vgpr7
	s_mov_b64 s[16:17], 0
.LBB80_1296:
	s_and_b64 vcc, exec, s[18:19]
	s_cbranch_vccz .LBB80_1300
; %bb.1297:
	s_cmp_eq_u32 s22, 44
	s_cbranch_scc0 .LBB80_1299
; %bb.1298:
	global_load_ubyte v3, v[4:5], off
	s_movk_i32 s16, 0xff
	v_bfrev_b32_e32 v11, 4
	v_mov_b32_e32 v12, 0x7ff80000
	v_bfrev_b32_e32 v13, 28
	s_mov_b64 s[0:1], 0
	s_waitcnt vmcnt(0)
	v_lshlrev_b32_e32 v6, 23, v3
	v_cvt_f64_f32_e32 v[6:7], v6
	v_cmp_ne_u32_e32 vcc, s16, v3
	s_mov_b64 s[16:17], -1
	s_nop 0
	v_cndmask_b32_e32 v6, v11, v6, vcc
	v_cndmask_b32_e32 v7, v12, v7, vcc
	v_cmp_ne_u32_e32 vcc, 0, v3
	s_nop 1
	v_cndmask_b32_e32 v7, v13, v7, vcc
	v_cndmask_b32_e32 v6, 0, v6, vcc
	s_branch .LBB80_1300
.LBB80_1299:
	s_mov_b64 s[0:1], -1
                                        ; implicit-def: $vgpr6_vgpr7
.LBB80_1300:
	s_mov_b64 s[18:19], 0
.LBB80_1301:
	s_and_b64 vcc, exec, s[18:19]
	s_cbranch_vccz .LBB80_1305
; %bb.1302:
	s_cmp_eq_u32 s22, 29
	s_cbranch_scc0 .LBB80_1304
; %bb.1303:
	global_load_dwordx2 v[6:7], v[4:5], off
	s_mov_b64 s[0:1], 0
	s_mov_b64 s[16:17], -1
	s_mov_b64 s[18:19], 0
	s_waitcnt vmcnt(0)
	v_cvt_f64_u32_e32 v[12:13], v7
	v_cvt_f64_u32_e32 v[6:7], v6
	v_ldexp_f64 v[12:13], v[12:13], 32
	v_add_f64 v[6:7], v[12:13], v[6:7]
	s_branch .LBB80_1306
.LBB80_1304:
	s_mov_b64 s[0:1], -1
                                        ; implicit-def: $vgpr6_vgpr7
.LBB80_1305:
	s_mov_b64 s[18:19], 0
.LBB80_1306:
	s_and_b64 vcc, exec, s[18:19]
	s_cbranch_vccz .LBB80_1326
; %bb.1307:
	s_cmp_lt_i32 s22, 27
	s_cbranch_scc1 .LBB80_1310
; %bb.1308:
	s_cmp_gt_i32 s22, 27
	s_cbranch_scc0 .LBB80_1311
; %bb.1309:
	global_load_dword v3, v[4:5], off
	s_mov_b64 s[16:17], 0
	s_waitcnt vmcnt(0)
	v_cvt_f64_u32_e32 v[6:7], v3
	s_branch .LBB80_1312
.LBB80_1310:
	s_mov_b64 s[16:17], -1
                                        ; implicit-def: $vgpr6_vgpr7
	s_branch .LBB80_1315
.LBB80_1311:
	s_mov_b64 s[16:17], -1
                                        ; implicit-def: $vgpr6_vgpr7
.LBB80_1312:
	s_andn2_b64 vcc, exec, s[16:17]
	s_cbranch_vccnz .LBB80_1314
; %bb.1313:
	global_load_ushort v3, v[4:5], off
	s_waitcnt vmcnt(0)
	v_cvt_f64_u32_e32 v[6:7], v3
.LBB80_1314:
	s_mov_b64 s[16:17], 0
.LBB80_1315:
	s_andn2_b64 vcc, exec, s[16:17]
	s_cbranch_vccnz .LBB80_1325
; %bb.1316:
	global_load_ubyte v3, v[4:5], off
	s_movk_i32 s16, 0x7f
	s_waitcnt vmcnt(0)
	v_cmp_lt_i16_e32 vcc, s16, v3
	s_mov_b64 s[16:17], 0
	s_and_saveexec_b64 s[18:19], vcc
	s_xor_b64 s[18:19], exec, s[18:19]
	s_cbranch_execz .LBB80_1320
; %bb.1317:
	s_movk_i32 s16, 0x80
	v_cmp_eq_u16_e32 vcc, s16, v3
	s_mov_b64 s[16:17], -1
	s_and_saveexec_b64 s[20:21], vcc
; %bb.1318:
	s_xor_b64 s[16:17], exec, -1
; %bb.1319:
	s_or_b64 exec, exec, s[20:21]
	s_and_b64 s[16:17], s[16:17], exec
.LBB80_1320:
	s_or_saveexec_b64 s[18:19], s[18:19]
	v_bfrev_b32_e32 v6, 4
	v_mov_b32_e32 v7, 0x7ff80000
	s_xor_b64 exec, exec, s[18:19]
; %bb.1321:
	v_cmp_ne_u16_e32 vcc, 0, v3
	s_andn2_b64 s[16:17], s[16:17], exec
	s_and_b64 s[20:21], vcc, exec
	v_mov_b64_e32 v[6:7], 0
	s_or_b64 s[16:17], s[16:17], s[20:21]
; %bb.1322:
	s_or_b64 exec, exec, s[18:19]
	s_and_saveexec_b64 s[18:19], s[16:17]
	s_cbranch_execz .LBB80_1324
; %bb.1323:
	v_lshlrev_b32_e32 v6, 24, v3
	v_and_b32_e32 v3, 0xffff, v3
	v_and_b32_e32 v7, 7, v3
	v_ffbh_u32_e32 v12, v7
	v_min_u32_e32 v12, 32, v12
	v_subrev_u32_e32 v13, 28, v12
	v_bfe_u32 v11, v3, 3, 4
	v_lshlrev_b32_e32 v3, v13, v3
	v_sub_u32_e32 v12, 29, v12
	v_and_b32_e32 v3, 7, v3
	v_cmp_eq_u32_e32 vcc, 0, v11
	v_and_b32_e32 v6, 0x80000000, v6
	s_nop 0
	v_cndmask_b32_e32 v11, v11, v12, vcc
	v_cndmask_b32_e32 v3, v7, v3, vcc
	v_mov_b32_e32 v7, 0x3b800000
	v_lshlrev_b32_e32 v3, 20, v3
	v_lshl_add_u32 v7, v11, 23, v7
	v_or3_b32 v3, v6, v7, v3
	v_cvt_f64_f32_e32 v[6:7], v3
.LBB80_1324:
	s_or_b64 exec, exec, s[18:19]
.LBB80_1325:
	s_mov_b64 s[16:17], -1
.LBB80_1326:
	s_mov_b64 s[18:19], 0
.LBB80_1327:
	s_and_b64 vcc, exec, s[18:19]
	s_cbranch_vccz .LBB80_1358
; %bb.1328:
	s_cmp_gt_i32 s22, 22
	s_cbranch_scc0 .LBB80_1340
; %bb.1329:
	s_cmp_lt_i32 s22, 24
	s_cbranch_scc1 .LBB80_1341
; %bb.1330:
	s_cmp_gt_i32 s22, 24
	s_cbranch_scc0 .LBB80_1342
; %bb.1331:
	global_load_ubyte v3, v[4:5], off
	s_movk_i32 s10, 0x7f
	s_waitcnt vmcnt(0)
	v_cmp_lt_i16_e32 vcc, s10, v3
	s_mov_b64 s[10:11], 0
	s_and_saveexec_b64 s[16:17], vcc
	s_xor_b64 s[16:17], exec, s[16:17]
	s_cbranch_execz .LBB80_1335
; %bb.1332:
	s_movk_i32 s10, 0x80
	v_cmp_eq_u16_e32 vcc, s10, v3
	s_mov_b64 s[10:11], -1
	s_and_saveexec_b64 s[18:19], vcc
; %bb.1333:
	s_xor_b64 s[10:11], exec, -1
; %bb.1334:
	s_or_b64 exec, exec, s[18:19]
	s_and_b64 s[10:11], s[10:11], exec
.LBB80_1335:
	s_or_saveexec_b64 s[16:17], s[16:17]
	v_bfrev_b32_e32 v6, 4
	v_mov_b32_e32 v7, 0x7ff80000
	s_xor_b64 exec, exec, s[16:17]
; %bb.1336:
	v_cmp_ne_u16_e32 vcc, 0, v3
	s_andn2_b64 s[10:11], s[10:11], exec
	s_and_b64 s[18:19], vcc, exec
	v_mov_b64_e32 v[6:7], 0
	s_or_b64 s[10:11], s[10:11], s[18:19]
; %bb.1337:
	s_or_b64 exec, exec, s[16:17]
	s_and_saveexec_b64 s[16:17], s[10:11]
	s_cbranch_execz .LBB80_1339
; %bb.1338:
	v_lshlrev_b32_e32 v6, 24, v3
	v_and_b32_e32 v3, 0xffff, v3
	v_and_b32_e32 v7, 3, v3
	v_ffbh_u32_e32 v12, v7
	v_min_u32_e32 v12, 32, v12
	v_subrev_u32_e32 v13, 29, v12
	v_bfe_u32 v11, v3, 2, 5
	v_lshlrev_b32_e32 v3, v13, v3
	v_sub_u32_e32 v12, 30, v12
	v_and_b32_e32 v3, 3, v3
	v_cmp_eq_u32_e32 vcc, 0, v11
	v_and_b32_e32 v6, 0x80000000, v6
	s_nop 0
	v_cndmask_b32_e32 v11, v11, v12, vcc
	v_cndmask_b32_e32 v3, v7, v3, vcc
	v_mov_b32_e32 v7, 0x37800000
	v_lshlrev_b32_e32 v3, 21, v3
	v_lshl_add_u32 v7, v11, 23, v7
	v_or3_b32 v3, v6, v7, v3
	v_cvt_f64_f32_e32 v[6:7], v3
.LBB80_1339:
	s_or_b64 exec, exec, s[16:17]
	s_mov_b64 s[10:11], 0
	s_branch .LBB80_1343
.LBB80_1340:
	s_mov_b64 s[10:11], -1
                                        ; implicit-def: $vgpr6_vgpr7
	s_branch .LBB80_1349
.LBB80_1341:
	s_mov_b64 s[10:11], -1
                                        ; implicit-def: $vgpr6_vgpr7
	s_branch .LBB80_1346
.LBB80_1342:
	s_mov_b64 s[10:11], -1
                                        ; implicit-def: $vgpr6_vgpr7
.LBB80_1343:
	s_and_b64 vcc, exec, s[10:11]
	s_cbranch_vccz .LBB80_1345
; %bb.1344:
	global_load_ubyte v3, v[4:5], off
	s_mov_b32 s10, 0x7f800000
	s_waitcnt vmcnt(0)
	v_lshlrev_b32_e32 v3, 24, v3
	v_and_b32_e32 v6, 0x7f000000, v3
	v_ffbh_u32_e32 v7, v6
	v_min_u32_e32 v7, 32, v7
	v_sub_u32_e64 v7, v7, 4 clamp
	v_lshlrev_b32_e32 v12, v7, v6
	v_lshlrev_b32_e32 v7, 23, v7
	v_lshrrev_b32_e32 v12, 4, v12
	v_add_u32_e32 v11, 0x1000000, v6
	v_sub_u32_e32 v7, v12, v7
	v_ashrrev_i32_e32 v11, 8, v11
	v_add_u32_e32 v7, 0x3c000000, v7
	v_and_or_b32 v7, v11, s10, v7
	v_cmp_ne_u32_e32 vcc, 0, v6
	s_brev_b32 s10, 1
	s_nop 0
	v_cndmask_b32_e32 v6, 0, v7, vcc
	v_and_or_b32 v3, v3, s10, v6
	v_cvt_f64_f32_e32 v[6:7], v3
.LBB80_1345:
	s_mov_b64 s[10:11], 0
.LBB80_1346:
	s_andn2_b64 vcc, exec, s[10:11]
	s_cbranch_vccnz .LBB80_1348
; %bb.1347:
	global_load_ubyte v3, v[4:5], off
	s_movk_i32 s10, 0x7f00
	s_brev_b32 s11, 16
	s_waitcnt vmcnt(0)
	v_lshlrev_b16_e32 v6, 8, v3
	v_lshlrev_b32_e32 v3, 25, v3
	v_lshrrev_b32_e32 v7, 4, v3
	v_and_or_b32 v11, v6, s10, 0.5
	v_or_b32_e32 v7, 0x70000000, v7
	v_add_f32_e32 v11, -0.5, v11
	v_mul_f32_e32 v7, 0x7800000, v7
	v_cmp_gt_u32_e32 vcc, s11, v3
	v_bfe_i32 v6, v6, 0, 16
	s_brev_b32 s10, 1
	v_cndmask_b32_e32 v3, v7, v11, vcc
	v_and_or_b32 v3, v6, s10, v3
	v_cvt_f64_f32_e32 v[6:7], v3
.LBB80_1348:
	s_mov_b64 s[10:11], 0
	s_mov_b64 s[16:17], -1
.LBB80_1349:
	s_andn2_b64 vcc, exec, s[10:11]
	s_mov_b64 s[10:11], 0
	s_cbranch_vccnz .LBB80_1358
; %bb.1350:
	s_cmp_gt_i32 s22, 14
	s_cbranch_scc0 .LBB80_1353
; %bb.1351:
	s_cmp_eq_u32 s22, 15
	s_cbranch_scc0 .LBB80_1354
; %bb.1352:
	global_load_ushort v3, v[4:5], off
	s_mov_b64 s[0:1], 0
	s_mov_b64 s[16:17], -1
	s_waitcnt vmcnt(0)
	v_lshlrev_b32_e32 v3, 16, v3
	v_cvt_f64_f32_e32 v[6:7], v3
	s_branch .LBB80_1355
.LBB80_1353:
	s_mov_b64 s[18:19], -1
                                        ; implicit-def: $vgpr6_vgpr7
	s_branch .LBB80_1356
.LBB80_1354:
	s_mov_b64 s[0:1], -1
                                        ; implicit-def: $vgpr6_vgpr7
.LBB80_1355:
	s_mov_b64 s[18:19], 0
.LBB80_1356:
	s_and_b64 vcc, exec, s[18:19]
	s_cbranch_vccz .LBB80_1358
; %bb.1357:
	s_cmp_lg_u32 s22, 11
	s_mov_b64 s[10:11], -1
	s_cselect_b64 s[0:1], -1, 0
.LBB80_1358:
	s_and_b64 vcc, exec, s[0:1]
	s_cbranch_vccnz .LBB80_1421
; %bb.1359:
	s_andn2_b64 vcc, exec, s[10:11]
	s_cbranch_vccnz .LBB80_1361
.LBB80_1360:
	global_load_ubyte v3, v[4:5], off
	v_mov_b32_e32 v7, 0x3ff00000
	v_mov_b32_e32 v6, 0
	s_mov_b64 s[16:17], -1
	s_waitcnt vmcnt(0)
	v_cmp_ne_u16_e32 vcc, 0, v3
	s_nop 1
	v_cndmask_b32_e32 v7, 0, v7, vcc
.LBB80_1361:
	s_branch .LBB80_1289
.LBB80_1362:
	s_cmp_lt_i32 s22, 5
	s_cbranch_scc1 .LBB80_1367
; %bb.1363:
	s_cmp_lt_i32 s22, 8
	s_cbranch_scc1 .LBB80_1368
; %bb.1364:
	;; [unrolled: 3-line block ×3, first 2 shown]
	s_cmp_gt_i32 s22, 9
	s_cbranch_scc0 .LBB80_1370
; %bb.1366:
	global_load_dwordx2 v[6:7], v[4:5], off
	s_mov_b64 s[0:1], 0
	s_branch .LBB80_1371
.LBB80_1367:
	s_mov_b64 s[0:1], -1
                                        ; implicit-def: $vgpr6_vgpr7
	s_branch .LBB80_1389
.LBB80_1368:
	s_mov_b64 s[0:1], -1
                                        ; implicit-def: $vgpr6_vgpr7
	s_branch .LBB80_1377
.LBB80_1369:
	s_mov_b64 s[0:1], -1
                                        ; implicit-def: $vgpr6_vgpr7
	s_branch .LBB80_1374
.LBB80_1370:
	s_mov_b64 s[0:1], -1
                                        ; implicit-def: $vgpr6_vgpr7
.LBB80_1371:
	s_andn2_b64 vcc, exec, s[0:1]
	s_cbranch_vccnz .LBB80_1373
; %bb.1372:
	global_load_dword v3, v[4:5], off
	s_waitcnt vmcnt(0)
	v_cvt_f64_f32_e32 v[6:7], v3
.LBB80_1373:
	s_mov_b64 s[0:1], 0
.LBB80_1374:
	s_andn2_b64 vcc, exec, s[0:1]
	s_cbranch_vccnz .LBB80_1376
; %bb.1375:
	global_load_dword v3, v[4:5], off
	s_waitcnt vmcnt(0)
	v_cvt_f32_f16_e32 v3, v3
	v_cvt_f64_f32_e32 v[6:7], v3
.LBB80_1376:
	s_mov_b64 s[0:1], 0
.LBB80_1377:
	s_andn2_b64 vcc, exec, s[0:1]
	s_cbranch_vccnz .LBB80_1388
; %bb.1378:
	s_cmp_lt_i32 s22, 6
	s_cbranch_scc1 .LBB80_1381
; %bb.1379:
	s_cmp_gt_i32 s22, 6
	s_cbranch_scc0 .LBB80_1382
; %bb.1380:
	global_load_dwordx2 v[6:7], v[4:5], off
	s_mov_b64 s[0:1], 0
	s_branch .LBB80_1383
.LBB80_1381:
	s_mov_b64 s[0:1], -1
                                        ; implicit-def: $vgpr6_vgpr7
	s_branch .LBB80_1386
.LBB80_1382:
	s_mov_b64 s[0:1], -1
                                        ; implicit-def: $vgpr6_vgpr7
.LBB80_1383:
	s_andn2_b64 vcc, exec, s[0:1]
	s_cbranch_vccnz .LBB80_1385
; %bb.1384:
	global_load_dword v3, v[4:5], off
	s_waitcnt vmcnt(0)
	v_cvt_f64_f32_e32 v[6:7], v3
.LBB80_1385:
	s_mov_b64 s[0:1], 0
.LBB80_1386:
	s_andn2_b64 vcc, exec, s[0:1]
	s_cbranch_vccnz .LBB80_1388
; %bb.1387:
	global_load_ushort v3, v[4:5], off
	s_waitcnt vmcnt(0)
	v_cvt_f32_f16_e32 v3, v3
	v_cvt_f64_f32_e32 v[6:7], v3
.LBB80_1388:
	s_mov_b64 s[0:1], 0
.LBB80_1389:
	s_andn2_b64 vcc, exec, s[0:1]
	s_cbranch_vccnz .LBB80_1409
; %bb.1390:
	s_cmp_lt_i32 s22, 2
	s_cbranch_scc1 .LBB80_1394
; %bb.1391:
	s_cmp_lt_i32 s22, 3
	s_cbranch_scc1 .LBB80_1395
; %bb.1392:
	s_cmp_gt_i32 s22, 3
	s_cbranch_scc0 .LBB80_1396
; %bb.1393:
	global_load_dwordx2 v[6:7], v[4:5], off
	s_mov_b64 s[0:1], 0
	s_waitcnt vmcnt(0)
	v_cvt_f64_i32_e32 v[12:13], v7
	v_cvt_f64_u32_e32 v[6:7], v6
	v_ldexp_f64 v[12:13], v[12:13], 32
	v_add_f64 v[6:7], v[12:13], v[6:7]
	s_branch .LBB80_1397
.LBB80_1394:
	s_mov_b64 s[0:1], -1
                                        ; implicit-def: $vgpr6_vgpr7
	s_branch .LBB80_1403
.LBB80_1395:
	s_mov_b64 s[0:1], -1
                                        ; implicit-def: $vgpr6_vgpr7
	s_branch .LBB80_1400
.LBB80_1396:
	s_mov_b64 s[0:1], -1
                                        ; implicit-def: $vgpr6_vgpr7
.LBB80_1397:
	s_andn2_b64 vcc, exec, s[0:1]
	s_cbranch_vccnz .LBB80_1399
; %bb.1398:
	global_load_dword v3, v[4:5], off
	s_waitcnt vmcnt(0)
	v_cvt_f64_i32_e32 v[6:7], v3
.LBB80_1399:
	s_mov_b64 s[0:1], 0
.LBB80_1400:
	s_andn2_b64 vcc, exec, s[0:1]
	s_cbranch_vccnz .LBB80_1402
; %bb.1401:
	global_load_sshort v3, v[4:5], off
	s_waitcnt vmcnt(0)
	v_cvt_f64_i32_e32 v[6:7], v3
.LBB80_1402:
	s_mov_b64 s[0:1], 0
.LBB80_1403:
	s_andn2_b64 vcc, exec, s[0:1]
	s_cbranch_vccnz .LBB80_1409
; %bb.1404:
	s_cmp_gt_i32 s22, 0
	s_cbranch_scc0 .LBB80_1406
; %bb.1405:
	global_load_sbyte v3, v[4:5], off
	s_mov_b64 s[0:1], 0
	s_waitcnt vmcnt(0)
	v_cvt_f64_i32_e32 v[6:7], v3
	s_branch .LBB80_1407
.LBB80_1406:
	s_mov_b64 s[0:1], -1
                                        ; implicit-def: $vgpr6_vgpr7
.LBB80_1407:
	s_andn2_b64 vcc, exec, s[0:1]
	s_cbranch_vccnz .LBB80_1409
; %bb.1408:
	global_load_ubyte v3, v[4:5], off
	s_waitcnt vmcnt(0)
	v_cvt_f64_u32_e32 v[6:7], v3
.LBB80_1409:
.LBB80_1410:
	v_add_u32_e32 v2, s9, v2
	v_ashrrev_i32_e32 v3, 31, v2
	s_cmp_lt_i32 s22, 11
	v_lshl_add_u64 v[2:3], s[6:7], 0, v[2:3]
	s_cbranch_scc1 .LBB80_1417
; %bb.1411:
	s_cmp_gt_i32 s22, 25
	s_mov_b64 s[6:7], 0
	s_cbranch_scc0 .LBB80_1418
; %bb.1412:
	s_cmp_gt_i32 s22, 28
	s_cbranch_scc0 .LBB80_1419
; %bb.1413:
	s_cmp_gt_i32 s22, 43
	;; [unrolled: 3-line block ×3, first 2 shown]
	s_cbranch_scc0 .LBB80_1422
; %bb.1415:
	s_cmp_eq_u32 s22, 46
	s_mov_b64 s[16:17], 0
	s_cbranch_scc0 .LBB80_1423
; %bb.1416:
	global_load_dword v4, v[2:3], off
	s_mov_b64 s[0:1], 0
	s_mov_b64 s[10:11], -1
	s_waitcnt vmcnt(0)
	v_lshlrev_b32_e32 v4, 16, v4
	v_cvt_f64_f32_e32 v[4:5], v4
	s_branch .LBB80_1424
.LBB80_1417:
	s_mov_b64 s[0:1], -1
	s_mov_b64 s[10:11], 0
                                        ; implicit-def: $vgpr4_vgpr5
	s_branch .LBB80_1490
.LBB80_1418:
	s_mov_b64 s[16:17], -1
	s_mov_b64 s[10:11], 0
	s_mov_b64 s[0:1], 0
                                        ; implicit-def: $vgpr4_vgpr5
	s_branch .LBB80_1455
.LBB80_1419:
	s_mov_b64 s[16:17], -1
	s_mov_b64 s[10:11], 0
	s_mov_b64 s[0:1], 0
                                        ; implicit-def: $vgpr4_vgpr5
	s_branch .LBB80_1434
.LBB80_1420:
	s_mov_b64 s[16:17], -1
	s_mov_b64 s[10:11], 0
	s_mov_b64 s[0:1], 0
                                        ; implicit-def: $vgpr4_vgpr5
	s_branch .LBB80_1429
.LBB80_1421:
	s_trap 2
	s_or_b64 s[14:15], s[14:15], exec
	s_cbranch_execz .LBB80_1360
	s_branch .LBB80_1361
.LBB80_1422:
	s_mov_b64 s[16:17], -1
	s_mov_b64 s[10:11], 0
	s_mov_b64 s[0:1], 0
                                        ; implicit-def: $vgpr4_vgpr5
	s_branch .LBB80_1424
.LBB80_1423:
	s_mov_b64 s[0:1], -1
                                        ; implicit-def: $vgpr4_vgpr5
	s_mov_b64 s[10:11], 0
.LBB80_1424:
	s_and_b64 vcc, exec, s[16:17]
	s_cbranch_vccz .LBB80_1428
; %bb.1425:
	s_cmp_eq_u32 s22, 44
	s_cbranch_scc0 .LBB80_1427
; %bb.1426:
	global_load_ubyte v11, v[2:3], off
	s_movk_i32 s9, 0xff
	v_bfrev_b32_e32 v12, 4
	v_mov_b32_e32 v13, 0x7ff80000
	v_bfrev_b32_e32 v14, 28
	s_mov_b64 s[0:1], 0
	s_mov_b64 s[10:11], -1
	s_waitcnt vmcnt(0)
	v_lshlrev_b32_e32 v4, 23, v11
	v_cvt_f64_f32_e32 v[4:5], v4
	v_cmp_ne_u32_e32 vcc, s9, v11
	s_nop 1
	v_cndmask_b32_e32 v4, v12, v4, vcc
	v_cndmask_b32_e32 v5, v13, v5, vcc
	v_cmp_ne_u32_e32 vcc, 0, v11
	s_nop 1
	v_cndmask_b32_e32 v5, v14, v5, vcc
	v_cndmask_b32_e32 v4, 0, v4, vcc
	s_branch .LBB80_1428
.LBB80_1427:
	s_mov_b64 s[0:1], -1
                                        ; implicit-def: $vgpr4_vgpr5
.LBB80_1428:
	s_mov_b64 s[16:17], 0
.LBB80_1429:
	s_and_b64 vcc, exec, s[16:17]
	s_cbranch_vccz .LBB80_1433
; %bb.1430:
	s_cmp_eq_u32 s22, 29
	s_cbranch_scc0 .LBB80_1432
; %bb.1431:
	global_load_dwordx2 v[4:5], v[2:3], off
	s_mov_b64 s[0:1], 0
	s_mov_b64 s[10:11], -1
	s_mov_b64 s[16:17], 0
	s_waitcnt vmcnt(0)
	v_cvt_f64_u32_e32 v[12:13], v5
	v_cvt_f64_u32_e32 v[4:5], v4
	v_ldexp_f64 v[12:13], v[12:13], 32
	v_add_f64 v[4:5], v[12:13], v[4:5]
	s_branch .LBB80_1434
.LBB80_1432:
	s_mov_b64 s[0:1], -1
                                        ; implicit-def: $vgpr4_vgpr5
.LBB80_1433:
	s_mov_b64 s[16:17], 0
.LBB80_1434:
	s_and_b64 vcc, exec, s[16:17]
	s_cbranch_vccz .LBB80_1454
; %bb.1435:
	s_cmp_lt_i32 s22, 27
	s_cbranch_scc1 .LBB80_1438
; %bb.1436:
	s_cmp_gt_i32 s22, 27
	s_cbranch_scc0 .LBB80_1439
; %bb.1437:
	global_load_dword v4, v[2:3], off
	s_mov_b64 s[10:11], 0
	s_waitcnt vmcnt(0)
	v_cvt_f64_u32_e32 v[4:5], v4
	s_branch .LBB80_1440
.LBB80_1438:
	s_mov_b64 s[10:11], -1
                                        ; implicit-def: $vgpr4_vgpr5
	s_branch .LBB80_1443
.LBB80_1439:
	s_mov_b64 s[10:11], -1
                                        ; implicit-def: $vgpr4_vgpr5
.LBB80_1440:
	s_andn2_b64 vcc, exec, s[10:11]
	s_cbranch_vccnz .LBB80_1442
; %bb.1441:
	global_load_ushort v4, v[2:3], off
	s_waitcnt vmcnt(0)
	v_cvt_f64_u32_e32 v[4:5], v4
.LBB80_1442:
	s_mov_b64 s[10:11], 0
.LBB80_1443:
	s_andn2_b64 vcc, exec, s[10:11]
	s_cbranch_vccnz .LBB80_1453
; %bb.1444:
	global_load_ubyte v11, v[2:3], off
	s_movk_i32 s9, 0x7f
	s_mov_b64 s[10:11], 0
	s_waitcnt vmcnt(0)
	v_cmp_lt_i16_e32 vcc, s9, v11
	s_and_saveexec_b64 s[16:17], vcc
	s_xor_b64 s[16:17], exec, s[16:17]
	s_cbranch_execz .LBB80_1448
; %bb.1445:
	s_movk_i32 s9, 0x80
	v_cmp_eq_u16_e32 vcc, s9, v11
	s_mov_b64 s[10:11], -1
	s_and_saveexec_b64 s[18:19], vcc
; %bb.1446:
	s_xor_b64 s[10:11], exec, -1
; %bb.1447:
	s_or_b64 exec, exec, s[18:19]
	s_and_b64 s[10:11], s[10:11], exec
.LBB80_1448:
	s_or_saveexec_b64 s[16:17], s[16:17]
	v_bfrev_b32_e32 v4, 4
	v_mov_b32_e32 v5, 0x7ff80000
	s_xor_b64 exec, exec, s[16:17]
; %bb.1449:
	v_cmp_ne_u16_e32 vcc, 0, v11
	s_andn2_b64 s[10:11], s[10:11], exec
	s_and_b64 s[18:19], vcc, exec
	v_mov_b64_e32 v[4:5], 0
	s_or_b64 s[10:11], s[10:11], s[18:19]
; %bb.1450:
	s_or_b64 exec, exec, s[16:17]
	s_and_saveexec_b64 s[16:17], s[10:11]
	s_cbranch_execz .LBB80_1452
; %bb.1451:
	v_and_b32_e32 v5, 0xffff, v11
	v_lshlrev_b32_e32 v4, 24, v11
	v_and_b32_e32 v11, 7, v5
	v_ffbh_u32_e32 v13, v11
	v_min_u32_e32 v13, 32, v13
	v_subrev_u32_e32 v14, 28, v13
	v_bfe_u32 v12, v5, 3, 4
	v_lshlrev_b32_e32 v5, v14, v5
	v_sub_u32_e32 v13, 29, v13
	v_and_b32_e32 v5, 7, v5
	v_cmp_eq_u32_e32 vcc, 0, v12
	v_and_b32_e32 v4, 0x80000000, v4
	s_nop 0
	v_cndmask_b32_e32 v12, v12, v13, vcc
	v_cndmask_b32_e32 v5, v11, v5, vcc
	v_mov_b32_e32 v11, 0x3b800000
	v_lshlrev_b32_e32 v5, 20, v5
	v_lshl_add_u32 v11, v12, 23, v11
	v_or3_b32 v4, v4, v11, v5
	v_cvt_f64_f32_e32 v[4:5], v4
.LBB80_1452:
	s_or_b64 exec, exec, s[16:17]
.LBB80_1453:
	s_mov_b64 s[10:11], -1
.LBB80_1454:
	s_mov_b64 s[16:17], 0
.LBB80_1455:
	s_and_b64 vcc, exec, s[16:17]
	s_cbranch_vccz .LBB80_1486
; %bb.1456:
	s_cmp_gt_i32 s22, 22
	s_cbranch_scc0 .LBB80_1468
; %bb.1457:
	s_cmp_lt_i32 s22, 24
	s_cbranch_scc1 .LBB80_1469
; %bb.1458:
	s_cmp_gt_i32 s22, 24
	s_cbranch_scc0 .LBB80_1470
; %bb.1459:
	global_load_ubyte v11, v[2:3], off
	s_movk_i32 s6, 0x7f
	s_waitcnt vmcnt(0)
	v_cmp_lt_i16_e32 vcc, s6, v11
	s_mov_b64 s[6:7], 0
	s_and_saveexec_b64 s[10:11], vcc
	s_xor_b64 s[10:11], exec, s[10:11]
	s_cbranch_execz .LBB80_1463
; %bb.1460:
	s_movk_i32 s6, 0x80
	v_cmp_eq_u16_e32 vcc, s6, v11
	s_mov_b64 s[6:7], -1
	s_and_saveexec_b64 s[16:17], vcc
; %bb.1461:
	s_xor_b64 s[6:7], exec, -1
; %bb.1462:
	s_or_b64 exec, exec, s[16:17]
	s_and_b64 s[6:7], s[6:7], exec
.LBB80_1463:
	s_or_saveexec_b64 s[10:11], s[10:11]
	v_bfrev_b32_e32 v4, 4
	v_mov_b32_e32 v5, 0x7ff80000
	s_xor_b64 exec, exec, s[10:11]
; %bb.1464:
	v_cmp_ne_u16_e32 vcc, 0, v11
	s_andn2_b64 s[6:7], s[6:7], exec
	s_and_b64 s[16:17], vcc, exec
	v_mov_b64_e32 v[4:5], 0
	s_or_b64 s[6:7], s[6:7], s[16:17]
; %bb.1465:
	s_or_b64 exec, exec, s[10:11]
	s_and_saveexec_b64 s[10:11], s[6:7]
	s_cbranch_execz .LBB80_1467
; %bb.1466:
	v_and_b32_e32 v5, 0xffff, v11
	v_lshlrev_b32_e32 v4, 24, v11
	v_and_b32_e32 v11, 3, v5
	v_ffbh_u32_e32 v13, v11
	v_min_u32_e32 v13, 32, v13
	v_subrev_u32_e32 v14, 29, v13
	v_bfe_u32 v12, v5, 2, 5
	v_lshlrev_b32_e32 v5, v14, v5
	v_sub_u32_e32 v13, 30, v13
	v_and_b32_e32 v5, 3, v5
	v_cmp_eq_u32_e32 vcc, 0, v12
	v_and_b32_e32 v4, 0x80000000, v4
	s_nop 0
	v_cndmask_b32_e32 v12, v12, v13, vcc
	v_cndmask_b32_e32 v5, v11, v5, vcc
	v_mov_b32_e32 v11, 0x37800000
	v_lshlrev_b32_e32 v5, 21, v5
	v_lshl_add_u32 v11, v12, 23, v11
	v_or3_b32 v4, v4, v11, v5
	v_cvt_f64_f32_e32 v[4:5], v4
.LBB80_1467:
	s_or_b64 exec, exec, s[10:11]
	s_mov_b64 s[6:7], 0
	s_branch .LBB80_1471
.LBB80_1468:
	s_mov_b64 s[6:7], -1
                                        ; implicit-def: $vgpr4_vgpr5
	s_branch .LBB80_1477
.LBB80_1469:
	s_mov_b64 s[6:7], -1
                                        ; implicit-def: $vgpr4_vgpr5
	s_branch .LBB80_1474
.LBB80_1470:
	s_mov_b64 s[6:7], -1
                                        ; implicit-def: $vgpr4_vgpr5
.LBB80_1471:
	s_and_b64 vcc, exec, s[6:7]
	s_cbranch_vccz .LBB80_1473
; %bb.1472:
	global_load_ubyte v4, v[2:3], off
	s_mov_b32 s6, 0x7f800000
	s_waitcnt vmcnt(0)
	v_lshlrev_b32_e32 v4, 24, v4
	v_and_b32_e32 v5, 0x7f000000, v4
	v_ffbh_u32_e32 v11, v5
	v_min_u32_e32 v11, 32, v11
	v_sub_u32_e64 v11, v11, 4 clamp
	v_lshlrev_b32_e32 v13, v11, v5
	v_lshlrev_b32_e32 v11, 23, v11
	v_lshrrev_b32_e32 v13, 4, v13
	v_add_u32_e32 v12, 0x1000000, v5
	v_sub_u32_e32 v11, v13, v11
	v_ashrrev_i32_e32 v12, 8, v12
	v_add_u32_e32 v11, 0x3c000000, v11
	v_and_or_b32 v11, v12, s6, v11
	v_cmp_ne_u32_e32 vcc, 0, v5
	s_brev_b32 s6, 1
	s_nop 0
	v_cndmask_b32_e32 v5, 0, v11, vcc
	v_and_or_b32 v4, v4, s6, v5
	v_cvt_f64_f32_e32 v[4:5], v4
.LBB80_1473:
	s_mov_b64 s[6:7], 0
.LBB80_1474:
	s_andn2_b64 vcc, exec, s[6:7]
	s_cbranch_vccnz .LBB80_1476
; %bb.1475:
	global_load_ubyte v4, v[2:3], off
	s_movk_i32 s6, 0x7f00
	s_brev_b32 s7, 16
	s_waitcnt vmcnt(0)
	v_lshlrev_b16_e32 v5, 8, v4
	v_lshlrev_b32_e32 v4, 25, v4
	v_lshrrev_b32_e32 v11, 4, v4
	v_and_or_b32 v12, v5, s6, 0.5
	v_or_b32_e32 v11, 0x70000000, v11
	v_add_f32_e32 v12, -0.5, v12
	v_mul_f32_e32 v11, 0x7800000, v11
	v_cmp_gt_u32_e32 vcc, s7, v4
	v_bfe_i32 v5, v5, 0, 16
	s_brev_b32 s6, 1
	v_cndmask_b32_e32 v4, v11, v12, vcc
	v_and_or_b32 v4, v5, s6, v4
	v_cvt_f64_f32_e32 v[4:5], v4
.LBB80_1476:
	s_mov_b64 s[6:7], 0
	s_mov_b64 s[10:11], -1
.LBB80_1477:
	s_andn2_b64 vcc, exec, s[6:7]
	s_mov_b64 s[6:7], 0
	s_cbranch_vccnz .LBB80_1486
; %bb.1478:
	s_cmp_gt_i32 s22, 14
	s_cbranch_scc0 .LBB80_1481
; %bb.1479:
	s_cmp_eq_u32 s22, 15
	s_cbranch_scc0 .LBB80_1482
; %bb.1480:
	global_load_ushort v4, v[2:3], off
	s_mov_b64 s[0:1], 0
	s_mov_b64 s[10:11], -1
	s_waitcnt vmcnt(0)
	v_lshlrev_b32_e32 v4, 16, v4
	v_cvt_f64_f32_e32 v[4:5], v4
	s_branch .LBB80_1483
.LBB80_1481:
	s_mov_b64 s[16:17], -1
                                        ; implicit-def: $vgpr4_vgpr5
	s_branch .LBB80_1484
.LBB80_1482:
	s_mov_b64 s[0:1], -1
                                        ; implicit-def: $vgpr4_vgpr5
.LBB80_1483:
	s_mov_b64 s[16:17], 0
.LBB80_1484:
	s_and_b64 vcc, exec, s[16:17]
	s_cbranch_vccz .LBB80_1486
; %bb.1485:
	s_cmp_lg_u32 s22, 11
	s_mov_b64 s[6:7], -1
	s_cselect_b64 s[0:1], -1, 0
.LBB80_1486:
	s_and_b64 vcc, exec, s[0:1]
	s_cbranch_vccnz .LBB80_2019
; %bb.1487:
	s_andn2_b64 vcc, exec, s[6:7]
	s_cbranch_vccnz .LBB80_1489
.LBB80_1488:
	global_load_ubyte v5, v[2:3], off
	v_mov_b32_e32 v11, 0x3ff00000
	v_mov_b32_e32 v4, 0
	s_mov_b64 s[10:11], -1
	s_waitcnt vmcnt(0)
	v_cmp_ne_u16_e32 vcc, 0, v5
	s_nop 1
	v_cndmask_b32_e32 v5, 0, v11, vcc
.LBB80_1489:
	s_mov_b64 s[0:1], 0
.LBB80_1490:
	s_and_b64 vcc, exec, s[0:1]
	s_cbranch_vccz .LBB80_1539
; %bb.1491:
	s_cmp_lt_i32 s22, 5
	s_cbranch_scc1 .LBB80_1496
; %bb.1492:
	s_cmp_lt_i32 s22, 8
	s_cbranch_scc1 .LBB80_1497
	;; [unrolled: 3-line block ×3, first 2 shown]
; %bb.1494:
	s_cmp_gt_i32 s22, 9
	s_cbranch_scc0 .LBB80_1499
; %bb.1495:
	global_load_dwordx2 v[4:5], v[2:3], off
	s_mov_b64 s[0:1], 0
	s_branch .LBB80_1500
.LBB80_1496:
	s_mov_b64 s[0:1], -1
                                        ; implicit-def: $vgpr4_vgpr5
	s_branch .LBB80_1518
.LBB80_1497:
	s_mov_b64 s[0:1], -1
                                        ; implicit-def: $vgpr4_vgpr5
	s_branch .LBB80_1506
.LBB80_1498:
	s_mov_b64 s[0:1], -1
                                        ; implicit-def: $vgpr4_vgpr5
	s_branch .LBB80_1503
.LBB80_1499:
	s_mov_b64 s[0:1], -1
                                        ; implicit-def: $vgpr4_vgpr5
.LBB80_1500:
	s_andn2_b64 vcc, exec, s[0:1]
	s_cbranch_vccnz .LBB80_1502
; %bb.1501:
	global_load_dword v4, v[2:3], off
	s_waitcnt vmcnt(0)
	v_cvt_f64_f32_e32 v[4:5], v4
.LBB80_1502:
	s_mov_b64 s[0:1], 0
.LBB80_1503:
	s_andn2_b64 vcc, exec, s[0:1]
	s_cbranch_vccnz .LBB80_1505
; %bb.1504:
	global_load_dword v4, v[2:3], off
	s_waitcnt vmcnt(0)
	v_cvt_f32_f16_e32 v4, v4
	v_cvt_f64_f32_e32 v[4:5], v4
.LBB80_1505:
	s_mov_b64 s[0:1], 0
.LBB80_1506:
	s_andn2_b64 vcc, exec, s[0:1]
	s_cbranch_vccnz .LBB80_1517
; %bb.1507:
	s_cmp_lt_i32 s22, 6
	s_cbranch_scc1 .LBB80_1510
; %bb.1508:
	s_cmp_gt_i32 s22, 6
	s_cbranch_scc0 .LBB80_1511
; %bb.1509:
	global_load_dwordx2 v[4:5], v[2:3], off
	s_mov_b64 s[0:1], 0
	s_branch .LBB80_1512
.LBB80_1510:
	s_mov_b64 s[0:1], -1
                                        ; implicit-def: $vgpr4_vgpr5
	s_branch .LBB80_1515
.LBB80_1511:
	s_mov_b64 s[0:1], -1
                                        ; implicit-def: $vgpr4_vgpr5
.LBB80_1512:
	s_andn2_b64 vcc, exec, s[0:1]
	s_cbranch_vccnz .LBB80_1514
; %bb.1513:
	global_load_dword v4, v[2:3], off
	s_waitcnt vmcnt(0)
	v_cvt_f64_f32_e32 v[4:5], v4
.LBB80_1514:
	s_mov_b64 s[0:1], 0
.LBB80_1515:
	s_andn2_b64 vcc, exec, s[0:1]
	s_cbranch_vccnz .LBB80_1517
; %bb.1516:
	global_load_ushort v4, v[2:3], off
	s_waitcnt vmcnt(0)
	v_cvt_f32_f16_e32 v4, v4
	v_cvt_f64_f32_e32 v[4:5], v4
.LBB80_1517:
	s_mov_b64 s[0:1], 0
.LBB80_1518:
	s_andn2_b64 vcc, exec, s[0:1]
	s_cbranch_vccnz .LBB80_1538
; %bb.1519:
	s_cmp_lt_i32 s22, 2
	s_cbranch_scc1 .LBB80_1523
; %bb.1520:
	s_cmp_lt_i32 s22, 3
	s_cbranch_scc1 .LBB80_1524
; %bb.1521:
	s_cmp_gt_i32 s22, 3
	s_cbranch_scc0 .LBB80_1525
; %bb.1522:
	global_load_dwordx2 v[4:5], v[2:3], off
	s_mov_b64 s[0:1], 0
	s_waitcnt vmcnt(0)
	v_cvt_f64_i32_e32 v[12:13], v5
	v_cvt_f64_u32_e32 v[4:5], v4
	v_ldexp_f64 v[12:13], v[12:13], 32
	v_add_f64 v[4:5], v[12:13], v[4:5]
	s_branch .LBB80_1526
.LBB80_1523:
	s_mov_b64 s[0:1], -1
                                        ; implicit-def: $vgpr4_vgpr5
	s_branch .LBB80_1532
.LBB80_1524:
	s_mov_b64 s[0:1], -1
                                        ; implicit-def: $vgpr4_vgpr5
	s_branch .LBB80_1529
.LBB80_1525:
	s_mov_b64 s[0:1], -1
                                        ; implicit-def: $vgpr4_vgpr5
.LBB80_1526:
	s_andn2_b64 vcc, exec, s[0:1]
	s_cbranch_vccnz .LBB80_1528
; %bb.1527:
	global_load_dword v4, v[2:3], off
	s_waitcnt vmcnt(0)
	v_cvt_f64_i32_e32 v[4:5], v4
.LBB80_1528:
	s_mov_b64 s[0:1], 0
.LBB80_1529:
	s_andn2_b64 vcc, exec, s[0:1]
	s_cbranch_vccnz .LBB80_1531
; %bb.1530:
	global_load_sshort v4, v[2:3], off
	s_waitcnt vmcnt(0)
	v_cvt_f64_i32_e32 v[4:5], v4
.LBB80_1531:
	s_mov_b64 s[0:1], 0
.LBB80_1532:
	s_andn2_b64 vcc, exec, s[0:1]
	s_cbranch_vccnz .LBB80_1538
; %bb.1533:
	s_cmp_gt_i32 s22, 0
	s_cbranch_scc0 .LBB80_1535
; %bb.1534:
	global_load_sbyte v4, v[2:3], off
	s_mov_b64 s[0:1], 0
	s_waitcnt vmcnt(0)
	v_cvt_f64_i32_e32 v[4:5], v4
	s_branch .LBB80_1536
.LBB80_1535:
	s_mov_b64 s[0:1], -1
                                        ; implicit-def: $vgpr4_vgpr5
.LBB80_1536:
	s_andn2_b64 vcc, exec, s[0:1]
	s_cbranch_vccnz .LBB80_1538
; %bb.1537:
	global_load_ubyte v2, v[2:3], off
	s_waitcnt vmcnt(0)
	v_cvt_f64_u32_e32 v[4:5], v2
.LBB80_1538:
	s_mov_b64 s[10:11], -1
.LBB80_1539:
	s_andn2_b64 vcc, exec, s[10:11]
	s_cbranch_vccnz .LBB80_1973
; %bb.1540:
	s_mov_b32 s0, 0x652b82fe
	s_mov_b32 s1, 0x3ff71547
	s_waitcnt vmcnt(0)
	v_mul_f64 v[2:3], v[0:1], s[0:1]
	s_mov_b32 s0, 0xfefa39ef
	v_rndne_f64_e32 v[2:3], v[2:3]
	s_mov_b32 s1, 0xbfe62e42
	v_fma_f64 v[12:13], s[0:1], v[2:3], v[0:1]
	s_mov_b32 s0, 0x3b39803f
	s_mov_b32 s1, 0xbc7abc9e
	v_fmac_f64_e32 v[12:13], s[0:1], v[2:3]
	s_mov_b32 s0, 0x6a5dcb37
	v_mov_b32_e32 v14, 0xfca7ab0c
	v_mov_b32_e32 v15, 0x3e928af3
	s_mov_b32 s1, 0x3e5ade15
	v_fmac_f64_e32 v[14:15], s[0:1], v[12:13]
	v_mov_b32_e32 v16, 0x623fde64
	v_mov_b32_e32 v17, 0x3ec71dee
	v_fmac_f64_e32 v[16:17], v[12:13], v[14:15]
	v_mov_b32_e32 v14, 0x7c89e6b0
	v_mov_b32_e32 v15, 0x3efa0199
	;; [unrolled: 3-line block ×8, first 2 shown]
	s_mov_b32 s0, 0
	v_fmac_f64_e32 v[14:15], v[12:13], v[16:17]
	s_mov_b32 s1, 0x40900000
	v_fma_f64 v[14:15], v[12:13], v[14:15], 1.0
	v_cmp_nlt_f64_e32 vcc, s[0:1], v[0:1]
	s_mov_b32 s0, 0
	v_fma_f64 v[12:13], v[12:13], v[14:15], 1.0
	v_cvt_i32_f64_e32 v2, v[2:3]
	s_mov_b32 s1, 0xc090cc00
	v_ldexp_f64 v[2:3], v[12:13], v2
	v_mov_b32_e32 v11, 0x7ff00000
	v_cmp_ngt_f64_e64 s[0:1], s[0:1], v[0:1]
	v_mul_lo_u32 v10, s8, v10
	v_cndmask_b32_e32 v3, v11, v3, vcc
	s_and_b64 vcc, s[0:1], vcc
	v_ashrrev_i32_e32 v11, 31, v10
	s_and_b32 s20, s33, 0xff
	v_cndmask_b32_e64 v1, 0, v3, s[0:1]
	v_cndmask_b32_e32 v0, 0, v2, vcc
	s_cmp_lt_i32 s20, 11
	v_lshl_add_u64 v[12:13], s[4:5], 0, v[10:11]
	s_cbranch_scc1 .LBB80_1618
; %bb.1541:
	s_and_b32 s9, 0xffff, s20
	s_mov_b64 s[16:17], -1
	s_mov_b64 s[6:7], 0
	s_cmp_gt_i32 s9, 25
	s_mov_b64 s[10:11], 0
	s_mov_b64 s[0:1], 0
	s_cbranch_scc0 .LBB80_1574
; %bb.1542:
	s_cmp_gt_i32 s9, 28
	s_cbranch_scc0 .LBB80_1557
; %bb.1543:
	s_cmp_gt_i32 s9, 43
	s_cbranch_scc0 .LBB80_1553
; %bb.1544:
	s_cmp_gt_i32 s9, 45
	s_cbranch_scc0 .LBB80_1547
; %bb.1545:
	s_mov_b64 s[0:1], -1
	s_mov_b64 s[16:17], 0
	s_cmp_eq_u32 s9, 46
	s_cbranch_scc0 .LBB80_1547
; %bb.1546:
	v_cvt_f32_f64_e32 v2, v[0:1]
	v_bfe_u32 v3, v2, 16, 1
	s_movk_i32 s0, 0x7fff
	v_add3_u32 v3, v2, v3, s0
	v_cmp_o_f32_e32 vcc, v2, v2
	v_mov_b32_e32 v2, 0x7fc0
	s_mov_b64 s[0:1], 0
	v_cndmask_b32_sdwa v2, v2, v3, vcc dst_sel:DWORD dst_unused:UNUSED_PAD src0_sel:DWORD src1_sel:WORD_1
	global_store_dword v[12:13], v2, off
	s_mov_b64 s[10:11], -1
.LBB80_1547:
	s_and_b64 vcc, exec, s[16:17]
	s_cbranch_vccz .LBB80_1552
; %bb.1548:
	s_cmp_eq_u32 s9, 44
	s_mov_b64 s[0:1], -1
	s_cbranch_scc0 .LBB80_1552
; %bb.1549:
	v_cvt_f32_f64_e32 v2, v[0:1]
	v_bfe_u32 v3, v2, 23, 8
	s_movk_i32 s0, 0xff
	v_cmp_ne_u32_e32 vcc, s0, v3
	v_mov_b32_e32 v11, 0xff
	s_and_saveexec_b64 s[10:11], vcc
; %bb.1550:
	s_mov_b32 s0, 0x3fffff
	v_lshrrev_b32_e32 v11, 23, v2
	v_and_b32_e32 v14, 0x400000, v2
	v_and_or_b32 v2, v2, s0, v3
	v_cmp_ne_u32_e32 vcc, 0, v14
	v_cmp_ne_u32_e64 s[0:1], 0, v2
	s_and_b64 s[0:1], vcc, s[0:1]
	s_nop 0
	v_cndmask_b32_e64 v2, 0, 1, s[0:1]
	v_add_u32_e32 v11, v11, v2
; %bb.1551:
	s_or_b64 exec, exec, s[10:11]
	s_mov_b64 s[0:1], 0
	s_mov_b64 s[10:11], -1
	global_store_byte v[12:13], v11, off
.LBB80_1552:
	s_mov_b64 s[16:17], 0
.LBB80_1553:
	s_and_b64 vcc, exec, s[16:17]
	s_cbranch_vccz .LBB80_1556
; %bb.1554:
	s_cmp_eq_u32 s9, 29
	s_mov_b64 s[0:1], -1
	s_cbranch_scc0 .LBB80_1556
; %bb.1555:
	v_trunc_f64_e32 v[2:3], v[0:1]
	s_movk_i32 s0, 0xffe0
	v_ldexp_f64 v[14:15], v[2:3], s0
	v_floor_f64_e32 v[14:15], v[14:15]
	v_fmac_f64_e32 v[2:3], 0xc1f00000, v[14:15]
	v_cvt_u32_f64_e32 v17, v[14:15]
	v_cvt_u32_f64_e32 v16, v[2:3]
	global_store_dwordx2 v[12:13], v[16:17], off
	s_mov_b64 s[0:1], 0
	s_mov_b64 s[10:11], -1
.LBB80_1556:
	s_mov_b64 s[16:17], 0
.LBB80_1557:
	s_and_b64 vcc, exec, s[16:17]
	s_cbranch_vccz .LBB80_1573
; %bb.1558:
	s_cmp_lt_i32 s9, 27
	s_mov_b64 s[10:11], -1
	s_cbranch_scc1 .LBB80_1564
; %bb.1559:
	s_cmp_gt_i32 s9, 27
	v_cvt_u32_f64_e32 v2, v[0:1]
	s_cbranch_scc0 .LBB80_1561
; %bb.1560:
	s_mov_b64 s[10:11], 0
	global_store_dword v[12:13], v2, off
.LBB80_1561:
	s_andn2_b64 vcc, exec, s[10:11]
	s_cbranch_vccnz .LBB80_1563
; %bb.1562:
	global_store_short v[12:13], v2, off
.LBB80_1563:
	s_mov_b64 s[10:11], 0
.LBB80_1564:
	s_andn2_b64 vcc, exec, s[10:11]
	s_cbranch_vccnz .LBB80_1572
; %bb.1565:
	v_cvt_f32_f64_e32 v2, v[0:1]
	v_and_b32_e32 v3, 0x7fffffff, v2
	s_mov_b32 s10, 0x43800000
	v_cmp_gt_u32_e32 vcc, s10, v3
	v_mov_b32_e32 v11, 0x80
	s_and_saveexec_b64 s[10:11], vcc
	s_cbranch_execz .LBB80_1571
; %bb.1566:
	s_mov_b32 s16, 0x3bffffff
	v_cmp_lt_u32_e32 vcc, s16, v3
	s_mov_b64 s[16:17], 0
                                        ; implicit-def: $vgpr3
	s_and_saveexec_b64 s[18:19], vcc
	s_xor_b64 s[18:19], exec, s[18:19]
	s_cbranch_execz .LBB80_2020
; %bb.1567:
	v_bfe_u32 v3, v2, 20, 1
	s_mov_b32 s21, 0x487ffff
	v_add3_u32 v3, v2, v3, s21
	s_mov_b64 s[16:17], exec
	v_lshrrev_b32_e32 v3, 20, v3
	s_andn2_saveexec_b64 s[18:19], s[18:19]
	s_cbranch_execnz .LBB80_2021
.LBB80_1568:
	s_or_b64 exec, exec, s[18:19]
	v_mov_b32_e32 v11, 0
	s_and_saveexec_b64 s[18:19], s[16:17]
.LBB80_1569:
	v_lshrrev_b32_e32 v2, 24, v2
	s_movk_i32 s16, 0x80
	v_and_or_b32 v11, v2, s16, v3
.LBB80_1570:
	s_or_b64 exec, exec, s[18:19]
.LBB80_1571:
	s_or_b64 exec, exec, s[10:11]
	global_store_byte v[12:13], v11, off
.LBB80_1572:
	s_mov_b64 s[10:11], -1
.LBB80_1573:
	s_mov_b64 s[16:17], 0
.LBB80_1574:
	s_and_b64 vcc, exec, s[16:17]
	s_cbranch_vccz .LBB80_1614
; %bb.1575:
	s_cmp_gt_i32 s9, 22
	s_mov_b64 s[6:7], -1
	s_cbranch_scc0 .LBB80_1607
; %bb.1576:
	s_cmp_lt_i32 s9, 24
	s_cbranch_scc1 .LBB80_1596
; %bb.1577:
	s_cmp_gt_i32 s9, 24
	s_cbranch_scc0 .LBB80_1585
; %bb.1578:
	v_cvt_f32_f64_e32 v2, v[0:1]
	v_and_b32_e32 v3, 0x7fffffff, v2
	s_mov_b32 s6, 0x47800000
	v_cmp_gt_u32_e32 vcc, s6, v3
	v_mov_b32_e32 v11, 0x80
	s_and_saveexec_b64 s[6:7], vcc
	s_cbranch_execz .LBB80_1584
; %bb.1579:
	s_mov_b32 s10, 0x37ffffff
	v_cmp_lt_u32_e32 vcc, s10, v3
	s_mov_b64 s[10:11], 0
                                        ; implicit-def: $vgpr3
	s_and_saveexec_b64 s[16:17], vcc
	s_xor_b64 s[16:17], exec, s[16:17]
	s_cbranch_execz .LBB80_2023
; %bb.1580:
	v_bfe_u32 v3, v2, 21, 1
	s_mov_b32 s18, 0x88fffff
	v_add3_u32 v3, v2, v3, s18
	s_mov_b64 s[10:11], exec
	v_lshrrev_b32_e32 v3, 21, v3
	s_andn2_saveexec_b64 s[16:17], s[16:17]
	s_cbranch_execnz .LBB80_2024
.LBB80_1581:
	s_or_b64 exec, exec, s[16:17]
	v_mov_b32_e32 v11, 0
	s_and_saveexec_b64 s[16:17], s[10:11]
.LBB80_1582:
	v_lshrrev_b32_e32 v2, 24, v2
	s_movk_i32 s10, 0x80
	v_and_or_b32 v11, v2, s10, v3
.LBB80_1583:
	s_or_b64 exec, exec, s[16:17]
.LBB80_1584:
	s_or_b64 exec, exec, s[6:7]
	s_mov_b64 s[6:7], 0
	global_store_byte v[12:13], v11, off
.LBB80_1585:
	s_and_b64 vcc, exec, s[6:7]
	s_cbranch_vccz .LBB80_1595
; %bb.1586:
	v_cvt_f32_f64_e32 v2, v[0:1]
	v_and_b32_e32 v11, 0x7fffffff, v2
	s_mov_b32 s6, 0x43f00000
	v_cmp_gt_u32_e32 vcc, s6, v11
                                        ; implicit-def: $vgpr3
	s_and_saveexec_b64 s[6:7], vcc
	s_xor_b64 s[6:7], exec, s[6:7]
	s_cbranch_execz .LBB80_1592
; %bb.1587:
	s_mov_b32 s10, 0x3c7fffff
	v_cmp_lt_u32_e32 vcc, s10, v11
                                        ; implicit-def: $vgpr3
	s_and_saveexec_b64 s[10:11], vcc
	s_xor_b64 s[10:11], exec, s[10:11]
; %bb.1588:
	v_bfe_u32 v3, v2, 20, 1
	s_mov_b32 s16, 0x407ffff
	v_add3_u32 v3, v2, v3, s16
	v_lshrrev_b32_e32 v11, 20, v3
	v_and_b32_e32 v3, 0xff00000, v3
	s_mov_b32 s16, 0x7f00000
	v_mov_b32_e32 v14, 0x7e
	v_cmp_ne_u32_e32 vcc, s16, v3
	s_nop 1
	v_cndmask_b32_e32 v3, v14, v11, vcc
; %bb.1589:
	s_andn2_saveexec_b64 s[10:11], s[10:11]
; %bb.1590:
	s_mov_b32 s16, 0x46800000
	v_add_f32_e64 v3, |v2|, s16
; %bb.1591:
	s_or_b64 exec, exec, s[10:11]
                                        ; implicit-def: $vgpr11
.LBB80_1592:
	s_andn2_saveexec_b64 s[6:7], s[6:7]
; %bb.1593:
	s_mov_b32 s10, 0x7f800000
	v_mov_b32_e32 v3, 0x7e
	v_mov_b32_e32 v14, 0x7f
	v_cmp_lt_u32_e32 vcc, s10, v11
	s_nop 1
	v_cndmask_b32_e32 v3, v3, v14, vcc
; %bb.1594:
	s_or_b64 exec, exec, s[6:7]
	v_lshrrev_b32_e32 v2, 24, v2
	s_movk_i32 s6, 0x80
	v_and_or_b32 v2, v2, s6, v3
	global_store_byte v[12:13], v2, off
.LBB80_1595:
	s_mov_b64 s[6:7], 0
.LBB80_1596:
	s_andn2_b64 vcc, exec, s[6:7]
	s_cbranch_vccnz .LBB80_1606
; %bb.1597:
	v_cvt_f32_f64_e32 v2, v[0:1]
	v_and_b32_e32 v11, 0x7fffffff, v2
	s_mov_b32 s6, 0x47800000
	v_cmp_gt_u32_e32 vcc, s6, v11
                                        ; implicit-def: $vgpr3
	s_and_saveexec_b64 s[6:7], vcc
	s_xor_b64 s[6:7], exec, s[6:7]
	s_cbranch_execz .LBB80_1603
; %bb.1598:
	s_mov_b32 s10, 0x387fffff
	v_cmp_lt_u32_e32 vcc, s10, v11
                                        ; implicit-def: $vgpr3
	s_and_saveexec_b64 s[10:11], vcc
	s_xor_b64 s[10:11], exec, s[10:11]
; %bb.1599:
	v_bfe_u32 v3, v2, 21, 1
	s_mov_b32 s16, 0x80fffff
	v_add3_u32 v3, v2, v3, s16
	v_lshrrev_b32_e32 v3, 21, v3
; %bb.1600:
	s_andn2_saveexec_b64 s[10:11], s[10:11]
; %bb.1601:
	s_mov_b32 s16, 0x43000000
	v_add_f32_e64 v3, |v2|, s16
; %bb.1602:
	s_or_b64 exec, exec, s[10:11]
                                        ; implicit-def: $vgpr11
.LBB80_1603:
	s_andn2_saveexec_b64 s[6:7], s[6:7]
; %bb.1604:
	s_mov_b32 s10, 0x7f800000
	v_mov_b32_e32 v3, 0x7c
	v_mov_b32_e32 v14, 0x7f
	v_cmp_lt_u32_e32 vcc, s10, v11
	s_nop 1
	v_cndmask_b32_e32 v3, v3, v14, vcc
; %bb.1605:
	s_or_b64 exec, exec, s[6:7]
	v_lshrrev_b32_e32 v2, 24, v2
	s_movk_i32 s6, 0x80
	v_and_or_b32 v2, v2, s6, v3
	global_store_byte v[12:13], v2, off
.LBB80_1606:
	s_mov_b64 s[6:7], 0
	s_mov_b64 s[10:11], -1
.LBB80_1607:
	s_andn2_b64 vcc, exec, s[6:7]
	s_mov_b64 s[6:7], 0
	s_cbranch_vccnz .LBB80_1614
; %bb.1608:
	s_cmp_gt_i32 s9, 14
	s_mov_b64 s[16:17], -1
	s_cbranch_scc0 .LBB80_1612
; %bb.1609:
	s_cmp_eq_u32 s9, 15
	s_mov_b64 s[0:1], -1
	s_cbranch_scc0 .LBB80_1611
; %bb.1610:
	v_cvt_f32_f64_e32 v2, v[0:1]
	v_bfe_u32 v3, v2, 16, 1
	s_movk_i32 s0, 0x7fff
	v_add3_u32 v3, v2, v3, s0
	v_cmp_o_f32_e32 vcc, v2, v2
	v_mov_b32_e32 v2, 0x7fc0
	s_mov_b64 s[0:1], 0
	v_cndmask_b32_sdwa v2, v2, v3, vcc dst_sel:DWORD dst_unused:UNUSED_PAD src0_sel:DWORD src1_sel:WORD_1
	global_store_short v[12:13], v2, off
	s_mov_b64 s[10:11], -1
.LBB80_1611:
	s_mov_b64 s[16:17], 0
.LBB80_1612:
	s_and_b64 vcc, exec, s[16:17]
	s_cbranch_vccz .LBB80_1614
; %bb.1613:
	s_cmp_lg_u32 s9, 11
	s_mov_b64 s[6:7], -1
	s_cselect_b64 s[0:1], -1, 0
.LBB80_1614:
	s_and_b64 vcc, exec, s[0:1]
	s_cbranch_vccnz .LBB80_2022
; %bb.1615:
	s_andn2_b64 vcc, exec, s[6:7]
	s_cbranch_vccnz .LBB80_1617
.LBB80_1616:
	v_cmp_neq_f64_e32 vcc, 0, v[0:1]
	s_mov_b64 s[10:11], -1
	s_nop 0
	v_cndmask_b32_e64 v2, 0, 1, vcc
	global_store_byte v[12:13], v2, off
.LBB80_1617:
	s_mov_b64 s[0:1], 0
	s_branch .LBB80_1619
.LBB80_1618:
	s_mov_b64 s[0:1], -1
	s_mov_b64 s[10:11], 0
.LBB80_1619:
	s_and_b64 vcc, exec, s[0:1]
	s_cbranch_vccz .LBB80_1658
; %bb.1620:
	s_and_b32 s6, 0xffff, s20
	s_cmp_lt_i32 s6, 5
	s_mov_b64 s[0:1], -1
	s_cbranch_scc1 .LBB80_1641
; %bb.1621:
	s_cmp_lt_i32 s6, 8
	s_cbranch_scc1 .LBB80_1631
; %bb.1622:
	s_cmp_lt_i32 s6, 9
	s_cbranch_scc1 .LBB80_1628
; %bb.1623:
	s_cmp_gt_i32 s6, 9
	s_cbranch_scc0 .LBB80_1625
; %bb.1624:
	v_mov_b32_e32 v2, 0
	v_mov_b32_e32 v3, v2
	global_store_dwordx4 v[12:13], v[0:3], off
	s_mov_b64 s[0:1], 0
.LBB80_1625:
	s_andn2_b64 vcc, exec, s[0:1]
	s_cbranch_vccnz .LBB80_1627
; %bb.1626:
	v_cvt_f32_f64_e32 v2, v[0:1]
	v_mov_b32_e32 v3, 0
	global_store_dwordx2 v[12:13], v[2:3], off
.LBB80_1627:
	s_mov_b64 s[0:1], 0
.LBB80_1628:
	s_andn2_b64 vcc, exec, s[0:1]
	s_cbranch_vccnz .LBB80_1630
; %bb.1629:
	s_movk_i32 s0, 0x1ff
	v_and_or_b32 v2, v1, s0, v0
	v_cmp_ne_u32_e32 vcc, 0, v2
	v_lshrrev_b32_e32 v3, 8, v1
	s_movk_i32 s0, 0xffe
	v_cndmask_b32_e64 v2, 0, 1, vcc
	v_bfe_u32 v11, v1, 20, 11
	v_and_or_b32 v2, v3, s0, v2
	v_sub_u32_e32 v14, 0x3f1, v11
	v_or_b32_e32 v3, 0x1000, v2
	v_med3_i32 v14, v14, 0, 13
	v_lshrrev_b32_e32 v15, v14, v3
	v_lshlrev_b32_e32 v14, v14, v15
	v_cmp_ne_u32_e32 vcc, v14, v3
	v_add_u32_e32 v11, 0xfffffc10, v11
	v_lshl_or_b32 v14, v11, 12, v2
	v_cndmask_b32_e64 v3, 0, 1, vcc
	v_or_b32_e32 v3, v15, v3
	v_cmp_gt_i32_e32 vcc, 1, v11
	s_movk_i32 s0, 0x40f
	s_nop 0
	v_cndmask_b32_e32 v3, v14, v3, vcc
	v_and_b32_e32 v14, 7, v3
	v_cmp_lt_i32_e32 vcc, 5, v14
	v_lshrrev_b32_e32 v3, 2, v3
	s_nop 0
	v_cndmask_b32_e64 v15, 0, 1, vcc
	v_cmp_eq_u32_e32 vcc, 3, v14
	s_nop 1
	v_cndmask_b32_e64 v14, 0, 1, vcc
	v_or_b32_e32 v14, v14, v15
	v_add_u32_e32 v3, v3, v14
	v_mov_b32_e32 v14, 0x7c00
	v_cmp_gt_i32_e32 vcc, 31, v11
	v_mov_b32_e32 v15, 0x7e00
	s_nop 0
	v_cndmask_b32_e32 v3, v14, v3, vcc
	v_cmp_ne_u32_e32 vcc, 0, v2
	s_nop 1
	v_cndmask_b32_e32 v2, v14, v15, vcc
	v_cmp_eq_u32_e32 vcc, s0, v11
	s_mov_b32 s0, 0x8000
	s_nop 0
	v_cndmask_b32_e32 v2, v3, v2, vcc
	v_and_b32_sdwa v3, v1, s0 dst_sel:DWORD dst_unused:UNUSED_PAD src0_sel:WORD_1 src1_sel:DWORD
	s_mov_b32 s0, 0xffff
	v_bitop3_b32 v2, v3, s0, v2 bitop3:0xc8
	global_store_dword v[12:13], v2, off
.LBB80_1630:
	s_mov_b64 s[0:1], 0
.LBB80_1631:
	s_andn2_b64 vcc, exec, s[0:1]
	s_cbranch_vccnz .LBB80_1640
; %bb.1632:
	s_cmp_lt_i32 s6, 6
	s_mov_b64 s[0:1], -1
	s_cbranch_scc1 .LBB80_1638
; %bb.1633:
	s_cmp_gt_i32 s6, 6
	s_cbranch_scc0 .LBB80_1635
; %bb.1634:
	global_store_dwordx2 v[12:13], v[0:1], off
	s_mov_b64 s[0:1], 0
.LBB80_1635:
	s_andn2_b64 vcc, exec, s[0:1]
	s_cbranch_vccnz .LBB80_1637
; %bb.1636:
	v_cvt_f32_f64_e32 v2, v[0:1]
	global_store_dword v[12:13], v2, off
.LBB80_1637:
	s_mov_b64 s[0:1], 0
.LBB80_1638:
	s_andn2_b64 vcc, exec, s[0:1]
	s_cbranch_vccnz .LBB80_1640
; %bb.1639:
	s_movk_i32 s0, 0x1ff
	v_and_or_b32 v2, v1, s0, v0
	v_cmp_ne_u32_e32 vcc, 0, v2
	v_lshrrev_b32_e32 v3, 8, v1
	s_movk_i32 s0, 0xffe
	v_cndmask_b32_e64 v2, 0, 1, vcc
	v_bfe_u32 v11, v1, 20, 11
	v_and_or_b32 v2, v3, s0, v2
	v_sub_u32_e32 v14, 0x3f1, v11
	v_or_b32_e32 v3, 0x1000, v2
	v_med3_i32 v14, v14, 0, 13
	v_lshrrev_b32_e32 v15, v14, v3
	v_lshlrev_b32_e32 v14, v14, v15
	v_cmp_ne_u32_e32 vcc, v14, v3
	v_add_u32_e32 v11, 0xfffffc10, v11
	v_lshl_or_b32 v14, v11, 12, v2
	v_cndmask_b32_e64 v3, 0, 1, vcc
	v_or_b32_e32 v3, v15, v3
	v_cmp_gt_i32_e32 vcc, 1, v11
	s_movk_i32 s0, 0x40f
	s_nop 0
	v_cndmask_b32_e32 v3, v14, v3, vcc
	v_and_b32_e32 v14, 7, v3
	v_cmp_lt_i32_e32 vcc, 5, v14
	v_lshrrev_b32_e32 v3, 2, v3
	s_nop 0
	v_cndmask_b32_e64 v15, 0, 1, vcc
	v_cmp_eq_u32_e32 vcc, 3, v14
	s_nop 1
	v_cndmask_b32_e64 v14, 0, 1, vcc
	v_or_b32_e32 v14, v14, v15
	v_add_u32_e32 v3, v3, v14
	v_mov_b32_e32 v14, 0x7c00
	v_cmp_gt_i32_e32 vcc, 31, v11
	v_mov_b32_e32 v15, 0x7e00
	s_nop 0
	v_cndmask_b32_e32 v3, v14, v3, vcc
	v_cmp_ne_u32_e32 vcc, 0, v2
	s_nop 1
	v_cndmask_b32_e32 v2, v14, v15, vcc
	v_cmp_eq_u32_e32 vcc, s0, v11
	s_mov_b32 s0, 0x8000
	s_nop 0
	v_cndmask_b32_e32 v2, v3, v2, vcc
	v_lshrrev_b32_e32 v3, 16, v1
	v_and_or_b32 v2, v3, s0, v2
	global_store_short v[12:13], v2, off
.LBB80_1640:
	s_mov_b64 s[0:1], 0
.LBB80_1641:
	s_andn2_b64 vcc, exec, s[0:1]
	s_cbranch_vccnz .LBB80_1657
; %bb.1642:
	s_cmp_lt_i32 s6, 2
	s_mov_b64 s[0:1], -1
	s_cbranch_scc1 .LBB80_1652
; %bb.1643:
	s_cmp_lt_i32 s6, 3
	s_cbranch_scc1 .LBB80_1649
; %bb.1644:
	s_cmp_gt_i32 s6, 3
	s_cbranch_scc0 .LBB80_1646
; %bb.1645:
	v_trunc_f64_e32 v[2:3], v[0:1]
	s_movk_i32 s0, 0xffe0
	v_ldexp_f64 v[14:15], v[2:3], s0
	v_floor_f64_e32 v[14:15], v[14:15]
	v_fmac_f64_e32 v[2:3], 0xc1f00000, v[14:15]
	v_cvt_i32_f64_e32 v17, v[14:15]
	v_cvt_u32_f64_e32 v16, v[2:3]
	global_store_dwordx2 v[12:13], v[16:17], off
	s_mov_b64 s[0:1], 0
.LBB80_1646:
	s_andn2_b64 vcc, exec, s[0:1]
	s_cbranch_vccnz .LBB80_1648
; %bb.1647:
	v_cvt_i32_f64_e32 v2, v[0:1]
	global_store_dword v[12:13], v2, off
.LBB80_1648:
	s_mov_b64 s[0:1], 0
.LBB80_1649:
	s_andn2_b64 vcc, exec, s[0:1]
	s_cbranch_vccnz .LBB80_1651
; %bb.1650:
	v_cvt_i32_f64_e32 v2, v[0:1]
	global_store_short v[12:13], v2, off
.LBB80_1651:
	s_mov_b64 s[0:1], 0
.LBB80_1652:
	s_andn2_b64 vcc, exec, s[0:1]
	s_cbranch_vccnz .LBB80_1657
; %bb.1653:
	s_cmp_gt_i32 s6, 0
	s_mov_b64 s[0:1], -1
	s_cbranch_scc0 .LBB80_1655
; %bb.1654:
	v_cvt_i32_f64_e32 v2, v[0:1]
	global_store_byte v[12:13], v2, off
	s_mov_b64 s[0:1], 0
.LBB80_1655:
	s_andn2_b64 vcc, exec, s[0:1]
	s_cbranch_vccnz .LBB80_1657
; %bb.1656:
	v_trunc_f64_e32 v[0:1], v[0:1]
	s_movk_i32 s0, 0xffe0
	v_ldexp_f64 v[2:3], v[0:1], s0
	v_floor_f64_e32 v[2:3], v[2:3]
	v_fmac_f64_e32 v[0:1], 0xc1f00000, v[2:3]
	v_cvt_u32_f64_e32 v0, v[0:1]
	global_store_byte v[12:13], v0, off
.LBB80_1657:
	s_mov_b64 s[10:11], -1
.LBB80_1658:
	s_andn2_b64 vcc, exec, s[10:11]
	s_cbranch_vccnz .LBB80_1973
; %bb.1659:
	s_mov_b32 s0, 0x652b82fe
	s_mov_b32 s1, 0x3ff71547
	v_mul_f64 v[0:1], v[8:9], s[0:1]
	s_mov_b32 s0, 0xfefa39ef
	v_rndne_f64_e32 v[0:1], v[0:1]
	s_mov_b32 s1, 0xbfe62e42
	v_fma_f64 v[2:3], s[0:1], v[0:1], v[8:9]
	s_mov_b32 s0, 0x3b39803f
	s_mov_b32 s1, 0xbc7abc9e
	v_fmac_f64_e32 v[2:3], s[0:1], v[0:1]
	s_mov_b32 s0, 0x6a5dcb37
	v_mov_b32_e32 v12, 0xfca7ab0c
	v_mov_b32_e32 v13, 0x3e928af3
	s_mov_b32 s1, 0x3e5ade15
	v_fmac_f64_e32 v[12:13], s[0:1], v[2:3]
	v_mov_b32_e32 v14, 0x623fde64
	v_mov_b32_e32 v15, 0x3ec71dee
	v_fmac_f64_e32 v[14:15], v[2:3], v[12:13]
	v_mov_b32_e32 v12, 0x7c89e6b0
	v_mov_b32_e32 v13, 0x3efa0199
	v_fmac_f64_e32 v[12:13], v[2:3], v[14:15]
	v_mov_b32_e32 v14, 0x14761f6e
	v_mov_b32_e32 v15, 0x3f2a01a0
	v_fmac_f64_e32 v[14:15], v[2:3], v[12:13]
	v_mov_b32_e32 v12, 0x1852b7b0
	v_mov_b32_e32 v13, 0x3f56c16c
	v_fmac_f64_e32 v[12:13], v[2:3], v[14:15]
	v_mov_b32_e32 v14, 0x11122322
	v_mov_b32_e32 v15, 0x3f811111
	v_fmac_f64_e32 v[14:15], v[2:3], v[12:13]
	v_mov_b32_e32 v12, 0x555502a1
	v_mov_b32_e32 v13, 0x3fa55555
	v_fmac_f64_e32 v[12:13], v[2:3], v[14:15]
	v_mov_b32_e32 v14, 0x55555511
	v_mov_b32_e32 v15, 0x3fc55555
	v_fmac_f64_e32 v[14:15], v[2:3], v[12:13]
	v_mov_b32_e32 v12, 11
	v_mov_b32_e32 v13, 0x3fe00000
	s_mov_b32 s0, 0
	v_fmac_f64_e32 v[12:13], v[2:3], v[14:15]
	s_mov_b32 s1, 0x40900000
	v_fma_f64 v[12:13], v[2:3], v[12:13], 1.0
	v_cmp_nlt_f64_e32 vcc, s[0:1], v[8:9]
	s_mov_b32 s0, 0
	v_fma_f64 v[2:3], v[2:3], v[12:13], 1.0
	v_cvt_i32_f64_e32 v0, v[0:1]
	s_mov_b32 s1, 0xc090cc00
	s_lshl_b32 s18, s8, 7
	v_ldexp_f64 v[0:1], v[2:3], v0
	v_mov_b32_e32 v2, 0x7ff00000
	v_cmp_ngt_f64_e64 s[0:1], s[0:1], v[8:9]
	v_add_u32_e32 v8, s18, v10
	v_cndmask_b32_e32 v1, v2, v1, vcc
	s_and_b64 vcc, s[0:1], vcc
	v_ashrrev_i32_e32 v9, 31, v8
	v_cndmask_b32_e64 v1, 0, v1, s[0:1]
	v_cndmask_b32_e32 v0, 0, v0, vcc
	s_cmp_lt_i32 s20, 11
	v_lshl_add_u64 v[10:11], s[4:5], 0, v[8:9]
	s_cbranch_scc1 .LBB80_1737
; %bb.1660:
	s_and_b32 s19, 0xffff, s20
	s_mov_b64 s[10:11], -1
	s_mov_b64 s[6:7], 0
	s_cmp_gt_i32 s19, 25
	s_mov_b64 s[8:9], 0
	s_mov_b64 s[0:1], 0
	s_cbranch_scc0 .LBB80_1693
; %bb.1661:
	s_cmp_gt_i32 s19, 28
	s_cbranch_scc0 .LBB80_1676
; %bb.1662:
	s_cmp_gt_i32 s19, 43
	;; [unrolled: 3-line block ×3, first 2 shown]
	s_cbranch_scc0 .LBB80_1666
; %bb.1664:
	s_mov_b64 s[0:1], -1
	s_mov_b64 s[10:11], 0
	s_cmp_eq_u32 s19, 46
	s_cbranch_scc0 .LBB80_1666
; %bb.1665:
	v_cvt_f32_f64_e32 v2, v[0:1]
	v_bfe_u32 v3, v2, 16, 1
	s_movk_i32 s0, 0x7fff
	v_add3_u32 v3, v2, v3, s0
	v_cmp_o_f32_e32 vcc, v2, v2
	v_mov_b32_e32 v2, 0x7fc0
	s_mov_b64 s[0:1], 0
	v_cndmask_b32_sdwa v2, v2, v3, vcc dst_sel:DWORD dst_unused:UNUSED_PAD src0_sel:DWORD src1_sel:WORD_1
	global_store_dword v[10:11], v2, off
	s_mov_b64 s[8:9], -1
.LBB80_1666:
	s_and_b64 vcc, exec, s[10:11]
	s_cbranch_vccz .LBB80_1671
; %bb.1667:
	s_cmp_eq_u32 s19, 44
	s_mov_b64 s[0:1], -1
	s_cbranch_scc0 .LBB80_1671
; %bb.1668:
	v_cvt_f32_f64_e32 v2, v[0:1]
	v_bfe_u32 v3, v2, 23, 8
	s_movk_i32 s0, 0xff
	v_cmp_ne_u32_e32 vcc, s0, v3
	v_mov_b32_e32 v9, 0xff
	s_and_saveexec_b64 s[8:9], vcc
; %bb.1669:
	s_mov_b32 s0, 0x3fffff
	v_lshrrev_b32_e32 v9, 23, v2
	v_and_b32_e32 v12, 0x400000, v2
	v_and_or_b32 v2, v2, s0, v3
	v_cmp_ne_u32_e32 vcc, 0, v12
	v_cmp_ne_u32_e64 s[0:1], 0, v2
	s_and_b64 s[0:1], vcc, s[0:1]
	s_nop 0
	v_cndmask_b32_e64 v2, 0, 1, s[0:1]
	v_add_u32_e32 v9, v9, v2
; %bb.1670:
	s_or_b64 exec, exec, s[8:9]
	s_mov_b64 s[0:1], 0
	s_mov_b64 s[8:9], -1
	global_store_byte v[10:11], v9, off
.LBB80_1671:
	s_mov_b64 s[10:11], 0
.LBB80_1672:
	s_and_b64 vcc, exec, s[10:11]
	s_cbranch_vccz .LBB80_1675
; %bb.1673:
	s_cmp_eq_u32 s19, 29
	s_mov_b64 s[0:1], -1
	s_cbranch_scc0 .LBB80_1675
; %bb.1674:
	v_trunc_f64_e32 v[2:3], v[0:1]
	s_movk_i32 s0, 0xffe0
	v_ldexp_f64 v[12:13], v[2:3], s0
	v_floor_f64_e32 v[12:13], v[12:13]
	v_fmac_f64_e32 v[2:3], 0xc1f00000, v[12:13]
	v_cvt_u32_f64_e32 v15, v[12:13]
	v_cvt_u32_f64_e32 v14, v[2:3]
	global_store_dwordx2 v[10:11], v[14:15], off
	s_mov_b64 s[0:1], 0
	s_mov_b64 s[8:9], -1
.LBB80_1675:
	s_mov_b64 s[10:11], 0
.LBB80_1676:
	s_and_b64 vcc, exec, s[10:11]
	s_cbranch_vccz .LBB80_1692
; %bb.1677:
	s_cmp_lt_i32 s19, 27
	s_mov_b64 s[8:9], -1
	s_cbranch_scc1 .LBB80_1683
; %bb.1678:
	s_cmp_gt_i32 s19, 27
	v_cvt_u32_f64_e32 v2, v[0:1]
	s_cbranch_scc0 .LBB80_1680
; %bb.1679:
	s_mov_b64 s[8:9], 0
	global_store_dword v[10:11], v2, off
.LBB80_1680:
	s_andn2_b64 vcc, exec, s[8:9]
	s_cbranch_vccnz .LBB80_1682
; %bb.1681:
	global_store_short v[10:11], v2, off
.LBB80_1682:
	s_mov_b64 s[8:9], 0
.LBB80_1683:
	s_andn2_b64 vcc, exec, s[8:9]
	s_cbranch_vccnz .LBB80_1691
; %bb.1684:
	v_cvt_f32_f64_e32 v2, v[0:1]
	v_and_b32_e32 v3, 0x7fffffff, v2
	s_mov_b32 s8, 0x43800000
	v_cmp_gt_u32_e32 vcc, s8, v3
	v_mov_b32_e32 v9, 0x80
	s_and_saveexec_b64 s[8:9], vcc
	s_cbranch_execz .LBB80_1690
; %bb.1685:
	s_mov_b32 s10, 0x3bffffff
	v_cmp_lt_u32_e32 vcc, s10, v3
	s_mov_b64 s[10:11], 0
                                        ; implicit-def: $vgpr3
	s_and_saveexec_b64 s[16:17], vcc
	s_xor_b64 s[16:17], exec, s[16:17]
	s_cbranch_execz .LBB80_2025
; %bb.1686:
	v_bfe_u32 v3, v2, 20, 1
	s_mov_b32 s21, 0x487ffff
	v_add3_u32 v3, v2, v3, s21
	s_mov_b64 s[10:11], exec
	v_lshrrev_b32_e32 v3, 20, v3
	s_andn2_saveexec_b64 s[16:17], s[16:17]
	s_cbranch_execnz .LBB80_2026
.LBB80_1687:
	s_or_b64 exec, exec, s[16:17]
	v_mov_b32_e32 v9, 0
	s_and_saveexec_b64 s[16:17], s[10:11]
.LBB80_1688:
	v_lshrrev_b32_e32 v2, 24, v2
	s_movk_i32 s10, 0x80
	v_and_or_b32 v9, v2, s10, v3
.LBB80_1689:
	s_or_b64 exec, exec, s[16:17]
.LBB80_1690:
	s_or_b64 exec, exec, s[8:9]
	global_store_byte v[10:11], v9, off
.LBB80_1691:
	s_mov_b64 s[8:9], -1
.LBB80_1692:
	s_mov_b64 s[10:11], 0
.LBB80_1693:
	s_and_b64 vcc, exec, s[10:11]
	s_cbranch_vccz .LBB80_1733
; %bb.1694:
	s_cmp_gt_i32 s19, 22
	s_mov_b64 s[6:7], -1
	s_cbranch_scc0 .LBB80_1726
; %bb.1695:
	s_cmp_lt_i32 s19, 24
	s_cbranch_scc1 .LBB80_1715
; %bb.1696:
	s_cmp_gt_i32 s19, 24
	s_cbranch_scc0 .LBB80_1704
; %bb.1697:
	v_cvt_f32_f64_e32 v2, v[0:1]
	v_and_b32_e32 v3, 0x7fffffff, v2
	s_mov_b32 s6, 0x47800000
	v_cmp_gt_u32_e32 vcc, s6, v3
	v_mov_b32_e32 v9, 0x80
	s_and_saveexec_b64 s[6:7], vcc
	s_cbranch_execz .LBB80_1703
; %bb.1698:
	s_mov_b32 s8, 0x37ffffff
	v_cmp_lt_u32_e32 vcc, s8, v3
	s_mov_b64 s[8:9], 0
                                        ; implicit-def: $vgpr3
	s_and_saveexec_b64 s[10:11], vcc
	s_xor_b64 s[10:11], exec, s[10:11]
	s_cbranch_execz .LBB80_2028
; %bb.1699:
	v_bfe_u32 v3, v2, 21, 1
	s_mov_b32 s16, 0x88fffff
	v_add3_u32 v3, v2, v3, s16
	s_mov_b64 s[8:9], exec
	v_lshrrev_b32_e32 v3, 21, v3
	s_andn2_saveexec_b64 s[10:11], s[10:11]
	s_cbranch_execnz .LBB80_2029
.LBB80_1700:
	s_or_b64 exec, exec, s[10:11]
	v_mov_b32_e32 v9, 0
	s_and_saveexec_b64 s[10:11], s[8:9]
.LBB80_1701:
	v_lshrrev_b32_e32 v2, 24, v2
	s_movk_i32 s8, 0x80
	v_and_or_b32 v9, v2, s8, v3
.LBB80_1702:
	s_or_b64 exec, exec, s[10:11]
.LBB80_1703:
	s_or_b64 exec, exec, s[6:7]
	s_mov_b64 s[6:7], 0
	global_store_byte v[10:11], v9, off
.LBB80_1704:
	s_and_b64 vcc, exec, s[6:7]
	s_cbranch_vccz .LBB80_1714
; %bb.1705:
	v_cvt_f32_f64_e32 v2, v[0:1]
	v_and_b32_e32 v9, 0x7fffffff, v2
	s_mov_b32 s6, 0x43f00000
	v_cmp_gt_u32_e32 vcc, s6, v9
                                        ; implicit-def: $vgpr3
	s_and_saveexec_b64 s[6:7], vcc
	s_xor_b64 s[6:7], exec, s[6:7]
	s_cbranch_execz .LBB80_1711
; %bb.1706:
	s_mov_b32 s8, 0x3c7fffff
	v_cmp_lt_u32_e32 vcc, s8, v9
                                        ; implicit-def: $vgpr3
	s_and_saveexec_b64 s[8:9], vcc
	s_xor_b64 s[8:9], exec, s[8:9]
; %bb.1707:
	v_bfe_u32 v3, v2, 20, 1
	s_mov_b32 s10, 0x407ffff
	v_add3_u32 v3, v2, v3, s10
	v_lshrrev_b32_e32 v9, 20, v3
	v_and_b32_e32 v3, 0xff00000, v3
	s_mov_b32 s10, 0x7f00000
	v_mov_b32_e32 v12, 0x7e
	v_cmp_ne_u32_e32 vcc, s10, v3
	s_nop 1
	v_cndmask_b32_e32 v3, v12, v9, vcc
; %bb.1708:
	s_andn2_saveexec_b64 s[8:9], s[8:9]
; %bb.1709:
	s_mov_b32 s10, 0x46800000
	v_add_f32_e64 v3, |v2|, s10
; %bb.1710:
	s_or_b64 exec, exec, s[8:9]
                                        ; implicit-def: $vgpr9
.LBB80_1711:
	s_andn2_saveexec_b64 s[6:7], s[6:7]
; %bb.1712:
	s_mov_b32 s8, 0x7f800000
	v_mov_b32_e32 v3, 0x7e
	v_mov_b32_e32 v12, 0x7f
	v_cmp_lt_u32_e32 vcc, s8, v9
	s_nop 1
	v_cndmask_b32_e32 v3, v3, v12, vcc
; %bb.1713:
	s_or_b64 exec, exec, s[6:7]
	v_lshrrev_b32_e32 v2, 24, v2
	s_movk_i32 s6, 0x80
	v_and_or_b32 v2, v2, s6, v3
	global_store_byte v[10:11], v2, off
.LBB80_1714:
	s_mov_b64 s[6:7], 0
.LBB80_1715:
	s_andn2_b64 vcc, exec, s[6:7]
	s_cbranch_vccnz .LBB80_1725
; %bb.1716:
	v_cvt_f32_f64_e32 v2, v[0:1]
	v_and_b32_e32 v9, 0x7fffffff, v2
	s_mov_b32 s6, 0x47800000
	v_cmp_gt_u32_e32 vcc, s6, v9
                                        ; implicit-def: $vgpr3
	s_and_saveexec_b64 s[6:7], vcc
	s_xor_b64 s[6:7], exec, s[6:7]
	s_cbranch_execz .LBB80_1722
; %bb.1717:
	s_mov_b32 s8, 0x387fffff
	v_cmp_lt_u32_e32 vcc, s8, v9
                                        ; implicit-def: $vgpr3
	s_and_saveexec_b64 s[8:9], vcc
	s_xor_b64 s[8:9], exec, s[8:9]
; %bb.1718:
	v_bfe_u32 v3, v2, 21, 1
	s_mov_b32 s10, 0x80fffff
	v_add3_u32 v3, v2, v3, s10
	v_lshrrev_b32_e32 v3, 21, v3
; %bb.1719:
	s_andn2_saveexec_b64 s[8:9], s[8:9]
; %bb.1720:
	s_mov_b32 s10, 0x43000000
	v_add_f32_e64 v3, |v2|, s10
; %bb.1721:
	s_or_b64 exec, exec, s[8:9]
                                        ; implicit-def: $vgpr9
.LBB80_1722:
	s_andn2_saveexec_b64 s[6:7], s[6:7]
; %bb.1723:
	s_mov_b32 s8, 0x7f800000
	v_mov_b32_e32 v3, 0x7c
	v_mov_b32_e32 v12, 0x7f
	v_cmp_lt_u32_e32 vcc, s8, v9
	s_nop 1
	v_cndmask_b32_e32 v3, v3, v12, vcc
; %bb.1724:
	s_or_b64 exec, exec, s[6:7]
	v_lshrrev_b32_e32 v2, 24, v2
	s_movk_i32 s6, 0x80
	v_and_or_b32 v2, v2, s6, v3
	global_store_byte v[10:11], v2, off
.LBB80_1725:
	s_mov_b64 s[6:7], 0
	s_mov_b64 s[8:9], -1
.LBB80_1726:
	s_andn2_b64 vcc, exec, s[6:7]
	s_mov_b64 s[6:7], 0
	s_cbranch_vccnz .LBB80_1733
; %bb.1727:
	s_cmp_gt_i32 s19, 14
	s_mov_b64 s[10:11], -1
	s_cbranch_scc0 .LBB80_1731
; %bb.1728:
	s_cmp_eq_u32 s19, 15
	s_mov_b64 s[0:1], -1
	s_cbranch_scc0 .LBB80_1730
; %bb.1729:
	v_cvt_f32_f64_e32 v2, v[0:1]
	v_bfe_u32 v3, v2, 16, 1
	s_movk_i32 s0, 0x7fff
	v_add3_u32 v3, v2, v3, s0
	v_cmp_o_f32_e32 vcc, v2, v2
	v_mov_b32_e32 v2, 0x7fc0
	s_mov_b64 s[0:1], 0
	v_cndmask_b32_sdwa v2, v2, v3, vcc dst_sel:DWORD dst_unused:UNUSED_PAD src0_sel:DWORD src1_sel:WORD_1
	global_store_short v[10:11], v2, off
	s_mov_b64 s[8:9], -1
.LBB80_1730:
	s_mov_b64 s[10:11], 0
.LBB80_1731:
	s_and_b64 vcc, exec, s[10:11]
	s_cbranch_vccz .LBB80_1733
; %bb.1732:
	s_cmp_lg_u32 s19, 11
	s_mov_b64 s[6:7], -1
	s_cselect_b64 s[0:1], -1, 0
.LBB80_1733:
	s_and_b64 vcc, exec, s[0:1]
	s_cbranch_vccnz .LBB80_2027
; %bb.1734:
	s_andn2_b64 vcc, exec, s[6:7]
	s_cbranch_vccnz .LBB80_1736
.LBB80_1735:
	v_cmp_neq_f64_e32 vcc, 0, v[0:1]
	s_mov_b64 s[8:9], -1
	s_nop 0
	v_cndmask_b32_e64 v2, 0, 1, vcc
	global_store_byte v[10:11], v2, off
.LBB80_1736:
	s_mov_b64 s[0:1], 0
	s_branch .LBB80_1738
.LBB80_1737:
	s_mov_b64 s[0:1], -1
	s_mov_b64 s[8:9], 0
.LBB80_1738:
	s_and_b64 vcc, exec, s[0:1]
	s_cbranch_vccz .LBB80_1777
; %bb.1739:
	s_and_b32 s6, 0xffff, s20
	s_cmp_lt_i32 s6, 5
	s_mov_b64 s[0:1], -1
	s_cbranch_scc1 .LBB80_1760
; %bb.1740:
	s_cmp_lt_i32 s6, 8
	s_cbranch_scc1 .LBB80_1750
; %bb.1741:
	s_cmp_lt_i32 s6, 9
	s_cbranch_scc1 .LBB80_1747
; %bb.1742:
	s_cmp_gt_i32 s6, 9
	s_cbranch_scc0 .LBB80_1744
; %bb.1743:
	v_mov_b32_e32 v2, 0
	v_mov_b32_e32 v3, v2
	global_store_dwordx4 v[10:11], v[0:3], off
	s_mov_b64 s[0:1], 0
.LBB80_1744:
	s_andn2_b64 vcc, exec, s[0:1]
	s_cbranch_vccnz .LBB80_1746
; %bb.1745:
	v_cvt_f32_f64_e32 v2, v[0:1]
	v_mov_b32_e32 v3, 0
	global_store_dwordx2 v[10:11], v[2:3], off
.LBB80_1746:
	s_mov_b64 s[0:1], 0
.LBB80_1747:
	s_andn2_b64 vcc, exec, s[0:1]
	s_cbranch_vccnz .LBB80_1749
; %bb.1748:
	s_movk_i32 s0, 0x1ff
	v_and_or_b32 v2, v1, s0, v0
	v_cmp_ne_u32_e32 vcc, 0, v2
	v_lshrrev_b32_e32 v3, 8, v1
	s_movk_i32 s0, 0xffe
	v_cndmask_b32_e64 v2, 0, 1, vcc
	v_bfe_u32 v9, v1, 20, 11
	v_and_or_b32 v2, v3, s0, v2
	v_sub_u32_e32 v12, 0x3f1, v9
	v_or_b32_e32 v3, 0x1000, v2
	v_med3_i32 v12, v12, 0, 13
	v_lshrrev_b32_e32 v13, v12, v3
	v_lshlrev_b32_e32 v12, v12, v13
	v_cmp_ne_u32_e32 vcc, v12, v3
	v_add_u32_e32 v9, 0xfffffc10, v9
	v_lshl_or_b32 v12, v9, 12, v2
	v_cndmask_b32_e64 v3, 0, 1, vcc
	v_or_b32_e32 v3, v13, v3
	v_cmp_gt_i32_e32 vcc, 1, v9
	s_movk_i32 s0, 0x40f
	s_nop 0
	v_cndmask_b32_e32 v3, v12, v3, vcc
	v_and_b32_e32 v12, 7, v3
	v_cmp_lt_i32_e32 vcc, 5, v12
	v_lshrrev_b32_e32 v3, 2, v3
	s_nop 0
	v_cndmask_b32_e64 v13, 0, 1, vcc
	v_cmp_eq_u32_e32 vcc, 3, v12
	s_nop 1
	v_cndmask_b32_e64 v12, 0, 1, vcc
	v_or_b32_e32 v12, v12, v13
	v_add_u32_e32 v3, v3, v12
	v_mov_b32_e32 v12, 0x7c00
	v_cmp_gt_i32_e32 vcc, 31, v9
	v_mov_b32_e32 v13, 0x7e00
	s_nop 0
	v_cndmask_b32_e32 v3, v12, v3, vcc
	v_cmp_ne_u32_e32 vcc, 0, v2
	s_nop 1
	v_cndmask_b32_e32 v2, v12, v13, vcc
	v_cmp_eq_u32_e32 vcc, s0, v9
	s_mov_b32 s0, 0x8000
	s_nop 0
	v_cndmask_b32_e32 v2, v3, v2, vcc
	v_and_b32_sdwa v3, v1, s0 dst_sel:DWORD dst_unused:UNUSED_PAD src0_sel:WORD_1 src1_sel:DWORD
	s_mov_b32 s0, 0xffff
	v_bitop3_b32 v2, v3, s0, v2 bitop3:0xc8
	global_store_dword v[10:11], v2, off
.LBB80_1749:
	s_mov_b64 s[0:1], 0
.LBB80_1750:
	s_andn2_b64 vcc, exec, s[0:1]
	s_cbranch_vccnz .LBB80_1759
; %bb.1751:
	s_cmp_lt_i32 s6, 6
	s_mov_b64 s[0:1], -1
	s_cbranch_scc1 .LBB80_1757
; %bb.1752:
	s_cmp_gt_i32 s6, 6
	s_cbranch_scc0 .LBB80_1754
; %bb.1753:
	global_store_dwordx2 v[10:11], v[0:1], off
	s_mov_b64 s[0:1], 0
.LBB80_1754:
	s_andn2_b64 vcc, exec, s[0:1]
	s_cbranch_vccnz .LBB80_1756
; %bb.1755:
	v_cvt_f32_f64_e32 v2, v[0:1]
	global_store_dword v[10:11], v2, off
.LBB80_1756:
	s_mov_b64 s[0:1], 0
.LBB80_1757:
	s_andn2_b64 vcc, exec, s[0:1]
	s_cbranch_vccnz .LBB80_1759
; %bb.1758:
	s_movk_i32 s0, 0x1ff
	v_and_or_b32 v2, v1, s0, v0
	v_cmp_ne_u32_e32 vcc, 0, v2
	v_lshrrev_b32_e32 v3, 8, v1
	s_movk_i32 s0, 0xffe
	v_cndmask_b32_e64 v2, 0, 1, vcc
	v_bfe_u32 v9, v1, 20, 11
	v_and_or_b32 v2, v3, s0, v2
	v_sub_u32_e32 v12, 0x3f1, v9
	v_or_b32_e32 v3, 0x1000, v2
	v_med3_i32 v12, v12, 0, 13
	v_lshrrev_b32_e32 v13, v12, v3
	v_lshlrev_b32_e32 v12, v12, v13
	v_cmp_ne_u32_e32 vcc, v12, v3
	v_add_u32_e32 v9, 0xfffffc10, v9
	v_lshl_or_b32 v12, v9, 12, v2
	v_cndmask_b32_e64 v3, 0, 1, vcc
	v_or_b32_e32 v3, v13, v3
	v_cmp_gt_i32_e32 vcc, 1, v9
	s_movk_i32 s0, 0x40f
	s_nop 0
	v_cndmask_b32_e32 v3, v12, v3, vcc
	v_and_b32_e32 v12, 7, v3
	v_cmp_lt_i32_e32 vcc, 5, v12
	v_lshrrev_b32_e32 v3, 2, v3
	s_nop 0
	v_cndmask_b32_e64 v13, 0, 1, vcc
	v_cmp_eq_u32_e32 vcc, 3, v12
	s_nop 1
	v_cndmask_b32_e64 v12, 0, 1, vcc
	v_or_b32_e32 v12, v12, v13
	v_add_u32_e32 v3, v3, v12
	v_mov_b32_e32 v12, 0x7c00
	v_cmp_gt_i32_e32 vcc, 31, v9
	v_mov_b32_e32 v13, 0x7e00
	s_nop 0
	v_cndmask_b32_e32 v3, v12, v3, vcc
	v_cmp_ne_u32_e32 vcc, 0, v2
	s_nop 1
	v_cndmask_b32_e32 v2, v12, v13, vcc
	v_cmp_eq_u32_e32 vcc, s0, v9
	s_mov_b32 s0, 0x8000
	s_nop 0
	v_cndmask_b32_e32 v2, v3, v2, vcc
	v_lshrrev_b32_e32 v3, 16, v1
	v_and_or_b32 v2, v3, s0, v2
	global_store_short v[10:11], v2, off
.LBB80_1759:
	s_mov_b64 s[0:1], 0
.LBB80_1760:
	s_andn2_b64 vcc, exec, s[0:1]
	s_cbranch_vccnz .LBB80_1776
; %bb.1761:
	s_cmp_lt_i32 s6, 2
	s_mov_b64 s[0:1], -1
	s_cbranch_scc1 .LBB80_1771
; %bb.1762:
	s_cmp_lt_i32 s6, 3
	s_cbranch_scc1 .LBB80_1768
; %bb.1763:
	s_cmp_gt_i32 s6, 3
	s_cbranch_scc0 .LBB80_1765
; %bb.1764:
	v_trunc_f64_e32 v[2:3], v[0:1]
	s_movk_i32 s0, 0xffe0
	v_ldexp_f64 v[12:13], v[2:3], s0
	v_floor_f64_e32 v[12:13], v[12:13]
	v_fmac_f64_e32 v[2:3], 0xc1f00000, v[12:13]
	v_cvt_i32_f64_e32 v15, v[12:13]
	v_cvt_u32_f64_e32 v14, v[2:3]
	global_store_dwordx2 v[10:11], v[14:15], off
	s_mov_b64 s[0:1], 0
.LBB80_1765:
	s_andn2_b64 vcc, exec, s[0:1]
	s_cbranch_vccnz .LBB80_1767
; %bb.1766:
	v_cvt_i32_f64_e32 v2, v[0:1]
	global_store_dword v[10:11], v2, off
.LBB80_1767:
	s_mov_b64 s[0:1], 0
.LBB80_1768:
	s_andn2_b64 vcc, exec, s[0:1]
	s_cbranch_vccnz .LBB80_1770
; %bb.1769:
	v_cvt_i32_f64_e32 v2, v[0:1]
	global_store_short v[10:11], v2, off
.LBB80_1770:
	s_mov_b64 s[0:1], 0
.LBB80_1771:
	s_andn2_b64 vcc, exec, s[0:1]
	s_cbranch_vccnz .LBB80_1776
; %bb.1772:
	s_cmp_gt_i32 s6, 0
	s_mov_b64 s[0:1], -1
	s_cbranch_scc0 .LBB80_1774
; %bb.1773:
	v_cvt_i32_f64_e32 v2, v[0:1]
	global_store_byte v[10:11], v2, off
	s_mov_b64 s[0:1], 0
.LBB80_1774:
	s_andn2_b64 vcc, exec, s[0:1]
	s_cbranch_vccnz .LBB80_1776
; %bb.1775:
	v_trunc_f64_e32 v[0:1], v[0:1]
	s_movk_i32 s0, 0xffe0
	v_ldexp_f64 v[2:3], v[0:1], s0
	v_floor_f64_e32 v[2:3], v[2:3]
	v_fmac_f64_e32 v[0:1], 0xc1f00000, v[2:3]
	v_cvt_u32_f64_e32 v0, v[0:1]
	global_store_byte v[10:11], v0, off
.LBB80_1776:
	s_mov_b64 s[8:9], -1
.LBB80_1777:
	s_andn2_b64 vcc, exec, s[8:9]
	s_cbranch_vccnz .LBB80_1973
; %bb.1778:
	s_mov_b32 s0, 0x652b82fe
	s_mov_b32 s1, 0x3ff71547
	v_mul_f64 v[0:1], v[6:7], s[0:1]
	s_mov_b32 s0, 0xfefa39ef
	v_rndne_f64_e32 v[0:1], v[0:1]
	s_mov_b32 s1, 0xbfe62e42
	v_fma_f64 v[2:3], s[0:1], v[0:1], v[6:7]
	s_mov_b32 s0, 0x3b39803f
	s_mov_b32 s1, 0xbc7abc9e
	v_fmac_f64_e32 v[2:3], s[0:1], v[0:1]
	s_mov_b32 s0, 0x6a5dcb37
	v_mov_b32_e32 v10, 0xfca7ab0c
	v_mov_b32_e32 v11, 0x3e928af3
	s_mov_b32 s1, 0x3e5ade15
	v_fmac_f64_e32 v[10:11], s[0:1], v[2:3]
	v_mov_b32_e32 v12, 0x623fde64
	v_mov_b32_e32 v13, 0x3ec71dee
	v_fmac_f64_e32 v[12:13], v[2:3], v[10:11]
	v_mov_b32_e32 v10, 0x7c89e6b0
	v_mov_b32_e32 v11, 0x3efa0199
	;; [unrolled: 3-line block ×8, first 2 shown]
	s_mov_b32 s0, 0
	v_fmac_f64_e32 v[10:11], v[2:3], v[12:13]
	s_mov_b32 s1, 0x40900000
	v_fma_f64 v[10:11], v[2:3], v[10:11], 1.0
	v_cmp_nlt_f64_e32 vcc, s[0:1], v[6:7]
	s_mov_b32 s0, 0
	v_fma_f64 v[2:3], v[2:3], v[10:11], 1.0
	v_cvt_i32_f64_e32 v0, v[0:1]
	s_mov_b32 s1, 0xc090cc00
	v_ldexp_f64 v[0:1], v[2:3], v0
	v_mov_b32_e32 v2, 0x7ff00000
	v_cmp_ngt_f64_e64 s[0:1], s[0:1], v[6:7]
	v_add_u32_e32 v6, s18, v8
	v_cndmask_b32_e32 v1, v2, v1, vcc
	s_and_b64 vcc, s[0:1], vcc
	v_ashrrev_i32_e32 v7, 31, v6
	v_cndmask_b32_e64 v1, 0, v1, s[0:1]
	v_cndmask_b32_e32 v0, 0, v0, vcc
	s_cmp_lt_i32 s20, 11
	v_lshl_add_u64 v[8:9], s[4:5], 0, v[6:7]
	s_cbranch_scc1 .LBB80_1856
; %bb.1779:
	s_and_b32 s19, 0xffff, s20
	s_mov_b64 s[10:11], -1
	s_mov_b64 s[6:7], 0
	s_cmp_gt_i32 s19, 25
	s_mov_b64 s[8:9], 0
	s_mov_b64 s[0:1], 0
	s_cbranch_scc0 .LBB80_1812
; %bb.1780:
	s_cmp_gt_i32 s19, 28
	s_cbranch_scc0 .LBB80_1795
; %bb.1781:
	s_cmp_gt_i32 s19, 43
	;; [unrolled: 3-line block ×3, first 2 shown]
	s_cbranch_scc0 .LBB80_1785
; %bb.1783:
	s_mov_b64 s[0:1], -1
	s_mov_b64 s[10:11], 0
	s_cmp_eq_u32 s19, 46
	s_cbranch_scc0 .LBB80_1785
; %bb.1784:
	v_cvt_f32_f64_e32 v2, v[0:1]
	v_bfe_u32 v3, v2, 16, 1
	s_movk_i32 s0, 0x7fff
	v_add3_u32 v3, v2, v3, s0
	v_cmp_o_f32_e32 vcc, v2, v2
	v_mov_b32_e32 v2, 0x7fc0
	s_mov_b64 s[0:1], 0
	v_cndmask_b32_sdwa v2, v2, v3, vcc dst_sel:DWORD dst_unused:UNUSED_PAD src0_sel:DWORD src1_sel:WORD_1
	global_store_dword v[8:9], v2, off
	s_mov_b64 s[8:9], -1
.LBB80_1785:
	s_and_b64 vcc, exec, s[10:11]
	s_cbranch_vccz .LBB80_1790
; %bb.1786:
	s_cmp_eq_u32 s19, 44
	s_mov_b64 s[0:1], -1
	s_cbranch_scc0 .LBB80_1790
; %bb.1787:
	v_cvt_f32_f64_e32 v2, v[0:1]
	v_bfe_u32 v3, v2, 23, 8
	s_movk_i32 s0, 0xff
	v_cmp_ne_u32_e32 vcc, s0, v3
	v_mov_b32_e32 v7, 0xff
	s_and_saveexec_b64 s[8:9], vcc
; %bb.1788:
	s_mov_b32 s0, 0x3fffff
	v_lshrrev_b32_e32 v7, 23, v2
	v_and_b32_e32 v10, 0x400000, v2
	v_and_or_b32 v2, v2, s0, v3
	v_cmp_ne_u32_e32 vcc, 0, v10
	v_cmp_ne_u32_e64 s[0:1], 0, v2
	s_and_b64 s[0:1], vcc, s[0:1]
	s_nop 0
	v_cndmask_b32_e64 v2, 0, 1, s[0:1]
	v_add_u32_e32 v7, v7, v2
; %bb.1789:
	s_or_b64 exec, exec, s[8:9]
	s_mov_b64 s[0:1], 0
	s_mov_b64 s[8:9], -1
	global_store_byte v[8:9], v7, off
.LBB80_1790:
	s_mov_b64 s[10:11], 0
.LBB80_1791:
	s_and_b64 vcc, exec, s[10:11]
	s_cbranch_vccz .LBB80_1794
; %bb.1792:
	s_cmp_eq_u32 s19, 29
	s_mov_b64 s[0:1], -1
	s_cbranch_scc0 .LBB80_1794
; %bb.1793:
	v_trunc_f64_e32 v[2:3], v[0:1]
	s_movk_i32 s0, 0xffe0
	v_ldexp_f64 v[10:11], v[2:3], s0
	v_floor_f64_e32 v[10:11], v[10:11]
	v_fmac_f64_e32 v[2:3], 0xc1f00000, v[10:11]
	v_cvt_u32_f64_e32 v13, v[10:11]
	v_cvt_u32_f64_e32 v12, v[2:3]
	global_store_dwordx2 v[8:9], v[12:13], off
	s_mov_b64 s[0:1], 0
	s_mov_b64 s[8:9], -1
.LBB80_1794:
	s_mov_b64 s[10:11], 0
.LBB80_1795:
	s_and_b64 vcc, exec, s[10:11]
	s_cbranch_vccz .LBB80_1811
; %bb.1796:
	s_cmp_lt_i32 s19, 27
	s_mov_b64 s[8:9], -1
	s_cbranch_scc1 .LBB80_1802
; %bb.1797:
	s_cmp_gt_i32 s19, 27
	v_cvt_u32_f64_e32 v2, v[0:1]
	s_cbranch_scc0 .LBB80_1799
; %bb.1798:
	s_mov_b64 s[8:9], 0
	global_store_dword v[8:9], v2, off
.LBB80_1799:
	s_andn2_b64 vcc, exec, s[8:9]
	s_cbranch_vccnz .LBB80_1801
; %bb.1800:
	global_store_short v[8:9], v2, off
.LBB80_1801:
	s_mov_b64 s[8:9], 0
.LBB80_1802:
	s_andn2_b64 vcc, exec, s[8:9]
	s_cbranch_vccnz .LBB80_1810
; %bb.1803:
	v_cvt_f32_f64_e32 v2, v[0:1]
	v_and_b32_e32 v3, 0x7fffffff, v2
	s_mov_b32 s8, 0x43800000
	v_cmp_gt_u32_e32 vcc, s8, v3
	v_mov_b32_e32 v7, 0x80
	s_and_saveexec_b64 s[8:9], vcc
	s_cbranch_execz .LBB80_1809
; %bb.1804:
	s_mov_b32 s10, 0x3bffffff
	v_cmp_lt_u32_e32 vcc, s10, v3
	s_mov_b64 s[10:11], 0
                                        ; implicit-def: $vgpr3
	s_and_saveexec_b64 s[16:17], vcc
	s_xor_b64 s[16:17], exec, s[16:17]
	s_cbranch_execz .LBB80_2030
; %bb.1805:
	v_bfe_u32 v3, v2, 20, 1
	s_mov_b32 s21, 0x487ffff
	v_add3_u32 v3, v2, v3, s21
	s_mov_b64 s[10:11], exec
	v_lshrrev_b32_e32 v3, 20, v3
	s_andn2_saveexec_b64 s[16:17], s[16:17]
	s_cbranch_execnz .LBB80_2031
.LBB80_1806:
	s_or_b64 exec, exec, s[16:17]
	v_mov_b32_e32 v7, 0
	s_and_saveexec_b64 s[16:17], s[10:11]
.LBB80_1807:
	v_lshrrev_b32_e32 v2, 24, v2
	s_movk_i32 s10, 0x80
	v_and_or_b32 v7, v2, s10, v3
.LBB80_1808:
	s_or_b64 exec, exec, s[16:17]
.LBB80_1809:
	s_or_b64 exec, exec, s[8:9]
	global_store_byte v[8:9], v7, off
.LBB80_1810:
	s_mov_b64 s[8:9], -1
.LBB80_1811:
	s_mov_b64 s[10:11], 0
.LBB80_1812:
	s_and_b64 vcc, exec, s[10:11]
	s_cbranch_vccz .LBB80_1852
; %bb.1813:
	s_cmp_gt_i32 s19, 22
	s_mov_b64 s[6:7], -1
	s_cbranch_scc0 .LBB80_1845
; %bb.1814:
	s_cmp_lt_i32 s19, 24
	s_cbranch_scc1 .LBB80_1834
; %bb.1815:
	s_cmp_gt_i32 s19, 24
	s_cbranch_scc0 .LBB80_1823
; %bb.1816:
	v_cvt_f32_f64_e32 v2, v[0:1]
	v_and_b32_e32 v3, 0x7fffffff, v2
	s_mov_b32 s6, 0x47800000
	v_cmp_gt_u32_e32 vcc, s6, v3
	v_mov_b32_e32 v7, 0x80
	s_and_saveexec_b64 s[6:7], vcc
	s_cbranch_execz .LBB80_1822
; %bb.1817:
	s_mov_b32 s8, 0x37ffffff
	v_cmp_lt_u32_e32 vcc, s8, v3
	s_mov_b64 s[8:9], 0
                                        ; implicit-def: $vgpr3
	s_and_saveexec_b64 s[10:11], vcc
	s_xor_b64 s[10:11], exec, s[10:11]
	s_cbranch_execz .LBB80_2033
; %bb.1818:
	v_bfe_u32 v3, v2, 21, 1
	s_mov_b32 s16, 0x88fffff
	v_add3_u32 v3, v2, v3, s16
	s_mov_b64 s[8:9], exec
	v_lshrrev_b32_e32 v3, 21, v3
	s_andn2_saveexec_b64 s[10:11], s[10:11]
	s_cbranch_execnz .LBB80_2034
.LBB80_1819:
	s_or_b64 exec, exec, s[10:11]
	v_mov_b32_e32 v7, 0
	s_and_saveexec_b64 s[10:11], s[8:9]
.LBB80_1820:
	v_lshrrev_b32_e32 v2, 24, v2
	s_movk_i32 s8, 0x80
	v_and_or_b32 v7, v2, s8, v3
.LBB80_1821:
	s_or_b64 exec, exec, s[10:11]
.LBB80_1822:
	s_or_b64 exec, exec, s[6:7]
	s_mov_b64 s[6:7], 0
	global_store_byte v[8:9], v7, off
.LBB80_1823:
	s_and_b64 vcc, exec, s[6:7]
	s_cbranch_vccz .LBB80_1833
; %bb.1824:
	v_cvt_f32_f64_e32 v2, v[0:1]
	v_and_b32_e32 v7, 0x7fffffff, v2
	s_mov_b32 s6, 0x43f00000
	v_cmp_gt_u32_e32 vcc, s6, v7
                                        ; implicit-def: $vgpr3
	s_and_saveexec_b64 s[6:7], vcc
	s_xor_b64 s[6:7], exec, s[6:7]
	s_cbranch_execz .LBB80_1830
; %bb.1825:
	s_mov_b32 s8, 0x3c7fffff
	v_cmp_lt_u32_e32 vcc, s8, v7
                                        ; implicit-def: $vgpr3
	s_and_saveexec_b64 s[8:9], vcc
	s_xor_b64 s[8:9], exec, s[8:9]
; %bb.1826:
	v_bfe_u32 v3, v2, 20, 1
	s_mov_b32 s10, 0x407ffff
	v_add3_u32 v3, v2, v3, s10
	v_lshrrev_b32_e32 v7, 20, v3
	v_and_b32_e32 v3, 0xff00000, v3
	s_mov_b32 s10, 0x7f00000
	v_mov_b32_e32 v10, 0x7e
	v_cmp_ne_u32_e32 vcc, s10, v3
	s_nop 1
	v_cndmask_b32_e32 v3, v10, v7, vcc
; %bb.1827:
	s_andn2_saveexec_b64 s[8:9], s[8:9]
; %bb.1828:
	s_mov_b32 s10, 0x46800000
	v_add_f32_e64 v3, |v2|, s10
; %bb.1829:
	s_or_b64 exec, exec, s[8:9]
                                        ; implicit-def: $vgpr7
.LBB80_1830:
	s_andn2_saveexec_b64 s[6:7], s[6:7]
; %bb.1831:
	s_mov_b32 s8, 0x7f800000
	v_mov_b32_e32 v3, 0x7e
	v_mov_b32_e32 v10, 0x7f
	v_cmp_lt_u32_e32 vcc, s8, v7
	s_nop 1
	v_cndmask_b32_e32 v3, v3, v10, vcc
; %bb.1832:
	s_or_b64 exec, exec, s[6:7]
	v_lshrrev_b32_e32 v2, 24, v2
	s_movk_i32 s6, 0x80
	v_and_or_b32 v2, v2, s6, v3
	global_store_byte v[8:9], v2, off
.LBB80_1833:
	s_mov_b64 s[6:7], 0
.LBB80_1834:
	s_andn2_b64 vcc, exec, s[6:7]
	s_cbranch_vccnz .LBB80_1844
; %bb.1835:
	v_cvt_f32_f64_e32 v2, v[0:1]
	v_and_b32_e32 v7, 0x7fffffff, v2
	s_mov_b32 s6, 0x47800000
	v_cmp_gt_u32_e32 vcc, s6, v7
                                        ; implicit-def: $vgpr3
	s_and_saveexec_b64 s[6:7], vcc
	s_xor_b64 s[6:7], exec, s[6:7]
	s_cbranch_execz .LBB80_1841
; %bb.1836:
	s_mov_b32 s8, 0x387fffff
	v_cmp_lt_u32_e32 vcc, s8, v7
                                        ; implicit-def: $vgpr3
	s_and_saveexec_b64 s[8:9], vcc
	s_xor_b64 s[8:9], exec, s[8:9]
; %bb.1837:
	v_bfe_u32 v3, v2, 21, 1
	s_mov_b32 s10, 0x80fffff
	v_add3_u32 v3, v2, v3, s10
	v_lshrrev_b32_e32 v3, 21, v3
; %bb.1838:
	s_andn2_saveexec_b64 s[8:9], s[8:9]
; %bb.1839:
	s_mov_b32 s10, 0x43000000
	v_add_f32_e64 v3, |v2|, s10
; %bb.1840:
	s_or_b64 exec, exec, s[8:9]
                                        ; implicit-def: $vgpr7
.LBB80_1841:
	s_andn2_saveexec_b64 s[6:7], s[6:7]
; %bb.1842:
	s_mov_b32 s8, 0x7f800000
	v_mov_b32_e32 v3, 0x7c
	v_mov_b32_e32 v10, 0x7f
	v_cmp_lt_u32_e32 vcc, s8, v7
	s_nop 1
	v_cndmask_b32_e32 v3, v3, v10, vcc
; %bb.1843:
	s_or_b64 exec, exec, s[6:7]
	v_lshrrev_b32_e32 v2, 24, v2
	s_movk_i32 s6, 0x80
	v_and_or_b32 v2, v2, s6, v3
	global_store_byte v[8:9], v2, off
.LBB80_1844:
	s_mov_b64 s[6:7], 0
	s_mov_b64 s[8:9], -1
.LBB80_1845:
	s_andn2_b64 vcc, exec, s[6:7]
	s_mov_b64 s[6:7], 0
	s_cbranch_vccnz .LBB80_1852
; %bb.1846:
	s_cmp_gt_i32 s19, 14
	s_mov_b64 s[10:11], -1
	s_cbranch_scc0 .LBB80_1850
; %bb.1847:
	s_cmp_eq_u32 s19, 15
	s_mov_b64 s[0:1], -1
	s_cbranch_scc0 .LBB80_1849
; %bb.1848:
	v_cvt_f32_f64_e32 v2, v[0:1]
	v_bfe_u32 v3, v2, 16, 1
	s_movk_i32 s0, 0x7fff
	v_add3_u32 v3, v2, v3, s0
	v_cmp_o_f32_e32 vcc, v2, v2
	v_mov_b32_e32 v2, 0x7fc0
	s_mov_b64 s[0:1], 0
	v_cndmask_b32_sdwa v2, v2, v3, vcc dst_sel:DWORD dst_unused:UNUSED_PAD src0_sel:DWORD src1_sel:WORD_1
	global_store_short v[8:9], v2, off
	s_mov_b64 s[8:9], -1
.LBB80_1849:
	s_mov_b64 s[10:11], 0
.LBB80_1850:
	s_and_b64 vcc, exec, s[10:11]
	s_cbranch_vccz .LBB80_1852
; %bb.1851:
	s_cmp_lg_u32 s19, 11
	s_mov_b64 s[6:7], -1
	s_cselect_b64 s[0:1], -1, 0
.LBB80_1852:
	s_and_b64 vcc, exec, s[0:1]
	s_cbranch_vccnz .LBB80_2032
; %bb.1853:
	s_andn2_b64 vcc, exec, s[6:7]
	s_cbranch_vccnz .LBB80_1855
.LBB80_1854:
	v_cmp_neq_f64_e32 vcc, 0, v[0:1]
	s_mov_b64 s[8:9], -1
	s_nop 0
	v_cndmask_b32_e64 v2, 0, 1, vcc
	global_store_byte v[8:9], v2, off
.LBB80_1855:
	s_mov_b64 s[0:1], 0
	s_branch .LBB80_1857
.LBB80_1856:
	s_mov_b64 s[0:1], -1
	s_mov_b64 s[8:9], 0
.LBB80_1857:
	s_and_b64 vcc, exec, s[0:1]
	s_cbranch_vccz .LBB80_1896
; %bb.1858:
	s_and_b32 s6, 0xffff, s20
	s_cmp_lt_i32 s6, 5
	s_mov_b64 s[0:1], -1
	s_cbranch_scc1 .LBB80_1879
; %bb.1859:
	s_cmp_lt_i32 s6, 8
	s_cbranch_scc1 .LBB80_1869
; %bb.1860:
	s_cmp_lt_i32 s6, 9
	s_cbranch_scc1 .LBB80_1866
; %bb.1861:
	s_cmp_gt_i32 s6, 9
	s_cbranch_scc0 .LBB80_1863
; %bb.1862:
	v_mov_b32_e32 v2, 0
	v_mov_b32_e32 v3, v2
	global_store_dwordx4 v[8:9], v[0:3], off
	s_mov_b64 s[0:1], 0
.LBB80_1863:
	s_andn2_b64 vcc, exec, s[0:1]
	s_cbranch_vccnz .LBB80_1865
; %bb.1864:
	v_cvt_f32_f64_e32 v2, v[0:1]
	v_mov_b32_e32 v3, 0
	global_store_dwordx2 v[8:9], v[2:3], off
.LBB80_1865:
	s_mov_b64 s[0:1], 0
.LBB80_1866:
	s_andn2_b64 vcc, exec, s[0:1]
	s_cbranch_vccnz .LBB80_1868
; %bb.1867:
	s_movk_i32 s0, 0x1ff
	v_and_or_b32 v2, v1, s0, v0
	v_cmp_ne_u32_e32 vcc, 0, v2
	v_lshrrev_b32_e32 v3, 8, v1
	s_movk_i32 s0, 0xffe
	v_cndmask_b32_e64 v2, 0, 1, vcc
	v_bfe_u32 v7, v1, 20, 11
	v_and_or_b32 v2, v3, s0, v2
	v_sub_u32_e32 v10, 0x3f1, v7
	v_or_b32_e32 v3, 0x1000, v2
	v_med3_i32 v10, v10, 0, 13
	v_lshrrev_b32_e32 v11, v10, v3
	v_lshlrev_b32_e32 v10, v10, v11
	v_cmp_ne_u32_e32 vcc, v10, v3
	v_add_u32_e32 v7, 0xfffffc10, v7
	v_lshl_or_b32 v10, v7, 12, v2
	v_cndmask_b32_e64 v3, 0, 1, vcc
	v_or_b32_e32 v3, v11, v3
	v_cmp_gt_i32_e32 vcc, 1, v7
	s_movk_i32 s0, 0x40f
	s_nop 0
	v_cndmask_b32_e32 v3, v10, v3, vcc
	v_and_b32_e32 v10, 7, v3
	v_cmp_lt_i32_e32 vcc, 5, v10
	v_lshrrev_b32_e32 v3, 2, v3
	s_nop 0
	v_cndmask_b32_e64 v11, 0, 1, vcc
	v_cmp_eq_u32_e32 vcc, 3, v10
	s_nop 1
	v_cndmask_b32_e64 v10, 0, 1, vcc
	v_or_b32_e32 v10, v10, v11
	v_add_u32_e32 v3, v3, v10
	v_mov_b32_e32 v10, 0x7c00
	v_cmp_gt_i32_e32 vcc, 31, v7
	v_mov_b32_e32 v11, 0x7e00
	s_nop 0
	v_cndmask_b32_e32 v3, v10, v3, vcc
	v_cmp_ne_u32_e32 vcc, 0, v2
	s_nop 1
	v_cndmask_b32_e32 v2, v10, v11, vcc
	v_cmp_eq_u32_e32 vcc, s0, v7
	s_mov_b32 s0, 0x8000
	s_nop 0
	v_cndmask_b32_e32 v2, v3, v2, vcc
	v_and_b32_sdwa v3, v1, s0 dst_sel:DWORD dst_unused:UNUSED_PAD src0_sel:WORD_1 src1_sel:DWORD
	s_mov_b32 s0, 0xffff
	v_bitop3_b32 v2, v3, s0, v2 bitop3:0xc8
	global_store_dword v[8:9], v2, off
.LBB80_1868:
	s_mov_b64 s[0:1], 0
.LBB80_1869:
	s_andn2_b64 vcc, exec, s[0:1]
	s_cbranch_vccnz .LBB80_1878
; %bb.1870:
	s_cmp_lt_i32 s6, 6
	s_mov_b64 s[0:1], -1
	s_cbranch_scc1 .LBB80_1876
; %bb.1871:
	s_cmp_gt_i32 s6, 6
	s_cbranch_scc0 .LBB80_1873
; %bb.1872:
	global_store_dwordx2 v[8:9], v[0:1], off
	s_mov_b64 s[0:1], 0
.LBB80_1873:
	s_andn2_b64 vcc, exec, s[0:1]
	s_cbranch_vccnz .LBB80_1875
; %bb.1874:
	v_cvt_f32_f64_e32 v2, v[0:1]
	global_store_dword v[8:9], v2, off
.LBB80_1875:
	s_mov_b64 s[0:1], 0
.LBB80_1876:
	s_andn2_b64 vcc, exec, s[0:1]
	s_cbranch_vccnz .LBB80_1878
; %bb.1877:
	s_movk_i32 s0, 0x1ff
	v_and_or_b32 v2, v1, s0, v0
	v_cmp_ne_u32_e32 vcc, 0, v2
	v_lshrrev_b32_e32 v3, 8, v1
	s_movk_i32 s0, 0xffe
	v_cndmask_b32_e64 v2, 0, 1, vcc
	v_bfe_u32 v7, v1, 20, 11
	v_and_or_b32 v2, v3, s0, v2
	v_sub_u32_e32 v10, 0x3f1, v7
	v_or_b32_e32 v3, 0x1000, v2
	v_med3_i32 v10, v10, 0, 13
	v_lshrrev_b32_e32 v11, v10, v3
	v_lshlrev_b32_e32 v10, v10, v11
	v_cmp_ne_u32_e32 vcc, v10, v3
	v_add_u32_e32 v7, 0xfffffc10, v7
	v_lshl_or_b32 v10, v7, 12, v2
	v_cndmask_b32_e64 v3, 0, 1, vcc
	v_or_b32_e32 v3, v11, v3
	v_cmp_gt_i32_e32 vcc, 1, v7
	s_movk_i32 s0, 0x40f
	s_nop 0
	v_cndmask_b32_e32 v3, v10, v3, vcc
	v_and_b32_e32 v10, 7, v3
	v_cmp_lt_i32_e32 vcc, 5, v10
	v_lshrrev_b32_e32 v3, 2, v3
	s_nop 0
	v_cndmask_b32_e64 v11, 0, 1, vcc
	v_cmp_eq_u32_e32 vcc, 3, v10
	s_nop 1
	v_cndmask_b32_e64 v10, 0, 1, vcc
	v_or_b32_e32 v10, v10, v11
	v_add_u32_e32 v3, v3, v10
	v_mov_b32_e32 v10, 0x7c00
	v_cmp_gt_i32_e32 vcc, 31, v7
	v_mov_b32_e32 v11, 0x7e00
	s_nop 0
	v_cndmask_b32_e32 v3, v10, v3, vcc
	v_cmp_ne_u32_e32 vcc, 0, v2
	s_nop 1
	v_cndmask_b32_e32 v2, v10, v11, vcc
	v_cmp_eq_u32_e32 vcc, s0, v7
	s_mov_b32 s0, 0x8000
	s_nop 0
	v_cndmask_b32_e32 v2, v3, v2, vcc
	v_lshrrev_b32_e32 v3, 16, v1
	v_and_or_b32 v2, v3, s0, v2
	global_store_short v[8:9], v2, off
.LBB80_1878:
	s_mov_b64 s[0:1], 0
.LBB80_1879:
	s_andn2_b64 vcc, exec, s[0:1]
	s_cbranch_vccnz .LBB80_1895
; %bb.1880:
	s_cmp_lt_i32 s6, 2
	s_mov_b64 s[0:1], -1
	s_cbranch_scc1 .LBB80_1890
; %bb.1881:
	s_cmp_lt_i32 s6, 3
	s_cbranch_scc1 .LBB80_1887
; %bb.1882:
	s_cmp_gt_i32 s6, 3
	s_cbranch_scc0 .LBB80_1884
; %bb.1883:
	v_trunc_f64_e32 v[2:3], v[0:1]
	s_movk_i32 s0, 0xffe0
	v_ldexp_f64 v[10:11], v[2:3], s0
	v_floor_f64_e32 v[10:11], v[10:11]
	v_fmac_f64_e32 v[2:3], 0xc1f00000, v[10:11]
	v_cvt_i32_f64_e32 v13, v[10:11]
	v_cvt_u32_f64_e32 v12, v[2:3]
	global_store_dwordx2 v[8:9], v[12:13], off
	s_mov_b64 s[0:1], 0
.LBB80_1884:
	s_andn2_b64 vcc, exec, s[0:1]
	s_cbranch_vccnz .LBB80_1886
; %bb.1885:
	v_cvt_i32_f64_e32 v2, v[0:1]
	global_store_dword v[8:9], v2, off
.LBB80_1886:
	s_mov_b64 s[0:1], 0
.LBB80_1887:
	s_andn2_b64 vcc, exec, s[0:1]
	s_cbranch_vccnz .LBB80_1889
; %bb.1888:
	v_cvt_i32_f64_e32 v2, v[0:1]
	global_store_short v[8:9], v2, off
.LBB80_1889:
	s_mov_b64 s[0:1], 0
.LBB80_1890:
	s_andn2_b64 vcc, exec, s[0:1]
	s_cbranch_vccnz .LBB80_1895
; %bb.1891:
	s_cmp_gt_i32 s6, 0
	s_mov_b64 s[0:1], -1
	s_cbranch_scc0 .LBB80_1893
; %bb.1892:
	v_cvt_i32_f64_e32 v2, v[0:1]
	global_store_byte v[8:9], v2, off
	s_mov_b64 s[0:1], 0
.LBB80_1893:
	s_andn2_b64 vcc, exec, s[0:1]
	s_cbranch_vccnz .LBB80_1895
; %bb.1894:
	v_trunc_f64_e32 v[0:1], v[0:1]
	s_movk_i32 s0, 0xffe0
	v_ldexp_f64 v[2:3], v[0:1], s0
	v_floor_f64_e32 v[2:3], v[2:3]
	v_fmac_f64_e32 v[0:1], 0xc1f00000, v[2:3]
	v_cvt_u32_f64_e32 v0, v[0:1]
	global_store_byte v[8:9], v0, off
.LBB80_1895:
	s_mov_b64 s[8:9], -1
.LBB80_1896:
	s_andn2_b64 vcc, exec, s[8:9]
	s_cbranch_vccnz .LBB80_1973
; %bb.1897:
	s_mov_b32 s0, 0x652b82fe
	s_mov_b32 s1, 0x3ff71547
	v_mul_f64 v[0:1], v[4:5], s[0:1]
	s_mov_b32 s0, 0xfefa39ef
	v_rndne_f64_e32 v[0:1], v[0:1]
	s_mov_b32 s1, 0xbfe62e42
	v_fma_f64 v[2:3], s[0:1], v[0:1], v[4:5]
	s_mov_b32 s0, 0x3b39803f
	s_mov_b32 s1, 0xbc7abc9e
	v_fmac_f64_e32 v[2:3], s[0:1], v[0:1]
	s_mov_b32 s0, 0x6a5dcb37
	v_mov_b32_e32 v8, 0xfca7ab0c
	v_mov_b32_e32 v9, 0x3e928af3
	s_mov_b32 s1, 0x3e5ade15
	v_fmac_f64_e32 v[8:9], s[0:1], v[2:3]
	v_mov_b32_e32 v10, 0x623fde64
	v_mov_b32_e32 v11, 0x3ec71dee
	v_fmac_f64_e32 v[10:11], v[2:3], v[8:9]
	v_mov_b32_e32 v8, 0x7c89e6b0
	v_mov_b32_e32 v9, 0x3efa0199
	;; [unrolled: 3-line block ×8, first 2 shown]
	v_fmac_f64_e32 v[8:9], v[2:3], v[10:11]
	s_mov_b32 s0, 0
	v_fma_f64 v[8:9], v[2:3], v[8:9], 1.0
	s_mov_b32 s1, 0x40900000
	v_fma_f64 v[2:3], v[2:3], v[8:9], 1.0
	v_cvt_i32_f64_e32 v0, v[0:1]
	v_cmp_nlt_f64_e32 vcc, s[0:1], v[4:5]
	s_mov_b32 s0, 0
	v_ldexp_f64 v[0:1], v[2:3], v0
	v_mov_b32_e32 v2, 0x7ff00000
	s_mov_b32 s1, 0xc090cc00
	v_cndmask_b32_e32 v1, v2, v1, vcc
	v_cmp_ngt_f64_e64 s[0:1], s[0:1], v[4:5]
	v_add_u32_e32 v2, s18, v6
	s_and_b64 vcc, s[0:1], vcc
	v_ashrrev_i32_e32 v3, 31, v2
	v_cndmask_b32_e64 v1, 0, v1, s[0:1]
	v_cndmask_b32_e32 v0, 0, v0, vcc
	s_cmp_lt_i32 s20, 11
	v_lshl_add_u64 v[4:5], s[4:5], 0, v[2:3]
	s_cbranch_scc1 .LBB80_2018
; %bb.1898:
	s_and_b32 s16, 0xffff, s20
	s_mov_b64 s[6:7], -1
	s_mov_b64 s[4:5], 0
	s_cmp_gt_i32 s16, 25
	s_mov_b64 s[0:1], 0
	s_cbranch_scc0 .LBB80_1931
; %bb.1899:
	s_cmp_gt_i32 s16, 28
	s_cbranch_scc0 .LBB80_1915
; %bb.1900:
	s_cmp_gt_i32 s16, 43
	;; [unrolled: 3-line block ×3, first 2 shown]
	s_cbranch_scc0 .LBB80_1905
; %bb.1902:
	s_cmp_eq_u32 s16, 46
	s_mov_b64 s[0:1], -1
	s_cbranch_scc0 .LBB80_1904
; %bb.1903:
	v_cvt_f32_f64_e32 v2, v[0:1]
	v_bfe_u32 v3, v2, 16, 1
	s_movk_i32 s0, 0x7fff
	v_add3_u32 v3, v2, v3, s0
	v_cmp_o_f32_e32 vcc, v2, v2
	v_mov_b32_e32 v2, 0x7fc0
	s_mov_b64 s[0:1], 0
	v_cndmask_b32_sdwa v2, v2, v3, vcc dst_sel:DWORD dst_unused:UNUSED_PAD src0_sel:DWORD src1_sel:WORD_1
	global_store_dword v[4:5], v2, off
.LBB80_1904:
	s_mov_b64 s[6:7], 0
.LBB80_1905:
	s_and_b64 vcc, exec, s[6:7]
	s_cbranch_vccz .LBB80_1910
; %bb.1906:
	s_cmp_eq_u32 s16, 44
	s_mov_b64 s[0:1], -1
	s_cbranch_scc0 .LBB80_1910
; %bb.1907:
	v_cvt_f32_f64_e32 v2, v[0:1]
	v_bfe_u32 v3, v2, 23, 8
	s_movk_i32 s0, 0xff
	v_cmp_ne_u32_e32 vcc, s0, v3
	v_mov_b32_e32 v6, 0xff
	s_and_saveexec_b64 s[6:7], vcc
; %bb.1908:
	s_mov_b32 s0, 0x3fffff
	v_lshrrev_b32_e32 v6, 23, v2
	v_and_b32_e32 v7, 0x400000, v2
	v_and_or_b32 v2, v2, s0, v3
	v_cmp_ne_u32_e32 vcc, 0, v7
	v_cmp_ne_u32_e64 s[0:1], 0, v2
	s_and_b64 s[0:1], vcc, s[0:1]
	s_nop 0
	v_cndmask_b32_e64 v2, 0, 1, s[0:1]
	v_add_u32_e32 v6, v6, v2
; %bb.1909:
	s_or_b64 exec, exec, s[6:7]
	s_mov_b64 s[0:1], 0
	global_store_byte v[4:5], v6, off
.LBB80_1910:
	s_mov_b64 s[6:7], 0
.LBB80_1911:
	s_and_b64 vcc, exec, s[6:7]
	s_cbranch_vccz .LBB80_1914
; %bb.1912:
	s_cmp_eq_u32 s16, 29
	s_mov_b64 s[0:1], -1
	s_cbranch_scc0 .LBB80_1914
; %bb.1913:
	v_trunc_f64_e32 v[2:3], v[0:1]
	s_movk_i32 s0, 0xffe0
	v_ldexp_f64 v[6:7], v[2:3], s0
	v_floor_f64_e32 v[6:7], v[6:7]
	v_fmac_f64_e32 v[2:3], 0xc1f00000, v[6:7]
	v_cvt_u32_f64_e32 v9, v[6:7]
	v_cvt_u32_f64_e32 v8, v[2:3]
	global_store_dwordx2 v[4:5], v[8:9], off
	s_mov_b64 s[0:1], 0
.LBB80_1914:
	s_mov_b64 s[6:7], 0
.LBB80_1915:
	s_and_b64 vcc, exec, s[6:7]
	s_cbranch_vccz .LBB80_1930
; %bb.1916:
	s_cmp_lt_i32 s16, 27
	s_mov_b64 s[6:7], -1
	s_cbranch_scc1 .LBB80_1922
; %bb.1917:
	s_cmp_gt_i32 s16, 27
	v_cvt_u32_f64_e32 v2, v[0:1]
	s_cbranch_scc0 .LBB80_1919
; %bb.1918:
	global_store_dword v[4:5], v2, off
	s_mov_b64 s[6:7], 0
.LBB80_1919:
	s_andn2_b64 vcc, exec, s[6:7]
	s_cbranch_vccnz .LBB80_1921
; %bb.1920:
	global_store_short v[4:5], v2, off
.LBB80_1921:
	s_mov_b64 s[6:7], 0
.LBB80_1922:
	s_andn2_b64 vcc, exec, s[6:7]
	s_cbranch_vccnz .LBB80_1930
; %bb.1923:
	v_cvt_f32_f64_e32 v2, v[0:1]
	v_and_b32_e32 v3, 0x7fffffff, v2
	s_mov_b32 s6, 0x43800000
	v_cmp_gt_u32_e32 vcc, s6, v3
	v_mov_b32_e32 v6, 0x80
	s_and_saveexec_b64 s[6:7], vcc
	s_cbranch_execz .LBB80_1929
; %bb.1924:
	s_mov_b32 s8, 0x3bffffff
	v_cmp_lt_u32_e32 vcc, s8, v3
	s_mov_b64 s[8:9], 0
                                        ; implicit-def: $vgpr3
	s_and_saveexec_b64 s[10:11], vcc
	s_xor_b64 s[10:11], exec, s[10:11]
	s_cbranch_execz .LBB80_2035
; %bb.1925:
	v_bfe_u32 v3, v2, 20, 1
	s_mov_b32 s17, 0x487ffff
	v_add3_u32 v3, v2, v3, s17
	s_mov_b64 s[8:9], exec
	v_lshrrev_b32_e32 v3, 20, v3
	s_andn2_saveexec_b64 s[10:11], s[10:11]
	s_cbranch_execnz .LBB80_2036
.LBB80_1926:
	s_or_b64 exec, exec, s[10:11]
	v_mov_b32_e32 v6, 0
	s_and_saveexec_b64 s[10:11], s[8:9]
.LBB80_1927:
	v_lshrrev_b32_e32 v2, 24, v2
	s_movk_i32 s8, 0x80
	v_and_or_b32 v6, v2, s8, v3
.LBB80_1928:
	s_or_b64 exec, exec, s[10:11]
.LBB80_1929:
	s_or_b64 exec, exec, s[6:7]
	global_store_byte v[4:5], v6, off
.LBB80_1930:
	s_mov_b64 s[6:7], 0
.LBB80_1931:
	s_and_b64 vcc, exec, s[6:7]
	s_cbranch_vccz .LBB80_1971
; %bb.1932:
	s_cmp_gt_i32 s16, 22
	s_mov_b64 s[4:5], -1
	s_cbranch_scc0 .LBB80_1964
; %bb.1933:
	s_cmp_lt_i32 s16, 24
	s_cbranch_scc1 .LBB80_1953
; %bb.1934:
	s_cmp_gt_i32 s16, 24
	s_cbranch_scc0 .LBB80_1942
; %bb.1935:
	v_cvt_f32_f64_e32 v2, v[0:1]
	v_and_b32_e32 v3, 0x7fffffff, v2
	s_mov_b32 s4, 0x47800000
	v_cmp_gt_u32_e32 vcc, s4, v3
	v_mov_b32_e32 v6, 0x80
	s_and_saveexec_b64 s[4:5], vcc
	s_cbranch_execz .LBB80_1941
; %bb.1936:
	s_mov_b32 s6, 0x37ffffff
	v_cmp_lt_u32_e32 vcc, s6, v3
	s_mov_b64 s[6:7], 0
                                        ; implicit-def: $vgpr3
	s_and_saveexec_b64 s[8:9], vcc
	s_xor_b64 s[8:9], exec, s[8:9]
	s_cbranch_execz .LBB80_2038
; %bb.1937:
	v_bfe_u32 v3, v2, 21, 1
	s_mov_b32 s10, 0x88fffff
	v_add3_u32 v3, v2, v3, s10
	s_mov_b64 s[6:7], exec
	v_lshrrev_b32_e32 v3, 21, v3
	s_andn2_saveexec_b64 s[8:9], s[8:9]
	s_cbranch_execnz .LBB80_2039
.LBB80_1938:
	s_or_b64 exec, exec, s[8:9]
	v_mov_b32_e32 v6, 0
	s_and_saveexec_b64 s[8:9], s[6:7]
.LBB80_1939:
	v_lshrrev_b32_e32 v2, 24, v2
	s_movk_i32 s6, 0x80
	v_and_or_b32 v6, v2, s6, v3
.LBB80_1940:
	s_or_b64 exec, exec, s[8:9]
.LBB80_1941:
	s_or_b64 exec, exec, s[4:5]
	s_mov_b64 s[4:5], 0
	global_store_byte v[4:5], v6, off
.LBB80_1942:
	s_and_b64 vcc, exec, s[4:5]
	s_cbranch_vccz .LBB80_1952
; %bb.1943:
	v_cvt_f32_f64_e32 v2, v[0:1]
	v_and_b32_e32 v6, 0x7fffffff, v2
	s_mov_b32 s4, 0x43f00000
	v_cmp_gt_u32_e32 vcc, s4, v6
                                        ; implicit-def: $vgpr3
	s_and_saveexec_b64 s[4:5], vcc
	s_xor_b64 s[4:5], exec, s[4:5]
	s_cbranch_execz .LBB80_1949
; %bb.1944:
	s_mov_b32 s6, 0x3c7fffff
	v_cmp_lt_u32_e32 vcc, s6, v6
                                        ; implicit-def: $vgpr3
	s_and_saveexec_b64 s[6:7], vcc
	s_xor_b64 s[6:7], exec, s[6:7]
; %bb.1945:
	v_bfe_u32 v3, v2, 20, 1
	s_mov_b32 s8, 0x407ffff
	v_add3_u32 v3, v2, v3, s8
	v_lshrrev_b32_e32 v6, 20, v3
	v_and_b32_e32 v3, 0xff00000, v3
	s_mov_b32 s8, 0x7f00000
	v_mov_b32_e32 v7, 0x7e
	v_cmp_ne_u32_e32 vcc, s8, v3
	s_nop 1
	v_cndmask_b32_e32 v3, v7, v6, vcc
; %bb.1946:
	s_andn2_saveexec_b64 s[6:7], s[6:7]
; %bb.1947:
	s_mov_b32 s8, 0x46800000
	v_add_f32_e64 v3, |v2|, s8
; %bb.1948:
	s_or_b64 exec, exec, s[6:7]
                                        ; implicit-def: $vgpr6
.LBB80_1949:
	s_andn2_saveexec_b64 s[4:5], s[4:5]
; %bb.1950:
	s_mov_b32 s6, 0x7f800000
	v_mov_b32_e32 v3, 0x7e
	v_mov_b32_e32 v7, 0x7f
	v_cmp_lt_u32_e32 vcc, s6, v6
	s_nop 1
	v_cndmask_b32_e32 v3, v3, v7, vcc
; %bb.1951:
	s_or_b64 exec, exec, s[4:5]
	v_lshrrev_b32_e32 v2, 24, v2
	s_movk_i32 s4, 0x80
	v_and_or_b32 v2, v2, s4, v3
	global_store_byte v[4:5], v2, off
.LBB80_1952:
	s_mov_b64 s[4:5], 0
.LBB80_1953:
	s_andn2_b64 vcc, exec, s[4:5]
	s_cbranch_vccnz .LBB80_1963
; %bb.1954:
	v_cvt_f32_f64_e32 v2, v[0:1]
	v_and_b32_e32 v6, 0x7fffffff, v2
	s_mov_b32 s4, 0x47800000
	v_cmp_gt_u32_e32 vcc, s4, v6
                                        ; implicit-def: $vgpr3
	s_and_saveexec_b64 s[4:5], vcc
	s_xor_b64 s[4:5], exec, s[4:5]
	s_cbranch_execz .LBB80_1960
; %bb.1955:
	s_mov_b32 s6, 0x387fffff
	v_cmp_lt_u32_e32 vcc, s6, v6
                                        ; implicit-def: $vgpr3
	s_and_saveexec_b64 s[6:7], vcc
	s_xor_b64 s[6:7], exec, s[6:7]
; %bb.1956:
	v_bfe_u32 v3, v2, 21, 1
	s_mov_b32 s8, 0x80fffff
	v_add3_u32 v3, v2, v3, s8
	v_lshrrev_b32_e32 v3, 21, v3
; %bb.1957:
	s_andn2_saveexec_b64 s[6:7], s[6:7]
; %bb.1958:
	s_mov_b32 s8, 0x43000000
	v_add_f32_e64 v3, |v2|, s8
; %bb.1959:
	s_or_b64 exec, exec, s[6:7]
                                        ; implicit-def: $vgpr6
.LBB80_1960:
	s_andn2_saveexec_b64 s[4:5], s[4:5]
; %bb.1961:
	s_mov_b32 s6, 0x7f800000
	v_mov_b32_e32 v3, 0x7c
	v_mov_b32_e32 v7, 0x7f
	v_cmp_lt_u32_e32 vcc, s6, v6
	s_nop 1
	v_cndmask_b32_e32 v3, v3, v7, vcc
; %bb.1962:
	s_or_b64 exec, exec, s[4:5]
	v_lshrrev_b32_e32 v2, 24, v2
	s_movk_i32 s4, 0x80
	v_and_or_b32 v2, v2, s4, v3
	global_store_byte v[4:5], v2, off
.LBB80_1963:
	s_mov_b64 s[4:5], 0
.LBB80_1964:
	s_andn2_b64 vcc, exec, s[4:5]
	s_mov_b64 s[4:5], 0
	s_cbranch_vccnz .LBB80_1971
; %bb.1965:
	s_cmp_gt_i32 s16, 14
	s_mov_b64 s[6:7], -1
	s_cbranch_scc0 .LBB80_1969
; %bb.1966:
	s_cmp_eq_u32 s16, 15
	s_mov_b64 s[0:1], -1
	s_cbranch_scc0 .LBB80_1968
; %bb.1967:
	v_cvt_f32_f64_e32 v2, v[0:1]
	v_bfe_u32 v3, v2, 16, 1
	s_movk_i32 s0, 0x7fff
	v_add3_u32 v3, v2, v3, s0
	v_cmp_o_f32_e32 vcc, v2, v2
	v_mov_b32_e32 v2, 0x7fc0
	s_mov_b64 s[0:1], 0
	v_cndmask_b32_sdwa v2, v2, v3, vcc dst_sel:DWORD dst_unused:UNUSED_PAD src0_sel:DWORD src1_sel:WORD_1
	global_store_short v[4:5], v2, off
.LBB80_1968:
	s_mov_b64 s[6:7], 0
.LBB80_1969:
	s_and_b64 vcc, exec, s[6:7]
	s_cbranch_vccz .LBB80_1971
; %bb.1970:
	s_cmp_lg_u32 s16, 11
	s_mov_b64 s[4:5], -1
	s_cselect_b64 s[0:1], -1, 0
.LBB80_1971:
	s_and_b64 vcc, exec, s[0:1]
	s_cbranch_vccnz .LBB80_2037
.LBB80_1972:
	s_mov_b64 s[0:1], 0
	s_branch .LBB80_1974
.LBB80_1973:
	s_mov_b64 s[0:1], 0
	s_mov_b64 s[4:5], 0
                                        ; implicit-def: $sgpr20
                                        ; implicit-def: $vgpr4_vgpr5
                                        ; implicit-def: $vgpr0_vgpr1
.LBB80_1974:
	s_and_b64 s[10:11], s[4:5], exec
	s_andn2_b64 s[4:5], s[12:13], exec
	s_and_b64 s[6:7], s[14:15], exec
	s_and_b64 s[0:1], s[0:1], exec
	s_or_b64 s[12:13], s[4:5], s[6:7]
.LBB80_1975:
	s_or_b64 exec, exec, s[2:3]
	s_and_saveexec_b64 s[2:3], s[12:13]
	s_cbranch_execz .LBB80_1978
; %bb.1976:
	; divergent unreachable
	s_or_b64 exec, exec, s[2:3]
	s_and_saveexec_b64 s[2:3], s[10:11]
	s_xor_b64 s[2:3], exec, s[2:3]
	s_cbranch_execnz .LBB80_1979
.LBB80_1977:
	s_or_b64 exec, exec, s[2:3]
	s_and_saveexec_b64 s[2:3], s[0:1]
	s_cbranch_execnz .LBB80_1980
	s_branch .LBB80_2017
.LBB80_1978:
	s_or_b64 exec, exec, s[2:3]
	s_and_saveexec_b64 s[2:3], s[10:11]
	s_xor_b64 s[2:3], exec, s[2:3]
	s_cbranch_execz .LBB80_1977
.LBB80_1979:
	s_waitcnt vmcnt(0)
	v_cmp_neq_f64_e32 vcc, 0, v[0:1]
	s_nop 1
	v_cndmask_b32_e64 v2, 0, 1, vcc
	global_store_byte v[4:5], v2, off
	s_or_b64 exec, exec, s[2:3]
	s_and_saveexec_b64 s[2:3], s[0:1]
	s_cbranch_execz .LBB80_2017
.LBB80_1980:
	s_sext_i32_i16 s2, s20
	s_cmp_lt_i32 s2, 5
	s_mov_b64 s[0:1], -1
	s_cbranch_scc1 .LBB80_2001
; %bb.1981:
	s_cmp_lt_i32 s2, 8
	s_cbranch_scc1 .LBB80_1991
; %bb.1982:
	s_cmp_lt_i32 s2, 9
	s_cbranch_scc1 .LBB80_1988
; %bb.1983:
	s_cmp_gt_i32 s2, 9
	s_cbranch_scc0 .LBB80_1985
; %bb.1984:
	s_waitcnt vmcnt(0)
	v_mov_b32_e32 v2, 0
	v_mov_b32_e32 v3, v2
	global_store_dwordx4 v[4:5], v[0:3], off
	s_mov_b64 s[0:1], 0
.LBB80_1985:
	s_andn2_b64 vcc, exec, s[0:1]
	s_cbranch_vccnz .LBB80_1987
; %bb.1986:
	s_waitcnt vmcnt(0)
	v_cvt_f32_f64_e32 v2, v[0:1]
	v_mov_b32_e32 v3, 0
	global_store_dwordx2 v[4:5], v[2:3], off
.LBB80_1987:
	s_mov_b64 s[0:1], 0
.LBB80_1988:
	s_andn2_b64 vcc, exec, s[0:1]
	s_cbranch_vccnz .LBB80_1990
; %bb.1989:
	s_movk_i32 s0, 0x1ff
	s_waitcnt vmcnt(0)
	v_and_or_b32 v2, v1, s0, v0
	v_cmp_ne_u32_e32 vcc, 0, v2
	v_lshrrev_b32_e32 v3, 8, v1
	s_movk_i32 s0, 0xffe
	v_cndmask_b32_e64 v2, 0, 1, vcc
	v_bfe_u32 v6, v1, 20, 11
	v_and_or_b32 v2, v3, s0, v2
	v_sub_u32_e32 v7, 0x3f1, v6
	v_or_b32_e32 v3, 0x1000, v2
	v_med3_i32 v7, v7, 0, 13
	v_lshrrev_b32_e32 v8, v7, v3
	v_lshlrev_b32_e32 v7, v7, v8
	v_cmp_ne_u32_e32 vcc, v7, v3
	v_add_u32_e32 v6, 0xfffffc10, v6
	v_lshl_or_b32 v7, v6, 12, v2
	v_cndmask_b32_e64 v3, 0, 1, vcc
	v_or_b32_e32 v3, v8, v3
	v_cmp_gt_i32_e32 vcc, 1, v6
	s_movk_i32 s0, 0x40f
	s_nop 0
	v_cndmask_b32_e32 v3, v7, v3, vcc
	v_and_b32_e32 v7, 7, v3
	v_cmp_lt_i32_e32 vcc, 5, v7
	v_lshrrev_b32_e32 v3, 2, v3
	s_nop 0
	v_cndmask_b32_e64 v8, 0, 1, vcc
	v_cmp_eq_u32_e32 vcc, 3, v7
	s_nop 1
	v_cndmask_b32_e64 v7, 0, 1, vcc
	v_or_b32_e32 v7, v7, v8
	v_add_u32_e32 v3, v3, v7
	v_mov_b32_e32 v7, 0x7c00
	v_cmp_gt_i32_e32 vcc, 31, v6
	v_mov_b32_e32 v8, 0x7e00
	s_nop 0
	v_cndmask_b32_e32 v3, v7, v3, vcc
	v_cmp_ne_u32_e32 vcc, 0, v2
	s_nop 1
	v_cndmask_b32_e32 v2, v7, v8, vcc
	v_cmp_eq_u32_e32 vcc, s0, v6
	s_mov_b32 s0, 0x8000
	s_nop 0
	v_cndmask_b32_e32 v2, v3, v2, vcc
	v_and_b32_sdwa v3, v1, s0 dst_sel:DWORD dst_unused:UNUSED_PAD src0_sel:WORD_1 src1_sel:DWORD
	s_mov_b32 s0, 0xffff
	v_bitop3_b32 v2, v3, s0, v2 bitop3:0xc8
	global_store_dword v[4:5], v2, off
.LBB80_1990:
	s_mov_b64 s[0:1], 0
.LBB80_1991:
	s_andn2_b64 vcc, exec, s[0:1]
	s_cbranch_vccnz .LBB80_2000
; %bb.1992:
	s_sext_i32_i16 s2, s20
	s_cmp_lt_i32 s2, 6
	s_mov_b64 s[0:1], -1
	s_cbranch_scc1 .LBB80_1998
; %bb.1993:
	s_cmp_gt_i32 s2, 6
	s_cbranch_scc0 .LBB80_1995
; %bb.1994:
	s_waitcnt vmcnt(0)
	global_store_dwordx2 v[4:5], v[0:1], off
	s_mov_b64 s[0:1], 0
.LBB80_1995:
	s_andn2_b64 vcc, exec, s[0:1]
	s_cbranch_vccnz .LBB80_1997
; %bb.1996:
	s_waitcnt vmcnt(0)
	v_cvt_f32_f64_e32 v2, v[0:1]
	global_store_dword v[4:5], v2, off
.LBB80_1997:
	s_mov_b64 s[0:1], 0
.LBB80_1998:
	s_andn2_b64 vcc, exec, s[0:1]
	s_cbranch_vccnz .LBB80_2000
; %bb.1999:
	s_movk_i32 s0, 0x1ff
	s_waitcnt vmcnt(0)
	v_and_or_b32 v2, v1, s0, v0
	v_cmp_ne_u32_e32 vcc, 0, v2
	v_lshrrev_b32_e32 v3, 8, v1
	s_movk_i32 s0, 0xffe
	v_cndmask_b32_e64 v2, 0, 1, vcc
	v_bfe_u32 v6, v1, 20, 11
	v_and_or_b32 v2, v3, s0, v2
	v_sub_u32_e32 v7, 0x3f1, v6
	v_or_b32_e32 v3, 0x1000, v2
	v_med3_i32 v7, v7, 0, 13
	v_lshrrev_b32_e32 v8, v7, v3
	v_lshlrev_b32_e32 v7, v7, v8
	v_cmp_ne_u32_e32 vcc, v7, v3
	v_add_u32_e32 v6, 0xfffffc10, v6
	v_lshl_or_b32 v7, v6, 12, v2
	v_cndmask_b32_e64 v3, 0, 1, vcc
	v_or_b32_e32 v3, v8, v3
	v_cmp_gt_i32_e32 vcc, 1, v6
	s_movk_i32 s0, 0x40f
	s_nop 0
	v_cndmask_b32_e32 v3, v7, v3, vcc
	v_and_b32_e32 v7, 7, v3
	v_cmp_lt_i32_e32 vcc, 5, v7
	v_lshrrev_b32_e32 v3, 2, v3
	s_nop 0
	v_cndmask_b32_e64 v8, 0, 1, vcc
	v_cmp_eq_u32_e32 vcc, 3, v7
	s_nop 1
	v_cndmask_b32_e64 v7, 0, 1, vcc
	v_or_b32_e32 v7, v7, v8
	v_add_u32_e32 v3, v3, v7
	v_mov_b32_e32 v7, 0x7c00
	v_cmp_gt_i32_e32 vcc, 31, v6
	v_mov_b32_e32 v8, 0x7e00
	s_nop 0
	v_cndmask_b32_e32 v3, v7, v3, vcc
	v_cmp_ne_u32_e32 vcc, 0, v2
	s_nop 1
	v_cndmask_b32_e32 v2, v7, v8, vcc
	v_cmp_eq_u32_e32 vcc, s0, v6
	s_mov_b32 s0, 0x8000
	s_nop 0
	v_cndmask_b32_e32 v2, v3, v2, vcc
	v_lshrrev_b32_e32 v3, 16, v1
	v_and_or_b32 v2, v3, s0, v2
	global_store_short v[4:5], v2, off
.LBB80_2000:
	s_mov_b64 s[0:1], 0
.LBB80_2001:
	s_andn2_b64 vcc, exec, s[0:1]
	s_cbranch_vccnz .LBB80_2017
; %bb.2002:
	s_sext_i32_i16 s2, s20
	s_cmp_lt_i32 s2, 2
	s_mov_b64 s[0:1], -1
	s_cbranch_scc1 .LBB80_2012
; %bb.2003:
	s_cmp_lt_i32 s2, 3
	s_cbranch_scc1 .LBB80_2009
; %bb.2004:
	s_cmp_gt_i32 s2, 3
	s_cbranch_scc0 .LBB80_2006
; %bb.2005:
	s_waitcnt vmcnt(0)
	v_trunc_f64_e32 v[2:3], v[0:1]
	s_movk_i32 s0, 0xffe0
	v_ldexp_f64 v[6:7], v[2:3], s0
	v_floor_f64_e32 v[6:7], v[6:7]
	v_fmac_f64_e32 v[2:3], 0xc1f00000, v[6:7]
	v_cvt_i32_f64_e32 v9, v[6:7]
	v_cvt_u32_f64_e32 v8, v[2:3]
	global_store_dwordx2 v[4:5], v[8:9], off
	s_mov_b64 s[0:1], 0
.LBB80_2006:
	s_andn2_b64 vcc, exec, s[0:1]
	s_cbranch_vccnz .LBB80_2008
; %bb.2007:
	s_waitcnt vmcnt(0)
	v_cvt_i32_f64_e32 v2, v[0:1]
	global_store_dword v[4:5], v2, off
.LBB80_2008:
	s_mov_b64 s[0:1], 0
.LBB80_2009:
	s_andn2_b64 vcc, exec, s[0:1]
	s_cbranch_vccnz .LBB80_2011
; %bb.2010:
	s_waitcnt vmcnt(0)
	v_cvt_i32_f64_e32 v2, v[0:1]
	global_store_short v[4:5], v2, off
.LBB80_2011:
	s_mov_b64 s[0:1], 0
.LBB80_2012:
	s_andn2_b64 vcc, exec, s[0:1]
	s_cbranch_vccnz .LBB80_2017
; %bb.2013:
	s_sext_i32_i16 s0, s20
	s_cmp_gt_i32 s0, 0
	s_mov_b64 s[0:1], -1
	s_cbranch_scc0 .LBB80_2015
; %bb.2014:
	s_waitcnt vmcnt(0)
	v_cvt_i32_f64_e32 v2, v[0:1]
	global_store_byte v[4:5], v2, off
	s_mov_b64 s[0:1], 0
.LBB80_2015:
	s_andn2_b64 vcc, exec, s[0:1]
	s_cbranch_vccnz .LBB80_2017
; %bb.2016:
	s_waitcnt vmcnt(0)
	v_trunc_f64_e32 v[0:1], v[0:1]
	s_movk_i32 s0, 0xffe0
	v_ldexp_f64 v[2:3], v[0:1], s0
	v_floor_f64_e32 v[2:3], v[2:3]
	v_fmac_f64_e32 v[0:1], 0xc1f00000, v[2:3]
	v_cvt_u32_f64_e32 v0, v[0:1]
	global_store_byte v[4:5], v0, off
	s_endpgm
.LBB80_2017:
	s_endpgm
.LBB80_2018:
	s_mov_b64 s[4:5], 0
	s_mov_b64 s[0:1], -1
	s_branch .LBB80_1974
.LBB80_2019:
	s_trap 2
	s_or_b64 s[14:15], s[14:15], exec
	s_cbranch_execz .LBB80_1488
	s_branch .LBB80_1489
.LBB80_2020:
	s_andn2_saveexec_b64 s[18:19], s[18:19]
	s_cbranch_execz .LBB80_1568
.LBB80_2021:
	s_mov_b32 s21, 0x46000000
	v_add_f32_e64 v3, |v2|, s21
	v_and_b32_e32 v3, 0xff, v3
	v_cmp_ne_u32_e32 vcc, 0, v3
	s_andn2_b64 s[16:17], s[16:17], exec
	s_and_b64 s[22:23], vcc, exec
	s_or_b64 s[16:17], s[16:17], s[22:23]
	s_or_b64 exec, exec, s[18:19]
	v_mov_b32_e32 v11, 0
	s_and_saveexec_b64 s[18:19], s[16:17]
	s_cbranch_execnz .LBB80_1569
	s_branch .LBB80_1570
.LBB80_2022:
	s_trap 2
	s_or_b64 s[14:15], s[14:15], exec
	s_cbranch_execz .LBB80_1616
	s_branch .LBB80_1617
.LBB80_2023:
	s_andn2_saveexec_b64 s[16:17], s[16:17]
	s_cbranch_execz .LBB80_1581
.LBB80_2024:
	s_mov_b32 s18, 0x42800000
	v_add_f32_e64 v3, |v2|, s18
	v_and_b32_e32 v3, 0xff, v3
	v_cmp_ne_u32_e32 vcc, 0, v3
	s_andn2_b64 s[10:11], s[10:11], exec
	s_and_b64 s[18:19], vcc, exec
	s_or_b64 s[10:11], s[10:11], s[18:19]
	s_or_b64 exec, exec, s[16:17]
	v_mov_b32_e32 v11, 0
	s_and_saveexec_b64 s[16:17], s[10:11]
	s_cbranch_execnz .LBB80_1582
	s_branch .LBB80_1583
.LBB80_2025:
	s_andn2_saveexec_b64 s[16:17], s[16:17]
	s_cbranch_execz .LBB80_1687
.LBB80_2026:
	s_mov_b32 s21, 0x46000000
	v_add_f32_e64 v3, |v2|, s21
	v_and_b32_e32 v3, 0xff, v3
	v_cmp_ne_u32_e32 vcc, 0, v3
	s_andn2_b64 s[10:11], s[10:11], exec
	s_and_b64 s[22:23], vcc, exec
	s_or_b64 s[10:11], s[10:11], s[22:23]
	s_or_b64 exec, exec, s[16:17]
	v_mov_b32_e32 v9, 0
	s_and_saveexec_b64 s[16:17], s[10:11]
	s_cbranch_execnz .LBB80_1688
	s_branch .LBB80_1689
.LBB80_2027:
	s_trap 2
	s_or_b64 s[14:15], s[14:15], exec
	s_cbranch_execz .LBB80_1735
	s_branch .LBB80_1736
.LBB80_2028:
	s_andn2_saveexec_b64 s[10:11], s[10:11]
	s_cbranch_execz .LBB80_1700
.LBB80_2029:
	s_mov_b32 s16, 0x42800000
	v_add_f32_e64 v3, |v2|, s16
	v_and_b32_e32 v3, 0xff, v3
	v_cmp_ne_u32_e32 vcc, 0, v3
	s_andn2_b64 s[8:9], s[8:9], exec
	s_and_b64 s[16:17], vcc, exec
	s_or_b64 s[8:9], s[8:9], s[16:17]
	s_or_b64 exec, exec, s[10:11]
	v_mov_b32_e32 v9, 0
	s_and_saveexec_b64 s[10:11], s[8:9]
	s_cbranch_execnz .LBB80_1701
	s_branch .LBB80_1702
.LBB80_2030:
	s_andn2_saveexec_b64 s[16:17], s[16:17]
	s_cbranch_execz .LBB80_1806
.LBB80_2031:
	s_mov_b32 s21, 0x46000000
	v_add_f32_e64 v3, |v2|, s21
	v_and_b32_e32 v3, 0xff, v3
	v_cmp_ne_u32_e32 vcc, 0, v3
	s_andn2_b64 s[10:11], s[10:11], exec
	s_and_b64 s[22:23], vcc, exec
	s_or_b64 s[10:11], s[10:11], s[22:23]
	s_or_b64 exec, exec, s[16:17]
	v_mov_b32_e32 v7, 0
	s_and_saveexec_b64 s[16:17], s[10:11]
	s_cbranch_execnz .LBB80_1807
	s_branch .LBB80_1808
.LBB80_2032:
	s_trap 2
	s_or_b64 s[14:15], s[14:15], exec
	s_cbranch_execz .LBB80_1854
	s_branch .LBB80_1855
.LBB80_2033:
	s_andn2_saveexec_b64 s[10:11], s[10:11]
	s_cbranch_execz .LBB80_1819
.LBB80_2034:
	s_mov_b32 s16, 0x42800000
	v_add_f32_e64 v3, |v2|, s16
	v_and_b32_e32 v3, 0xff, v3
	v_cmp_ne_u32_e32 vcc, 0, v3
	s_andn2_b64 s[8:9], s[8:9], exec
	s_and_b64 s[16:17], vcc, exec
	s_or_b64 s[8:9], s[8:9], s[16:17]
	s_or_b64 exec, exec, s[10:11]
	v_mov_b32_e32 v7, 0
	s_and_saveexec_b64 s[10:11], s[8:9]
	s_cbranch_execnz .LBB80_1820
	s_branch .LBB80_1821
.LBB80_2035:
	s_andn2_saveexec_b64 s[10:11], s[10:11]
	s_cbranch_execz .LBB80_1926
.LBB80_2036:
	s_mov_b32 s17, 0x46000000
	v_add_f32_e64 v3, |v2|, s17
	v_and_b32_e32 v3, 0xff, v3
	v_cmp_ne_u32_e32 vcc, 0, v3
	s_andn2_b64 s[8:9], s[8:9], exec
	s_and_b64 s[18:19], vcc, exec
	s_or_b64 s[8:9], s[8:9], s[18:19]
	s_or_b64 exec, exec, s[10:11]
	v_mov_b32_e32 v6, 0
	s_and_saveexec_b64 s[10:11], s[8:9]
	s_cbranch_execnz .LBB80_1927
	s_branch .LBB80_1928
.LBB80_2037:
	s_mov_b64 s[4:5], 0
	s_or_b64 s[14:15], s[14:15], exec
	s_trap 2
	s_branch .LBB80_1972
.LBB80_2038:
	s_andn2_saveexec_b64 s[8:9], s[8:9]
	s_cbranch_execz .LBB80_1938
.LBB80_2039:
	s_mov_b32 s10, 0x42800000
	v_add_f32_e64 v3, |v2|, s10
	v_and_b32_e32 v3, 0xff, v3
	v_cmp_ne_u32_e32 vcc, 0, v3
	s_andn2_b64 s[6:7], s[6:7], exec
	s_and_b64 s[10:11], vcc, exec
	s_or_b64 s[6:7], s[6:7], s[10:11]
	s_or_b64 exec, exec, s[8:9]
	v_mov_b32_e32 v6, 0
	s_and_saveexec_b64 s[8:9], s[6:7]
	s_cbranch_execnz .LBB80_1939
	s_branch .LBB80_1940
	.section	.rodata,"a",@progbits
	.p2align	6, 0x0
	.amdhsa_kernel _ZN2at6native32elementwise_kernel_manual_unrollILi128ELi4EZNS0_15gpu_kernel_implIZZZNS0_15exp_kernel_cudaERNS_18TensorIteratorBaseEENKUlvE0_clEvENKUlvE_clEvEUldE_EEvS4_RKT_EUlibE_EEviT1_
		.amdhsa_group_segment_fixed_size 0
		.amdhsa_private_segment_fixed_size 0
		.amdhsa_kernarg_size 40
		.amdhsa_user_sgpr_count 2
		.amdhsa_user_sgpr_dispatch_ptr 0
		.amdhsa_user_sgpr_queue_ptr 0
		.amdhsa_user_sgpr_kernarg_segment_ptr 1
		.amdhsa_user_sgpr_dispatch_id 0
		.amdhsa_user_sgpr_kernarg_preload_length 0
		.amdhsa_user_sgpr_kernarg_preload_offset 0
		.amdhsa_user_sgpr_private_segment_size 0
		.amdhsa_uses_dynamic_stack 0
		.amdhsa_enable_private_segment 0
		.amdhsa_system_sgpr_workgroup_id_x 1
		.amdhsa_system_sgpr_workgroup_id_y 0
		.amdhsa_system_sgpr_workgroup_id_z 0
		.amdhsa_system_sgpr_workgroup_info 0
		.amdhsa_system_vgpr_workitem_id 0
		.amdhsa_next_free_vgpr 18
		.amdhsa_next_free_sgpr 44
		.amdhsa_accum_offset 20
		.amdhsa_reserve_vcc 1
		.amdhsa_float_round_mode_32 0
		.amdhsa_float_round_mode_16_64 0
		.amdhsa_float_denorm_mode_32 3
		.amdhsa_float_denorm_mode_16_64 3
		.amdhsa_dx10_clamp 1
		.amdhsa_ieee_mode 1
		.amdhsa_fp16_overflow 0
		.amdhsa_tg_split 0
		.amdhsa_exception_fp_ieee_invalid_op 0
		.amdhsa_exception_fp_denorm_src 0
		.amdhsa_exception_fp_ieee_div_zero 0
		.amdhsa_exception_fp_ieee_overflow 0
		.amdhsa_exception_fp_ieee_underflow 0
		.amdhsa_exception_fp_ieee_inexact 0
		.amdhsa_exception_int_div_zero 0
	.end_amdhsa_kernel
	.section	.text._ZN2at6native32elementwise_kernel_manual_unrollILi128ELi4EZNS0_15gpu_kernel_implIZZZNS0_15exp_kernel_cudaERNS_18TensorIteratorBaseEENKUlvE0_clEvENKUlvE_clEvEUldE_EEvS4_RKT_EUlibE_EEviT1_,"axG",@progbits,_ZN2at6native32elementwise_kernel_manual_unrollILi128ELi4EZNS0_15gpu_kernel_implIZZZNS0_15exp_kernel_cudaERNS_18TensorIteratorBaseEENKUlvE0_clEvENKUlvE_clEvEUldE_EEvS4_RKT_EUlibE_EEviT1_,comdat
.Lfunc_end80:
	.size	_ZN2at6native32elementwise_kernel_manual_unrollILi128ELi4EZNS0_15gpu_kernel_implIZZZNS0_15exp_kernel_cudaERNS_18TensorIteratorBaseEENKUlvE0_clEvENKUlvE_clEvEUldE_EEvS4_RKT_EUlibE_EEviT1_, .Lfunc_end80-_ZN2at6native32elementwise_kernel_manual_unrollILi128ELi4EZNS0_15gpu_kernel_implIZZZNS0_15exp_kernel_cudaERNS_18TensorIteratorBaseEENKUlvE0_clEvENKUlvE_clEvEUldE_EEvS4_RKT_EUlibE_EEviT1_
                                        ; -- End function
	.set _ZN2at6native32elementwise_kernel_manual_unrollILi128ELi4EZNS0_15gpu_kernel_implIZZZNS0_15exp_kernel_cudaERNS_18TensorIteratorBaseEENKUlvE0_clEvENKUlvE_clEvEUldE_EEvS4_RKT_EUlibE_EEviT1_.num_vgpr, 18
	.set _ZN2at6native32elementwise_kernel_manual_unrollILi128ELi4EZNS0_15gpu_kernel_implIZZZNS0_15exp_kernel_cudaERNS_18TensorIteratorBaseEENKUlvE0_clEvENKUlvE_clEvEUldE_EEvS4_RKT_EUlibE_EEviT1_.num_agpr, 0
	.set _ZN2at6native32elementwise_kernel_manual_unrollILi128ELi4EZNS0_15gpu_kernel_implIZZZNS0_15exp_kernel_cudaERNS_18TensorIteratorBaseEENKUlvE0_clEvENKUlvE_clEvEUldE_EEvS4_RKT_EUlibE_EEviT1_.numbered_sgpr, 44
	.set _ZN2at6native32elementwise_kernel_manual_unrollILi128ELi4EZNS0_15gpu_kernel_implIZZZNS0_15exp_kernel_cudaERNS_18TensorIteratorBaseEENKUlvE0_clEvENKUlvE_clEvEUldE_EEvS4_RKT_EUlibE_EEviT1_.num_named_barrier, 0
	.set _ZN2at6native32elementwise_kernel_manual_unrollILi128ELi4EZNS0_15gpu_kernel_implIZZZNS0_15exp_kernel_cudaERNS_18TensorIteratorBaseEENKUlvE0_clEvENKUlvE_clEvEUldE_EEvS4_RKT_EUlibE_EEviT1_.private_seg_size, 0
	.set _ZN2at6native32elementwise_kernel_manual_unrollILi128ELi4EZNS0_15gpu_kernel_implIZZZNS0_15exp_kernel_cudaERNS_18TensorIteratorBaseEENKUlvE0_clEvENKUlvE_clEvEUldE_EEvS4_RKT_EUlibE_EEviT1_.uses_vcc, 1
	.set _ZN2at6native32elementwise_kernel_manual_unrollILi128ELi4EZNS0_15gpu_kernel_implIZZZNS0_15exp_kernel_cudaERNS_18TensorIteratorBaseEENKUlvE0_clEvENKUlvE_clEvEUldE_EEvS4_RKT_EUlibE_EEviT1_.uses_flat_scratch, 0
	.set _ZN2at6native32elementwise_kernel_manual_unrollILi128ELi4EZNS0_15gpu_kernel_implIZZZNS0_15exp_kernel_cudaERNS_18TensorIteratorBaseEENKUlvE0_clEvENKUlvE_clEvEUldE_EEvS4_RKT_EUlibE_EEviT1_.has_dyn_sized_stack, 0
	.set _ZN2at6native32elementwise_kernel_manual_unrollILi128ELi4EZNS0_15gpu_kernel_implIZZZNS0_15exp_kernel_cudaERNS_18TensorIteratorBaseEENKUlvE0_clEvENKUlvE_clEvEUldE_EEvS4_RKT_EUlibE_EEviT1_.has_recursion, 0
	.set _ZN2at6native32elementwise_kernel_manual_unrollILi128ELi4EZNS0_15gpu_kernel_implIZZZNS0_15exp_kernel_cudaERNS_18TensorIteratorBaseEENKUlvE0_clEvENKUlvE_clEvEUldE_EEvS4_RKT_EUlibE_EEviT1_.has_indirect_call, 0
	.section	.AMDGPU.csdata,"",@progbits
; Kernel info:
; codeLenInByte = 38540
; TotalNumSgprs: 50
; NumVgprs: 18
; NumAgprs: 0
; TotalNumVgprs: 18
; ScratchSize: 0
; MemoryBound: 1
; FloatMode: 240
; IeeeMode: 1
; LDSByteSize: 0 bytes/workgroup (compile time only)
; SGPRBlocks: 6
; VGPRBlocks: 2
; NumSGPRsForWavesPerEU: 50
; NumVGPRsForWavesPerEU: 18
; AccumOffset: 20
; Occupancy: 8
; WaveLimiterHint : 0
; COMPUTE_PGM_RSRC2:SCRATCH_EN: 0
; COMPUTE_PGM_RSRC2:USER_SGPR: 2
; COMPUTE_PGM_RSRC2:TRAP_HANDLER: 0
; COMPUTE_PGM_RSRC2:TGID_X_EN: 1
; COMPUTE_PGM_RSRC2:TGID_Y_EN: 0
; COMPUTE_PGM_RSRC2:TGID_Z_EN: 0
; COMPUTE_PGM_RSRC2:TIDIG_COMP_CNT: 0
; COMPUTE_PGM_RSRC3_GFX90A:ACCUM_OFFSET: 4
; COMPUTE_PGM_RSRC3_GFX90A:TG_SPLIT: 0
	.section	.text._ZN2at6native32elementwise_kernel_manual_unrollILi128ELi4EZNS0_15gpu_kernel_implIZZZNS0_15exp_kernel_cudaERNS_18TensorIteratorBaseEENKUlvE0_clEvENKUlvE_clEvEUldE_EEvS4_RKT_EUlibE0_EEviT1_,"axG",@progbits,_ZN2at6native32elementwise_kernel_manual_unrollILi128ELi4EZNS0_15gpu_kernel_implIZZZNS0_15exp_kernel_cudaERNS_18TensorIteratorBaseEENKUlvE0_clEvENKUlvE_clEvEUldE_EEvS4_RKT_EUlibE0_EEviT1_,comdat
	.globl	_ZN2at6native32elementwise_kernel_manual_unrollILi128ELi4EZNS0_15gpu_kernel_implIZZZNS0_15exp_kernel_cudaERNS_18TensorIteratorBaseEENKUlvE0_clEvENKUlvE_clEvEUldE_EEvS4_RKT_EUlibE0_EEviT1_ ; -- Begin function _ZN2at6native32elementwise_kernel_manual_unrollILi128ELi4EZNS0_15gpu_kernel_implIZZZNS0_15exp_kernel_cudaERNS_18TensorIteratorBaseEENKUlvE0_clEvENKUlvE_clEvEUldE_EEvS4_RKT_EUlibE0_EEviT1_
	.p2align	8
	.type	_ZN2at6native32elementwise_kernel_manual_unrollILi128ELi4EZNS0_15gpu_kernel_implIZZZNS0_15exp_kernel_cudaERNS_18TensorIteratorBaseEENKUlvE0_clEvENKUlvE_clEvEUldE_EEvS4_RKT_EUlibE0_EEviT1_,@function
_ZN2at6native32elementwise_kernel_manual_unrollILi128ELi4EZNS0_15gpu_kernel_implIZZZNS0_15exp_kernel_cudaERNS_18TensorIteratorBaseEENKUlvE0_clEvENKUlvE_clEvEUldE_EEvS4_RKT_EUlibE0_EEviT1_: ; @_ZN2at6native32elementwise_kernel_manual_unrollILi128ELi4EZNS0_15gpu_kernel_implIZZZNS0_15exp_kernel_cudaERNS_18TensorIteratorBaseEENKUlvE0_clEvENKUlvE_clEvEUldE_EEvS4_RKT_EUlibE0_EEviT1_
; %bb.0:
	s_load_dword s70, s[0:1], 0x0
	s_load_dword s33, s[0:1], 0x8
	s_add_u32 s34, s0, 8
	s_addc_u32 s35, s1, 0
	v_lshl_or_b32 v10, s2, 9, v0
	v_or_b32_e32 v16, 0x180, v10
	s_waitcnt lgkmcnt(0)
	s_add_i32 s72, s33, -1
	s_cmp_gt_u32 s72, 1
	v_cmp_le_i32_e32 vcc, s70, v16
	s_cselect_b64 s[42:43], -1, 0
	s_mov_b64 s[40:41], 0
	s_mov_b64 s[24:25], 0
	s_and_saveexec_b64 s[2:3], vcc
	s_xor_b64 s[44:45], exec, s[2:3]
	s_cbranch_execz .LBB81_1090
; %bb.1:
	v_mov_b32_e32 v0, 0
	global_load_ushort v0, v0, s[34:35] offset:345
	s_load_dwordx4 s[28:31], s[34:35], 0x4
	s_load_dwordx2 s[46:47], s[34:35], 0x14
	s_load_dwordx4 s[24:27], s[34:35], 0xc4
	s_load_dwordx4 s[20:23], s[34:35], 0x148
	s_cmp_lg_u32 s33, 0
	s_cselect_b64 s[52:53], -1, 0
	s_add_u32 s50, s34, 0xc4
	s_addc_u32 s51, s35, 0
	s_min_u32 s75, s72, 15
	s_cmp_gt_u32 s33, 1
	s_cselect_b64 s[48:49], -1, 0
	v_cmp_gt_i32_e32 vcc, s70, v10
	s_mov_b64 s[4:5], -1
	s_mov_b64 s[62:63], 0
	s_mov_b64 s[56:57], 0
	;; [unrolled: 1-line block ×3, first 2 shown]
	s_waitcnt vmcnt(0)
	v_readfirstlane_b32 s73, v0
	s_and_b32 s2, 0xffff, s73
	s_lshr_b32 s74, s2, 8
	s_and_saveexec_b64 s[58:59], vcc
	s_cbranch_execz .LBB81_267
; %bb.2:
	s_andn2_b64 vcc, exec, s[42:43]
	s_cbranch_vccnz .LBB81_8
; %bb.3:
	s_andn2_b64 vcc, exec, s[52:53]
	s_cbranch_vccnz .LBB81_9
; %bb.4:
	s_add_i32 s57, s75, 1
	s_cmp_eq_u32 s72, 2
	s_cbranch_scc1 .LBB81_10
; %bb.5:
	s_and_b32 s56, s57, 28
	s_mov_b32 s60, 0
	v_mov_b32_e32 v2, 0
	v_mov_b32_e32 v0, 0
	s_mov_b64 s[2:3], s[34:35]
	s_mov_b64 s[54:55], s[50:51]
	v_mov_b32_e32 v4, v10
.LBB81_6:                               ; =>This Inner Loop Header: Depth=1
	s_load_dwordx8 s[12:19], s[2:3], 0x4
	s_load_dwordx4 s[36:39], s[2:3], 0x24
	s_load_dwordx8 s[4:11], s[54:55], 0x0
	s_add_u32 s2, s2, 48
	s_addc_u32 s3, s3, 0
	s_waitcnt lgkmcnt(0)
	v_mul_hi_u32 v1, s13, v4
	v_add_u32_e32 v1, v4, v1
	v_lshrrev_b32_e32 v1, s14, v1
	v_mul_lo_u32 v3, v1, s12
	v_mul_hi_u32 v5, s16, v1
	v_sub_u32_e32 v3, v4, v3
	v_add_u32_e32 v4, v1, v5
	v_lshrrev_b32_e32 v4, s17, v4
	v_mul_lo_u32 v6, v4, s15
	v_mul_hi_u32 v7, s19, v4
	v_sub_u32_e32 v1, v1, v6
	v_add_u32_e32 v6, v4, v7
	v_mul_lo_u32 v5, v3, s5
	v_mul_lo_u32 v3, v3, s4
	;; [unrolled: 1-line block ×4, first 2 shown]
	v_lshrrev_b32_e32 v6, s36, v6
	v_add3_u32 v1, v3, v2, v1
	v_mul_hi_u32 v3, s38, v6
	v_mul_lo_u32 v2, v6, s18
	v_add_u32_e32 v3, v6, v3
	v_sub_u32_e32 v2, v4, v2
	v_lshrrev_b32_e32 v4, s39, v3
	s_add_i32 s60, s60, 4
	v_mul_lo_u32 v3, v4, s37
	s_add_u32 s54, s54, 32
	v_sub_u32_e32 v3, v6, v3
	s_addc_u32 s55, s55, 0
	v_add3_u32 v0, v5, v0, v7
	v_mul_lo_u32 v5, v2, s8
	v_mul_lo_u32 v2, v2, s9
	;; [unrolled: 1-line block ×4, first 2 shown]
	s_cmp_lg_u32 s56, s60
	v_add3_u32 v0, v2, v0, v3
	v_add3_u32 v2, v5, v1, v6
	s_cbranch_scc1 .LBB81_6
; %bb.7:
	v_mov_b32_e32 v1, v0
	s_branch .LBB81_11
.LBB81_8:
                                        ; implicit-def: $vgpr0
                                        ; implicit-def: $vgpr2
	s_branch .LBB81_15
.LBB81_9:
	v_mov_b32_e32 v0, 0
	v_mov_b32_e32 v2, 0
	s_branch .LBB81_14
.LBB81_10:
	v_mov_b32_e32 v2, 0
	s_mov_b32 s56, 0
	v_mov_b32_e32 v1, v2
                                        ; implicit-def: $vgpr0
	v_mov_b32_e32 v4, v10
.LBB81_11:
	s_and_b32 s6, s57, 3
	s_cmp_eq_u32 s6, 0
	s_cbranch_scc1 .LBB81_14
; %bb.12:
	s_lshl_b32 s2, s56, 3
	s_add_u32 s2, s34, s2
	s_addc_u32 s3, s35, 0
	s_add_u32 s2, s2, 0xc4
	s_addc_u32 s3, s3, 0
	s_mul_i32 s4, s56, 12
	s_add_u32 s4, s34, s4
	s_addc_u32 s5, s35, 0
.LBB81_13:                              ; =>This Inner Loop Header: Depth=1
	s_load_dwordx2 s[8:9], s[4:5], 0x4
	s_load_dword s7, s[4:5], 0xc
	s_load_dwordx2 s[10:11], s[2:3], 0x0
	v_mov_b32_e32 v0, v1
	s_add_u32 s4, s4, 12
	s_waitcnt lgkmcnt(0)
	v_mul_hi_u32 v1, s9, v4
	v_add_u32_e32 v1, v4, v1
	v_lshrrev_b32_e32 v1, s7, v1
	s_addc_u32 s5, s5, 0
	v_mul_lo_u32 v3, v1, s8
	s_add_u32 s2, s2, 8
	v_sub_u32_e32 v3, v4, v3
	s_addc_u32 s3, s3, 0
	s_add_i32 s6, s6, -1
	v_mov_b32_e32 v4, v1
	v_mad_u64_u32 v[0:1], s[8:9], v3, s11, v[0:1]
	s_cmp_lg_u32 s6, 0
	v_mad_u64_u32 v[2:3], s[8:9], v3, s10, v[2:3]
	v_mov_b32_e32 v1, v0
	s_cbranch_scc1 .LBB81_13
.LBB81_14:
	s_cbranch_execnz .LBB81_17
.LBB81_15:
	s_waitcnt lgkmcnt(0)
	v_mul_hi_u32 v0, s29, v10
	v_add_u32_e32 v0, v10, v0
	v_lshrrev_b32_e32 v1, s30, v0
	v_mul_lo_u32 v0, v1, s28
	v_sub_u32_e32 v2, v10, v0
	v_mul_lo_u32 v0, v2, s25
	s_andn2_b64 vcc, exec, s[48:49]
	v_mul_lo_u32 v2, v2, s24
	s_cbranch_vccnz .LBB81_17
; %bb.16:
	v_mul_hi_u32 v3, s46, v1
	v_add_u32_e32 v3, v1, v3
	v_lshrrev_b32_e32 v3, s47, v3
	v_mul_lo_u32 v3, v3, s31
	v_sub_u32_e32 v1, v1, v3
	v_mad_u64_u32 v[2:3], s[2:3], v1, s26, v[2:3]
	v_mad_u64_u32 v[0:1], s[2:3], v1, s27, v[0:1]
.LBB81_17:
	v_mov_b32_e32 v1, 0
	s_and_b32 s10, 0xffff, s74
	s_cmp_lt_i32 s10, 11
	s_waitcnt lgkmcnt(0)
	v_lshl_add_u64 v[0:1], s[22:23], 0, v[0:1]
	s_cbranch_scc1 .LBB81_24
; %bb.18:
	s_cmp_gt_i32 s10, 25
	s_cbranch_scc0 .LBB81_33
; %bb.19:
	s_cmp_gt_i32 s10, 28
	s_cbranch_scc0 .LBB81_36
	;; [unrolled: 3-line block ×4, first 2 shown]
; %bb.22:
	s_cmp_eq_u32 s10, 46
	s_mov_b64 s[6:7], 0
	s_cbranch_scc0 .LBB81_42
; %bb.23:
	global_load_dword v3, v[0:1], off
	s_mov_b64 s[2:3], -1
	s_mov_b64 s[4:5], 0
	s_waitcnt vmcnt(0)
	v_lshlrev_b32_e32 v3, 16, v3
	v_cvt_f64_f32_e32 v[4:5], v3
	s_branch .LBB81_44
.LBB81_24:
	s_mov_b64 s[4:5], 0
                                        ; implicit-def: $vgpr4_vgpr5
	s_mov_b64 s[2:3], 0
	s_cbranch_execnz .LBB81_217
.LBB81_25:
	s_andn2_b64 vcc, exec, s[2:3]
	s_cbranch_vccnz .LBB81_264
.LBB81_26:
	s_mov_b32 s2, 0x652b82fe
	s_mov_b32 s3, 0x3ff71547
	s_waitcnt vmcnt(0)
	v_mul_f64 v[0:1], v[4:5], s[2:3]
	s_mov_b32 s2, 0xfefa39ef
	v_rndne_f64_e32 v[0:1], v[0:1]
	s_mov_b32 s3, 0xbfe62e42
	v_fma_f64 v[6:7], s[2:3], v[0:1], v[4:5]
	s_mov_b32 s2, 0x3b39803f
	s_mov_b32 s3, 0xbc7abc9e
	v_fmac_f64_e32 v[6:7], s[2:3], v[0:1]
	s_mov_b32 s2, 0x6a5dcb37
	v_mov_b32_e32 v8, 0xfca7ab0c
	v_mov_b32_e32 v9, 0x3e928af3
	s_mov_b32 s3, 0x3e5ade15
	v_fmac_f64_e32 v[8:9], s[2:3], v[6:7]
	v_mov_b32_e32 v12, 0x623fde64
	v_mov_b32_e32 v13, 0x3ec71dee
	v_fmac_f64_e32 v[12:13], v[6:7], v[8:9]
	v_mov_b32_e32 v8, 0x7c89e6b0
	v_mov_b32_e32 v9, 0x3efa0199
	;; [unrolled: 3-line block ×8, first 2 shown]
	s_mov_b32 s2, 0
	v_fmac_f64_e32 v[8:9], v[6:7], v[12:13]
	s_mov_b32 s3, 0x40900000
	v_fma_f64 v[8:9], v[6:7], v[8:9], 1.0
	v_cmp_nlt_f64_e32 vcc, s[2:3], v[4:5]
	s_mov_b32 s2, 0
	v_fma_f64 v[6:7], v[6:7], v[8:9], 1.0
	v_cvt_i32_f64_e32 v0, v[0:1]
	s_mov_b32 s3, 0xc090cc00
	v_ldexp_f64 v[0:1], v[6:7], v0
	v_mov_b32_e32 v3, 0x7ff00000
	v_cmp_ngt_f64_e64 s[2:3], s[2:3], v[4:5]
	v_cndmask_b32_e32 v1, v3, v1, vcc
	s_and_b64 vcc, s[2:3], vcc
	v_mov_b32_e32 v3, 0
	s_and_b32 s12, s73, 0xff
	v_cndmask_b32_e64 v1, 0, v1, s[2:3]
	v_cndmask_b32_e32 v0, 0, v0, vcc
	s_cmp_lt_i32 s12, 11
	v_lshl_add_u64 v[4:5], s[20:21], 0, v[2:3]
	s_cbranch_scc1 .LBB81_34
; %bb.27:
	s_and_b32 s13, 0xffff, s12
	s_cmp_gt_i32 s13, 25
	s_cbranch_scc0 .LBB81_37
; %bb.28:
	s_cmp_gt_i32 s13, 28
	s_cbranch_scc0 .LBB81_39
; %bb.29:
	;; [unrolled: 3-line block ×4, first 2 shown]
	s_mov_b64 s[8:9], 0
	s_mov_b64 s[2:3], -1
	s_cmp_eq_u32 s13, 46
	s_mov_b64 s[6:7], 0
	s_cbranch_scc0 .LBB81_48
; %bb.32:
	v_cvt_f32_f64_e32 v2, v[0:1]
	v_bfe_u32 v3, v2, 16, 1
	s_movk_i32 s2, 0x7fff
	v_add3_u32 v3, v2, v3, s2
	v_cmp_o_f32_e32 vcc, v2, v2
	v_mov_b32_e32 v2, 0x7fc0
	s_mov_b64 s[6:7], -1
	v_cndmask_b32_sdwa v2, v2, v3, vcc dst_sel:DWORD dst_unused:UNUSED_PAD src0_sel:DWORD src1_sel:WORD_1
	global_store_dword v[4:5], v2, off
	s_mov_b64 s[2:3], 0
	s_branch .LBB81_48
.LBB81_33:
	s_mov_b64 s[4:5], 0
	s_mov_b64 s[2:3], 0
                                        ; implicit-def: $vgpr4_vgpr5
	s_cbranch_execnz .LBB81_184
	s_branch .LBB81_216
.LBB81_34:
	s_mov_b64 s[2:3], 0
	s_mov_b64 s[6:7], 0
	s_cbranch_execnz .LBB81_117
.LBB81_35:
	s_andn2_b64 vcc, exec, s[6:7]
	s_cbranch_vccnz .LBB81_265
	s_branch .LBB81_155
.LBB81_36:
	s_mov_b64 s[6:7], -1
	s_mov_b64 s[4:5], 0
	s_mov_b64 s[2:3], 0
                                        ; implicit-def: $vgpr4_vgpr5
	s_branch .LBB81_163
.LBB81_37:
	s_mov_b64 s[8:9], -1
	s_mov_b64 s[2:3], 0
	s_mov_b64 s[6:7], 0
	s_branch .LBB81_75
.LBB81_38:
	s_mov_b64 s[6:7], -1
	s_mov_b64 s[4:5], 0
	s_mov_b64 s[2:3], 0
                                        ; implicit-def: $vgpr4_vgpr5
	s_branch .LBB81_158
.LBB81_39:
	s_mov_b64 s[8:9], -1
	s_mov_b64 s[2:3], 0
	s_mov_b64 s[6:7], 0
	s_branch .LBB81_58
.LBB81_40:
	s_mov_b64 s[6:7], -1
	s_mov_b64 s[4:5], 0
	s_branch .LBB81_43
.LBB81_41:
	s_mov_b64 s[8:9], -1
	s_mov_b64 s[2:3], 0
	s_mov_b64 s[6:7], 0
	s_branch .LBB81_54
.LBB81_42:
	s_mov_b64 s[4:5], -1
.LBB81_43:
	s_mov_b64 s[2:3], 0
                                        ; implicit-def: $vgpr4_vgpr5
.LBB81_44:
	s_and_b64 vcc, exec, s[6:7]
	s_cbranch_vccz .LBB81_157
; %bb.45:
	s_cmp_eq_u32 s10, 44
	s_cbranch_scc0 .LBB81_156
; %bb.46:
	global_load_ubyte v3, v[0:1], off
	s_movk_i32 s4, 0xff
	v_bfrev_b32_e32 v6, 4
	v_mov_b32_e32 v7, 0x7ff80000
	v_bfrev_b32_e32 v8, 28
	s_mov_b64 s[2:3], -1
	s_waitcnt vmcnt(0)
	v_lshlrev_b32_e32 v4, 23, v3
	v_cvt_f64_f32_e32 v[4:5], v4
	v_cmp_ne_u32_e32 vcc, s4, v3
	s_mov_b64 s[4:5], 0
	s_nop 0
	v_cndmask_b32_e32 v4, v6, v4, vcc
	v_cndmask_b32_e32 v5, v7, v5, vcc
	v_cmp_ne_u32_e32 vcc, 0, v3
	s_nop 1
	v_cndmask_b32_e32 v5, v8, v5, vcc
	v_cndmask_b32_e32 v4, 0, v4, vcc
	s_branch .LBB81_157
.LBB81_47:
	s_mov_b64 s[8:9], -1
	s_mov_b64 s[2:3], 0
	s_mov_b64 s[6:7], 0
.LBB81_48:
	s_and_b64 vcc, exec, s[8:9]
	s_cbranch_vccz .LBB81_53
; %bb.49:
	s_cmp_eq_u32 s13, 44
	s_mov_b64 s[2:3], -1
	s_cbranch_scc0 .LBB81_53
; %bb.50:
	v_cvt_f32_f64_e32 v2, v[0:1]
	v_bfe_u32 v3, v2, 23, 8
	s_movk_i32 s2, 0xff
	v_cmp_ne_u32_e32 vcc, s2, v3
	v_mov_b32_e32 v6, 0xff
	s_and_saveexec_b64 s[6:7], vcc
; %bb.51:
	s_mov_b32 s2, 0x3fffff
	v_lshrrev_b32_e32 v6, 23, v2
	v_and_b32_e32 v7, 0x400000, v2
	v_and_or_b32 v2, v2, s2, v3
	v_cmp_ne_u32_e32 vcc, 0, v7
	v_cmp_ne_u32_e64 s[2:3], 0, v2
	s_and_b64 s[2:3], vcc, s[2:3]
	s_nop 0
	v_cndmask_b32_e64 v2, 0, 1, s[2:3]
	v_add_u32_e32 v6, v6, v2
; %bb.52:
	s_or_b64 exec, exec, s[6:7]
	s_mov_b64 s[6:7], -1
	s_mov_b64 s[2:3], 0
	global_store_byte v[4:5], v6, off
.LBB81_53:
	s_mov_b64 s[8:9], 0
.LBB81_54:
	s_and_b64 vcc, exec, s[8:9]
	s_cbranch_vccz .LBB81_57
; %bb.55:
	s_cmp_eq_u32 s13, 29
	s_mov_b64 s[2:3], -1
	s_cbranch_scc0 .LBB81_57
; %bb.56:
	v_trunc_f64_e32 v[2:3], v[0:1]
	s_movk_i32 s2, 0xffe0
	v_ldexp_f64 v[6:7], v[2:3], s2
	v_floor_f64_e32 v[6:7], v[6:7]
	v_fmac_f64_e32 v[2:3], 0xc1f00000, v[6:7]
	v_cvt_u32_f64_e32 v9, v[6:7]
	v_cvt_u32_f64_e32 v8, v[2:3]
	global_store_dwordx2 v[4:5], v[8:9], off
	s_mov_b64 s[6:7], -1
	s_mov_b64 s[2:3], 0
.LBB81_57:
	s_mov_b64 s[8:9], 0
.LBB81_58:
	s_and_b64 vcc, exec, s[8:9]
	s_cbranch_vccz .LBB81_74
; %bb.59:
	s_cmp_lt_i32 s13, 27
	s_mov_b64 s[6:7], -1
	s_cbranch_scc1 .LBB81_65
; %bb.60:
	s_cmp_gt_i32 s13, 27
	v_cvt_u32_f64_e32 v2, v[0:1]
	s_cbranch_scc0 .LBB81_62
; %bb.61:
	s_mov_b64 s[6:7], 0
	global_store_dword v[4:5], v2, off
.LBB81_62:
	s_andn2_b64 vcc, exec, s[6:7]
	s_cbranch_vccnz .LBB81_64
; %bb.63:
	global_store_short v[4:5], v2, off
.LBB81_64:
	s_mov_b64 s[6:7], 0
.LBB81_65:
	s_andn2_b64 vcc, exec, s[6:7]
	s_cbranch_vccnz .LBB81_73
; %bb.66:
	v_cvt_f32_f64_e32 v2, v[0:1]
	v_and_b32_e32 v3, 0x7fffffff, v2
	s_mov_b32 s6, 0x43800000
	v_cmp_gt_u32_e32 vcc, s6, v3
	v_mov_b32_e32 v6, 0x80
	s_and_saveexec_b64 s[6:7], vcc
	s_cbranch_execz .LBB81_72
; %bb.67:
	s_mov_b32 s8, 0x3bffffff
	v_cmp_lt_u32_e32 vcc, s8, v3
	s_mov_b64 s[8:9], 0
                                        ; implicit-def: $vgpr3
	s_and_saveexec_b64 s[10:11], vcc
	s_xor_b64 s[10:11], exec, s[10:11]
	s_cbranch_execz .LBB81_309
; %bb.68:
	v_bfe_u32 v3, v2, 20, 1
	s_mov_b32 s14, 0x487ffff
	v_add3_u32 v3, v2, v3, s14
	s_mov_b64 s[8:9], exec
	v_lshrrev_b32_e32 v3, 20, v3
	s_andn2_saveexec_b64 s[10:11], s[10:11]
	s_cbranch_execnz .LBB81_310
.LBB81_69:
	s_or_b64 exec, exec, s[10:11]
	v_mov_b32_e32 v6, 0
	s_and_saveexec_b64 s[10:11], s[8:9]
.LBB81_70:
	v_lshrrev_b32_e32 v2, 24, v2
	s_movk_i32 s8, 0x80
	v_and_or_b32 v6, v2, s8, v3
.LBB81_71:
	s_or_b64 exec, exec, s[10:11]
.LBB81_72:
	s_or_b64 exec, exec, s[6:7]
	global_store_byte v[4:5], v6, off
.LBB81_73:
	s_mov_b64 s[6:7], -1
.LBB81_74:
	s_mov_b64 s[8:9], 0
.LBB81_75:
	s_and_b64 vcc, exec, s[8:9]
	s_cbranch_vccz .LBB81_116
; %bb.76:
	s_cmp_gt_i32 s13, 22
	s_mov_b64 s[8:9], -1
	s_cbranch_scc0 .LBB81_108
; %bb.77:
	s_cmp_lt_i32 s13, 24
	s_mov_b64 s[6:7], -1
	s_cbranch_scc1 .LBB81_97
; %bb.78:
	s_cmp_gt_i32 s13, 24
	s_cbranch_scc0 .LBB81_86
; %bb.79:
	v_cvt_f32_f64_e32 v2, v[0:1]
	v_and_b32_e32 v3, 0x7fffffff, v2
	s_mov_b32 s6, 0x47800000
	v_cmp_gt_u32_e32 vcc, s6, v3
	v_mov_b32_e32 v6, 0x80
	s_and_saveexec_b64 s[6:7], vcc
	s_cbranch_execz .LBB81_85
; %bb.80:
	s_mov_b32 s8, 0x37ffffff
	v_cmp_lt_u32_e32 vcc, s8, v3
	s_mov_b64 s[8:9], 0
                                        ; implicit-def: $vgpr3
	s_and_saveexec_b64 s[10:11], vcc
	s_xor_b64 s[10:11], exec, s[10:11]
	s_cbranch_execz .LBB81_313
; %bb.81:
	v_bfe_u32 v3, v2, 21, 1
	s_mov_b32 s14, 0x88fffff
	v_add3_u32 v3, v2, v3, s14
	s_mov_b64 s[8:9], exec
	v_lshrrev_b32_e32 v3, 21, v3
	s_andn2_saveexec_b64 s[10:11], s[10:11]
	s_cbranch_execnz .LBB81_314
.LBB81_82:
	s_or_b64 exec, exec, s[10:11]
	v_mov_b32_e32 v6, 0
	s_and_saveexec_b64 s[10:11], s[8:9]
.LBB81_83:
	v_lshrrev_b32_e32 v2, 24, v2
	s_movk_i32 s8, 0x80
	v_and_or_b32 v6, v2, s8, v3
.LBB81_84:
	s_or_b64 exec, exec, s[10:11]
.LBB81_85:
	s_or_b64 exec, exec, s[6:7]
	s_mov_b64 s[6:7], 0
	global_store_byte v[4:5], v6, off
.LBB81_86:
	s_and_b64 vcc, exec, s[6:7]
	s_cbranch_vccz .LBB81_96
; %bb.87:
	v_cvt_f32_f64_e32 v2, v[0:1]
	v_and_b32_e32 v6, 0x7fffffff, v2
	s_mov_b32 s6, 0x43f00000
	v_cmp_gt_u32_e32 vcc, s6, v6
                                        ; implicit-def: $vgpr3
	s_and_saveexec_b64 s[6:7], vcc
	s_xor_b64 s[6:7], exec, s[6:7]
	s_cbranch_execz .LBB81_93
; %bb.88:
	s_mov_b32 s8, 0x3c7fffff
	v_cmp_lt_u32_e32 vcc, s8, v6
                                        ; implicit-def: $vgpr3
	s_and_saveexec_b64 s[8:9], vcc
	s_xor_b64 s[8:9], exec, s[8:9]
; %bb.89:
	v_bfe_u32 v3, v2, 20, 1
	s_mov_b32 s10, 0x407ffff
	v_add3_u32 v3, v2, v3, s10
	v_lshrrev_b32_e32 v6, 20, v3
	v_and_b32_e32 v3, 0xff00000, v3
	s_mov_b32 s10, 0x7f00000
	v_mov_b32_e32 v7, 0x7e
	v_cmp_ne_u32_e32 vcc, s10, v3
	s_nop 1
	v_cndmask_b32_e32 v3, v7, v6, vcc
; %bb.90:
	s_andn2_saveexec_b64 s[8:9], s[8:9]
; %bb.91:
	s_mov_b32 s10, 0x46800000
	v_add_f32_e64 v3, |v2|, s10
; %bb.92:
	s_or_b64 exec, exec, s[8:9]
                                        ; implicit-def: $vgpr6
.LBB81_93:
	s_andn2_saveexec_b64 s[6:7], s[6:7]
; %bb.94:
	s_mov_b32 s8, 0x7f800000
	v_mov_b32_e32 v3, 0x7e
	v_mov_b32_e32 v7, 0x7f
	v_cmp_lt_u32_e32 vcc, s8, v6
	s_nop 1
	v_cndmask_b32_e32 v3, v3, v7, vcc
; %bb.95:
	s_or_b64 exec, exec, s[6:7]
	v_lshrrev_b32_e32 v2, 24, v2
	s_movk_i32 s6, 0x80
	v_and_or_b32 v2, v2, s6, v3
	global_store_byte v[4:5], v2, off
.LBB81_96:
	s_mov_b64 s[6:7], 0
.LBB81_97:
	s_andn2_b64 vcc, exec, s[6:7]
	s_cbranch_vccnz .LBB81_107
; %bb.98:
	v_cvt_f32_f64_e32 v2, v[0:1]
	v_and_b32_e32 v6, 0x7fffffff, v2
	s_mov_b32 s6, 0x47800000
	v_cmp_gt_u32_e32 vcc, s6, v6
                                        ; implicit-def: $vgpr3
	s_and_saveexec_b64 s[6:7], vcc
	s_xor_b64 s[6:7], exec, s[6:7]
	s_cbranch_execz .LBB81_104
; %bb.99:
	s_mov_b32 s8, 0x387fffff
	v_cmp_lt_u32_e32 vcc, s8, v6
                                        ; implicit-def: $vgpr3
	s_and_saveexec_b64 s[8:9], vcc
	s_xor_b64 s[8:9], exec, s[8:9]
; %bb.100:
	v_bfe_u32 v3, v2, 21, 1
	s_mov_b32 s10, 0x80fffff
	v_add3_u32 v3, v2, v3, s10
	v_lshrrev_b32_e32 v3, 21, v3
; %bb.101:
	s_andn2_saveexec_b64 s[8:9], s[8:9]
; %bb.102:
	s_mov_b32 s10, 0x43000000
	v_add_f32_e64 v3, |v2|, s10
; %bb.103:
	s_or_b64 exec, exec, s[8:9]
                                        ; implicit-def: $vgpr6
.LBB81_104:
	s_andn2_saveexec_b64 s[6:7], s[6:7]
; %bb.105:
	s_mov_b32 s8, 0x7f800000
	v_mov_b32_e32 v3, 0x7c
	v_mov_b32_e32 v7, 0x7f
	v_cmp_lt_u32_e32 vcc, s8, v6
	s_nop 1
	v_cndmask_b32_e32 v3, v3, v7, vcc
; %bb.106:
	s_or_b64 exec, exec, s[6:7]
	v_lshrrev_b32_e32 v2, 24, v2
	s_movk_i32 s6, 0x80
	v_and_or_b32 v2, v2, s6, v3
	global_store_byte v[4:5], v2, off
.LBB81_107:
	s_mov_b64 s[8:9], 0
	s_mov_b64 s[6:7], -1
.LBB81_108:
	s_andn2_b64 vcc, exec, s[8:9]
	s_cbranch_vccnz .LBB81_116
; %bb.109:
	s_cmp_gt_i32 s13, 14
	s_mov_b64 s[8:9], -1
	s_cbranch_scc0 .LBB81_113
; %bb.110:
	s_cmp_eq_u32 s13, 15
	s_mov_b64 s[2:3], -1
	s_cbranch_scc0 .LBB81_112
; %bb.111:
	v_cvt_f32_f64_e32 v2, v[0:1]
	v_bfe_u32 v3, v2, 16, 1
	s_movk_i32 s2, 0x7fff
	v_add3_u32 v3, v2, v3, s2
	v_cmp_o_f32_e32 vcc, v2, v2
	v_mov_b32_e32 v2, 0x7fc0
	s_mov_b64 s[6:7], -1
	v_cndmask_b32_sdwa v2, v2, v3, vcc dst_sel:DWORD dst_unused:UNUSED_PAD src0_sel:DWORD src1_sel:WORD_1
	global_store_short v[4:5], v2, off
	s_mov_b64 s[2:3], 0
.LBB81_112:
	s_mov_b64 s[8:9], 0
.LBB81_113:
	s_and_b64 vcc, exec, s[8:9]
	s_cbranch_vccz .LBB81_116
; %bb.114:
	s_cmp_eq_u32 s13, 11
	s_mov_b64 s[2:3], -1
	s_cbranch_scc0 .LBB81_116
; %bb.115:
	v_cmp_neq_f64_e32 vcc, 0, v[0:1]
	s_mov_b64 s[2:3], 0
	s_mov_b64 s[6:7], -1
	v_cndmask_b32_e64 v2, 0, 1, vcc
	global_store_byte v[4:5], v2, off
.LBB81_116:
	s_branch .LBB81_35
.LBB81_117:
	s_and_b32 s8, 0xffff, s12
	s_cmp_lt_i32 s8, 5
	s_mov_b64 s[6:7], -1
	s_cbranch_scc1 .LBB81_138
; %bb.118:
	s_cmp_lt_i32 s8, 8
	s_cbranch_scc1 .LBB81_128
; %bb.119:
	s_cmp_lt_i32 s8, 9
	s_cbranch_scc1 .LBB81_125
; %bb.120:
	s_cmp_gt_i32 s8, 9
	s_cbranch_scc0 .LBB81_122
; %bb.121:
	v_mov_b32_e32 v2, 0
	v_mov_b32_e32 v3, v2
	global_store_dwordx4 v[4:5], v[0:3], off
	s_mov_b64 s[6:7], 0
.LBB81_122:
	s_andn2_b64 vcc, exec, s[6:7]
	s_cbranch_vccnz .LBB81_124
; %bb.123:
	v_cvt_f32_f64_e32 v2, v[0:1]
	v_mov_b32_e32 v3, 0
	global_store_dwordx2 v[4:5], v[2:3], off
.LBB81_124:
	s_mov_b64 s[6:7], 0
.LBB81_125:
	s_andn2_b64 vcc, exec, s[6:7]
	s_cbranch_vccnz .LBB81_127
; %bb.126:
	s_movk_i32 s6, 0x1ff
	v_and_or_b32 v2, v1, s6, v0
	v_cmp_ne_u32_e32 vcc, 0, v2
	v_lshrrev_b32_e32 v3, 8, v1
	s_movk_i32 s6, 0xffe
	v_cndmask_b32_e64 v2, 0, 1, vcc
	v_bfe_u32 v6, v1, 20, 11
	v_and_or_b32 v2, v3, s6, v2
	v_sub_u32_e32 v7, 0x3f1, v6
	v_or_b32_e32 v3, 0x1000, v2
	v_med3_i32 v7, v7, 0, 13
	v_lshrrev_b32_e32 v8, v7, v3
	v_lshlrev_b32_e32 v7, v7, v8
	v_cmp_ne_u32_e32 vcc, v7, v3
	v_add_u32_e32 v6, 0xfffffc10, v6
	v_lshl_or_b32 v7, v6, 12, v2
	v_cndmask_b32_e64 v3, 0, 1, vcc
	v_or_b32_e32 v3, v8, v3
	v_cmp_gt_i32_e32 vcc, 1, v6
	s_movk_i32 s6, 0x40f
	s_nop 0
	v_cndmask_b32_e32 v3, v7, v3, vcc
	v_and_b32_e32 v7, 7, v3
	v_cmp_lt_i32_e32 vcc, 5, v7
	v_lshrrev_b32_e32 v3, 2, v3
	s_nop 0
	v_cndmask_b32_e64 v8, 0, 1, vcc
	v_cmp_eq_u32_e32 vcc, 3, v7
	s_nop 1
	v_cndmask_b32_e64 v7, 0, 1, vcc
	v_or_b32_e32 v7, v7, v8
	v_add_u32_e32 v3, v3, v7
	v_mov_b32_e32 v7, 0x7c00
	v_cmp_gt_i32_e32 vcc, 31, v6
	v_mov_b32_e32 v8, 0x7e00
	s_nop 0
	v_cndmask_b32_e32 v3, v7, v3, vcc
	v_cmp_ne_u32_e32 vcc, 0, v2
	s_nop 1
	v_cndmask_b32_e32 v2, v7, v8, vcc
	v_cmp_eq_u32_e32 vcc, s6, v6
	s_mov_b32 s6, 0x8000
	s_nop 0
	v_cndmask_b32_e32 v2, v3, v2, vcc
	v_and_b32_sdwa v3, v1, s6 dst_sel:DWORD dst_unused:UNUSED_PAD src0_sel:WORD_1 src1_sel:DWORD
	s_mov_b32 s6, 0xffff
	v_bitop3_b32 v2, v3, s6, v2 bitop3:0xc8
	global_store_dword v[4:5], v2, off
.LBB81_127:
	s_mov_b64 s[6:7], 0
.LBB81_128:
	s_andn2_b64 vcc, exec, s[6:7]
	s_cbranch_vccnz .LBB81_137
; %bb.129:
	s_cmp_lt_i32 s8, 6
	s_mov_b64 s[6:7], -1
	s_cbranch_scc1 .LBB81_135
; %bb.130:
	s_cmp_gt_i32 s8, 6
	s_cbranch_scc0 .LBB81_132
; %bb.131:
	global_store_dwordx2 v[4:5], v[0:1], off
	s_mov_b64 s[6:7], 0
.LBB81_132:
	s_andn2_b64 vcc, exec, s[6:7]
	s_cbranch_vccnz .LBB81_134
; %bb.133:
	v_cvt_f32_f64_e32 v2, v[0:1]
	global_store_dword v[4:5], v2, off
.LBB81_134:
	s_mov_b64 s[6:7], 0
.LBB81_135:
	s_andn2_b64 vcc, exec, s[6:7]
	s_cbranch_vccnz .LBB81_137
; %bb.136:
	s_movk_i32 s6, 0x1ff
	v_and_or_b32 v2, v1, s6, v0
	v_cmp_ne_u32_e32 vcc, 0, v2
	v_lshrrev_b32_e32 v3, 8, v1
	s_movk_i32 s6, 0xffe
	v_cndmask_b32_e64 v2, 0, 1, vcc
	v_bfe_u32 v6, v1, 20, 11
	v_and_or_b32 v2, v3, s6, v2
	v_sub_u32_e32 v7, 0x3f1, v6
	v_or_b32_e32 v3, 0x1000, v2
	v_med3_i32 v7, v7, 0, 13
	v_lshrrev_b32_e32 v8, v7, v3
	v_lshlrev_b32_e32 v7, v7, v8
	v_cmp_ne_u32_e32 vcc, v7, v3
	v_add_u32_e32 v6, 0xfffffc10, v6
	v_lshl_or_b32 v7, v6, 12, v2
	v_cndmask_b32_e64 v3, 0, 1, vcc
	v_or_b32_e32 v3, v8, v3
	v_cmp_gt_i32_e32 vcc, 1, v6
	s_movk_i32 s6, 0x40f
	s_nop 0
	v_cndmask_b32_e32 v3, v7, v3, vcc
	v_and_b32_e32 v7, 7, v3
	v_cmp_lt_i32_e32 vcc, 5, v7
	v_lshrrev_b32_e32 v3, 2, v3
	s_nop 0
	v_cndmask_b32_e64 v8, 0, 1, vcc
	v_cmp_eq_u32_e32 vcc, 3, v7
	s_nop 1
	v_cndmask_b32_e64 v7, 0, 1, vcc
	v_or_b32_e32 v7, v7, v8
	v_add_u32_e32 v3, v3, v7
	v_mov_b32_e32 v7, 0x7c00
	v_cmp_gt_i32_e32 vcc, 31, v6
	v_mov_b32_e32 v8, 0x7e00
	s_nop 0
	v_cndmask_b32_e32 v3, v7, v3, vcc
	v_cmp_ne_u32_e32 vcc, 0, v2
	s_nop 1
	v_cndmask_b32_e32 v2, v7, v8, vcc
	v_cmp_eq_u32_e32 vcc, s6, v6
	s_mov_b32 s6, 0x8000
	s_nop 0
	v_cndmask_b32_e32 v2, v3, v2, vcc
	v_lshrrev_b32_e32 v3, 16, v1
	v_and_or_b32 v2, v3, s6, v2
	global_store_short v[4:5], v2, off
.LBB81_137:
	s_mov_b64 s[6:7], 0
.LBB81_138:
	s_andn2_b64 vcc, exec, s[6:7]
	s_cbranch_vccnz .LBB81_154
; %bb.139:
	s_cmp_lt_i32 s8, 2
	s_mov_b64 s[6:7], -1
	s_cbranch_scc1 .LBB81_149
; %bb.140:
	s_cmp_lt_i32 s8, 3
	s_cbranch_scc1 .LBB81_146
; %bb.141:
	s_cmp_gt_i32 s8, 3
	s_cbranch_scc0 .LBB81_143
; %bb.142:
	v_trunc_f64_e32 v[2:3], v[0:1]
	s_movk_i32 s6, 0xffe0
	v_ldexp_f64 v[6:7], v[2:3], s6
	v_floor_f64_e32 v[6:7], v[6:7]
	v_fmac_f64_e32 v[2:3], 0xc1f00000, v[6:7]
	v_cvt_i32_f64_e32 v9, v[6:7]
	v_cvt_u32_f64_e32 v8, v[2:3]
	global_store_dwordx2 v[4:5], v[8:9], off
	s_mov_b64 s[6:7], 0
.LBB81_143:
	s_andn2_b64 vcc, exec, s[6:7]
	s_cbranch_vccnz .LBB81_145
; %bb.144:
	v_cvt_i32_f64_e32 v2, v[0:1]
	global_store_dword v[4:5], v2, off
.LBB81_145:
	s_mov_b64 s[6:7], 0
.LBB81_146:
	s_andn2_b64 vcc, exec, s[6:7]
	s_cbranch_vccnz .LBB81_148
; %bb.147:
	v_cvt_i32_f64_e32 v2, v[0:1]
	global_store_short v[4:5], v2, off
.LBB81_148:
	s_mov_b64 s[6:7], 0
.LBB81_149:
	s_andn2_b64 vcc, exec, s[6:7]
	s_cbranch_vccnz .LBB81_154
; %bb.150:
	s_cmp_gt_i32 s8, 0
	s_mov_b64 s[6:7], -1
	s_cbranch_scc0 .LBB81_152
; %bb.151:
	v_cvt_i32_f64_e32 v2, v[0:1]
	global_store_byte v[4:5], v2, off
	s_mov_b64 s[6:7], 0
.LBB81_152:
	s_andn2_b64 vcc, exec, s[6:7]
	s_cbranch_vccnz .LBB81_154
; %bb.153:
	v_trunc_f64_e32 v[0:1], v[0:1]
	s_movk_i32 s6, 0xffe0
	v_ldexp_f64 v[2:3], v[0:1], s6
	v_floor_f64_e32 v[2:3], v[2:3]
	v_fmac_f64_e32 v[0:1], 0xc1f00000, v[2:3]
	v_cvt_u32_f64_e32 v0, v[0:1]
	global_store_byte v[4:5], v0, off
.LBB81_154:
.LBB81_155:
	v_add_u32_e32 v10, 0x80, v10
	s_mov_b64 s[6:7], -1
	s_branch .LBB81_266
.LBB81_156:
	s_mov_b64 s[4:5], -1
                                        ; implicit-def: $vgpr4_vgpr5
.LBB81_157:
	s_mov_b64 s[6:7], 0
.LBB81_158:
	s_and_b64 vcc, exec, s[6:7]
	s_cbranch_vccz .LBB81_162
; %bb.159:
	s_cmp_eq_u32 s10, 29
	s_cbranch_scc0 .LBB81_161
; %bb.160:
	global_load_dwordx2 v[4:5], v[0:1], off
	s_mov_b64 s[2:3], -1
	s_mov_b64 s[4:5], 0
	s_mov_b64 s[6:7], 0
	s_waitcnt vmcnt(0)
	v_cvt_f64_u32_e32 v[6:7], v5
	v_cvt_f64_u32_e32 v[4:5], v4
	v_ldexp_f64 v[6:7], v[6:7], 32
	v_add_f64 v[4:5], v[6:7], v[4:5]
	s_branch .LBB81_163
.LBB81_161:
	s_mov_b64 s[4:5], -1
                                        ; implicit-def: $vgpr4_vgpr5
.LBB81_162:
	s_mov_b64 s[6:7], 0
.LBB81_163:
	s_and_b64 vcc, exec, s[6:7]
	s_cbranch_vccz .LBB81_183
; %bb.164:
	s_cmp_lt_i32 s10, 27
	s_cbranch_scc1 .LBB81_167
; %bb.165:
	s_cmp_gt_i32 s10, 27
	s_cbranch_scc0 .LBB81_168
; %bb.166:
	global_load_dword v3, v[0:1], off
	s_mov_b64 s[2:3], 0
	s_waitcnt vmcnt(0)
	v_cvt_f64_u32_e32 v[4:5], v3
	s_branch .LBB81_169
.LBB81_167:
	s_mov_b64 s[2:3], -1
                                        ; implicit-def: $vgpr4_vgpr5
	s_branch .LBB81_172
.LBB81_168:
	s_mov_b64 s[2:3], -1
                                        ; implicit-def: $vgpr4_vgpr5
.LBB81_169:
	s_andn2_b64 vcc, exec, s[2:3]
	s_cbranch_vccnz .LBB81_171
; %bb.170:
	global_load_ushort v3, v[0:1], off
	s_waitcnt vmcnt(0)
	v_cvt_f64_u32_e32 v[4:5], v3
.LBB81_171:
	s_mov_b64 s[2:3], 0
.LBB81_172:
	s_andn2_b64 vcc, exec, s[2:3]
	s_cbranch_vccnz .LBB81_182
; %bb.173:
	global_load_ubyte v3, v[0:1], off
	s_movk_i32 s2, 0x7f
	s_waitcnt vmcnt(0)
	v_cmp_lt_i16_e32 vcc, s2, v3
	s_mov_b64 s[2:3], 0
	s_and_saveexec_b64 s[6:7], vcc
	s_xor_b64 s[6:7], exec, s[6:7]
	s_cbranch_execz .LBB81_177
; %bb.174:
	s_movk_i32 s2, 0x80
	v_cmp_eq_u16_e32 vcc, s2, v3
	s_mov_b64 s[2:3], -1
	s_and_saveexec_b64 s[8:9], vcc
; %bb.175:
	s_xor_b64 s[2:3], exec, -1
; %bb.176:
	s_or_b64 exec, exec, s[8:9]
	s_and_b64 s[2:3], s[2:3], exec
.LBB81_177:
	s_or_saveexec_b64 s[6:7], s[6:7]
	v_bfrev_b32_e32 v4, 4
	v_mov_b32_e32 v5, 0x7ff80000
	s_xor_b64 exec, exec, s[6:7]
; %bb.178:
	v_cmp_ne_u16_e32 vcc, 0, v3
	s_andn2_b64 s[2:3], s[2:3], exec
	s_and_b64 s[8:9], vcc, exec
	v_mov_b64_e32 v[4:5], 0
	s_or_b64 s[2:3], s[2:3], s[8:9]
; %bb.179:
	s_or_b64 exec, exec, s[6:7]
	s_and_saveexec_b64 s[6:7], s[2:3]
	s_cbranch_execz .LBB81_181
; %bb.180:
	v_lshlrev_b32_e32 v4, 24, v3
	v_and_b32_e32 v3, 0xffff, v3
	v_and_b32_e32 v5, 7, v3
	v_ffbh_u32_e32 v7, v5
	v_min_u32_e32 v7, 32, v7
	v_subrev_u32_e32 v8, 28, v7
	v_bfe_u32 v6, v3, 3, 4
	v_lshlrev_b32_e32 v3, v8, v3
	v_sub_u32_e32 v7, 29, v7
	v_and_b32_e32 v3, 7, v3
	v_cmp_eq_u32_e32 vcc, 0, v6
	v_and_b32_e32 v4, 0x80000000, v4
	s_nop 0
	v_cndmask_b32_e32 v6, v6, v7, vcc
	v_cndmask_b32_e32 v3, v5, v3, vcc
	v_mov_b32_e32 v5, 0x3b800000
	v_lshlrev_b32_e32 v3, 20, v3
	v_lshl_add_u32 v5, v6, 23, v5
	v_or3_b32 v3, v4, v5, v3
	v_cvt_f64_f32_e32 v[4:5], v3
.LBB81_181:
	s_or_b64 exec, exec, s[6:7]
.LBB81_182:
	s_mov_b64 s[2:3], -1
.LBB81_183:
	s_branch .LBB81_216
.LBB81_184:
	s_cmp_gt_i32 s10, 22
	s_cbranch_scc0 .LBB81_196
; %bb.185:
	s_cmp_lt_i32 s10, 24
	s_cbranch_scc1 .LBB81_197
; %bb.186:
	s_cmp_gt_i32 s10, 24
	s_cbranch_scc0 .LBB81_198
; %bb.187:
	global_load_ubyte v3, v[0:1], off
	s_movk_i32 s2, 0x7f
	s_waitcnt vmcnt(0)
	v_cmp_lt_i16_e32 vcc, s2, v3
	s_mov_b64 s[2:3], 0
	s_and_saveexec_b64 s[6:7], vcc
	s_xor_b64 s[6:7], exec, s[6:7]
	s_cbranch_execz .LBB81_191
; %bb.188:
	s_movk_i32 s2, 0x80
	v_cmp_eq_u16_e32 vcc, s2, v3
	s_mov_b64 s[2:3], -1
	s_and_saveexec_b64 s[8:9], vcc
; %bb.189:
	s_xor_b64 s[2:3], exec, -1
; %bb.190:
	s_or_b64 exec, exec, s[8:9]
	s_and_b64 s[2:3], s[2:3], exec
.LBB81_191:
	s_or_saveexec_b64 s[6:7], s[6:7]
	v_bfrev_b32_e32 v4, 4
	v_mov_b32_e32 v5, 0x7ff80000
	s_xor_b64 exec, exec, s[6:7]
; %bb.192:
	v_cmp_ne_u16_e32 vcc, 0, v3
	s_andn2_b64 s[2:3], s[2:3], exec
	s_and_b64 s[8:9], vcc, exec
	v_mov_b64_e32 v[4:5], 0
	s_or_b64 s[2:3], s[2:3], s[8:9]
; %bb.193:
	s_or_b64 exec, exec, s[6:7]
	s_and_saveexec_b64 s[6:7], s[2:3]
	s_cbranch_execz .LBB81_195
; %bb.194:
	v_lshlrev_b32_e32 v4, 24, v3
	v_and_b32_e32 v3, 0xffff, v3
	v_and_b32_e32 v5, 3, v3
	v_ffbh_u32_e32 v7, v5
	v_min_u32_e32 v7, 32, v7
	v_subrev_u32_e32 v8, 29, v7
	v_bfe_u32 v6, v3, 2, 5
	v_lshlrev_b32_e32 v3, v8, v3
	v_sub_u32_e32 v7, 30, v7
	v_and_b32_e32 v3, 3, v3
	v_cmp_eq_u32_e32 vcc, 0, v6
	v_and_b32_e32 v4, 0x80000000, v4
	s_nop 0
	v_cndmask_b32_e32 v6, v6, v7, vcc
	v_cndmask_b32_e32 v3, v5, v3, vcc
	v_mov_b32_e32 v5, 0x37800000
	v_lshlrev_b32_e32 v3, 21, v3
	v_lshl_add_u32 v5, v6, 23, v5
	v_or3_b32 v3, v4, v5, v3
	v_cvt_f64_f32_e32 v[4:5], v3
.LBB81_195:
	s_or_b64 exec, exec, s[6:7]
	s_mov_b64 s[2:3], 0
	s_branch .LBB81_199
.LBB81_196:
	s_mov_b64 s[6:7], -1
                                        ; implicit-def: $vgpr4_vgpr5
	s_branch .LBB81_205
.LBB81_197:
	s_mov_b64 s[2:3], -1
                                        ; implicit-def: $vgpr4_vgpr5
	s_branch .LBB81_202
.LBB81_198:
	s_mov_b64 s[2:3], -1
                                        ; implicit-def: $vgpr4_vgpr5
.LBB81_199:
	s_and_b64 vcc, exec, s[2:3]
	s_cbranch_vccz .LBB81_201
; %bb.200:
	global_load_ubyte v3, v[0:1], off
	s_mov_b32 s2, 0x7f800000
	s_waitcnt vmcnt(0)
	v_lshlrev_b32_e32 v3, 24, v3
	v_and_b32_e32 v4, 0x7f000000, v3
	v_ffbh_u32_e32 v5, v4
	v_min_u32_e32 v5, 32, v5
	v_sub_u32_e64 v5, v5, 4 clamp
	v_lshlrev_b32_e32 v7, v5, v4
	v_lshlrev_b32_e32 v5, 23, v5
	v_lshrrev_b32_e32 v7, 4, v7
	v_add_u32_e32 v6, 0x1000000, v4
	v_sub_u32_e32 v5, v7, v5
	v_ashrrev_i32_e32 v6, 8, v6
	v_add_u32_e32 v5, 0x3c000000, v5
	v_and_or_b32 v5, v6, s2, v5
	v_cmp_ne_u32_e32 vcc, 0, v4
	s_brev_b32 s2, 1
	s_nop 0
	v_cndmask_b32_e32 v4, 0, v5, vcc
	v_and_or_b32 v3, v3, s2, v4
	v_cvt_f64_f32_e32 v[4:5], v3
.LBB81_201:
	s_mov_b64 s[2:3], 0
.LBB81_202:
	s_andn2_b64 vcc, exec, s[2:3]
	s_cbranch_vccnz .LBB81_204
; %bb.203:
	global_load_ubyte v3, v[0:1], off
	s_movk_i32 s2, 0x7f00
	s_brev_b32 s3, 16
	s_waitcnt vmcnt(0)
	v_lshlrev_b16_e32 v4, 8, v3
	v_lshlrev_b32_e32 v3, 25, v3
	v_lshrrev_b32_e32 v5, 4, v3
	v_and_or_b32 v6, v4, s2, 0.5
	v_or_b32_e32 v5, 0x70000000, v5
	v_add_f32_e32 v6, -0.5, v6
	v_mul_f32_e32 v5, 0x7800000, v5
	v_cmp_gt_u32_e32 vcc, s3, v3
	v_bfe_i32 v4, v4, 0, 16
	s_brev_b32 s2, 1
	v_cndmask_b32_e32 v3, v5, v6, vcc
	v_and_or_b32 v3, v4, s2, v3
	v_cvt_f64_f32_e32 v[4:5], v3
.LBB81_204:
	s_mov_b64 s[6:7], 0
	s_mov_b64 s[2:3], -1
.LBB81_205:
	s_andn2_b64 vcc, exec, s[6:7]
	s_cbranch_vccnz .LBB81_216
; %bb.206:
	s_cmp_gt_i32 s10, 14
	s_cbranch_scc0 .LBB81_209
; %bb.207:
	s_cmp_eq_u32 s10, 15
	s_cbranch_scc0 .LBB81_210
; %bb.208:
	global_load_ushort v3, v[0:1], off
	s_mov_b64 s[2:3], -1
	s_mov_b64 s[4:5], 0
	s_waitcnt vmcnt(0)
	v_lshlrev_b32_e32 v3, 16, v3
	v_cvt_f64_f32_e32 v[4:5], v3
	s_branch .LBB81_211
.LBB81_209:
	s_mov_b64 s[6:7], -1
                                        ; implicit-def: $vgpr4_vgpr5
	s_branch .LBB81_212
.LBB81_210:
	s_mov_b64 s[4:5], -1
                                        ; implicit-def: $vgpr4_vgpr5
.LBB81_211:
	s_mov_b64 s[6:7], 0
.LBB81_212:
	s_and_b64 vcc, exec, s[6:7]
	s_cbranch_vccz .LBB81_216
; %bb.213:
	s_cmp_eq_u32 s10, 11
	s_cbranch_scc0 .LBB81_215
; %bb.214:
	global_load_ubyte v3, v[0:1], off
	v_mov_b32_e32 v5, 0x3ff00000
	v_mov_b32_e32 v4, 0
	s_mov_b64 s[2:3], -1
	s_mov_b64 s[4:5], 0
	s_waitcnt vmcnt(0)
	v_cmp_ne_u16_e32 vcc, 0, v3
	s_nop 1
	v_cndmask_b32_e32 v5, 0, v5, vcc
	s_branch .LBB81_216
.LBB81_215:
	s_mov_b64 s[4:5], -1
                                        ; implicit-def: $vgpr4_vgpr5
.LBB81_216:
	s_branch .LBB81_25
.LBB81_217:
	s_cmp_lt_i32 s10, 5
	s_cbranch_scc1 .LBB81_222
; %bb.218:
	s_cmp_lt_i32 s10, 8
	s_cbranch_scc1 .LBB81_223
; %bb.219:
	;; [unrolled: 3-line block ×3, first 2 shown]
	s_cmp_gt_i32 s10, 9
	s_cbranch_scc0 .LBB81_225
; %bb.221:
	global_load_dwordx2 v[4:5], v[0:1], off
	s_mov_b64 s[2:3], 0
	s_branch .LBB81_226
.LBB81_222:
                                        ; implicit-def: $vgpr4_vgpr5
	s_branch .LBB81_244
.LBB81_223:
	s_mov_b64 s[2:3], -1
                                        ; implicit-def: $vgpr4_vgpr5
	s_branch .LBB81_232
.LBB81_224:
	s_mov_b64 s[2:3], -1
                                        ; implicit-def: $vgpr4_vgpr5
	s_branch .LBB81_229
.LBB81_225:
	s_mov_b64 s[2:3], -1
                                        ; implicit-def: $vgpr4_vgpr5
.LBB81_226:
	s_andn2_b64 vcc, exec, s[2:3]
	s_cbranch_vccnz .LBB81_228
; %bb.227:
	global_load_dword v3, v[0:1], off
	s_waitcnt vmcnt(0)
	v_cvt_f64_f32_e32 v[4:5], v3
.LBB81_228:
	s_mov_b64 s[2:3], 0
.LBB81_229:
	s_andn2_b64 vcc, exec, s[2:3]
	s_cbranch_vccnz .LBB81_231
; %bb.230:
	global_load_dword v3, v[0:1], off
	s_waitcnt vmcnt(0)
	v_cvt_f32_f16_e32 v3, v3
	v_cvt_f64_f32_e32 v[4:5], v3
.LBB81_231:
	s_mov_b64 s[2:3], 0
.LBB81_232:
	s_andn2_b64 vcc, exec, s[2:3]
	s_cbranch_vccnz .LBB81_243
; %bb.233:
	s_cmp_lt_i32 s10, 6
	s_cbranch_scc1 .LBB81_236
; %bb.234:
	s_cmp_gt_i32 s10, 6
	s_cbranch_scc0 .LBB81_237
; %bb.235:
	global_load_dwordx2 v[4:5], v[0:1], off
	s_mov_b64 s[2:3], 0
	s_branch .LBB81_238
.LBB81_236:
	s_mov_b64 s[2:3], -1
                                        ; implicit-def: $vgpr4_vgpr5
	s_branch .LBB81_241
.LBB81_237:
	s_mov_b64 s[2:3], -1
                                        ; implicit-def: $vgpr4_vgpr5
.LBB81_238:
	s_andn2_b64 vcc, exec, s[2:3]
	s_cbranch_vccnz .LBB81_240
; %bb.239:
	global_load_dword v3, v[0:1], off
	s_waitcnt vmcnt(0)
	v_cvt_f64_f32_e32 v[4:5], v3
.LBB81_240:
	s_mov_b64 s[2:3], 0
.LBB81_241:
	s_andn2_b64 vcc, exec, s[2:3]
	s_cbranch_vccnz .LBB81_243
; %bb.242:
	global_load_ushort v3, v[0:1], off
	s_waitcnt vmcnt(0)
	v_cvt_f32_f16_e32 v3, v3
	v_cvt_f64_f32_e32 v[4:5], v3
.LBB81_243:
	s_cbranch_execnz .LBB81_263
.LBB81_244:
	s_cmp_lt_i32 s10, 2
	s_cbranch_scc1 .LBB81_248
; %bb.245:
	s_cmp_lt_i32 s10, 3
	s_cbranch_scc1 .LBB81_249
; %bb.246:
	s_cmp_gt_i32 s10, 3
	s_cbranch_scc0 .LBB81_250
; %bb.247:
	global_load_dwordx2 v[4:5], v[0:1], off
	s_mov_b64 s[2:3], 0
	s_waitcnt vmcnt(0)
	v_cvt_f64_i32_e32 v[6:7], v5
	v_cvt_f64_u32_e32 v[4:5], v4
	v_ldexp_f64 v[6:7], v[6:7], 32
	v_add_f64 v[4:5], v[6:7], v[4:5]
	s_branch .LBB81_251
.LBB81_248:
	s_mov_b64 s[2:3], -1
                                        ; implicit-def: $vgpr4_vgpr5
	s_branch .LBB81_257
.LBB81_249:
	s_mov_b64 s[2:3], -1
                                        ; implicit-def: $vgpr4_vgpr5
	s_branch .LBB81_254
.LBB81_250:
	s_mov_b64 s[2:3], -1
                                        ; implicit-def: $vgpr4_vgpr5
.LBB81_251:
	s_andn2_b64 vcc, exec, s[2:3]
	s_cbranch_vccnz .LBB81_253
; %bb.252:
	global_load_dword v3, v[0:1], off
	s_waitcnt vmcnt(0)
	v_cvt_f64_i32_e32 v[4:5], v3
.LBB81_253:
	s_mov_b64 s[2:3], 0
.LBB81_254:
	s_andn2_b64 vcc, exec, s[2:3]
	s_cbranch_vccnz .LBB81_256
; %bb.255:
	global_load_sshort v3, v[0:1], off
	s_waitcnt vmcnt(0)
	v_cvt_f64_i32_e32 v[4:5], v3
.LBB81_256:
	s_mov_b64 s[2:3], 0
.LBB81_257:
	s_andn2_b64 vcc, exec, s[2:3]
	s_cbranch_vccnz .LBB81_263
; %bb.258:
	s_cmp_gt_i32 s10, 0
	s_cbranch_scc0 .LBB81_260
; %bb.259:
	global_load_sbyte v3, v[0:1], off
	s_mov_b64 s[2:3], 0
	s_waitcnt vmcnt(0)
	v_cvt_f64_i32_e32 v[4:5], v3
	s_branch .LBB81_261
.LBB81_260:
	s_mov_b64 s[2:3], -1
                                        ; implicit-def: $vgpr4_vgpr5
.LBB81_261:
	s_andn2_b64 vcc, exec, s[2:3]
	s_cbranch_vccnz .LBB81_263
; %bb.262:
	global_load_ubyte v0, v[0:1], off
	s_waitcnt vmcnt(0)
	v_cvt_f64_u32_e32 v[4:5], v0
.LBB81_263:
	s_branch .LBB81_26
.LBB81_264:
	s_mov_b64 s[2:3], 0
.LBB81_265:
	s_mov_b64 s[6:7], 0
                                        ; implicit-def: $vgpr10
.LBB81_266:
	s_and_b64 s[54:55], s[2:3], exec
	s_and_b64 s[56:57], s[4:5], exec
	s_orn2_b64 s[4:5], s[6:7], exec
.LBB81_267:
	s_or_b64 exec, exec, s[58:59]
	s_mov_b64 s[8:9], 0
	s_mov_b64 s[2:3], 0
                                        ; implicit-def: $vgpr0_vgpr1
                                        ; implicit-def: $vgpr2
                                        ; implicit-def: $vgpr6_vgpr7
	s_and_saveexec_b64 s[58:59], s[4:5]
	s_cbranch_execz .LBB81_275
; %bb.268:
	v_cmp_gt_i32_e32 vcc, s70, v10
	s_mov_b64 s[2:3], -1
	s_mov_b64 s[60:61], s[56:57]
	s_mov_b64 s[62:63], s[54:55]
	s_and_saveexec_b64 s[64:65], vcc
	s_cbranch_execz .LBB81_544
; %bb.269:
	s_andn2_b64 vcc, exec, s[42:43]
	s_cbranch_vccnz .LBB81_278
; %bb.270:
	s_andn2_b64 vcc, exec, s[52:53]
	s_cbranch_vccnz .LBB81_279
; %bb.271:
	s_add_i32 s63, s75, 1
	s_cmp_eq_u32 s72, 2
	s_cbranch_scc1 .LBB81_280
; %bb.272:
	s_and_b32 s62, s63, 28
	s_mov_b32 s66, 0
	v_mov_b32_e32 v2, 0
	v_mov_b32_e32 v0, 0
	s_mov_b64 s[2:3], s[34:35]
	s_mov_b64 s[60:61], s[50:51]
	s_waitcnt vmcnt(0)
	v_mov_b32_e32 v4, v10
.LBB81_273:                             ; =>This Inner Loop Header: Depth=1
	s_load_dwordx8 s[12:19], s[2:3], 0x4
	s_load_dwordx4 s[36:39], s[2:3], 0x24
	s_load_dwordx8 s[4:11], s[60:61], 0x0
	s_add_u32 s2, s2, 48
	s_addc_u32 s3, s3, 0
	s_waitcnt lgkmcnt(0)
	v_mul_hi_u32 v1, s13, v4
	v_add_u32_e32 v1, v4, v1
	v_lshrrev_b32_e32 v1, s14, v1
	v_mul_lo_u32 v3, v1, s12
	v_mul_hi_u32 v5, s16, v1
	v_sub_u32_e32 v3, v4, v3
	v_add_u32_e32 v4, v1, v5
	v_lshrrev_b32_e32 v4, s17, v4
	v_mul_lo_u32 v6, v4, s15
	v_mul_hi_u32 v7, s19, v4
	v_sub_u32_e32 v1, v1, v6
	v_add_u32_e32 v6, v4, v7
	v_mul_lo_u32 v5, v3, s5
	v_mul_lo_u32 v3, v3, s4
	;; [unrolled: 1-line block ×4, first 2 shown]
	v_lshrrev_b32_e32 v6, s36, v6
	v_add3_u32 v1, v3, v2, v1
	v_mul_hi_u32 v3, s38, v6
	v_mul_lo_u32 v2, v6, s18
	v_add_u32_e32 v3, v6, v3
	v_sub_u32_e32 v2, v4, v2
	v_lshrrev_b32_e32 v4, s39, v3
	s_add_i32 s66, s66, 4
	v_mul_lo_u32 v3, v4, s37
	s_add_u32 s60, s60, 32
	v_sub_u32_e32 v3, v6, v3
	s_addc_u32 s61, s61, 0
	v_add3_u32 v0, v5, v0, v7
	v_mul_lo_u32 v5, v2, s8
	v_mul_lo_u32 v2, v2, s9
	;; [unrolled: 1-line block ×4, first 2 shown]
	s_cmp_eq_u32 s62, s66
	v_add3_u32 v0, v2, v0, v3
	v_add3_u32 v2, v5, v1, v6
	s_cbranch_scc0 .LBB81_273
; %bb.274:
	v_mov_b32_e32 v1, v0
	s_branch .LBB81_281
.LBB81_275:
	s_or_b64 exec, exec, s[58:59]
	s_mov_b64 s[4:5], 0
	s_and_saveexec_b64 s[6:7], s[56:57]
	s_cbranch_execnz .LBB81_922
.LBB81_276:
	s_or_b64 exec, exec, s[6:7]
	s_and_saveexec_b64 s[6:7], s[62:63]
	s_xor_b64 s[6:7], exec, s[6:7]
	s_cbranch_execz .LBB81_923
.LBB81_277:
	global_load_ubyte v3, v[0:1], off
	s_waitcnt vmcnt(1)
	v_mov_b32_e32 v4, 0x3ff00000
	v_mov_b32_e32 v6, 0
	s_or_b64 s[2:3], s[2:3], exec
	s_waitcnt vmcnt(0)
	v_cmp_ne_u16_e32 vcc, 0, v3
	s_nop 1
	v_cndmask_b32_e32 v7, 0, v4, vcc
	s_or_b64 exec, exec, s[6:7]
	s_and_saveexec_b64 s[6:7], s[8:9]
	s_cbranch_execz .LBB81_969
	s_branch .LBB81_924
.LBB81_278:
                                        ; implicit-def: $vgpr0
                                        ; implicit-def: $vgpr2
	s_andn2_b64 vcc, exec, s[2:3]
	s_cbranch_vccz .LBB81_285
	s_branch .LBB81_287
.LBB81_279:
	v_mov_b32_e32 v0, 0
	v_mov_b32_e32 v2, 0
	s_branch .LBB81_284
.LBB81_280:
	v_mov_b32_e32 v2, 0
	s_mov_b32 s62, 0
	v_mov_b32_e32 v1, v2
                                        ; implicit-def: $vgpr0
	s_waitcnt vmcnt(0)
	v_mov_b32_e32 v4, v10
.LBB81_281:
	s_and_b32 s6, s63, 3
	s_cmp_eq_u32 s6, 0
	s_cbranch_scc1 .LBB81_284
; %bb.282:
	s_lshl_b32 s2, s62, 3
	s_add_u32 s2, s34, s2
	s_addc_u32 s3, s35, 0
	s_add_u32 s2, s2, 0xc4
	s_addc_u32 s3, s3, 0
	s_mul_i32 s4, s62, 12
	s_add_u32 s4, s34, s4
	s_addc_u32 s5, s35, 0
.LBB81_283:                             ; =>This Inner Loop Header: Depth=1
	s_load_dwordx2 s[8:9], s[4:5], 0x4
	s_load_dword s7, s[4:5], 0xc
	s_load_dwordx2 s[10:11], s[2:3], 0x0
	v_mov_b32_e32 v0, v1
	s_add_u32 s4, s4, 12
	s_waitcnt lgkmcnt(0)
	v_mul_hi_u32 v1, s9, v4
	v_add_u32_e32 v1, v4, v1
	v_lshrrev_b32_e32 v1, s7, v1
	s_addc_u32 s5, s5, 0
	v_mul_lo_u32 v3, v1, s8
	s_add_u32 s2, s2, 8
	v_sub_u32_e32 v3, v4, v3
	s_addc_u32 s3, s3, 0
	s_add_i32 s6, s6, -1
	v_mov_b32_e32 v4, v1
	v_mad_u64_u32 v[0:1], s[8:9], v3, s11, v[0:1]
	s_cmp_lg_u32 s6, 0
	v_mad_u64_u32 v[2:3], s[8:9], v3, s10, v[2:3]
	v_mov_b32_e32 v1, v0
	s_cbranch_scc1 .LBB81_283
.LBB81_284:
	s_cbranch_execnz .LBB81_287
.LBB81_285:
	s_waitcnt lgkmcnt(0)
	v_mul_hi_u32 v0, s29, v10
	v_add_u32_e32 v0, v10, v0
	v_lshrrev_b32_e32 v1, s30, v0
	v_mul_lo_u32 v0, v1, s28
	v_sub_u32_e32 v2, v10, v0
	v_mul_lo_u32 v0, v2, s25
	s_andn2_b64 vcc, exec, s[48:49]
	v_mul_lo_u32 v2, v2, s24
	s_cbranch_vccnz .LBB81_287
; %bb.286:
	v_mul_hi_u32 v3, s46, v1
	v_add_u32_e32 v3, v1, v3
	v_lshrrev_b32_e32 v3, s47, v3
	v_mul_lo_u32 v3, v3, s31
	v_sub_u32_e32 v1, v1, v3
	v_mad_u64_u32 v[2:3], s[2:3], v1, s26, v[2:3]
	v_mad_u64_u32 v[0:1], s[2:3], v1, s27, v[0:1]
.LBB81_287:
	v_mov_b32_e32 v1, 0
	s_and_b32 s10, 0xffff, s74
	s_cmp_lt_i32 s10, 11
	s_waitcnt lgkmcnt(0)
	v_lshl_add_u64 v[0:1], s[22:23], 0, v[0:1]
	s_cbranch_scc1 .LBB81_294
; %bb.288:
	s_cmp_gt_i32 s10, 25
	s_cbranch_scc0 .LBB81_303
; %bb.289:
	s_cmp_gt_i32 s10, 28
	s_cbranch_scc0 .LBB81_305
	;; [unrolled: 3-line block ×4, first 2 shown]
; %bb.292:
	s_cmp_eq_u32 s10, 46
	s_mov_b64 s[6:7], 0
	s_cbranch_scc0 .LBB81_315
; %bb.293:
	global_load_dword v3, v[0:1], off
	s_mov_b64 s[2:3], -1
	s_mov_b64 s[4:5], 0
	s_waitcnt vmcnt(0)
	v_lshlrev_b32_e32 v3, 16, v3
	v_cvt_f64_f32_e32 v[4:5], v3
	s_branch .LBB81_316
.LBB81_294:
	s_mov_b64 s[2:3], 0
                                        ; implicit-def: $vgpr4_vgpr5
	s_mov_b64 s[4:5], s[56:57]
	s_cbranch_execnz .LBB81_493
.LBB81_295:
	s_andn2_b64 vcc, exec, s[2:3]
	s_cbranch_vccnz .LBB81_541
.LBB81_296:
	s_mov_b32 s2, 0x652b82fe
	s_mov_b32 s3, 0x3ff71547
	s_waitcnt vmcnt(0)
	v_mul_f64 v[0:1], v[4:5], s[2:3]
	s_mov_b32 s2, 0xfefa39ef
	v_rndne_f64_e32 v[0:1], v[0:1]
	s_mov_b32 s3, 0xbfe62e42
	v_fma_f64 v[6:7], s[2:3], v[0:1], v[4:5]
	s_mov_b32 s2, 0x3b39803f
	s_mov_b32 s3, 0xbc7abc9e
	v_fmac_f64_e32 v[6:7], s[2:3], v[0:1]
	s_mov_b32 s2, 0x6a5dcb37
	v_mov_b32_e32 v8, 0xfca7ab0c
	v_mov_b32_e32 v9, 0x3e928af3
	s_mov_b32 s3, 0x3e5ade15
	v_fmac_f64_e32 v[8:9], s[2:3], v[6:7]
	v_mov_b32_e32 v12, 0x623fde64
	v_mov_b32_e32 v13, 0x3ec71dee
	v_fmac_f64_e32 v[12:13], v[6:7], v[8:9]
	v_mov_b32_e32 v8, 0x7c89e6b0
	v_mov_b32_e32 v9, 0x3efa0199
	;; [unrolled: 3-line block ×8, first 2 shown]
	s_mov_b32 s2, 0
	v_fmac_f64_e32 v[8:9], v[6:7], v[12:13]
	s_mov_b32 s3, 0x40900000
	v_fma_f64 v[8:9], v[6:7], v[8:9], 1.0
	v_cmp_nlt_f64_e32 vcc, s[2:3], v[4:5]
	s_mov_b32 s2, 0
	v_fma_f64 v[6:7], v[6:7], v[8:9], 1.0
	v_cvt_i32_f64_e32 v0, v[0:1]
	s_mov_b32 s3, 0xc090cc00
	v_ldexp_f64 v[0:1], v[6:7], v0
	v_mov_b32_e32 v3, 0x7ff00000
	v_cmp_ngt_f64_e64 s[2:3], s[2:3], v[4:5]
	v_cndmask_b32_e32 v1, v3, v1, vcc
	s_and_b64 vcc, s[2:3], vcc
	v_mov_b32_e32 v3, 0
	s_and_b32 s12, s73, 0xff
	v_cndmask_b32_e64 v1, 0, v1, s[2:3]
	v_cndmask_b32_e32 v0, 0, v0, vcc
	s_cmp_lt_i32 s12, 11
	v_lshl_add_u64 v[4:5], s[20:21], 0, v[2:3]
	s_cbranch_scc1 .LBB81_304
; %bb.297:
	s_and_b32 s13, 0xffff, s12
	s_cmp_gt_i32 s13, 25
	s_cbranch_scc0 .LBB81_306
; %bb.298:
	s_cmp_gt_i32 s13, 28
	s_cbranch_scc0 .LBB81_308
; %bb.299:
	;; [unrolled: 3-line block ×4, first 2 shown]
	s_mov_b64 s[8:9], 0
	s_mov_b64 s[2:3], -1
	s_cmp_eq_u32 s13, 46
	s_mov_b64 s[6:7], 0
	s_cbranch_scc0 .LBB81_320
; %bb.302:
	v_cvt_f32_f64_e32 v2, v[0:1]
	v_bfe_u32 v3, v2, 16, 1
	s_movk_i32 s2, 0x7fff
	v_add3_u32 v3, v2, v3, s2
	v_cmp_o_f32_e32 vcc, v2, v2
	v_mov_b32_e32 v2, 0x7fc0
	s_mov_b64 s[6:7], -1
	v_cndmask_b32_sdwa v2, v2, v3, vcc dst_sel:DWORD dst_unused:UNUSED_PAD src0_sel:DWORD src1_sel:WORD_1
	global_store_dword v[4:5], v2, off
	s_mov_b64 s[2:3], 0
	s_branch .LBB81_320
.LBB81_303:
	s_mov_b64 s[6:7], -1
	s_mov_b64 s[2:3], 0
	s_mov_b64 s[4:5], s[56:57]
                                        ; implicit-def: $vgpr4_vgpr5
	s_branch .LBB81_459
.LBB81_304:
	s_mov_b64 s[8:9], -1
	s_mov_b64 s[6:7], 0
	s_mov_b64 s[2:3], s[54:55]
	s_branch .LBB81_389
.LBB81_305:
	s_mov_b64 s[6:7], -1
	s_mov_b64 s[2:3], 0
	s_mov_b64 s[4:5], s[56:57]
                                        ; implicit-def: $vgpr4_vgpr5
	s_branch .LBB81_438
.LBB81_306:
	s_mov_b64 s[8:9], -1
	s_mov_b64 s[6:7], 0
	s_mov_b64 s[2:3], s[54:55]
	s_branch .LBB81_347
.LBB81_307:
	s_mov_b64 s[6:7], -1
	s_mov_b64 s[2:3], 0
	s_mov_b64 s[4:5], s[56:57]
                                        ; implicit-def: $vgpr4_vgpr5
	s_branch .LBB81_433
.LBB81_308:
	s_mov_b64 s[8:9], -1
	s_mov_b64 s[6:7], 0
	s_mov_b64 s[2:3], s[54:55]
	s_branch .LBB81_330
.LBB81_309:
	s_andn2_saveexec_b64 s[10:11], s[10:11]
	s_cbranch_execz .LBB81_69
.LBB81_310:
	s_mov_b32 s14, 0x46000000
	v_add_f32_e64 v3, |v2|, s14
	v_and_b32_e32 v3, 0xff, v3
	v_cmp_ne_u32_e32 vcc, 0, v3
	s_andn2_b64 s[8:9], s[8:9], exec
	s_and_b64 s[14:15], vcc, exec
	s_or_b64 s[8:9], s[8:9], s[14:15]
	s_or_b64 exec, exec, s[10:11]
	v_mov_b32_e32 v6, 0
	s_and_saveexec_b64 s[10:11], s[8:9]
	s_cbranch_execnz .LBB81_70
	s_branch .LBB81_71
.LBB81_311:
	s_mov_b64 s[6:7], -1
	s_mov_b64 s[2:3], 0
	s_mov_b64 s[4:5], s[56:57]
                                        ; implicit-def: $vgpr4_vgpr5
	s_branch .LBB81_316
.LBB81_312:
	s_mov_b64 s[8:9], -1
	s_mov_b64 s[6:7], 0
	s_mov_b64 s[2:3], s[54:55]
	s_branch .LBB81_326
.LBB81_313:
	s_andn2_saveexec_b64 s[10:11], s[10:11]
	s_cbranch_execz .LBB81_82
.LBB81_314:
	s_mov_b32 s14, 0x42800000
	v_add_f32_e64 v3, |v2|, s14
	v_and_b32_e32 v3, 0xff, v3
	v_cmp_ne_u32_e32 vcc, 0, v3
	s_andn2_b64 s[8:9], s[8:9], exec
	s_and_b64 s[14:15], vcc, exec
	s_or_b64 s[8:9], s[8:9], s[14:15]
	s_or_b64 exec, exec, s[10:11]
	v_mov_b32_e32 v6, 0
	s_and_saveexec_b64 s[10:11], s[8:9]
	s_cbranch_execnz .LBB81_83
	s_branch .LBB81_84
.LBB81_315:
	s_mov_b64 s[4:5], -1
                                        ; implicit-def: $vgpr4_vgpr5
	s_mov_b64 s[2:3], 0
.LBB81_316:
	s_and_b64 vcc, exec, s[6:7]
	s_cbranch_vccz .LBB81_432
; %bb.317:
	s_cmp_eq_u32 s10, 44
	s_cbranch_scc0 .LBB81_431
; %bb.318:
	global_load_ubyte v3, v[0:1], off
	s_movk_i32 s4, 0xff
	v_bfrev_b32_e32 v6, 4
	v_mov_b32_e32 v7, 0x7ff80000
	v_bfrev_b32_e32 v8, 28
	s_mov_b64 s[2:3], -1
	s_waitcnt vmcnt(0)
	v_lshlrev_b32_e32 v4, 23, v3
	v_cvt_f64_f32_e32 v[4:5], v4
	v_cmp_ne_u32_e32 vcc, s4, v3
	s_mov_b64 s[4:5], 0
	s_nop 0
	v_cndmask_b32_e32 v4, v6, v4, vcc
	v_cndmask_b32_e32 v5, v7, v5, vcc
	v_cmp_ne_u32_e32 vcc, 0, v3
	s_nop 1
	v_cndmask_b32_e32 v5, v8, v5, vcc
	v_cndmask_b32_e32 v4, 0, v4, vcc
	s_branch .LBB81_432
.LBB81_319:
	s_mov_b64 s[8:9], -1
	s_mov_b64 s[6:7], 0
	s_mov_b64 s[2:3], s[54:55]
.LBB81_320:
	s_and_b64 vcc, exec, s[8:9]
	s_cbranch_vccz .LBB81_325
; %bb.321:
	s_cmp_eq_u32 s13, 44
	s_mov_b64 s[2:3], -1
	s_cbranch_scc0 .LBB81_325
; %bb.322:
	v_cvt_f32_f64_e32 v2, v[0:1]
	v_bfe_u32 v3, v2, 23, 8
	s_movk_i32 s2, 0xff
	v_cmp_ne_u32_e32 vcc, s2, v3
	v_mov_b32_e32 v6, 0xff
	s_and_saveexec_b64 s[6:7], vcc
; %bb.323:
	s_mov_b32 s2, 0x3fffff
	v_lshrrev_b32_e32 v6, 23, v2
	v_and_b32_e32 v7, 0x400000, v2
	v_and_or_b32 v2, v2, s2, v3
	v_cmp_ne_u32_e32 vcc, 0, v7
	v_cmp_ne_u32_e64 s[2:3], 0, v2
	s_and_b64 s[2:3], vcc, s[2:3]
	s_nop 0
	v_cndmask_b32_e64 v2, 0, 1, s[2:3]
	v_add_u32_e32 v6, v6, v2
; %bb.324:
	s_or_b64 exec, exec, s[6:7]
	s_mov_b64 s[6:7], -1
	s_mov_b64 s[2:3], 0
	global_store_byte v[4:5], v6, off
.LBB81_325:
	s_mov_b64 s[8:9], 0
.LBB81_326:
	s_and_b64 vcc, exec, s[8:9]
	s_cbranch_vccz .LBB81_329
; %bb.327:
	s_cmp_eq_u32 s13, 29
	s_mov_b64 s[2:3], -1
	s_cbranch_scc0 .LBB81_329
; %bb.328:
	v_trunc_f64_e32 v[2:3], v[0:1]
	s_movk_i32 s2, 0xffe0
	v_ldexp_f64 v[6:7], v[2:3], s2
	v_floor_f64_e32 v[6:7], v[6:7]
	v_fmac_f64_e32 v[2:3], 0xc1f00000, v[6:7]
	v_cvt_u32_f64_e32 v9, v[6:7]
	v_cvt_u32_f64_e32 v8, v[2:3]
	global_store_dwordx2 v[4:5], v[8:9], off
	s_mov_b64 s[6:7], -1
	s_mov_b64 s[2:3], 0
.LBB81_329:
	s_mov_b64 s[8:9], 0
.LBB81_330:
	s_and_b64 vcc, exec, s[8:9]
	s_cbranch_vccz .LBB81_346
; %bb.331:
	s_cmp_lt_i32 s13, 27
	s_mov_b64 s[6:7], -1
	s_cbranch_scc1 .LBB81_337
; %bb.332:
	s_cmp_gt_i32 s13, 27
	v_cvt_u32_f64_e32 v2, v[0:1]
	s_cbranch_scc0 .LBB81_334
; %bb.333:
	s_mov_b64 s[6:7], 0
	global_store_dword v[4:5], v2, off
.LBB81_334:
	s_andn2_b64 vcc, exec, s[6:7]
	s_cbranch_vccnz .LBB81_336
; %bb.335:
	global_store_short v[4:5], v2, off
.LBB81_336:
	s_mov_b64 s[6:7], 0
.LBB81_337:
	s_andn2_b64 vcc, exec, s[6:7]
	s_cbranch_vccnz .LBB81_345
; %bb.338:
	v_cvt_f32_f64_e32 v2, v[0:1]
	v_and_b32_e32 v3, 0x7fffffff, v2
	s_mov_b32 s6, 0x43800000
	v_cmp_gt_u32_e32 vcc, s6, v3
	v_mov_b32_e32 v6, 0x80
	s_and_saveexec_b64 s[6:7], vcc
	s_cbranch_execz .LBB81_344
; %bb.339:
	s_mov_b32 s8, 0x3bffffff
	v_cmp_lt_u32_e32 vcc, s8, v3
	s_mov_b64 s[8:9], 0
                                        ; implicit-def: $vgpr3
	s_and_saveexec_b64 s[10:11], vcc
	s_xor_b64 s[10:11], exec, s[10:11]
	s_cbranch_execz .LBB81_573
; %bb.340:
	v_bfe_u32 v3, v2, 20, 1
	s_mov_b32 s14, 0x487ffff
	v_add3_u32 v3, v2, v3, s14
	s_mov_b64 s[8:9], exec
	v_lshrrev_b32_e32 v3, 20, v3
	s_andn2_saveexec_b64 s[10:11], s[10:11]
	s_cbranch_execnz .LBB81_574
.LBB81_341:
	s_or_b64 exec, exec, s[10:11]
	v_mov_b32_e32 v6, 0
	s_and_saveexec_b64 s[10:11], s[8:9]
.LBB81_342:
	v_lshrrev_b32_e32 v2, 24, v2
	s_movk_i32 s8, 0x80
	v_and_or_b32 v6, v2, s8, v3
.LBB81_343:
	s_or_b64 exec, exec, s[10:11]
.LBB81_344:
	s_or_b64 exec, exec, s[6:7]
	global_store_byte v[4:5], v6, off
.LBB81_345:
	s_mov_b64 s[6:7], -1
.LBB81_346:
	s_mov_b64 s[8:9], 0
.LBB81_347:
	s_and_b64 vcc, exec, s[8:9]
	s_cbranch_vccz .LBB81_388
; %bb.348:
	s_cmp_gt_i32 s13, 22
	s_mov_b64 s[8:9], -1
	s_cbranch_scc0 .LBB81_380
; %bb.349:
	s_cmp_lt_i32 s13, 24
	s_mov_b64 s[6:7], -1
	s_cbranch_scc1 .LBB81_369
; %bb.350:
	s_cmp_gt_i32 s13, 24
	s_cbranch_scc0 .LBB81_358
; %bb.351:
	v_cvt_f32_f64_e32 v2, v[0:1]
	v_and_b32_e32 v3, 0x7fffffff, v2
	s_mov_b32 s6, 0x47800000
	v_cmp_gt_u32_e32 vcc, s6, v3
	v_mov_b32_e32 v6, 0x80
	s_and_saveexec_b64 s[6:7], vcc
	s_cbranch_execz .LBB81_357
; %bb.352:
	s_mov_b32 s8, 0x37ffffff
	v_cmp_lt_u32_e32 vcc, s8, v3
	s_mov_b64 s[8:9], 0
                                        ; implicit-def: $vgpr3
	s_and_saveexec_b64 s[10:11], vcc
	s_xor_b64 s[10:11], exec, s[10:11]
	s_cbranch_execz .LBB81_576
; %bb.353:
	v_bfe_u32 v3, v2, 21, 1
	s_mov_b32 s14, 0x88fffff
	v_add3_u32 v3, v2, v3, s14
	s_mov_b64 s[8:9], exec
	v_lshrrev_b32_e32 v3, 21, v3
	s_andn2_saveexec_b64 s[10:11], s[10:11]
	s_cbranch_execnz .LBB81_577
.LBB81_354:
	s_or_b64 exec, exec, s[10:11]
	v_mov_b32_e32 v6, 0
	s_and_saveexec_b64 s[10:11], s[8:9]
.LBB81_355:
	v_lshrrev_b32_e32 v2, 24, v2
	s_movk_i32 s8, 0x80
	v_and_or_b32 v6, v2, s8, v3
.LBB81_356:
	s_or_b64 exec, exec, s[10:11]
.LBB81_357:
	s_or_b64 exec, exec, s[6:7]
	s_mov_b64 s[6:7], 0
	global_store_byte v[4:5], v6, off
.LBB81_358:
	s_and_b64 vcc, exec, s[6:7]
	s_cbranch_vccz .LBB81_368
; %bb.359:
	v_cvt_f32_f64_e32 v2, v[0:1]
	v_and_b32_e32 v6, 0x7fffffff, v2
	s_mov_b32 s6, 0x43f00000
	v_cmp_gt_u32_e32 vcc, s6, v6
                                        ; implicit-def: $vgpr3
	s_and_saveexec_b64 s[6:7], vcc
	s_xor_b64 s[6:7], exec, s[6:7]
	s_cbranch_execz .LBB81_365
; %bb.360:
	s_mov_b32 s8, 0x3c7fffff
	v_cmp_lt_u32_e32 vcc, s8, v6
                                        ; implicit-def: $vgpr3
	s_and_saveexec_b64 s[8:9], vcc
	s_xor_b64 s[8:9], exec, s[8:9]
; %bb.361:
	v_bfe_u32 v3, v2, 20, 1
	s_mov_b32 s10, 0x407ffff
	v_add3_u32 v3, v2, v3, s10
	v_lshrrev_b32_e32 v6, 20, v3
	v_and_b32_e32 v3, 0xff00000, v3
	s_mov_b32 s10, 0x7f00000
	v_mov_b32_e32 v7, 0x7e
	v_cmp_ne_u32_e32 vcc, s10, v3
	s_nop 1
	v_cndmask_b32_e32 v3, v7, v6, vcc
; %bb.362:
	s_andn2_saveexec_b64 s[8:9], s[8:9]
; %bb.363:
	s_mov_b32 s10, 0x46800000
	v_add_f32_e64 v3, |v2|, s10
; %bb.364:
	s_or_b64 exec, exec, s[8:9]
                                        ; implicit-def: $vgpr6
.LBB81_365:
	s_andn2_saveexec_b64 s[6:7], s[6:7]
; %bb.366:
	s_mov_b32 s8, 0x7f800000
	v_mov_b32_e32 v3, 0x7e
	v_mov_b32_e32 v7, 0x7f
	v_cmp_lt_u32_e32 vcc, s8, v6
	s_nop 1
	v_cndmask_b32_e32 v3, v3, v7, vcc
; %bb.367:
	s_or_b64 exec, exec, s[6:7]
	v_lshrrev_b32_e32 v2, 24, v2
	s_movk_i32 s6, 0x80
	v_and_or_b32 v2, v2, s6, v3
	global_store_byte v[4:5], v2, off
.LBB81_368:
	s_mov_b64 s[6:7], 0
.LBB81_369:
	s_andn2_b64 vcc, exec, s[6:7]
	s_cbranch_vccnz .LBB81_379
; %bb.370:
	v_cvt_f32_f64_e32 v2, v[0:1]
	v_and_b32_e32 v6, 0x7fffffff, v2
	s_mov_b32 s6, 0x47800000
	v_cmp_gt_u32_e32 vcc, s6, v6
                                        ; implicit-def: $vgpr3
	s_and_saveexec_b64 s[6:7], vcc
	s_xor_b64 s[6:7], exec, s[6:7]
	s_cbranch_execz .LBB81_376
; %bb.371:
	s_mov_b32 s8, 0x387fffff
	v_cmp_lt_u32_e32 vcc, s8, v6
                                        ; implicit-def: $vgpr3
	s_and_saveexec_b64 s[8:9], vcc
	s_xor_b64 s[8:9], exec, s[8:9]
; %bb.372:
	v_bfe_u32 v3, v2, 21, 1
	s_mov_b32 s10, 0x80fffff
	v_add3_u32 v3, v2, v3, s10
	v_lshrrev_b32_e32 v3, 21, v3
; %bb.373:
	s_andn2_saveexec_b64 s[8:9], s[8:9]
; %bb.374:
	s_mov_b32 s10, 0x43000000
	v_add_f32_e64 v3, |v2|, s10
; %bb.375:
	s_or_b64 exec, exec, s[8:9]
                                        ; implicit-def: $vgpr6
.LBB81_376:
	s_andn2_saveexec_b64 s[6:7], s[6:7]
; %bb.377:
	s_mov_b32 s8, 0x7f800000
	v_mov_b32_e32 v3, 0x7c
	v_mov_b32_e32 v7, 0x7f
	v_cmp_lt_u32_e32 vcc, s8, v6
	s_nop 1
	v_cndmask_b32_e32 v3, v3, v7, vcc
; %bb.378:
	s_or_b64 exec, exec, s[6:7]
	v_lshrrev_b32_e32 v2, 24, v2
	s_movk_i32 s6, 0x80
	v_and_or_b32 v2, v2, s6, v3
	global_store_byte v[4:5], v2, off
.LBB81_379:
	s_mov_b64 s[8:9], 0
	s_mov_b64 s[6:7], -1
.LBB81_380:
	s_andn2_b64 vcc, exec, s[8:9]
	s_cbranch_vccnz .LBB81_388
; %bb.381:
	s_cmp_gt_i32 s13, 14
	s_mov_b64 s[8:9], -1
	s_cbranch_scc0 .LBB81_385
; %bb.382:
	s_cmp_eq_u32 s13, 15
	s_mov_b64 s[2:3], -1
	s_cbranch_scc0 .LBB81_384
; %bb.383:
	v_cvt_f32_f64_e32 v2, v[0:1]
	v_bfe_u32 v3, v2, 16, 1
	s_movk_i32 s2, 0x7fff
	v_add3_u32 v3, v2, v3, s2
	v_cmp_o_f32_e32 vcc, v2, v2
	v_mov_b32_e32 v2, 0x7fc0
	s_mov_b64 s[6:7], -1
	v_cndmask_b32_sdwa v2, v2, v3, vcc dst_sel:DWORD dst_unused:UNUSED_PAD src0_sel:DWORD src1_sel:WORD_1
	global_store_short v[4:5], v2, off
	s_mov_b64 s[2:3], 0
.LBB81_384:
	s_mov_b64 s[8:9], 0
.LBB81_385:
	s_and_b64 vcc, exec, s[8:9]
	s_cbranch_vccz .LBB81_388
; %bb.386:
	s_cmp_eq_u32 s13, 11
	s_mov_b64 s[2:3], -1
	s_cbranch_scc0 .LBB81_388
; %bb.387:
	v_cmp_neq_f64_e32 vcc, 0, v[0:1]
	s_mov_b64 s[2:3], 0
	s_mov_b64 s[6:7], -1
	v_cndmask_b32_e64 v2, 0, 1, vcc
	global_store_byte v[4:5], v2, off
.LBB81_388:
	s_mov_b64 s[8:9], 0
.LBB81_389:
	s_and_b64 vcc, exec, s[8:9]
	s_cbranch_vccz .LBB81_428
; %bb.390:
	s_and_b32 s8, 0xffff, s12
	s_cmp_lt_i32 s8, 5
	s_mov_b64 s[6:7], -1
	s_cbranch_scc1 .LBB81_411
; %bb.391:
	s_cmp_lt_i32 s8, 8
	s_cbranch_scc1 .LBB81_401
; %bb.392:
	s_cmp_lt_i32 s8, 9
	s_cbranch_scc1 .LBB81_398
; %bb.393:
	s_cmp_gt_i32 s8, 9
	s_cbranch_scc0 .LBB81_395
; %bb.394:
	v_mov_b32_e32 v2, 0
	v_mov_b32_e32 v3, v2
	s_mov_b64 s[6:7], 0
	global_store_dwordx4 v[4:5], v[0:3], off
.LBB81_395:
	s_andn2_b64 vcc, exec, s[6:7]
	s_cbranch_vccnz .LBB81_397
; %bb.396:
	v_cvt_f32_f64_e32 v2, v[0:1]
	v_mov_b32_e32 v3, 0
	global_store_dwordx2 v[4:5], v[2:3], off
.LBB81_397:
	s_mov_b64 s[6:7], 0
.LBB81_398:
	s_andn2_b64 vcc, exec, s[6:7]
	s_cbranch_vccnz .LBB81_400
; %bb.399:
	s_movk_i32 s6, 0x1ff
	v_and_or_b32 v2, v1, s6, v0
	v_cmp_ne_u32_e32 vcc, 0, v2
	v_lshrrev_b32_e32 v3, 8, v1
	s_movk_i32 s6, 0xffe
	v_cndmask_b32_e64 v2, 0, 1, vcc
	v_bfe_u32 v6, v1, 20, 11
	v_and_or_b32 v2, v3, s6, v2
	v_sub_u32_e32 v7, 0x3f1, v6
	v_or_b32_e32 v3, 0x1000, v2
	v_med3_i32 v7, v7, 0, 13
	v_lshrrev_b32_e32 v8, v7, v3
	v_lshlrev_b32_e32 v7, v7, v8
	v_cmp_ne_u32_e32 vcc, v7, v3
	v_add_u32_e32 v6, 0xfffffc10, v6
	v_lshl_or_b32 v7, v6, 12, v2
	v_cndmask_b32_e64 v3, 0, 1, vcc
	v_or_b32_e32 v3, v8, v3
	v_cmp_gt_i32_e32 vcc, 1, v6
	s_movk_i32 s6, 0x40f
	s_nop 0
	v_cndmask_b32_e32 v3, v7, v3, vcc
	v_and_b32_e32 v7, 7, v3
	v_cmp_lt_i32_e32 vcc, 5, v7
	v_lshrrev_b32_e32 v3, 2, v3
	s_nop 0
	v_cndmask_b32_e64 v8, 0, 1, vcc
	v_cmp_eq_u32_e32 vcc, 3, v7
	s_nop 1
	v_cndmask_b32_e64 v7, 0, 1, vcc
	v_or_b32_e32 v7, v7, v8
	v_add_u32_e32 v3, v3, v7
	v_mov_b32_e32 v7, 0x7c00
	v_cmp_gt_i32_e32 vcc, 31, v6
	v_mov_b32_e32 v8, 0x7e00
	s_nop 0
	v_cndmask_b32_e32 v3, v7, v3, vcc
	v_cmp_ne_u32_e32 vcc, 0, v2
	s_nop 1
	v_cndmask_b32_e32 v2, v7, v8, vcc
	v_cmp_eq_u32_e32 vcc, s6, v6
	s_mov_b32 s6, 0x8000
	s_nop 0
	v_cndmask_b32_e32 v2, v3, v2, vcc
	v_and_b32_sdwa v3, v1, s6 dst_sel:DWORD dst_unused:UNUSED_PAD src0_sel:WORD_1 src1_sel:DWORD
	s_mov_b32 s6, 0xffff
	v_bitop3_b32 v2, v3, s6, v2 bitop3:0xc8
	global_store_dword v[4:5], v2, off
.LBB81_400:
	s_mov_b64 s[6:7], 0
.LBB81_401:
	s_andn2_b64 vcc, exec, s[6:7]
	s_cbranch_vccnz .LBB81_410
; %bb.402:
	s_cmp_lt_i32 s8, 6
	s_mov_b64 s[6:7], -1
	s_cbranch_scc1 .LBB81_408
; %bb.403:
	s_cmp_gt_i32 s8, 6
	s_cbranch_scc0 .LBB81_405
; %bb.404:
	s_mov_b64 s[6:7], 0
	global_store_dwordx2 v[4:5], v[0:1], off
.LBB81_405:
	s_andn2_b64 vcc, exec, s[6:7]
	s_cbranch_vccnz .LBB81_407
; %bb.406:
	v_cvt_f32_f64_e32 v2, v[0:1]
	global_store_dword v[4:5], v2, off
.LBB81_407:
	s_mov_b64 s[6:7], 0
.LBB81_408:
	s_andn2_b64 vcc, exec, s[6:7]
	s_cbranch_vccnz .LBB81_410
; %bb.409:
	s_movk_i32 s6, 0x1ff
	v_and_or_b32 v2, v1, s6, v0
	v_cmp_ne_u32_e32 vcc, 0, v2
	v_lshrrev_b32_e32 v3, 8, v1
	s_movk_i32 s6, 0xffe
	v_cndmask_b32_e64 v2, 0, 1, vcc
	v_bfe_u32 v6, v1, 20, 11
	v_and_or_b32 v2, v3, s6, v2
	v_sub_u32_e32 v7, 0x3f1, v6
	v_or_b32_e32 v3, 0x1000, v2
	v_med3_i32 v7, v7, 0, 13
	v_lshrrev_b32_e32 v8, v7, v3
	v_lshlrev_b32_e32 v7, v7, v8
	v_cmp_ne_u32_e32 vcc, v7, v3
	v_add_u32_e32 v6, 0xfffffc10, v6
	v_lshl_or_b32 v7, v6, 12, v2
	v_cndmask_b32_e64 v3, 0, 1, vcc
	v_or_b32_e32 v3, v8, v3
	v_cmp_gt_i32_e32 vcc, 1, v6
	s_movk_i32 s6, 0x40f
	s_nop 0
	v_cndmask_b32_e32 v3, v7, v3, vcc
	v_and_b32_e32 v7, 7, v3
	v_cmp_lt_i32_e32 vcc, 5, v7
	v_lshrrev_b32_e32 v3, 2, v3
	s_nop 0
	v_cndmask_b32_e64 v8, 0, 1, vcc
	v_cmp_eq_u32_e32 vcc, 3, v7
	s_nop 1
	v_cndmask_b32_e64 v7, 0, 1, vcc
	v_or_b32_e32 v7, v7, v8
	v_add_u32_e32 v3, v3, v7
	v_mov_b32_e32 v7, 0x7c00
	v_cmp_gt_i32_e32 vcc, 31, v6
	v_mov_b32_e32 v8, 0x7e00
	s_nop 0
	v_cndmask_b32_e32 v3, v7, v3, vcc
	v_cmp_ne_u32_e32 vcc, 0, v2
	s_nop 1
	v_cndmask_b32_e32 v2, v7, v8, vcc
	v_cmp_eq_u32_e32 vcc, s6, v6
	s_mov_b32 s6, 0x8000
	s_nop 0
	v_cndmask_b32_e32 v2, v3, v2, vcc
	v_lshrrev_b32_e32 v3, 16, v1
	v_and_or_b32 v2, v3, s6, v2
	global_store_short v[4:5], v2, off
.LBB81_410:
	s_mov_b64 s[6:7], 0
.LBB81_411:
	s_andn2_b64 vcc, exec, s[6:7]
	s_cbranch_vccnz .LBB81_427
; %bb.412:
	s_cmp_lt_i32 s8, 2
	s_mov_b64 s[6:7], -1
	s_cbranch_scc1 .LBB81_422
; %bb.413:
	s_cmp_lt_i32 s8, 3
	s_cbranch_scc1 .LBB81_419
; %bb.414:
	s_cmp_gt_i32 s8, 3
	s_cbranch_scc0 .LBB81_416
; %bb.415:
	v_trunc_f64_e32 v[2:3], v[0:1]
	s_movk_i32 s6, 0xffe0
	v_ldexp_f64 v[6:7], v[2:3], s6
	v_floor_f64_e32 v[6:7], v[6:7]
	v_fmac_f64_e32 v[2:3], 0xc1f00000, v[6:7]
	v_cvt_i32_f64_e32 v9, v[6:7]
	v_cvt_u32_f64_e32 v8, v[2:3]
	s_mov_b64 s[6:7], 0
	global_store_dwordx2 v[4:5], v[8:9], off
.LBB81_416:
	s_andn2_b64 vcc, exec, s[6:7]
	s_cbranch_vccnz .LBB81_418
; %bb.417:
	v_cvt_i32_f64_e32 v2, v[0:1]
	global_store_dword v[4:5], v2, off
.LBB81_418:
	s_mov_b64 s[6:7], 0
.LBB81_419:
	s_andn2_b64 vcc, exec, s[6:7]
	s_cbranch_vccnz .LBB81_421
; %bb.420:
	v_cvt_i32_f64_e32 v2, v[0:1]
	global_store_short v[4:5], v2, off
.LBB81_421:
	s_mov_b64 s[6:7], 0
.LBB81_422:
	s_andn2_b64 vcc, exec, s[6:7]
	s_cbranch_vccnz .LBB81_427
; %bb.423:
	s_cmp_gt_i32 s8, 0
	s_mov_b64 s[6:7], -1
	s_cbranch_scc0 .LBB81_425
; %bb.424:
	v_cvt_i32_f64_e32 v2, v[0:1]
	s_mov_b64 s[6:7], 0
	global_store_byte v[4:5], v2, off
.LBB81_425:
	s_andn2_b64 vcc, exec, s[6:7]
	s_cbranch_vccnz .LBB81_427
; %bb.426:
	v_trunc_f64_e32 v[0:1], v[0:1]
	s_movk_i32 s6, 0xffe0
	v_ldexp_f64 v[2:3], v[0:1], s6
	v_floor_f64_e32 v[2:3], v[2:3]
	v_fmac_f64_e32 v[0:1], 0xc1f00000, v[2:3]
	v_cvt_u32_f64_e32 v0, v[0:1]
	global_store_byte v[4:5], v0, off
.LBB81_427:
	s_mov_b64 s[6:7], -1
.LBB81_428:
	s_andn2_b64 vcc, exec, s[6:7]
	s_cbranch_vccnz .LBB81_430
; %bb.429:
	v_add_u32_e32 v10, 0x80, v10
	s_mov_b64 s[6:7], -1
	s_branch .LBB81_543
.LBB81_430:
	s_mov_b64 s[6:7], 0
	s_branch .LBB81_542
.LBB81_431:
	s_mov_b64 s[4:5], -1
                                        ; implicit-def: $vgpr4_vgpr5
.LBB81_432:
	s_mov_b64 s[6:7], 0
.LBB81_433:
	s_and_b64 vcc, exec, s[6:7]
	s_cbranch_vccz .LBB81_437
; %bb.434:
	s_cmp_eq_u32 s10, 29
	s_cbranch_scc0 .LBB81_436
; %bb.435:
	global_load_dwordx2 v[4:5], v[0:1], off
	s_mov_b64 s[2:3], -1
	s_mov_b64 s[4:5], 0
	s_mov_b64 s[6:7], 0
	s_waitcnt vmcnt(0)
	v_cvt_f64_u32_e32 v[6:7], v5
	v_cvt_f64_u32_e32 v[4:5], v4
	v_ldexp_f64 v[6:7], v[6:7], 32
	v_add_f64 v[4:5], v[6:7], v[4:5]
	s_branch .LBB81_438
.LBB81_436:
	s_mov_b64 s[4:5], -1
                                        ; implicit-def: $vgpr4_vgpr5
.LBB81_437:
	s_mov_b64 s[6:7], 0
.LBB81_438:
	s_and_b64 vcc, exec, s[6:7]
	s_cbranch_vccz .LBB81_458
; %bb.439:
	s_cmp_lt_i32 s10, 27
	s_cbranch_scc1 .LBB81_442
; %bb.440:
	s_cmp_gt_i32 s10, 27
	s_cbranch_scc0 .LBB81_443
; %bb.441:
	global_load_dword v3, v[0:1], off
	s_mov_b64 s[2:3], 0
	s_waitcnt vmcnt(0)
	v_cvt_f64_u32_e32 v[4:5], v3
	s_branch .LBB81_444
.LBB81_442:
	s_mov_b64 s[2:3], -1
                                        ; implicit-def: $vgpr4_vgpr5
	s_branch .LBB81_447
.LBB81_443:
	s_mov_b64 s[2:3], -1
                                        ; implicit-def: $vgpr4_vgpr5
.LBB81_444:
	s_andn2_b64 vcc, exec, s[2:3]
	s_cbranch_vccnz .LBB81_446
; %bb.445:
	global_load_ushort v3, v[0:1], off
	s_waitcnt vmcnt(0)
	v_cvt_f64_u32_e32 v[4:5], v3
.LBB81_446:
	s_mov_b64 s[2:3], 0
.LBB81_447:
	s_andn2_b64 vcc, exec, s[2:3]
	s_cbranch_vccnz .LBB81_457
; %bb.448:
	global_load_ubyte v3, v[0:1], off
	s_movk_i32 s2, 0x7f
	s_waitcnt vmcnt(0)
	v_cmp_lt_i16_e32 vcc, s2, v3
	s_mov_b64 s[2:3], 0
	s_and_saveexec_b64 s[6:7], vcc
	s_xor_b64 s[6:7], exec, s[6:7]
	s_cbranch_execz .LBB81_452
; %bb.449:
	s_movk_i32 s2, 0x80
	v_cmp_eq_u16_e32 vcc, s2, v3
	s_mov_b64 s[2:3], -1
	s_and_saveexec_b64 s[8:9], vcc
; %bb.450:
	s_xor_b64 s[2:3], exec, -1
; %bb.451:
	s_or_b64 exec, exec, s[8:9]
	s_and_b64 s[2:3], s[2:3], exec
.LBB81_452:
	s_or_saveexec_b64 s[6:7], s[6:7]
	v_bfrev_b32_e32 v4, 4
	v_mov_b32_e32 v5, 0x7ff80000
	s_xor_b64 exec, exec, s[6:7]
; %bb.453:
	v_cmp_ne_u16_e32 vcc, 0, v3
	s_andn2_b64 s[2:3], s[2:3], exec
	s_and_b64 s[8:9], vcc, exec
	v_mov_b64_e32 v[4:5], 0
	s_or_b64 s[2:3], s[2:3], s[8:9]
; %bb.454:
	s_or_b64 exec, exec, s[6:7]
	s_and_saveexec_b64 s[6:7], s[2:3]
	s_cbranch_execz .LBB81_456
; %bb.455:
	v_lshlrev_b32_e32 v4, 24, v3
	v_and_b32_e32 v3, 0xffff, v3
	v_and_b32_e32 v5, 7, v3
	v_ffbh_u32_e32 v7, v5
	v_min_u32_e32 v7, 32, v7
	v_subrev_u32_e32 v8, 28, v7
	v_bfe_u32 v6, v3, 3, 4
	v_lshlrev_b32_e32 v3, v8, v3
	v_sub_u32_e32 v7, 29, v7
	v_and_b32_e32 v3, 7, v3
	v_cmp_eq_u32_e32 vcc, 0, v6
	v_and_b32_e32 v4, 0x80000000, v4
	s_nop 0
	v_cndmask_b32_e32 v6, v6, v7, vcc
	v_cndmask_b32_e32 v3, v5, v3, vcc
	v_mov_b32_e32 v5, 0x3b800000
	v_lshlrev_b32_e32 v3, 20, v3
	v_lshl_add_u32 v5, v6, 23, v5
	v_or3_b32 v3, v4, v5, v3
	v_cvt_f64_f32_e32 v[4:5], v3
.LBB81_456:
	s_or_b64 exec, exec, s[6:7]
.LBB81_457:
	s_mov_b64 s[2:3], -1
.LBB81_458:
	s_mov_b64 s[6:7], 0
.LBB81_459:
	s_and_b64 vcc, exec, s[6:7]
	s_cbranch_vccz .LBB81_492
; %bb.460:
	s_cmp_gt_i32 s10, 22
	s_cbranch_scc0 .LBB81_472
; %bb.461:
	s_cmp_lt_i32 s10, 24
	s_cbranch_scc1 .LBB81_473
; %bb.462:
	s_cmp_gt_i32 s10, 24
	s_cbranch_scc0 .LBB81_474
; %bb.463:
	global_load_ubyte v3, v[0:1], off
	s_movk_i32 s2, 0x7f
	s_waitcnt vmcnt(0)
	v_cmp_lt_i16_e32 vcc, s2, v3
	s_mov_b64 s[2:3], 0
	s_and_saveexec_b64 s[6:7], vcc
	s_xor_b64 s[6:7], exec, s[6:7]
	s_cbranch_execz .LBB81_467
; %bb.464:
	s_movk_i32 s2, 0x80
	v_cmp_eq_u16_e32 vcc, s2, v3
	s_mov_b64 s[2:3], -1
	s_and_saveexec_b64 s[8:9], vcc
; %bb.465:
	s_xor_b64 s[2:3], exec, -1
; %bb.466:
	s_or_b64 exec, exec, s[8:9]
	s_and_b64 s[2:3], s[2:3], exec
.LBB81_467:
	s_or_saveexec_b64 s[6:7], s[6:7]
	v_bfrev_b32_e32 v4, 4
	v_mov_b32_e32 v5, 0x7ff80000
	s_xor_b64 exec, exec, s[6:7]
; %bb.468:
	v_cmp_ne_u16_e32 vcc, 0, v3
	s_andn2_b64 s[2:3], s[2:3], exec
	s_and_b64 s[8:9], vcc, exec
	v_mov_b64_e32 v[4:5], 0
	s_or_b64 s[2:3], s[2:3], s[8:9]
; %bb.469:
	s_or_b64 exec, exec, s[6:7]
	s_and_saveexec_b64 s[6:7], s[2:3]
	s_cbranch_execz .LBB81_471
; %bb.470:
	v_lshlrev_b32_e32 v4, 24, v3
	v_and_b32_e32 v3, 0xffff, v3
	v_and_b32_e32 v5, 3, v3
	v_ffbh_u32_e32 v7, v5
	v_min_u32_e32 v7, 32, v7
	v_subrev_u32_e32 v8, 29, v7
	v_bfe_u32 v6, v3, 2, 5
	v_lshlrev_b32_e32 v3, v8, v3
	v_sub_u32_e32 v7, 30, v7
	v_and_b32_e32 v3, 3, v3
	v_cmp_eq_u32_e32 vcc, 0, v6
	v_and_b32_e32 v4, 0x80000000, v4
	s_nop 0
	v_cndmask_b32_e32 v6, v6, v7, vcc
	v_cndmask_b32_e32 v3, v5, v3, vcc
	v_mov_b32_e32 v5, 0x37800000
	v_lshlrev_b32_e32 v3, 21, v3
	v_lshl_add_u32 v5, v6, 23, v5
	v_or3_b32 v3, v4, v5, v3
	v_cvt_f64_f32_e32 v[4:5], v3
.LBB81_471:
	s_or_b64 exec, exec, s[6:7]
	s_mov_b64 s[2:3], 0
	s_branch .LBB81_475
.LBB81_472:
	s_mov_b64 s[6:7], -1
                                        ; implicit-def: $vgpr4_vgpr5
	s_branch .LBB81_481
.LBB81_473:
	s_mov_b64 s[2:3], -1
                                        ; implicit-def: $vgpr4_vgpr5
	s_branch .LBB81_478
.LBB81_474:
	s_mov_b64 s[2:3], -1
                                        ; implicit-def: $vgpr4_vgpr5
.LBB81_475:
	s_and_b64 vcc, exec, s[2:3]
	s_cbranch_vccz .LBB81_477
; %bb.476:
	global_load_ubyte v3, v[0:1], off
	s_mov_b32 s2, 0x7f800000
	s_waitcnt vmcnt(0)
	v_lshlrev_b32_e32 v3, 24, v3
	v_and_b32_e32 v4, 0x7f000000, v3
	v_ffbh_u32_e32 v5, v4
	v_min_u32_e32 v5, 32, v5
	v_sub_u32_e64 v5, v5, 4 clamp
	v_lshlrev_b32_e32 v7, v5, v4
	v_lshlrev_b32_e32 v5, 23, v5
	v_lshrrev_b32_e32 v7, 4, v7
	v_add_u32_e32 v6, 0x1000000, v4
	v_sub_u32_e32 v5, v7, v5
	v_ashrrev_i32_e32 v6, 8, v6
	v_add_u32_e32 v5, 0x3c000000, v5
	v_and_or_b32 v5, v6, s2, v5
	v_cmp_ne_u32_e32 vcc, 0, v4
	s_brev_b32 s2, 1
	s_nop 0
	v_cndmask_b32_e32 v4, 0, v5, vcc
	v_and_or_b32 v3, v3, s2, v4
	v_cvt_f64_f32_e32 v[4:5], v3
.LBB81_477:
	s_mov_b64 s[2:3], 0
.LBB81_478:
	s_andn2_b64 vcc, exec, s[2:3]
	s_cbranch_vccnz .LBB81_480
; %bb.479:
	global_load_ubyte v3, v[0:1], off
	s_movk_i32 s2, 0x7f00
	s_brev_b32 s3, 16
	s_waitcnt vmcnt(0)
	v_lshlrev_b16_e32 v4, 8, v3
	v_lshlrev_b32_e32 v3, 25, v3
	v_lshrrev_b32_e32 v5, 4, v3
	v_and_or_b32 v6, v4, s2, 0.5
	v_or_b32_e32 v5, 0x70000000, v5
	v_add_f32_e32 v6, -0.5, v6
	v_mul_f32_e32 v5, 0x7800000, v5
	v_cmp_gt_u32_e32 vcc, s3, v3
	v_bfe_i32 v4, v4, 0, 16
	s_brev_b32 s2, 1
	v_cndmask_b32_e32 v3, v5, v6, vcc
	v_and_or_b32 v3, v4, s2, v3
	v_cvt_f64_f32_e32 v[4:5], v3
.LBB81_480:
	s_mov_b64 s[6:7], 0
	s_mov_b64 s[2:3], -1
.LBB81_481:
	s_andn2_b64 vcc, exec, s[6:7]
	s_cbranch_vccnz .LBB81_492
; %bb.482:
	s_cmp_gt_i32 s10, 14
	s_cbranch_scc0 .LBB81_485
; %bb.483:
	s_cmp_eq_u32 s10, 15
	s_cbranch_scc0 .LBB81_486
; %bb.484:
	global_load_ushort v3, v[0:1], off
	s_mov_b64 s[2:3], -1
	s_mov_b64 s[4:5], 0
	s_waitcnt vmcnt(0)
	v_lshlrev_b32_e32 v3, 16, v3
	v_cvt_f64_f32_e32 v[4:5], v3
	s_branch .LBB81_487
.LBB81_485:
	s_mov_b64 s[6:7], -1
                                        ; implicit-def: $vgpr4_vgpr5
	s_branch .LBB81_488
.LBB81_486:
	s_mov_b64 s[4:5], -1
                                        ; implicit-def: $vgpr4_vgpr5
.LBB81_487:
	s_mov_b64 s[6:7], 0
.LBB81_488:
	s_and_b64 vcc, exec, s[6:7]
	s_cbranch_vccz .LBB81_492
; %bb.489:
	s_cmp_eq_u32 s10, 11
	s_cbranch_scc0 .LBB81_491
; %bb.490:
	global_load_ubyte v3, v[0:1], off
	s_waitcnt vmcnt(1)
	v_mov_b32_e32 v5, 0x3ff00000
	v_mov_b32_e32 v4, 0
	s_mov_b64 s[2:3], -1
	s_mov_b64 s[4:5], 0
	s_waitcnt vmcnt(0)
	v_cmp_ne_u16_e32 vcc, 0, v3
	s_nop 1
	v_cndmask_b32_e32 v5, 0, v5, vcc
	s_branch .LBB81_492
.LBB81_491:
	s_mov_b64 s[4:5], -1
                                        ; implicit-def: $vgpr4_vgpr5
.LBB81_492:
	s_branch .LBB81_295
.LBB81_493:
	s_cmp_lt_i32 s10, 5
	s_cbranch_scc1 .LBB81_498
; %bb.494:
	s_cmp_lt_i32 s10, 8
	s_cbranch_scc1 .LBB81_499
; %bb.495:
	;; [unrolled: 3-line block ×3, first 2 shown]
	s_cmp_gt_i32 s10, 9
	s_cbranch_scc0 .LBB81_501
; %bb.497:
	global_load_dwordx2 v[4:5], v[0:1], off
	s_mov_b64 s[2:3], 0
	s_branch .LBB81_502
.LBB81_498:
	s_mov_b64 s[2:3], -1
                                        ; implicit-def: $vgpr4_vgpr5
	s_branch .LBB81_520
.LBB81_499:
	s_mov_b64 s[2:3], -1
                                        ; implicit-def: $vgpr4_vgpr5
	s_branch .LBB81_508
.LBB81_500:
	s_mov_b64 s[2:3], -1
                                        ; implicit-def: $vgpr4_vgpr5
	s_branch .LBB81_505
.LBB81_501:
	s_mov_b64 s[2:3], -1
                                        ; implicit-def: $vgpr4_vgpr5
.LBB81_502:
	s_andn2_b64 vcc, exec, s[2:3]
	s_cbranch_vccnz .LBB81_504
; %bb.503:
	global_load_dword v3, v[0:1], off
	s_waitcnt vmcnt(0)
	v_cvt_f64_f32_e32 v[4:5], v3
.LBB81_504:
	s_mov_b64 s[2:3], 0
.LBB81_505:
	s_andn2_b64 vcc, exec, s[2:3]
	s_cbranch_vccnz .LBB81_507
; %bb.506:
	global_load_dword v3, v[0:1], off
	s_waitcnt vmcnt(0)
	v_cvt_f32_f16_e32 v3, v3
	v_cvt_f64_f32_e32 v[4:5], v3
.LBB81_507:
	s_mov_b64 s[2:3], 0
.LBB81_508:
	s_andn2_b64 vcc, exec, s[2:3]
	s_cbranch_vccnz .LBB81_519
; %bb.509:
	s_cmp_lt_i32 s10, 6
	s_cbranch_scc1 .LBB81_512
; %bb.510:
	s_cmp_gt_i32 s10, 6
	s_cbranch_scc0 .LBB81_513
; %bb.511:
	global_load_dwordx2 v[4:5], v[0:1], off
	s_mov_b64 s[2:3], 0
	s_branch .LBB81_514
.LBB81_512:
	s_mov_b64 s[2:3], -1
                                        ; implicit-def: $vgpr4_vgpr5
	s_branch .LBB81_517
.LBB81_513:
	s_mov_b64 s[2:3], -1
                                        ; implicit-def: $vgpr4_vgpr5
.LBB81_514:
	s_andn2_b64 vcc, exec, s[2:3]
	s_cbranch_vccnz .LBB81_516
; %bb.515:
	global_load_dword v3, v[0:1], off
	s_waitcnt vmcnt(0)
	v_cvt_f64_f32_e32 v[4:5], v3
.LBB81_516:
	s_mov_b64 s[2:3], 0
.LBB81_517:
	s_andn2_b64 vcc, exec, s[2:3]
	s_cbranch_vccnz .LBB81_519
; %bb.518:
	global_load_ushort v3, v[0:1], off
	s_waitcnt vmcnt(0)
	v_cvt_f32_f16_e32 v3, v3
	v_cvt_f64_f32_e32 v[4:5], v3
.LBB81_519:
	s_mov_b64 s[2:3], 0
.LBB81_520:
	s_andn2_b64 vcc, exec, s[2:3]
	s_cbranch_vccnz .LBB81_540
; %bb.521:
	s_cmp_lt_i32 s10, 2
	s_cbranch_scc1 .LBB81_525
; %bb.522:
	s_cmp_lt_i32 s10, 3
	s_cbranch_scc1 .LBB81_526
; %bb.523:
	s_cmp_gt_i32 s10, 3
	s_cbranch_scc0 .LBB81_527
; %bb.524:
	global_load_dwordx2 v[4:5], v[0:1], off
	s_mov_b64 s[2:3], 0
	s_waitcnt vmcnt(0)
	v_cvt_f64_i32_e32 v[6:7], v5
	v_cvt_f64_u32_e32 v[4:5], v4
	v_ldexp_f64 v[6:7], v[6:7], 32
	v_add_f64 v[4:5], v[6:7], v[4:5]
	s_branch .LBB81_528
.LBB81_525:
	s_mov_b64 s[2:3], -1
                                        ; implicit-def: $vgpr4_vgpr5
	s_branch .LBB81_534
.LBB81_526:
	s_mov_b64 s[2:3], -1
                                        ; implicit-def: $vgpr4_vgpr5
	s_branch .LBB81_531
.LBB81_527:
	s_mov_b64 s[2:3], -1
                                        ; implicit-def: $vgpr4_vgpr5
.LBB81_528:
	s_andn2_b64 vcc, exec, s[2:3]
	s_cbranch_vccnz .LBB81_530
; %bb.529:
	global_load_dword v3, v[0:1], off
	s_waitcnt vmcnt(0)
	v_cvt_f64_i32_e32 v[4:5], v3
.LBB81_530:
	s_mov_b64 s[2:3], 0
.LBB81_531:
	s_andn2_b64 vcc, exec, s[2:3]
	s_cbranch_vccnz .LBB81_533
; %bb.532:
	global_load_sshort v3, v[0:1], off
	s_waitcnt vmcnt(0)
	v_cvt_f64_i32_e32 v[4:5], v3
.LBB81_533:
	s_mov_b64 s[2:3], 0
.LBB81_534:
	s_andn2_b64 vcc, exec, s[2:3]
	s_cbranch_vccnz .LBB81_540
; %bb.535:
	s_cmp_gt_i32 s10, 0
	s_cbranch_scc0 .LBB81_537
; %bb.536:
	global_load_sbyte v3, v[0:1], off
	s_mov_b64 s[2:3], 0
	s_waitcnt vmcnt(0)
	v_cvt_f64_i32_e32 v[4:5], v3
	s_branch .LBB81_538
.LBB81_537:
	s_mov_b64 s[2:3], -1
                                        ; implicit-def: $vgpr4_vgpr5
.LBB81_538:
	s_andn2_b64 vcc, exec, s[2:3]
	s_cbranch_vccnz .LBB81_540
; %bb.539:
	global_load_ubyte v0, v[0:1], off
	s_waitcnt vmcnt(0)
	v_cvt_f64_u32_e32 v[4:5], v0
.LBB81_540:
	s_branch .LBB81_296
.LBB81_541:
	s_mov_b64 s[6:7], 0
	s_mov_b64 s[2:3], s[54:55]
.LBB81_542:
                                        ; implicit-def: $vgpr10
.LBB81_543:
	s_andn2_b64 s[8:9], s[54:55], exec
	s_and_b64 s[2:3], s[2:3], exec
	s_or_b64 s[62:63], s[8:9], s[2:3]
	s_andn2_b64 s[2:3], s[56:57], exec
	s_and_b64 s[4:5], s[4:5], exec
	s_or_b64 s[60:61], s[2:3], s[4:5]
	s_orn2_b64 s[2:3], s[6:7], exec
.LBB81_544:
	s_or_b64 exec, exec, s[64:65]
	s_mov_b64 s[4:5], 0
	s_mov_b64 s[6:7], 0
	s_mov_b64 s[8:9], 0
                                        ; implicit-def: $vgpr0_vgpr1
                                        ; implicit-def: $vgpr2
                                        ; implicit-def: $vgpr6_vgpr7
	s_and_saveexec_b64 s[64:65], s[2:3]
	s_cbranch_execz .LBB81_921
; %bb.545:
	v_cmp_gt_i32_e32 vcc, s70, v10
	s_mov_b64 s[6:7], -1
	s_mov_b64 s[2:3], s[60:61]
	s_mov_b64 s[68:69], s[62:63]
	s_and_saveexec_b64 s[66:67], vcc
	s_cbranch_execz .LBB81_820
; %bb.546:
	s_andn2_b64 vcc, exec, s[42:43]
	s_cbranch_vccnz .LBB81_552
; %bb.547:
	s_andn2_b64 vcc, exec, s[52:53]
	s_cbranch_vccnz .LBB81_553
; %bb.548:
	s_add_i32 s76, s75, 1
	s_cmp_eq_u32 s72, 2
	s_cbranch_scc1 .LBB81_554
; %bb.549:
	s_and_b32 s71, s76, 28
	s_mov_b32 s77, 0
	v_mov_b32_e32 v2, 0
	v_mov_b32_e32 v0, 0
	s_mov_b64 s[2:3], s[34:35]
	s_mov_b64 s[68:69], s[50:51]
	s_waitcnt vmcnt(0)
	v_mov_b32_e32 v4, v10
.LBB81_550:                             ; =>This Inner Loop Header: Depth=1
	s_load_dwordx8 s[12:19], s[2:3], 0x4
	s_load_dwordx4 s[36:39], s[2:3], 0x24
	s_load_dwordx8 s[4:11], s[68:69], 0x0
	s_add_u32 s2, s2, 48
	s_addc_u32 s3, s3, 0
	s_waitcnt lgkmcnt(0)
	v_mul_hi_u32 v1, s13, v4
	v_add_u32_e32 v1, v4, v1
	v_lshrrev_b32_e32 v1, s14, v1
	v_mul_lo_u32 v3, v1, s12
	v_mul_hi_u32 v5, s16, v1
	v_sub_u32_e32 v3, v4, v3
	v_add_u32_e32 v4, v1, v5
	v_lshrrev_b32_e32 v4, s17, v4
	v_mul_lo_u32 v6, v4, s15
	v_mul_hi_u32 v7, s19, v4
	v_sub_u32_e32 v1, v1, v6
	v_add_u32_e32 v6, v4, v7
	v_mul_lo_u32 v5, v3, s5
	v_mul_lo_u32 v3, v3, s4
	;; [unrolled: 1-line block ×4, first 2 shown]
	v_lshrrev_b32_e32 v6, s36, v6
	v_add3_u32 v1, v3, v2, v1
	v_mul_hi_u32 v3, s38, v6
	v_mul_lo_u32 v2, v6, s18
	v_add_u32_e32 v3, v6, v3
	v_sub_u32_e32 v2, v4, v2
	v_lshrrev_b32_e32 v4, s39, v3
	s_add_i32 s77, s77, 4
	v_mul_lo_u32 v3, v4, s37
	s_add_u32 s68, s68, 32
	v_sub_u32_e32 v3, v6, v3
	s_addc_u32 s69, s69, 0
	v_add3_u32 v0, v5, v0, v7
	v_mul_lo_u32 v5, v2, s8
	v_mul_lo_u32 v2, v2, s9
	;; [unrolled: 1-line block ×4, first 2 shown]
	s_cmp_eq_u32 s71, s77
	v_add3_u32 v0, v2, v0, v3
	v_add3_u32 v2, v5, v1, v6
	s_cbranch_scc0 .LBB81_550
; %bb.551:
	v_mov_b32_e32 v1, v0
	s_branch .LBB81_555
.LBB81_552:
	s_mov_b64 s[2:3], -1
                                        ; implicit-def: $vgpr0
                                        ; implicit-def: $vgpr2
	s_branch .LBB81_559
.LBB81_553:
	v_mov_b32_e32 v0, 0
	v_mov_b32_e32 v2, 0
	s_branch .LBB81_558
.LBB81_554:
	v_mov_b32_e32 v2, 0
	s_mov_b32 s71, 0
	v_mov_b32_e32 v1, v2
                                        ; implicit-def: $vgpr0
	s_waitcnt vmcnt(0)
	v_mov_b32_e32 v4, v10
.LBB81_555:
	s_and_b32 s6, s76, 3
	s_cmp_eq_u32 s6, 0
	s_cbranch_scc1 .LBB81_558
; %bb.556:
	s_lshl_b32 s2, s71, 3
	s_add_u32 s2, s34, s2
	s_addc_u32 s3, s35, 0
	s_add_u32 s2, s2, 0xc4
	s_addc_u32 s3, s3, 0
	s_mul_i32 s4, s71, 12
	s_add_u32 s4, s34, s4
	s_addc_u32 s5, s35, 0
.LBB81_557:                             ; =>This Inner Loop Header: Depth=1
	s_load_dwordx2 s[8:9], s[4:5], 0x4
	s_load_dword s7, s[4:5], 0xc
	s_load_dwordx2 s[10:11], s[2:3], 0x0
	v_mov_b32_e32 v0, v1
	s_add_u32 s4, s4, 12
	s_waitcnt lgkmcnt(0)
	v_mul_hi_u32 v1, s9, v4
	v_add_u32_e32 v1, v4, v1
	v_lshrrev_b32_e32 v1, s7, v1
	s_addc_u32 s5, s5, 0
	v_mul_lo_u32 v3, v1, s8
	s_add_u32 s2, s2, 8
	v_sub_u32_e32 v3, v4, v3
	s_addc_u32 s3, s3, 0
	s_add_i32 s6, s6, -1
	v_mov_b32_e32 v4, v1
	v_mad_u64_u32 v[0:1], s[8:9], v3, s11, v[0:1]
	s_cmp_lg_u32 s6, 0
	v_mad_u64_u32 v[2:3], s[8:9], v3, s10, v[2:3]
	v_mov_b32_e32 v1, v0
	s_cbranch_scc1 .LBB81_557
.LBB81_558:
	s_mov_b64 s[2:3], 0
.LBB81_559:
	s_andn2_b64 vcc, exec, s[2:3]
	s_cbranch_vccnz .LBB81_562
; %bb.560:
	s_waitcnt lgkmcnt(0)
	v_mul_hi_u32 v0, s29, v10
	v_add_u32_e32 v0, v10, v0
	v_lshrrev_b32_e32 v1, s30, v0
	v_mul_lo_u32 v0, v1, s28
	v_sub_u32_e32 v2, v10, v0
	v_mul_lo_u32 v0, v2, s25
	s_andn2_b64 vcc, exec, s[48:49]
	v_mul_lo_u32 v2, v2, s24
	s_cbranch_vccnz .LBB81_562
; %bb.561:
	v_mul_hi_u32 v3, s46, v1
	v_add_u32_e32 v3, v1, v3
	v_lshrrev_b32_e32 v3, s47, v3
	v_mul_lo_u32 v3, v3, s31
	v_sub_u32_e32 v1, v1, v3
	v_mad_u64_u32 v[2:3], s[2:3], v1, s26, v[2:3]
	v_mad_u64_u32 v[0:1], s[2:3], v1, s27, v[0:1]
.LBB81_562:
	v_mov_b32_e32 v1, 0
	s_and_b32 s10, 0xffff, s74
	s_cmp_lt_i32 s10, 11
	s_waitcnt lgkmcnt(0)
	v_lshl_add_u64 v[0:1], s[22:23], 0, v[0:1]
	s_cbranch_scc1 .LBB81_569
; %bb.563:
	s_cmp_gt_i32 s10, 25
	s_cbranch_scc0 .LBB81_570
; %bb.564:
	s_cmp_gt_i32 s10, 28
	s_cbranch_scc0 .LBB81_571
	;; [unrolled: 3-line block ×4, first 2 shown]
; %bb.567:
	s_cmp_eq_u32 s10, 46
	s_mov_b64 s[6:7], 0
	s_cbranch_scc0 .LBB81_578
; %bb.568:
	global_load_dword v3, v[0:1], off
	s_mov_b64 s[2:3], -1
	s_mov_b64 s[4:5], 0
	s_waitcnt vmcnt(0)
	v_lshlrev_b32_e32 v3, 16, v3
	v_cvt_f64_f32_e32 v[4:5], v3
	s_branch .LBB81_579
.LBB81_569:
	s_mov_b64 s[6:7], -1
	s_mov_b64 s[2:3], 0
                                        ; implicit-def: $vgpr4_vgpr5
	s_mov_b64 s[4:5], s[60:61]
	s_branch .LBB81_644
.LBB81_570:
	s_mov_b64 s[6:7], -1
	s_mov_b64 s[2:3], 0
	s_mov_b64 s[4:5], s[60:61]
                                        ; implicit-def: $vgpr4_vgpr5
	s_branch .LBB81_610
.LBB81_571:
	s_mov_b64 s[6:7], -1
	s_mov_b64 s[2:3], 0
	s_mov_b64 s[4:5], s[60:61]
                                        ; implicit-def: $vgpr4_vgpr5
	s_branch .LBB81_589
.LBB81_572:
	s_mov_b64 s[6:7], -1
	s_mov_b64 s[2:3], 0
	s_mov_b64 s[4:5], s[60:61]
                                        ; implicit-def: $vgpr4_vgpr5
	s_branch .LBB81_584
.LBB81_573:
	s_andn2_saveexec_b64 s[10:11], s[10:11]
	s_cbranch_execz .LBB81_341
.LBB81_574:
	s_mov_b32 s14, 0x46000000
	v_add_f32_e64 v3, |v2|, s14
	v_and_b32_e32 v3, 0xff, v3
	v_cmp_ne_u32_e32 vcc, 0, v3
	s_andn2_b64 s[8:9], s[8:9], exec
	s_and_b64 s[14:15], vcc, exec
	s_or_b64 s[8:9], s[8:9], s[14:15]
	s_or_b64 exec, exec, s[10:11]
	v_mov_b32_e32 v6, 0
	s_and_saveexec_b64 s[10:11], s[8:9]
	s_cbranch_execnz .LBB81_342
	s_branch .LBB81_343
.LBB81_575:
	s_mov_b64 s[6:7], -1
	s_mov_b64 s[2:3], 0
	s_mov_b64 s[4:5], s[60:61]
                                        ; implicit-def: $vgpr4_vgpr5
	s_branch .LBB81_579
.LBB81_576:
	s_andn2_saveexec_b64 s[10:11], s[10:11]
	s_cbranch_execz .LBB81_354
.LBB81_577:
	s_mov_b32 s14, 0x42800000
	v_add_f32_e64 v3, |v2|, s14
	v_and_b32_e32 v3, 0xff, v3
	v_cmp_ne_u32_e32 vcc, 0, v3
	s_andn2_b64 s[8:9], s[8:9], exec
	s_and_b64 s[14:15], vcc, exec
	s_or_b64 s[8:9], s[8:9], s[14:15]
	s_or_b64 exec, exec, s[10:11]
	v_mov_b32_e32 v6, 0
	s_and_saveexec_b64 s[10:11], s[8:9]
	s_cbranch_execnz .LBB81_355
	s_branch .LBB81_356
.LBB81_578:
	s_mov_b64 s[4:5], -1
                                        ; implicit-def: $vgpr4_vgpr5
	s_mov_b64 s[2:3], 0
.LBB81_579:
	s_and_b64 vcc, exec, s[6:7]
	s_cbranch_vccz .LBB81_583
; %bb.580:
	s_cmp_eq_u32 s10, 44
	s_cbranch_scc0 .LBB81_582
; %bb.581:
	global_load_ubyte v3, v[0:1], off
	s_movk_i32 s4, 0xff
	v_bfrev_b32_e32 v6, 4
	v_mov_b32_e32 v7, 0x7ff80000
	v_bfrev_b32_e32 v8, 28
	s_mov_b64 s[2:3], -1
	s_waitcnt vmcnt(0)
	v_lshlrev_b32_e32 v4, 23, v3
	v_cvt_f64_f32_e32 v[4:5], v4
	v_cmp_ne_u32_e32 vcc, s4, v3
	s_mov_b64 s[4:5], 0
	s_nop 0
	v_cndmask_b32_e32 v4, v6, v4, vcc
	v_cndmask_b32_e32 v5, v7, v5, vcc
	v_cmp_ne_u32_e32 vcc, 0, v3
	s_nop 1
	v_cndmask_b32_e32 v5, v8, v5, vcc
	v_cndmask_b32_e32 v4, 0, v4, vcc
	s_branch .LBB81_583
.LBB81_582:
	s_mov_b64 s[4:5], -1
                                        ; implicit-def: $vgpr4_vgpr5
.LBB81_583:
	s_mov_b64 s[6:7], 0
.LBB81_584:
	s_and_b64 vcc, exec, s[6:7]
	s_cbranch_vccz .LBB81_588
; %bb.585:
	s_cmp_eq_u32 s10, 29
	s_cbranch_scc0 .LBB81_587
; %bb.586:
	global_load_dwordx2 v[4:5], v[0:1], off
	s_mov_b64 s[2:3], -1
	s_mov_b64 s[4:5], 0
	s_mov_b64 s[6:7], 0
	s_waitcnt vmcnt(0)
	v_cvt_f64_u32_e32 v[6:7], v5
	v_cvt_f64_u32_e32 v[4:5], v4
	v_ldexp_f64 v[6:7], v[6:7], 32
	v_add_f64 v[4:5], v[6:7], v[4:5]
	s_branch .LBB81_589
.LBB81_587:
	s_mov_b64 s[4:5], -1
                                        ; implicit-def: $vgpr4_vgpr5
.LBB81_588:
	s_mov_b64 s[6:7], 0
.LBB81_589:
	s_and_b64 vcc, exec, s[6:7]
	s_cbranch_vccz .LBB81_609
; %bb.590:
	s_cmp_lt_i32 s10, 27
	s_cbranch_scc1 .LBB81_593
; %bb.591:
	s_cmp_gt_i32 s10, 27
	s_cbranch_scc0 .LBB81_594
; %bb.592:
	global_load_dword v3, v[0:1], off
	s_mov_b64 s[2:3], 0
	s_waitcnt vmcnt(0)
	v_cvt_f64_u32_e32 v[4:5], v3
	s_branch .LBB81_595
.LBB81_593:
	s_mov_b64 s[2:3], -1
                                        ; implicit-def: $vgpr4_vgpr5
	s_branch .LBB81_598
.LBB81_594:
	s_mov_b64 s[2:3], -1
                                        ; implicit-def: $vgpr4_vgpr5
.LBB81_595:
	s_andn2_b64 vcc, exec, s[2:3]
	s_cbranch_vccnz .LBB81_597
; %bb.596:
	global_load_ushort v3, v[0:1], off
	s_waitcnt vmcnt(0)
	v_cvt_f64_u32_e32 v[4:5], v3
.LBB81_597:
	s_mov_b64 s[2:3], 0
.LBB81_598:
	s_andn2_b64 vcc, exec, s[2:3]
	s_cbranch_vccnz .LBB81_608
; %bb.599:
	global_load_ubyte v3, v[0:1], off
	s_movk_i32 s2, 0x7f
	s_waitcnt vmcnt(0)
	v_cmp_lt_i16_e32 vcc, s2, v3
	s_mov_b64 s[2:3], 0
	s_and_saveexec_b64 s[6:7], vcc
	s_xor_b64 s[6:7], exec, s[6:7]
	s_cbranch_execz .LBB81_603
; %bb.600:
	s_movk_i32 s2, 0x80
	v_cmp_eq_u16_e32 vcc, s2, v3
	s_mov_b64 s[2:3], -1
	s_and_saveexec_b64 s[8:9], vcc
; %bb.601:
	s_xor_b64 s[2:3], exec, -1
; %bb.602:
	s_or_b64 exec, exec, s[8:9]
	s_and_b64 s[2:3], s[2:3], exec
.LBB81_603:
	s_or_saveexec_b64 s[6:7], s[6:7]
	v_bfrev_b32_e32 v4, 4
	v_mov_b32_e32 v5, 0x7ff80000
	s_xor_b64 exec, exec, s[6:7]
; %bb.604:
	v_cmp_ne_u16_e32 vcc, 0, v3
	s_andn2_b64 s[2:3], s[2:3], exec
	s_and_b64 s[8:9], vcc, exec
	v_mov_b64_e32 v[4:5], 0
	s_or_b64 s[2:3], s[2:3], s[8:9]
; %bb.605:
	s_or_b64 exec, exec, s[6:7]
	s_and_saveexec_b64 s[6:7], s[2:3]
	s_cbranch_execz .LBB81_607
; %bb.606:
	v_lshlrev_b32_e32 v4, 24, v3
	v_and_b32_e32 v3, 0xffff, v3
	v_and_b32_e32 v5, 7, v3
	v_ffbh_u32_e32 v7, v5
	v_min_u32_e32 v7, 32, v7
	v_subrev_u32_e32 v8, 28, v7
	v_bfe_u32 v6, v3, 3, 4
	v_lshlrev_b32_e32 v3, v8, v3
	v_sub_u32_e32 v7, 29, v7
	v_and_b32_e32 v3, 7, v3
	v_cmp_eq_u32_e32 vcc, 0, v6
	v_and_b32_e32 v4, 0x80000000, v4
	s_nop 0
	v_cndmask_b32_e32 v6, v6, v7, vcc
	v_cndmask_b32_e32 v3, v5, v3, vcc
	v_mov_b32_e32 v5, 0x3b800000
	v_lshlrev_b32_e32 v3, 20, v3
	v_lshl_add_u32 v5, v6, 23, v5
	v_or3_b32 v3, v4, v5, v3
	v_cvt_f64_f32_e32 v[4:5], v3
.LBB81_607:
	s_or_b64 exec, exec, s[6:7]
.LBB81_608:
	s_mov_b64 s[2:3], -1
.LBB81_609:
	s_mov_b64 s[6:7], 0
.LBB81_610:
	s_and_b64 vcc, exec, s[6:7]
	s_cbranch_vccz .LBB81_643
; %bb.611:
	s_cmp_gt_i32 s10, 22
	s_cbranch_scc0 .LBB81_623
; %bb.612:
	s_cmp_lt_i32 s10, 24
	s_cbranch_scc1 .LBB81_624
; %bb.613:
	s_cmp_gt_i32 s10, 24
	s_cbranch_scc0 .LBB81_625
; %bb.614:
	global_load_ubyte v3, v[0:1], off
	s_movk_i32 s2, 0x7f
	s_waitcnt vmcnt(0)
	v_cmp_lt_i16_e32 vcc, s2, v3
	s_mov_b64 s[2:3], 0
	s_and_saveexec_b64 s[6:7], vcc
	s_xor_b64 s[6:7], exec, s[6:7]
	s_cbranch_execz .LBB81_618
; %bb.615:
	s_movk_i32 s2, 0x80
	v_cmp_eq_u16_e32 vcc, s2, v3
	s_mov_b64 s[2:3], -1
	s_and_saveexec_b64 s[8:9], vcc
; %bb.616:
	s_xor_b64 s[2:3], exec, -1
; %bb.617:
	s_or_b64 exec, exec, s[8:9]
	s_and_b64 s[2:3], s[2:3], exec
.LBB81_618:
	s_or_saveexec_b64 s[6:7], s[6:7]
	v_bfrev_b32_e32 v4, 4
	v_mov_b32_e32 v5, 0x7ff80000
	s_xor_b64 exec, exec, s[6:7]
; %bb.619:
	v_cmp_ne_u16_e32 vcc, 0, v3
	s_andn2_b64 s[2:3], s[2:3], exec
	s_and_b64 s[8:9], vcc, exec
	v_mov_b64_e32 v[4:5], 0
	s_or_b64 s[2:3], s[2:3], s[8:9]
; %bb.620:
	s_or_b64 exec, exec, s[6:7]
	s_and_saveexec_b64 s[6:7], s[2:3]
	s_cbranch_execz .LBB81_622
; %bb.621:
	v_lshlrev_b32_e32 v4, 24, v3
	v_and_b32_e32 v3, 0xffff, v3
	v_and_b32_e32 v5, 3, v3
	v_ffbh_u32_e32 v7, v5
	v_min_u32_e32 v7, 32, v7
	v_subrev_u32_e32 v8, 29, v7
	v_bfe_u32 v6, v3, 2, 5
	v_lshlrev_b32_e32 v3, v8, v3
	v_sub_u32_e32 v7, 30, v7
	v_and_b32_e32 v3, 3, v3
	v_cmp_eq_u32_e32 vcc, 0, v6
	v_and_b32_e32 v4, 0x80000000, v4
	s_nop 0
	v_cndmask_b32_e32 v6, v6, v7, vcc
	v_cndmask_b32_e32 v3, v5, v3, vcc
	v_mov_b32_e32 v5, 0x37800000
	v_lshlrev_b32_e32 v3, 21, v3
	v_lshl_add_u32 v5, v6, 23, v5
	v_or3_b32 v3, v4, v5, v3
	v_cvt_f64_f32_e32 v[4:5], v3
.LBB81_622:
	s_or_b64 exec, exec, s[6:7]
	s_mov_b64 s[2:3], 0
	s_branch .LBB81_626
.LBB81_623:
	s_mov_b64 s[6:7], -1
                                        ; implicit-def: $vgpr4_vgpr5
	s_branch .LBB81_632
.LBB81_624:
	s_mov_b64 s[2:3], -1
                                        ; implicit-def: $vgpr4_vgpr5
	s_branch .LBB81_629
.LBB81_625:
	s_mov_b64 s[2:3], -1
                                        ; implicit-def: $vgpr4_vgpr5
.LBB81_626:
	s_and_b64 vcc, exec, s[2:3]
	s_cbranch_vccz .LBB81_628
; %bb.627:
	global_load_ubyte v3, v[0:1], off
	s_mov_b32 s2, 0x7f800000
	s_waitcnt vmcnt(0)
	v_lshlrev_b32_e32 v3, 24, v3
	v_and_b32_e32 v4, 0x7f000000, v3
	v_ffbh_u32_e32 v5, v4
	v_min_u32_e32 v5, 32, v5
	v_sub_u32_e64 v5, v5, 4 clamp
	v_lshlrev_b32_e32 v7, v5, v4
	v_lshlrev_b32_e32 v5, 23, v5
	v_lshrrev_b32_e32 v7, 4, v7
	v_add_u32_e32 v6, 0x1000000, v4
	v_sub_u32_e32 v5, v7, v5
	v_ashrrev_i32_e32 v6, 8, v6
	v_add_u32_e32 v5, 0x3c000000, v5
	v_and_or_b32 v5, v6, s2, v5
	v_cmp_ne_u32_e32 vcc, 0, v4
	s_brev_b32 s2, 1
	s_nop 0
	v_cndmask_b32_e32 v4, 0, v5, vcc
	v_and_or_b32 v3, v3, s2, v4
	v_cvt_f64_f32_e32 v[4:5], v3
.LBB81_628:
	s_mov_b64 s[2:3], 0
.LBB81_629:
	s_andn2_b64 vcc, exec, s[2:3]
	s_cbranch_vccnz .LBB81_631
; %bb.630:
	global_load_ubyte v3, v[0:1], off
	s_movk_i32 s2, 0x7f00
	s_brev_b32 s3, 16
	s_waitcnt vmcnt(0)
	v_lshlrev_b16_e32 v4, 8, v3
	v_lshlrev_b32_e32 v3, 25, v3
	v_lshrrev_b32_e32 v5, 4, v3
	v_and_or_b32 v6, v4, s2, 0.5
	v_or_b32_e32 v5, 0x70000000, v5
	v_add_f32_e32 v6, -0.5, v6
	v_mul_f32_e32 v5, 0x7800000, v5
	v_cmp_gt_u32_e32 vcc, s3, v3
	v_bfe_i32 v4, v4, 0, 16
	s_brev_b32 s2, 1
	v_cndmask_b32_e32 v3, v5, v6, vcc
	v_and_or_b32 v3, v4, s2, v3
	v_cvt_f64_f32_e32 v[4:5], v3
.LBB81_631:
	s_mov_b64 s[6:7], 0
	s_mov_b64 s[2:3], -1
.LBB81_632:
	s_andn2_b64 vcc, exec, s[6:7]
	s_cbranch_vccnz .LBB81_643
; %bb.633:
	s_cmp_gt_i32 s10, 14
	s_cbranch_scc0 .LBB81_636
; %bb.634:
	s_cmp_eq_u32 s10, 15
	s_cbranch_scc0 .LBB81_637
; %bb.635:
	global_load_ushort v3, v[0:1], off
	s_mov_b64 s[2:3], -1
	s_mov_b64 s[4:5], 0
	s_waitcnt vmcnt(0)
	v_lshlrev_b32_e32 v3, 16, v3
	v_cvt_f64_f32_e32 v[4:5], v3
	s_branch .LBB81_638
.LBB81_636:
	s_mov_b64 s[6:7], -1
                                        ; implicit-def: $vgpr4_vgpr5
	s_branch .LBB81_639
.LBB81_637:
	s_mov_b64 s[4:5], -1
                                        ; implicit-def: $vgpr4_vgpr5
.LBB81_638:
	s_mov_b64 s[6:7], 0
.LBB81_639:
	s_and_b64 vcc, exec, s[6:7]
	s_cbranch_vccz .LBB81_643
; %bb.640:
	s_cmp_eq_u32 s10, 11
	s_cbranch_scc0 .LBB81_642
; %bb.641:
	global_load_ubyte v3, v[0:1], off
	s_waitcnt vmcnt(1)
	v_mov_b32_e32 v5, 0x3ff00000
	v_mov_b32_e32 v4, 0
	s_mov_b64 s[2:3], -1
	s_mov_b64 s[4:5], 0
	s_waitcnt vmcnt(0)
	v_cmp_ne_u16_e32 vcc, 0, v3
	s_nop 1
	v_cndmask_b32_e32 v5, 0, v5, vcc
	s_branch .LBB81_643
.LBB81_642:
	s_mov_b64 s[4:5], -1
                                        ; implicit-def: $vgpr4_vgpr5
.LBB81_643:
	s_mov_b64 s[6:7], 0
.LBB81_644:
	s_and_b64 vcc, exec, s[6:7]
	s_cbranch_vccz .LBB81_693
; %bb.645:
	s_cmp_lt_i32 s10, 5
	s_cbranch_scc1 .LBB81_650
; %bb.646:
	s_cmp_lt_i32 s10, 8
	s_cbranch_scc1 .LBB81_651
; %bb.647:
	s_cmp_lt_i32 s10, 9
	s_cbranch_scc1 .LBB81_652
; %bb.648:
	s_cmp_gt_i32 s10, 9
	s_cbranch_scc0 .LBB81_653
; %bb.649:
	global_load_dwordx2 v[4:5], v[0:1], off
	s_mov_b64 s[2:3], 0
	s_branch .LBB81_654
.LBB81_650:
	s_mov_b64 s[2:3], -1
                                        ; implicit-def: $vgpr4_vgpr5
	s_branch .LBB81_672
.LBB81_651:
	s_mov_b64 s[2:3], -1
                                        ; implicit-def: $vgpr4_vgpr5
	s_branch .LBB81_660
.LBB81_652:
	s_mov_b64 s[2:3], -1
                                        ; implicit-def: $vgpr4_vgpr5
	s_branch .LBB81_657
.LBB81_653:
	s_mov_b64 s[2:3], -1
                                        ; implicit-def: $vgpr4_vgpr5
.LBB81_654:
	s_andn2_b64 vcc, exec, s[2:3]
	s_cbranch_vccnz .LBB81_656
; %bb.655:
	global_load_dword v3, v[0:1], off
	s_waitcnt vmcnt(0)
	v_cvt_f64_f32_e32 v[4:5], v3
.LBB81_656:
	s_mov_b64 s[2:3], 0
.LBB81_657:
	s_andn2_b64 vcc, exec, s[2:3]
	s_cbranch_vccnz .LBB81_659
; %bb.658:
	global_load_dword v3, v[0:1], off
	s_waitcnt vmcnt(0)
	v_cvt_f32_f16_e32 v3, v3
	v_cvt_f64_f32_e32 v[4:5], v3
.LBB81_659:
	s_mov_b64 s[2:3], 0
.LBB81_660:
	s_andn2_b64 vcc, exec, s[2:3]
	s_cbranch_vccnz .LBB81_671
; %bb.661:
	s_cmp_lt_i32 s10, 6
	s_cbranch_scc1 .LBB81_664
; %bb.662:
	s_cmp_gt_i32 s10, 6
	s_cbranch_scc0 .LBB81_665
; %bb.663:
	global_load_dwordx2 v[4:5], v[0:1], off
	s_mov_b64 s[2:3], 0
	s_branch .LBB81_666
.LBB81_664:
	s_mov_b64 s[2:3], -1
                                        ; implicit-def: $vgpr4_vgpr5
	s_branch .LBB81_669
.LBB81_665:
	s_mov_b64 s[2:3], -1
                                        ; implicit-def: $vgpr4_vgpr5
.LBB81_666:
	s_andn2_b64 vcc, exec, s[2:3]
	s_cbranch_vccnz .LBB81_668
; %bb.667:
	global_load_dword v3, v[0:1], off
	s_waitcnt vmcnt(0)
	v_cvt_f64_f32_e32 v[4:5], v3
.LBB81_668:
	s_mov_b64 s[2:3], 0
.LBB81_669:
	s_andn2_b64 vcc, exec, s[2:3]
	s_cbranch_vccnz .LBB81_671
; %bb.670:
	global_load_ushort v3, v[0:1], off
	s_waitcnt vmcnt(0)
	v_cvt_f32_f16_e32 v3, v3
	v_cvt_f64_f32_e32 v[4:5], v3
.LBB81_671:
	s_mov_b64 s[2:3], 0
.LBB81_672:
	s_andn2_b64 vcc, exec, s[2:3]
	s_cbranch_vccnz .LBB81_692
; %bb.673:
	s_cmp_lt_i32 s10, 2
	s_cbranch_scc1 .LBB81_677
; %bb.674:
	s_cmp_lt_i32 s10, 3
	s_cbranch_scc1 .LBB81_678
; %bb.675:
	s_cmp_gt_i32 s10, 3
	s_cbranch_scc0 .LBB81_679
; %bb.676:
	global_load_dwordx2 v[4:5], v[0:1], off
	s_mov_b64 s[2:3], 0
	s_waitcnt vmcnt(0)
	v_cvt_f64_i32_e32 v[6:7], v5
	v_cvt_f64_u32_e32 v[4:5], v4
	v_ldexp_f64 v[6:7], v[6:7], 32
	v_add_f64 v[4:5], v[6:7], v[4:5]
	s_branch .LBB81_680
.LBB81_677:
	s_mov_b64 s[2:3], -1
                                        ; implicit-def: $vgpr4_vgpr5
	s_branch .LBB81_686
.LBB81_678:
	s_mov_b64 s[2:3], -1
                                        ; implicit-def: $vgpr4_vgpr5
	s_branch .LBB81_683
.LBB81_679:
	s_mov_b64 s[2:3], -1
                                        ; implicit-def: $vgpr4_vgpr5
.LBB81_680:
	s_andn2_b64 vcc, exec, s[2:3]
	s_cbranch_vccnz .LBB81_682
; %bb.681:
	global_load_dword v3, v[0:1], off
	s_waitcnt vmcnt(0)
	v_cvt_f64_i32_e32 v[4:5], v3
.LBB81_682:
	s_mov_b64 s[2:3], 0
.LBB81_683:
	s_andn2_b64 vcc, exec, s[2:3]
	s_cbranch_vccnz .LBB81_685
; %bb.684:
	global_load_sshort v3, v[0:1], off
	s_waitcnt vmcnt(0)
	v_cvt_f64_i32_e32 v[4:5], v3
.LBB81_685:
	s_mov_b64 s[2:3], 0
.LBB81_686:
	s_andn2_b64 vcc, exec, s[2:3]
	s_cbranch_vccnz .LBB81_692
; %bb.687:
	s_cmp_gt_i32 s10, 0
	s_cbranch_scc0 .LBB81_689
; %bb.688:
	global_load_sbyte v3, v[0:1], off
	s_mov_b64 s[2:3], 0
	s_waitcnt vmcnt(0)
	v_cvt_f64_i32_e32 v[4:5], v3
	s_branch .LBB81_690
.LBB81_689:
	s_mov_b64 s[2:3], -1
                                        ; implicit-def: $vgpr4_vgpr5
.LBB81_690:
	s_andn2_b64 vcc, exec, s[2:3]
	s_cbranch_vccnz .LBB81_692
; %bb.691:
	global_load_ubyte v0, v[0:1], off
	s_waitcnt vmcnt(0)
	v_cvt_f64_u32_e32 v[4:5], v0
.LBB81_692:
	s_mov_b64 s[2:3], -1
.LBB81_693:
	s_andn2_b64 vcc, exec, s[2:3]
	s_cbranch_vccnz .LBB81_701
; %bb.694:
	s_mov_b32 s2, 0x652b82fe
	s_mov_b32 s3, 0x3ff71547
	s_waitcnt vmcnt(0)
	v_mul_f64 v[0:1], v[4:5], s[2:3]
	s_mov_b32 s2, 0xfefa39ef
	v_rndne_f64_e32 v[0:1], v[0:1]
	s_mov_b32 s3, 0xbfe62e42
	v_fma_f64 v[6:7], s[2:3], v[0:1], v[4:5]
	s_mov_b32 s2, 0x3b39803f
	s_mov_b32 s3, 0xbc7abc9e
	v_fmac_f64_e32 v[6:7], s[2:3], v[0:1]
	s_mov_b32 s2, 0x6a5dcb37
	v_mov_b32_e32 v8, 0xfca7ab0c
	v_mov_b32_e32 v9, 0x3e928af3
	s_mov_b32 s3, 0x3e5ade15
	v_fmac_f64_e32 v[8:9], s[2:3], v[6:7]
	v_mov_b32_e32 v12, 0x623fde64
	v_mov_b32_e32 v13, 0x3ec71dee
	v_fmac_f64_e32 v[12:13], v[6:7], v[8:9]
	v_mov_b32_e32 v8, 0x7c89e6b0
	v_mov_b32_e32 v9, 0x3efa0199
	;; [unrolled: 3-line block ×8, first 2 shown]
	s_mov_b32 s2, 0
	v_fmac_f64_e32 v[8:9], v[6:7], v[12:13]
	s_mov_b32 s3, 0x40900000
	v_fma_f64 v[8:9], v[6:7], v[8:9], 1.0
	v_cmp_nlt_f64_e32 vcc, s[2:3], v[4:5]
	s_mov_b32 s2, 0
	v_fma_f64 v[6:7], v[6:7], v[8:9], 1.0
	v_cvt_i32_f64_e32 v0, v[0:1]
	s_mov_b32 s3, 0xc090cc00
	v_ldexp_f64 v[0:1], v[6:7], v0
	v_mov_b32_e32 v3, 0x7ff00000
	v_cmp_ngt_f64_e64 s[2:3], s[2:3], v[4:5]
	v_cndmask_b32_e32 v1, v3, v1, vcc
	s_and_b64 vcc, s[2:3], vcc
	v_mov_b32_e32 v3, 0
	s_and_b32 s12, s73, 0xff
	v_cndmask_b32_e64 v1, 0, v1, s[2:3]
	v_cndmask_b32_e32 v0, 0, v0, vcc
	s_cmp_lt_i32 s12, 11
	v_lshl_add_u64 v[4:5], s[20:21], 0, v[2:3]
	s_cbranch_scc1 .LBB81_702
; %bb.695:
	s_and_b32 s13, 0xffff, s12
	s_cmp_gt_i32 s13, 25
	s_cbranch_scc0 .LBB81_703
; %bb.696:
	s_cmp_gt_i32 s13, 28
	s_cbranch_scc0 .LBB81_704
; %bb.697:
	;; [unrolled: 3-line block ×4, first 2 shown]
	s_mov_b64 s[8:9], 0
	s_mov_b64 s[2:3], -1
	s_cmp_eq_u32 s13, 46
	s_mov_b64 s[6:7], 0
	s_cbranch_scc0 .LBB81_707
; %bb.700:
	v_cvt_f32_f64_e32 v2, v[0:1]
	v_bfe_u32 v3, v2, 16, 1
	s_movk_i32 s2, 0x7fff
	v_add3_u32 v3, v2, v3, s2
	v_cmp_o_f32_e32 vcc, v2, v2
	v_mov_b32_e32 v2, 0x7fc0
	s_mov_b64 s[6:7], -1
	v_cndmask_b32_sdwa v2, v2, v3, vcc dst_sel:DWORD dst_unused:UNUSED_PAD src0_sel:DWORD src1_sel:WORD_1
	global_store_dword v[4:5], v2, off
	s_mov_b64 s[2:3], 0
	s_branch .LBB81_707
.LBB81_701:
	s_mov_b64 s[6:7], 0
	s_mov_b64 s[2:3], s[62:63]
	s_branch .LBB81_818
.LBB81_702:
	s_mov_b64 s[8:9], -1
	s_mov_b64 s[6:7], 0
	s_mov_b64 s[2:3], s[62:63]
	s_branch .LBB81_776
.LBB81_703:
	s_mov_b64 s[8:9], -1
	s_mov_b64 s[6:7], 0
	s_mov_b64 s[2:3], s[62:63]
	s_branch .LBB81_734
.LBB81_704:
	s_mov_b64 s[8:9], -1
	s_mov_b64 s[6:7], 0
	s_mov_b64 s[2:3], s[62:63]
	s_branch .LBB81_717
.LBB81_705:
	s_mov_b64 s[8:9], -1
	s_mov_b64 s[6:7], 0
	s_mov_b64 s[2:3], s[62:63]
	s_branch .LBB81_713
.LBB81_706:
	s_mov_b64 s[8:9], -1
	s_mov_b64 s[6:7], 0
	s_mov_b64 s[2:3], s[62:63]
.LBB81_707:
	s_and_b64 vcc, exec, s[8:9]
	s_cbranch_vccz .LBB81_712
; %bb.708:
	s_cmp_eq_u32 s13, 44
	s_mov_b64 s[2:3], -1
	s_cbranch_scc0 .LBB81_712
; %bb.709:
	v_cvt_f32_f64_e32 v2, v[0:1]
	v_bfe_u32 v3, v2, 23, 8
	s_movk_i32 s2, 0xff
	v_cmp_ne_u32_e32 vcc, s2, v3
	v_mov_b32_e32 v6, 0xff
	s_and_saveexec_b64 s[6:7], vcc
; %bb.710:
	s_mov_b32 s2, 0x3fffff
	v_lshrrev_b32_e32 v6, 23, v2
	v_and_b32_e32 v7, 0x400000, v2
	v_and_or_b32 v2, v2, s2, v3
	v_cmp_ne_u32_e32 vcc, 0, v7
	v_cmp_ne_u32_e64 s[2:3], 0, v2
	s_and_b64 s[2:3], vcc, s[2:3]
	s_nop 0
	v_cndmask_b32_e64 v2, 0, 1, s[2:3]
	v_add_u32_e32 v6, v6, v2
; %bb.711:
	s_or_b64 exec, exec, s[6:7]
	s_mov_b64 s[6:7], -1
	s_mov_b64 s[2:3], 0
	global_store_byte v[4:5], v6, off
.LBB81_712:
	s_mov_b64 s[8:9], 0
.LBB81_713:
	s_and_b64 vcc, exec, s[8:9]
	s_cbranch_vccz .LBB81_716
; %bb.714:
	s_cmp_eq_u32 s13, 29
	s_mov_b64 s[2:3], -1
	s_cbranch_scc0 .LBB81_716
; %bb.715:
	v_trunc_f64_e32 v[2:3], v[0:1]
	s_movk_i32 s2, 0xffe0
	v_ldexp_f64 v[6:7], v[2:3], s2
	v_floor_f64_e32 v[6:7], v[6:7]
	v_fmac_f64_e32 v[2:3], 0xc1f00000, v[6:7]
	v_cvt_u32_f64_e32 v9, v[6:7]
	v_cvt_u32_f64_e32 v8, v[2:3]
	global_store_dwordx2 v[4:5], v[8:9], off
	s_mov_b64 s[6:7], -1
	s_mov_b64 s[2:3], 0
.LBB81_716:
	s_mov_b64 s[8:9], 0
.LBB81_717:
	s_and_b64 vcc, exec, s[8:9]
	s_cbranch_vccz .LBB81_733
; %bb.718:
	s_cmp_lt_i32 s13, 27
	s_mov_b64 s[6:7], -1
	s_cbranch_scc1 .LBB81_724
; %bb.719:
	s_cmp_gt_i32 s13, 27
	v_cvt_u32_f64_e32 v2, v[0:1]
	s_cbranch_scc0 .LBB81_721
; %bb.720:
	s_mov_b64 s[6:7], 0
	global_store_dword v[4:5], v2, off
.LBB81_721:
	s_andn2_b64 vcc, exec, s[6:7]
	s_cbranch_vccnz .LBB81_723
; %bb.722:
	global_store_short v[4:5], v2, off
.LBB81_723:
	s_mov_b64 s[6:7], 0
.LBB81_724:
	s_andn2_b64 vcc, exec, s[6:7]
	s_cbranch_vccnz .LBB81_732
; %bb.725:
	v_cvt_f32_f64_e32 v2, v[0:1]
	v_and_b32_e32 v3, 0x7fffffff, v2
	s_mov_b32 s6, 0x43800000
	v_cmp_gt_u32_e32 vcc, s6, v3
	v_mov_b32_e32 v6, 0x80
	s_and_saveexec_b64 s[6:7], vcc
	s_cbranch_execz .LBB81_731
; %bb.726:
	s_mov_b32 s8, 0x3bffffff
	v_cmp_lt_u32_e32 vcc, s8, v3
	s_mov_b64 s[8:9], 0
                                        ; implicit-def: $vgpr3
	s_and_saveexec_b64 s[10:11], vcc
	s_xor_b64 s[10:11], exec, s[10:11]
	s_cbranch_execz .LBB81_849
; %bb.727:
	v_bfe_u32 v3, v2, 20, 1
	s_mov_b32 s14, 0x487ffff
	v_add3_u32 v3, v2, v3, s14
	s_mov_b64 s[8:9], exec
	v_lshrrev_b32_e32 v3, 20, v3
	s_andn2_saveexec_b64 s[10:11], s[10:11]
	s_cbranch_execnz .LBB81_850
.LBB81_728:
	s_or_b64 exec, exec, s[10:11]
	v_mov_b32_e32 v6, 0
	s_and_saveexec_b64 s[10:11], s[8:9]
.LBB81_729:
	v_lshrrev_b32_e32 v2, 24, v2
	s_movk_i32 s8, 0x80
	v_and_or_b32 v6, v2, s8, v3
.LBB81_730:
	s_or_b64 exec, exec, s[10:11]
.LBB81_731:
	s_or_b64 exec, exec, s[6:7]
	global_store_byte v[4:5], v6, off
.LBB81_732:
	s_mov_b64 s[6:7], -1
.LBB81_733:
	s_mov_b64 s[8:9], 0
.LBB81_734:
	s_and_b64 vcc, exec, s[8:9]
	s_cbranch_vccz .LBB81_775
; %bb.735:
	s_cmp_gt_i32 s13, 22
	s_mov_b64 s[8:9], -1
	s_cbranch_scc0 .LBB81_767
; %bb.736:
	s_cmp_lt_i32 s13, 24
	s_mov_b64 s[6:7], -1
	s_cbranch_scc1 .LBB81_756
; %bb.737:
	s_cmp_gt_i32 s13, 24
	s_cbranch_scc0 .LBB81_745
; %bb.738:
	v_cvt_f32_f64_e32 v2, v[0:1]
	v_and_b32_e32 v3, 0x7fffffff, v2
	s_mov_b32 s6, 0x47800000
	v_cmp_gt_u32_e32 vcc, s6, v3
	v_mov_b32_e32 v6, 0x80
	s_and_saveexec_b64 s[6:7], vcc
	s_cbranch_execz .LBB81_744
; %bb.739:
	s_mov_b32 s8, 0x37ffffff
	v_cmp_lt_u32_e32 vcc, s8, v3
	s_mov_b64 s[8:9], 0
                                        ; implicit-def: $vgpr3
	s_and_saveexec_b64 s[10:11], vcc
	s_xor_b64 s[10:11], exec, s[10:11]
	s_cbranch_execz .LBB81_852
; %bb.740:
	v_bfe_u32 v3, v2, 21, 1
	s_mov_b32 s14, 0x88fffff
	v_add3_u32 v3, v2, v3, s14
	s_mov_b64 s[8:9], exec
	v_lshrrev_b32_e32 v3, 21, v3
	s_andn2_saveexec_b64 s[10:11], s[10:11]
	s_cbranch_execnz .LBB81_853
.LBB81_741:
	s_or_b64 exec, exec, s[10:11]
	v_mov_b32_e32 v6, 0
	s_and_saveexec_b64 s[10:11], s[8:9]
.LBB81_742:
	v_lshrrev_b32_e32 v2, 24, v2
	s_movk_i32 s8, 0x80
	v_and_or_b32 v6, v2, s8, v3
.LBB81_743:
	s_or_b64 exec, exec, s[10:11]
.LBB81_744:
	s_or_b64 exec, exec, s[6:7]
	s_mov_b64 s[6:7], 0
	global_store_byte v[4:5], v6, off
.LBB81_745:
	s_and_b64 vcc, exec, s[6:7]
	s_cbranch_vccz .LBB81_755
; %bb.746:
	v_cvt_f32_f64_e32 v2, v[0:1]
	v_and_b32_e32 v6, 0x7fffffff, v2
	s_mov_b32 s6, 0x43f00000
	v_cmp_gt_u32_e32 vcc, s6, v6
                                        ; implicit-def: $vgpr3
	s_and_saveexec_b64 s[6:7], vcc
	s_xor_b64 s[6:7], exec, s[6:7]
	s_cbranch_execz .LBB81_752
; %bb.747:
	s_mov_b32 s8, 0x3c7fffff
	v_cmp_lt_u32_e32 vcc, s8, v6
                                        ; implicit-def: $vgpr3
	s_and_saveexec_b64 s[8:9], vcc
	s_xor_b64 s[8:9], exec, s[8:9]
; %bb.748:
	v_bfe_u32 v3, v2, 20, 1
	s_mov_b32 s10, 0x407ffff
	v_add3_u32 v3, v2, v3, s10
	v_lshrrev_b32_e32 v6, 20, v3
	v_and_b32_e32 v3, 0xff00000, v3
	s_mov_b32 s10, 0x7f00000
	v_mov_b32_e32 v7, 0x7e
	v_cmp_ne_u32_e32 vcc, s10, v3
	s_nop 1
	v_cndmask_b32_e32 v3, v7, v6, vcc
; %bb.749:
	s_andn2_saveexec_b64 s[8:9], s[8:9]
; %bb.750:
	s_mov_b32 s10, 0x46800000
	v_add_f32_e64 v3, |v2|, s10
; %bb.751:
	s_or_b64 exec, exec, s[8:9]
                                        ; implicit-def: $vgpr6
.LBB81_752:
	s_andn2_saveexec_b64 s[6:7], s[6:7]
; %bb.753:
	s_mov_b32 s8, 0x7f800000
	v_mov_b32_e32 v3, 0x7e
	v_mov_b32_e32 v7, 0x7f
	v_cmp_lt_u32_e32 vcc, s8, v6
	s_nop 1
	v_cndmask_b32_e32 v3, v3, v7, vcc
; %bb.754:
	s_or_b64 exec, exec, s[6:7]
	v_lshrrev_b32_e32 v2, 24, v2
	s_movk_i32 s6, 0x80
	v_and_or_b32 v2, v2, s6, v3
	global_store_byte v[4:5], v2, off
.LBB81_755:
	s_mov_b64 s[6:7], 0
.LBB81_756:
	s_andn2_b64 vcc, exec, s[6:7]
	s_cbranch_vccnz .LBB81_766
; %bb.757:
	v_cvt_f32_f64_e32 v2, v[0:1]
	v_and_b32_e32 v6, 0x7fffffff, v2
	s_mov_b32 s6, 0x47800000
	v_cmp_gt_u32_e32 vcc, s6, v6
                                        ; implicit-def: $vgpr3
	s_and_saveexec_b64 s[6:7], vcc
	s_xor_b64 s[6:7], exec, s[6:7]
	s_cbranch_execz .LBB81_763
; %bb.758:
	s_mov_b32 s8, 0x387fffff
	v_cmp_lt_u32_e32 vcc, s8, v6
                                        ; implicit-def: $vgpr3
	s_and_saveexec_b64 s[8:9], vcc
	s_xor_b64 s[8:9], exec, s[8:9]
; %bb.759:
	v_bfe_u32 v3, v2, 21, 1
	s_mov_b32 s10, 0x80fffff
	v_add3_u32 v3, v2, v3, s10
	v_lshrrev_b32_e32 v3, 21, v3
; %bb.760:
	s_andn2_saveexec_b64 s[8:9], s[8:9]
; %bb.761:
	s_mov_b32 s10, 0x43000000
	v_add_f32_e64 v3, |v2|, s10
; %bb.762:
	s_or_b64 exec, exec, s[8:9]
                                        ; implicit-def: $vgpr6
.LBB81_763:
	s_andn2_saveexec_b64 s[6:7], s[6:7]
; %bb.764:
	s_mov_b32 s8, 0x7f800000
	v_mov_b32_e32 v3, 0x7c
	v_mov_b32_e32 v7, 0x7f
	v_cmp_lt_u32_e32 vcc, s8, v6
	s_nop 1
	v_cndmask_b32_e32 v3, v3, v7, vcc
; %bb.765:
	s_or_b64 exec, exec, s[6:7]
	v_lshrrev_b32_e32 v2, 24, v2
	s_movk_i32 s6, 0x80
	v_and_or_b32 v2, v2, s6, v3
	global_store_byte v[4:5], v2, off
.LBB81_766:
	s_mov_b64 s[8:9], 0
	s_mov_b64 s[6:7], -1
.LBB81_767:
	s_andn2_b64 vcc, exec, s[8:9]
	s_cbranch_vccnz .LBB81_775
; %bb.768:
	s_cmp_gt_i32 s13, 14
	s_mov_b64 s[8:9], -1
	s_cbranch_scc0 .LBB81_772
; %bb.769:
	s_cmp_eq_u32 s13, 15
	s_mov_b64 s[2:3], -1
	s_cbranch_scc0 .LBB81_771
; %bb.770:
	v_cvt_f32_f64_e32 v2, v[0:1]
	v_bfe_u32 v3, v2, 16, 1
	s_movk_i32 s2, 0x7fff
	v_add3_u32 v3, v2, v3, s2
	v_cmp_o_f32_e32 vcc, v2, v2
	v_mov_b32_e32 v2, 0x7fc0
	s_mov_b64 s[6:7], -1
	v_cndmask_b32_sdwa v2, v2, v3, vcc dst_sel:DWORD dst_unused:UNUSED_PAD src0_sel:DWORD src1_sel:WORD_1
	global_store_short v[4:5], v2, off
	s_mov_b64 s[2:3], 0
.LBB81_771:
	s_mov_b64 s[8:9], 0
.LBB81_772:
	s_and_b64 vcc, exec, s[8:9]
	s_cbranch_vccz .LBB81_775
; %bb.773:
	s_cmp_eq_u32 s13, 11
	s_mov_b64 s[2:3], -1
	s_cbranch_scc0 .LBB81_775
; %bb.774:
	v_cmp_neq_f64_e32 vcc, 0, v[0:1]
	s_mov_b64 s[2:3], 0
	s_mov_b64 s[6:7], -1
	v_cndmask_b32_e64 v2, 0, 1, vcc
	global_store_byte v[4:5], v2, off
.LBB81_775:
	s_mov_b64 s[8:9], 0
.LBB81_776:
	s_and_b64 vcc, exec, s[8:9]
	s_cbranch_vccz .LBB81_815
; %bb.777:
	s_and_b32 s8, 0xffff, s12
	s_cmp_lt_i32 s8, 5
	s_mov_b64 s[6:7], -1
	s_cbranch_scc1 .LBB81_798
; %bb.778:
	s_cmp_lt_i32 s8, 8
	s_cbranch_scc1 .LBB81_788
; %bb.779:
	s_cmp_lt_i32 s8, 9
	s_cbranch_scc1 .LBB81_785
; %bb.780:
	s_cmp_gt_i32 s8, 9
	s_cbranch_scc0 .LBB81_782
; %bb.781:
	v_mov_b32_e32 v2, 0
	v_mov_b32_e32 v3, v2
	s_mov_b64 s[6:7], 0
	global_store_dwordx4 v[4:5], v[0:3], off
.LBB81_782:
	s_andn2_b64 vcc, exec, s[6:7]
	s_cbranch_vccnz .LBB81_784
; %bb.783:
	v_cvt_f32_f64_e32 v2, v[0:1]
	v_mov_b32_e32 v3, 0
	global_store_dwordx2 v[4:5], v[2:3], off
.LBB81_784:
	s_mov_b64 s[6:7], 0
.LBB81_785:
	s_andn2_b64 vcc, exec, s[6:7]
	s_cbranch_vccnz .LBB81_787
; %bb.786:
	s_movk_i32 s6, 0x1ff
	v_and_or_b32 v2, v1, s6, v0
	v_cmp_ne_u32_e32 vcc, 0, v2
	v_lshrrev_b32_e32 v3, 8, v1
	s_movk_i32 s6, 0xffe
	v_cndmask_b32_e64 v2, 0, 1, vcc
	v_bfe_u32 v6, v1, 20, 11
	v_and_or_b32 v2, v3, s6, v2
	v_sub_u32_e32 v7, 0x3f1, v6
	v_or_b32_e32 v3, 0x1000, v2
	v_med3_i32 v7, v7, 0, 13
	v_lshrrev_b32_e32 v8, v7, v3
	v_lshlrev_b32_e32 v7, v7, v8
	v_cmp_ne_u32_e32 vcc, v7, v3
	v_add_u32_e32 v6, 0xfffffc10, v6
	v_lshl_or_b32 v7, v6, 12, v2
	v_cndmask_b32_e64 v3, 0, 1, vcc
	v_or_b32_e32 v3, v8, v3
	v_cmp_gt_i32_e32 vcc, 1, v6
	s_movk_i32 s6, 0x40f
	s_nop 0
	v_cndmask_b32_e32 v3, v7, v3, vcc
	v_and_b32_e32 v7, 7, v3
	v_cmp_lt_i32_e32 vcc, 5, v7
	v_lshrrev_b32_e32 v3, 2, v3
	s_nop 0
	v_cndmask_b32_e64 v8, 0, 1, vcc
	v_cmp_eq_u32_e32 vcc, 3, v7
	s_nop 1
	v_cndmask_b32_e64 v7, 0, 1, vcc
	v_or_b32_e32 v7, v7, v8
	v_add_u32_e32 v3, v3, v7
	v_mov_b32_e32 v7, 0x7c00
	v_cmp_gt_i32_e32 vcc, 31, v6
	v_mov_b32_e32 v8, 0x7e00
	s_nop 0
	v_cndmask_b32_e32 v3, v7, v3, vcc
	v_cmp_ne_u32_e32 vcc, 0, v2
	s_nop 1
	v_cndmask_b32_e32 v2, v7, v8, vcc
	v_cmp_eq_u32_e32 vcc, s6, v6
	s_mov_b32 s6, 0x8000
	s_nop 0
	v_cndmask_b32_e32 v2, v3, v2, vcc
	v_and_b32_sdwa v3, v1, s6 dst_sel:DWORD dst_unused:UNUSED_PAD src0_sel:WORD_1 src1_sel:DWORD
	s_mov_b32 s6, 0xffff
	v_bitop3_b32 v2, v3, s6, v2 bitop3:0xc8
	global_store_dword v[4:5], v2, off
.LBB81_787:
	s_mov_b64 s[6:7], 0
.LBB81_788:
	s_andn2_b64 vcc, exec, s[6:7]
	s_cbranch_vccnz .LBB81_797
; %bb.789:
	s_cmp_lt_i32 s8, 6
	s_mov_b64 s[6:7], -1
	s_cbranch_scc1 .LBB81_795
; %bb.790:
	s_cmp_gt_i32 s8, 6
	s_cbranch_scc0 .LBB81_792
; %bb.791:
	s_mov_b64 s[6:7], 0
	global_store_dwordx2 v[4:5], v[0:1], off
.LBB81_792:
	s_andn2_b64 vcc, exec, s[6:7]
	s_cbranch_vccnz .LBB81_794
; %bb.793:
	v_cvt_f32_f64_e32 v2, v[0:1]
	global_store_dword v[4:5], v2, off
.LBB81_794:
	s_mov_b64 s[6:7], 0
.LBB81_795:
	s_andn2_b64 vcc, exec, s[6:7]
	s_cbranch_vccnz .LBB81_797
; %bb.796:
	s_movk_i32 s6, 0x1ff
	v_and_or_b32 v2, v1, s6, v0
	v_cmp_ne_u32_e32 vcc, 0, v2
	v_lshrrev_b32_e32 v3, 8, v1
	s_movk_i32 s6, 0xffe
	v_cndmask_b32_e64 v2, 0, 1, vcc
	v_bfe_u32 v6, v1, 20, 11
	v_and_or_b32 v2, v3, s6, v2
	v_sub_u32_e32 v7, 0x3f1, v6
	v_or_b32_e32 v3, 0x1000, v2
	v_med3_i32 v7, v7, 0, 13
	v_lshrrev_b32_e32 v8, v7, v3
	v_lshlrev_b32_e32 v7, v7, v8
	v_cmp_ne_u32_e32 vcc, v7, v3
	v_add_u32_e32 v6, 0xfffffc10, v6
	v_lshl_or_b32 v7, v6, 12, v2
	v_cndmask_b32_e64 v3, 0, 1, vcc
	v_or_b32_e32 v3, v8, v3
	v_cmp_gt_i32_e32 vcc, 1, v6
	s_movk_i32 s6, 0x40f
	s_nop 0
	v_cndmask_b32_e32 v3, v7, v3, vcc
	v_and_b32_e32 v7, 7, v3
	v_cmp_lt_i32_e32 vcc, 5, v7
	v_lshrrev_b32_e32 v3, 2, v3
	s_nop 0
	v_cndmask_b32_e64 v8, 0, 1, vcc
	v_cmp_eq_u32_e32 vcc, 3, v7
	s_nop 1
	v_cndmask_b32_e64 v7, 0, 1, vcc
	v_or_b32_e32 v7, v7, v8
	v_add_u32_e32 v3, v3, v7
	v_mov_b32_e32 v7, 0x7c00
	v_cmp_gt_i32_e32 vcc, 31, v6
	v_mov_b32_e32 v8, 0x7e00
	s_nop 0
	v_cndmask_b32_e32 v3, v7, v3, vcc
	v_cmp_ne_u32_e32 vcc, 0, v2
	s_nop 1
	v_cndmask_b32_e32 v2, v7, v8, vcc
	v_cmp_eq_u32_e32 vcc, s6, v6
	s_mov_b32 s6, 0x8000
	s_nop 0
	v_cndmask_b32_e32 v2, v3, v2, vcc
	v_lshrrev_b32_e32 v3, 16, v1
	v_and_or_b32 v2, v3, s6, v2
	global_store_short v[4:5], v2, off
.LBB81_797:
	s_mov_b64 s[6:7], 0
.LBB81_798:
	s_andn2_b64 vcc, exec, s[6:7]
	s_cbranch_vccnz .LBB81_814
; %bb.799:
	s_cmp_lt_i32 s8, 2
	s_mov_b64 s[6:7], -1
	s_cbranch_scc1 .LBB81_809
; %bb.800:
	s_cmp_lt_i32 s8, 3
	s_cbranch_scc1 .LBB81_806
; %bb.801:
	s_cmp_gt_i32 s8, 3
	s_cbranch_scc0 .LBB81_803
; %bb.802:
	v_trunc_f64_e32 v[2:3], v[0:1]
	s_movk_i32 s6, 0xffe0
	v_ldexp_f64 v[6:7], v[2:3], s6
	v_floor_f64_e32 v[6:7], v[6:7]
	v_fmac_f64_e32 v[2:3], 0xc1f00000, v[6:7]
	v_cvt_i32_f64_e32 v9, v[6:7]
	v_cvt_u32_f64_e32 v8, v[2:3]
	s_mov_b64 s[6:7], 0
	global_store_dwordx2 v[4:5], v[8:9], off
.LBB81_803:
	s_andn2_b64 vcc, exec, s[6:7]
	s_cbranch_vccnz .LBB81_805
; %bb.804:
	v_cvt_i32_f64_e32 v2, v[0:1]
	global_store_dword v[4:5], v2, off
.LBB81_805:
	s_mov_b64 s[6:7], 0
.LBB81_806:
	s_andn2_b64 vcc, exec, s[6:7]
	s_cbranch_vccnz .LBB81_808
; %bb.807:
	v_cvt_i32_f64_e32 v2, v[0:1]
	global_store_short v[4:5], v2, off
.LBB81_808:
	s_mov_b64 s[6:7], 0
.LBB81_809:
	s_andn2_b64 vcc, exec, s[6:7]
	s_cbranch_vccnz .LBB81_814
; %bb.810:
	s_cmp_gt_i32 s8, 0
	s_mov_b64 s[6:7], -1
	s_cbranch_scc0 .LBB81_812
; %bb.811:
	v_cvt_i32_f64_e32 v2, v[0:1]
	s_mov_b64 s[6:7], 0
	global_store_byte v[4:5], v2, off
.LBB81_812:
	s_andn2_b64 vcc, exec, s[6:7]
	s_cbranch_vccnz .LBB81_814
; %bb.813:
	v_trunc_f64_e32 v[0:1], v[0:1]
	s_movk_i32 s6, 0xffe0
	v_ldexp_f64 v[2:3], v[0:1], s6
	v_floor_f64_e32 v[2:3], v[2:3]
	v_fmac_f64_e32 v[0:1], 0xc1f00000, v[2:3]
	v_cvt_u32_f64_e32 v0, v[0:1]
	global_store_byte v[4:5], v0, off
.LBB81_814:
	s_mov_b64 s[6:7], -1
.LBB81_815:
	s_andn2_b64 vcc, exec, s[6:7]
	s_cbranch_vccnz .LBB81_817
; %bb.816:
	v_add_u32_e32 v10, 0x80, v10
	s_mov_b64 s[6:7], -1
	s_branch .LBB81_819
.LBB81_817:
	s_mov_b64 s[6:7], 0
.LBB81_818:
                                        ; implicit-def: $vgpr10
.LBB81_819:
	s_andn2_b64 s[8:9], s[62:63], exec
	s_and_b64 s[2:3], s[2:3], exec
	s_or_b64 s[68:69], s[8:9], s[2:3]
	s_andn2_b64 s[2:3], s[60:61], exec
	s_and_b64 s[4:5], s[4:5], exec
	s_or_b64 s[2:3], s[2:3], s[4:5]
	s_orn2_b64 s[6:7], s[6:7], exec
.LBB81_820:
	s_or_b64 exec, exec, s[66:67]
	s_mov_b64 s[4:5], 0
	s_mov_b64 s[10:11], 0
	;; [unrolled: 1-line block ×3, first 2 shown]
                                        ; implicit-def: $vgpr0_vgpr1
                                        ; implicit-def: $vgpr2
                                        ; implicit-def: $vgpr6_vgpr7
	s_and_saveexec_b64 s[66:67], s[6:7]
	s_cbranch_execz .LBB81_920
; %bb.821:
	v_cmp_gt_i32_e32 vcc, s70, v10
	s_mov_b64 s[6:7], 0
	s_mov_b64 s[12:13], s[2:3]
                                        ; implicit-def: $vgpr0_vgpr1
                                        ; implicit-def: $vgpr2
                                        ; implicit-def: $vgpr6_vgpr7
	s_and_saveexec_b64 s[70:71], vcc
	s_cbranch_execz .LBB81_919
; %bb.822:
	s_andn2_b64 vcc, exec, s[42:43]
	s_cbranch_vccnz .LBB81_828
; %bb.823:
	s_andn2_b64 vcc, exec, s[52:53]
	s_cbranch_vccnz .LBB81_829
; %bb.824:
	s_add_i32 s76, s75, 1
	s_cmp_eq_u32 s72, 2
	s_cbranch_scc1 .LBB81_830
; %bb.825:
	s_and_b32 s75, s76, 28
	s_mov_b32 s77, 0
	v_mov_b32_e32 v2, 0
	v_mov_b32_e32 v0, 0
	s_mov_b64 s[52:53], s[34:35]
	s_waitcnt vmcnt(0)
	v_mov_b32_e32 v4, v10
.LBB81_826:                             ; =>This Inner Loop Header: Depth=1
	s_load_dwordx8 s[12:19], s[52:53], 0x4
	s_load_dwordx4 s[36:39], s[52:53], 0x24
	s_load_dwordx8 s[4:11], s[50:51], 0x0
	s_add_u32 s52, s52, 48
	s_addc_u32 s53, s53, 0
	s_waitcnt lgkmcnt(0)
	v_mul_hi_u32 v1, s13, v4
	v_add_u32_e32 v1, v4, v1
	v_lshrrev_b32_e32 v1, s14, v1
	v_mul_lo_u32 v3, v1, s12
	v_mul_hi_u32 v5, s16, v1
	v_sub_u32_e32 v3, v4, v3
	v_add_u32_e32 v4, v1, v5
	v_lshrrev_b32_e32 v4, s17, v4
	v_mul_lo_u32 v6, v4, s15
	v_mul_hi_u32 v7, s19, v4
	v_sub_u32_e32 v1, v1, v6
	v_add_u32_e32 v6, v4, v7
	v_mul_lo_u32 v5, v3, s5
	v_mul_lo_u32 v3, v3, s4
	;; [unrolled: 1-line block ×4, first 2 shown]
	v_lshrrev_b32_e32 v6, s36, v6
	v_add3_u32 v1, v3, v2, v1
	v_mul_hi_u32 v3, s38, v6
	v_mul_lo_u32 v2, v6, s18
	v_add_u32_e32 v3, v6, v3
	v_sub_u32_e32 v2, v4, v2
	v_lshrrev_b32_e32 v4, s39, v3
	s_add_i32 s77, s77, 4
	v_mul_lo_u32 v3, v4, s37
	s_add_u32 s50, s50, 32
	v_sub_u32_e32 v3, v6, v3
	s_addc_u32 s51, s51, 0
	v_add3_u32 v0, v5, v0, v7
	v_mul_lo_u32 v5, v2, s8
	v_mul_lo_u32 v2, v2, s9
	;; [unrolled: 1-line block ×4, first 2 shown]
	s_cmp_eq_u32 s75, s77
	v_add3_u32 v0, v2, v0, v3
	v_add3_u32 v2, v5, v1, v6
	s_cbranch_scc0 .LBB81_826
; %bb.827:
	v_mov_b32_e32 v1, v0
	s_branch .LBB81_831
.LBB81_828:
	s_mov_b64 s[4:5], -1
                                        ; implicit-def: $vgpr0
                                        ; implicit-def: $vgpr2
	s_branch .LBB81_835
.LBB81_829:
	v_mov_b32_e32 v0, 0
	v_mov_b32_e32 v2, 0
	s_branch .LBB81_834
.LBB81_830:
	v_mov_b32_e32 v2, 0
	s_mov_b32 s75, 0
	v_mov_b32_e32 v1, v2
                                        ; implicit-def: $vgpr0
	s_waitcnt vmcnt(0)
	v_mov_b32_e32 v4, v10
.LBB81_831:
	s_and_b32 s8, s76, 3
	s_cmp_eq_u32 s8, 0
	s_cbranch_scc1 .LBB81_834
; %bb.832:
	s_lshl_b32 s4, s75, 3
	s_add_u32 s4, s34, s4
	s_addc_u32 s5, s35, 0
	s_add_u32 s4, s4, 0xc4
	s_addc_u32 s5, s5, 0
	s_mul_i32 s6, s75, 12
	s_add_u32 s6, s34, s6
	s_addc_u32 s7, s35, 0
.LBB81_833:                             ; =>This Inner Loop Header: Depth=1
	s_load_dwordx2 s[10:11], s[6:7], 0x4
	s_load_dword s9, s[6:7], 0xc
	s_load_dwordx2 s[12:13], s[4:5], 0x0
	v_mov_b32_e32 v0, v1
	s_add_u32 s6, s6, 12
	s_waitcnt lgkmcnt(0)
	v_mul_hi_u32 v1, s11, v4
	v_add_u32_e32 v1, v4, v1
	v_lshrrev_b32_e32 v1, s9, v1
	s_addc_u32 s7, s7, 0
	v_mul_lo_u32 v3, v1, s10
	s_add_u32 s4, s4, 8
	v_sub_u32_e32 v3, v4, v3
	s_addc_u32 s5, s5, 0
	s_add_i32 s8, s8, -1
	v_mov_b32_e32 v4, v1
	v_mad_u64_u32 v[0:1], s[10:11], v3, s13, v[0:1]
	s_cmp_lg_u32 s8, 0
	v_mad_u64_u32 v[2:3], s[10:11], v3, s12, v[2:3]
	v_mov_b32_e32 v1, v0
	s_cbranch_scc1 .LBB81_833
.LBB81_834:
	s_mov_b64 s[4:5], 0
.LBB81_835:
	s_andn2_b64 vcc, exec, s[4:5]
	s_cbranch_vccnz .LBB81_838
; %bb.836:
	s_waitcnt lgkmcnt(0)
	v_mul_hi_u32 v0, s29, v10
	v_add_u32_e32 v0, v10, v0
	v_lshrrev_b32_e32 v1, s30, v0
	v_mul_lo_u32 v0, v1, s28
	v_sub_u32_e32 v2, v10, v0
	v_mul_lo_u32 v0, v2, s25
	s_andn2_b64 vcc, exec, s[48:49]
	v_mul_lo_u32 v2, v2, s24
	s_cbranch_vccnz .LBB81_838
; %bb.837:
	v_mul_hi_u32 v3, s46, v1
	v_add_u32_e32 v3, v1, v3
	v_lshrrev_b32_e32 v3, s47, v3
	v_mul_lo_u32 v3, v3, s31
	v_sub_u32_e32 v1, v1, v3
	v_mad_u64_u32 v[2:3], s[4:5], v1, s26, v[2:3]
	v_mad_u64_u32 v[0:1], s[4:5], v1, s27, v[0:1]
.LBB81_838:
	v_mov_b32_e32 v1, 0
	s_and_b32 s14, 0xffff, s74
	s_cmp_lt_i32 s14, 11
	s_waitcnt lgkmcnt(0)
	v_lshl_add_u64 v[0:1], s[22:23], 0, v[0:1]
	s_cbranch_scc1 .LBB81_845
; %bb.839:
	s_cmp_gt_i32 s14, 25
	s_mov_b64 s[6:7], 0
	s_cbranch_scc0 .LBB81_846
; %bb.840:
	s_cmp_gt_i32 s14, 28
	s_cbranch_scc0 .LBB81_847
; %bb.841:
	s_cmp_gt_i32 s14, 43
	s_cbranch_scc0 .LBB81_848
; %bb.842:
	s_cmp_gt_i32 s14, 45
	s_cbranch_scc0 .LBB81_851
; %bb.843:
	s_cmp_eq_u32 s14, 46
	s_mov_b64 s[10:11], 0
	s_cbranch_scc0 .LBB81_854
; %bb.844:
	global_load_dword v3, v[0:1], off
	s_mov_b64 s[4:5], 0
	s_mov_b64 s[8:9], -1
	s_waitcnt vmcnt(0)
	v_lshlrev_b32_e32 v3, 16, v3
	v_cvt_f64_f32_e32 v[6:7], v3
	s_branch .LBB81_855
.LBB81_845:
	s_mov_b64 s[10:11], -1
	s_mov_b64 s[8:9], 0
	s_mov_b64 s[6:7], 0
	;; [unrolled: 1-line block ×3, first 2 shown]
                                        ; implicit-def: $vgpr6_vgpr7
	s_branch .LBB81_918
.LBB81_846:
	s_mov_b64 s[10:11], -1
	s_mov_b64 s[8:9], 0
	s_mov_b64 s[4:5], s[2:3]
                                        ; implicit-def: $vgpr6_vgpr7
	s_branch .LBB81_886
.LBB81_847:
	s_mov_b64 s[10:11], -1
	s_mov_b64 s[8:9], 0
	s_mov_b64 s[4:5], s[2:3]
                                        ; implicit-def: $vgpr6_vgpr7
	s_branch .LBB81_865
.LBB81_848:
	s_mov_b64 s[10:11], -1
	s_mov_b64 s[8:9], 0
	s_mov_b64 s[4:5], s[2:3]
                                        ; implicit-def: $vgpr6_vgpr7
	s_branch .LBB81_860
.LBB81_849:
	s_andn2_saveexec_b64 s[10:11], s[10:11]
	s_cbranch_execz .LBB81_728
.LBB81_850:
	s_mov_b32 s14, 0x46000000
	v_add_f32_e64 v3, |v2|, s14
	v_and_b32_e32 v3, 0xff, v3
	v_cmp_ne_u32_e32 vcc, 0, v3
	s_andn2_b64 s[8:9], s[8:9], exec
	s_and_b64 s[14:15], vcc, exec
	s_or_b64 s[8:9], s[8:9], s[14:15]
	s_or_b64 exec, exec, s[10:11]
	v_mov_b32_e32 v6, 0
	s_and_saveexec_b64 s[10:11], s[8:9]
	s_cbranch_execnz .LBB81_729
	s_branch .LBB81_730
.LBB81_851:
	s_mov_b64 s[10:11], -1
	s_mov_b64 s[8:9], 0
	s_mov_b64 s[4:5], s[2:3]
                                        ; implicit-def: $vgpr6_vgpr7
	s_branch .LBB81_855
.LBB81_852:
	s_andn2_saveexec_b64 s[10:11], s[10:11]
	s_cbranch_execz .LBB81_741
.LBB81_853:
	s_mov_b32 s14, 0x42800000
	v_add_f32_e64 v3, |v2|, s14
	v_and_b32_e32 v3, 0xff, v3
	v_cmp_ne_u32_e32 vcc, 0, v3
	s_andn2_b64 s[8:9], s[8:9], exec
	s_and_b64 s[14:15], vcc, exec
	s_or_b64 s[8:9], s[8:9], s[14:15]
	s_or_b64 exec, exec, s[10:11]
	v_mov_b32_e32 v6, 0
	s_and_saveexec_b64 s[10:11], s[8:9]
	s_cbranch_execnz .LBB81_742
	s_branch .LBB81_743
.LBB81_854:
	s_mov_b64 s[4:5], -1
                                        ; implicit-def: $vgpr6_vgpr7
	s_mov_b64 s[8:9], 0
.LBB81_855:
	s_and_b64 vcc, exec, s[10:11]
	s_cbranch_vccz .LBB81_859
; %bb.856:
	s_cmp_eq_u32 s14, 44
	s_cbranch_scc0 .LBB81_858
; %bb.857:
	global_load_ubyte v3, v[0:1], off
	s_movk_i32 s8, 0xff
	v_bfrev_b32_e32 v6, 4
	v_mov_b32_e32 v7, 0x7ff80000
	v_bfrev_b32_e32 v8, 28
	s_mov_b64 s[4:5], 0
	s_waitcnt vmcnt(0)
	v_lshlrev_b32_e32 v4, 23, v3
	v_cvt_f64_f32_e32 v[4:5], v4
	v_cmp_ne_u32_e32 vcc, s8, v3
	s_mov_b64 s[8:9], -1
	s_nop 0
	v_cndmask_b32_e32 v4, v6, v4, vcc
	v_cndmask_b32_e32 v5, v7, v5, vcc
	v_cmp_ne_u32_e32 vcc, 0, v3
	s_nop 1
	v_cndmask_b32_e32 v7, v8, v5, vcc
	v_cndmask_b32_e32 v6, 0, v4, vcc
	s_branch .LBB81_859
.LBB81_858:
	s_mov_b64 s[4:5], -1
                                        ; implicit-def: $vgpr6_vgpr7
.LBB81_859:
	s_mov_b64 s[10:11], 0
.LBB81_860:
	s_and_b64 vcc, exec, s[10:11]
	s_cbranch_vccz .LBB81_864
; %bb.861:
	s_cmp_eq_u32 s14, 29
	s_cbranch_scc0 .LBB81_863
; %bb.862:
	global_load_dwordx2 v[4:5], v[0:1], off
	s_mov_b64 s[4:5], 0
	s_mov_b64 s[8:9], -1
	s_mov_b64 s[10:11], 0
	s_waitcnt vmcnt(0)
	v_cvt_f64_u32_e32 v[6:7], v5
	v_cvt_f64_u32_e32 v[4:5], v4
	v_ldexp_f64 v[6:7], v[6:7], 32
	v_add_f64 v[6:7], v[6:7], v[4:5]
	s_branch .LBB81_865
.LBB81_863:
	s_mov_b64 s[4:5], -1
                                        ; implicit-def: $vgpr6_vgpr7
.LBB81_864:
	s_mov_b64 s[10:11], 0
.LBB81_865:
	s_and_b64 vcc, exec, s[10:11]
	s_cbranch_vccz .LBB81_885
; %bb.866:
	s_cmp_lt_i32 s14, 27
	s_cbranch_scc1 .LBB81_869
; %bb.867:
	s_cmp_gt_i32 s14, 27
	s_cbranch_scc0 .LBB81_870
; %bb.868:
	global_load_dword v3, v[0:1], off
	s_mov_b64 s[8:9], 0
	s_waitcnt vmcnt(0)
	v_cvt_f64_u32_e32 v[6:7], v3
	s_branch .LBB81_871
.LBB81_869:
	s_mov_b64 s[8:9], -1
                                        ; implicit-def: $vgpr6_vgpr7
	s_branch .LBB81_874
.LBB81_870:
	s_mov_b64 s[8:9], -1
                                        ; implicit-def: $vgpr6_vgpr7
.LBB81_871:
	s_andn2_b64 vcc, exec, s[8:9]
	s_cbranch_vccnz .LBB81_873
; %bb.872:
	global_load_ushort v3, v[0:1], off
	s_waitcnt vmcnt(0)
	v_cvt_f64_u32_e32 v[6:7], v3
.LBB81_873:
	s_mov_b64 s[8:9], 0
.LBB81_874:
	s_andn2_b64 vcc, exec, s[8:9]
	s_cbranch_vccnz .LBB81_884
; %bb.875:
	global_load_ubyte v3, v[0:1], off
	s_movk_i32 s8, 0x7f
	s_waitcnt vmcnt(0)
	v_cmp_lt_i16_e32 vcc, s8, v3
	s_mov_b64 s[8:9], 0
	s_and_saveexec_b64 s[10:11], vcc
	s_xor_b64 s[10:11], exec, s[10:11]
	s_cbranch_execz .LBB81_879
; %bb.876:
	s_movk_i32 s8, 0x80
	v_cmp_eq_u16_e32 vcc, s8, v3
	s_mov_b64 s[8:9], -1
	s_and_saveexec_b64 s[12:13], vcc
; %bb.877:
	s_xor_b64 s[8:9], exec, -1
; %bb.878:
	s_or_b64 exec, exec, s[12:13]
	s_and_b64 s[8:9], s[8:9], exec
.LBB81_879:
	s_or_saveexec_b64 s[10:11], s[10:11]
	v_bfrev_b32_e32 v6, 4
	v_mov_b32_e32 v7, 0x7ff80000
	s_xor_b64 exec, exec, s[10:11]
; %bb.880:
	v_cmp_ne_u16_e32 vcc, 0, v3
	s_andn2_b64 s[8:9], s[8:9], exec
	s_and_b64 s[12:13], vcc, exec
	v_mov_b64_e32 v[6:7], 0
	s_or_b64 s[8:9], s[8:9], s[12:13]
; %bb.881:
	s_or_b64 exec, exec, s[10:11]
	s_and_saveexec_b64 s[10:11], s[8:9]
	s_cbranch_execz .LBB81_883
; %bb.882:
	v_lshlrev_b32_e32 v4, 24, v3
	v_and_b32_e32 v3, 0xffff, v3
	v_and_b32_e32 v5, 7, v3
	v_ffbh_u32_e32 v7, v5
	v_min_u32_e32 v7, 32, v7
	v_subrev_u32_e32 v8, 28, v7
	v_bfe_u32 v6, v3, 3, 4
	v_lshlrev_b32_e32 v3, v8, v3
	v_sub_u32_e32 v7, 29, v7
	v_and_b32_e32 v3, 7, v3
	v_cmp_eq_u32_e32 vcc, 0, v6
	v_and_b32_e32 v4, 0x80000000, v4
	s_nop 0
	v_cndmask_b32_e32 v6, v6, v7, vcc
	v_cndmask_b32_e32 v3, v5, v3, vcc
	v_mov_b32_e32 v5, 0x3b800000
	v_lshlrev_b32_e32 v3, 20, v3
	v_lshl_add_u32 v5, v6, 23, v5
	v_or3_b32 v3, v4, v5, v3
	v_cvt_f64_f32_e32 v[6:7], v3
.LBB81_883:
	s_or_b64 exec, exec, s[10:11]
.LBB81_884:
	s_mov_b64 s[8:9], -1
.LBB81_885:
	s_mov_b64 s[10:11], 0
.LBB81_886:
	s_and_b64 vcc, exec, s[10:11]
	s_cbranch_vccz .LBB81_917
; %bb.887:
	s_cmp_gt_i32 s14, 22
	s_cbranch_scc0 .LBB81_899
; %bb.888:
	s_cmp_lt_i32 s14, 24
	s_cbranch_scc1 .LBB81_900
; %bb.889:
	s_cmp_gt_i32 s14, 24
	s_cbranch_scc0 .LBB81_901
; %bb.890:
	global_load_ubyte v3, v[0:1], off
	s_movk_i32 s6, 0x7f
	s_waitcnt vmcnt(0)
	v_cmp_lt_i16_e32 vcc, s6, v3
	s_mov_b64 s[6:7], 0
	s_and_saveexec_b64 s[8:9], vcc
	s_xor_b64 s[8:9], exec, s[8:9]
	s_cbranch_execz .LBB81_894
; %bb.891:
	s_movk_i32 s6, 0x80
	v_cmp_eq_u16_e32 vcc, s6, v3
	s_mov_b64 s[6:7], -1
	s_and_saveexec_b64 s[10:11], vcc
; %bb.892:
	s_xor_b64 s[6:7], exec, -1
; %bb.893:
	s_or_b64 exec, exec, s[10:11]
	s_and_b64 s[6:7], s[6:7], exec
.LBB81_894:
	s_or_saveexec_b64 s[8:9], s[8:9]
	v_bfrev_b32_e32 v6, 4
	v_mov_b32_e32 v7, 0x7ff80000
	s_xor_b64 exec, exec, s[8:9]
; %bb.895:
	v_cmp_ne_u16_e32 vcc, 0, v3
	s_andn2_b64 s[6:7], s[6:7], exec
	s_and_b64 s[10:11], vcc, exec
	v_mov_b64_e32 v[6:7], 0
	s_or_b64 s[6:7], s[6:7], s[10:11]
; %bb.896:
	s_or_b64 exec, exec, s[8:9]
	s_and_saveexec_b64 s[8:9], s[6:7]
	s_cbranch_execz .LBB81_898
; %bb.897:
	v_lshlrev_b32_e32 v4, 24, v3
	v_and_b32_e32 v3, 0xffff, v3
	v_and_b32_e32 v5, 3, v3
	v_ffbh_u32_e32 v7, v5
	v_min_u32_e32 v7, 32, v7
	v_subrev_u32_e32 v8, 29, v7
	v_bfe_u32 v6, v3, 2, 5
	v_lshlrev_b32_e32 v3, v8, v3
	v_sub_u32_e32 v7, 30, v7
	v_and_b32_e32 v3, 3, v3
	v_cmp_eq_u32_e32 vcc, 0, v6
	v_and_b32_e32 v4, 0x80000000, v4
	s_nop 0
	v_cndmask_b32_e32 v6, v6, v7, vcc
	v_cndmask_b32_e32 v3, v5, v3, vcc
	v_mov_b32_e32 v5, 0x37800000
	v_lshlrev_b32_e32 v3, 21, v3
	v_lshl_add_u32 v5, v6, 23, v5
	v_or3_b32 v3, v4, v5, v3
	v_cvt_f64_f32_e32 v[6:7], v3
.LBB81_898:
	s_or_b64 exec, exec, s[8:9]
	s_mov_b64 s[6:7], 0
	s_branch .LBB81_902
.LBB81_899:
	s_mov_b64 s[6:7], -1
                                        ; implicit-def: $vgpr6_vgpr7
	s_branch .LBB81_908
.LBB81_900:
	s_mov_b64 s[6:7], -1
                                        ; implicit-def: $vgpr6_vgpr7
	s_branch .LBB81_905
.LBB81_901:
	s_mov_b64 s[6:7], -1
                                        ; implicit-def: $vgpr6_vgpr7
.LBB81_902:
	s_and_b64 vcc, exec, s[6:7]
	s_cbranch_vccz .LBB81_904
; %bb.903:
	global_load_ubyte v3, v[0:1], off
	s_mov_b32 s6, 0x7f800000
	s_waitcnt vmcnt(0)
	v_lshlrev_b32_e32 v3, 24, v3
	v_and_b32_e32 v4, 0x7f000000, v3
	v_ffbh_u32_e32 v5, v4
	v_min_u32_e32 v5, 32, v5
	v_sub_u32_e64 v5, v5, 4 clamp
	v_lshlrev_b32_e32 v7, v5, v4
	v_lshlrev_b32_e32 v5, 23, v5
	v_lshrrev_b32_e32 v7, 4, v7
	v_add_u32_e32 v6, 0x1000000, v4
	v_sub_u32_e32 v5, v7, v5
	v_ashrrev_i32_e32 v6, 8, v6
	v_add_u32_e32 v5, 0x3c000000, v5
	v_and_or_b32 v5, v6, s6, v5
	v_cmp_ne_u32_e32 vcc, 0, v4
	s_brev_b32 s6, 1
	s_nop 0
	v_cndmask_b32_e32 v4, 0, v5, vcc
	v_and_or_b32 v3, v3, s6, v4
	v_cvt_f64_f32_e32 v[6:7], v3
.LBB81_904:
	s_mov_b64 s[6:7], 0
.LBB81_905:
	s_andn2_b64 vcc, exec, s[6:7]
	s_cbranch_vccnz .LBB81_907
; %bb.906:
	global_load_ubyte v3, v[0:1], off
	s_movk_i32 s6, 0x7f00
	s_brev_b32 s7, 16
	s_waitcnt vmcnt(0)
	v_lshlrev_b16_e32 v4, 8, v3
	v_lshlrev_b32_e32 v3, 25, v3
	v_lshrrev_b32_e32 v5, 4, v3
	v_and_or_b32 v6, v4, s6, 0.5
	v_or_b32_e32 v5, 0x70000000, v5
	v_add_f32_e32 v6, -0.5, v6
	v_mul_f32_e32 v5, 0x7800000, v5
	v_cmp_gt_u32_e32 vcc, s7, v3
	v_bfe_i32 v4, v4, 0, 16
	s_brev_b32 s6, 1
	v_cndmask_b32_e32 v3, v5, v6, vcc
	v_and_or_b32 v3, v4, s6, v3
	v_cvt_f64_f32_e32 v[6:7], v3
.LBB81_907:
	s_mov_b64 s[6:7], 0
	s_mov_b64 s[8:9], -1
.LBB81_908:
	s_andn2_b64 vcc, exec, s[6:7]
	s_mov_b64 s[6:7], 0
	s_cbranch_vccnz .LBB81_917
; %bb.909:
	s_cmp_gt_i32 s14, 14
	s_cbranch_scc0 .LBB81_912
; %bb.910:
	s_cmp_eq_u32 s14, 15
	s_cbranch_scc0 .LBB81_913
; %bb.911:
	global_load_ushort v3, v[0:1], off
	s_mov_b64 s[4:5], 0
	s_mov_b64 s[8:9], -1
	s_waitcnt vmcnt(0)
	v_lshlrev_b32_e32 v3, 16, v3
	v_cvt_f64_f32_e32 v[6:7], v3
	s_branch .LBB81_914
.LBB81_912:
	s_mov_b64 s[10:11], -1
                                        ; implicit-def: $vgpr6_vgpr7
	s_branch .LBB81_915
.LBB81_913:
	s_mov_b64 s[4:5], -1
                                        ; implicit-def: $vgpr6_vgpr7
.LBB81_914:
	s_mov_b64 s[10:11], 0
.LBB81_915:
	s_and_b64 vcc, exec, s[10:11]
	s_cbranch_vccz .LBB81_917
; %bb.916:
	s_cmp_lg_u32 s14, 11
	s_cselect_b64 s[10:11], -1, 0
	s_andn2_b64 s[4:5], s[4:5], exec
	s_and_b64 s[10:11], s[10:11], exec
	s_mov_b64 s[6:7], -1
	s_or_b64 s[4:5], s[4:5], s[10:11]
.LBB81_917:
	s_mov_b64 s[10:11], 0
.LBB81_918:
	s_andn2_b64 s[12:13], s[2:3], exec
	s_and_b64 s[4:5], s[4:5], exec
	s_and_b64 s[8:9], s[8:9], exec
	s_and_b64 s[10:11], s[10:11], exec
	s_and_b64 s[6:7], s[6:7], exec
	s_or_b64 s[12:13], s[12:13], s[4:5]
.LBB81_919:
	s_or_b64 exec, exec, s[70:71]
	s_and_b64 s[4:5], s[6:7], exec
	s_andn2_b64 s[2:3], s[2:3], exec
	s_and_b64 s[6:7], s[12:13], exec
	s_and_b64 s[8:9], s[8:9], exec
	;; [unrolled: 1-line block ×3, first 2 shown]
	s_or_b64 s[2:3], s[2:3], s[6:7]
.LBB81_920:
	s_or_b64 exec, exec, s[66:67]
	s_andn2_b64 s[6:7], s[62:63], exec
	s_and_b64 s[12:13], s[68:69], exec
	s_or_b64 s[62:63], s[6:7], s[12:13]
	s_and_b64 s[6:7], s[10:11], exec
	s_andn2_b64 s[10:11], s[60:61], exec
	s_and_b64 s[2:3], s[2:3], exec
	s_and_b64 s[8:9], s[8:9], exec
	;; [unrolled: 1-line block ×3, first 2 shown]
	s_or_b64 s[60:61], s[10:11], s[2:3]
.LBB81_921:
	s_or_b64 exec, exec, s[64:65]
	s_andn2_b64 s[2:3], s[54:55], exec
	s_and_b64 s[10:11], s[62:63], exec
	s_or_b64 s[54:55], s[2:3], s[10:11]
	s_and_b64 s[2:3], s[8:9], exec
	s_and_b64 s[8:9], s[6:7], exec
	;; [unrolled: 1-line block ×3, first 2 shown]
	s_andn2_b64 s[4:5], s[56:57], exec
	s_and_b64 s[6:7], s[60:61], exec
	s_or_b64 s[56:57], s[4:5], s[6:7]
	s_or_b64 exec, exec, s[58:59]
	s_mov_b64 s[4:5], 0
	s_and_saveexec_b64 s[6:7], s[56:57]
	s_cbranch_execz .LBB81_276
.LBB81_922:
	s_mov_b64 s[4:5], exec
	s_andn2_b64 s[62:63], s[62:63], exec
	s_trap 2
	s_or_b64 exec, exec, s[6:7]
	s_and_saveexec_b64 s[6:7], s[62:63]
	s_xor_b64 s[6:7], exec, s[6:7]
	s_cbranch_execnz .LBB81_277
.LBB81_923:
	s_or_b64 exec, exec, s[6:7]
	s_and_saveexec_b64 s[6:7], s[8:9]
	s_cbranch_execz .LBB81_969
.LBB81_924:
	s_sext_i32_i16 s8, s74
	s_cmp_lt_i32 s8, 5
	s_cbranch_scc1 .LBB81_929
; %bb.925:
	s_cmp_lt_i32 s8, 8
	s_cbranch_scc1 .LBB81_930
; %bb.926:
	;; [unrolled: 3-line block ×3, first 2 shown]
	s_cmp_gt_i32 s8, 9
	s_cbranch_scc0 .LBB81_932
; %bb.928:
	global_load_dwordx2 v[6:7], v[0:1], off
	s_mov_b64 s[8:9], 0
	s_branch .LBB81_933
.LBB81_929:
                                        ; implicit-def: $vgpr6_vgpr7
	s_branch .LBB81_950
.LBB81_930:
                                        ; implicit-def: $vgpr6_vgpr7
	s_branch .LBB81_939
.LBB81_931:
	s_mov_b64 s[8:9], -1
                                        ; implicit-def: $vgpr6_vgpr7
	s_branch .LBB81_936
.LBB81_932:
	s_mov_b64 s[8:9], -1
                                        ; implicit-def: $vgpr6_vgpr7
.LBB81_933:
	s_andn2_b64 vcc, exec, s[8:9]
	s_cbranch_vccnz .LBB81_935
; %bb.934:
	global_load_dword v3, v[0:1], off
	s_waitcnt vmcnt(0)
	v_cvt_f64_f32_e32 v[6:7], v3
.LBB81_935:
	s_mov_b64 s[8:9], 0
.LBB81_936:
	s_andn2_b64 vcc, exec, s[8:9]
	s_cbranch_vccnz .LBB81_938
; %bb.937:
	global_load_dword v3, v[0:1], off
	s_waitcnt vmcnt(0)
	v_cvt_f32_f16_e32 v3, v3
	v_cvt_f64_f32_e32 v[6:7], v3
.LBB81_938:
	s_cbranch_execnz .LBB81_949
.LBB81_939:
	s_sext_i32_i16 s8, s74
	s_cmp_lt_i32 s8, 6
	s_cbranch_scc1 .LBB81_942
; %bb.940:
	s_cmp_gt_i32 s8, 6
	s_cbranch_scc0 .LBB81_943
; %bb.941:
	global_load_dwordx2 v[6:7], v[0:1], off
	s_mov_b64 s[8:9], 0
	s_branch .LBB81_944
.LBB81_942:
	s_mov_b64 s[8:9], -1
                                        ; implicit-def: $vgpr6_vgpr7
	s_branch .LBB81_947
.LBB81_943:
	s_mov_b64 s[8:9], -1
                                        ; implicit-def: $vgpr6_vgpr7
.LBB81_944:
	s_andn2_b64 vcc, exec, s[8:9]
	s_cbranch_vccnz .LBB81_946
; %bb.945:
	global_load_dword v3, v[0:1], off
	s_waitcnt vmcnt(0)
	v_cvt_f64_f32_e32 v[6:7], v3
.LBB81_946:
	s_mov_b64 s[8:9], 0
.LBB81_947:
	s_andn2_b64 vcc, exec, s[8:9]
	s_cbranch_vccnz .LBB81_949
; %bb.948:
	global_load_ushort v3, v[0:1], off
	s_waitcnt vmcnt(0)
	v_cvt_f32_f16_e32 v3, v3
	v_cvt_f64_f32_e32 v[6:7], v3
.LBB81_949:
	s_cbranch_execnz .LBB81_968
.LBB81_950:
	s_sext_i32_i16 s8, s74
	s_cmp_lt_i32 s8, 2
	s_cbranch_scc1 .LBB81_954
; %bb.951:
	s_cmp_lt_i32 s8, 3
	s_cbranch_scc1 .LBB81_955
; %bb.952:
	s_cmp_gt_i32 s8, 3
	s_cbranch_scc0 .LBB81_956
; %bb.953:
	global_load_dwordx2 v[4:5], v[0:1], off
	s_mov_b64 s[8:9], 0
	s_waitcnt vmcnt(0)
	v_cvt_f64_i32_e32 v[6:7], v5
	v_cvt_f64_u32_e32 v[4:5], v4
	v_ldexp_f64 v[6:7], v[6:7], 32
	v_add_f64 v[6:7], v[6:7], v[4:5]
	s_branch .LBB81_957
.LBB81_954:
                                        ; implicit-def: $vgpr6_vgpr7
	s_branch .LBB81_963
.LBB81_955:
	s_mov_b64 s[8:9], -1
                                        ; implicit-def: $vgpr6_vgpr7
	s_branch .LBB81_960
.LBB81_956:
	s_mov_b64 s[8:9], -1
                                        ; implicit-def: $vgpr6_vgpr7
.LBB81_957:
	s_andn2_b64 vcc, exec, s[8:9]
	s_cbranch_vccnz .LBB81_959
; %bb.958:
	global_load_dword v3, v[0:1], off
	s_waitcnt vmcnt(0)
	v_cvt_f64_i32_e32 v[6:7], v3
.LBB81_959:
	s_mov_b64 s[8:9], 0
.LBB81_960:
	s_andn2_b64 vcc, exec, s[8:9]
	s_cbranch_vccnz .LBB81_962
; %bb.961:
	global_load_sshort v3, v[0:1], off
	s_waitcnt vmcnt(0)
	v_cvt_f64_i32_e32 v[6:7], v3
.LBB81_962:
	s_cbranch_execnz .LBB81_968
.LBB81_963:
	s_sext_i32_i16 s8, s74
	s_cmp_gt_i32 s8, 0
	s_cbranch_scc0 .LBB81_965
; %bb.964:
	global_load_sbyte v3, v[0:1], off
	s_mov_b64 s[8:9], 0
	s_waitcnt vmcnt(0)
	v_cvt_f64_i32_e32 v[6:7], v3
	s_branch .LBB81_966
.LBB81_965:
	s_mov_b64 s[8:9], -1
                                        ; implicit-def: $vgpr6_vgpr7
.LBB81_966:
	s_andn2_b64 vcc, exec, s[8:9]
	s_cbranch_vccnz .LBB81_968
; %bb.967:
	global_load_ubyte v0, v[0:1], off
	s_waitcnt vmcnt(0)
	v_cvt_f64_u32_e32 v[6:7], v0
.LBB81_968:
	s_or_b64 s[2:3], s[2:3], exec
.LBB81_969:
	s_or_b64 exec, exec, s[6:7]
	s_mov_b64 s[10:11], 0
	s_mov_b64 s[8:9], 0
                                        ; implicit-def: $sgpr16
                                        ; implicit-def: $vgpr4_vgpr5
                                        ; implicit-def: $vgpr0_vgpr1
	s_and_saveexec_b64 s[6:7], s[2:3]
	s_cbranch_execz .LBB81_1044
; %bb.970:
	s_mov_b32 s2, 0x652b82fe
	s_mov_b32 s3, 0x3ff71547
	s_waitcnt vmcnt(0)
	v_mul_f64 v[0:1], v[6:7], s[2:3]
	s_mov_b32 s2, 0xfefa39ef
	v_rndne_f64_e32 v[0:1], v[0:1]
	s_mov_b32 s3, 0xbfe62e42
	v_fma_f64 v[4:5], s[2:3], v[0:1], v[6:7]
	s_mov_b32 s2, 0x3b39803f
	s_mov_b32 s3, 0xbc7abc9e
	v_fmac_f64_e32 v[4:5], s[2:3], v[0:1]
	s_mov_b32 s2, 0x6a5dcb37
	v_mov_b32_e32 v8, 0xfca7ab0c
	v_mov_b32_e32 v9, 0x3e928af3
	s_mov_b32 s3, 0x3e5ade15
	v_fmac_f64_e32 v[8:9], s[2:3], v[4:5]
	v_mov_b32_e32 v10, 0x623fde64
	v_mov_b32_e32 v11, 0x3ec71dee
	v_fmac_f64_e32 v[10:11], v[4:5], v[8:9]
	v_mov_b32_e32 v8, 0x7c89e6b0
	v_mov_b32_e32 v9, 0x3efa0199
	;; [unrolled: 3-line block ×8, first 2 shown]
	s_mov_b32 s2, 0
	v_fmac_f64_e32 v[8:9], v[4:5], v[10:11]
	s_mov_b32 s3, 0x40900000
	v_fma_f64 v[8:9], v[4:5], v[8:9], 1.0
	v_cmp_nlt_f64_e32 vcc, s[2:3], v[6:7]
	s_mov_b32 s2, 0
	v_fma_f64 v[4:5], v[4:5], v[8:9], 1.0
	v_cvt_i32_f64_e32 v0, v[0:1]
	s_mov_b32 s3, 0xc090cc00
	v_ldexp_f64 v[0:1], v[4:5], v0
	v_mov_b32_e32 v3, 0x7ff00000
	v_cmp_ngt_f64_e64 s[2:3], s[2:3], v[6:7]
	v_cndmask_b32_e32 v1, v3, v1, vcc
	s_and_b64 vcc, s[2:3], vcc
	v_mov_b32_e32 v3, 0
	s_and_b32 s16, s73, 0xff
	v_cndmask_b32_e64 v1, 0, v1, s[2:3]
	v_cndmask_b32_e32 v0, 0, v0, vcc
	s_cmp_lt_i32 s16, 11
	s_waitcnt lgkmcnt(0)
	v_lshl_add_u64 v[4:5], s[20:21], 0, v[2:3]
	s_cbranch_scc1 .LBB81_1047
; %bb.971:
	s_and_b32 s17, 0xffff, s16
	s_mov_b64 s[10:11], -1
	s_cmp_gt_i32 s17, 25
	s_mov_b64 s[2:3], s[54:55]
	s_cbranch_scc0 .LBB81_1004
; %bb.972:
	s_mov_b64 s[8:9], -1
	s_cmp_gt_i32 s17, 28
	s_mov_b64 s[2:3], s[54:55]
	s_cbranch_scc0 .LBB81_988
; %bb.973:
	s_cmp_gt_i32 s17, 43
	s_mov_b64 s[2:3], s[54:55]
	s_cbranch_scc0 .LBB81_984
; %bb.974:
	;; [unrolled: 4-line block ×3, first 2 shown]
	s_cmp_eq_u32 s17, 46
	s_mov_b64 s[2:3], -1
	s_cbranch_scc0 .LBB81_977
; %bb.976:
	v_cvt_f32_f64_e32 v2, v[0:1]
	v_bfe_u32 v3, v2, 16, 1
	s_movk_i32 s2, 0x7fff
	v_add3_u32 v3, v2, v3, s2
	v_cmp_o_f32_e32 vcc, v2, v2
	v_mov_b32_e32 v2, 0x7fc0
	s_mov_b64 s[2:3], 0
	v_cndmask_b32_sdwa v2, v2, v3, vcc dst_sel:DWORD dst_unused:UNUSED_PAD src0_sel:DWORD src1_sel:WORD_1
	global_store_dword v[4:5], v2, off
.LBB81_977:
	s_mov_b64 s[8:9], 0
.LBB81_978:
	s_and_b64 vcc, exec, s[8:9]
	s_cbranch_vccz .LBB81_983
; %bb.979:
	s_cmp_eq_u32 s17, 44
	s_mov_b64 s[2:3], -1
	s_cbranch_scc0 .LBB81_983
; %bb.980:
	v_cvt_f32_f64_e32 v2, v[0:1]
	v_bfe_u32 v3, v2, 23, 8
	s_movk_i32 s2, 0xff
	v_cmp_ne_u32_e32 vcc, s2, v3
	v_mov_b32_e32 v6, 0xff
	s_and_saveexec_b64 s[8:9], vcc
; %bb.981:
	s_mov_b32 s2, 0x3fffff
	v_lshrrev_b32_e32 v6, 23, v2
	v_and_b32_e32 v7, 0x400000, v2
	v_and_or_b32 v2, v2, s2, v3
	v_cmp_ne_u32_e32 vcc, 0, v7
	v_cmp_ne_u32_e64 s[2:3], 0, v2
	s_and_b64 s[2:3], vcc, s[2:3]
	s_nop 0
	v_cndmask_b32_e64 v2, 0, 1, s[2:3]
	v_add_u32_e32 v6, v6, v2
; %bb.982:
	s_or_b64 exec, exec, s[8:9]
	s_mov_b64 s[2:3], 0
	global_store_byte v[4:5], v6, off
.LBB81_983:
	s_mov_b64 s[8:9], 0
.LBB81_984:
	s_and_b64 vcc, exec, s[8:9]
	s_cbranch_vccz .LBB81_987
; %bb.985:
	s_cmp_eq_u32 s17, 29
	s_mov_b64 s[2:3], -1
	s_cbranch_scc0 .LBB81_987
; %bb.986:
	v_trunc_f64_e32 v[2:3], v[0:1]
	s_movk_i32 s2, 0xffe0
	v_ldexp_f64 v[6:7], v[2:3], s2
	v_floor_f64_e32 v[6:7], v[6:7]
	v_fmac_f64_e32 v[2:3], 0xc1f00000, v[6:7]
	v_cvt_u32_f64_e32 v9, v[6:7]
	v_cvt_u32_f64_e32 v8, v[2:3]
	global_store_dwordx2 v[4:5], v[8:9], off
	s_mov_b64 s[2:3], 0
.LBB81_987:
	s_mov_b64 s[8:9], 0
.LBB81_988:
	s_and_b64 vcc, exec, s[8:9]
	s_cbranch_vccz .LBB81_1003
; %bb.989:
	s_cmp_lt_i32 s17, 27
	s_mov_b64 s[8:9], -1
	s_cbranch_scc1 .LBB81_995
; %bb.990:
	s_cmp_gt_i32 s17, 27
	s_cbranch_scc0 .LBB81_992
; %bb.991:
	v_cvt_u32_f64_e32 v2, v[0:1]
	s_mov_b64 s[8:9], 0
	global_store_dword v[4:5], v2, off
.LBB81_992:
	s_andn2_b64 vcc, exec, s[8:9]
	s_cbranch_vccnz .LBB81_994
; %bb.993:
	v_cvt_u32_f64_e32 v2, v[0:1]
	global_store_short v[4:5], v2, off
.LBB81_994:
	s_mov_b64 s[8:9], 0
.LBB81_995:
	s_andn2_b64 vcc, exec, s[8:9]
	s_cbranch_vccnz .LBB81_1003
; %bb.996:
	v_cvt_f32_f64_e32 v2, v[0:1]
	v_and_b32_e32 v3, 0x7fffffff, v2
	s_mov_b32 s8, 0x43800000
	v_cmp_gt_u32_e32 vcc, s8, v3
	v_mov_b32_e32 v6, 0x80
	s_and_saveexec_b64 s[8:9], vcc
	s_cbranch_execz .LBB81_1002
; %bb.997:
	s_mov_b32 s10, 0x3bffffff
	v_cmp_lt_u32_e32 vcc, s10, v3
	s_mov_b64 s[10:11], 0
                                        ; implicit-def: $vgpr3
	s_and_saveexec_b64 s[12:13], vcc
	s_xor_b64 s[12:13], exec, s[12:13]
	s_cbranch_execz .LBB81_1160
; %bb.998:
	v_bfe_u32 v3, v2, 20, 1
	s_mov_b32 s14, 0x487ffff
	v_add3_u32 v3, v2, v3, s14
	s_mov_b64 s[10:11], exec
	v_lshrrev_b32_e32 v3, 20, v3
	s_andn2_saveexec_b64 s[12:13], s[12:13]
	s_cbranch_execnz .LBB81_1161
.LBB81_999:
	s_or_b64 exec, exec, s[12:13]
	v_mov_b32_e32 v6, 0
	s_and_saveexec_b64 s[12:13], s[10:11]
.LBB81_1000:
	v_lshrrev_b32_e32 v2, 24, v2
	s_movk_i32 s10, 0x80
	v_and_or_b32 v6, v2, s10, v3
.LBB81_1001:
	s_or_b64 exec, exec, s[12:13]
.LBB81_1002:
	s_or_b64 exec, exec, s[8:9]
	global_store_byte v[4:5], v6, off
.LBB81_1003:
	s_mov_b64 s[10:11], 0
.LBB81_1004:
	s_mov_b64 s[8:9], 0
	s_and_b64 vcc, exec, s[10:11]
	s_cbranch_vccz .LBB81_1048
; %bb.1005:
	s_cmp_gt_i32 s17, 22
	s_mov_b64 s[10:11], -1
	s_cbranch_scc0 .LBB81_1037
; %bb.1006:
	s_cmp_lt_i32 s17, 24
	s_cbranch_scc1 .LBB81_1026
; %bb.1007:
	s_cmp_gt_i32 s17, 24
	s_cbranch_scc0 .LBB81_1015
; %bb.1008:
	v_cvt_f32_f64_e32 v2, v[0:1]
	v_and_b32_e32 v3, 0x7fffffff, v2
	s_mov_b32 s10, 0x47800000
	v_cmp_gt_u32_e32 vcc, s10, v3
	v_mov_b32_e32 v6, 0x80
	s_and_saveexec_b64 s[10:11], vcc
	s_cbranch_execz .LBB81_1014
; %bb.1009:
	s_mov_b32 s12, 0x37ffffff
	v_cmp_lt_u32_e32 vcc, s12, v3
	s_mov_b64 s[12:13], 0
                                        ; implicit-def: $vgpr3
	s_and_saveexec_b64 s[14:15], vcc
	s_xor_b64 s[14:15], exec, s[14:15]
	s_cbranch_execz .LBB81_1285
; %bb.1010:
	v_bfe_u32 v3, v2, 21, 1
	s_mov_b32 s18, 0x88fffff
	v_add3_u32 v3, v2, v3, s18
	s_mov_b64 s[12:13], exec
	v_lshrrev_b32_e32 v3, 21, v3
	s_andn2_saveexec_b64 s[14:15], s[14:15]
	s_cbranch_execnz .LBB81_1286
.LBB81_1011:
	s_or_b64 exec, exec, s[14:15]
	v_mov_b32_e32 v6, 0
	s_and_saveexec_b64 s[14:15], s[12:13]
.LBB81_1012:
	v_lshrrev_b32_e32 v2, 24, v2
	s_movk_i32 s12, 0x80
	v_and_or_b32 v6, v2, s12, v3
.LBB81_1013:
	s_or_b64 exec, exec, s[14:15]
.LBB81_1014:
	s_or_b64 exec, exec, s[10:11]
	s_mov_b64 s[10:11], 0
	global_store_byte v[4:5], v6, off
.LBB81_1015:
	s_and_b64 vcc, exec, s[10:11]
	s_cbranch_vccz .LBB81_1025
; %bb.1016:
	v_cvt_f32_f64_e32 v2, v[0:1]
	v_and_b32_e32 v6, 0x7fffffff, v2
	s_mov_b32 s10, 0x43f00000
	v_cmp_gt_u32_e32 vcc, s10, v6
                                        ; implicit-def: $vgpr3
	s_and_saveexec_b64 s[10:11], vcc
	s_xor_b64 s[10:11], exec, s[10:11]
	s_cbranch_execz .LBB81_1022
; %bb.1017:
	s_mov_b32 s12, 0x3c7fffff
	v_cmp_lt_u32_e32 vcc, s12, v6
                                        ; implicit-def: $vgpr3
	s_and_saveexec_b64 s[12:13], vcc
	s_xor_b64 s[12:13], exec, s[12:13]
; %bb.1018:
	v_bfe_u32 v3, v2, 20, 1
	s_mov_b32 s14, 0x407ffff
	v_add3_u32 v3, v2, v3, s14
	v_lshrrev_b32_e32 v6, 20, v3
	v_and_b32_e32 v3, 0xff00000, v3
	s_mov_b32 s14, 0x7f00000
	v_mov_b32_e32 v7, 0x7e
	v_cmp_ne_u32_e32 vcc, s14, v3
	s_nop 1
	v_cndmask_b32_e32 v3, v7, v6, vcc
; %bb.1019:
	s_andn2_saveexec_b64 s[12:13], s[12:13]
; %bb.1020:
	s_mov_b32 s14, 0x46800000
	v_add_f32_e64 v3, |v2|, s14
; %bb.1021:
	s_or_b64 exec, exec, s[12:13]
                                        ; implicit-def: $vgpr6
.LBB81_1022:
	s_andn2_saveexec_b64 s[10:11], s[10:11]
; %bb.1023:
	s_mov_b32 s12, 0x7f800000
	v_mov_b32_e32 v3, 0x7e
	v_mov_b32_e32 v7, 0x7f
	v_cmp_lt_u32_e32 vcc, s12, v6
	s_nop 1
	v_cndmask_b32_e32 v3, v3, v7, vcc
; %bb.1024:
	s_or_b64 exec, exec, s[10:11]
	v_lshrrev_b32_e32 v2, 24, v2
	s_movk_i32 s10, 0x80
	v_and_or_b32 v2, v2, s10, v3
	global_store_byte v[4:5], v2, off
.LBB81_1025:
	s_mov_b64 s[10:11], 0
.LBB81_1026:
	s_andn2_b64 vcc, exec, s[10:11]
	s_cbranch_vccnz .LBB81_1036
; %bb.1027:
	v_cvt_f32_f64_e32 v2, v[0:1]
	v_and_b32_e32 v6, 0x7fffffff, v2
	s_mov_b32 s10, 0x47800000
	v_cmp_gt_u32_e32 vcc, s10, v6
                                        ; implicit-def: $vgpr3
	s_and_saveexec_b64 s[10:11], vcc
	s_xor_b64 s[10:11], exec, s[10:11]
	s_cbranch_execz .LBB81_1033
; %bb.1028:
	s_mov_b32 s12, 0x387fffff
	v_cmp_lt_u32_e32 vcc, s12, v6
                                        ; implicit-def: $vgpr3
	s_and_saveexec_b64 s[12:13], vcc
	s_xor_b64 s[12:13], exec, s[12:13]
; %bb.1029:
	v_bfe_u32 v3, v2, 21, 1
	s_mov_b32 s14, 0x80fffff
	v_add3_u32 v3, v2, v3, s14
	v_lshrrev_b32_e32 v3, 21, v3
; %bb.1030:
	s_andn2_saveexec_b64 s[12:13], s[12:13]
; %bb.1031:
	s_mov_b32 s14, 0x43000000
	v_add_f32_e64 v3, |v2|, s14
; %bb.1032:
	s_or_b64 exec, exec, s[12:13]
                                        ; implicit-def: $vgpr6
.LBB81_1033:
	s_andn2_saveexec_b64 s[10:11], s[10:11]
; %bb.1034:
	s_mov_b32 s12, 0x7f800000
	v_mov_b32_e32 v3, 0x7c
	v_mov_b32_e32 v7, 0x7f
	v_cmp_lt_u32_e32 vcc, s12, v6
	s_nop 1
	v_cndmask_b32_e32 v3, v3, v7, vcc
; %bb.1035:
	s_or_b64 exec, exec, s[10:11]
	v_lshrrev_b32_e32 v2, 24, v2
	s_movk_i32 s10, 0x80
	v_and_or_b32 v2, v2, s10, v3
	global_store_byte v[4:5], v2, off
.LBB81_1036:
	s_mov_b64 s[10:11], 0
.LBB81_1037:
	s_andn2_b64 vcc, exec, s[10:11]
	s_mov_b64 s[10:11], 0
	s_cbranch_vccnz .LBB81_1049
; %bb.1038:
	s_cmp_gt_i32 s17, 14
	s_mov_b64 s[12:13], -1
	s_cbranch_scc0 .LBB81_1042
; %bb.1039:
	s_cmp_eq_u32 s17, 15
	s_mov_b64 s[2:3], -1
	s_cbranch_scc0 .LBB81_1041
; %bb.1040:
	v_cvt_f32_f64_e32 v2, v[0:1]
	v_bfe_u32 v3, v2, 16, 1
	s_movk_i32 s2, 0x7fff
	v_add3_u32 v3, v2, v3, s2
	v_cmp_o_f32_e32 vcc, v2, v2
	v_mov_b32_e32 v2, 0x7fc0
	s_mov_b64 s[2:3], 0
	v_cndmask_b32_sdwa v2, v2, v3, vcc dst_sel:DWORD dst_unused:UNUSED_PAD src0_sel:DWORD src1_sel:WORD_1
	global_store_short v[4:5], v2, off
.LBB81_1041:
	s_mov_b64 s[12:13], 0
.LBB81_1042:
	s_and_b64 vcc, exec, s[12:13]
	s_cbranch_vccz .LBB81_1049
; %bb.1043:
	s_cmp_lg_u32 s17, 11
	s_cselect_b64 s[12:13], -1, 0
	s_andn2_b64 s[2:3], s[2:3], exec
	s_and_b64 s[12:13], s[12:13], exec
	s_mov_b64 s[10:11], -1
	s_or_b64 s[2:3], s[2:3], s[12:13]
	s_branch .LBB81_1049
.LBB81_1044:
	s_or_b64 exec, exec, s[6:7]
	s_and_saveexec_b64 s[2:3], s[54:55]
	s_cbranch_execnz .LBB81_1050
.LBB81_1045:
	s_or_b64 exec, exec, s[2:3]
	s_and_saveexec_b64 s[2:3], s[10:11]
	s_xor_b64 s[2:3], exec, s[2:3]
	s_cbranch_execz .LBB81_1051
.LBB81_1046:
	v_cmp_neq_f64_e32 vcc, 0, v[0:1]
	s_nop 1
	v_cndmask_b32_e64 v2, 0, 1, vcc
	s_waitcnt vmcnt(0)
	global_store_byte v[4:5], v2, off
	s_or_b64 exec, exec, s[2:3]
	s_and_saveexec_b64 s[2:3], s[8:9]
	s_xor_b64 s[2:3], exec, s[2:3]
	s_cbranch_execz .LBB81_1089
	s_branch .LBB81_1052
.LBB81_1047:
	s_mov_b64 s[8:9], -1
	s_mov_b64 s[2:3], s[54:55]
	s_branch .LBB81_1049
.LBB81_1048:
	s_mov_b64 s[10:11], 0
.LBB81_1049:
	s_andn2_b64 s[12:13], s[54:55], exec
	s_and_b64 s[2:3], s[2:3], exec
	s_and_b64 s[8:9], s[8:9], exec
	;; [unrolled: 1-line block ×3, first 2 shown]
	s_or_b64 s[54:55], s[12:13], s[2:3]
	s_or_b64 exec, exec, s[6:7]
	s_and_saveexec_b64 s[2:3], s[54:55]
	s_cbranch_execz .LBB81_1045
.LBB81_1050:
	s_or_b64 s[4:5], s[4:5], exec
	s_andn2_b64 s[10:11], s[10:11], exec
	s_trap 2
	s_or_b64 exec, exec, s[2:3]
	s_and_saveexec_b64 s[2:3], s[10:11]
	s_xor_b64 s[2:3], exec, s[2:3]
	s_cbranch_execnz .LBB81_1046
.LBB81_1051:
	s_or_b64 exec, exec, s[2:3]
	s_and_saveexec_b64 s[2:3], s[8:9]
	s_xor_b64 s[2:3], exec, s[2:3]
	s_cbranch_execz .LBB81_1089
.LBB81_1052:
	s_sext_i32_i16 s8, s16
	s_cmp_lt_i32 s8, 5
	s_mov_b64 s[6:7], -1
	s_cbranch_scc1 .LBB81_1073
; %bb.1053:
	s_cmp_lt_i32 s8, 8
	s_cbranch_scc1 .LBB81_1063
; %bb.1054:
	s_cmp_lt_i32 s8, 9
	s_cbranch_scc1 .LBB81_1060
; %bb.1055:
	s_cmp_gt_i32 s8, 9
	s_cbranch_scc0 .LBB81_1057
; %bb.1056:
	v_mov_b32_e32 v2, 0
	v_mov_b32_e32 v3, v2
	s_mov_b64 s[6:7], 0
	s_waitcnt vmcnt(0)
	global_store_dwordx4 v[4:5], v[0:3], off
.LBB81_1057:
	s_andn2_b64 vcc, exec, s[6:7]
	s_cbranch_vccnz .LBB81_1059
; %bb.1058:
	v_cvt_f32_f64_e32 v2, v[0:1]
	v_mov_b32_e32 v3, 0
	s_waitcnt vmcnt(0)
	global_store_dwordx2 v[4:5], v[2:3], off
.LBB81_1059:
	s_mov_b64 s[6:7], 0
.LBB81_1060:
	s_andn2_b64 vcc, exec, s[6:7]
	s_cbranch_vccnz .LBB81_1062
; %bb.1061:
	s_movk_i32 s6, 0x1ff
	v_and_or_b32 v2, v1, s6, v0
	v_cmp_ne_u32_e32 vcc, 0, v2
	v_lshrrev_b32_e32 v3, 8, v1
	s_movk_i32 s6, 0xffe
	v_cndmask_b32_e64 v2, 0, 1, vcc
	s_waitcnt vmcnt(0)
	v_bfe_u32 v6, v1, 20, 11
	v_and_or_b32 v2, v3, s6, v2
	v_sub_u32_e32 v7, 0x3f1, v6
	v_or_b32_e32 v3, 0x1000, v2
	v_med3_i32 v7, v7, 0, 13
	v_lshrrev_b32_e32 v8, v7, v3
	v_lshlrev_b32_e32 v7, v7, v8
	v_cmp_ne_u32_e32 vcc, v7, v3
	v_add_u32_e32 v6, 0xfffffc10, v6
	v_lshl_or_b32 v7, v6, 12, v2
	v_cndmask_b32_e64 v3, 0, 1, vcc
	v_or_b32_e32 v3, v8, v3
	v_cmp_gt_i32_e32 vcc, 1, v6
	s_movk_i32 s6, 0x40f
	s_nop 0
	v_cndmask_b32_e32 v3, v7, v3, vcc
	v_and_b32_e32 v7, 7, v3
	v_cmp_lt_i32_e32 vcc, 5, v7
	v_lshrrev_b32_e32 v3, 2, v3
	s_nop 0
	v_cndmask_b32_e64 v8, 0, 1, vcc
	v_cmp_eq_u32_e32 vcc, 3, v7
	s_nop 1
	v_cndmask_b32_e64 v7, 0, 1, vcc
	v_or_b32_e32 v7, v7, v8
	v_add_u32_e32 v3, v3, v7
	v_mov_b32_e32 v7, 0x7c00
	v_cmp_gt_i32_e32 vcc, 31, v6
	v_mov_b32_e32 v8, 0x7e00
	s_nop 0
	v_cndmask_b32_e32 v3, v7, v3, vcc
	v_cmp_ne_u32_e32 vcc, 0, v2
	s_nop 1
	v_cndmask_b32_e32 v2, v7, v8, vcc
	v_cmp_eq_u32_e32 vcc, s6, v6
	s_mov_b32 s6, 0x8000
	s_nop 0
	v_cndmask_b32_e32 v2, v3, v2, vcc
	v_and_b32_sdwa v3, v1, s6 dst_sel:DWORD dst_unused:UNUSED_PAD src0_sel:WORD_1 src1_sel:DWORD
	s_mov_b32 s6, 0xffff
	v_bitop3_b32 v2, v3, s6, v2 bitop3:0xc8
	global_store_dword v[4:5], v2, off
.LBB81_1062:
	s_mov_b64 s[6:7], 0
.LBB81_1063:
	s_andn2_b64 vcc, exec, s[6:7]
	s_cbranch_vccnz .LBB81_1072
; %bb.1064:
	s_sext_i32_i16 s8, s16
	s_cmp_lt_i32 s8, 6
	s_mov_b64 s[6:7], -1
	s_cbranch_scc1 .LBB81_1070
; %bb.1065:
	s_cmp_gt_i32 s8, 6
	s_cbranch_scc0 .LBB81_1067
; %bb.1066:
	s_mov_b64 s[6:7], 0
	s_waitcnt vmcnt(0)
	global_store_dwordx2 v[4:5], v[0:1], off
.LBB81_1067:
	s_andn2_b64 vcc, exec, s[6:7]
	s_cbranch_vccnz .LBB81_1069
; %bb.1068:
	v_cvt_f32_f64_e32 v2, v[0:1]
	s_waitcnt vmcnt(0)
	global_store_dword v[4:5], v2, off
.LBB81_1069:
	s_mov_b64 s[6:7], 0
.LBB81_1070:
	s_andn2_b64 vcc, exec, s[6:7]
	s_cbranch_vccnz .LBB81_1072
; %bb.1071:
	s_movk_i32 s6, 0x1ff
	v_and_or_b32 v2, v1, s6, v0
	v_cmp_ne_u32_e32 vcc, 0, v2
	v_lshrrev_b32_e32 v3, 8, v1
	s_movk_i32 s6, 0xffe
	v_cndmask_b32_e64 v2, 0, 1, vcc
	s_waitcnt vmcnt(0)
	v_bfe_u32 v6, v1, 20, 11
	v_and_or_b32 v2, v3, s6, v2
	v_sub_u32_e32 v7, 0x3f1, v6
	v_or_b32_e32 v3, 0x1000, v2
	v_med3_i32 v7, v7, 0, 13
	v_lshrrev_b32_e32 v8, v7, v3
	v_lshlrev_b32_e32 v7, v7, v8
	v_cmp_ne_u32_e32 vcc, v7, v3
	v_add_u32_e32 v6, 0xfffffc10, v6
	v_lshl_or_b32 v7, v6, 12, v2
	v_cndmask_b32_e64 v3, 0, 1, vcc
	v_or_b32_e32 v3, v8, v3
	v_cmp_gt_i32_e32 vcc, 1, v6
	s_movk_i32 s6, 0x40f
	s_nop 0
	v_cndmask_b32_e32 v3, v7, v3, vcc
	v_and_b32_e32 v7, 7, v3
	v_cmp_lt_i32_e32 vcc, 5, v7
	v_lshrrev_b32_e32 v3, 2, v3
	s_nop 0
	v_cndmask_b32_e64 v8, 0, 1, vcc
	v_cmp_eq_u32_e32 vcc, 3, v7
	s_nop 1
	v_cndmask_b32_e64 v7, 0, 1, vcc
	v_or_b32_e32 v7, v7, v8
	v_add_u32_e32 v3, v3, v7
	v_mov_b32_e32 v7, 0x7c00
	v_cmp_gt_i32_e32 vcc, 31, v6
	v_mov_b32_e32 v8, 0x7e00
	s_nop 0
	v_cndmask_b32_e32 v3, v7, v3, vcc
	v_cmp_ne_u32_e32 vcc, 0, v2
	s_nop 1
	v_cndmask_b32_e32 v2, v7, v8, vcc
	v_cmp_eq_u32_e32 vcc, s6, v6
	s_mov_b32 s6, 0x8000
	s_nop 0
	v_cndmask_b32_e32 v2, v3, v2, vcc
	v_lshrrev_b32_e32 v3, 16, v1
	v_and_or_b32 v2, v3, s6, v2
	global_store_short v[4:5], v2, off
.LBB81_1072:
	s_mov_b64 s[6:7], 0
.LBB81_1073:
	s_andn2_b64 vcc, exec, s[6:7]
	s_cbranch_vccnz .LBB81_1089
; %bb.1074:
	s_sext_i32_i16 s8, s16
	s_cmp_lt_i32 s8, 2
	s_mov_b64 s[6:7], -1
	s_cbranch_scc1 .LBB81_1084
; %bb.1075:
	s_cmp_lt_i32 s8, 3
	s_cbranch_scc1 .LBB81_1081
; %bb.1076:
	s_cmp_gt_i32 s8, 3
	s_cbranch_scc0 .LBB81_1078
; %bb.1077:
	v_trunc_f64_e32 v[2:3], v[0:1]
	s_movk_i32 s6, 0xffe0
	s_waitcnt vmcnt(0)
	v_ldexp_f64 v[6:7], v[2:3], s6
	v_floor_f64_e32 v[6:7], v[6:7]
	v_fmac_f64_e32 v[2:3], 0xc1f00000, v[6:7]
	v_cvt_i32_f64_e32 v9, v[6:7]
	v_cvt_u32_f64_e32 v8, v[2:3]
	s_mov_b64 s[6:7], 0
	global_store_dwordx2 v[4:5], v[8:9], off
.LBB81_1078:
	s_andn2_b64 vcc, exec, s[6:7]
	s_cbranch_vccnz .LBB81_1080
; %bb.1079:
	v_cvt_i32_f64_e32 v2, v[0:1]
	s_waitcnt vmcnt(0)
	global_store_dword v[4:5], v2, off
.LBB81_1080:
	s_mov_b64 s[6:7], 0
.LBB81_1081:
	s_andn2_b64 vcc, exec, s[6:7]
	s_cbranch_vccnz .LBB81_1083
; %bb.1082:
	v_cvt_i32_f64_e32 v2, v[0:1]
	s_waitcnt vmcnt(0)
	global_store_short v[4:5], v2, off
.LBB81_1083:
	s_mov_b64 s[6:7], 0
.LBB81_1084:
	s_andn2_b64 vcc, exec, s[6:7]
	s_cbranch_vccnz .LBB81_1089
; %bb.1085:
	s_sext_i32_i16 s6, s16
	s_cmp_gt_i32 s6, 0
	s_mov_b64 s[6:7], -1
	s_cbranch_scc0 .LBB81_1087
; %bb.1086:
	v_cvt_i32_f64_e32 v2, v[0:1]
	s_mov_b64 s[6:7], 0
	s_waitcnt vmcnt(0)
	global_store_byte v[4:5], v2, off
.LBB81_1087:
	s_andn2_b64 vcc, exec, s[6:7]
	s_cbranch_vccnz .LBB81_1089
; %bb.1088:
	v_trunc_f64_e32 v[0:1], v[0:1]
	s_movk_i32 s6, 0xffe0
	v_ldexp_f64 v[2:3], v[0:1], s6
	v_floor_f64_e32 v[2:3], v[2:3]
	v_fmac_f64_e32 v[0:1], 0xc1f00000, v[2:3]
	v_cvt_u32_f64_e32 v0, v[0:1]
	s_waitcnt vmcnt(0)
	global_store_byte v[4:5], v0, off
.LBB81_1089:
	s_or_b64 exec, exec, s[2:3]
	s_waitcnt lgkmcnt(0)
	s_and_b64 s[24:25], s[4:5], exec
                                        ; implicit-def: $vgpr16
                                        ; implicit-def: $vgpr10
.LBB81_1090:
	s_or_saveexec_b64 s[26:27], s[44:45]
	s_mov_b64 s[6:7], 0
                                        ; implicit-def: $vgpr4_vgpr5
                                        ; implicit-def: $sgpr14
                                        ; implicit-def: $vgpr0_vgpr1
	s_xor_b64 exec, exec, s[26:27]
	s_cbranch_execz .LBB81_2094
; %bb.1091:
	v_cndmask_b32_e64 v0, 0, 1, s[42:43]
	v_cmp_ne_u32_e64 s[2:3], 1, v0
	s_andn2_b64 vcc, exec, s[42:43]
	s_cbranch_vccnz .LBB81_1097
; %bb.1092:
	s_cmp_lg_u32 s33, 0
	s_mov_b32 s36, 0
	s_cbranch_scc0 .LBB81_1098
; %bb.1093:
	s_min_u32 s37, s72, 15
	s_add_i32 s37, s37, 1
	s_cmp_eq_u32 s72, 2
	s_cbranch_scc1 .LBB81_1099
; %bb.1094:
	s_and_b32 s36, s37, 28
	s_add_u32 s28, s34, 0xc4
	s_addc_u32 s29, s35, 0
	s_mov_b32 s38, 0
	v_mov_b32_e32 v2, 0
	v_mov_b32_e32 v0, 0
	s_mov_b64 s[30:31], s[34:35]
	s_waitcnt vmcnt(0)
	v_mov_b32_e32 v4, v10
.LBB81_1095:                            ; =>This Inner Loop Header: Depth=1
	s_load_dwordx8 s[12:19], s[30:31], 0x4
	s_load_dwordx4 s[20:23], s[30:31], 0x24
	s_load_dwordx8 s[4:11], s[28:29], 0x0
	s_add_u32 s30, s30, 48
	s_addc_u32 s31, s31, 0
	s_waitcnt lgkmcnt(0)
	v_mul_hi_u32 v1, s13, v4
	v_add_u32_e32 v1, v4, v1
	v_lshrrev_b32_e32 v1, s14, v1
	v_mul_lo_u32 v3, v1, s12
	v_mul_hi_u32 v5, s16, v1
	v_sub_u32_e32 v3, v4, v3
	v_add_u32_e32 v4, v1, v5
	v_lshrrev_b32_e32 v4, s17, v4
	v_mul_lo_u32 v6, v4, s15
	v_mul_hi_u32 v7, s19, v4
	v_sub_u32_e32 v1, v1, v6
	v_add_u32_e32 v6, v4, v7
	v_mul_lo_u32 v5, v3, s5
	v_mul_lo_u32 v3, v3, s4
	;; [unrolled: 1-line block ×4, first 2 shown]
	v_lshrrev_b32_e32 v6, s20, v6
	v_add3_u32 v1, v3, v2, v1
	v_mul_hi_u32 v3, s22, v6
	v_mul_lo_u32 v2, v6, s18
	v_add_u32_e32 v3, v6, v3
	v_sub_u32_e32 v2, v4, v2
	v_lshrrev_b32_e32 v4, s23, v3
	s_add_i32 s38, s38, 4
	v_mul_lo_u32 v3, v4, s21
	s_add_u32 s28, s28, 32
	v_sub_u32_e32 v3, v6, v3
	s_addc_u32 s29, s29, 0
	v_add3_u32 v0, v5, v0, v7
	v_mul_lo_u32 v5, v2, s8
	v_mul_lo_u32 v2, v2, s9
	v_mul_lo_u32 v6, v3, s10
	v_mul_lo_u32 v3, v3, s11
	s_cmp_lg_u32 s36, s38
	v_add3_u32 v0, v2, v0, v3
	v_add3_u32 v2, v5, v1, v6
	s_cbranch_scc1 .LBB81_1095
; %bb.1096:
	v_mov_b32_e32 v1, v0
	s_and_b32 s8, s37, 3
	s_cmp_eq_u32 s8, 0
	s_cbranch_scc0 .LBB81_1100
	s_branch .LBB81_1102
.LBB81_1097:
                                        ; implicit-def: $vgpr0
                                        ; implicit-def: $vgpr2
	s_branch .LBB81_1103
.LBB81_1098:
	v_mov_b32_e32 v0, 0
	v_mov_b32_e32 v2, 0
	s_branch .LBB81_1102
.LBB81_1099:
	v_mov_b32_e32 v2, 0
                                        ; implicit-def: $vgpr0
	v_mov_b32_e32 v1, v2
	s_waitcnt vmcnt(0)
	v_mov_b32_e32 v4, v10
	s_and_b32 s8, s37, 3
	s_cmp_eq_u32 s8, 0
	s_cbranch_scc1 .LBB81_1102
.LBB81_1100:
	s_lshl_b32 s4, s36, 3
	s_add_u32 s4, s34, s4
	s_addc_u32 s5, s35, 0
	s_add_u32 s4, s4, 0xc4
	s_addc_u32 s5, s5, 0
	s_mul_i32 s6, s36, 12
	s_add_u32 s6, s34, s6
	s_addc_u32 s7, s35, 0
.LBB81_1101:                            ; =>This Inner Loop Header: Depth=1
	s_load_dwordx2 s[10:11], s[6:7], 0x4
	s_load_dword s9, s[6:7], 0xc
	s_load_dwordx2 s[12:13], s[4:5], 0x0
	v_mov_b32_e32 v0, v1
	s_add_u32 s6, s6, 12
	s_waitcnt lgkmcnt(0)
	v_mul_hi_u32 v1, s11, v4
	v_add_u32_e32 v1, v4, v1
	v_lshrrev_b32_e32 v1, s9, v1
	s_addc_u32 s7, s7, 0
	v_mul_lo_u32 v3, v1, s10
	s_add_u32 s4, s4, 8
	v_sub_u32_e32 v3, v4, v3
	s_addc_u32 s5, s5, 0
	s_add_i32 s8, s8, -1
	v_mov_b32_e32 v4, v1
	v_mad_u64_u32 v[0:1], s[10:11], v3, s13, v[0:1]
	s_cmp_lg_u32 s8, 0
	v_mad_u64_u32 v[2:3], s[10:11], v3, s12, v[2:3]
	v_mov_b32_e32 v1, v0
	s_cbranch_scc1 .LBB81_1101
.LBB81_1102:
	s_cbranch_execnz .LBB81_1105
.LBB81_1103:
	s_load_dwordx4 s[4:7], s[34:35], 0x4
	s_load_dwordx2 s[8:9], s[34:35], 0xc4
	s_cmp_lt_u32 s33, 2
	s_waitcnt lgkmcnt(0)
	v_mul_hi_u32 v0, s5, v10
	v_add_u32_e32 v0, v10, v0
	v_lshrrev_b32_e32 v1, s6, v0
	v_mul_lo_u32 v0, v1, s4
	v_sub_u32_e32 v2, v10, v0
	v_mul_lo_u32 v0, v2, s9
	v_mul_lo_u32 v2, v2, s8
	s_cbranch_scc1 .LBB81_1105
; %bb.1104:
	s_load_dwordx4 s[4:7], s[34:35], 0x10
	s_load_dwordx2 s[8:9], s[34:35], 0xcc
	s_waitcnt lgkmcnt(0)
	v_mul_hi_u32 v3, s5, v1
	v_add_u32_e32 v3, v1, v3
	v_lshrrev_b32_e32 v3, s6, v3
	v_mul_lo_u32 v3, v3, s4
	v_sub_u32_e32 v1, v1, v3
	v_mad_u64_u32 v[2:3], s[4:5], v1, s8, v[2:3]
	v_mad_u64_u32 v[0:1], s[4:5], v1, s9, v[0:1]
.LBB81_1105:
	s_and_b64 vcc, exec, s[2:3]
	v_add_u32_e32 v3, 0x80, v10
	s_cbranch_vccnz .LBB81_1111
; %bb.1106:
	s_cmp_lg_u32 s33, 0
	s_mov_b32 s36, 0
	s_cbranch_scc0 .LBB81_1112
; %bb.1107:
	s_min_u32 s37, s72, 15
	s_add_i32 s37, s37, 1
	s_cmp_eq_u32 s72, 2
	s_cbranch_scc1 .LBB81_1113
; %bb.1108:
	s_and_b32 s36, s37, 28
	s_add_u32 s28, s34, 0xc4
	s_addc_u32 s29, s35, 0
	s_mov_b32 s38, 0
	v_mov_b32_e32 v8, 0
	v_mov_b32_e32 v14, 0
	s_mov_b64 s[30:31], s[34:35]
	s_waitcnt vmcnt(0)
	v_mov_b32_e32 v4, v3
.LBB81_1109:                            ; =>This Inner Loop Header: Depth=1
	s_load_dwordx8 s[12:19], s[30:31], 0x4
	s_load_dwordx4 s[20:23], s[30:31], 0x24
	s_load_dwordx8 s[4:11], s[28:29], 0x0
	s_add_u32 s30, s30, 48
	s_addc_u32 s31, s31, 0
	s_waitcnt lgkmcnt(0)
	v_mul_hi_u32 v1, s13, v4
	v_add_u32_e32 v1, v4, v1
	v_lshrrev_b32_e32 v1, s14, v1
	v_mul_lo_u32 v5, v1, s12
	v_mul_hi_u32 v6, s16, v1
	v_sub_u32_e32 v4, v4, v5
	v_add_u32_e32 v5, v1, v6
	v_lshrrev_b32_e32 v5, s17, v5
	v_mul_lo_u32 v7, v5, s15
	v_mul_hi_u32 v9, s19, v5
	v_sub_u32_e32 v1, v1, v7
	v_add_u32_e32 v7, v5, v9
	v_mul_lo_u32 v6, v4, s5
	v_mul_lo_u32 v4, v4, s4
	;; [unrolled: 1-line block ×4, first 2 shown]
	v_lshrrev_b32_e32 v7, s20, v7
	v_add3_u32 v1, v4, v8, v1
	v_mul_lo_u32 v4, v7, s18
	v_mul_hi_u32 v8, s22, v7
	v_sub_u32_e32 v4, v5, v4
	v_add_u32_e32 v5, v7, v8
	v_add3_u32 v6, v6, v14, v9
	v_mul_lo_u32 v8, v4, s8
	v_mul_lo_u32 v9, v4, s9
	v_lshrrev_b32_e32 v4, s23, v5
	s_add_i32 s38, s38, 4
	v_mul_lo_u32 v5, v4, s21
	s_add_u32 s28, s28, 32
	v_sub_u32_e32 v5, v7, v5
	s_addc_u32 s29, s29, 0
	v_mul_lo_u32 v7, v5, s10
	v_mul_lo_u32 v5, v5, s11
	s_cmp_lg_u32 s36, s38
	v_add3_u32 v14, v9, v6, v5
	v_add3_u32 v8, v8, v1, v7
	s_cbranch_scc1 .LBB81_1109
; %bb.1110:
	v_mov_b32_e32 v1, v14
	s_and_b32 s8, s37, 3
	s_cmp_eq_u32 s8, 0
	s_cbranch_scc0 .LBB81_1114
	s_branch .LBB81_1116
.LBB81_1111:
                                        ; implicit-def: $vgpr14
                                        ; implicit-def: $vgpr8
	s_branch .LBB81_1117
.LBB81_1112:
	v_mov_b32_e32 v14, 0
	v_mov_b32_e32 v8, 0
	s_branch .LBB81_1116
.LBB81_1113:
	v_mov_b32_e32 v8, 0
                                        ; implicit-def: $vgpr14
	v_mov_b32_e32 v1, v8
	s_waitcnt vmcnt(0)
	v_mov_b32_e32 v4, v3
	s_and_b32 s8, s37, 3
	s_cmp_eq_u32 s8, 0
	s_cbranch_scc1 .LBB81_1116
.LBB81_1114:
	s_lshl_b32 s4, s36, 3
	s_add_u32 s4, s34, s4
	s_addc_u32 s5, s35, 0
	s_add_u32 s4, s4, 0xc4
	s_addc_u32 s5, s5, 0
	s_mul_i32 s6, s36, 12
	s_add_u32 s6, s34, s6
	s_addc_u32 s7, s35, 0
.LBB81_1115:                            ; =>This Inner Loop Header: Depth=1
	s_load_dwordx2 s[10:11], s[6:7], 0x4
	s_load_dword s9, s[6:7], 0xc
	s_load_dwordx2 s[12:13], s[4:5], 0x0
	v_mov_b32_e32 v6, v1
	s_add_u32 s6, s6, 12
	s_waitcnt lgkmcnt(0)
	v_mul_hi_u32 v1, s11, v4
	v_add_u32_e32 v1, v4, v1
	v_lshrrev_b32_e32 v1, s9, v1
	s_addc_u32 s7, s7, 0
	v_mul_lo_u32 v5, v1, s10
	s_add_u32 s4, s4, 8
	v_sub_u32_e32 v5, v4, v5
	s_addc_u32 s5, s5, 0
	s_add_i32 s8, s8, -1
	v_mad_u64_u32 v[14:15], s[10:11], v5, s13, v[6:7]
	s_cmp_lg_u32 s8, 0
	v_mov_b32_e32 v4, v1
	v_mad_u64_u32 v[8:9], s[10:11], v5, s12, v[8:9]
	v_mov_b32_e32 v1, v14
	s_cbranch_scc1 .LBB81_1115
.LBB81_1116:
	s_cbranch_execnz .LBB81_1119
.LBB81_1117:
	s_load_dwordx4 s[4:7], s[34:35], 0x4
	s_load_dwordx2 s[8:9], s[34:35], 0xc4
	s_cmp_lt_u32 s33, 2
	s_waitcnt lgkmcnt(0)
	v_mul_hi_u32 v1, s5, v3
	v_add_u32_e32 v1, v3, v1
	v_lshrrev_b32_e32 v1, s6, v1
	s_waitcnt vmcnt(0)
	v_mul_lo_u32 v4, v1, s4
	v_sub_u32_e32 v3, v3, v4
	v_mul_lo_u32 v14, v3, s9
	v_mul_lo_u32 v8, v3, s8
	s_cbranch_scc1 .LBB81_1119
; %bb.1118:
	s_load_dwordx4 s[4:7], s[34:35], 0x10
	s_load_dwordx2 s[8:9], s[34:35], 0xcc
	s_waitcnt lgkmcnt(0)
	v_mul_hi_u32 v3, s5, v1
	v_add_u32_e32 v3, v1, v3
	v_lshrrev_b32_e32 v3, s6, v3
	v_mul_lo_u32 v3, v3, s4
	v_sub_u32_e32 v1, v1, v3
	v_mad_u64_u32 v[8:9], s[4:5], v1, s8, v[8:9]
	v_mad_u64_u32 v[14:15], s[4:5], v1, s9, v[14:15]
.LBB81_1119:
	s_and_b64 vcc, exec, s[2:3]
	v_add_u32_e32 v3, 0x100, v10
	s_cbranch_vccnz .LBB81_1125
; %bb.1120:
	s_cmp_lg_u32 s33, 0
	s_mov_b32 s36, 0
	s_cbranch_scc0 .LBB81_1126
; %bb.1121:
	s_min_u32 s37, s72, 15
	s_add_i32 s37, s37, 1
	s_cmp_eq_u32 s72, 2
	s_cbranch_scc1 .LBB81_1127
; %bb.1122:
	s_and_b32 s36, s37, 28
	s_add_u32 s28, s34, 0xc4
	s_addc_u32 s29, s35, 0
	s_mov_b32 s38, 0
	s_waitcnt vmcnt(0)
	v_mov_b32_e32 v6, 0
	v_mov_b32_e32 v12, 0
	s_mov_b64 s[30:31], s[34:35]
	v_mov_b32_e32 v4, v3
.LBB81_1123:                            ; =>This Inner Loop Header: Depth=1
	s_load_dwordx8 s[12:19], s[30:31], 0x4
	s_load_dwordx4 s[20:23], s[30:31], 0x24
	s_load_dwordx8 s[4:11], s[28:29], 0x0
	s_add_u32 s30, s30, 48
	s_addc_u32 s31, s31, 0
	s_waitcnt lgkmcnt(0)
	v_mul_hi_u32 v1, s13, v4
	v_add_u32_e32 v1, v4, v1
	v_lshrrev_b32_e32 v1, s14, v1
	v_mul_lo_u32 v5, v1, s12
	v_mul_hi_u32 v7, s16, v1
	v_sub_u32_e32 v4, v4, v5
	v_add_u32_e32 v5, v1, v7
	v_lshrrev_b32_e32 v5, s17, v5
	v_mul_lo_u32 v9, v5, s15
	v_mul_hi_u32 v10, s19, v5
	v_sub_u32_e32 v1, v1, v9
	v_add_u32_e32 v9, v5, v10
	v_mul_lo_u32 v7, v4, s5
	v_mul_lo_u32 v4, v4, s4
	;; [unrolled: 1-line block ×4, first 2 shown]
	v_lshrrev_b32_e32 v9, s20, v9
	v_add3_u32 v1, v4, v6, v1
	v_add3_u32 v6, v7, v12, v10
	v_mul_lo_u32 v4, v9, s18
	v_mul_hi_u32 v7, s22, v9
	v_sub_u32_e32 v4, v5, v4
	v_add_u32_e32 v5, v9, v7
	v_mul_lo_u32 v7, v4, s8
	v_mul_lo_u32 v10, v4, s9
	v_lshrrev_b32_e32 v4, s23, v5
	s_add_i32 s38, s38, 4
	v_mul_lo_u32 v5, v4, s21
	s_add_u32 s28, s28, 32
	v_sub_u32_e32 v5, v9, v5
	s_addc_u32 s29, s29, 0
	v_mul_lo_u32 v9, v5, s10
	v_mul_lo_u32 v5, v5, s11
	s_cmp_lg_u32 s36, s38
	v_add3_u32 v12, v10, v6, v5
	v_add3_u32 v6, v7, v1, v9
	s_cbranch_scc1 .LBB81_1123
; %bb.1124:
	v_mov_b32_e32 v1, v12
	s_and_b32 s8, s37, 3
	s_cmp_eq_u32 s8, 0
	s_cbranch_scc0 .LBB81_1128
	s_branch .LBB81_1130
.LBB81_1125:
                                        ; implicit-def: $vgpr12
                                        ; implicit-def: $vgpr6
	s_branch .LBB81_1131
.LBB81_1126:
	v_mov_b32_e32 v12, 0
	s_waitcnt vmcnt(0)
	v_mov_b32_e32 v6, 0
	s_branch .LBB81_1130
.LBB81_1127:
	s_waitcnt vmcnt(0)
	v_mov_b32_e32 v6, 0
                                        ; implicit-def: $vgpr12
	v_mov_b32_e32 v1, v6
	v_mov_b32_e32 v4, v3
	s_and_b32 s8, s37, 3
	s_cmp_eq_u32 s8, 0
	s_cbranch_scc1 .LBB81_1130
.LBB81_1128:
	s_lshl_b32 s4, s36, 3
	s_add_u32 s4, s34, s4
	s_addc_u32 s5, s35, 0
	s_add_u32 s4, s4, 0xc4
	s_addc_u32 s5, s5, 0
	s_mul_i32 s6, s36, 12
	s_add_u32 s6, s34, s6
	s_addc_u32 s7, s35, 0
.LBB81_1129:                            ; =>This Inner Loop Header: Depth=1
	s_load_dwordx2 s[10:11], s[6:7], 0x4
	s_load_dword s9, s[6:7], 0xc
	s_load_dwordx2 s[12:13], s[4:5], 0x0
	v_mov_b32_e32 v10, v1
	s_add_u32 s6, s6, 12
	s_waitcnt lgkmcnt(0)
	v_mul_hi_u32 v1, s11, v4
	v_add_u32_e32 v1, v4, v1
	v_lshrrev_b32_e32 v1, s9, v1
	s_addc_u32 s7, s7, 0
	v_mul_lo_u32 v5, v1, s10
	s_add_u32 s4, s4, 8
	v_sub_u32_e32 v5, v4, v5
	s_addc_u32 s5, s5, 0
	s_add_i32 s8, s8, -1
	v_mad_u64_u32 v[12:13], s[10:11], v5, s13, v[10:11]
	s_cmp_lg_u32 s8, 0
	v_mov_b32_e32 v4, v1
	v_mad_u64_u32 v[6:7], s[10:11], v5, s12, v[6:7]
	v_mov_b32_e32 v1, v12
	s_cbranch_scc1 .LBB81_1129
.LBB81_1130:
	s_cbranch_execnz .LBB81_1133
.LBB81_1131:
	s_load_dwordx4 s[4:7], s[34:35], 0x4
	s_load_dwordx2 s[8:9], s[34:35], 0xc4
	s_cmp_lt_u32 s33, 2
	s_waitcnt lgkmcnt(0)
	v_mul_hi_u32 v1, s5, v3
	v_add_u32_e32 v1, v3, v1
	v_lshrrev_b32_e32 v1, s6, v1
	s_waitcnt vmcnt(0)
	v_mul_lo_u32 v4, v1, s4
	v_sub_u32_e32 v3, v3, v4
	v_mul_lo_u32 v12, v3, s9
	v_mul_lo_u32 v6, v3, s8
	s_cbranch_scc1 .LBB81_1133
; %bb.1132:
	s_load_dwordx4 s[4:7], s[34:35], 0x10
	s_load_dwordx2 s[8:9], s[34:35], 0xcc
	s_waitcnt lgkmcnt(0)
	v_mul_hi_u32 v3, s5, v1
	v_add_u32_e32 v3, v1, v3
	v_lshrrev_b32_e32 v3, s6, v3
	v_mul_lo_u32 v3, v3, s4
	v_sub_u32_e32 v1, v1, v3
	v_mad_u64_u32 v[6:7], s[4:5], v1, s8, v[6:7]
	v_mad_u64_u32 v[12:13], s[4:5], v1, s9, v[12:13]
.LBB81_1133:
	s_and_b64 vcc, exec, s[2:3]
	s_cbranch_vccnz .LBB81_1139
; %bb.1134:
	s_cmp_lg_u32 s33, 0
	s_mov_b32 s30, 0
	s_cbranch_scc0 .LBB81_1140
; %bb.1135:
	s_min_u32 s31, s72, 15
	s_add_i32 s31, s31, 1
	s_cmp_eq_u32 s72, 2
	s_cbranch_scc1 .LBB81_1141
; %bb.1136:
	s_and_b32 s30, s31, 28
	s_add_u32 s2, s34, 0xc4
	s_addc_u32 s3, s35, 0
	s_mov_b32 s36, 0
	s_waitcnt vmcnt(0)
	v_mov_b32_e32 v4, 0
	v_mov_b32_e32 v10, 0
	s_mov_b64 s[28:29], s[34:35]
	v_mov_b32_e32 v3, v16
.LBB81_1137:                            ; =>This Inner Loop Header: Depth=1
	s_load_dwordx8 s[12:19], s[28:29], 0x4
	s_load_dwordx4 s[20:23], s[28:29], 0x24
	s_load_dwordx8 s[4:11], s[2:3], 0x0
	s_add_u32 s28, s28, 48
	s_addc_u32 s29, s29, 0
	s_waitcnt lgkmcnt(0)
	v_mul_hi_u32 v1, s13, v3
	v_add_u32_e32 v1, v3, v1
	v_lshrrev_b32_e32 v1, s14, v1
	v_mul_lo_u32 v5, v1, s12
	v_mul_hi_u32 v7, s16, v1
	v_sub_u32_e32 v3, v3, v5
	v_add_u32_e32 v5, v1, v7
	v_lshrrev_b32_e32 v5, s17, v5
	v_mul_lo_u32 v9, v5, s15
	v_mul_hi_u32 v11, s19, v5
	v_sub_u32_e32 v1, v1, v9
	v_add_u32_e32 v9, v5, v11
	v_mul_lo_u32 v7, v3, s5
	v_mul_lo_u32 v3, v3, s4
	;; [unrolled: 1-line block ×4, first 2 shown]
	v_lshrrev_b32_e32 v9, s20, v9
	v_add3_u32 v1, v3, v4, v1
	v_add3_u32 v4, v7, v10, v11
	v_mul_lo_u32 v3, v9, s18
	v_mul_hi_u32 v7, s22, v9
	v_sub_u32_e32 v3, v5, v3
	v_add_u32_e32 v5, v9, v7
	v_mul_lo_u32 v7, v3, s8
	v_mul_lo_u32 v10, v3, s9
	v_lshrrev_b32_e32 v3, s23, v5
	s_add_i32 s36, s36, 4
	v_mul_lo_u32 v5, v3, s21
	s_add_u32 s2, s2, 32
	v_sub_u32_e32 v5, v9, v5
	s_addc_u32 s3, s3, 0
	v_mul_lo_u32 v9, v5, s10
	v_mul_lo_u32 v5, v5, s11
	s_cmp_lg_u32 s30, s36
	v_add3_u32 v10, v10, v4, v5
	v_add3_u32 v4, v7, v1, v9
	s_cbranch_scc1 .LBB81_1137
; %bb.1138:
	v_mov_b32_e32 v1, v10
	s_and_b32 s6, s31, 3
	s_cmp_eq_u32 s6, 0
	s_cbranch_scc0 .LBB81_1142
	s_branch .LBB81_1144
.LBB81_1139:
                                        ; implicit-def: $vgpr10
                                        ; implicit-def: $vgpr4
	s_branch .LBB81_1145
.LBB81_1140:
	v_mov_b32_e32 v10, 0
	s_waitcnt vmcnt(0)
	v_mov_b32_e32 v4, 0
	s_branch .LBB81_1144
.LBB81_1141:
	s_waitcnt vmcnt(0)
	v_mov_b32_e32 v4, 0
                                        ; implicit-def: $vgpr10
	v_mov_b32_e32 v1, v4
	v_mov_b32_e32 v3, v16
	s_and_b32 s6, s31, 3
	s_cmp_eq_u32 s6, 0
	s_cbranch_scc1 .LBB81_1144
.LBB81_1142:
	s_lshl_b32 s2, s30, 3
	s_add_u32 s2, s34, s2
	s_addc_u32 s3, s35, 0
	s_add_u32 s2, s2, 0xc4
	s_addc_u32 s3, s3, 0
	s_mul_i32 s4, s30, 12
	s_add_u32 s4, s34, s4
	s_addc_u32 s5, s35, 0
.LBB81_1143:                            ; =>This Inner Loop Header: Depth=1
	s_load_dwordx2 s[8:9], s[4:5], 0x4
	s_load_dword s7, s[4:5], 0xc
	s_load_dwordx2 s[10:11], s[2:3], 0x0
	v_mov_b32_e32 v10, v1
	s_add_u32 s4, s4, 12
	s_waitcnt lgkmcnt(0)
	v_mul_hi_u32 v1, s9, v3
	v_add_u32_e32 v1, v3, v1
	v_lshrrev_b32_e32 v1, s7, v1
	s_addc_u32 s5, s5, 0
	v_mul_lo_u32 v5, v1, s8
	s_add_u32 s2, s2, 8
	v_sub_u32_e32 v5, v3, v5
	s_addc_u32 s3, s3, 0
	s_add_i32 s6, s6, -1
	v_mad_u64_u32 v[10:11], s[8:9], v5, s11, v[10:11]
	s_cmp_lg_u32 s6, 0
	v_mov_b32_e32 v3, v1
	v_mad_u64_u32 v[4:5], s[8:9], v5, s10, v[4:5]
	v_mov_b32_e32 v1, v10
	s_cbranch_scc1 .LBB81_1143
.LBB81_1144:
	s_cbranch_execnz .LBB81_1147
.LBB81_1145:
	s_load_dwordx4 s[4:7], s[34:35], 0x4
	s_load_dwordx2 s[2:3], s[34:35], 0xc4
	s_cmp_lt_u32 s33, 2
	s_waitcnt lgkmcnt(0)
	v_mul_hi_u32 v1, s5, v16
	v_add_u32_e32 v1, v16, v1
	v_lshrrev_b32_e32 v1, s6, v1
	v_mul_lo_u32 v3, v1, s4
	v_sub_u32_e32 v3, v16, v3
	v_mul_lo_u32 v10, v3, s3
	s_waitcnt vmcnt(0)
	v_mul_lo_u32 v4, v3, s2
	s_cbranch_scc1 .LBB81_1147
; %bb.1146:
	s_load_dwordx4 s[4:7], s[34:35], 0x10
	s_load_dwordx2 s[2:3], s[34:35], 0xcc
	s_waitcnt lgkmcnt(0)
	v_mul_hi_u32 v3, s5, v1
	v_add_u32_e32 v3, v1, v3
	v_lshrrev_b32_e32 v3, s6, v3
	v_mul_lo_u32 v3, v3, s4
	v_sub_u32_e32 v1, v1, v3
	v_mad_u64_u32 v[4:5], s[4:5], v1, s2, v[4:5]
	v_mad_u64_u32 v[10:11], s[2:3], v1, s3, v[10:11]
.LBB81_1147:
	s_load_dword s16, s[0:1], 0x160
	s_load_dwordx4 s[4:7], s[34:35], 0x148
	v_mov_b32_e32 v1, 0
	s_waitcnt lgkmcnt(0)
	s_bfe_u32 s14, s16, 0x80010
	s_cmp_lt_i32 s14, 11
	v_lshl_add_u64 v[16:17], s[6:7], 0, v[0:1]
	s_cbranch_scc1 .LBB81_1154
; %bb.1148:
	s_and_b32 s15, 0xffff, s14
	s_cmp_gt_i32 s15, 25
	s_mov_b64 s[8:9], 0
	s_cbranch_scc0 .LBB81_1156
; %bb.1149:
	s_cmp_gt_i32 s15, 28
	s_cbranch_scc0 .LBB81_1157
; %bb.1150:
	s_cmp_gt_i32 s15, 43
	;; [unrolled: 3-line block ×3, first 2 shown]
	s_cbranch_scc0 .LBB81_1159
; %bb.1152:
	s_cmp_eq_u32 s15, 46
	s_mov_b64 s[2:3], 0
	s_cbranch_scc0 .LBB81_1162
; %bb.1153:
	global_load_dword v0, v[16:17], off
	s_mov_b64 s[0:1], 0
	s_mov_b64 s[10:11], -1
	s_waitcnt vmcnt(0)
	v_lshlrev_b32_e32 v0, 16, v0
	v_cvt_f64_f32_e32 v[0:1], v0
	s_branch .LBB81_1163
.LBB81_1154:
	s_mov_b64 s[10:11], 0
                                        ; implicit-def: $vgpr0_vgpr1
	s_mov_b64 s[2:3], s[24:25]
	s_cbranch_execnz .LBB81_1226
.LBB81_1155:
	s_andn2_b64 vcc, exec, s[10:11]
	s_cbranch_vccz .LBB81_1271
	s_branch .LBB81_2092
.LBB81_1156:
	s_mov_b64 s[10:11], 0
	s_mov_b64 s[0:1], 0
                                        ; implicit-def: $vgpr0_vgpr1
	s_cbranch_execnz .LBB81_1193
	s_branch .LBB81_1222
.LBB81_1157:
	s_mov_b64 s[2:3], -1
	s_mov_b64 s[10:11], 0
	s_mov_b64 s[0:1], 0
                                        ; implicit-def: $vgpr0_vgpr1
	s_branch .LBB81_1172
.LBB81_1158:
	s_mov_b64 s[10:11], 0
	s_mov_b64 s[0:1], 0
                                        ; implicit-def: $vgpr0_vgpr1
	s_cbranch_execnz .LBB81_1168
	s_branch .LBB81_1171
.LBB81_1159:
	s_mov_b64 s[2:3], -1
	s_mov_b64 s[10:11], 0
	s_mov_b64 s[0:1], 0
                                        ; implicit-def: $vgpr0_vgpr1
	s_branch .LBB81_1163
.LBB81_1160:
	s_andn2_saveexec_b64 s[12:13], s[12:13]
	s_cbranch_execz .LBB81_999
.LBB81_1161:
	s_mov_b32 s14, 0x46000000
	v_add_f32_e64 v3, |v2|, s14
	v_and_b32_e32 v3, 0xff, v3
	v_cmp_ne_u32_e32 vcc, 0, v3
	s_andn2_b64 s[10:11], s[10:11], exec
	s_and_b64 s[14:15], vcc, exec
	s_or_b64 s[10:11], s[10:11], s[14:15]
	s_or_b64 exec, exec, s[12:13]
	v_mov_b32_e32 v6, 0
	s_and_saveexec_b64 s[12:13], s[10:11]
	s_cbranch_execnz .LBB81_1000
	s_branch .LBB81_1001
.LBB81_1162:
	s_mov_b64 s[0:1], -1
                                        ; implicit-def: $vgpr0_vgpr1
	s_mov_b64 s[10:11], 0
.LBB81_1163:
	s_and_b64 vcc, exec, s[2:3]
	s_cbranch_vccz .LBB81_1166
; %bb.1164:
	s_cmp_eq_u32 s15, 44
	s_cbranch_scc0 .LBB81_1167
; %bb.1165:
	global_load_ubyte v3, v[16:17], off
	s_movk_i32 s2, 0xff
	s_waitcnt vmcnt(1)
	v_bfrev_b32_e32 v5, 4
	v_mov_b32_e32 v7, 0x7ff80000
	v_bfrev_b32_e32 v9, 28
	s_mov_b64 s[0:1], 0
	s_mov_b64 s[10:11], -1
	s_waitcnt vmcnt(0)
	v_lshlrev_b32_e32 v0, 23, v3
	v_cvt_f64_f32_e32 v[0:1], v0
	v_cmp_ne_u32_e32 vcc, s2, v3
	s_nop 1
	v_cndmask_b32_e32 v0, v5, v0, vcc
	v_cndmask_b32_e32 v1, v7, v1, vcc
	v_cmp_ne_u32_e32 vcc, 0, v3
	s_nop 1
	v_cndmask_b32_e32 v1, v9, v1, vcc
	v_cndmask_b32_e32 v0, 0, v0, vcc
.LBB81_1166:
	s_branch .LBB81_1171
.LBB81_1167:
	s_mov_b64 s[0:1], -1
                                        ; implicit-def: $vgpr0_vgpr1
	s_branch .LBB81_1171
.LBB81_1168:
	s_cmp_eq_u32 s15, 29
	s_cbranch_scc0 .LBB81_1170
; %bb.1169:
	global_load_dwordx2 v[0:1], v[16:17], off
	s_mov_b64 s[0:1], 0
	s_mov_b64 s[10:11], -1
	s_mov_b64 s[2:3], 0
	s_waitcnt vmcnt(0)
	v_cvt_f64_u32_e32 v[18:19], v1
	v_cvt_f64_u32_e32 v[0:1], v0
	v_ldexp_f64 v[18:19], v[18:19], 32
	v_add_f64 v[0:1], v[18:19], v[0:1]
	s_branch .LBB81_1172
.LBB81_1170:
	s_mov_b64 s[0:1], -1
                                        ; implicit-def: $vgpr0_vgpr1
.LBB81_1171:
	s_mov_b64 s[2:3], 0
.LBB81_1172:
	s_and_b64 vcc, exec, s[2:3]
	s_cbranch_vccz .LBB81_1192
; %bb.1173:
	s_cmp_lt_i32 s15, 27
	s_cbranch_scc1 .LBB81_1176
; %bb.1174:
	s_cmp_gt_i32 s15, 27
	s_cbranch_scc0 .LBB81_1177
; %bb.1175:
	global_load_dword v0, v[16:17], off
	s_mov_b64 s[2:3], 0
	s_waitcnt vmcnt(0)
	v_cvt_f64_u32_e32 v[0:1], v0
	s_branch .LBB81_1178
.LBB81_1176:
	s_mov_b64 s[2:3], -1
                                        ; implicit-def: $vgpr0_vgpr1
	s_branch .LBB81_1181
.LBB81_1177:
	s_mov_b64 s[2:3], -1
                                        ; implicit-def: $vgpr0_vgpr1
.LBB81_1178:
	s_andn2_b64 vcc, exec, s[2:3]
	s_cbranch_vccnz .LBB81_1180
; %bb.1179:
	global_load_ushort v0, v[16:17], off
	s_waitcnt vmcnt(0)
	v_cvt_f64_u32_e32 v[0:1], v0
.LBB81_1180:
	s_mov_b64 s[2:3], 0
.LBB81_1181:
	s_andn2_b64 vcc, exec, s[2:3]
	s_cbranch_vccnz .LBB81_1191
; %bb.1182:
	global_load_ubyte v3, v[16:17], off
	s_movk_i32 s2, 0x7f
	s_waitcnt vmcnt(0)
	v_cmp_lt_i16_e32 vcc, s2, v3
	s_mov_b64 s[2:3], 0
	s_and_saveexec_b64 s[10:11], vcc
	s_xor_b64 s[10:11], exec, s[10:11]
	s_cbranch_execz .LBB81_1186
; %bb.1183:
	s_movk_i32 s2, 0x80
	v_cmp_eq_u16_e32 vcc, s2, v3
	s_mov_b64 s[2:3], -1
	s_and_saveexec_b64 s[12:13], vcc
; %bb.1184:
	s_xor_b64 s[2:3], exec, -1
; %bb.1185:
	s_or_b64 exec, exec, s[12:13]
	s_and_b64 s[2:3], s[2:3], exec
.LBB81_1186:
	s_or_saveexec_b64 s[10:11], s[10:11]
	v_bfrev_b32_e32 v0, 4
	v_mov_b32_e32 v1, 0x7ff80000
	s_xor_b64 exec, exec, s[10:11]
; %bb.1187:
	v_cmp_ne_u16_e32 vcc, 0, v3
	s_andn2_b64 s[2:3], s[2:3], exec
	s_and_b64 s[12:13], vcc, exec
	v_mov_b64_e32 v[0:1], 0
	s_or_b64 s[2:3], s[2:3], s[12:13]
; %bb.1188:
	s_or_b64 exec, exec, s[10:11]
	s_and_saveexec_b64 s[10:11], s[2:3]
	s_cbranch_execz .LBB81_1190
; %bb.1189:
	v_and_b32_e32 v1, 0xffff, v3
	v_lshlrev_b32_e32 v0, 24, v3
	v_and_b32_e32 v3, 7, v1
	v_ffbh_u32_e32 v7, v3
	v_min_u32_e32 v7, 32, v7
	v_subrev_u32_e32 v9, 28, v7
	v_bfe_u32 v5, v1, 3, 4
	v_lshlrev_b32_e32 v1, v9, v1
	v_sub_u32_e32 v7, 29, v7
	v_and_b32_e32 v1, 7, v1
	v_cmp_eq_u32_e32 vcc, 0, v5
	v_and_b32_e32 v0, 0x80000000, v0
	s_nop 0
	v_cndmask_b32_e32 v5, v5, v7, vcc
	v_cndmask_b32_e32 v1, v3, v1, vcc
	v_mov_b32_e32 v3, 0x3b800000
	v_lshlrev_b32_e32 v1, 20, v1
	v_lshl_add_u32 v3, v5, 23, v3
	v_or3_b32 v0, v0, v3, v1
	v_cvt_f64_f32_e32 v[0:1], v0
.LBB81_1190:
	s_or_b64 exec, exec, s[10:11]
.LBB81_1191:
	s_mov_b64 s[10:11], -1
.LBB81_1192:
	s_branch .LBB81_1222
.LBB81_1193:
	s_cmp_gt_i32 s15, 22
	s_cbranch_scc0 .LBB81_1205
; %bb.1194:
	s_cmp_lt_i32 s15, 24
	s_cbranch_scc1 .LBB81_1206
; %bb.1195:
	s_cmp_gt_i32 s15, 24
	s_cbranch_scc0 .LBB81_1207
; %bb.1196:
	global_load_ubyte v3, v[16:17], off
	s_movk_i32 s2, 0x7f
	s_waitcnt vmcnt(0)
	v_cmp_lt_i16_e32 vcc, s2, v3
	s_mov_b64 s[2:3], 0
	s_and_saveexec_b64 s[8:9], vcc
	s_xor_b64 s[8:9], exec, s[8:9]
	s_cbranch_execz .LBB81_1200
; %bb.1197:
	s_movk_i32 s2, 0x80
	v_cmp_eq_u16_e32 vcc, s2, v3
	s_mov_b64 s[2:3], -1
	s_and_saveexec_b64 s[10:11], vcc
; %bb.1198:
	s_xor_b64 s[2:3], exec, -1
; %bb.1199:
	s_or_b64 exec, exec, s[10:11]
	s_and_b64 s[2:3], s[2:3], exec
.LBB81_1200:
	s_or_saveexec_b64 s[8:9], s[8:9]
	v_bfrev_b32_e32 v0, 4
	v_mov_b32_e32 v1, 0x7ff80000
	s_xor_b64 exec, exec, s[8:9]
; %bb.1201:
	v_cmp_ne_u16_e32 vcc, 0, v3
	s_andn2_b64 s[2:3], s[2:3], exec
	s_and_b64 s[10:11], vcc, exec
	v_mov_b64_e32 v[0:1], 0
	s_or_b64 s[2:3], s[2:3], s[10:11]
; %bb.1202:
	s_or_b64 exec, exec, s[8:9]
	s_and_saveexec_b64 s[8:9], s[2:3]
	s_cbranch_execz .LBB81_1204
; %bb.1203:
	v_and_b32_e32 v1, 0xffff, v3
	v_lshlrev_b32_e32 v0, 24, v3
	v_and_b32_e32 v3, 3, v1
	v_ffbh_u32_e32 v7, v3
	v_min_u32_e32 v7, 32, v7
	v_subrev_u32_e32 v9, 29, v7
	v_bfe_u32 v5, v1, 2, 5
	v_lshlrev_b32_e32 v1, v9, v1
	v_sub_u32_e32 v7, 30, v7
	v_and_b32_e32 v1, 3, v1
	v_cmp_eq_u32_e32 vcc, 0, v5
	v_and_b32_e32 v0, 0x80000000, v0
	s_nop 0
	v_cndmask_b32_e32 v5, v5, v7, vcc
	v_cndmask_b32_e32 v1, v3, v1, vcc
	v_mov_b32_e32 v3, 0x37800000
	v_lshlrev_b32_e32 v1, 21, v1
	v_lshl_add_u32 v3, v5, 23, v3
	v_or3_b32 v0, v0, v3, v1
	v_cvt_f64_f32_e32 v[0:1], v0
.LBB81_1204:
	s_or_b64 exec, exec, s[8:9]
	s_mov_b64 s[2:3], 0
	s_branch .LBB81_1208
.LBB81_1205:
                                        ; implicit-def: $vgpr0_vgpr1
	s_mov_b64 s[8:9], 0
	s_branch .LBB81_1214
.LBB81_1206:
	s_mov_b64 s[2:3], -1
                                        ; implicit-def: $vgpr0_vgpr1
	s_branch .LBB81_1211
.LBB81_1207:
	s_mov_b64 s[2:3], -1
                                        ; implicit-def: $vgpr0_vgpr1
.LBB81_1208:
	s_and_b64 vcc, exec, s[2:3]
	s_cbranch_vccz .LBB81_1210
; %bb.1209:
	global_load_ubyte v0, v[16:17], off
	s_mov_b32 s2, 0x7f800000
	s_waitcnt vmcnt(0)
	v_lshlrev_b32_e32 v0, 24, v0
	v_and_b32_e32 v1, 0x7f000000, v0
	v_ffbh_u32_e32 v3, v1
	v_min_u32_e32 v3, 32, v3
	v_sub_u32_e64 v3, v3, 4 clamp
	v_lshlrev_b32_e32 v7, v3, v1
	v_lshlrev_b32_e32 v3, 23, v3
	v_lshrrev_b32_e32 v7, 4, v7
	v_add_u32_e32 v5, 0x1000000, v1
	v_sub_u32_e32 v3, v7, v3
	v_ashrrev_i32_e32 v5, 8, v5
	v_add_u32_e32 v3, 0x3c000000, v3
	v_and_or_b32 v3, v5, s2, v3
	v_cmp_ne_u32_e32 vcc, 0, v1
	s_brev_b32 s2, 1
	s_nop 0
	v_cndmask_b32_e32 v1, 0, v3, vcc
	v_and_or_b32 v0, v0, s2, v1
	v_cvt_f64_f32_e32 v[0:1], v0
.LBB81_1210:
	s_mov_b64 s[2:3], 0
.LBB81_1211:
	s_andn2_b64 vcc, exec, s[2:3]
	s_cbranch_vccnz .LBB81_1213
; %bb.1212:
	global_load_ubyte v0, v[16:17], off
	s_movk_i32 s2, 0x7f00
	s_brev_b32 s3, 16
	s_waitcnt vmcnt(0)
	v_lshlrev_b16_e32 v1, 8, v0
	v_lshlrev_b32_e32 v0, 25, v0
	v_lshrrev_b32_e32 v3, 4, v0
	v_and_or_b32 v5, v1, s2, 0.5
	v_or_b32_e32 v3, 0x70000000, v3
	v_add_f32_e32 v5, -0.5, v5
	v_mul_f32_e32 v3, 0x7800000, v3
	v_cmp_gt_u32_e32 vcc, s3, v0
	v_bfe_i32 v1, v1, 0, 16
	s_brev_b32 s2, 1
	v_cndmask_b32_e32 v0, v3, v5, vcc
	v_and_or_b32 v0, v1, s2, v0
	v_cvt_f64_f32_e32 v[0:1], v0
.LBB81_1213:
	s_mov_b64 s[10:11], -1
	s_mov_b64 s[8:9], 0
	s_cbranch_execnz .LBB81_1222
.LBB81_1214:
	s_cmp_gt_i32 s15, 14
	s_cbranch_scc0 .LBB81_1217
; %bb.1215:
	s_cmp_eq_u32 s15, 15
	s_cbranch_scc0 .LBB81_1218
; %bb.1216:
	global_load_ushort v0, v[16:17], off
	s_mov_b64 s[0:1], 0
	s_mov_b64 s[10:11], -1
	s_waitcnt vmcnt(0)
	v_lshlrev_b32_e32 v0, 16, v0
	v_cvt_f64_f32_e32 v[0:1], v0
	s_branch .LBB81_1219
.LBB81_1217:
	s_mov_b64 s[2:3], -1
                                        ; implicit-def: $vgpr0_vgpr1
	s_branch .LBB81_1220
.LBB81_1218:
	s_mov_b64 s[0:1], -1
                                        ; implicit-def: $vgpr0_vgpr1
.LBB81_1219:
	s_mov_b64 s[2:3], 0
.LBB81_1220:
	s_and_b64 vcc, exec, s[2:3]
	s_cbranch_vccz .LBB81_1222
; %bb.1221:
	s_cmp_lg_u32 s15, 11
	s_mov_b64 s[8:9], -1
	s_cselect_b64 s[0:1], -1, 0
.LBB81_1222:
	s_and_b64 vcc, exec, s[0:1]
	s_mov_b64 s[2:3], s[24:25]
	s_cbranch_vccnz .LBB81_1283
; %bb.1223:
	s_andn2_b64 vcc, exec, s[8:9]
	s_cbranch_vccnz .LBB81_1225
.LBB81_1224:
	global_load_ubyte v1, v[16:17], off
	v_mov_b32_e32 v3, 0x3ff00000
	v_mov_b32_e32 v0, 0
	s_mov_b64 s[10:11], -1
	s_waitcnt vmcnt(0)
	v_cmp_ne_u16_e32 vcc, 0, v1
	s_nop 1
	v_cndmask_b32_e32 v1, 0, v3, vcc
.LBB81_1225:
	s_branch .LBB81_1155
.LBB81_1226:
	s_and_b32 s8, 0xffff, s14
	s_cmp_lt_i32 s8, 5
	s_cbranch_scc1 .LBB81_1231
; %bb.1227:
	s_cmp_lt_i32 s8, 8
	s_cbranch_scc1 .LBB81_1232
; %bb.1228:
	;; [unrolled: 3-line block ×3, first 2 shown]
	s_cmp_gt_i32 s8, 9
	s_cbranch_scc0 .LBB81_1234
; %bb.1230:
	global_load_dwordx2 v[0:1], v[16:17], off
	s_mov_b64 s[0:1], 0
	s_branch .LBB81_1235
.LBB81_1231:
                                        ; implicit-def: $vgpr0_vgpr1
	s_branch .LBB81_1252
.LBB81_1232:
                                        ; implicit-def: $vgpr0_vgpr1
	s_branch .LBB81_1241
.LBB81_1233:
	s_mov_b64 s[0:1], -1
                                        ; implicit-def: $vgpr0_vgpr1
	s_branch .LBB81_1238
.LBB81_1234:
	s_mov_b64 s[0:1], -1
                                        ; implicit-def: $vgpr0_vgpr1
.LBB81_1235:
	s_andn2_b64 vcc, exec, s[0:1]
	s_cbranch_vccnz .LBB81_1237
; %bb.1236:
	global_load_dword v0, v[16:17], off
	s_waitcnt vmcnt(0)
	v_cvt_f64_f32_e32 v[0:1], v0
.LBB81_1237:
	s_mov_b64 s[0:1], 0
.LBB81_1238:
	s_andn2_b64 vcc, exec, s[0:1]
	s_cbranch_vccnz .LBB81_1240
; %bb.1239:
	global_load_dword v0, v[16:17], off
	s_waitcnt vmcnt(0)
	v_cvt_f32_f16_e32 v0, v0
	v_cvt_f64_f32_e32 v[0:1], v0
.LBB81_1240:
	s_cbranch_execnz .LBB81_1251
.LBB81_1241:
	s_cmp_lt_i32 s8, 6
	s_cbranch_scc1 .LBB81_1244
; %bb.1242:
	s_cmp_gt_i32 s8, 6
	s_cbranch_scc0 .LBB81_1245
; %bb.1243:
	global_load_dwordx2 v[0:1], v[16:17], off
	s_mov_b64 s[0:1], 0
	s_branch .LBB81_1246
.LBB81_1244:
	s_mov_b64 s[0:1], -1
                                        ; implicit-def: $vgpr0_vgpr1
	s_branch .LBB81_1249
.LBB81_1245:
	s_mov_b64 s[0:1], -1
                                        ; implicit-def: $vgpr0_vgpr1
.LBB81_1246:
	s_andn2_b64 vcc, exec, s[0:1]
	s_cbranch_vccnz .LBB81_1248
; %bb.1247:
	global_load_dword v0, v[16:17], off
	s_waitcnt vmcnt(0)
	v_cvt_f64_f32_e32 v[0:1], v0
.LBB81_1248:
	s_mov_b64 s[0:1], 0
.LBB81_1249:
	s_andn2_b64 vcc, exec, s[0:1]
	s_cbranch_vccnz .LBB81_1251
; %bb.1250:
	global_load_ushort v0, v[16:17], off
	s_waitcnt vmcnt(0)
	v_cvt_f32_f16_e32 v0, v0
	v_cvt_f64_f32_e32 v[0:1], v0
.LBB81_1251:
	s_cbranch_execnz .LBB81_1270
.LBB81_1252:
	s_cmp_lt_i32 s8, 2
	s_cbranch_scc1 .LBB81_1256
; %bb.1253:
	s_cmp_lt_i32 s8, 3
	s_cbranch_scc1 .LBB81_1257
; %bb.1254:
	s_cmp_gt_i32 s8, 3
	s_cbranch_scc0 .LBB81_1258
; %bb.1255:
	global_load_dwordx2 v[0:1], v[16:17], off
	s_mov_b64 s[0:1], 0
	s_waitcnt vmcnt(0)
	v_cvt_f64_i32_e32 v[18:19], v1
	v_cvt_f64_u32_e32 v[0:1], v0
	v_ldexp_f64 v[18:19], v[18:19], 32
	v_add_f64 v[0:1], v[18:19], v[0:1]
	s_branch .LBB81_1259
.LBB81_1256:
                                        ; implicit-def: $vgpr0_vgpr1
	s_branch .LBB81_1265
.LBB81_1257:
	s_mov_b64 s[0:1], -1
                                        ; implicit-def: $vgpr0_vgpr1
	s_branch .LBB81_1262
.LBB81_1258:
	s_mov_b64 s[0:1], -1
                                        ; implicit-def: $vgpr0_vgpr1
.LBB81_1259:
	s_andn2_b64 vcc, exec, s[0:1]
	s_cbranch_vccnz .LBB81_1261
; %bb.1260:
	global_load_dword v0, v[16:17], off
	s_waitcnt vmcnt(0)
	v_cvt_f64_i32_e32 v[0:1], v0
.LBB81_1261:
	s_mov_b64 s[0:1], 0
.LBB81_1262:
	s_andn2_b64 vcc, exec, s[0:1]
	s_cbranch_vccnz .LBB81_1264
; %bb.1263:
	global_load_sshort v0, v[16:17], off
	s_waitcnt vmcnt(0)
	v_cvt_f64_i32_e32 v[0:1], v0
.LBB81_1264:
	s_cbranch_execnz .LBB81_1270
.LBB81_1265:
	s_cmp_gt_i32 s8, 0
	s_cbranch_scc0 .LBB81_1267
; %bb.1266:
	global_load_sbyte v0, v[16:17], off
	s_mov_b64 s[0:1], 0
	s_waitcnt vmcnt(0)
	v_cvt_f64_i32_e32 v[0:1], v0
	s_branch .LBB81_1268
.LBB81_1267:
	s_mov_b64 s[0:1], -1
                                        ; implicit-def: $vgpr0_vgpr1
.LBB81_1268:
	s_andn2_b64 vcc, exec, s[0:1]
	s_cbranch_vccnz .LBB81_1270
; %bb.1269:
	global_load_ubyte v0, v[16:17], off
	s_waitcnt vmcnt(0)
	v_cvt_f64_u32_e32 v[0:1], v0
.LBB81_1270:
.LBB81_1271:
	s_lshr_b32 s0, s16, 16
	v_mov_b32_e32 v15, 0
	s_and_b32 s17, s0, 0xff
	s_cmp_lt_i32 s17, 11
	v_lshl_add_u64 v[16:17], s[6:7], 0, v[14:15]
	s_cbranch_scc1 .LBB81_1278
; %bb.1272:
	s_and_b32 s18, 0xffff, s17
	s_cmp_gt_i32 s18, 25
	s_mov_b64 s[8:9], 0
	s_cbranch_scc0 .LBB81_1280
; %bb.1273:
	s_cmp_gt_i32 s18, 28
	s_cbranch_scc0 .LBB81_1281
; %bb.1274:
	s_cmp_gt_i32 s18, 43
	s_cbranch_scc0 .LBB81_1282
; %bb.1275:
	s_cmp_gt_i32 s18, 45
	s_cbranch_scc0 .LBB81_1284
; %bb.1276:
	s_cmp_eq_u32 s18, 46
	s_mov_b64 s[12:13], 0
	s_cbranch_scc0 .LBB81_1287
; %bb.1277:
	global_load_dword v3, v[16:17], off
	s_mov_b64 s[0:1], 0
	s_mov_b64 s[10:11], -1
	s_waitcnt vmcnt(0)
	v_lshlrev_b32_e32 v3, 16, v3
	v_cvt_f64_f32_e32 v[14:15], v3
	s_branch .LBB81_1288
.LBB81_1278:
	s_mov_b64 s[10:11], 0
                                        ; implicit-def: $vgpr14_vgpr15
	s_cbranch_execnz .LBB81_1353
.LBB81_1279:
	s_andn2_b64 vcc, exec, s[10:11]
	s_cbranch_vccnz .LBB81_2092
	s_branch .LBB81_1400
.LBB81_1280:
	s_mov_b64 s[10:11], 0
	s_mov_b64 s[0:1], 0
                                        ; implicit-def: $vgpr14_vgpr15
	s_cbranch_execnz .LBB81_1319
	s_branch .LBB81_1349
.LBB81_1281:
	s_mov_b64 s[12:13], -1
	s_mov_b64 s[10:11], 0
	s_mov_b64 s[0:1], 0
                                        ; implicit-def: $vgpr14_vgpr15
	s_branch .LBB81_1298
.LBB81_1282:
	s_mov_b64 s[12:13], -1
	s_mov_b64 s[10:11], 0
	s_mov_b64 s[0:1], 0
                                        ; implicit-def: $vgpr14_vgpr15
	s_branch .LBB81_1293
.LBB81_1283:
	s_or_b64 s[2:3], s[24:25], exec
	s_trap 2
	s_cbranch_execz .LBB81_1224
	s_branch .LBB81_1225
.LBB81_1284:
	s_mov_b64 s[12:13], -1
	s_mov_b64 s[10:11], 0
	s_mov_b64 s[0:1], 0
                                        ; implicit-def: $vgpr14_vgpr15
	s_branch .LBB81_1288
.LBB81_1285:
	s_andn2_saveexec_b64 s[14:15], s[14:15]
	s_cbranch_execz .LBB81_1011
.LBB81_1286:
	s_mov_b32 s18, 0x42800000
	v_add_f32_e64 v3, |v2|, s18
	v_and_b32_e32 v3, 0xff, v3
	v_cmp_ne_u32_e32 vcc, 0, v3
	s_andn2_b64 s[12:13], s[12:13], exec
	s_and_b64 s[18:19], vcc, exec
	s_or_b64 s[12:13], s[12:13], s[18:19]
	s_or_b64 exec, exec, s[14:15]
	v_mov_b32_e32 v6, 0
	s_and_saveexec_b64 s[14:15], s[12:13]
	s_cbranch_execnz .LBB81_1012
	s_branch .LBB81_1013
.LBB81_1287:
	s_mov_b64 s[0:1], -1
                                        ; implicit-def: $vgpr14_vgpr15
	s_mov_b64 s[10:11], 0
.LBB81_1288:
	s_and_b64 vcc, exec, s[12:13]
	s_cbranch_vccz .LBB81_1292
; %bb.1289:
	s_cmp_eq_u32 s18, 44
	s_cbranch_scc0 .LBB81_1291
; %bb.1290:
	global_load_ubyte v3, v[16:17], off
	s_movk_i32 s10, 0xff
	s_waitcnt vmcnt(1)
	v_bfrev_b32_e32 v5, 4
	v_mov_b32_e32 v7, 0x7ff80000
	v_bfrev_b32_e32 v9, 28
	s_mov_b64 s[0:1], 0
	s_waitcnt vmcnt(0)
	v_lshlrev_b32_e32 v11, 23, v3
	v_cvt_f64_f32_e32 v[14:15], v11
	v_cmp_ne_u32_e32 vcc, s10, v3
	s_mov_b64 s[10:11], -1
	s_nop 0
	v_cndmask_b32_e32 v5, v5, v14, vcc
	v_cndmask_b32_e32 v7, v7, v15, vcc
	v_cmp_ne_u32_e32 vcc, 0, v3
	s_nop 1
	v_cndmask_b32_e32 v15, v9, v7, vcc
	v_cndmask_b32_e32 v14, 0, v5, vcc
	s_branch .LBB81_1292
.LBB81_1291:
	s_mov_b64 s[0:1], -1
                                        ; implicit-def: $vgpr14_vgpr15
.LBB81_1292:
	s_mov_b64 s[12:13], 0
.LBB81_1293:
	s_and_b64 vcc, exec, s[12:13]
	s_cbranch_vccz .LBB81_1297
; %bb.1294:
	s_cmp_eq_u32 s18, 29
	s_cbranch_scc0 .LBB81_1296
; %bb.1295:
	global_load_dwordx2 v[14:15], v[16:17], off
	s_mov_b64 s[0:1], 0
	s_mov_b64 s[10:11], -1
	s_mov_b64 s[12:13], 0
	s_waitcnt vmcnt(0)
	v_cvt_f64_u32_e32 v[18:19], v15
	v_cvt_f64_u32_e32 v[14:15], v14
	v_ldexp_f64 v[18:19], v[18:19], 32
	v_add_f64 v[14:15], v[18:19], v[14:15]
	s_branch .LBB81_1298
.LBB81_1296:
	s_mov_b64 s[0:1], -1
                                        ; implicit-def: $vgpr14_vgpr15
.LBB81_1297:
	s_mov_b64 s[12:13], 0
.LBB81_1298:
	s_and_b64 vcc, exec, s[12:13]
	s_cbranch_vccz .LBB81_1318
; %bb.1299:
	s_cmp_lt_i32 s18, 27
	s_cbranch_scc1 .LBB81_1302
; %bb.1300:
	s_cmp_gt_i32 s18, 27
	s_cbranch_scc0 .LBB81_1303
; %bb.1301:
	global_load_dword v3, v[16:17], off
	s_mov_b64 s[10:11], 0
	s_waitcnt vmcnt(0)
	v_cvt_f64_u32_e32 v[14:15], v3
	s_branch .LBB81_1304
.LBB81_1302:
	s_mov_b64 s[10:11], -1
                                        ; implicit-def: $vgpr14_vgpr15
	s_branch .LBB81_1307
.LBB81_1303:
	s_mov_b64 s[10:11], -1
                                        ; implicit-def: $vgpr14_vgpr15
.LBB81_1304:
	s_andn2_b64 vcc, exec, s[10:11]
	s_cbranch_vccnz .LBB81_1306
; %bb.1305:
	global_load_ushort v3, v[16:17], off
	s_waitcnt vmcnt(0)
	v_cvt_f64_u32_e32 v[14:15], v3
.LBB81_1306:
	s_mov_b64 s[10:11], 0
.LBB81_1307:
	s_andn2_b64 vcc, exec, s[10:11]
	s_cbranch_vccnz .LBB81_1317
; %bb.1308:
	global_load_ubyte v3, v[16:17], off
	s_movk_i32 s10, 0x7f
	s_waitcnt vmcnt(0)
	v_cmp_lt_i16_e32 vcc, s10, v3
	s_mov_b64 s[10:11], 0
	s_and_saveexec_b64 s[12:13], vcc
	s_xor_b64 s[12:13], exec, s[12:13]
	s_cbranch_execz .LBB81_1312
; %bb.1309:
	s_movk_i32 s10, 0x80
	v_cmp_eq_u16_e32 vcc, s10, v3
	s_mov_b64 s[10:11], -1
	s_and_saveexec_b64 s[14:15], vcc
; %bb.1310:
	s_xor_b64 s[10:11], exec, -1
; %bb.1311:
	s_or_b64 exec, exec, s[14:15]
	s_and_b64 s[10:11], s[10:11], exec
.LBB81_1312:
	s_or_saveexec_b64 s[12:13], s[12:13]
	v_bfrev_b32_e32 v14, 4
	v_mov_b32_e32 v15, 0x7ff80000
	s_xor_b64 exec, exec, s[12:13]
; %bb.1313:
	v_cmp_ne_u16_e32 vcc, 0, v3
	s_andn2_b64 s[10:11], s[10:11], exec
	s_and_b64 s[14:15], vcc, exec
	v_mov_b64_e32 v[14:15], 0
	s_or_b64 s[10:11], s[10:11], s[14:15]
; %bb.1314:
	s_or_b64 exec, exec, s[12:13]
	s_and_saveexec_b64 s[12:13], s[10:11]
	s_cbranch_execz .LBB81_1316
; %bb.1315:
	v_lshlrev_b32_e32 v5, 24, v3
	v_and_b32_e32 v3, 0xffff, v3
	v_and_b32_e32 v7, 7, v3
	v_ffbh_u32_e32 v11, v7
	v_min_u32_e32 v11, 32, v11
	v_subrev_u32_e32 v13, 28, v11
	v_bfe_u32 v9, v3, 3, 4
	v_lshlrev_b32_e32 v3, v13, v3
	v_sub_u32_e32 v11, 29, v11
	v_and_b32_e32 v3, 7, v3
	v_cmp_eq_u32_e32 vcc, 0, v9
	v_and_b32_e32 v5, 0x80000000, v5
	s_nop 0
	v_cndmask_b32_e32 v9, v9, v11, vcc
	v_cndmask_b32_e32 v3, v7, v3, vcc
	v_mov_b32_e32 v7, 0x3b800000
	v_lshlrev_b32_e32 v3, 20, v3
	v_lshl_add_u32 v7, v9, 23, v7
	v_or3_b32 v3, v5, v7, v3
	v_cvt_f64_f32_e32 v[14:15], v3
.LBB81_1316:
	s_or_b64 exec, exec, s[12:13]
.LBB81_1317:
	s_mov_b64 s[10:11], -1
.LBB81_1318:
	s_branch .LBB81_1349
.LBB81_1319:
	s_cmp_gt_i32 s18, 22
	s_cbranch_scc0 .LBB81_1331
; %bb.1320:
	s_cmp_lt_i32 s18, 24
	s_cbranch_scc1 .LBB81_1332
; %bb.1321:
	s_cmp_gt_i32 s18, 24
	s_cbranch_scc0 .LBB81_1333
; %bb.1322:
	global_load_ubyte v3, v[16:17], off
	s_movk_i32 s8, 0x7f
	s_waitcnt vmcnt(0)
	v_cmp_lt_i16_e32 vcc, s8, v3
	s_mov_b64 s[8:9], 0
	s_and_saveexec_b64 s[10:11], vcc
	s_xor_b64 s[10:11], exec, s[10:11]
	s_cbranch_execz .LBB81_1326
; %bb.1323:
	s_movk_i32 s8, 0x80
	v_cmp_eq_u16_e32 vcc, s8, v3
	s_mov_b64 s[8:9], -1
	s_and_saveexec_b64 s[12:13], vcc
; %bb.1324:
	s_xor_b64 s[8:9], exec, -1
; %bb.1325:
	s_or_b64 exec, exec, s[12:13]
	s_and_b64 s[8:9], s[8:9], exec
.LBB81_1326:
	s_or_saveexec_b64 s[10:11], s[10:11]
	v_bfrev_b32_e32 v14, 4
	v_mov_b32_e32 v15, 0x7ff80000
	s_xor_b64 exec, exec, s[10:11]
; %bb.1327:
	v_cmp_ne_u16_e32 vcc, 0, v3
	s_andn2_b64 s[8:9], s[8:9], exec
	s_and_b64 s[12:13], vcc, exec
	v_mov_b64_e32 v[14:15], 0
	s_or_b64 s[8:9], s[8:9], s[12:13]
; %bb.1328:
	s_or_b64 exec, exec, s[10:11]
	s_and_saveexec_b64 s[10:11], s[8:9]
	s_cbranch_execz .LBB81_1330
; %bb.1329:
	v_lshlrev_b32_e32 v5, 24, v3
	v_and_b32_e32 v3, 0xffff, v3
	v_and_b32_e32 v7, 3, v3
	v_ffbh_u32_e32 v11, v7
	v_min_u32_e32 v11, 32, v11
	v_subrev_u32_e32 v13, 29, v11
	v_bfe_u32 v9, v3, 2, 5
	v_lshlrev_b32_e32 v3, v13, v3
	v_sub_u32_e32 v11, 30, v11
	v_and_b32_e32 v3, 3, v3
	v_cmp_eq_u32_e32 vcc, 0, v9
	v_and_b32_e32 v5, 0x80000000, v5
	s_nop 0
	v_cndmask_b32_e32 v9, v9, v11, vcc
	v_cndmask_b32_e32 v3, v7, v3, vcc
	v_mov_b32_e32 v7, 0x37800000
	v_lshlrev_b32_e32 v3, 21, v3
	v_lshl_add_u32 v7, v9, 23, v7
	v_or3_b32 v3, v5, v7, v3
	v_cvt_f64_f32_e32 v[14:15], v3
.LBB81_1330:
	s_or_b64 exec, exec, s[10:11]
	s_mov_b64 s[8:9], 0
	s_branch .LBB81_1334
.LBB81_1331:
	s_mov_b64 s[8:9], -1
                                        ; implicit-def: $vgpr14_vgpr15
	s_branch .LBB81_1340
.LBB81_1332:
	s_mov_b64 s[8:9], -1
                                        ; implicit-def: $vgpr14_vgpr15
	s_branch .LBB81_1337
.LBB81_1333:
	s_mov_b64 s[8:9], -1
                                        ; implicit-def: $vgpr14_vgpr15
.LBB81_1334:
	s_and_b64 vcc, exec, s[8:9]
	s_cbranch_vccz .LBB81_1336
; %bb.1335:
	global_load_ubyte v3, v[16:17], off
	s_mov_b32 s8, 0x7f800000
	s_waitcnt vmcnt(0)
	v_lshlrev_b32_e32 v3, 24, v3
	v_and_b32_e32 v5, 0x7f000000, v3
	v_ffbh_u32_e32 v7, v5
	v_min_u32_e32 v7, 32, v7
	v_sub_u32_e64 v7, v7, 4 clamp
	v_lshlrev_b32_e32 v11, v7, v5
	v_lshlrev_b32_e32 v7, 23, v7
	v_lshrrev_b32_e32 v11, 4, v11
	v_add_u32_e32 v9, 0x1000000, v5
	v_sub_u32_e32 v7, v11, v7
	v_ashrrev_i32_e32 v9, 8, v9
	v_add_u32_e32 v7, 0x3c000000, v7
	v_and_or_b32 v7, v9, s8, v7
	v_cmp_ne_u32_e32 vcc, 0, v5
	s_brev_b32 s8, 1
	s_nop 0
	v_cndmask_b32_e32 v5, 0, v7, vcc
	v_and_or_b32 v3, v3, s8, v5
	v_cvt_f64_f32_e32 v[14:15], v3
.LBB81_1336:
	s_mov_b64 s[8:9], 0
.LBB81_1337:
	s_andn2_b64 vcc, exec, s[8:9]
	s_cbranch_vccnz .LBB81_1339
; %bb.1338:
	global_load_ubyte v3, v[16:17], off
	s_movk_i32 s8, 0x7f00
	s_brev_b32 s9, 16
	s_waitcnt vmcnt(0)
	v_lshlrev_b16_e32 v5, 8, v3
	v_lshlrev_b32_e32 v3, 25, v3
	v_lshrrev_b32_e32 v7, 4, v3
	v_and_or_b32 v9, v5, s8, 0.5
	v_or_b32_e32 v7, 0x70000000, v7
	v_add_f32_e32 v9, -0.5, v9
	v_mul_f32_e32 v7, 0x7800000, v7
	v_cmp_gt_u32_e32 vcc, s9, v3
	v_bfe_i32 v5, v5, 0, 16
	s_brev_b32 s8, 1
	v_cndmask_b32_e32 v3, v7, v9, vcc
	v_and_or_b32 v3, v5, s8, v3
	v_cvt_f64_f32_e32 v[14:15], v3
.LBB81_1339:
	s_mov_b64 s[8:9], 0
	s_mov_b64 s[10:11], -1
.LBB81_1340:
	s_andn2_b64 vcc, exec, s[8:9]
	s_mov_b64 s[8:9], 0
	s_cbranch_vccnz .LBB81_1349
; %bb.1341:
	s_cmp_gt_i32 s18, 14
	s_cbranch_scc0 .LBB81_1344
; %bb.1342:
	s_cmp_eq_u32 s18, 15
	s_cbranch_scc0 .LBB81_1345
; %bb.1343:
	global_load_ushort v3, v[16:17], off
	s_mov_b64 s[0:1], 0
	s_mov_b64 s[10:11], -1
	s_waitcnt vmcnt(0)
	v_lshlrev_b32_e32 v3, 16, v3
	v_cvt_f64_f32_e32 v[14:15], v3
	s_branch .LBB81_1346
.LBB81_1344:
	s_mov_b64 s[12:13], -1
                                        ; implicit-def: $vgpr14_vgpr15
	s_branch .LBB81_1347
.LBB81_1345:
	s_mov_b64 s[0:1], -1
                                        ; implicit-def: $vgpr14_vgpr15
.LBB81_1346:
	s_mov_b64 s[12:13], 0
.LBB81_1347:
	s_and_b64 vcc, exec, s[12:13]
	s_cbranch_vccz .LBB81_1349
; %bb.1348:
	s_cmp_lg_u32 s18, 11
	s_mov_b64 s[8:9], -1
	s_cselect_b64 s[0:1], -1, 0
.LBB81_1349:
	s_and_b64 vcc, exec, s[0:1]
	s_cbranch_vccnz .LBB81_1412
; %bb.1350:
	s_andn2_b64 vcc, exec, s[8:9]
	s_cbranch_vccnz .LBB81_1352
.LBB81_1351:
	global_load_ubyte v3, v[16:17], off
	s_waitcnt vmcnt(1)
	v_mov_b32_e32 v5, 0x3ff00000
	v_mov_b32_e32 v14, 0
	s_mov_b64 s[10:11], -1
	s_waitcnt vmcnt(0)
	v_cmp_ne_u16_e32 vcc, 0, v3
	s_nop 1
	v_cndmask_b32_e32 v15, 0, v5, vcc
.LBB81_1352:
	s_branch .LBB81_1279
.LBB81_1353:
	s_and_b32 s8, 0xffff, s17
	s_cmp_lt_i32 s8, 5
	s_cbranch_scc1 .LBB81_1358
; %bb.1354:
	s_cmp_lt_i32 s8, 8
	s_cbranch_scc1 .LBB81_1359
; %bb.1355:
	;; [unrolled: 3-line block ×3, first 2 shown]
	s_cmp_gt_i32 s8, 9
	s_cbranch_scc0 .LBB81_1361
; %bb.1357:
	global_load_dwordx2 v[14:15], v[16:17], off
	s_mov_b64 s[0:1], 0
	s_branch .LBB81_1362
.LBB81_1358:
                                        ; implicit-def: $vgpr14_vgpr15
	s_branch .LBB81_1380
.LBB81_1359:
	s_mov_b64 s[0:1], -1
                                        ; implicit-def: $vgpr14_vgpr15
	s_branch .LBB81_1368
.LBB81_1360:
	s_mov_b64 s[0:1], -1
                                        ; implicit-def: $vgpr14_vgpr15
	s_branch .LBB81_1365
.LBB81_1361:
	s_mov_b64 s[0:1], -1
                                        ; implicit-def: $vgpr14_vgpr15
.LBB81_1362:
	s_andn2_b64 vcc, exec, s[0:1]
	s_cbranch_vccnz .LBB81_1364
; %bb.1363:
	global_load_dword v3, v[16:17], off
	s_waitcnt vmcnt(0)
	v_cvt_f64_f32_e32 v[14:15], v3
.LBB81_1364:
	s_mov_b64 s[0:1], 0
.LBB81_1365:
	s_andn2_b64 vcc, exec, s[0:1]
	s_cbranch_vccnz .LBB81_1367
; %bb.1366:
	global_load_dword v3, v[16:17], off
	s_waitcnt vmcnt(0)
	v_cvt_f32_f16_e32 v3, v3
	v_cvt_f64_f32_e32 v[14:15], v3
.LBB81_1367:
	s_mov_b64 s[0:1], 0
.LBB81_1368:
	s_andn2_b64 vcc, exec, s[0:1]
	s_cbranch_vccnz .LBB81_1379
; %bb.1369:
	s_cmp_lt_i32 s8, 6
	s_cbranch_scc1 .LBB81_1372
; %bb.1370:
	s_cmp_gt_i32 s8, 6
	s_cbranch_scc0 .LBB81_1373
; %bb.1371:
	global_load_dwordx2 v[14:15], v[16:17], off
	s_mov_b64 s[0:1], 0
	s_branch .LBB81_1374
.LBB81_1372:
	s_mov_b64 s[0:1], -1
                                        ; implicit-def: $vgpr14_vgpr15
	s_branch .LBB81_1377
.LBB81_1373:
	s_mov_b64 s[0:1], -1
                                        ; implicit-def: $vgpr14_vgpr15
.LBB81_1374:
	s_andn2_b64 vcc, exec, s[0:1]
	s_cbranch_vccnz .LBB81_1376
; %bb.1375:
	global_load_dword v3, v[16:17], off
	s_waitcnt vmcnt(0)
	v_cvt_f64_f32_e32 v[14:15], v3
.LBB81_1376:
	s_mov_b64 s[0:1], 0
.LBB81_1377:
	s_andn2_b64 vcc, exec, s[0:1]
	s_cbranch_vccnz .LBB81_1379
; %bb.1378:
	global_load_ushort v3, v[16:17], off
	s_waitcnt vmcnt(0)
	v_cvt_f32_f16_e32 v3, v3
	v_cvt_f64_f32_e32 v[14:15], v3
.LBB81_1379:
	s_cbranch_execnz .LBB81_1399
.LBB81_1380:
	s_cmp_lt_i32 s8, 2
	s_cbranch_scc1 .LBB81_1384
; %bb.1381:
	s_cmp_lt_i32 s8, 3
	s_cbranch_scc1 .LBB81_1385
; %bb.1382:
	s_cmp_gt_i32 s8, 3
	s_cbranch_scc0 .LBB81_1386
; %bb.1383:
	global_load_dwordx2 v[14:15], v[16:17], off
	s_mov_b64 s[0:1], 0
	s_waitcnt vmcnt(0)
	v_cvt_f64_i32_e32 v[18:19], v15
	v_cvt_f64_u32_e32 v[14:15], v14
	v_ldexp_f64 v[18:19], v[18:19], 32
	v_add_f64 v[14:15], v[18:19], v[14:15]
	s_branch .LBB81_1387
.LBB81_1384:
	s_mov_b64 s[0:1], -1
                                        ; implicit-def: $vgpr14_vgpr15
	s_branch .LBB81_1393
.LBB81_1385:
	s_mov_b64 s[0:1], -1
                                        ; implicit-def: $vgpr14_vgpr15
	s_branch .LBB81_1390
.LBB81_1386:
	s_mov_b64 s[0:1], -1
                                        ; implicit-def: $vgpr14_vgpr15
.LBB81_1387:
	s_andn2_b64 vcc, exec, s[0:1]
	s_cbranch_vccnz .LBB81_1389
; %bb.1388:
	global_load_dword v3, v[16:17], off
	s_waitcnt vmcnt(0)
	v_cvt_f64_i32_e32 v[14:15], v3
.LBB81_1389:
	s_mov_b64 s[0:1], 0
.LBB81_1390:
	s_andn2_b64 vcc, exec, s[0:1]
	s_cbranch_vccnz .LBB81_1392
; %bb.1391:
	global_load_sshort v3, v[16:17], off
	s_waitcnt vmcnt(0)
	v_cvt_f64_i32_e32 v[14:15], v3
.LBB81_1392:
	s_mov_b64 s[0:1], 0
.LBB81_1393:
	s_andn2_b64 vcc, exec, s[0:1]
	s_cbranch_vccnz .LBB81_1399
; %bb.1394:
	s_cmp_gt_i32 s8, 0
	s_cbranch_scc0 .LBB81_1396
; %bb.1395:
	global_load_sbyte v3, v[16:17], off
	s_mov_b64 s[0:1], 0
	s_waitcnt vmcnt(0)
	v_cvt_f64_i32_e32 v[14:15], v3
	s_branch .LBB81_1397
.LBB81_1396:
	s_mov_b64 s[0:1], -1
                                        ; implicit-def: $vgpr14_vgpr15
.LBB81_1397:
	s_andn2_b64 vcc, exec, s[0:1]
	s_cbranch_vccnz .LBB81_1399
; %bb.1398:
	global_load_ubyte v3, v[16:17], off
	s_waitcnt vmcnt(0)
	v_cvt_f64_u32_e32 v[14:15], v3
.LBB81_1399:
.LBB81_1400:
	v_mov_b32_e32 v13, 0
	s_cmp_lt_i32 s17, 11
	v_lshl_add_u64 v[16:17], s[6:7], 0, v[12:13]
	s_cbranch_scc1 .LBB81_1407
; %bb.1401:
	s_and_b32 s18, 0xffff, s17
	s_cmp_gt_i32 s18, 25
	s_mov_b64 s[8:9], 0
	s_cbranch_scc0 .LBB81_1409
; %bb.1402:
	s_cmp_gt_i32 s18, 28
	s_cbranch_scc0 .LBB81_1410
; %bb.1403:
	s_cmp_gt_i32 s18, 43
	;; [unrolled: 3-line block ×3, first 2 shown]
	s_cbranch_scc0 .LBB81_1413
; %bb.1405:
	s_cmp_eq_u32 s18, 46
	s_mov_b64 s[12:13], 0
	s_cbranch_scc0 .LBB81_1414
; %bb.1406:
	global_load_dword v3, v[16:17], off
	s_mov_b64 s[0:1], 0
	s_mov_b64 s[10:11], -1
	s_waitcnt vmcnt(0)
	v_lshlrev_b32_e32 v3, 16, v3
	v_cvt_f64_f32_e32 v[12:13], v3
	s_branch .LBB81_1415
.LBB81_1407:
	s_mov_b64 s[10:11], 0
                                        ; implicit-def: $vgpr12_vgpr13
	s_cbranch_execnz .LBB81_1481
.LBB81_1408:
	s_andn2_b64 vcc, exec, s[10:11]
	s_cbranch_vccnz .LBB81_2092
	s_branch .LBB81_1529
.LBB81_1409:
	s_mov_b64 s[12:13], -1
	s_mov_b64 s[10:11], 0
	s_mov_b64 s[0:1], 0
                                        ; implicit-def: $vgpr12_vgpr13
	s_branch .LBB81_1446
.LBB81_1410:
	s_mov_b64 s[12:13], -1
	s_mov_b64 s[10:11], 0
	s_mov_b64 s[0:1], 0
                                        ; implicit-def: $vgpr12_vgpr13
	s_branch .LBB81_1425
.LBB81_1411:
	s_mov_b64 s[12:13], -1
	s_mov_b64 s[10:11], 0
	s_mov_b64 s[0:1], 0
                                        ; implicit-def: $vgpr12_vgpr13
	s_branch .LBB81_1420
.LBB81_1412:
	s_trap 2
	s_or_b64 s[2:3], s[2:3], exec
	s_cbranch_execz .LBB81_1351
	s_branch .LBB81_1352
.LBB81_1413:
	s_mov_b64 s[12:13], -1
	s_mov_b64 s[10:11], 0
	s_mov_b64 s[0:1], 0
                                        ; implicit-def: $vgpr12_vgpr13
	s_branch .LBB81_1415
.LBB81_1414:
	s_mov_b64 s[0:1], -1
                                        ; implicit-def: $vgpr12_vgpr13
	s_mov_b64 s[10:11], 0
.LBB81_1415:
	s_and_b64 vcc, exec, s[12:13]
	s_cbranch_vccz .LBB81_1419
; %bb.1416:
	s_cmp_eq_u32 s18, 44
	s_cbranch_scc0 .LBB81_1418
; %bb.1417:
	global_load_ubyte v3, v[16:17], off
	s_movk_i32 s10, 0xff
	s_waitcnt vmcnt(1)
	v_bfrev_b32_e32 v5, 4
	v_mov_b32_e32 v7, 0x7ff80000
	v_bfrev_b32_e32 v9, 28
	s_mov_b64 s[0:1], 0
	s_waitcnt vmcnt(0)
	v_lshlrev_b32_e32 v11, 23, v3
	v_cvt_f64_f32_e32 v[12:13], v11
	v_cmp_ne_u32_e32 vcc, s10, v3
	s_mov_b64 s[10:11], -1
	s_nop 0
	v_cndmask_b32_e32 v5, v5, v12, vcc
	v_cndmask_b32_e32 v7, v7, v13, vcc
	v_cmp_ne_u32_e32 vcc, 0, v3
	s_nop 1
	v_cndmask_b32_e32 v13, v9, v7, vcc
	v_cndmask_b32_e32 v12, 0, v5, vcc
	s_branch .LBB81_1419
.LBB81_1418:
	s_mov_b64 s[0:1], -1
                                        ; implicit-def: $vgpr12_vgpr13
.LBB81_1419:
	s_mov_b64 s[12:13], 0
.LBB81_1420:
	s_and_b64 vcc, exec, s[12:13]
	s_cbranch_vccz .LBB81_1424
; %bb.1421:
	s_cmp_eq_u32 s18, 29
	s_cbranch_scc0 .LBB81_1423
; %bb.1422:
	global_load_dwordx2 v[12:13], v[16:17], off
	s_mov_b64 s[0:1], 0
	s_mov_b64 s[10:11], -1
	s_mov_b64 s[12:13], 0
	s_waitcnt vmcnt(0)
	v_cvt_f64_u32_e32 v[18:19], v13
	v_cvt_f64_u32_e32 v[12:13], v12
	v_ldexp_f64 v[18:19], v[18:19], 32
	v_add_f64 v[12:13], v[18:19], v[12:13]
	s_branch .LBB81_1425
.LBB81_1423:
	s_mov_b64 s[0:1], -1
                                        ; implicit-def: $vgpr12_vgpr13
.LBB81_1424:
	s_mov_b64 s[12:13], 0
.LBB81_1425:
	s_and_b64 vcc, exec, s[12:13]
	s_cbranch_vccz .LBB81_1445
; %bb.1426:
	s_cmp_lt_i32 s18, 27
	s_cbranch_scc1 .LBB81_1429
; %bb.1427:
	s_cmp_gt_i32 s18, 27
	s_cbranch_scc0 .LBB81_1430
; %bb.1428:
	global_load_dword v3, v[16:17], off
	s_mov_b64 s[10:11], 0
	s_waitcnt vmcnt(0)
	v_cvt_f64_u32_e32 v[12:13], v3
	s_branch .LBB81_1431
.LBB81_1429:
	s_mov_b64 s[10:11], -1
                                        ; implicit-def: $vgpr12_vgpr13
	s_branch .LBB81_1434
.LBB81_1430:
	s_mov_b64 s[10:11], -1
                                        ; implicit-def: $vgpr12_vgpr13
.LBB81_1431:
	s_andn2_b64 vcc, exec, s[10:11]
	s_cbranch_vccnz .LBB81_1433
; %bb.1432:
	global_load_ushort v3, v[16:17], off
	s_waitcnt vmcnt(0)
	v_cvt_f64_u32_e32 v[12:13], v3
.LBB81_1433:
	s_mov_b64 s[10:11], 0
.LBB81_1434:
	s_andn2_b64 vcc, exec, s[10:11]
	s_cbranch_vccnz .LBB81_1444
; %bb.1435:
	global_load_ubyte v3, v[16:17], off
	s_movk_i32 s10, 0x7f
	s_waitcnt vmcnt(0)
	v_cmp_lt_i16_e32 vcc, s10, v3
	s_mov_b64 s[10:11], 0
	s_and_saveexec_b64 s[12:13], vcc
	s_xor_b64 s[12:13], exec, s[12:13]
	s_cbranch_execz .LBB81_1439
; %bb.1436:
	s_movk_i32 s10, 0x80
	v_cmp_eq_u16_e32 vcc, s10, v3
	s_mov_b64 s[10:11], -1
	s_and_saveexec_b64 s[14:15], vcc
; %bb.1437:
	s_xor_b64 s[10:11], exec, -1
; %bb.1438:
	s_or_b64 exec, exec, s[14:15]
	s_and_b64 s[10:11], s[10:11], exec
.LBB81_1439:
	s_or_saveexec_b64 s[12:13], s[12:13]
	v_bfrev_b32_e32 v12, 4
	v_mov_b32_e32 v13, 0x7ff80000
	s_xor_b64 exec, exec, s[12:13]
; %bb.1440:
	v_cmp_ne_u16_e32 vcc, 0, v3
	s_andn2_b64 s[10:11], s[10:11], exec
	s_and_b64 s[14:15], vcc, exec
	v_mov_b64_e32 v[12:13], 0
	s_or_b64 s[10:11], s[10:11], s[14:15]
; %bb.1441:
	s_or_b64 exec, exec, s[12:13]
	s_and_saveexec_b64 s[12:13], s[10:11]
	s_cbranch_execz .LBB81_1443
; %bb.1442:
	v_lshlrev_b32_e32 v5, 24, v3
	v_and_b32_e32 v3, 0xffff, v3
	v_and_b32_e32 v7, 7, v3
	v_ffbh_u32_e32 v11, v7
	v_min_u32_e32 v11, 32, v11
	v_subrev_u32_e32 v12, 28, v11
	v_bfe_u32 v9, v3, 3, 4
	v_lshlrev_b32_e32 v3, v12, v3
	v_sub_u32_e32 v11, 29, v11
	v_and_b32_e32 v3, 7, v3
	v_cmp_eq_u32_e32 vcc, 0, v9
	v_and_b32_e32 v5, 0x80000000, v5
	s_nop 0
	v_cndmask_b32_e32 v9, v9, v11, vcc
	v_cndmask_b32_e32 v3, v7, v3, vcc
	v_mov_b32_e32 v7, 0x3b800000
	v_lshlrev_b32_e32 v3, 20, v3
	v_lshl_add_u32 v7, v9, 23, v7
	v_or3_b32 v3, v5, v7, v3
	v_cvt_f64_f32_e32 v[12:13], v3
.LBB81_1443:
	s_or_b64 exec, exec, s[12:13]
.LBB81_1444:
	s_mov_b64 s[10:11], -1
.LBB81_1445:
	s_mov_b64 s[12:13], 0
.LBB81_1446:
	s_and_b64 vcc, exec, s[12:13]
	s_cbranch_vccz .LBB81_1477
; %bb.1447:
	s_cmp_gt_i32 s18, 22
	s_cbranch_scc0 .LBB81_1459
; %bb.1448:
	s_cmp_lt_i32 s18, 24
	s_cbranch_scc1 .LBB81_1460
; %bb.1449:
	s_cmp_gt_i32 s18, 24
	s_cbranch_scc0 .LBB81_1461
; %bb.1450:
	global_load_ubyte v3, v[16:17], off
	s_movk_i32 s8, 0x7f
	s_waitcnt vmcnt(0)
	v_cmp_lt_i16_e32 vcc, s8, v3
	s_mov_b64 s[8:9], 0
	s_and_saveexec_b64 s[10:11], vcc
	s_xor_b64 s[10:11], exec, s[10:11]
	s_cbranch_execz .LBB81_1454
; %bb.1451:
	s_movk_i32 s8, 0x80
	v_cmp_eq_u16_e32 vcc, s8, v3
	s_mov_b64 s[8:9], -1
	s_and_saveexec_b64 s[12:13], vcc
; %bb.1452:
	s_xor_b64 s[8:9], exec, -1
; %bb.1453:
	s_or_b64 exec, exec, s[12:13]
	s_and_b64 s[8:9], s[8:9], exec
.LBB81_1454:
	s_or_saveexec_b64 s[10:11], s[10:11]
	v_bfrev_b32_e32 v12, 4
	v_mov_b32_e32 v13, 0x7ff80000
	s_xor_b64 exec, exec, s[10:11]
; %bb.1455:
	v_cmp_ne_u16_e32 vcc, 0, v3
	s_andn2_b64 s[8:9], s[8:9], exec
	s_and_b64 s[12:13], vcc, exec
	v_mov_b64_e32 v[12:13], 0
	s_or_b64 s[8:9], s[8:9], s[12:13]
; %bb.1456:
	s_or_b64 exec, exec, s[10:11]
	s_and_saveexec_b64 s[10:11], s[8:9]
	s_cbranch_execz .LBB81_1458
; %bb.1457:
	v_lshlrev_b32_e32 v5, 24, v3
	v_and_b32_e32 v3, 0xffff, v3
	v_and_b32_e32 v7, 3, v3
	v_ffbh_u32_e32 v11, v7
	v_min_u32_e32 v11, 32, v11
	v_subrev_u32_e32 v12, 29, v11
	v_bfe_u32 v9, v3, 2, 5
	v_lshlrev_b32_e32 v3, v12, v3
	v_sub_u32_e32 v11, 30, v11
	v_and_b32_e32 v3, 3, v3
	v_cmp_eq_u32_e32 vcc, 0, v9
	v_and_b32_e32 v5, 0x80000000, v5
	s_nop 0
	v_cndmask_b32_e32 v9, v9, v11, vcc
	v_cndmask_b32_e32 v3, v7, v3, vcc
	v_mov_b32_e32 v7, 0x37800000
	v_lshlrev_b32_e32 v3, 21, v3
	v_lshl_add_u32 v7, v9, 23, v7
	v_or3_b32 v3, v5, v7, v3
	v_cvt_f64_f32_e32 v[12:13], v3
.LBB81_1458:
	s_or_b64 exec, exec, s[10:11]
	s_mov_b64 s[8:9], 0
	s_branch .LBB81_1462
.LBB81_1459:
	s_mov_b64 s[8:9], -1
                                        ; implicit-def: $vgpr12_vgpr13
	s_branch .LBB81_1468
.LBB81_1460:
	s_mov_b64 s[8:9], -1
                                        ; implicit-def: $vgpr12_vgpr13
	s_branch .LBB81_1465
.LBB81_1461:
	s_mov_b64 s[8:9], -1
                                        ; implicit-def: $vgpr12_vgpr13
.LBB81_1462:
	s_and_b64 vcc, exec, s[8:9]
	s_cbranch_vccz .LBB81_1464
; %bb.1463:
	global_load_ubyte v3, v[16:17], off
	s_mov_b32 s8, 0x7f800000
	s_waitcnt vmcnt(0)
	v_lshlrev_b32_e32 v3, 24, v3
	v_and_b32_e32 v5, 0x7f000000, v3
	v_ffbh_u32_e32 v7, v5
	v_min_u32_e32 v7, 32, v7
	v_sub_u32_e64 v7, v7, 4 clamp
	v_lshlrev_b32_e32 v11, v7, v5
	v_lshlrev_b32_e32 v7, 23, v7
	v_lshrrev_b32_e32 v11, 4, v11
	v_add_u32_e32 v9, 0x1000000, v5
	v_sub_u32_e32 v7, v11, v7
	v_ashrrev_i32_e32 v9, 8, v9
	v_add_u32_e32 v7, 0x3c000000, v7
	v_and_or_b32 v7, v9, s8, v7
	v_cmp_ne_u32_e32 vcc, 0, v5
	s_brev_b32 s8, 1
	s_nop 0
	v_cndmask_b32_e32 v5, 0, v7, vcc
	v_and_or_b32 v3, v3, s8, v5
	v_cvt_f64_f32_e32 v[12:13], v3
.LBB81_1464:
	s_mov_b64 s[8:9], 0
.LBB81_1465:
	s_andn2_b64 vcc, exec, s[8:9]
	s_cbranch_vccnz .LBB81_1467
; %bb.1466:
	global_load_ubyte v3, v[16:17], off
	s_movk_i32 s8, 0x7f00
	s_brev_b32 s9, 16
	s_waitcnt vmcnt(0)
	v_lshlrev_b16_e32 v5, 8, v3
	v_lshlrev_b32_e32 v3, 25, v3
	v_lshrrev_b32_e32 v7, 4, v3
	v_and_or_b32 v9, v5, s8, 0.5
	v_or_b32_e32 v7, 0x70000000, v7
	v_add_f32_e32 v9, -0.5, v9
	v_mul_f32_e32 v7, 0x7800000, v7
	v_cmp_gt_u32_e32 vcc, s9, v3
	v_bfe_i32 v5, v5, 0, 16
	s_brev_b32 s8, 1
	v_cndmask_b32_e32 v3, v7, v9, vcc
	v_and_or_b32 v3, v5, s8, v3
	v_cvt_f64_f32_e32 v[12:13], v3
.LBB81_1467:
	s_mov_b64 s[8:9], 0
	s_mov_b64 s[10:11], -1
.LBB81_1468:
	s_andn2_b64 vcc, exec, s[8:9]
	s_mov_b64 s[8:9], 0
	s_cbranch_vccnz .LBB81_1477
; %bb.1469:
	s_cmp_gt_i32 s18, 14
	s_cbranch_scc0 .LBB81_1472
; %bb.1470:
	s_cmp_eq_u32 s18, 15
	s_cbranch_scc0 .LBB81_1473
; %bb.1471:
	global_load_ushort v3, v[16:17], off
	s_mov_b64 s[0:1], 0
	s_mov_b64 s[10:11], -1
	s_waitcnt vmcnt(0)
	v_lshlrev_b32_e32 v3, 16, v3
	v_cvt_f64_f32_e32 v[12:13], v3
	s_branch .LBB81_1474
.LBB81_1472:
	s_mov_b64 s[12:13], -1
                                        ; implicit-def: $vgpr12_vgpr13
	s_branch .LBB81_1475
.LBB81_1473:
	s_mov_b64 s[0:1], -1
                                        ; implicit-def: $vgpr12_vgpr13
.LBB81_1474:
	s_mov_b64 s[12:13], 0
.LBB81_1475:
	s_and_b64 vcc, exec, s[12:13]
	s_cbranch_vccz .LBB81_1477
; %bb.1476:
	s_cmp_lg_u32 s18, 11
	s_mov_b64 s[8:9], -1
	s_cselect_b64 s[0:1], -1, 0
.LBB81_1477:
	s_and_b64 vcc, exec, s[0:1]
	s_cbranch_vccnz .LBB81_1540
; %bb.1478:
	s_andn2_b64 vcc, exec, s[8:9]
	s_cbranch_vccnz .LBB81_1480
.LBB81_1479:
	global_load_ubyte v3, v[16:17], off
	s_waitcnt vmcnt(1)
	v_mov_b32_e32 v5, 0x3ff00000
	v_mov_b32_e32 v12, 0
	s_mov_b64 s[10:11], -1
	s_waitcnt vmcnt(0)
	v_cmp_ne_u16_e32 vcc, 0, v3
	s_nop 1
	v_cndmask_b32_e32 v13, 0, v5, vcc
.LBB81_1480:
	s_branch .LBB81_1408
.LBB81_1481:
	s_and_b32 s8, 0xffff, s17
	s_cmp_lt_i32 s8, 5
	s_cbranch_scc1 .LBB81_1486
; %bb.1482:
	s_cmp_lt_i32 s8, 8
	s_cbranch_scc1 .LBB81_1487
; %bb.1483:
	;; [unrolled: 3-line block ×3, first 2 shown]
	s_cmp_gt_i32 s8, 9
	s_cbranch_scc0 .LBB81_1489
; %bb.1485:
	global_load_dwordx2 v[12:13], v[16:17], off
	s_mov_b64 s[0:1], 0
	s_branch .LBB81_1490
.LBB81_1486:
	s_mov_b64 s[0:1], -1
                                        ; implicit-def: $vgpr12_vgpr13
	s_branch .LBB81_1508
.LBB81_1487:
	s_mov_b64 s[0:1], -1
                                        ; implicit-def: $vgpr12_vgpr13
	s_branch .LBB81_1496
.LBB81_1488:
	s_mov_b64 s[0:1], -1
                                        ; implicit-def: $vgpr12_vgpr13
	s_branch .LBB81_1493
.LBB81_1489:
	s_mov_b64 s[0:1], -1
                                        ; implicit-def: $vgpr12_vgpr13
.LBB81_1490:
	s_andn2_b64 vcc, exec, s[0:1]
	s_cbranch_vccnz .LBB81_1492
; %bb.1491:
	global_load_dword v3, v[16:17], off
	s_waitcnt vmcnt(0)
	v_cvt_f64_f32_e32 v[12:13], v3
.LBB81_1492:
	s_mov_b64 s[0:1], 0
.LBB81_1493:
	s_andn2_b64 vcc, exec, s[0:1]
	s_cbranch_vccnz .LBB81_1495
; %bb.1494:
	global_load_dword v3, v[16:17], off
	s_waitcnt vmcnt(0)
	v_cvt_f32_f16_e32 v3, v3
	v_cvt_f64_f32_e32 v[12:13], v3
.LBB81_1495:
	s_mov_b64 s[0:1], 0
.LBB81_1496:
	s_andn2_b64 vcc, exec, s[0:1]
	s_cbranch_vccnz .LBB81_1507
; %bb.1497:
	s_cmp_lt_i32 s8, 6
	s_cbranch_scc1 .LBB81_1500
; %bb.1498:
	s_cmp_gt_i32 s8, 6
	s_cbranch_scc0 .LBB81_1501
; %bb.1499:
	global_load_dwordx2 v[12:13], v[16:17], off
	s_mov_b64 s[0:1], 0
	s_branch .LBB81_1502
.LBB81_1500:
	s_mov_b64 s[0:1], -1
                                        ; implicit-def: $vgpr12_vgpr13
	s_branch .LBB81_1505
.LBB81_1501:
	s_mov_b64 s[0:1], -1
                                        ; implicit-def: $vgpr12_vgpr13
.LBB81_1502:
	s_andn2_b64 vcc, exec, s[0:1]
	s_cbranch_vccnz .LBB81_1504
; %bb.1503:
	global_load_dword v3, v[16:17], off
	s_waitcnt vmcnt(0)
	v_cvt_f64_f32_e32 v[12:13], v3
.LBB81_1504:
	s_mov_b64 s[0:1], 0
.LBB81_1505:
	s_andn2_b64 vcc, exec, s[0:1]
	s_cbranch_vccnz .LBB81_1507
; %bb.1506:
	global_load_ushort v3, v[16:17], off
	s_waitcnt vmcnt(0)
	v_cvt_f32_f16_e32 v3, v3
	v_cvt_f64_f32_e32 v[12:13], v3
.LBB81_1507:
	s_mov_b64 s[0:1], 0
.LBB81_1508:
	s_andn2_b64 vcc, exec, s[0:1]
	s_cbranch_vccnz .LBB81_1528
; %bb.1509:
	s_cmp_lt_i32 s8, 2
	s_cbranch_scc1 .LBB81_1513
; %bb.1510:
	s_cmp_lt_i32 s8, 3
	s_cbranch_scc1 .LBB81_1514
; %bb.1511:
	s_cmp_gt_i32 s8, 3
	s_cbranch_scc0 .LBB81_1515
; %bb.1512:
	global_load_dwordx2 v[12:13], v[16:17], off
	s_mov_b64 s[0:1], 0
	s_waitcnt vmcnt(0)
	v_cvt_f64_i32_e32 v[18:19], v13
	v_cvt_f64_u32_e32 v[12:13], v12
	v_ldexp_f64 v[18:19], v[18:19], 32
	v_add_f64 v[12:13], v[18:19], v[12:13]
	s_branch .LBB81_1516
.LBB81_1513:
	s_mov_b64 s[0:1], -1
                                        ; implicit-def: $vgpr12_vgpr13
	s_branch .LBB81_1522
.LBB81_1514:
	s_mov_b64 s[0:1], -1
                                        ; implicit-def: $vgpr12_vgpr13
	s_branch .LBB81_1519
.LBB81_1515:
	s_mov_b64 s[0:1], -1
                                        ; implicit-def: $vgpr12_vgpr13
.LBB81_1516:
	s_andn2_b64 vcc, exec, s[0:1]
	s_cbranch_vccnz .LBB81_1518
; %bb.1517:
	global_load_dword v3, v[16:17], off
	s_waitcnt vmcnt(0)
	v_cvt_f64_i32_e32 v[12:13], v3
.LBB81_1518:
	s_mov_b64 s[0:1], 0
.LBB81_1519:
	s_andn2_b64 vcc, exec, s[0:1]
	s_cbranch_vccnz .LBB81_1521
; %bb.1520:
	global_load_sshort v3, v[16:17], off
	s_waitcnt vmcnt(0)
	v_cvt_f64_i32_e32 v[12:13], v3
.LBB81_1521:
	s_mov_b64 s[0:1], 0
.LBB81_1522:
	s_andn2_b64 vcc, exec, s[0:1]
	s_cbranch_vccnz .LBB81_1528
; %bb.1523:
	s_cmp_gt_i32 s8, 0
	s_cbranch_scc0 .LBB81_1525
; %bb.1524:
	global_load_sbyte v3, v[16:17], off
	s_mov_b64 s[0:1], 0
	s_waitcnt vmcnt(0)
	v_cvt_f64_i32_e32 v[12:13], v3
	s_branch .LBB81_1526
.LBB81_1525:
	s_mov_b64 s[0:1], -1
                                        ; implicit-def: $vgpr12_vgpr13
.LBB81_1526:
	s_andn2_b64 vcc, exec, s[0:1]
	s_cbranch_vccnz .LBB81_1528
; %bb.1527:
	global_load_ubyte v3, v[16:17], off
	s_waitcnt vmcnt(0)
	v_cvt_f64_u32_e32 v[12:13], v3
.LBB81_1528:
.LBB81_1529:
	v_mov_b32_e32 v11, 0
	s_cmp_lt_i32 s17, 11
	v_lshl_add_u64 v[16:17], s[6:7], 0, v[10:11]
	s_cbranch_scc1 .LBB81_1536
; %bb.1530:
	s_and_b32 s14, 0xffff, s17
	s_cmp_gt_i32 s14, 25
	s_mov_b64 s[6:7], 0
	s_cbranch_scc0 .LBB81_1537
; %bb.1531:
	s_cmp_gt_i32 s14, 28
	s_cbranch_scc0 .LBB81_1538
; %bb.1532:
	s_cmp_gt_i32 s14, 43
	;; [unrolled: 3-line block ×3, first 2 shown]
	s_cbranch_scc0 .LBB81_1541
; %bb.1534:
	s_cmp_eq_u32 s14, 46
	s_mov_b64 s[10:11], 0
	s_cbranch_scc0 .LBB81_1542
; %bb.1535:
	global_load_dword v3, v[16:17], off
	s_mov_b64 s[0:1], 0
	s_mov_b64 s[8:9], -1
	s_waitcnt vmcnt(0)
	v_lshlrev_b32_e32 v3, 16, v3
	v_cvt_f64_f32_e32 v[10:11], v3
	s_branch .LBB81_1543
.LBB81_1536:
	s_mov_b64 s[0:1], -1
	s_mov_b64 s[8:9], 0
                                        ; implicit-def: $vgpr10_vgpr11
	s_branch .LBB81_1609
.LBB81_1537:
	s_mov_b64 s[10:11], -1
	s_mov_b64 s[8:9], 0
	s_mov_b64 s[0:1], 0
                                        ; implicit-def: $vgpr10_vgpr11
	s_branch .LBB81_1574
.LBB81_1538:
	s_mov_b64 s[10:11], -1
	s_mov_b64 s[8:9], 0
	s_mov_b64 s[0:1], 0
                                        ; implicit-def: $vgpr10_vgpr11
	s_branch .LBB81_1553
.LBB81_1539:
	s_mov_b64 s[10:11], -1
	s_mov_b64 s[8:9], 0
	s_mov_b64 s[0:1], 0
                                        ; implicit-def: $vgpr10_vgpr11
	s_branch .LBB81_1548
.LBB81_1540:
	s_trap 2
	s_or_b64 s[2:3], s[2:3], exec
	s_cbranch_execz .LBB81_1479
	s_branch .LBB81_1480
.LBB81_1541:
	s_mov_b64 s[10:11], -1
	s_mov_b64 s[8:9], 0
	s_mov_b64 s[0:1], 0
                                        ; implicit-def: $vgpr10_vgpr11
	s_branch .LBB81_1543
.LBB81_1542:
	s_mov_b64 s[0:1], -1
                                        ; implicit-def: $vgpr10_vgpr11
	s_mov_b64 s[8:9], 0
.LBB81_1543:
	s_and_b64 vcc, exec, s[10:11]
	s_cbranch_vccz .LBB81_1547
; %bb.1544:
	s_cmp_eq_u32 s14, 44
	s_cbranch_scc0 .LBB81_1546
; %bb.1545:
	global_load_ubyte v3, v[16:17], off
	s_movk_i32 s8, 0xff
	s_waitcnt vmcnt(1)
	v_bfrev_b32_e32 v5, 4
	v_mov_b32_e32 v7, 0x7ff80000
	v_bfrev_b32_e32 v9, 28
	s_mov_b64 s[0:1], 0
	s_waitcnt vmcnt(0)
	v_lshlrev_b32_e32 v10, 23, v3
	v_cvt_f64_f32_e32 v[10:11], v10
	v_cmp_ne_u32_e32 vcc, s8, v3
	s_mov_b64 s[8:9], -1
	s_nop 0
	v_cndmask_b32_e32 v5, v5, v10, vcc
	v_cndmask_b32_e32 v7, v7, v11, vcc
	v_cmp_ne_u32_e32 vcc, 0, v3
	s_nop 1
	v_cndmask_b32_e32 v11, v9, v7, vcc
	v_cndmask_b32_e32 v10, 0, v5, vcc
	s_branch .LBB81_1547
.LBB81_1546:
	s_mov_b64 s[0:1], -1
                                        ; implicit-def: $vgpr10_vgpr11
.LBB81_1547:
	s_mov_b64 s[10:11], 0
.LBB81_1548:
	s_and_b64 vcc, exec, s[10:11]
	s_cbranch_vccz .LBB81_1552
; %bb.1549:
	s_cmp_eq_u32 s14, 29
	s_cbranch_scc0 .LBB81_1551
; %bb.1550:
	global_load_dwordx2 v[10:11], v[16:17], off
	s_mov_b64 s[0:1], 0
	s_mov_b64 s[8:9], -1
	s_mov_b64 s[10:11], 0
	s_waitcnt vmcnt(0)
	v_cvt_f64_u32_e32 v[18:19], v11
	v_cvt_f64_u32_e32 v[10:11], v10
	v_ldexp_f64 v[18:19], v[18:19], 32
	v_add_f64 v[10:11], v[18:19], v[10:11]
	s_branch .LBB81_1553
.LBB81_1551:
	s_mov_b64 s[0:1], -1
                                        ; implicit-def: $vgpr10_vgpr11
.LBB81_1552:
	s_mov_b64 s[10:11], 0
.LBB81_1553:
	s_and_b64 vcc, exec, s[10:11]
	s_cbranch_vccz .LBB81_1573
; %bb.1554:
	s_cmp_lt_i32 s14, 27
	s_cbranch_scc1 .LBB81_1557
; %bb.1555:
	s_cmp_gt_i32 s14, 27
	s_cbranch_scc0 .LBB81_1558
; %bb.1556:
	global_load_dword v3, v[16:17], off
	s_mov_b64 s[8:9], 0
	s_waitcnt vmcnt(0)
	v_cvt_f64_u32_e32 v[10:11], v3
	s_branch .LBB81_1559
.LBB81_1557:
	s_mov_b64 s[8:9], -1
                                        ; implicit-def: $vgpr10_vgpr11
	s_branch .LBB81_1562
.LBB81_1558:
	s_mov_b64 s[8:9], -1
                                        ; implicit-def: $vgpr10_vgpr11
.LBB81_1559:
	s_andn2_b64 vcc, exec, s[8:9]
	s_cbranch_vccnz .LBB81_1561
; %bb.1560:
	global_load_ushort v3, v[16:17], off
	s_waitcnt vmcnt(0)
	v_cvt_f64_u32_e32 v[10:11], v3
.LBB81_1561:
	s_mov_b64 s[8:9], 0
.LBB81_1562:
	s_andn2_b64 vcc, exec, s[8:9]
	s_cbranch_vccnz .LBB81_1572
; %bb.1563:
	global_load_ubyte v3, v[16:17], off
	s_movk_i32 s8, 0x7f
	s_waitcnt vmcnt(0)
	v_cmp_lt_i16_e32 vcc, s8, v3
	s_mov_b64 s[8:9], 0
	s_and_saveexec_b64 s[10:11], vcc
	s_xor_b64 s[10:11], exec, s[10:11]
	s_cbranch_execz .LBB81_1567
; %bb.1564:
	s_movk_i32 s8, 0x80
	v_cmp_eq_u16_e32 vcc, s8, v3
	s_mov_b64 s[8:9], -1
	s_and_saveexec_b64 s[12:13], vcc
; %bb.1565:
	s_xor_b64 s[8:9], exec, -1
; %bb.1566:
	s_or_b64 exec, exec, s[12:13]
	s_and_b64 s[8:9], s[8:9], exec
.LBB81_1567:
	s_or_saveexec_b64 s[10:11], s[10:11]
	v_bfrev_b32_e32 v10, 4
	v_mov_b32_e32 v11, 0x7ff80000
	s_xor_b64 exec, exec, s[10:11]
; %bb.1568:
	v_cmp_ne_u16_e32 vcc, 0, v3
	s_andn2_b64 s[8:9], s[8:9], exec
	s_and_b64 s[12:13], vcc, exec
	v_mov_b64_e32 v[10:11], 0
	s_or_b64 s[8:9], s[8:9], s[12:13]
; %bb.1569:
	s_or_b64 exec, exec, s[10:11]
	s_and_saveexec_b64 s[10:11], s[8:9]
	s_cbranch_execz .LBB81_1571
; %bb.1570:
	v_lshlrev_b32_e32 v5, 24, v3
	v_and_b32_e32 v3, 0xffff, v3
	v_and_b32_e32 v7, 7, v3
	v_ffbh_u32_e32 v10, v7
	v_min_u32_e32 v10, 32, v10
	v_subrev_u32_e32 v11, 28, v10
	v_bfe_u32 v9, v3, 3, 4
	v_lshlrev_b32_e32 v3, v11, v3
	v_sub_u32_e32 v10, 29, v10
	v_and_b32_e32 v3, 7, v3
	v_cmp_eq_u32_e32 vcc, 0, v9
	v_and_b32_e32 v5, 0x80000000, v5
	s_nop 0
	v_cndmask_b32_e32 v9, v9, v10, vcc
	v_cndmask_b32_e32 v3, v7, v3, vcc
	v_mov_b32_e32 v7, 0x3b800000
	v_lshlrev_b32_e32 v3, 20, v3
	v_lshl_add_u32 v7, v9, 23, v7
	v_or3_b32 v3, v5, v7, v3
	v_cvt_f64_f32_e32 v[10:11], v3
.LBB81_1571:
	s_or_b64 exec, exec, s[10:11]
.LBB81_1572:
	s_mov_b64 s[8:9], -1
.LBB81_1573:
	s_mov_b64 s[10:11], 0
.LBB81_1574:
	s_and_b64 vcc, exec, s[10:11]
	s_cbranch_vccz .LBB81_1605
; %bb.1575:
	s_cmp_gt_i32 s14, 22
	s_cbranch_scc0 .LBB81_1587
; %bb.1576:
	s_cmp_lt_i32 s14, 24
	s_cbranch_scc1 .LBB81_1588
; %bb.1577:
	s_cmp_gt_i32 s14, 24
	s_cbranch_scc0 .LBB81_1589
; %bb.1578:
	global_load_ubyte v3, v[16:17], off
	s_movk_i32 s6, 0x7f
	s_waitcnt vmcnt(0)
	v_cmp_lt_i16_e32 vcc, s6, v3
	s_mov_b64 s[6:7], 0
	s_and_saveexec_b64 s[8:9], vcc
	s_xor_b64 s[8:9], exec, s[8:9]
	s_cbranch_execz .LBB81_1582
; %bb.1579:
	s_movk_i32 s6, 0x80
	v_cmp_eq_u16_e32 vcc, s6, v3
	s_mov_b64 s[6:7], -1
	s_and_saveexec_b64 s[10:11], vcc
; %bb.1580:
	s_xor_b64 s[6:7], exec, -1
; %bb.1581:
	s_or_b64 exec, exec, s[10:11]
	s_and_b64 s[6:7], s[6:7], exec
.LBB81_1582:
	s_or_saveexec_b64 s[8:9], s[8:9]
	v_bfrev_b32_e32 v10, 4
	v_mov_b32_e32 v11, 0x7ff80000
	s_xor_b64 exec, exec, s[8:9]
; %bb.1583:
	v_cmp_ne_u16_e32 vcc, 0, v3
	s_andn2_b64 s[6:7], s[6:7], exec
	s_and_b64 s[10:11], vcc, exec
	v_mov_b64_e32 v[10:11], 0
	s_or_b64 s[6:7], s[6:7], s[10:11]
; %bb.1584:
	s_or_b64 exec, exec, s[8:9]
	s_and_saveexec_b64 s[8:9], s[6:7]
	s_cbranch_execz .LBB81_1586
; %bb.1585:
	v_lshlrev_b32_e32 v5, 24, v3
	v_and_b32_e32 v3, 0xffff, v3
	v_and_b32_e32 v7, 3, v3
	v_ffbh_u32_e32 v10, v7
	v_min_u32_e32 v10, 32, v10
	v_subrev_u32_e32 v11, 29, v10
	v_bfe_u32 v9, v3, 2, 5
	v_lshlrev_b32_e32 v3, v11, v3
	v_sub_u32_e32 v10, 30, v10
	v_and_b32_e32 v3, 3, v3
	v_cmp_eq_u32_e32 vcc, 0, v9
	v_and_b32_e32 v5, 0x80000000, v5
	s_nop 0
	v_cndmask_b32_e32 v9, v9, v10, vcc
	v_cndmask_b32_e32 v3, v7, v3, vcc
	v_mov_b32_e32 v7, 0x37800000
	v_lshlrev_b32_e32 v3, 21, v3
	v_lshl_add_u32 v7, v9, 23, v7
	v_or3_b32 v3, v5, v7, v3
	v_cvt_f64_f32_e32 v[10:11], v3
.LBB81_1586:
	s_or_b64 exec, exec, s[8:9]
	s_mov_b64 s[6:7], 0
	s_branch .LBB81_1590
.LBB81_1587:
	s_mov_b64 s[6:7], -1
                                        ; implicit-def: $vgpr10_vgpr11
	s_branch .LBB81_1596
.LBB81_1588:
	s_mov_b64 s[6:7], -1
                                        ; implicit-def: $vgpr10_vgpr11
	s_branch .LBB81_1593
.LBB81_1589:
	s_mov_b64 s[6:7], -1
                                        ; implicit-def: $vgpr10_vgpr11
.LBB81_1590:
	s_and_b64 vcc, exec, s[6:7]
	s_cbranch_vccz .LBB81_1592
; %bb.1591:
	global_load_ubyte v3, v[16:17], off
	s_mov_b32 s6, 0x7f800000
	s_waitcnt vmcnt(0)
	v_lshlrev_b32_e32 v3, 24, v3
	v_and_b32_e32 v5, 0x7f000000, v3
	v_ffbh_u32_e32 v7, v5
	v_min_u32_e32 v7, 32, v7
	v_sub_u32_e64 v7, v7, 4 clamp
	v_lshlrev_b32_e32 v10, v7, v5
	v_lshlrev_b32_e32 v7, 23, v7
	v_lshrrev_b32_e32 v10, 4, v10
	v_add_u32_e32 v9, 0x1000000, v5
	v_sub_u32_e32 v7, v10, v7
	v_ashrrev_i32_e32 v9, 8, v9
	v_add_u32_e32 v7, 0x3c000000, v7
	v_and_or_b32 v7, v9, s6, v7
	v_cmp_ne_u32_e32 vcc, 0, v5
	s_brev_b32 s6, 1
	s_nop 0
	v_cndmask_b32_e32 v5, 0, v7, vcc
	v_and_or_b32 v3, v3, s6, v5
	v_cvt_f64_f32_e32 v[10:11], v3
.LBB81_1592:
	s_mov_b64 s[6:7], 0
.LBB81_1593:
	s_andn2_b64 vcc, exec, s[6:7]
	s_cbranch_vccnz .LBB81_1595
; %bb.1594:
	global_load_ubyte v3, v[16:17], off
	s_movk_i32 s6, 0x7f00
	s_brev_b32 s7, 16
	s_waitcnt vmcnt(0)
	v_lshlrev_b16_e32 v5, 8, v3
	v_lshlrev_b32_e32 v3, 25, v3
	v_lshrrev_b32_e32 v7, 4, v3
	v_and_or_b32 v9, v5, s6, 0.5
	v_or_b32_e32 v7, 0x70000000, v7
	v_add_f32_e32 v9, -0.5, v9
	v_mul_f32_e32 v7, 0x7800000, v7
	v_cmp_gt_u32_e32 vcc, s7, v3
	v_bfe_i32 v5, v5, 0, 16
	s_brev_b32 s6, 1
	v_cndmask_b32_e32 v3, v7, v9, vcc
	v_and_or_b32 v3, v5, s6, v3
	v_cvt_f64_f32_e32 v[10:11], v3
.LBB81_1595:
	s_mov_b64 s[6:7], 0
	s_mov_b64 s[8:9], -1
.LBB81_1596:
	s_andn2_b64 vcc, exec, s[6:7]
	s_mov_b64 s[6:7], 0
	s_cbranch_vccnz .LBB81_1605
; %bb.1597:
	s_cmp_gt_i32 s14, 14
	s_cbranch_scc0 .LBB81_1600
; %bb.1598:
	s_cmp_eq_u32 s14, 15
	s_cbranch_scc0 .LBB81_1601
; %bb.1599:
	global_load_ushort v3, v[16:17], off
	s_mov_b64 s[0:1], 0
	s_mov_b64 s[8:9], -1
	s_waitcnt vmcnt(0)
	v_lshlrev_b32_e32 v3, 16, v3
	v_cvt_f64_f32_e32 v[10:11], v3
	s_branch .LBB81_1602
.LBB81_1600:
	s_mov_b64 s[10:11], -1
                                        ; implicit-def: $vgpr10_vgpr11
	s_branch .LBB81_1603
.LBB81_1601:
	s_mov_b64 s[0:1], -1
                                        ; implicit-def: $vgpr10_vgpr11
.LBB81_1602:
	s_mov_b64 s[10:11], 0
.LBB81_1603:
	s_and_b64 vcc, exec, s[10:11]
	s_cbranch_vccz .LBB81_1605
; %bb.1604:
	s_cmp_lg_u32 s14, 11
	s_mov_b64 s[6:7], -1
	s_cselect_b64 s[0:1], -1, 0
.LBB81_1605:
	s_and_b64 vcc, exec, s[0:1]
	s_cbranch_vccnz .LBB81_2138
; %bb.1606:
	s_andn2_b64 vcc, exec, s[6:7]
	s_cbranch_vccnz .LBB81_1608
.LBB81_1607:
	global_load_ubyte v3, v[16:17], off
	s_waitcnt vmcnt(1)
	v_mov_b32_e32 v5, 0x3ff00000
	v_mov_b32_e32 v10, 0
	s_mov_b64 s[8:9], -1
	s_waitcnt vmcnt(0)
	v_cmp_ne_u16_e32 vcc, 0, v3
	s_nop 1
	v_cndmask_b32_e32 v11, 0, v5, vcc
.LBB81_1608:
	s_mov_b64 s[0:1], 0
.LBB81_1609:
	s_and_b64 vcc, exec, s[0:1]
	s_cbranch_vccz .LBB81_1658
; %bb.1610:
	s_and_b32 s6, 0xffff, s17
	s_cmp_lt_i32 s6, 5
	s_cbranch_scc1 .LBB81_1615
; %bb.1611:
	s_cmp_lt_i32 s6, 8
	s_cbranch_scc1 .LBB81_1616
; %bb.1612:
	;; [unrolled: 3-line block ×3, first 2 shown]
	s_cmp_gt_i32 s6, 9
	s_cbranch_scc0 .LBB81_1618
; %bb.1614:
	global_load_dwordx2 v[10:11], v[16:17], off
	s_mov_b64 s[0:1], 0
	s_branch .LBB81_1619
.LBB81_1615:
	s_mov_b64 s[0:1], -1
                                        ; implicit-def: $vgpr10_vgpr11
	s_branch .LBB81_1637
.LBB81_1616:
	s_mov_b64 s[0:1], -1
                                        ; implicit-def: $vgpr10_vgpr11
	s_branch .LBB81_1625
.LBB81_1617:
	s_mov_b64 s[0:1], -1
                                        ; implicit-def: $vgpr10_vgpr11
	s_branch .LBB81_1622
.LBB81_1618:
	s_mov_b64 s[0:1], -1
                                        ; implicit-def: $vgpr10_vgpr11
.LBB81_1619:
	s_andn2_b64 vcc, exec, s[0:1]
	s_cbranch_vccnz .LBB81_1621
; %bb.1620:
	global_load_dword v3, v[16:17], off
	s_waitcnt vmcnt(0)
	v_cvt_f64_f32_e32 v[10:11], v3
.LBB81_1621:
	s_mov_b64 s[0:1], 0
.LBB81_1622:
	s_andn2_b64 vcc, exec, s[0:1]
	s_cbranch_vccnz .LBB81_1624
; %bb.1623:
	global_load_dword v3, v[16:17], off
	s_waitcnt vmcnt(0)
	v_cvt_f32_f16_e32 v3, v3
	v_cvt_f64_f32_e32 v[10:11], v3
.LBB81_1624:
	s_mov_b64 s[0:1], 0
.LBB81_1625:
	s_andn2_b64 vcc, exec, s[0:1]
	s_cbranch_vccnz .LBB81_1636
; %bb.1626:
	s_cmp_lt_i32 s6, 6
	s_cbranch_scc1 .LBB81_1629
; %bb.1627:
	s_cmp_gt_i32 s6, 6
	s_cbranch_scc0 .LBB81_1630
; %bb.1628:
	global_load_dwordx2 v[10:11], v[16:17], off
	s_mov_b64 s[0:1], 0
	s_branch .LBB81_1631
.LBB81_1629:
	s_mov_b64 s[0:1], -1
                                        ; implicit-def: $vgpr10_vgpr11
	s_branch .LBB81_1634
.LBB81_1630:
	s_mov_b64 s[0:1], -1
                                        ; implicit-def: $vgpr10_vgpr11
.LBB81_1631:
	s_andn2_b64 vcc, exec, s[0:1]
	s_cbranch_vccnz .LBB81_1633
; %bb.1632:
	global_load_dword v3, v[16:17], off
	s_waitcnt vmcnt(0)
	v_cvt_f64_f32_e32 v[10:11], v3
.LBB81_1633:
	s_mov_b64 s[0:1], 0
.LBB81_1634:
	s_andn2_b64 vcc, exec, s[0:1]
	s_cbranch_vccnz .LBB81_1636
; %bb.1635:
	global_load_ushort v3, v[16:17], off
	s_waitcnt vmcnt(0)
	v_cvt_f32_f16_e32 v3, v3
	v_cvt_f64_f32_e32 v[10:11], v3
.LBB81_1636:
	s_mov_b64 s[0:1], 0
.LBB81_1637:
	s_andn2_b64 vcc, exec, s[0:1]
	s_cbranch_vccnz .LBB81_1657
; %bb.1638:
	s_cmp_lt_i32 s6, 2
	s_cbranch_scc1 .LBB81_1642
; %bb.1639:
	s_cmp_lt_i32 s6, 3
	s_cbranch_scc1 .LBB81_1643
; %bb.1640:
	s_cmp_gt_i32 s6, 3
	s_cbranch_scc0 .LBB81_1644
; %bb.1641:
	global_load_dwordx2 v[10:11], v[16:17], off
	s_mov_b64 s[0:1], 0
	s_waitcnt vmcnt(0)
	v_cvt_f64_i32_e32 v[18:19], v11
	v_cvt_f64_u32_e32 v[10:11], v10
	v_ldexp_f64 v[18:19], v[18:19], 32
	v_add_f64 v[10:11], v[18:19], v[10:11]
	s_branch .LBB81_1645
.LBB81_1642:
	s_mov_b64 s[0:1], -1
                                        ; implicit-def: $vgpr10_vgpr11
	s_branch .LBB81_1651
.LBB81_1643:
	s_mov_b64 s[0:1], -1
                                        ; implicit-def: $vgpr10_vgpr11
	s_branch .LBB81_1648
.LBB81_1644:
	s_mov_b64 s[0:1], -1
                                        ; implicit-def: $vgpr10_vgpr11
.LBB81_1645:
	s_andn2_b64 vcc, exec, s[0:1]
	s_cbranch_vccnz .LBB81_1647
; %bb.1646:
	global_load_dword v3, v[16:17], off
	s_waitcnt vmcnt(0)
	v_cvt_f64_i32_e32 v[10:11], v3
.LBB81_1647:
	s_mov_b64 s[0:1], 0
.LBB81_1648:
	s_andn2_b64 vcc, exec, s[0:1]
	s_cbranch_vccnz .LBB81_1650
; %bb.1649:
	global_load_sshort v3, v[16:17], off
	s_waitcnt vmcnt(0)
	v_cvt_f64_i32_e32 v[10:11], v3
.LBB81_1650:
	s_mov_b64 s[0:1], 0
.LBB81_1651:
	s_andn2_b64 vcc, exec, s[0:1]
	s_cbranch_vccnz .LBB81_1657
; %bb.1652:
	s_cmp_gt_i32 s6, 0
	s_cbranch_scc0 .LBB81_1654
; %bb.1653:
	global_load_sbyte v3, v[16:17], off
	s_mov_b64 s[0:1], 0
	s_waitcnt vmcnt(0)
	v_cvt_f64_i32_e32 v[10:11], v3
	s_branch .LBB81_1655
.LBB81_1654:
	s_mov_b64 s[0:1], -1
                                        ; implicit-def: $vgpr10_vgpr11
.LBB81_1655:
	s_andn2_b64 vcc, exec, s[0:1]
	s_cbranch_vccnz .LBB81_1657
; %bb.1656:
	global_load_ubyte v3, v[16:17], off
	s_waitcnt vmcnt(0)
	v_cvt_f64_u32_e32 v[10:11], v3
.LBB81_1657:
	s_mov_b64 s[8:9], -1
.LBB81_1658:
	s_andn2_b64 vcc, exec, s[8:9]
	s_cbranch_vccnz .LBB81_2092
; %bb.1659:
	s_mov_b32 s0, 0x652b82fe
	s_mov_b32 s1, 0x3ff71547
	s_waitcnt vmcnt(0)
	v_mul_f64 v[16:17], v[0:1], s[0:1]
	s_mov_b32 s0, 0xfefa39ef
	v_rndne_f64_e32 v[16:17], v[16:17]
	s_mov_b32 s1, 0xbfe62e42
	v_fma_f64 v[18:19], s[0:1], v[16:17], v[0:1]
	s_mov_b32 s0, 0x3b39803f
	s_mov_b32 s1, 0xbc7abc9e
	v_fmac_f64_e32 v[18:19], s[0:1], v[16:17]
	s_mov_b32 s0, 0x6a5dcb37
	v_mov_b32_e32 v20, 0xfca7ab0c
	v_mov_b32_e32 v21, 0x3e928af3
	s_mov_b32 s1, 0x3e5ade15
	v_fmac_f64_e32 v[20:21], s[0:1], v[18:19]
	v_mov_b32_e32 v22, 0x623fde64
	v_mov_b32_e32 v23, 0x3ec71dee
	v_fmac_f64_e32 v[22:23], v[18:19], v[20:21]
	v_mov_b32_e32 v20, 0x7c89e6b0
	v_mov_b32_e32 v21, 0x3efa0199
	;; [unrolled: 3-line block ×8, first 2 shown]
	v_fmac_f64_e32 v[20:21], v[18:19], v[22:23]
	s_mov_b32 s0, 0
	v_fma_f64 v[20:21], v[18:19], v[20:21], 1.0
	s_mov_b32 s1, 0x40900000
	v_fma_f64 v[18:19], v[18:19], v[20:21], 1.0
	v_cvt_i32_f64_e32 v3, v[16:17]
	v_cmp_nlt_f64_e32 vcc, s[0:1], v[0:1]
	s_mov_b32 s0, 0
	v_ldexp_f64 v[16:17], v[18:19], v3
	v_mov_b32_e32 v3, 0x7ff00000
	s_mov_b32 s1, 0xc090cc00
	v_cndmask_b32_e32 v3, v3, v17, vcc
	v_cmp_ngt_f64_e64 s[0:1], s[0:1], v[0:1]
	s_bfe_u32 s14, s16, 0x80008
	s_and_b64 vcc, s[0:1], vcc
	v_cndmask_b32_e64 v1, 0, v3, s[0:1]
	v_mov_b32_e32 v3, 0
	v_cndmask_b32_e32 v0, 0, v16, vcc
	s_cmp_lt_i32 s14, 11
	v_lshl_add_u64 v[16:17], s[4:5], 0, v[2:3]
	s_cbranch_scc1 .LBB81_1737
; %bb.1660:
	s_and_b32 s15, 0xffff, s14
	s_mov_b64 s[10:11], -1
	s_mov_b64 s[6:7], 0
	s_cmp_gt_i32 s15, 25
	s_mov_b64 s[8:9], 0
	s_mov_b64 s[0:1], 0
	s_cbranch_scc0 .LBB81_1693
; %bb.1661:
	s_cmp_gt_i32 s15, 28
	s_cbranch_scc0 .LBB81_1676
; %bb.1662:
	s_cmp_gt_i32 s15, 43
	;; [unrolled: 3-line block ×3, first 2 shown]
	s_cbranch_scc0 .LBB81_1666
; %bb.1664:
	s_mov_b64 s[0:1], -1
	s_mov_b64 s[10:11], 0
	s_cmp_eq_u32 s15, 46
	s_cbranch_scc0 .LBB81_1666
; %bb.1665:
	v_cvt_f32_f64_e32 v2, v[0:1]
	v_bfe_u32 v3, v2, 16, 1
	s_movk_i32 s0, 0x7fff
	v_add3_u32 v3, v2, v3, s0
	v_cmp_o_f32_e32 vcc, v2, v2
	v_mov_b32_e32 v2, 0x7fc0
	s_mov_b64 s[0:1], 0
	v_cndmask_b32_sdwa v2, v2, v3, vcc dst_sel:DWORD dst_unused:UNUSED_PAD src0_sel:DWORD src1_sel:WORD_1
	global_store_dword v[16:17], v2, off
	s_mov_b64 s[8:9], -1
.LBB81_1666:
	s_and_b64 vcc, exec, s[10:11]
	s_cbranch_vccz .LBB81_1671
; %bb.1667:
	s_cmp_eq_u32 s15, 44
	s_mov_b64 s[0:1], -1
	s_cbranch_scc0 .LBB81_1671
; %bb.1668:
	v_cvt_f32_f64_e32 v2, v[0:1]
	v_bfe_u32 v3, v2, 23, 8
	s_movk_i32 s0, 0xff
	v_cmp_ne_u32_e32 vcc, s0, v3
	v_mov_b32_e32 v5, 0xff
	s_and_saveexec_b64 s[8:9], vcc
; %bb.1669:
	s_mov_b32 s0, 0x3fffff
	v_lshrrev_b32_e32 v5, 23, v2
	v_and_b32_e32 v7, 0x400000, v2
	v_and_or_b32 v2, v2, s0, v3
	v_cmp_ne_u32_e32 vcc, 0, v7
	v_cmp_ne_u32_e64 s[0:1], 0, v2
	s_and_b64 s[0:1], vcc, s[0:1]
	s_nop 0
	v_cndmask_b32_e64 v2, 0, 1, s[0:1]
	v_add_u32_e32 v5, v5, v2
; %bb.1670:
	s_or_b64 exec, exec, s[8:9]
	s_mov_b64 s[0:1], 0
	s_mov_b64 s[8:9], -1
	global_store_byte v[16:17], v5, off
.LBB81_1671:
	s_mov_b64 s[10:11], 0
.LBB81_1672:
	s_and_b64 vcc, exec, s[10:11]
	s_cbranch_vccz .LBB81_1675
; %bb.1673:
	s_cmp_eq_u32 s15, 29
	s_mov_b64 s[0:1], -1
	s_cbranch_scc0 .LBB81_1675
; %bb.1674:
	v_trunc_f64_e32 v[2:3], v[0:1]
	s_movk_i32 s0, 0xffe0
	v_ldexp_f64 v[18:19], v[2:3], s0
	v_floor_f64_e32 v[18:19], v[18:19]
	v_fmac_f64_e32 v[2:3], 0xc1f00000, v[18:19]
	v_cvt_u32_f64_e32 v21, v[18:19]
	v_cvt_u32_f64_e32 v20, v[2:3]
	global_store_dwordx2 v[16:17], v[20:21], off
	s_mov_b64 s[0:1], 0
	s_mov_b64 s[8:9], -1
.LBB81_1675:
	s_mov_b64 s[10:11], 0
.LBB81_1676:
	s_and_b64 vcc, exec, s[10:11]
	s_cbranch_vccz .LBB81_1692
; %bb.1677:
	s_cmp_lt_i32 s15, 27
	s_mov_b64 s[8:9], -1
	s_cbranch_scc1 .LBB81_1683
; %bb.1678:
	s_cmp_gt_i32 s15, 27
	v_cvt_u32_f64_e32 v2, v[0:1]
	s_cbranch_scc0 .LBB81_1680
; %bb.1679:
	s_mov_b64 s[8:9], 0
	global_store_dword v[16:17], v2, off
.LBB81_1680:
	s_andn2_b64 vcc, exec, s[8:9]
	s_cbranch_vccnz .LBB81_1682
; %bb.1681:
	global_store_short v[16:17], v2, off
.LBB81_1682:
	s_mov_b64 s[8:9], 0
.LBB81_1683:
	s_andn2_b64 vcc, exec, s[8:9]
	s_cbranch_vccnz .LBB81_1691
; %bb.1684:
	v_cvt_f32_f64_e32 v2, v[0:1]
	v_and_b32_e32 v3, 0x7fffffff, v2
	s_mov_b32 s8, 0x43800000
	v_cmp_gt_u32_e32 vcc, s8, v3
	v_mov_b32_e32 v5, 0x80
	s_and_saveexec_b64 s[8:9], vcc
	s_cbranch_execz .LBB81_1690
; %bb.1685:
	s_mov_b32 s10, 0x3bffffff
	v_cmp_lt_u32_e32 vcc, s10, v3
	s_mov_b64 s[10:11], 0
                                        ; implicit-def: $vgpr3
	s_and_saveexec_b64 s[12:13], vcc
	s_xor_b64 s[12:13], exec, s[12:13]
	s_cbranch_execz .LBB81_2139
; %bb.1686:
	v_bfe_u32 v3, v2, 20, 1
	s_mov_b32 s17, 0x487ffff
	v_add3_u32 v3, v2, v3, s17
	s_mov_b64 s[10:11], exec
	v_lshrrev_b32_e32 v3, 20, v3
	s_andn2_saveexec_b64 s[12:13], s[12:13]
	s_cbranch_execnz .LBB81_2140
.LBB81_1687:
	s_or_b64 exec, exec, s[12:13]
	v_mov_b32_e32 v5, 0
	s_and_saveexec_b64 s[12:13], s[10:11]
.LBB81_1688:
	v_lshrrev_b32_e32 v2, 24, v2
	s_movk_i32 s10, 0x80
	v_and_or_b32 v5, v2, s10, v3
.LBB81_1689:
	s_or_b64 exec, exec, s[12:13]
.LBB81_1690:
	s_or_b64 exec, exec, s[8:9]
	global_store_byte v[16:17], v5, off
.LBB81_1691:
	s_mov_b64 s[8:9], -1
.LBB81_1692:
	s_mov_b64 s[10:11], 0
.LBB81_1693:
	s_and_b64 vcc, exec, s[10:11]
	s_cbranch_vccz .LBB81_1733
; %bb.1694:
	s_cmp_gt_i32 s15, 22
	s_mov_b64 s[6:7], -1
	s_cbranch_scc0 .LBB81_1726
; %bb.1695:
	s_cmp_lt_i32 s15, 24
	s_cbranch_scc1 .LBB81_1715
; %bb.1696:
	s_cmp_gt_i32 s15, 24
	s_cbranch_scc0 .LBB81_1704
; %bb.1697:
	v_cvt_f32_f64_e32 v2, v[0:1]
	v_and_b32_e32 v3, 0x7fffffff, v2
	s_mov_b32 s6, 0x47800000
	v_cmp_gt_u32_e32 vcc, s6, v3
	v_mov_b32_e32 v5, 0x80
	s_and_saveexec_b64 s[6:7], vcc
	s_cbranch_execz .LBB81_1703
; %bb.1698:
	s_mov_b32 s8, 0x37ffffff
	v_cmp_lt_u32_e32 vcc, s8, v3
	s_mov_b64 s[8:9], 0
                                        ; implicit-def: $vgpr3
	s_and_saveexec_b64 s[10:11], vcc
	s_xor_b64 s[10:11], exec, s[10:11]
	s_cbranch_execz .LBB81_2142
; %bb.1699:
	v_bfe_u32 v3, v2, 21, 1
	s_mov_b32 s12, 0x88fffff
	v_add3_u32 v3, v2, v3, s12
	s_mov_b64 s[8:9], exec
	v_lshrrev_b32_e32 v3, 21, v3
	s_andn2_saveexec_b64 s[10:11], s[10:11]
	s_cbranch_execnz .LBB81_2143
.LBB81_1700:
	s_or_b64 exec, exec, s[10:11]
	v_mov_b32_e32 v5, 0
	s_and_saveexec_b64 s[10:11], s[8:9]
.LBB81_1701:
	v_lshrrev_b32_e32 v2, 24, v2
	s_movk_i32 s8, 0x80
	v_and_or_b32 v5, v2, s8, v3
.LBB81_1702:
	s_or_b64 exec, exec, s[10:11]
.LBB81_1703:
	s_or_b64 exec, exec, s[6:7]
	s_mov_b64 s[6:7], 0
	global_store_byte v[16:17], v5, off
.LBB81_1704:
	s_and_b64 vcc, exec, s[6:7]
	s_cbranch_vccz .LBB81_1714
; %bb.1705:
	v_cvt_f32_f64_e32 v2, v[0:1]
	v_and_b32_e32 v5, 0x7fffffff, v2
	s_mov_b32 s6, 0x43f00000
	v_cmp_gt_u32_e32 vcc, s6, v5
                                        ; implicit-def: $vgpr3
	s_and_saveexec_b64 s[6:7], vcc
	s_xor_b64 s[6:7], exec, s[6:7]
	s_cbranch_execz .LBB81_1711
; %bb.1706:
	s_mov_b32 s8, 0x3c7fffff
	v_cmp_lt_u32_e32 vcc, s8, v5
                                        ; implicit-def: $vgpr3
	s_and_saveexec_b64 s[8:9], vcc
	s_xor_b64 s[8:9], exec, s[8:9]
; %bb.1707:
	v_bfe_u32 v3, v2, 20, 1
	s_mov_b32 s10, 0x407ffff
	v_add3_u32 v3, v2, v3, s10
	v_lshrrev_b32_e32 v5, 20, v3
	v_and_b32_e32 v3, 0xff00000, v3
	s_mov_b32 s10, 0x7f00000
	v_mov_b32_e32 v7, 0x7e
	v_cmp_ne_u32_e32 vcc, s10, v3
	s_nop 1
	v_cndmask_b32_e32 v3, v7, v5, vcc
; %bb.1708:
	s_andn2_saveexec_b64 s[8:9], s[8:9]
; %bb.1709:
	s_mov_b32 s10, 0x46800000
	v_add_f32_e64 v3, |v2|, s10
; %bb.1710:
	s_or_b64 exec, exec, s[8:9]
                                        ; implicit-def: $vgpr5
.LBB81_1711:
	s_andn2_saveexec_b64 s[6:7], s[6:7]
; %bb.1712:
	s_mov_b32 s8, 0x7f800000
	v_mov_b32_e32 v3, 0x7e
	v_mov_b32_e32 v7, 0x7f
	v_cmp_lt_u32_e32 vcc, s8, v5
	s_nop 1
	v_cndmask_b32_e32 v3, v3, v7, vcc
; %bb.1713:
	s_or_b64 exec, exec, s[6:7]
	v_lshrrev_b32_e32 v2, 24, v2
	s_movk_i32 s6, 0x80
	v_and_or_b32 v2, v2, s6, v3
	global_store_byte v[16:17], v2, off
.LBB81_1714:
	s_mov_b64 s[6:7], 0
.LBB81_1715:
	s_andn2_b64 vcc, exec, s[6:7]
	s_cbranch_vccnz .LBB81_1725
; %bb.1716:
	v_cvt_f32_f64_e32 v2, v[0:1]
	v_and_b32_e32 v5, 0x7fffffff, v2
	s_mov_b32 s6, 0x47800000
	v_cmp_gt_u32_e32 vcc, s6, v5
                                        ; implicit-def: $vgpr3
	s_and_saveexec_b64 s[6:7], vcc
	s_xor_b64 s[6:7], exec, s[6:7]
	s_cbranch_execz .LBB81_1722
; %bb.1717:
	s_mov_b32 s8, 0x387fffff
	v_cmp_lt_u32_e32 vcc, s8, v5
                                        ; implicit-def: $vgpr3
	s_and_saveexec_b64 s[8:9], vcc
	s_xor_b64 s[8:9], exec, s[8:9]
; %bb.1718:
	v_bfe_u32 v3, v2, 21, 1
	s_mov_b32 s10, 0x80fffff
	v_add3_u32 v3, v2, v3, s10
	v_lshrrev_b32_e32 v3, 21, v3
; %bb.1719:
	s_andn2_saveexec_b64 s[8:9], s[8:9]
; %bb.1720:
	s_mov_b32 s10, 0x43000000
	v_add_f32_e64 v3, |v2|, s10
; %bb.1721:
	s_or_b64 exec, exec, s[8:9]
                                        ; implicit-def: $vgpr5
.LBB81_1722:
	s_andn2_saveexec_b64 s[6:7], s[6:7]
; %bb.1723:
	s_mov_b32 s8, 0x7f800000
	v_mov_b32_e32 v3, 0x7c
	v_mov_b32_e32 v7, 0x7f
	v_cmp_lt_u32_e32 vcc, s8, v5
	s_nop 1
	v_cndmask_b32_e32 v3, v3, v7, vcc
; %bb.1724:
	s_or_b64 exec, exec, s[6:7]
	v_lshrrev_b32_e32 v2, 24, v2
	s_movk_i32 s6, 0x80
	v_and_or_b32 v2, v2, s6, v3
	global_store_byte v[16:17], v2, off
.LBB81_1725:
	s_mov_b64 s[6:7], 0
	s_mov_b64 s[8:9], -1
.LBB81_1726:
	s_andn2_b64 vcc, exec, s[6:7]
	s_mov_b64 s[6:7], 0
	s_cbranch_vccnz .LBB81_1733
; %bb.1727:
	s_cmp_gt_i32 s15, 14
	s_mov_b64 s[10:11], -1
	s_cbranch_scc0 .LBB81_1731
; %bb.1728:
	s_cmp_eq_u32 s15, 15
	s_mov_b64 s[0:1], -1
	s_cbranch_scc0 .LBB81_1730
; %bb.1729:
	v_cvt_f32_f64_e32 v2, v[0:1]
	v_bfe_u32 v3, v2, 16, 1
	s_movk_i32 s0, 0x7fff
	v_add3_u32 v3, v2, v3, s0
	v_cmp_o_f32_e32 vcc, v2, v2
	v_mov_b32_e32 v2, 0x7fc0
	s_mov_b64 s[0:1], 0
	v_cndmask_b32_sdwa v2, v2, v3, vcc dst_sel:DWORD dst_unused:UNUSED_PAD src0_sel:DWORD src1_sel:WORD_1
	global_store_short v[16:17], v2, off
	s_mov_b64 s[8:9], -1
.LBB81_1730:
	s_mov_b64 s[10:11], 0
.LBB81_1731:
	s_and_b64 vcc, exec, s[10:11]
	s_cbranch_vccz .LBB81_1733
; %bb.1732:
	s_cmp_lg_u32 s15, 11
	s_mov_b64 s[6:7], -1
	s_cselect_b64 s[0:1], -1, 0
.LBB81_1733:
	s_and_b64 vcc, exec, s[0:1]
	s_cbranch_vccnz .LBB81_2141
; %bb.1734:
	s_andn2_b64 vcc, exec, s[6:7]
	s_cbranch_vccnz .LBB81_1736
.LBB81_1735:
	v_cmp_neq_f64_e32 vcc, 0, v[0:1]
	s_mov_b64 s[8:9], -1
	s_nop 0
	v_cndmask_b32_e64 v2, 0, 1, vcc
	global_store_byte v[16:17], v2, off
.LBB81_1736:
	s_mov_b64 s[0:1], 0
	s_branch .LBB81_1738
.LBB81_1737:
	s_mov_b64 s[0:1], -1
	s_mov_b64 s[8:9], 0
.LBB81_1738:
	s_and_b64 vcc, exec, s[0:1]
	s_cbranch_vccz .LBB81_1777
; %bb.1739:
	s_and_b32 s6, 0xffff, s14
	s_cmp_lt_i32 s6, 5
	s_mov_b64 s[0:1], -1
	s_cbranch_scc1 .LBB81_1760
; %bb.1740:
	s_cmp_lt_i32 s6, 8
	s_cbranch_scc1 .LBB81_1750
; %bb.1741:
	s_cmp_lt_i32 s6, 9
	s_cbranch_scc1 .LBB81_1747
; %bb.1742:
	s_cmp_gt_i32 s6, 9
	s_cbranch_scc0 .LBB81_1744
; %bb.1743:
	v_mov_b32_e32 v2, 0
	v_mov_b32_e32 v3, v2
	global_store_dwordx4 v[16:17], v[0:3], off
	s_mov_b64 s[0:1], 0
.LBB81_1744:
	s_andn2_b64 vcc, exec, s[0:1]
	s_cbranch_vccnz .LBB81_1746
; %bb.1745:
	v_cvt_f32_f64_e32 v2, v[0:1]
	v_mov_b32_e32 v3, 0
	global_store_dwordx2 v[16:17], v[2:3], off
.LBB81_1746:
	s_mov_b64 s[0:1], 0
.LBB81_1747:
	s_andn2_b64 vcc, exec, s[0:1]
	s_cbranch_vccnz .LBB81_1749
; %bb.1748:
	s_movk_i32 s0, 0x1ff
	v_and_or_b32 v2, v1, s0, v0
	v_cmp_ne_u32_e32 vcc, 0, v2
	v_lshrrev_b32_e32 v3, 8, v1
	s_movk_i32 s0, 0xffe
	v_cndmask_b32_e64 v2, 0, 1, vcc
	v_bfe_u32 v5, v1, 20, 11
	v_and_or_b32 v2, v3, s0, v2
	v_sub_u32_e32 v7, 0x3f1, v5
	v_or_b32_e32 v3, 0x1000, v2
	v_med3_i32 v7, v7, 0, 13
	v_lshrrev_b32_e32 v9, v7, v3
	v_lshlrev_b32_e32 v7, v7, v9
	v_cmp_ne_u32_e32 vcc, v7, v3
	v_add_u32_e32 v5, 0xfffffc10, v5
	v_lshl_or_b32 v7, v5, 12, v2
	v_cndmask_b32_e64 v3, 0, 1, vcc
	v_or_b32_e32 v3, v9, v3
	v_cmp_gt_i32_e32 vcc, 1, v5
	s_movk_i32 s0, 0x40f
	s_nop 0
	v_cndmask_b32_e32 v3, v7, v3, vcc
	v_and_b32_e32 v7, 7, v3
	v_cmp_lt_i32_e32 vcc, 5, v7
	v_lshrrev_b32_e32 v3, 2, v3
	s_nop 0
	v_cndmask_b32_e64 v9, 0, 1, vcc
	v_cmp_eq_u32_e32 vcc, 3, v7
	s_nop 1
	v_cndmask_b32_e64 v7, 0, 1, vcc
	v_or_b32_e32 v7, v7, v9
	v_add_u32_e32 v3, v3, v7
	v_mov_b32_e32 v7, 0x7c00
	v_cmp_gt_i32_e32 vcc, 31, v5
	v_mov_b32_e32 v9, 0x7e00
	s_nop 0
	v_cndmask_b32_e32 v3, v7, v3, vcc
	v_cmp_ne_u32_e32 vcc, 0, v2
	s_nop 1
	v_cndmask_b32_e32 v2, v7, v9, vcc
	v_cmp_eq_u32_e32 vcc, s0, v5
	s_mov_b32 s0, 0x8000
	s_nop 0
	v_cndmask_b32_e32 v2, v3, v2, vcc
	v_and_b32_sdwa v3, v1, s0 dst_sel:DWORD dst_unused:UNUSED_PAD src0_sel:WORD_1 src1_sel:DWORD
	s_mov_b32 s0, 0xffff
	v_bitop3_b32 v2, v3, s0, v2 bitop3:0xc8
	global_store_dword v[16:17], v2, off
.LBB81_1749:
	s_mov_b64 s[0:1], 0
.LBB81_1750:
	s_andn2_b64 vcc, exec, s[0:1]
	s_cbranch_vccnz .LBB81_1759
; %bb.1751:
	s_cmp_lt_i32 s6, 6
	s_mov_b64 s[0:1], -1
	s_cbranch_scc1 .LBB81_1757
; %bb.1752:
	s_cmp_gt_i32 s6, 6
	s_cbranch_scc0 .LBB81_1754
; %bb.1753:
	global_store_dwordx2 v[16:17], v[0:1], off
	s_mov_b64 s[0:1], 0
.LBB81_1754:
	s_andn2_b64 vcc, exec, s[0:1]
	s_cbranch_vccnz .LBB81_1756
; %bb.1755:
	v_cvt_f32_f64_e32 v2, v[0:1]
	global_store_dword v[16:17], v2, off
.LBB81_1756:
	s_mov_b64 s[0:1], 0
.LBB81_1757:
	s_andn2_b64 vcc, exec, s[0:1]
	s_cbranch_vccnz .LBB81_1759
; %bb.1758:
	s_movk_i32 s0, 0x1ff
	v_and_or_b32 v2, v1, s0, v0
	v_cmp_ne_u32_e32 vcc, 0, v2
	v_lshrrev_b32_e32 v3, 8, v1
	s_movk_i32 s0, 0xffe
	v_cndmask_b32_e64 v2, 0, 1, vcc
	v_bfe_u32 v5, v1, 20, 11
	v_and_or_b32 v2, v3, s0, v2
	v_sub_u32_e32 v7, 0x3f1, v5
	v_or_b32_e32 v3, 0x1000, v2
	v_med3_i32 v7, v7, 0, 13
	v_lshrrev_b32_e32 v9, v7, v3
	v_lshlrev_b32_e32 v7, v7, v9
	v_cmp_ne_u32_e32 vcc, v7, v3
	v_add_u32_e32 v5, 0xfffffc10, v5
	v_lshl_or_b32 v7, v5, 12, v2
	v_cndmask_b32_e64 v3, 0, 1, vcc
	v_or_b32_e32 v3, v9, v3
	v_cmp_gt_i32_e32 vcc, 1, v5
	s_movk_i32 s0, 0x40f
	s_nop 0
	v_cndmask_b32_e32 v3, v7, v3, vcc
	v_and_b32_e32 v7, 7, v3
	v_cmp_lt_i32_e32 vcc, 5, v7
	v_lshrrev_b32_e32 v3, 2, v3
	s_nop 0
	v_cndmask_b32_e64 v9, 0, 1, vcc
	v_cmp_eq_u32_e32 vcc, 3, v7
	s_nop 1
	v_cndmask_b32_e64 v7, 0, 1, vcc
	v_or_b32_e32 v7, v7, v9
	v_add_u32_e32 v3, v3, v7
	v_mov_b32_e32 v7, 0x7c00
	v_cmp_gt_i32_e32 vcc, 31, v5
	v_mov_b32_e32 v9, 0x7e00
	s_nop 0
	v_cndmask_b32_e32 v3, v7, v3, vcc
	v_cmp_ne_u32_e32 vcc, 0, v2
	s_nop 1
	v_cndmask_b32_e32 v2, v7, v9, vcc
	v_cmp_eq_u32_e32 vcc, s0, v5
	s_mov_b32 s0, 0x8000
	s_nop 0
	v_cndmask_b32_e32 v2, v3, v2, vcc
	v_lshrrev_b32_e32 v3, 16, v1
	v_and_or_b32 v2, v3, s0, v2
	global_store_short v[16:17], v2, off
.LBB81_1759:
	s_mov_b64 s[0:1], 0
.LBB81_1760:
	s_andn2_b64 vcc, exec, s[0:1]
	s_cbranch_vccnz .LBB81_1776
; %bb.1761:
	s_cmp_lt_i32 s6, 2
	s_mov_b64 s[0:1], -1
	s_cbranch_scc1 .LBB81_1771
; %bb.1762:
	s_cmp_lt_i32 s6, 3
	s_cbranch_scc1 .LBB81_1768
; %bb.1763:
	s_cmp_gt_i32 s6, 3
	s_cbranch_scc0 .LBB81_1765
; %bb.1764:
	v_trunc_f64_e32 v[2:3], v[0:1]
	s_movk_i32 s0, 0xffe0
	v_ldexp_f64 v[18:19], v[2:3], s0
	v_floor_f64_e32 v[18:19], v[18:19]
	v_fmac_f64_e32 v[2:3], 0xc1f00000, v[18:19]
	v_cvt_i32_f64_e32 v21, v[18:19]
	v_cvt_u32_f64_e32 v20, v[2:3]
	global_store_dwordx2 v[16:17], v[20:21], off
	s_mov_b64 s[0:1], 0
.LBB81_1765:
	s_andn2_b64 vcc, exec, s[0:1]
	s_cbranch_vccnz .LBB81_1767
; %bb.1766:
	v_cvt_i32_f64_e32 v2, v[0:1]
	global_store_dword v[16:17], v2, off
.LBB81_1767:
	s_mov_b64 s[0:1], 0
.LBB81_1768:
	s_andn2_b64 vcc, exec, s[0:1]
	s_cbranch_vccnz .LBB81_1770
; %bb.1769:
	v_cvt_i32_f64_e32 v2, v[0:1]
	global_store_short v[16:17], v2, off
.LBB81_1770:
	s_mov_b64 s[0:1], 0
.LBB81_1771:
	s_andn2_b64 vcc, exec, s[0:1]
	s_cbranch_vccnz .LBB81_1776
; %bb.1772:
	s_cmp_gt_i32 s6, 0
	s_mov_b64 s[0:1], -1
	s_cbranch_scc0 .LBB81_1774
; %bb.1773:
	v_cvt_i32_f64_e32 v2, v[0:1]
	global_store_byte v[16:17], v2, off
	s_mov_b64 s[0:1], 0
.LBB81_1774:
	s_andn2_b64 vcc, exec, s[0:1]
	s_cbranch_vccnz .LBB81_1776
; %bb.1775:
	v_trunc_f64_e32 v[0:1], v[0:1]
	s_movk_i32 s0, 0xffe0
	v_ldexp_f64 v[2:3], v[0:1], s0
	v_floor_f64_e32 v[2:3], v[2:3]
	v_fmac_f64_e32 v[0:1], 0xc1f00000, v[2:3]
	v_cvt_u32_f64_e32 v0, v[0:1]
	global_store_byte v[16:17], v0, off
.LBB81_1776:
	s_mov_b64 s[8:9], -1
.LBB81_1777:
	s_andn2_b64 vcc, exec, s[8:9]
	s_cbranch_vccnz .LBB81_2092
; %bb.1778:
	s_lshr_b32 s0, s16, 8
	s_and_b32 s14, s0, 0xff
	s_mov_b32 s0, 0x652b82fe
	s_mov_b32 s1, 0x3ff71547
	v_mul_f64 v[0:1], v[14:15], s[0:1]
	s_mov_b32 s0, 0xfefa39ef
	v_rndne_f64_e32 v[0:1], v[0:1]
	s_mov_b32 s1, 0xbfe62e42
	v_fma_f64 v[2:3], s[0:1], v[0:1], v[14:15]
	s_mov_b32 s0, 0x3b39803f
	s_mov_b32 s1, 0xbc7abc9e
	v_fmac_f64_e32 v[2:3], s[0:1], v[0:1]
	s_mov_b32 s0, 0x6a5dcb37
	v_mov_b32_e32 v16, 0xfca7ab0c
	v_mov_b32_e32 v17, 0x3e928af3
	s_mov_b32 s1, 0x3e5ade15
	v_fmac_f64_e32 v[16:17], s[0:1], v[2:3]
	v_mov_b32_e32 v18, 0x623fde64
	v_mov_b32_e32 v19, 0x3ec71dee
	v_fmac_f64_e32 v[18:19], v[2:3], v[16:17]
	v_mov_b32_e32 v16, 0x7c89e6b0
	v_mov_b32_e32 v17, 0x3efa0199
	;; [unrolled: 3-line block ×8, first 2 shown]
	s_mov_b32 s0, 0
	v_fmac_f64_e32 v[16:17], v[2:3], v[18:19]
	s_mov_b32 s1, 0x40900000
	v_fma_f64 v[16:17], v[2:3], v[16:17], 1.0
	v_cmp_nlt_f64_e32 vcc, s[0:1], v[14:15]
	s_mov_b32 s0, 0
	v_fma_f64 v[2:3], v[2:3], v[16:17], 1.0
	v_cvt_i32_f64_e32 v0, v[0:1]
	s_mov_b32 s1, 0xc090cc00
	v_ldexp_f64 v[0:1], v[2:3], v0
	v_mov_b32_e32 v2, 0x7ff00000
	v_cmp_ngt_f64_e64 s[0:1], s[0:1], v[14:15]
	v_cndmask_b32_e32 v1, v2, v1, vcc
	s_and_b64 vcc, s[0:1], vcc
	v_mov_b32_e32 v9, 0
	v_cndmask_b32_e64 v1, 0, v1, s[0:1]
	v_cndmask_b32_e32 v0, 0, v0, vcc
	s_cmp_lt_i32 s14, 11
	v_lshl_add_u64 v[8:9], s[4:5], 0, v[8:9]
	s_cbranch_scc1 .LBB81_1856
; %bb.1779:
	s_and_b32 s15, 0xffff, s14
	s_mov_b64 s[10:11], -1
	s_mov_b64 s[6:7], 0
	s_cmp_gt_i32 s15, 25
	s_mov_b64 s[8:9], 0
	s_mov_b64 s[0:1], 0
	s_cbranch_scc0 .LBB81_1812
; %bb.1780:
	s_cmp_gt_i32 s15, 28
	s_cbranch_scc0 .LBB81_1795
; %bb.1781:
	s_cmp_gt_i32 s15, 43
	;; [unrolled: 3-line block ×3, first 2 shown]
	s_cbranch_scc0 .LBB81_1785
; %bb.1783:
	s_mov_b64 s[0:1], -1
	s_mov_b64 s[10:11], 0
	s_cmp_eq_u32 s15, 46
	s_cbranch_scc0 .LBB81_1785
; %bb.1784:
	v_cvt_f32_f64_e32 v2, v[0:1]
	v_bfe_u32 v3, v2, 16, 1
	s_movk_i32 s0, 0x7fff
	v_add3_u32 v3, v2, v3, s0
	v_cmp_o_f32_e32 vcc, v2, v2
	v_mov_b32_e32 v2, 0x7fc0
	s_mov_b64 s[0:1], 0
	v_cndmask_b32_sdwa v2, v2, v3, vcc dst_sel:DWORD dst_unused:UNUSED_PAD src0_sel:DWORD src1_sel:WORD_1
	global_store_dword v[8:9], v2, off
	s_mov_b64 s[8:9], -1
.LBB81_1785:
	s_and_b64 vcc, exec, s[10:11]
	s_cbranch_vccz .LBB81_1790
; %bb.1786:
	s_cmp_eq_u32 s15, 44
	s_mov_b64 s[0:1], -1
	s_cbranch_scc0 .LBB81_1790
; %bb.1787:
	v_cvt_f32_f64_e32 v2, v[0:1]
	v_bfe_u32 v3, v2, 23, 8
	s_movk_i32 s0, 0xff
	v_cmp_ne_u32_e32 vcc, s0, v3
	v_mov_b32_e32 v5, 0xff
	s_and_saveexec_b64 s[8:9], vcc
; %bb.1788:
	s_mov_b32 s0, 0x3fffff
	v_lshrrev_b32_e32 v5, 23, v2
	v_and_b32_e32 v7, 0x400000, v2
	v_and_or_b32 v2, v2, s0, v3
	v_cmp_ne_u32_e32 vcc, 0, v7
	v_cmp_ne_u32_e64 s[0:1], 0, v2
	s_and_b64 s[0:1], vcc, s[0:1]
	s_nop 0
	v_cndmask_b32_e64 v2, 0, 1, s[0:1]
	v_add_u32_e32 v5, v5, v2
; %bb.1789:
	s_or_b64 exec, exec, s[8:9]
	s_mov_b64 s[0:1], 0
	s_mov_b64 s[8:9], -1
	global_store_byte v[8:9], v5, off
.LBB81_1790:
	s_mov_b64 s[10:11], 0
.LBB81_1791:
	s_and_b64 vcc, exec, s[10:11]
	s_cbranch_vccz .LBB81_1794
; %bb.1792:
	s_cmp_eq_u32 s15, 29
	s_mov_b64 s[0:1], -1
	s_cbranch_scc0 .LBB81_1794
; %bb.1793:
	v_trunc_f64_e32 v[2:3], v[0:1]
	s_movk_i32 s0, 0xffe0
	v_ldexp_f64 v[14:15], v[2:3], s0
	v_floor_f64_e32 v[14:15], v[14:15]
	v_fmac_f64_e32 v[2:3], 0xc1f00000, v[14:15]
	v_cvt_u32_f64_e32 v17, v[14:15]
	v_cvt_u32_f64_e32 v16, v[2:3]
	global_store_dwordx2 v[8:9], v[16:17], off
	s_mov_b64 s[0:1], 0
	s_mov_b64 s[8:9], -1
.LBB81_1794:
	s_mov_b64 s[10:11], 0
.LBB81_1795:
	s_and_b64 vcc, exec, s[10:11]
	s_cbranch_vccz .LBB81_1811
; %bb.1796:
	s_cmp_lt_i32 s15, 27
	s_mov_b64 s[8:9], -1
	s_cbranch_scc1 .LBB81_1802
; %bb.1797:
	s_cmp_gt_i32 s15, 27
	s_cbranch_scc0 .LBB81_1799
; %bb.1798:
	v_cvt_u32_f64_e32 v2, v[0:1]
	s_mov_b64 s[8:9], 0
	global_store_dword v[8:9], v2, off
.LBB81_1799:
	s_andn2_b64 vcc, exec, s[8:9]
	s_cbranch_vccnz .LBB81_1801
; %bb.1800:
	v_cvt_u32_f64_e32 v2, v[0:1]
	global_store_short v[8:9], v2, off
.LBB81_1801:
	s_mov_b64 s[8:9], 0
.LBB81_1802:
	s_andn2_b64 vcc, exec, s[8:9]
	s_cbranch_vccnz .LBB81_1810
; %bb.1803:
	v_cvt_f32_f64_e32 v2, v[0:1]
	v_and_b32_e32 v3, 0x7fffffff, v2
	s_mov_b32 s8, 0x43800000
	v_cmp_gt_u32_e32 vcc, s8, v3
	v_mov_b32_e32 v5, 0x80
	s_and_saveexec_b64 s[8:9], vcc
	s_cbranch_execz .LBB81_1809
; %bb.1804:
	s_mov_b32 s10, 0x3bffffff
	v_cmp_lt_u32_e32 vcc, s10, v3
	s_mov_b64 s[10:11], 0
                                        ; implicit-def: $vgpr3
	s_and_saveexec_b64 s[12:13], vcc
	s_xor_b64 s[12:13], exec, s[12:13]
	s_cbranch_execz .LBB81_2144
; %bb.1805:
	v_bfe_u32 v3, v2, 20, 1
	s_mov_b32 s16, 0x487ffff
	v_add3_u32 v3, v2, v3, s16
	s_mov_b64 s[10:11], exec
	v_lshrrev_b32_e32 v3, 20, v3
	s_andn2_saveexec_b64 s[12:13], s[12:13]
	s_cbranch_execnz .LBB81_2145
.LBB81_1806:
	s_or_b64 exec, exec, s[12:13]
	v_mov_b32_e32 v5, 0
	s_and_saveexec_b64 s[12:13], s[10:11]
.LBB81_1807:
	v_lshrrev_b32_e32 v2, 24, v2
	s_movk_i32 s10, 0x80
	v_and_or_b32 v5, v2, s10, v3
.LBB81_1808:
	s_or_b64 exec, exec, s[12:13]
.LBB81_1809:
	s_or_b64 exec, exec, s[8:9]
	global_store_byte v[8:9], v5, off
.LBB81_1810:
	s_mov_b64 s[8:9], -1
.LBB81_1811:
	s_mov_b64 s[10:11], 0
.LBB81_1812:
	s_and_b64 vcc, exec, s[10:11]
	s_cbranch_vccz .LBB81_1852
; %bb.1813:
	s_cmp_gt_i32 s15, 22
	s_mov_b64 s[6:7], -1
	s_cbranch_scc0 .LBB81_1845
; %bb.1814:
	s_cmp_lt_i32 s15, 24
	s_cbranch_scc1 .LBB81_1834
; %bb.1815:
	s_cmp_gt_i32 s15, 24
	s_cbranch_scc0 .LBB81_1823
; %bb.1816:
	v_cvt_f32_f64_e32 v2, v[0:1]
	v_and_b32_e32 v3, 0x7fffffff, v2
	s_mov_b32 s6, 0x47800000
	v_cmp_gt_u32_e32 vcc, s6, v3
	v_mov_b32_e32 v5, 0x80
	s_and_saveexec_b64 s[6:7], vcc
	s_cbranch_execz .LBB81_1822
; %bb.1817:
	s_mov_b32 s8, 0x37ffffff
	v_cmp_lt_u32_e32 vcc, s8, v3
	s_mov_b64 s[8:9], 0
                                        ; implicit-def: $vgpr3
	s_and_saveexec_b64 s[10:11], vcc
	s_xor_b64 s[10:11], exec, s[10:11]
	s_cbranch_execz .LBB81_2147
; %bb.1818:
	v_bfe_u32 v3, v2, 21, 1
	s_mov_b32 s12, 0x88fffff
	v_add3_u32 v3, v2, v3, s12
	s_mov_b64 s[8:9], exec
	v_lshrrev_b32_e32 v3, 21, v3
	s_andn2_saveexec_b64 s[10:11], s[10:11]
	s_cbranch_execnz .LBB81_2148
.LBB81_1819:
	s_or_b64 exec, exec, s[10:11]
	v_mov_b32_e32 v5, 0
	s_and_saveexec_b64 s[10:11], s[8:9]
.LBB81_1820:
	v_lshrrev_b32_e32 v2, 24, v2
	s_movk_i32 s8, 0x80
	v_and_or_b32 v5, v2, s8, v3
.LBB81_1821:
	s_or_b64 exec, exec, s[10:11]
.LBB81_1822:
	s_or_b64 exec, exec, s[6:7]
	s_mov_b64 s[6:7], 0
	global_store_byte v[8:9], v5, off
.LBB81_1823:
	s_and_b64 vcc, exec, s[6:7]
	s_cbranch_vccz .LBB81_1833
; %bb.1824:
	v_cvt_f32_f64_e32 v2, v[0:1]
	v_and_b32_e32 v5, 0x7fffffff, v2
	s_mov_b32 s6, 0x43f00000
	v_cmp_gt_u32_e32 vcc, s6, v5
                                        ; implicit-def: $vgpr3
	s_and_saveexec_b64 s[6:7], vcc
	s_xor_b64 s[6:7], exec, s[6:7]
	s_cbranch_execz .LBB81_1830
; %bb.1825:
	s_mov_b32 s8, 0x3c7fffff
	v_cmp_lt_u32_e32 vcc, s8, v5
                                        ; implicit-def: $vgpr3
	s_and_saveexec_b64 s[8:9], vcc
	s_xor_b64 s[8:9], exec, s[8:9]
; %bb.1826:
	v_bfe_u32 v3, v2, 20, 1
	s_mov_b32 s10, 0x407ffff
	v_add3_u32 v3, v2, v3, s10
	v_lshrrev_b32_e32 v5, 20, v3
	v_and_b32_e32 v3, 0xff00000, v3
	s_mov_b32 s10, 0x7f00000
	v_mov_b32_e32 v7, 0x7e
	v_cmp_ne_u32_e32 vcc, s10, v3
	s_nop 1
	v_cndmask_b32_e32 v3, v7, v5, vcc
; %bb.1827:
	s_andn2_saveexec_b64 s[8:9], s[8:9]
; %bb.1828:
	s_mov_b32 s10, 0x46800000
	v_add_f32_e64 v3, |v2|, s10
; %bb.1829:
	s_or_b64 exec, exec, s[8:9]
                                        ; implicit-def: $vgpr5
.LBB81_1830:
	s_andn2_saveexec_b64 s[6:7], s[6:7]
; %bb.1831:
	s_mov_b32 s8, 0x7f800000
	v_mov_b32_e32 v3, 0x7e
	v_mov_b32_e32 v7, 0x7f
	v_cmp_lt_u32_e32 vcc, s8, v5
	s_nop 1
	v_cndmask_b32_e32 v3, v3, v7, vcc
; %bb.1832:
	s_or_b64 exec, exec, s[6:7]
	v_lshrrev_b32_e32 v2, 24, v2
	s_movk_i32 s6, 0x80
	v_and_or_b32 v2, v2, s6, v3
	global_store_byte v[8:9], v2, off
.LBB81_1833:
	s_mov_b64 s[6:7], 0
.LBB81_1834:
	s_andn2_b64 vcc, exec, s[6:7]
	s_cbranch_vccnz .LBB81_1844
; %bb.1835:
	v_cvt_f32_f64_e32 v2, v[0:1]
	v_and_b32_e32 v5, 0x7fffffff, v2
	s_mov_b32 s6, 0x47800000
	v_cmp_gt_u32_e32 vcc, s6, v5
                                        ; implicit-def: $vgpr3
	s_and_saveexec_b64 s[6:7], vcc
	s_xor_b64 s[6:7], exec, s[6:7]
	s_cbranch_execz .LBB81_1841
; %bb.1836:
	s_mov_b32 s8, 0x387fffff
	v_cmp_lt_u32_e32 vcc, s8, v5
                                        ; implicit-def: $vgpr3
	s_and_saveexec_b64 s[8:9], vcc
	s_xor_b64 s[8:9], exec, s[8:9]
; %bb.1837:
	v_bfe_u32 v3, v2, 21, 1
	s_mov_b32 s10, 0x80fffff
	v_add3_u32 v3, v2, v3, s10
	v_lshrrev_b32_e32 v3, 21, v3
; %bb.1838:
	s_andn2_saveexec_b64 s[8:9], s[8:9]
; %bb.1839:
	s_mov_b32 s10, 0x43000000
	v_add_f32_e64 v3, |v2|, s10
; %bb.1840:
	s_or_b64 exec, exec, s[8:9]
                                        ; implicit-def: $vgpr5
.LBB81_1841:
	s_andn2_saveexec_b64 s[6:7], s[6:7]
; %bb.1842:
	s_mov_b32 s8, 0x7f800000
	v_mov_b32_e32 v3, 0x7c
	v_mov_b32_e32 v7, 0x7f
	v_cmp_lt_u32_e32 vcc, s8, v5
	s_nop 1
	v_cndmask_b32_e32 v3, v3, v7, vcc
; %bb.1843:
	s_or_b64 exec, exec, s[6:7]
	v_lshrrev_b32_e32 v2, 24, v2
	s_movk_i32 s6, 0x80
	v_and_or_b32 v2, v2, s6, v3
	global_store_byte v[8:9], v2, off
.LBB81_1844:
	s_mov_b64 s[6:7], 0
	s_mov_b64 s[8:9], -1
.LBB81_1845:
	s_andn2_b64 vcc, exec, s[6:7]
	s_mov_b64 s[6:7], 0
	s_cbranch_vccnz .LBB81_1852
; %bb.1846:
	s_cmp_gt_i32 s15, 14
	s_mov_b64 s[10:11], -1
	s_cbranch_scc0 .LBB81_1850
; %bb.1847:
	s_cmp_eq_u32 s15, 15
	s_mov_b64 s[0:1], -1
	s_cbranch_scc0 .LBB81_1849
; %bb.1848:
	v_cvt_f32_f64_e32 v2, v[0:1]
	v_bfe_u32 v3, v2, 16, 1
	s_movk_i32 s0, 0x7fff
	v_add3_u32 v3, v2, v3, s0
	v_cmp_o_f32_e32 vcc, v2, v2
	v_mov_b32_e32 v2, 0x7fc0
	s_mov_b64 s[0:1], 0
	v_cndmask_b32_sdwa v2, v2, v3, vcc dst_sel:DWORD dst_unused:UNUSED_PAD src0_sel:DWORD src1_sel:WORD_1
	global_store_short v[8:9], v2, off
	s_mov_b64 s[8:9], -1
.LBB81_1849:
	s_mov_b64 s[10:11], 0
.LBB81_1850:
	s_and_b64 vcc, exec, s[10:11]
	s_cbranch_vccz .LBB81_1852
; %bb.1851:
	s_cmp_lg_u32 s15, 11
	s_mov_b64 s[6:7], -1
	s_cselect_b64 s[0:1], -1, 0
.LBB81_1852:
	s_and_b64 vcc, exec, s[0:1]
	s_cbranch_vccnz .LBB81_2146
; %bb.1853:
	s_andn2_b64 vcc, exec, s[6:7]
	s_cbranch_vccnz .LBB81_1855
.LBB81_1854:
	v_cmp_neq_f64_e32 vcc, 0, v[0:1]
	s_mov_b64 s[8:9], -1
	s_nop 0
	v_cndmask_b32_e64 v2, 0, 1, vcc
	global_store_byte v[8:9], v2, off
.LBB81_1855:
	s_mov_b64 s[0:1], 0
	s_branch .LBB81_1857
.LBB81_1856:
	s_mov_b64 s[0:1], -1
	s_mov_b64 s[8:9], 0
.LBB81_1857:
	s_and_b64 vcc, exec, s[0:1]
	s_cbranch_vccz .LBB81_1896
; %bb.1858:
	s_and_b32 s6, 0xffff, s14
	s_cmp_lt_i32 s6, 5
	s_mov_b64 s[0:1], -1
	s_cbranch_scc1 .LBB81_1879
; %bb.1859:
	s_cmp_lt_i32 s6, 8
	s_cbranch_scc1 .LBB81_1869
; %bb.1860:
	s_cmp_lt_i32 s6, 9
	s_cbranch_scc1 .LBB81_1866
; %bb.1861:
	s_cmp_gt_i32 s6, 9
	s_cbranch_scc0 .LBB81_1863
; %bb.1862:
	v_mov_b32_e32 v2, 0
	v_mov_b32_e32 v3, v2
	global_store_dwordx4 v[8:9], v[0:3], off
	s_mov_b64 s[0:1], 0
.LBB81_1863:
	s_andn2_b64 vcc, exec, s[0:1]
	s_cbranch_vccnz .LBB81_1865
; %bb.1864:
	v_cvt_f32_f64_e32 v2, v[0:1]
	v_mov_b32_e32 v3, 0
	global_store_dwordx2 v[8:9], v[2:3], off
.LBB81_1865:
	s_mov_b64 s[0:1], 0
.LBB81_1866:
	s_andn2_b64 vcc, exec, s[0:1]
	s_cbranch_vccnz .LBB81_1868
; %bb.1867:
	s_movk_i32 s0, 0x1ff
	v_and_or_b32 v2, v1, s0, v0
	v_cmp_ne_u32_e32 vcc, 0, v2
	v_lshrrev_b32_e32 v3, 8, v1
	s_movk_i32 s0, 0xffe
	v_cndmask_b32_e64 v2, 0, 1, vcc
	v_bfe_u32 v5, v1, 20, 11
	v_and_or_b32 v2, v3, s0, v2
	v_sub_u32_e32 v7, 0x3f1, v5
	v_or_b32_e32 v3, 0x1000, v2
	v_med3_i32 v7, v7, 0, 13
	v_lshrrev_b32_e32 v14, v7, v3
	v_lshlrev_b32_e32 v7, v7, v14
	v_cmp_ne_u32_e32 vcc, v7, v3
	v_add_u32_e32 v5, 0xfffffc10, v5
	v_lshl_or_b32 v7, v5, 12, v2
	v_cndmask_b32_e64 v3, 0, 1, vcc
	v_or_b32_e32 v3, v14, v3
	v_cmp_gt_i32_e32 vcc, 1, v5
	s_movk_i32 s0, 0x40f
	s_nop 0
	v_cndmask_b32_e32 v3, v7, v3, vcc
	v_and_b32_e32 v7, 7, v3
	v_cmp_lt_i32_e32 vcc, 5, v7
	v_lshrrev_b32_e32 v3, 2, v3
	s_nop 0
	v_cndmask_b32_e64 v14, 0, 1, vcc
	v_cmp_eq_u32_e32 vcc, 3, v7
	s_nop 1
	v_cndmask_b32_e64 v7, 0, 1, vcc
	v_or_b32_e32 v7, v7, v14
	v_add_u32_e32 v3, v3, v7
	v_mov_b32_e32 v7, 0x7c00
	v_cmp_gt_i32_e32 vcc, 31, v5
	v_mov_b32_e32 v14, 0x7e00
	s_nop 0
	v_cndmask_b32_e32 v3, v7, v3, vcc
	v_cmp_ne_u32_e32 vcc, 0, v2
	s_nop 1
	v_cndmask_b32_e32 v2, v7, v14, vcc
	v_cmp_eq_u32_e32 vcc, s0, v5
	s_mov_b32 s0, 0x8000
	s_nop 0
	v_cndmask_b32_e32 v2, v3, v2, vcc
	v_and_b32_sdwa v3, v1, s0 dst_sel:DWORD dst_unused:UNUSED_PAD src0_sel:WORD_1 src1_sel:DWORD
	s_mov_b32 s0, 0xffff
	v_bitop3_b32 v2, v3, s0, v2 bitop3:0xc8
	global_store_dword v[8:9], v2, off
.LBB81_1868:
	s_mov_b64 s[0:1], 0
.LBB81_1869:
	s_andn2_b64 vcc, exec, s[0:1]
	s_cbranch_vccnz .LBB81_1878
; %bb.1870:
	s_cmp_lt_i32 s6, 6
	s_mov_b64 s[0:1], -1
	s_cbranch_scc1 .LBB81_1876
; %bb.1871:
	s_cmp_gt_i32 s6, 6
	s_cbranch_scc0 .LBB81_1873
; %bb.1872:
	global_store_dwordx2 v[8:9], v[0:1], off
	s_mov_b64 s[0:1], 0
.LBB81_1873:
	s_andn2_b64 vcc, exec, s[0:1]
	s_cbranch_vccnz .LBB81_1875
; %bb.1874:
	v_cvt_f32_f64_e32 v2, v[0:1]
	global_store_dword v[8:9], v2, off
.LBB81_1875:
	s_mov_b64 s[0:1], 0
.LBB81_1876:
	s_andn2_b64 vcc, exec, s[0:1]
	s_cbranch_vccnz .LBB81_1878
; %bb.1877:
	s_movk_i32 s0, 0x1ff
	v_and_or_b32 v2, v1, s0, v0
	v_cmp_ne_u32_e32 vcc, 0, v2
	v_lshrrev_b32_e32 v3, 8, v1
	s_movk_i32 s0, 0xffe
	v_cndmask_b32_e64 v2, 0, 1, vcc
	v_bfe_u32 v5, v1, 20, 11
	v_and_or_b32 v2, v3, s0, v2
	v_sub_u32_e32 v7, 0x3f1, v5
	v_or_b32_e32 v3, 0x1000, v2
	v_med3_i32 v7, v7, 0, 13
	v_lshrrev_b32_e32 v14, v7, v3
	v_lshlrev_b32_e32 v7, v7, v14
	v_cmp_ne_u32_e32 vcc, v7, v3
	v_add_u32_e32 v5, 0xfffffc10, v5
	v_lshl_or_b32 v7, v5, 12, v2
	v_cndmask_b32_e64 v3, 0, 1, vcc
	v_or_b32_e32 v3, v14, v3
	v_cmp_gt_i32_e32 vcc, 1, v5
	s_movk_i32 s0, 0x40f
	s_nop 0
	v_cndmask_b32_e32 v3, v7, v3, vcc
	v_and_b32_e32 v7, 7, v3
	v_cmp_lt_i32_e32 vcc, 5, v7
	v_lshrrev_b32_e32 v3, 2, v3
	s_nop 0
	v_cndmask_b32_e64 v14, 0, 1, vcc
	v_cmp_eq_u32_e32 vcc, 3, v7
	s_nop 1
	v_cndmask_b32_e64 v7, 0, 1, vcc
	v_or_b32_e32 v7, v7, v14
	v_add_u32_e32 v3, v3, v7
	v_mov_b32_e32 v7, 0x7c00
	v_cmp_gt_i32_e32 vcc, 31, v5
	v_mov_b32_e32 v14, 0x7e00
	s_nop 0
	v_cndmask_b32_e32 v3, v7, v3, vcc
	v_cmp_ne_u32_e32 vcc, 0, v2
	s_nop 1
	v_cndmask_b32_e32 v2, v7, v14, vcc
	v_cmp_eq_u32_e32 vcc, s0, v5
	s_mov_b32 s0, 0x8000
	s_nop 0
	v_cndmask_b32_e32 v2, v3, v2, vcc
	v_lshrrev_b32_e32 v3, 16, v1
	v_and_or_b32 v2, v3, s0, v2
	global_store_short v[8:9], v2, off
.LBB81_1878:
	s_mov_b64 s[0:1], 0
.LBB81_1879:
	s_andn2_b64 vcc, exec, s[0:1]
	s_cbranch_vccnz .LBB81_1895
; %bb.1880:
	s_cmp_lt_i32 s6, 2
	s_mov_b64 s[0:1], -1
	s_cbranch_scc1 .LBB81_1890
; %bb.1881:
	s_cmp_lt_i32 s6, 3
	s_cbranch_scc1 .LBB81_1887
; %bb.1882:
	s_cmp_gt_i32 s6, 3
	s_cbranch_scc0 .LBB81_1884
; %bb.1883:
	v_trunc_f64_e32 v[2:3], v[0:1]
	s_movk_i32 s0, 0xffe0
	v_ldexp_f64 v[14:15], v[2:3], s0
	v_floor_f64_e32 v[14:15], v[14:15]
	v_fmac_f64_e32 v[2:3], 0xc1f00000, v[14:15]
	v_cvt_i32_f64_e32 v17, v[14:15]
	v_cvt_u32_f64_e32 v16, v[2:3]
	global_store_dwordx2 v[8:9], v[16:17], off
	s_mov_b64 s[0:1], 0
.LBB81_1884:
	s_andn2_b64 vcc, exec, s[0:1]
	s_cbranch_vccnz .LBB81_1886
; %bb.1885:
	v_cvt_i32_f64_e32 v2, v[0:1]
	global_store_dword v[8:9], v2, off
.LBB81_1886:
	s_mov_b64 s[0:1], 0
.LBB81_1887:
	s_andn2_b64 vcc, exec, s[0:1]
	s_cbranch_vccnz .LBB81_1889
; %bb.1888:
	v_cvt_i32_f64_e32 v2, v[0:1]
	global_store_short v[8:9], v2, off
.LBB81_1889:
	s_mov_b64 s[0:1], 0
.LBB81_1890:
	s_andn2_b64 vcc, exec, s[0:1]
	s_cbranch_vccnz .LBB81_1895
; %bb.1891:
	s_cmp_gt_i32 s6, 0
	s_mov_b64 s[0:1], -1
	s_cbranch_scc0 .LBB81_1893
; %bb.1892:
	v_cvt_i32_f64_e32 v2, v[0:1]
	global_store_byte v[8:9], v2, off
	s_mov_b64 s[0:1], 0
.LBB81_1893:
	s_andn2_b64 vcc, exec, s[0:1]
	s_cbranch_vccnz .LBB81_1895
; %bb.1894:
	v_trunc_f64_e32 v[0:1], v[0:1]
	s_movk_i32 s0, 0xffe0
	v_ldexp_f64 v[2:3], v[0:1], s0
	v_floor_f64_e32 v[2:3], v[2:3]
	v_fmac_f64_e32 v[0:1], 0xc1f00000, v[2:3]
	v_cvt_u32_f64_e32 v0, v[0:1]
	global_store_byte v[8:9], v0, off
.LBB81_1895:
	s_mov_b64 s[8:9], -1
.LBB81_1896:
	s_andn2_b64 vcc, exec, s[8:9]
	s_cbranch_vccnz .LBB81_2092
; %bb.1897:
	s_mov_b32 s0, 0x652b82fe
	s_mov_b32 s1, 0x3ff71547
	v_mul_f64 v[0:1], v[12:13], s[0:1]
	s_mov_b32 s0, 0xfefa39ef
	v_rndne_f64_e32 v[0:1], v[0:1]
	s_mov_b32 s1, 0xbfe62e42
	v_fma_f64 v[2:3], s[0:1], v[0:1], v[12:13]
	s_mov_b32 s0, 0x3b39803f
	s_mov_b32 s1, 0xbc7abc9e
	v_fmac_f64_e32 v[2:3], s[0:1], v[0:1]
	s_mov_b32 s0, 0x6a5dcb37
	v_mov_b32_e32 v8, 0xfca7ab0c
	v_mov_b32_e32 v9, 0x3e928af3
	s_mov_b32 s1, 0x3e5ade15
	v_fmac_f64_e32 v[8:9], s[0:1], v[2:3]
	v_mov_b32_e32 v14, 0x623fde64
	v_mov_b32_e32 v15, 0x3ec71dee
	v_fmac_f64_e32 v[14:15], v[2:3], v[8:9]
	v_mov_b32_e32 v8, 0x7c89e6b0
	v_mov_b32_e32 v9, 0x3efa0199
	;; [unrolled: 3-line block ×8, first 2 shown]
	s_mov_b32 s0, 0
	v_fmac_f64_e32 v[8:9], v[2:3], v[14:15]
	s_mov_b32 s1, 0x40900000
	v_fma_f64 v[8:9], v[2:3], v[8:9], 1.0
	v_cmp_nlt_f64_e32 vcc, s[0:1], v[12:13]
	s_mov_b32 s0, 0
	v_fma_f64 v[2:3], v[2:3], v[8:9], 1.0
	v_cvt_i32_f64_e32 v0, v[0:1]
	s_mov_b32 s1, 0xc090cc00
	v_ldexp_f64 v[0:1], v[2:3], v0
	v_mov_b32_e32 v2, 0x7ff00000
	v_cmp_ngt_f64_e64 s[0:1], s[0:1], v[12:13]
	v_cndmask_b32_e32 v1, v2, v1, vcc
	s_and_b64 vcc, s[0:1], vcc
	v_mov_b32_e32 v7, 0
	v_cndmask_b32_e64 v1, 0, v1, s[0:1]
	v_cndmask_b32_e32 v0, 0, v0, vcc
	s_cmp_lt_i32 s14, 11
	v_lshl_add_u64 v[6:7], s[4:5], 0, v[6:7]
	s_cbranch_scc1 .LBB81_1975
; %bb.1898:
	s_and_b32 s15, 0xffff, s14
	s_mov_b64 s[10:11], -1
	s_mov_b64 s[6:7], 0
	s_cmp_gt_i32 s15, 25
	s_mov_b64 s[8:9], 0
	s_mov_b64 s[0:1], 0
	s_cbranch_scc0 .LBB81_1931
; %bb.1899:
	s_cmp_gt_i32 s15, 28
	s_cbranch_scc0 .LBB81_1914
; %bb.1900:
	s_cmp_gt_i32 s15, 43
	;; [unrolled: 3-line block ×3, first 2 shown]
	s_cbranch_scc0 .LBB81_1904
; %bb.1902:
	s_mov_b64 s[0:1], -1
	s_mov_b64 s[10:11], 0
	s_cmp_eq_u32 s15, 46
	s_cbranch_scc0 .LBB81_1904
; %bb.1903:
	v_cvt_f32_f64_e32 v2, v[0:1]
	v_bfe_u32 v3, v2, 16, 1
	s_movk_i32 s0, 0x7fff
	v_add3_u32 v3, v2, v3, s0
	v_cmp_o_f32_e32 vcc, v2, v2
	v_mov_b32_e32 v2, 0x7fc0
	s_mov_b64 s[0:1], 0
	v_cndmask_b32_sdwa v2, v2, v3, vcc dst_sel:DWORD dst_unused:UNUSED_PAD src0_sel:DWORD src1_sel:WORD_1
	global_store_dword v[6:7], v2, off
	s_mov_b64 s[8:9], -1
.LBB81_1904:
	s_and_b64 vcc, exec, s[10:11]
	s_cbranch_vccz .LBB81_1909
; %bb.1905:
	s_cmp_eq_u32 s15, 44
	s_mov_b64 s[0:1], -1
	s_cbranch_scc0 .LBB81_1909
; %bb.1906:
	v_cvt_f32_f64_e32 v2, v[0:1]
	v_bfe_u32 v3, v2, 23, 8
	s_movk_i32 s0, 0xff
	v_cmp_ne_u32_e32 vcc, s0, v3
	v_mov_b32_e32 v5, 0xff
	s_and_saveexec_b64 s[8:9], vcc
; %bb.1907:
	s_mov_b32 s0, 0x3fffff
	v_lshrrev_b32_e32 v5, 23, v2
	v_and_b32_e32 v8, 0x400000, v2
	v_and_or_b32 v2, v2, s0, v3
	v_cmp_ne_u32_e32 vcc, 0, v8
	v_cmp_ne_u32_e64 s[0:1], 0, v2
	s_and_b64 s[0:1], vcc, s[0:1]
	s_nop 0
	v_cndmask_b32_e64 v2, 0, 1, s[0:1]
	v_add_u32_e32 v5, v5, v2
; %bb.1908:
	s_or_b64 exec, exec, s[8:9]
	s_mov_b64 s[0:1], 0
	s_mov_b64 s[8:9], -1
	global_store_byte v[6:7], v5, off
.LBB81_1909:
	s_mov_b64 s[10:11], 0
.LBB81_1910:
	s_and_b64 vcc, exec, s[10:11]
	s_cbranch_vccz .LBB81_1913
; %bb.1911:
	s_cmp_eq_u32 s15, 29
	s_mov_b64 s[0:1], -1
	s_cbranch_scc0 .LBB81_1913
; %bb.1912:
	v_trunc_f64_e32 v[2:3], v[0:1]
	s_movk_i32 s0, 0xffe0
	v_ldexp_f64 v[8:9], v[2:3], s0
	v_floor_f64_e32 v[8:9], v[8:9]
	v_fmac_f64_e32 v[2:3], 0xc1f00000, v[8:9]
	v_cvt_u32_f64_e32 v13, v[8:9]
	v_cvt_u32_f64_e32 v12, v[2:3]
	global_store_dwordx2 v[6:7], v[12:13], off
	s_mov_b64 s[0:1], 0
	s_mov_b64 s[8:9], -1
.LBB81_1913:
	s_mov_b64 s[10:11], 0
.LBB81_1914:
	s_and_b64 vcc, exec, s[10:11]
	s_cbranch_vccz .LBB81_1930
; %bb.1915:
	s_cmp_lt_i32 s15, 27
	s_mov_b64 s[8:9], -1
	s_cbranch_scc1 .LBB81_1921
; %bb.1916:
	s_cmp_gt_i32 s15, 27
	v_cvt_u32_f64_e32 v2, v[0:1]
	s_cbranch_scc0 .LBB81_1918
; %bb.1917:
	s_mov_b64 s[8:9], 0
	global_store_dword v[6:7], v2, off
.LBB81_1918:
	s_andn2_b64 vcc, exec, s[8:9]
	s_cbranch_vccnz .LBB81_1920
; %bb.1919:
	global_store_short v[6:7], v2, off
.LBB81_1920:
	s_mov_b64 s[8:9], 0
.LBB81_1921:
	s_andn2_b64 vcc, exec, s[8:9]
	s_cbranch_vccnz .LBB81_1929
; %bb.1922:
	v_cvt_f32_f64_e32 v2, v[0:1]
	v_and_b32_e32 v3, 0x7fffffff, v2
	s_mov_b32 s8, 0x43800000
	v_cmp_gt_u32_e32 vcc, s8, v3
	v_mov_b32_e32 v5, 0x80
	s_and_saveexec_b64 s[8:9], vcc
	s_cbranch_execz .LBB81_1928
; %bb.1923:
	s_mov_b32 s10, 0x3bffffff
	v_cmp_lt_u32_e32 vcc, s10, v3
	s_mov_b64 s[10:11], 0
                                        ; implicit-def: $vgpr3
	s_and_saveexec_b64 s[12:13], vcc
	s_xor_b64 s[12:13], exec, s[12:13]
	s_cbranch_execz .LBB81_2149
; %bb.1924:
	v_bfe_u32 v3, v2, 20, 1
	s_mov_b32 s16, 0x487ffff
	v_add3_u32 v3, v2, v3, s16
	s_mov_b64 s[10:11], exec
	v_lshrrev_b32_e32 v3, 20, v3
	s_andn2_saveexec_b64 s[12:13], s[12:13]
	s_cbranch_execnz .LBB81_2150
.LBB81_1925:
	s_or_b64 exec, exec, s[12:13]
	v_mov_b32_e32 v5, 0
	s_and_saveexec_b64 s[12:13], s[10:11]
.LBB81_1926:
	v_lshrrev_b32_e32 v2, 24, v2
	s_movk_i32 s10, 0x80
	v_and_or_b32 v5, v2, s10, v3
.LBB81_1927:
	s_or_b64 exec, exec, s[12:13]
.LBB81_1928:
	s_or_b64 exec, exec, s[8:9]
	global_store_byte v[6:7], v5, off
.LBB81_1929:
	s_mov_b64 s[8:9], -1
.LBB81_1930:
	s_mov_b64 s[10:11], 0
.LBB81_1931:
	s_and_b64 vcc, exec, s[10:11]
	s_cbranch_vccz .LBB81_1971
; %bb.1932:
	s_cmp_gt_i32 s15, 22
	s_mov_b64 s[6:7], -1
	s_cbranch_scc0 .LBB81_1964
; %bb.1933:
	s_cmp_lt_i32 s15, 24
	s_cbranch_scc1 .LBB81_1953
; %bb.1934:
	s_cmp_gt_i32 s15, 24
	s_cbranch_scc0 .LBB81_1942
; %bb.1935:
	v_cvt_f32_f64_e32 v2, v[0:1]
	v_and_b32_e32 v3, 0x7fffffff, v2
	s_mov_b32 s6, 0x47800000
	v_cmp_gt_u32_e32 vcc, s6, v3
	v_mov_b32_e32 v5, 0x80
	s_and_saveexec_b64 s[6:7], vcc
	s_cbranch_execz .LBB81_1941
; %bb.1936:
	s_mov_b32 s8, 0x37ffffff
	v_cmp_lt_u32_e32 vcc, s8, v3
	s_mov_b64 s[8:9], 0
                                        ; implicit-def: $vgpr3
	s_and_saveexec_b64 s[10:11], vcc
	s_xor_b64 s[10:11], exec, s[10:11]
	s_cbranch_execz .LBB81_2152
; %bb.1937:
	v_bfe_u32 v3, v2, 21, 1
	s_mov_b32 s12, 0x88fffff
	v_add3_u32 v3, v2, v3, s12
	s_mov_b64 s[8:9], exec
	v_lshrrev_b32_e32 v3, 21, v3
	s_andn2_saveexec_b64 s[10:11], s[10:11]
	s_cbranch_execnz .LBB81_2153
.LBB81_1938:
	s_or_b64 exec, exec, s[10:11]
	v_mov_b32_e32 v5, 0
	s_and_saveexec_b64 s[10:11], s[8:9]
.LBB81_1939:
	v_lshrrev_b32_e32 v2, 24, v2
	s_movk_i32 s8, 0x80
	v_and_or_b32 v5, v2, s8, v3
.LBB81_1940:
	s_or_b64 exec, exec, s[10:11]
.LBB81_1941:
	s_or_b64 exec, exec, s[6:7]
	s_mov_b64 s[6:7], 0
	global_store_byte v[6:7], v5, off
.LBB81_1942:
	s_and_b64 vcc, exec, s[6:7]
	s_cbranch_vccz .LBB81_1952
; %bb.1943:
	v_cvt_f32_f64_e32 v2, v[0:1]
	v_and_b32_e32 v5, 0x7fffffff, v2
	s_mov_b32 s6, 0x43f00000
	v_cmp_gt_u32_e32 vcc, s6, v5
                                        ; implicit-def: $vgpr3
	s_and_saveexec_b64 s[6:7], vcc
	s_xor_b64 s[6:7], exec, s[6:7]
	s_cbranch_execz .LBB81_1949
; %bb.1944:
	s_mov_b32 s8, 0x3c7fffff
	v_cmp_lt_u32_e32 vcc, s8, v5
                                        ; implicit-def: $vgpr3
	s_and_saveexec_b64 s[8:9], vcc
	s_xor_b64 s[8:9], exec, s[8:9]
; %bb.1945:
	v_bfe_u32 v3, v2, 20, 1
	s_mov_b32 s10, 0x407ffff
	v_add3_u32 v3, v2, v3, s10
	v_lshrrev_b32_e32 v5, 20, v3
	v_and_b32_e32 v3, 0xff00000, v3
	s_mov_b32 s10, 0x7f00000
	v_mov_b32_e32 v8, 0x7e
	v_cmp_ne_u32_e32 vcc, s10, v3
	s_nop 1
	v_cndmask_b32_e32 v3, v8, v5, vcc
; %bb.1946:
	s_andn2_saveexec_b64 s[8:9], s[8:9]
; %bb.1947:
	s_mov_b32 s10, 0x46800000
	v_add_f32_e64 v3, |v2|, s10
; %bb.1948:
	s_or_b64 exec, exec, s[8:9]
                                        ; implicit-def: $vgpr5
.LBB81_1949:
	s_andn2_saveexec_b64 s[6:7], s[6:7]
; %bb.1950:
	s_mov_b32 s8, 0x7f800000
	v_mov_b32_e32 v3, 0x7e
	v_mov_b32_e32 v8, 0x7f
	v_cmp_lt_u32_e32 vcc, s8, v5
	s_nop 1
	v_cndmask_b32_e32 v3, v3, v8, vcc
; %bb.1951:
	s_or_b64 exec, exec, s[6:7]
	v_lshrrev_b32_e32 v2, 24, v2
	s_movk_i32 s6, 0x80
	v_and_or_b32 v2, v2, s6, v3
	global_store_byte v[6:7], v2, off
.LBB81_1952:
	s_mov_b64 s[6:7], 0
.LBB81_1953:
	s_andn2_b64 vcc, exec, s[6:7]
	s_cbranch_vccnz .LBB81_1963
; %bb.1954:
	v_cvt_f32_f64_e32 v2, v[0:1]
	v_and_b32_e32 v5, 0x7fffffff, v2
	s_mov_b32 s6, 0x47800000
	v_cmp_gt_u32_e32 vcc, s6, v5
                                        ; implicit-def: $vgpr3
	s_and_saveexec_b64 s[6:7], vcc
	s_xor_b64 s[6:7], exec, s[6:7]
	s_cbranch_execz .LBB81_1960
; %bb.1955:
	s_mov_b32 s8, 0x387fffff
	v_cmp_lt_u32_e32 vcc, s8, v5
                                        ; implicit-def: $vgpr3
	s_and_saveexec_b64 s[8:9], vcc
	s_xor_b64 s[8:9], exec, s[8:9]
; %bb.1956:
	v_bfe_u32 v3, v2, 21, 1
	s_mov_b32 s10, 0x80fffff
	v_add3_u32 v3, v2, v3, s10
	v_lshrrev_b32_e32 v3, 21, v3
; %bb.1957:
	s_andn2_saveexec_b64 s[8:9], s[8:9]
; %bb.1958:
	s_mov_b32 s10, 0x43000000
	v_add_f32_e64 v3, |v2|, s10
; %bb.1959:
	s_or_b64 exec, exec, s[8:9]
                                        ; implicit-def: $vgpr5
.LBB81_1960:
	s_andn2_saveexec_b64 s[6:7], s[6:7]
; %bb.1961:
	s_mov_b32 s8, 0x7f800000
	v_mov_b32_e32 v3, 0x7c
	v_mov_b32_e32 v8, 0x7f
	v_cmp_lt_u32_e32 vcc, s8, v5
	s_nop 1
	v_cndmask_b32_e32 v3, v3, v8, vcc
; %bb.1962:
	s_or_b64 exec, exec, s[6:7]
	v_lshrrev_b32_e32 v2, 24, v2
	s_movk_i32 s6, 0x80
	v_and_or_b32 v2, v2, s6, v3
	global_store_byte v[6:7], v2, off
.LBB81_1963:
	s_mov_b64 s[6:7], 0
	s_mov_b64 s[8:9], -1
.LBB81_1964:
	s_andn2_b64 vcc, exec, s[6:7]
	s_mov_b64 s[6:7], 0
	s_cbranch_vccnz .LBB81_1971
; %bb.1965:
	s_cmp_gt_i32 s15, 14
	s_mov_b64 s[10:11], -1
	s_cbranch_scc0 .LBB81_1969
; %bb.1966:
	s_cmp_eq_u32 s15, 15
	s_mov_b64 s[0:1], -1
	s_cbranch_scc0 .LBB81_1968
; %bb.1967:
	v_cvt_f32_f64_e32 v2, v[0:1]
	v_bfe_u32 v3, v2, 16, 1
	s_movk_i32 s0, 0x7fff
	v_add3_u32 v3, v2, v3, s0
	v_cmp_o_f32_e32 vcc, v2, v2
	v_mov_b32_e32 v2, 0x7fc0
	s_mov_b64 s[0:1], 0
	v_cndmask_b32_sdwa v2, v2, v3, vcc dst_sel:DWORD dst_unused:UNUSED_PAD src0_sel:DWORD src1_sel:WORD_1
	global_store_short v[6:7], v2, off
	s_mov_b64 s[8:9], -1
.LBB81_1968:
	s_mov_b64 s[10:11], 0
.LBB81_1969:
	s_and_b64 vcc, exec, s[10:11]
	s_cbranch_vccz .LBB81_1971
; %bb.1970:
	s_cmp_lg_u32 s15, 11
	s_mov_b64 s[6:7], -1
	s_cselect_b64 s[0:1], -1, 0
.LBB81_1971:
	s_and_b64 vcc, exec, s[0:1]
	s_cbranch_vccnz .LBB81_2151
; %bb.1972:
	s_andn2_b64 vcc, exec, s[6:7]
	s_cbranch_vccnz .LBB81_1974
.LBB81_1973:
	v_cmp_neq_f64_e32 vcc, 0, v[0:1]
	s_mov_b64 s[8:9], -1
	s_nop 0
	v_cndmask_b32_e64 v2, 0, 1, vcc
	global_store_byte v[6:7], v2, off
.LBB81_1974:
	s_mov_b64 s[0:1], 0
	s_branch .LBB81_1976
.LBB81_1975:
	s_mov_b64 s[0:1], -1
	s_mov_b64 s[8:9], 0
.LBB81_1976:
	s_and_b64 vcc, exec, s[0:1]
	s_cbranch_vccz .LBB81_2015
; %bb.1977:
	s_and_b32 s6, 0xffff, s14
	s_cmp_lt_i32 s6, 5
	s_mov_b64 s[0:1], -1
	s_cbranch_scc1 .LBB81_1998
; %bb.1978:
	s_cmp_lt_i32 s6, 8
	s_cbranch_scc1 .LBB81_1988
; %bb.1979:
	s_cmp_lt_i32 s6, 9
	s_cbranch_scc1 .LBB81_1985
; %bb.1980:
	s_cmp_gt_i32 s6, 9
	s_cbranch_scc0 .LBB81_1982
; %bb.1981:
	v_mov_b32_e32 v2, 0
	v_mov_b32_e32 v3, v2
	global_store_dwordx4 v[6:7], v[0:3], off
	s_mov_b64 s[0:1], 0
.LBB81_1982:
	s_andn2_b64 vcc, exec, s[0:1]
	s_cbranch_vccnz .LBB81_1984
; %bb.1983:
	v_cvt_f32_f64_e32 v2, v[0:1]
	v_mov_b32_e32 v3, 0
	global_store_dwordx2 v[6:7], v[2:3], off
.LBB81_1984:
	s_mov_b64 s[0:1], 0
.LBB81_1985:
	s_andn2_b64 vcc, exec, s[0:1]
	s_cbranch_vccnz .LBB81_1987
; %bb.1986:
	s_movk_i32 s0, 0x1ff
	v_and_or_b32 v2, v1, s0, v0
	v_cmp_ne_u32_e32 vcc, 0, v2
	v_lshrrev_b32_e32 v3, 8, v1
	s_movk_i32 s0, 0xffe
	v_cndmask_b32_e64 v2, 0, 1, vcc
	v_bfe_u32 v5, v1, 20, 11
	v_and_or_b32 v2, v3, s0, v2
	v_sub_u32_e32 v8, 0x3f1, v5
	v_or_b32_e32 v3, 0x1000, v2
	v_med3_i32 v8, v8, 0, 13
	v_lshrrev_b32_e32 v9, v8, v3
	v_lshlrev_b32_e32 v8, v8, v9
	v_cmp_ne_u32_e32 vcc, v8, v3
	v_add_u32_e32 v5, 0xfffffc10, v5
	v_lshl_or_b32 v8, v5, 12, v2
	v_cndmask_b32_e64 v3, 0, 1, vcc
	v_or_b32_e32 v3, v9, v3
	v_cmp_gt_i32_e32 vcc, 1, v5
	s_movk_i32 s0, 0x40f
	s_nop 0
	v_cndmask_b32_e32 v3, v8, v3, vcc
	v_and_b32_e32 v8, 7, v3
	v_cmp_lt_i32_e32 vcc, 5, v8
	v_lshrrev_b32_e32 v3, 2, v3
	s_nop 0
	v_cndmask_b32_e64 v9, 0, 1, vcc
	v_cmp_eq_u32_e32 vcc, 3, v8
	s_nop 1
	v_cndmask_b32_e64 v8, 0, 1, vcc
	v_or_b32_e32 v8, v8, v9
	v_add_u32_e32 v3, v3, v8
	v_mov_b32_e32 v8, 0x7c00
	v_cmp_gt_i32_e32 vcc, 31, v5
	v_mov_b32_e32 v9, 0x7e00
	s_nop 0
	v_cndmask_b32_e32 v3, v8, v3, vcc
	v_cmp_ne_u32_e32 vcc, 0, v2
	s_nop 1
	v_cndmask_b32_e32 v2, v8, v9, vcc
	v_cmp_eq_u32_e32 vcc, s0, v5
	s_mov_b32 s0, 0x8000
	s_nop 0
	v_cndmask_b32_e32 v2, v3, v2, vcc
	v_and_b32_sdwa v3, v1, s0 dst_sel:DWORD dst_unused:UNUSED_PAD src0_sel:WORD_1 src1_sel:DWORD
	s_mov_b32 s0, 0xffff
	v_bitop3_b32 v2, v3, s0, v2 bitop3:0xc8
	global_store_dword v[6:7], v2, off
.LBB81_1987:
	s_mov_b64 s[0:1], 0
.LBB81_1988:
	s_andn2_b64 vcc, exec, s[0:1]
	s_cbranch_vccnz .LBB81_1997
; %bb.1989:
	s_cmp_lt_i32 s6, 6
	s_mov_b64 s[0:1], -1
	s_cbranch_scc1 .LBB81_1995
; %bb.1990:
	s_cmp_gt_i32 s6, 6
	s_cbranch_scc0 .LBB81_1992
; %bb.1991:
	global_store_dwordx2 v[6:7], v[0:1], off
	s_mov_b64 s[0:1], 0
.LBB81_1992:
	s_andn2_b64 vcc, exec, s[0:1]
	s_cbranch_vccnz .LBB81_1994
; %bb.1993:
	v_cvt_f32_f64_e32 v2, v[0:1]
	global_store_dword v[6:7], v2, off
.LBB81_1994:
	s_mov_b64 s[0:1], 0
.LBB81_1995:
	s_andn2_b64 vcc, exec, s[0:1]
	s_cbranch_vccnz .LBB81_1997
; %bb.1996:
	s_movk_i32 s0, 0x1ff
	v_and_or_b32 v2, v1, s0, v0
	v_cmp_ne_u32_e32 vcc, 0, v2
	v_lshrrev_b32_e32 v3, 8, v1
	s_movk_i32 s0, 0xffe
	v_cndmask_b32_e64 v2, 0, 1, vcc
	v_bfe_u32 v5, v1, 20, 11
	v_and_or_b32 v2, v3, s0, v2
	v_sub_u32_e32 v8, 0x3f1, v5
	v_or_b32_e32 v3, 0x1000, v2
	v_med3_i32 v8, v8, 0, 13
	v_lshrrev_b32_e32 v9, v8, v3
	v_lshlrev_b32_e32 v8, v8, v9
	v_cmp_ne_u32_e32 vcc, v8, v3
	v_add_u32_e32 v5, 0xfffffc10, v5
	v_lshl_or_b32 v8, v5, 12, v2
	v_cndmask_b32_e64 v3, 0, 1, vcc
	v_or_b32_e32 v3, v9, v3
	v_cmp_gt_i32_e32 vcc, 1, v5
	s_movk_i32 s0, 0x40f
	s_nop 0
	v_cndmask_b32_e32 v3, v8, v3, vcc
	v_and_b32_e32 v8, 7, v3
	v_cmp_lt_i32_e32 vcc, 5, v8
	v_lshrrev_b32_e32 v3, 2, v3
	s_nop 0
	v_cndmask_b32_e64 v9, 0, 1, vcc
	v_cmp_eq_u32_e32 vcc, 3, v8
	s_nop 1
	v_cndmask_b32_e64 v8, 0, 1, vcc
	v_or_b32_e32 v8, v8, v9
	v_add_u32_e32 v3, v3, v8
	v_mov_b32_e32 v8, 0x7c00
	v_cmp_gt_i32_e32 vcc, 31, v5
	v_mov_b32_e32 v9, 0x7e00
	s_nop 0
	v_cndmask_b32_e32 v3, v8, v3, vcc
	v_cmp_ne_u32_e32 vcc, 0, v2
	s_nop 1
	v_cndmask_b32_e32 v2, v8, v9, vcc
	v_cmp_eq_u32_e32 vcc, s0, v5
	s_mov_b32 s0, 0x8000
	s_nop 0
	v_cndmask_b32_e32 v2, v3, v2, vcc
	v_lshrrev_b32_e32 v3, 16, v1
	v_and_or_b32 v2, v3, s0, v2
	global_store_short v[6:7], v2, off
.LBB81_1997:
	s_mov_b64 s[0:1], 0
.LBB81_1998:
	s_andn2_b64 vcc, exec, s[0:1]
	s_cbranch_vccnz .LBB81_2014
; %bb.1999:
	s_cmp_lt_i32 s6, 2
	s_mov_b64 s[0:1], -1
	s_cbranch_scc1 .LBB81_2009
; %bb.2000:
	s_cmp_lt_i32 s6, 3
	s_cbranch_scc1 .LBB81_2006
; %bb.2001:
	s_cmp_gt_i32 s6, 3
	s_cbranch_scc0 .LBB81_2003
; %bb.2002:
	v_trunc_f64_e32 v[2:3], v[0:1]
	s_movk_i32 s0, 0xffe0
	v_ldexp_f64 v[8:9], v[2:3], s0
	v_floor_f64_e32 v[8:9], v[8:9]
	v_fmac_f64_e32 v[2:3], 0xc1f00000, v[8:9]
	v_cvt_i32_f64_e32 v13, v[8:9]
	v_cvt_u32_f64_e32 v12, v[2:3]
	global_store_dwordx2 v[6:7], v[12:13], off
	s_mov_b64 s[0:1], 0
.LBB81_2003:
	s_andn2_b64 vcc, exec, s[0:1]
	s_cbranch_vccnz .LBB81_2005
; %bb.2004:
	v_cvt_i32_f64_e32 v2, v[0:1]
	global_store_dword v[6:7], v2, off
.LBB81_2005:
	s_mov_b64 s[0:1], 0
.LBB81_2006:
	s_andn2_b64 vcc, exec, s[0:1]
	s_cbranch_vccnz .LBB81_2008
; %bb.2007:
	v_cvt_i32_f64_e32 v2, v[0:1]
	global_store_short v[6:7], v2, off
.LBB81_2008:
	s_mov_b64 s[0:1], 0
.LBB81_2009:
	s_andn2_b64 vcc, exec, s[0:1]
	s_cbranch_vccnz .LBB81_2014
; %bb.2010:
	s_cmp_gt_i32 s6, 0
	s_mov_b64 s[0:1], -1
	s_cbranch_scc0 .LBB81_2012
; %bb.2011:
	v_cvt_i32_f64_e32 v2, v[0:1]
	global_store_byte v[6:7], v2, off
	s_mov_b64 s[0:1], 0
.LBB81_2012:
	s_andn2_b64 vcc, exec, s[0:1]
	s_cbranch_vccnz .LBB81_2014
; %bb.2013:
	v_trunc_f64_e32 v[0:1], v[0:1]
	s_movk_i32 s0, 0xffe0
	v_ldexp_f64 v[2:3], v[0:1], s0
	v_floor_f64_e32 v[2:3], v[2:3]
	v_fmac_f64_e32 v[0:1], 0xc1f00000, v[2:3]
	v_cvt_u32_f64_e32 v0, v[0:1]
	global_store_byte v[6:7], v0, off
.LBB81_2014:
	s_mov_b64 s[8:9], -1
.LBB81_2015:
	s_andn2_b64 vcc, exec, s[8:9]
	s_cbranch_vccnz .LBB81_2092
; %bb.2016:
	s_mov_b32 s0, 0x652b82fe
	s_mov_b32 s1, 0x3ff71547
	v_mul_f64 v[0:1], v[10:11], s[0:1]
	s_mov_b32 s0, 0xfefa39ef
	v_rndne_f64_e32 v[0:1], v[0:1]
	s_mov_b32 s1, 0xbfe62e42
	v_fma_f64 v[2:3], s[0:1], v[0:1], v[10:11]
	s_mov_b32 s0, 0x3b39803f
	s_mov_b32 s1, 0xbc7abc9e
	v_fmac_f64_e32 v[2:3], s[0:1], v[0:1]
	s_mov_b32 s0, 0x6a5dcb37
	v_mov_b32_e32 v6, 0xfca7ab0c
	v_mov_b32_e32 v7, 0x3e928af3
	s_mov_b32 s1, 0x3e5ade15
	v_fmac_f64_e32 v[6:7], s[0:1], v[2:3]
	v_mov_b32_e32 v8, 0x623fde64
	v_mov_b32_e32 v9, 0x3ec71dee
	v_fmac_f64_e32 v[8:9], v[2:3], v[6:7]
	v_mov_b32_e32 v6, 0x7c89e6b0
	v_mov_b32_e32 v7, 0x3efa0199
	;; [unrolled: 3-line block ×8, first 2 shown]
	s_mov_b32 s0, 0
	v_fmac_f64_e32 v[6:7], v[2:3], v[8:9]
	s_mov_b32 s1, 0x40900000
	v_fma_f64 v[6:7], v[2:3], v[6:7], 1.0
	v_cmp_nlt_f64_e32 vcc, s[0:1], v[10:11]
	s_mov_b32 s0, 0
	v_fma_f64 v[2:3], v[2:3], v[6:7], 1.0
	v_cvt_i32_f64_e32 v0, v[0:1]
	s_mov_b32 s1, 0xc090cc00
	v_ldexp_f64 v[0:1], v[2:3], v0
	v_mov_b32_e32 v2, 0x7ff00000
	v_cmp_ngt_f64_e64 s[0:1], s[0:1], v[10:11]
	v_cndmask_b32_e32 v1, v2, v1, vcc
	s_and_b64 vcc, s[0:1], vcc
	v_mov_b32_e32 v5, 0
	v_cndmask_b32_e64 v1, 0, v1, s[0:1]
	v_cndmask_b32_e32 v0, 0, v0, vcc
	s_cmp_lt_i32 s14, 11
	v_lshl_add_u64 v[4:5], s[4:5], 0, v[4:5]
	s_cbranch_scc1 .LBB81_2137
; %bb.2017:
	s_and_b32 s12, 0xffff, s14
	s_mov_b64 s[6:7], -1
	s_mov_b64 s[4:5], 0
	s_cmp_gt_i32 s12, 25
	s_mov_b64 s[0:1], 0
	s_cbranch_scc0 .LBB81_2050
; %bb.2018:
	s_cmp_gt_i32 s12, 28
	s_cbranch_scc0 .LBB81_2034
; %bb.2019:
	s_cmp_gt_i32 s12, 43
	;; [unrolled: 3-line block ×3, first 2 shown]
	s_cbranch_scc0 .LBB81_2024
; %bb.2021:
	s_cmp_eq_u32 s12, 46
	s_mov_b64 s[0:1], -1
	s_cbranch_scc0 .LBB81_2023
; %bb.2022:
	v_cvt_f32_f64_e32 v2, v[0:1]
	v_bfe_u32 v3, v2, 16, 1
	s_movk_i32 s0, 0x7fff
	v_add3_u32 v3, v2, v3, s0
	v_cmp_o_f32_e32 vcc, v2, v2
	v_mov_b32_e32 v2, 0x7fc0
	s_mov_b64 s[0:1], 0
	v_cndmask_b32_sdwa v2, v2, v3, vcc dst_sel:DWORD dst_unused:UNUSED_PAD src0_sel:DWORD src1_sel:WORD_1
	global_store_dword v[4:5], v2, off
.LBB81_2023:
	s_mov_b64 s[6:7], 0
.LBB81_2024:
	s_and_b64 vcc, exec, s[6:7]
	s_cbranch_vccz .LBB81_2029
; %bb.2025:
	s_cmp_eq_u32 s12, 44
	s_mov_b64 s[0:1], -1
	s_cbranch_scc0 .LBB81_2029
; %bb.2026:
	v_cvt_f32_f64_e32 v2, v[0:1]
	v_bfe_u32 v3, v2, 23, 8
	s_movk_i32 s0, 0xff
	v_cmp_ne_u32_e32 vcc, s0, v3
	v_mov_b32_e32 v6, 0xff
	s_and_saveexec_b64 s[6:7], vcc
; %bb.2027:
	s_mov_b32 s0, 0x3fffff
	v_lshrrev_b32_e32 v6, 23, v2
	v_and_b32_e32 v7, 0x400000, v2
	v_and_or_b32 v2, v2, s0, v3
	v_cmp_ne_u32_e32 vcc, 0, v7
	v_cmp_ne_u32_e64 s[0:1], 0, v2
	s_and_b64 s[0:1], vcc, s[0:1]
	s_nop 0
	v_cndmask_b32_e64 v2, 0, 1, s[0:1]
	v_add_u32_e32 v6, v6, v2
; %bb.2028:
	s_or_b64 exec, exec, s[6:7]
	s_mov_b64 s[0:1], 0
	global_store_byte v[4:5], v6, off
.LBB81_2029:
	s_mov_b64 s[6:7], 0
.LBB81_2030:
	s_and_b64 vcc, exec, s[6:7]
	s_cbranch_vccz .LBB81_2033
; %bb.2031:
	s_cmp_eq_u32 s12, 29
	s_mov_b64 s[0:1], -1
	s_cbranch_scc0 .LBB81_2033
; %bb.2032:
	v_trunc_f64_e32 v[2:3], v[0:1]
	s_movk_i32 s0, 0xffe0
	v_ldexp_f64 v[6:7], v[2:3], s0
	v_floor_f64_e32 v[6:7], v[6:7]
	v_fmac_f64_e32 v[2:3], 0xc1f00000, v[6:7]
	v_cvt_u32_f64_e32 v9, v[6:7]
	v_cvt_u32_f64_e32 v8, v[2:3]
	global_store_dwordx2 v[4:5], v[8:9], off
	s_mov_b64 s[0:1], 0
.LBB81_2033:
	s_mov_b64 s[6:7], 0
.LBB81_2034:
	s_and_b64 vcc, exec, s[6:7]
	s_cbranch_vccz .LBB81_2049
; %bb.2035:
	s_cmp_lt_i32 s12, 27
	s_mov_b64 s[6:7], -1
	s_cbranch_scc1 .LBB81_2041
; %bb.2036:
	s_cmp_gt_i32 s12, 27
	s_cbranch_scc0 .LBB81_2038
; %bb.2037:
	v_cvt_u32_f64_e32 v2, v[0:1]
	global_store_dword v[4:5], v2, off
	s_mov_b64 s[6:7], 0
.LBB81_2038:
	s_andn2_b64 vcc, exec, s[6:7]
	s_cbranch_vccnz .LBB81_2040
; %bb.2039:
	v_cvt_u32_f64_e32 v2, v[0:1]
	global_store_short v[4:5], v2, off
.LBB81_2040:
	s_mov_b64 s[6:7], 0
.LBB81_2041:
	s_andn2_b64 vcc, exec, s[6:7]
	s_cbranch_vccnz .LBB81_2049
; %bb.2042:
	v_cvt_f32_f64_e32 v2, v[0:1]
	v_and_b32_e32 v3, 0x7fffffff, v2
	s_mov_b32 s6, 0x43800000
	v_cmp_gt_u32_e32 vcc, s6, v3
	v_mov_b32_e32 v6, 0x80
	s_and_saveexec_b64 s[6:7], vcc
	s_cbranch_execz .LBB81_2048
; %bb.2043:
	s_mov_b32 s8, 0x3bffffff
	v_cmp_lt_u32_e32 vcc, s8, v3
	s_mov_b64 s[8:9], 0
                                        ; implicit-def: $vgpr3
	s_and_saveexec_b64 s[10:11], vcc
	s_xor_b64 s[10:11], exec, s[10:11]
	s_cbranch_execz .LBB81_2154
; %bb.2044:
	v_bfe_u32 v3, v2, 20, 1
	s_mov_b32 s13, 0x487ffff
	v_add3_u32 v3, v2, v3, s13
	s_mov_b64 s[8:9], exec
	v_lshrrev_b32_e32 v3, 20, v3
	s_andn2_saveexec_b64 s[10:11], s[10:11]
	s_cbranch_execnz .LBB81_2155
.LBB81_2045:
	s_or_b64 exec, exec, s[10:11]
	v_mov_b32_e32 v6, 0
	s_and_saveexec_b64 s[10:11], s[8:9]
.LBB81_2046:
	v_lshrrev_b32_e32 v2, 24, v2
	s_movk_i32 s8, 0x80
	v_and_or_b32 v6, v2, s8, v3
.LBB81_2047:
	s_or_b64 exec, exec, s[10:11]
.LBB81_2048:
	s_or_b64 exec, exec, s[6:7]
	global_store_byte v[4:5], v6, off
.LBB81_2049:
	s_mov_b64 s[6:7], 0
.LBB81_2050:
	s_and_b64 vcc, exec, s[6:7]
	s_cbranch_vccz .LBB81_2090
; %bb.2051:
	s_cmp_gt_i32 s12, 22
	s_mov_b64 s[4:5], -1
	s_cbranch_scc0 .LBB81_2083
; %bb.2052:
	s_cmp_lt_i32 s12, 24
	s_cbranch_scc1 .LBB81_2072
; %bb.2053:
	s_cmp_gt_i32 s12, 24
	s_cbranch_scc0 .LBB81_2061
; %bb.2054:
	v_cvt_f32_f64_e32 v2, v[0:1]
	v_and_b32_e32 v3, 0x7fffffff, v2
	s_mov_b32 s4, 0x47800000
	v_cmp_gt_u32_e32 vcc, s4, v3
	v_mov_b32_e32 v6, 0x80
	s_and_saveexec_b64 s[4:5], vcc
	s_cbranch_execz .LBB81_2060
; %bb.2055:
	s_mov_b32 s6, 0x37ffffff
	v_cmp_lt_u32_e32 vcc, s6, v3
	s_mov_b64 s[6:7], 0
                                        ; implicit-def: $vgpr3
	s_and_saveexec_b64 s[8:9], vcc
	s_xor_b64 s[8:9], exec, s[8:9]
	s_cbranch_execz .LBB81_2157
; %bb.2056:
	v_bfe_u32 v3, v2, 21, 1
	s_mov_b32 s10, 0x88fffff
	v_add3_u32 v3, v2, v3, s10
	s_mov_b64 s[6:7], exec
	v_lshrrev_b32_e32 v3, 21, v3
	s_andn2_saveexec_b64 s[8:9], s[8:9]
	s_cbranch_execnz .LBB81_2158
.LBB81_2057:
	s_or_b64 exec, exec, s[8:9]
	v_mov_b32_e32 v6, 0
	s_and_saveexec_b64 s[8:9], s[6:7]
.LBB81_2058:
	v_lshrrev_b32_e32 v2, 24, v2
	s_movk_i32 s6, 0x80
	v_and_or_b32 v6, v2, s6, v3
.LBB81_2059:
	s_or_b64 exec, exec, s[8:9]
.LBB81_2060:
	s_or_b64 exec, exec, s[4:5]
	s_mov_b64 s[4:5], 0
	global_store_byte v[4:5], v6, off
.LBB81_2061:
	s_and_b64 vcc, exec, s[4:5]
	s_cbranch_vccz .LBB81_2071
; %bb.2062:
	v_cvt_f32_f64_e32 v2, v[0:1]
	v_and_b32_e32 v6, 0x7fffffff, v2
	s_mov_b32 s4, 0x43f00000
	v_cmp_gt_u32_e32 vcc, s4, v6
                                        ; implicit-def: $vgpr3
	s_and_saveexec_b64 s[4:5], vcc
	s_xor_b64 s[4:5], exec, s[4:5]
	s_cbranch_execz .LBB81_2068
; %bb.2063:
	s_mov_b32 s6, 0x3c7fffff
	v_cmp_lt_u32_e32 vcc, s6, v6
                                        ; implicit-def: $vgpr3
	s_and_saveexec_b64 s[6:7], vcc
	s_xor_b64 s[6:7], exec, s[6:7]
; %bb.2064:
	v_bfe_u32 v3, v2, 20, 1
	s_mov_b32 s8, 0x407ffff
	v_add3_u32 v3, v2, v3, s8
	v_lshrrev_b32_e32 v6, 20, v3
	v_and_b32_e32 v3, 0xff00000, v3
	s_mov_b32 s8, 0x7f00000
	v_mov_b32_e32 v7, 0x7e
	v_cmp_ne_u32_e32 vcc, s8, v3
	s_nop 1
	v_cndmask_b32_e32 v3, v7, v6, vcc
; %bb.2065:
	s_andn2_saveexec_b64 s[6:7], s[6:7]
; %bb.2066:
	s_mov_b32 s8, 0x46800000
	v_add_f32_e64 v3, |v2|, s8
; %bb.2067:
	s_or_b64 exec, exec, s[6:7]
                                        ; implicit-def: $vgpr6
.LBB81_2068:
	s_andn2_saveexec_b64 s[4:5], s[4:5]
; %bb.2069:
	s_mov_b32 s6, 0x7f800000
	v_mov_b32_e32 v3, 0x7e
	v_mov_b32_e32 v7, 0x7f
	v_cmp_lt_u32_e32 vcc, s6, v6
	s_nop 1
	v_cndmask_b32_e32 v3, v3, v7, vcc
; %bb.2070:
	s_or_b64 exec, exec, s[4:5]
	v_lshrrev_b32_e32 v2, 24, v2
	s_movk_i32 s4, 0x80
	v_and_or_b32 v2, v2, s4, v3
	global_store_byte v[4:5], v2, off
.LBB81_2071:
	s_mov_b64 s[4:5], 0
.LBB81_2072:
	s_andn2_b64 vcc, exec, s[4:5]
	s_cbranch_vccnz .LBB81_2082
; %bb.2073:
	v_cvt_f32_f64_e32 v2, v[0:1]
	v_and_b32_e32 v6, 0x7fffffff, v2
	s_mov_b32 s4, 0x47800000
	v_cmp_gt_u32_e32 vcc, s4, v6
                                        ; implicit-def: $vgpr3
	s_and_saveexec_b64 s[4:5], vcc
	s_xor_b64 s[4:5], exec, s[4:5]
	s_cbranch_execz .LBB81_2079
; %bb.2074:
	s_mov_b32 s6, 0x387fffff
	v_cmp_lt_u32_e32 vcc, s6, v6
                                        ; implicit-def: $vgpr3
	s_and_saveexec_b64 s[6:7], vcc
	s_xor_b64 s[6:7], exec, s[6:7]
; %bb.2075:
	v_bfe_u32 v3, v2, 21, 1
	s_mov_b32 s8, 0x80fffff
	v_add3_u32 v3, v2, v3, s8
	v_lshrrev_b32_e32 v3, 21, v3
; %bb.2076:
	s_andn2_saveexec_b64 s[6:7], s[6:7]
; %bb.2077:
	s_mov_b32 s8, 0x43000000
	v_add_f32_e64 v3, |v2|, s8
; %bb.2078:
	s_or_b64 exec, exec, s[6:7]
                                        ; implicit-def: $vgpr6
.LBB81_2079:
	s_andn2_saveexec_b64 s[4:5], s[4:5]
; %bb.2080:
	s_mov_b32 s6, 0x7f800000
	v_mov_b32_e32 v3, 0x7c
	v_mov_b32_e32 v7, 0x7f
	v_cmp_lt_u32_e32 vcc, s6, v6
	s_nop 1
	v_cndmask_b32_e32 v3, v3, v7, vcc
; %bb.2081:
	s_or_b64 exec, exec, s[4:5]
	v_lshrrev_b32_e32 v2, 24, v2
	s_movk_i32 s4, 0x80
	v_and_or_b32 v2, v2, s4, v3
	global_store_byte v[4:5], v2, off
.LBB81_2082:
	s_mov_b64 s[4:5], 0
.LBB81_2083:
	s_andn2_b64 vcc, exec, s[4:5]
	s_mov_b64 s[4:5], 0
	s_cbranch_vccnz .LBB81_2090
; %bb.2084:
	s_cmp_gt_i32 s12, 14
	s_mov_b64 s[6:7], -1
	s_cbranch_scc0 .LBB81_2088
; %bb.2085:
	s_cmp_eq_u32 s12, 15
	s_mov_b64 s[0:1], -1
	s_cbranch_scc0 .LBB81_2087
; %bb.2086:
	v_cvt_f32_f64_e32 v2, v[0:1]
	v_bfe_u32 v3, v2, 16, 1
	s_movk_i32 s0, 0x7fff
	v_add3_u32 v3, v2, v3, s0
	v_cmp_o_f32_e32 vcc, v2, v2
	v_mov_b32_e32 v2, 0x7fc0
	s_mov_b64 s[0:1], 0
	v_cndmask_b32_sdwa v2, v2, v3, vcc dst_sel:DWORD dst_unused:UNUSED_PAD src0_sel:DWORD src1_sel:WORD_1
	global_store_short v[4:5], v2, off
.LBB81_2087:
	s_mov_b64 s[6:7], 0
.LBB81_2088:
	s_and_b64 vcc, exec, s[6:7]
	s_cbranch_vccz .LBB81_2090
; %bb.2089:
	s_cmp_lg_u32 s12, 11
	s_mov_b64 s[4:5], -1
	s_cselect_b64 s[0:1], -1, 0
.LBB81_2090:
	s_and_b64 vcc, exec, s[0:1]
	s_cbranch_vccnz .LBB81_2156
.LBB81_2091:
	s_mov_b64 s[0:1], 0
	s_branch .LBB81_2093
.LBB81_2092:
	s_mov_b64 s[0:1], 0
	s_mov_b64 s[4:5], 0
                                        ; implicit-def: $vgpr4_vgpr5
                                        ; implicit-def: $sgpr14
                                        ; implicit-def: $vgpr0_vgpr1
.LBB81_2093:
	s_and_b64 s[6:7], s[0:1], exec
	s_andn2_b64 s[0:1], s[24:25], exec
	s_and_b64 s[2:3], s[2:3], exec
	s_and_b64 s[40:41], s[4:5], exec
	s_or_b64 s[24:25], s[0:1], s[2:3]
.LBB81_2094:
	s_or_b64 exec, exec, s[26:27]
	s_and_saveexec_b64 s[0:1], s[24:25]
	s_cbranch_execz .LBB81_2097
; %bb.2095:
	; divergent unreachable
	s_or_b64 exec, exec, s[0:1]
	s_and_saveexec_b64 s[0:1], s[40:41]
	s_xor_b64 s[0:1], exec, s[0:1]
	s_cbranch_execnz .LBB81_2098
.LBB81_2096:
	s_or_b64 exec, exec, s[0:1]
	s_and_saveexec_b64 s[0:1], s[6:7]
	s_cbranch_execnz .LBB81_2099
	s_branch .LBB81_2136
.LBB81_2097:
	s_or_b64 exec, exec, s[0:1]
	s_and_saveexec_b64 s[0:1], s[40:41]
	s_xor_b64 s[0:1], exec, s[0:1]
	s_cbranch_execz .LBB81_2096
.LBB81_2098:
	s_waitcnt vmcnt(0)
	v_cmp_neq_f64_e32 vcc, 0, v[0:1]
	s_nop 1
	v_cndmask_b32_e64 v2, 0, 1, vcc
	global_store_byte v[4:5], v2, off
	s_or_b64 exec, exec, s[0:1]
	s_and_saveexec_b64 s[0:1], s[6:7]
	s_cbranch_execz .LBB81_2136
.LBB81_2099:
	s_sext_i32_i16 s2, s14
	s_cmp_lt_i32 s2, 5
	s_mov_b64 s[0:1], -1
	s_cbranch_scc1 .LBB81_2120
; %bb.2100:
	s_cmp_lt_i32 s2, 8
	s_cbranch_scc1 .LBB81_2110
; %bb.2101:
	s_cmp_lt_i32 s2, 9
	s_cbranch_scc1 .LBB81_2107
; %bb.2102:
	s_cmp_gt_i32 s2, 9
	s_cbranch_scc0 .LBB81_2104
; %bb.2103:
	v_mov_b32_e32 v2, 0
	v_mov_b32_e32 v3, v2
	s_waitcnt vmcnt(0)
	global_store_dwordx4 v[4:5], v[0:3], off
	s_mov_b64 s[0:1], 0
.LBB81_2104:
	s_andn2_b64 vcc, exec, s[0:1]
	s_cbranch_vccnz .LBB81_2106
; %bb.2105:
	s_waitcnt vmcnt(0)
	v_cvt_f32_f64_e32 v2, v[0:1]
	v_mov_b32_e32 v3, 0
	global_store_dwordx2 v[4:5], v[2:3], off
.LBB81_2106:
	s_mov_b64 s[0:1], 0
.LBB81_2107:
	s_andn2_b64 vcc, exec, s[0:1]
	s_cbranch_vccnz .LBB81_2109
; %bb.2108:
	s_movk_i32 s0, 0x1ff
	s_waitcnt vmcnt(0)
	v_and_or_b32 v2, v1, s0, v0
	v_cmp_ne_u32_e32 vcc, 0, v2
	v_lshrrev_b32_e32 v3, 8, v1
	s_movk_i32 s0, 0xffe
	v_cndmask_b32_e64 v2, 0, 1, vcc
	v_bfe_u32 v6, v1, 20, 11
	v_and_or_b32 v2, v3, s0, v2
	v_sub_u32_e32 v7, 0x3f1, v6
	v_or_b32_e32 v3, 0x1000, v2
	v_med3_i32 v7, v7, 0, 13
	v_lshrrev_b32_e32 v8, v7, v3
	v_lshlrev_b32_e32 v7, v7, v8
	v_cmp_ne_u32_e32 vcc, v7, v3
	v_add_u32_e32 v6, 0xfffffc10, v6
	v_lshl_or_b32 v7, v6, 12, v2
	v_cndmask_b32_e64 v3, 0, 1, vcc
	v_or_b32_e32 v3, v8, v3
	v_cmp_gt_i32_e32 vcc, 1, v6
	s_movk_i32 s0, 0x40f
	s_nop 0
	v_cndmask_b32_e32 v3, v7, v3, vcc
	v_and_b32_e32 v7, 7, v3
	v_cmp_lt_i32_e32 vcc, 5, v7
	v_lshrrev_b32_e32 v3, 2, v3
	s_nop 0
	v_cndmask_b32_e64 v8, 0, 1, vcc
	v_cmp_eq_u32_e32 vcc, 3, v7
	s_nop 1
	v_cndmask_b32_e64 v7, 0, 1, vcc
	v_or_b32_e32 v7, v7, v8
	v_add_u32_e32 v3, v3, v7
	v_mov_b32_e32 v7, 0x7c00
	v_cmp_gt_i32_e32 vcc, 31, v6
	v_mov_b32_e32 v8, 0x7e00
	s_nop 0
	v_cndmask_b32_e32 v3, v7, v3, vcc
	v_cmp_ne_u32_e32 vcc, 0, v2
	s_nop 1
	v_cndmask_b32_e32 v2, v7, v8, vcc
	v_cmp_eq_u32_e32 vcc, s0, v6
	s_mov_b32 s0, 0x8000
	s_nop 0
	v_cndmask_b32_e32 v2, v3, v2, vcc
	v_and_b32_sdwa v3, v1, s0 dst_sel:DWORD dst_unused:UNUSED_PAD src0_sel:WORD_1 src1_sel:DWORD
	s_mov_b32 s0, 0xffff
	v_bitop3_b32 v2, v3, s0, v2 bitop3:0xc8
	global_store_dword v[4:5], v2, off
.LBB81_2109:
	s_mov_b64 s[0:1], 0
.LBB81_2110:
	s_andn2_b64 vcc, exec, s[0:1]
	s_cbranch_vccnz .LBB81_2119
; %bb.2111:
	s_sext_i32_i16 s2, s14
	s_cmp_lt_i32 s2, 6
	s_mov_b64 s[0:1], -1
	s_cbranch_scc1 .LBB81_2117
; %bb.2112:
	s_cmp_gt_i32 s2, 6
	s_cbranch_scc0 .LBB81_2114
; %bb.2113:
	s_waitcnt vmcnt(0)
	global_store_dwordx2 v[4:5], v[0:1], off
	s_mov_b64 s[0:1], 0
.LBB81_2114:
	s_andn2_b64 vcc, exec, s[0:1]
	s_cbranch_vccnz .LBB81_2116
; %bb.2115:
	s_waitcnt vmcnt(0)
	v_cvt_f32_f64_e32 v2, v[0:1]
	global_store_dword v[4:5], v2, off
.LBB81_2116:
	s_mov_b64 s[0:1], 0
.LBB81_2117:
	s_andn2_b64 vcc, exec, s[0:1]
	s_cbranch_vccnz .LBB81_2119
; %bb.2118:
	s_movk_i32 s0, 0x1ff
	s_waitcnt vmcnt(0)
	v_and_or_b32 v2, v1, s0, v0
	v_cmp_ne_u32_e32 vcc, 0, v2
	v_lshrrev_b32_e32 v3, 8, v1
	s_movk_i32 s0, 0xffe
	v_cndmask_b32_e64 v2, 0, 1, vcc
	v_bfe_u32 v6, v1, 20, 11
	v_and_or_b32 v2, v3, s0, v2
	v_sub_u32_e32 v7, 0x3f1, v6
	v_or_b32_e32 v3, 0x1000, v2
	v_med3_i32 v7, v7, 0, 13
	v_lshrrev_b32_e32 v8, v7, v3
	v_lshlrev_b32_e32 v7, v7, v8
	v_cmp_ne_u32_e32 vcc, v7, v3
	v_add_u32_e32 v6, 0xfffffc10, v6
	v_lshl_or_b32 v7, v6, 12, v2
	v_cndmask_b32_e64 v3, 0, 1, vcc
	v_or_b32_e32 v3, v8, v3
	v_cmp_gt_i32_e32 vcc, 1, v6
	s_movk_i32 s0, 0x40f
	s_nop 0
	v_cndmask_b32_e32 v3, v7, v3, vcc
	v_and_b32_e32 v7, 7, v3
	v_cmp_lt_i32_e32 vcc, 5, v7
	v_lshrrev_b32_e32 v3, 2, v3
	s_nop 0
	v_cndmask_b32_e64 v8, 0, 1, vcc
	v_cmp_eq_u32_e32 vcc, 3, v7
	s_nop 1
	v_cndmask_b32_e64 v7, 0, 1, vcc
	v_or_b32_e32 v7, v7, v8
	v_add_u32_e32 v3, v3, v7
	v_mov_b32_e32 v7, 0x7c00
	v_cmp_gt_i32_e32 vcc, 31, v6
	v_mov_b32_e32 v8, 0x7e00
	s_nop 0
	v_cndmask_b32_e32 v3, v7, v3, vcc
	v_cmp_ne_u32_e32 vcc, 0, v2
	s_nop 1
	v_cndmask_b32_e32 v2, v7, v8, vcc
	v_cmp_eq_u32_e32 vcc, s0, v6
	s_mov_b32 s0, 0x8000
	s_nop 0
	v_cndmask_b32_e32 v2, v3, v2, vcc
	v_lshrrev_b32_e32 v3, 16, v1
	v_and_or_b32 v2, v3, s0, v2
	global_store_short v[4:5], v2, off
.LBB81_2119:
	s_mov_b64 s[0:1], 0
.LBB81_2120:
	s_andn2_b64 vcc, exec, s[0:1]
	s_cbranch_vccnz .LBB81_2136
; %bb.2121:
	s_sext_i32_i16 s2, s14
	s_cmp_lt_i32 s2, 2
	s_mov_b64 s[0:1], -1
	s_cbranch_scc1 .LBB81_2131
; %bb.2122:
	s_cmp_lt_i32 s2, 3
	s_cbranch_scc1 .LBB81_2128
; %bb.2123:
	s_cmp_gt_i32 s2, 3
	s_cbranch_scc0 .LBB81_2125
; %bb.2124:
	s_waitcnt vmcnt(0)
	v_trunc_f64_e32 v[2:3], v[0:1]
	s_movk_i32 s0, 0xffe0
	v_ldexp_f64 v[6:7], v[2:3], s0
	v_floor_f64_e32 v[6:7], v[6:7]
	v_fmac_f64_e32 v[2:3], 0xc1f00000, v[6:7]
	v_cvt_i32_f64_e32 v9, v[6:7]
	v_cvt_u32_f64_e32 v8, v[2:3]
	global_store_dwordx2 v[4:5], v[8:9], off
	s_mov_b64 s[0:1], 0
.LBB81_2125:
	s_andn2_b64 vcc, exec, s[0:1]
	s_cbranch_vccnz .LBB81_2127
; %bb.2126:
	s_waitcnt vmcnt(0)
	v_cvt_i32_f64_e32 v2, v[0:1]
	global_store_dword v[4:5], v2, off
.LBB81_2127:
	s_mov_b64 s[0:1], 0
.LBB81_2128:
	s_andn2_b64 vcc, exec, s[0:1]
	s_cbranch_vccnz .LBB81_2130
; %bb.2129:
	s_waitcnt vmcnt(0)
	v_cvt_i32_f64_e32 v2, v[0:1]
	global_store_short v[4:5], v2, off
.LBB81_2130:
	s_mov_b64 s[0:1], 0
.LBB81_2131:
	s_andn2_b64 vcc, exec, s[0:1]
	s_cbranch_vccnz .LBB81_2136
; %bb.2132:
	s_sext_i32_i16 s0, s14
	s_cmp_gt_i32 s0, 0
	s_mov_b64 s[0:1], -1
	s_cbranch_scc0 .LBB81_2134
; %bb.2133:
	s_waitcnt vmcnt(0)
	v_cvt_i32_f64_e32 v2, v[0:1]
	global_store_byte v[4:5], v2, off
	s_mov_b64 s[0:1], 0
.LBB81_2134:
	s_andn2_b64 vcc, exec, s[0:1]
	s_cbranch_vccnz .LBB81_2136
; %bb.2135:
	s_waitcnt vmcnt(0)
	v_trunc_f64_e32 v[0:1], v[0:1]
	s_movk_i32 s0, 0xffe0
	v_ldexp_f64 v[2:3], v[0:1], s0
	v_floor_f64_e32 v[2:3], v[2:3]
	v_fmac_f64_e32 v[0:1], 0xc1f00000, v[2:3]
	v_cvt_u32_f64_e32 v0, v[0:1]
	global_store_byte v[4:5], v0, off
	s_endpgm
.LBB81_2136:
	s_endpgm
.LBB81_2137:
	s_mov_b64 s[4:5], 0
	s_mov_b64 s[0:1], -1
	s_branch .LBB81_2093
.LBB81_2138:
	s_trap 2
	s_or_b64 s[2:3], s[2:3], exec
	s_cbranch_execz .LBB81_1607
	s_branch .LBB81_1608
.LBB81_2139:
	s_andn2_saveexec_b64 s[12:13], s[12:13]
	s_cbranch_execz .LBB81_1687
.LBB81_2140:
	s_mov_b32 s17, 0x46000000
	v_add_f32_e64 v3, |v2|, s17
	v_and_b32_e32 v3, 0xff, v3
	v_cmp_ne_u32_e32 vcc, 0, v3
	s_andn2_b64 s[10:11], s[10:11], exec
	s_and_b64 s[18:19], vcc, exec
	s_or_b64 s[10:11], s[10:11], s[18:19]
	s_or_b64 exec, exec, s[12:13]
	v_mov_b32_e32 v5, 0
	s_and_saveexec_b64 s[12:13], s[10:11]
	s_cbranch_execnz .LBB81_1688
	s_branch .LBB81_1689
.LBB81_2141:
	s_trap 2
	s_or_b64 s[2:3], s[2:3], exec
	s_cbranch_execz .LBB81_1735
	s_branch .LBB81_1736
.LBB81_2142:
	s_andn2_saveexec_b64 s[10:11], s[10:11]
	s_cbranch_execz .LBB81_1700
.LBB81_2143:
	s_mov_b32 s12, 0x42800000
	v_add_f32_e64 v3, |v2|, s12
	v_and_b32_e32 v3, 0xff, v3
	v_cmp_ne_u32_e32 vcc, 0, v3
	s_andn2_b64 s[8:9], s[8:9], exec
	s_and_b64 s[12:13], vcc, exec
	s_or_b64 s[8:9], s[8:9], s[12:13]
	s_or_b64 exec, exec, s[10:11]
	v_mov_b32_e32 v5, 0
	s_and_saveexec_b64 s[10:11], s[8:9]
	s_cbranch_execnz .LBB81_1701
	s_branch .LBB81_1702
.LBB81_2144:
	s_andn2_saveexec_b64 s[12:13], s[12:13]
	s_cbranch_execz .LBB81_1806
.LBB81_2145:
	s_mov_b32 s16, 0x46000000
	v_add_f32_e64 v3, |v2|, s16
	v_and_b32_e32 v3, 0xff, v3
	v_cmp_ne_u32_e32 vcc, 0, v3
	s_andn2_b64 s[10:11], s[10:11], exec
	s_and_b64 s[16:17], vcc, exec
	s_or_b64 s[10:11], s[10:11], s[16:17]
	s_or_b64 exec, exec, s[12:13]
	v_mov_b32_e32 v5, 0
	s_and_saveexec_b64 s[12:13], s[10:11]
	s_cbranch_execnz .LBB81_1807
	s_branch .LBB81_1808
.LBB81_2146:
	s_trap 2
	s_or_b64 s[2:3], s[2:3], exec
	s_cbranch_execz .LBB81_1854
	s_branch .LBB81_1855
.LBB81_2147:
	s_andn2_saveexec_b64 s[10:11], s[10:11]
	s_cbranch_execz .LBB81_1819
.LBB81_2148:
	s_mov_b32 s12, 0x42800000
	v_add_f32_e64 v3, |v2|, s12
	v_and_b32_e32 v3, 0xff, v3
	v_cmp_ne_u32_e32 vcc, 0, v3
	s_andn2_b64 s[8:9], s[8:9], exec
	s_and_b64 s[12:13], vcc, exec
	s_or_b64 s[8:9], s[8:9], s[12:13]
	s_or_b64 exec, exec, s[10:11]
	v_mov_b32_e32 v5, 0
	s_and_saveexec_b64 s[10:11], s[8:9]
	s_cbranch_execnz .LBB81_1820
	s_branch .LBB81_1821
.LBB81_2149:
	s_andn2_saveexec_b64 s[12:13], s[12:13]
	s_cbranch_execz .LBB81_1925
.LBB81_2150:
	s_mov_b32 s16, 0x46000000
	v_add_f32_e64 v3, |v2|, s16
	v_and_b32_e32 v3, 0xff, v3
	v_cmp_ne_u32_e32 vcc, 0, v3
	s_andn2_b64 s[10:11], s[10:11], exec
	s_and_b64 s[16:17], vcc, exec
	s_or_b64 s[10:11], s[10:11], s[16:17]
	s_or_b64 exec, exec, s[12:13]
	v_mov_b32_e32 v5, 0
	s_and_saveexec_b64 s[12:13], s[10:11]
	s_cbranch_execnz .LBB81_1926
	s_branch .LBB81_1927
.LBB81_2151:
	s_trap 2
	s_or_b64 s[2:3], s[2:3], exec
	s_cbranch_execz .LBB81_1973
	s_branch .LBB81_1974
.LBB81_2152:
	s_andn2_saveexec_b64 s[10:11], s[10:11]
	s_cbranch_execz .LBB81_1938
.LBB81_2153:
	s_mov_b32 s12, 0x42800000
	v_add_f32_e64 v3, |v2|, s12
	v_and_b32_e32 v3, 0xff, v3
	v_cmp_ne_u32_e32 vcc, 0, v3
	s_andn2_b64 s[8:9], s[8:9], exec
	s_and_b64 s[12:13], vcc, exec
	s_or_b64 s[8:9], s[8:9], s[12:13]
	s_or_b64 exec, exec, s[10:11]
	v_mov_b32_e32 v5, 0
	s_and_saveexec_b64 s[10:11], s[8:9]
	s_cbranch_execnz .LBB81_1939
	s_branch .LBB81_1940
.LBB81_2154:
	s_andn2_saveexec_b64 s[10:11], s[10:11]
	s_cbranch_execz .LBB81_2045
.LBB81_2155:
	s_mov_b32 s13, 0x46000000
	v_add_f32_e64 v3, |v2|, s13
	v_and_b32_e32 v3, 0xff, v3
	v_cmp_ne_u32_e32 vcc, 0, v3
	s_andn2_b64 s[8:9], s[8:9], exec
	s_and_b64 s[16:17], vcc, exec
	s_or_b64 s[8:9], s[8:9], s[16:17]
	s_or_b64 exec, exec, s[10:11]
	v_mov_b32_e32 v6, 0
	s_and_saveexec_b64 s[10:11], s[8:9]
	s_cbranch_execnz .LBB81_2046
	s_branch .LBB81_2047
.LBB81_2156:
	s_mov_b64 s[4:5], 0
	s_or_b64 s[2:3], s[2:3], exec
	s_trap 2
	s_branch .LBB81_2091
.LBB81_2157:
	s_andn2_saveexec_b64 s[8:9], s[8:9]
	s_cbranch_execz .LBB81_2057
.LBB81_2158:
	s_mov_b32 s10, 0x42800000
	v_add_f32_e64 v3, |v2|, s10
	v_and_b32_e32 v3, 0xff, v3
	v_cmp_ne_u32_e32 vcc, 0, v3
	s_andn2_b64 s[6:7], s[6:7], exec
	s_and_b64 s[10:11], vcc, exec
	s_or_b64 s[6:7], s[6:7], s[10:11]
	s_or_b64 exec, exec, s[8:9]
	v_mov_b32_e32 v6, 0
	s_and_saveexec_b64 s[8:9], s[6:7]
	s_cbranch_execnz .LBB81_2058
	s_branch .LBB81_2059
	.section	.rodata,"a",@progbits
	.p2align	6, 0x0
	.amdhsa_kernel _ZN2at6native32elementwise_kernel_manual_unrollILi128ELi4EZNS0_15gpu_kernel_implIZZZNS0_15exp_kernel_cudaERNS_18TensorIteratorBaseEENKUlvE0_clEvENKUlvE_clEvEUldE_EEvS4_RKT_EUlibE0_EEviT1_
		.amdhsa_group_segment_fixed_size 0
		.amdhsa_private_segment_fixed_size 0
		.amdhsa_kernarg_size 360
		.amdhsa_user_sgpr_count 2
		.amdhsa_user_sgpr_dispatch_ptr 0
		.amdhsa_user_sgpr_queue_ptr 0
		.amdhsa_user_sgpr_kernarg_segment_ptr 1
		.amdhsa_user_sgpr_dispatch_id 0
		.amdhsa_user_sgpr_kernarg_preload_length 0
		.amdhsa_user_sgpr_kernarg_preload_offset 0
		.amdhsa_user_sgpr_private_segment_size 0
		.amdhsa_uses_dynamic_stack 0
		.amdhsa_enable_private_segment 0
		.amdhsa_system_sgpr_workgroup_id_x 1
		.amdhsa_system_sgpr_workgroup_id_y 0
		.amdhsa_system_sgpr_workgroup_id_z 0
		.amdhsa_system_sgpr_workgroup_info 0
		.amdhsa_system_vgpr_workitem_id 0
		.amdhsa_next_free_vgpr 24
		.amdhsa_next_free_sgpr 78
		.amdhsa_accum_offset 24
		.amdhsa_reserve_vcc 1
		.amdhsa_float_round_mode_32 0
		.amdhsa_float_round_mode_16_64 0
		.amdhsa_float_denorm_mode_32 3
		.amdhsa_float_denorm_mode_16_64 3
		.amdhsa_dx10_clamp 1
		.amdhsa_ieee_mode 1
		.amdhsa_fp16_overflow 0
		.amdhsa_tg_split 0
		.amdhsa_exception_fp_ieee_invalid_op 0
		.amdhsa_exception_fp_denorm_src 0
		.amdhsa_exception_fp_ieee_div_zero 0
		.amdhsa_exception_fp_ieee_overflow 0
		.amdhsa_exception_fp_ieee_underflow 0
		.amdhsa_exception_fp_ieee_inexact 0
		.amdhsa_exception_int_div_zero 0
	.end_amdhsa_kernel
	.section	.text._ZN2at6native32elementwise_kernel_manual_unrollILi128ELi4EZNS0_15gpu_kernel_implIZZZNS0_15exp_kernel_cudaERNS_18TensorIteratorBaseEENKUlvE0_clEvENKUlvE_clEvEUldE_EEvS4_RKT_EUlibE0_EEviT1_,"axG",@progbits,_ZN2at6native32elementwise_kernel_manual_unrollILi128ELi4EZNS0_15gpu_kernel_implIZZZNS0_15exp_kernel_cudaERNS_18TensorIteratorBaseEENKUlvE0_clEvENKUlvE_clEvEUldE_EEvS4_RKT_EUlibE0_EEviT1_,comdat
.Lfunc_end81:
	.size	_ZN2at6native32elementwise_kernel_manual_unrollILi128ELi4EZNS0_15gpu_kernel_implIZZZNS0_15exp_kernel_cudaERNS_18TensorIteratorBaseEENKUlvE0_clEvENKUlvE_clEvEUldE_EEvS4_RKT_EUlibE0_EEviT1_, .Lfunc_end81-_ZN2at6native32elementwise_kernel_manual_unrollILi128ELi4EZNS0_15gpu_kernel_implIZZZNS0_15exp_kernel_cudaERNS_18TensorIteratorBaseEENKUlvE0_clEvENKUlvE_clEvEUldE_EEvS4_RKT_EUlibE0_EEviT1_
                                        ; -- End function
	.set _ZN2at6native32elementwise_kernel_manual_unrollILi128ELi4EZNS0_15gpu_kernel_implIZZZNS0_15exp_kernel_cudaERNS_18TensorIteratorBaseEENKUlvE0_clEvENKUlvE_clEvEUldE_EEvS4_RKT_EUlibE0_EEviT1_.num_vgpr, 24
	.set _ZN2at6native32elementwise_kernel_manual_unrollILi128ELi4EZNS0_15gpu_kernel_implIZZZNS0_15exp_kernel_cudaERNS_18TensorIteratorBaseEENKUlvE0_clEvENKUlvE_clEvEUldE_EEvS4_RKT_EUlibE0_EEviT1_.num_agpr, 0
	.set _ZN2at6native32elementwise_kernel_manual_unrollILi128ELi4EZNS0_15gpu_kernel_implIZZZNS0_15exp_kernel_cudaERNS_18TensorIteratorBaseEENKUlvE0_clEvENKUlvE_clEvEUldE_EEvS4_RKT_EUlibE0_EEviT1_.numbered_sgpr, 78
	.set _ZN2at6native32elementwise_kernel_manual_unrollILi128ELi4EZNS0_15gpu_kernel_implIZZZNS0_15exp_kernel_cudaERNS_18TensorIteratorBaseEENKUlvE0_clEvENKUlvE_clEvEUldE_EEvS4_RKT_EUlibE0_EEviT1_.num_named_barrier, 0
	.set _ZN2at6native32elementwise_kernel_manual_unrollILi128ELi4EZNS0_15gpu_kernel_implIZZZNS0_15exp_kernel_cudaERNS_18TensorIteratorBaseEENKUlvE0_clEvENKUlvE_clEvEUldE_EEvS4_RKT_EUlibE0_EEviT1_.private_seg_size, 0
	.set _ZN2at6native32elementwise_kernel_manual_unrollILi128ELi4EZNS0_15gpu_kernel_implIZZZNS0_15exp_kernel_cudaERNS_18TensorIteratorBaseEENKUlvE0_clEvENKUlvE_clEvEUldE_EEvS4_RKT_EUlibE0_EEviT1_.uses_vcc, 1
	.set _ZN2at6native32elementwise_kernel_manual_unrollILi128ELi4EZNS0_15gpu_kernel_implIZZZNS0_15exp_kernel_cudaERNS_18TensorIteratorBaseEENKUlvE0_clEvENKUlvE_clEvEUldE_EEvS4_RKT_EUlibE0_EEviT1_.uses_flat_scratch, 0
	.set _ZN2at6native32elementwise_kernel_manual_unrollILi128ELi4EZNS0_15gpu_kernel_implIZZZNS0_15exp_kernel_cudaERNS_18TensorIteratorBaseEENKUlvE0_clEvENKUlvE_clEvEUldE_EEvS4_RKT_EUlibE0_EEviT1_.has_dyn_sized_stack, 0
	.set _ZN2at6native32elementwise_kernel_manual_unrollILi128ELi4EZNS0_15gpu_kernel_implIZZZNS0_15exp_kernel_cudaERNS_18TensorIteratorBaseEENKUlvE0_clEvENKUlvE_clEvEUldE_EEvS4_RKT_EUlibE0_EEviT1_.has_recursion, 0
	.set _ZN2at6native32elementwise_kernel_manual_unrollILi128ELi4EZNS0_15gpu_kernel_implIZZZNS0_15exp_kernel_cudaERNS_18TensorIteratorBaseEENKUlvE0_clEvENKUlvE_clEvEUldE_EEvS4_RKT_EUlibE0_EEviT1_.has_indirect_call, 0
	.section	.AMDGPU.csdata,"",@progbits
; Kernel info:
; codeLenInByte = 44132
; TotalNumSgprs: 84
; NumVgprs: 24
; NumAgprs: 0
; TotalNumVgprs: 24
; ScratchSize: 0
; MemoryBound: 1
; FloatMode: 240
; IeeeMode: 1
; LDSByteSize: 0 bytes/workgroup (compile time only)
; SGPRBlocks: 10
; VGPRBlocks: 2
; NumSGPRsForWavesPerEU: 84
; NumVGPRsForWavesPerEU: 24
; AccumOffset: 24
; Occupancy: 8
; WaveLimiterHint : 1
; COMPUTE_PGM_RSRC2:SCRATCH_EN: 0
; COMPUTE_PGM_RSRC2:USER_SGPR: 2
; COMPUTE_PGM_RSRC2:TRAP_HANDLER: 0
; COMPUTE_PGM_RSRC2:TGID_X_EN: 1
; COMPUTE_PGM_RSRC2:TGID_Y_EN: 0
; COMPUTE_PGM_RSRC2:TGID_Z_EN: 0
; COMPUTE_PGM_RSRC2:TIDIG_COMP_CNT: 0
; COMPUTE_PGM_RSRC3_GFX90A:ACCUM_OFFSET: 5
; COMPUTE_PGM_RSRC3_GFX90A:TG_SPLIT: 0
	.section	.text._ZN2at6native29vectorized_elementwise_kernelILi16EZZZNS0_15exp_kernel_cudaERNS_18TensorIteratorBaseEENKUlvE0_clEvENKUlvE0_clEvEUlfE_St5arrayIPcLm2EEEEviT0_T1_,"axG",@progbits,_ZN2at6native29vectorized_elementwise_kernelILi16EZZZNS0_15exp_kernel_cudaERNS_18TensorIteratorBaseEENKUlvE0_clEvENKUlvE0_clEvEUlfE_St5arrayIPcLm2EEEEviT0_T1_,comdat
	.globl	_ZN2at6native29vectorized_elementwise_kernelILi16EZZZNS0_15exp_kernel_cudaERNS_18TensorIteratorBaseEENKUlvE0_clEvENKUlvE0_clEvEUlfE_St5arrayIPcLm2EEEEviT0_T1_ ; -- Begin function _ZN2at6native29vectorized_elementwise_kernelILi16EZZZNS0_15exp_kernel_cudaERNS_18TensorIteratorBaseEENKUlvE0_clEvENKUlvE0_clEvEUlfE_St5arrayIPcLm2EEEEviT0_T1_
	.p2align	8
	.type	_ZN2at6native29vectorized_elementwise_kernelILi16EZZZNS0_15exp_kernel_cudaERNS_18TensorIteratorBaseEENKUlvE0_clEvENKUlvE0_clEvEUlfE_St5arrayIPcLm2EEEEviT0_T1_,@function
_ZN2at6native29vectorized_elementwise_kernelILi16EZZZNS0_15exp_kernel_cudaERNS_18TensorIteratorBaseEENKUlvE0_clEvENKUlvE0_clEvEUlfE_St5arrayIPcLm2EEEEviT0_T1_: ; @_ZN2at6native29vectorized_elementwise_kernelILi16EZZZNS0_15exp_kernel_cudaERNS_18TensorIteratorBaseEENKUlvE0_clEvENKUlvE0_clEvEUlfE_St5arrayIPcLm2EEEEviT0_T1_
; %bb.0:
	s_load_dword s3, s[0:1], 0x0
	s_load_dwordx4 s[4:7], s[0:1], 0x8
	s_lshl_b32 s2, s2, 10
	s_mov_b64 s[0:1], -1
	s_waitcnt lgkmcnt(0)
	s_sub_i32 s10, s3, s2
	s_cmpk_gt_i32 s10, 0x3ff
	s_cbranch_scc0 .LBB82_2
; %bb.1:
	s_ashr_i32 s3, s2, 31
	s_lshl_b64 s[0:1], s[2:3], 2
	s_add_u32 s8, s6, s0
	s_addc_u32 s9, s7, s1
	v_lshlrev_b32_e32 v1, 4, v0
	global_load_dwordx4 v[2:5], v1, s[8:9]
	s_mov_b32 s3, 0x3fb8aa3b
	s_mov_b32 s8, 0xc2ce8ed0
	;; [unrolled: 1-line block ×3, first 2 shown]
	v_mov_b32_e32 v6, 0x7f800000
	s_add_u32 s0, s4, s0
	s_addc_u32 s1, s5, s1
	s_waitcnt vmcnt(0)
	v_mul_f32_e32 v7, 0x3fb8aa3b, v2
	v_mul_f32_e32 v8, 0x3fb8aa3b, v3
	v_fma_f32 v11, v2, s3, -v7
	v_rndne_f32_e32 v12, v7
	v_mul_f32_e32 v9, 0x3fb8aa3b, v4
	v_fma_f32 v13, v3, s3, -v8
	v_rndne_f32_e32 v14, v8
	v_fmac_f32_e32 v11, 0x32a5705f, v2
	v_sub_f32_e32 v7, v7, v12
	v_mul_f32_e32 v10, 0x3fb8aa3b, v5
	v_fma_f32 v15, v4, s3, -v9
	v_rndne_f32_e32 v16, v9
	v_fmac_f32_e32 v13, 0x32a5705f, v3
	v_sub_f32_e32 v8, v8, v14
	v_add_f32_e32 v7, v7, v11
	v_fma_f32 v17, v5, s3, -v10
	v_rndne_f32_e32 v18, v10
	v_cvt_i32_f32_e32 v12, v12
	v_fmac_f32_e32 v15, 0x32a5705f, v4
	v_sub_f32_e32 v9, v9, v16
	v_add_f32_e32 v8, v8, v13
	v_exp_f32_e32 v7, v7
	v_cvt_i32_f32_e32 v14, v14
	v_fmac_f32_e32 v17, 0x32a5705f, v5
	v_sub_f32_e32 v10, v10, v18
	v_add_f32_e32 v9, v9, v15
	v_exp_f32_e32 v8, v8
	v_cvt_i32_f32_e32 v16, v16
	v_add_f32_e32 v10, v10, v17
	v_exp_f32_e32 v9, v9
	v_cvt_i32_f32_e32 v18, v18
	v_exp_f32_e32 v10, v10
	v_ldexp_f32 v7, v7, v12
	v_cmp_ngt_f32_e32 vcc, s8, v2
	v_ldexp_f32 v8, v8, v14
	v_ldexp_f32 v9, v9, v16
	v_cndmask_b32_e32 v7, 0, v7, vcc
	v_cmp_ngt_f32_e32 vcc, s8, v3
	v_ldexp_f32 v10, v10, v18
	s_nop 0
	v_cndmask_b32_e32 v8, 0, v8, vcc
	v_cmp_ngt_f32_e32 vcc, s8, v4
	s_nop 1
	v_cndmask_b32_e32 v9, 0, v9, vcc
	v_cmp_ngt_f32_e32 vcc, s8, v5
	s_nop 1
	v_cndmask_b32_e32 v10, 0, v10, vcc
	v_cmp_nlt_f32_e32 vcc, s9, v2
	s_nop 1
	v_cndmask_b32_e32 v2, v6, v7, vcc
	v_cmp_nlt_f32_e32 vcc, s9, v3
	;; [unrolled: 3-line block ×4, first 2 shown]
	s_nop 1
	v_cndmask_b32_e32 v5, v6, v10, vcc
	global_store_dwordx4 v1, v[2:5], s[0:1]
	s_mov_b64 s[0:1], 0
.LBB82_2:
	s_andn2_b64 vcc, exec, s[0:1]
	s_cbranch_vccnz .LBB82_16
; %bb.3:
	v_cmp_gt_i32_e32 vcc, s10, v0
	v_mov_b32_e32 v1, 1.0
	v_or_b32_e32 v2, s2, v0
	v_mov_b32_e32 v3, 1.0
	v_mov_b32_e32 v4, v0
	s_and_saveexec_b64 s[8:9], vcc
	s_cbranch_execz .LBB82_5
; %bb.4:
	v_mov_b32_e32 v3, 0
	v_lshl_add_u64 v[4:5], v[2:3], 2, s[6:7]
	global_load_dword v3, v[4:5], off
	s_mov_b32 s0, 0x3fb8aa3b
	s_mov_b32 s3, 0x42b17218
	v_or_b32_e32 v4, 0x100, v0
	s_waitcnt vmcnt(0)
	v_mul_f32_e32 v5, 0x3fb8aa3b, v3
	v_fma_f32 v6, v3, s0, -v5
	v_rndne_f32_e32 v7, v5
	v_fmamk_f32 v6, v3, 0x32a5705f, v6
	v_sub_f32_e32 v5, v5, v7
	v_add_f32_e32 v5, v5, v6
	v_cvt_i32_f32_e32 v7, v7
	v_exp_f32_e32 v5, v5
	s_mov_b32 s0, 0xc2ce8ed0
	v_cmp_ngt_f32_e64 s[0:1], s0, v3
	v_mov_b32_e32 v6, 0x7f800000
	v_ldexp_f32 v5, v5, v7
	v_cndmask_b32_e64 v5, 0, v5, s[0:1]
	v_cmp_nlt_f32_e64 s[0:1], s3, v3
	s_nop 1
	v_cndmask_b32_e64 v3, v6, v5, s[0:1]
.LBB82_5:
	s_or_b64 exec, exec, s[8:9]
	v_cmp_gt_i32_e64 s[0:1], s10, v4
	s_and_saveexec_b64 s[8:9], s[0:1]
	s_cbranch_execz .LBB82_7
; %bb.6:
	v_add_u32_e32 v6, s2, v4
	v_mov_b32_e32 v7, 0
	v_lshl_add_u64 v[6:7], v[6:7], 2, s[6:7]
	global_load_dword v1, v[6:7], off
	s_mov_b32 s0, 0x3fb8aa3b
	s_mov_b32 s3, 0x42b17218
	v_add_u32_e32 v4, 0x100, v4
	s_waitcnt vmcnt(0)
	v_mul_f32_e32 v5, 0x3fb8aa3b, v1
	v_fma_f32 v6, v1, s0, -v5
	v_rndne_f32_e32 v7, v5
	v_fmamk_f32 v6, v1, 0x32a5705f, v6
	v_sub_f32_e32 v5, v5, v7
	v_add_f32_e32 v5, v5, v6
	v_cvt_i32_f32_e32 v7, v7
	v_exp_f32_e32 v5, v5
	s_mov_b32 s0, 0xc2ce8ed0
	v_cmp_ngt_f32_e64 s[0:1], s0, v1
	v_mov_b32_e32 v6, 0x7f800000
	v_ldexp_f32 v5, v5, v7
	v_cndmask_b32_e64 v5, 0, v5, s[0:1]
	v_cmp_nlt_f32_e64 s[0:1], s3, v1
	s_nop 1
	v_cndmask_b32_e64 v1, v6, v5, s[0:1]
.LBB82_7:
	s_or_b64 exec, exec, s[8:9]
	v_cmp_gt_i32_e64 s[0:1], s10, v4
	v_mov_b32_e32 v5, 1.0
	v_mov_b32_e32 v6, 1.0
	s_and_saveexec_b64 s[8:9], s[0:1]
	s_cbranch_execz .LBB82_9
; %bb.8:
	v_add_u32_e32 v6, s2, v4
	v_mov_b32_e32 v7, 0
	v_lshl_add_u64 v[6:7], v[6:7], 2, s[6:7]
	global_load_dword v6, v[6:7], off
	s_mov_b32 s0, 0x3fb8aa3b
	s_mov_b32 s3, 0x42b17218
	v_add_u32_e32 v4, 0x100, v4
	s_waitcnt vmcnt(0)
	v_mul_f32_e32 v7, 0x3fb8aa3b, v6
	v_fma_f32 v8, v6, s0, -v7
	v_rndne_f32_e32 v9, v7
	v_fmamk_f32 v8, v6, 0x32a5705f, v8
	v_sub_f32_e32 v7, v7, v9
	v_add_f32_e32 v7, v7, v8
	v_cvt_i32_f32_e32 v9, v9
	v_exp_f32_e32 v7, v7
	s_mov_b32 s0, 0xc2ce8ed0
	v_cmp_ngt_f32_e64 s[0:1], s0, v6
	v_mov_b32_e32 v8, 0x7f800000
	v_ldexp_f32 v7, v7, v9
	v_cndmask_b32_e64 v7, 0, v7, s[0:1]
	v_cmp_nlt_f32_e64 s[0:1], s3, v6
	s_nop 1
	v_cndmask_b32_e64 v6, v8, v7, s[0:1]
.LBB82_9:
	s_or_b64 exec, exec, s[8:9]
	v_cmp_gt_i32_e64 s[0:1], s10, v4
	s_and_saveexec_b64 s[8:9], s[0:1]
	s_cbranch_execz .LBB82_11
; %bb.10:
	v_add_u32_e32 v4, s2, v4
	v_mov_b32_e32 v5, 0
	v_lshl_add_u64 v[4:5], v[4:5], 2, s[6:7]
	global_load_dword v4, v[4:5], off
	s_mov_b32 s0, 0x3fb8aa3b
	s_mov_b32 s3, 0x42b17218
	s_waitcnt vmcnt(0)
	v_mul_f32_e32 v5, 0x3fb8aa3b, v4
	v_fma_f32 v7, v4, s0, -v5
	v_rndne_f32_e32 v8, v5
	v_fmamk_f32 v7, v4, 0x32a5705f, v7
	v_sub_f32_e32 v5, v5, v8
	v_add_f32_e32 v5, v5, v7
	v_cvt_i32_f32_e32 v8, v8
	v_exp_f32_e32 v5, v5
	s_mov_b32 s0, 0xc2ce8ed0
	v_cmp_ngt_f32_e64 s[0:1], s0, v4
	v_mov_b32_e32 v7, 0x7f800000
	v_ldexp_f32 v5, v5, v8
	v_cndmask_b32_e64 v5, 0, v5, s[0:1]
	v_cmp_nlt_f32_e64 s[0:1], s3, v4
	s_nop 1
	v_cndmask_b32_e64 v5, v7, v5, s[0:1]
.LBB82_11:
	s_or_b64 exec, exec, s[8:9]
	v_or_b32_e32 v8, 0x100, v0
	v_cmp_gt_i32_e64 s[0:1], s10, v8
	v_cndmask_b32_e32 v9, 0, v3, vcc
	s_nop 0
	v_cndmask_b32_e64 v7, 0, v1, s[0:1]
	v_or_b32_e32 v1, 0x200, v0
	v_cmp_gt_i32_e64 s[0:1], s10, v1
	v_or_b32_e32 v1, 0x300, v0
	s_nop 0
	v_cndmask_b32_e64 v4, 0, v6, s[0:1]
	v_cmp_gt_i32_e64 s[0:1], s10, v1
	s_nop 1
	v_cndmask_b32_e64 v1, 0, v5, s[0:1]
	s_and_saveexec_b64 s[0:1], vcc
	s_cbranch_execnz .LBB82_17
; %bb.12:
	s_or_b64 exec, exec, s[0:1]
	v_cmp_gt_i32_e32 vcc, s10, v0
	s_and_saveexec_b64 s[0:1], vcc
	s_cbranch_execnz .LBB82_18
.LBB82_13:
	s_or_b64 exec, exec, s[0:1]
	v_cmp_gt_i32_e32 vcc, s10, v0
	s_and_saveexec_b64 s[0:1], vcc
	s_cbranch_execnz .LBB82_19
.LBB82_14:
	s_or_b64 exec, exec, s[0:1]
	v_cmp_gt_i32_e32 vcc, s10, v0
	s_and_saveexec_b64 s[0:1], vcc
	s_cbranch_execz .LBB82_16
.LBB82_15:
	v_add_u32_e32 v2, s2, v0
	v_mov_b32_e32 v3, 0
	v_lshl_add_u64 v[2:3], v[2:3], 2, s[4:5]
	global_store_dword v[2:3], v1, off
.LBB82_16:
	s_endpgm
.LBB82_17:
	v_mov_b32_e32 v3, 0
	v_lshl_add_u64 v[2:3], v[2:3], 2, s[4:5]
	v_mov_b32_e32 v0, v8
	global_store_dword v[2:3], v9, off
	s_or_b64 exec, exec, s[0:1]
	v_cmp_gt_i32_e32 vcc, s10, v0
	s_and_saveexec_b64 s[0:1], vcc
	s_cbranch_execz .LBB82_13
.LBB82_18:
	v_add_u32_e32 v2, s2, v0
	v_mov_b32_e32 v3, 0
	v_lshl_add_u64 v[2:3], v[2:3], 2, s[4:5]
	v_add_u32_e32 v0, 0x100, v0
	global_store_dword v[2:3], v7, off
	s_or_b64 exec, exec, s[0:1]
	v_cmp_gt_i32_e32 vcc, s10, v0
	s_and_saveexec_b64 s[0:1], vcc
	s_cbranch_execz .LBB82_14
.LBB82_19:
	v_add_u32_e32 v2, s2, v0
	v_mov_b32_e32 v3, 0
	v_lshl_add_u64 v[2:3], v[2:3], 2, s[4:5]
	v_add_u32_e32 v0, 0x100, v0
	global_store_dword v[2:3], v4, off
	s_or_b64 exec, exec, s[0:1]
	v_cmp_gt_i32_e32 vcc, s10, v0
	s_and_saveexec_b64 s[0:1], vcc
	s_cbranch_execnz .LBB82_15
	s_branch .LBB82_16
	.section	.rodata,"a",@progbits
	.p2align	6, 0x0
	.amdhsa_kernel _ZN2at6native29vectorized_elementwise_kernelILi16EZZZNS0_15exp_kernel_cudaERNS_18TensorIteratorBaseEENKUlvE0_clEvENKUlvE0_clEvEUlfE_St5arrayIPcLm2EEEEviT0_T1_
		.amdhsa_group_segment_fixed_size 0
		.amdhsa_private_segment_fixed_size 0
		.amdhsa_kernarg_size 24
		.amdhsa_user_sgpr_count 2
		.amdhsa_user_sgpr_dispatch_ptr 0
		.amdhsa_user_sgpr_queue_ptr 0
		.amdhsa_user_sgpr_kernarg_segment_ptr 1
		.amdhsa_user_sgpr_dispatch_id 0
		.amdhsa_user_sgpr_kernarg_preload_length 0
		.amdhsa_user_sgpr_kernarg_preload_offset 0
		.amdhsa_user_sgpr_private_segment_size 0
		.amdhsa_uses_dynamic_stack 0
		.amdhsa_enable_private_segment 0
		.amdhsa_system_sgpr_workgroup_id_x 1
		.amdhsa_system_sgpr_workgroup_id_y 0
		.amdhsa_system_sgpr_workgroup_id_z 0
		.amdhsa_system_sgpr_workgroup_info 0
		.amdhsa_system_vgpr_workitem_id 0
		.amdhsa_next_free_vgpr 19
		.amdhsa_next_free_sgpr 11
		.amdhsa_accum_offset 20
		.amdhsa_reserve_vcc 1
		.amdhsa_float_round_mode_32 0
		.amdhsa_float_round_mode_16_64 0
		.amdhsa_float_denorm_mode_32 3
		.amdhsa_float_denorm_mode_16_64 3
		.amdhsa_dx10_clamp 1
		.amdhsa_ieee_mode 1
		.amdhsa_fp16_overflow 0
		.amdhsa_tg_split 0
		.amdhsa_exception_fp_ieee_invalid_op 0
		.amdhsa_exception_fp_denorm_src 0
		.amdhsa_exception_fp_ieee_div_zero 0
		.amdhsa_exception_fp_ieee_overflow 0
		.amdhsa_exception_fp_ieee_underflow 0
		.amdhsa_exception_fp_ieee_inexact 0
		.amdhsa_exception_int_div_zero 0
	.end_amdhsa_kernel
	.section	.text._ZN2at6native29vectorized_elementwise_kernelILi16EZZZNS0_15exp_kernel_cudaERNS_18TensorIteratorBaseEENKUlvE0_clEvENKUlvE0_clEvEUlfE_St5arrayIPcLm2EEEEviT0_T1_,"axG",@progbits,_ZN2at6native29vectorized_elementwise_kernelILi16EZZZNS0_15exp_kernel_cudaERNS_18TensorIteratorBaseEENKUlvE0_clEvENKUlvE0_clEvEUlfE_St5arrayIPcLm2EEEEviT0_T1_,comdat
.Lfunc_end82:
	.size	_ZN2at6native29vectorized_elementwise_kernelILi16EZZZNS0_15exp_kernel_cudaERNS_18TensorIteratorBaseEENKUlvE0_clEvENKUlvE0_clEvEUlfE_St5arrayIPcLm2EEEEviT0_T1_, .Lfunc_end82-_ZN2at6native29vectorized_elementwise_kernelILi16EZZZNS0_15exp_kernel_cudaERNS_18TensorIteratorBaseEENKUlvE0_clEvENKUlvE0_clEvEUlfE_St5arrayIPcLm2EEEEviT0_T1_
                                        ; -- End function
	.set _ZN2at6native29vectorized_elementwise_kernelILi16EZZZNS0_15exp_kernel_cudaERNS_18TensorIteratorBaseEENKUlvE0_clEvENKUlvE0_clEvEUlfE_St5arrayIPcLm2EEEEviT0_T1_.num_vgpr, 19
	.set _ZN2at6native29vectorized_elementwise_kernelILi16EZZZNS0_15exp_kernel_cudaERNS_18TensorIteratorBaseEENKUlvE0_clEvENKUlvE0_clEvEUlfE_St5arrayIPcLm2EEEEviT0_T1_.num_agpr, 0
	.set _ZN2at6native29vectorized_elementwise_kernelILi16EZZZNS0_15exp_kernel_cudaERNS_18TensorIteratorBaseEENKUlvE0_clEvENKUlvE0_clEvEUlfE_St5arrayIPcLm2EEEEviT0_T1_.numbered_sgpr, 11
	.set _ZN2at6native29vectorized_elementwise_kernelILi16EZZZNS0_15exp_kernel_cudaERNS_18TensorIteratorBaseEENKUlvE0_clEvENKUlvE0_clEvEUlfE_St5arrayIPcLm2EEEEviT0_T1_.num_named_barrier, 0
	.set _ZN2at6native29vectorized_elementwise_kernelILi16EZZZNS0_15exp_kernel_cudaERNS_18TensorIteratorBaseEENKUlvE0_clEvENKUlvE0_clEvEUlfE_St5arrayIPcLm2EEEEviT0_T1_.private_seg_size, 0
	.set _ZN2at6native29vectorized_elementwise_kernelILi16EZZZNS0_15exp_kernel_cudaERNS_18TensorIteratorBaseEENKUlvE0_clEvENKUlvE0_clEvEUlfE_St5arrayIPcLm2EEEEviT0_T1_.uses_vcc, 1
	.set _ZN2at6native29vectorized_elementwise_kernelILi16EZZZNS0_15exp_kernel_cudaERNS_18TensorIteratorBaseEENKUlvE0_clEvENKUlvE0_clEvEUlfE_St5arrayIPcLm2EEEEviT0_T1_.uses_flat_scratch, 0
	.set _ZN2at6native29vectorized_elementwise_kernelILi16EZZZNS0_15exp_kernel_cudaERNS_18TensorIteratorBaseEENKUlvE0_clEvENKUlvE0_clEvEUlfE_St5arrayIPcLm2EEEEviT0_T1_.has_dyn_sized_stack, 0
	.set _ZN2at6native29vectorized_elementwise_kernelILi16EZZZNS0_15exp_kernel_cudaERNS_18TensorIteratorBaseEENKUlvE0_clEvENKUlvE0_clEvEUlfE_St5arrayIPcLm2EEEEviT0_T1_.has_recursion, 0
	.set _ZN2at6native29vectorized_elementwise_kernelILi16EZZZNS0_15exp_kernel_cudaERNS_18TensorIteratorBaseEENKUlvE0_clEvENKUlvE0_clEvEUlfE_St5arrayIPcLm2EEEEviT0_T1_.has_indirect_call, 0
	.section	.AMDGPU.csdata,"",@progbits
; Kernel info:
; codeLenInByte = 1456
; TotalNumSgprs: 17
; NumVgprs: 19
; NumAgprs: 0
; TotalNumVgprs: 19
; ScratchSize: 0
; MemoryBound: 0
; FloatMode: 240
; IeeeMode: 1
; LDSByteSize: 0 bytes/workgroup (compile time only)
; SGPRBlocks: 2
; VGPRBlocks: 2
; NumSGPRsForWavesPerEU: 17
; NumVGPRsForWavesPerEU: 19
; AccumOffset: 20
; Occupancy: 8
; WaveLimiterHint : 0
; COMPUTE_PGM_RSRC2:SCRATCH_EN: 0
; COMPUTE_PGM_RSRC2:USER_SGPR: 2
; COMPUTE_PGM_RSRC2:TRAP_HANDLER: 0
; COMPUTE_PGM_RSRC2:TGID_X_EN: 1
; COMPUTE_PGM_RSRC2:TGID_Y_EN: 0
; COMPUTE_PGM_RSRC2:TGID_Z_EN: 0
; COMPUTE_PGM_RSRC2:TIDIG_COMP_CNT: 0
; COMPUTE_PGM_RSRC3_GFX90A:ACCUM_OFFSET: 4
; COMPUTE_PGM_RSRC3_GFX90A:TG_SPLIT: 0
	.section	.text._ZN2at6native29vectorized_elementwise_kernelILi8EZZZNS0_15exp_kernel_cudaERNS_18TensorIteratorBaseEENKUlvE0_clEvENKUlvE0_clEvEUlfE_St5arrayIPcLm2EEEEviT0_T1_,"axG",@progbits,_ZN2at6native29vectorized_elementwise_kernelILi8EZZZNS0_15exp_kernel_cudaERNS_18TensorIteratorBaseEENKUlvE0_clEvENKUlvE0_clEvEUlfE_St5arrayIPcLm2EEEEviT0_T1_,comdat
	.globl	_ZN2at6native29vectorized_elementwise_kernelILi8EZZZNS0_15exp_kernel_cudaERNS_18TensorIteratorBaseEENKUlvE0_clEvENKUlvE0_clEvEUlfE_St5arrayIPcLm2EEEEviT0_T1_ ; -- Begin function _ZN2at6native29vectorized_elementwise_kernelILi8EZZZNS0_15exp_kernel_cudaERNS_18TensorIteratorBaseEENKUlvE0_clEvENKUlvE0_clEvEUlfE_St5arrayIPcLm2EEEEviT0_T1_
	.p2align	8
	.type	_ZN2at6native29vectorized_elementwise_kernelILi8EZZZNS0_15exp_kernel_cudaERNS_18TensorIteratorBaseEENKUlvE0_clEvENKUlvE0_clEvEUlfE_St5arrayIPcLm2EEEEviT0_T1_,@function
_ZN2at6native29vectorized_elementwise_kernelILi8EZZZNS0_15exp_kernel_cudaERNS_18TensorIteratorBaseEENKUlvE0_clEvENKUlvE0_clEvEUlfE_St5arrayIPcLm2EEEEviT0_T1_: ; @_ZN2at6native29vectorized_elementwise_kernelILi8EZZZNS0_15exp_kernel_cudaERNS_18TensorIteratorBaseEENKUlvE0_clEvENKUlvE0_clEvEUlfE_St5arrayIPcLm2EEEEviT0_T1_
; %bb.0:
	s_load_dword s3, s[0:1], 0x0
	s_load_dwordx4 s[4:7], s[0:1], 0x8
	s_lshl_b32 s2, s2, 10
	s_mov_b64 s[0:1], -1
	s_waitcnt lgkmcnt(0)
	s_sub_i32 s10, s3, s2
	s_cmpk_gt_i32 s10, 0x3ff
	s_cbranch_scc0 .LBB83_2
; %bb.1:
	s_ashr_i32 s3, s2, 31
	s_lshl_b64 s[0:1], s[2:3], 2
	s_add_u32 s8, s6, s0
	s_addc_u32 s9, s7, s1
	v_lshlrev_b32_e32 v1, 4, v0
	global_load_dwordx4 v[2:5], v1, s[8:9]
	s_mov_b32 s3, 0x3fb8aa3b
	s_mov_b32 s8, 0xc2ce8ed0
	;; [unrolled: 1-line block ×3, first 2 shown]
	v_mov_b32_e32 v6, 0x7f800000
	s_add_u32 s0, s4, s0
	s_addc_u32 s1, s5, s1
	s_waitcnt vmcnt(0)
	v_mul_f32_e32 v7, 0x3fb8aa3b, v2
	v_mul_f32_e32 v8, 0x3fb8aa3b, v3
	v_fma_f32 v11, v2, s3, -v7
	v_rndne_f32_e32 v12, v7
	v_mul_f32_e32 v9, 0x3fb8aa3b, v4
	v_fma_f32 v13, v3, s3, -v8
	v_rndne_f32_e32 v14, v8
	v_fmac_f32_e32 v11, 0x32a5705f, v2
	v_sub_f32_e32 v7, v7, v12
	v_mul_f32_e32 v10, 0x3fb8aa3b, v5
	v_fma_f32 v15, v4, s3, -v9
	v_rndne_f32_e32 v16, v9
	v_fmac_f32_e32 v13, 0x32a5705f, v3
	v_sub_f32_e32 v8, v8, v14
	v_add_f32_e32 v7, v7, v11
	v_fma_f32 v17, v5, s3, -v10
	v_rndne_f32_e32 v18, v10
	v_cvt_i32_f32_e32 v12, v12
	v_fmac_f32_e32 v15, 0x32a5705f, v4
	v_sub_f32_e32 v9, v9, v16
	v_add_f32_e32 v8, v8, v13
	v_exp_f32_e32 v7, v7
	v_cvt_i32_f32_e32 v14, v14
	v_fmac_f32_e32 v17, 0x32a5705f, v5
	v_sub_f32_e32 v10, v10, v18
	v_add_f32_e32 v9, v9, v15
	v_exp_f32_e32 v8, v8
	v_cvt_i32_f32_e32 v16, v16
	v_add_f32_e32 v10, v10, v17
	v_exp_f32_e32 v9, v9
	v_cvt_i32_f32_e32 v18, v18
	v_exp_f32_e32 v10, v10
	v_ldexp_f32 v7, v7, v12
	v_cmp_ngt_f32_e32 vcc, s8, v2
	v_ldexp_f32 v8, v8, v14
	v_ldexp_f32 v9, v9, v16
	v_cndmask_b32_e32 v7, 0, v7, vcc
	v_cmp_ngt_f32_e32 vcc, s8, v3
	v_ldexp_f32 v10, v10, v18
	s_nop 0
	v_cndmask_b32_e32 v8, 0, v8, vcc
	v_cmp_ngt_f32_e32 vcc, s8, v4
	s_nop 1
	v_cndmask_b32_e32 v9, 0, v9, vcc
	v_cmp_ngt_f32_e32 vcc, s8, v5
	s_nop 1
	v_cndmask_b32_e32 v10, 0, v10, vcc
	v_cmp_nlt_f32_e32 vcc, s9, v2
	s_nop 1
	v_cndmask_b32_e32 v2, v6, v7, vcc
	v_cmp_nlt_f32_e32 vcc, s9, v3
	;; [unrolled: 3-line block ×4, first 2 shown]
	s_nop 1
	v_cndmask_b32_e32 v5, v6, v10, vcc
	global_store_dwordx4 v1, v[2:5], s[0:1]
	s_mov_b64 s[0:1], 0
.LBB83_2:
	s_andn2_b64 vcc, exec, s[0:1]
	s_cbranch_vccnz .LBB83_16
; %bb.3:
	v_cmp_gt_i32_e32 vcc, s10, v0
	v_mov_b32_e32 v1, 1.0
	v_or_b32_e32 v2, s2, v0
	v_mov_b32_e32 v3, 1.0
	v_mov_b32_e32 v4, v0
	s_and_saveexec_b64 s[8:9], vcc
	s_cbranch_execz .LBB83_5
; %bb.4:
	v_mov_b32_e32 v3, 0
	v_lshl_add_u64 v[4:5], v[2:3], 2, s[6:7]
	global_load_dword v3, v[4:5], off
	s_mov_b32 s0, 0x3fb8aa3b
	s_mov_b32 s3, 0x42b17218
	v_or_b32_e32 v4, 0x100, v0
	s_waitcnt vmcnt(0)
	v_mul_f32_e32 v5, 0x3fb8aa3b, v3
	v_fma_f32 v6, v3, s0, -v5
	v_rndne_f32_e32 v7, v5
	v_fmamk_f32 v6, v3, 0x32a5705f, v6
	v_sub_f32_e32 v5, v5, v7
	v_add_f32_e32 v5, v5, v6
	v_cvt_i32_f32_e32 v7, v7
	v_exp_f32_e32 v5, v5
	s_mov_b32 s0, 0xc2ce8ed0
	v_cmp_ngt_f32_e64 s[0:1], s0, v3
	v_mov_b32_e32 v6, 0x7f800000
	v_ldexp_f32 v5, v5, v7
	v_cndmask_b32_e64 v5, 0, v5, s[0:1]
	v_cmp_nlt_f32_e64 s[0:1], s3, v3
	s_nop 1
	v_cndmask_b32_e64 v3, v6, v5, s[0:1]
.LBB83_5:
	s_or_b64 exec, exec, s[8:9]
	v_cmp_gt_i32_e64 s[0:1], s10, v4
	s_and_saveexec_b64 s[8:9], s[0:1]
	s_cbranch_execz .LBB83_7
; %bb.6:
	v_add_u32_e32 v6, s2, v4
	v_mov_b32_e32 v7, 0
	v_lshl_add_u64 v[6:7], v[6:7], 2, s[6:7]
	global_load_dword v1, v[6:7], off
	s_mov_b32 s0, 0x3fb8aa3b
	s_mov_b32 s3, 0x42b17218
	v_add_u32_e32 v4, 0x100, v4
	s_waitcnt vmcnt(0)
	v_mul_f32_e32 v5, 0x3fb8aa3b, v1
	v_fma_f32 v6, v1, s0, -v5
	v_rndne_f32_e32 v7, v5
	v_fmamk_f32 v6, v1, 0x32a5705f, v6
	v_sub_f32_e32 v5, v5, v7
	v_add_f32_e32 v5, v5, v6
	v_cvt_i32_f32_e32 v7, v7
	v_exp_f32_e32 v5, v5
	s_mov_b32 s0, 0xc2ce8ed0
	v_cmp_ngt_f32_e64 s[0:1], s0, v1
	v_mov_b32_e32 v6, 0x7f800000
	v_ldexp_f32 v5, v5, v7
	v_cndmask_b32_e64 v5, 0, v5, s[0:1]
	v_cmp_nlt_f32_e64 s[0:1], s3, v1
	s_nop 1
	v_cndmask_b32_e64 v1, v6, v5, s[0:1]
.LBB83_7:
	s_or_b64 exec, exec, s[8:9]
	v_cmp_gt_i32_e64 s[0:1], s10, v4
	v_mov_b32_e32 v5, 1.0
	v_mov_b32_e32 v6, 1.0
	s_and_saveexec_b64 s[8:9], s[0:1]
	s_cbranch_execz .LBB83_9
; %bb.8:
	v_add_u32_e32 v6, s2, v4
	v_mov_b32_e32 v7, 0
	v_lshl_add_u64 v[6:7], v[6:7], 2, s[6:7]
	global_load_dword v6, v[6:7], off
	s_mov_b32 s0, 0x3fb8aa3b
	s_mov_b32 s3, 0x42b17218
	v_add_u32_e32 v4, 0x100, v4
	s_waitcnt vmcnt(0)
	v_mul_f32_e32 v7, 0x3fb8aa3b, v6
	v_fma_f32 v8, v6, s0, -v7
	v_rndne_f32_e32 v9, v7
	v_fmamk_f32 v8, v6, 0x32a5705f, v8
	v_sub_f32_e32 v7, v7, v9
	v_add_f32_e32 v7, v7, v8
	v_cvt_i32_f32_e32 v9, v9
	v_exp_f32_e32 v7, v7
	s_mov_b32 s0, 0xc2ce8ed0
	v_cmp_ngt_f32_e64 s[0:1], s0, v6
	v_mov_b32_e32 v8, 0x7f800000
	v_ldexp_f32 v7, v7, v9
	v_cndmask_b32_e64 v7, 0, v7, s[0:1]
	v_cmp_nlt_f32_e64 s[0:1], s3, v6
	s_nop 1
	v_cndmask_b32_e64 v6, v8, v7, s[0:1]
.LBB83_9:
	s_or_b64 exec, exec, s[8:9]
	v_cmp_gt_i32_e64 s[0:1], s10, v4
	s_and_saveexec_b64 s[8:9], s[0:1]
	s_cbranch_execz .LBB83_11
; %bb.10:
	v_add_u32_e32 v4, s2, v4
	v_mov_b32_e32 v5, 0
	v_lshl_add_u64 v[4:5], v[4:5], 2, s[6:7]
	global_load_dword v4, v[4:5], off
	s_mov_b32 s0, 0x3fb8aa3b
	s_mov_b32 s3, 0x42b17218
	s_waitcnt vmcnt(0)
	v_mul_f32_e32 v5, 0x3fb8aa3b, v4
	v_fma_f32 v7, v4, s0, -v5
	v_rndne_f32_e32 v8, v5
	v_fmamk_f32 v7, v4, 0x32a5705f, v7
	v_sub_f32_e32 v5, v5, v8
	v_add_f32_e32 v5, v5, v7
	v_cvt_i32_f32_e32 v8, v8
	v_exp_f32_e32 v5, v5
	s_mov_b32 s0, 0xc2ce8ed0
	v_cmp_ngt_f32_e64 s[0:1], s0, v4
	v_mov_b32_e32 v7, 0x7f800000
	v_ldexp_f32 v5, v5, v8
	v_cndmask_b32_e64 v5, 0, v5, s[0:1]
	v_cmp_nlt_f32_e64 s[0:1], s3, v4
	s_nop 1
	v_cndmask_b32_e64 v5, v7, v5, s[0:1]
.LBB83_11:
	s_or_b64 exec, exec, s[8:9]
	v_or_b32_e32 v8, 0x100, v0
	v_cmp_gt_i32_e64 s[0:1], s10, v8
	v_cndmask_b32_e32 v9, 0, v3, vcc
	s_nop 0
	v_cndmask_b32_e64 v7, 0, v1, s[0:1]
	v_or_b32_e32 v1, 0x200, v0
	v_cmp_gt_i32_e64 s[0:1], s10, v1
	v_or_b32_e32 v1, 0x300, v0
	s_nop 0
	v_cndmask_b32_e64 v4, 0, v6, s[0:1]
	v_cmp_gt_i32_e64 s[0:1], s10, v1
	s_nop 1
	v_cndmask_b32_e64 v1, 0, v5, s[0:1]
	s_and_saveexec_b64 s[0:1], vcc
	s_cbranch_execnz .LBB83_17
; %bb.12:
	s_or_b64 exec, exec, s[0:1]
	v_cmp_gt_i32_e32 vcc, s10, v0
	s_and_saveexec_b64 s[0:1], vcc
	s_cbranch_execnz .LBB83_18
.LBB83_13:
	s_or_b64 exec, exec, s[0:1]
	v_cmp_gt_i32_e32 vcc, s10, v0
	s_and_saveexec_b64 s[0:1], vcc
	s_cbranch_execnz .LBB83_19
.LBB83_14:
	s_or_b64 exec, exec, s[0:1]
	v_cmp_gt_i32_e32 vcc, s10, v0
	s_and_saveexec_b64 s[0:1], vcc
	s_cbranch_execz .LBB83_16
.LBB83_15:
	v_add_u32_e32 v2, s2, v0
	v_mov_b32_e32 v3, 0
	v_lshl_add_u64 v[2:3], v[2:3], 2, s[4:5]
	global_store_dword v[2:3], v1, off
.LBB83_16:
	s_endpgm
.LBB83_17:
	v_mov_b32_e32 v3, 0
	v_lshl_add_u64 v[2:3], v[2:3], 2, s[4:5]
	v_mov_b32_e32 v0, v8
	global_store_dword v[2:3], v9, off
	s_or_b64 exec, exec, s[0:1]
	v_cmp_gt_i32_e32 vcc, s10, v0
	s_and_saveexec_b64 s[0:1], vcc
	s_cbranch_execz .LBB83_13
.LBB83_18:
	v_add_u32_e32 v2, s2, v0
	v_mov_b32_e32 v3, 0
	v_lshl_add_u64 v[2:3], v[2:3], 2, s[4:5]
	v_add_u32_e32 v0, 0x100, v0
	global_store_dword v[2:3], v7, off
	s_or_b64 exec, exec, s[0:1]
	v_cmp_gt_i32_e32 vcc, s10, v0
	s_and_saveexec_b64 s[0:1], vcc
	s_cbranch_execz .LBB83_14
.LBB83_19:
	v_add_u32_e32 v2, s2, v0
	v_mov_b32_e32 v3, 0
	v_lshl_add_u64 v[2:3], v[2:3], 2, s[4:5]
	v_add_u32_e32 v0, 0x100, v0
	global_store_dword v[2:3], v4, off
	s_or_b64 exec, exec, s[0:1]
	v_cmp_gt_i32_e32 vcc, s10, v0
	s_and_saveexec_b64 s[0:1], vcc
	s_cbranch_execnz .LBB83_15
	s_branch .LBB83_16
	.section	.rodata,"a",@progbits
	.p2align	6, 0x0
	.amdhsa_kernel _ZN2at6native29vectorized_elementwise_kernelILi8EZZZNS0_15exp_kernel_cudaERNS_18TensorIteratorBaseEENKUlvE0_clEvENKUlvE0_clEvEUlfE_St5arrayIPcLm2EEEEviT0_T1_
		.amdhsa_group_segment_fixed_size 0
		.amdhsa_private_segment_fixed_size 0
		.amdhsa_kernarg_size 24
		.amdhsa_user_sgpr_count 2
		.amdhsa_user_sgpr_dispatch_ptr 0
		.amdhsa_user_sgpr_queue_ptr 0
		.amdhsa_user_sgpr_kernarg_segment_ptr 1
		.amdhsa_user_sgpr_dispatch_id 0
		.amdhsa_user_sgpr_kernarg_preload_length 0
		.amdhsa_user_sgpr_kernarg_preload_offset 0
		.amdhsa_user_sgpr_private_segment_size 0
		.amdhsa_uses_dynamic_stack 0
		.amdhsa_enable_private_segment 0
		.amdhsa_system_sgpr_workgroup_id_x 1
		.amdhsa_system_sgpr_workgroup_id_y 0
		.amdhsa_system_sgpr_workgroup_id_z 0
		.amdhsa_system_sgpr_workgroup_info 0
		.amdhsa_system_vgpr_workitem_id 0
		.amdhsa_next_free_vgpr 19
		.amdhsa_next_free_sgpr 11
		.amdhsa_accum_offset 20
		.amdhsa_reserve_vcc 1
		.amdhsa_float_round_mode_32 0
		.amdhsa_float_round_mode_16_64 0
		.amdhsa_float_denorm_mode_32 3
		.amdhsa_float_denorm_mode_16_64 3
		.amdhsa_dx10_clamp 1
		.amdhsa_ieee_mode 1
		.amdhsa_fp16_overflow 0
		.amdhsa_tg_split 0
		.amdhsa_exception_fp_ieee_invalid_op 0
		.amdhsa_exception_fp_denorm_src 0
		.amdhsa_exception_fp_ieee_div_zero 0
		.amdhsa_exception_fp_ieee_overflow 0
		.amdhsa_exception_fp_ieee_underflow 0
		.amdhsa_exception_fp_ieee_inexact 0
		.amdhsa_exception_int_div_zero 0
	.end_amdhsa_kernel
	.section	.text._ZN2at6native29vectorized_elementwise_kernelILi8EZZZNS0_15exp_kernel_cudaERNS_18TensorIteratorBaseEENKUlvE0_clEvENKUlvE0_clEvEUlfE_St5arrayIPcLm2EEEEviT0_T1_,"axG",@progbits,_ZN2at6native29vectorized_elementwise_kernelILi8EZZZNS0_15exp_kernel_cudaERNS_18TensorIteratorBaseEENKUlvE0_clEvENKUlvE0_clEvEUlfE_St5arrayIPcLm2EEEEviT0_T1_,comdat
.Lfunc_end83:
	.size	_ZN2at6native29vectorized_elementwise_kernelILi8EZZZNS0_15exp_kernel_cudaERNS_18TensorIteratorBaseEENKUlvE0_clEvENKUlvE0_clEvEUlfE_St5arrayIPcLm2EEEEviT0_T1_, .Lfunc_end83-_ZN2at6native29vectorized_elementwise_kernelILi8EZZZNS0_15exp_kernel_cudaERNS_18TensorIteratorBaseEENKUlvE0_clEvENKUlvE0_clEvEUlfE_St5arrayIPcLm2EEEEviT0_T1_
                                        ; -- End function
	.set _ZN2at6native29vectorized_elementwise_kernelILi8EZZZNS0_15exp_kernel_cudaERNS_18TensorIteratorBaseEENKUlvE0_clEvENKUlvE0_clEvEUlfE_St5arrayIPcLm2EEEEviT0_T1_.num_vgpr, 19
	.set _ZN2at6native29vectorized_elementwise_kernelILi8EZZZNS0_15exp_kernel_cudaERNS_18TensorIteratorBaseEENKUlvE0_clEvENKUlvE0_clEvEUlfE_St5arrayIPcLm2EEEEviT0_T1_.num_agpr, 0
	.set _ZN2at6native29vectorized_elementwise_kernelILi8EZZZNS0_15exp_kernel_cudaERNS_18TensorIteratorBaseEENKUlvE0_clEvENKUlvE0_clEvEUlfE_St5arrayIPcLm2EEEEviT0_T1_.numbered_sgpr, 11
	.set _ZN2at6native29vectorized_elementwise_kernelILi8EZZZNS0_15exp_kernel_cudaERNS_18TensorIteratorBaseEENKUlvE0_clEvENKUlvE0_clEvEUlfE_St5arrayIPcLm2EEEEviT0_T1_.num_named_barrier, 0
	.set _ZN2at6native29vectorized_elementwise_kernelILi8EZZZNS0_15exp_kernel_cudaERNS_18TensorIteratorBaseEENKUlvE0_clEvENKUlvE0_clEvEUlfE_St5arrayIPcLm2EEEEviT0_T1_.private_seg_size, 0
	.set _ZN2at6native29vectorized_elementwise_kernelILi8EZZZNS0_15exp_kernel_cudaERNS_18TensorIteratorBaseEENKUlvE0_clEvENKUlvE0_clEvEUlfE_St5arrayIPcLm2EEEEviT0_T1_.uses_vcc, 1
	.set _ZN2at6native29vectorized_elementwise_kernelILi8EZZZNS0_15exp_kernel_cudaERNS_18TensorIteratorBaseEENKUlvE0_clEvENKUlvE0_clEvEUlfE_St5arrayIPcLm2EEEEviT0_T1_.uses_flat_scratch, 0
	.set _ZN2at6native29vectorized_elementwise_kernelILi8EZZZNS0_15exp_kernel_cudaERNS_18TensorIteratorBaseEENKUlvE0_clEvENKUlvE0_clEvEUlfE_St5arrayIPcLm2EEEEviT0_T1_.has_dyn_sized_stack, 0
	.set _ZN2at6native29vectorized_elementwise_kernelILi8EZZZNS0_15exp_kernel_cudaERNS_18TensorIteratorBaseEENKUlvE0_clEvENKUlvE0_clEvEUlfE_St5arrayIPcLm2EEEEviT0_T1_.has_recursion, 0
	.set _ZN2at6native29vectorized_elementwise_kernelILi8EZZZNS0_15exp_kernel_cudaERNS_18TensorIteratorBaseEENKUlvE0_clEvENKUlvE0_clEvEUlfE_St5arrayIPcLm2EEEEviT0_T1_.has_indirect_call, 0
	.section	.AMDGPU.csdata,"",@progbits
; Kernel info:
; codeLenInByte = 1456
; TotalNumSgprs: 17
; NumVgprs: 19
; NumAgprs: 0
; TotalNumVgprs: 19
; ScratchSize: 0
; MemoryBound: 0
; FloatMode: 240
; IeeeMode: 1
; LDSByteSize: 0 bytes/workgroup (compile time only)
; SGPRBlocks: 2
; VGPRBlocks: 2
; NumSGPRsForWavesPerEU: 17
; NumVGPRsForWavesPerEU: 19
; AccumOffset: 20
; Occupancy: 8
; WaveLimiterHint : 0
; COMPUTE_PGM_RSRC2:SCRATCH_EN: 0
; COMPUTE_PGM_RSRC2:USER_SGPR: 2
; COMPUTE_PGM_RSRC2:TRAP_HANDLER: 0
; COMPUTE_PGM_RSRC2:TGID_X_EN: 1
; COMPUTE_PGM_RSRC2:TGID_Y_EN: 0
; COMPUTE_PGM_RSRC2:TGID_Z_EN: 0
; COMPUTE_PGM_RSRC2:TIDIG_COMP_CNT: 0
; COMPUTE_PGM_RSRC3_GFX90A:ACCUM_OFFSET: 4
; COMPUTE_PGM_RSRC3_GFX90A:TG_SPLIT: 0
	.section	.text._ZN2at6native29vectorized_elementwise_kernelILi4EZZZNS0_15exp_kernel_cudaERNS_18TensorIteratorBaseEENKUlvE0_clEvENKUlvE0_clEvEUlfE_St5arrayIPcLm2EEEEviT0_T1_,"axG",@progbits,_ZN2at6native29vectorized_elementwise_kernelILi4EZZZNS0_15exp_kernel_cudaERNS_18TensorIteratorBaseEENKUlvE0_clEvENKUlvE0_clEvEUlfE_St5arrayIPcLm2EEEEviT0_T1_,comdat
	.globl	_ZN2at6native29vectorized_elementwise_kernelILi4EZZZNS0_15exp_kernel_cudaERNS_18TensorIteratorBaseEENKUlvE0_clEvENKUlvE0_clEvEUlfE_St5arrayIPcLm2EEEEviT0_T1_ ; -- Begin function _ZN2at6native29vectorized_elementwise_kernelILi4EZZZNS0_15exp_kernel_cudaERNS_18TensorIteratorBaseEENKUlvE0_clEvENKUlvE0_clEvEUlfE_St5arrayIPcLm2EEEEviT0_T1_
	.p2align	8
	.type	_ZN2at6native29vectorized_elementwise_kernelILi4EZZZNS0_15exp_kernel_cudaERNS_18TensorIteratorBaseEENKUlvE0_clEvENKUlvE0_clEvEUlfE_St5arrayIPcLm2EEEEviT0_T1_,@function
_ZN2at6native29vectorized_elementwise_kernelILi4EZZZNS0_15exp_kernel_cudaERNS_18TensorIteratorBaseEENKUlvE0_clEvENKUlvE0_clEvEUlfE_St5arrayIPcLm2EEEEviT0_T1_: ; @_ZN2at6native29vectorized_elementwise_kernelILi4EZZZNS0_15exp_kernel_cudaERNS_18TensorIteratorBaseEENKUlvE0_clEvENKUlvE0_clEvEUlfE_St5arrayIPcLm2EEEEviT0_T1_
; %bb.0:
	s_load_dword s3, s[0:1], 0x0
	s_load_dwordx4 s[4:7], s[0:1], 0x8
	s_lshl_b32 s2, s2, 10
	s_mov_b64 s[0:1], -1
	s_waitcnt lgkmcnt(0)
	s_sub_i32 s10, s3, s2
	s_cmpk_gt_i32 s10, 0x3ff
	s_cbranch_scc0 .LBB84_2
; %bb.1:
	s_ashr_i32 s3, s2, 31
	s_lshl_b64 s[0:1], s[2:3], 2
	s_add_u32 s8, s6, s0
	s_addc_u32 s9, s7, s1
	v_lshlrev_b32_e32 v1, 4, v0
	global_load_dwordx4 v[2:5], v1, s[8:9]
	s_mov_b32 s3, 0x3fb8aa3b
	s_mov_b32 s8, 0xc2ce8ed0
	;; [unrolled: 1-line block ×3, first 2 shown]
	v_mov_b32_e32 v6, 0x7f800000
	s_add_u32 s0, s4, s0
	s_addc_u32 s1, s5, s1
	s_waitcnt vmcnt(0)
	v_mul_f32_e32 v7, 0x3fb8aa3b, v2
	v_mul_f32_e32 v8, 0x3fb8aa3b, v3
	v_fma_f32 v11, v2, s3, -v7
	v_rndne_f32_e32 v12, v7
	v_mul_f32_e32 v9, 0x3fb8aa3b, v4
	v_fma_f32 v13, v3, s3, -v8
	v_rndne_f32_e32 v14, v8
	v_fmac_f32_e32 v11, 0x32a5705f, v2
	v_sub_f32_e32 v7, v7, v12
	v_mul_f32_e32 v10, 0x3fb8aa3b, v5
	v_fma_f32 v15, v4, s3, -v9
	v_rndne_f32_e32 v16, v9
	v_fmac_f32_e32 v13, 0x32a5705f, v3
	v_sub_f32_e32 v8, v8, v14
	v_add_f32_e32 v7, v7, v11
	v_fma_f32 v17, v5, s3, -v10
	v_rndne_f32_e32 v18, v10
	v_cvt_i32_f32_e32 v12, v12
	v_fmac_f32_e32 v15, 0x32a5705f, v4
	v_sub_f32_e32 v9, v9, v16
	v_add_f32_e32 v8, v8, v13
	v_exp_f32_e32 v7, v7
	v_cvt_i32_f32_e32 v14, v14
	v_fmac_f32_e32 v17, 0x32a5705f, v5
	v_sub_f32_e32 v10, v10, v18
	v_add_f32_e32 v9, v9, v15
	v_exp_f32_e32 v8, v8
	v_cvt_i32_f32_e32 v16, v16
	v_add_f32_e32 v10, v10, v17
	v_exp_f32_e32 v9, v9
	v_cvt_i32_f32_e32 v18, v18
	v_exp_f32_e32 v10, v10
	v_ldexp_f32 v7, v7, v12
	v_cmp_ngt_f32_e32 vcc, s8, v2
	v_ldexp_f32 v8, v8, v14
	v_ldexp_f32 v9, v9, v16
	v_cndmask_b32_e32 v7, 0, v7, vcc
	v_cmp_ngt_f32_e32 vcc, s8, v3
	v_ldexp_f32 v10, v10, v18
	s_nop 0
	v_cndmask_b32_e32 v8, 0, v8, vcc
	v_cmp_ngt_f32_e32 vcc, s8, v4
	s_nop 1
	v_cndmask_b32_e32 v9, 0, v9, vcc
	v_cmp_ngt_f32_e32 vcc, s8, v5
	s_nop 1
	v_cndmask_b32_e32 v10, 0, v10, vcc
	v_cmp_nlt_f32_e32 vcc, s9, v2
	s_nop 1
	v_cndmask_b32_e32 v2, v6, v7, vcc
	v_cmp_nlt_f32_e32 vcc, s9, v3
	;; [unrolled: 3-line block ×4, first 2 shown]
	s_nop 1
	v_cndmask_b32_e32 v5, v6, v10, vcc
	global_store_dwordx4 v1, v[2:5], s[0:1]
	s_mov_b64 s[0:1], 0
.LBB84_2:
	s_andn2_b64 vcc, exec, s[0:1]
	s_cbranch_vccnz .LBB84_16
; %bb.3:
	v_cmp_gt_i32_e32 vcc, s10, v0
	v_mov_b32_e32 v1, 1.0
	v_or_b32_e32 v2, s2, v0
	v_mov_b32_e32 v3, 1.0
	v_mov_b32_e32 v4, v0
	s_and_saveexec_b64 s[8:9], vcc
	s_cbranch_execz .LBB84_5
; %bb.4:
	v_mov_b32_e32 v3, 0
	v_lshl_add_u64 v[4:5], v[2:3], 2, s[6:7]
	global_load_dword v3, v[4:5], off
	s_mov_b32 s0, 0x3fb8aa3b
	s_mov_b32 s3, 0x42b17218
	v_or_b32_e32 v4, 0x100, v0
	s_waitcnt vmcnt(0)
	v_mul_f32_e32 v5, 0x3fb8aa3b, v3
	v_fma_f32 v6, v3, s0, -v5
	v_rndne_f32_e32 v7, v5
	v_fmamk_f32 v6, v3, 0x32a5705f, v6
	v_sub_f32_e32 v5, v5, v7
	v_add_f32_e32 v5, v5, v6
	v_cvt_i32_f32_e32 v7, v7
	v_exp_f32_e32 v5, v5
	s_mov_b32 s0, 0xc2ce8ed0
	v_cmp_ngt_f32_e64 s[0:1], s0, v3
	v_mov_b32_e32 v6, 0x7f800000
	v_ldexp_f32 v5, v5, v7
	v_cndmask_b32_e64 v5, 0, v5, s[0:1]
	v_cmp_nlt_f32_e64 s[0:1], s3, v3
	s_nop 1
	v_cndmask_b32_e64 v3, v6, v5, s[0:1]
.LBB84_5:
	s_or_b64 exec, exec, s[8:9]
	v_cmp_gt_i32_e64 s[0:1], s10, v4
	s_and_saveexec_b64 s[8:9], s[0:1]
	s_cbranch_execz .LBB84_7
; %bb.6:
	v_add_u32_e32 v6, s2, v4
	v_mov_b32_e32 v7, 0
	v_lshl_add_u64 v[6:7], v[6:7], 2, s[6:7]
	global_load_dword v1, v[6:7], off
	s_mov_b32 s0, 0x3fb8aa3b
	s_mov_b32 s3, 0x42b17218
	v_add_u32_e32 v4, 0x100, v4
	s_waitcnt vmcnt(0)
	v_mul_f32_e32 v5, 0x3fb8aa3b, v1
	v_fma_f32 v6, v1, s0, -v5
	v_rndne_f32_e32 v7, v5
	v_fmamk_f32 v6, v1, 0x32a5705f, v6
	v_sub_f32_e32 v5, v5, v7
	v_add_f32_e32 v5, v5, v6
	v_cvt_i32_f32_e32 v7, v7
	v_exp_f32_e32 v5, v5
	s_mov_b32 s0, 0xc2ce8ed0
	v_cmp_ngt_f32_e64 s[0:1], s0, v1
	v_mov_b32_e32 v6, 0x7f800000
	v_ldexp_f32 v5, v5, v7
	v_cndmask_b32_e64 v5, 0, v5, s[0:1]
	v_cmp_nlt_f32_e64 s[0:1], s3, v1
	s_nop 1
	v_cndmask_b32_e64 v1, v6, v5, s[0:1]
.LBB84_7:
	s_or_b64 exec, exec, s[8:9]
	v_cmp_gt_i32_e64 s[0:1], s10, v4
	v_mov_b32_e32 v5, 1.0
	v_mov_b32_e32 v6, 1.0
	s_and_saveexec_b64 s[8:9], s[0:1]
	s_cbranch_execz .LBB84_9
; %bb.8:
	v_add_u32_e32 v6, s2, v4
	v_mov_b32_e32 v7, 0
	v_lshl_add_u64 v[6:7], v[6:7], 2, s[6:7]
	global_load_dword v6, v[6:7], off
	s_mov_b32 s0, 0x3fb8aa3b
	s_mov_b32 s3, 0x42b17218
	v_add_u32_e32 v4, 0x100, v4
	s_waitcnt vmcnt(0)
	v_mul_f32_e32 v7, 0x3fb8aa3b, v6
	v_fma_f32 v8, v6, s0, -v7
	v_rndne_f32_e32 v9, v7
	v_fmamk_f32 v8, v6, 0x32a5705f, v8
	v_sub_f32_e32 v7, v7, v9
	v_add_f32_e32 v7, v7, v8
	v_cvt_i32_f32_e32 v9, v9
	v_exp_f32_e32 v7, v7
	s_mov_b32 s0, 0xc2ce8ed0
	v_cmp_ngt_f32_e64 s[0:1], s0, v6
	v_mov_b32_e32 v8, 0x7f800000
	v_ldexp_f32 v7, v7, v9
	v_cndmask_b32_e64 v7, 0, v7, s[0:1]
	v_cmp_nlt_f32_e64 s[0:1], s3, v6
	s_nop 1
	v_cndmask_b32_e64 v6, v8, v7, s[0:1]
.LBB84_9:
	s_or_b64 exec, exec, s[8:9]
	v_cmp_gt_i32_e64 s[0:1], s10, v4
	s_and_saveexec_b64 s[8:9], s[0:1]
	s_cbranch_execz .LBB84_11
; %bb.10:
	v_add_u32_e32 v4, s2, v4
	v_mov_b32_e32 v5, 0
	v_lshl_add_u64 v[4:5], v[4:5], 2, s[6:7]
	global_load_dword v4, v[4:5], off
	s_mov_b32 s0, 0x3fb8aa3b
	s_mov_b32 s3, 0x42b17218
	s_waitcnt vmcnt(0)
	v_mul_f32_e32 v5, 0x3fb8aa3b, v4
	v_fma_f32 v7, v4, s0, -v5
	v_rndne_f32_e32 v8, v5
	v_fmamk_f32 v7, v4, 0x32a5705f, v7
	v_sub_f32_e32 v5, v5, v8
	v_add_f32_e32 v5, v5, v7
	v_cvt_i32_f32_e32 v8, v8
	v_exp_f32_e32 v5, v5
	s_mov_b32 s0, 0xc2ce8ed0
	v_cmp_ngt_f32_e64 s[0:1], s0, v4
	v_mov_b32_e32 v7, 0x7f800000
	v_ldexp_f32 v5, v5, v8
	v_cndmask_b32_e64 v5, 0, v5, s[0:1]
	v_cmp_nlt_f32_e64 s[0:1], s3, v4
	s_nop 1
	v_cndmask_b32_e64 v5, v7, v5, s[0:1]
.LBB84_11:
	s_or_b64 exec, exec, s[8:9]
	v_or_b32_e32 v8, 0x100, v0
	v_cmp_gt_i32_e64 s[0:1], s10, v8
	v_cndmask_b32_e32 v9, 0, v3, vcc
	s_nop 0
	v_cndmask_b32_e64 v7, 0, v1, s[0:1]
	v_or_b32_e32 v1, 0x200, v0
	v_cmp_gt_i32_e64 s[0:1], s10, v1
	v_or_b32_e32 v1, 0x300, v0
	s_nop 0
	v_cndmask_b32_e64 v4, 0, v6, s[0:1]
	v_cmp_gt_i32_e64 s[0:1], s10, v1
	s_nop 1
	v_cndmask_b32_e64 v1, 0, v5, s[0:1]
	s_and_saveexec_b64 s[0:1], vcc
	s_cbranch_execnz .LBB84_17
; %bb.12:
	s_or_b64 exec, exec, s[0:1]
	v_cmp_gt_i32_e32 vcc, s10, v0
	s_and_saveexec_b64 s[0:1], vcc
	s_cbranch_execnz .LBB84_18
.LBB84_13:
	s_or_b64 exec, exec, s[0:1]
	v_cmp_gt_i32_e32 vcc, s10, v0
	s_and_saveexec_b64 s[0:1], vcc
	s_cbranch_execnz .LBB84_19
.LBB84_14:
	s_or_b64 exec, exec, s[0:1]
	v_cmp_gt_i32_e32 vcc, s10, v0
	s_and_saveexec_b64 s[0:1], vcc
	s_cbranch_execz .LBB84_16
.LBB84_15:
	v_add_u32_e32 v2, s2, v0
	v_mov_b32_e32 v3, 0
	v_lshl_add_u64 v[2:3], v[2:3], 2, s[4:5]
	global_store_dword v[2:3], v1, off
.LBB84_16:
	s_endpgm
.LBB84_17:
	v_mov_b32_e32 v3, 0
	v_lshl_add_u64 v[2:3], v[2:3], 2, s[4:5]
	v_mov_b32_e32 v0, v8
	global_store_dword v[2:3], v9, off
	s_or_b64 exec, exec, s[0:1]
	v_cmp_gt_i32_e32 vcc, s10, v0
	s_and_saveexec_b64 s[0:1], vcc
	s_cbranch_execz .LBB84_13
.LBB84_18:
	v_add_u32_e32 v2, s2, v0
	v_mov_b32_e32 v3, 0
	v_lshl_add_u64 v[2:3], v[2:3], 2, s[4:5]
	v_add_u32_e32 v0, 0x100, v0
	global_store_dword v[2:3], v7, off
	s_or_b64 exec, exec, s[0:1]
	v_cmp_gt_i32_e32 vcc, s10, v0
	s_and_saveexec_b64 s[0:1], vcc
	s_cbranch_execz .LBB84_14
.LBB84_19:
	v_add_u32_e32 v2, s2, v0
	v_mov_b32_e32 v3, 0
	v_lshl_add_u64 v[2:3], v[2:3], 2, s[4:5]
	v_add_u32_e32 v0, 0x100, v0
	global_store_dword v[2:3], v4, off
	s_or_b64 exec, exec, s[0:1]
	v_cmp_gt_i32_e32 vcc, s10, v0
	s_and_saveexec_b64 s[0:1], vcc
	s_cbranch_execnz .LBB84_15
	s_branch .LBB84_16
	.section	.rodata,"a",@progbits
	.p2align	6, 0x0
	.amdhsa_kernel _ZN2at6native29vectorized_elementwise_kernelILi4EZZZNS0_15exp_kernel_cudaERNS_18TensorIteratorBaseEENKUlvE0_clEvENKUlvE0_clEvEUlfE_St5arrayIPcLm2EEEEviT0_T1_
		.amdhsa_group_segment_fixed_size 0
		.amdhsa_private_segment_fixed_size 0
		.amdhsa_kernarg_size 24
		.amdhsa_user_sgpr_count 2
		.amdhsa_user_sgpr_dispatch_ptr 0
		.amdhsa_user_sgpr_queue_ptr 0
		.amdhsa_user_sgpr_kernarg_segment_ptr 1
		.amdhsa_user_sgpr_dispatch_id 0
		.amdhsa_user_sgpr_kernarg_preload_length 0
		.amdhsa_user_sgpr_kernarg_preload_offset 0
		.amdhsa_user_sgpr_private_segment_size 0
		.amdhsa_uses_dynamic_stack 0
		.amdhsa_enable_private_segment 0
		.amdhsa_system_sgpr_workgroup_id_x 1
		.amdhsa_system_sgpr_workgroup_id_y 0
		.amdhsa_system_sgpr_workgroup_id_z 0
		.amdhsa_system_sgpr_workgroup_info 0
		.amdhsa_system_vgpr_workitem_id 0
		.amdhsa_next_free_vgpr 19
		.amdhsa_next_free_sgpr 11
		.amdhsa_accum_offset 20
		.amdhsa_reserve_vcc 1
		.amdhsa_float_round_mode_32 0
		.amdhsa_float_round_mode_16_64 0
		.amdhsa_float_denorm_mode_32 3
		.amdhsa_float_denorm_mode_16_64 3
		.amdhsa_dx10_clamp 1
		.amdhsa_ieee_mode 1
		.amdhsa_fp16_overflow 0
		.amdhsa_tg_split 0
		.amdhsa_exception_fp_ieee_invalid_op 0
		.amdhsa_exception_fp_denorm_src 0
		.amdhsa_exception_fp_ieee_div_zero 0
		.amdhsa_exception_fp_ieee_overflow 0
		.amdhsa_exception_fp_ieee_underflow 0
		.amdhsa_exception_fp_ieee_inexact 0
		.amdhsa_exception_int_div_zero 0
	.end_amdhsa_kernel
	.section	.text._ZN2at6native29vectorized_elementwise_kernelILi4EZZZNS0_15exp_kernel_cudaERNS_18TensorIteratorBaseEENKUlvE0_clEvENKUlvE0_clEvEUlfE_St5arrayIPcLm2EEEEviT0_T1_,"axG",@progbits,_ZN2at6native29vectorized_elementwise_kernelILi4EZZZNS0_15exp_kernel_cudaERNS_18TensorIteratorBaseEENKUlvE0_clEvENKUlvE0_clEvEUlfE_St5arrayIPcLm2EEEEviT0_T1_,comdat
.Lfunc_end84:
	.size	_ZN2at6native29vectorized_elementwise_kernelILi4EZZZNS0_15exp_kernel_cudaERNS_18TensorIteratorBaseEENKUlvE0_clEvENKUlvE0_clEvEUlfE_St5arrayIPcLm2EEEEviT0_T1_, .Lfunc_end84-_ZN2at6native29vectorized_elementwise_kernelILi4EZZZNS0_15exp_kernel_cudaERNS_18TensorIteratorBaseEENKUlvE0_clEvENKUlvE0_clEvEUlfE_St5arrayIPcLm2EEEEviT0_T1_
                                        ; -- End function
	.set _ZN2at6native29vectorized_elementwise_kernelILi4EZZZNS0_15exp_kernel_cudaERNS_18TensorIteratorBaseEENKUlvE0_clEvENKUlvE0_clEvEUlfE_St5arrayIPcLm2EEEEviT0_T1_.num_vgpr, 19
	.set _ZN2at6native29vectorized_elementwise_kernelILi4EZZZNS0_15exp_kernel_cudaERNS_18TensorIteratorBaseEENKUlvE0_clEvENKUlvE0_clEvEUlfE_St5arrayIPcLm2EEEEviT0_T1_.num_agpr, 0
	.set _ZN2at6native29vectorized_elementwise_kernelILi4EZZZNS0_15exp_kernel_cudaERNS_18TensorIteratorBaseEENKUlvE0_clEvENKUlvE0_clEvEUlfE_St5arrayIPcLm2EEEEviT0_T1_.numbered_sgpr, 11
	.set _ZN2at6native29vectorized_elementwise_kernelILi4EZZZNS0_15exp_kernel_cudaERNS_18TensorIteratorBaseEENKUlvE0_clEvENKUlvE0_clEvEUlfE_St5arrayIPcLm2EEEEviT0_T1_.num_named_barrier, 0
	.set _ZN2at6native29vectorized_elementwise_kernelILi4EZZZNS0_15exp_kernel_cudaERNS_18TensorIteratorBaseEENKUlvE0_clEvENKUlvE0_clEvEUlfE_St5arrayIPcLm2EEEEviT0_T1_.private_seg_size, 0
	.set _ZN2at6native29vectorized_elementwise_kernelILi4EZZZNS0_15exp_kernel_cudaERNS_18TensorIteratorBaseEENKUlvE0_clEvENKUlvE0_clEvEUlfE_St5arrayIPcLm2EEEEviT0_T1_.uses_vcc, 1
	.set _ZN2at6native29vectorized_elementwise_kernelILi4EZZZNS0_15exp_kernel_cudaERNS_18TensorIteratorBaseEENKUlvE0_clEvENKUlvE0_clEvEUlfE_St5arrayIPcLm2EEEEviT0_T1_.uses_flat_scratch, 0
	.set _ZN2at6native29vectorized_elementwise_kernelILi4EZZZNS0_15exp_kernel_cudaERNS_18TensorIteratorBaseEENKUlvE0_clEvENKUlvE0_clEvEUlfE_St5arrayIPcLm2EEEEviT0_T1_.has_dyn_sized_stack, 0
	.set _ZN2at6native29vectorized_elementwise_kernelILi4EZZZNS0_15exp_kernel_cudaERNS_18TensorIteratorBaseEENKUlvE0_clEvENKUlvE0_clEvEUlfE_St5arrayIPcLm2EEEEviT0_T1_.has_recursion, 0
	.set _ZN2at6native29vectorized_elementwise_kernelILi4EZZZNS0_15exp_kernel_cudaERNS_18TensorIteratorBaseEENKUlvE0_clEvENKUlvE0_clEvEUlfE_St5arrayIPcLm2EEEEviT0_T1_.has_indirect_call, 0
	.section	.AMDGPU.csdata,"",@progbits
; Kernel info:
; codeLenInByte = 1456
; TotalNumSgprs: 17
; NumVgprs: 19
; NumAgprs: 0
; TotalNumVgprs: 19
; ScratchSize: 0
; MemoryBound: 0
; FloatMode: 240
; IeeeMode: 1
; LDSByteSize: 0 bytes/workgroup (compile time only)
; SGPRBlocks: 2
; VGPRBlocks: 2
; NumSGPRsForWavesPerEU: 17
; NumVGPRsForWavesPerEU: 19
; AccumOffset: 20
; Occupancy: 8
; WaveLimiterHint : 0
; COMPUTE_PGM_RSRC2:SCRATCH_EN: 0
; COMPUTE_PGM_RSRC2:USER_SGPR: 2
; COMPUTE_PGM_RSRC2:TRAP_HANDLER: 0
; COMPUTE_PGM_RSRC2:TGID_X_EN: 1
; COMPUTE_PGM_RSRC2:TGID_Y_EN: 0
; COMPUTE_PGM_RSRC2:TGID_Z_EN: 0
; COMPUTE_PGM_RSRC2:TIDIG_COMP_CNT: 0
; COMPUTE_PGM_RSRC3_GFX90A:ACCUM_OFFSET: 4
; COMPUTE_PGM_RSRC3_GFX90A:TG_SPLIT: 0
	.section	.text._ZN2at6native29vectorized_elementwise_kernelILi2EZZZNS0_15exp_kernel_cudaERNS_18TensorIteratorBaseEENKUlvE0_clEvENKUlvE0_clEvEUlfE_St5arrayIPcLm2EEEEviT0_T1_,"axG",@progbits,_ZN2at6native29vectorized_elementwise_kernelILi2EZZZNS0_15exp_kernel_cudaERNS_18TensorIteratorBaseEENKUlvE0_clEvENKUlvE0_clEvEUlfE_St5arrayIPcLm2EEEEviT0_T1_,comdat
	.globl	_ZN2at6native29vectorized_elementwise_kernelILi2EZZZNS0_15exp_kernel_cudaERNS_18TensorIteratorBaseEENKUlvE0_clEvENKUlvE0_clEvEUlfE_St5arrayIPcLm2EEEEviT0_T1_ ; -- Begin function _ZN2at6native29vectorized_elementwise_kernelILi2EZZZNS0_15exp_kernel_cudaERNS_18TensorIteratorBaseEENKUlvE0_clEvENKUlvE0_clEvEUlfE_St5arrayIPcLm2EEEEviT0_T1_
	.p2align	8
	.type	_ZN2at6native29vectorized_elementwise_kernelILi2EZZZNS0_15exp_kernel_cudaERNS_18TensorIteratorBaseEENKUlvE0_clEvENKUlvE0_clEvEUlfE_St5arrayIPcLm2EEEEviT0_T1_,@function
_ZN2at6native29vectorized_elementwise_kernelILi2EZZZNS0_15exp_kernel_cudaERNS_18TensorIteratorBaseEENKUlvE0_clEvENKUlvE0_clEvEUlfE_St5arrayIPcLm2EEEEviT0_T1_: ; @_ZN2at6native29vectorized_elementwise_kernelILi2EZZZNS0_15exp_kernel_cudaERNS_18TensorIteratorBaseEENKUlvE0_clEvENKUlvE0_clEvEUlfE_St5arrayIPcLm2EEEEviT0_T1_
; %bb.0:
	s_load_dword s3, s[0:1], 0x0
	s_load_dwordx4 s[4:7], s[0:1], 0x8
	s_lshl_b32 s2, s2, 10
	s_mov_b64 s[0:1], -1
	s_waitcnt lgkmcnt(0)
	s_sub_i32 s10, s3, s2
	s_cmpk_gt_i32 s10, 0x3ff
	s_cbranch_scc0 .LBB85_2
; %bb.1:
	s_ashr_i32 s3, s2, 31
	s_lshl_b64 s[0:1], s[2:3], 2
	s_add_u32 s8, s6, s0
	s_addc_u32 s9, s7, s1
	v_lshlrev_b32_e32 v1, 3, v0
	global_load_dwordx2 v[2:3], v1, s[8:9]
	global_load_dwordx2 v[4:5], v1, s[8:9] offset:2048
	s_mov_b32 s3, 0x3fb8aa3b
	s_mov_b32 s8, 0xc2ce8ed0
	s_mov_b32 s9, 0x42b17218
	v_mov_b32_e32 v6, 0x7f800000
	s_add_u32 s0, s4, s0
	s_addc_u32 s1, s5, s1
	s_waitcnt vmcnt(1)
	v_mul_f32_e32 v7, 0x3fb8aa3b, v2
	v_mul_f32_e32 v8, 0x3fb8aa3b, v3
	v_fma_f32 v11, v2, s3, -v7
	v_rndne_f32_e32 v12, v7
	s_waitcnt vmcnt(0)
	v_mul_f32_e32 v9, 0x3fb8aa3b, v4
	v_fma_f32 v13, v3, s3, -v8
	v_rndne_f32_e32 v14, v8
	v_fmac_f32_e32 v11, 0x32a5705f, v2
	v_sub_f32_e32 v7, v7, v12
	v_mul_f32_e32 v10, 0x3fb8aa3b, v5
	v_fma_f32 v15, v4, s3, -v9
	v_rndne_f32_e32 v16, v9
	v_fmac_f32_e32 v13, 0x32a5705f, v3
	v_sub_f32_e32 v8, v8, v14
	v_add_f32_e32 v7, v7, v11
	v_fma_f32 v17, v5, s3, -v10
	v_rndne_f32_e32 v18, v10
	v_cvt_i32_f32_e32 v12, v12
	v_fmac_f32_e32 v15, 0x32a5705f, v4
	v_sub_f32_e32 v9, v9, v16
	v_add_f32_e32 v8, v8, v13
	v_exp_f32_e32 v7, v7
	v_cvt_i32_f32_e32 v14, v14
	v_fmac_f32_e32 v17, 0x32a5705f, v5
	v_sub_f32_e32 v10, v10, v18
	v_add_f32_e32 v9, v9, v15
	v_exp_f32_e32 v8, v8
	v_cvt_i32_f32_e32 v16, v16
	v_add_f32_e32 v10, v10, v17
	v_exp_f32_e32 v9, v9
	v_cvt_i32_f32_e32 v18, v18
	v_exp_f32_e32 v10, v10
	v_ldexp_f32 v7, v7, v12
	v_cmp_ngt_f32_e32 vcc, s8, v2
	v_ldexp_f32 v8, v8, v14
	v_ldexp_f32 v9, v9, v16
	v_cndmask_b32_e32 v7, 0, v7, vcc
	v_cmp_ngt_f32_e32 vcc, s8, v3
	v_ldexp_f32 v10, v10, v18
	s_nop 0
	v_cndmask_b32_e32 v8, 0, v8, vcc
	v_cmp_ngt_f32_e32 vcc, s8, v4
	s_nop 1
	v_cndmask_b32_e32 v9, 0, v9, vcc
	v_cmp_ngt_f32_e32 vcc, s8, v5
	s_nop 1
	v_cndmask_b32_e32 v10, 0, v10, vcc
	v_cmp_nlt_f32_e32 vcc, s9, v2
	s_nop 1
	v_cndmask_b32_e32 v2, v6, v7, vcc
	v_cmp_nlt_f32_e32 vcc, s9, v3
	s_nop 1
	v_cndmask_b32_e32 v3, v6, v8, vcc
	v_cmp_nlt_f32_e32 vcc, s9, v4
	s_nop 1
	v_cndmask_b32_e32 v4, v6, v9, vcc
	v_cmp_nlt_f32_e32 vcc, s9, v5
	s_nop 1
	v_cndmask_b32_e32 v5, v6, v10, vcc
	global_store_dwordx2 v1, v[2:3], s[0:1]
	global_store_dwordx2 v1, v[4:5], s[0:1] offset:2048
	s_mov_b64 s[0:1], 0
.LBB85_2:
	s_andn2_b64 vcc, exec, s[0:1]
	s_cbranch_vccnz .LBB85_16
; %bb.3:
	v_cmp_gt_i32_e32 vcc, s10, v0
	v_mov_b32_e32 v1, 1.0
	v_or_b32_e32 v2, s2, v0
	v_mov_b32_e32 v3, 1.0
	v_mov_b32_e32 v4, v0
	s_and_saveexec_b64 s[8:9], vcc
	s_cbranch_execz .LBB85_5
; %bb.4:
	v_mov_b32_e32 v3, 0
	v_lshl_add_u64 v[4:5], v[2:3], 2, s[6:7]
	global_load_dword v3, v[4:5], off
	s_mov_b32 s0, 0x3fb8aa3b
	s_mov_b32 s3, 0x42b17218
	v_or_b32_e32 v4, 0x100, v0
	s_waitcnt vmcnt(0)
	v_mul_f32_e32 v5, 0x3fb8aa3b, v3
	v_fma_f32 v6, v3, s0, -v5
	v_rndne_f32_e32 v7, v5
	v_fmamk_f32 v6, v3, 0x32a5705f, v6
	v_sub_f32_e32 v5, v5, v7
	v_add_f32_e32 v5, v5, v6
	v_cvt_i32_f32_e32 v7, v7
	v_exp_f32_e32 v5, v5
	s_mov_b32 s0, 0xc2ce8ed0
	v_cmp_ngt_f32_e64 s[0:1], s0, v3
	v_mov_b32_e32 v6, 0x7f800000
	v_ldexp_f32 v5, v5, v7
	v_cndmask_b32_e64 v5, 0, v5, s[0:1]
	v_cmp_nlt_f32_e64 s[0:1], s3, v3
	s_nop 1
	v_cndmask_b32_e64 v3, v6, v5, s[0:1]
.LBB85_5:
	s_or_b64 exec, exec, s[8:9]
	v_cmp_gt_i32_e64 s[0:1], s10, v4
	s_and_saveexec_b64 s[8:9], s[0:1]
	s_cbranch_execz .LBB85_7
; %bb.6:
	v_add_u32_e32 v6, s2, v4
	v_mov_b32_e32 v7, 0
	v_lshl_add_u64 v[6:7], v[6:7], 2, s[6:7]
	global_load_dword v1, v[6:7], off
	s_mov_b32 s0, 0x3fb8aa3b
	s_mov_b32 s3, 0x42b17218
	v_add_u32_e32 v4, 0x100, v4
	s_waitcnt vmcnt(0)
	v_mul_f32_e32 v5, 0x3fb8aa3b, v1
	v_fma_f32 v6, v1, s0, -v5
	v_rndne_f32_e32 v7, v5
	v_fmamk_f32 v6, v1, 0x32a5705f, v6
	v_sub_f32_e32 v5, v5, v7
	v_add_f32_e32 v5, v5, v6
	v_cvt_i32_f32_e32 v7, v7
	v_exp_f32_e32 v5, v5
	s_mov_b32 s0, 0xc2ce8ed0
	v_cmp_ngt_f32_e64 s[0:1], s0, v1
	v_mov_b32_e32 v6, 0x7f800000
	v_ldexp_f32 v5, v5, v7
	v_cndmask_b32_e64 v5, 0, v5, s[0:1]
	v_cmp_nlt_f32_e64 s[0:1], s3, v1
	s_nop 1
	v_cndmask_b32_e64 v1, v6, v5, s[0:1]
.LBB85_7:
	s_or_b64 exec, exec, s[8:9]
	v_cmp_gt_i32_e64 s[0:1], s10, v4
	v_mov_b32_e32 v5, 1.0
	v_mov_b32_e32 v6, 1.0
	s_and_saveexec_b64 s[8:9], s[0:1]
	s_cbranch_execz .LBB85_9
; %bb.8:
	v_add_u32_e32 v6, s2, v4
	v_mov_b32_e32 v7, 0
	v_lshl_add_u64 v[6:7], v[6:7], 2, s[6:7]
	global_load_dword v6, v[6:7], off
	s_mov_b32 s0, 0x3fb8aa3b
	s_mov_b32 s3, 0x42b17218
	v_add_u32_e32 v4, 0x100, v4
	s_waitcnt vmcnt(0)
	v_mul_f32_e32 v7, 0x3fb8aa3b, v6
	v_fma_f32 v8, v6, s0, -v7
	v_rndne_f32_e32 v9, v7
	v_fmamk_f32 v8, v6, 0x32a5705f, v8
	v_sub_f32_e32 v7, v7, v9
	v_add_f32_e32 v7, v7, v8
	v_cvt_i32_f32_e32 v9, v9
	v_exp_f32_e32 v7, v7
	s_mov_b32 s0, 0xc2ce8ed0
	v_cmp_ngt_f32_e64 s[0:1], s0, v6
	v_mov_b32_e32 v8, 0x7f800000
	v_ldexp_f32 v7, v7, v9
	v_cndmask_b32_e64 v7, 0, v7, s[0:1]
	v_cmp_nlt_f32_e64 s[0:1], s3, v6
	s_nop 1
	v_cndmask_b32_e64 v6, v8, v7, s[0:1]
.LBB85_9:
	s_or_b64 exec, exec, s[8:9]
	v_cmp_gt_i32_e64 s[0:1], s10, v4
	s_and_saveexec_b64 s[8:9], s[0:1]
	s_cbranch_execz .LBB85_11
; %bb.10:
	v_add_u32_e32 v4, s2, v4
	v_mov_b32_e32 v5, 0
	v_lshl_add_u64 v[4:5], v[4:5], 2, s[6:7]
	global_load_dword v4, v[4:5], off
	s_mov_b32 s0, 0x3fb8aa3b
	s_mov_b32 s3, 0x42b17218
	s_waitcnt vmcnt(0)
	v_mul_f32_e32 v5, 0x3fb8aa3b, v4
	v_fma_f32 v7, v4, s0, -v5
	v_rndne_f32_e32 v8, v5
	v_fmamk_f32 v7, v4, 0x32a5705f, v7
	v_sub_f32_e32 v5, v5, v8
	v_add_f32_e32 v5, v5, v7
	v_cvt_i32_f32_e32 v8, v8
	v_exp_f32_e32 v5, v5
	s_mov_b32 s0, 0xc2ce8ed0
	v_cmp_ngt_f32_e64 s[0:1], s0, v4
	v_mov_b32_e32 v7, 0x7f800000
	v_ldexp_f32 v5, v5, v8
	v_cndmask_b32_e64 v5, 0, v5, s[0:1]
	v_cmp_nlt_f32_e64 s[0:1], s3, v4
	s_nop 1
	v_cndmask_b32_e64 v5, v7, v5, s[0:1]
.LBB85_11:
	s_or_b64 exec, exec, s[8:9]
	v_or_b32_e32 v8, 0x100, v0
	v_cmp_gt_i32_e64 s[0:1], s10, v8
	v_cndmask_b32_e32 v9, 0, v3, vcc
	s_nop 0
	v_cndmask_b32_e64 v7, 0, v1, s[0:1]
	v_or_b32_e32 v1, 0x200, v0
	v_cmp_gt_i32_e64 s[0:1], s10, v1
	v_or_b32_e32 v1, 0x300, v0
	s_nop 0
	v_cndmask_b32_e64 v4, 0, v6, s[0:1]
	v_cmp_gt_i32_e64 s[0:1], s10, v1
	s_nop 1
	v_cndmask_b32_e64 v1, 0, v5, s[0:1]
	s_and_saveexec_b64 s[0:1], vcc
	s_cbranch_execnz .LBB85_17
; %bb.12:
	s_or_b64 exec, exec, s[0:1]
	v_cmp_gt_i32_e32 vcc, s10, v0
	s_and_saveexec_b64 s[0:1], vcc
	s_cbranch_execnz .LBB85_18
.LBB85_13:
	s_or_b64 exec, exec, s[0:1]
	v_cmp_gt_i32_e32 vcc, s10, v0
	s_and_saveexec_b64 s[0:1], vcc
	s_cbranch_execnz .LBB85_19
.LBB85_14:
	s_or_b64 exec, exec, s[0:1]
	v_cmp_gt_i32_e32 vcc, s10, v0
	s_and_saveexec_b64 s[0:1], vcc
	s_cbranch_execz .LBB85_16
.LBB85_15:
	v_add_u32_e32 v2, s2, v0
	v_mov_b32_e32 v3, 0
	v_lshl_add_u64 v[2:3], v[2:3], 2, s[4:5]
	global_store_dword v[2:3], v1, off
.LBB85_16:
	s_endpgm
.LBB85_17:
	v_mov_b32_e32 v3, 0
	v_lshl_add_u64 v[2:3], v[2:3], 2, s[4:5]
	v_mov_b32_e32 v0, v8
	global_store_dword v[2:3], v9, off
	s_or_b64 exec, exec, s[0:1]
	v_cmp_gt_i32_e32 vcc, s10, v0
	s_and_saveexec_b64 s[0:1], vcc
	s_cbranch_execz .LBB85_13
.LBB85_18:
	v_add_u32_e32 v2, s2, v0
	v_mov_b32_e32 v3, 0
	v_lshl_add_u64 v[2:3], v[2:3], 2, s[4:5]
	v_add_u32_e32 v0, 0x100, v0
	global_store_dword v[2:3], v7, off
	s_or_b64 exec, exec, s[0:1]
	v_cmp_gt_i32_e32 vcc, s10, v0
	s_and_saveexec_b64 s[0:1], vcc
	s_cbranch_execz .LBB85_14
.LBB85_19:
	v_add_u32_e32 v2, s2, v0
	v_mov_b32_e32 v3, 0
	v_lshl_add_u64 v[2:3], v[2:3], 2, s[4:5]
	v_add_u32_e32 v0, 0x100, v0
	global_store_dword v[2:3], v4, off
	s_or_b64 exec, exec, s[0:1]
	v_cmp_gt_i32_e32 vcc, s10, v0
	s_and_saveexec_b64 s[0:1], vcc
	s_cbranch_execnz .LBB85_15
	s_branch .LBB85_16
	.section	.rodata,"a",@progbits
	.p2align	6, 0x0
	.amdhsa_kernel _ZN2at6native29vectorized_elementwise_kernelILi2EZZZNS0_15exp_kernel_cudaERNS_18TensorIteratorBaseEENKUlvE0_clEvENKUlvE0_clEvEUlfE_St5arrayIPcLm2EEEEviT0_T1_
		.amdhsa_group_segment_fixed_size 0
		.amdhsa_private_segment_fixed_size 0
		.amdhsa_kernarg_size 24
		.amdhsa_user_sgpr_count 2
		.amdhsa_user_sgpr_dispatch_ptr 0
		.amdhsa_user_sgpr_queue_ptr 0
		.amdhsa_user_sgpr_kernarg_segment_ptr 1
		.amdhsa_user_sgpr_dispatch_id 0
		.amdhsa_user_sgpr_kernarg_preload_length 0
		.amdhsa_user_sgpr_kernarg_preload_offset 0
		.amdhsa_user_sgpr_private_segment_size 0
		.amdhsa_uses_dynamic_stack 0
		.amdhsa_enable_private_segment 0
		.amdhsa_system_sgpr_workgroup_id_x 1
		.amdhsa_system_sgpr_workgroup_id_y 0
		.amdhsa_system_sgpr_workgroup_id_z 0
		.amdhsa_system_sgpr_workgroup_info 0
		.amdhsa_system_vgpr_workitem_id 0
		.amdhsa_next_free_vgpr 19
		.amdhsa_next_free_sgpr 11
		.amdhsa_accum_offset 20
		.amdhsa_reserve_vcc 1
		.amdhsa_float_round_mode_32 0
		.amdhsa_float_round_mode_16_64 0
		.amdhsa_float_denorm_mode_32 3
		.amdhsa_float_denorm_mode_16_64 3
		.amdhsa_dx10_clamp 1
		.amdhsa_ieee_mode 1
		.amdhsa_fp16_overflow 0
		.amdhsa_tg_split 0
		.amdhsa_exception_fp_ieee_invalid_op 0
		.amdhsa_exception_fp_denorm_src 0
		.amdhsa_exception_fp_ieee_div_zero 0
		.amdhsa_exception_fp_ieee_overflow 0
		.amdhsa_exception_fp_ieee_underflow 0
		.amdhsa_exception_fp_ieee_inexact 0
		.amdhsa_exception_int_div_zero 0
	.end_amdhsa_kernel
	.section	.text._ZN2at6native29vectorized_elementwise_kernelILi2EZZZNS0_15exp_kernel_cudaERNS_18TensorIteratorBaseEENKUlvE0_clEvENKUlvE0_clEvEUlfE_St5arrayIPcLm2EEEEviT0_T1_,"axG",@progbits,_ZN2at6native29vectorized_elementwise_kernelILi2EZZZNS0_15exp_kernel_cudaERNS_18TensorIteratorBaseEENKUlvE0_clEvENKUlvE0_clEvEUlfE_St5arrayIPcLm2EEEEviT0_T1_,comdat
.Lfunc_end85:
	.size	_ZN2at6native29vectorized_elementwise_kernelILi2EZZZNS0_15exp_kernel_cudaERNS_18TensorIteratorBaseEENKUlvE0_clEvENKUlvE0_clEvEUlfE_St5arrayIPcLm2EEEEviT0_T1_, .Lfunc_end85-_ZN2at6native29vectorized_elementwise_kernelILi2EZZZNS0_15exp_kernel_cudaERNS_18TensorIteratorBaseEENKUlvE0_clEvENKUlvE0_clEvEUlfE_St5arrayIPcLm2EEEEviT0_T1_
                                        ; -- End function
	.set _ZN2at6native29vectorized_elementwise_kernelILi2EZZZNS0_15exp_kernel_cudaERNS_18TensorIteratorBaseEENKUlvE0_clEvENKUlvE0_clEvEUlfE_St5arrayIPcLm2EEEEviT0_T1_.num_vgpr, 19
	.set _ZN2at6native29vectorized_elementwise_kernelILi2EZZZNS0_15exp_kernel_cudaERNS_18TensorIteratorBaseEENKUlvE0_clEvENKUlvE0_clEvEUlfE_St5arrayIPcLm2EEEEviT0_T1_.num_agpr, 0
	.set _ZN2at6native29vectorized_elementwise_kernelILi2EZZZNS0_15exp_kernel_cudaERNS_18TensorIteratorBaseEENKUlvE0_clEvENKUlvE0_clEvEUlfE_St5arrayIPcLm2EEEEviT0_T1_.numbered_sgpr, 11
	.set _ZN2at6native29vectorized_elementwise_kernelILi2EZZZNS0_15exp_kernel_cudaERNS_18TensorIteratorBaseEENKUlvE0_clEvENKUlvE0_clEvEUlfE_St5arrayIPcLm2EEEEviT0_T1_.num_named_barrier, 0
	.set _ZN2at6native29vectorized_elementwise_kernelILi2EZZZNS0_15exp_kernel_cudaERNS_18TensorIteratorBaseEENKUlvE0_clEvENKUlvE0_clEvEUlfE_St5arrayIPcLm2EEEEviT0_T1_.private_seg_size, 0
	.set _ZN2at6native29vectorized_elementwise_kernelILi2EZZZNS0_15exp_kernel_cudaERNS_18TensorIteratorBaseEENKUlvE0_clEvENKUlvE0_clEvEUlfE_St5arrayIPcLm2EEEEviT0_T1_.uses_vcc, 1
	.set _ZN2at6native29vectorized_elementwise_kernelILi2EZZZNS0_15exp_kernel_cudaERNS_18TensorIteratorBaseEENKUlvE0_clEvENKUlvE0_clEvEUlfE_St5arrayIPcLm2EEEEviT0_T1_.uses_flat_scratch, 0
	.set _ZN2at6native29vectorized_elementwise_kernelILi2EZZZNS0_15exp_kernel_cudaERNS_18TensorIteratorBaseEENKUlvE0_clEvENKUlvE0_clEvEUlfE_St5arrayIPcLm2EEEEviT0_T1_.has_dyn_sized_stack, 0
	.set _ZN2at6native29vectorized_elementwise_kernelILi2EZZZNS0_15exp_kernel_cudaERNS_18TensorIteratorBaseEENKUlvE0_clEvENKUlvE0_clEvEUlfE_St5arrayIPcLm2EEEEviT0_T1_.has_recursion, 0
	.set _ZN2at6native29vectorized_elementwise_kernelILi2EZZZNS0_15exp_kernel_cudaERNS_18TensorIteratorBaseEENKUlvE0_clEvENKUlvE0_clEvEUlfE_St5arrayIPcLm2EEEEviT0_T1_.has_indirect_call, 0
	.section	.AMDGPU.csdata,"",@progbits
; Kernel info:
; codeLenInByte = 1476
; TotalNumSgprs: 17
; NumVgprs: 19
; NumAgprs: 0
; TotalNumVgprs: 19
; ScratchSize: 0
; MemoryBound: 0
; FloatMode: 240
; IeeeMode: 1
; LDSByteSize: 0 bytes/workgroup (compile time only)
; SGPRBlocks: 2
; VGPRBlocks: 2
; NumSGPRsForWavesPerEU: 17
; NumVGPRsForWavesPerEU: 19
; AccumOffset: 20
; Occupancy: 8
; WaveLimiterHint : 1
; COMPUTE_PGM_RSRC2:SCRATCH_EN: 0
; COMPUTE_PGM_RSRC2:USER_SGPR: 2
; COMPUTE_PGM_RSRC2:TRAP_HANDLER: 0
; COMPUTE_PGM_RSRC2:TGID_X_EN: 1
; COMPUTE_PGM_RSRC2:TGID_Y_EN: 0
; COMPUTE_PGM_RSRC2:TGID_Z_EN: 0
; COMPUTE_PGM_RSRC2:TIDIG_COMP_CNT: 0
; COMPUTE_PGM_RSRC3_GFX90A:ACCUM_OFFSET: 4
; COMPUTE_PGM_RSRC3_GFX90A:TG_SPLIT: 0
	.section	.text._ZN2at6native27unrolled_elementwise_kernelIZZZNS0_15exp_kernel_cudaERNS_18TensorIteratorBaseEENKUlvE0_clEvENKUlvE0_clEvEUlfE_St5arrayIPcLm2EELi4E23TrivialOffsetCalculatorILi1EjESB_NS0_6memory15LoadWithoutCastENSC_16StoreWithoutCastEEEviT_T0_T2_T3_T4_T5_,"axG",@progbits,_ZN2at6native27unrolled_elementwise_kernelIZZZNS0_15exp_kernel_cudaERNS_18TensorIteratorBaseEENKUlvE0_clEvENKUlvE0_clEvEUlfE_St5arrayIPcLm2EELi4E23TrivialOffsetCalculatorILi1EjESB_NS0_6memory15LoadWithoutCastENSC_16StoreWithoutCastEEEviT_T0_T2_T3_T4_T5_,comdat
	.globl	_ZN2at6native27unrolled_elementwise_kernelIZZZNS0_15exp_kernel_cudaERNS_18TensorIteratorBaseEENKUlvE0_clEvENKUlvE0_clEvEUlfE_St5arrayIPcLm2EELi4E23TrivialOffsetCalculatorILi1EjESB_NS0_6memory15LoadWithoutCastENSC_16StoreWithoutCastEEEviT_T0_T2_T3_T4_T5_ ; -- Begin function _ZN2at6native27unrolled_elementwise_kernelIZZZNS0_15exp_kernel_cudaERNS_18TensorIteratorBaseEENKUlvE0_clEvENKUlvE0_clEvEUlfE_St5arrayIPcLm2EELi4E23TrivialOffsetCalculatorILi1EjESB_NS0_6memory15LoadWithoutCastENSC_16StoreWithoutCastEEEviT_T0_T2_T3_T4_T5_
	.p2align	8
	.type	_ZN2at6native27unrolled_elementwise_kernelIZZZNS0_15exp_kernel_cudaERNS_18TensorIteratorBaseEENKUlvE0_clEvENKUlvE0_clEvEUlfE_St5arrayIPcLm2EELi4E23TrivialOffsetCalculatorILi1EjESB_NS0_6memory15LoadWithoutCastENSC_16StoreWithoutCastEEEviT_T0_T2_T3_T4_T5_,@function
_ZN2at6native27unrolled_elementwise_kernelIZZZNS0_15exp_kernel_cudaERNS_18TensorIteratorBaseEENKUlvE0_clEvENKUlvE0_clEvEUlfE_St5arrayIPcLm2EELi4E23TrivialOffsetCalculatorILi1EjESB_NS0_6memory15LoadWithoutCastENSC_16StoreWithoutCastEEEviT_T0_T2_T3_T4_T5_: ; @_ZN2at6native27unrolled_elementwise_kernelIZZZNS0_15exp_kernel_cudaERNS_18TensorIteratorBaseEENKUlvE0_clEvENKUlvE0_clEvEUlfE_St5arrayIPcLm2EELi4E23TrivialOffsetCalculatorILi1EjESB_NS0_6memory15LoadWithoutCastENSC_16StoreWithoutCastEEEviT_T0_T2_T3_T4_T5_
; %bb.0:
	s_load_dword s3, s[0:1], 0x0
	s_load_dwordx4 s[4:7], s[0:1], 0x8
	s_lshl_b32 s8, s2, 10
	v_mov_b32_e32 v1, 1.0
	v_or_b32_e32 v2, s8, v0
	s_waitcnt lgkmcnt(0)
	s_sub_i32 s9, s3, s8
	v_cmp_gt_i32_e32 vcc, s9, v0
	v_mov_b32_e32 v3, 1.0
	v_mov_b32_e32 v4, v0
	s_and_saveexec_b64 s[2:3], vcc
	s_cbranch_execz .LBB86_2
; %bb.1:
	v_mov_b32_e32 v3, 0
	v_lshl_add_u64 v[4:5], v[2:3], 2, s[6:7]
	global_load_dword v3, v[4:5], off
	s_mov_b32 s0, 0x3fb8aa3b
	s_mov_b32 s10, 0x42b17218
	v_or_b32_e32 v4, 0x100, v0
	s_waitcnt vmcnt(0)
	v_mul_f32_e32 v5, 0x3fb8aa3b, v3
	v_fma_f32 v6, v3, s0, -v5
	v_rndne_f32_e32 v7, v5
	v_fmamk_f32 v6, v3, 0x32a5705f, v6
	v_sub_f32_e32 v5, v5, v7
	v_add_f32_e32 v5, v5, v6
	v_cvt_i32_f32_e32 v7, v7
	v_exp_f32_e32 v5, v5
	s_mov_b32 s0, 0xc2ce8ed0
	v_cmp_ngt_f32_e64 s[0:1], s0, v3
	v_mov_b32_e32 v6, 0x7f800000
	v_ldexp_f32 v5, v5, v7
	v_cndmask_b32_e64 v5, 0, v5, s[0:1]
	v_cmp_nlt_f32_e64 s[0:1], s10, v3
	s_nop 1
	v_cndmask_b32_e64 v3, v6, v5, s[0:1]
.LBB86_2:
	s_or_b64 exec, exec, s[2:3]
	v_cmp_gt_i32_e64 s[0:1], s9, v4
	s_and_saveexec_b64 s[2:3], s[0:1]
	s_cbranch_execz .LBB86_4
; %bb.3:
	v_add_u32_e32 v6, s8, v4
	v_mov_b32_e32 v7, 0
	v_lshl_add_u64 v[6:7], v[6:7], 2, s[6:7]
	global_load_dword v1, v[6:7], off
	s_mov_b32 s0, 0x3fb8aa3b
	s_mov_b32 s10, 0x42b17218
	v_add_u32_e32 v4, 0x100, v4
	s_waitcnt vmcnt(0)
	v_mul_f32_e32 v5, 0x3fb8aa3b, v1
	v_fma_f32 v6, v1, s0, -v5
	v_rndne_f32_e32 v7, v5
	v_fmamk_f32 v6, v1, 0x32a5705f, v6
	v_sub_f32_e32 v5, v5, v7
	v_add_f32_e32 v5, v5, v6
	v_cvt_i32_f32_e32 v7, v7
	v_exp_f32_e32 v5, v5
	s_mov_b32 s0, 0xc2ce8ed0
	v_cmp_ngt_f32_e64 s[0:1], s0, v1
	v_mov_b32_e32 v6, 0x7f800000
	v_ldexp_f32 v5, v5, v7
	v_cndmask_b32_e64 v5, 0, v5, s[0:1]
	v_cmp_nlt_f32_e64 s[0:1], s10, v1
	s_nop 1
	v_cndmask_b32_e64 v1, v6, v5, s[0:1]
.LBB86_4:
	s_or_b64 exec, exec, s[2:3]
	v_cmp_gt_i32_e64 s[0:1], s9, v4
	v_mov_b32_e32 v5, 1.0
	v_mov_b32_e32 v6, 1.0
	s_and_saveexec_b64 s[2:3], s[0:1]
	s_cbranch_execz .LBB86_6
; %bb.5:
	v_add_u32_e32 v6, s8, v4
	v_mov_b32_e32 v7, 0
	v_lshl_add_u64 v[6:7], v[6:7], 2, s[6:7]
	global_load_dword v6, v[6:7], off
	s_mov_b32 s0, 0x3fb8aa3b
	s_mov_b32 s10, 0x42b17218
	v_add_u32_e32 v4, 0x100, v4
	s_waitcnt vmcnt(0)
	v_mul_f32_e32 v7, 0x3fb8aa3b, v6
	v_fma_f32 v8, v6, s0, -v7
	v_rndne_f32_e32 v9, v7
	v_fmamk_f32 v8, v6, 0x32a5705f, v8
	v_sub_f32_e32 v7, v7, v9
	v_add_f32_e32 v7, v7, v8
	v_cvt_i32_f32_e32 v9, v9
	v_exp_f32_e32 v7, v7
	s_mov_b32 s0, 0xc2ce8ed0
	v_cmp_ngt_f32_e64 s[0:1], s0, v6
	v_mov_b32_e32 v8, 0x7f800000
	v_ldexp_f32 v7, v7, v9
	v_cndmask_b32_e64 v7, 0, v7, s[0:1]
	v_cmp_nlt_f32_e64 s[0:1], s10, v6
	s_nop 1
	v_cndmask_b32_e64 v6, v8, v7, s[0:1]
.LBB86_6:
	s_or_b64 exec, exec, s[2:3]
	v_cmp_gt_i32_e64 s[0:1], s9, v4
	s_and_saveexec_b64 s[2:3], s[0:1]
	s_cbranch_execz .LBB86_8
; %bb.7:
	v_add_u32_e32 v4, s8, v4
	v_mov_b32_e32 v5, 0
	v_lshl_add_u64 v[4:5], v[4:5], 2, s[6:7]
	global_load_dword v4, v[4:5], off
	s_mov_b32 s0, 0x3fb8aa3b
	s_mov_b32 s6, 0x42b17218
	s_waitcnt vmcnt(0)
	v_mul_f32_e32 v5, 0x3fb8aa3b, v4
	v_fma_f32 v7, v4, s0, -v5
	v_rndne_f32_e32 v8, v5
	v_fmamk_f32 v7, v4, 0x32a5705f, v7
	v_sub_f32_e32 v5, v5, v8
	v_add_f32_e32 v5, v5, v7
	v_cvt_i32_f32_e32 v8, v8
	v_exp_f32_e32 v5, v5
	s_mov_b32 s0, 0xc2ce8ed0
	v_cmp_ngt_f32_e64 s[0:1], s0, v4
	v_mov_b32_e32 v7, 0x7f800000
	v_ldexp_f32 v5, v5, v8
	v_cndmask_b32_e64 v5, 0, v5, s[0:1]
	v_cmp_nlt_f32_e64 s[0:1], s6, v4
	s_nop 1
	v_cndmask_b32_e64 v5, v7, v5, s[0:1]
.LBB86_8:
	s_or_b64 exec, exec, s[2:3]
	v_or_b32_e32 v8, 0x100, v0
	v_cmp_gt_i32_e64 s[0:1], s9, v8
	v_cndmask_b32_e32 v9, 0, v3, vcc
	s_nop 0
	v_cndmask_b32_e64 v7, 0, v1, s[0:1]
	v_or_b32_e32 v1, 0x200, v0
	v_cmp_gt_i32_e64 s[0:1], s9, v1
	v_or_b32_e32 v1, 0x300, v0
	s_nop 0
	v_cndmask_b32_e64 v4, 0, v6, s[0:1]
	v_cmp_gt_i32_e64 s[0:1], s9, v1
	s_nop 1
	v_cndmask_b32_e64 v1, 0, v5, s[0:1]
	s_and_saveexec_b64 s[0:1], vcc
	s_cbranch_execnz .LBB86_13
; %bb.9:
	s_or_b64 exec, exec, s[0:1]
	v_cmp_gt_i32_e32 vcc, s9, v0
	s_and_saveexec_b64 s[0:1], vcc
	s_cbranch_execnz .LBB86_14
.LBB86_10:
	s_or_b64 exec, exec, s[0:1]
	v_cmp_gt_i32_e32 vcc, s9, v0
	s_and_saveexec_b64 s[0:1], vcc
	s_cbranch_execnz .LBB86_15
.LBB86_11:
	s_or_b64 exec, exec, s[0:1]
	v_cmp_gt_i32_e32 vcc, s9, v0
	s_and_saveexec_b64 s[0:1], vcc
	s_cbranch_execnz .LBB86_16
.LBB86_12:
	s_endpgm
.LBB86_13:
	v_mov_b32_e32 v3, 0
	v_lshl_add_u64 v[2:3], v[2:3], 2, s[4:5]
	v_mov_b32_e32 v0, v8
	global_store_dword v[2:3], v9, off
	s_or_b64 exec, exec, s[0:1]
	v_cmp_gt_i32_e32 vcc, s9, v0
	s_and_saveexec_b64 s[0:1], vcc
	s_cbranch_execz .LBB86_10
.LBB86_14:
	v_add_u32_e32 v5, 0x100, v0
	v_add_u32_e32 v2, s8, v0
	v_mov_b32_e32 v3, 0
	v_lshl_add_u64 v[2:3], v[2:3], 2, s[4:5]
	v_mov_b32_e32 v0, v5
	global_store_dword v[2:3], v7, off
	s_or_b64 exec, exec, s[0:1]
	v_cmp_gt_i32_e32 vcc, s9, v0
	s_and_saveexec_b64 s[0:1], vcc
	s_cbranch_execz .LBB86_11
.LBB86_15:
	v_add_u32_e32 v5, 0x100, v0
	v_add_u32_e32 v2, s8, v0
	v_mov_b32_e32 v3, 0
	v_lshl_add_u64 v[2:3], v[2:3], 2, s[4:5]
	v_mov_b32_e32 v0, v5
	global_store_dword v[2:3], v4, off
	s_or_b64 exec, exec, s[0:1]
	v_cmp_gt_i32_e32 vcc, s9, v0
	s_and_saveexec_b64 s[0:1], vcc
	s_cbranch_execz .LBB86_12
.LBB86_16:
	v_add_u32_e32 v2, s8, v0
	v_mov_b32_e32 v3, 0
	v_lshl_add_u64 v[2:3], v[2:3], 2, s[4:5]
	global_store_dword v[2:3], v1, off
	s_endpgm
	.section	.rodata,"a",@progbits
	.p2align	6, 0x0
	.amdhsa_kernel _ZN2at6native27unrolled_elementwise_kernelIZZZNS0_15exp_kernel_cudaERNS_18TensorIteratorBaseEENKUlvE0_clEvENKUlvE0_clEvEUlfE_St5arrayIPcLm2EELi4E23TrivialOffsetCalculatorILi1EjESB_NS0_6memory15LoadWithoutCastENSC_16StoreWithoutCastEEEviT_T0_T2_T3_T4_T5_
		.amdhsa_group_segment_fixed_size 0
		.amdhsa_private_segment_fixed_size 0
		.amdhsa_kernarg_size 28
		.amdhsa_user_sgpr_count 2
		.amdhsa_user_sgpr_dispatch_ptr 0
		.amdhsa_user_sgpr_queue_ptr 0
		.amdhsa_user_sgpr_kernarg_segment_ptr 1
		.amdhsa_user_sgpr_dispatch_id 0
		.amdhsa_user_sgpr_kernarg_preload_length 0
		.amdhsa_user_sgpr_kernarg_preload_offset 0
		.amdhsa_user_sgpr_private_segment_size 0
		.amdhsa_uses_dynamic_stack 0
		.amdhsa_enable_private_segment 0
		.amdhsa_system_sgpr_workgroup_id_x 1
		.amdhsa_system_sgpr_workgroup_id_y 0
		.amdhsa_system_sgpr_workgroup_id_z 0
		.amdhsa_system_sgpr_workgroup_info 0
		.amdhsa_system_vgpr_workitem_id 0
		.amdhsa_next_free_vgpr 10
		.amdhsa_next_free_sgpr 11
		.amdhsa_accum_offset 12
		.amdhsa_reserve_vcc 1
		.amdhsa_float_round_mode_32 0
		.amdhsa_float_round_mode_16_64 0
		.amdhsa_float_denorm_mode_32 3
		.amdhsa_float_denorm_mode_16_64 3
		.amdhsa_dx10_clamp 1
		.amdhsa_ieee_mode 1
		.amdhsa_fp16_overflow 0
		.amdhsa_tg_split 0
		.amdhsa_exception_fp_ieee_invalid_op 0
		.amdhsa_exception_fp_denorm_src 0
		.amdhsa_exception_fp_ieee_div_zero 0
		.amdhsa_exception_fp_ieee_overflow 0
		.amdhsa_exception_fp_ieee_underflow 0
		.amdhsa_exception_fp_ieee_inexact 0
		.amdhsa_exception_int_div_zero 0
	.end_amdhsa_kernel
	.section	.text._ZN2at6native27unrolled_elementwise_kernelIZZZNS0_15exp_kernel_cudaERNS_18TensorIteratorBaseEENKUlvE0_clEvENKUlvE0_clEvEUlfE_St5arrayIPcLm2EELi4E23TrivialOffsetCalculatorILi1EjESB_NS0_6memory15LoadWithoutCastENSC_16StoreWithoutCastEEEviT_T0_T2_T3_T4_T5_,"axG",@progbits,_ZN2at6native27unrolled_elementwise_kernelIZZZNS0_15exp_kernel_cudaERNS_18TensorIteratorBaseEENKUlvE0_clEvENKUlvE0_clEvEUlfE_St5arrayIPcLm2EELi4E23TrivialOffsetCalculatorILi1EjESB_NS0_6memory15LoadWithoutCastENSC_16StoreWithoutCastEEEviT_T0_T2_T3_T4_T5_,comdat
.Lfunc_end86:
	.size	_ZN2at6native27unrolled_elementwise_kernelIZZZNS0_15exp_kernel_cudaERNS_18TensorIteratorBaseEENKUlvE0_clEvENKUlvE0_clEvEUlfE_St5arrayIPcLm2EELi4E23TrivialOffsetCalculatorILi1EjESB_NS0_6memory15LoadWithoutCastENSC_16StoreWithoutCastEEEviT_T0_T2_T3_T4_T5_, .Lfunc_end86-_ZN2at6native27unrolled_elementwise_kernelIZZZNS0_15exp_kernel_cudaERNS_18TensorIteratorBaseEENKUlvE0_clEvENKUlvE0_clEvEUlfE_St5arrayIPcLm2EELi4E23TrivialOffsetCalculatorILi1EjESB_NS0_6memory15LoadWithoutCastENSC_16StoreWithoutCastEEEviT_T0_T2_T3_T4_T5_
                                        ; -- End function
	.set _ZN2at6native27unrolled_elementwise_kernelIZZZNS0_15exp_kernel_cudaERNS_18TensorIteratorBaseEENKUlvE0_clEvENKUlvE0_clEvEUlfE_St5arrayIPcLm2EELi4E23TrivialOffsetCalculatorILi1EjESB_NS0_6memory15LoadWithoutCastENSC_16StoreWithoutCastEEEviT_T0_T2_T3_T4_T5_.num_vgpr, 10
	.set _ZN2at6native27unrolled_elementwise_kernelIZZZNS0_15exp_kernel_cudaERNS_18TensorIteratorBaseEENKUlvE0_clEvENKUlvE0_clEvEUlfE_St5arrayIPcLm2EELi4E23TrivialOffsetCalculatorILi1EjESB_NS0_6memory15LoadWithoutCastENSC_16StoreWithoutCastEEEviT_T0_T2_T3_T4_T5_.num_agpr, 0
	.set _ZN2at6native27unrolled_elementwise_kernelIZZZNS0_15exp_kernel_cudaERNS_18TensorIteratorBaseEENKUlvE0_clEvENKUlvE0_clEvEUlfE_St5arrayIPcLm2EELi4E23TrivialOffsetCalculatorILi1EjESB_NS0_6memory15LoadWithoutCastENSC_16StoreWithoutCastEEEviT_T0_T2_T3_T4_T5_.numbered_sgpr, 11
	.set _ZN2at6native27unrolled_elementwise_kernelIZZZNS0_15exp_kernel_cudaERNS_18TensorIteratorBaseEENKUlvE0_clEvENKUlvE0_clEvEUlfE_St5arrayIPcLm2EELi4E23TrivialOffsetCalculatorILi1EjESB_NS0_6memory15LoadWithoutCastENSC_16StoreWithoutCastEEEviT_T0_T2_T3_T4_T5_.num_named_barrier, 0
	.set _ZN2at6native27unrolled_elementwise_kernelIZZZNS0_15exp_kernel_cudaERNS_18TensorIteratorBaseEENKUlvE0_clEvENKUlvE0_clEvEUlfE_St5arrayIPcLm2EELi4E23TrivialOffsetCalculatorILi1EjESB_NS0_6memory15LoadWithoutCastENSC_16StoreWithoutCastEEEviT_T0_T2_T3_T4_T5_.private_seg_size, 0
	.set _ZN2at6native27unrolled_elementwise_kernelIZZZNS0_15exp_kernel_cudaERNS_18TensorIteratorBaseEENKUlvE0_clEvENKUlvE0_clEvEUlfE_St5arrayIPcLm2EELi4E23TrivialOffsetCalculatorILi1EjESB_NS0_6memory15LoadWithoutCastENSC_16StoreWithoutCastEEEviT_T0_T2_T3_T4_T5_.uses_vcc, 1
	.set _ZN2at6native27unrolled_elementwise_kernelIZZZNS0_15exp_kernel_cudaERNS_18TensorIteratorBaseEENKUlvE0_clEvENKUlvE0_clEvEUlfE_St5arrayIPcLm2EELi4E23TrivialOffsetCalculatorILi1EjESB_NS0_6memory15LoadWithoutCastENSC_16StoreWithoutCastEEEviT_T0_T2_T3_T4_T5_.uses_flat_scratch, 0
	.set _ZN2at6native27unrolled_elementwise_kernelIZZZNS0_15exp_kernel_cudaERNS_18TensorIteratorBaseEENKUlvE0_clEvENKUlvE0_clEvEUlfE_St5arrayIPcLm2EELi4E23TrivialOffsetCalculatorILi1EjESB_NS0_6memory15LoadWithoutCastENSC_16StoreWithoutCastEEEviT_T0_T2_T3_T4_T5_.has_dyn_sized_stack, 0
	.set _ZN2at6native27unrolled_elementwise_kernelIZZZNS0_15exp_kernel_cudaERNS_18TensorIteratorBaseEENKUlvE0_clEvENKUlvE0_clEvEUlfE_St5arrayIPcLm2EELi4E23TrivialOffsetCalculatorILi1EjESB_NS0_6memory15LoadWithoutCastENSC_16StoreWithoutCastEEEviT_T0_T2_T3_T4_T5_.has_recursion, 0
	.set _ZN2at6native27unrolled_elementwise_kernelIZZZNS0_15exp_kernel_cudaERNS_18TensorIteratorBaseEENKUlvE0_clEvENKUlvE0_clEvEUlfE_St5arrayIPcLm2EELi4E23TrivialOffsetCalculatorILi1EjESB_NS0_6memory15LoadWithoutCastENSC_16StoreWithoutCastEEEviT_T0_T2_T3_T4_T5_.has_indirect_call, 0
	.section	.AMDGPU.csdata,"",@progbits
; Kernel info:
; codeLenInByte = 1060
; TotalNumSgprs: 17
; NumVgprs: 10
; NumAgprs: 0
; TotalNumVgprs: 10
; ScratchSize: 0
; MemoryBound: 0
; FloatMode: 240
; IeeeMode: 1
; LDSByteSize: 0 bytes/workgroup (compile time only)
; SGPRBlocks: 2
; VGPRBlocks: 1
; NumSGPRsForWavesPerEU: 17
; NumVGPRsForWavesPerEU: 10
; AccumOffset: 12
; Occupancy: 8
; WaveLimiterHint : 0
; COMPUTE_PGM_RSRC2:SCRATCH_EN: 0
; COMPUTE_PGM_RSRC2:USER_SGPR: 2
; COMPUTE_PGM_RSRC2:TRAP_HANDLER: 0
; COMPUTE_PGM_RSRC2:TGID_X_EN: 1
; COMPUTE_PGM_RSRC2:TGID_Y_EN: 0
; COMPUTE_PGM_RSRC2:TGID_Z_EN: 0
; COMPUTE_PGM_RSRC2:TIDIG_COMP_CNT: 0
; COMPUTE_PGM_RSRC3_GFX90A:ACCUM_OFFSET: 2
; COMPUTE_PGM_RSRC3_GFX90A:TG_SPLIT: 0
	.section	.text._ZN2at6native32elementwise_kernel_manual_unrollILi128ELi4EZNS0_22gpu_kernel_impl_nocastIZZZNS0_15exp_kernel_cudaERNS_18TensorIteratorBaseEENKUlvE0_clEvENKUlvE0_clEvEUlfE_EEvS4_RKT_EUlibE_EEviT1_,"axG",@progbits,_ZN2at6native32elementwise_kernel_manual_unrollILi128ELi4EZNS0_22gpu_kernel_impl_nocastIZZZNS0_15exp_kernel_cudaERNS_18TensorIteratorBaseEENKUlvE0_clEvENKUlvE0_clEvEUlfE_EEvS4_RKT_EUlibE_EEviT1_,comdat
	.globl	_ZN2at6native32elementwise_kernel_manual_unrollILi128ELi4EZNS0_22gpu_kernel_impl_nocastIZZZNS0_15exp_kernel_cudaERNS_18TensorIteratorBaseEENKUlvE0_clEvENKUlvE0_clEvEUlfE_EEvS4_RKT_EUlibE_EEviT1_ ; -- Begin function _ZN2at6native32elementwise_kernel_manual_unrollILi128ELi4EZNS0_22gpu_kernel_impl_nocastIZZZNS0_15exp_kernel_cudaERNS_18TensorIteratorBaseEENKUlvE0_clEvENKUlvE0_clEvEUlfE_EEvS4_RKT_EUlibE_EEviT1_
	.p2align	8
	.type	_ZN2at6native32elementwise_kernel_manual_unrollILi128ELi4EZNS0_22gpu_kernel_impl_nocastIZZZNS0_15exp_kernel_cudaERNS_18TensorIteratorBaseEENKUlvE0_clEvENKUlvE0_clEvEUlfE_EEvS4_RKT_EUlibE_EEviT1_,@function
_ZN2at6native32elementwise_kernel_manual_unrollILi128ELi4EZNS0_22gpu_kernel_impl_nocastIZZZNS0_15exp_kernel_cudaERNS_18TensorIteratorBaseEENKUlvE0_clEvENKUlvE0_clEvEUlfE_EEvS4_RKT_EUlibE_EEviT1_: ; @_ZN2at6native32elementwise_kernel_manual_unrollILi128ELi4EZNS0_22gpu_kernel_impl_nocastIZZZNS0_15exp_kernel_cudaERNS_18TensorIteratorBaseEENKUlvE0_clEvENKUlvE0_clEvEUlfE_EEvS4_RKT_EUlibE_EEviT1_
; %bb.0:
	s_load_dword s55, s[0:1], 0x0
	s_load_dword s33, s[0:1], 0x8
	s_add_u32 s34, s0, 8
	s_addc_u32 s35, s1, 0
	v_lshl_or_b32 v8, s2, 9, v0
	v_or_b32_e32 v16, 0x180, v8
	s_waitcnt lgkmcnt(0)
	s_add_i32 s54, s33, -1
	s_cmp_gt_u32 s54, 1
	v_cmp_le_i32_e32 vcc, s55, v16
	s_cselect_b64 s[36:37], -1, 0
	s_and_saveexec_b64 s[0:1], vcc
	s_xor_b64 s[38:39], exec, s[0:1]
	s_cbranch_execz .LBB87_8
; %bb.1:
	s_load_dwordx4 s[24:27], s[34:35], 0x4
	s_load_dwordx2 s[40:41], s[34:35], 0x14
	s_load_dwordx4 s[20:23], s[34:35], 0xc4
	s_load_dwordx4 s[16:19], s[34:35], 0x148
	s_cmp_lg_u32 s33, 0
	s_cselect_b64 s[46:47], -1, 0
	s_add_u32 s44, s34, 0xc4
	s_addc_u32 s45, s35, 0
	s_min_u32 s56, s54, 15
	s_cmp_gt_u32 s33, 1
	s_cselect_b64 s[42:43], -1, 0
	v_cmp_gt_i32_e32 vcc, s55, v8
	s_and_saveexec_b64 s[48:49], vcc
	s_cbranch_execz .LBB87_15
; %bb.2:
	s_andn2_b64 vcc, exec, s[36:37]
	s_cbranch_vccnz .LBB87_23
; %bb.3:
	s_andn2_b64 vcc, exec, s[46:47]
	s_cbranch_vccnz .LBB87_75
; %bb.4:
	s_add_i32 s58, s56, 1
	s_cmp_eq_u32 s54, 2
	s_cbranch_scc1 .LBB87_77
; %bb.5:
	s_and_b32 s57, s58, 28
	s_mov_b32 s59, 0
	v_mov_b32_e32 v0, 0
	v_mov_b32_e32 v2, 0
	s_mov_b64 s[50:51], s[34:35]
	s_mov_b64 s[52:53], s[44:45]
	v_mov_b32_e32 v4, v8
.LBB87_6:                               ; =>This Inner Loop Header: Depth=1
	s_load_dwordx8 s[8:15], s[50:51], 0x4
	s_load_dwordx4 s[28:31], s[50:51], 0x24
	s_load_dwordx8 s[0:7], s[52:53], 0x0
	s_add_u32 s50, s50, 48
	s_addc_u32 s51, s51, 0
	s_waitcnt lgkmcnt(0)
	v_mul_hi_u32 v1, s9, v4
	v_add_u32_e32 v1, v4, v1
	v_lshrrev_b32_e32 v1, s10, v1
	v_mul_lo_u32 v3, v1, s8
	v_mul_hi_u32 v5, s12, v1
	v_sub_u32_e32 v3, v4, v3
	v_add_u32_e32 v4, v1, v5
	v_lshrrev_b32_e32 v4, s13, v4
	v_mul_lo_u32 v6, v4, s11
	v_mul_hi_u32 v7, s15, v4
	v_sub_u32_e32 v1, v1, v6
	v_add_u32_e32 v6, v4, v7
	v_mul_lo_u32 v5, v3, s1
	v_mul_lo_u32 v3, v3, s0
	v_mul_lo_u32 v7, v1, s3
	v_mul_lo_u32 v1, v1, s2
	v_lshrrev_b32_e32 v6, s28, v6
	v_add3_u32 v0, v3, v0, v1
	v_mul_hi_u32 v3, s30, v6
	v_add3_u32 v1, v5, v2, v7
	v_mul_lo_u32 v2, v6, s14
	v_add_u32_e32 v3, v6, v3
	v_sub_u32_e32 v2, v4, v2
	v_lshrrev_b32_e32 v4, s31, v3
	s_add_i32 s59, s59, 4
	v_mul_lo_u32 v3, v4, s29
	s_add_u32 s52, s52, 32
	v_sub_u32_e32 v3, v6, v3
	s_addc_u32 s53, s53, 0
	v_mul_lo_u32 v5, v2, s4
	v_mul_lo_u32 v2, v2, s5
	;; [unrolled: 1-line block ×4, first 2 shown]
	s_cmp_lg_u32 s57, s59
	v_add3_u32 v2, v2, v1, v3
	v_add3_u32 v0, v5, v0, v6
	s_cbranch_scc1 .LBB87_6
; %bb.7:
	v_mov_b32_e32 v1, v2
	s_branch .LBB87_78
.LBB87_8:
	s_andn2_saveexec_b64 s[0:1], s[38:39]
	s_cbranch_execz .LBB87_104
.LBB87_9:
	v_cndmask_b32_e64 v0, 0, 1, s[36:37]
	v_cmp_ne_u32_e64 s[0:1], 1, v0
	s_andn2_b64 vcc, exec, s[36:37]
	s_cbranch_vccnz .LBB87_22
; %bb.10:
	s_cmp_lg_u32 s33, 0
	s_waitcnt lgkmcnt(0)
	s_mov_b32 s26, 0
	s_cbranch_scc0 .LBB87_25
; %bb.11:
	s_min_u32 s27, s54, 15
	s_add_i32 s27, s27, 1
	s_cmp_eq_u32 s54, 2
	s_cbranch_scc1 .LBB87_26
; %bb.12:
	s_and_b32 s26, s27, 28
	s_add_u32 s2, s34, 0xc4
	s_addc_u32 s3, s35, 0
	s_mov_b32 s28, 0
	v_mov_b32_e32 v0, 0
	v_mov_b32_e32 v2, 0
	s_mov_b64 s[24:25], s[34:35]
	v_mov_b32_e32 v4, v8
.LBB87_13:                              ; =>This Inner Loop Header: Depth=1
	s_load_dwordx8 s[12:19], s[24:25], 0x4
	s_load_dwordx4 s[20:23], s[24:25], 0x24
	s_load_dwordx8 s[4:11], s[2:3], 0x0
	s_add_u32 s24, s24, 48
	s_addc_u32 s25, s25, 0
	s_waitcnt lgkmcnt(0)
	v_mul_hi_u32 v1, s13, v4
	v_add_u32_e32 v1, v4, v1
	v_lshrrev_b32_e32 v1, s14, v1
	v_mul_lo_u32 v3, v1, s12
	v_mul_hi_u32 v5, s16, v1
	v_sub_u32_e32 v3, v4, v3
	v_add_u32_e32 v4, v1, v5
	v_lshrrev_b32_e32 v4, s17, v4
	v_mul_lo_u32 v6, v4, s15
	v_mul_hi_u32 v7, s19, v4
	v_sub_u32_e32 v1, v1, v6
	v_add_u32_e32 v6, v4, v7
	v_mul_lo_u32 v5, v3, s5
	v_mul_lo_u32 v3, v3, s4
	;; [unrolled: 1-line block ×4, first 2 shown]
	v_lshrrev_b32_e32 v6, s20, v6
	v_add3_u32 v0, v3, v0, v1
	v_mul_hi_u32 v3, s22, v6
	v_add3_u32 v1, v5, v2, v7
	v_mul_lo_u32 v2, v6, s18
	v_add_u32_e32 v3, v6, v3
	v_sub_u32_e32 v2, v4, v2
	v_lshrrev_b32_e32 v4, s23, v3
	s_add_i32 s28, s28, 4
	v_mul_lo_u32 v3, v4, s21
	s_add_u32 s2, s2, 32
	v_sub_u32_e32 v3, v6, v3
	s_addc_u32 s3, s3, 0
	v_mul_lo_u32 v5, v2, s8
	v_mul_lo_u32 v2, v2, s9
	;; [unrolled: 1-line block ×4, first 2 shown]
	s_cmp_lg_u32 s26, s28
	v_add3_u32 v2, v2, v1, v3
	v_add3_u32 v0, v5, v0, v6
	s_cbranch_scc1 .LBB87_13
; %bb.14:
	v_mov_b32_e32 v1, v2
	s_and_b32 s6, s27, 3
	s_cmp_eq_u32 s6, 0
	s_cbranch_scc0 .LBB87_27
	s_branch .LBB87_29
.LBB87_15:
	s_or_b64 exec, exec, s[48:49]
	v_cmp_gt_i32_e32 vcc, s55, v8
	s_and_saveexec_b64 s[48:49], vcc
	s_cbranch_execz .LBB87_85
.LBB87_16:
	s_andn2_b64 vcc, exec, s[36:37]
	s_cbranch_vccnz .LBB87_24
; %bb.17:
	s_andn2_b64 vcc, exec, s[46:47]
	s_cbranch_vccnz .LBB87_76
; %bb.18:
	s_add_i32 s58, s56, 1
	s_cmp_eq_u32 s54, 2
	s_cbranch_scc1 .LBB87_94
; %bb.19:
	s_and_b32 s57, s58, 28
	s_mov_b32 s59, 0
	v_mov_b32_e32 v0, 0
	v_mov_b32_e32 v2, 0
	s_mov_b64 s[50:51], s[34:35]
	s_mov_b64 s[52:53], s[44:45]
	v_mov_b32_e32 v4, v8
.LBB87_20:                              ; =>This Inner Loop Header: Depth=1
	s_load_dwordx8 s[8:15], s[50:51], 0x4
	s_load_dwordx4 s[28:31], s[50:51], 0x24
	s_load_dwordx8 s[0:7], s[52:53], 0x0
	s_add_u32 s50, s50, 48
	s_addc_u32 s51, s51, 0
	s_waitcnt lgkmcnt(0)
	v_mul_hi_u32 v1, s9, v4
	v_add_u32_e32 v1, v4, v1
	v_lshrrev_b32_e32 v1, s10, v1
	v_mul_lo_u32 v3, v1, s8
	v_mul_hi_u32 v5, s12, v1
	v_sub_u32_e32 v3, v4, v3
	v_add_u32_e32 v4, v1, v5
	v_lshrrev_b32_e32 v4, s13, v4
	v_mul_lo_u32 v6, v4, s11
	v_mul_hi_u32 v7, s15, v4
	v_sub_u32_e32 v1, v1, v6
	v_add_u32_e32 v6, v4, v7
	v_mul_lo_u32 v5, v3, s1
	v_mul_lo_u32 v3, v3, s0
	v_mul_lo_u32 v7, v1, s3
	v_mul_lo_u32 v1, v1, s2
	v_lshrrev_b32_e32 v6, s28, v6
	v_add3_u32 v0, v3, v0, v1
	v_mul_hi_u32 v3, s30, v6
	v_add3_u32 v1, v5, v2, v7
	v_mul_lo_u32 v2, v6, s14
	v_add_u32_e32 v3, v6, v3
	v_sub_u32_e32 v2, v4, v2
	v_lshrrev_b32_e32 v4, s31, v3
	s_add_i32 s59, s59, 4
	v_mul_lo_u32 v3, v4, s29
	s_add_u32 s52, s52, 32
	v_sub_u32_e32 v3, v6, v3
	s_addc_u32 s53, s53, 0
	v_mul_lo_u32 v5, v2, s4
	v_mul_lo_u32 v2, v2, s5
	v_mul_lo_u32 v6, v3, s6
	v_mul_lo_u32 v3, v3, s7
	s_cmp_eq_u32 s57, s59
	v_add3_u32 v2, v2, v1, v3
	v_add3_u32 v0, v5, v0, v6
	s_cbranch_scc0 .LBB87_20
; %bb.21:
	v_mov_b32_e32 v1, v2
	s_branch .LBB87_95
.LBB87_22:
                                        ; implicit-def: $vgpr2
                                        ; implicit-def: $vgpr0
	s_branch .LBB87_30
.LBB87_23:
                                        ; implicit-def: $vgpr2
                                        ; implicit-def: $vgpr0
	s_branch .LBB87_82
.LBB87_24:
                                        ; implicit-def: $vgpr2
                                        ; implicit-def: $vgpr0
	s_branch .LBB87_99
.LBB87_25:
	v_mov_b32_e32 v2, 0
	v_mov_b32_e32 v0, 0
	s_branch .LBB87_29
.LBB87_26:
	v_mov_b32_e32 v0, 0
                                        ; implicit-def: $vgpr2
	v_mov_b32_e32 v1, v0
	v_mov_b32_e32 v4, v8
	s_and_b32 s6, s27, 3
	s_cmp_eq_u32 s6, 0
	s_cbranch_scc1 .LBB87_29
.LBB87_27:
	s_lshl_b32 s2, s26, 3
	s_add_u32 s2, s34, s2
	s_addc_u32 s3, s35, 0
	s_add_u32 s2, s2, 0xc4
	s_addc_u32 s3, s3, 0
	s_mul_i32 s4, s26, 12
	s_add_u32 s4, s34, s4
	s_addc_u32 s5, s35, 0
.LBB87_28:                              ; =>This Inner Loop Header: Depth=1
	s_load_dwordx2 s[8:9], s[4:5], 0x4
	s_load_dword s7, s[4:5], 0xc
	s_load_dwordx2 s[10:11], s[2:3], 0x0
	v_mov_b32_e32 v2, v1
	s_add_u32 s4, s4, 12
	s_waitcnt lgkmcnt(0)
	v_mul_hi_u32 v1, s9, v4
	v_add_u32_e32 v1, v4, v1
	v_lshrrev_b32_e32 v1, s7, v1
	s_addc_u32 s5, s5, 0
	v_mul_lo_u32 v3, v1, s8
	s_add_u32 s2, s2, 8
	v_sub_u32_e32 v5, v4, v3
	s_addc_u32 s3, s3, 0
	s_add_i32 s6, s6, -1
	v_mov_b32_e32 v4, v1
	v_mad_u64_u32 v[2:3], s[8:9], v5, s11, v[2:3]
	v_mad_u64_u32 v[0:1], s[8:9], v5, s10, v[0:1]
	s_cmp_lg_u32 s6, 0
	v_mov_b32_e32 v1, v2
	s_cbranch_scc1 .LBB87_28
.LBB87_29:
	s_cbranch_execnz .LBB87_32
.LBB87_30:
	s_load_dwordx4 s[4:7], s[34:35], 0x4
	s_load_dwordx2 s[2:3], s[34:35], 0xc4
	s_cmp_lt_u32 s33, 2
	s_waitcnt lgkmcnt(0)
	v_mul_hi_u32 v0, s5, v8
	v_add_u32_e32 v0, v8, v0
	v_lshrrev_b32_e32 v1, s6, v0
	v_mul_lo_u32 v0, v1, s4
	v_sub_u32_e32 v0, v8, v0
	v_mul_lo_u32 v2, v0, s3
	v_mul_lo_u32 v0, v0, s2
	s_cbranch_scc1 .LBB87_32
; %bb.31:
	s_load_dwordx4 s[4:7], s[34:35], 0x10
	s_load_dwordx2 s[2:3], s[34:35], 0xcc
	s_waitcnt lgkmcnt(0)
	v_mul_hi_u32 v3, s5, v1
	v_add_u32_e32 v3, v1, v3
	v_lshrrev_b32_e32 v3, s6, v3
	v_mul_lo_u32 v3, v3, s4
	v_sub_u32_e32 v3, v1, v3
	v_mad_u64_u32 v[0:1], s[4:5], v3, s2, v[0:1]
	v_mad_u64_u32 v[2:3], s[2:3], v3, s3, v[2:3]
.LBB87_32:
	s_and_b64 vcc, exec, s[0:1]
	v_add_u32_e32 v3, 0x80, v8
	s_cbranch_vccnz .LBB87_38
; %bb.33:
	s_cmp_lg_u32 s33, 0
	s_waitcnt lgkmcnt(0)
	s_mov_b32 s26, 0
	s_cbranch_scc0 .LBB87_39
; %bb.34:
	s_min_u32 s27, s54, 15
	s_add_i32 s27, s27, 1
	s_cmp_eq_u32 s54, 2
	s_cbranch_scc1 .LBB87_40
; %bb.35:
	s_and_b32 s26, s27, 28
	s_add_u32 s2, s34, 0xc4
	s_addc_u32 s3, s35, 0
	s_mov_b32 s28, 0
	v_mov_b32_e32 v4, 0
	v_mov_b32_e32 v6, 0
	s_mov_b64 s[24:25], s[34:35]
	v_mov_b32_e32 v9, v3
.LBB87_36:                              ; =>This Inner Loop Header: Depth=1
	s_load_dwordx8 s[12:19], s[24:25], 0x4
	s_load_dwordx4 s[20:23], s[24:25], 0x24
	s_load_dwordx8 s[4:11], s[2:3], 0x0
	s_add_u32 s24, s24, 48
	s_addc_u32 s25, s25, 0
	s_waitcnt lgkmcnt(0)
	v_mul_hi_u32 v1, s13, v9
	v_add_u32_e32 v1, v9, v1
	v_lshrrev_b32_e32 v1, s14, v1
	v_mul_hi_u32 v7, s16, v1
	v_add_u32_e32 v7, v1, v7
	v_lshrrev_b32_e32 v7, s17, v7
	v_mul_lo_u32 v5, v1, s12
	v_mul_lo_u32 v10, v7, s15
	v_mul_hi_u32 v11, s19, v7
	v_sub_u32_e32 v5, v9, v5
	v_sub_u32_e32 v1, v1, v10
	v_add_u32_e32 v10, v7, v11
	v_mul_lo_u32 v9, v5, s5
	v_mul_lo_u32 v5, v5, s4
	;; [unrolled: 1-line block ×4, first 2 shown]
	v_lshrrev_b32_e32 v10, s20, v10
	v_add3_u32 v1, v5, v4, v1
	v_add3_u32 v4, v9, v6, v11
	v_mul_hi_u32 v6, s22, v10
	v_add_u32_e32 v6, v10, v6
	v_lshrrev_b32_e32 v9, s23, v6
	s_add_i32 s28, s28, 4
	v_mul_lo_u32 v5, v10, s18
	v_mul_lo_u32 v6, v9, s21
	s_add_u32 s2, s2, 32
	v_sub_u32_e32 v5, v7, v5
	v_sub_u32_e32 v6, v10, v6
	s_addc_u32 s3, s3, 0
	v_mul_lo_u32 v7, v5, s8
	v_mul_lo_u32 v5, v5, s9
	;; [unrolled: 1-line block ×4, first 2 shown]
	s_cmp_lg_u32 s26, s28
	v_add3_u32 v6, v5, v4, v6
	v_add3_u32 v4, v7, v1, v10
	s_cbranch_scc1 .LBB87_36
; %bb.37:
	v_mov_b32_e32 v1, v6
	s_and_b32 s6, s27, 3
	s_cmp_eq_u32 s6, 0
	s_cbranch_scc0 .LBB87_41
	s_branch .LBB87_43
.LBB87_38:
                                        ; implicit-def: $vgpr6
                                        ; implicit-def: $vgpr4
	s_branch .LBB87_44
.LBB87_39:
	v_mov_b32_e32 v6, 0
	v_mov_b32_e32 v4, 0
	s_branch .LBB87_43
.LBB87_40:
	v_mov_b32_e32 v4, 0
                                        ; implicit-def: $vgpr6
	v_mov_b32_e32 v1, v4
	v_mov_b32_e32 v9, v3
	s_and_b32 s6, s27, 3
	s_cmp_eq_u32 s6, 0
	s_cbranch_scc1 .LBB87_43
.LBB87_41:
	s_lshl_b32 s2, s26, 3
	s_add_u32 s2, s34, s2
	s_addc_u32 s3, s35, 0
	s_add_u32 s2, s2, 0xc4
	s_addc_u32 s3, s3, 0
	s_mul_i32 s4, s26, 12
	s_add_u32 s4, s34, s4
	s_addc_u32 s5, s35, 0
.LBB87_42:                              ; =>This Inner Loop Header: Depth=1
	s_load_dwordx2 s[8:9], s[4:5], 0x4
	s_load_dword s7, s[4:5], 0xc
	s_load_dwordx2 s[10:11], s[2:3], 0x0
	v_mov_b32_e32 v6, v1
	s_add_u32 s4, s4, 12
	s_waitcnt lgkmcnt(0)
	v_mul_hi_u32 v1, s9, v9
	v_add_u32_e32 v1, v9, v1
	v_lshrrev_b32_e32 v1, s7, v1
	s_addc_u32 s5, s5, 0
	v_mul_lo_u32 v5, v1, s8
	s_add_u32 s2, s2, 8
	v_sub_u32_e32 v5, v9, v5
	s_addc_u32 s3, s3, 0
	s_add_i32 s6, s6, -1
	v_mad_u64_u32 v[6:7], s[8:9], v5, s11, v[6:7]
	s_cmp_lg_u32 s6, 0
	v_mov_b32_e32 v9, v1
	v_mad_u64_u32 v[4:5], s[8:9], v5, s10, v[4:5]
	v_mov_b32_e32 v1, v6
	s_cbranch_scc1 .LBB87_42
.LBB87_43:
	s_cbranch_execnz .LBB87_46
.LBB87_44:
	s_load_dwordx4 s[4:7], s[34:35], 0x4
	s_load_dwordx2 s[2:3], s[34:35], 0xc4
	s_cmp_lt_u32 s33, 2
	s_waitcnt lgkmcnt(0)
	v_mul_hi_u32 v1, s5, v3
	v_add_u32_e32 v1, v3, v1
	v_lshrrev_b32_e32 v1, s6, v1
	v_mul_lo_u32 v4, v1, s4
	v_sub_u32_e32 v3, v3, v4
	v_mul_lo_u32 v6, v3, s3
	v_mul_lo_u32 v4, v3, s2
	s_cbranch_scc1 .LBB87_46
; %bb.45:
	s_load_dwordx4 s[4:7], s[34:35], 0x10
	s_load_dwordx2 s[2:3], s[34:35], 0xcc
	s_waitcnt lgkmcnt(0)
	v_mul_hi_u32 v3, s5, v1
	v_add_u32_e32 v3, v1, v3
	v_lshrrev_b32_e32 v3, s6, v3
	v_mul_lo_u32 v3, v3, s4
	v_sub_u32_e32 v1, v1, v3
	v_mad_u64_u32 v[4:5], s[4:5], v1, s2, v[4:5]
	v_mad_u64_u32 v[6:7], s[2:3], v1, s3, v[6:7]
.LBB87_46:
	s_and_b64 vcc, exec, s[0:1]
	v_add_u32_e32 v3, 0x100, v8
	s_cbranch_vccnz .LBB87_52
; %bb.47:
	s_cmp_lg_u32 s33, 0
	s_waitcnt lgkmcnt(0)
	s_mov_b32 s26, 0
	s_cbranch_scc0 .LBB87_53
; %bb.48:
	s_min_u32 s27, s54, 15
	s_add_i32 s27, s27, 1
	s_cmp_eq_u32 s54, 2
	s_cbranch_scc1 .LBB87_54
; %bb.49:
	s_and_b32 s26, s27, 28
	s_add_u32 s2, s34, 0xc4
	s_addc_u32 s3, s35, 0
	s_mov_b32 s28, 0
	v_mov_b32_e32 v8, 0
	v_mov_b32_e32 v10, 0
	s_mov_b64 s[24:25], s[34:35]
	v_mov_b32_e32 v5, v3
.LBB87_50:                              ; =>This Inner Loop Header: Depth=1
	s_load_dwordx8 s[12:19], s[24:25], 0x4
	s_load_dwordx4 s[20:23], s[24:25], 0x24
	s_load_dwordx8 s[4:11], s[2:3], 0x0
	s_add_u32 s24, s24, 48
	s_addc_u32 s25, s25, 0
	s_waitcnt lgkmcnt(0)
	v_mul_hi_u32 v1, s13, v5
	v_add_u32_e32 v1, v5, v1
	v_lshrrev_b32_e32 v1, s14, v1
	v_mul_lo_u32 v7, v1, s12
	v_mul_hi_u32 v9, s16, v1
	v_sub_u32_e32 v5, v5, v7
	v_add_u32_e32 v7, v1, v9
	v_lshrrev_b32_e32 v7, s17, v7
	v_mul_lo_u32 v11, v7, s15
	v_mul_hi_u32 v12, s19, v7
	v_sub_u32_e32 v1, v1, v11
	v_add_u32_e32 v11, v7, v12
	v_mul_lo_u32 v9, v5, s5
	v_mul_lo_u32 v5, v5, s4
	;; [unrolled: 1-line block ×4, first 2 shown]
	v_lshrrev_b32_e32 v11, s20, v11
	v_add3_u32 v1, v5, v8, v1
	v_add3_u32 v8, v9, v10, v12
	v_mul_lo_u32 v5, v11, s18
	v_mul_hi_u32 v9, s22, v11
	v_sub_u32_e32 v5, v7, v5
	v_add_u32_e32 v7, v11, v9
	v_mul_lo_u32 v9, v5, s8
	v_mul_lo_u32 v10, v5, s9
	v_lshrrev_b32_e32 v5, s23, v7
	s_add_i32 s28, s28, 4
	v_mul_lo_u32 v7, v5, s21
	s_add_u32 s2, s2, 32
	v_sub_u32_e32 v7, v11, v7
	s_addc_u32 s3, s3, 0
	v_mul_lo_u32 v11, v7, s10
	v_mul_lo_u32 v7, v7, s11
	s_cmp_lg_u32 s26, s28
	v_add3_u32 v10, v10, v8, v7
	v_add3_u32 v8, v9, v1, v11
	s_cbranch_scc1 .LBB87_50
; %bb.51:
	v_mov_b32_e32 v1, v10
	s_and_b32 s6, s27, 3
	s_cmp_eq_u32 s6, 0
	s_cbranch_scc0 .LBB87_55
	s_branch .LBB87_57
.LBB87_52:
                                        ; implicit-def: $vgpr10
                                        ; implicit-def: $vgpr8
	s_branch .LBB87_58
.LBB87_53:
	v_mov_b32_e32 v10, 0
	v_mov_b32_e32 v8, 0
	s_branch .LBB87_57
.LBB87_54:
	v_mov_b32_e32 v8, 0
                                        ; implicit-def: $vgpr10
	v_mov_b32_e32 v1, v8
	v_mov_b32_e32 v5, v3
	s_and_b32 s6, s27, 3
	s_cmp_eq_u32 s6, 0
	s_cbranch_scc1 .LBB87_57
.LBB87_55:
	s_lshl_b32 s2, s26, 3
	s_add_u32 s2, s34, s2
	s_addc_u32 s3, s35, 0
	s_add_u32 s2, s2, 0xc4
	s_addc_u32 s3, s3, 0
	s_mul_i32 s4, s26, 12
	s_add_u32 s4, s34, s4
	s_addc_u32 s5, s35, 0
.LBB87_56:                              ; =>This Inner Loop Header: Depth=1
	s_load_dwordx2 s[8:9], s[4:5], 0x4
	s_load_dword s7, s[4:5], 0xc
	s_load_dwordx2 s[10:11], s[2:3], 0x0
	v_mov_b32_e32 v10, v1
	s_add_u32 s4, s4, 12
	s_waitcnt lgkmcnt(0)
	v_mul_hi_u32 v1, s9, v5
	v_add_u32_e32 v1, v5, v1
	v_lshrrev_b32_e32 v1, s7, v1
	s_addc_u32 s5, s5, 0
	v_mul_lo_u32 v7, v1, s8
	s_add_u32 s2, s2, 8
	v_sub_u32_e32 v7, v5, v7
	s_addc_u32 s3, s3, 0
	s_add_i32 s6, s6, -1
	v_mad_u64_u32 v[10:11], s[8:9], v7, s11, v[10:11]
	s_cmp_lg_u32 s6, 0
	v_mov_b32_e32 v5, v1
	v_mad_u64_u32 v[8:9], s[8:9], v7, s10, v[8:9]
	v_mov_b32_e32 v1, v10
	s_cbranch_scc1 .LBB87_56
.LBB87_57:
	s_cbranch_execnz .LBB87_60
.LBB87_58:
	s_load_dwordx4 s[4:7], s[34:35], 0x4
	s_load_dwordx2 s[2:3], s[34:35], 0xc4
	s_cmp_lt_u32 s33, 2
	s_waitcnt lgkmcnt(0)
	v_mul_hi_u32 v1, s5, v3
	v_add_u32_e32 v1, v3, v1
	v_lshrrev_b32_e32 v1, s6, v1
	v_mul_lo_u32 v5, v1, s4
	v_sub_u32_e32 v3, v3, v5
	v_mul_lo_u32 v10, v3, s3
	v_mul_lo_u32 v8, v3, s2
	s_cbranch_scc1 .LBB87_60
; %bb.59:
	s_load_dwordx4 s[4:7], s[34:35], 0x10
	s_load_dwordx2 s[2:3], s[34:35], 0xcc
	s_waitcnt lgkmcnt(0)
	v_mul_hi_u32 v3, s5, v1
	v_add_u32_e32 v3, v1, v3
	v_lshrrev_b32_e32 v3, s6, v3
	v_mul_lo_u32 v3, v3, s4
	v_sub_u32_e32 v1, v1, v3
	v_mad_u64_u32 v[8:9], s[4:5], v1, s2, v[8:9]
	v_mad_u64_u32 v[10:11], s[2:3], v1, s3, v[10:11]
.LBB87_60:
	s_and_b64 vcc, exec, s[0:1]
	s_cbranch_vccnz .LBB87_66
; %bb.61:
	s_cmp_lg_u32 s33, 0
	s_waitcnt lgkmcnt(0)
	s_mov_b32 s24, 0
	s_cbranch_scc0 .LBB87_67
; %bb.62:
	s_min_u32 s25, s54, 15
	s_add_i32 s25, s25, 1
	s_cmp_eq_u32 s54, 2
	s_cbranch_scc1 .LBB87_68
; %bb.63:
	s_and_b32 s24, s25, 28
	s_add_u32 s20, s34, 0xc4
	s_addc_u32 s21, s35, 0
	s_mov_b32 s26, 0
	v_mov_b32_e32 v12, 0
	v_mov_b32_e32 v14, 0
	s_mov_b64 s[22:23], s[34:35]
	v_mov_b32_e32 v3, v16
.LBB87_64:                              ; =>This Inner Loop Header: Depth=1
	s_load_dwordx8 s[8:15], s[22:23], 0x4
	s_load_dwordx4 s[16:19], s[22:23], 0x24
	s_load_dwordx8 s[0:7], s[20:21], 0x0
	s_add_u32 s22, s22, 48
	s_addc_u32 s23, s23, 0
	s_waitcnt lgkmcnt(0)
	v_mul_hi_u32 v1, s9, v3
	v_add_u32_e32 v1, v3, v1
	v_lshrrev_b32_e32 v1, s10, v1
	v_mul_lo_u32 v5, v1, s8
	v_mul_hi_u32 v7, s12, v1
	v_sub_u32_e32 v3, v3, v5
	v_add_u32_e32 v5, v1, v7
	v_lshrrev_b32_e32 v5, s13, v5
	v_mul_lo_u32 v9, v5, s11
	v_mul_hi_u32 v11, s15, v5
	v_sub_u32_e32 v1, v1, v9
	v_add_u32_e32 v9, v5, v11
	v_mul_lo_u32 v7, v3, s1
	v_mul_lo_u32 v3, v3, s0
	;; [unrolled: 1-line block ×4, first 2 shown]
	v_lshrrev_b32_e32 v9, s16, v9
	v_add3_u32 v1, v3, v12, v1
	v_add3_u32 v7, v7, v14, v11
	v_mul_lo_u32 v3, v9, s14
	v_mul_hi_u32 v11, s18, v9
	v_sub_u32_e32 v3, v5, v3
	v_add_u32_e32 v5, v9, v11
	v_mul_lo_u32 v11, v3, s4
	v_mul_lo_u32 v12, v3, s5
	v_lshrrev_b32_e32 v3, s19, v5
	s_add_i32 s26, s26, 4
	v_mul_lo_u32 v5, v3, s17
	s_add_u32 s20, s20, 32
	v_sub_u32_e32 v5, v9, v5
	s_addc_u32 s21, s21, 0
	v_mul_lo_u32 v9, v5, s6
	v_mul_lo_u32 v5, v5, s7
	s_cmp_lg_u32 s24, s26
	v_add3_u32 v14, v12, v7, v5
	v_add3_u32 v12, v11, v1, v9
	s_cbranch_scc1 .LBB87_64
; %bb.65:
	v_mov_b32_e32 v1, v14
	s_and_b32 s4, s25, 3
	s_cmp_eq_u32 s4, 0
	s_cbranch_scc0 .LBB87_69
	s_branch .LBB87_71
.LBB87_66:
                                        ; implicit-def: $vgpr14
                                        ; implicit-def: $vgpr12
	s_branch .LBB87_72
.LBB87_67:
	v_mov_b32_e32 v14, 0
	v_mov_b32_e32 v12, 0
	s_branch .LBB87_71
.LBB87_68:
	v_mov_b32_e32 v12, 0
                                        ; implicit-def: $vgpr14
	v_mov_b32_e32 v1, v12
	v_mov_b32_e32 v3, v16
	s_and_b32 s4, s25, 3
	s_cmp_eq_u32 s4, 0
	s_cbranch_scc1 .LBB87_71
.LBB87_69:
	s_lshl_b32 s0, s24, 3
	s_add_u32 s0, s34, s0
	s_addc_u32 s1, s35, 0
	s_add_u32 s0, s0, 0xc4
	s_addc_u32 s1, s1, 0
	s_mul_i32 s2, s24, 12
	s_add_u32 s2, s34, s2
	s_addc_u32 s3, s35, 0
.LBB87_70:                              ; =>This Inner Loop Header: Depth=1
	s_load_dwordx2 s[6:7], s[2:3], 0x4
	s_load_dword s5, s[2:3], 0xc
	s_load_dwordx2 s[8:9], s[0:1], 0x0
	v_mov_b32_e32 v14, v1
	s_add_u32 s2, s2, 12
	s_waitcnt lgkmcnt(0)
	v_mul_hi_u32 v1, s7, v3
	v_add_u32_e32 v1, v3, v1
	v_lshrrev_b32_e32 v1, s5, v1
	s_addc_u32 s3, s3, 0
	v_mul_lo_u32 v5, v1, s6
	s_add_u32 s0, s0, 8
	v_sub_u32_e32 v5, v3, v5
	s_addc_u32 s1, s1, 0
	s_add_i32 s4, s4, -1
	v_mad_u64_u32 v[14:15], s[6:7], v5, s9, v[14:15]
	s_cmp_lg_u32 s4, 0
	v_mov_b32_e32 v3, v1
	v_mad_u64_u32 v[12:13], s[6:7], v5, s8, v[12:13]
	v_mov_b32_e32 v1, v14
	s_cbranch_scc1 .LBB87_70
.LBB87_71:
	s_cbranch_execnz .LBB87_74
.LBB87_72:
	s_load_dwordx4 s[0:3], s[34:35], 0x4
	s_load_dwordx2 s[4:5], s[34:35], 0xc4
	s_cmp_lt_u32 s33, 2
	s_waitcnt lgkmcnt(0)
	v_mul_hi_u32 v1, s1, v16
	v_add_u32_e32 v1, v16, v1
	v_lshrrev_b32_e32 v1, s2, v1
	v_mul_lo_u32 v3, v1, s0
	v_sub_u32_e32 v3, v16, v3
	v_mul_lo_u32 v14, v3, s5
	v_mul_lo_u32 v12, v3, s4
	s_cbranch_scc1 .LBB87_74
; %bb.73:
	s_load_dwordx4 s[0:3], s[34:35], 0x10
	s_load_dwordx2 s[4:5], s[34:35], 0xcc
	s_waitcnt lgkmcnt(0)
	v_mul_hi_u32 v3, s1, v1
	v_add_u32_e32 v3, v1, v3
	v_lshrrev_b32_e32 v3, s2, v3
	v_mul_lo_u32 v3, v3, s0
	v_sub_u32_e32 v1, v1, v3
	v_mad_u64_u32 v[12:13], s[0:1], v1, s4, v[12:13]
	v_mad_u64_u32 v[14:15], s[0:1], v1, s5, v[14:15]
.LBB87_74:
	s_load_dwordx4 s[0:3], s[34:35], 0x148
	s_mov_b32 s4, 0x42b17218
	s_waitcnt lgkmcnt(0)
	global_load_dword v1, v2, s[2:3]
	global_load_dword v3, v6, s[2:3]
	;; [unrolled: 1-line block ×4, first 2 shown]
	s_mov_b32 s2, 0x3fb8aa3b
	s_mov_b32 s3, 0xc2ce8ed0
	v_mov_b32_e32 v2, 0x7f800000
	s_waitcnt vmcnt(3)
	v_mul_f32_e32 v6, 0x3fb8aa3b, v1
	s_waitcnt vmcnt(2)
	v_mul_f32_e32 v9, 0x3fb8aa3b, v3
	v_fma_f32 v13, v1, s2, -v6
	v_rndne_f32_e32 v14, v6
	s_waitcnt vmcnt(1)
	v_mul_f32_e32 v10, 0x3fb8aa3b, v5
	v_fma_f32 v15, v3, s2, -v9
	v_rndne_f32_e32 v16, v9
	v_fmac_f32_e32 v13, 0x32a5705f, v1
	v_sub_f32_e32 v6, v6, v14
	s_waitcnt vmcnt(0)
	v_mul_f32_e32 v11, 0x3fb8aa3b, v7
	v_fma_f32 v17, v5, s2, -v10
	v_rndne_f32_e32 v18, v10
	v_fmac_f32_e32 v15, 0x32a5705f, v3
	v_sub_f32_e32 v9, v9, v16
	v_add_f32_e32 v6, v6, v13
	v_fma_f32 v19, v7, s2, -v11
	v_rndne_f32_e32 v20, v11
	v_cvt_i32_f32_e32 v14, v14
	v_fmac_f32_e32 v17, 0x32a5705f, v5
	v_sub_f32_e32 v10, v10, v18
	v_add_f32_e32 v9, v9, v15
	v_exp_f32_e32 v6, v6
	v_cvt_i32_f32_e32 v16, v16
	v_fmac_f32_e32 v19, 0x32a5705f, v7
	v_sub_f32_e32 v11, v11, v20
	v_add_f32_e32 v10, v10, v17
	v_exp_f32_e32 v9, v9
	v_cvt_i32_f32_e32 v18, v18
	v_add_f32_e32 v11, v11, v19
	v_exp_f32_e32 v10, v10
	v_cvt_i32_f32_e32 v20, v20
	v_exp_f32_e32 v11, v11
	v_ldexp_f32 v6, v6, v14
	v_cmp_ngt_f32_e32 vcc, s3, v1
	v_ldexp_f32 v9, v9, v16
	v_ldexp_f32 v10, v10, v18
	v_cndmask_b32_e32 v6, 0, v6, vcc
	v_cmp_ngt_f32_e32 vcc, s3, v3
	v_ldexp_f32 v11, v11, v20
	s_nop 0
	v_cndmask_b32_e32 v9, 0, v9, vcc
	v_cmp_ngt_f32_e32 vcc, s3, v5
	s_nop 1
	v_cndmask_b32_e32 v10, 0, v10, vcc
	v_cmp_ngt_f32_e32 vcc, s3, v7
	s_nop 1
	v_cndmask_b32_e32 v11, 0, v11, vcc
	v_cmp_nlt_f32_e32 vcc, s4, v1
	s_nop 1
	v_cndmask_b32_e32 v1, v2, v6, vcc
	v_cmp_nlt_f32_e32 vcc, s4, v3
	;; [unrolled: 3-line block ×4, first 2 shown]
	s_nop 1
	v_cndmask_b32_e32 v2, v2, v11, vcc
	global_store_dword v0, v1, s[0:1]
	global_store_dword v4, v3, s[0:1]
	;; [unrolled: 1-line block ×4, first 2 shown]
	s_endpgm
.LBB87_75:
	v_mov_b32_e32 v2, 0
	v_mov_b32_e32 v0, 0
	s_branch .LBB87_81
.LBB87_76:
	v_mov_b32_e32 v2, 0
	v_mov_b32_e32 v0, 0
	s_branch .LBB87_98
.LBB87_77:
	v_mov_b32_e32 v0, 0
	s_mov_b32 s57, 0
	v_mov_b32_e32 v1, v0
                                        ; implicit-def: $vgpr2
	v_mov_b32_e32 v4, v8
.LBB87_78:
	s_and_b32 s4, s58, 3
	s_cmp_eq_u32 s4, 0
	s_cbranch_scc1 .LBB87_81
; %bb.79:
	s_lshl_b32 s0, s57, 3
	s_add_u32 s0, s34, s0
	s_addc_u32 s1, s35, 0
	s_add_u32 s0, s0, 0xc4
	s_addc_u32 s1, s1, 0
	s_mul_i32 s2, s57, 12
	s_add_u32 s2, s34, s2
	s_addc_u32 s3, s35, 0
.LBB87_80:                              ; =>This Inner Loop Header: Depth=1
	s_load_dwordx2 s[6:7], s[2:3], 0x4
	s_load_dword s5, s[2:3], 0xc
	s_load_dwordx2 s[8:9], s[0:1], 0x0
	v_mov_b32_e32 v2, v1
	s_add_u32 s2, s2, 12
	s_waitcnt lgkmcnt(0)
	v_mul_hi_u32 v1, s7, v4
	v_add_u32_e32 v1, v4, v1
	v_lshrrev_b32_e32 v1, s5, v1
	s_addc_u32 s3, s3, 0
	v_mul_lo_u32 v3, v1, s6
	s_add_u32 s0, s0, 8
	v_sub_u32_e32 v5, v4, v3
	s_addc_u32 s1, s1, 0
	s_add_i32 s4, s4, -1
	v_mov_b32_e32 v4, v1
	v_mad_u64_u32 v[2:3], s[6:7], v5, s9, v[2:3]
	v_mad_u64_u32 v[0:1], s[6:7], v5, s8, v[0:1]
	s_cmp_lg_u32 s4, 0
	v_mov_b32_e32 v1, v2
	s_cbranch_scc1 .LBB87_80
.LBB87_81:
	s_cbranch_execnz .LBB87_84
.LBB87_82:
	s_waitcnt lgkmcnt(0)
	v_mul_hi_u32 v0, s25, v8
	v_add_u32_e32 v0, v8, v0
	v_lshrrev_b32_e32 v1, s26, v0
	v_mul_lo_u32 v0, v1, s24
	v_sub_u32_e32 v0, v8, v0
	v_mul_lo_u32 v2, v0, s21
	s_andn2_b64 vcc, exec, s[42:43]
	v_mul_lo_u32 v0, v0, s20
	s_cbranch_vccnz .LBB87_84
; %bb.83:
	v_mul_hi_u32 v3, s40, v1
	v_add_u32_e32 v3, v1, v3
	v_lshrrev_b32_e32 v3, s41, v3
	v_mul_lo_u32 v3, v3, s27
	v_sub_u32_e32 v3, v1, v3
	v_mad_u64_u32 v[0:1], s[0:1], v3, s22, v[0:1]
	v_mad_u64_u32 v[2:3], s[0:1], v3, s23, v[2:3]
.LBB87_84:
	s_waitcnt lgkmcnt(0)
	global_load_dword v1, v2, s[18:19]
	s_mov_b32 s0, 0x3fb8aa3b
	s_mov_b32 s1, 0x42b17218
	v_add_u32_e32 v8, 0x80, v8
	s_waitcnt vmcnt(0)
	v_mul_f32_e32 v2, 0x3fb8aa3b, v1
	v_fma_f32 v3, v1, s0, -v2
	v_rndne_f32_e32 v4, v2
	v_fmamk_f32 v3, v1, 0x32a5705f, v3
	v_sub_f32_e32 v2, v2, v4
	v_add_f32_e32 v2, v2, v3
	v_cvt_i32_f32_e32 v4, v4
	v_exp_f32_e32 v2, v2
	s_mov_b32 s0, 0xc2ce8ed0
	v_cmp_ngt_f32_e32 vcc, s0, v1
	v_mov_b32_e32 v3, 0x7f800000
	v_ldexp_f32 v2, v2, v4
	v_cndmask_b32_e32 v2, 0, v2, vcc
	v_cmp_nlt_f32_e32 vcc, s1, v1
	s_nop 1
	v_cndmask_b32_e32 v1, v3, v2, vcc
	global_store_dword v0, v1, s[16:17]
	s_or_b64 exec, exec, s[48:49]
	v_cmp_gt_i32_e32 vcc, s55, v8
	s_and_saveexec_b64 s[48:49], vcc
	s_cbranch_execnz .LBB87_16
.LBB87_85:
	s_or_b64 exec, exec, s[48:49]
	v_cmp_gt_i32_e32 vcc, s55, v8
	s_and_saveexec_b64 s[48:49], vcc
	s_cbranch_execz .LBB87_102
.LBB87_86:
	s_andn2_b64 vcc, exec, s[36:37]
	s_cbranch_vccnz .LBB87_92
; %bb.87:
	s_andn2_b64 vcc, exec, s[46:47]
	s_cbranch_vccnz .LBB87_93
; %bb.88:
	s_add_i32 s58, s56, 1
	s_cmp_eq_u32 s54, 2
	s_cbranch_scc1 .LBB87_105
; %bb.89:
	s_and_b32 s57, s58, 28
	s_mov_b32 s59, 0
	v_mov_b32_e32 v0, 0
	v_mov_b32_e32 v2, 0
	s_mov_b64 s[50:51], s[34:35]
	s_mov_b64 s[52:53], s[44:45]
	v_mov_b32_e32 v4, v8
.LBB87_90:                              ; =>This Inner Loop Header: Depth=1
	s_load_dwordx8 s[8:15], s[50:51], 0x4
	s_load_dwordx4 s[28:31], s[50:51], 0x24
	s_load_dwordx8 s[0:7], s[52:53], 0x0
	s_add_u32 s50, s50, 48
	s_addc_u32 s51, s51, 0
	s_waitcnt lgkmcnt(0)
	v_mul_hi_u32 v1, s9, v4
	v_add_u32_e32 v1, v4, v1
	v_lshrrev_b32_e32 v1, s10, v1
	v_mul_lo_u32 v3, v1, s8
	v_mul_hi_u32 v5, s12, v1
	v_sub_u32_e32 v3, v4, v3
	v_add_u32_e32 v4, v1, v5
	v_lshrrev_b32_e32 v4, s13, v4
	v_mul_lo_u32 v6, v4, s11
	v_mul_hi_u32 v7, s15, v4
	v_sub_u32_e32 v1, v1, v6
	v_add_u32_e32 v6, v4, v7
	v_mul_lo_u32 v5, v3, s1
	v_mul_lo_u32 v3, v3, s0
	;; [unrolled: 1-line block ×4, first 2 shown]
	v_lshrrev_b32_e32 v6, s28, v6
	v_add3_u32 v0, v3, v0, v1
	v_mul_hi_u32 v3, s30, v6
	v_add3_u32 v1, v5, v2, v7
	v_mul_lo_u32 v2, v6, s14
	v_add_u32_e32 v3, v6, v3
	v_sub_u32_e32 v2, v4, v2
	v_lshrrev_b32_e32 v4, s31, v3
	s_add_i32 s59, s59, 4
	v_mul_lo_u32 v3, v4, s29
	s_add_u32 s52, s52, 32
	v_sub_u32_e32 v3, v6, v3
	s_addc_u32 s53, s53, 0
	v_mul_lo_u32 v5, v2, s4
	v_mul_lo_u32 v2, v2, s5
	;; [unrolled: 1-line block ×4, first 2 shown]
	s_cmp_eq_u32 s57, s59
	v_add3_u32 v2, v2, v1, v3
	v_add3_u32 v0, v5, v0, v6
	s_cbranch_scc0 .LBB87_90
; %bb.91:
	v_mov_b32_e32 v1, v2
	s_branch .LBB87_106
.LBB87_92:
                                        ; implicit-def: $vgpr2
                                        ; implicit-def: $vgpr0
	s_branch .LBB87_110
.LBB87_93:
	v_mov_b32_e32 v2, 0
	v_mov_b32_e32 v0, 0
	s_branch .LBB87_109
.LBB87_94:
	v_mov_b32_e32 v0, 0
	s_mov_b32 s57, 0
	v_mov_b32_e32 v1, v0
                                        ; implicit-def: $vgpr2
	v_mov_b32_e32 v4, v8
.LBB87_95:
	s_and_b32 s4, s58, 3
	s_cmp_eq_u32 s4, 0
	s_cbranch_scc1 .LBB87_98
; %bb.96:
	s_lshl_b32 s0, s57, 3
	s_add_u32 s0, s34, s0
	s_addc_u32 s1, s35, 0
	s_add_u32 s0, s0, 0xc4
	s_addc_u32 s1, s1, 0
	s_mul_i32 s2, s57, 12
	s_add_u32 s2, s34, s2
	s_addc_u32 s3, s35, 0
.LBB87_97:                              ; =>This Inner Loop Header: Depth=1
	s_load_dwordx2 s[6:7], s[2:3], 0x4
	s_load_dword s5, s[2:3], 0xc
	s_load_dwordx2 s[8:9], s[0:1], 0x0
	v_mov_b32_e32 v2, v1
	s_add_u32 s2, s2, 12
	s_waitcnt lgkmcnt(0)
	v_mul_hi_u32 v1, s7, v4
	v_add_u32_e32 v1, v4, v1
	v_lshrrev_b32_e32 v1, s5, v1
	s_addc_u32 s3, s3, 0
	v_mul_lo_u32 v3, v1, s6
	s_add_u32 s0, s0, 8
	v_sub_u32_e32 v5, v4, v3
	s_addc_u32 s1, s1, 0
	s_add_i32 s4, s4, -1
	v_mov_b32_e32 v4, v1
	v_mad_u64_u32 v[2:3], s[6:7], v5, s9, v[2:3]
	v_mad_u64_u32 v[0:1], s[6:7], v5, s8, v[0:1]
	s_cmp_lg_u32 s4, 0
	v_mov_b32_e32 v1, v2
	s_cbranch_scc1 .LBB87_97
.LBB87_98:
	s_cbranch_execnz .LBB87_101
.LBB87_99:
	s_waitcnt lgkmcnt(0)
	v_mul_hi_u32 v0, s25, v8
	v_add_u32_e32 v0, v8, v0
	v_lshrrev_b32_e32 v1, s26, v0
	v_mul_lo_u32 v0, v1, s24
	v_sub_u32_e32 v0, v8, v0
	v_mul_lo_u32 v2, v0, s21
	s_andn2_b64 vcc, exec, s[42:43]
	v_mul_lo_u32 v0, v0, s20
	s_cbranch_vccnz .LBB87_101
; %bb.100:
	v_mul_hi_u32 v3, s40, v1
	v_add_u32_e32 v3, v1, v3
	v_lshrrev_b32_e32 v3, s41, v3
	v_mul_lo_u32 v3, v3, s27
	v_sub_u32_e32 v3, v1, v3
	v_mad_u64_u32 v[0:1], s[0:1], v3, s22, v[0:1]
	v_mad_u64_u32 v[2:3], s[0:1], v3, s23, v[2:3]
.LBB87_101:
	s_waitcnt lgkmcnt(0)
	global_load_dword v1, v2, s[18:19]
	s_mov_b32 s0, 0x3fb8aa3b
	s_mov_b32 s1, 0x42b17218
	v_add_u32_e32 v8, 0x80, v8
	s_waitcnt vmcnt(0)
	v_mul_f32_e32 v2, 0x3fb8aa3b, v1
	v_fma_f32 v3, v1, s0, -v2
	v_rndne_f32_e32 v4, v2
	v_fmamk_f32 v3, v1, 0x32a5705f, v3
	v_sub_f32_e32 v2, v2, v4
	v_add_f32_e32 v2, v2, v3
	v_cvt_i32_f32_e32 v4, v4
	v_exp_f32_e32 v2, v2
	s_mov_b32 s0, 0xc2ce8ed0
	v_cmp_ngt_f32_e32 vcc, s0, v1
	v_mov_b32_e32 v3, 0x7f800000
	v_ldexp_f32 v2, v2, v4
	v_cndmask_b32_e32 v2, 0, v2, vcc
	v_cmp_nlt_f32_e32 vcc, s1, v1
	s_nop 1
	v_cndmask_b32_e32 v1, v3, v2, vcc
	global_store_dword v0, v1, s[16:17]
	s_or_b64 exec, exec, s[48:49]
	v_cmp_gt_i32_e32 vcc, s55, v8
	s_and_saveexec_b64 s[48:49], vcc
	s_cbranch_execnz .LBB87_86
.LBB87_102:
	s_or_b64 exec, exec, s[48:49]
	v_cmp_gt_i32_e32 vcc, s55, v8
	s_and_saveexec_b64 s[48:49], vcc
	s_cbranch_execnz .LBB87_113
.LBB87_103:
	s_or_b64 exec, exec, s[48:49]
                                        ; implicit-def: $vgpr16
                                        ; implicit-def: $vgpr8
	s_andn2_saveexec_b64 s[0:1], s[38:39]
	s_cbranch_execnz .LBB87_9
.LBB87_104:
	s_endpgm
.LBB87_105:
	v_mov_b32_e32 v0, 0
	s_mov_b32 s57, 0
	v_mov_b32_e32 v1, v0
                                        ; implicit-def: $vgpr2
	v_mov_b32_e32 v4, v8
.LBB87_106:
	s_and_b32 s4, s58, 3
	s_cmp_eq_u32 s4, 0
	s_cbranch_scc1 .LBB87_109
; %bb.107:
	s_lshl_b32 s0, s57, 3
	s_add_u32 s0, s34, s0
	s_addc_u32 s1, s35, 0
	s_add_u32 s0, s0, 0xc4
	s_addc_u32 s1, s1, 0
	s_mul_i32 s2, s57, 12
	s_add_u32 s2, s34, s2
	s_addc_u32 s3, s35, 0
.LBB87_108:                             ; =>This Inner Loop Header: Depth=1
	s_load_dwordx2 s[6:7], s[2:3], 0x4
	s_load_dword s5, s[2:3], 0xc
	s_load_dwordx2 s[8:9], s[0:1], 0x0
	v_mov_b32_e32 v2, v1
	s_add_u32 s2, s2, 12
	s_waitcnt lgkmcnt(0)
	v_mul_hi_u32 v1, s7, v4
	v_add_u32_e32 v1, v4, v1
	v_lshrrev_b32_e32 v1, s5, v1
	s_addc_u32 s3, s3, 0
	v_mul_lo_u32 v3, v1, s6
	s_add_u32 s0, s0, 8
	v_sub_u32_e32 v5, v4, v3
	s_addc_u32 s1, s1, 0
	s_add_i32 s4, s4, -1
	v_mov_b32_e32 v4, v1
	v_mad_u64_u32 v[2:3], s[6:7], v5, s9, v[2:3]
	v_mad_u64_u32 v[0:1], s[6:7], v5, s8, v[0:1]
	s_cmp_lg_u32 s4, 0
	v_mov_b32_e32 v1, v2
	s_cbranch_scc1 .LBB87_108
.LBB87_109:
	s_cbranch_execnz .LBB87_112
.LBB87_110:
	s_waitcnt lgkmcnt(0)
	v_mul_hi_u32 v0, s25, v8
	v_add_u32_e32 v0, v8, v0
	v_lshrrev_b32_e32 v1, s26, v0
	v_mul_lo_u32 v0, v1, s24
	v_sub_u32_e32 v0, v8, v0
	v_mul_lo_u32 v2, v0, s21
	s_andn2_b64 vcc, exec, s[42:43]
	v_mul_lo_u32 v0, v0, s20
	s_cbranch_vccnz .LBB87_112
; %bb.111:
	v_mul_hi_u32 v3, s40, v1
	v_add_u32_e32 v3, v1, v3
	v_lshrrev_b32_e32 v3, s41, v3
	v_mul_lo_u32 v3, v3, s27
	v_sub_u32_e32 v3, v1, v3
	v_mad_u64_u32 v[0:1], s[0:1], v3, s22, v[0:1]
	v_mad_u64_u32 v[2:3], s[0:1], v3, s23, v[2:3]
.LBB87_112:
	s_waitcnt lgkmcnt(0)
	global_load_dword v1, v2, s[18:19]
	s_mov_b32 s0, 0x3fb8aa3b
	s_mov_b32 s1, 0x42b17218
	v_add_u32_e32 v8, 0x80, v8
	s_waitcnt vmcnt(0)
	v_mul_f32_e32 v2, 0x3fb8aa3b, v1
	v_fma_f32 v3, v1, s0, -v2
	v_rndne_f32_e32 v4, v2
	v_fmamk_f32 v3, v1, 0x32a5705f, v3
	v_sub_f32_e32 v2, v2, v4
	v_add_f32_e32 v2, v2, v3
	v_cvt_i32_f32_e32 v4, v4
	v_exp_f32_e32 v2, v2
	s_mov_b32 s0, 0xc2ce8ed0
	v_cmp_ngt_f32_e32 vcc, s0, v1
	v_mov_b32_e32 v3, 0x7f800000
	v_ldexp_f32 v2, v2, v4
	v_cndmask_b32_e32 v2, 0, v2, vcc
	v_cmp_nlt_f32_e32 vcc, s1, v1
	s_nop 1
	v_cndmask_b32_e32 v1, v3, v2, vcc
	global_store_dword v0, v1, s[16:17]
	s_or_b64 exec, exec, s[48:49]
	v_cmp_gt_i32_e32 vcc, s55, v8
	s_and_saveexec_b64 s[48:49], vcc
	s_cbranch_execz .LBB87_103
.LBB87_113:
	s_andn2_b64 vcc, exec, s[36:37]
	s_cbranch_vccnz .LBB87_119
; %bb.114:
	s_andn2_b64 vcc, exec, s[46:47]
	s_cbranch_vccnz .LBB87_120
; %bb.115:
	s_add_i32 s56, s56, 1
	s_cmp_eq_u32 s54, 2
	s_cbranch_scc1 .LBB87_121
; %bb.116:
	s_and_b32 s50, s56, 28
	s_mov_b32 s51, 0
	v_mov_b32_e32 v0, 0
	v_mov_b32_e32 v2, 0
	s_mov_b64 s[46:47], s[34:35]
	v_mov_b32_e32 v4, v8
.LBB87_117:                             ; =>This Inner Loop Header: Depth=1
	s_load_dwordx8 s[8:15], s[46:47], 0x4
	s_load_dwordx4 s[28:31], s[46:47], 0x24
	s_load_dwordx8 s[0:7], s[44:45], 0x0
	s_add_u32 s46, s46, 48
	s_addc_u32 s47, s47, 0
	s_waitcnt lgkmcnt(0)
	v_mul_hi_u32 v1, s9, v4
	v_add_u32_e32 v1, v4, v1
	v_lshrrev_b32_e32 v1, s10, v1
	v_mul_lo_u32 v3, v1, s8
	v_mul_hi_u32 v5, s12, v1
	v_sub_u32_e32 v3, v4, v3
	v_add_u32_e32 v4, v1, v5
	v_lshrrev_b32_e32 v4, s13, v4
	v_mul_lo_u32 v6, v4, s11
	v_mul_hi_u32 v7, s15, v4
	v_sub_u32_e32 v1, v1, v6
	v_add_u32_e32 v6, v4, v7
	v_mul_lo_u32 v5, v3, s1
	v_mul_lo_u32 v3, v3, s0
	;; [unrolled: 1-line block ×4, first 2 shown]
	v_lshrrev_b32_e32 v6, s28, v6
	v_add3_u32 v0, v3, v0, v1
	v_mul_hi_u32 v3, s30, v6
	v_add3_u32 v1, v5, v2, v7
	v_mul_lo_u32 v2, v6, s14
	v_add_u32_e32 v3, v6, v3
	v_sub_u32_e32 v2, v4, v2
	v_lshrrev_b32_e32 v4, s31, v3
	s_add_i32 s51, s51, 4
	v_mul_lo_u32 v3, v4, s29
	s_add_u32 s44, s44, 32
	v_sub_u32_e32 v3, v6, v3
	s_addc_u32 s45, s45, 0
	v_mul_lo_u32 v5, v2, s4
	v_mul_lo_u32 v2, v2, s5
	;; [unrolled: 1-line block ×4, first 2 shown]
	s_cmp_eq_u32 s50, s51
	v_add3_u32 v2, v2, v1, v3
	v_add3_u32 v0, v5, v0, v6
	s_cbranch_scc0 .LBB87_117
; %bb.118:
	v_mov_b32_e32 v1, v2
	s_branch .LBB87_122
.LBB87_119:
                                        ; implicit-def: $vgpr2
                                        ; implicit-def: $vgpr0
	s_branch .LBB87_126
.LBB87_120:
	v_mov_b32_e32 v2, 0
	v_mov_b32_e32 v0, 0
	s_branch .LBB87_125
.LBB87_121:
	v_mov_b32_e32 v0, 0
	s_mov_b32 s50, 0
	v_mov_b32_e32 v1, v0
                                        ; implicit-def: $vgpr2
	v_mov_b32_e32 v4, v8
.LBB87_122:
	s_and_b32 s4, s56, 3
	s_cmp_eq_u32 s4, 0
	s_cbranch_scc1 .LBB87_125
; %bb.123:
	s_lshl_b32 s0, s50, 3
	s_add_u32 s0, s34, s0
	s_addc_u32 s1, s35, 0
	s_add_u32 s0, s0, 0xc4
	s_addc_u32 s1, s1, 0
	s_mul_i32 s2, s50, 12
	s_add_u32 s2, s34, s2
	s_addc_u32 s3, s35, 0
.LBB87_124:                             ; =>This Inner Loop Header: Depth=1
	s_load_dwordx2 s[6:7], s[2:3], 0x4
	s_load_dword s5, s[2:3], 0xc
	s_load_dwordx2 s[8:9], s[0:1], 0x0
	v_mov_b32_e32 v2, v1
	s_add_u32 s2, s2, 12
	s_waitcnt lgkmcnt(0)
	v_mul_hi_u32 v1, s7, v4
	v_add_u32_e32 v1, v4, v1
	v_lshrrev_b32_e32 v1, s5, v1
	s_addc_u32 s3, s3, 0
	v_mul_lo_u32 v3, v1, s6
	s_add_u32 s0, s0, 8
	v_sub_u32_e32 v5, v4, v3
	s_addc_u32 s1, s1, 0
	s_add_i32 s4, s4, -1
	v_mov_b32_e32 v4, v1
	v_mad_u64_u32 v[2:3], s[6:7], v5, s9, v[2:3]
	v_mad_u64_u32 v[0:1], s[6:7], v5, s8, v[0:1]
	s_cmp_lg_u32 s4, 0
	v_mov_b32_e32 v1, v2
	s_cbranch_scc1 .LBB87_124
.LBB87_125:
	s_cbranch_execnz .LBB87_128
.LBB87_126:
	s_waitcnt lgkmcnt(0)
	v_mul_hi_u32 v0, s25, v8
	v_add_u32_e32 v0, v8, v0
	v_lshrrev_b32_e32 v1, s26, v0
	v_mul_lo_u32 v0, v1, s24
	v_sub_u32_e32 v0, v8, v0
	v_mul_lo_u32 v2, v0, s21
	s_andn2_b64 vcc, exec, s[42:43]
	v_mul_lo_u32 v0, v0, s20
	s_cbranch_vccnz .LBB87_128
; %bb.127:
	v_mul_hi_u32 v3, s40, v1
	v_add_u32_e32 v3, v1, v3
	v_lshrrev_b32_e32 v3, s41, v3
	v_mul_lo_u32 v3, v3, s27
	v_sub_u32_e32 v3, v1, v3
	v_mad_u64_u32 v[0:1], s[0:1], v3, s22, v[0:1]
	v_mad_u64_u32 v[2:3], s[0:1], v3, s23, v[2:3]
.LBB87_128:
	s_waitcnt lgkmcnt(0)
	global_load_dword v1, v2, s[18:19]
	s_mov_b32 s0, 0x3fb8aa3b
	s_mov_b32 s1, 0x42b17218
	s_waitcnt vmcnt(0)
	v_mul_f32_e32 v2, 0x3fb8aa3b, v1
	v_fma_f32 v3, v1, s0, -v2
	v_rndne_f32_e32 v4, v2
	v_fmamk_f32 v3, v1, 0x32a5705f, v3
	v_sub_f32_e32 v2, v2, v4
	v_add_f32_e32 v2, v2, v3
	v_cvt_i32_f32_e32 v4, v4
	v_exp_f32_e32 v2, v2
	s_mov_b32 s0, 0xc2ce8ed0
	v_cmp_ngt_f32_e32 vcc, s0, v1
	v_mov_b32_e32 v3, 0x7f800000
	v_ldexp_f32 v2, v2, v4
	v_cndmask_b32_e32 v2, 0, v2, vcc
	v_cmp_nlt_f32_e32 vcc, s1, v1
	s_nop 1
	v_cndmask_b32_e32 v1, v3, v2, vcc
	global_store_dword v0, v1, s[16:17]
	s_or_b64 exec, exec, s[48:49]
                                        ; implicit-def: $vgpr16
                                        ; implicit-def: $vgpr8
	s_andn2_saveexec_b64 s[0:1], s[38:39]
	s_cbranch_execz .LBB87_104
	s_branch .LBB87_9
	.section	.rodata,"a",@progbits
	.p2align	6, 0x0
	.amdhsa_kernel _ZN2at6native32elementwise_kernel_manual_unrollILi128ELi4EZNS0_22gpu_kernel_impl_nocastIZZZNS0_15exp_kernel_cudaERNS_18TensorIteratorBaseEENKUlvE0_clEvENKUlvE0_clEvEUlfE_EEvS4_RKT_EUlibE_EEviT1_
		.amdhsa_group_segment_fixed_size 0
		.amdhsa_private_segment_fixed_size 0
		.amdhsa_kernarg_size 360
		.amdhsa_user_sgpr_count 2
		.amdhsa_user_sgpr_dispatch_ptr 0
		.amdhsa_user_sgpr_queue_ptr 0
		.amdhsa_user_sgpr_kernarg_segment_ptr 1
		.amdhsa_user_sgpr_dispatch_id 0
		.amdhsa_user_sgpr_kernarg_preload_length 0
		.amdhsa_user_sgpr_kernarg_preload_offset 0
		.amdhsa_user_sgpr_private_segment_size 0
		.amdhsa_uses_dynamic_stack 0
		.amdhsa_enable_private_segment 0
		.amdhsa_system_sgpr_workgroup_id_x 1
		.amdhsa_system_sgpr_workgroup_id_y 0
		.amdhsa_system_sgpr_workgroup_id_z 0
		.amdhsa_system_sgpr_workgroup_info 0
		.amdhsa_system_vgpr_workitem_id 0
		.amdhsa_next_free_vgpr 21
		.amdhsa_next_free_sgpr 60
		.amdhsa_accum_offset 24
		.amdhsa_reserve_vcc 1
		.amdhsa_float_round_mode_32 0
		.amdhsa_float_round_mode_16_64 0
		.amdhsa_float_denorm_mode_32 3
		.amdhsa_float_denorm_mode_16_64 3
		.amdhsa_dx10_clamp 1
		.amdhsa_ieee_mode 1
		.amdhsa_fp16_overflow 0
		.amdhsa_tg_split 0
		.amdhsa_exception_fp_ieee_invalid_op 0
		.amdhsa_exception_fp_denorm_src 0
		.amdhsa_exception_fp_ieee_div_zero 0
		.amdhsa_exception_fp_ieee_overflow 0
		.amdhsa_exception_fp_ieee_underflow 0
		.amdhsa_exception_fp_ieee_inexact 0
		.amdhsa_exception_int_div_zero 0
	.end_amdhsa_kernel
	.section	.text._ZN2at6native32elementwise_kernel_manual_unrollILi128ELi4EZNS0_22gpu_kernel_impl_nocastIZZZNS0_15exp_kernel_cudaERNS_18TensorIteratorBaseEENKUlvE0_clEvENKUlvE0_clEvEUlfE_EEvS4_RKT_EUlibE_EEviT1_,"axG",@progbits,_ZN2at6native32elementwise_kernel_manual_unrollILi128ELi4EZNS0_22gpu_kernel_impl_nocastIZZZNS0_15exp_kernel_cudaERNS_18TensorIteratorBaseEENKUlvE0_clEvENKUlvE0_clEvEUlfE_EEvS4_RKT_EUlibE_EEviT1_,comdat
.Lfunc_end87:
	.size	_ZN2at6native32elementwise_kernel_manual_unrollILi128ELi4EZNS0_22gpu_kernel_impl_nocastIZZZNS0_15exp_kernel_cudaERNS_18TensorIteratorBaseEENKUlvE0_clEvENKUlvE0_clEvEUlfE_EEvS4_RKT_EUlibE_EEviT1_, .Lfunc_end87-_ZN2at6native32elementwise_kernel_manual_unrollILi128ELi4EZNS0_22gpu_kernel_impl_nocastIZZZNS0_15exp_kernel_cudaERNS_18TensorIteratorBaseEENKUlvE0_clEvENKUlvE0_clEvEUlfE_EEvS4_RKT_EUlibE_EEviT1_
                                        ; -- End function
	.set _ZN2at6native32elementwise_kernel_manual_unrollILi128ELi4EZNS0_22gpu_kernel_impl_nocastIZZZNS0_15exp_kernel_cudaERNS_18TensorIteratorBaseEENKUlvE0_clEvENKUlvE0_clEvEUlfE_EEvS4_RKT_EUlibE_EEviT1_.num_vgpr, 21
	.set _ZN2at6native32elementwise_kernel_manual_unrollILi128ELi4EZNS0_22gpu_kernel_impl_nocastIZZZNS0_15exp_kernel_cudaERNS_18TensorIteratorBaseEENKUlvE0_clEvENKUlvE0_clEvEUlfE_EEvS4_RKT_EUlibE_EEviT1_.num_agpr, 0
	.set _ZN2at6native32elementwise_kernel_manual_unrollILi128ELi4EZNS0_22gpu_kernel_impl_nocastIZZZNS0_15exp_kernel_cudaERNS_18TensorIteratorBaseEENKUlvE0_clEvENKUlvE0_clEvEUlfE_EEvS4_RKT_EUlibE_EEviT1_.numbered_sgpr, 60
	.set _ZN2at6native32elementwise_kernel_manual_unrollILi128ELi4EZNS0_22gpu_kernel_impl_nocastIZZZNS0_15exp_kernel_cudaERNS_18TensorIteratorBaseEENKUlvE0_clEvENKUlvE0_clEvEUlfE_EEvS4_RKT_EUlibE_EEviT1_.num_named_barrier, 0
	.set _ZN2at6native32elementwise_kernel_manual_unrollILi128ELi4EZNS0_22gpu_kernel_impl_nocastIZZZNS0_15exp_kernel_cudaERNS_18TensorIteratorBaseEENKUlvE0_clEvENKUlvE0_clEvEUlfE_EEvS4_RKT_EUlibE_EEviT1_.private_seg_size, 0
	.set _ZN2at6native32elementwise_kernel_manual_unrollILi128ELi4EZNS0_22gpu_kernel_impl_nocastIZZZNS0_15exp_kernel_cudaERNS_18TensorIteratorBaseEENKUlvE0_clEvENKUlvE0_clEvEUlfE_EEvS4_RKT_EUlibE_EEviT1_.uses_vcc, 1
	.set _ZN2at6native32elementwise_kernel_manual_unrollILi128ELi4EZNS0_22gpu_kernel_impl_nocastIZZZNS0_15exp_kernel_cudaERNS_18TensorIteratorBaseEENKUlvE0_clEvENKUlvE0_clEvEUlfE_EEvS4_RKT_EUlibE_EEviT1_.uses_flat_scratch, 0
	.set _ZN2at6native32elementwise_kernel_manual_unrollILi128ELi4EZNS0_22gpu_kernel_impl_nocastIZZZNS0_15exp_kernel_cudaERNS_18TensorIteratorBaseEENKUlvE0_clEvENKUlvE0_clEvEUlfE_EEvS4_RKT_EUlibE_EEviT1_.has_dyn_sized_stack, 0
	.set _ZN2at6native32elementwise_kernel_manual_unrollILi128ELi4EZNS0_22gpu_kernel_impl_nocastIZZZNS0_15exp_kernel_cudaERNS_18TensorIteratorBaseEENKUlvE0_clEvENKUlvE0_clEvEUlfE_EEvS4_RKT_EUlibE_EEviT1_.has_recursion, 0
	.set _ZN2at6native32elementwise_kernel_manual_unrollILi128ELi4EZNS0_22gpu_kernel_impl_nocastIZZZNS0_15exp_kernel_cudaERNS_18TensorIteratorBaseEENKUlvE0_clEvENKUlvE0_clEvEUlfE_EEvS4_RKT_EUlibE_EEviT1_.has_indirect_call, 0
	.section	.AMDGPU.csdata,"",@progbits
; Kernel info:
; codeLenInByte = 6524
; TotalNumSgprs: 66
; NumVgprs: 21
; NumAgprs: 0
; TotalNumVgprs: 21
; ScratchSize: 0
; MemoryBound: 0
; FloatMode: 240
; IeeeMode: 1
; LDSByteSize: 0 bytes/workgroup (compile time only)
; SGPRBlocks: 8
; VGPRBlocks: 2
; NumSGPRsForWavesPerEU: 66
; NumVGPRsForWavesPerEU: 21
; AccumOffset: 24
; Occupancy: 8
; WaveLimiterHint : 1
; COMPUTE_PGM_RSRC2:SCRATCH_EN: 0
; COMPUTE_PGM_RSRC2:USER_SGPR: 2
; COMPUTE_PGM_RSRC2:TRAP_HANDLER: 0
; COMPUTE_PGM_RSRC2:TGID_X_EN: 1
; COMPUTE_PGM_RSRC2:TGID_Y_EN: 0
; COMPUTE_PGM_RSRC2:TGID_Z_EN: 0
; COMPUTE_PGM_RSRC2:TIDIG_COMP_CNT: 0
; COMPUTE_PGM_RSRC3_GFX90A:ACCUM_OFFSET: 5
; COMPUTE_PGM_RSRC3_GFX90A:TG_SPLIT: 0
	.section	.text._ZN2at6native32elementwise_kernel_manual_unrollILi128ELi4EZNS0_15gpu_kernel_implIZZZNS0_15exp_kernel_cudaERNS_18TensorIteratorBaseEENKUlvE0_clEvENKUlvE0_clEvEUlfE_EEvS4_RKT_EUlibE_EEviT1_,"axG",@progbits,_ZN2at6native32elementwise_kernel_manual_unrollILi128ELi4EZNS0_15gpu_kernel_implIZZZNS0_15exp_kernel_cudaERNS_18TensorIteratorBaseEENKUlvE0_clEvENKUlvE0_clEvEUlfE_EEvS4_RKT_EUlibE_EEviT1_,comdat
	.globl	_ZN2at6native32elementwise_kernel_manual_unrollILi128ELi4EZNS0_15gpu_kernel_implIZZZNS0_15exp_kernel_cudaERNS_18TensorIteratorBaseEENKUlvE0_clEvENKUlvE0_clEvEUlfE_EEvS4_RKT_EUlibE_EEviT1_ ; -- Begin function _ZN2at6native32elementwise_kernel_manual_unrollILi128ELi4EZNS0_15gpu_kernel_implIZZZNS0_15exp_kernel_cudaERNS_18TensorIteratorBaseEENKUlvE0_clEvENKUlvE0_clEvEUlfE_EEvS4_RKT_EUlibE_EEviT1_
	.p2align	8
	.type	_ZN2at6native32elementwise_kernel_manual_unrollILi128ELi4EZNS0_15gpu_kernel_implIZZZNS0_15exp_kernel_cudaERNS_18TensorIteratorBaseEENKUlvE0_clEvENKUlvE0_clEvEUlfE_EEvS4_RKT_EUlibE_EEviT1_,@function
_ZN2at6native32elementwise_kernel_manual_unrollILi128ELi4EZNS0_15gpu_kernel_implIZZZNS0_15exp_kernel_cudaERNS_18TensorIteratorBaseEENKUlvE0_clEvENKUlvE0_clEvEUlfE_EEvS4_RKT_EUlibE_EEviT1_: ; @_ZN2at6native32elementwise_kernel_manual_unrollILi128ELi4EZNS0_15gpu_kernel_implIZZZNS0_15exp_kernel_cudaERNS_18TensorIteratorBaseEENKUlvE0_clEvENKUlvE0_clEvEUlfE_EEvS4_RKT_EUlibE_EEviT1_
; %bb.0:
	v_mov_b32_e32 v1, 0
	global_load_ushort v1, v1, s[0:1] offset:33
	s_load_dwordx4 s[4:7], s[0:1], 0x8
	s_load_dwordx2 s[8:9], s[0:1], 0x18
	s_load_dword s38, s[0:1], 0x0
	v_lshl_or_b32 v5, s2, 9, v0
	v_or_b32_e32 v0, 0x180, v5
	s_mov_b64 s[10:11], 0
	s_mov_b64 s[12:13], 0
	s_waitcnt lgkmcnt(0)
	v_cmp_le_i32_e32 vcc, s38, v0
	s_waitcnt vmcnt(0)
	v_readfirstlane_b32 s33, v1
	s_and_b32 s0, 0xffff, s33
	s_lshr_b32 s42, s0, 8
	s_and_saveexec_b64 s[0:1], vcc
	s_xor_b64 s[2:3], exec, s[0:1]
	s_cbranch_execz .LBB88_1027
; %bb.1:
	v_cmp_gt_i32_e32 vcc, s38, v5
	s_mov_b64 s[18:19], -1
	s_mov_b64 s[20:21], 0
	s_mov_b64 s[14:15], 0
	s_and_saveexec_b64 s[16:17], vcc
	s_cbranch_execz .LBB88_252
; %bb.2:
	v_mul_lo_u32 v0, v5, s9
	v_ashrrev_i32_e32 v1, 31, v0
	s_and_b32 s22, 0xffff, s42
	s_cmp_lt_i32 s22, 11
	v_lshl_add_u64 v[0:1], s[6:7], 0, v[0:1]
	s_cbranch_scc1 .LBB88_9
; %bb.3:
	s_cmp_gt_i32 s22, 25
	s_cbranch_scc0 .LBB88_18
; %bb.4:
	s_cmp_gt_i32 s22, 28
	s_cbranch_scc0 .LBB88_22
	;; [unrolled: 3-line block ×4, first 2 shown]
; %bb.7:
	s_cmp_eq_u32 s22, 46
	s_cbranch_scc0 .LBB88_28
; %bb.8:
	global_load_dword v2, v[0:1], off
	s_mov_b64 s[0:1], -1
	s_waitcnt vmcnt(0)
	v_lshlrev_b32_e32 v2, 16, v2
	s_branch .LBB88_30
.LBB88_9:
                                        ; implicit-def: $vgpr2
	s_mov_b64 s[0:1], 0
	s_cbranch_execnz .LBB88_203
.LBB88_10:
	s_andn2_b64 vcc, exec, s[0:1]
	s_cbranch_vccnz .LBB88_250
.LBB88_11:
	s_waitcnt vmcnt(0)
	v_mul_f32_e32 v0, 0x3fb8aa3b, v2
	s_mov_b32 s0, 0x3fb8aa3b
	v_rndne_f32_e32 v1, v0
	v_sub_f32_e32 v3, v0, v1
	v_fma_f32 v0, v2, s0, -v0
	v_fmamk_f32 v0, v2, 0x32a5705f, v0
	v_add_f32_e32 v0, v3, v0
	v_exp_f32_e32 v0, v0
	v_cvt_i32_f32_e32 v1, v1
	s_mov_b32 s0, 0xc2ce8ed0
	v_cmp_ngt_f32_e32 vcc, s0, v2
	s_mov_b32 s0, 0x42b17218
	v_ldexp_f32 v0, v0, v1
	v_cndmask_b32_e32 v0, 0, v0, vcc
	v_mov_b32_e32 v1, 0x7f800000
	v_cmp_nlt_f32_e32 vcc, s0, v2
	s_and_b32 s24, s33, 0xff
	s_cmp_lt_i32 s24, 11
	v_cndmask_b32_e32 v2, v1, v0, vcc
	v_mul_lo_u32 v0, v5, s8
	v_ashrrev_i32_e32 v1, 31, v0
	v_lshl_add_u64 v[0:1], s[4:5], 0, v[0:1]
	s_cbranch_scc1 .LBB88_19
; %bb.12:
	s_and_b32 s25, 0xffff, s24
	s_cmp_gt_i32 s25, 25
	s_cbranch_scc0 .LBB88_23
; %bb.13:
	s_cmp_gt_i32 s25, 28
	s_cbranch_scc0 .LBB88_25
; %bb.14:
	;; [unrolled: 3-line block ×4, first 2 shown]
	s_mov_b64 s[18:19], 0
	s_mov_b64 s[0:1], -1
	s_cmp_eq_u32 s25, 46
	s_mov_b64 s[12:13], 0
	s_cbranch_scc0 .LBB88_34
; %bb.17:
	v_bfe_u32 v3, v2, 16, 1
	s_movk_i32 s0, 0x7fff
	v_add3_u32 v3, v2, v3, s0
	v_cmp_o_f32_e32 vcc, v2, v2
	v_mov_b32_e32 v4, 0x7fc0
	s_mov_b64 s[12:13], -1
	v_cndmask_b32_sdwa v3, v4, v3, vcc dst_sel:DWORD dst_unused:UNUSED_PAD src0_sel:DWORD src1_sel:WORD_1
	global_store_dword v[0:1], v3, off
	s_mov_b64 s[0:1], 0
	s_branch .LBB88_34
.LBB88_18:
	s_mov_b64 s[0:1], 0
                                        ; implicit-def: $vgpr2
	s_cbranch_execnz .LBB88_168
	s_branch .LBB88_202
.LBB88_19:
	s_mov_b64 s[0:1], 0
	s_mov_b64 s[12:13], 0
	s_cbranch_execnz .LBB88_103
.LBB88_20:
	s_andn2_b64 vcc, exec, s[12:13]
	s_cbranch_vccnz .LBB88_141
.LBB88_21:
	v_add_u32_e32 v5, 0x80, v5
	s_mov_b64 s[18:19], -1
	s_branch .LBB88_251
.LBB88_22:
	s_mov_b64 s[12:13], -1
	s_mov_b64 s[0:1], 0
                                        ; implicit-def: $vgpr2
	s_branch .LBB88_149
.LBB88_23:
	s_mov_b64 s[18:19], -1
	s_mov_b64 s[0:1], 0
	s_mov_b64 s[12:13], 0
	s_branch .LBB88_61
.LBB88_24:
	s_mov_b64 s[12:13], -1
	s_mov_b64 s[0:1], 0
                                        ; implicit-def: $vgpr2
	s_branch .LBB88_144
.LBB88_25:
	s_mov_b64 s[18:19], -1
	s_mov_b64 s[0:1], 0
	s_mov_b64 s[12:13], 0
	s_branch .LBB88_44
.LBB88_26:
	s_mov_b64 s[12:13], -1
	s_branch .LBB88_29
.LBB88_27:
	s_mov_b64 s[18:19], -1
	s_mov_b64 s[0:1], 0
	s_mov_b64 s[12:13], 0
	s_branch .LBB88_40
.LBB88_28:
	s_mov_b64 s[14:15], -1
.LBB88_29:
	s_mov_b64 s[0:1], 0
                                        ; implicit-def: $vgpr2
.LBB88_30:
	s_and_b64 vcc, exec, s[12:13]
	s_cbranch_vccz .LBB88_143
; %bb.31:
	s_cmp_eq_u32 s22, 44
	s_cbranch_scc0 .LBB88_142
; %bb.32:
	global_load_ubyte v2, v[0:1], off
	s_movk_i32 s12, 0xff
	v_mov_b32_e32 v3, 0x7f800001
	v_mov_b32_e32 v4, 0x400000
	s_mov_b64 s[0:1], -1
	s_mov_b64 s[14:15], 0
	s_waitcnt vmcnt(0)
	v_lshlrev_b32_e32 v6, 23, v2
	v_cmp_ne_u32_e32 vcc, s12, v2
	s_nop 1
	v_cndmask_b32_e32 v3, v3, v6, vcc
	v_cmp_ne_u32_e32 vcc, 0, v2
	s_nop 1
	v_cndmask_b32_e32 v2, v4, v3, vcc
	s_branch .LBB88_143
.LBB88_33:
	s_mov_b64 s[18:19], -1
	s_mov_b64 s[0:1], 0
	s_mov_b64 s[12:13], 0
.LBB88_34:
	s_and_b64 vcc, exec, s[18:19]
	s_cbranch_vccz .LBB88_39
; %bb.35:
	s_cmp_eq_u32 s25, 44
	s_mov_b64 s[0:1], -1
	s_cbranch_scc0 .LBB88_39
; %bb.36:
	v_bfe_u32 v3, v2, 23, 8
	s_movk_i32 s0, 0xff
	v_cmp_ne_u32_e32 vcc, s0, v3
	v_mov_b32_e32 v4, 0xff
	s_and_saveexec_b64 s[12:13], vcc
; %bb.37:
	s_mov_b32 s0, 0x3fffff
	v_and_b32_e32 v6, 0x400000, v2
	v_and_or_b32 v3, v2, s0, v3
	v_cmp_ne_u32_e32 vcc, 0, v6
	v_cmp_ne_u32_e64 s[0:1], 0, v3
	s_and_b64 s[0:1], vcc, s[0:1]
	v_lshrrev_b32_e32 v4, 23, v2
	v_cndmask_b32_e64 v3, 0, 1, s[0:1]
	v_add_u32_e32 v4, v4, v3
; %bb.38:
	s_or_b64 exec, exec, s[12:13]
	s_mov_b64 s[12:13], -1
	s_mov_b64 s[0:1], 0
	global_store_byte v[0:1], v4, off
.LBB88_39:
	s_mov_b64 s[18:19], 0
.LBB88_40:
	s_and_b64 vcc, exec, s[18:19]
	s_cbranch_vccz .LBB88_43
; %bb.41:
	s_cmp_eq_u32 s25, 29
	s_mov_b64 s[0:1], -1
	s_cbranch_scc0 .LBB88_43
; %bb.42:
	v_trunc_f32_e32 v3, v2
	v_mul_f32_e32 v4, 0x2f800000, v3
	v_floor_f32_e32 v4, v4
	v_fmamk_f32 v3, v4, 0xcf800000, v3
	v_cvt_u32_f32_e32 v7, v4
	v_cvt_u32_f32_e32 v6, v3
	s_mov_b64 s[12:13], -1
	s_mov_b64 s[0:1], 0
	s_mov_b64 s[18:19], 0
	global_store_dwordx2 v[0:1], v[6:7], off
	s_branch .LBB88_44
.LBB88_43:
	s_mov_b64 s[18:19], 0
.LBB88_44:
	s_and_b64 vcc, exec, s[18:19]
	s_cbranch_vccz .LBB88_60
; %bb.45:
	s_cmp_lt_i32 s25, 27
	s_mov_b64 s[12:13], -1
	s_cbranch_scc1 .LBB88_51
; %bb.46:
	v_cvt_u32_f32_e32 v3, v2
	s_cmp_gt_i32 s25, 27
	s_cbranch_scc0 .LBB88_48
; %bb.47:
	s_mov_b64 s[12:13], 0
	global_store_dword v[0:1], v3, off
.LBB88_48:
	s_andn2_b64 vcc, exec, s[12:13]
	s_cbranch_vccnz .LBB88_50
; %bb.49:
	global_store_short v[0:1], v3, off
.LBB88_50:
	s_mov_b64 s[12:13], 0
.LBB88_51:
	s_andn2_b64 vcc, exec, s[12:13]
	s_cbranch_vccnz .LBB88_59
; %bb.52:
	v_and_b32_e32 v3, 0x7fffffff, v2
	s_mov_b32 s12, 0x43800000
	v_cmp_gt_u32_e32 vcc, s12, v3
	v_mov_b32_e32 v4, 0x80
	s_and_saveexec_b64 s[12:13], vcc
	s_cbranch_execz .LBB88_58
; %bb.53:
	s_mov_b32 s18, 0x3bffffff
	v_cmp_lt_u32_e32 vcc, s18, v3
	s_mov_b64 s[18:19], 0
                                        ; implicit-def: $vgpr3
	s_and_saveexec_b64 s[22:23], vcc
	s_xor_b64 s[22:23], exec, s[22:23]
	s_cbranch_execz .LBB88_279
; %bb.54:
	v_bfe_u32 v3, v2, 20, 1
	s_mov_b32 s26, 0x487ffff
	v_add3_u32 v3, v2, v3, s26
	s_mov_b64 s[18:19], exec
	v_lshrrev_b32_e32 v3, 20, v3
	s_andn2_saveexec_b64 s[22:23], s[22:23]
	s_cbranch_execnz .LBB88_280
.LBB88_55:
	s_or_b64 exec, exec, s[22:23]
	v_mov_b32_e32 v4, 0
	s_and_saveexec_b64 s[22:23], s[18:19]
.LBB88_56:
	v_lshrrev_b32_e32 v4, 24, v2
	s_movk_i32 s18, 0x80
	v_and_or_b32 v4, v4, s18, v3
.LBB88_57:
	s_or_b64 exec, exec, s[22:23]
.LBB88_58:
	s_or_b64 exec, exec, s[12:13]
	global_store_byte v[0:1], v4, off
.LBB88_59:
	s_mov_b64 s[12:13], -1
.LBB88_60:
	s_mov_b64 s[18:19], 0
.LBB88_61:
	s_and_b64 vcc, exec, s[18:19]
	s_cbranch_vccz .LBB88_102
; %bb.62:
	s_cmp_gt_i32 s25, 22
	s_mov_b64 s[18:19], -1
	s_cbranch_scc0 .LBB88_94
; %bb.63:
	s_cmp_lt_i32 s25, 24
	s_mov_b64 s[12:13], -1
	s_cbranch_scc1 .LBB88_83
; %bb.64:
	s_cmp_gt_i32 s25, 24
	s_cbranch_scc0 .LBB88_72
; %bb.65:
	v_and_b32_e32 v3, 0x7fffffff, v2
	s_mov_b32 s12, 0x47800000
	v_cmp_gt_u32_e32 vcc, s12, v3
	v_mov_b32_e32 v4, 0x80
	s_and_saveexec_b64 s[12:13], vcc
	s_cbranch_execz .LBB88_71
; %bb.66:
	s_mov_b32 s18, 0x37ffffff
	v_cmp_lt_u32_e32 vcc, s18, v3
	s_mov_b64 s[18:19], 0
                                        ; implicit-def: $vgpr3
	s_and_saveexec_b64 s[22:23], vcc
	s_xor_b64 s[22:23], exec, s[22:23]
	s_cbranch_execz .LBB88_283
; %bb.67:
	v_bfe_u32 v3, v2, 21, 1
	s_mov_b32 s26, 0x88fffff
	v_add3_u32 v3, v2, v3, s26
	s_mov_b64 s[18:19], exec
	v_lshrrev_b32_e32 v3, 21, v3
	s_andn2_saveexec_b64 s[22:23], s[22:23]
	s_cbranch_execnz .LBB88_284
.LBB88_68:
	s_or_b64 exec, exec, s[22:23]
	v_mov_b32_e32 v4, 0
	s_and_saveexec_b64 s[22:23], s[18:19]
.LBB88_69:
	v_lshrrev_b32_e32 v4, 24, v2
	s_movk_i32 s18, 0x80
	v_and_or_b32 v4, v4, s18, v3
.LBB88_70:
	s_or_b64 exec, exec, s[22:23]
.LBB88_71:
	s_or_b64 exec, exec, s[12:13]
	s_mov_b64 s[12:13], 0
	global_store_byte v[0:1], v4, off
.LBB88_72:
	s_and_b64 vcc, exec, s[12:13]
	s_cbranch_vccz .LBB88_82
; %bb.73:
	v_and_b32_e32 v4, 0x7fffffff, v2
	s_mov_b32 s12, 0x43f00000
	v_cmp_gt_u32_e32 vcc, s12, v4
                                        ; implicit-def: $vgpr3
	s_and_saveexec_b64 s[12:13], vcc
	s_xor_b64 s[12:13], exec, s[12:13]
	s_cbranch_execz .LBB88_79
; %bb.74:
	s_mov_b32 s18, 0x3c7fffff
	v_cmp_lt_u32_e32 vcc, s18, v4
                                        ; implicit-def: $vgpr3
	s_and_saveexec_b64 s[18:19], vcc
	s_xor_b64 s[18:19], exec, s[18:19]
; %bb.75:
	v_bfe_u32 v3, v2, 20, 1
	s_mov_b32 s22, 0x407ffff
	v_add3_u32 v3, v2, v3, s22
	v_lshrrev_b32_e32 v4, 20, v3
	v_and_b32_e32 v3, 0xff00000, v3
	s_mov_b32 s22, 0x7f00000
	v_mov_b32_e32 v6, 0x7e
	v_cmp_ne_u32_e32 vcc, s22, v3
	s_nop 1
	v_cndmask_b32_e32 v3, v6, v4, vcc
; %bb.76:
	s_andn2_saveexec_b64 s[18:19], s[18:19]
; %bb.77:
	s_mov_b32 s22, 0x46800000
	v_add_f32_e64 v3, |v2|, s22
; %bb.78:
	s_or_b64 exec, exec, s[18:19]
                                        ; implicit-def: $vgpr4
.LBB88_79:
	s_andn2_saveexec_b64 s[12:13], s[12:13]
; %bb.80:
	s_mov_b32 s18, 0x7f800000
	v_mov_b32_e32 v3, 0x7e
	v_mov_b32_e32 v6, 0x7f
	v_cmp_lt_u32_e32 vcc, s18, v4
	s_nop 1
	v_cndmask_b32_e32 v3, v3, v6, vcc
; %bb.81:
	s_or_b64 exec, exec, s[12:13]
	v_lshrrev_b32_e32 v4, 24, v2
	s_movk_i32 s12, 0x80
	v_and_or_b32 v3, v4, s12, v3
	global_store_byte v[0:1], v3, off
.LBB88_82:
	s_mov_b64 s[12:13], 0
.LBB88_83:
	s_andn2_b64 vcc, exec, s[12:13]
	s_cbranch_vccnz .LBB88_93
; %bb.84:
	v_and_b32_e32 v4, 0x7fffffff, v2
	s_mov_b32 s12, 0x47800000
	v_cmp_gt_u32_e32 vcc, s12, v4
                                        ; implicit-def: $vgpr3
	s_and_saveexec_b64 s[12:13], vcc
	s_xor_b64 s[12:13], exec, s[12:13]
	s_cbranch_execz .LBB88_90
; %bb.85:
	s_mov_b32 s18, 0x387fffff
	v_cmp_lt_u32_e32 vcc, s18, v4
                                        ; implicit-def: $vgpr3
	s_and_saveexec_b64 s[18:19], vcc
	s_xor_b64 s[18:19], exec, s[18:19]
; %bb.86:
	v_bfe_u32 v3, v2, 21, 1
	s_mov_b32 s22, 0x80fffff
	v_add3_u32 v3, v2, v3, s22
	v_lshrrev_b32_e32 v3, 21, v3
; %bb.87:
	s_andn2_saveexec_b64 s[18:19], s[18:19]
; %bb.88:
	s_mov_b32 s22, 0x43000000
	v_add_f32_e64 v3, |v2|, s22
; %bb.89:
	s_or_b64 exec, exec, s[18:19]
                                        ; implicit-def: $vgpr4
.LBB88_90:
	s_andn2_saveexec_b64 s[12:13], s[12:13]
; %bb.91:
	s_mov_b32 s18, 0x7f800000
	v_mov_b32_e32 v3, 0x7c
	v_mov_b32_e32 v6, 0x7f
	v_cmp_lt_u32_e32 vcc, s18, v4
	s_nop 1
	v_cndmask_b32_e32 v3, v3, v6, vcc
; %bb.92:
	s_or_b64 exec, exec, s[12:13]
	v_lshrrev_b32_e32 v4, 24, v2
	s_movk_i32 s12, 0x80
	v_and_or_b32 v3, v4, s12, v3
	global_store_byte v[0:1], v3, off
.LBB88_93:
	s_mov_b64 s[18:19], 0
	s_mov_b64 s[12:13], -1
.LBB88_94:
	s_andn2_b64 vcc, exec, s[18:19]
	s_cbranch_vccnz .LBB88_102
; %bb.95:
	s_cmp_gt_i32 s25, 14
	s_mov_b64 s[18:19], -1
	s_cbranch_scc0 .LBB88_99
; %bb.96:
	s_cmp_eq_u32 s25, 15
	s_mov_b64 s[0:1], -1
	s_cbranch_scc0 .LBB88_98
; %bb.97:
	v_bfe_u32 v3, v2, 16, 1
	s_movk_i32 s0, 0x7fff
	v_add3_u32 v3, v2, v3, s0
	v_cmp_o_f32_e32 vcc, v2, v2
	v_mov_b32_e32 v4, 0x7fc0
	s_mov_b64 s[12:13], -1
	v_cndmask_b32_sdwa v3, v4, v3, vcc dst_sel:DWORD dst_unused:UNUSED_PAD src0_sel:DWORD src1_sel:WORD_1
	global_store_short v[0:1], v3, off
	s_mov_b64 s[0:1], 0
.LBB88_98:
	s_mov_b64 s[18:19], 0
.LBB88_99:
	s_and_b64 vcc, exec, s[18:19]
	s_cbranch_vccz .LBB88_102
; %bb.100:
	s_cmp_eq_u32 s25, 11
	s_mov_b64 s[0:1], -1
	s_cbranch_scc0 .LBB88_102
; %bb.101:
	v_cmp_neq_f32_e32 vcc, 0, v2
	s_mov_b64 s[12:13], -1
	s_mov_b64 s[0:1], 0
	v_cndmask_b32_e64 v3, 0, 1, vcc
	global_store_byte v[0:1], v3, off
.LBB88_102:
	s_branch .LBB88_20
.LBB88_103:
	s_and_b32 s18, 0xffff, s24
	s_cmp_lt_i32 s18, 5
	s_mov_b64 s[12:13], -1
	s_cbranch_scc1 .LBB88_124
; %bb.104:
	s_cmp_lt_i32 s18, 8
	s_cbranch_scc1 .LBB88_114
; %bb.105:
	s_cmp_lt_i32 s18, 9
	s_cbranch_scc1 .LBB88_111
; %bb.106:
	s_cmp_gt_i32 s18, 9
	s_cbranch_scc0 .LBB88_108
; %bb.107:
	v_mov_b32_e32 v8, 0
	v_cvt_f64_f32_e32 v[6:7], v2
	v_mov_b32_e32 v9, v8
	global_store_dwordx4 v[0:1], v[6:9], off
	s_mov_b64 s[12:13], 0
.LBB88_108:
	s_andn2_b64 vcc, exec, s[12:13]
	s_cbranch_vccnz .LBB88_110
; %bb.109:
	v_mov_b32_e32 v3, 0
	global_store_dwordx2 v[0:1], v[2:3], off
.LBB88_110:
	s_mov_b64 s[12:13], 0
.LBB88_111:
	s_andn2_b64 vcc, exec, s[12:13]
	s_cbranch_vccnz .LBB88_113
; %bb.112:
	v_cvt_f16_f32_e32 v3, v2
	global_store_dword v[0:1], v3, off
.LBB88_113:
	s_mov_b64 s[12:13], 0
.LBB88_114:
	s_andn2_b64 vcc, exec, s[12:13]
	s_cbranch_vccnz .LBB88_123
; %bb.115:
	s_cmp_lt_i32 s18, 6
	s_mov_b64 s[12:13], -1
	s_cbranch_scc1 .LBB88_121
; %bb.116:
	s_cmp_gt_i32 s18, 6
	s_cbranch_scc0 .LBB88_118
; %bb.117:
	v_cvt_f64_f32_e32 v[6:7], v2
	global_store_dwordx2 v[0:1], v[6:7], off
	s_mov_b64 s[12:13], 0
.LBB88_118:
	s_andn2_b64 vcc, exec, s[12:13]
	s_cbranch_vccnz .LBB88_120
; %bb.119:
	global_store_dword v[0:1], v2, off
.LBB88_120:
	s_mov_b64 s[12:13], 0
.LBB88_121:
	s_andn2_b64 vcc, exec, s[12:13]
	s_cbranch_vccnz .LBB88_123
; %bb.122:
	v_cvt_f16_f32_e32 v3, v2
	global_store_short v[0:1], v3, off
.LBB88_123:
	s_mov_b64 s[12:13], 0
.LBB88_124:
	s_andn2_b64 vcc, exec, s[12:13]
	s_cbranch_vccnz .LBB88_140
; %bb.125:
	s_cmp_lt_i32 s18, 2
	s_mov_b64 s[12:13], -1
	s_cbranch_scc1 .LBB88_135
; %bb.126:
	s_cmp_lt_i32 s18, 3
	s_cbranch_scc1 .LBB88_132
; %bb.127:
	s_cmp_gt_i32 s18, 3
	s_cbranch_scc0 .LBB88_129
; %bb.128:
	v_trunc_f32_e32 v3, v2
	s_mov_b32 s12, 0x2f800000
	v_mul_f32_e64 v4, |v3|, s12
	v_floor_f32_e32 v4, v4
	s_mov_b32 s12, 0xcf800000
	v_cvt_u32_f32_e32 v6, v4
	v_fma_f32 v4, v4, s12, |v3|
	v_cvt_u32_f32_e32 v4, v4
	v_ashrrev_i32_e32 v3, 31, v3
	v_xor_b32_e32 v7, v6, v3
	s_mov_b64 s[12:13], 0
	v_xor_b32_e32 v4, v4, v3
	v_sub_co_u32_e32 v6, vcc, v4, v3
	s_nop 1
	v_subb_co_u32_e32 v7, vcc, v7, v3, vcc
	global_store_dwordx2 v[0:1], v[6:7], off
.LBB88_129:
	s_andn2_b64 vcc, exec, s[12:13]
	s_cbranch_vccnz .LBB88_131
; %bb.130:
	v_cvt_i32_f32_e32 v3, v2
	global_store_dword v[0:1], v3, off
.LBB88_131:
	s_mov_b64 s[12:13], 0
.LBB88_132:
	s_andn2_b64 vcc, exec, s[12:13]
	s_cbranch_vccnz .LBB88_134
; %bb.133:
	v_cvt_i32_f32_e32 v3, v2
	global_store_short v[0:1], v3, off
.LBB88_134:
	s_mov_b64 s[12:13], 0
.LBB88_135:
	s_andn2_b64 vcc, exec, s[12:13]
	s_cbranch_vccnz .LBB88_140
; %bb.136:
	s_cmp_gt_i32 s18, 0
	s_mov_b64 s[12:13], -1
	s_cbranch_scc0 .LBB88_138
; %bb.137:
	v_cvt_i32_f32_e32 v3, v2
	s_mov_b64 s[12:13], 0
	global_store_byte v[0:1], v3, off
.LBB88_138:
	s_andn2_b64 vcc, exec, s[12:13]
	s_cbranch_vccnz .LBB88_140
; %bb.139:
	v_trunc_f32_e32 v2, v2
	s_mov_b32 s12, 0x2f800000
	v_mul_f32_e64 v3, |v2|, s12
	v_floor_f32_e32 v3, v3
	s_mov_b32 s12, 0xcf800000
	v_fma_f32 v3, v3, s12, |v2|
	v_cvt_u32_f32_e32 v3, v3
	v_ashrrev_i32_e32 v2, 31, v2
	v_xor_b32_e32 v3, v3, v2
	v_sub_u32_e32 v2, v3, v2
	global_store_byte v[0:1], v2, off
.LBB88_140:
	s_branch .LBB88_21
.LBB88_141:
	s_mov_b64 s[18:19], 0
                                        ; implicit-def: $vgpr5
	s_branch .LBB88_251
.LBB88_142:
	s_mov_b64 s[14:15], -1
                                        ; implicit-def: $vgpr2
.LBB88_143:
	s_mov_b64 s[12:13], 0
.LBB88_144:
	s_and_b64 vcc, exec, s[12:13]
	s_cbranch_vccz .LBB88_148
; %bb.145:
	s_cmp_eq_u32 s22, 29
	s_cbranch_scc0 .LBB88_147
; %bb.146:
	global_load_dwordx2 v[2:3], v[0:1], off
	s_mov_b64 s[0:1], -1
	s_mov_b64 s[14:15], 0
	s_mov_b64 s[12:13], 0
	s_waitcnt vmcnt(0)
	v_ffbh_u32_e32 v4, v3
	v_min_u32_e32 v4, 32, v4
	v_lshlrev_b64 v[2:3], v4, v[2:3]
	v_min_u32_e32 v2, 1, v2
	v_or_b32_e32 v2, v3, v2
	v_cvt_f32_u32_e32 v2, v2
	v_sub_u32_e32 v3, 32, v4
	v_ldexp_f32 v2, v2, v3
	s_branch .LBB88_149
.LBB88_147:
	s_mov_b64 s[14:15], -1
                                        ; implicit-def: $vgpr2
.LBB88_148:
	s_mov_b64 s[12:13], 0
.LBB88_149:
	s_and_b64 vcc, exec, s[12:13]
	s_cbranch_vccz .LBB88_167
; %bb.150:
	s_cmp_lt_i32 s22, 27
	s_cbranch_scc1 .LBB88_153
; %bb.151:
	s_cmp_gt_i32 s22, 27
	s_cbranch_scc0 .LBB88_154
; %bb.152:
	global_load_dword v2, v[0:1], off
	s_mov_b64 s[0:1], 0
	s_waitcnt vmcnt(0)
	v_cvt_f32_u32_e32 v2, v2
	s_branch .LBB88_155
.LBB88_153:
	s_mov_b64 s[0:1], -1
                                        ; implicit-def: $vgpr2
	s_branch .LBB88_158
.LBB88_154:
	s_mov_b64 s[0:1], -1
                                        ; implicit-def: $vgpr2
.LBB88_155:
	s_andn2_b64 vcc, exec, s[0:1]
	s_cbranch_vccnz .LBB88_157
; %bb.156:
	global_load_ushort v2, v[0:1], off
	s_waitcnt vmcnt(0)
	v_cvt_f32_u32_e32 v2, v2
.LBB88_157:
	s_mov_b64 s[0:1], 0
.LBB88_158:
	s_andn2_b64 vcc, exec, s[0:1]
	s_cbranch_vccnz .LBB88_166
; %bb.159:
	global_load_ubyte v3, v[0:1], off
	s_movk_i32 s0, 0x7f
	s_waitcnt vmcnt(0)
	v_cmp_lt_i16_e32 vcc, s0, v3
	s_mov_b64 s[0:1], 0
	s_and_saveexec_b64 s[12:13], vcc
	s_xor_b64 s[12:13], exec, s[12:13]
	s_cbranch_execz .LBB88_179
; %bb.160:
	s_movk_i32 s0, 0x80
	v_cmp_eq_u16_e32 vcc, s0, v3
	s_mov_b64 s[0:1], -1
	s_and_saveexec_b64 s[18:19], vcc
; %bb.161:
	s_xor_b64 s[0:1], exec, -1
; %bb.162:
	s_or_b64 exec, exec, s[18:19]
	s_and_b64 s[0:1], s[0:1], exec
	s_or_saveexec_b64 s[12:13], s[12:13]
	v_mov_b32_e32 v2, 0x7f800001
	s_xor_b64 exec, exec, s[12:13]
	s_cbranch_execnz .LBB88_180
.LBB88_163:
	s_or_b64 exec, exec, s[12:13]
	s_and_saveexec_b64 s[12:13], s[0:1]
	s_cbranch_execz .LBB88_165
.LBB88_164:
	v_lshlrev_b32_e32 v2, 24, v3
	v_and_b32_e32 v3, 0xffff, v3
	v_and_b32_e32 v4, 7, v3
	v_ffbh_u32_e32 v7, v4
	v_min_u32_e32 v7, 32, v7
	v_subrev_u32_e32 v8, 28, v7
	v_bfe_u32 v6, v3, 3, 4
	v_lshlrev_b32_e32 v3, v8, v3
	v_sub_u32_e32 v7, 29, v7
	v_and_b32_e32 v3, 7, v3
	v_cmp_eq_u32_e32 vcc, 0, v6
	v_and_b32_e32 v2, 0x80000000, v2
	s_nop 0
	v_cndmask_b32_e32 v6, v6, v7, vcc
	v_cndmask_b32_e32 v3, v4, v3, vcc
	v_mov_b32_e32 v4, 0x3b800000
	v_lshlrev_b32_e32 v3, 20, v3
	v_lshl_add_u32 v4, v6, 23, v4
	v_or3_b32 v2, v2, v4, v3
.LBB88_165:
	s_or_b64 exec, exec, s[12:13]
.LBB88_166:
	s_mov_b64 s[0:1], -1
.LBB88_167:
	s_branch .LBB88_202
.LBB88_168:
	s_cmp_gt_i32 s22, 22
	s_cbranch_scc0 .LBB88_178
; %bb.169:
	s_cmp_lt_i32 s22, 24
	s_cbranch_scc1 .LBB88_181
; %bb.170:
	s_cmp_gt_i32 s22, 24
	s_cbranch_scc0 .LBB88_182
; %bb.171:
	global_load_ubyte v3, v[0:1], off
	s_movk_i32 s0, 0x7f
	s_waitcnt vmcnt(0)
	v_cmp_lt_i16_e32 vcc, s0, v3
	s_mov_b64 s[0:1], 0
	s_and_saveexec_b64 s[12:13], vcc
	s_xor_b64 s[12:13], exec, s[12:13]
	s_cbranch_execz .LBB88_194
; %bb.172:
	s_movk_i32 s0, 0x80
	v_cmp_eq_u16_e32 vcc, s0, v3
	s_mov_b64 s[0:1], -1
	s_and_saveexec_b64 s[18:19], vcc
; %bb.173:
	s_xor_b64 s[0:1], exec, -1
; %bb.174:
	s_or_b64 exec, exec, s[18:19]
	s_and_b64 s[0:1], s[0:1], exec
	s_or_saveexec_b64 s[12:13], s[12:13]
	v_mov_b32_e32 v2, 0x7f800001
	s_xor_b64 exec, exec, s[12:13]
	s_cbranch_execnz .LBB88_195
.LBB88_175:
	s_or_b64 exec, exec, s[12:13]
	s_and_saveexec_b64 s[12:13], s[0:1]
	s_cbranch_execz .LBB88_177
.LBB88_176:
	v_lshlrev_b32_e32 v2, 24, v3
	v_and_b32_e32 v3, 0xffff, v3
	v_and_b32_e32 v4, 3, v3
	v_ffbh_u32_e32 v7, v4
	v_min_u32_e32 v7, 32, v7
	v_subrev_u32_e32 v8, 29, v7
	v_bfe_u32 v6, v3, 2, 5
	v_lshlrev_b32_e32 v3, v8, v3
	v_sub_u32_e32 v7, 30, v7
	v_and_b32_e32 v3, 3, v3
	v_cmp_eq_u32_e32 vcc, 0, v6
	v_and_b32_e32 v2, 0x80000000, v2
	s_nop 0
	v_cndmask_b32_e32 v6, v6, v7, vcc
	v_cndmask_b32_e32 v3, v4, v3, vcc
	v_mov_b32_e32 v4, 0x37800000
	v_lshlrev_b32_e32 v3, 21, v3
	v_lshl_add_u32 v4, v6, 23, v4
	v_or3_b32 v2, v2, v4, v3
.LBB88_177:
	s_or_b64 exec, exec, s[12:13]
	s_mov_b64 s[0:1], 0
	s_branch .LBB88_183
.LBB88_178:
	s_mov_b64 s[12:13], -1
                                        ; implicit-def: $vgpr2
	s_branch .LBB88_189
.LBB88_179:
	s_or_saveexec_b64 s[12:13], s[12:13]
	v_mov_b32_e32 v2, 0x7f800001
	s_xor_b64 exec, exec, s[12:13]
	s_cbranch_execz .LBB88_163
.LBB88_180:
	v_cmp_ne_u16_e32 vcc, 0, v3
	s_andn2_b64 s[0:1], s[0:1], exec
	s_and_b64 s[18:19], vcc, exec
	v_mov_b32_e32 v2, 0
	s_or_b64 s[0:1], s[0:1], s[18:19]
	s_or_b64 exec, exec, s[12:13]
	s_and_saveexec_b64 s[12:13], s[0:1]
	s_cbranch_execnz .LBB88_164
	s_branch .LBB88_165
.LBB88_181:
	s_mov_b64 s[0:1], -1
                                        ; implicit-def: $vgpr2
	s_branch .LBB88_186
.LBB88_182:
	s_mov_b64 s[0:1], -1
                                        ; implicit-def: $vgpr2
.LBB88_183:
	s_and_b64 vcc, exec, s[0:1]
	s_cbranch_vccz .LBB88_185
; %bb.184:
	global_load_ubyte v2, v[0:1], off
	s_mov_b32 s0, 0x7f800000
	s_waitcnt vmcnt(0)
	v_lshlrev_b32_e32 v2, 24, v2
	v_and_b32_e32 v3, 0x7f000000, v2
	v_ffbh_u32_e32 v4, v3
	v_min_u32_e32 v4, 32, v4
	v_sub_u32_e64 v4, v4, 4 clamp
	v_lshlrev_b32_e32 v7, v4, v3
	v_lshlrev_b32_e32 v4, 23, v4
	v_lshrrev_b32_e32 v7, 4, v7
	v_add_u32_e32 v6, 0x1000000, v3
	v_sub_u32_e32 v4, v7, v4
	v_ashrrev_i32_e32 v6, 8, v6
	v_add_u32_e32 v4, 0x3c000000, v4
	v_and_or_b32 v4, v6, s0, v4
	v_cmp_ne_u32_e32 vcc, 0, v3
	s_brev_b32 s0, 1
	s_nop 0
	v_cndmask_b32_e32 v3, 0, v4, vcc
	v_and_or_b32 v2, v2, s0, v3
.LBB88_185:
	s_mov_b64 s[0:1], 0
.LBB88_186:
	s_andn2_b64 vcc, exec, s[0:1]
	s_cbranch_vccnz .LBB88_188
; %bb.187:
	global_load_ubyte v2, v[0:1], off
	s_movk_i32 s0, 0x7f00
	s_brev_b32 s1, 16
	s_waitcnt vmcnt(0)
	v_lshlrev_b16_e32 v3, 8, v2
	v_lshlrev_b32_e32 v2, 25, v2
	v_lshrrev_b32_e32 v4, 4, v2
	v_and_or_b32 v6, v3, s0, 0.5
	v_or_b32_e32 v4, 0x70000000, v4
	v_add_f32_e32 v6, -0.5, v6
	v_mul_f32_e32 v4, 0x7800000, v4
	v_cmp_gt_u32_e32 vcc, s1, v2
	v_bfe_i32 v3, v3, 0, 16
	s_brev_b32 s0, 1
	v_cndmask_b32_e32 v2, v4, v6, vcc
	v_and_or_b32 v2, v3, s0, v2
.LBB88_188:
	s_mov_b64 s[12:13], 0
	s_mov_b64 s[0:1], -1
.LBB88_189:
	s_andn2_b64 vcc, exec, s[12:13]
	s_cbranch_vccnz .LBB88_202
; %bb.190:
	s_cmp_gt_i32 s22, 14
	s_cbranch_scc0 .LBB88_193
; %bb.191:
	s_cmp_eq_u32 s22, 15
	s_cbranch_scc0 .LBB88_196
; %bb.192:
	global_load_ushort v2, v[0:1], off
	s_mov_b64 s[0:1], -1
	s_mov_b64 s[14:15], 0
	s_waitcnt vmcnt(0)
	v_lshlrev_b32_e32 v2, 16, v2
	s_branch .LBB88_197
.LBB88_193:
	s_mov_b64 s[12:13], -1
                                        ; implicit-def: $vgpr2
	s_branch .LBB88_198
.LBB88_194:
	s_or_saveexec_b64 s[12:13], s[12:13]
	v_mov_b32_e32 v2, 0x7f800001
	s_xor_b64 exec, exec, s[12:13]
	s_cbranch_execz .LBB88_175
.LBB88_195:
	v_cmp_ne_u16_e32 vcc, 0, v3
	s_andn2_b64 s[0:1], s[0:1], exec
	s_and_b64 s[18:19], vcc, exec
	v_mov_b32_e32 v2, 0
	s_or_b64 s[0:1], s[0:1], s[18:19]
	s_or_b64 exec, exec, s[12:13]
	s_and_saveexec_b64 s[12:13], s[0:1]
	s_cbranch_execnz .LBB88_176
	s_branch .LBB88_177
.LBB88_196:
	s_mov_b64 s[14:15], -1
                                        ; implicit-def: $vgpr2
.LBB88_197:
	s_mov_b64 s[12:13], 0
.LBB88_198:
	s_and_b64 vcc, exec, s[12:13]
	s_cbranch_vccz .LBB88_202
; %bb.199:
	s_cmp_eq_u32 s22, 11
	s_cbranch_scc0 .LBB88_201
; %bb.200:
	global_load_ubyte v2, v[0:1], off
	s_mov_b64 s[0:1], -1
	s_mov_b64 s[14:15], 0
	s_waitcnt vmcnt(0)
	v_cmp_ne_u16_e32 vcc, 0, v2
	s_nop 1
	v_cndmask_b32_e64 v2, 0, 1.0, vcc
	s_branch .LBB88_202
.LBB88_201:
	s_mov_b64 s[14:15], -1
                                        ; implicit-def: $vgpr2
.LBB88_202:
	s_branch .LBB88_10
.LBB88_203:
	s_cmp_lt_i32 s22, 5
	s_cbranch_scc1 .LBB88_208
; %bb.204:
	s_cmp_lt_i32 s22, 8
	s_cbranch_scc1 .LBB88_209
; %bb.205:
	;; [unrolled: 3-line block ×3, first 2 shown]
	s_cmp_gt_i32 s22, 9
	s_cbranch_scc0 .LBB88_211
; %bb.207:
	global_load_dwordx2 v[2:3], v[0:1], off
	s_mov_b64 s[0:1], 0
	s_waitcnt vmcnt(0)
	v_cvt_f32_f64_e32 v2, v[2:3]
	s_branch .LBB88_212
.LBB88_208:
                                        ; implicit-def: $vgpr2
	s_branch .LBB88_230
.LBB88_209:
	s_mov_b64 s[0:1], -1
                                        ; implicit-def: $vgpr2
	s_branch .LBB88_218
.LBB88_210:
	s_mov_b64 s[0:1], -1
                                        ; implicit-def: $vgpr2
	s_branch .LBB88_215
.LBB88_211:
	s_mov_b64 s[0:1], -1
                                        ; implicit-def: $vgpr2
.LBB88_212:
	s_andn2_b64 vcc, exec, s[0:1]
	s_cbranch_vccnz .LBB88_214
; %bb.213:
	global_load_dword v2, v[0:1], off
.LBB88_214:
	s_mov_b64 s[0:1], 0
.LBB88_215:
	s_andn2_b64 vcc, exec, s[0:1]
	s_cbranch_vccnz .LBB88_217
; %bb.216:
	global_load_dword v2, v[0:1], off
	s_waitcnt vmcnt(0)
	v_cvt_f32_f16_e32 v2, v2
.LBB88_217:
	s_mov_b64 s[0:1], 0
.LBB88_218:
	s_andn2_b64 vcc, exec, s[0:1]
	s_cbranch_vccnz .LBB88_229
; %bb.219:
	s_cmp_lt_i32 s22, 6
	s_cbranch_scc1 .LBB88_222
; %bb.220:
	s_cmp_gt_i32 s22, 6
	s_cbranch_scc0 .LBB88_223
; %bb.221:
	global_load_dwordx2 v[2:3], v[0:1], off
	s_mov_b64 s[0:1], 0
	s_waitcnt vmcnt(0)
	v_cvt_f32_f64_e32 v2, v[2:3]
	s_branch .LBB88_224
.LBB88_222:
	s_mov_b64 s[0:1], -1
                                        ; implicit-def: $vgpr2
	s_branch .LBB88_227
.LBB88_223:
	s_mov_b64 s[0:1], -1
                                        ; implicit-def: $vgpr2
.LBB88_224:
	s_andn2_b64 vcc, exec, s[0:1]
	s_cbranch_vccnz .LBB88_226
; %bb.225:
	global_load_dword v2, v[0:1], off
.LBB88_226:
	s_mov_b64 s[0:1], 0
.LBB88_227:
	s_andn2_b64 vcc, exec, s[0:1]
	s_cbranch_vccnz .LBB88_229
; %bb.228:
	global_load_ushort v2, v[0:1], off
	s_waitcnt vmcnt(0)
	v_cvt_f32_f16_e32 v2, v2
.LBB88_229:
	s_cbranch_execnz .LBB88_249
.LBB88_230:
	s_cmp_lt_i32 s22, 2
	s_cbranch_scc1 .LBB88_234
; %bb.231:
	s_cmp_lt_i32 s22, 3
	s_cbranch_scc1 .LBB88_235
; %bb.232:
	s_cmp_gt_i32 s22, 3
	s_cbranch_scc0 .LBB88_236
; %bb.233:
	global_load_dwordx2 v[2:3], v[0:1], off
	s_mov_b64 s[0:1], 0
	s_waitcnt vmcnt(0)
	v_xor_b32_e32 v6, v2, v3
	v_ffbh_i32_e32 v4, v3
	v_ashrrev_i32_e32 v6, 31, v6
	v_add_u32_e32 v4, -1, v4
	v_add_u32_e32 v6, 32, v6
	v_min_u32_e32 v4, v4, v6
	v_lshlrev_b64 v[2:3], v4, v[2:3]
	v_min_u32_e32 v2, 1, v2
	v_or_b32_e32 v2, v3, v2
	v_cvt_f32_i32_e32 v2, v2
	v_sub_u32_e32 v3, 32, v4
	v_ldexp_f32 v2, v2, v3
	s_branch .LBB88_237
.LBB88_234:
	s_mov_b64 s[0:1], -1
                                        ; implicit-def: $vgpr2
	s_branch .LBB88_243
.LBB88_235:
	s_mov_b64 s[0:1], -1
                                        ; implicit-def: $vgpr2
	s_branch .LBB88_240
.LBB88_236:
	s_mov_b64 s[0:1], -1
                                        ; implicit-def: $vgpr2
.LBB88_237:
	s_andn2_b64 vcc, exec, s[0:1]
	s_cbranch_vccnz .LBB88_239
; %bb.238:
	global_load_dword v2, v[0:1], off
	s_waitcnt vmcnt(0)
	v_cvt_f32_i32_e32 v2, v2
.LBB88_239:
	s_mov_b64 s[0:1], 0
.LBB88_240:
	s_andn2_b64 vcc, exec, s[0:1]
	s_cbranch_vccnz .LBB88_242
; %bb.241:
	global_load_sshort v2, v[0:1], off
	s_waitcnt vmcnt(0)
	v_cvt_f32_i32_e32 v2, v2
.LBB88_242:
	s_mov_b64 s[0:1], 0
.LBB88_243:
	s_andn2_b64 vcc, exec, s[0:1]
	s_cbranch_vccnz .LBB88_249
; %bb.244:
	s_cmp_gt_i32 s22, 0
	s_cbranch_scc0 .LBB88_246
; %bb.245:
	global_load_sbyte v2, v[0:1], off
	s_mov_b64 s[0:1], 0
	s_waitcnt vmcnt(0)
	v_cvt_f32_i32_e32 v2, v2
	s_branch .LBB88_247
.LBB88_246:
	s_mov_b64 s[0:1], -1
                                        ; implicit-def: $vgpr2
.LBB88_247:
	s_andn2_b64 vcc, exec, s[0:1]
	s_cbranch_vccnz .LBB88_249
; %bb.248:
	global_load_ubyte v0, v[0:1], off
	s_waitcnt vmcnt(0)
	v_cvt_f32_ubyte0_e32 v2, v0
.LBB88_249:
	s_branch .LBB88_11
.LBB88_250:
	s_mov_b64 s[0:1], 0
                                        ; implicit-def: $vgpr5
	s_mov_b64 s[18:19], 0
.LBB88_251:
	s_and_b64 s[12:13], s[0:1], exec
	s_and_b64 s[14:15], s[14:15], exec
	s_orn2_b64 s[18:19], s[18:19], exec
.LBB88_252:
	s_or_b64 exec, exec, s[16:17]
	s_mov_b64 s[22:23], 0
	s_mov_b64 s[0:1], 0
                                        ; implicit-def: $vgpr0_vgpr1
                                        ; implicit-def: $vgpr3
	s_and_saveexec_b64 s[16:17], s[18:19]
	s_cbranch_execz .LBB88_261
; %bb.253:
	v_cmp_gt_i32_e32 vcc, s38, v5
	s_mov_b64 s[0:1], -1
	s_mov_b64 s[18:19], s[14:15]
	s_mov_b64 s[20:21], s[12:13]
	s_and_saveexec_b64 s[22:23], vcc
	s_cbranch_execz .LBB88_513
; %bb.254:
	v_mul_lo_u32 v0, v5, s9
	v_ashrrev_i32_e32 v1, 31, v0
	s_and_b32 s26, 0xffff, s42
	s_cmp_lt_i32 s26, 11
	v_lshl_add_u64 v[0:1], s[6:7], 0, v[0:1]
	s_cbranch_scc1 .LBB88_264
; %bb.255:
	s_cmp_gt_i32 s26, 25
	s_cbranch_scc0 .LBB88_273
; %bb.256:
	s_cmp_gt_i32 s26, 28
	s_cbranch_scc0 .LBB88_275
	;; [unrolled: 3-line block ×4, first 2 shown]
; %bb.259:
	s_cmp_eq_u32 s26, 46
	s_mov_b64 s[20:21], 0
	s_cbranch_scc0 .LBB88_285
; %bb.260:
	global_load_dword v2, v[0:1], off
	s_mov_b64 s[18:19], 0
	s_waitcnt vmcnt(0)
	v_lshlrev_b32_e32 v2, 16, v2
	s_branch .LBB88_286
.LBB88_261:
	s_or_b64 exec, exec, s[16:17]
	s_mov_b64 s[16:17], 0
	s_and_saveexec_b64 s[18:19], s[14:15]
	s_cbranch_execnz .LBB88_859
.LBB88_262:
	s_or_b64 exec, exec, s[18:19]
	s_and_saveexec_b64 s[14:15], s[20:21]
	s_xor_b64 s[14:15], exec, s[14:15]
	s_cbranch_execz .LBB88_860
.LBB88_263:
	global_load_ubyte v2, v[0:1], off
	s_or_b64 s[0:1], s[0:1], exec
	s_waitcnt vmcnt(0)
	v_cmp_ne_u16_e32 vcc, 0, v2
	s_nop 1
	v_cndmask_b32_e64 v3, 0, 1.0, vcc
	s_or_b64 exec, exec, s[14:15]
	s_and_saveexec_b64 s[14:15], s[22:23]
	s_cbranch_execz .LBB88_906
	s_branch .LBB88_861
.LBB88_264:
	s_mov_b64 s[0:1], 0
                                        ; implicit-def: $vgpr2
	s_mov_b64 s[18:19], s[14:15]
	s_cbranch_execnz .LBB88_463
.LBB88_265:
	s_andn2_b64 vcc, exec, s[0:1]
	s_cbranch_vccnz .LBB88_511
.LBB88_266:
	s_waitcnt vmcnt(0)
	v_mul_f32_e32 v0, 0x3fb8aa3b, v2
	s_mov_b32 s0, 0x3fb8aa3b
	v_rndne_f32_e32 v1, v0
	v_sub_f32_e32 v3, v0, v1
	v_fma_f32 v0, v2, s0, -v0
	v_fmamk_f32 v0, v2, 0x32a5705f, v0
	v_add_f32_e32 v0, v3, v0
	v_exp_f32_e32 v0, v0
	v_cvt_i32_f32_e32 v1, v1
	s_mov_b32 s0, 0xc2ce8ed0
	v_cmp_ngt_f32_e32 vcc, s0, v2
	s_mov_b32 s0, 0x42b17218
	v_ldexp_f32 v0, v0, v1
	v_cndmask_b32_e32 v0, 0, v0, vcc
	v_mov_b32_e32 v1, 0x7f800000
	v_cmp_nlt_f32_e32 vcc, s0, v2
	s_and_b32 s28, s33, 0xff
	s_cmp_lt_i32 s28, 11
	v_cndmask_b32_e32 v2, v1, v0, vcc
	v_mul_lo_u32 v0, v5, s8
	v_ashrrev_i32_e32 v1, 31, v0
	v_lshl_add_u64 v[0:1], s[4:5], 0, v[0:1]
	s_cbranch_scc1 .LBB88_274
; %bb.267:
	s_and_b32 s29, 0xffff, s28
	s_cmp_gt_i32 s29, 25
	s_cbranch_scc0 .LBB88_276
; %bb.268:
	s_cmp_gt_i32 s29, 28
	s_cbranch_scc0 .LBB88_278
; %bb.269:
	;; [unrolled: 3-line block ×4, first 2 shown]
	s_mov_b64 s[24:25], 0
	s_mov_b64 s[0:1], -1
	s_cmp_eq_u32 s29, 46
	s_mov_b64 s[20:21], 0
	s_cbranch_scc0 .LBB88_290
; %bb.272:
	v_bfe_u32 v3, v2, 16, 1
	s_movk_i32 s0, 0x7fff
	v_add3_u32 v3, v2, v3, s0
	v_cmp_o_f32_e32 vcc, v2, v2
	v_mov_b32_e32 v4, 0x7fc0
	s_mov_b64 s[20:21], -1
	v_cndmask_b32_sdwa v3, v4, v3, vcc dst_sel:DWORD dst_unused:UNUSED_PAD src0_sel:DWORD src1_sel:WORD_1
	global_store_dword v[0:1], v3, off
	s_mov_b64 s[0:1], 0
	s_branch .LBB88_290
.LBB88_273:
	s_mov_b64 s[20:21], -1
	s_mov_b64 s[0:1], 0
	s_mov_b64 s[18:19], s[14:15]
                                        ; implicit-def: $vgpr2
	s_branch .LBB88_427
.LBB88_274:
	s_mov_b64 s[24:25], -1
	s_mov_b64 s[20:21], 0
	s_mov_b64 s[0:1], s[12:13]
	s_branch .LBB88_359
.LBB88_275:
	s_mov_b64 s[20:21], -1
	s_mov_b64 s[0:1], 0
	s_mov_b64 s[18:19], s[14:15]
                                        ; implicit-def: $vgpr2
	s_branch .LBB88_408
.LBB88_276:
	s_mov_b64 s[24:25], -1
	s_mov_b64 s[20:21], 0
	s_mov_b64 s[0:1], s[12:13]
	s_branch .LBB88_317
.LBB88_277:
	s_mov_b64 s[20:21], -1
	s_mov_b64 s[0:1], 0
	s_mov_b64 s[18:19], s[14:15]
                                        ; implicit-def: $vgpr2
	s_branch .LBB88_403
.LBB88_278:
	s_mov_b64 s[24:25], -1
	s_mov_b64 s[20:21], 0
	s_mov_b64 s[0:1], s[12:13]
	s_branch .LBB88_300
.LBB88_279:
	s_andn2_saveexec_b64 s[22:23], s[22:23]
	s_cbranch_execz .LBB88_55
.LBB88_280:
	s_mov_b32 s26, 0x46000000
	v_add_f32_e64 v3, |v2|, s26
	v_and_b32_e32 v3, 0xff, v3
	v_cmp_ne_u32_e32 vcc, 0, v3
	s_andn2_b64 s[18:19], s[18:19], exec
	s_and_b64 s[26:27], vcc, exec
	s_or_b64 s[18:19], s[18:19], s[26:27]
	s_or_b64 exec, exec, s[22:23]
	v_mov_b32_e32 v4, 0
	s_and_saveexec_b64 s[22:23], s[18:19]
	s_cbranch_execnz .LBB88_56
	s_branch .LBB88_57
.LBB88_281:
	s_mov_b64 s[20:21], -1
	s_mov_b64 s[0:1], 0
	s_mov_b64 s[18:19], s[14:15]
                                        ; implicit-def: $vgpr2
	s_branch .LBB88_286
.LBB88_282:
	s_mov_b64 s[24:25], -1
	s_mov_b64 s[20:21], 0
	s_mov_b64 s[0:1], s[12:13]
	s_branch .LBB88_296
.LBB88_283:
	s_andn2_saveexec_b64 s[22:23], s[22:23]
	s_cbranch_execz .LBB88_68
.LBB88_284:
	s_mov_b32 s26, 0x42800000
	v_add_f32_e64 v3, |v2|, s26
	v_and_b32_e32 v3, 0xff, v3
	v_cmp_ne_u32_e32 vcc, 0, v3
	s_andn2_b64 s[18:19], s[18:19], exec
	s_and_b64 s[26:27], vcc, exec
	s_or_b64 s[18:19], s[18:19], s[26:27]
	s_or_b64 exec, exec, s[22:23]
	v_mov_b32_e32 v4, 0
	s_and_saveexec_b64 s[22:23], s[18:19]
	s_cbranch_execnz .LBB88_69
	s_branch .LBB88_70
.LBB88_285:
	s_mov_b64 s[18:19], -1
                                        ; implicit-def: $vgpr2
	s_mov_b64 s[0:1], 0
.LBB88_286:
	s_and_b64 vcc, exec, s[20:21]
	s_cbranch_vccz .LBB88_402
; %bb.287:
	s_cmp_eq_u32 s26, 44
	s_cbranch_scc0 .LBB88_401
; %bb.288:
	global_load_ubyte v2, v[0:1], off
	s_movk_i32 s18, 0xff
	v_mov_b32_e32 v3, 0x7f800001
	v_mov_b32_e32 v4, 0x400000
	s_mov_b64 s[0:1], -1
	s_waitcnt vmcnt(0)
	v_lshlrev_b32_e32 v6, 23, v2
	v_cmp_ne_u32_e32 vcc, s18, v2
	s_mov_b64 s[18:19], 0
	s_nop 0
	v_cndmask_b32_e32 v3, v3, v6, vcc
	v_cmp_ne_u32_e32 vcc, 0, v2
	s_nop 1
	v_cndmask_b32_e32 v2, v4, v3, vcc
	s_branch .LBB88_402
.LBB88_289:
	s_mov_b64 s[24:25], -1
	s_mov_b64 s[20:21], 0
	s_mov_b64 s[0:1], s[12:13]
.LBB88_290:
	s_and_b64 vcc, exec, s[24:25]
	s_cbranch_vccz .LBB88_295
; %bb.291:
	s_cmp_eq_u32 s29, 44
	s_mov_b64 s[0:1], -1
	s_cbranch_scc0 .LBB88_295
; %bb.292:
	v_bfe_u32 v3, v2, 23, 8
	s_movk_i32 s0, 0xff
	v_cmp_ne_u32_e32 vcc, s0, v3
	v_mov_b32_e32 v4, 0xff
	s_and_saveexec_b64 s[20:21], vcc
; %bb.293:
	s_mov_b32 s0, 0x3fffff
	v_and_b32_e32 v6, 0x400000, v2
	v_and_or_b32 v3, v2, s0, v3
	v_cmp_ne_u32_e32 vcc, 0, v6
	v_cmp_ne_u32_e64 s[0:1], 0, v3
	s_and_b64 s[0:1], vcc, s[0:1]
	v_lshrrev_b32_e32 v4, 23, v2
	v_cndmask_b32_e64 v3, 0, 1, s[0:1]
	v_add_u32_e32 v4, v4, v3
; %bb.294:
	s_or_b64 exec, exec, s[20:21]
	s_mov_b64 s[20:21], -1
	s_mov_b64 s[0:1], 0
	global_store_byte v[0:1], v4, off
.LBB88_295:
	s_mov_b64 s[24:25], 0
.LBB88_296:
	s_and_b64 vcc, exec, s[24:25]
	s_cbranch_vccz .LBB88_299
; %bb.297:
	s_cmp_eq_u32 s29, 29
	s_mov_b64 s[0:1], -1
	s_cbranch_scc0 .LBB88_299
; %bb.298:
	v_trunc_f32_e32 v3, v2
	v_mul_f32_e32 v4, 0x2f800000, v3
	v_floor_f32_e32 v4, v4
	v_fmamk_f32 v3, v4, 0xcf800000, v3
	v_cvt_u32_f32_e32 v7, v4
	v_cvt_u32_f32_e32 v6, v3
	s_mov_b64 s[20:21], -1
	s_mov_b64 s[0:1], 0
	s_mov_b64 s[24:25], 0
	global_store_dwordx2 v[0:1], v[6:7], off
	s_branch .LBB88_300
.LBB88_299:
	s_mov_b64 s[24:25], 0
.LBB88_300:
	s_and_b64 vcc, exec, s[24:25]
	s_cbranch_vccz .LBB88_316
; %bb.301:
	s_cmp_lt_i32 s29, 27
	s_mov_b64 s[20:21], -1
	s_cbranch_scc1 .LBB88_307
; %bb.302:
	v_cvt_u32_f32_e32 v3, v2
	s_cmp_gt_i32 s29, 27
	s_cbranch_scc0 .LBB88_304
; %bb.303:
	s_mov_b64 s[20:21], 0
	global_store_dword v[0:1], v3, off
.LBB88_304:
	s_andn2_b64 vcc, exec, s[20:21]
	s_cbranch_vccnz .LBB88_306
; %bb.305:
	global_store_short v[0:1], v3, off
.LBB88_306:
	s_mov_b64 s[20:21], 0
.LBB88_307:
	s_andn2_b64 vcc, exec, s[20:21]
	s_cbranch_vccnz .LBB88_315
; %bb.308:
	v_and_b32_e32 v3, 0x7fffffff, v2
	s_mov_b32 s20, 0x43800000
	v_cmp_gt_u32_e32 vcc, s20, v3
	v_mov_b32_e32 v4, 0x80
	s_and_saveexec_b64 s[20:21], vcc
	s_cbranch_execz .LBB88_314
; %bb.309:
	s_mov_b32 s24, 0x3bffffff
	v_cmp_lt_u32_e32 vcc, s24, v3
	s_mov_b64 s[24:25], 0
                                        ; implicit-def: $vgpr3
	s_and_saveexec_b64 s[26:27], vcc
	s_xor_b64 s[26:27], exec, s[26:27]
	s_cbranch_execz .LBB88_526
; %bb.310:
	v_bfe_u32 v3, v2, 20, 1
	s_mov_b32 s30, 0x487ffff
	v_add3_u32 v3, v2, v3, s30
	s_mov_b64 s[24:25], exec
	v_lshrrev_b32_e32 v3, 20, v3
	s_andn2_saveexec_b64 s[26:27], s[26:27]
	s_cbranch_execnz .LBB88_527
.LBB88_311:
	s_or_b64 exec, exec, s[26:27]
	v_mov_b32_e32 v4, 0
	s_and_saveexec_b64 s[26:27], s[24:25]
.LBB88_312:
	v_lshrrev_b32_e32 v4, 24, v2
	s_movk_i32 s24, 0x80
	v_and_or_b32 v4, v4, s24, v3
.LBB88_313:
	s_or_b64 exec, exec, s[26:27]
.LBB88_314:
	s_or_b64 exec, exec, s[20:21]
	global_store_byte v[0:1], v4, off
.LBB88_315:
	s_mov_b64 s[20:21], -1
.LBB88_316:
	s_mov_b64 s[24:25], 0
.LBB88_317:
	s_and_b64 vcc, exec, s[24:25]
	s_cbranch_vccz .LBB88_358
; %bb.318:
	s_cmp_gt_i32 s29, 22
	s_mov_b64 s[24:25], -1
	s_cbranch_scc0 .LBB88_350
; %bb.319:
	s_cmp_lt_i32 s29, 24
	s_mov_b64 s[20:21], -1
	s_cbranch_scc1 .LBB88_339
; %bb.320:
	s_cmp_gt_i32 s29, 24
	s_cbranch_scc0 .LBB88_328
; %bb.321:
	v_and_b32_e32 v3, 0x7fffffff, v2
	s_mov_b32 s20, 0x47800000
	v_cmp_gt_u32_e32 vcc, s20, v3
	v_mov_b32_e32 v4, 0x80
	s_and_saveexec_b64 s[20:21], vcc
	s_cbranch_execz .LBB88_327
; %bb.322:
	s_mov_b32 s24, 0x37ffffff
	v_cmp_lt_u32_e32 vcc, s24, v3
	s_mov_b64 s[24:25], 0
                                        ; implicit-def: $vgpr3
	s_and_saveexec_b64 s[26:27], vcc
	s_xor_b64 s[26:27], exec, s[26:27]
	s_cbranch_execz .LBB88_529
; %bb.323:
	v_bfe_u32 v3, v2, 21, 1
	s_mov_b32 s30, 0x88fffff
	v_add3_u32 v3, v2, v3, s30
	s_mov_b64 s[24:25], exec
	v_lshrrev_b32_e32 v3, 21, v3
	s_andn2_saveexec_b64 s[26:27], s[26:27]
	s_cbranch_execnz .LBB88_530
.LBB88_324:
	s_or_b64 exec, exec, s[26:27]
	v_mov_b32_e32 v4, 0
	s_and_saveexec_b64 s[26:27], s[24:25]
.LBB88_325:
	v_lshrrev_b32_e32 v4, 24, v2
	s_movk_i32 s24, 0x80
	v_and_or_b32 v4, v4, s24, v3
.LBB88_326:
	s_or_b64 exec, exec, s[26:27]
.LBB88_327:
	s_or_b64 exec, exec, s[20:21]
	s_mov_b64 s[20:21], 0
	global_store_byte v[0:1], v4, off
.LBB88_328:
	s_and_b64 vcc, exec, s[20:21]
	s_cbranch_vccz .LBB88_338
; %bb.329:
	v_and_b32_e32 v4, 0x7fffffff, v2
	s_mov_b32 s20, 0x43f00000
	v_cmp_gt_u32_e32 vcc, s20, v4
                                        ; implicit-def: $vgpr3
	s_and_saveexec_b64 s[20:21], vcc
	s_xor_b64 s[20:21], exec, s[20:21]
	s_cbranch_execz .LBB88_335
; %bb.330:
	s_mov_b32 s24, 0x3c7fffff
	v_cmp_lt_u32_e32 vcc, s24, v4
                                        ; implicit-def: $vgpr3
	s_and_saveexec_b64 s[24:25], vcc
	s_xor_b64 s[24:25], exec, s[24:25]
; %bb.331:
	v_bfe_u32 v3, v2, 20, 1
	s_mov_b32 s26, 0x407ffff
	v_add3_u32 v3, v2, v3, s26
	v_lshrrev_b32_e32 v4, 20, v3
	v_and_b32_e32 v3, 0xff00000, v3
	s_mov_b32 s26, 0x7f00000
	v_mov_b32_e32 v6, 0x7e
	v_cmp_ne_u32_e32 vcc, s26, v3
	s_nop 1
	v_cndmask_b32_e32 v3, v6, v4, vcc
; %bb.332:
	s_andn2_saveexec_b64 s[24:25], s[24:25]
; %bb.333:
	s_mov_b32 s26, 0x46800000
	v_add_f32_e64 v3, |v2|, s26
; %bb.334:
	s_or_b64 exec, exec, s[24:25]
                                        ; implicit-def: $vgpr4
.LBB88_335:
	s_andn2_saveexec_b64 s[20:21], s[20:21]
; %bb.336:
	s_mov_b32 s24, 0x7f800000
	v_mov_b32_e32 v3, 0x7e
	v_mov_b32_e32 v6, 0x7f
	v_cmp_lt_u32_e32 vcc, s24, v4
	s_nop 1
	v_cndmask_b32_e32 v3, v3, v6, vcc
; %bb.337:
	s_or_b64 exec, exec, s[20:21]
	v_lshrrev_b32_e32 v4, 24, v2
	s_movk_i32 s20, 0x80
	v_and_or_b32 v3, v4, s20, v3
	global_store_byte v[0:1], v3, off
.LBB88_338:
	s_mov_b64 s[20:21], 0
.LBB88_339:
	s_andn2_b64 vcc, exec, s[20:21]
	s_cbranch_vccnz .LBB88_349
; %bb.340:
	v_and_b32_e32 v4, 0x7fffffff, v2
	s_mov_b32 s20, 0x47800000
	v_cmp_gt_u32_e32 vcc, s20, v4
                                        ; implicit-def: $vgpr3
	s_and_saveexec_b64 s[20:21], vcc
	s_xor_b64 s[20:21], exec, s[20:21]
	s_cbranch_execz .LBB88_346
; %bb.341:
	s_mov_b32 s24, 0x387fffff
	v_cmp_lt_u32_e32 vcc, s24, v4
                                        ; implicit-def: $vgpr3
	s_and_saveexec_b64 s[24:25], vcc
	s_xor_b64 s[24:25], exec, s[24:25]
; %bb.342:
	v_bfe_u32 v3, v2, 21, 1
	s_mov_b32 s26, 0x80fffff
	v_add3_u32 v3, v2, v3, s26
	v_lshrrev_b32_e32 v3, 21, v3
; %bb.343:
	s_andn2_saveexec_b64 s[24:25], s[24:25]
; %bb.344:
	s_mov_b32 s26, 0x43000000
	v_add_f32_e64 v3, |v2|, s26
; %bb.345:
	s_or_b64 exec, exec, s[24:25]
                                        ; implicit-def: $vgpr4
.LBB88_346:
	s_andn2_saveexec_b64 s[20:21], s[20:21]
; %bb.347:
	s_mov_b32 s24, 0x7f800000
	v_mov_b32_e32 v3, 0x7c
	v_mov_b32_e32 v6, 0x7f
	v_cmp_lt_u32_e32 vcc, s24, v4
	s_nop 1
	v_cndmask_b32_e32 v3, v3, v6, vcc
; %bb.348:
	s_or_b64 exec, exec, s[20:21]
	v_lshrrev_b32_e32 v4, 24, v2
	s_movk_i32 s20, 0x80
	v_and_or_b32 v3, v4, s20, v3
	global_store_byte v[0:1], v3, off
.LBB88_349:
	s_mov_b64 s[24:25], 0
	s_mov_b64 s[20:21], -1
.LBB88_350:
	s_andn2_b64 vcc, exec, s[24:25]
	s_cbranch_vccnz .LBB88_358
; %bb.351:
	s_cmp_gt_i32 s29, 14
	s_mov_b64 s[24:25], -1
	s_cbranch_scc0 .LBB88_355
; %bb.352:
	s_cmp_eq_u32 s29, 15
	s_mov_b64 s[0:1], -1
	s_cbranch_scc0 .LBB88_354
; %bb.353:
	v_bfe_u32 v3, v2, 16, 1
	s_movk_i32 s0, 0x7fff
	v_add3_u32 v3, v2, v3, s0
	v_cmp_o_f32_e32 vcc, v2, v2
	v_mov_b32_e32 v4, 0x7fc0
	s_mov_b64 s[20:21], -1
	v_cndmask_b32_sdwa v3, v4, v3, vcc dst_sel:DWORD dst_unused:UNUSED_PAD src0_sel:DWORD src1_sel:WORD_1
	global_store_short v[0:1], v3, off
	s_mov_b64 s[0:1], 0
.LBB88_354:
	s_mov_b64 s[24:25], 0
.LBB88_355:
	s_and_b64 vcc, exec, s[24:25]
	s_cbranch_vccz .LBB88_358
; %bb.356:
	s_cmp_eq_u32 s29, 11
	s_mov_b64 s[0:1], -1
	s_cbranch_scc0 .LBB88_358
; %bb.357:
	v_cmp_neq_f32_e32 vcc, 0, v2
	s_mov_b64 s[20:21], -1
	s_mov_b64 s[0:1], 0
	v_cndmask_b32_e64 v3, 0, 1, vcc
	global_store_byte v[0:1], v3, off
.LBB88_358:
	s_mov_b64 s[24:25], 0
.LBB88_359:
	s_and_b64 vcc, exec, s[24:25]
	s_cbranch_vccz .LBB88_398
; %bb.360:
	s_and_b32 s24, 0xffff, s28
	s_cmp_lt_i32 s24, 5
	s_mov_b64 s[20:21], -1
	s_cbranch_scc1 .LBB88_381
; %bb.361:
	s_cmp_lt_i32 s24, 8
	s_cbranch_scc1 .LBB88_371
; %bb.362:
	s_cmp_lt_i32 s24, 9
	s_cbranch_scc1 .LBB88_368
; %bb.363:
	s_cmp_gt_i32 s24, 9
	s_cbranch_scc0 .LBB88_365
; %bb.364:
	v_mov_b32_e32 v8, 0
	v_cvt_f64_f32_e32 v[6:7], v2
	v_mov_b32_e32 v9, v8
	s_mov_b64 s[20:21], 0
	global_store_dwordx4 v[0:1], v[6:9], off
.LBB88_365:
	s_andn2_b64 vcc, exec, s[20:21]
	s_cbranch_vccnz .LBB88_367
; %bb.366:
	v_mov_b32_e32 v3, 0
	global_store_dwordx2 v[0:1], v[2:3], off
.LBB88_367:
	s_mov_b64 s[20:21], 0
.LBB88_368:
	s_andn2_b64 vcc, exec, s[20:21]
	s_cbranch_vccnz .LBB88_370
; %bb.369:
	v_cvt_f16_f32_e32 v3, v2
	global_store_dword v[0:1], v3, off
.LBB88_370:
	s_mov_b64 s[20:21], 0
.LBB88_371:
	s_andn2_b64 vcc, exec, s[20:21]
	s_cbranch_vccnz .LBB88_380
; %bb.372:
	s_cmp_lt_i32 s24, 6
	s_mov_b64 s[20:21], -1
	s_cbranch_scc1 .LBB88_378
; %bb.373:
	s_cmp_gt_i32 s24, 6
	s_cbranch_scc0 .LBB88_375
; %bb.374:
	v_cvt_f64_f32_e32 v[6:7], v2
	s_mov_b64 s[20:21], 0
	global_store_dwordx2 v[0:1], v[6:7], off
.LBB88_375:
	s_andn2_b64 vcc, exec, s[20:21]
	s_cbranch_vccnz .LBB88_377
; %bb.376:
	global_store_dword v[0:1], v2, off
.LBB88_377:
	s_mov_b64 s[20:21], 0
.LBB88_378:
	s_andn2_b64 vcc, exec, s[20:21]
	s_cbranch_vccnz .LBB88_380
; %bb.379:
	v_cvt_f16_f32_e32 v3, v2
	global_store_short v[0:1], v3, off
.LBB88_380:
	s_mov_b64 s[20:21], 0
.LBB88_381:
	s_andn2_b64 vcc, exec, s[20:21]
	s_cbranch_vccnz .LBB88_397
; %bb.382:
	s_cmp_lt_i32 s24, 2
	s_mov_b64 s[20:21], -1
	s_cbranch_scc1 .LBB88_392
; %bb.383:
	s_cmp_lt_i32 s24, 3
	s_cbranch_scc1 .LBB88_389
; %bb.384:
	s_cmp_gt_i32 s24, 3
	s_cbranch_scc0 .LBB88_386
; %bb.385:
	v_trunc_f32_e32 v3, v2
	s_mov_b32 s20, 0x2f800000
	v_mul_f32_e64 v4, |v3|, s20
	v_floor_f32_e32 v4, v4
	s_mov_b32 s20, 0xcf800000
	v_cvt_u32_f32_e32 v6, v4
	v_fma_f32 v4, v4, s20, |v3|
	v_cvt_u32_f32_e32 v4, v4
	v_ashrrev_i32_e32 v3, 31, v3
	v_xor_b32_e32 v7, v6, v3
	s_mov_b64 s[20:21], 0
	v_xor_b32_e32 v4, v4, v3
	v_sub_co_u32_e32 v6, vcc, v4, v3
	s_nop 1
	v_subb_co_u32_e32 v7, vcc, v7, v3, vcc
	global_store_dwordx2 v[0:1], v[6:7], off
.LBB88_386:
	s_andn2_b64 vcc, exec, s[20:21]
	s_cbranch_vccnz .LBB88_388
; %bb.387:
	v_cvt_i32_f32_e32 v3, v2
	global_store_dword v[0:1], v3, off
.LBB88_388:
	s_mov_b64 s[20:21], 0
.LBB88_389:
	s_andn2_b64 vcc, exec, s[20:21]
	s_cbranch_vccnz .LBB88_391
; %bb.390:
	v_cvt_i32_f32_e32 v3, v2
	global_store_short v[0:1], v3, off
.LBB88_391:
	s_mov_b64 s[20:21], 0
.LBB88_392:
	s_andn2_b64 vcc, exec, s[20:21]
	s_cbranch_vccnz .LBB88_397
; %bb.393:
	s_cmp_gt_i32 s24, 0
	s_mov_b64 s[20:21], -1
	s_cbranch_scc0 .LBB88_395
; %bb.394:
	v_cvt_i32_f32_e32 v3, v2
	s_mov_b64 s[20:21], 0
	global_store_byte v[0:1], v3, off
.LBB88_395:
	s_andn2_b64 vcc, exec, s[20:21]
	s_cbranch_vccnz .LBB88_397
; %bb.396:
	v_trunc_f32_e32 v2, v2
	s_mov_b32 s20, 0x2f800000
	v_mul_f32_e64 v3, |v2|, s20
	v_floor_f32_e32 v3, v3
	s_mov_b32 s20, 0xcf800000
	v_fma_f32 v3, v3, s20, |v2|
	v_cvt_u32_f32_e32 v3, v3
	v_ashrrev_i32_e32 v2, 31, v2
	v_xor_b32_e32 v3, v3, v2
	v_sub_u32_e32 v2, v3, v2
	global_store_byte v[0:1], v2, off
.LBB88_397:
	s_mov_b64 s[20:21], -1
.LBB88_398:
	s_andn2_b64 vcc, exec, s[20:21]
	s_cbranch_vccnz .LBB88_400
; %bb.399:
	v_add_u32_e32 v5, 0x80, v5
	s_mov_b64 s[24:25], -1
	s_branch .LBB88_512
.LBB88_400:
	s_mov_b64 s[24:25], 0
                                        ; implicit-def: $vgpr5
	s_branch .LBB88_512
.LBB88_401:
	s_mov_b64 s[18:19], -1
                                        ; implicit-def: $vgpr2
.LBB88_402:
	s_mov_b64 s[20:21], 0
.LBB88_403:
	s_and_b64 vcc, exec, s[20:21]
	s_cbranch_vccz .LBB88_407
; %bb.404:
	s_cmp_eq_u32 s26, 29
	s_cbranch_scc0 .LBB88_406
; %bb.405:
	global_load_dwordx2 v[2:3], v[0:1], off
	s_mov_b64 s[0:1], -1
	s_mov_b64 s[18:19], 0
	s_mov_b64 s[20:21], 0
	s_waitcnt vmcnt(0)
	v_ffbh_u32_e32 v4, v3
	v_min_u32_e32 v4, 32, v4
	v_lshlrev_b64 v[2:3], v4, v[2:3]
	v_min_u32_e32 v2, 1, v2
	v_or_b32_e32 v2, v3, v2
	v_cvt_f32_u32_e32 v2, v2
	v_sub_u32_e32 v3, 32, v4
	v_ldexp_f32 v2, v2, v3
	s_branch .LBB88_408
.LBB88_406:
	s_mov_b64 s[18:19], -1
                                        ; implicit-def: $vgpr2
.LBB88_407:
	s_mov_b64 s[20:21], 0
.LBB88_408:
	s_and_b64 vcc, exec, s[20:21]
	s_cbranch_vccz .LBB88_426
; %bb.409:
	s_cmp_lt_i32 s26, 27
	s_cbranch_scc1 .LBB88_412
; %bb.410:
	s_cmp_gt_i32 s26, 27
	s_cbranch_scc0 .LBB88_413
; %bb.411:
	global_load_dword v2, v[0:1], off
	s_mov_b64 s[0:1], 0
	s_waitcnt vmcnt(0)
	v_cvt_f32_u32_e32 v2, v2
	s_branch .LBB88_414
.LBB88_412:
	s_mov_b64 s[0:1], -1
                                        ; implicit-def: $vgpr2
	s_branch .LBB88_417
.LBB88_413:
	s_mov_b64 s[0:1], -1
                                        ; implicit-def: $vgpr2
.LBB88_414:
	s_andn2_b64 vcc, exec, s[0:1]
	s_cbranch_vccnz .LBB88_416
; %bb.415:
	global_load_ushort v2, v[0:1], off
	s_waitcnt vmcnt(0)
	v_cvt_f32_u32_e32 v2, v2
.LBB88_416:
	s_mov_b64 s[0:1], 0
.LBB88_417:
	s_andn2_b64 vcc, exec, s[0:1]
	s_cbranch_vccnz .LBB88_425
; %bb.418:
	global_load_ubyte v3, v[0:1], off
	s_movk_i32 s0, 0x7f
	s_waitcnt vmcnt(0)
	v_cmp_lt_i16_e32 vcc, s0, v3
	s_mov_b64 s[0:1], 0
	s_and_saveexec_b64 s[20:21], vcc
	s_xor_b64 s[20:21], exec, s[20:21]
	s_cbranch_execz .LBB88_439
; %bb.419:
	s_movk_i32 s0, 0x80
	v_cmp_eq_u16_e32 vcc, s0, v3
	s_mov_b64 s[0:1], -1
	s_and_saveexec_b64 s[24:25], vcc
; %bb.420:
	s_xor_b64 s[0:1], exec, -1
; %bb.421:
	s_or_b64 exec, exec, s[24:25]
	s_and_b64 s[0:1], s[0:1], exec
	s_or_saveexec_b64 s[20:21], s[20:21]
	v_mov_b32_e32 v2, 0x7f800001
	s_xor_b64 exec, exec, s[20:21]
	s_cbranch_execnz .LBB88_440
.LBB88_422:
	s_or_b64 exec, exec, s[20:21]
	s_and_saveexec_b64 s[20:21], s[0:1]
	s_cbranch_execz .LBB88_424
.LBB88_423:
	v_lshlrev_b32_e32 v2, 24, v3
	v_and_b32_e32 v3, 0xffff, v3
	v_and_b32_e32 v4, 7, v3
	v_ffbh_u32_e32 v7, v4
	v_min_u32_e32 v7, 32, v7
	v_subrev_u32_e32 v8, 28, v7
	v_bfe_u32 v6, v3, 3, 4
	v_lshlrev_b32_e32 v3, v8, v3
	v_sub_u32_e32 v7, 29, v7
	v_and_b32_e32 v3, 7, v3
	v_cmp_eq_u32_e32 vcc, 0, v6
	v_and_b32_e32 v2, 0x80000000, v2
	s_nop 0
	v_cndmask_b32_e32 v6, v6, v7, vcc
	v_cndmask_b32_e32 v3, v4, v3, vcc
	v_mov_b32_e32 v4, 0x3b800000
	v_lshlrev_b32_e32 v3, 20, v3
	v_lshl_add_u32 v4, v6, 23, v4
	v_or3_b32 v2, v2, v4, v3
.LBB88_424:
	s_or_b64 exec, exec, s[20:21]
.LBB88_425:
	s_mov_b64 s[0:1], -1
.LBB88_426:
	s_mov_b64 s[20:21], 0
.LBB88_427:
	s_and_b64 vcc, exec, s[20:21]
	s_cbranch_vccz .LBB88_462
; %bb.428:
	s_cmp_gt_i32 s26, 22
	s_cbranch_scc0 .LBB88_438
; %bb.429:
	s_cmp_lt_i32 s26, 24
	s_cbranch_scc1 .LBB88_441
; %bb.430:
	s_cmp_gt_i32 s26, 24
	s_cbranch_scc0 .LBB88_442
; %bb.431:
	global_load_ubyte v3, v[0:1], off
	s_movk_i32 s0, 0x7f
	s_waitcnt vmcnt(0)
	v_cmp_lt_i16_e32 vcc, s0, v3
	s_mov_b64 s[0:1], 0
	s_and_saveexec_b64 s[20:21], vcc
	s_xor_b64 s[20:21], exec, s[20:21]
	s_cbranch_execz .LBB88_454
; %bb.432:
	s_movk_i32 s0, 0x80
	v_cmp_eq_u16_e32 vcc, s0, v3
	s_mov_b64 s[0:1], -1
	s_and_saveexec_b64 s[24:25], vcc
; %bb.433:
	s_xor_b64 s[0:1], exec, -1
; %bb.434:
	s_or_b64 exec, exec, s[24:25]
	s_and_b64 s[0:1], s[0:1], exec
	s_or_saveexec_b64 s[20:21], s[20:21]
	v_mov_b32_e32 v2, 0x7f800001
	s_xor_b64 exec, exec, s[20:21]
	s_cbranch_execnz .LBB88_455
.LBB88_435:
	s_or_b64 exec, exec, s[20:21]
	s_and_saveexec_b64 s[20:21], s[0:1]
	s_cbranch_execz .LBB88_437
.LBB88_436:
	v_lshlrev_b32_e32 v2, 24, v3
	v_and_b32_e32 v3, 0xffff, v3
	v_and_b32_e32 v4, 3, v3
	v_ffbh_u32_e32 v7, v4
	v_min_u32_e32 v7, 32, v7
	v_subrev_u32_e32 v8, 29, v7
	v_bfe_u32 v6, v3, 2, 5
	v_lshlrev_b32_e32 v3, v8, v3
	v_sub_u32_e32 v7, 30, v7
	v_and_b32_e32 v3, 3, v3
	v_cmp_eq_u32_e32 vcc, 0, v6
	v_and_b32_e32 v2, 0x80000000, v2
	s_nop 0
	v_cndmask_b32_e32 v6, v6, v7, vcc
	v_cndmask_b32_e32 v3, v4, v3, vcc
	v_mov_b32_e32 v4, 0x37800000
	v_lshlrev_b32_e32 v3, 21, v3
	v_lshl_add_u32 v4, v6, 23, v4
	v_or3_b32 v2, v2, v4, v3
.LBB88_437:
	s_or_b64 exec, exec, s[20:21]
	s_mov_b64 s[0:1], 0
	s_branch .LBB88_443
.LBB88_438:
	s_mov_b64 s[20:21], -1
                                        ; implicit-def: $vgpr2
	s_branch .LBB88_449
.LBB88_439:
	s_or_saveexec_b64 s[20:21], s[20:21]
	v_mov_b32_e32 v2, 0x7f800001
	s_xor_b64 exec, exec, s[20:21]
	s_cbranch_execz .LBB88_422
.LBB88_440:
	v_cmp_ne_u16_e32 vcc, 0, v3
	s_andn2_b64 s[0:1], s[0:1], exec
	s_and_b64 s[24:25], vcc, exec
	v_mov_b32_e32 v2, 0
	s_or_b64 s[0:1], s[0:1], s[24:25]
	s_or_b64 exec, exec, s[20:21]
	s_and_saveexec_b64 s[20:21], s[0:1]
	s_cbranch_execnz .LBB88_423
	s_branch .LBB88_424
.LBB88_441:
	s_mov_b64 s[0:1], -1
                                        ; implicit-def: $vgpr2
	s_branch .LBB88_446
.LBB88_442:
	s_mov_b64 s[0:1], -1
                                        ; implicit-def: $vgpr2
.LBB88_443:
	s_and_b64 vcc, exec, s[0:1]
	s_cbranch_vccz .LBB88_445
; %bb.444:
	global_load_ubyte v2, v[0:1], off
	s_mov_b32 s0, 0x7f800000
	s_waitcnt vmcnt(0)
	v_lshlrev_b32_e32 v2, 24, v2
	v_and_b32_e32 v3, 0x7f000000, v2
	v_ffbh_u32_e32 v4, v3
	v_min_u32_e32 v4, 32, v4
	v_sub_u32_e64 v4, v4, 4 clamp
	v_lshlrev_b32_e32 v7, v4, v3
	v_lshlrev_b32_e32 v4, 23, v4
	v_lshrrev_b32_e32 v7, 4, v7
	v_add_u32_e32 v6, 0x1000000, v3
	v_sub_u32_e32 v4, v7, v4
	v_ashrrev_i32_e32 v6, 8, v6
	v_add_u32_e32 v4, 0x3c000000, v4
	v_and_or_b32 v4, v6, s0, v4
	v_cmp_ne_u32_e32 vcc, 0, v3
	s_brev_b32 s0, 1
	s_nop 0
	v_cndmask_b32_e32 v3, 0, v4, vcc
	v_and_or_b32 v2, v2, s0, v3
.LBB88_445:
	s_mov_b64 s[0:1], 0
.LBB88_446:
	s_andn2_b64 vcc, exec, s[0:1]
	s_cbranch_vccnz .LBB88_448
; %bb.447:
	global_load_ubyte v2, v[0:1], off
	s_movk_i32 s0, 0x7f00
	s_brev_b32 s1, 16
	s_waitcnt vmcnt(0)
	v_lshlrev_b16_e32 v3, 8, v2
	v_lshlrev_b32_e32 v2, 25, v2
	v_lshrrev_b32_e32 v4, 4, v2
	v_and_or_b32 v6, v3, s0, 0.5
	v_or_b32_e32 v4, 0x70000000, v4
	v_add_f32_e32 v6, -0.5, v6
	v_mul_f32_e32 v4, 0x7800000, v4
	v_cmp_gt_u32_e32 vcc, s1, v2
	v_bfe_i32 v3, v3, 0, 16
	s_brev_b32 s0, 1
	v_cndmask_b32_e32 v2, v4, v6, vcc
	v_and_or_b32 v2, v3, s0, v2
.LBB88_448:
	s_mov_b64 s[20:21], 0
	s_mov_b64 s[0:1], -1
.LBB88_449:
	s_andn2_b64 vcc, exec, s[20:21]
	s_cbranch_vccnz .LBB88_462
; %bb.450:
	s_cmp_gt_i32 s26, 14
	s_cbranch_scc0 .LBB88_453
; %bb.451:
	s_cmp_eq_u32 s26, 15
	s_cbranch_scc0 .LBB88_456
; %bb.452:
	global_load_ushort v2, v[0:1], off
	s_mov_b64 s[0:1], -1
	s_mov_b64 s[18:19], 0
	s_waitcnt vmcnt(0)
	v_lshlrev_b32_e32 v2, 16, v2
	s_branch .LBB88_457
.LBB88_453:
	s_mov_b64 s[20:21], -1
                                        ; implicit-def: $vgpr2
	s_branch .LBB88_458
.LBB88_454:
	s_or_saveexec_b64 s[20:21], s[20:21]
	v_mov_b32_e32 v2, 0x7f800001
	s_xor_b64 exec, exec, s[20:21]
	s_cbranch_execz .LBB88_435
.LBB88_455:
	v_cmp_ne_u16_e32 vcc, 0, v3
	s_andn2_b64 s[0:1], s[0:1], exec
	s_and_b64 s[24:25], vcc, exec
	v_mov_b32_e32 v2, 0
	s_or_b64 s[0:1], s[0:1], s[24:25]
	s_or_b64 exec, exec, s[20:21]
	s_and_saveexec_b64 s[20:21], s[0:1]
	s_cbranch_execnz .LBB88_436
	s_branch .LBB88_437
.LBB88_456:
	s_mov_b64 s[18:19], -1
                                        ; implicit-def: $vgpr2
.LBB88_457:
	s_mov_b64 s[20:21], 0
.LBB88_458:
	s_and_b64 vcc, exec, s[20:21]
	s_cbranch_vccz .LBB88_462
; %bb.459:
	s_cmp_eq_u32 s26, 11
	s_cbranch_scc0 .LBB88_461
; %bb.460:
	global_load_ubyte v2, v[0:1], off
	s_mov_b64 s[0:1], -1
	s_mov_b64 s[18:19], 0
	s_waitcnt vmcnt(0)
	v_cmp_ne_u16_e32 vcc, 0, v2
	s_nop 1
	v_cndmask_b32_e64 v2, 0, 1.0, vcc
	s_branch .LBB88_462
.LBB88_461:
	s_mov_b64 s[18:19], -1
                                        ; implicit-def: $vgpr2
.LBB88_462:
	s_branch .LBB88_265
.LBB88_463:
	s_cmp_lt_i32 s26, 5
	s_cbranch_scc1 .LBB88_468
; %bb.464:
	s_cmp_lt_i32 s26, 8
	s_cbranch_scc1 .LBB88_469
; %bb.465:
	;; [unrolled: 3-line block ×3, first 2 shown]
	s_cmp_gt_i32 s26, 9
	s_cbranch_scc0 .LBB88_471
; %bb.467:
	global_load_dwordx2 v[2:3], v[0:1], off
	s_mov_b64 s[0:1], 0
	s_waitcnt vmcnt(0)
	v_cvt_f32_f64_e32 v2, v[2:3]
	s_branch .LBB88_472
.LBB88_468:
	s_mov_b64 s[0:1], -1
                                        ; implicit-def: $vgpr2
	s_branch .LBB88_490
.LBB88_469:
	s_mov_b64 s[0:1], -1
                                        ; implicit-def: $vgpr2
	s_branch .LBB88_478
.LBB88_470:
	s_mov_b64 s[0:1], -1
                                        ; implicit-def: $vgpr2
	s_branch .LBB88_475
.LBB88_471:
	s_mov_b64 s[0:1], -1
                                        ; implicit-def: $vgpr2
.LBB88_472:
	s_andn2_b64 vcc, exec, s[0:1]
	s_cbranch_vccnz .LBB88_474
; %bb.473:
	global_load_dword v2, v[0:1], off
.LBB88_474:
	s_mov_b64 s[0:1], 0
.LBB88_475:
	s_andn2_b64 vcc, exec, s[0:1]
	s_cbranch_vccnz .LBB88_477
; %bb.476:
	global_load_dword v2, v[0:1], off
	s_waitcnt vmcnt(0)
	v_cvt_f32_f16_e32 v2, v2
.LBB88_477:
	s_mov_b64 s[0:1], 0
.LBB88_478:
	s_andn2_b64 vcc, exec, s[0:1]
	s_cbranch_vccnz .LBB88_489
; %bb.479:
	s_cmp_lt_i32 s26, 6
	s_cbranch_scc1 .LBB88_482
; %bb.480:
	s_cmp_gt_i32 s26, 6
	s_cbranch_scc0 .LBB88_483
; %bb.481:
	global_load_dwordx2 v[2:3], v[0:1], off
	s_mov_b64 s[0:1], 0
	s_waitcnt vmcnt(0)
	v_cvt_f32_f64_e32 v2, v[2:3]
	s_branch .LBB88_484
.LBB88_482:
	s_mov_b64 s[0:1], -1
                                        ; implicit-def: $vgpr2
	s_branch .LBB88_487
.LBB88_483:
	s_mov_b64 s[0:1], -1
                                        ; implicit-def: $vgpr2
.LBB88_484:
	s_andn2_b64 vcc, exec, s[0:1]
	s_cbranch_vccnz .LBB88_486
; %bb.485:
	global_load_dword v2, v[0:1], off
.LBB88_486:
	s_mov_b64 s[0:1], 0
.LBB88_487:
	s_andn2_b64 vcc, exec, s[0:1]
	s_cbranch_vccnz .LBB88_489
; %bb.488:
	global_load_ushort v2, v[0:1], off
	s_waitcnt vmcnt(0)
	v_cvt_f32_f16_e32 v2, v2
.LBB88_489:
	s_mov_b64 s[0:1], 0
.LBB88_490:
	s_andn2_b64 vcc, exec, s[0:1]
	s_cbranch_vccnz .LBB88_510
; %bb.491:
	s_cmp_lt_i32 s26, 2
	s_cbranch_scc1 .LBB88_495
; %bb.492:
	s_cmp_lt_i32 s26, 3
	s_cbranch_scc1 .LBB88_496
; %bb.493:
	s_cmp_gt_i32 s26, 3
	s_cbranch_scc0 .LBB88_497
; %bb.494:
	global_load_dwordx2 v[2:3], v[0:1], off
	s_mov_b64 s[0:1], 0
	s_waitcnt vmcnt(0)
	v_xor_b32_e32 v6, v2, v3
	v_ffbh_i32_e32 v4, v3
	v_ashrrev_i32_e32 v6, 31, v6
	v_add_u32_e32 v4, -1, v4
	v_add_u32_e32 v6, 32, v6
	v_min_u32_e32 v4, v4, v6
	v_lshlrev_b64 v[2:3], v4, v[2:3]
	v_min_u32_e32 v2, 1, v2
	v_or_b32_e32 v2, v3, v2
	v_cvt_f32_i32_e32 v2, v2
	v_sub_u32_e32 v3, 32, v4
	v_ldexp_f32 v2, v2, v3
	s_branch .LBB88_498
.LBB88_495:
	s_mov_b64 s[0:1], -1
                                        ; implicit-def: $vgpr2
	s_branch .LBB88_504
.LBB88_496:
	s_mov_b64 s[0:1], -1
                                        ; implicit-def: $vgpr2
	s_branch .LBB88_501
.LBB88_497:
	s_mov_b64 s[0:1], -1
                                        ; implicit-def: $vgpr2
.LBB88_498:
	s_andn2_b64 vcc, exec, s[0:1]
	s_cbranch_vccnz .LBB88_500
; %bb.499:
	global_load_dword v2, v[0:1], off
	s_waitcnt vmcnt(0)
	v_cvt_f32_i32_e32 v2, v2
.LBB88_500:
	s_mov_b64 s[0:1], 0
.LBB88_501:
	s_andn2_b64 vcc, exec, s[0:1]
	s_cbranch_vccnz .LBB88_503
; %bb.502:
	global_load_sshort v2, v[0:1], off
	s_waitcnt vmcnt(0)
	v_cvt_f32_i32_e32 v2, v2
.LBB88_503:
	s_mov_b64 s[0:1], 0
.LBB88_504:
	s_andn2_b64 vcc, exec, s[0:1]
	s_cbranch_vccnz .LBB88_510
; %bb.505:
	s_cmp_gt_i32 s26, 0
	s_cbranch_scc0 .LBB88_507
; %bb.506:
	global_load_sbyte v2, v[0:1], off
	s_mov_b64 s[0:1], 0
	s_waitcnt vmcnt(0)
	v_cvt_f32_i32_e32 v2, v2
	s_branch .LBB88_508
.LBB88_507:
	s_mov_b64 s[0:1], -1
                                        ; implicit-def: $vgpr2
.LBB88_508:
	s_andn2_b64 vcc, exec, s[0:1]
	s_cbranch_vccnz .LBB88_510
; %bb.509:
	global_load_ubyte v0, v[0:1], off
	s_waitcnt vmcnt(0)
	v_cvt_f32_ubyte0_e32 v2, v0
.LBB88_510:
	s_branch .LBB88_266
.LBB88_511:
	s_mov_b64 s[24:25], 0
                                        ; implicit-def: $vgpr5
	s_mov_b64 s[0:1], s[12:13]
.LBB88_512:
	s_andn2_b64 s[20:21], s[12:13], exec
	s_and_b64 s[0:1], s[0:1], exec
	s_or_b64 s[20:21], s[20:21], s[0:1]
	s_andn2_b64 s[0:1], s[14:15], exec
	s_and_b64 s[18:19], s[18:19], exec
	s_or_b64 s[18:19], s[0:1], s[18:19]
	s_orn2_b64 s[0:1], s[24:25], exec
.LBB88_513:
	s_or_b64 exec, exec, s[22:23]
	s_mov_b64 s[24:25], 0
	s_mov_b64 s[26:27], 0
	;; [unrolled: 1-line block ×3, first 2 shown]
                                        ; implicit-def: $vgpr0_vgpr1
                                        ; implicit-def: $vgpr3
	s_and_saveexec_b64 s[22:23], s[0:1]
	s_cbranch_execz .LBB88_858
; %bb.514:
	v_cmp_gt_i32_e32 vcc, s38, v5
	s_mov_b64 s[34:35], -1
	s_mov_b64 s[0:1], s[18:19]
	s_mov_b64 s[28:29], s[20:21]
	s_and_saveexec_b64 s[24:25], vcc
	s_cbranch_execz .LBB88_772
; %bb.515:
	v_mul_lo_u32 v0, v5, s9
	v_ashrrev_i32_e32 v1, 31, v0
	s_and_b32 s34, 0xffff, s42
	s_cmp_lt_i32 s34, 11
	v_lshl_add_u64 v[0:1], s[6:7], 0, v[0:1]
	s_cbranch_scc1 .LBB88_522
; %bb.516:
	s_cmp_gt_i32 s34, 25
	s_cbranch_scc0 .LBB88_523
; %bb.517:
	s_cmp_gt_i32 s34, 28
	s_cbranch_scc0 .LBB88_524
	;; [unrolled: 3-line block ×4, first 2 shown]
; %bb.520:
	s_cmp_eq_u32 s34, 46
	s_mov_b64 s[28:29], 0
	s_cbranch_scc0 .LBB88_531
; %bb.521:
	global_load_dword v2, v[0:1], off
	s_mov_b64 s[0:1], -1
	s_waitcnt vmcnt(0)
	v_lshlrev_b32_e32 v2, 16, v2
	s_branch .LBB88_532
.LBB88_522:
	s_mov_b64 s[28:29], -1
	s_mov_b64 s[0:1], 0
                                        ; implicit-def: $vgpr2
	s_mov_b64 s[26:27], s[18:19]
	s_branch .LBB88_597
.LBB88_523:
	s_mov_b64 s[28:29], -1
	s_mov_b64 s[0:1], 0
	s_mov_b64 s[26:27], s[18:19]
                                        ; implicit-def: $vgpr2
	s_branch .LBB88_561
.LBB88_524:
	s_mov_b64 s[28:29], -1
	s_mov_b64 s[0:1], 0
	s_mov_b64 s[26:27], s[18:19]
                                        ; implicit-def: $vgpr2
	s_branch .LBB88_542
.LBB88_525:
	s_mov_b64 s[28:29], -1
	s_mov_b64 s[0:1], 0
	s_mov_b64 s[26:27], s[18:19]
                                        ; implicit-def: $vgpr2
	s_branch .LBB88_537
.LBB88_526:
	s_andn2_saveexec_b64 s[26:27], s[26:27]
	s_cbranch_execz .LBB88_311
.LBB88_527:
	s_mov_b32 s30, 0x46000000
	v_add_f32_e64 v3, |v2|, s30
	v_and_b32_e32 v3, 0xff, v3
	v_cmp_ne_u32_e32 vcc, 0, v3
	s_andn2_b64 s[24:25], s[24:25], exec
	s_and_b64 s[30:31], vcc, exec
	s_or_b64 s[24:25], s[24:25], s[30:31]
	s_or_b64 exec, exec, s[26:27]
	v_mov_b32_e32 v4, 0
	s_and_saveexec_b64 s[26:27], s[24:25]
	s_cbranch_execnz .LBB88_312
	s_branch .LBB88_313
.LBB88_528:
	s_mov_b64 s[28:29], -1
	s_mov_b64 s[0:1], 0
	s_mov_b64 s[26:27], s[18:19]
                                        ; implicit-def: $vgpr2
	s_branch .LBB88_532
.LBB88_529:
	s_andn2_saveexec_b64 s[26:27], s[26:27]
	s_cbranch_execz .LBB88_324
.LBB88_530:
	s_mov_b32 s30, 0x42800000
	v_add_f32_e64 v3, |v2|, s30
	v_and_b32_e32 v3, 0xff, v3
	v_cmp_ne_u32_e32 vcc, 0, v3
	s_andn2_b64 s[24:25], s[24:25], exec
	s_and_b64 s[30:31], vcc, exec
	s_or_b64 s[24:25], s[24:25], s[30:31]
	s_or_b64 exec, exec, s[26:27]
	v_mov_b32_e32 v4, 0
	s_and_saveexec_b64 s[26:27], s[24:25]
	s_cbranch_execnz .LBB88_325
	s_branch .LBB88_326
.LBB88_531:
	s_mov_b64 s[26:27], -1
                                        ; implicit-def: $vgpr2
	s_mov_b64 s[0:1], 0
.LBB88_532:
	s_and_b64 vcc, exec, s[28:29]
	s_cbranch_vccz .LBB88_536
; %bb.533:
	s_cmp_eq_u32 s34, 44
	s_cbranch_scc0 .LBB88_535
; %bb.534:
	global_load_ubyte v2, v[0:1], off
	s_movk_i32 s26, 0xff
	v_mov_b32_e32 v3, 0x7f800001
	v_mov_b32_e32 v4, 0x400000
	s_mov_b64 s[0:1], -1
	s_waitcnt vmcnt(0)
	v_lshlrev_b32_e32 v6, 23, v2
	v_cmp_ne_u32_e32 vcc, s26, v2
	s_mov_b64 s[26:27], 0
	s_nop 0
	v_cndmask_b32_e32 v3, v3, v6, vcc
	v_cmp_ne_u32_e32 vcc, 0, v2
	s_nop 1
	v_cndmask_b32_e32 v2, v4, v3, vcc
	s_branch .LBB88_536
.LBB88_535:
	s_mov_b64 s[26:27], -1
                                        ; implicit-def: $vgpr2
.LBB88_536:
	s_mov_b64 s[28:29], 0
.LBB88_537:
	s_and_b64 vcc, exec, s[28:29]
	s_cbranch_vccz .LBB88_541
; %bb.538:
	s_cmp_eq_u32 s34, 29
	s_cbranch_scc0 .LBB88_540
; %bb.539:
	global_load_dwordx2 v[2:3], v[0:1], off
	s_mov_b64 s[0:1], -1
	s_mov_b64 s[26:27], 0
	s_mov_b64 s[28:29], 0
	s_waitcnt vmcnt(0)
	v_ffbh_u32_e32 v4, v3
	v_min_u32_e32 v4, 32, v4
	v_lshlrev_b64 v[2:3], v4, v[2:3]
	v_min_u32_e32 v2, 1, v2
	v_or_b32_e32 v2, v3, v2
	v_cvt_f32_u32_e32 v2, v2
	v_sub_u32_e32 v3, 32, v4
	v_ldexp_f32 v2, v2, v3
	s_branch .LBB88_542
.LBB88_540:
	s_mov_b64 s[26:27], -1
                                        ; implicit-def: $vgpr2
.LBB88_541:
	s_mov_b64 s[28:29], 0
.LBB88_542:
	s_and_b64 vcc, exec, s[28:29]
	s_cbranch_vccz .LBB88_560
; %bb.543:
	s_cmp_lt_i32 s34, 27
	s_cbranch_scc1 .LBB88_546
; %bb.544:
	s_cmp_gt_i32 s34, 27
	s_cbranch_scc0 .LBB88_547
; %bb.545:
	global_load_dword v2, v[0:1], off
	s_mov_b64 s[0:1], 0
	s_waitcnt vmcnt(0)
	v_cvt_f32_u32_e32 v2, v2
	s_branch .LBB88_548
.LBB88_546:
	s_mov_b64 s[0:1], -1
                                        ; implicit-def: $vgpr2
	s_branch .LBB88_551
.LBB88_547:
	s_mov_b64 s[0:1], -1
                                        ; implicit-def: $vgpr2
.LBB88_548:
	s_andn2_b64 vcc, exec, s[0:1]
	s_cbranch_vccnz .LBB88_550
; %bb.549:
	global_load_ushort v2, v[0:1], off
	s_waitcnt vmcnt(0)
	v_cvt_f32_u32_e32 v2, v2
.LBB88_550:
	s_mov_b64 s[0:1], 0
.LBB88_551:
	s_andn2_b64 vcc, exec, s[0:1]
	s_cbranch_vccnz .LBB88_559
; %bb.552:
	global_load_ubyte v3, v[0:1], off
	s_movk_i32 s0, 0x7f
	s_waitcnt vmcnt(0)
	v_cmp_lt_i16_e32 vcc, s0, v3
	s_mov_b64 s[0:1], 0
	s_and_saveexec_b64 s[28:29], vcc
	s_xor_b64 s[28:29], exec, s[28:29]
	s_cbranch_execz .LBB88_573
; %bb.553:
	s_movk_i32 s0, 0x80
	v_cmp_eq_u16_e32 vcc, s0, v3
	s_mov_b64 s[0:1], -1
	s_and_saveexec_b64 s[30:31], vcc
; %bb.554:
	s_xor_b64 s[0:1], exec, -1
; %bb.555:
	s_or_b64 exec, exec, s[30:31]
	s_and_b64 s[0:1], s[0:1], exec
	s_or_saveexec_b64 s[28:29], s[28:29]
	v_mov_b32_e32 v2, 0x7f800001
	s_xor_b64 exec, exec, s[28:29]
	s_cbranch_execnz .LBB88_574
.LBB88_556:
	s_or_b64 exec, exec, s[28:29]
	s_and_saveexec_b64 s[28:29], s[0:1]
	s_cbranch_execz .LBB88_558
.LBB88_557:
	v_lshlrev_b32_e32 v2, 24, v3
	v_and_b32_e32 v3, 0xffff, v3
	v_and_b32_e32 v4, 7, v3
	v_ffbh_u32_e32 v7, v4
	v_min_u32_e32 v7, 32, v7
	v_subrev_u32_e32 v8, 28, v7
	v_bfe_u32 v6, v3, 3, 4
	v_lshlrev_b32_e32 v3, v8, v3
	v_sub_u32_e32 v7, 29, v7
	v_and_b32_e32 v3, 7, v3
	v_cmp_eq_u32_e32 vcc, 0, v6
	v_and_b32_e32 v2, 0x80000000, v2
	s_nop 0
	v_cndmask_b32_e32 v6, v6, v7, vcc
	v_cndmask_b32_e32 v3, v4, v3, vcc
	v_mov_b32_e32 v4, 0x3b800000
	v_lshlrev_b32_e32 v3, 20, v3
	v_lshl_add_u32 v4, v6, 23, v4
	v_or3_b32 v2, v2, v4, v3
.LBB88_558:
	s_or_b64 exec, exec, s[28:29]
.LBB88_559:
	s_mov_b64 s[0:1], -1
.LBB88_560:
	s_mov_b64 s[28:29], 0
.LBB88_561:
	s_and_b64 vcc, exec, s[28:29]
	s_cbranch_vccz .LBB88_596
; %bb.562:
	s_cmp_gt_i32 s34, 22
	s_cbranch_scc0 .LBB88_572
; %bb.563:
	s_cmp_lt_i32 s34, 24
	s_cbranch_scc1 .LBB88_575
; %bb.564:
	s_cmp_gt_i32 s34, 24
	s_cbranch_scc0 .LBB88_576
; %bb.565:
	global_load_ubyte v3, v[0:1], off
	s_movk_i32 s0, 0x7f
	s_waitcnt vmcnt(0)
	v_cmp_lt_i16_e32 vcc, s0, v3
	s_mov_b64 s[0:1], 0
	s_and_saveexec_b64 s[28:29], vcc
	s_xor_b64 s[28:29], exec, s[28:29]
	s_cbranch_execz .LBB88_588
; %bb.566:
	s_movk_i32 s0, 0x80
	v_cmp_eq_u16_e32 vcc, s0, v3
	s_mov_b64 s[0:1], -1
	s_and_saveexec_b64 s[30:31], vcc
; %bb.567:
	s_xor_b64 s[0:1], exec, -1
; %bb.568:
	s_or_b64 exec, exec, s[30:31]
	s_and_b64 s[0:1], s[0:1], exec
	s_or_saveexec_b64 s[28:29], s[28:29]
	v_mov_b32_e32 v2, 0x7f800001
	s_xor_b64 exec, exec, s[28:29]
	s_cbranch_execnz .LBB88_589
.LBB88_569:
	s_or_b64 exec, exec, s[28:29]
	s_and_saveexec_b64 s[28:29], s[0:1]
	s_cbranch_execz .LBB88_571
.LBB88_570:
	v_lshlrev_b32_e32 v2, 24, v3
	v_and_b32_e32 v3, 0xffff, v3
	v_and_b32_e32 v4, 3, v3
	v_ffbh_u32_e32 v7, v4
	v_min_u32_e32 v7, 32, v7
	v_subrev_u32_e32 v8, 29, v7
	v_bfe_u32 v6, v3, 2, 5
	v_lshlrev_b32_e32 v3, v8, v3
	v_sub_u32_e32 v7, 30, v7
	v_and_b32_e32 v3, 3, v3
	v_cmp_eq_u32_e32 vcc, 0, v6
	v_and_b32_e32 v2, 0x80000000, v2
	s_nop 0
	v_cndmask_b32_e32 v6, v6, v7, vcc
	v_cndmask_b32_e32 v3, v4, v3, vcc
	v_mov_b32_e32 v4, 0x37800000
	v_lshlrev_b32_e32 v3, 21, v3
	v_lshl_add_u32 v4, v6, 23, v4
	v_or3_b32 v2, v2, v4, v3
.LBB88_571:
	s_or_b64 exec, exec, s[28:29]
	s_mov_b64 s[0:1], 0
	s_branch .LBB88_577
.LBB88_572:
	s_mov_b64 s[28:29], -1
                                        ; implicit-def: $vgpr2
	s_branch .LBB88_583
.LBB88_573:
	s_or_saveexec_b64 s[28:29], s[28:29]
	v_mov_b32_e32 v2, 0x7f800001
	s_xor_b64 exec, exec, s[28:29]
	s_cbranch_execz .LBB88_556
.LBB88_574:
	v_cmp_ne_u16_e32 vcc, 0, v3
	s_andn2_b64 s[0:1], s[0:1], exec
	s_and_b64 s[30:31], vcc, exec
	v_mov_b32_e32 v2, 0
	s_or_b64 s[0:1], s[0:1], s[30:31]
	s_or_b64 exec, exec, s[28:29]
	s_and_saveexec_b64 s[28:29], s[0:1]
	s_cbranch_execnz .LBB88_557
	s_branch .LBB88_558
.LBB88_575:
	s_mov_b64 s[0:1], -1
                                        ; implicit-def: $vgpr2
	s_branch .LBB88_580
.LBB88_576:
	s_mov_b64 s[0:1], -1
                                        ; implicit-def: $vgpr2
.LBB88_577:
	s_and_b64 vcc, exec, s[0:1]
	s_cbranch_vccz .LBB88_579
; %bb.578:
	global_load_ubyte v2, v[0:1], off
	s_mov_b32 s0, 0x7f800000
	s_waitcnt vmcnt(0)
	v_lshlrev_b32_e32 v2, 24, v2
	v_and_b32_e32 v3, 0x7f000000, v2
	v_ffbh_u32_e32 v4, v3
	v_min_u32_e32 v4, 32, v4
	v_sub_u32_e64 v4, v4, 4 clamp
	v_lshlrev_b32_e32 v7, v4, v3
	v_lshlrev_b32_e32 v4, 23, v4
	v_lshrrev_b32_e32 v7, 4, v7
	v_add_u32_e32 v6, 0x1000000, v3
	v_sub_u32_e32 v4, v7, v4
	v_ashrrev_i32_e32 v6, 8, v6
	v_add_u32_e32 v4, 0x3c000000, v4
	v_and_or_b32 v4, v6, s0, v4
	v_cmp_ne_u32_e32 vcc, 0, v3
	s_brev_b32 s0, 1
	s_nop 0
	v_cndmask_b32_e32 v3, 0, v4, vcc
	v_and_or_b32 v2, v2, s0, v3
.LBB88_579:
	s_mov_b64 s[0:1], 0
.LBB88_580:
	s_andn2_b64 vcc, exec, s[0:1]
	s_cbranch_vccnz .LBB88_582
; %bb.581:
	global_load_ubyte v2, v[0:1], off
	s_movk_i32 s0, 0x7f00
	s_brev_b32 s1, 16
	s_waitcnt vmcnt(0)
	v_lshlrev_b16_e32 v3, 8, v2
	v_lshlrev_b32_e32 v2, 25, v2
	v_lshrrev_b32_e32 v4, 4, v2
	v_and_or_b32 v6, v3, s0, 0.5
	v_or_b32_e32 v4, 0x70000000, v4
	v_add_f32_e32 v6, -0.5, v6
	v_mul_f32_e32 v4, 0x7800000, v4
	v_cmp_gt_u32_e32 vcc, s1, v2
	v_bfe_i32 v3, v3, 0, 16
	s_brev_b32 s0, 1
	v_cndmask_b32_e32 v2, v4, v6, vcc
	v_and_or_b32 v2, v3, s0, v2
.LBB88_582:
	s_mov_b64 s[28:29], 0
	s_mov_b64 s[0:1], -1
.LBB88_583:
	s_andn2_b64 vcc, exec, s[28:29]
	s_cbranch_vccnz .LBB88_596
; %bb.584:
	s_cmp_gt_i32 s34, 14
	s_cbranch_scc0 .LBB88_587
; %bb.585:
	s_cmp_eq_u32 s34, 15
	s_cbranch_scc0 .LBB88_590
; %bb.586:
	global_load_ushort v2, v[0:1], off
	s_mov_b64 s[0:1], -1
	s_mov_b64 s[26:27], 0
	s_waitcnt vmcnt(0)
	v_lshlrev_b32_e32 v2, 16, v2
	s_branch .LBB88_591
.LBB88_587:
	s_mov_b64 s[28:29], -1
                                        ; implicit-def: $vgpr2
	s_branch .LBB88_592
.LBB88_588:
	s_or_saveexec_b64 s[28:29], s[28:29]
	v_mov_b32_e32 v2, 0x7f800001
	s_xor_b64 exec, exec, s[28:29]
	s_cbranch_execz .LBB88_569
.LBB88_589:
	v_cmp_ne_u16_e32 vcc, 0, v3
	s_andn2_b64 s[0:1], s[0:1], exec
	s_and_b64 s[30:31], vcc, exec
	v_mov_b32_e32 v2, 0
	s_or_b64 s[0:1], s[0:1], s[30:31]
	s_or_b64 exec, exec, s[28:29]
	s_and_saveexec_b64 s[28:29], s[0:1]
	s_cbranch_execnz .LBB88_570
	s_branch .LBB88_571
.LBB88_590:
	s_mov_b64 s[26:27], -1
                                        ; implicit-def: $vgpr2
.LBB88_591:
	s_mov_b64 s[28:29], 0
.LBB88_592:
	s_and_b64 vcc, exec, s[28:29]
	s_cbranch_vccz .LBB88_596
; %bb.593:
	s_cmp_eq_u32 s34, 11
	s_cbranch_scc0 .LBB88_595
; %bb.594:
	global_load_ubyte v2, v[0:1], off
	s_mov_b64 s[0:1], -1
	s_mov_b64 s[26:27], 0
	s_waitcnt vmcnt(0)
	v_cmp_ne_u16_e32 vcc, 0, v2
	s_nop 1
	v_cndmask_b32_e64 v2, 0, 1.0, vcc
	s_branch .LBB88_596
.LBB88_595:
	s_mov_b64 s[26:27], -1
                                        ; implicit-def: $vgpr2
.LBB88_596:
	s_mov_b64 s[28:29], 0
.LBB88_597:
	s_and_b64 vcc, exec, s[28:29]
	s_cbranch_vccz .LBB88_646
; %bb.598:
	s_cmp_lt_i32 s34, 5
	s_cbranch_scc1 .LBB88_603
; %bb.599:
	s_cmp_lt_i32 s34, 8
	s_cbranch_scc1 .LBB88_604
	;; [unrolled: 3-line block ×3, first 2 shown]
; %bb.601:
	s_cmp_gt_i32 s34, 9
	s_cbranch_scc0 .LBB88_606
; %bb.602:
	global_load_dwordx2 v[2:3], v[0:1], off
	s_mov_b64 s[0:1], 0
	s_waitcnt vmcnt(0)
	v_cvt_f32_f64_e32 v2, v[2:3]
	s_branch .LBB88_607
.LBB88_603:
	s_mov_b64 s[0:1], -1
                                        ; implicit-def: $vgpr2
	s_branch .LBB88_625
.LBB88_604:
	s_mov_b64 s[0:1], -1
                                        ; implicit-def: $vgpr2
	s_branch .LBB88_613
.LBB88_605:
	s_mov_b64 s[0:1], -1
                                        ; implicit-def: $vgpr2
	s_branch .LBB88_610
.LBB88_606:
	s_mov_b64 s[0:1], -1
                                        ; implicit-def: $vgpr2
.LBB88_607:
	s_andn2_b64 vcc, exec, s[0:1]
	s_cbranch_vccnz .LBB88_609
; %bb.608:
	global_load_dword v2, v[0:1], off
.LBB88_609:
	s_mov_b64 s[0:1], 0
.LBB88_610:
	s_andn2_b64 vcc, exec, s[0:1]
	s_cbranch_vccnz .LBB88_612
; %bb.611:
	global_load_dword v2, v[0:1], off
	s_waitcnt vmcnt(0)
	v_cvt_f32_f16_e32 v2, v2
.LBB88_612:
	s_mov_b64 s[0:1], 0
.LBB88_613:
	s_andn2_b64 vcc, exec, s[0:1]
	s_cbranch_vccnz .LBB88_624
; %bb.614:
	s_cmp_lt_i32 s34, 6
	s_cbranch_scc1 .LBB88_617
; %bb.615:
	s_cmp_gt_i32 s34, 6
	s_cbranch_scc0 .LBB88_618
; %bb.616:
	global_load_dwordx2 v[2:3], v[0:1], off
	s_mov_b64 s[0:1], 0
	s_waitcnt vmcnt(0)
	v_cvt_f32_f64_e32 v2, v[2:3]
	s_branch .LBB88_619
.LBB88_617:
	s_mov_b64 s[0:1], -1
                                        ; implicit-def: $vgpr2
	s_branch .LBB88_622
.LBB88_618:
	s_mov_b64 s[0:1], -1
                                        ; implicit-def: $vgpr2
.LBB88_619:
	s_andn2_b64 vcc, exec, s[0:1]
	s_cbranch_vccnz .LBB88_621
; %bb.620:
	global_load_dword v2, v[0:1], off
.LBB88_621:
	s_mov_b64 s[0:1], 0
.LBB88_622:
	s_andn2_b64 vcc, exec, s[0:1]
	s_cbranch_vccnz .LBB88_624
; %bb.623:
	global_load_ushort v2, v[0:1], off
	s_waitcnt vmcnt(0)
	v_cvt_f32_f16_e32 v2, v2
.LBB88_624:
	s_mov_b64 s[0:1], 0
.LBB88_625:
	s_andn2_b64 vcc, exec, s[0:1]
	s_cbranch_vccnz .LBB88_645
; %bb.626:
	s_cmp_lt_i32 s34, 2
	s_cbranch_scc1 .LBB88_630
; %bb.627:
	s_cmp_lt_i32 s34, 3
	s_cbranch_scc1 .LBB88_631
; %bb.628:
	s_cmp_gt_i32 s34, 3
	s_cbranch_scc0 .LBB88_632
; %bb.629:
	global_load_dwordx2 v[2:3], v[0:1], off
	s_mov_b64 s[0:1], 0
	s_waitcnt vmcnt(0)
	v_xor_b32_e32 v6, v2, v3
	v_ffbh_i32_e32 v4, v3
	v_ashrrev_i32_e32 v6, 31, v6
	v_add_u32_e32 v4, -1, v4
	v_add_u32_e32 v6, 32, v6
	v_min_u32_e32 v4, v4, v6
	v_lshlrev_b64 v[2:3], v4, v[2:3]
	v_min_u32_e32 v2, 1, v2
	v_or_b32_e32 v2, v3, v2
	v_cvt_f32_i32_e32 v2, v2
	v_sub_u32_e32 v3, 32, v4
	v_ldexp_f32 v2, v2, v3
	s_branch .LBB88_633
.LBB88_630:
	s_mov_b64 s[0:1], -1
                                        ; implicit-def: $vgpr2
	s_branch .LBB88_639
.LBB88_631:
	s_mov_b64 s[0:1], -1
                                        ; implicit-def: $vgpr2
	s_branch .LBB88_636
.LBB88_632:
	s_mov_b64 s[0:1], -1
                                        ; implicit-def: $vgpr2
.LBB88_633:
	s_andn2_b64 vcc, exec, s[0:1]
	s_cbranch_vccnz .LBB88_635
; %bb.634:
	global_load_dword v2, v[0:1], off
	s_waitcnt vmcnt(0)
	v_cvt_f32_i32_e32 v2, v2
.LBB88_635:
	s_mov_b64 s[0:1], 0
.LBB88_636:
	s_andn2_b64 vcc, exec, s[0:1]
	s_cbranch_vccnz .LBB88_638
; %bb.637:
	global_load_sshort v2, v[0:1], off
	s_waitcnt vmcnt(0)
	v_cvt_f32_i32_e32 v2, v2
.LBB88_638:
	s_mov_b64 s[0:1], 0
.LBB88_639:
	s_andn2_b64 vcc, exec, s[0:1]
	s_cbranch_vccnz .LBB88_645
; %bb.640:
	s_cmp_gt_i32 s34, 0
	s_cbranch_scc0 .LBB88_642
; %bb.641:
	global_load_sbyte v2, v[0:1], off
	s_mov_b64 s[0:1], 0
	s_waitcnt vmcnt(0)
	v_cvt_f32_i32_e32 v2, v2
	s_branch .LBB88_643
.LBB88_642:
	s_mov_b64 s[0:1], -1
                                        ; implicit-def: $vgpr2
.LBB88_643:
	s_andn2_b64 vcc, exec, s[0:1]
	s_cbranch_vccnz .LBB88_645
; %bb.644:
	global_load_ubyte v0, v[0:1], off
	s_waitcnt vmcnt(0)
	v_cvt_f32_ubyte0_e32 v2, v0
.LBB88_645:
	s_mov_b64 s[0:1], -1
.LBB88_646:
	s_andn2_b64 vcc, exec, s[0:1]
	s_cbranch_vccnz .LBB88_654
; %bb.647:
	s_waitcnt vmcnt(0)
	v_mul_f32_e32 v0, 0x3fb8aa3b, v2
	s_mov_b32 s0, 0x3fb8aa3b
	v_rndne_f32_e32 v1, v0
	v_sub_f32_e32 v3, v0, v1
	v_fma_f32 v0, v2, s0, -v0
	v_fmamk_f32 v0, v2, 0x32a5705f, v0
	v_add_f32_e32 v0, v3, v0
	v_exp_f32_e32 v0, v0
	v_cvt_i32_f32_e32 v1, v1
	s_mov_b32 s0, 0xc2ce8ed0
	v_cmp_ngt_f32_e32 vcc, s0, v2
	s_mov_b32 s0, 0x42b17218
	v_ldexp_f32 v0, v0, v1
	v_cndmask_b32_e32 v0, 0, v0, vcc
	v_mov_b32_e32 v1, 0x7f800000
	v_cmp_nlt_f32_e32 vcc, s0, v2
	s_and_b32 s36, s33, 0xff
	s_cmp_lt_i32 s36, 11
	v_cndmask_b32_e32 v2, v1, v0, vcc
	v_mul_lo_u32 v0, v5, s8
	v_ashrrev_i32_e32 v1, 31, v0
	v_lshl_add_u64 v[0:1], s[4:5], 0, v[0:1]
	s_cbranch_scc1 .LBB88_655
; %bb.648:
	s_and_b32 s37, 0xffff, s36
	s_cmp_gt_i32 s37, 25
	s_cbranch_scc0 .LBB88_656
; %bb.649:
	s_cmp_gt_i32 s37, 28
	s_cbranch_scc0 .LBB88_657
; %bb.650:
	;; [unrolled: 3-line block ×4, first 2 shown]
	s_mov_b64 s[30:31], 0
	s_mov_b64 s[0:1], -1
	s_cmp_eq_u32 s37, 46
	s_mov_b64 s[28:29], 0
	s_cbranch_scc0 .LBB88_660
; %bb.653:
	v_bfe_u32 v3, v2, 16, 1
	s_movk_i32 s0, 0x7fff
	v_add3_u32 v3, v2, v3, s0
	v_cmp_o_f32_e32 vcc, v2, v2
	v_mov_b32_e32 v4, 0x7fc0
	s_mov_b64 s[28:29], -1
	v_cndmask_b32_sdwa v3, v4, v3, vcc dst_sel:DWORD dst_unused:UNUSED_PAD src0_sel:DWORD src1_sel:WORD_1
	global_store_dword v[0:1], v3, off
	s_mov_b64 s[0:1], 0
	s_branch .LBB88_660
.LBB88_654:
	s_mov_b64 s[30:31], 0
                                        ; implicit-def: $vgpr5
	s_mov_b64 s[0:1], s[20:21]
	s_branch .LBB88_771
.LBB88_655:
	s_mov_b64 s[30:31], -1
	s_mov_b64 s[28:29], 0
	s_mov_b64 s[0:1], s[20:21]
	s_branch .LBB88_729
.LBB88_656:
	s_mov_b64 s[30:31], -1
	s_mov_b64 s[28:29], 0
	s_mov_b64 s[0:1], s[20:21]
	s_branch .LBB88_687
.LBB88_657:
	s_mov_b64 s[30:31], -1
	s_mov_b64 s[28:29], 0
	s_mov_b64 s[0:1], s[20:21]
	s_branch .LBB88_670
.LBB88_658:
	s_mov_b64 s[30:31], -1
	s_mov_b64 s[28:29], 0
	s_mov_b64 s[0:1], s[20:21]
	s_branch .LBB88_666
.LBB88_659:
	s_mov_b64 s[30:31], -1
	s_mov_b64 s[28:29], 0
	s_mov_b64 s[0:1], s[20:21]
.LBB88_660:
	s_and_b64 vcc, exec, s[30:31]
	s_cbranch_vccz .LBB88_665
; %bb.661:
	s_cmp_eq_u32 s37, 44
	s_mov_b64 s[0:1], -1
	s_cbranch_scc0 .LBB88_665
; %bb.662:
	v_bfe_u32 v3, v2, 23, 8
	s_movk_i32 s0, 0xff
	v_cmp_ne_u32_e32 vcc, s0, v3
	v_mov_b32_e32 v4, 0xff
	s_and_saveexec_b64 s[28:29], vcc
; %bb.663:
	s_mov_b32 s0, 0x3fffff
	v_and_b32_e32 v6, 0x400000, v2
	v_and_or_b32 v3, v2, s0, v3
	v_cmp_ne_u32_e32 vcc, 0, v6
	v_cmp_ne_u32_e64 s[0:1], 0, v3
	s_and_b64 s[0:1], vcc, s[0:1]
	v_lshrrev_b32_e32 v4, 23, v2
	v_cndmask_b32_e64 v3, 0, 1, s[0:1]
	v_add_u32_e32 v4, v4, v3
; %bb.664:
	s_or_b64 exec, exec, s[28:29]
	s_mov_b64 s[28:29], -1
	s_mov_b64 s[0:1], 0
	global_store_byte v[0:1], v4, off
.LBB88_665:
	s_mov_b64 s[30:31], 0
.LBB88_666:
	s_and_b64 vcc, exec, s[30:31]
	s_cbranch_vccz .LBB88_669
; %bb.667:
	s_cmp_eq_u32 s37, 29
	s_mov_b64 s[0:1], -1
	s_cbranch_scc0 .LBB88_669
; %bb.668:
	v_trunc_f32_e32 v3, v2
	v_mul_f32_e32 v4, 0x2f800000, v3
	v_floor_f32_e32 v4, v4
	v_fmamk_f32 v3, v4, 0xcf800000, v3
	v_cvt_u32_f32_e32 v7, v4
	v_cvt_u32_f32_e32 v6, v3
	s_mov_b64 s[28:29], -1
	s_mov_b64 s[0:1], 0
	s_mov_b64 s[30:31], 0
	global_store_dwordx2 v[0:1], v[6:7], off
	s_branch .LBB88_670
.LBB88_669:
	s_mov_b64 s[30:31], 0
.LBB88_670:
	s_and_b64 vcc, exec, s[30:31]
	s_cbranch_vccz .LBB88_686
; %bb.671:
	s_cmp_lt_i32 s37, 27
	s_mov_b64 s[28:29], -1
	s_cbranch_scc1 .LBB88_677
; %bb.672:
	v_cvt_u32_f32_e32 v3, v2
	s_cmp_gt_i32 s37, 27
	s_cbranch_scc0 .LBB88_674
; %bb.673:
	s_mov_b64 s[28:29], 0
	global_store_dword v[0:1], v3, off
.LBB88_674:
	s_andn2_b64 vcc, exec, s[28:29]
	s_cbranch_vccnz .LBB88_676
; %bb.675:
	global_store_short v[0:1], v3, off
.LBB88_676:
	s_mov_b64 s[28:29], 0
.LBB88_677:
	s_andn2_b64 vcc, exec, s[28:29]
	s_cbranch_vccnz .LBB88_685
; %bb.678:
	v_and_b32_e32 v3, 0x7fffffff, v2
	s_mov_b32 s28, 0x43800000
	v_cmp_gt_u32_e32 vcc, s28, v3
	v_mov_b32_e32 v4, 0x80
	s_and_saveexec_b64 s[28:29], vcc
	s_cbranch_execz .LBB88_684
; %bb.679:
	s_mov_b32 s30, 0x3bffffff
	v_cmp_lt_u32_e32 vcc, s30, v3
	s_mov_b64 s[30:31], 0
                                        ; implicit-def: $vgpr3
	s_and_saveexec_b64 s[34:35], vcc
	s_xor_b64 s[34:35], exec, s[34:35]
	s_cbranch_execz .LBB88_785
; %bb.680:
	v_bfe_u32 v3, v2, 20, 1
	s_mov_b32 s39, 0x487ffff
	v_add3_u32 v3, v2, v3, s39
	s_mov_b64 s[30:31], exec
	v_lshrrev_b32_e32 v3, 20, v3
	s_andn2_saveexec_b64 s[34:35], s[34:35]
	s_cbranch_execnz .LBB88_786
.LBB88_681:
	s_or_b64 exec, exec, s[34:35]
	v_mov_b32_e32 v4, 0
	s_and_saveexec_b64 s[34:35], s[30:31]
.LBB88_682:
	v_lshrrev_b32_e32 v4, 24, v2
	s_movk_i32 s30, 0x80
	v_and_or_b32 v4, v4, s30, v3
.LBB88_683:
	s_or_b64 exec, exec, s[34:35]
.LBB88_684:
	s_or_b64 exec, exec, s[28:29]
	global_store_byte v[0:1], v4, off
.LBB88_685:
	s_mov_b64 s[28:29], -1
.LBB88_686:
	s_mov_b64 s[30:31], 0
.LBB88_687:
	s_and_b64 vcc, exec, s[30:31]
	s_cbranch_vccz .LBB88_728
; %bb.688:
	s_cmp_gt_i32 s37, 22
	s_mov_b64 s[30:31], -1
	s_cbranch_scc0 .LBB88_720
; %bb.689:
	s_cmp_lt_i32 s37, 24
	s_mov_b64 s[28:29], -1
	s_cbranch_scc1 .LBB88_709
; %bb.690:
	s_cmp_gt_i32 s37, 24
	s_cbranch_scc0 .LBB88_698
; %bb.691:
	v_and_b32_e32 v3, 0x7fffffff, v2
	s_mov_b32 s28, 0x47800000
	v_cmp_gt_u32_e32 vcc, s28, v3
	v_mov_b32_e32 v4, 0x80
	s_and_saveexec_b64 s[28:29], vcc
	s_cbranch_execz .LBB88_697
; %bb.692:
	s_mov_b32 s30, 0x37ffffff
	v_cmp_lt_u32_e32 vcc, s30, v3
	s_mov_b64 s[30:31], 0
                                        ; implicit-def: $vgpr3
	s_and_saveexec_b64 s[34:35], vcc
	s_xor_b64 s[34:35], exec, s[34:35]
	s_cbranch_execz .LBB88_788
; %bb.693:
	v_bfe_u32 v3, v2, 21, 1
	s_mov_b32 s39, 0x88fffff
	v_add3_u32 v3, v2, v3, s39
	s_mov_b64 s[30:31], exec
	v_lshrrev_b32_e32 v3, 21, v3
	s_andn2_saveexec_b64 s[34:35], s[34:35]
	s_cbranch_execnz .LBB88_789
.LBB88_694:
	s_or_b64 exec, exec, s[34:35]
	v_mov_b32_e32 v4, 0
	s_and_saveexec_b64 s[34:35], s[30:31]
.LBB88_695:
	v_lshrrev_b32_e32 v4, 24, v2
	s_movk_i32 s30, 0x80
	v_and_or_b32 v4, v4, s30, v3
.LBB88_696:
	s_or_b64 exec, exec, s[34:35]
.LBB88_697:
	s_or_b64 exec, exec, s[28:29]
	s_mov_b64 s[28:29], 0
	global_store_byte v[0:1], v4, off
.LBB88_698:
	s_and_b64 vcc, exec, s[28:29]
	s_cbranch_vccz .LBB88_708
; %bb.699:
	v_and_b32_e32 v4, 0x7fffffff, v2
	s_mov_b32 s28, 0x43f00000
	v_cmp_gt_u32_e32 vcc, s28, v4
                                        ; implicit-def: $vgpr3
	s_and_saveexec_b64 s[28:29], vcc
	s_xor_b64 s[28:29], exec, s[28:29]
	s_cbranch_execz .LBB88_705
; %bb.700:
	s_mov_b32 s30, 0x3c7fffff
	v_cmp_lt_u32_e32 vcc, s30, v4
                                        ; implicit-def: $vgpr3
	s_and_saveexec_b64 s[30:31], vcc
	s_xor_b64 s[30:31], exec, s[30:31]
; %bb.701:
	v_bfe_u32 v3, v2, 20, 1
	s_mov_b32 s34, 0x407ffff
	v_add3_u32 v3, v2, v3, s34
	v_lshrrev_b32_e32 v4, 20, v3
	v_and_b32_e32 v3, 0xff00000, v3
	s_mov_b32 s34, 0x7f00000
	v_mov_b32_e32 v6, 0x7e
	v_cmp_ne_u32_e32 vcc, s34, v3
	s_nop 1
	v_cndmask_b32_e32 v3, v6, v4, vcc
; %bb.702:
	s_andn2_saveexec_b64 s[30:31], s[30:31]
; %bb.703:
	s_mov_b32 s34, 0x46800000
	v_add_f32_e64 v3, |v2|, s34
; %bb.704:
	s_or_b64 exec, exec, s[30:31]
                                        ; implicit-def: $vgpr4
.LBB88_705:
	s_andn2_saveexec_b64 s[28:29], s[28:29]
; %bb.706:
	s_mov_b32 s30, 0x7f800000
	v_mov_b32_e32 v3, 0x7e
	v_mov_b32_e32 v6, 0x7f
	v_cmp_lt_u32_e32 vcc, s30, v4
	s_nop 1
	v_cndmask_b32_e32 v3, v3, v6, vcc
; %bb.707:
	s_or_b64 exec, exec, s[28:29]
	v_lshrrev_b32_e32 v4, 24, v2
	s_movk_i32 s28, 0x80
	v_and_or_b32 v3, v4, s28, v3
	global_store_byte v[0:1], v3, off
.LBB88_708:
	s_mov_b64 s[28:29], 0
.LBB88_709:
	s_andn2_b64 vcc, exec, s[28:29]
	s_cbranch_vccnz .LBB88_719
; %bb.710:
	v_and_b32_e32 v4, 0x7fffffff, v2
	s_mov_b32 s28, 0x47800000
	v_cmp_gt_u32_e32 vcc, s28, v4
                                        ; implicit-def: $vgpr3
	s_and_saveexec_b64 s[28:29], vcc
	s_xor_b64 s[28:29], exec, s[28:29]
	s_cbranch_execz .LBB88_716
; %bb.711:
	s_mov_b32 s30, 0x387fffff
	v_cmp_lt_u32_e32 vcc, s30, v4
                                        ; implicit-def: $vgpr3
	s_and_saveexec_b64 s[30:31], vcc
	s_xor_b64 s[30:31], exec, s[30:31]
; %bb.712:
	v_bfe_u32 v3, v2, 21, 1
	s_mov_b32 s34, 0x80fffff
	v_add3_u32 v3, v2, v3, s34
	v_lshrrev_b32_e32 v3, 21, v3
; %bb.713:
	s_andn2_saveexec_b64 s[30:31], s[30:31]
; %bb.714:
	s_mov_b32 s34, 0x43000000
	v_add_f32_e64 v3, |v2|, s34
; %bb.715:
	s_or_b64 exec, exec, s[30:31]
                                        ; implicit-def: $vgpr4
.LBB88_716:
	s_andn2_saveexec_b64 s[28:29], s[28:29]
; %bb.717:
	s_mov_b32 s30, 0x7f800000
	v_mov_b32_e32 v3, 0x7c
	v_mov_b32_e32 v6, 0x7f
	v_cmp_lt_u32_e32 vcc, s30, v4
	s_nop 1
	v_cndmask_b32_e32 v3, v3, v6, vcc
; %bb.718:
	s_or_b64 exec, exec, s[28:29]
	v_lshrrev_b32_e32 v4, 24, v2
	s_movk_i32 s28, 0x80
	v_and_or_b32 v3, v4, s28, v3
	global_store_byte v[0:1], v3, off
.LBB88_719:
	s_mov_b64 s[30:31], 0
	s_mov_b64 s[28:29], -1
.LBB88_720:
	s_andn2_b64 vcc, exec, s[30:31]
	s_cbranch_vccnz .LBB88_728
; %bb.721:
	s_cmp_gt_i32 s37, 14
	s_mov_b64 s[30:31], -1
	s_cbranch_scc0 .LBB88_725
; %bb.722:
	s_cmp_eq_u32 s37, 15
	s_mov_b64 s[0:1], -1
	s_cbranch_scc0 .LBB88_724
; %bb.723:
	v_bfe_u32 v3, v2, 16, 1
	s_movk_i32 s0, 0x7fff
	v_add3_u32 v3, v2, v3, s0
	v_cmp_o_f32_e32 vcc, v2, v2
	v_mov_b32_e32 v4, 0x7fc0
	s_mov_b64 s[28:29], -1
	v_cndmask_b32_sdwa v3, v4, v3, vcc dst_sel:DWORD dst_unused:UNUSED_PAD src0_sel:DWORD src1_sel:WORD_1
	global_store_short v[0:1], v3, off
	s_mov_b64 s[0:1], 0
.LBB88_724:
	s_mov_b64 s[30:31], 0
.LBB88_725:
	s_and_b64 vcc, exec, s[30:31]
	s_cbranch_vccz .LBB88_728
; %bb.726:
	s_cmp_eq_u32 s37, 11
	s_mov_b64 s[0:1], -1
	s_cbranch_scc0 .LBB88_728
; %bb.727:
	v_cmp_neq_f32_e32 vcc, 0, v2
	s_mov_b64 s[28:29], -1
	s_mov_b64 s[0:1], 0
	v_cndmask_b32_e64 v3, 0, 1, vcc
	global_store_byte v[0:1], v3, off
.LBB88_728:
	s_mov_b64 s[30:31], 0
.LBB88_729:
	s_and_b64 vcc, exec, s[30:31]
	s_cbranch_vccz .LBB88_768
; %bb.730:
	s_and_b32 s30, 0xffff, s36
	s_cmp_lt_i32 s30, 5
	s_mov_b64 s[28:29], -1
	s_cbranch_scc1 .LBB88_751
; %bb.731:
	s_cmp_lt_i32 s30, 8
	s_cbranch_scc1 .LBB88_741
; %bb.732:
	s_cmp_lt_i32 s30, 9
	s_cbranch_scc1 .LBB88_738
; %bb.733:
	s_cmp_gt_i32 s30, 9
	s_cbranch_scc0 .LBB88_735
; %bb.734:
	v_mov_b32_e32 v8, 0
	v_cvt_f64_f32_e32 v[6:7], v2
	v_mov_b32_e32 v9, v8
	s_mov_b64 s[28:29], 0
	global_store_dwordx4 v[0:1], v[6:9], off
.LBB88_735:
	s_andn2_b64 vcc, exec, s[28:29]
	s_cbranch_vccnz .LBB88_737
; %bb.736:
	v_mov_b32_e32 v3, 0
	global_store_dwordx2 v[0:1], v[2:3], off
.LBB88_737:
	s_mov_b64 s[28:29], 0
.LBB88_738:
	s_andn2_b64 vcc, exec, s[28:29]
	s_cbranch_vccnz .LBB88_740
; %bb.739:
	v_cvt_f16_f32_e32 v3, v2
	global_store_dword v[0:1], v3, off
.LBB88_740:
	s_mov_b64 s[28:29], 0
.LBB88_741:
	s_andn2_b64 vcc, exec, s[28:29]
	s_cbranch_vccnz .LBB88_750
; %bb.742:
	s_cmp_lt_i32 s30, 6
	s_mov_b64 s[28:29], -1
	s_cbranch_scc1 .LBB88_748
; %bb.743:
	s_cmp_gt_i32 s30, 6
	s_cbranch_scc0 .LBB88_745
; %bb.744:
	v_cvt_f64_f32_e32 v[6:7], v2
	s_mov_b64 s[28:29], 0
	global_store_dwordx2 v[0:1], v[6:7], off
.LBB88_745:
	s_andn2_b64 vcc, exec, s[28:29]
	s_cbranch_vccnz .LBB88_747
; %bb.746:
	global_store_dword v[0:1], v2, off
.LBB88_747:
	s_mov_b64 s[28:29], 0
.LBB88_748:
	s_andn2_b64 vcc, exec, s[28:29]
	s_cbranch_vccnz .LBB88_750
; %bb.749:
	v_cvt_f16_f32_e32 v3, v2
	global_store_short v[0:1], v3, off
.LBB88_750:
	s_mov_b64 s[28:29], 0
.LBB88_751:
	s_andn2_b64 vcc, exec, s[28:29]
	s_cbranch_vccnz .LBB88_767
; %bb.752:
	s_cmp_lt_i32 s30, 2
	s_mov_b64 s[28:29], -1
	s_cbranch_scc1 .LBB88_762
; %bb.753:
	s_cmp_lt_i32 s30, 3
	s_cbranch_scc1 .LBB88_759
; %bb.754:
	s_cmp_gt_i32 s30, 3
	s_cbranch_scc0 .LBB88_756
; %bb.755:
	v_trunc_f32_e32 v3, v2
	s_mov_b32 s28, 0x2f800000
	v_mul_f32_e64 v4, |v3|, s28
	v_floor_f32_e32 v4, v4
	s_mov_b32 s28, 0xcf800000
	v_cvt_u32_f32_e32 v6, v4
	v_fma_f32 v4, v4, s28, |v3|
	v_cvt_u32_f32_e32 v4, v4
	v_ashrrev_i32_e32 v3, 31, v3
	v_xor_b32_e32 v7, v6, v3
	s_mov_b64 s[28:29], 0
	v_xor_b32_e32 v4, v4, v3
	v_sub_co_u32_e32 v6, vcc, v4, v3
	s_nop 1
	v_subb_co_u32_e32 v7, vcc, v7, v3, vcc
	global_store_dwordx2 v[0:1], v[6:7], off
.LBB88_756:
	s_andn2_b64 vcc, exec, s[28:29]
	s_cbranch_vccnz .LBB88_758
; %bb.757:
	v_cvt_i32_f32_e32 v3, v2
	global_store_dword v[0:1], v3, off
.LBB88_758:
	s_mov_b64 s[28:29], 0
.LBB88_759:
	s_andn2_b64 vcc, exec, s[28:29]
	s_cbranch_vccnz .LBB88_761
; %bb.760:
	v_cvt_i32_f32_e32 v3, v2
	global_store_short v[0:1], v3, off
.LBB88_761:
	s_mov_b64 s[28:29], 0
.LBB88_762:
	s_andn2_b64 vcc, exec, s[28:29]
	s_cbranch_vccnz .LBB88_767
; %bb.763:
	s_cmp_gt_i32 s30, 0
	s_mov_b64 s[28:29], -1
	s_cbranch_scc0 .LBB88_765
; %bb.764:
	v_cvt_i32_f32_e32 v3, v2
	s_mov_b64 s[28:29], 0
	global_store_byte v[0:1], v3, off
.LBB88_765:
	s_andn2_b64 vcc, exec, s[28:29]
	s_cbranch_vccnz .LBB88_767
; %bb.766:
	v_trunc_f32_e32 v2, v2
	s_mov_b32 s28, 0x2f800000
	v_mul_f32_e64 v3, |v2|, s28
	v_floor_f32_e32 v3, v3
	s_mov_b32 s28, 0xcf800000
	v_fma_f32 v3, v3, s28, |v2|
	v_cvt_u32_f32_e32 v3, v3
	v_ashrrev_i32_e32 v2, 31, v2
	v_xor_b32_e32 v3, v3, v2
	v_sub_u32_e32 v2, v3, v2
	global_store_byte v[0:1], v2, off
.LBB88_767:
	s_mov_b64 s[28:29], -1
.LBB88_768:
	s_andn2_b64 vcc, exec, s[28:29]
	s_cbranch_vccnz .LBB88_770
; %bb.769:
	v_add_u32_e32 v5, 0x80, v5
	s_mov_b64 s[30:31], -1
	s_branch .LBB88_771
.LBB88_770:
	s_mov_b64 s[30:31], 0
                                        ; implicit-def: $vgpr5
.LBB88_771:
	s_andn2_b64 s[28:29], s[20:21], exec
	s_and_b64 s[0:1], s[0:1], exec
	s_or_b64 s[28:29], s[28:29], s[0:1]
	s_andn2_b64 s[0:1], s[18:19], exec
	s_and_b64 s[26:27], s[26:27], exec
	s_or_b64 s[0:1], s[0:1], s[26:27]
	s_orn2_b64 s[34:35], s[30:31], exec
.LBB88_772:
	s_or_b64 exec, exec, s[24:25]
	s_mov_b64 s[30:31], 0
	s_mov_b64 s[26:27], 0
	;; [unrolled: 1-line block ×3, first 2 shown]
                                        ; implicit-def: $vgpr0_vgpr1
                                        ; implicit-def: $vgpr3
	s_and_saveexec_b64 s[24:25], s[34:35]
	s_cbranch_execz .LBB88_857
; %bb.773:
	v_cmp_gt_i32_e32 vcc, s38, v5
	s_mov_b64 s[34:35], 0
	s_mov_b64 s[38:39], s[0:1]
	;; [unrolled: 1-line block ×3, first 2 shown]
                                        ; implicit-def: $vgpr0_vgpr1
                                        ; implicit-def: $vgpr3
	s_and_saveexec_b64 s[26:27], vcc
	s_cbranch_execz .LBB88_856
; %bb.774:
	v_mul_lo_u32 v0, v5, s9
	v_ashrrev_i32_e32 v1, 31, v0
	s_and_b32 s43, 0xffff, s42
	s_cmp_lt_i32 s43, 11
	v_lshl_add_u64 v[0:1], s[6:7], 0, v[0:1]
	s_cbranch_scc1 .LBB88_781
; %bb.775:
	s_cmp_gt_i32 s43, 25
	s_cbranch_scc0 .LBB88_782
; %bb.776:
	s_cmp_gt_i32 s43, 28
	s_cbranch_scc0 .LBB88_783
; %bb.777:
	s_cmp_gt_i32 s43, 43
	s_cbranch_scc0 .LBB88_784
; %bb.778:
	s_cmp_gt_i32 s43, 45
	s_cbranch_scc0 .LBB88_787
; %bb.779:
	s_cmp_eq_u32 s43, 46
	s_mov_b64 s[38:39], 0
	s_cbranch_scc0 .LBB88_790
; %bb.780:
	global_load_dword v2, v[0:1], off
	s_mov_b64 s[36:37], -1
	s_waitcnt vmcnt(0)
	v_lshlrev_b32_e32 v3, 16, v2
	s_branch .LBB88_792
.LBB88_781:
	s_mov_b64 s[38:39], -1
                                        ; implicit-def: $vgpr3
	s_mov_b64 s[30:31], s[0:1]
	s_branch .LBB88_855
.LBB88_782:
	s_mov_b64 s[38:39], -1
	s_mov_b64 s[30:31], s[0:1]
                                        ; implicit-def: $vgpr3
	s_branch .LBB88_821
.LBB88_783:
	s_mov_b64 s[38:39], -1
	s_mov_b64 s[30:31], s[0:1]
                                        ; implicit-def: $vgpr3
	s_branch .LBB88_802
.LBB88_784:
	s_mov_b64 s[38:39], -1
	s_mov_b64 s[30:31], s[0:1]
                                        ; implicit-def: $vgpr3
	s_branch .LBB88_797
.LBB88_785:
	s_andn2_saveexec_b64 s[34:35], s[34:35]
	s_cbranch_execz .LBB88_681
.LBB88_786:
	s_mov_b32 s39, 0x46000000
	v_add_f32_e64 v3, |v2|, s39
	v_and_b32_e32 v3, 0xff, v3
	v_cmp_ne_u32_e32 vcc, 0, v3
	s_andn2_b64 s[30:31], s[30:31], exec
	s_and_b64 s[40:41], vcc, exec
	s_or_b64 s[30:31], s[30:31], s[40:41]
	s_or_b64 exec, exec, s[34:35]
	v_mov_b32_e32 v4, 0
	s_and_saveexec_b64 s[34:35], s[30:31]
	s_cbranch_execnz .LBB88_682
	s_branch .LBB88_683
.LBB88_787:
	s_mov_b64 s[38:39], -1
	s_mov_b64 s[30:31], s[0:1]
	s_branch .LBB88_791
.LBB88_788:
	s_andn2_saveexec_b64 s[34:35], s[34:35]
	s_cbranch_execz .LBB88_694
.LBB88_789:
	s_mov_b32 s39, 0x42800000
	v_add_f32_e64 v3, |v2|, s39
	v_and_b32_e32 v3, 0xff, v3
	v_cmp_ne_u32_e32 vcc, 0, v3
	s_andn2_b64 s[30:31], s[30:31], exec
	s_and_b64 s[40:41], vcc, exec
	s_or_b64 s[30:31], s[30:31], s[40:41]
	s_or_b64 exec, exec, s[34:35]
	v_mov_b32_e32 v4, 0
	s_and_saveexec_b64 s[34:35], s[30:31]
	s_cbranch_execnz .LBB88_695
	s_branch .LBB88_696
.LBB88_790:
	s_mov_b64 s[30:31], -1
.LBB88_791:
                                        ; implicit-def: $vgpr3
.LBB88_792:
	s_and_b64 vcc, exec, s[38:39]
	s_cbranch_vccz .LBB88_796
; %bb.793:
	s_cmp_eq_u32 s43, 44
	s_cbranch_scc0 .LBB88_795
; %bb.794:
	global_load_ubyte v2, v[0:1], off
	s_movk_i32 s36, 0xff
	v_mov_b32_e32 v3, 0x7f800001
	v_mov_b32_e32 v4, 0x400000
	s_mov_b64 s[30:31], 0
	s_waitcnt vmcnt(0)
	v_lshlrev_b32_e32 v6, 23, v2
	v_cmp_ne_u32_e32 vcc, s36, v2
	s_mov_b64 s[36:37], -1
	s_nop 0
	v_cndmask_b32_e32 v3, v3, v6, vcc
	v_cmp_ne_u32_e32 vcc, 0, v2
	s_nop 1
	v_cndmask_b32_e32 v3, v4, v3, vcc
	s_branch .LBB88_796
.LBB88_795:
	s_mov_b64 s[30:31], -1
                                        ; implicit-def: $vgpr3
.LBB88_796:
	s_mov_b64 s[38:39], 0
.LBB88_797:
	s_and_b64 vcc, exec, s[38:39]
	s_cbranch_vccz .LBB88_801
; %bb.798:
	s_cmp_eq_u32 s43, 29
	s_cbranch_scc0 .LBB88_800
; %bb.799:
	global_load_dwordx2 v[2:3], v[0:1], off
	s_mov_b64 s[30:31], 0
	s_mov_b64 s[36:37], -1
	s_mov_b64 s[38:39], 0
	s_waitcnt vmcnt(0)
	v_ffbh_u32_e32 v4, v3
	v_min_u32_e32 v4, 32, v4
	v_lshlrev_b64 v[2:3], v4, v[2:3]
	v_min_u32_e32 v2, 1, v2
	v_or_b32_e32 v2, v3, v2
	v_cvt_f32_u32_e32 v2, v2
	v_sub_u32_e32 v3, 32, v4
	v_ldexp_f32 v3, v2, v3
	s_branch .LBB88_802
.LBB88_800:
	s_mov_b64 s[30:31], -1
                                        ; implicit-def: $vgpr3
.LBB88_801:
	s_mov_b64 s[38:39], 0
.LBB88_802:
	s_and_b64 vcc, exec, s[38:39]
	s_cbranch_vccz .LBB88_820
; %bb.803:
	s_cmp_lt_i32 s43, 27
	s_cbranch_scc1 .LBB88_806
; %bb.804:
	s_cmp_gt_i32 s43, 27
	s_cbranch_scc0 .LBB88_807
; %bb.805:
	global_load_dword v2, v[0:1], off
	s_mov_b64 s[36:37], 0
	s_waitcnt vmcnt(0)
	v_cvt_f32_u32_e32 v3, v2
	s_branch .LBB88_808
.LBB88_806:
	s_mov_b64 s[36:37], -1
                                        ; implicit-def: $vgpr3
	s_branch .LBB88_811
.LBB88_807:
	s_mov_b64 s[36:37], -1
                                        ; implicit-def: $vgpr3
.LBB88_808:
	s_andn2_b64 vcc, exec, s[36:37]
	s_cbranch_vccnz .LBB88_810
; %bb.809:
	global_load_ushort v2, v[0:1], off
	s_waitcnt vmcnt(0)
	v_cvt_f32_u32_e32 v3, v2
.LBB88_810:
	s_mov_b64 s[36:37], 0
.LBB88_811:
	s_andn2_b64 vcc, exec, s[36:37]
	s_cbranch_vccnz .LBB88_819
; %bb.812:
	global_load_ubyte v2, v[0:1], off
	s_movk_i32 s36, 0x7f
	s_waitcnt vmcnt(0)
	v_cmp_lt_i16_e32 vcc, s36, v2
	s_mov_b64 s[36:37], 0
	s_and_saveexec_b64 s[38:39], vcc
	s_xor_b64 s[38:39], exec, s[38:39]
	s_cbranch_execz .LBB88_833
; %bb.813:
	s_movk_i32 s36, 0x80
	v_cmp_eq_u16_e32 vcc, s36, v2
	s_mov_b64 s[36:37], -1
	s_and_saveexec_b64 s[40:41], vcc
; %bb.814:
	s_xor_b64 s[36:37], exec, -1
; %bb.815:
	s_or_b64 exec, exec, s[40:41]
	s_and_b64 s[36:37], s[36:37], exec
	s_or_saveexec_b64 s[38:39], s[38:39]
	v_mov_b32_e32 v3, 0x7f800001
	s_xor_b64 exec, exec, s[38:39]
	s_cbranch_execnz .LBB88_834
.LBB88_816:
	s_or_b64 exec, exec, s[38:39]
	s_and_saveexec_b64 s[38:39], s[36:37]
	s_cbranch_execz .LBB88_818
.LBB88_817:
	v_lshlrev_b32_e32 v3, 24, v2
	v_and_b32_e32 v2, 0xffff, v2
	v_and_b32_e32 v4, 7, v2
	v_ffbh_u32_e32 v7, v4
	v_min_u32_e32 v7, 32, v7
	v_subrev_u32_e32 v8, 28, v7
	v_bfe_u32 v6, v2, 3, 4
	v_lshlrev_b32_e32 v2, v8, v2
	v_sub_u32_e32 v7, 29, v7
	v_and_b32_e32 v2, 7, v2
	v_cmp_eq_u32_e32 vcc, 0, v6
	v_and_b32_e32 v3, 0x80000000, v3
	s_nop 0
	v_cndmask_b32_e32 v6, v6, v7, vcc
	v_cndmask_b32_e32 v2, v4, v2, vcc
	v_mov_b32_e32 v4, 0x3b800000
	v_lshlrev_b32_e32 v2, 20, v2
	v_lshl_add_u32 v4, v6, 23, v4
	v_or3_b32 v3, v3, v4, v2
.LBB88_818:
	s_or_b64 exec, exec, s[38:39]
.LBB88_819:
	s_mov_b64 s[36:37], -1
.LBB88_820:
	s_mov_b64 s[38:39], 0
.LBB88_821:
	s_and_b64 vcc, exec, s[38:39]
	s_cbranch_vccz .LBB88_854
; %bb.822:
	s_cmp_gt_i32 s43, 22
	s_cbranch_scc0 .LBB88_832
; %bb.823:
	s_cmp_lt_i32 s43, 24
	s_cbranch_scc1 .LBB88_835
; %bb.824:
	s_cmp_gt_i32 s43, 24
	s_cbranch_scc0 .LBB88_836
; %bb.825:
	global_load_ubyte v2, v[0:1], off
	s_movk_i32 s34, 0x7f
	s_waitcnt vmcnt(0)
	v_cmp_lt_i16_e32 vcc, s34, v2
	s_mov_b64 s[34:35], 0
	s_and_saveexec_b64 s[36:37], vcc
	s_xor_b64 s[36:37], exec, s[36:37]
	s_cbranch_execz .LBB88_848
; %bb.826:
	s_movk_i32 s34, 0x80
	v_cmp_eq_u16_e32 vcc, s34, v2
	s_mov_b64 s[34:35], -1
	s_and_saveexec_b64 s[38:39], vcc
; %bb.827:
	s_xor_b64 s[34:35], exec, -1
; %bb.828:
	s_or_b64 exec, exec, s[38:39]
	s_and_b64 s[34:35], s[34:35], exec
	s_or_saveexec_b64 s[36:37], s[36:37]
	v_mov_b32_e32 v3, 0x7f800001
	s_xor_b64 exec, exec, s[36:37]
	s_cbranch_execnz .LBB88_849
.LBB88_829:
	s_or_b64 exec, exec, s[36:37]
	s_and_saveexec_b64 s[36:37], s[34:35]
	s_cbranch_execz .LBB88_831
.LBB88_830:
	v_lshlrev_b32_e32 v3, 24, v2
	v_and_b32_e32 v2, 0xffff, v2
	v_and_b32_e32 v4, 3, v2
	v_ffbh_u32_e32 v7, v4
	v_min_u32_e32 v7, 32, v7
	v_subrev_u32_e32 v8, 29, v7
	v_bfe_u32 v6, v2, 2, 5
	v_lshlrev_b32_e32 v2, v8, v2
	v_sub_u32_e32 v7, 30, v7
	v_and_b32_e32 v2, 3, v2
	v_cmp_eq_u32_e32 vcc, 0, v6
	v_and_b32_e32 v3, 0x80000000, v3
	s_nop 0
	v_cndmask_b32_e32 v6, v6, v7, vcc
	v_cndmask_b32_e32 v2, v4, v2, vcc
	v_mov_b32_e32 v4, 0x37800000
	v_lshlrev_b32_e32 v2, 21, v2
	v_lshl_add_u32 v4, v6, 23, v4
	v_or3_b32 v3, v3, v4, v2
.LBB88_831:
	s_or_b64 exec, exec, s[36:37]
	s_mov_b64 s[34:35], 0
	s_branch .LBB88_837
.LBB88_832:
	s_mov_b64 s[34:35], -1
                                        ; implicit-def: $vgpr3
	s_branch .LBB88_843
.LBB88_833:
	s_or_saveexec_b64 s[38:39], s[38:39]
	v_mov_b32_e32 v3, 0x7f800001
	s_xor_b64 exec, exec, s[38:39]
	s_cbranch_execz .LBB88_816
.LBB88_834:
	v_cmp_ne_u16_e32 vcc, 0, v2
	s_andn2_b64 s[36:37], s[36:37], exec
	s_and_b64 s[40:41], vcc, exec
	v_mov_b32_e32 v3, 0
	s_or_b64 s[36:37], s[36:37], s[40:41]
	s_or_b64 exec, exec, s[38:39]
	s_and_saveexec_b64 s[38:39], s[36:37]
	s_cbranch_execnz .LBB88_817
	s_branch .LBB88_818
.LBB88_835:
	s_mov_b64 s[34:35], -1
                                        ; implicit-def: $vgpr3
	s_branch .LBB88_840
.LBB88_836:
	s_mov_b64 s[34:35], -1
                                        ; implicit-def: $vgpr3
.LBB88_837:
	s_and_b64 vcc, exec, s[34:35]
	s_cbranch_vccz .LBB88_839
; %bb.838:
	global_load_ubyte v2, v[0:1], off
	s_mov_b32 s34, 0x7f800000
	s_waitcnt vmcnt(0)
	v_lshlrev_b32_e32 v2, 24, v2
	v_and_b32_e32 v3, 0x7f000000, v2
	v_ffbh_u32_e32 v4, v3
	v_min_u32_e32 v4, 32, v4
	v_sub_u32_e64 v4, v4, 4 clamp
	v_lshlrev_b32_e32 v7, v4, v3
	v_lshlrev_b32_e32 v4, 23, v4
	v_lshrrev_b32_e32 v7, 4, v7
	v_add_u32_e32 v6, 0x1000000, v3
	v_sub_u32_e32 v4, v7, v4
	v_ashrrev_i32_e32 v6, 8, v6
	v_add_u32_e32 v4, 0x3c000000, v4
	v_and_or_b32 v4, v6, s34, v4
	v_cmp_ne_u32_e32 vcc, 0, v3
	s_brev_b32 s34, 1
	s_nop 0
	v_cndmask_b32_e32 v3, 0, v4, vcc
	v_and_or_b32 v3, v2, s34, v3
.LBB88_839:
	s_mov_b64 s[34:35], 0
.LBB88_840:
	s_andn2_b64 vcc, exec, s[34:35]
	s_cbranch_vccnz .LBB88_842
; %bb.841:
	global_load_ubyte v2, v[0:1], off
	s_movk_i32 s34, 0x7f00
	s_brev_b32 s35, 16
	s_waitcnt vmcnt(0)
	v_lshlrev_b16_e32 v3, 8, v2
	v_lshlrev_b32_e32 v2, 25, v2
	v_lshrrev_b32_e32 v4, 4, v2
	v_and_or_b32 v6, v3, s34, 0.5
	v_or_b32_e32 v4, 0x70000000, v4
	v_add_f32_e32 v6, -0.5, v6
	v_mul_f32_e32 v4, 0x7800000, v4
	v_cmp_gt_u32_e32 vcc, s35, v2
	v_bfe_i32 v3, v3, 0, 16
	s_brev_b32 s34, 1
	v_cndmask_b32_e32 v2, v4, v6, vcc
	v_and_or_b32 v3, v3, s34, v2
.LBB88_842:
	s_mov_b64 s[34:35], 0
	s_mov_b64 s[36:37], -1
.LBB88_843:
	s_andn2_b64 vcc, exec, s[34:35]
	s_mov_b64 s[34:35], 0
	s_cbranch_vccnz .LBB88_854
; %bb.844:
	s_cmp_gt_i32 s43, 14
	s_cbranch_scc0 .LBB88_847
; %bb.845:
	s_cmp_eq_u32 s43, 15
	s_cbranch_scc0 .LBB88_850
; %bb.846:
	global_load_ushort v2, v[0:1], off
	s_mov_b64 s[30:31], 0
	s_mov_b64 s[36:37], -1
	s_waitcnt vmcnt(0)
	v_lshlrev_b32_e32 v3, 16, v2
	s_branch .LBB88_851
.LBB88_847:
	s_mov_b64 s[38:39], -1
                                        ; implicit-def: $vgpr3
	s_branch .LBB88_852
.LBB88_848:
	s_or_saveexec_b64 s[36:37], s[36:37]
	v_mov_b32_e32 v3, 0x7f800001
	s_xor_b64 exec, exec, s[36:37]
	s_cbranch_execz .LBB88_829
.LBB88_849:
	v_cmp_ne_u16_e32 vcc, 0, v2
	s_andn2_b64 s[34:35], s[34:35], exec
	s_and_b64 s[38:39], vcc, exec
	v_mov_b32_e32 v3, 0
	s_or_b64 s[34:35], s[34:35], s[38:39]
	s_or_b64 exec, exec, s[36:37]
	s_and_saveexec_b64 s[36:37], s[34:35]
	s_cbranch_execnz .LBB88_830
	s_branch .LBB88_831
.LBB88_850:
	s_mov_b64 s[30:31], -1
                                        ; implicit-def: $vgpr3
.LBB88_851:
	s_mov_b64 s[38:39], 0
.LBB88_852:
	s_and_b64 vcc, exec, s[38:39]
	s_cbranch_vccz .LBB88_854
; %bb.853:
	s_cmp_lg_u32 s43, 11
	s_cselect_b64 s[38:39], -1, 0
	s_andn2_b64 s[30:31], s[30:31], exec
	s_and_b64 s[38:39], s[38:39], exec
	s_mov_b64 s[34:35], -1
	s_or_b64 s[30:31], s[30:31], s[38:39]
.LBB88_854:
	s_mov_b64 s[38:39], 0
.LBB88_855:
	s_and_b64 s[40:41], s[38:39], exec
	s_andn2_b64 s[38:39], s[0:1], exec
	s_and_b64 s[30:31], s[30:31], exec
	s_and_b64 s[36:37], s[36:37], exec
	;; [unrolled: 1-line block ×3, first 2 shown]
	s_or_b64 s[38:39], s[38:39], s[30:31]
.LBB88_856:
	s_or_b64 exec, exec, s[26:27]
	s_and_b64 s[30:31], s[34:35], exec
	s_andn2_b64 s[0:1], s[0:1], exec
	s_and_b64 s[34:35], s[38:39], exec
	s_and_b64 s[36:37], s[36:37], exec
	;; [unrolled: 1-line block ×3, first 2 shown]
	s_or_b64 s[0:1], s[0:1], s[34:35]
.LBB88_857:
	s_or_b64 exec, exec, s[24:25]
	s_andn2_b64 s[20:21], s[20:21], exec
	s_and_b64 s[24:25], s[28:29], exec
	s_andn2_b64 s[18:19], s[18:19], exec
	s_and_b64 s[0:1], s[0:1], exec
	s_or_b64 s[20:21], s[20:21], s[24:25]
	s_and_b64 s[28:29], s[36:37], exec
	s_and_b64 s[26:27], s[26:27], exec
	;; [unrolled: 1-line block ×3, first 2 shown]
	s_or_b64 s[18:19], s[18:19], s[0:1]
.LBB88_858:
	s_or_b64 exec, exec, s[22:23]
	s_andn2_b64 s[0:1], s[12:13], exec
	s_and_b64 s[12:13], s[20:21], exec
	s_andn2_b64 s[14:15], s[14:15], exec
	s_and_b64 s[18:19], s[18:19], exec
	s_or_b64 s[12:13], s[0:1], s[12:13]
	s_and_b64 s[0:1], s[28:29], exec
	s_and_b64 s[22:23], s[26:27], exec
	;; [unrolled: 1-line block ×3, first 2 shown]
	s_or_b64 s[14:15], s[14:15], s[18:19]
	s_or_b64 exec, exec, s[16:17]
	s_mov_b64 s[16:17], 0
	s_and_saveexec_b64 s[18:19], s[14:15]
	s_cbranch_execz .LBB88_262
.LBB88_859:
	s_mov_b64 s[16:17], exec
	s_andn2_b64 s[20:21], s[20:21], exec
	s_trap 2
	s_or_b64 exec, exec, s[18:19]
	s_and_saveexec_b64 s[14:15], s[20:21]
	s_xor_b64 s[14:15], exec, s[14:15]
	s_cbranch_execnz .LBB88_263
.LBB88_860:
	s_or_b64 exec, exec, s[14:15]
	s_and_saveexec_b64 s[14:15], s[22:23]
	s_cbranch_execz .LBB88_906
.LBB88_861:
	s_sext_i32_i16 s18, s42
	s_cmp_lt_i32 s18, 5
	s_cbranch_scc1 .LBB88_866
; %bb.862:
	s_cmp_lt_i32 s18, 8
	s_cbranch_scc1 .LBB88_867
; %bb.863:
	;; [unrolled: 3-line block ×3, first 2 shown]
	s_cmp_gt_i32 s18, 9
	s_cbranch_scc0 .LBB88_869
; %bb.865:
	global_load_dwordx2 v[2:3], v[0:1], off
	s_mov_b64 s[18:19], 0
	s_waitcnt vmcnt(0)
	v_cvt_f32_f64_e32 v3, v[2:3]
	s_branch .LBB88_870
.LBB88_866:
                                        ; implicit-def: $vgpr3
	s_branch .LBB88_887
.LBB88_867:
                                        ; implicit-def: $vgpr3
	s_branch .LBB88_876
.LBB88_868:
	s_mov_b64 s[18:19], -1
                                        ; implicit-def: $vgpr3
	s_branch .LBB88_873
.LBB88_869:
	s_mov_b64 s[18:19], -1
                                        ; implicit-def: $vgpr3
.LBB88_870:
	s_andn2_b64 vcc, exec, s[18:19]
	s_cbranch_vccnz .LBB88_872
; %bb.871:
	global_load_dword v3, v[0:1], off
.LBB88_872:
	s_mov_b64 s[18:19], 0
.LBB88_873:
	s_andn2_b64 vcc, exec, s[18:19]
	s_cbranch_vccnz .LBB88_875
; %bb.874:
	global_load_dword v2, v[0:1], off
	s_waitcnt vmcnt(0)
	v_cvt_f32_f16_e32 v3, v2
.LBB88_875:
	s_cbranch_execnz .LBB88_886
.LBB88_876:
	s_sext_i32_i16 s18, s42
	s_cmp_lt_i32 s18, 6
	s_cbranch_scc1 .LBB88_879
; %bb.877:
	s_cmp_gt_i32 s18, 6
	s_cbranch_scc0 .LBB88_880
; %bb.878:
	global_load_dwordx2 v[2:3], v[0:1], off
	s_mov_b64 s[18:19], 0
	s_waitcnt vmcnt(0)
	v_cvt_f32_f64_e32 v3, v[2:3]
	s_branch .LBB88_881
.LBB88_879:
	s_mov_b64 s[18:19], -1
                                        ; implicit-def: $vgpr3
	s_branch .LBB88_884
.LBB88_880:
	s_mov_b64 s[18:19], -1
                                        ; implicit-def: $vgpr3
.LBB88_881:
	s_andn2_b64 vcc, exec, s[18:19]
	s_cbranch_vccnz .LBB88_883
; %bb.882:
	global_load_dword v3, v[0:1], off
.LBB88_883:
	s_mov_b64 s[18:19], 0
.LBB88_884:
	s_andn2_b64 vcc, exec, s[18:19]
	s_cbranch_vccnz .LBB88_886
; %bb.885:
	global_load_ushort v2, v[0:1], off
	s_waitcnt vmcnt(0)
	v_cvt_f32_f16_e32 v3, v2
.LBB88_886:
	s_cbranch_execnz .LBB88_905
.LBB88_887:
	s_sext_i32_i16 s18, s42
	s_cmp_lt_i32 s18, 2
	s_cbranch_scc1 .LBB88_891
; %bb.888:
	s_cmp_lt_i32 s18, 3
	s_cbranch_scc1 .LBB88_892
; %bb.889:
	s_cmp_gt_i32 s18, 3
	s_cbranch_scc0 .LBB88_893
; %bb.890:
	global_load_dwordx2 v[2:3], v[0:1], off
	s_mov_b64 s[18:19], 0
	s_waitcnt vmcnt(0)
	v_xor_b32_e32 v6, v2, v3
	v_ffbh_i32_e32 v4, v3
	v_ashrrev_i32_e32 v6, 31, v6
	v_add_u32_e32 v4, -1, v4
	v_add_u32_e32 v6, 32, v6
	v_min_u32_e32 v4, v4, v6
	v_lshlrev_b64 v[2:3], v4, v[2:3]
	v_min_u32_e32 v2, 1, v2
	v_or_b32_e32 v2, v3, v2
	v_cvt_f32_i32_e32 v2, v2
	v_sub_u32_e32 v3, 32, v4
	v_ldexp_f32 v3, v2, v3
	s_branch .LBB88_894
.LBB88_891:
                                        ; implicit-def: $vgpr3
	s_branch .LBB88_900
.LBB88_892:
	s_mov_b64 s[18:19], -1
                                        ; implicit-def: $vgpr3
	s_branch .LBB88_897
.LBB88_893:
	s_mov_b64 s[18:19], -1
                                        ; implicit-def: $vgpr3
.LBB88_894:
	s_andn2_b64 vcc, exec, s[18:19]
	s_cbranch_vccnz .LBB88_896
; %bb.895:
	global_load_dword v2, v[0:1], off
	s_waitcnt vmcnt(0)
	v_cvt_f32_i32_e32 v3, v2
.LBB88_896:
	s_mov_b64 s[18:19], 0
.LBB88_897:
	s_andn2_b64 vcc, exec, s[18:19]
	s_cbranch_vccnz .LBB88_899
; %bb.898:
	global_load_sshort v2, v[0:1], off
	s_waitcnt vmcnt(0)
	v_cvt_f32_i32_e32 v3, v2
.LBB88_899:
	s_cbranch_execnz .LBB88_905
.LBB88_900:
	s_sext_i32_i16 s18, s42
	s_cmp_gt_i32 s18, 0
	s_cbranch_scc0 .LBB88_902
; %bb.901:
	global_load_sbyte v2, v[0:1], off
	s_mov_b64 s[18:19], 0
	s_waitcnt vmcnt(0)
	v_cvt_f32_i32_e32 v3, v2
	s_branch .LBB88_903
.LBB88_902:
	s_mov_b64 s[18:19], -1
                                        ; implicit-def: $vgpr3
.LBB88_903:
	s_andn2_b64 vcc, exec, s[18:19]
	s_cbranch_vccnz .LBB88_905
; %bb.904:
	global_load_ubyte v0, v[0:1], off
	s_waitcnt vmcnt(0)
	v_cvt_f32_ubyte0_e32 v3, v0
.LBB88_905:
	s_or_b64 s[0:1], s[0:1], exec
.LBB88_906:
	s_or_b64 exec, exec, s[14:15]
	s_mov_b64 s[20:21], 0
	s_mov_b64 s[18:19], 0
                                        ; implicit-def: $sgpr26
                                        ; implicit-def: $vgpr0_vgpr1
                                        ; implicit-def: $vgpr2
	s_and_saveexec_b64 s[14:15], s[0:1]
	s_cbranch_execz .LBB88_924
; %bb.907:
	s_waitcnt vmcnt(0)
	v_mul_f32_e32 v0, 0x3fb8aa3b, v3
	s_mov_b32 s0, 0x3fb8aa3b
	v_rndne_f32_e32 v1, v0
	v_sub_f32_e32 v2, v0, v1
	v_fma_f32 v0, v3, s0, -v0
	v_fmamk_f32 v0, v3, 0x32a5705f, v0
	v_add_f32_e32 v0, v2, v0
	v_exp_f32_e32 v0, v0
	v_cvt_i32_f32_e32 v1, v1
	s_mov_b32 s0, 0xc2ce8ed0
	v_cmp_ngt_f32_e32 vcc, s0, v3
	s_mov_b32 s0, 0x42b17218
	v_ldexp_f32 v0, v0, v1
	v_cndmask_b32_e32 v0, 0, v0, vcc
	v_mov_b32_e32 v1, 0x7f800000
	v_cmp_nlt_f32_e32 vcc, s0, v3
	s_and_b32 s26, s33, 0xff
	s_cmp_lt_i32 s26, 11
	v_cndmask_b32_e32 v2, v1, v0, vcc
	v_mul_lo_u32 v0, v5, s8
	v_ashrrev_i32_e32 v1, 31, v0
	v_lshl_add_u64 v[0:1], s[4:5], 0, v[0:1]
	s_cbranch_scc1 .LBB88_927
; %bb.908:
	s_and_b32 s27, 0xffff, s26
	s_mov_b64 s[20:21], -1
	s_cmp_gt_i32 s27, 25
	s_mov_b64 s[0:1], s[12:13]
	s_cbranch_scc0 .LBB88_945
; %bb.909:
	s_mov_b64 s[18:19], -1
	s_cmp_gt_i32 s27, 28
	s_mov_b64 s[0:1], s[12:13]
	s_cbranch_scc0 .LBB88_929
; %bb.910:
	s_cmp_gt_i32 s27, 43
	s_mov_b64 s[0:1], s[12:13]
	s_cbranch_scc0 .LBB88_921
; %bb.911:
	;; [unrolled: 4-line block ×3, first 2 shown]
	s_cmp_eq_u32 s27, 46
	s_mov_b64 s[0:1], -1
	s_cbranch_scc0 .LBB88_914
; %bb.913:
	v_bfe_u32 v3, v2, 16, 1
	s_movk_i32 s0, 0x7fff
	v_add3_u32 v3, v2, v3, s0
	v_cmp_o_f32_e32 vcc, v2, v2
	v_mov_b32_e32 v4, 0x7fc0
	s_mov_b64 s[0:1], 0
	v_cndmask_b32_sdwa v3, v4, v3, vcc dst_sel:DWORD dst_unused:UNUSED_PAD src0_sel:DWORD src1_sel:WORD_1
	global_store_dword v[0:1], v3, off
.LBB88_914:
	s_mov_b64 s[18:19], 0
.LBB88_915:
	s_and_b64 vcc, exec, s[18:19]
	s_cbranch_vccz .LBB88_920
; %bb.916:
	s_cmp_eq_u32 s27, 44
	s_mov_b64 s[0:1], -1
	s_cbranch_scc0 .LBB88_920
; %bb.917:
	v_bfe_u32 v3, v2, 23, 8
	s_movk_i32 s0, 0xff
	v_cmp_ne_u32_e32 vcc, s0, v3
	v_mov_b32_e32 v4, 0xff
	s_and_saveexec_b64 s[18:19], vcc
; %bb.918:
	s_mov_b32 s0, 0x3fffff
	v_and_b32_e32 v5, 0x400000, v2
	v_and_or_b32 v3, v2, s0, v3
	v_cmp_ne_u32_e32 vcc, 0, v5
	v_cmp_ne_u32_e64 s[0:1], 0, v3
	s_and_b64 s[0:1], vcc, s[0:1]
	v_lshrrev_b32_e32 v4, 23, v2
	v_cndmask_b32_e64 v3, 0, 1, s[0:1]
	v_add_u32_e32 v4, v4, v3
; %bb.919:
	s_or_b64 exec, exec, s[18:19]
	s_mov_b64 s[0:1], 0
	global_store_byte v[0:1], v4, off
.LBB88_920:
	s_mov_b64 s[18:19], 0
.LBB88_921:
	s_and_b64 vcc, exec, s[18:19]
	s_cbranch_vccz .LBB88_928
; %bb.922:
	s_cmp_eq_u32 s27, 29
	s_mov_b64 s[0:1], -1
	s_cbranch_scc0 .LBB88_928
; %bb.923:
	v_trunc_f32_e32 v3, v2
	v_mul_f32_e32 v4, 0x2f800000, v3
	v_floor_f32_e32 v4, v4
	v_fmamk_f32 v3, v4, 0xcf800000, v3
	v_cvt_u32_f32_e32 v5, v4
	v_cvt_u32_f32_e32 v4, v3
	s_mov_b64 s[0:1], 0
	s_mov_b64 s[18:19], 0
	global_store_dwordx2 v[0:1], v[4:5], off
	s_branch .LBB88_929
.LBB88_924:
	s_or_b64 exec, exec, s[14:15]
	s_and_saveexec_b64 s[0:1], s[12:13]
	s_cbranch_execnz .LBB88_987
.LBB88_925:
	s_or_b64 exec, exec, s[0:1]
	s_and_saveexec_b64 s[0:1], s[20:21]
	s_xor_b64 s[0:1], exec, s[0:1]
	s_cbranch_execz .LBB88_988
.LBB88_926:
	s_waitcnt vmcnt(0)
	v_cmp_neq_f32_e32 vcc, 0, v2
	s_nop 1
	v_cndmask_b32_e64 v3, 0, 1, vcc
	global_store_byte v[0:1], v3, off
	s_or_b64 exec, exec, s[0:1]
	s_and_saveexec_b64 s[0:1], s[18:19]
	s_xor_b64 s[0:1], exec, s[0:1]
	s_cbranch_execz .LBB88_1026
	s_branch .LBB88_989
.LBB88_927:
	s_mov_b64 s[18:19], -1
	s_mov_b64 s[0:1], s[12:13]
	s_branch .LBB88_986
.LBB88_928:
	s_mov_b64 s[18:19], 0
.LBB88_929:
	s_and_b64 vcc, exec, s[18:19]
	s_cbranch_vccz .LBB88_944
; %bb.930:
	s_cmp_lt_i32 s27, 27
	s_mov_b64 s[18:19], -1
	s_cbranch_scc1 .LBB88_936
; %bb.931:
	v_cvt_u32_f32_e32 v3, v2
	s_cmp_gt_i32 s27, 27
	s_cbranch_scc0 .LBB88_933
; %bb.932:
	s_mov_b64 s[18:19], 0
	global_store_dword v[0:1], v3, off
.LBB88_933:
	s_andn2_b64 vcc, exec, s[18:19]
	s_cbranch_vccnz .LBB88_935
; %bb.934:
	global_store_short v[0:1], v3, off
.LBB88_935:
	s_mov_b64 s[18:19], 0
.LBB88_936:
	s_andn2_b64 vcc, exec, s[18:19]
	s_cbranch_vccnz .LBB88_944
; %bb.937:
	v_and_b32_e32 v3, 0x7fffffff, v2
	s_mov_b32 s18, 0x43800000
	v_cmp_gt_u32_e32 vcc, s18, v3
	v_mov_b32_e32 v4, 0x80
	s_and_saveexec_b64 s[18:19], vcc
	s_cbranch_execz .LBB88_943
; %bb.938:
	s_mov_b32 s20, 0x3bffffff
	v_cmp_lt_u32_e32 vcc, s20, v3
	s_mov_b64 s[20:21], 0
                                        ; implicit-def: $vgpr3
	s_and_saveexec_b64 s[22:23], vcc
	s_xor_b64 s[22:23], exec, s[22:23]
	s_cbranch_execz .LBB88_1041
; %bb.939:
	v_bfe_u32 v3, v2, 20, 1
	s_mov_b32 s24, 0x487ffff
	v_add3_u32 v3, v2, v3, s24
	s_mov_b64 s[20:21], exec
	v_lshrrev_b32_e32 v3, 20, v3
	s_andn2_saveexec_b64 s[22:23], s[22:23]
	s_cbranch_execnz .LBB88_1042
.LBB88_940:
	s_or_b64 exec, exec, s[22:23]
	v_mov_b32_e32 v4, 0
	s_and_saveexec_b64 s[22:23], s[20:21]
.LBB88_941:
	v_lshrrev_b32_e32 v4, 24, v2
	s_movk_i32 s20, 0x80
	v_and_or_b32 v4, v4, s20, v3
.LBB88_942:
	s_or_b64 exec, exec, s[22:23]
.LBB88_943:
	s_or_b64 exec, exec, s[18:19]
	global_store_byte v[0:1], v4, off
.LBB88_944:
	s_mov_b64 s[20:21], 0
.LBB88_945:
	s_mov_b64 s[18:19], 0
	s_and_b64 vcc, exec, s[20:21]
	s_cbranch_vccz .LBB88_985
; %bb.946:
	s_cmp_gt_i32 s27, 22
	s_mov_b64 s[20:21], -1
	s_cbranch_scc0 .LBB88_978
; %bb.947:
	s_cmp_lt_i32 s27, 24
	s_cbranch_scc1 .LBB88_967
; %bb.948:
	s_cmp_gt_i32 s27, 24
	s_cbranch_scc0 .LBB88_956
; %bb.949:
	v_and_b32_e32 v3, 0x7fffffff, v2
	s_mov_b32 s20, 0x47800000
	v_cmp_gt_u32_e32 vcc, s20, v3
	v_mov_b32_e32 v4, 0x80
	s_and_saveexec_b64 s[20:21], vcc
	s_cbranch_execz .LBB88_955
; %bb.950:
	s_mov_b32 s22, 0x37ffffff
	v_cmp_lt_u32_e32 vcc, s22, v3
	s_mov_b64 s[22:23], 0
                                        ; implicit-def: $vgpr3
	s_and_saveexec_b64 s[24:25], vcc
	s_xor_b64 s[24:25], exec, s[24:25]
	s_cbranch_execz .LBB88_1166
; %bb.951:
	v_bfe_u32 v3, v2, 21, 1
	s_mov_b32 s28, 0x88fffff
	v_add3_u32 v3, v2, v3, s28
	s_mov_b64 s[22:23], exec
	v_lshrrev_b32_e32 v3, 21, v3
	s_andn2_saveexec_b64 s[24:25], s[24:25]
	s_cbranch_execnz .LBB88_1167
.LBB88_952:
	s_or_b64 exec, exec, s[24:25]
	v_mov_b32_e32 v4, 0
	s_and_saveexec_b64 s[24:25], s[22:23]
.LBB88_953:
	v_lshrrev_b32_e32 v4, 24, v2
	s_movk_i32 s22, 0x80
	v_and_or_b32 v4, v4, s22, v3
.LBB88_954:
	s_or_b64 exec, exec, s[24:25]
.LBB88_955:
	s_or_b64 exec, exec, s[20:21]
	s_mov_b64 s[20:21], 0
	global_store_byte v[0:1], v4, off
.LBB88_956:
	s_and_b64 vcc, exec, s[20:21]
	s_cbranch_vccz .LBB88_966
; %bb.957:
	v_and_b32_e32 v4, 0x7fffffff, v2
	s_mov_b32 s20, 0x43f00000
	v_cmp_gt_u32_e32 vcc, s20, v4
                                        ; implicit-def: $vgpr3
	s_and_saveexec_b64 s[20:21], vcc
	s_xor_b64 s[20:21], exec, s[20:21]
	s_cbranch_execz .LBB88_963
; %bb.958:
	s_mov_b32 s22, 0x3c7fffff
	v_cmp_lt_u32_e32 vcc, s22, v4
                                        ; implicit-def: $vgpr3
	s_and_saveexec_b64 s[22:23], vcc
	s_xor_b64 s[22:23], exec, s[22:23]
; %bb.959:
	v_bfe_u32 v3, v2, 20, 1
	s_mov_b32 s24, 0x407ffff
	v_add3_u32 v3, v2, v3, s24
	v_lshrrev_b32_e32 v4, 20, v3
	v_and_b32_e32 v3, 0xff00000, v3
	s_mov_b32 s24, 0x7f00000
	v_mov_b32_e32 v5, 0x7e
	v_cmp_ne_u32_e32 vcc, s24, v3
	s_nop 1
	v_cndmask_b32_e32 v3, v5, v4, vcc
; %bb.960:
	s_andn2_saveexec_b64 s[22:23], s[22:23]
; %bb.961:
	s_mov_b32 s24, 0x46800000
	v_add_f32_e64 v3, |v2|, s24
; %bb.962:
	s_or_b64 exec, exec, s[22:23]
                                        ; implicit-def: $vgpr4
.LBB88_963:
	s_andn2_saveexec_b64 s[20:21], s[20:21]
; %bb.964:
	s_mov_b32 s22, 0x7f800000
	v_mov_b32_e32 v3, 0x7e
	v_mov_b32_e32 v5, 0x7f
	v_cmp_lt_u32_e32 vcc, s22, v4
	s_nop 1
	v_cndmask_b32_e32 v3, v3, v5, vcc
; %bb.965:
	s_or_b64 exec, exec, s[20:21]
	v_lshrrev_b32_e32 v4, 24, v2
	s_movk_i32 s20, 0x80
	v_and_or_b32 v3, v4, s20, v3
	global_store_byte v[0:1], v3, off
.LBB88_966:
	s_mov_b64 s[20:21], 0
.LBB88_967:
	s_andn2_b64 vcc, exec, s[20:21]
	s_cbranch_vccnz .LBB88_977
; %bb.968:
	v_and_b32_e32 v4, 0x7fffffff, v2
	s_mov_b32 s20, 0x47800000
	v_cmp_gt_u32_e32 vcc, s20, v4
                                        ; implicit-def: $vgpr3
	s_and_saveexec_b64 s[20:21], vcc
	s_xor_b64 s[20:21], exec, s[20:21]
	s_cbranch_execz .LBB88_974
; %bb.969:
	s_mov_b32 s22, 0x387fffff
	v_cmp_lt_u32_e32 vcc, s22, v4
                                        ; implicit-def: $vgpr3
	s_and_saveexec_b64 s[22:23], vcc
	s_xor_b64 s[22:23], exec, s[22:23]
; %bb.970:
	v_bfe_u32 v3, v2, 21, 1
	s_mov_b32 s24, 0x80fffff
	v_add3_u32 v3, v2, v3, s24
	v_lshrrev_b32_e32 v3, 21, v3
; %bb.971:
	s_andn2_saveexec_b64 s[22:23], s[22:23]
; %bb.972:
	s_mov_b32 s24, 0x43000000
	v_add_f32_e64 v3, |v2|, s24
; %bb.973:
	s_or_b64 exec, exec, s[22:23]
                                        ; implicit-def: $vgpr4
.LBB88_974:
	s_andn2_saveexec_b64 s[20:21], s[20:21]
; %bb.975:
	s_mov_b32 s22, 0x7f800000
	v_mov_b32_e32 v3, 0x7c
	v_mov_b32_e32 v5, 0x7f
	v_cmp_lt_u32_e32 vcc, s22, v4
	s_nop 1
	v_cndmask_b32_e32 v3, v3, v5, vcc
; %bb.976:
	s_or_b64 exec, exec, s[20:21]
	v_lshrrev_b32_e32 v4, 24, v2
	s_movk_i32 s20, 0x80
	v_and_or_b32 v3, v4, s20, v3
	global_store_byte v[0:1], v3, off
.LBB88_977:
	s_mov_b64 s[20:21], 0
.LBB88_978:
	s_andn2_b64 vcc, exec, s[20:21]
	s_mov_b64 s[20:21], 0
	s_cbranch_vccnz .LBB88_986
; %bb.979:
	s_cmp_gt_i32 s27, 14
	s_mov_b64 s[22:23], -1
	s_cbranch_scc0 .LBB88_983
; %bb.980:
	s_cmp_eq_u32 s27, 15
	s_mov_b64 s[0:1], -1
	s_cbranch_scc0 .LBB88_982
; %bb.981:
	v_bfe_u32 v3, v2, 16, 1
	s_movk_i32 s0, 0x7fff
	v_add3_u32 v3, v2, v3, s0
	v_cmp_o_f32_e32 vcc, v2, v2
	v_mov_b32_e32 v4, 0x7fc0
	s_mov_b64 s[0:1], 0
	v_cndmask_b32_sdwa v3, v4, v3, vcc dst_sel:DWORD dst_unused:UNUSED_PAD src0_sel:DWORD src1_sel:WORD_1
	global_store_short v[0:1], v3, off
.LBB88_982:
	s_mov_b64 s[22:23], 0
.LBB88_983:
	s_and_b64 vcc, exec, s[22:23]
	s_cbranch_vccz .LBB88_986
; %bb.984:
	s_cmp_lg_u32 s27, 11
	s_cselect_b64 s[22:23], -1, 0
	s_andn2_b64 s[0:1], s[0:1], exec
	s_and_b64 s[22:23], s[22:23], exec
	s_mov_b64 s[20:21], -1
	s_or_b64 s[0:1], s[0:1], s[22:23]
	s_branch .LBB88_986
.LBB88_985:
	s_mov_b64 s[20:21], 0
.LBB88_986:
	s_andn2_b64 s[12:13], s[12:13], exec
	s_and_b64 s[0:1], s[0:1], exec
	s_and_b64 s[18:19], s[18:19], exec
	;; [unrolled: 1-line block ×3, first 2 shown]
	s_or_b64 s[12:13], s[12:13], s[0:1]
	s_or_b64 exec, exec, s[14:15]
	s_and_saveexec_b64 s[0:1], s[12:13]
	s_cbranch_execz .LBB88_925
.LBB88_987:
	s_or_b64 s[16:17], s[16:17], exec
	s_andn2_b64 s[20:21], s[20:21], exec
	s_trap 2
	s_or_b64 exec, exec, s[0:1]
	s_and_saveexec_b64 s[0:1], s[20:21]
	s_xor_b64 s[0:1], exec, s[0:1]
	s_cbranch_execnz .LBB88_926
.LBB88_988:
	s_or_b64 exec, exec, s[0:1]
	s_and_saveexec_b64 s[0:1], s[18:19]
	s_xor_b64 s[0:1], exec, s[0:1]
	s_cbranch_execz .LBB88_1026
.LBB88_989:
	s_sext_i32_i16 s14, s26
	s_cmp_lt_i32 s14, 5
	s_mov_b64 s[12:13], -1
	s_cbranch_scc1 .LBB88_1010
; %bb.990:
	s_cmp_lt_i32 s14, 8
	s_cbranch_scc1 .LBB88_1000
; %bb.991:
	s_cmp_lt_i32 s14, 9
	s_cbranch_scc1 .LBB88_997
; %bb.992:
	s_cmp_gt_i32 s14, 9
	s_cbranch_scc0 .LBB88_994
; %bb.993:
	v_mov_b32_e32 v6, 0
	s_waitcnt vmcnt(0)
	v_cvt_f64_f32_e32 v[4:5], v2
	v_mov_b32_e32 v7, v6
	s_mov_b64 s[12:13], 0
	global_store_dwordx4 v[0:1], v[4:7], off
.LBB88_994:
	s_andn2_b64 vcc, exec, s[12:13]
	s_cbranch_vccnz .LBB88_996
; %bb.995:
	s_waitcnt vmcnt(0)
	v_mov_b32_e32 v3, 0
	global_store_dwordx2 v[0:1], v[2:3], off
.LBB88_996:
	s_mov_b64 s[12:13], 0
.LBB88_997:
	s_andn2_b64 vcc, exec, s[12:13]
	s_cbranch_vccnz .LBB88_999
; %bb.998:
	s_waitcnt vmcnt(0)
	v_cvt_f16_f32_e32 v3, v2
	global_store_dword v[0:1], v3, off
.LBB88_999:
	s_mov_b64 s[12:13], 0
.LBB88_1000:
	s_andn2_b64 vcc, exec, s[12:13]
	s_cbranch_vccnz .LBB88_1009
; %bb.1001:
	s_sext_i32_i16 s14, s26
	s_cmp_lt_i32 s14, 6
	s_mov_b64 s[12:13], -1
	s_cbranch_scc1 .LBB88_1007
; %bb.1002:
	s_cmp_gt_i32 s14, 6
	s_cbranch_scc0 .LBB88_1004
; %bb.1003:
	s_waitcnt vmcnt(0)
	v_cvt_f64_f32_e32 v[4:5], v2
	s_mov_b64 s[12:13], 0
	global_store_dwordx2 v[0:1], v[4:5], off
.LBB88_1004:
	s_andn2_b64 vcc, exec, s[12:13]
	s_cbranch_vccnz .LBB88_1006
; %bb.1005:
	s_waitcnt vmcnt(0)
	global_store_dword v[0:1], v2, off
.LBB88_1006:
	s_mov_b64 s[12:13], 0
.LBB88_1007:
	s_andn2_b64 vcc, exec, s[12:13]
	s_cbranch_vccnz .LBB88_1009
; %bb.1008:
	s_waitcnt vmcnt(0)
	v_cvt_f16_f32_e32 v3, v2
	global_store_short v[0:1], v3, off
.LBB88_1009:
	s_mov_b64 s[12:13], 0
.LBB88_1010:
	s_andn2_b64 vcc, exec, s[12:13]
	s_cbranch_vccnz .LBB88_1026
; %bb.1011:
	s_sext_i32_i16 s14, s26
	s_cmp_lt_i32 s14, 2
	s_mov_b64 s[12:13], -1
	s_cbranch_scc1 .LBB88_1021
; %bb.1012:
	s_cmp_lt_i32 s14, 3
	s_cbranch_scc1 .LBB88_1018
; %bb.1013:
	s_cmp_gt_i32 s14, 3
	s_cbranch_scc0 .LBB88_1015
; %bb.1014:
	s_waitcnt vmcnt(0)
	v_trunc_f32_e32 v3, v2
	s_mov_b32 s12, 0x2f800000
	v_mul_f32_e64 v4, |v3|, s12
	v_floor_f32_e32 v4, v4
	s_mov_b32 s12, 0xcf800000
	v_cvt_u32_f32_e32 v5, v4
	v_fma_f32 v4, v4, s12, |v3|
	v_cvt_u32_f32_e32 v4, v4
	v_ashrrev_i32_e32 v3, 31, v3
	v_xor_b32_e32 v5, v5, v3
	s_mov_b64 s[12:13], 0
	v_xor_b32_e32 v4, v4, v3
	v_sub_co_u32_e32 v4, vcc, v4, v3
	s_nop 1
	v_subb_co_u32_e32 v5, vcc, v5, v3, vcc
	global_store_dwordx2 v[0:1], v[4:5], off
.LBB88_1015:
	s_andn2_b64 vcc, exec, s[12:13]
	s_cbranch_vccnz .LBB88_1017
; %bb.1016:
	s_waitcnt vmcnt(0)
	v_cvt_i32_f32_e32 v3, v2
	global_store_dword v[0:1], v3, off
.LBB88_1017:
	s_mov_b64 s[12:13], 0
.LBB88_1018:
	s_andn2_b64 vcc, exec, s[12:13]
	s_cbranch_vccnz .LBB88_1020
; %bb.1019:
	s_waitcnt vmcnt(0)
	v_cvt_i32_f32_e32 v3, v2
	global_store_short v[0:1], v3, off
.LBB88_1020:
	s_mov_b64 s[12:13], 0
.LBB88_1021:
	s_andn2_b64 vcc, exec, s[12:13]
	s_cbranch_vccnz .LBB88_1026
; %bb.1022:
	s_sext_i32_i16 s12, s26
	s_cmp_gt_i32 s12, 0
	s_mov_b64 s[12:13], -1
	s_cbranch_scc0 .LBB88_1024
; %bb.1023:
	s_waitcnt vmcnt(0)
	v_cvt_i32_f32_e32 v3, v2
	s_mov_b64 s[12:13], 0
	global_store_byte v[0:1], v3, off
.LBB88_1024:
	s_andn2_b64 vcc, exec, s[12:13]
	s_cbranch_vccnz .LBB88_1026
; %bb.1025:
	s_waitcnt vmcnt(0)
	v_trunc_f32_e32 v2, v2
	s_mov_b32 s12, 0x2f800000
	v_mul_f32_e64 v3, |v2|, s12
	v_floor_f32_e32 v3, v3
	s_mov_b32 s12, 0xcf800000
	v_fma_f32 v3, v3, s12, |v2|
	v_cvt_u32_f32_e32 v3, v3
	v_ashrrev_i32_e32 v2, 31, v2
	v_xor_b32_e32 v3, v3, v2
	v_sub_u32_e32 v2, v3, v2
	global_store_byte v[0:1], v2, off
.LBB88_1026:
	s_or_b64 exec, exec, s[0:1]
	s_and_b64 s[12:13], s[16:17], exec
                                        ; implicit-def: $vgpr5
.LBB88_1027:
	s_or_saveexec_b64 s[2:3], s[2:3]
	s_mov_b64 s[0:1], 0
                                        ; implicit-def: $sgpr20
                                        ; implicit-def: $vgpr0_vgpr1
                                        ; implicit-def: $vgpr2
	s_xor_b64 exec, exec, s[2:3]
	s_cbranch_execz .LBB88_1975
; %bb.1028:
	v_mul_lo_u32 v0, s9, v5
	v_ashrrev_i32_e32 v1, 31, v0
	s_and_b32 s22, 0xffff, s42
	s_cmp_lt_i32 s22, 11
	s_waitcnt vmcnt(0)
	v_lshl_add_u64 v[2:3], s[6:7], 0, v[0:1]
	s_cbranch_scc1 .LBB88_1035
; %bb.1029:
	s_cmp_gt_i32 s22, 25
	s_cbranch_scc0 .LBB88_1037
; %bb.1030:
	s_cmp_gt_i32 s22, 28
	s_cbranch_scc0 .LBB88_1038
	;; [unrolled: 3-line block ×4, first 2 shown]
; %bb.1033:
	s_cmp_eq_u32 s22, 46
	s_mov_b64 s[14:15], 0
	s_cbranch_scc0 .LBB88_1043
; %bb.1034:
	global_load_dword v1, v[2:3], off
	s_mov_b64 s[16:17], -1
	s_waitcnt vmcnt(0)
	v_lshlrev_b32_e32 v4, 16, v1
	s_branch .LBB88_1044
.LBB88_1035:
	s_mov_b64 s[16:17], 0
                                        ; implicit-def: $vgpr4
	s_mov_b64 s[14:15], s[12:13]
	s_cbranch_execnz .LBB88_1107
.LBB88_1036:
	s_andn2_b64 vcc, exec, s[16:17]
	s_cbranch_vccz .LBB88_1152
	s_branch .LBB88_1973
.LBB88_1037:
	s_mov_b64 s[16:17], 0
                                        ; implicit-def: $vgpr4
	s_cbranch_execnz .LBB88_1072
	s_branch .LBB88_1103
.LBB88_1038:
	s_mov_b64 s[14:15], -1
	s_mov_b64 s[16:17], 0
                                        ; implicit-def: $vgpr4
	s_branch .LBB88_1053
.LBB88_1039:
	s_mov_b64 s[16:17], 0
                                        ; implicit-def: $vgpr4
	s_cbranch_execnz .LBB88_1049
	s_branch .LBB88_1052
.LBB88_1040:
	s_mov_b64 s[14:15], -1
	s_mov_b64 s[16:17], 0
                                        ; implicit-def: $vgpr4
	s_branch .LBB88_1044
.LBB88_1041:
	s_andn2_saveexec_b64 s[22:23], s[22:23]
	s_cbranch_execz .LBB88_940
.LBB88_1042:
	s_mov_b32 s24, 0x46000000
	v_add_f32_e64 v3, |v2|, s24
	v_and_b32_e32 v3, 0xff, v3
	v_cmp_ne_u32_e32 vcc, 0, v3
	s_andn2_b64 s[20:21], s[20:21], exec
	s_and_b64 s[24:25], vcc, exec
	s_or_b64 s[20:21], s[20:21], s[24:25]
	s_or_b64 exec, exec, s[22:23]
	v_mov_b32_e32 v4, 0
	s_and_saveexec_b64 s[22:23], s[20:21]
	s_cbranch_execnz .LBB88_941
	s_branch .LBB88_942
.LBB88_1043:
	s_mov_b64 s[0:1], -1
                                        ; implicit-def: $vgpr4
	s_mov_b64 s[16:17], 0
.LBB88_1044:
	s_and_b64 vcc, exec, s[14:15]
	s_cbranch_vccz .LBB88_1047
; %bb.1045:
	s_cmp_eq_u32 s22, 44
	s_cbranch_scc0 .LBB88_1048
; %bb.1046:
	global_load_ubyte v1, v[2:3], off
	s_movk_i32 s14, 0xff
	v_mov_b32_e32 v4, 0x7f800001
	v_mov_b32_e32 v6, 0x400000
	s_mov_b64 s[0:1], 0
	s_mov_b64 s[16:17], -1
	s_waitcnt vmcnt(0)
	v_lshlrev_b32_e32 v7, 23, v1
	v_cmp_ne_u32_e32 vcc, s14, v1
	s_nop 1
	v_cndmask_b32_e32 v4, v4, v7, vcc
	v_cmp_ne_u32_e32 vcc, 0, v1
	s_nop 1
	v_cndmask_b32_e32 v4, v6, v4, vcc
.LBB88_1047:
	s_branch .LBB88_1052
.LBB88_1048:
	s_mov_b64 s[0:1], -1
                                        ; implicit-def: $vgpr4
	s_branch .LBB88_1052
.LBB88_1049:
	s_cmp_eq_u32 s22, 29
	s_cbranch_scc0 .LBB88_1051
; %bb.1050:
	global_load_dwordx2 v[6:7], v[2:3], off
	s_mov_b64 s[0:1], 0
	s_mov_b64 s[16:17], -1
	s_mov_b64 s[14:15], 0
	s_waitcnt vmcnt(0)
	v_ffbh_u32_e32 v1, v7
	v_min_u32_e32 v1, 32, v1
	v_lshlrev_b64 v[6:7], v1, v[6:7]
	v_min_u32_e32 v4, 1, v6
	v_or_b32_e32 v4, v7, v4
	v_cvt_f32_u32_e32 v4, v4
	v_sub_u32_e32 v1, 32, v1
	v_ldexp_f32 v4, v4, v1
	s_branch .LBB88_1053
.LBB88_1051:
	s_mov_b64 s[0:1], -1
                                        ; implicit-def: $vgpr4
.LBB88_1052:
	s_mov_b64 s[14:15], 0
.LBB88_1053:
	s_and_b64 vcc, exec, s[14:15]
	s_cbranch_vccz .LBB88_1071
; %bb.1054:
	s_cmp_lt_i32 s22, 27
	s_cbranch_scc1 .LBB88_1057
; %bb.1055:
	s_cmp_gt_i32 s22, 27
	s_cbranch_scc0 .LBB88_1058
; %bb.1056:
	global_load_dword v1, v[2:3], off
	s_mov_b64 s[14:15], 0
	s_waitcnt vmcnt(0)
	v_cvt_f32_u32_e32 v4, v1
	s_branch .LBB88_1059
.LBB88_1057:
	s_mov_b64 s[14:15], -1
                                        ; implicit-def: $vgpr4
	s_branch .LBB88_1062
.LBB88_1058:
	s_mov_b64 s[14:15], -1
                                        ; implicit-def: $vgpr4
.LBB88_1059:
	s_andn2_b64 vcc, exec, s[14:15]
	s_cbranch_vccnz .LBB88_1061
; %bb.1060:
	global_load_ushort v1, v[2:3], off
	s_waitcnt vmcnt(0)
	v_cvt_f32_u32_e32 v4, v1
.LBB88_1061:
	s_mov_b64 s[14:15], 0
.LBB88_1062:
	s_andn2_b64 vcc, exec, s[14:15]
	s_cbranch_vccnz .LBB88_1070
; %bb.1063:
	global_load_ubyte v1, v[2:3], off
	s_movk_i32 s14, 0x7f
	s_waitcnt vmcnt(0)
	v_cmp_lt_i16_e32 vcc, s14, v1
	s_mov_b64 s[14:15], 0
	s_and_saveexec_b64 s[16:17], vcc
	s_xor_b64 s[16:17], exec, s[16:17]
	s_cbranch_execz .LBB88_1083
; %bb.1064:
	s_movk_i32 s14, 0x80
	v_cmp_eq_u16_e32 vcc, s14, v1
	s_mov_b64 s[14:15], -1
	s_and_saveexec_b64 s[18:19], vcc
; %bb.1065:
	s_xor_b64 s[14:15], exec, -1
; %bb.1066:
	s_or_b64 exec, exec, s[18:19]
	s_and_b64 s[14:15], s[14:15], exec
	s_or_saveexec_b64 s[16:17], s[16:17]
	v_mov_b32_e32 v4, 0x7f800001
	s_xor_b64 exec, exec, s[16:17]
	s_cbranch_execnz .LBB88_1084
.LBB88_1067:
	s_or_b64 exec, exec, s[16:17]
	s_and_saveexec_b64 s[16:17], s[14:15]
	s_cbranch_execz .LBB88_1069
.LBB88_1068:
	v_lshlrev_b32_e32 v4, 24, v1
	v_and_b32_e32 v1, 0xffff, v1
	v_and_b32_e32 v6, 7, v1
	v_ffbh_u32_e32 v8, v6
	v_min_u32_e32 v8, 32, v8
	v_subrev_u32_e32 v9, 28, v8
	v_bfe_u32 v7, v1, 3, 4
	v_lshlrev_b32_e32 v1, v9, v1
	v_sub_u32_e32 v8, 29, v8
	v_and_b32_e32 v1, 7, v1
	v_cmp_eq_u32_e32 vcc, 0, v7
	v_and_b32_e32 v4, 0x80000000, v4
	s_nop 0
	v_cndmask_b32_e32 v7, v7, v8, vcc
	v_cndmask_b32_e32 v1, v6, v1, vcc
	v_mov_b32_e32 v6, 0x3b800000
	v_lshlrev_b32_e32 v1, 20, v1
	v_lshl_add_u32 v6, v7, 23, v6
	v_or3_b32 v4, v4, v6, v1
.LBB88_1069:
	s_or_b64 exec, exec, s[16:17]
.LBB88_1070:
	s_mov_b64 s[16:17], -1
.LBB88_1071:
	s_branch .LBB88_1103
.LBB88_1072:
	s_cmp_gt_i32 s22, 22
	s_cbranch_scc0 .LBB88_1082
; %bb.1073:
	s_cmp_lt_i32 s22, 24
	s_cbranch_scc1 .LBB88_1085
; %bb.1074:
	s_cmp_gt_i32 s22, 24
	s_cbranch_scc0 .LBB88_1086
; %bb.1075:
	global_load_ubyte v1, v[2:3], off
	s_movk_i32 s10, 0x7f
	s_waitcnt vmcnt(0)
	v_cmp_lt_i16_e32 vcc, s10, v1
	s_mov_b64 s[10:11], 0
	s_and_saveexec_b64 s[14:15], vcc
	s_xor_b64 s[14:15], exec, s[14:15]
	s_cbranch_execz .LBB88_1097
; %bb.1076:
	s_movk_i32 s10, 0x80
	v_cmp_eq_u16_e32 vcc, s10, v1
	s_mov_b64 s[10:11], -1
	s_and_saveexec_b64 s[16:17], vcc
; %bb.1077:
	s_xor_b64 s[10:11], exec, -1
; %bb.1078:
	s_or_b64 exec, exec, s[16:17]
	s_and_b64 s[10:11], s[10:11], exec
	s_or_saveexec_b64 s[14:15], s[14:15]
	v_mov_b32_e32 v4, 0x7f800001
	s_xor_b64 exec, exec, s[14:15]
	s_cbranch_execnz .LBB88_1098
.LBB88_1079:
	s_or_b64 exec, exec, s[14:15]
	s_and_saveexec_b64 s[14:15], s[10:11]
	s_cbranch_execz .LBB88_1081
.LBB88_1080:
	v_lshlrev_b32_e32 v4, 24, v1
	v_and_b32_e32 v1, 0xffff, v1
	v_and_b32_e32 v6, 3, v1
	v_ffbh_u32_e32 v8, v6
	v_min_u32_e32 v8, 32, v8
	v_subrev_u32_e32 v9, 29, v8
	v_bfe_u32 v7, v1, 2, 5
	v_lshlrev_b32_e32 v1, v9, v1
	v_sub_u32_e32 v8, 30, v8
	v_and_b32_e32 v1, 3, v1
	v_cmp_eq_u32_e32 vcc, 0, v7
	v_and_b32_e32 v4, 0x80000000, v4
	s_nop 0
	v_cndmask_b32_e32 v7, v7, v8, vcc
	v_cndmask_b32_e32 v1, v6, v1, vcc
	v_mov_b32_e32 v6, 0x37800000
	v_lshlrev_b32_e32 v1, 21, v1
	v_lshl_add_u32 v6, v7, 23, v6
	v_or3_b32 v4, v4, v6, v1
.LBB88_1081:
	s_or_b64 exec, exec, s[14:15]
	s_mov_b64 s[10:11], 0
	s_branch .LBB88_1087
.LBB88_1082:
                                        ; implicit-def: $vgpr4
	s_mov_b64 s[10:11], 0
	s_branch .LBB88_1093
.LBB88_1083:
	s_or_saveexec_b64 s[16:17], s[16:17]
	v_mov_b32_e32 v4, 0x7f800001
	s_xor_b64 exec, exec, s[16:17]
	s_cbranch_execz .LBB88_1067
.LBB88_1084:
	v_cmp_ne_u16_e32 vcc, 0, v1
	s_andn2_b64 s[14:15], s[14:15], exec
	s_and_b64 s[18:19], vcc, exec
	v_mov_b32_e32 v4, 0
	s_or_b64 s[14:15], s[14:15], s[18:19]
	s_or_b64 exec, exec, s[16:17]
	s_and_saveexec_b64 s[16:17], s[14:15]
	s_cbranch_execnz .LBB88_1068
	s_branch .LBB88_1069
.LBB88_1085:
	s_mov_b64 s[10:11], -1
                                        ; implicit-def: $vgpr4
	s_branch .LBB88_1090
.LBB88_1086:
	s_mov_b64 s[10:11], -1
                                        ; implicit-def: $vgpr4
.LBB88_1087:
	s_and_b64 vcc, exec, s[10:11]
	s_cbranch_vccz .LBB88_1089
; %bb.1088:
	global_load_ubyte v1, v[2:3], off
	s_mov_b32 s10, 0x7f800000
	s_waitcnt vmcnt(0)
	v_lshlrev_b32_e32 v1, 24, v1
	v_and_b32_e32 v4, 0x7f000000, v1
	v_ffbh_u32_e32 v6, v4
	v_min_u32_e32 v6, 32, v6
	v_sub_u32_e64 v6, v6, 4 clamp
	v_lshlrev_b32_e32 v8, v6, v4
	v_lshlrev_b32_e32 v6, 23, v6
	v_lshrrev_b32_e32 v8, 4, v8
	v_add_u32_e32 v7, 0x1000000, v4
	v_sub_u32_e32 v6, v8, v6
	v_ashrrev_i32_e32 v7, 8, v7
	v_add_u32_e32 v6, 0x3c000000, v6
	v_and_or_b32 v6, v7, s10, v6
	v_cmp_ne_u32_e32 vcc, 0, v4
	s_brev_b32 s10, 1
	s_nop 0
	v_cndmask_b32_e32 v4, 0, v6, vcc
	v_and_or_b32 v4, v1, s10, v4
.LBB88_1089:
	s_mov_b64 s[10:11], 0
.LBB88_1090:
	s_andn2_b64 vcc, exec, s[10:11]
	s_cbranch_vccnz .LBB88_1092
; %bb.1091:
	global_load_ubyte v1, v[2:3], off
	s_movk_i32 s10, 0x7f00
	s_brev_b32 s11, 16
	s_waitcnt vmcnt(0)
	v_lshlrev_b16_e32 v4, 8, v1
	v_lshlrev_b32_e32 v1, 25, v1
	v_lshrrev_b32_e32 v6, 4, v1
	v_and_or_b32 v7, v4, s10, 0.5
	v_or_b32_e32 v6, 0x70000000, v6
	v_add_f32_e32 v7, -0.5, v7
	v_mul_f32_e32 v6, 0x7800000, v6
	v_cmp_gt_u32_e32 vcc, s11, v1
	v_bfe_i32 v4, v4, 0, 16
	s_brev_b32 s10, 1
	v_cndmask_b32_e32 v1, v6, v7, vcc
	v_and_or_b32 v4, v4, s10, v1
.LBB88_1092:
	s_mov_b64 s[16:17], -1
	s_mov_b64 s[10:11], 0
	s_cbranch_execnz .LBB88_1103
.LBB88_1093:
	s_cmp_gt_i32 s22, 14
	s_cbranch_scc0 .LBB88_1096
; %bb.1094:
	s_cmp_eq_u32 s22, 15
	s_cbranch_scc0 .LBB88_1099
; %bb.1095:
	global_load_ushort v1, v[2:3], off
	s_mov_b64 s[0:1], 0
	s_mov_b64 s[16:17], -1
	s_waitcnt vmcnt(0)
	v_lshlrev_b32_e32 v4, 16, v1
	s_branch .LBB88_1100
.LBB88_1096:
	s_mov_b64 s[14:15], -1
                                        ; implicit-def: $vgpr4
	s_branch .LBB88_1101
.LBB88_1097:
	s_or_saveexec_b64 s[14:15], s[14:15]
	v_mov_b32_e32 v4, 0x7f800001
	s_xor_b64 exec, exec, s[14:15]
	s_cbranch_execz .LBB88_1079
.LBB88_1098:
	v_cmp_ne_u16_e32 vcc, 0, v1
	s_andn2_b64 s[10:11], s[10:11], exec
	s_and_b64 s[16:17], vcc, exec
	v_mov_b32_e32 v4, 0
	s_or_b64 s[10:11], s[10:11], s[16:17]
	s_or_b64 exec, exec, s[14:15]
	s_and_saveexec_b64 s[14:15], s[10:11]
	s_cbranch_execnz .LBB88_1080
	s_branch .LBB88_1081
.LBB88_1099:
	s_mov_b64 s[0:1], -1
                                        ; implicit-def: $vgpr4
.LBB88_1100:
	s_mov_b64 s[14:15], 0
.LBB88_1101:
	s_and_b64 vcc, exec, s[14:15]
	s_cbranch_vccz .LBB88_1103
; %bb.1102:
	s_cmp_lg_u32 s22, 11
	s_mov_b64 s[10:11], -1
	s_cselect_b64 s[0:1], -1, 0
.LBB88_1103:
	s_and_b64 vcc, exec, s[0:1]
	s_mov_b64 s[14:15], s[12:13]
	s_cbranch_vccnz .LBB88_1164
; %bb.1104:
	s_andn2_b64 vcc, exec, s[10:11]
	s_cbranch_vccnz .LBB88_1106
.LBB88_1105:
	global_load_ubyte v1, v[2:3], off
	s_mov_b64 s[16:17], -1
	s_waitcnt vmcnt(0)
	v_cmp_ne_u16_e32 vcc, 0, v1
	s_nop 1
	v_cndmask_b32_e64 v4, 0, 1.0, vcc
.LBB88_1106:
	s_branch .LBB88_1036
.LBB88_1107:
	s_cmp_lt_i32 s22, 5
	s_cbranch_scc1 .LBB88_1112
; %bb.1108:
	s_cmp_lt_i32 s22, 8
	s_cbranch_scc1 .LBB88_1113
; %bb.1109:
	;; [unrolled: 3-line block ×3, first 2 shown]
	s_cmp_gt_i32 s22, 9
	s_cbranch_scc0 .LBB88_1115
; %bb.1111:
	global_load_dwordx2 v[6:7], v[2:3], off
	s_mov_b64 s[0:1], 0
	s_waitcnt vmcnt(0)
	v_cvt_f32_f64_e32 v4, v[6:7]
	s_branch .LBB88_1116
.LBB88_1112:
                                        ; implicit-def: $vgpr4
	s_branch .LBB88_1133
.LBB88_1113:
                                        ; implicit-def: $vgpr4
	s_branch .LBB88_1122
.LBB88_1114:
	s_mov_b64 s[0:1], -1
                                        ; implicit-def: $vgpr4
	s_branch .LBB88_1119
.LBB88_1115:
	s_mov_b64 s[0:1], -1
                                        ; implicit-def: $vgpr4
.LBB88_1116:
	s_andn2_b64 vcc, exec, s[0:1]
	s_cbranch_vccnz .LBB88_1118
; %bb.1117:
	global_load_dword v4, v[2:3], off
.LBB88_1118:
	s_mov_b64 s[0:1], 0
.LBB88_1119:
	s_andn2_b64 vcc, exec, s[0:1]
	s_cbranch_vccnz .LBB88_1121
; %bb.1120:
	global_load_dword v1, v[2:3], off
	s_waitcnt vmcnt(0)
	v_cvt_f32_f16_e32 v4, v1
.LBB88_1121:
	s_cbranch_execnz .LBB88_1132
.LBB88_1122:
	s_cmp_lt_i32 s22, 6
	s_cbranch_scc1 .LBB88_1125
; %bb.1123:
	s_cmp_gt_i32 s22, 6
	s_cbranch_scc0 .LBB88_1126
; %bb.1124:
	global_load_dwordx2 v[6:7], v[2:3], off
	s_mov_b64 s[0:1], 0
	s_waitcnt vmcnt(0)
	v_cvt_f32_f64_e32 v4, v[6:7]
	s_branch .LBB88_1127
.LBB88_1125:
	s_mov_b64 s[0:1], -1
                                        ; implicit-def: $vgpr4
	s_branch .LBB88_1130
.LBB88_1126:
	s_mov_b64 s[0:1], -1
                                        ; implicit-def: $vgpr4
.LBB88_1127:
	s_andn2_b64 vcc, exec, s[0:1]
	s_cbranch_vccnz .LBB88_1129
; %bb.1128:
	global_load_dword v4, v[2:3], off
.LBB88_1129:
	s_mov_b64 s[0:1], 0
.LBB88_1130:
	s_andn2_b64 vcc, exec, s[0:1]
	s_cbranch_vccnz .LBB88_1132
; %bb.1131:
	global_load_ushort v1, v[2:3], off
	s_waitcnt vmcnt(0)
	v_cvt_f32_f16_e32 v4, v1
.LBB88_1132:
	s_cbranch_execnz .LBB88_1151
.LBB88_1133:
	s_cmp_lt_i32 s22, 2
	s_cbranch_scc1 .LBB88_1137
; %bb.1134:
	s_cmp_lt_i32 s22, 3
	s_cbranch_scc1 .LBB88_1138
; %bb.1135:
	s_cmp_gt_i32 s22, 3
	s_cbranch_scc0 .LBB88_1139
; %bb.1136:
	global_load_dwordx2 v[6:7], v[2:3], off
	s_mov_b64 s[0:1], 0
	s_waitcnt vmcnt(0)
	v_xor_b32_e32 v4, v6, v7
	v_ffbh_i32_e32 v1, v7
	v_ashrrev_i32_e32 v4, 31, v4
	v_add_u32_e32 v1, -1, v1
	v_add_u32_e32 v4, 32, v4
	v_min_u32_e32 v1, v1, v4
	v_lshlrev_b64 v[6:7], v1, v[6:7]
	v_min_u32_e32 v4, 1, v6
	v_or_b32_e32 v4, v7, v4
	v_cvt_f32_i32_e32 v4, v4
	v_sub_u32_e32 v1, 32, v1
	v_ldexp_f32 v4, v4, v1
	s_branch .LBB88_1140
.LBB88_1137:
                                        ; implicit-def: $vgpr4
	s_branch .LBB88_1146
.LBB88_1138:
	s_mov_b64 s[0:1], -1
                                        ; implicit-def: $vgpr4
	s_branch .LBB88_1143
.LBB88_1139:
	s_mov_b64 s[0:1], -1
                                        ; implicit-def: $vgpr4
.LBB88_1140:
	s_andn2_b64 vcc, exec, s[0:1]
	s_cbranch_vccnz .LBB88_1142
; %bb.1141:
	global_load_dword v1, v[2:3], off
	s_waitcnt vmcnt(0)
	v_cvt_f32_i32_e32 v4, v1
.LBB88_1142:
	s_mov_b64 s[0:1], 0
.LBB88_1143:
	s_andn2_b64 vcc, exec, s[0:1]
	s_cbranch_vccnz .LBB88_1145
; %bb.1144:
	global_load_sshort v1, v[2:3], off
	s_waitcnt vmcnt(0)
	v_cvt_f32_i32_e32 v4, v1
.LBB88_1145:
	s_cbranch_execnz .LBB88_1151
.LBB88_1146:
	s_cmp_gt_i32 s22, 0
	s_cbranch_scc0 .LBB88_1148
; %bb.1147:
	global_load_sbyte v1, v[2:3], off
	s_mov_b64 s[0:1], 0
	s_waitcnt vmcnt(0)
	v_cvt_f32_i32_e32 v4, v1
	s_branch .LBB88_1149
.LBB88_1148:
	s_mov_b64 s[0:1], -1
                                        ; implicit-def: $vgpr4
.LBB88_1149:
	s_andn2_b64 vcc, exec, s[0:1]
	s_cbranch_vccnz .LBB88_1151
; %bb.1150:
	global_load_ubyte v1, v[2:3], off
	s_waitcnt vmcnt(0)
	v_cvt_f32_ubyte0_e32 v4, v1
.LBB88_1151:
.LBB88_1152:
	s_lshl_b32 s9, s9, 7
	v_add_u32_e32 v0, s9, v0
	v_ashrrev_i32_e32 v1, 31, v0
	s_cmp_lt_i32 s22, 11
	v_lshl_add_u64 v[2:3], s[6:7], 0, v[0:1]
	s_cbranch_scc1 .LBB88_1159
; %bb.1153:
	s_cmp_gt_i32 s22, 25
	s_mov_b64 s[10:11], 0
	s_cbranch_scc0 .LBB88_1161
; %bb.1154:
	s_cmp_gt_i32 s22, 28
	s_cbranch_scc0 .LBB88_1162
; %bb.1155:
	s_cmp_gt_i32 s22, 43
	;; [unrolled: 3-line block ×3, first 2 shown]
	s_cbranch_scc0 .LBB88_1165
; %bb.1157:
	s_cmp_eq_u32 s22, 46
	s_mov_b64 s[18:19], 0
	s_cbranch_scc0 .LBB88_1168
; %bb.1158:
	global_load_dword v1, v[2:3], off
	s_mov_b64 s[0:1], 0
	s_mov_b64 s[16:17], -1
	s_waitcnt vmcnt(0)
	v_lshlrev_b32_e32 v8, 16, v1
	s_branch .LBB88_1169
.LBB88_1159:
	s_mov_b64 s[16:17], 0
                                        ; implicit-def: $vgpr8
	s_cbranch_execnz .LBB88_1234
.LBB88_1160:
	s_andn2_b64 vcc, exec, s[16:17]
	s_cbranch_vccnz .LBB88_1973
	s_branch .LBB88_1281
.LBB88_1161:
	s_mov_b64 s[16:17], 0
	s_mov_b64 s[0:1], 0
                                        ; implicit-def: $vgpr8
	s_cbranch_execnz .LBB88_1198
	s_branch .LBB88_1230
.LBB88_1162:
	s_mov_b64 s[18:19], -1
	s_mov_b64 s[16:17], 0
	s_mov_b64 s[0:1], 0
                                        ; implicit-def: $vgpr8
	s_branch .LBB88_1179
.LBB88_1163:
	s_mov_b64 s[18:19], -1
	s_mov_b64 s[16:17], 0
	s_mov_b64 s[0:1], 0
                                        ; implicit-def: $vgpr8
	s_branch .LBB88_1174
.LBB88_1164:
	s_or_b64 s[14:15], s[12:13], exec
	s_trap 2
	s_cbranch_execz .LBB88_1105
	s_branch .LBB88_1106
.LBB88_1165:
	s_mov_b64 s[18:19], -1
	s_mov_b64 s[16:17], 0
	s_mov_b64 s[0:1], 0
                                        ; implicit-def: $vgpr8
	s_branch .LBB88_1169
.LBB88_1166:
	s_andn2_saveexec_b64 s[24:25], s[24:25]
	s_cbranch_execz .LBB88_952
.LBB88_1167:
	s_mov_b32 s28, 0x42800000
	v_add_f32_e64 v3, |v2|, s28
	v_and_b32_e32 v3, 0xff, v3
	v_cmp_ne_u32_e32 vcc, 0, v3
	s_andn2_b64 s[22:23], s[22:23], exec
	s_and_b64 s[28:29], vcc, exec
	s_or_b64 s[22:23], s[22:23], s[28:29]
	s_or_b64 exec, exec, s[24:25]
	v_mov_b32_e32 v4, 0
	s_and_saveexec_b64 s[24:25], s[22:23]
	s_cbranch_execnz .LBB88_953
	s_branch .LBB88_954
.LBB88_1168:
	s_mov_b64 s[0:1], -1
                                        ; implicit-def: $vgpr8
	s_mov_b64 s[16:17], 0
.LBB88_1169:
	s_and_b64 vcc, exec, s[18:19]
	s_cbranch_vccz .LBB88_1173
; %bb.1170:
	s_cmp_eq_u32 s22, 44
	s_cbranch_scc0 .LBB88_1172
; %bb.1171:
	global_load_ubyte v1, v[2:3], off
	s_movk_i32 s16, 0xff
	v_mov_b32_e32 v6, 0x7f800001
	v_mov_b32_e32 v7, 0x400000
	s_mov_b64 s[0:1], 0
	s_waitcnt vmcnt(0)
	v_lshlrev_b32_e32 v8, 23, v1
	v_cmp_ne_u32_e32 vcc, s16, v1
	s_mov_b64 s[16:17], -1
	s_nop 0
	v_cndmask_b32_e32 v6, v6, v8, vcc
	v_cmp_ne_u32_e32 vcc, 0, v1
	s_nop 1
	v_cndmask_b32_e32 v8, v7, v6, vcc
	s_branch .LBB88_1173
.LBB88_1172:
	s_mov_b64 s[0:1], -1
                                        ; implicit-def: $vgpr8
.LBB88_1173:
	s_mov_b64 s[18:19], 0
.LBB88_1174:
	s_and_b64 vcc, exec, s[18:19]
	s_cbranch_vccz .LBB88_1178
; %bb.1175:
	s_cmp_eq_u32 s22, 29
	s_cbranch_scc0 .LBB88_1177
; %bb.1176:
	global_load_dwordx2 v[6:7], v[2:3], off
	s_mov_b64 s[0:1], 0
	s_mov_b64 s[16:17], -1
	s_mov_b64 s[18:19], 0
	s_waitcnt vmcnt(0)
	v_ffbh_u32_e32 v1, v7
	v_min_u32_e32 v1, 32, v1
	v_lshlrev_b64 v[6:7], v1, v[6:7]
	v_min_u32_e32 v6, 1, v6
	v_or_b32_e32 v6, v7, v6
	v_cvt_f32_u32_e32 v6, v6
	v_sub_u32_e32 v1, 32, v1
	v_ldexp_f32 v8, v6, v1
	s_branch .LBB88_1179
.LBB88_1177:
	s_mov_b64 s[0:1], -1
                                        ; implicit-def: $vgpr8
.LBB88_1178:
	s_mov_b64 s[18:19], 0
.LBB88_1179:
	s_and_b64 vcc, exec, s[18:19]
	s_cbranch_vccz .LBB88_1197
; %bb.1180:
	s_cmp_lt_i32 s22, 27
	s_cbranch_scc1 .LBB88_1183
; %bb.1181:
	s_cmp_gt_i32 s22, 27
	s_cbranch_scc0 .LBB88_1184
; %bb.1182:
	global_load_dword v1, v[2:3], off
	s_mov_b64 s[16:17], 0
	s_waitcnt vmcnt(0)
	v_cvt_f32_u32_e32 v8, v1
	s_branch .LBB88_1185
.LBB88_1183:
	s_mov_b64 s[16:17], -1
                                        ; implicit-def: $vgpr8
	s_branch .LBB88_1188
.LBB88_1184:
	s_mov_b64 s[16:17], -1
                                        ; implicit-def: $vgpr8
.LBB88_1185:
	s_andn2_b64 vcc, exec, s[16:17]
	s_cbranch_vccnz .LBB88_1187
; %bb.1186:
	global_load_ushort v1, v[2:3], off
	s_waitcnt vmcnt(0)
	v_cvt_f32_u32_e32 v8, v1
.LBB88_1187:
	s_mov_b64 s[16:17], 0
.LBB88_1188:
	s_andn2_b64 vcc, exec, s[16:17]
	s_cbranch_vccnz .LBB88_1196
; %bb.1189:
	global_load_ubyte v1, v[2:3], off
	s_movk_i32 s16, 0x7f
	s_waitcnt vmcnt(0)
	v_cmp_lt_i16_e32 vcc, s16, v1
	s_mov_b64 s[16:17], 0
	s_and_saveexec_b64 s[18:19], vcc
	s_xor_b64 s[18:19], exec, s[18:19]
	s_cbranch_execz .LBB88_1209
; %bb.1190:
	s_movk_i32 s16, 0x80
	v_cmp_eq_u16_e32 vcc, s16, v1
	s_mov_b64 s[16:17], -1
	s_and_saveexec_b64 s[20:21], vcc
; %bb.1191:
	s_xor_b64 s[16:17], exec, -1
; %bb.1192:
	s_or_b64 exec, exec, s[20:21]
	s_and_b64 s[16:17], s[16:17], exec
	s_or_saveexec_b64 s[18:19], s[18:19]
	v_mov_b32_e32 v8, 0x7f800001
	s_xor_b64 exec, exec, s[18:19]
	s_cbranch_execnz .LBB88_1210
.LBB88_1193:
	s_or_b64 exec, exec, s[18:19]
	s_and_saveexec_b64 s[18:19], s[16:17]
	s_cbranch_execz .LBB88_1195
.LBB88_1194:
	v_lshlrev_b32_e32 v6, 24, v1
	v_and_b32_e32 v1, 0xffff, v1
	v_and_b32_e32 v7, 7, v1
	v_ffbh_u32_e32 v9, v7
	v_min_u32_e32 v9, 32, v9
	v_subrev_u32_e32 v10, 28, v9
	v_bfe_u32 v8, v1, 3, 4
	v_lshlrev_b32_e32 v1, v10, v1
	v_sub_u32_e32 v9, 29, v9
	v_and_b32_e32 v1, 7, v1
	v_cmp_eq_u32_e32 vcc, 0, v8
	v_and_b32_e32 v6, 0x80000000, v6
	s_nop 0
	v_cndmask_b32_e32 v8, v8, v9, vcc
	v_cndmask_b32_e32 v1, v7, v1, vcc
	v_mov_b32_e32 v7, 0x3b800000
	v_lshlrev_b32_e32 v1, 20, v1
	v_lshl_add_u32 v7, v8, 23, v7
	v_or3_b32 v8, v6, v7, v1
.LBB88_1195:
	s_or_b64 exec, exec, s[18:19]
.LBB88_1196:
	s_mov_b64 s[16:17], -1
.LBB88_1197:
	s_branch .LBB88_1230
.LBB88_1198:
	s_cmp_gt_i32 s22, 22
	s_cbranch_scc0 .LBB88_1208
; %bb.1199:
	s_cmp_lt_i32 s22, 24
	s_cbranch_scc1 .LBB88_1211
; %bb.1200:
	s_cmp_gt_i32 s22, 24
	s_cbranch_scc0 .LBB88_1212
; %bb.1201:
	global_load_ubyte v1, v[2:3], off
	s_movk_i32 s10, 0x7f
	s_waitcnt vmcnt(0)
	v_cmp_lt_i16_e32 vcc, s10, v1
	s_mov_b64 s[10:11], 0
	s_and_saveexec_b64 s[16:17], vcc
	s_xor_b64 s[16:17], exec, s[16:17]
	s_cbranch_execz .LBB88_1224
; %bb.1202:
	s_movk_i32 s10, 0x80
	v_cmp_eq_u16_e32 vcc, s10, v1
	s_mov_b64 s[10:11], -1
	s_and_saveexec_b64 s[18:19], vcc
; %bb.1203:
	s_xor_b64 s[10:11], exec, -1
; %bb.1204:
	s_or_b64 exec, exec, s[18:19]
	s_and_b64 s[10:11], s[10:11], exec
	s_or_saveexec_b64 s[16:17], s[16:17]
	v_mov_b32_e32 v8, 0x7f800001
	s_xor_b64 exec, exec, s[16:17]
	s_cbranch_execnz .LBB88_1225
.LBB88_1205:
	s_or_b64 exec, exec, s[16:17]
	s_and_saveexec_b64 s[16:17], s[10:11]
	s_cbranch_execz .LBB88_1207
.LBB88_1206:
	v_lshlrev_b32_e32 v6, 24, v1
	v_and_b32_e32 v1, 0xffff, v1
	v_and_b32_e32 v7, 3, v1
	v_ffbh_u32_e32 v9, v7
	v_min_u32_e32 v9, 32, v9
	v_subrev_u32_e32 v10, 29, v9
	v_bfe_u32 v8, v1, 2, 5
	v_lshlrev_b32_e32 v1, v10, v1
	v_sub_u32_e32 v9, 30, v9
	v_and_b32_e32 v1, 3, v1
	v_cmp_eq_u32_e32 vcc, 0, v8
	v_and_b32_e32 v6, 0x80000000, v6
	s_nop 0
	v_cndmask_b32_e32 v8, v8, v9, vcc
	v_cndmask_b32_e32 v1, v7, v1, vcc
	v_mov_b32_e32 v7, 0x37800000
	v_lshlrev_b32_e32 v1, 21, v1
	v_lshl_add_u32 v7, v8, 23, v7
	v_or3_b32 v8, v6, v7, v1
.LBB88_1207:
	s_or_b64 exec, exec, s[16:17]
	s_mov_b64 s[10:11], 0
	s_branch .LBB88_1213
.LBB88_1208:
	s_mov_b64 s[10:11], -1
                                        ; implicit-def: $vgpr8
	s_branch .LBB88_1219
.LBB88_1209:
	s_or_saveexec_b64 s[18:19], s[18:19]
	v_mov_b32_e32 v8, 0x7f800001
	s_xor_b64 exec, exec, s[18:19]
	s_cbranch_execz .LBB88_1193
.LBB88_1210:
	v_cmp_ne_u16_e32 vcc, 0, v1
	s_andn2_b64 s[16:17], s[16:17], exec
	s_and_b64 s[20:21], vcc, exec
	v_mov_b32_e32 v8, 0
	s_or_b64 s[16:17], s[16:17], s[20:21]
	s_or_b64 exec, exec, s[18:19]
	s_and_saveexec_b64 s[18:19], s[16:17]
	s_cbranch_execnz .LBB88_1194
	s_branch .LBB88_1195
.LBB88_1211:
	s_mov_b64 s[10:11], -1
                                        ; implicit-def: $vgpr8
	s_branch .LBB88_1216
.LBB88_1212:
	s_mov_b64 s[10:11], -1
                                        ; implicit-def: $vgpr8
.LBB88_1213:
	s_and_b64 vcc, exec, s[10:11]
	s_cbranch_vccz .LBB88_1215
; %bb.1214:
	global_load_ubyte v1, v[2:3], off
	s_mov_b32 s10, 0x7f800000
	s_waitcnt vmcnt(0)
	v_lshlrev_b32_e32 v1, 24, v1
	v_and_b32_e32 v6, 0x7f000000, v1
	v_ffbh_u32_e32 v7, v6
	v_min_u32_e32 v7, 32, v7
	v_sub_u32_e64 v7, v7, 4 clamp
	v_lshlrev_b32_e32 v9, v7, v6
	v_lshlrev_b32_e32 v7, 23, v7
	v_lshrrev_b32_e32 v9, 4, v9
	v_add_u32_e32 v8, 0x1000000, v6
	v_sub_u32_e32 v7, v9, v7
	v_ashrrev_i32_e32 v8, 8, v8
	v_add_u32_e32 v7, 0x3c000000, v7
	v_and_or_b32 v7, v8, s10, v7
	v_cmp_ne_u32_e32 vcc, 0, v6
	s_brev_b32 s10, 1
	s_nop 0
	v_cndmask_b32_e32 v6, 0, v7, vcc
	v_and_or_b32 v8, v1, s10, v6
.LBB88_1215:
	s_mov_b64 s[10:11], 0
.LBB88_1216:
	s_andn2_b64 vcc, exec, s[10:11]
	s_cbranch_vccnz .LBB88_1218
; %bb.1217:
	global_load_ubyte v1, v[2:3], off
	s_movk_i32 s10, 0x7f00
	s_brev_b32 s11, 16
	s_waitcnt vmcnt(0)
	v_lshlrev_b16_e32 v6, 8, v1
	v_lshlrev_b32_e32 v1, 25, v1
	v_lshrrev_b32_e32 v7, 4, v1
	v_and_or_b32 v8, v6, s10, 0.5
	v_or_b32_e32 v7, 0x70000000, v7
	v_add_f32_e32 v8, -0.5, v8
	v_mul_f32_e32 v7, 0x7800000, v7
	v_cmp_gt_u32_e32 vcc, s11, v1
	v_bfe_i32 v6, v6, 0, 16
	s_brev_b32 s10, 1
	v_cndmask_b32_e32 v1, v7, v8, vcc
	v_and_or_b32 v8, v6, s10, v1
.LBB88_1218:
	s_mov_b64 s[10:11], 0
	s_mov_b64 s[16:17], -1
.LBB88_1219:
	s_andn2_b64 vcc, exec, s[10:11]
	s_mov_b64 s[10:11], 0
	s_cbranch_vccnz .LBB88_1230
; %bb.1220:
	s_cmp_gt_i32 s22, 14
	s_cbranch_scc0 .LBB88_1223
; %bb.1221:
	s_cmp_eq_u32 s22, 15
	s_cbranch_scc0 .LBB88_1226
; %bb.1222:
	global_load_ushort v1, v[2:3], off
	s_mov_b64 s[0:1], 0
	s_mov_b64 s[16:17], -1
	s_waitcnt vmcnt(0)
	v_lshlrev_b32_e32 v8, 16, v1
	s_branch .LBB88_1227
.LBB88_1223:
	s_mov_b64 s[18:19], -1
                                        ; implicit-def: $vgpr8
	s_branch .LBB88_1228
.LBB88_1224:
	s_or_saveexec_b64 s[16:17], s[16:17]
	v_mov_b32_e32 v8, 0x7f800001
	s_xor_b64 exec, exec, s[16:17]
	s_cbranch_execz .LBB88_1205
.LBB88_1225:
	v_cmp_ne_u16_e32 vcc, 0, v1
	s_andn2_b64 s[10:11], s[10:11], exec
	s_and_b64 s[18:19], vcc, exec
	v_mov_b32_e32 v8, 0
	s_or_b64 s[10:11], s[10:11], s[18:19]
	s_or_b64 exec, exec, s[16:17]
	s_and_saveexec_b64 s[16:17], s[10:11]
	s_cbranch_execnz .LBB88_1206
	s_branch .LBB88_1207
.LBB88_1226:
	s_mov_b64 s[0:1], -1
                                        ; implicit-def: $vgpr8
.LBB88_1227:
	s_mov_b64 s[18:19], 0
.LBB88_1228:
	s_and_b64 vcc, exec, s[18:19]
	s_cbranch_vccz .LBB88_1230
; %bb.1229:
	s_cmp_lg_u32 s22, 11
	s_mov_b64 s[10:11], -1
	s_cselect_b64 s[0:1], -1, 0
.LBB88_1230:
	s_and_b64 vcc, exec, s[0:1]
	s_cbranch_vccnz .LBB88_1293
; %bb.1231:
	s_andn2_b64 vcc, exec, s[10:11]
	s_cbranch_vccnz .LBB88_1233
.LBB88_1232:
	global_load_ubyte v1, v[2:3], off
	s_mov_b64 s[16:17], -1
	s_waitcnt vmcnt(0)
	v_cmp_ne_u16_e32 vcc, 0, v1
	s_nop 1
	v_cndmask_b32_e64 v8, 0, 1.0, vcc
.LBB88_1233:
	s_branch .LBB88_1160
.LBB88_1234:
	s_cmp_lt_i32 s22, 5
	s_cbranch_scc1 .LBB88_1239
; %bb.1235:
	s_cmp_lt_i32 s22, 8
	s_cbranch_scc1 .LBB88_1240
; %bb.1236:
	s_cmp_lt_i32 s22, 9
	s_cbranch_scc1 .LBB88_1241
; %bb.1237:
	s_cmp_gt_i32 s22, 9
	s_cbranch_scc0 .LBB88_1242
; %bb.1238:
	global_load_dwordx2 v[6:7], v[2:3], off
	s_mov_b64 s[0:1], 0
	s_waitcnt vmcnt(0)
	v_cvt_f32_f64_e32 v8, v[6:7]
	s_branch .LBB88_1243
.LBB88_1239:
                                        ; implicit-def: $vgpr8
	s_branch .LBB88_1261
.LBB88_1240:
	s_mov_b64 s[0:1], -1
                                        ; implicit-def: $vgpr8
	s_branch .LBB88_1249
.LBB88_1241:
	s_mov_b64 s[0:1], -1
                                        ; implicit-def: $vgpr8
	s_branch .LBB88_1246
.LBB88_1242:
	s_mov_b64 s[0:1], -1
                                        ; implicit-def: $vgpr8
.LBB88_1243:
	s_andn2_b64 vcc, exec, s[0:1]
	s_cbranch_vccnz .LBB88_1245
; %bb.1244:
	global_load_dword v8, v[2:3], off
.LBB88_1245:
	s_mov_b64 s[0:1], 0
.LBB88_1246:
	s_andn2_b64 vcc, exec, s[0:1]
	s_cbranch_vccnz .LBB88_1248
; %bb.1247:
	global_load_dword v1, v[2:3], off
	s_waitcnt vmcnt(0)
	v_cvt_f32_f16_e32 v8, v1
.LBB88_1248:
	s_mov_b64 s[0:1], 0
.LBB88_1249:
	s_andn2_b64 vcc, exec, s[0:1]
	s_cbranch_vccnz .LBB88_1260
; %bb.1250:
	s_cmp_lt_i32 s22, 6
	s_cbranch_scc1 .LBB88_1253
; %bb.1251:
	s_cmp_gt_i32 s22, 6
	s_cbranch_scc0 .LBB88_1254
; %bb.1252:
	global_load_dwordx2 v[6:7], v[2:3], off
	s_mov_b64 s[0:1], 0
	s_waitcnt vmcnt(0)
	v_cvt_f32_f64_e32 v8, v[6:7]
	s_branch .LBB88_1255
.LBB88_1253:
	s_mov_b64 s[0:1], -1
                                        ; implicit-def: $vgpr8
	s_branch .LBB88_1258
.LBB88_1254:
	s_mov_b64 s[0:1], -1
                                        ; implicit-def: $vgpr8
.LBB88_1255:
	s_andn2_b64 vcc, exec, s[0:1]
	s_cbranch_vccnz .LBB88_1257
; %bb.1256:
	global_load_dword v8, v[2:3], off
.LBB88_1257:
	s_mov_b64 s[0:1], 0
.LBB88_1258:
	s_andn2_b64 vcc, exec, s[0:1]
	s_cbranch_vccnz .LBB88_1260
; %bb.1259:
	global_load_ushort v1, v[2:3], off
	s_waitcnt vmcnt(0)
	v_cvt_f32_f16_e32 v8, v1
.LBB88_1260:
	s_cbranch_execnz .LBB88_1280
.LBB88_1261:
	s_cmp_lt_i32 s22, 2
	s_cbranch_scc1 .LBB88_1265
; %bb.1262:
	s_cmp_lt_i32 s22, 3
	s_cbranch_scc1 .LBB88_1266
; %bb.1263:
	s_cmp_gt_i32 s22, 3
	s_cbranch_scc0 .LBB88_1267
; %bb.1264:
	global_load_dwordx2 v[6:7], v[2:3], off
	s_mov_b64 s[0:1], 0
	s_waitcnt vmcnt(0)
	v_xor_b32_e32 v8, v6, v7
	v_ffbh_i32_e32 v1, v7
	v_ashrrev_i32_e32 v8, 31, v8
	v_add_u32_e32 v1, -1, v1
	v_add_u32_e32 v8, 32, v8
	v_min_u32_e32 v1, v1, v8
	v_lshlrev_b64 v[6:7], v1, v[6:7]
	v_min_u32_e32 v6, 1, v6
	v_or_b32_e32 v6, v7, v6
	v_cvt_f32_i32_e32 v6, v6
	v_sub_u32_e32 v1, 32, v1
	v_ldexp_f32 v8, v6, v1
	s_branch .LBB88_1268
.LBB88_1265:
	s_mov_b64 s[0:1], -1
                                        ; implicit-def: $vgpr8
	s_branch .LBB88_1274
.LBB88_1266:
	s_mov_b64 s[0:1], -1
                                        ; implicit-def: $vgpr8
	s_branch .LBB88_1271
.LBB88_1267:
	s_mov_b64 s[0:1], -1
                                        ; implicit-def: $vgpr8
.LBB88_1268:
	s_andn2_b64 vcc, exec, s[0:1]
	s_cbranch_vccnz .LBB88_1270
; %bb.1269:
	global_load_dword v1, v[2:3], off
	s_waitcnt vmcnt(0)
	v_cvt_f32_i32_e32 v8, v1
.LBB88_1270:
	s_mov_b64 s[0:1], 0
.LBB88_1271:
	s_andn2_b64 vcc, exec, s[0:1]
	s_cbranch_vccnz .LBB88_1273
; %bb.1272:
	global_load_sshort v1, v[2:3], off
	s_waitcnt vmcnt(0)
	v_cvt_f32_i32_e32 v8, v1
.LBB88_1273:
	s_mov_b64 s[0:1], 0
.LBB88_1274:
	s_andn2_b64 vcc, exec, s[0:1]
	s_cbranch_vccnz .LBB88_1280
; %bb.1275:
	s_cmp_gt_i32 s22, 0
	s_cbranch_scc0 .LBB88_1277
; %bb.1276:
	global_load_sbyte v1, v[2:3], off
	s_mov_b64 s[0:1], 0
	s_waitcnt vmcnt(0)
	v_cvt_f32_i32_e32 v8, v1
	s_branch .LBB88_1278
.LBB88_1277:
	s_mov_b64 s[0:1], -1
                                        ; implicit-def: $vgpr8
.LBB88_1278:
	s_andn2_b64 vcc, exec, s[0:1]
	s_cbranch_vccnz .LBB88_1280
; %bb.1279:
	global_load_ubyte v1, v[2:3], off
	s_waitcnt vmcnt(0)
	v_cvt_f32_ubyte0_e32 v8, v1
.LBB88_1280:
.LBB88_1281:
	v_add_u32_e32 v0, s9, v0
	v_ashrrev_i32_e32 v1, 31, v0
	s_cmp_lt_i32 s22, 11
	v_lshl_add_u64 v[2:3], s[6:7], 0, v[0:1]
	s_cbranch_scc1 .LBB88_1288
; %bb.1282:
	s_cmp_gt_i32 s22, 25
	s_mov_b64 s[10:11], 0
	s_cbranch_scc0 .LBB88_1290
; %bb.1283:
	s_cmp_gt_i32 s22, 28
	s_cbranch_scc0 .LBB88_1291
; %bb.1284:
	s_cmp_gt_i32 s22, 43
	;; [unrolled: 3-line block ×3, first 2 shown]
	s_cbranch_scc0 .LBB88_1294
; %bb.1286:
	s_cmp_eq_u32 s22, 46
	s_mov_b64 s[18:19], 0
	s_cbranch_scc0 .LBB88_1295
; %bb.1287:
	global_load_dword v1, v[2:3], off
	s_mov_b64 s[0:1], 0
	s_mov_b64 s[16:17], -1
	s_waitcnt vmcnt(0)
	v_lshlrev_b32_e32 v7, 16, v1
	s_branch .LBB88_1296
.LBB88_1288:
	s_mov_b64 s[16:17], 0
                                        ; implicit-def: $vgpr7
	s_cbranch_execnz .LBB88_1362
.LBB88_1289:
	s_andn2_b64 vcc, exec, s[16:17]
	s_cbranch_vccnz .LBB88_1973
	s_branch .LBB88_1410
.LBB88_1290:
	s_mov_b64 s[18:19], -1
	s_mov_b64 s[16:17], 0
	s_mov_b64 s[0:1], 0
                                        ; implicit-def: $vgpr7
	s_branch .LBB88_1325
.LBB88_1291:
	s_mov_b64 s[18:19], -1
	s_mov_b64 s[16:17], 0
	s_mov_b64 s[0:1], 0
                                        ; implicit-def: $vgpr7
	s_branch .LBB88_1306
.LBB88_1292:
	s_mov_b64 s[18:19], -1
	s_mov_b64 s[16:17], 0
	s_mov_b64 s[0:1], 0
                                        ; implicit-def: $vgpr7
	s_branch .LBB88_1301
.LBB88_1293:
	s_trap 2
	s_or_b64 s[14:15], s[14:15], exec
	s_cbranch_execz .LBB88_1232
	s_branch .LBB88_1233
.LBB88_1294:
	s_mov_b64 s[18:19], -1
	s_mov_b64 s[16:17], 0
	s_mov_b64 s[0:1], 0
                                        ; implicit-def: $vgpr7
	s_branch .LBB88_1296
.LBB88_1295:
	s_mov_b64 s[0:1], -1
                                        ; implicit-def: $vgpr7
	s_mov_b64 s[16:17], 0
.LBB88_1296:
	s_and_b64 vcc, exec, s[18:19]
	s_cbranch_vccz .LBB88_1300
; %bb.1297:
	s_cmp_eq_u32 s22, 44
	s_cbranch_scc0 .LBB88_1299
; %bb.1298:
	global_load_ubyte v1, v[2:3], off
	s_movk_i32 s16, 0xff
	v_mov_b32_e32 v6, 0x7f800001
	v_mov_b32_e32 v7, 0x400000
	s_mov_b64 s[0:1], 0
	s_waitcnt vmcnt(0)
	v_lshlrev_b32_e32 v9, 23, v1
	v_cmp_ne_u32_e32 vcc, s16, v1
	s_mov_b64 s[16:17], -1
	s_nop 0
	v_cndmask_b32_e32 v6, v6, v9, vcc
	v_cmp_ne_u32_e32 vcc, 0, v1
	s_nop 1
	v_cndmask_b32_e32 v7, v7, v6, vcc
	s_branch .LBB88_1300
.LBB88_1299:
	s_mov_b64 s[0:1], -1
                                        ; implicit-def: $vgpr7
.LBB88_1300:
	s_mov_b64 s[18:19], 0
.LBB88_1301:
	s_and_b64 vcc, exec, s[18:19]
	s_cbranch_vccz .LBB88_1305
; %bb.1302:
	s_cmp_eq_u32 s22, 29
	s_cbranch_scc0 .LBB88_1304
; %bb.1303:
	global_load_dwordx2 v[6:7], v[2:3], off
	s_mov_b64 s[0:1], 0
	s_mov_b64 s[16:17], -1
	s_mov_b64 s[18:19], 0
	s_waitcnt vmcnt(0)
	v_ffbh_u32_e32 v1, v7
	v_min_u32_e32 v1, 32, v1
	v_lshlrev_b64 v[6:7], v1, v[6:7]
	v_min_u32_e32 v6, 1, v6
	v_or_b32_e32 v6, v7, v6
	v_cvt_f32_u32_e32 v6, v6
	v_sub_u32_e32 v1, 32, v1
	v_ldexp_f32 v7, v6, v1
	s_branch .LBB88_1306
.LBB88_1304:
	s_mov_b64 s[0:1], -1
                                        ; implicit-def: $vgpr7
.LBB88_1305:
	s_mov_b64 s[18:19], 0
.LBB88_1306:
	s_and_b64 vcc, exec, s[18:19]
	s_cbranch_vccz .LBB88_1324
; %bb.1307:
	s_cmp_lt_i32 s22, 27
	s_cbranch_scc1 .LBB88_1310
; %bb.1308:
	s_cmp_gt_i32 s22, 27
	s_cbranch_scc0 .LBB88_1311
; %bb.1309:
	global_load_dword v1, v[2:3], off
	s_mov_b64 s[16:17], 0
	s_waitcnt vmcnt(0)
	v_cvt_f32_u32_e32 v7, v1
	s_branch .LBB88_1312
.LBB88_1310:
	s_mov_b64 s[16:17], -1
                                        ; implicit-def: $vgpr7
	s_branch .LBB88_1315
.LBB88_1311:
	s_mov_b64 s[16:17], -1
                                        ; implicit-def: $vgpr7
.LBB88_1312:
	s_andn2_b64 vcc, exec, s[16:17]
	s_cbranch_vccnz .LBB88_1314
; %bb.1313:
	global_load_ushort v1, v[2:3], off
	s_waitcnt vmcnt(0)
	v_cvt_f32_u32_e32 v7, v1
.LBB88_1314:
	s_mov_b64 s[16:17], 0
.LBB88_1315:
	s_andn2_b64 vcc, exec, s[16:17]
	s_cbranch_vccnz .LBB88_1323
; %bb.1316:
	global_load_ubyte v1, v[2:3], off
	s_movk_i32 s16, 0x7f
	s_waitcnt vmcnt(0)
	v_cmp_lt_i16_e32 vcc, s16, v1
	s_mov_b64 s[16:17], 0
	s_and_saveexec_b64 s[18:19], vcc
	s_xor_b64 s[18:19], exec, s[18:19]
	s_cbranch_execz .LBB88_1337
; %bb.1317:
	s_movk_i32 s16, 0x80
	v_cmp_eq_u16_e32 vcc, s16, v1
	s_mov_b64 s[16:17], -1
	s_and_saveexec_b64 s[20:21], vcc
; %bb.1318:
	s_xor_b64 s[16:17], exec, -1
; %bb.1319:
	s_or_b64 exec, exec, s[20:21]
	s_and_b64 s[16:17], s[16:17], exec
	s_or_saveexec_b64 s[18:19], s[18:19]
	v_mov_b32_e32 v7, 0x7f800001
	s_xor_b64 exec, exec, s[18:19]
	s_cbranch_execnz .LBB88_1338
.LBB88_1320:
	s_or_b64 exec, exec, s[18:19]
	s_and_saveexec_b64 s[18:19], s[16:17]
	s_cbranch_execz .LBB88_1322
.LBB88_1321:
	v_lshlrev_b32_e32 v6, 24, v1
	v_and_b32_e32 v1, 0xffff, v1
	v_and_b32_e32 v7, 7, v1
	v_ffbh_u32_e32 v10, v7
	v_min_u32_e32 v10, 32, v10
	v_subrev_u32_e32 v11, 28, v10
	v_bfe_u32 v9, v1, 3, 4
	v_lshlrev_b32_e32 v1, v11, v1
	v_sub_u32_e32 v10, 29, v10
	v_and_b32_e32 v1, 7, v1
	v_cmp_eq_u32_e32 vcc, 0, v9
	v_and_b32_e32 v6, 0x80000000, v6
	s_nop 0
	v_cndmask_b32_e32 v9, v9, v10, vcc
	v_cndmask_b32_e32 v1, v7, v1, vcc
	v_mov_b32_e32 v7, 0x3b800000
	v_lshlrev_b32_e32 v1, 20, v1
	v_lshl_add_u32 v7, v9, 23, v7
	v_or3_b32 v7, v6, v7, v1
.LBB88_1322:
	s_or_b64 exec, exec, s[18:19]
.LBB88_1323:
	s_mov_b64 s[16:17], -1
.LBB88_1324:
	s_mov_b64 s[18:19], 0
.LBB88_1325:
	s_and_b64 vcc, exec, s[18:19]
	s_cbranch_vccz .LBB88_1358
; %bb.1326:
	s_cmp_gt_i32 s22, 22
	s_cbranch_scc0 .LBB88_1336
; %bb.1327:
	s_cmp_lt_i32 s22, 24
	s_cbranch_scc1 .LBB88_1339
; %bb.1328:
	s_cmp_gt_i32 s22, 24
	s_cbranch_scc0 .LBB88_1340
; %bb.1329:
	global_load_ubyte v1, v[2:3], off
	s_movk_i32 s10, 0x7f
	s_waitcnt vmcnt(0)
	v_cmp_lt_i16_e32 vcc, s10, v1
	s_mov_b64 s[10:11], 0
	s_and_saveexec_b64 s[16:17], vcc
	s_xor_b64 s[16:17], exec, s[16:17]
	s_cbranch_execz .LBB88_1352
; %bb.1330:
	s_movk_i32 s10, 0x80
	v_cmp_eq_u16_e32 vcc, s10, v1
	s_mov_b64 s[10:11], -1
	s_and_saveexec_b64 s[18:19], vcc
; %bb.1331:
	s_xor_b64 s[10:11], exec, -1
; %bb.1332:
	s_or_b64 exec, exec, s[18:19]
	s_and_b64 s[10:11], s[10:11], exec
	s_or_saveexec_b64 s[16:17], s[16:17]
	v_mov_b32_e32 v7, 0x7f800001
	s_xor_b64 exec, exec, s[16:17]
	s_cbranch_execnz .LBB88_1353
.LBB88_1333:
	s_or_b64 exec, exec, s[16:17]
	s_and_saveexec_b64 s[16:17], s[10:11]
	s_cbranch_execz .LBB88_1335
.LBB88_1334:
	v_lshlrev_b32_e32 v6, 24, v1
	v_and_b32_e32 v1, 0xffff, v1
	v_and_b32_e32 v7, 3, v1
	v_ffbh_u32_e32 v10, v7
	v_min_u32_e32 v10, 32, v10
	v_subrev_u32_e32 v11, 29, v10
	v_bfe_u32 v9, v1, 2, 5
	v_lshlrev_b32_e32 v1, v11, v1
	v_sub_u32_e32 v10, 30, v10
	v_and_b32_e32 v1, 3, v1
	v_cmp_eq_u32_e32 vcc, 0, v9
	v_and_b32_e32 v6, 0x80000000, v6
	s_nop 0
	v_cndmask_b32_e32 v9, v9, v10, vcc
	v_cndmask_b32_e32 v1, v7, v1, vcc
	v_mov_b32_e32 v7, 0x37800000
	v_lshlrev_b32_e32 v1, 21, v1
	v_lshl_add_u32 v7, v9, 23, v7
	v_or3_b32 v7, v6, v7, v1
.LBB88_1335:
	s_or_b64 exec, exec, s[16:17]
	s_mov_b64 s[10:11], 0
	s_branch .LBB88_1341
.LBB88_1336:
	s_mov_b64 s[10:11], -1
                                        ; implicit-def: $vgpr7
	s_branch .LBB88_1347
.LBB88_1337:
	s_or_saveexec_b64 s[18:19], s[18:19]
	v_mov_b32_e32 v7, 0x7f800001
	s_xor_b64 exec, exec, s[18:19]
	s_cbranch_execz .LBB88_1320
.LBB88_1338:
	v_cmp_ne_u16_e32 vcc, 0, v1
	s_andn2_b64 s[16:17], s[16:17], exec
	s_and_b64 s[20:21], vcc, exec
	v_mov_b32_e32 v7, 0
	s_or_b64 s[16:17], s[16:17], s[20:21]
	s_or_b64 exec, exec, s[18:19]
	s_and_saveexec_b64 s[18:19], s[16:17]
	s_cbranch_execnz .LBB88_1321
	s_branch .LBB88_1322
.LBB88_1339:
	s_mov_b64 s[10:11], -1
                                        ; implicit-def: $vgpr7
	s_branch .LBB88_1344
.LBB88_1340:
	s_mov_b64 s[10:11], -1
                                        ; implicit-def: $vgpr7
.LBB88_1341:
	s_and_b64 vcc, exec, s[10:11]
	s_cbranch_vccz .LBB88_1343
; %bb.1342:
	global_load_ubyte v1, v[2:3], off
	s_mov_b32 s10, 0x7f800000
	s_waitcnt vmcnt(0)
	v_lshlrev_b32_e32 v1, 24, v1
	v_and_b32_e32 v6, 0x7f000000, v1
	v_ffbh_u32_e32 v7, v6
	v_min_u32_e32 v7, 32, v7
	v_sub_u32_e64 v7, v7, 4 clamp
	v_lshlrev_b32_e32 v10, v7, v6
	v_lshlrev_b32_e32 v7, 23, v7
	v_lshrrev_b32_e32 v10, 4, v10
	v_add_u32_e32 v9, 0x1000000, v6
	v_sub_u32_e32 v7, v10, v7
	v_ashrrev_i32_e32 v9, 8, v9
	v_add_u32_e32 v7, 0x3c000000, v7
	v_and_or_b32 v7, v9, s10, v7
	v_cmp_ne_u32_e32 vcc, 0, v6
	s_brev_b32 s10, 1
	s_nop 0
	v_cndmask_b32_e32 v6, 0, v7, vcc
	v_and_or_b32 v7, v1, s10, v6
.LBB88_1343:
	s_mov_b64 s[10:11], 0
.LBB88_1344:
	s_andn2_b64 vcc, exec, s[10:11]
	s_cbranch_vccnz .LBB88_1346
; %bb.1345:
	global_load_ubyte v1, v[2:3], off
	s_movk_i32 s10, 0x7f00
	s_brev_b32 s11, 16
	s_waitcnt vmcnt(0)
	v_lshlrev_b16_e32 v6, 8, v1
	v_lshlrev_b32_e32 v1, 25, v1
	v_lshrrev_b32_e32 v7, 4, v1
	v_and_or_b32 v9, v6, s10, 0.5
	v_or_b32_e32 v7, 0x70000000, v7
	v_add_f32_e32 v9, -0.5, v9
	v_mul_f32_e32 v7, 0x7800000, v7
	v_cmp_gt_u32_e32 vcc, s11, v1
	v_bfe_i32 v6, v6, 0, 16
	s_brev_b32 s10, 1
	v_cndmask_b32_e32 v1, v7, v9, vcc
	v_and_or_b32 v7, v6, s10, v1
.LBB88_1346:
	s_mov_b64 s[10:11], 0
	s_mov_b64 s[16:17], -1
.LBB88_1347:
	s_andn2_b64 vcc, exec, s[10:11]
	s_mov_b64 s[10:11], 0
	s_cbranch_vccnz .LBB88_1358
; %bb.1348:
	s_cmp_gt_i32 s22, 14
	s_cbranch_scc0 .LBB88_1351
; %bb.1349:
	s_cmp_eq_u32 s22, 15
	s_cbranch_scc0 .LBB88_1354
; %bb.1350:
	global_load_ushort v1, v[2:3], off
	s_mov_b64 s[0:1], 0
	s_mov_b64 s[16:17], -1
	s_waitcnt vmcnt(0)
	v_lshlrev_b32_e32 v7, 16, v1
	s_branch .LBB88_1355
.LBB88_1351:
	s_mov_b64 s[18:19], -1
                                        ; implicit-def: $vgpr7
	s_branch .LBB88_1356
.LBB88_1352:
	s_or_saveexec_b64 s[16:17], s[16:17]
	v_mov_b32_e32 v7, 0x7f800001
	s_xor_b64 exec, exec, s[16:17]
	s_cbranch_execz .LBB88_1333
.LBB88_1353:
	v_cmp_ne_u16_e32 vcc, 0, v1
	s_andn2_b64 s[10:11], s[10:11], exec
	s_and_b64 s[18:19], vcc, exec
	v_mov_b32_e32 v7, 0
	s_or_b64 s[10:11], s[10:11], s[18:19]
	s_or_b64 exec, exec, s[16:17]
	s_and_saveexec_b64 s[16:17], s[10:11]
	s_cbranch_execnz .LBB88_1334
	s_branch .LBB88_1335
.LBB88_1354:
	s_mov_b64 s[0:1], -1
                                        ; implicit-def: $vgpr7
.LBB88_1355:
	s_mov_b64 s[18:19], 0
.LBB88_1356:
	s_and_b64 vcc, exec, s[18:19]
	s_cbranch_vccz .LBB88_1358
; %bb.1357:
	s_cmp_lg_u32 s22, 11
	s_mov_b64 s[10:11], -1
	s_cselect_b64 s[0:1], -1, 0
.LBB88_1358:
	s_and_b64 vcc, exec, s[0:1]
	s_cbranch_vccnz .LBB88_1421
; %bb.1359:
	s_andn2_b64 vcc, exec, s[10:11]
	s_cbranch_vccnz .LBB88_1361
.LBB88_1360:
	global_load_ubyte v1, v[2:3], off
	s_mov_b64 s[16:17], -1
	s_waitcnt vmcnt(0)
	v_cmp_ne_u16_e32 vcc, 0, v1
	s_nop 1
	v_cndmask_b32_e64 v7, 0, 1.0, vcc
.LBB88_1361:
	s_branch .LBB88_1289
.LBB88_1362:
	s_cmp_lt_i32 s22, 5
	s_cbranch_scc1 .LBB88_1367
; %bb.1363:
	s_cmp_lt_i32 s22, 8
	s_cbranch_scc1 .LBB88_1368
; %bb.1364:
	;; [unrolled: 3-line block ×3, first 2 shown]
	s_cmp_gt_i32 s22, 9
	s_cbranch_scc0 .LBB88_1370
; %bb.1366:
	global_load_dwordx2 v[6:7], v[2:3], off
	s_mov_b64 s[0:1], 0
	s_waitcnt vmcnt(0)
	v_cvt_f32_f64_e32 v7, v[6:7]
	s_branch .LBB88_1371
.LBB88_1367:
	s_mov_b64 s[0:1], -1
                                        ; implicit-def: $vgpr7
	s_branch .LBB88_1389
.LBB88_1368:
	s_mov_b64 s[0:1], -1
                                        ; implicit-def: $vgpr7
	s_branch .LBB88_1377
.LBB88_1369:
	s_mov_b64 s[0:1], -1
                                        ; implicit-def: $vgpr7
	s_branch .LBB88_1374
.LBB88_1370:
	s_mov_b64 s[0:1], -1
                                        ; implicit-def: $vgpr7
.LBB88_1371:
	s_andn2_b64 vcc, exec, s[0:1]
	s_cbranch_vccnz .LBB88_1373
; %bb.1372:
	global_load_dword v7, v[2:3], off
.LBB88_1373:
	s_mov_b64 s[0:1], 0
.LBB88_1374:
	s_andn2_b64 vcc, exec, s[0:1]
	s_cbranch_vccnz .LBB88_1376
; %bb.1375:
	global_load_dword v1, v[2:3], off
	s_waitcnt vmcnt(0)
	v_cvt_f32_f16_e32 v7, v1
.LBB88_1376:
	s_mov_b64 s[0:1], 0
.LBB88_1377:
	s_andn2_b64 vcc, exec, s[0:1]
	s_cbranch_vccnz .LBB88_1388
; %bb.1378:
	s_cmp_lt_i32 s22, 6
	s_cbranch_scc1 .LBB88_1381
; %bb.1379:
	s_cmp_gt_i32 s22, 6
	s_cbranch_scc0 .LBB88_1382
; %bb.1380:
	global_load_dwordx2 v[6:7], v[2:3], off
	s_mov_b64 s[0:1], 0
	s_waitcnt vmcnt(0)
	v_cvt_f32_f64_e32 v7, v[6:7]
	s_branch .LBB88_1383
.LBB88_1381:
	s_mov_b64 s[0:1], -1
                                        ; implicit-def: $vgpr7
	s_branch .LBB88_1386
.LBB88_1382:
	s_mov_b64 s[0:1], -1
                                        ; implicit-def: $vgpr7
.LBB88_1383:
	s_andn2_b64 vcc, exec, s[0:1]
	s_cbranch_vccnz .LBB88_1385
; %bb.1384:
	global_load_dword v7, v[2:3], off
.LBB88_1385:
	s_mov_b64 s[0:1], 0
.LBB88_1386:
	s_andn2_b64 vcc, exec, s[0:1]
	s_cbranch_vccnz .LBB88_1388
; %bb.1387:
	global_load_ushort v1, v[2:3], off
	s_waitcnt vmcnt(0)
	v_cvt_f32_f16_e32 v7, v1
.LBB88_1388:
	s_mov_b64 s[0:1], 0
.LBB88_1389:
	s_andn2_b64 vcc, exec, s[0:1]
	s_cbranch_vccnz .LBB88_1409
; %bb.1390:
	s_cmp_lt_i32 s22, 2
	s_cbranch_scc1 .LBB88_1394
; %bb.1391:
	s_cmp_lt_i32 s22, 3
	s_cbranch_scc1 .LBB88_1395
; %bb.1392:
	s_cmp_gt_i32 s22, 3
	s_cbranch_scc0 .LBB88_1396
; %bb.1393:
	global_load_dwordx2 v[6:7], v[2:3], off
	s_mov_b64 s[0:1], 0
	s_waitcnt vmcnt(0)
	v_xor_b32_e32 v9, v6, v7
	v_ffbh_i32_e32 v1, v7
	v_ashrrev_i32_e32 v9, 31, v9
	v_add_u32_e32 v1, -1, v1
	v_add_u32_e32 v9, 32, v9
	v_min_u32_e32 v1, v1, v9
	v_lshlrev_b64 v[6:7], v1, v[6:7]
	v_min_u32_e32 v6, 1, v6
	v_or_b32_e32 v6, v7, v6
	v_cvt_f32_i32_e32 v6, v6
	v_sub_u32_e32 v1, 32, v1
	v_ldexp_f32 v7, v6, v1
	s_branch .LBB88_1397
.LBB88_1394:
	s_mov_b64 s[0:1], -1
                                        ; implicit-def: $vgpr7
	s_branch .LBB88_1403
.LBB88_1395:
	s_mov_b64 s[0:1], -1
                                        ; implicit-def: $vgpr7
	s_branch .LBB88_1400
.LBB88_1396:
	s_mov_b64 s[0:1], -1
                                        ; implicit-def: $vgpr7
.LBB88_1397:
	s_andn2_b64 vcc, exec, s[0:1]
	s_cbranch_vccnz .LBB88_1399
; %bb.1398:
	global_load_dword v1, v[2:3], off
	s_waitcnt vmcnt(0)
	v_cvt_f32_i32_e32 v7, v1
.LBB88_1399:
	s_mov_b64 s[0:1], 0
.LBB88_1400:
	s_andn2_b64 vcc, exec, s[0:1]
	s_cbranch_vccnz .LBB88_1402
; %bb.1401:
	global_load_sshort v1, v[2:3], off
	s_waitcnt vmcnt(0)
	v_cvt_f32_i32_e32 v7, v1
.LBB88_1402:
	s_mov_b64 s[0:1], 0
.LBB88_1403:
	s_andn2_b64 vcc, exec, s[0:1]
	s_cbranch_vccnz .LBB88_1409
; %bb.1404:
	s_cmp_gt_i32 s22, 0
	s_cbranch_scc0 .LBB88_1406
; %bb.1405:
	global_load_sbyte v1, v[2:3], off
	s_mov_b64 s[0:1], 0
	s_waitcnt vmcnt(0)
	v_cvt_f32_i32_e32 v7, v1
	s_branch .LBB88_1407
.LBB88_1406:
	s_mov_b64 s[0:1], -1
                                        ; implicit-def: $vgpr7
.LBB88_1407:
	s_andn2_b64 vcc, exec, s[0:1]
	s_cbranch_vccnz .LBB88_1409
; %bb.1408:
	global_load_ubyte v1, v[2:3], off
	s_waitcnt vmcnt(0)
	v_cvt_f32_ubyte0_e32 v7, v1
.LBB88_1409:
.LBB88_1410:
	v_add_u32_e32 v0, s9, v0
	v_ashrrev_i32_e32 v1, 31, v0
	s_cmp_lt_i32 s22, 11
	v_lshl_add_u64 v[0:1], s[6:7], 0, v[0:1]
	s_cbranch_scc1 .LBB88_1417
; %bb.1411:
	s_cmp_gt_i32 s22, 25
	s_mov_b64 s[6:7], 0
	s_cbranch_scc0 .LBB88_1418
; %bb.1412:
	s_cmp_gt_i32 s22, 28
	s_cbranch_scc0 .LBB88_1419
; %bb.1413:
	s_cmp_gt_i32 s22, 43
	;; [unrolled: 3-line block ×3, first 2 shown]
	s_cbranch_scc0 .LBB88_1422
; %bb.1415:
	s_cmp_eq_u32 s22, 46
	s_mov_b64 s[16:17], 0
	s_cbranch_scc0 .LBB88_1423
; %bb.1416:
	global_load_dword v2, v[0:1], off
	s_mov_b64 s[0:1], 0
	s_mov_b64 s[10:11], -1
	s_waitcnt vmcnt(0)
	v_lshlrev_b32_e32 v6, 16, v2
	s_branch .LBB88_1424
.LBB88_1417:
	s_mov_b64 s[0:1], -1
	s_mov_b64 s[10:11], 0
                                        ; implicit-def: $vgpr6
	s_branch .LBB88_1490
.LBB88_1418:
	s_mov_b64 s[16:17], -1
	s_mov_b64 s[10:11], 0
	s_mov_b64 s[0:1], 0
                                        ; implicit-def: $vgpr6
	s_branch .LBB88_1453
.LBB88_1419:
	s_mov_b64 s[16:17], -1
	s_mov_b64 s[10:11], 0
	s_mov_b64 s[0:1], 0
                                        ; implicit-def: $vgpr6
	s_branch .LBB88_1434
.LBB88_1420:
	s_mov_b64 s[16:17], -1
	s_mov_b64 s[10:11], 0
	s_mov_b64 s[0:1], 0
                                        ; implicit-def: $vgpr6
	s_branch .LBB88_1429
.LBB88_1421:
	s_trap 2
	s_or_b64 s[14:15], s[14:15], exec
	s_cbranch_execz .LBB88_1360
	s_branch .LBB88_1361
.LBB88_1422:
	s_mov_b64 s[16:17], -1
	s_mov_b64 s[10:11], 0
	s_mov_b64 s[0:1], 0
                                        ; implicit-def: $vgpr6
	s_branch .LBB88_1424
.LBB88_1423:
	s_mov_b64 s[0:1], -1
                                        ; implicit-def: $vgpr6
	s_mov_b64 s[10:11], 0
.LBB88_1424:
	s_and_b64 vcc, exec, s[16:17]
	s_cbranch_vccz .LBB88_1428
; %bb.1425:
	s_cmp_eq_u32 s22, 44
	s_cbranch_scc0 .LBB88_1427
; %bb.1426:
	global_load_ubyte v2, v[0:1], off
	s_movk_i32 s9, 0xff
	v_mov_b32_e32 v3, 0x7f800001
	v_mov_b32_e32 v6, 0x400000
	s_mov_b64 s[0:1], 0
	s_mov_b64 s[10:11], -1
	s_waitcnt vmcnt(0)
	v_lshlrev_b32_e32 v9, 23, v2
	v_cmp_ne_u32_e32 vcc, s9, v2
	s_nop 1
	v_cndmask_b32_e32 v3, v3, v9, vcc
	v_cmp_ne_u32_e32 vcc, 0, v2
	s_nop 1
	v_cndmask_b32_e32 v6, v6, v3, vcc
	s_branch .LBB88_1428
.LBB88_1427:
	s_mov_b64 s[0:1], -1
                                        ; implicit-def: $vgpr6
.LBB88_1428:
	s_mov_b64 s[16:17], 0
.LBB88_1429:
	s_and_b64 vcc, exec, s[16:17]
	s_cbranch_vccz .LBB88_1433
; %bb.1430:
	s_cmp_eq_u32 s22, 29
	s_cbranch_scc0 .LBB88_1432
; %bb.1431:
	global_load_dwordx2 v[2:3], v[0:1], off
	s_mov_b64 s[0:1], 0
	s_mov_b64 s[10:11], -1
	s_mov_b64 s[16:17], 0
	s_waitcnt vmcnt(0)
	v_ffbh_u32_e32 v6, v3
	v_min_u32_e32 v6, 32, v6
	v_lshlrev_b64 v[2:3], v6, v[2:3]
	v_min_u32_e32 v2, 1, v2
	v_or_b32_e32 v2, v3, v2
	v_cvt_f32_u32_e32 v2, v2
	v_sub_u32_e32 v3, 32, v6
	v_ldexp_f32 v6, v2, v3
	s_branch .LBB88_1434
.LBB88_1432:
	s_mov_b64 s[0:1], -1
                                        ; implicit-def: $vgpr6
.LBB88_1433:
	s_mov_b64 s[16:17], 0
.LBB88_1434:
	s_and_b64 vcc, exec, s[16:17]
	s_cbranch_vccz .LBB88_1452
; %bb.1435:
	s_cmp_lt_i32 s22, 27
	s_cbranch_scc1 .LBB88_1438
; %bb.1436:
	s_cmp_gt_i32 s22, 27
	s_cbranch_scc0 .LBB88_1439
; %bb.1437:
	global_load_dword v2, v[0:1], off
	s_mov_b64 s[10:11], 0
	s_waitcnt vmcnt(0)
	v_cvt_f32_u32_e32 v6, v2
	s_branch .LBB88_1440
.LBB88_1438:
	s_mov_b64 s[10:11], -1
                                        ; implicit-def: $vgpr6
	s_branch .LBB88_1443
.LBB88_1439:
	s_mov_b64 s[10:11], -1
                                        ; implicit-def: $vgpr6
.LBB88_1440:
	s_andn2_b64 vcc, exec, s[10:11]
	s_cbranch_vccnz .LBB88_1442
; %bb.1441:
	global_load_ushort v2, v[0:1], off
	s_waitcnt vmcnt(0)
	v_cvt_f32_u32_e32 v6, v2
.LBB88_1442:
	s_mov_b64 s[10:11], 0
.LBB88_1443:
	s_andn2_b64 vcc, exec, s[10:11]
	s_cbranch_vccnz .LBB88_1451
; %bb.1444:
	global_load_ubyte v2, v[0:1], off
	s_movk_i32 s9, 0x7f
	s_mov_b64 s[10:11], 0
	s_waitcnt vmcnt(0)
	v_cmp_lt_i16_e32 vcc, s9, v2
	s_and_saveexec_b64 s[16:17], vcc
	s_xor_b64 s[16:17], exec, s[16:17]
	s_cbranch_execz .LBB88_1465
; %bb.1445:
	s_movk_i32 s9, 0x80
	v_cmp_eq_u16_e32 vcc, s9, v2
	s_mov_b64 s[10:11], -1
	s_and_saveexec_b64 s[18:19], vcc
; %bb.1446:
	s_xor_b64 s[10:11], exec, -1
; %bb.1447:
	s_or_b64 exec, exec, s[18:19]
	s_and_b64 s[10:11], s[10:11], exec
	s_or_saveexec_b64 s[16:17], s[16:17]
	v_mov_b32_e32 v6, 0x7f800001
	s_xor_b64 exec, exec, s[16:17]
	s_cbranch_execnz .LBB88_1466
.LBB88_1448:
	s_or_b64 exec, exec, s[16:17]
	s_and_saveexec_b64 s[16:17], s[10:11]
	s_cbranch_execz .LBB88_1450
.LBB88_1449:
	v_lshlrev_b32_e32 v3, 24, v2
	v_and_b32_e32 v2, 0xffff, v2
	v_and_b32_e32 v6, 7, v2
	v_ffbh_u32_e32 v10, v6
	v_min_u32_e32 v10, 32, v10
	v_subrev_u32_e32 v11, 28, v10
	v_bfe_u32 v9, v2, 3, 4
	v_lshlrev_b32_e32 v2, v11, v2
	v_sub_u32_e32 v10, 29, v10
	v_and_b32_e32 v2, 7, v2
	v_cmp_eq_u32_e32 vcc, 0, v9
	v_and_b32_e32 v3, 0x80000000, v3
	s_nop 0
	v_cndmask_b32_e32 v9, v9, v10, vcc
	v_cndmask_b32_e32 v2, v6, v2, vcc
	v_mov_b32_e32 v6, 0x3b800000
	v_lshlrev_b32_e32 v2, 20, v2
	v_lshl_add_u32 v6, v9, 23, v6
	v_or3_b32 v6, v3, v6, v2
.LBB88_1450:
	s_or_b64 exec, exec, s[16:17]
.LBB88_1451:
	s_mov_b64 s[10:11], -1
.LBB88_1452:
	s_mov_b64 s[16:17], 0
.LBB88_1453:
	s_and_b64 vcc, exec, s[16:17]
	s_cbranch_vccz .LBB88_1486
; %bb.1454:
	s_cmp_gt_i32 s22, 22
	s_cbranch_scc0 .LBB88_1464
; %bb.1455:
	s_cmp_lt_i32 s22, 24
	s_cbranch_scc1 .LBB88_1467
; %bb.1456:
	s_cmp_gt_i32 s22, 24
	s_cbranch_scc0 .LBB88_1468
; %bb.1457:
	global_load_ubyte v2, v[0:1], off
	s_movk_i32 s6, 0x7f
	s_waitcnt vmcnt(0)
	v_cmp_lt_i16_e32 vcc, s6, v2
	s_mov_b64 s[6:7], 0
	s_and_saveexec_b64 s[10:11], vcc
	s_xor_b64 s[10:11], exec, s[10:11]
	s_cbranch_execz .LBB88_1480
; %bb.1458:
	s_movk_i32 s6, 0x80
	v_cmp_eq_u16_e32 vcc, s6, v2
	s_mov_b64 s[6:7], -1
	s_and_saveexec_b64 s[16:17], vcc
; %bb.1459:
	s_xor_b64 s[6:7], exec, -1
; %bb.1460:
	s_or_b64 exec, exec, s[16:17]
	s_and_b64 s[6:7], s[6:7], exec
	s_or_saveexec_b64 s[10:11], s[10:11]
	v_mov_b32_e32 v6, 0x7f800001
	s_xor_b64 exec, exec, s[10:11]
	s_cbranch_execnz .LBB88_1481
.LBB88_1461:
	s_or_b64 exec, exec, s[10:11]
	s_and_saveexec_b64 s[10:11], s[6:7]
	s_cbranch_execz .LBB88_1463
.LBB88_1462:
	v_lshlrev_b32_e32 v3, 24, v2
	v_and_b32_e32 v2, 0xffff, v2
	v_and_b32_e32 v6, 3, v2
	v_ffbh_u32_e32 v10, v6
	v_min_u32_e32 v10, 32, v10
	v_subrev_u32_e32 v11, 29, v10
	v_bfe_u32 v9, v2, 2, 5
	v_lshlrev_b32_e32 v2, v11, v2
	v_sub_u32_e32 v10, 30, v10
	v_and_b32_e32 v2, 3, v2
	v_cmp_eq_u32_e32 vcc, 0, v9
	v_and_b32_e32 v3, 0x80000000, v3
	s_nop 0
	v_cndmask_b32_e32 v9, v9, v10, vcc
	v_cndmask_b32_e32 v2, v6, v2, vcc
	v_mov_b32_e32 v6, 0x37800000
	v_lshlrev_b32_e32 v2, 21, v2
	v_lshl_add_u32 v6, v9, 23, v6
	v_or3_b32 v6, v3, v6, v2
.LBB88_1463:
	s_or_b64 exec, exec, s[10:11]
	s_mov_b64 s[6:7], 0
	s_branch .LBB88_1469
.LBB88_1464:
	s_mov_b64 s[6:7], -1
                                        ; implicit-def: $vgpr6
	s_branch .LBB88_1475
.LBB88_1465:
	s_or_saveexec_b64 s[16:17], s[16:17]
	v_mov_b32_e32 v6, 0x7f800001
	s_xor_b64 exec, exec, s[16:17]
	s_cbranch_execz .LBB88_1448
.LBB88_1466:
	v_cmp_ne_u16_e32 vcc, 0, v2
	s_andn2_b64 s[10:11], s[10:11], exec
	s_and_b64 s[18:19], vcc, exec
	v_mov_b32_e32 v6, 0
	s_or_b64 s[10:11], s[10:11], s[18:19]
	s_or_b64 exec, exec, s[16:17]
	s_and_saveexec_b64 s[16:17], s[10:11]
	s_cbranch_execnz .LBB88_1449
	s_branch .LBB88_1450
.LBB88_1467:
	s_mov_b64 s[6:7], -1
                                        ; implicit-def: $vgpr6
	s_branch .LBB88_1472
.LBB88_1468:
	s_mov_b64 s[6:7], -1
                                        ; implicit-def: $vgpr6
.LBB88_1469:
	s_and_b64 vcc, exec, s[6:7]
	s_cbranch_vccz .LBB88_1471
; %bb.1470:
	global_load_ubyte v2, v[0:1], off
	s_mov_b32 s6, 0x7f800000
	s_waitcnt vmcnt(0)
	v_lshlrev_b32_e32 v2, 24, v2
	v_and_b32_e32 v3, 0x7f000000, v2
	v_ffbh_u32_e32 v6, v3
	v_min_u32_e32 v6, 32, v6
	v_sub_u32_e64 v6, v6, 4 clamp
	v_lshlrev_b32_e32 v10, v6, v3
	v_lshlrev_b32_e32 v6, 23, v6
	v_lshrrev_b32_e32 v10, 4, v10
	v_add_u32_e32 v9, 0x1000000, v3
	v_sub_u32_e32 v6, v10, v6
	v_ashrrev_i32_e32 v9, 8, v9
	v_add_u32_e32 v6, 0x3c000000, v6
	v_and_or_b32 v6, v9, s6, v6
	v_cmp_ne_u32_e32 vcc, 0, v3
	s_brev_b32 s6, 1
	s_nop 0
	v_cndmask_b32_e32 v3, 0, v6, vcc
	v_and_or_b32 v6, v2, s6, v3
.LBB88_1471:
	s_mov_b64 s[6:7], 0
.LBB88_1472:
	s_andn2_b64 vcc, exec, s[6:7]
	s_cbranch_vccnz .LBB88_1474
; %bb.1473:
	global_load_ubyte v2, v[0:1], off
	s_movk_i32 s6, 0x7f00
	s_brev_b32 s7, 16
	s_waitcnt vmcnt(0)
	v_lshlrev_b16_e32 v3, 8, v2
	v_lshlrev_b32_e32 v2, 25, v2
	v_lshrrev_b32_e32 v6, 4, v2
	v_and_or_b32 v9, v3, s6, 0.5
	v_or_b32_e32 v6, 0x70000000, v6
	v_add_f32_e32 v9, -0.5, v9
	v_mul_f32_e32 v6, 0x7800000, v6
	v_cmp_gt_u32_e32 vcc, s7, v2
	v_bfe_i32 v3, v3, 0, 16
	s_brev_b32 s6, 1
	v_cndmask_b32_e32 v2, v6, v9, vcc
	v_and_or_b32 v6, v3, s6, v2
.LBB88_1474:
	s_mov_b64 s[6:7], 0
	s_mov_b64 s[10:11], -1
.LBB88_1475:
	s_andn2_b64 vcc, exec, s[6:7]
	s_mov_b64 s[6:7], 0
	s_cbranch_vccnz .LBB88_1486
; %bb.1476:
	s_cmp_gt_i32 s22, 14
	s_cbranch_scc0 .LBB88_1479
; %bb.1477:
	s_cmp_eq_u32 s22, 15
	s_cbranch_scc0 .LBB88_1482
; %bb.1478:
	global_load_ushort v2, v[0:1], off
	s_mov_b64 s[0:1], 0
	s_mov_b64 s[10:11], -1
	s_waitcnt vmcnt(0)
	v_lshlrev_b32_e32 v6, 16, v2
	s_branch .LBB88_1483
.LBB88_1479:
	s_mov_b64 s[16:17], -1
                                        ; implicit-def: $vgpr6
	s_branch .LBB88_1484
.LBB88_1480:
	s_or_saveexec_b64 s[10:11], s[10:11]
	v_mov_b32_e32 v6, 0x7f800001
	s_xor_b64 exec, exec, s[10:11]
	s_cbranch_execz .LBB88_1461
.LBB88_1481:
	v_cmp_ne_u16_e32 vcc, 0, v2
	s_andn2_b64 s[6:7], s[6:7], exec
	s_and_b64 s[16:17], vcc, exec
	v_mov_b32_e32 v6, 0
	s_or_b64 s[6:7], s[6:7], s[16:17]
	s_or_b64 exec, exec, s[10:11]
	s_and_saveexec_b64 s[10:11], s[6:7]
	s_cbranch_execnz .LBB88_1462
	s_branch .LBB88_1463
.LBB88_1482:
	s_mov_b64 s[0:1], -1
                                        ; implicit-def: $vgpr6
.LBB88_1483:
	s_mov_b64 s[16:17], 0
.LBB88_1484:
	s_and_b64 vcc, exec, s[16:17]
	s_cbranch_vccz .LBB88_1486
; %bb.1485:
	s_cmp_lg_u32 s22, 11
	s_mov_b64 s[6:7], -1
	s_cselect_b64 s[0:1], -1, 0
.LBB88_1486:
	s_and_b64 vcc, exec, s[0:1]
	s_cbranch_vccnz .LBB88_2019
; %bb.1487:
	s_andn2_b64 vcc, exec, s[6:7]
	s_cbranch_vccnz .LBB88_1489
.LBB88_1488:
	global_load_ubyte v2, v[0:1], off
	s_mov_b64 s[10:11], -1
	s_waitcnt vmcnt(0)
	v_cmp_ne_u16_e32 vcc, 0, v2
	s_nop 1
	v_cndmask_b32_e64 v6, 0, 1.0, vcc
.LBB88_1489:
	s_mov_b64 s[0:1], 0
.LBB88_1490:
	s_and_b64 vcc, exec, s[0:1]
	s_cbranch_vccz .LBB88_1539
; %bb.1491:
	s_cmp_lt_i32 s22, 5
	s_cbranch_scc1 .LBB88_1496
; %bb.1492:
	s_cmp_lt_i32 s22, 8
	s_cbranch_scc1 .LBB88_1497
	;; [unrolled: 3-line block ×3, first 2 shown]
; %bb.1494:
	s_cmp_gt_i32 s22, 9
	s_cbranch_scc0 .LBB88_1499
; %bb.1495:
	global_load_dwordx2 v[2:3], v[0:1], off
	s_mov_b64 s[0:1], 0
	s_waitcnt vmcnt(0)
	v_cvt_f32_f64_e32 v6, v[2:3]
	s_branch .LBB88_1500
.LBB88_1496:
	s_mov_b64 s[0:1], -1
                                        ; implicit-def: $vgpr6
	s_branch .LBB88_1518
.LBB88_1497:
	s_mov_b64 s[0:1], -1
                                        ; implicit-def: $vgpr6
	s_branch .LBB88_1506
.LBB88_1498:
	s_mov_b64 s[0:1], -1
                                        ; implicit-def: $vgpr6
	s_branch .LBB88_1503
.LBB88_1499:
	s_mov_b64 s[0:1], -1
                                        ; implicit-def: $vgpr6
.LBB88_1500:
	s_andn2_b64 vcc, exec, s[0:1]
	s_cbranch_vccnz .LBB88_1502
; %bb.1501:
	global_load_dword v6, v[0:1], off
.LBB88_1502:
	s_mov_b64 s[0:1], 0
.LBB88_1503:
	s_andn2_b64 vcc, exec, s[0:1]
	s_cbranch_vccnz .LBB88_1505
; %bb.1504:
	global_load_dword v2, v[0:1], off
	s_waitcnt vmcnt(0)
	v_cvt_f32_f16_e32 v6, v2
.LBB88_1505:
	s_mov_b64 s[0:1], 0
.LBB88_1506:
	s_andn2_b64 vcc, exec, s[0:1]
	s_cbranch_vccnz .LBB88_1517
; %bb.1507:
	s_cmp_lt_i32 s22, 6
	s_cbranch_scc1 .LBB88_1510
; %bb.1508:
	s_cmp_gt_i32 s22, 6
	s_cbranch_scc0 .LBB88_1511
; %bb.1509:
	global_load_dwordx2 v[2:3], v[0:1], off
	s_mov_b64 s[0:1], 0
	s_waitcnt vmcnt(0)
	v_cvt_f32_f64_e32 v6, v[2:3]
	s_branch .LBB88_1512
.LBB88_1510:
	s_mov_b64 s[0:1], -1
                                        ; implicit-def: $vgpr6
	s_branch .LBB88_1515
.LBB88_1511:
	s_mov_b64 s[0:1], -1
                                        ; implicit-def: $vgpr6
.LBB88_1512:
	s_andn2_b64 vcc, exec, s[0:1]
	s_cbranch_vccnz .LBB88_1514
; %bb.1513:
	global_load_dword v6, v[0:1], off
.LBB88_1514:
	s_mov_b64 s[0:1], 0
.LBB88_1515:
	s_andn2_b64 vcc, exec, s[0:1]
	s_cbranch_vccnz .LBB88_1517
; %bb.1516:
	global_load_ushort v2, v[0:1], off
	s_waitcnt vmcnt(0)
	v_cvt_f32_f16_e32 v6, v2
.LBB88_1517:
	s_mov_b64 s[0:1], 0
.LBB88_1518:
	s_andn2_b64 vcc, exec, s[0:1]
	s_cbranch_vccnz .LBB88_1538
; %bb.1519:
	s_cmp_lt_i32 s22, 2
	s_cbranch_scc1 .LBB88_1523
; %bb.1520:
	s_cmp_lt_i32 s22, 3
	s_cbranch_scc1 .LBB88_1524
; %bb.1521:
	s_cmp_gt_i32 s22, 3
	s_cbranch_scc0 .LBB88_1525
; %bb.1522:
	global_load_dwordx2 v[2:3], v[0:1], off
	s_mov_b64 s[0:1], 0
	s_waitcnt vmcnt(0)
	v_xor_b32_e32 v9, v2, v3
	v_ffbh_i32_e32 v6, v3
	v_ashrrev_i32_e32 v9, 31, v9
	v_add_u32_e32 v6, -1, v6
	v_add_u32_e32 v9, 32, v9
	v_min_u32_e32 v6, v6, v9
	v_lshlrev_b64 v[2:3], v6, v[2:3]
	v_min_u32_e32 v2, 1, v2
	v_or_b32_e32 v2, v3, v2
	v_cvt_f32_i32_e32 v2, v2
	v_sub_u32_e32 v3, 32, v6
	v_ldexp_f32 v6, v2, v3
	s_branch .LBB88_1526
.LBB88_1523:
	s_mov_b64 s[0:1], -1
                                        ; implicit-def: $vgpr6
	s_branch .LBB88_1532
.LBB88_1524:
	s_mov_b64 s[0:1], -1
                                        ; implicit-def: $vgpr6
	s_branch .LBB88_1529
.LBB88_1525:
	s_mov_b64 s[0:1], -1
                                        ; implicit-def: $vgpr6
.LBB88_1526:
	s_andn2_b64 vcc, exec, s[0:1]
	s_cbranch_vccnz .LBB88_1528
; %bb.1527:
	global_load_dword v2, v[0:1], off
	s_waitcnt vmcnt(0)
	v_cvt_f32_i32_e32 v6, v2
.LBB88_1528:
	s_mov_b64 s[0:1], 0
.LBB88_1529:
	s_andn2_b64 vcc, exec, s[0:1]
	s_cbranch_vccnz .LBB88_1531
; %bb.1530:
	global_load_sshort v2, v[0:1], off
	s_waitcnt vmcnt(0)
	v_cvt_f32_i32_e32 v6, v2
.LBB88_1531:
	s_mov_b64 s[0:1], 0
.LBB88_1532:
	s_andn2_b64 vcc, exec, s[0:1]
	s_cbranch_vccnz .LBB88_1538
; %bb.1533:
	s_cmp_gt_i32 s22, 0
	s_cbranch_scc0 .LBB88_1535
; %bb.1534:
	global_load_sbyte v2, v[0:1], off
	s_mov_b64 s[0:1], 0
	s_waitcnt vmcnt(0)
	v_cvt_f32_i32_e32 v6, v2
	s_branch .LBB88_1536
.LBB88_1535:
	s_mov_b64 s[0:1], -1
                                        ; implicit-def: $vgpr6
.LBB88_1536:
	s_andn2_b64 vcc, exec, s[0:1]
	s_cbranch_vccnz .LBB88_1538
; %bb.1537:
	global_load_ubyte v0, v[0:1], off
	s_waitcnt vmcnt(0)
	v_cvt_f32_ubyte0_e32 v6, v0
.LBB88_1538:
	s_mov_b64 s[10:11], -1
.LBB88_1539:
	s_andn2_b64 vcc, exec, s[10:11]
	s_cbranch_vccnz .LBB88_1973
; %bb.1540:
	s_waitcnt vmcnt(0)
	v_mul_f32_e32 v0, 0x3fb8aa3b, v4
	s_mov_b32 s0, 0x3fb8aa3b
	v_rndne_f32_e32 v1, v0
	v_sub_f32_e32 v2, v0, v1
	v_fma_f32 v0, v4, s0, -v0
	v_fmamk_f32 v0, v4, 0x32a5705f, v0
	v_add_f32_e32 v0, v2, v0
	v_exp_f32_e32 v0, v0
	v_cvt_i32_f32_e32 v1, v1
	s_mov_b32 s0, 0xc2ce8ed0
	v_cmp_ngt_f32_e32 vcc, s0, v4
	s_mov_b32 s0, 0x42b17218
	v_ldexp_f32 v0, v0, v1
	v_cndmask_b32_e32 v0, 0, v0, vcc
	v_mov_b32_e32 v1, 0x7f800000
	v_cmp_nlt_f32_e32 vcc, s0, v4
	s_and_b32 s20, s33, 0xff
	s_cmp_lt_i32 s20, 11
	v_cndmask_b32_e32 v4, v1, v0, vcc
	v_mul_lo_u32 v0, s8, v5
	v_ashrrev_i32_e32 v1, 31, v0
	v_lshl_add_u64 v[2:3], s[4:5], 0, v[0:1]
	s_cbranch_scc1 .LBB88_1618
; %bb.1541:
	s_and_b32 s9, 0xffff, s20
	s_mov_b64 s[16:17], -1
	s_mov_b64 s[6:7], 0
	s_cmp_gt_i32 s9, 25
	s_mov_b64 s[10:11], 0
	s_mov_b64 s[0:1], 0
	s_cbranch_scc0 .LBB88_1574
; %bb.1542:
	s_cmp_gt_i32 s9, 28
	s_cbranch_scc0 .LBB88_1557
; %bb.1543:
	s_cmp_gt_i32 s9, 43
	;; [unrolled: 3-line block ×3, first 2 shown]
	s_cbranch_scc0 .LBB88_1547
; %bb.1545:
	s_mov_b64 s[0:1], -1
	s_mov_b64 s[16:17], 0
	s_cmp_eq_u32 s9, 46
	s_cbranch_scc0 .LBB88_1547
; %bb.1546:
	v_bfe_u32 v1, v4, 16, 1
	s_movk_i32 s0, 0x7fff
	v_add3_u32 v1, v4, v1, s0
	v_cmp_o_f32_e32 vcc, v4, v4
	v_mov_b32_e32 v5, 0x7fc0
	s_mov_b64 s[0:1], 0
	v_cndmask_b32_sdwa v1, v5, v1, vcc dst_sel:DWORD dst_unused:UNUSED_PAD src0_sel:DWORD src1_sel:WORD_1
	global_store_dword v[2:3], v1, off
	s_mov_b64 s[10:11], -1
.LBB88_1547:
	s_and_b64 vcc, exec, s[16:17]
	s_cbranch_vccz .LBB88_1552
; %bb.1548:
	s_cmp_eq_u32 s9, 44
	s_mov_b64 s[0:1], -1
	s_cbranch_scc0 .LBB88_1552
; %bb.1549:
	v_bfe_u32 v1, v4, 23, 8
	s_movk_i32 s0, 0xff
	v_cmp_ne_u32_e32 vcc, s0, v1
	v_mov_b32_e32 v5, 0xff
	s_and_saveexec_b64 s[10:11], vcc
; %bb.1550:
	s_mov_b32 s0, 0x3fffff
	v_and_b32_e32 v9, 0x400000, v4
	v_and_or_b32 v1, v4, s0, v1
	v_cmp_ne_u32_e32 vcc, 0, v9
	v_cmp_ne_u32_e64 s[0:1], 0, v1
	s_and_b64 s[0:1], vcc, s[0:1]
	v_lshrrev_b32_e32 v5, 23, v4
	v_cndmask_b32_e64 v1, 0, 1, s[0:1]
	v_add_u32_e32 v5, v5, v1
; %bb.1551:
	s_or_b64 exec, exec, s[10:11]
	s_mov_b64 s[0:1], 0
	s_mov_b64 s[10:11], -1
	global_store_byte v[2:3], v5, off
.LBB88_1552:
	s_mov_b64 s[16:17], 0
.LBB88_1553:
	s_and_b64 vcc, exec, s[16:17]
	s_cbranch_vccz .LBB88_1556
; %bb.1554:
	s_cmp_eq_u32 s9, 29
	s_mov_b64 s[0:1], -1
	s_cbranch_scc0 .LBB88_1556
; %bb.1555:
	v_trunc_f32_e32 v1, v4
	v_mul_f32_e32 v5, 0x2f800000, v1
	v_floor_f32_e32 v5, v5
	v_fmamk_f32 v1, v5, 0xcf800000, v1
	v_cvt_u32_f32_e32 v11, v5
	v_cvt_u32_f32_e32 v10, v1
	s_mov_b64 s[0:1], 0
	s_mov_b64 s[10:11], -1
	global_store_dwordx2 v[2:3], v[10:11], off
.LBB88_1556:
	s_mov_b64 s[16:17], 0
.LBB88_1557:
	s_and_b64 vcc, exec, s[16:17]
	s_cbranch_vccz .LBB88_1573
; %bb.1558:
	s_cmp_lt_i32 s9, 27
	s_mov_b64 s[10:11], -1
	s_cbranch_scc1 .LBB88_1564
; %bb.1559:
	v_cvt_u32_f32_e32 v1, v4
	s_cmp_gt_i32 s9, 27
	s_cbranch_scc0 .LBB88_1561
; %bb.1560:
	s_mov_b64 s[10:11], 0
	global_store_dword v[2:3], v1, off
.LBB88_1561:
	s_andn2_b64 vcc, exec, s[10:11]
	s_cbranch_vccnz .LBB88_1563
; %bb.1562:
	global_store_short v[2:3], v1, off
.LBB88_1563:
	s_mov_b64 s[10:11], 0
.LBB88_1564:
	s_andn2_b64 vcc, exec, s[10:11]
	s_cbranch_vccnz .LBB88_1572
; %bb.1565:
	v_and_b32_e32 v1, 0x7fffffff, v4
	s_mov_b32 s10, 0x43800000
	v_cmp_gt_u32_e32 vcc, s10, v1
	v_mov_b32_e32 v5, 0x80
	s_and_saveexec_b64 s[10:11], vcc
	s_cbranch_execz .LBB88_1571
; %bb.1566:
	s_mov_b32 s16, 0x3bffffff
	v_cmp_lt_u32_e32 vcc, s16, v1
	s_mov_b64 s[16:17], 0
                                        ; implicit-def: $vgpr1
	s_and_saveexec_b64 s[18:19], vcc
	s_xor_b64 s[18:19], exec, s[18:19]
	s_cbranch_execz .LBB88_2020
; %bb.1567:
	v_bfe_u32 v1, v4, 20, 1
	s_mov_b32 s21, 0x487ffff
	v_add3_u32 v1, v4, v1, s21
	s_mov_b64 s[16:17], exec
	v_lshrrev_b32_e32 v1, 20, v1
	s_andn2_saveexec_b64 s[18:19], s[18:19]
	s_cbranch_execnz .LBB88_2021
.LBB88_1568:
	s_or_b64 exec, exec, s[18:19]
	v_mov_b32_e32 v5, 0
	s_and_saveexec_b64 s[18:19], s[16:17]
.LBB88_1569:
	v_lshrrev_b32_e32 v5, 24, v4
	s_movk_i32 s16, 0x80
	v_and_or_b32 v5, v5, s16, v1
.LBB88_1570:
	s_or_b64 exec, exec, s[18:19]
.LBB88_1571:
	s_or_b64 exec, exec, s[10:11]
	global_store_byte v[2:3], v5, off
.LBB88_1572:
	s_mov_b64 s[10:11], -1
.LBB88_1573:
	s_mov_b64 s[16:17], 0
.LBB88_1574:
	s_and_b64 vcc, exec, s[16:17]
	s_cbranch_vccz .LBB88_1614
; %bb.1575:
	s_cmp_gt_i32 s9, 22
	s_mov_b64 s[6:7], -1
	s_cbranch_scc0 .LBB88_1607
; %bb.1576:
	s_cmp_lt_i32 s9, 24
	s_cbranch_scc1 .LBB88_1596
; %bb.1577:
	s_cmp_gt_i32 s9, 24
	s_cbranch_scc0 .LBB88_1585
; %bb.1578:
	v_and_b32_e32 v1, 0x7fffffff, v4
	s_mov_b32 s6, 0x47800000
	v_cmp_gt_u32_e32 vcc, s6, v1
	v_mov_b32_e32 v5, 0x80
	s_and_saveexec_b64 s[6:7], vcc
	s_cbranch_execz .LBB88_1584
; %bb.1579:
	s_mov_b32 s10, 0x37ffffff
	v_cmp_lt_u32_e32 vcc, s10, v1
	s_mov_b64 s[10:11], 0
                                        ; implicit-def: $vgpr1
	s_and_saveexec_b64 s[16:17], vcc
	s_xor_b64 s[16:17], exec, s[16:17]
	s_cbranch_execz .LBB88_2023
; %bb.1580:
	v_bfe_u32 v1, v4, 21, 1
	s_mov_b32 s18, 0x88fffff
	v_add3_u32 v1, v4, v1, s18
	s_mov_b64 s[10:11], exec
	v_lshrrev_b32_e32 v1, 21, v1
	s_andn2_saveexec_b64 s[16:17], s[16:17]
	s_cbranch_execnz .LBB88_2024
.LBB88_1581:
	s_or_b64 exec, exec, s[16:17]
	v_mov_b32_e32 v5, 0
	s_and_saveexec_b64 s[16:17], s[10:11]
.LBB88_1582:
	v_lshrrev_b32_e32 v5, 24, v4
	s_movk_i32 s10, 0x80
	v_and_or_b32 v5, v5, s10, v1
.LBB88_1583:
	s_or_b64 exec, exec, s[16:17]
.LBB88_1584:
	s_or_b64 exec, exec, s[6:7]
	s_mov_b64 s[6:7], 0
	global_store_byte v[2:3], v5, off
.LBB88_1585:
	s_and_b64 vcc, exec, s[6:7]
	s_cbranch_vccz .LBB88_1595
; %bb.1586:
	v_and_b32_e32 v5, 0x7fffffff, v4
	s_mov_b32 s6, 0x43f00000
	v_cmp_gt_u32_e32 vcc, s6, v5
                                        ; implicit-def: $vgpr1
	s_and_saveexec_b64 s[6:7], vcc
	s_xor_b64 s[6:7], exec, s[6:7]
	s_cbranch_execz .LBB88_1592
; %bb.1587:
	s_mov_b32 s10, 0x3c7fffff
	v_cmp_lt_u32_e32 vcc, s10, v5
                                        ; implicit-def: $vgpr1
	s_and_saveexec_b64 s[10:11], vcc
	s_xor_b64 s[10:11], exec, s[10:11]
; %bb.1588:
	v_bfe_u32 v1, v4, 20, 1
	s_mov_b32 s16, 0x407ffff
	v_add3_u32 v1, v4, v1, s16
	v_lshrrev_b32_e32 v5, 20, v1
	v_and_b32_e32 v1, 0xff00000, v1
	s_mov_b32 s16, 0x7f00000
	v_mov_b32_e32 v9, 0x7e
	v_cmp_ne_u32_e32 vcc, s16, v1
	s_nop 1
	v_cndmask_b32_e32 v1, v9, v5, vcc
; %bb.1589:
	s_andn2_saveexec_b64 s[10:11], s[10:11]
; %bb.1590:
	s_mov_b32 s16, 0x46800000
	v_add_f32_e64 v1, |v4|, s16
; %bb.1591:
	s_or_b64 exec, exec, s[10:11]
                                        ; implicit-def: $vgpr5
.LBB88_1592:
	s_andn2_saveexec_b64 s[6:7], s[6:7]
; %bb.1593:
	s_mov_b32 s10, 0x7f800000
	v_mov_b32_e32 v1, 0x7e
	v_mov_b32_e32 v9, 0x7f
	v_cmp_lt_u32_e32 vcc, s10, v5
	s_nop 1
	v_cndmask_b32_e32 v1, v1, v9, vcc
; %bb.1594:
	s_or_b64 exec, exec, s[6:7]
	v_lshrrev_b32_e32 v5, 24, v4
	s_movk_i32 s6, 0x80
	v_and_or_b32 v1, v5, s6, v1
	global_store_byte v[2:3], v1, off
.LBB88_1595:
	s_mov_b64 s[6:7], 0
.LBB88_1596:
	s_andn2_b64 vcc, exec, s[6:7]
	s_cbranch_vccnz .LBB88_1606
; %bb.1597:
	v_and_b32_e32 v5, 0x7fffffff, v4
	s_mov_b32 s6, 0x47800000
	v_cmp_gt_u32_e32 vcc, s6, v5
                                        ; implicit-def: $vgpr1
	s_and_saveexec_b64 s[6:7], vcc
	s_xor_b64 s[6:7], exec, s[6:7]
	s_cbranch_execz .LBB88_1603
; %bb.1598:
	s_mov_b32 s10, 0x387fffff
	v_cmp_lt_u32_e32 vcc, s10, v5
                                        ; implicit-def: $vgpr1
	s_and_saveexec_b64 s[10:11], vcc
	s_xor_b64 s[10:11], exec, s[10:11]
; %bb.1599:
	v_bfe_u32 v1, v4, 21, 1
	s_mov_b32 s16, 0x80fffff
	v_add3_u32 v1, v4, v1, s16
	v_lshrrev_b32_e32 v1, 21, v1
; %bb.1600:
	s_andn2_saveexec_b64 s[10:11], s[10:11]
; %bb.1601:
	s_mov_b32 s16, 0x43000000
	v_add_f32_e64 v1, |v4|, s16
; %bb.1602:
	s_or_b64 exec, exec, s[10:11]
                                        ; implicit-def: $vgpr5
.LBB88_1603:
	s_andn2_saveexec_b64 s[6:7], s[6:7]
; %bb.1604:
	s_mov_b32 s10, 0x7f800000
	v_mov_b32_e32 v1, 0x7c
	v_mov_b32_e32 v9, 0x7f
	v_cmp_lt_u32_e32 vcc, s10, v5
	s_nop 1
	v_cndmask_b32_e32 v1, v1, v9, vcc
; %bb.1605:
	s_or_b64 exec, exec, s[6:7]
	v_lshrrev_b32_e32 v5, 24, v4
	s_movk_i32 s6, 0x80
	v_and_or_b32 v1, v5, s6, v1
	global_store_byte v[2:3], v1, off
.LBB88_1606:
	s_mov_b64 s[6:7], 0
	s_mov_b64 s[10:11], -1
.LBB88_1607:
	s_andn2_b64 vcc, exec, s[6:7]
	s_mov_b64 s[6:7], 0
	s_cbranch_vccnz .LBB88_1614
; %bb.1608:
	s_cmp_gt_i32 s9, 14
	s_mov_b64 s[16:17], -1
	s_cbranch_scc0 .LBB88_1612
; %bb.1609:
	s_cmp_eq_u32 s9, 15
	s_mov_b64 s[0:1], -1
	s_cbranch_scc0 .LBB88_1611
; %bb.1610:
	v_bfe_u32 v1, v4, 16, 1
	s_movk_i32 s0, 0x7fff
	v_add3_u32 v1, v4, v1, s0
	v_cmp_o_f32_e32 vcc, v4, v4
	v_mov_b32_e32 v5, 0x7fc0
	s_mov_b64 s[0:1], 0
	v_cndmask_b32_sdwa v1, v5, v1, vcc dst_sel:DWORD dst_unused:UNUSED_PAD src0_sel:DWORD src1_sel:WORD_1
	global_store_short v[2:3], v1, off
	s_mov_b64 s[10:11], -1
.LBB88_1611:
	s_mov_b64 s[16:17], 0
.LBB88_1612:
	s_and_b64 vcc, exec, s[16:17]
	s_cbranch_vccz .LBB88_1614
; %bb.1613:
	s_cmp_lg_u32 s9, 11
	s_mov_b64 s[6:7], -1
	s_cselect_b64 s[0:1], -1, 0
.LBB88_1614:
	s_and_b64 vcc, exec, s[0:1]
	s_cbranch_vccnz .LBB88_2022
; %bb.1615:
	s_andn2_b64 vcc, exec, s[6:7]
	s_cbranch_vccnz .LBB88_1617
.LBB88_1616:
	v_cmp_neq_f32_e32 vcc, 0, v4
	s_mov_b64 s[10:11], -1
	s_nop 0
	v_cndmask_b32_e64 v1, 0, 1, vcc
	global_store_byte v[2:3], v1, off
.LBB88_1617:
	s_mov_b64 s[0:1], 0
	s_branch .LBB88_1619
.LBB88_1618:
	s_mov_b64 s[0:1], -1
	s_mov_b64 s[10:11], 0
.LBB88_1619:
	s_and_b64 vcc, exec, s[0:1]
	s_cbranch_vccz .LBB88_1658
; %bb.1620:
	s_and_b32 s6, 0xffff, s20
	s_cmp_lt_i32 s6, 5
	s_mov_b64 s[0:1], -1
	s_cbranch_scc1 .LBB88_1641
; %bb.1621:
	s_cmp_lt_i32 s6, 8
	s_cbranch_scc1 .LBB88_1631
; %bb.1622:
	s_cmp_lt_i32 s6, 9
	s_cbranch_scc1 .LBB88_1628
; %bb.1623:
	s_cmp_gt_i32 s6, 9
	s_cbranch_scc0 .LBB88_1625
; %bb.1624:
	v_mov_b32_e32 v12, 0
	v_cvt_f64_f32_e32 v[10:11], v4
	v_mov_b32_e32 v13, v12
	global_store_dwordx4 v[2:3], v[10:13], off
	s_mov_b64 s[0:1], 0
.LBB88_1625:
	s_andn2_b64 vcc, exec, s[0:1]
	s_cbranch_vccnz .LBB88_1627
; %bb.1626:
	v_mov_b32_e32 v5, 0
	global_store_dwordx2 v[2:3], v[4:5], off
.LBB88_1627:
	s_mov_b64 s[0:1], 0
.LBB88_1628:
	s_andn2_b64 vcc, exec, s[0:1]
	s_cbranch_vccnz .LBB88_1630
; %bb.1629:
	v_cvt_f16_f32_e32 v1, v4
	global_store_dword v[2:3], v1, off
.LBB88_1630:
	s_mov_b64 s[0:1], 0
.LBB88_1631:
	s_andn2_b64 vcc, exec, s[0:1]
	s_cbranch_vccnz .LBB88_1640
; %bb.1632:
	s_cmp_lt_i32 s6, 6
	s_mov_b64 s[0:1], -1
	s_cbranch_scc1 .LBB88_1638
; %bb.1633:
	s_cmp_gt_i32 s6, 6
	s_cbranch_scc0 .LBB88_1635
; %bb.1634:
	v_cvt_f64_f32_e32 v[10:11], v4
	global_store_dwordx2 v[2:3], v[10:11], off
	s_mov_b64 s[0:1], 0
.LBB88_1635:
	s_andn2_b64 vcc, exec, s[0:1]
	s_cbranch_vccnz .LBB88_1637
; %bb.1636:
	global_store_dword v[2:3], v4, off
.LBB88_1637:
	s_mov_b64 s[0:1], 0
.LBB88_1638:
	s_andn2_b64 vcc, exec, s[0:1]
	s_cbranch_vccnz .LBB88_1640
; %bb.1639:
	v_cvt_f16_f32_e32 v1, v4
	global_store_short v[2:3], v1, off
.LBB88_1640:
	s_mov_b64 s[0:1], 0
.LBB88_1641:
	s_andn2_b64 vcc, exec, s[0:1]
	s_cbranch_vccnz .LBB88_1657
; %bb.1642:
	s_cmp_lt_i32 s6, 2
	s_mov_b64 s[0:1], -1
	s_cbranch_scc1 .LBB88_1652
; %bb.1643:
	s_cmp_lt_i32 s6, 3
	s_cbranch_scc1 .LBB88_1649
; %bb.1644:
	s_cmp_gt_i32 s6, 3
	s_cbranch_scc0 .LBB88_1646
; %bb.1645:
	v_trunc_f32_e32 v1, v4
	s_mov_b32 s0, 0x2f800000
	v_mul_f32_e64 v5, |v1|, s0
	v_floor_f32_e32 v5, v5
	s_mov_b32 s0, 0xcf800000
	v_cvt_u32_f32_e32 v9, v5
	v_fma_f32 v5, v5, s0, |v1|
	v_cvt_u32_f32_e32 v5, v5
	v_ashrrev_i32_e32 v1, 31, v1
	v_xor_b32_e32 v9, v9, v1
	s_mov_b64 s[0:1], 0
	v_xor_b32_e32 v5, v5, v1
	v_sub_co_u32_e32 v10, vcc, v5, v1
	s_nop 1
	v_subb_co_u32_e32 v11, vcc, v9, v1, vcc
	global_store_dwordx2 v[2:3], v[10:11], off
.LBB88_1646:
	s_andn2_b64 vcc, exec, s[0:1]
	s_cbranch_vccnz .LBB88_1648
; %bb.1647:
	v_cvt_i32_f32_e32 v1, v4
	global_store_dword v[2:3], v1, off
.LBB88_1648:
	s_mov_b64 s[0:1], 0
.LBB88_1649:
	s_andn2_b64 vcc, exec, s[0:1]
	s_cbranch_vccnz .LBB88_1651
; %bb.1650:
	v_cvt_i32_f32_e32 v1, v4
	global_store_short v[2:3], v1, off
.LBB88_1651:
	s_mov_b64 s[0:1], 0
.LBB88_1652:
	s_andn2_b64 vcc, exec, s[0:1]
	s_cbranch_vccnz .LBB88_1657
; %bb.1653:
	s_cmp_gt_i32 s6, 0
	s_mov_b64 s[0:1], -1
	s_cbranch_scc0 .LBB88_1655
; %bb.1654:
	v_cvt_i32_f32_e32 v1, v4
	s_mov_b64 s[0:1], 0
	global_store_byte v[2:3], v1, off
.LBB88_1655:
	s_andn2_b64 vcc, exec, s[0:1]
	s_cbranch_vccnz .LBB88_1657
; %bb.1656:
	v_trunc_f32_e32 v1, v4
	s_mov_b32 s0, 0x2f800000
	v_mul_f32_e64 v4, |v1|, s0
	v_floor_f32_e32 v4, v4
	s_mov_b32 s0, 0xcf800000
	v_fma_f32 v4, v4, s0, |v1|
	v_cvt_u32_f32_e32 v4, v4
	v_ashrrev_i32_e32 v1, 31, v1
	v_xor_b32_e32 v4, v4, v1
	v_sub_u32_e32 v1, v4, v1
	global_store_byte v[2:3], v1, off
.LBB88_1657:
	s_mov_b64 s[10:11], -1
.LBB88_1658:
	s_andn2_b64 vcc, exec, s[10:11]
	s_cbranch_vccnz .LBB88_1973
; %bb.1659:
	v_mul_f32_e32 v1, 0x3fb8aa3b, v8
	s_mov_b32 s0, 0x3fb8aa3b
	v_rndne_f32_e32 v2, v1
	v_sub_f32_e32 v3, v1, v2
	v_fma_f32 v1, v8, s0, -v1
	v_fmamk_f32 v1, v8, 0x32a5705f, v1
	v_add_f32_e32 v1, v3, v1
	v_exp_f32_e32 v1, v1
	v_cvt_i32_f32_e32 v2, v2
	s_mov_b32 s0, 0xc2ce8ed0
	v_cmp_ngt_f32_e32 vcc, s0, v8
	s_mov_b32 s0, 0x42b17218
	v_ldexp_f32 v1, v1, v2
	s_lshl_b32 s18, s8, 7
	v_cndmask_b32_e32 v1, 0, v1, vcc
	v_mov_b32_e32 v2, 0x7f800000
	v_cmp_nlt_f32_e32 vcc, s0, v8
	v_add_u32_e32 v0, s18, v0
	s_cmp_lt_i32 s20, 11
	v_cndmask_b32_e32 v4, v2, v1, vcc
	v_ashrrev_i32_e32 v1, 31, v0
	v_lshl_add_u64 v[2:3], s[4:5], 0, v[0:1]
	s_cbranch_scc1 .LBB88_1737
; %bb.1660:
	s_and_b32 s19, 0xffff, s20
	s_mov_b64 s[10:11], -1
	s_mov_b64 s[6:7], 0
	s_cmp_gt_i32 s19, 25
	s_mov_b64 s[8:9], 0
	s_mov_b64 s[0:1], 0
	s_cbranch_scc0 .LBB88_1693
; %bb.1661:
	s_cmp_gt_i32 s19, 28
	s_cbranch_scc0 .LBB88_1676
; %bb.1662:
	s_cmp_gt_i32 s19, 43
	;; [unrolled: 3-line block ×3, first 2 shown]
	s_cbranch_scc0 .LBB88_1666
; %bb.1664:
	s_mov_b64 s[0:1], -1
	s_mov_b64 s[10:11], 0
	s_cmp_eq_u32 s19, 46
	s_cbranch_scc0 .LBB88_1666
; %bb.1665:
	v_bfe_u32 v1, v4, 16, 1
	s_movk_i32 s0, 0x7fff
	v_add3_u32 v1, v4, v1, s0
	v_cmp_o_f32_e32 vcc, v4, v4
	v_mov_b32_e32 v5, 0x7fc0
	s_mov_b64 s[0:1], 0
	v_cndmask_b32_sdwa v1, v5, v1, vcc dst_sel:DWORD dst_unused:UNUSED_PAD src0_sel:DWORD src1_sel:WORD_1
	global_store_dword v[2:3], v1, off
	s_mov_b64 s[8:9], -1
.LBB88_1666:
	s_and_b64 vcc, exec, s[10:11]
	s_cbranch_vccz .LBB88_1671
; %bb.1667:
	s_cmp_eq_u32 s19, 44
	s_mov_b64 s[0:1], -1
	s_cbranch_scc0 .LBB88_1671
; %bb.1668:
	v_bfe_u32 v1, v4, 23, 8
	s_movk_i32 s0, 0xff
	v_cmp_ne_u32_e32 vcc, s0, v1
	v_mov_b32_e32 v5, 0xff
	s_and_saveexec_b64 s[8:9], vcc
; %bb.1669:
	s_mov_b32 s0, 0x3fffff
	v_and_b32_e32 v8, 0x400000, v4
	v_and_or_b32 v1, v4, s0, v1
	v_cmp_ne_u32_e32 vcc, 0, v8
	v_cmp_ne_u32_e64 s[0:1], 0, v1
	s_and_b64 s[0:1], vcc, s[0:1]
	v_lshrrev_b32_e32 v5, 23, v4
	v_cndmask_b32_e64 v1, 0, 1, s[0:1]
	v_add_u32_e32 v5, v5, v1
; %bb.1670:
	s_or_b64 exec, exec, s[8:9]
	s_mov_b64 s[0:1], 0
	s_mov_b64 s[8:9], -1
	global_store_byte v[2:3], v5, off
.LBB88_1671:
	s_mov_b64 s[10:11], 0
.LBB88_1672:
	s_and_b64 vcc, exec, s[10:11]
	s_cbranch_vccz .LBB88_1675
; %bb.1673:
	s_cmp_eq_u32 s19, 29
	s_mov_b64 s[0:1], -1
	s_cbranch_scc0 .LBB88_1675
; %bb.1674:
	v_trunc_f32_e32 v1, v4
	v_mul_f32_e32 v5, 0x2f800000, v1
	v_floor_f32_e32 v5, v5
	v_fmamk_f32 v1, v5, 0xcf800000, v1
	v_cvt_u32_f32_e32 v9, v5
	v_cvt_u32_f32_e32 v8, v1
	s_mov_b64 s[0:1], 0
	s_mov_b64 s[8:9], -1
	global_store_dwordx2 v[2:3], v[8:9], off
.LBB88_1675:
	s_mov_b64 s[10:11], 0
.LBB88_1676:
	s_and_b64 vcc, exec, s[10:11]
	s_cbranch_vccz .LBB88_1692
; %bb.1677:
	s_cmp_lt_i32 s19, 27
	s_mov_b64 s[8:9], -1
	s_cbranch_scc1 .LBB88_1683
; %bb.1678:
	v_cvt_u32_f32_e32 v1, v4
	s_cmp_gt_i32 s19, 27
	s_cbranch_scc0 .LBB88_1680
; %bb.1679:
	s_mov_b64 s[8:9], 0
	global_store_dword v[2:3], v1, off
.LBB88_1680:
	s_andn2_b64 vcc, exec, s[8:9]
	s_cbranch_vccnz .LBB88_1682
; %bb.1681:
	global_store_short v[2:3], v1, off
.LBB88_1682:
	s_mov_b64 s[8:9], 0
.LBB88_1683:
	s_andn2_b64 vcc, exec, s[8:9]
	s_cbranch_vccnz .LBB88_1691
; %bb.1684:
	v_and_b32_e32 v1, 0x7fffffff, v4
	s_mov_b32 s8, 0x43800000
	v_cmp_gt_u32_e32 vcc, s8, v1
	v_mov_b32_e32 v5, 0x80
	s_and_saveexec_b64 s[8:9], vcc
	s_cbranch_execz .LBB88_1690
; %bb.1685:
	s_mov_b32 s10, 0x3bffffff
	v_cmp_lt_u32_e32 vcc, s10, v1
	s_mov_b64 s[10:11], 0
                                        ; implicit-def: $vgpr1
	s_and_saveexec_b64 s[16:17], vcc
	s_xor_b64 s[16:17], exec, s[16:17]
	s_cbranch_execz .LBB88_2025
; %bb.1686:
	v_bfe_u32 v1, v4, 20, 1
	s_mov_b32 s21, 0x487ffff
	v_add3_u32 v1, v4, v1, s21
	s_mov_b64 s[10:11], exec
	v_lshrrev_b32_e32 v1, 20, v1
	s_andn2_saveexec_b64 s[16:17], s[16:17]
	s_cbranch_execnz .LBB88_2026
.LBB88_1687:
	s_or_b64 exec, exec, s[16:17]
	v_mov_b32_e32 v5, 0
	s_and_saveexec_b64 s[16:17], s[10:11]
.LBB88_1688:
	v_lshrrev_b32_e32 v5, 24, v4
	s_movk_i32 s10, 0x80
	v_and_or_b32 v5, v5, s10, v1
.LBB88_1689:
	s_or_b64 exec, exec, s[16:17]
.LBB88_1690:
	s_or_b64 exec, exec, s[8:9]
	global_store_byte v[2:3], v5, off
.LBB88_1691:
	s_mov_b64 s[8:9], -1
.LBB88_1692:
	s_mov_b64 s[10:11], 0
.LBB88_1693:
	s_and_b64 vcc, exec, s[10:11]
	s_cbranch_vccz .LBB88_1733
; %bb.1694:
	s_cmp_gt_i32 s19, 22
	s_mov_b64 s[6:7], -1
	s_cbranch_scc0 .LBB88_1726
; %bb.1695:
	s_cmp_lt_i32 s19, 24
	s_cbranch_scc1 .LBB88_1715
; %bb.1696:
	s_cmp_gt_i32 s19, 24
	s_cbranch_scc0 .LBB88_1704
; %bb.1697:
	v_and_b32_e32 v1, 0x7fffffff, v4
	s_mov_b32 s6, 0x47800000
	v_cmp_gt_u32_e32 vcc, s6, v1
	v_mov_b32_e32 v5, 0x80
	s_and_saveexec_b64 s[6:7], vcc
	s_cbranch_execz .LBB88_1703
; %bb.1698:
	s_mov_b32 s8, 0x37ffffff
	v_cmp_lt_u32_e32 vcc, s8, v1
	s_mov_b64 s[8:9], 0
                                        ; implicit-def: $vgpr1
	s_and_saveexec_b64 s[10:11], vcc
	s_xor_b64 s[10:11], exec, s[10:11]
	s_cbranch_execz .LBB88_2028
; %bb.1699:
	v_bfe_u32 v1, v4, 21, 1
	s_mov_b32 s16, 0x88fffff
	v_add3_u32 v1, v4, v1, s16
	s_mov_b64 s[8:9], exec
	v_lshrrev_b32_e32 v1, 21, v1
	s_andn2_saveexec_b64 s[10:11], s[10:11]
	s_cbranch_execnz .LBB88_2029
.LBB88_1700:
	s_or_b64 exec, exec, s[10:11]
	v_mov_b32_e32 v5, 0
	s_and_saveexec_b64 s[10:11], s[8:9]
.LBB88_1701:
	v_lshrrev_b32_e32 v5, 24, v4
	s_movk_i32 s8, 0x80
	v_and_or_b32 v5, v5, s8, v1
.LBB88_1702:
	s_or_b64 exec, exec, s[10:11]
.LBB88_1703:
	s_or_b64 exec, exec, s[6:7]
	s_mov_b64 s[6:7], 0
	global_store_byte v[2:3], v5, off
.LBB88_1704:
	s_and_b64 vcc, exec, s[6:7]
	s_cbranch_vccz .LBB88_1714
; %bb.1705:
	v_and_b32_e32 v5, 0x7fffffff, v4
	s_mov_b32 s6, 0x43f00000
	v_cmp_gt_u32_e32 vcc, s6, v5
                                        ; implicit-def: $vgpr1
	s_and_saveexec_b64 s[6:7], vcc
	s_xor_b64 s[6:7], exec, s[6:7]
	s_cbranch_execz .LBB88_1711
; %bb.1706:
	s_mov_b32 s8, 0x3c7fffff
	v_cmp_lt_u32_e32 vcc, s8, v5
                                        ; implicit-def: $vgpr1
	s_and_saveexec_b64 s[8:9], vcc
	s_xor_b64 s[8:9], exec, s[8:9]
; %bb.1707:
	v_bfe_u32 v1, v4, 20, 1
	s_mov_b32 s10, 0x407ffff
	v_add3_u32 v1, v4, v1, s10
	v_lshrrev_b32_e32 v5, 20, v1
	v_and_b32_e32 v1, 0xff00000, v1
	s_mov_b32 s10, 0x7f00000
	v_mov_b32_e32 v8, 0x7e
	v_cmp_ne_u32_e32 vcc, s10, v1
	s_nop 1
	v_cndmask_b32_e32 v1, v8, v5, vcc
; %bb.1708:
	s_andn2_saveexec_b64 s[8:9], s[8:9]
; %bb.1709:
	s_mov_b32 s10, 0x46800000
	v_add_f32_e64 v1, |v4|, s10
; %bb.1710:
	s_or_b64 exec, exec, s[8:9]
                                        ; implicit-def: $vgpr5
.LBB88_1711:
	s_andn2_saveexec_b64 s[6:7], s[6:7]
; %bb.1712:
	s_mov_b32 s8, 0x7f800000
	v_mov_b32_e32 v1, 0x7e
	v_mov_b32_e32 v8, 0x7f
	v_cmp_lt_u32_e32 vcc, s8, v5
	s_nop 1
	v_cndmask_b32_e32 v1, v1, v8, vcc
; %bb.1713:
	s_or_b64 exec, exec, s[6:7]
	v_lshrrev_b32_e32 v5, 24, v4
	s_movk_i32 s6, 0x80
	v_and_or_b32 v1, v5, s6, v1
	global_store_byte v[2:3], v1, off
.LBB88_1714:
	s_mov_b64 s[6:7], 0
.LBB88_1715:
	s_andn2_b64 vcc, exec, s[6:7]
	s_cbranch_vccnz .LBB88_1725
; %bb.1716:
	v_and_b32_e32 v5, 0x7fffffff, v4
	s_mov_b32 s6, 0x47800000
	v_cmp_gt_u32_e32 vcc, s6, v5
                                        ; implicit-def: $vgpr1
	s_and_saveexec_b64 s[6:7], vcc
	s_xor_b64 s[6:7], exec, s[6:7]
	s_cbranch_execz .LBB88_1722
; %bb.1717:
	s_mov_b32 s8, 0x387fffff
	v_cmp_lt_u32_e32 vcc, s8, v5
                                        ; implicit-def: $vgpr1
	s_and_saveexec_b64 s[8:9], vcc
	s_xor_b64 s[8:9], exec, s[8:9]
; %bb.1718:
	v_bfe_u32 v1, v4, 21, 1
	s_mov_b32 s10, 0x80fffff
	v_add3_u32 v1, v4, v1, s10
	v_lshrrev_b32_e32 v1, 21, v1
; %bb.1719:
	s_andn2_saveexec_b64 s[8:9], s[8:9]
; %bb.1720:
	s_mov_b32 s10, 0x43000000
	v_add_f32_e64 v1, |v4|, s10
; %bb.1721:
	s_or_b64 exec, exec, s[8:9]
                                        ; implicit-def: $vgpr5
.LBB88_1722:
	s_andn2_saveexec_b64 s[6:7], s[6:7]
; %bb.1723:
	s_mov_b32 s8, 0x7f800000
	v_mov_b32_e32 v1, 0x7c
	v_mov_b32_e32 v8, 0x7f
	v_cmp_lt_u32_e32 vcc, s8, v5
	s_nop 1
	v_cndmask_b32_e32 v1, v1, v8, vcc
; %bb.1724:
	s_or_b64 exec, exec, s[6:7]
	v_lshrrev_b32_e32 v5, 24, v4
	s_movk_i32 s6, 0x80
	v_and_or_b32 v1, v5, s6, v1
	global_store_byte v[2:3], v1, off
.LBB88_1725:
	s_mov_b64 s[6:7], 0
	s_mov_b64 s[8:9], -1
.LBB88_1726:
	s_andn2_b64 vcc, exec, s[6:7]
	s_mov_b64 s[6:7], 0
	s_cbranch_vccnz .LBB88_1733
; %bb.1727:
	s_cmp_gt_i32 s19, 14
	s_mov_b64 s[10:11], -1
	s_cbranch_scc0 .LBB88_1731
; %bb.1728:
	s_cmp_eq_u32 s19, 15
	s_mov_b64 s[0:1], -1
	s_cbranch_scc0 .LBB88_1730
; %bb.1729:
	v_bfe_u32 v1, v4, 16, 1
	s_movk_i32 s0, 0x7fff
	v_add3_u32 v1, v4, v1, s0
	v_cmp_o_f32_e32 vcc, v4, v4
	v_mov_b32_e32 v5, 0x7fc0
	s_mov_b64 s[0:1], 0
	v_cndmask_b32_sdwa v1, v5, v1, vcc dst_sel:DWORD dst_unused:UNUSED_PAD src0_sel:DWORD src1_sel:WORD_1
	global_store_short v[2:3], v1, off
	s_mov_b64 s[8:9], -1
.LBB88_1730:
	s_mov_b64 s[10:11], 0
.LBB88_1731:
	s_and_b64 vcc, exec, s[10:11]
	s_cbranch_vccz .LBB88_1733
; %bb.1732:
	s_cmp_lg_u32 s19, 11
	s_mov_b64 s[6:7], -1
	s_cselect_b64 s[0:1], -1, 0
.LBB88_1733:
	s_and_b64 vcc, exec, s[0:1]
	s_cbranch_vccnz .LBB88_2027
; %bb.1734:
	s_andn2_b64 vcc, exec, s[6:7]
	s_cbranch_vccnz .LBB88_1736
.LBB88_1735:
	v_cmp_neq_f32_e32 vcc, 0, v4
	s_mov_b64 s[8:9], -1
	s_nop 0
	v_cndmask_b32_e64 v1, 0, 1, vcc
	global_store_byte v[2:3], v1, off
.LBB88_1736:
	s_mov_b64 s[0:1], 0
	s_branch .LBB88_1738
.LBB88_1737:
	s_mov_b64 s[0:1], -1
	s_mov_b64 s[8:9], 0
.LBB88_1738:
	s_and_b64 vcc, exec, s[0:1]
	s_cbranch_vccz .LBB88_1777
; %bb.1739:
	s_and_b32 s6, 0xffff, s20
	s_cmp_lt_i32 s6, 5
	s_mov_b64 s[0:1], -1
	s_cbranch_scc1 .LBB88_1760
; %bb.1740:
	s_cmp_lt_i32 s6, 8
	s_cbranch_scc1 .LBB88_1750
; %bb.1741:
	s_cmp_lt_i32 s6, 9
	s_cbranch_scc1 .LBB88_1747
; %bb.1742:
	s_cmp_gt_i32 s6, 9
	s_cbranch_scc0 .LBB88_1744
; %bb.1743:
	v_mov_b32_e32 v10, 0
	v_cvt_f64_f32_e32 v[8:9], v4
	v_mov_b32_e32 v11, v10
	global_store_dwordx4 v[2:3], v[8:11], off
	s_mov_b64 s[0:1], 0
.LBB88_1744:
	s_andn2_b64 vcc, exec, s[0:1]
	s_cbranch_vccnz .LBB88_1746
; %bb.1745:
	v_mov_b32_e32 v5, 0
	global_store_dwordx2 v[2:3], v[4:5], off
.LBB88_1746:
	s_mov_b64 s[0:1], 0
.LBB88_1747:
	s_andn2_b64 vcc, exec, s[0:1]
	s_cbranch_vccnz .LBB88_1749
; %bb.1748:
	v_cvt_f16_f32_e32 v1, v4
	global_store_dword v[2:3], v1, off
.LBB88_1749:
	s_mov_b64 s[0:1], 0
.LBB88_1750:
	s_andn2_b64 vcc, exec, s[0:1]
	s_cbranch_vccnz .LBB88_1759
; %bb.1751:
	s_cmp_lt_i32 s6, 6
	s_mov_b64 s[0:1], -1
	s_cbranch_scc1 .LBB88_1757
; %bb.1752:
	s_cmp_gt_i32 s6, 6
	s_cbranch_scc0 .LBB88_1754
; %bb.1753:
	v_cvt_f64_f32_e32 v[8:9], v4
	global_store_dwordx2 v[2:3], v[8:9], off
	s_mov_b64 s[0:1], 0
.LBB88_1754:
	s_andn2_b64 vcc, exec, s[0:1]
	s_cbranch_vccnz .LBB88_1756
; %bb.1755:
	global_store_dword v[2:3], v4, off
.LBB88_1756:
	s_mov_b64 s[0:1], 0
.LBB88_1757:
	s_andn2_b64 vcc, exec, s[0:1]
	s_cbranch_vccnz .LBB88_1759
; %bb.1758:
	v_cvt_f16_f32_e32 v1, v4
	global_store_short v[2:3], v1, off
.LBB88_1759:
	s_mov_b64 s[0:1], 0
.LBB88_1760:
	s_andn2_b64 vcc, exec, s[0:1]
	s_cbranch_vccnz .LBB88_1776
; %bb.1761:
	s_cmp_lt_i32 s6, 2
	s_mov_b64 s[0:1], -1
	s_cbranch_scc1 .LBB88_1771
; %bb.1762:
	s_cmp_lt_i32 s6, 3
	s_cbranch_scc1 .LBB88_1768
; %bb.1763:
	s_cmp_gt_i32 s6, 3
	s_cbranch_scc0 .LBB88_1765
; %bb.1764:
	v_trunc_f32_e32 v1, v4
	s_mov_b32 s0, 0x2f800000
	v_mul_f32_e64 v5, |v1|, s0
	v_floor_f32_e32 v5, v5
	s_mov_b32 s0, 0xcf800000
	v_cvt_u32_f32_e32 v8, v5
	v_fma_f32 v5, v5, s0, |v1|
	v_cvt_u32_f32_e32 v5, v5
	v_ashrrev_i32_e32 v1, 31, v1
	v_xor_b32_e32 v9, v8, v1
	s_mov_b64 s[0:1], 0
	v_xor_b32_e32 v5, v5, v1
	v_sub_co_u32_e32 v8, vcc, v5, v1
	s_nop 1
	v_subb_co_u32_e32 v9, vcc, v9, v1, vcc
	global_store_dwordx2 v[2:3], v[8:9], off
.LBB88_1765:
	s_andn2_b64 vcc, exec, s[0:1]
	s_cbranch_vccnz .LBB88_1767
; %bb.1766:
	v_cvt_i32_f32_e32 v1, v4
	global_store_dword v[2:3], v1, off
.LBB88_1767:
	s_mov_b64 s[0:1], 0
.LBB88_1768:
	s_andn2_b64 vcc, exec, s[0:1]
	s_cbranch_vccnz .LBB88_1770
; %bb.1769:
	v_cvt_i32_f32_e32 v1, v4
	global_store_short v[2:3], v1, off
.LBB88_1770:
	s_mov_b64 s[0:1], 0
.LBB88_1771:
	s_andn2_b64 vcc, exec, s[0:1]
	s_cbranch_vccnz .LBB88_1776
; %bb.1772:
	s_cmp_gt_i32 s6, 0
	s_mov_b64 s[0:1], -1
	s_cbranch_scc0 .LBB88_1774
; %bb.1773:
	v_cvt_i32_f32_e32 v1, v4
	s_mov_b64 s[0:1], 0
	global_store_byte v[2:3], v1, off
.LBB88_1774:
	s_andn2_b64 vcc, exec, s[0:1]
	s_cbranch_vccnz .LBB88_1776
; %bb.1775:
	v_trunc_f32_e32 v1, v4
	s_mov_b32 s0, 0x2f800000
	v_mul_f32_e64 v4, |v1|, s0
	v_floor_f32_e32 v4, v4
	s_mov_b32 s0, 0xcf800000
	v_fma_f32 v4, v4, s0, |v1|
	v_cvt_u32_f32_e32 v4, v4
	v_ashrrev_i32_e32 v1, 31, v1
	v_xor_b32_e32 v4, v4, v1
	v_sub_u32_e32 v1, v4, v1
	global_store_byte v[2:3], v1, off
.LBB88_1776:
	s_mov_b64 s[8:9], -1
.LBB88_1777:
	s_andn2_b64 vcc, exec, s[8:9]
	s_cbranch_vccnz .LBB88_1973
; %bb.1778:
	v_mul_f32_e32 v1, 0x3fb8aa3b, v7
	s_mov_b32 s0, 0x3fb8aa3b
	v_rndne_f32_e32 v2, v1
	v_sub_f32_e32 v3, v1, v2
	v_fma_f32 v1, v7, s0, -v1
	v_fmamk_f32 v1, v7, 0x32a5705f, v1
	v_add_f32_e32 v1, v3, v1
	v_exp_f32_e32 v1, v1
	v_cvt_i32_f32_e32 v2, v2
	s_mov_b32 s0, 0xc2ce8ed0
	v_cmp_ngt_f32_e32 vcc, s0, v7
	s_mov_b32 s0, 0x42b17218
	v_ldexp_f32 v1, v1, v2
	v_cndmask_b32_e32 v1, 0, v1, vcc
	v_mov_b32_e32 v2, 0x7f800000
	v_cmp_nlt_f32_e32 vcc, s0, v7
	v_add_u32_e32 v0, s18, v0
	s_cmp_lt_i32 s20, 11
	v_cndmask_b32_e32 v4, v2, v1, vcc
	v_ashrrev_i32_e32 v1, 31, v0
	v_lshl_add_u64 v[2:3], s[4:5], 0, v[0:1]
	s_cbranch_scc1 .LBB88_1856
; %bb.1779:
	s_and_b32 s19, 0xffff, s20
	s_mov_b64 s[10:11], -1
	s_mov_b64 s[6:7], 0
	s_cmp_gt_i32 s19, 25
	s_mov_b64 s[8:9], 0
	s_mov_b64 s[0:1], 0
	s_cbranch_scc0 .LBB88_1812
; %bb.1780:
	s_cmp_gt_i32 s19, 28
	s_cbranch_scc0 .LBB88_1795
; %bb.1781:
	s_cmp_gt_i32 s19, 43
	;; [unrolled: 3-line block ×3, first 2 shown]
	s_cbranch_scc0 .LBB88_1785
; %bb.1783:
	s_mov_b64 s[0:1], -1
	s_mov_b64 s[10:11], 0
	s_cmp_eq_u32 s19, 46
	s_cbranch_scc0 .LBB88_1785
; %bb.1784:
	v_bfe_u32 v1, v4, 16, 1
	s_movk_i32 s0, 0x7fff
	v_add3_u32 v1, v4, v1, s0
	v_cmp_o_f32_e32 vcc, v4, v4
	v_mov_b32_e32 v5, 0x7fc0
	s_mov_b64 s[0:1], 0
	v_cndmask_b32_sdwa v1, v5, v1, vcc dst_sel:DWORD dst_unused:UNUSED_PAD src0_sel:DWORD src1_sel:WORD_1
	global_store_dword v[2:3], v1, off
	s_mov_b64 s[8:9], -1
.LBB88_1785:
	s_and_b64 vcc, exec, s[10:11]
	s_cbranch_vccz .LBB88_1790
; %bb.1786:
	s_cmp_eq_u32 s19, 44
	s_mov_b64 s[0:1], -1
	s_cbranch_scc0 .LBB88_1790
; %bb.1787:
	v_bfe_u32 v1, v4, 23, 8
	s_movk_i32 s0, 0xff
	v_cmp_ne_u32_e32 vcc, s0, v1
	v_mov_b32_e32 v5, 0xff
	s_and_saveexec_b64 s[8:9], vcc
; %bb.1788:
	s_mov_b32 s0, 0x3fffff
	v_and_b32_e32 v7, 0x400000, v4
	v_and_or_b32 v1, v4, s0, v1
	v_cmp_ne_u32_e32 vcc, 0, v7
	v_cmp_ne_u32_e64 s[0:1], 0, v1
	s_and_b64 s[0:1], vcc, s[0:1]
	v_lshrrev_b32_e32 v5, 23, v4
	v_cndmask_b32_e64 v1, 0, 1, s[0:1]
	v_add_u32_e32 v5, v5, v1
; %bb.1789:
	s_or_b64 exec, exec, s[8:9]
	s_mov_b64 s[0:1], 0
	s_mov_b64 s[8:9], -1
	global_store_byte v[2:3], v5, off
.LBB88_1790:
	s_mov_b64 s[10:11], 0
.LBB88_1791:
	s_and_b64 vcc, exec, s[10:11]
	s_cbranch_vccz .LBB88_1794
; %bb.1792:
	s_cmp_eq_u32 s19, 29
	s_mov_b64 s[0:1], -1
	s_cbranch_scc0 .LBB88_1794
; %bb.1793:
	v_trunc_f32_e32 v1, v4
	v_mul_f32_e32 v5, 0x2f800000, v1
	v_floor_f32_e32 v5, v5
	v_fmamk_f32 v1, v5, 0xcf800000, v1
	v_cvt_u32_f32_e32 v9, v5
	v_cvt_u32_f32_e32 v8, v1
	s_mov_b64 s[0:1], 0
	s_mov_b64 s[8:9], -1
	global_store_dwordx2 v[2:3], v[8:9], off
.LBB88_1794:
	s_mov_b64 s[10:11], 0
.LBB88_1795:
	s_and_b64 vcc, exec, s[10:11]
	s_cbranch_vccz .LBB88_1811
; %bb.1796:
	s_cmp_lt_i32 s19, 27
	s_mov_b64 s[8:9], -1
	s_cbranch_scc1 .LBB88_1802
; %bb.1797:
	v_cvt_u32_f32_e32 v1, v4
	s_cmp_gt_i32 s19, 27
	s_cbranch_scc0 .LBB88_1799
; %bb.1798:
	s_mov_b64 s[8:9], 0
	global_store_dword v[2:3], v1, off
.LBB88_1799:
	s_andn2_b64 vcc, exec, s[8:9]
	s_cbranch_vccnz .LBB88_1801
; %bb.1800:
	global_store_short v[2:3], v1, off
.LBB88_1801:
	s_mov_b64 s[8:9], 0
.LBB88_1802:
	s_andn2_b64 vcc, exec, s[8:9]
	s_cbranch_vccnz .LBB88_1810
; %bb.1803:
	v_and_b32_e32 v1, 0x7fffffff, v4
	s_mov_b32 s8, 0x43800000
	v_cmp_gt_u32_e32 vcc, s8, v1
	v_mov_b32_e32 v5, 0x80
	s_and_saveexec_b64 s[8:9], vcc
	s_cbranch_execz .LBB88_1809
; %bb.1804:
	s_mov_b32 s10, 0x3bffffff
	v_cmp_lt_u32_e32 vcc, s10, v1
	s_mov_b64 s[10:11], 0
                                        ; implicit-def: $vgpr1
	s_and_saveexec_b64 s[16:17], vcc
	s_xor_b64 s[16:17], exec, s[16:17]
	s_cbranch_execz .LBB88_2030
; %bb.1805:
	v_bfe_u32 v1, v4, 20, 1
	s_mov_b32 s21, 0x487ffff
	v_add3_u32 v1, v4, v1, s21
	s_mov_b64 s[10:11], exec
	v_lshrrev_b32_e32 v1, 20, v1
	s_andn2_saveexec_b64 s[16:17], s[16:17]
	s_cbranch_execnz .LBB88_2031
.LBB88_1806:
	s_or_b64 exec, exec, s[16:17]
	v_mov_b32_e32 v5, 0
	s_and_saveexec_b64 s[16:17], s[10:11]
.LBB88_1807:
	v_lshrrev_b32_e32 v5, 24, v4
	s_movk_i32 s10, 0x80
	v_and_or_b32 v5, v5, s10, v1
.LBB88_1808:
	s_or_b64 exec, exec, s[16:17]
.LBB88_1809:
	s_or_b64 exec, exec, s[8:9]
	global_store_byte v[2:3], v5, off
.LBB88_1810:
	s_mov_b64 s[8:9], -1
.LBB88_1811:
	s_mov_b64 s[10:11], 0
.LBB88_1812:
	s_and_b64 vcc, exec, s[10:11]
	s_cbranch_vccz .LBB88_1852
; %bb.1813:
	s_cmp_gt_i32 s19, 22
	s_mov_b64 s[6:7], -1
	s_cbranch_scc0 .LBB88_1845
; %bb.1814:
	s_cmp_lt_i32 s19, 24
	s_cbranch_scc1 .LBB88_1834
; %bb.1815:
	s_cmp_gt_i32 s19, 24
	s_cbranch_scc0 .LBB88_1823
; %bb.1816:
	v_and_b32_e32 v1, 0x7fffffff, v4
	s_mov_b32 s6, 0x47800000
	v_cmp_gt_u32_e32 vcc, s6, v1
	v_mov_b32_e32 v5, 0x80
	s_and_saveexec_b64 s[6:7], vcc
	s_cbranch_execz .LBB88_1822
; %bb.1817:
	s_mov_b32 s8, 0x37ffffff
	v_cmp_lt_u32_e32 vcc, s8, v1
	s_mov_b64 s[8:9], 0
                                        ; implicit-def: $vgpr1
	s_and_saveexec_b64 s[10:11], vcc
	s_xor_b64 s[10:11], exec, s[10:11]
	s_cbranch_execz .LBB88_2033
; %bb.1818:
	v_bfe_u32 v1, v4, 21, 1
	s_mov_b32 s16, 0x88fffff
	v_add3_u32 v1, v4, v1, s16
	s_mov_b64 s[8:9], exec
	v_lshrrev_b32_e32 v1, 21, v1
	s_andn2_saveexec_b64 s[10:11], s[10:11]
	s_cbranch_execnz .LBB88_2034
.LBB88_1819:
	s_or_b64 exec, exec, s[10:11]
	v_mov_b32_e32 v5, 0
	s_and_saveexec_b64 s[10:11], s[8:9]
.LBB88_1820:
	v_lshrrev_b32_e32 v5, 24, v4
	s_movk_i32 s8, 0x80
	v_and_or_b32 v5, v5, s8, v1
.LBB88_1821:
	s_or_b64 exec, exec, s[10:11]
.LBB88_1822:
	s_or_b64 exec, exec, s[6:7]
	s_mov_b64 s[6:7], 0
	global_store_byte v[2:3], v5, off
.LBB88_1823:
	s_and_b64 vcc, exec, s[6:7]
	s_cbranch_vccz .LBB88_1833
; %bb.1824:
	v_and_b32_e32 v5, 0x7fffffff, v4
	s_mov_b32 s6, 0x43f00000
	v_cmp_gt_u32_e32 vcc, s6, v5
                                        ; implicit-def: $vgpr1
	s_and_saveexec_b64 s[6:7], vcc
	s_xor_b64 s[6:7], exec, s[6:7]
	s_cbranch_execz .LBB88_1830
; %bb.1825:
	s_mov_b32 s8, 0x3c7fffff
	v_cmp_lt_u32_e32 vcc, s8, v5
                                        ; implicit-def: $vgpr1
	s_and_saveexec_b64 s[8:9], vcc
	s_xor_b64 s[8:9], exec, s[8:9]
; %bb.1826:
	v_bfe_u32 v1, v4, 20, 1
	s_mov_b32 s10, 0x407ffff
	v_add3_u32 v1, v4, v1, s10
	v_lshrrev_b32_e32 v5, 20, v1
	v_and_b32_e32 v1, 0xff00000, v1
	s_mov_b32 s10, 0x7f00000
	v_mov_b32_e32 v7, 0x7e
	v_cmp_ne_u32_e32 vcc, s10, v1
	s_nop 1
	v_cndmask_b32_e32 v1, v7, v5, vcc
; %bb.1827:
	s_andn2_saveexec_b64 s[8:9], s[8:9]
; %bb.1828:
	s_mov_b32 s10, 0x46800000
	v_add_f32_e64 v1, |v4|, s10
; %bb.1829:
	s_or_b64 exec, exec, s[8:9]
                                        ; implicit-def: $vgpr5
.LBB88_1830:
	s_andn2_saveexec_b64 s[6:7], s[6:7]
; %bb.1831:
	s_mov_b32 s8, 0x7f800000
	v_mov_b32_e32 v1, 0x7e
	v_mov_b32_e32 v7, 0x7f
	v_cmp_lt_u32_e32 vcc, s8, v5
	s_nop 1
	v_cndmask_b32_e32 v1, v1, v7, vcc
; %bb.1832:
	s_or_b64 exec, exec, s[6:7]
	v_lshrrev_b32_e32 v5, 24, v4
	s_movk_i32 s6, 0x80
	v_and_or_b32 v1, v5, s6, v1
	global_store_byte v[2:3], v1, off
.LBB88_1833:
	s_mov_b64 s[6:7], 0
.LBB88_1834:
	s_andn2_b64 vcc, exec, s[6:7]
	s_cbranch_vccnz .LBB88_1844
; %bb.1835:
	v_and_b32_e32 v5, 0x7fffffff, v4
	s_mov_b32 s6, 0x47800000
	v_cmp_gt_u32_e32 vcc, s6, v5
                                        ; implicit-def: $vgpr1
	s_and_saveexec_b64 s[6:7], vcc
	s_xor_b64 s[6:7], exec, s[6:7]
	s_cbranch_execz .LBB88_1841
; %bb.1836:
	s_mov_b32 s8, 0x387fffff
	v_cmp_lt_u32_e32 vcc, s8, v5
                                        ; implicit-def: $vgpr1
	s_and_saveexec_b64 s[8:9], vcc
	s_xor_b64 s[8:9], exec, s[8:9]
; %bb.1837:
	v_bfe_u32 v1, v4, 21, 1
	s_mov_b32 s10, 0x80fffff
	v_add3_u32 v1, v4, v1, s10
	v_lshrrev_b32_e32 v1, 21, v1
; %bb.1838:
	s_andn2_saveexec_b64 s[8:9], s[8:9]
; %bb.1839:
	s_mov_b32 s10, 0x43000000
	v_add_f32_e64 v1, |v4|, s10
; %bb.1840:
	s_or_b64 exec, exec, s[8:9]
                                        ; implicit-def: $vgpr5
.LBB88_1841:
	s_andn2_saveexec_b64 s[6:7], s[6:7]
; %bb.1842:
	s_mov_b32 s8, 0x7f800000
	v_mov_b32_e32 v1, 0x7c
	v_mov_b32_e32 v7, 0x7f
	v_cmp_lt_u32_e32 vcc, s8, v5
	s_nop 1
	v_cndmask_b32_e32 v1, v1, v7, vcc
; %bb.1843:
	s_or_b64 exec, exec, s[6:7]
	v_lshrrev_b32_e32 v5, 24, v4
	s_movk_i32 s6, 0x80
	v_and_or_b32 v1, v5, s6, v1
	global_store_byte v[2:3], v1, off
.LBB88_1844:
	s_mov_b64 s[6:7], 0
	s_mov_b64 s[8:9], -1
.LBB88_1845:
	s_andn2_b64 vcc, exec, s[6:7]
	s_mov_b64 s[6:7], 0
	s_cbranch_vccnz .LBB88_1852
; %bb.1846:
	s_cmp_gt_i32 s19, 14
	s_mov_b64 s[10:11], -1
	s_cbranch_scc0 .LBB88_1850
; %bb.1847:
	s_cmp_eq_u32 s19, 15
	s_mov_b64 s[0:1], -1
	s_cbranch_scc0 .LBB88_1849
; %bb.1848:
	v_bfe_u32 v1, v4, 16, 1
	s_movk_i32 s0, 0x7fff
	v_add3_u32 v1, v4, v1, s0
	v_cmp_o_f32_e32 vcc, v4, v4
	v_mov_b32_e32 v5, 0x7fc0
	s_mov_b64 s[0:1], 0
	v_cndmask_b32_sdwa v1, v5, v1, vcc dst_sel:DWORD dst_unused:UNUSED_PAD src0_sel:DWORD src1_sel:WORD_1
	global_store_short v[2:3], v1, off
	s_mov_b64 s[8:9], -1
.LBB88_1849:
	s_mov_b64 s[10:11], 0
.LBB88_1850:
	s_and_b64 vcc, exec, s[10:11]
	s_cbranch_vccz .LBB88_1852
; %bb.1851:
	s_cmp_lg_u32 s19, 11
	s_mov_b64 s[6:7], -1
	s_cselect_b64 s[0:1], -1, 0
.LBB88_1852:
	s_and_b64 vcc, exec, s[0:1]
	s_cbranch_vccnz .LBB88_2032
; %bb.1853:
	s_andn2_b64 vcc, exec, s[6:7]
	s_cbranch_vccnz .LBB88_1855
.LBB88_1854:
	v_cmp_neq_f32_e32 vcc, 0, v4
	s_mov_b64 s[8:9], -1
	s_nop 0
	v_cndmask_b32_e64 v1, 0, 1, vcc
	global_store_byte v[2:3], v1, off
.LBB88_1855:
	s_mov_b64 s[0:1], 0
	s_branch .LBB88_1857
.LBB88_1856:
	s_mov_b64 s[0:1], -1
	s_mov_b64 s[8:9], 0
.LBB88_1857:
	s_and_b64 vcc, exec, s[0:1]
	s_cbranch_vccz .LBB88_1896
; %bb.1858:
	s_and_b32 s6, 0xffff, s20
	s_cmp_lt_i32 s6, 5
	s_mov_b64 s[0:1], -1
	s_cbranch_scc1 .LBB88_1879
; %bb.1859:
	s_cmp_lt_i32 s6, 8
	s_cbranch_scc1 .LBB88_1869
; %bb.1860:
	s_cmp_lt_i32 s6, 9
	s_cbranch_scc1 .LBB88_1866
; %bb.1861:
	s_cmp_gt_i32 s6, 9
	s_cbranch_scc0 .LBB88_1863
; %bb.1862:
	v_mov_b32_e32 v10, 0
	v_cvt_f64_f32_e32 v[8:9], v4
	v_mov_b32_e32 v11, v10
	global_store_dwordx4 v[2:3], v[8:11], off
	s_mov_b64 s[0:1], 0
.LBB88_1863:
	s_andn2_b64 vcc, exec, s[0:1]
	s_cbranch_vccnz .LBB88_1865
; %bb.1864:
	v_mov_b32_e32 v5, 0
	global_store_dwordx2 v[2:3], v[4:5], off
.LBB88_1865:
	s_mov_b64 s[0:1], 0
.LBB88_1866:
	s_andn2_b64 vcc, exec, s[0:1]
	s_cbranch_vccnz .LBB88_1868
; %bb.1867:
	v_cvt_f16_f32_e32 v1, v4
	global_store_dword v[2:3], v1, off
.LBB88_1868:
	s_mov_b64 s[0:1], 0
.LBB88_1869:
	s_andn2_b64 vcc, exec, s[0:1]
	s_cbranch_vccnz .LBB88_1878
; %bb.1870:
	s_cmp_lt_i32 s6, 6
	s_mov_b64 s[0:1], -1
	s_cbranch_scc1 .LBB88_1876
; %bb.1871:
	s_cmp_gt_i32 s6, 6
	s_cbranch_scc0 .LBB88_1873
; %bb.1872:
	v_cvt_f64_f32_e32 v[8:9], v4
	global_store_dwordx2 v[2:3], v[8:9], off
	s_mov_b64 s[0:1], 0
.LBB88_1873:
	s_andn2_b64 vcc, exec, s[0:1]
	s_cbranch_vccnz .LBB88_1875
; %bb.1874:
	global_store_dword v[2:3], v4, off
.LBB88_1875:
	s_mov_b64 s[0:1], 0
.LBB88_1876:
	s_andn2_b64 vcc, exec, s[0:1]
	s_cbranch_vccnz .LBB88_1878
; %bb.1877:
	v_cvt_f16_f32_e32 v1, v4
	global_store_short v[2:3], v1, off
.LBB88_1878:
	s_mov_b64 s[0:1], 0
.LBB88_1879:
	s_andn2_b64 vcc, exec, s[0:1]
	s_cbranch_vccnz .LBB88_1895
; %bb.1880:
	s_cmp_lt_i32 s6, 2
	s_mov_b64 s[0:1], -1
	s_cbranch_scc1 .LBB88_1890
; %bb.1881:
	s_cmp_lt_i32 s6, 3
	s_cbranch_scc1 .LBB88_1887
; %bb.1882:
	s_cmp_gt_i32 s6, 3
	s_cbranch_scc0 .LBB88_1884
; %bb.1883:
	v_trunc_f32_e32 v1, v4
	s_mov_b32 s0, 0x2f800000
	v_mul_f32_e64 v5, |v1|, s0
	v_floor_f32_e32 v5, v5
	s_mov_b32 s0, 0xcf800000
	v_cvt_u32_f32_e32 v7, v5
	v_fma_f32 v5, v5, s0, |v1|
	v_cvt_u32_f32_e32 v5, v5
	v_ashrrev_i32_e32 v1, 31, v1
	v_xor_b32_e32 v7, v7, v1
	s_mov_b64 s[0:1], 0
	v_xor_b32_e32 v5, v5, v1
	v_sub_co_u32_e32 v8, vcc, v5, v1
	s_nop 1
	v_subb_co_u32_e32 v9, vcc, v7, v1, vcc
	global_store_dwordx2 v[2:3], v[8:9], off
.LBB88_1884:
	s_andn2_b64 vcc, exec, s[0:1]
	s_cbranch_vccnz .LBB88_1886
; %bb.1885:
	v_cvt_i32_f32_e32 v1, v4
	global_store_dword v[2:3], v1, off
.LBB88_1886:
	s_mov_b64 s[0:1], 0
.LBB88_1887:
	s_andn2_b64 vcc, exec, s[0:1]
	s_cbranch_vccnz .LBB88_1889
; %bb.1888:
	v_cvt_i32_f32_e32 v1, v4
	global_store_short v[2:3], v1, off
.LBB88_1889:
	s_mov_b64 s[0:1], 0
.LBB88_1890:
	s_andn2_b64 vcc, exec, s[0:1]
	s_cbranch_vccnz .LBB88_1895
; %bb.1891:
	s_cmp_gt_i32 s6, 0
	s_mov_b64 s[0:1], -1
	s_cbranch_scc0 .LBB88_1893
; %bb.1892:
	v_cvt_i32_f32_e32 v1, v4
	s_mov_b64 s[0:1], 0
	global_store_byte v[2:3], v1, off
.LBB88_1893:
	s_andn2_b64 vcc, exec, s[0:1]
	s_cbranch_vccnz .LBB88_1895
; %bb.1894:
	v_trunc_f32_e32 v1, v4
	s_mov_b32 s0, 0x2f800000
	v_mul_f32_e64 v4, |v1|, s0
	v_floor_f32_e32 v4, v4
	s_mov_b32 s0, 0xcf800000
	v_fma_f32 v4, v4, s0, |v1|
	v_cvt_u32_f32_e32 v4, v4
	v_ashrrev_i32_e32 v1, 31, v1
	v_xor_b32_e32 v4, v4, v1
	v_sub_u32_e32 v1, v4, v1
	global_store_byte v[2:3], v1, off
.LBB88_1895:
	s_mov_b64 s[8:9], -1
.LBB88_1896:
	s_andn2_b64 vcc, exec, s[8:9]
	s_cbranch_vccnz .LBB88_1973
; %bb.1897:
	v_mul_f32_e32 v1, 0x3fb8aa3b, v6
	s_mov_b32 s0, 0x3fb8aa3b
	v_rndne_f32_e32 v2, v1
	v_sub_f32_e32 v3, v1, v2
	v_fma_f32 v1, v6, s0, -v1
	v_fmamk_f32 v1, v6, 0x32a5705f, v1
	v_add_f32_e32 v1, v3, v1
	v_exp_f32_e32 v1, v1
	v_cvt_i32_f32_e32 v2, v2
	s_mov_b32 s0, 0xc2ce8ed0
	v_cmp_ngt_f32_e32 vcc, s0, v6
	s_mov_b32 s0, 0x42b17218
	v_ldexp_f32 v1, v1, v2
	v_cndmask_b32_e32 v1, 0, v1, vcc
	v_mov_b32_e32 v2, 0x7f800000
	v_cmp_nlt_f32_e32 vcc, s0, v6
	v_add_u32_e32 v0, s18, v0
	s_cmp_lt_i32 s20, 11
	v_cndmask_b32_e32 v2, v2, v1, vcc
	v_ashrrev_i32_e32 v1, 31, v0
	v_lshl_add_u64 v[0:1], s[4:5], 0, v[0:1]
	s_cbranch_scc1 .LBB88_2018
; %bb.1898:
	s_and_b32 s16, 0xffff, s20
	s_mov_b64 s[6:7], -1
	s_mov_b64 s[4:5], 0
	s_cmp_gt_i32 s16, 25
	s_mov_b64 s[0:1], 0
	s_cbranch_scc0 .LBB88_1931
; %bb.1899:
	s_cmp_gt_i32 s16, 28
	s_cbranch_scc0 .LBB88_1915
; %bb.1900:
	s_cmp_gt_i32 s16, 43
	;; [unrolled: 3-line block ×3, first 2 shown]
	s_cbranch_scc0 .LBB88_1905
; %bb.1902:
	s_cmp_eq_u32 s16, 46
	s_mov_b64 s[0:1], -1
	s_cbranch_scc0 .LBB88_1904
; %bb.1903:
	v_bfe_u32 v3, v2, 16, 1
	s_movk_i32 s0, 0x7fff
	v_add3_u32 v3, v2, v3, s0
	v_cmp_o_f32_e32 vcc, v2, v2
	v_mov_b32_e32 v4, 0x7fc0
	s_mov_b64 s[0:1], 0
	v_cndmask_b32_sdwa v3, v4, v3, vcc dst_sel:DWORD dst_unused:UNUSED_PAD src0_sel:DWORD src1_sel:WORD_1
	global_store_dword v[0:1], v3, off
.LBB88_1904:
	s_mov_b64 s[6:7], 0
.LBB88_1905:
	s_and_b64 vcc, exec, s[6:7]
	s_cbranch_vccz .LBB88_1910
; %bb.1906:
	s_cmp_eq_u32 s16, 44
	s_mov_b64 s[0:1], -1
	s_cbranch_scc0 .LBB88_1910
; %bb.1907:
	v_bfe_u32 v3, v2, 23, 8
	s_movk_i32 s0, 0xff
	v_cmp_ne_u32_e32 vcc, s0, v3
	v_mov_b32_e32 v4, 0xff
	s_and_saveexec_b64 s[6:7], vcc
; %bb.1908:
	s_mov_b32 s0, 0x3fffff
	v_and_b32_e32 v5, 0x400000, v2
	v_and_or_b32 v3, v2, s0, v3
	v_cmp_ne_u32_e32 vcc, 0, v5
	v_cmp_ne_u32_e64 s[0:1], 0, v3
	s_and_b64 s[0:1], vcc, s[0:1]
	v_lshrrev_b32_e32 v4, 23, v2
	v_cndmask_b32_e64 v3, 0, 1, s[0:1]
	v_add_u32_e32 v4, v4, v3
; %bb.1909:
	s_or_b64 exec, exec, s[6:7]
	s_mov_b64 s[0:1], 0
	global_store_byte v[0:1], v4, off
.LBB88_1910:
	s_mov_b64 s[6:7], 0
.LBB88_1911:
	s_and_b64 vcc, exec, s[6:7]
	s_cbranch_vccz .LBB88_1914
; %bb.1912:
	s_cmp_eq_u32 s16, 29
	s_mov_b64 s[0:1], -1
	s_cbranch_scc0 .LBB88_1914
; %bb.1913:
	v_trunc_f32_e32 v3, v2
	v_mul_f32_e32 v4, 0x2f800000, v3
	v_floor_f32_e32 v4, v4
	v_fmamk_f32 v3, v4, 0xcf800000, v3
	v_cvt_u32_f32_e32 v5, v4
	v_cvt_u32_f32_e32 v4, v3
	s_mov_b64 s[0:1], 0
	global_store_dwordx2 v[0:1], v[4:5], off
.LBB88_1914:
	s_mov_b64 s[6:7], 0
.LBB88_1915:
	s_and_b64 vcc, exec, s[6:7]
	s_cbranch_vccz .LBB88_1930
; %bb.1916:
	s_cmp_lt_i32 s16, 27
	s_mov_b64 s[6:7], -1
	s_cbranch_scc1 .LBB88_1922
; %bb.1917:
	v_cvt_u32_f32_e32 v3, v2
	s_cmp_gt_i32 s16, 27
	s_cbranch_scc0 .LBB88_1919
; %bb.1918:
	global_store_dword v[0:1], v3, off
	s_mov_b64 s[6:7], 0
.LBB88_1919:
	s_andn2_b64 vcc, exec, s[6:7]
	s_cbranch_vccnz .LBB88_1921
; %bb.1920:
	global_store_short v[0:1], v3, off
.LBB88_1921:
	s_mov_b64 s[6:7], 0
.LBB88_1922:
	s_andn2_b64 vcc, exec, s[6:7]
	s_cbranch_vccnz .LBB88_1930
; %bb.1923:
	v_and_b32_e32 v3, 0x7fffffff, v2
	s_mov_b32 s6, 0x43800000
	v_cmp_gt_u32_e32 vcc, s6, v3
	v_mov_b32_e32 v4, 0x80
	s_and_saveexec_b64 s[6:7], vcc
	s_cbranch_execz .LBB88_1929
; %bb.1924:
	s_mov_b32 s8, 0x3bffffff
	v_cmp_lt_u32_e32 vcc, s8, v3
	s_mov_b64 s[8:9], 0
                                        ; implicit-def: $vgpr3
	s_and_saveexec_b64 s[10:11], vcc
	s_xor_b64 s[10:11], exec, s[10:11]
	s_cbranch_execz .LBB88_2035
; %bb.1925:
	v_bfe_u32 v3, v2, 20, 1
	s_mov_b32 s17, 0x487ffff
	v_add3_u32 v3, v2, v3, s17
	s_mov_b64 s[8:9], exec
	v_lshrrev_b32_e32 v3, 20, v3
	s_andn2_saveexec_b64 s[10:11], s[10:11]
	s_cbranch_execnz .LBB88_2036
.LBB88_1926:
	s_or_b64 exec, exec, s[10:11]
	v_mov_b32_e32 v4, 0
	s_and_saveexec_b64 s[10:11], s[8:9]
.LBB88_1927:
	v_lshrrev_b32_e32 v4, 24, v2
	s_movk_i32 s8, 0x80
	v_and_or_b32 v4, v4, s8, v3
.LBB88_1928:
	s_or_b64 exec, exec, s[10:11]
.LBB88_1929:
	s_or_b64 exec, exec, s[6:7]
	global_store_byte v[0:1], v4, off
.LBB88_1930:
	s_mov_b64 s[6:7], 0
.LBB88_1931:
	s_and_b64 vcc, exec, s[6:7]
	s_cbranch_vccz .LBB88_1971
; %bb.1932:
	s_cmp_gt_i32 s16, 22
	s_mov_b64 s[4:5], -1
	s_cbranch_scc0 .LBB88_1964
; %bb.1933:
	s_cmp_lt_i32 s16, 24
	s_cbranch_scc1 .LBB88_1953
; %bb.1934:
	s_cmp_gt_i32 s16, 24
	s_cbranch_scc0 .LBB88_1942
; %bb.1935:
	v_and_b32_e32 v3, 0x7fffffff, v2
	s_mov_b32 s4, 0x47800000
	v_cmp_gt_u32_e32 vcc, s4, v3
	v_mov_b32_e32 v4, 0x80
	s_and_saveexec_b64 s[4:5], vcc
	s_cbranch_execz .LBB88_1941
; %bb.1936:
	s_mov_b32 s6, 0x37ffffff
	v_cmp_lt_u32_e32 vcc, s6, v3
	s_mov_b64 s[6:7], 0
                                        ; implicit-def: $vgpr3
	s_and_saveexec_b64 s[8:9], vcc
	s_xor_b64 s[8:9], exec, s[8:9]
	s_cbranch_execz .LBB88_2038
; %bb.1937:
	v_bfe_u32 v3, v2, 21, 1
	s_mov_b32 s10, 0x88fffff
	v_add3_u32 v3, v2, v3, s10
	s_mov_b64 s[6:7], exec
	v_lshrrev_b32_e32 v3, 21, v3
	s_andn2_saveexec_b64 s[8:9], s[8:9]
	s_cbranch_execnz .LBB88_2039
.LBB88_1938:
	s_or_b64 exec, exec, s[8:9]
	v_mov_b32_e32 v4, 0
	s_and_saveexec_b64 s[8:9], s[6:7]
.LBB88_1939:
	v_lshrrev_b32_e32 v4, 24, v2
	s_movk_i32 s6, 0x80
	v_and_or_b32 v4, v4, s6, v3
.LBB88_1940:
	s_or_b64 exec, exec, s[8:9]
.LBB88_1941:
	s_or_b64 exec, exec, s[4:5]
	s_mov_b64 s[4:5], 0
	global_store_byte v[0:1], v4, off
.LBB88_1942:
	s_and_b64 vcc, exec, s[4:5]
	s_cbranch_vccz .LBB88_1952
; %bb.1943:
	v_and_b32_e32 v4, 0x7fffffff, v2
	s_mov_b32 s4, 0x43f00000
	v_cmp_gt_u32_e32 vcc, s4, v4
                                        ; implicit-def: $vgpr3
	s_and_saveexec_b64 s[4:5], vcc
	s_xor_b64 s[4:5], exec, s[4:5]
	s_cbranch_execz .LBB88_1949
; %bb.1944:
	s_mov_b32 s6, 0x3c7fffff
	v_cmp_lt_u32_e32 vcc, s6, v4
                                        ; implicit-def: $vgpr3
	s_and_saveexec_b64 s[6:7], vcc
	s_xor_b64 s[6:7], exec, s[6:7]
; %bb.1945:
	v_bfe_u32 v3, v2, 20, 1
	s_mov_b32 s8, 0x407ffff
	v_add3_u32 v3, v2, v3, s8
	v_lshrrev_b32_e32 v4, 20, v3
	v_and_b32_e32 v3, 0xff00000, v3
	s_mov_b32 s8, 0x7f00000
	v_mov_b32_e32 v5, 0x7e
	v_cmp_ne_u32_e32 vcc, s8, v3
	s_nop 1
	v_cndmask_b32_e32 v3, v5, v4, vcc
; %bb.1946:
	s_andn2_saveexec_b64 s[6:7], s[6:7]
; %bb.1947:
	s_mov_b32 s8, 0x46800000
	v_add_f32_e64 v3, |v2|, s8
; %bb.1948:
	s_or_b64 exec, exec, s[6:7]
                                        ; implicit-def: $vgpr4
.LBB88_1949:
	s_andn2_saveexec_b64 s[4:5], s[4:5]
; %bb.1950:
	s_mov_b32 s6, 0x7f800000
	v_mov_b32_e32 v3, 0x7e
	v_mov_b32_e32 v5, 0x7f
	v_cmp_lt_u32_e32 vcc, s6, v4
	s_nop 1
	v_cndmask_b32_e32 v3, v3, v5, vcc
; %bb.1951:
	s_or_b64 exec, exec, s[4:5]
	v_lshrrev_b32_e32 v4, 24, v2
	s_movk_i32 s4, 0x80
	v_and_or_b32 v3, v4, s4, v3
	global_store_byte v[0:1], v3, off
.LBB88_1952:
	s_mov_b64 s[4:5], 0
.LBB88_1953:
	s_andn2_b64 vcc, exec, s[4:5]
	s_cbranch_vccnz .LBB88_1963
; %bb.1954:
	v_and_b32_e32 v4, 0x7fffffff, v2
	s_mov_b32 s4, 0x47800000
	v_cmp_gt_u32_e32 vcc, s4, v4
                                        ; implicit-def: $vgpr3
	s_and_saveexec_b64 s[4:5], vcc
	s_xor_b64 s[4:5], exec, s[4:5]
	s_cbranch_execz .LBB88_1960
; %bb.1955:
	s_mov_b32 s6, 0x387fffff
	v_cmp_lt_u32_e32 vcc, s6, v4
                                        ; implicit-def: $vgpr3
	s_and_saveexec_b64 s[6:7], vcc
	s_xor_b64 s[6:7], exec, s[6:7]
; %bb.1956:
	v_bfe_u32 v3, v2, 21, 1
	s_mov_b32 s8, 0x80fffff
	v_add3_u32 v3, v2, v3, s8
	v_lshrrev_b32_e32 v3, 21, v3
; %bb.1957:
	s_andn2_saveexec_b64 s[6:7], s[6:7]
; %bb.1958:
	s_mov_b32 s8, 0x43000000
	v_add_f32_e64 v3, |v2|, s8
; %bb.1959:
	s_or_b64 exec, exec, s[6:7]
                                        ; implicit-def: $vgpr4
.LBB88_1960:
	s_andn2_saveexec_b64 s[4:5], s[4:5]
; %bb.1961:
	s_mov_b32 s6, 0x7f800000
	v_mov_b32_e32 v3, 0x7c
	v_mov_b32_e32 v5, 0x7f
	v_cmp_lt_u32_e32 vcc, s6, v4
	s_nop 1
	v_cndmask_b32_e32 v3, v3, v5, vcc
; %bb.1962:
	s_or_b64 exec, exec, s[4:5]
	v_lshrrev_b32_e32 v4, 24, v2
	s_movk_i32 s4, 0x80
	v_and_or_b32 v3, v4, s4, v3
	global_store_byte v[0:1], v3, off
.LBB88_1963:
	s_mov_b64 s[4:5], 0
.LBB88_1964:
	s_andn2_b64 vcc, exec, s[4:5]
	s_mov_b64 s[4:5], 0
	s_cbranch_vccnz .LBB88_1971
; %bb.1965:
	s_cmp_gt_i32 s16, 14
	s_mov_b64 s[6:7], -1
	s_cbranch_scc0 .LBB88_1969
; %bb.1966:
	s_cmp_eq_u32 s16, 15
	s_mov_b64 s[0:1], -1
	s_cbranch_scc0 .LBB88_1968
; %bb.1967:
	v_bfe_u32 v3, v2, 16, 1
	s_movk_i32 s0, 0x7fff
	v_add3_u32 v3, v2, v3, s0
	v_cmp_o_f32_e32 vcc, v2, v2
	v_mov_b32_e32 v4, 0x7fc0
	s_mov_b64 s[0:1], 0
	v_cndmask_b32_sdwa v3, v4, v3, vcc dst_sel:DWORD dst_unused:UNUSED_PAD src0_sel:DWORD src1_sel:WORD_1
	global_store_short v[0:1], v3, off
.LBB88_1968:
	s_mov_b64 s[6:7], 0
.LBB88_1969:
	s_and_b64 vcc, exec, s[6:7]
	s_cbranch_vccz .LBB88_1971
; %bb.1970:
	s_cmp_lg_u32 s16, 11
	s_mov_b64 s[4:5], -1
	s_cselect_b64 s[0:1], -1, 0
.LBB88_1971:
	s_and_b64 vcc, exec, s[0:1]
	s_cbranch_vccnz .LBB88_2037
.LBB88_1972:
	s_mov_b64 s[0:1], 0
	s_branch .LBB88_1974
.LBB88_1973:
	s_mov_b64 s[0:1], 0
	s_mov_b64 s[4:5], 0
                                        ; implicit-def: $sgpr20
                                        ; implicit-def: $vgpr0_vgpr1
                                        ; implicit-def: $vgpr2
.LBB88_1974:
	s_and_b64 s[10:11], s[4:5], exec
	s_andn2_b64 s[4:5], s[12:13], exec
	s_and_b64 s[6:7], s[14:15], exec
	s_and_b64 s[0:1], s[0:1], exec
	s_or_b64 s[12:13], s[4:5], s[6:7]
.LBB88_1975:
	s_or_b64 exec, exec, s[2:3]
	s_and_saveexec_b64 s[2:3], s[12:13]
	s_cbranch_execz .LBB88_1978
; %bb.1976:
	; divergent unreachable
	s_or_b64 exec, exec, s[2:3]
	s_and_saveexec_b64 s[2:3], s[10:11]
	s_xor_b64 s[2:3], exec, s[2:3]
	s_cbranch_execnz .LBB88_1979
.LBB88_1977:
	s_or_b64 exec, exec, s[2:3]
	s_and_saveexec_b64 s[2:3], s[0:1]
	s_cbranch_execnz .LBB88_1980
	s_branch .LBB88_2017
.LBB88_1978:
	s_or_b64 exec, exec, s[2:3]
	s_and_saveexec_b64 s[2:3], s[10:11]
	s_xor_b64 s[2:3], exec, s[2:3]
	s_cbranch_execz .LBB88_1977
.LBB88_1979:
	s_waitcnt vmcnt(0)
	v_cmp_neq_f32_e32 vcc, 0, v2
	s_nop 1
	v_cndmask_b32_e64 v3, 0, 1, vcc
	global_store_byte v[0:1], v3, off
	s_or_b64 exec, exec, s[2:3]
	s_and_saveexec_b64 s[2:3], s[0:1]
	s_cbranch_execz .LBB88_2017
.LBB88_1980:
	s_sext_i32_i16 s2, s20
	s_cmp_lt_i32 s2, 5
	s_mov_b64 s[0:1], -1
	s_cbranch_scc1 .LBB88_2001
; %bb.1981:
	s_cmp_lt_i32 s2, 8
	s_cbranch_scc1 .LBB88_1991
; %bb.1982:
	s_cmp_lt_i32 s2, 9
	s_cbranch_scc1 .LBB88_1988
; %bb.1983:
	s_cmp_gt_i32 s2, 9
	s_cbranch_scc0 .LBB88_1985
; %bb.1984:
	s_waitcnt vmcnt(0)
	v_mov_b32_e32 v6, 0
	v_cvt_f64_f32_e32 v[4:5], v2
	v_mov_b32_e32 v7, v6
	global_store_dwordx4 v[0:1], v[4:7], off
	s_mov_b64 s[0:1], 0
.LBB88_1985:
	s_andn2_b64 vcc, exec, s[0:1]
	s_cbranch_vccnz .LBB88_1987
; %bb.1986:
	s_waitcnt vmcnt(0)
	v_mov_b32_e32 v3, 0
	global_store_dwordx2 v[0:1], v[2:3], off
.LBB88_1987:
	s_mov_b64 s[0:1], 0
.LBB88_1988:
	s_andn2_b64 vcc, exec, s[0:1]
	s_cbranch_vccnz .LBB88_1990
; %bb.1989:
	s_waitcnt vmcnt(0)
	v_cvt_f16_f32_e32 v3, v2
	global_store_dword v[0:1], v3, off
.LBB88_1990:
	s_mov_b64 s[0:1], 0
.LBB88_1991:
	s_andn2_b64 vcc, exec, s[0:1]
	s_cbranch_vccnz .LBB88_2000
; %bb.1992:
	s_sext_i32_i16 s2, s20
	s_cmp_lt_i32 s2, 6
	s_mov_b64 s[0:1], -1
	s_cbranch_scc1 .LBB88_1998
; %bb.1993:
	s_cmp_gt_i32 s2, 6
	s_cbranch_scc0 .LBB88_1995
; %bb.1994:
	s_waitcnt vmcnt(0)
	v_cvt_f64_f32_e32 v[4:5], v2
	global_store_dwordx2 v[0:1], v[4:5], off
	s_mov_b64 s[0:1], 0
.LBB88_1995:
	s_andn2_b64 vcc, exec, s[0:1]
	s_cbranch_vccnz .LBB88_1997
; %bb.1996:
	s_waitcnt vmcnt(0)
	global_store_dword v[0:1], v2, off
.LBB88_1997:
	s_mov_b64 s[0:1], 0
.LBB88_1998:
	s_andn2_b64 vcc, exec, s[0:1]
	s_cbranch_vccnz .LBB88_2000
; %bb.1999:
	s_waitcnt vmcnt(0)
	v_cvt_f16_f32_e32 v3, v2
	global_store_short v[0:1], v3, off
.LBB88_2000:
	s_mov_b64 s[0:1], 0
.LBB88_2001:
	s_andn2_b64 vcc, exec, s[0:1]
	s_cbranch_vccnz .LBB88_2017
; %bb.2002:
	s_sext_i32_i16 s2, s20
	s_cmp_lt_i32 s2, 2
	s_mov_b64 s[0:1], -1
	s_cbranch_scc1 .LBB88_2012
; %bb.2003:
	s_cmp_lt_i32 s2, 3
	s_cbranch_scc1 .LBB88_2009
; %bb.2004:
	s_cmp_gt_i32 s2, 3
	s_cbranch_scc0 .LBB88_2006
; %bb.2005:
	s_waitcnt vmcnt(0)
	v_trunc_f32_e32 v3, v2
	s_mov_b32 s0, 0x2f800000
	v_mul_f32_e64 v4, |v3|, s0
	v_floor_f32_e32 v4, v4
	s_mov_b32 s0, 0xcf800000
	v_cvt_u32_f32_e32 v5, v4
	v_fma_f32 v4, v4, s0, |v3|
	v_cvt_u32_f32_e32 v4, v4
	v_ashrrev_i32_e32 v3, 31, v3
	v_xor_b32_e32 v5, v5, v3
	s_mov_b64 s[0:1], 0
	v_xor_b32_e32 v4, v4, v3
	v_sub_co_u32_e32 v4, vcc, v4, v3
	s_nop 1
	v_subb_co_u32_e32 v5, vcc, v5, v3, vcc
	global_store_dwordx2 v[0:1], v[4:5], off
.LBB88_2006:
	s_andn2_b64 vcc, exec, s[0:1]
	s_cbranch_vccnz .LBB88_2008
; %bb.2007:
	s_waitcnt vmcnt(0)
	v_cvt_i32_f32_e32 v3, v2
	global_store_dword v[0:1], v3, off
.LBB88_2008:
	s_mov_b64 s[0:1], 0
.LBB88_2009:
	s_andn2_b64 vcc, exec, s[0:1]
	s_cbranch_vccnz .LBB88_2011
; %bb.2010:
	s_waitcnt vmcnt(0)
	v_cvt_i32_f32_e32 v3, v2
	global_store_short v[0:1], v3, off
.LBB88_2011:
	s_mov_b64 s[0:1], 0
.LBB88_2012:
	s_andn2_b64 vcc, exec, s[0:1]
	s_cbranch_vccnz .LBB88_2017
; %bb.2013:
	s_sext_i32_i16 s0, s20
	s_cmp_gt_i32 s0, 0
	s_mov_b64 s[0:1], -1
	s_cbranch_scc0 .LBB88_2015
; %bb.2014:
	s_waitcnt vmcnt(0)
	v_cvt_i32_f32_e32 v3, v2
	s_mov_b64 s[0:1], 0
	global_store_byte v[0:1], v3, off
.LBB88_2015:
	s_andn2_b64 vcc, exec, s[0:1]
	s_cbranch_vccnz .LBB88_2017
; %bb.2016:
	s_waitcnt vmcnt(0)
	v_trunc_f32_e32 v2, v2
	s_mov_b32 s0, 0x2f800000
	v_mul_f32_e64 v3, |v2|, s0
	v_floor_f32_e32 v3, v3
	s_mov_b32 s0, 0xcf800000
	v_fma_f32 v3, v3, s0, |v2|
	v_cvt_u32_f32_e32 v3, v3
	v_ashrrev_i32_e32 v2, 31, v2
	v_xor_b32_e32 v3, v3, v2
	v_sub_u32_e32 v2, v3, v2
	global_store_byte v[0:1], v2, off
	s_endpgm
.LBB88_2017:
	s_endpgm
.LBB88_2018:
	s_mov_b64 s[4:5], 0
	s_mov_b64 s[0:1], -1
	s_branch .LBB88_1974
.LBB88_2019:
	s_trap 2
	s_or_b64 s[14:15], s[14:15], exec
	s_cbranch_execz .LBB88_1488
	s_branch .LBB88_1489
.LBB88_2020:
	s_andn2_saveexec_b64 s[18:19], s[18:19]
	s_cbranch_execz .LBB88_1568
.LBB88_2021:
	s_mov_b32 s21, 0x46000000
	v_add_f32_e64 v1, |v4|, s21
	v_and_b32_e32 v1, 0xff, v1
	v_cmp_ne_u32_e32 vcc, 0, v1
	s_andn2_b64 s[16:17], s[16:17], exec
	s_and_b64 s[22:23], vcc, exec
	s_or_b64 s[16:17], s[16:17], s[22:23]
	s_or_b64 exec, exec, s[18:19]
	v_mov_b32_e32 v5, 0
	s_and_saveexec_b64 s[18:19], s[16:17]
	s_cbranch_execnz .LBB88_1569
	s_branch .LBB88_1570
.LBB88_2022:
	s_trap 2
	s_or_b64 s[14:15], s[14:15], exec
	s_cbranch_execz .LBB88_1616
	s_branch .LBB88_1617
.LBB88_2023:
	s_andn2_saveexec_b64 s[16:17], s[16:17]
	s_cbranch_execz .LBB88_1581
.LBB88_2024:
	s_mov_b32 s18, 0x42800000
	v_add_f32_e64 v1, |v4|, s18
	v_and_b32_e32 v1, 0xff, v1
	v_cmp_ne_u32_e32 vcc, 0, v1
	s_andn2_b64 s[10:11], s[10:11], exec
	s_and_b64 s[18:19], vcc, exec
	s_or_b64 s[10:11], s[10:11], s[18:19]
	s_or_b64 exec, exec, s[16:17]
	v_mov_b32_e32 v5, 0
	s_and_saveexec_b64 s[16:17], s[10:11]
	s_cbranch_execnz .LBB88_1582
	s_branch .LBB88_1583
.LBB88_2025:
	s_andn2_saveexec_b64 s[16:17], s[16:17]
	s_cbranch_execz .LBB88_1687
.LBB88_2026:
	s_mov_b32 s21, 0x46000000
	v_add_f32_e64 v1, |v4|, s21
	v_and_b32_e32 v1, 0xff, v1
	v_cmp_ne_u32_e32 vcc, 0, v1
	s_andn2_b64 s[10:11], s[10:11], exec
	s_and_b64 s[22:23], vcc, exec
	s_or_b64 s[10:11], s[10:11], s[22:23]
	s_or_b64 exec, exec, s[16:17]
	v_mov_b32_e32 v5, 0
	s_and_saveexec_b64 s[16:17], s[10:11]
	s_cbranch_execnz .LBB88_1688
	s_branch .LBB88_1689
.LBB88_2027:
	s_trap 2
	s_or_b64 s[14:15], s[14:15], exec
	s_cbranch_execz .LBB88_1735
	s_branch .LBB88_1736
.LBB88_2028:
	s_andn2_saveexec_b64 s[10:11], s[10:11]
	s_cbranch_execz .LBB88_1700
.LBB88_2029:
	s_mov_b32 s16, 0x42800000
	v_add_f32_e64 v1, |v4|, s16
	v_and_b32_e32 v1, 0xff, v1
	v_cmp_ne_u32_e32 vcc, 0, v1
	s_andn2_b64 s[8:9], s[8:9], exec
	s_and_b64 s[16:17], vcc, exec
	s_or_b64 s[8:9], s[8:9], s[16:17]
	s_or_b64 exec, exec, s[10:11]
	v_mov_b32_e32 v5, 0
	s_and_saveexec_b64 s[10:11], s[8:9]
	s_cbranch_execnz .LBB88_1701
	s_branch .LBB88_1702
.LBB88_2030:
	s_andn2_saveexec_b64 s[16:17], s[16:17]
	s_cbranch_execz .LBB88_1806
.LBB88_2031:
	s_mov_b32 s21, 0x46000000
	v_add_f32_e64 v1, |v4|, s21
	v_and_b32_e32 v1, 0xff, v1
	v_cmp_ne_u32_e32 vcc, 0, v1
	s_andn2_b64 s[10:11], s[10:11], exec
	s_and_b64 s[22:23], vcc, exec
	s_or_b64 s[10:11], s[10:11], s[22:23]
	s_or_b64 exec, exec, s[16:17]
	v_mov_b32_e32 v5, 0
	s_and_saveexec_b64 s[16:17], s[10:11]
	s_cbranch_execnz .LBB88_1807
	s_branch .LBB88_1808
.LBB88_2032:
	s_trap 2
	s_or_b64 s[14:15], s[14:15], exec
	s_cbranch_execz .LBB88_1854
	s_branch .LBB88_1855
.LBB88_2033:
	s_andn2_saveexec_b64 s[10:11], s[10:11]
	s_cbranch_execz .LBB88_1819
.LBB88_2034:
	s_mov_b32 s16, 0x42800000
	v_add_f32_e64 v1, |v4|, s16
	v_and_b32_e32 v1, 0xff, v1
	v_cmp_ne_u32_e32 vcc, 0, v1
	s_andn2_b64 s[8:9], s[8:9], exec
	s_and_b64 s[16:17], vcc, exec
	s_or_b64 s[8:9], s[8:9], s[16:17]
	s_or_b64 exec, exec, s[10:11]
	v_mov_b32_e32 v5, 0
	s_and_saveexec_b64 s[10:11], s[8:9]
	s_cbranch_execnz .LBB88_1820
	s_branch .LBB88_1821
.LBB88_2035:
	s_andn2_saveexec_b64 s[10:11], s[10:11]
	s_cbranch_execz .LBB88_1926
.LBB88_2036:
	s_mov_b32 s17, 0x46000000
	v_add_f32_e64 v3, |v2|, s17
	v_and_b32_e32 v3, 0xff, v3
	v_cmp_ne_u32_e32 vcc, 0, v3
	s_andn2_b64 s[8:9], s[8:9], exec
	s_and_b64 s[18:19], vcc, exec
	s_or_b64 s[8:9], s[8:9], s[18:19]
	s_or_b64 exec, exec, s[10:11]
	v_mov_b32_e32 v4, 0
	s_and_saveexec_b64 s[10:11], s[8:9]
	s_cbranch_execnz .LBB88_1927
	s_branch .LBB88_1928
.LBB88_2037:
	s_mov_b64 s[4:5], 0
	s_or_b64 s[14:15], s[14:15], exec
	s_trap 2
	s_branch .LBB88_1972
.LBB88_2038:
	s_andn2_saveexec_b64 s[8:9], s[8:9]
	s_cbranch_execz .LBB88_1938
.LBB88_2039:
	s_mov_b32 s10, 0x42800000
	v_add_f32_e64 v3, |v2|, s10
	v_and_b32_e32 v3, 0xff, v3
	v_cmp_ne_u32_e32 vcc, 0, v3
	s_andn2_b64 s[6:7], s[6:7], exec
	s_and_b64 s[10:11], vcc, exec
	s_or_b64 s[6:7], s[6:7], s[10:11]
	s_or_b64 exec, exec, s[8:9]
	v_mov_b32_e32 v4, 0
	s_and_saveexec_b64 s[8:9], s[6:7]
	s_cbranch_execnz .LBB88_1939
	s_branch .LBB88_1940
	.section	.rodata,"a",@progbits
	.p2align	6, 0x0
	.amdhsa_kernel _ZN2at6native32elementwise_kernel_manual_unrollILi128ELi4EZNS0_15gpu_kernel_implIZZZNS0_15exp_kernel_cudaERNS_18TensorIteratorBaseEENKUlvE0_clEvENKUlvE0_clEvEUlfE_EEvS4_RKT_EUlibE_EEviT1_
		.amdhsa_group_segment_fixed_size 0
		.amdhsa_private_segment_fixed_size 0
		.amdhsa_kernarg_size 40
		.amdhsa_user_sgpr_count 2
		.amdhsa_user_sgpr_dispatch_ptr 0
		.amdhsa_user_sgpr_queue_ptr 0
		.amdhsa_user_sgpr_kernarg_segment_ptr 1
		.amdhsa_user_sgpr_dispatch_id 0
		.amdhsa_user_sgpr_kernarg_preload_length 0
		.amdhsa_user_sgpr_kernarg_preload_offset 0
		.amdhsa_user_sgpr_private_segment_size 0
		.amdhsa_uses_dynamic_stack 0
		.amdhsa_enable_private_segment 0
		.amdhsa_system_sgpr_workgroup_id_x 1
		.amdhsa_system_sgpr_workgroup_id_y 0
		.amdhsa_system_sgpr_workgroup_id_z 0
		.amdhsa_system_sgpr_workgroup_info 0
		.amdhsa_system_vgpr_workitem_id 0
		.amdhsa_next_free_vgpr 14
		.amdhsa_next_free_sgpr 44
		.amdhsa_accum_offset 16
		.amdhsa_reserve_vcc 1
		.amdhsa_float_round_mode_32 0
		.amdhsa_float_round_mode_16_64 0
		.amdhsa_float_denorm_mode_32 3
		.amdhsa_float_denorm_mode_16_64 3
		.amdhsa_dx10_clamp 1
		.amdhsa_ieee_mode 1
		.amdhsa_fp16_overflow 0
		.amdhsa_tg_split 0
		.amdhsa_exception_fp_ieee_invalid_op 0
		.amdhsa_exception_fp_denorm_src 0
		.amdhsa_exception_fp_ieee_div_zero 0
		.amdhsa_exception_fp_ieee_overflow 0
		.amdhsa_exception_fp_ieee_underflow 0
		.amdhsa_exception_fp_ieee_inexact 0
		.amdhsa_exception_int_div_zero 0
	.end_amdhsa_kernel
	.section	.text._ZN2at6native32elementwise_kernel_manual_unrollILi128ELi4EZNS0_15gpu_kernel_implIZZZNS0_15exp_kernel_cudaERNS_18TensorIteratorBaseEENKUlvE0_clEvENKUlvE0_clEvEUlfE_EEvS4_RKT_EUlibE_EEviT1_,"axG",@progbits,_ZN2at6native32elementwise_kernel_manual_unrollILi128ELi4EZNS0_15gpu_kernel_implIZZZNS0_15exp_kernel_cudaERNS_18TensorIteratorBaseEENKUlvE0_clEvENKUlvE0_clEvEUlfE_EEvS4_RKT_EUlibE_EEviT1_,comdat
.Lfunc_end88:
	.size	_ZN2at6native32elementwise_kernel_manual_unrollILi128ELi4EZNS0_15gpu_kernel_implIZZZNS0_15exp_kernel_cudaERNS_18TensorIteratorBaseEENKUlvE0_clEvENKUlvE0_clEvEUlfE_EEvS4_RKT_EUlibE_EEviT1_, .Lfunc_end88-_ZN2at6native32elementwise_kernel_manual_unrollILi128ELi4EZNS0_15gpu_kernel_implIZZZNS0_15exp_kernel_cudaERNS_18TensorIteratorBaseEENKUlvE0_clEvENKUlvE0_clEvEUlfE_EEvS4_RKT_EUlibE_EEviT1_
                                        ; -- End function
	.set _ZN2at6native32elementwise_kernel_manual_unrollILi128ELi4EZNS0_15gpu_kernel_implIZZZNS0_15exp_kernel_cudaERNS_18TensorIteratorBaseEENKUlvE0_clEvENKUlvE0_clEvEUlfE_EEvS4_RKT_EUlibE_EEviT1_.num_vgpr, 14
	.set _ZN2at6native32elementwise_kernel_manual_unrollILi128ELi4EZNS0_15gpu_kernel_implIZZZNS0_15exp_kernel_cudaERNS_18TensorIteratorBaseEENKUlvE0_clEvENKUlvE0_clEvEUlfE_EEvS4_RKT_EUlibE_EEviT1_.num_agpr, 0
	.set _ZN2at6native32elementwise_kernel_manual_unrollILi128ELi4EZNS0_15gpu_kernel_implIZZZNS0_15exp_kernel_cudaERNS_18TensorIteratorBaseEENKUlvE0_clEvENKUlvE0_clEvEUlfE_EEvS4_RKT_EUlibE_EEviT1_.numbered_sgpr, 44
	.set _ZN2at6native32elementwise_kernel_manual_unrollILi128ELi4EZNS0_15gpu_kernel_implIZZZNS0_15exp_kernel_cudaERNS_18TensorIteratorBaseEENKUlvE0_clEvENKUlvE0_clEvEUlfE_EEvS4_RKT_EUlibE_EEviT1_.num_named_barrier, 0
	.set _ZN2at6native32elementwise_kernel_manual_unrollILi128ELi4EZNS0_15gpu_kernel_implIZZZNS0_15exp_kernel_cudaERNS_18TensorIteratorBaseEENKUlvE0_clEvENKUlvE0_clEvEUlfE_EEvS4_RKT_EUlibE_EEviT1_.private_seg_size, 0
	.set _ZN2at6native32elementwise_kernel_manual_unrollILi128ELi4EZNS0_15gpu_kernel_implIZZZNS0_15exp_kernel_cudaERNS_18TensorIteratorBaseEENKUlvE0_clEvENKUlvE0_clEvEUlfE_EEvS4_RKT_EUlibE_EEviT1_.uses_vcc, 1
	.set _ZN2at6native32elementwise_kernel_manual_unrollILi128ELi4EZNS0_15gpu_kernel_implIZZZNS0_15exp_kernel_cudaERNS_18TensorIteratorBaseEENKUlvE0_clEvENKUlvE0_clEvEUlfE_EEvS4_RKT_EUlibE_EEviT1_.uses_flat_scratch, 0
	.set _ZN2at6native32elementwise_kernel_manual_unrollILi128ELi4EZNS0_15gpu_kernel_implIZZZNS0_15exp_kernel_cudaERNS_18TensorIteratorBaseEENKUlvE0_clEvENKUlvE0_clEvEUlfE_EEvS4_RKT_EUlibE_EEviT1_.has_dyn_sized_stack, 0
	.set _ZN2at6native32elementwise_kernel_manual_unrollILi128ELi4EZNS0_15gpu_kernel_implIZZZNS0_15exp_kernel_cudaERNS_18TensorIteratorBaseEENKUlvE0_clEvENKUlvE0_clEvEUlfE_EEvS4_RKT_EUlibE_EEviT1_.has_recursion, 0
	.set _ZN2at6native32elementwise_kernel_manual_unrollILi128ELi4EZNS0_15gpu_kernel_implIZZZNS0_15exp_kernel_cudaERNS_18TensorIteratorBaseEENKUlvE0_clEvENKUlvE0_clEvEUlfE_EEvS4_RKT_EUlibE_EEviT1_.has_indirect_call, 0
	.section	.AMDGPU.csdata,"",@progbits
; Kernel info:
; codeLenInByte = 33252
; TotalNumSgprs: 50
; NumVgprs: 14
; NumAgprs: 0
; TotalNumVgprs: 14
; ScratchSize: 0
; MemoryBound: 1
; FloatMode: 240
; IeeeMode: 1
; LDSByteSize: 0 bytes/workgroup (compile time only)
; SGPRBlocks: 6
; VGPRBlocks: 1
; NumSGPRsForWavesPerEU: 50
; NumVGPRsForWavesPerEU: 14
; AccumOffset: 16
; Occupancy: 8
; WaveLimiterHint : 0
; COMPUTE_PGM_RSRC2:SCRATCH_EN: 0
; COMPUTE_PGM_RSRC2:USER_SGPR: 2
; COMPUTE_PGM_RSRC2:TRAP_HANDLER: 0
; COMPUTE_PGM_RSRC2:TGID_X_EN: 1
; COMPUTE_PGM_RSRC2:TGID_Y_EN: 0
; COMPUTE_PGM_RSRC2:TGID_Z_EN: 0
; COMPUTE_PGM_RSRC2:TIDIG_COMP_CNT: 0
; COMPUTE_PGM_RSRC3_GFX90A:ACCUM_OFFSET: 3
; COMPUTE_PGM_RSRC3_GFX90A:TG_SPLIT: 0
	.section	.text._ZN2at6native32elementwise_kernel_manual_unrollILi128ELi4EZNS0_15gpu_kernel_implIZZZNS0_15exp_kernel_cudaERNS_18TensorIteratorBaseEENKUlvE0_clEvENKUlvE0_clEvEUlfE_EEvS4_RKT_EUlibE0_EEviT1_,"axG",@progbits,_ZN2at6native32elementwise_kernel_manual_unrollILi128ELi4EZNS0_15gpu_kernel_implIZZZNS0_15exp_kernel_cudaERNS_18TensorIteratorBaseEENKUlvE0_clEvENKUlvE0_clEvEUlfE_EEvS4_RKT_EUlibE0_EEviT1_,comdat
	.globl	_ZN2at6native32elementwise_kernel_manual_unrollILi128ELi4EZNS0_15gpu_kernel_implIZZZNS0_15exp_kernel_cudaERNS_18TensorIteratorBaseEENKUlvE0_clEvENKUlvE0_clEvEUlfE_EEvS4_RKT_EUlibE0_EEviT1_ ; -- Begin function _ZN2at6native32elementwise_kernel_manual_unrollILi128ELi4EZNS0_15gpu_kernel_implIZZZNS0_15exp_kernel_cudaERNS_18TensorIteratorBaseEENKUlvE0_clEvENKUlvE0_clEvEUlfE_EEvS4_RKT_EUlibE0_EEviT1_
	.p2align	8
	.type	_ZN2at6native32elementwise_kernel_manual_unrollILi128ELi4EZNS0_15gpu_kernel_implIZZZNS0_15exp_kernel_cudaERNS_18TensorIteratorBaseEENKUlvE0_clEvENKUlvE0_clEvEUlfE_EEvS4_RKT_EUlibE0_EEviT1_,@function
_ZN2at6native32elementwise_kernel_manual_unrollILi128ELi4EZNS0_15gpu_kernel_implIZZZNS0_15exp_kernel_cudaERNS_18TensorIteratorBaseEENKUlvE0_clEvENKUlvE0_clEvEUlfE_EEvS4_RKT_EUlibE0_EEviT1_: ; @_ZN2at6native32elementwise_kernel_manual_unrollILi128ELi4EZNS0_15gpu_kernel_implIZZZNS0_15exp_kernel_cudaERNS_18TensorIteratorBaseEENKUlvE0_clEvENKUlvE0_clEvEUlfE_EEvS4_RKT_EUlibE0_EEviT1_
; %bb.0:
	s_load_dword s70, s[0:1], 0x0
	s_load_dword s33, s[0:1], 0x8
	s_add_u32 s34, s0, 8
	s_addc_u32 s35, s1, 0
	v_lshl_or_b32 v8, s2, 9, v0
	v_or_b32_e32 v16, 0x180, v8
	s_waitcnt lgkmcnt(0)
	s_add_i32 s72, s33, -1
	s_cmp_gt_u32 s72, 1
	v_cmp_le_i32_e32 vcc, s70, v16
	s_cselect_b64 s[42:43], -1, 0
	s_mov_b64 s[40:41], 0
	s_mov_b64 s[24:25], 0
	s_and_saveexec_b64 s[2:3], vcc
	s_xor_b64 s[44:45], exec, s[2:3]
	s_cbranch_execz .LBB89_1090
; %bb.1:
	v_mov_b32_e32 v0, 0
	global_load_ushort v0, v0, s[34:35] offset:345
	s_load_dwordx4 s[28:31], s[34:35], 0x4
	s_load_dwordx2 s[46:47], s[34:35], 0x14
	s_load_dwordx4 s[24:27], s[34:35], 0xc4
	s_load_dwordx4 s[20:23], s[34:35], 0x148
	s_cmp_lg_u32 s33, 0
	s_cselect_b64 s[52:53], -1, 0
	s_add_u32 s50, s34, 0xc4
	s_addc_u32 s51, s35, 0
	s_min_u32 s75, s72, 15
	s_cmp_gt_u32 s33, 1
	s_cselect_b64 s[48:49], -1, 0
	v_cmp_gt_i32_e32 vcc, s70, v8
	s_mov_b64 s[4:5], -1
	s_mov_b64 s[62:63], 0
	s_mov_b64 s[56:57], 0
	;; [unrolled: 1-line block ×3, first 2 shown]
	s_waitcnt vmcnt(0)
	v_readfirstlane_b32 s73, v0
	s_and_b32 s2, 0xffff, s73
	s_lshr_b32 s74, s2, 8
	s_and_saveexec_b64 s[58:59], vcc
	s_cbranch_execz .LBB89_267
; %bb.2:
	s_andn2_b64 vcc, exec, s[42:43]
	s_cbranch_vccnz .LBB89_8
; %bb.3:
	s_andn2_b64 vcc, exec, s[52:53]
	s_cbranch_vccnz .LBB89_9
; %bb.4:
	s_add_i32 s57, s75, 1
	s_cmp_eq_u32 s72, 2
	s_cbranch_scc1 .LBB89_10
; %bb.5:
	s_and_b32 s56, s57, 28
	s_mov_b32 s60, 0
	v_mov_b32_e32 v0, 0
	v_mov_b32_e32 v2, 0
	s_mov_b64 s[2:3], s[34:35]
	s_mov_b64 s[54:55], s[50:51]
	v_mov_b32_e32 v4, v8
.LBB89_6:                               ; =>This Inner Loop Header: Depth=1
	s_load_dwordx8 s[12:19], s[2:3], 0x4
	s_load_dwordx4 s[36:39], s[2:3], 0x24
	s_load_dwordx8 s[4:11], s[54:55], 0x0
	s_add_u32 s2, s2, 48
	s_addc_u32 s3, s3, 0
	s_waitcnt lgkmcnt(0)
	v_mul_hi_u32 v1, s13, v4
	v_add_u32_e32 v1, v4, v1
	v_lshrrev_b32_e32 v1, s14, v1
	v_mul_lo_u32 v3, v1, s12
	v_mul_hi_u32 v5, s16, v1
	v_sub_u32_e32 v3, v4, v3
	v_add_u32_e32 v4, v1, v5
	v_lshrrev_b32_e32 v4, s17, v4
	v_mul_lo_u32 v6, v4, s15
	v_mul_hi_u32 v7, s19, v4
	v_sub_u32_e32 v1, v1, v6
	v_add_u32_e32 v6, v4, v7
	v_mul_lo_u32 v5, v3, s5
	v_mul_lo_u32 v3, v3, s4
	;; [unrolled: 1-line block ×4, first 2 shown]
	v_lshrrev_b32_e32 v6, s36, v6
	v_add3_u32 v0, v3, v0, v1
	v_mul_hi_u32 v3, s38, v6
	v_add3_u32 v1, v5, v2, v7
	v_mul_lo_u32 v2, v6, s18
	v_add_u32_e32 v3, v6, v3
	v_sub_u32_e32 v2, v4, v2
	v_lshrrev_b32_e32 v4, s39, v3
	s_add_i32 s60, s60, 4
	v_mul_lo_u32 v3, v4, s37
	s_add_u32 s54, s54, 32
	v_sub_u32_e32 v3, v6, v3
	s_addc_u32 s55, s55, 0
	v_mul_lo_u32 v5, v2, s8
	v_mul_lo_u32 v2, v2, s9
	;; [unrolled: 1-line block ×4, first 2 shown]
	s_cmp_lg_u32 s56, s60
	v_add3_u32 v2, v2, v1, v3
	v_add3_u32 v0, v5, v0, v6
	s_cbranch_scc1 .LBB89_6
; %bb.7:
	v_mov_b32_e32 v1, v2
	s_branch .LBB89_11
.LBB89_8:
                                        ; implicit-def: $vgpr2
                                        ; implicit-def: $vgpr0
	s_branch .LBB89_15
.LBB89_9:
	v_mov_b32_e32 v2, 0
	v_mov_b32_e32 v0, 0
	s_branch .LBB89_14
.LBB89_10:
	v_mov_b32_e32 v0, 0
	s_mov_b32 s56, 0
	v_mov_b32_e32 v1, v0
                                        ; implicit-def: $vgpr2
	v_mov_b32_e32 v4, v8
.LBB89_11:
	s_and_b32 s6, s57, 3
	s_cmp_eq_u32 s6, 0
	s_cbranch_scc1 .LBB89_14
; %bb.12:
	s_lshl_b32 s2, s56, 3
	s_add_u32 s2, s34, s2
	s_addc_u32 s3, s35, 0
	s_add_u32 s2, s2, 0xc4
	s_addc_u32 s3, s3, 0
	s_mul_i32 s4, s56, 12
	s_add_u32 s4, s34, s4
	s_addc_u32 s5, s35, 0
.LBB89_13:                              ; =>This Inner Loop Header: Depth=1
	s_load_dwordx2 s[8:9], s[4:5], 0x4
	s_load_dword s7, s[4:5], 0xc
	s_load_dwordx2 s[10:11], s[2:3], 0x0
	v_mov_b32_e32 v2, v1
	s_add_u32 s4, s4, 12
	s_waitcnt lgkmcnt(0)
	v_mul_hi_u32 v1, s9, v4
	v_add_u32_e32 v1, v4, v1
	v_lshrrev_b32_e32 v1, s7, v1
	s_addc_u32 s5, s5, 0
	v_mul_lo_u32 v3, v1, s8
	s_add_u32 s2, s2, 8
	v_sub_u32_e32 v5, v4, v3
	s_addc_u32 s3, s3, 0
	s_add_i32 s6, s6, -1
	v_mov_b32_e32 v4, v1
	v_mad_u64_u32 v[2:3], s[8:9], v5, s11, v[2:3]
	v_mad_u64_u32 v[0:1], s[8:9], v5, s10, v[0:1]
	s_cmp_lg_u32 s6, 0
	v_mov_b32_e32 v1, v2
	s_cbranch_scc1 .LBB89_13
.LBB89_14:
	s_cbranch_execnz .LBB89_17
.LBB89_15:
	s_waitcnt lgkmcnt(0)
	v_mul_hi_u32 v0, s29, v8
	v_add_u32_e32 v0, v8, v0
	v_lshrrev_b32_e32 v1, s30, v0
	v_mul_lo_u32 v0, v1, s28
	v_sub_u32_e32 v0, v8, v0
	v_mul_lo_u32 v2, v0, s25
	s_andn2_b64 vcc, exec, s[48:49]
	v_mul_lo_u32 v0, v0, s24
	s_cbranch_vccnz .LBB89_17
; %bb.16:
	v_mul_hi_u32 v3, s46, v1
	v_add_u32_e32 v3, v1, v3
	v_lshrrev_b32_e32 v3, s47, v3
	v_mul_lo_u32 v3, v3, s31
	v_sub_u32_e32 v3, v1, v3
	v_mad_u64_u32 v[0:1], s[2:3], v3, s26, v[0:1]
	v_mad_u64_u32 v[2:3], s[2:3], v3, s27, v[2:3]
.LBB89_17:
	v_mov_b32_e32 v3, 0
	s_and_b32 s10, 0xffff, s74
	s_cmp_lt_i32 s10, 11
	s_waitcnt lgkmcnt(0)
	v_lshl_add_u64 v[2:3], s[22:23], 0, v[2:3]
	s_cbranch_scc1 .LBB89_24
; %bb.18:
	s_cmp_gt_i32 s10, 25
	s_cbranch_scc0 .LBB89_33
; %bb.19:
	s_cmp_gt_i32 s10, 28
	s_cbranch_scc0 .LBB89_36
	;; [unrolled: 3-line block ×4, first 2 shown]
; %bb.22:
	s_cmp_eq_u32 s10, 46
	s_mov_b64 s[6:7], 0
	s_cbranch_scc0 .LBB89_42
; %bb.23:
	global_load_dword v1, v[2:3], off
	s_mov_b64 s[2:3], -1
	s_mov_b64 s[4:5], 0
	s_waitcnt vmcnt(0)
	v_lshlrev_b32_e32 v1, 16, v1
	s_branch .LBB89_44
.LBB89_24:
	s_mov_b64 s[4:5], 0
                                        ; implicit-def: $vgpr1
	s_mov_b64 s[2:3], 0
	s_cbranch_execnz .LBB89_217
.LBB89_25:
	s_andn2_b64 vcc, exec, s[2:3]
	s_cbranch_vccnz .LBB89_264
.LBB89_26:
	s_waitcnt vmcnt(0)
	v_mul_f32_e32 v2, 0x3fb8aa3b, v1
	s_mov_b32 s2, 0x3fb8aa3b
	v_rndne_f32_e32 v3, v2
	v_sub_f32_e32 v4, v2, v3
	v_fma_f32 v2, v1, s2, -v2
	v_fmamk_f32 v2, v1, 0x32a5705f, v2
	v_add_f32_e32 v2, v4, v2
	v_exp_f32_e32 v2, v2
	v_cvt_i32_f32_e32 v3, v3
	s_mov_b32 s2, 0xc2ce8ed0
	v_cmp_ngt_f32_e32 vcc, s2, v1
	s_mov_b32 s2, 0x42b17218
	v_ldexp_f32 v2, v2, v3
	v_cndmask_b32_e32 v2, 0, v2, vcc
	v_mov_b32_e32 v3, 0x7f800000
	v_cmp_nlt_f32_e32 vcc, s2, v1
	v_mov_b32_e32 v1, 0
	s_and_b32 s12, s73, 0xff
	v_cndmask_b32_e32 v2, v3, v2, vcc
	s_cmp_lt_i32 s12, 11
	v_lshl_add_u64 v[0:1], s[20:21], 0, v[0:1]
	s_cbranch_scc1 .LBB89_34
; %bb.27:
	s_and_b32 s13, 0xffff, s12
	s_cmp_gt_i32 s13, 25
	s_cbranch_scc0 .LBB89_37
; %bb.28:
	s_cmp_gt_i32 s13, 28
	s_cbranch_scc0 .LBB89_39
; %bb.29:
	;; [unrolled: 3-line block ×4, first 2 shown]
	s_mov_b64 s[8:9], 0
	s_mov_b64 s[2:3], -1
	s_cmp_eq_u32 s13, 46
	s_mov_b64 s[6:7], 0
	s_cbranch_scc0 .LBB89_48
; %bb.32:
	v_bfe_u32 v3, v2, 16, 1
	s_movk_i32 s2, 0x7fff
	v_add3_u32 v3, v2, v3, s2
	v_cmp_o_f32_e32 vcc, v2, v2
	v_mov_b32_e32 v4, 0x7fc0
	s_mov_b64 s[6:7], -1
	v_cndmask_b32_sdwa v3, v4, v3, vcc dst_sel:DWORD dst_unused:UNUSED_PAD src0_sel:DWORD src1_sel:WORD_1
	global_store_dword v[0:1], v3, off
	s_mov_b64 s[2:3], 0
	s_branch .LBB89_48
.LBB89_33:
	s_mov_b64 s[4:5], 0
	s_mov_b64 s[2:3], 0
                                        ; implicit-def: $vgpr1
	s_cbranch_execnz .LBB89_182
	s_branch .LBB89_216
.LBB89_34:
	s_mov_b64 s[2:3], 0
	s_mov_b64 s[6:7], 0
	s_cbranch_execnz .LBB89_117
.LBB89_35:
	s_andn2_b64 vcc, exec, s[6:7]
	s_cbranch_vccnz .LBB89_265
	s_branch .LBB89_155
.LBB89_36:
	s_mov_b64 s[6:7], -1
	s_mov_b64 s[4:5], 0
	s_mov_b64 s[2:3], 0
                                        ; implicit-def: $vgpr1
	s_branch .LBB89_163
.LBB89_37:
	s_mov_b64 s[8:9], -1
	s_mov_b64 s[2:3], 0
	s_mov_b64 s[6:7], 0
	s_branch .LBB89_75
.LBB89_38:
	s_mov_b64 s[6:7], -1
	s_mov_b64 s[4:5], 0
	s_mov_b64 s[2:3], 0
                                        ; implicit-def: $vgpr1
	s_branch .LBB89_158
.LBB89_39:
	s_mov_b64 s[8:9], -1
	s_mov_b64 s[2:3], 0
	s_mov_b64 s[6:7], 0
	s_branch .LBB89_58
.LBB89_40:
	s_mov_b64 s[6:7], -1
	s_mov_b64 s[4:5], 0
	s_branch .LBB89_43
.LBB89_41:
	s_mov_b64 s[8:9], -1
	s_mov_b64 s[2:3], 0
	s_mov_b64 s[6:7], 0
	s_branch .LBB89_54
.LBB89_42:
	s_mov_b64 s[4:5], -1
.LBB89_43:
	s_mov_b64 s[2:3], 0
                                        ; implicit-def: $vgpr1
.LBB89_44:
	s_and_b64 vcc, exec, s[6:7]
	s_cbranch_vccz .LBB89_157
; %bb.45:
	s_cmp_eq_u32 s10, 44
	s_cbranch_scc0 .LBB89_156
; %bb.46:
	global_load_ubyte v1, v[2:3], off
	s_movk_i32 s4, 0xff
	v_mov_b32_e32 v4, 0x7f800001
	v_mov_b32_e32 v5, 0x400000
	s_mov_b64 s[2:3], -1
	s_waitcnt vmcnt(0)
	v_lshlrev_b32_e32 v6, 23, v1
	v_cmp_ne_u32_e32 vcc, s4, v1
	s_mov_b64 s[4:5], 0
	s_nop 0
	v_cndmask_b32_e32 v4, v4, v6, vcc
	v_cmp_ne_u32_e32 vcc, 0, v1
	s_nop 1
	v_cndmask_b32_e32 v1, v5, v4, vcc
	s_branch .LBB89_157
.LBB89_47:
	s_mov_b64 s[8:9], -1
	s_mov_b64 s[2:3], 0
	s_mov_b64 s[6:7], 0
.LBB89_48:
	s_and_b64 vcc, exec, s[8:9]
	s_cbranch_vccz .LBB89_53
; %bb.49:
	s_cmp_eq_u32 s13, 44
	s_mov_b64 s[2:3], -1
	s_cbranch_scc0 .LBB89_53
; %bb.50:
	v_bfe_u32 v3, v2, 23, 8
	s_movk_i32 s2, 0xff
	v_cmp_ne_u32_e32 vcc, s2, v3
	v_mov_b32_e32 v4, 0xff
	s_and_saveexec_b64 s[6:7], vcc
; %bb.51:
	s_mov_b32 s2, 0x3fffff
	v_and_b32_e32 v5, 0x400000, v2
	v_and_or_b32 v3, v2, s2, v3
	v_cmp_ne_u32_e32 vcc, 0, v5
	v_cmp_ne_u32_e64 s[2:3], 0, v3
	s_and_b64 s[2:3], vcc, s[2:3]
	v_lshrrev_b32_e32 v4, 23, v2
	v_cndmask_b32_e64 v3, 0, 1, s[2:3]
	v_add_u32_e32 v4, v4, v3
; %bb.52:
	s_or_b64 exec, exec, s[6:7]
	s_mov_b64 s[6:7], -1
	s_mov_b64 s[2:3], 0
	global_store_byte v[0:1], v4, off
.LBB89_53:
	s_mov_b64 s[8:9], 0
.LBB89_54:
	s_and_b64 vcc, exec, s[8:9]
	s_cbranch_vccz .LBB89_57
; %bb.55:
	s_cmp_eq_u32 s13, 29
	s_mov_b64 s[2:3], -1
	s_cbranch_scc0 .LBB89_57
; %bb.56:
	v_trunc_f32_e32 v3, v2
	v_mul_f32_e32 v4, 0x2f800000, v3
	v_floor_f32_e32 v4, v4
	v_fmamk_f32 v3, v4, 0xcf800000, v3
	v_cvt_u32_f32_e32 v5, v4
	v_cvt_u32_f32_e32 v4, v3
	s_mov_b64 s[6:7], -1
	s_mov_b64 s[2:3], 0
	s_mov_b64 s[8:9], 0
	global_store_dwordx2 v[0:1], v[4:5], off
	s_branch .LBB89_58
.LBB89_57:
	s_mov_b64 s[8:9], 0
.LBB89_58:
	s_and_b64 vcc, exec, s[8:9]
	s_cbranch_vccz .LBB89_74
; %bb.59:
	s_cmp_lt_i32 s13, 27
	s_mov_b64 s[6:7], -1
	s_cbranch_scc1 .LBB89_65
; %bb.60:
	v_cvt_u32_f32_e32 v3, v2
	s_cmp_gt_i32 s13, 27
	s_cbranch_scc0 .LBB89_62
; %bb.61:
	s_mov_b64 s[6:7], 0
	global_store_dword v[0:1], v3, off
.LBB89_62:
	s_andn2_b64 vcc, exec, s[6:7]
	s_cbranch_vccnz .LBB89_64
; %bb.63:
	global_store_short v[0:1], v3, off
.LBB89_64:
	s_mov_b64 s[6:7], 0
.LBB89_65:
	s_andn2_b64 vcc, exec, s[6:7]
	s_cbranch_vccnz .LBB89_73
; %bb.66:
	v_and_b32_e32 v3, 0x7fffffff, v2
	s_mov_b32 s6, 0x43800000
	v_cmp_gt_u32_e32 vcc, s6, v3
	v_mov_b32_e32 v4, 0x80
	s_and_saveexec_b64 s[6:7], vcc
	s_cbranch_execz .LBB89_72
; %bb.67:
	s_mov_b32 s8, 0x3bffffff
	v_cmp_lt_u32_e32 vcc, s8, v3
	s_mov_b64 s[8:9], 0
                                        ; implicit-def: $vgpr3
	s_and_saveexec_b64 s[10:11], vcc
	s_xor_b64 s[10:11], exec, s[10:11]
	s_cbranch_execz .LBB89_309
; %bb.68:
	v_bfe_u32 v3, v2, 20, 1
	s_mov_b32 s14, 0x487ffff
	v_add3_u32 v3, v2, v3, s14
	s_mov_b64 s[8:9], exec
	v_lshrrev_b32_e32 v3, 20, v3
	s_andn2_saveexec_b64 s[10:11], s[10:11]
	s_cbranch_execnz .LBB89_310
.LBB89_69:
	s_or_b64 exec, exec, s[10:11]
	v_mov_b32_e32 v4, 0
	s_and_saveexec_b64 s[10:11], s[8:9]
.LBB89_70:
	v_lshrrev_b32_e32 v4, 24, v2
	s_movk_i32 s8, 0x80
	v_and_or_b32 v4, v4, s8, v3
.LBB89_71:
	s_or_b64 exec, exec, s[10:11]
.LBB89_72:
	s_or_b64 exec, exec, s[6:7]
	global_store_byte v[0:1], v4, off
.LBB89_73:
	s_mov_b64 s[6:7], -1
.LBB89_74:
	s_mov_b64 s[8:9], 0
.LBB89_75:
	s_and_b64 vcc, exec, s[8:9]
	s_cbranch_vccz .LBB89_116
; %bb.76:
	s_cmp_gt_i32 s13, 22
	s_mov_b64 s[8:9], -1
	s_cbranch_scc0 .LBB89_108
; %bb.77:
	s_cmp_lt_i32 s13, 24
	s_mov_b64 s[6:7], -1
	s_cbranch_scc1 .LBB89_97
; %bb.78:
	s_cmp_gt_i32 s13, 24
	s_cbranch_scc0 .LBB89_86
; %bb.79:
	v_and_b32_e32 v3, 0x7fffffff, v2
	s_mov_b32 s6, 0x47800000
	v_cmp_gt_u32_e32 vcc, s6, v3
	v_mov_b32_e32 v4, 0x80
	s_and_saveexec_b64 s[6:7], vcc
	s_cbranch_execz .LBB89_85
; %bb.80:
	s_mov_b32 s8, 0x37ffffff
	v_cmp_lt_u32_e32 vcc, s8, v3
	s_mov_b64 s[8:9], 0
                                        ; implicit-def: $vgpr3
	s_and_saveexec_b64 s[10:11], vcc
	s_xor_b64 s[10:11], exec, s[10:11]
	s_cbranch_execz .LBB89_313
; %bb.81:
	v_bfe_u32 v3, v2, 21, 1
	s_mov_b32 s14, 0x88fffff
	v_add3_u32 v3, v2, v3, s14
	s_mov_b64 s[8:9], exec
	v_lshrrev_b32_e32 v3, 21, v3
	s_andn2_saveexec_b64 s[10:11], s[10:11]
	s_cbranch_execnz .LBB89_314
.LBB89_82:
	s_or_b64 exec, exec, s[10:11]
	v_mov_b32_e32 v4, 0
	s_and_saveexec_b64 s[10:11], s[8:9]
.LBB89_83:
	v_lshrrev_b32_e32 v4, 24, v2
	s_movk_i32 s8, 0x80
	v_and_or_b32 v4, v4, s8, v3
.LBB89_84:
	s_or_b64 exec, exec, s[10:11]
.LBB89_85:
	s_or_b64 exec, exec, s[6:7]
	s_mov_b64 s[6:7], 0
	global_store_byte v[0:1], v4, off
.LBB89_86:
	s_and_b64 vcc, exec, s[6:7]
	s_cbranch_vccz .LBB89_96
; %bb.87:
	v_and_b32_e32 v4, 0x7fffffff, v2
	s_mov_b32 s6, 0x43f00000
	v_cmp_gt_u32_e32 vcc, s6, v4
                                        ; implicit-def: $vgpr3
	s_and_saveexec_b64 s[6:7], vcc
	s_xor_b64 s[6:7], exec, s[6:7]
	s_cbranch_execz .LBB89_93
; %bb.88:
	s_mov_b32 s8, 0x3c7fffff
	v_cmp_lt_u32_e32 vcc, s8, v4
                                        ; implicit-def: $vgpr3
	s_and_saveexec_b64 s[8:9], vcc
	s_xor_b64 s[8:9], exec, s[8:9]
; %bb.89:
	v_bfe_u32 v3, v2, 20, 1
	s_mov_b32 s10, 0x407ffff
	v_add3_u32 v3, v2, v3, s10
	v_lshrrev_b32_e32 v4, 20, v3
	v_and_b32_e32 v3, 0xff00000, v3
	s_mov_b32 s10, 0x7f00000
	v_mov_b32_e32 v5, 0x7e
	v_cmp_ne_u32_e32 vcc, s10, v3
	s_nop 1
	v_cndmask_b32_e32 v3, v5, v4, vcc
; %bb.90:
	s_andn2_saveexec_b64 s[8:9], s[8:9]
; %bb.91:
	s_mov_b32 s10, 0x46800000
	v_add_f32_e64 v3, |v2|, s10
; %bb.92:
	s_or_b64 exec, exec, s[8:9]
                                        ; implicit-def: $vgpr4
.LBB89_93:
	s_andn2_saveexec_b64 s[6:7], s[6:7]
; %bb.94:
	s_mov_b32 s8, 0x7f800000
	v_mov_b32_e32 v3, 0x7e
	v_mov_b32_e32 v5, 0x7f
	v_cmp_lt_u32_e32 vcc, s8, v4
	s_nop 1
	v_cndmask_b32_e32 v3, v3, v5, vcc
; %bb.95:
	s_or_b64 exec, exec, s[6:7]
	v_lshrrev_b32_e32 v4, 24, v2
	s_movk_i32 s6, 0x80
	v_and_or_b32 v3, v4, s6, v3
	global_store_byte v[0:1], v3, off
.LBB89_96:
	s_mov_b64 s[6:7], 0
.LBB89_97:
	s_andn2_b64 vcc, exec, s[6:7]
	s_cbranch_vccnz .LBB89_107
; %bb.98:
	v_and_b32_e32 v4, 0x7fffffff, v2
	s_mov_b32 s6, 0x47800000
	v_cmp_gt_u32_e32 vcc, s6, v4
                                        ; implicit-def: $vgpr3
	s_and_saveexec_b64 s[6:7], vcc
	s_xor_b64 s[6:7], exec, s[6:7]
	s_cbranch_execz .LBB89_104
; %bb.99:
	s_mov_b32 s8, 0x387fffff
	v_cmp_lt_u32_e32 vcc, s8, v4
                                        ; implicit-def: $vgpr3
	s_and_saveexec_b64 s[8:9], vcc
	s_xor_b64 s[8:9], exec, s[8:9]
; %bb.100:
	v_bfe_u32 v3, v2, 21, 1
	s_mov_b32 s10, 0x80fffff
	v_add3_u32 v3, v2, v3, s10
	v_lshrrev_b32_e32 v3, 21, v3
; %bb.101:
	s_andn2_saveexec_b64 s[8:9], s[8:9]
; %bb.102:
	s_mov_b32 s10, 0x43000000
	v_add_f32_e64 v3, |v2|, s10
; %bb.103:
	s_or_b64 exec, exec, s[8:9]
                                        ; implicit-def: $vgpr4
.LBB89_104:
	s_andn2_saveexec_b64 s[6:7], s[6:7]
; %bb.105:
	s_mov_b32 s8, 0x7f800000
	v_mov_b32_e32 v3, 0x7c
	v_mov_b32_e32 v5, 0x7f
	v_cmp_lt_u32_e32 vcc, s8, v4
	s_nop 1
	v_cndmask_b32_e32 v3, v3, v5, vcc
; %bb.106:
	s_or_b64 exec, exec, s[6:7]
	v_lshrrev_b32_e32 v4, 24, v2
	s_movk_i32 s6, 0x80
	v_and_or_b32 v3, v4, s6, v3
	global_store_byte v[0:1], v3, off
.LBB89_107:
	s_mov_b64 s[8:9], 0
	s_mov_b64 s[6:7], -1
.LBB89_108:
	s_andn2_b64 vcc, exec, s[8:9]
	s_cbranch_vccnz .LBB89_116
; %bb.109:
	s_cmp_gt_i32 s13, 14
	s_mov_b64 s[8:9], -1
	s_cbranch_scc0 .LBB89_113
; %bb.110:
	s_cmp_eq_u32 s13, 15
	s_mov_b64 s[2:3], -1
	s_cbranch_scc0 .LBB89_112
; %bb.111:
	v_bfe_u32 v3, v2, 16, 1
	s_movk_i32 s2, 0x7fff
	v_add3_u32 v3, v2, v3, s2
	v_cmp_o_f32_e32 vcc, v2, v2
	v_mov_b32_e32 v4, 0x7fc0
	s_mov_b64 s[6:7], -1
	v_cndmask_b32_sdwa v3, v4, v3, vcc dst_sel:DWORD dst_unused:UNUSED_PAD src0_sel:DWORD src1_sel:WORD_1
	global_store_short v[0:1], v3, off
	s_mov_b64 s[2:3], 0
.LBB89_112:
	s_mov_b64 s[8:9], 0
.LBB89_113:
	s_and_b64 vcc, exec, s[8:9]
	s_cbranch_vccz .LBB89_116
; %bb.114:
	s_cmp_eq_u32 s13, 11
	s_mov_b64 s[2:3], -1
	s_cbranch_scc0 .LBB89_116
; %bb.115:
	v_cmp_neq_f32_e32 vcc, 0, v2
	s_mov_b64 s[6:7], -1
	s_mov_b64 s[2:3], 0
	v_cndmask_b32_e64 v3, 0, 1, vcc
	global_store_byte v[0:1], v3, off
.LBB89_116:
	s_branch .LBB89_35
.LBB89_117:
	s_and_b32 s8, 0xffff, s12
	s_cmp_lt_i32 s8, 5
	s_mov_b64 s[6:7], -1
	s_cbranch_scc1 .LBB89_138
; %bb.118:
	s_cmp_lt_i32 s8, 8
	s_cbranch_scc1 .LBB89_128
; %bb.119:
	s_cmp_lt_i32 s8, 9
	s_cbranch_scc1 .LBB89_125
; %bb.120:
	s_cmp_gt_i32 s8, 9
	s_cbranch_scc0 .LBB89_122
; %bb.121:
	v_mov_b32_e32 v6, 0
	v_cvt_f64_f32_e32 v[4:5], v2
	v_mov_b32_e32 v7, v6
	global_store_dwordx4 v[0:1], v[4:7], off
	s_mov_b64 s[6:7], 0
.LBB89_122:
	s_andn2_b64 vcc, exec, s[6:7]
	s_cbranch_vccnz .LBB89_124
; %bb.123:
	v_mov_b32_e32 v3, 0
	global_store_dwordx2 v[0:1], v[2:3], off
.LBB89_124:
	s_mov_b64 s[6:7], 0
.LBB89_125:
	s_andn2_b64 vcc, exec, s[6:7]
	s_cbranch_vccnz .LBB89_127
; %bb.126:
	v_cvt_f16_f32_e32 v3, v2
	global_store_dword v[0:1], v3, off
.LBB89_127:
	s_mov_b64 s[6:7], 0
.LBB89_128:
	s_andn2_b64 vcc, exec, s[6:7]
	s_cbranch_vccnz .LBB89_137
; %bb.129:
	s_cmp_lt_i32 s8, 6
	s_mov_b64 s[6:7], -1
	s_cbranch_scc1 .LBB89_135
; %bb.130:
	s_cmp_gt_i32 s8, 6
	s_cbranch_scc0 .LBB89_132
; %bb.131:
	v_cvt_f64_f32_e32 v[4:5], v2
	global_store_dwordx2 v[0:1], v[4:5], off
	s_mov_b64 s[6:7], 0
.LBB89_132:
	s_andn2_b64 vcc, exec, s[6:7]
	s_cbranch_vccnz .LBB89_134
; %bb.133:
	global_store_dword v[0:1], v2, off
.LBB89_134:
	s_mov_b64 s[6:7], 0
.LBB89_135:
	s_andn2_b64 vcc, exec, s[6:7]
	s_cbranch_vccnz .LBB89_137
; %bb.136:
	v_cvt_f16_f32_e32 v3, v2
	global_store_short v[0:1], v3, off
.LBB89_137:
	s_mov_b64 s[6:7], 0
.LBB89_138:
	s_andn2_b64 vcc, exec, s[6:7]
	s_cbranch_vccnz .LBB89_154
; %bb.139:
	s_cmp_lt_i32 s8, 2
	s_mov_b64 s[6:7], -1
	s_cbranch_scc1 .LBB89_149
; %bb.140:
	s_cmp_lt_i32 s8, 3
	s_cbranch_scc1 .LBB89_146
; %bb.141:
	s_cmp_gt_i32 s8, 3
	s_cbranch_scc0 .LBB89_143
; %bb.142:
	v_trunc_f32_e32 v3, v2
	s_mov_b32 s6, 0x2f800000
	v_mul_f32_e64 v4, |v3|, s6
	v_floor_f32_e32 v4, v4
	s_mov_b32 s6, 0xcf800000
	v_cvt_u32_f32_e32 v5, v4
	v_fma_f32 v4, v4, s6, |v3|
	v_cvt_u32_f32_e32 v4, v4
	v_ashrrev_i32_e32 v3, 31, v3
	v_xor_b32_e32 v5, v5, v3
	s_mov_b64 s[6:7], 0
	v_xor_b32_e32 v4, v4, v3
	v_sub_co_u32_e32 v4, vcc, v4, v3
	s_nop 1
	v_subb_co_u32_e32 v5, vcc, v5, v3, vcc
	global_store_dwordx2 v[0:1], v[4:5], off
.LBB89_143:
	s_andn2_b64 vcc, exec, s[6:7]
	s_cbranch_vccnz .LBB89_145
; %bb.144:
	v_cvt_i32_f32_e32 v3, v2
	global_store_dword v[0:1], v3, off
.LBB89_145:
	s_mov_b64 s[6:7], 0
.LBB89_146:
	s_andn2_b64 vcc, exec, s[6:7]
	s_cbranch_vccnz .LBB89_148
; %bb.147:
	v_cvt_i32_f32_e32 v3, v2
	global_store_short v[0:1], v3, off
.LBB89_148:
	s_mov_b64 s[6:7], 0
.LBB89_149:
	s_andn2_b64 vcc, exec, s[6:7]
	s_cbranch_vccnz .LBB89_154
; %bb.150:
	s_cmp_gt_i32 s8, 0
	s_mov_b64 s[6:7], -1
	s_cbranch_scc0 .LBB89_152
; %bb.151:
	v_cvt_i32_f32_e32 v3, v2
	s_mov_b64 s[6:7], 0
	global_store_byte v[0:1], v3, off
.LBB89_152:
	s_andn2_b64 vcc, exec, s[6:7]
	s_cbranch_vccnz .LBB89_154
; %bb.153:
	v_trunc_f32_e32 v2, v2
	s_mov_b32 s6, 0x2f800000
	v_mul_f32_e64 v3, |v2|, s6
	v_floor_f32_e32 v3, v3
	s_mov_b32 s6, 0xcf800000
	v_fma_f32 v3, v3, s6, |v2|
	v_cvt_u32_f32_e32 v3, v3
	v_ashrrev_i32_e32 v2, 31, v2
	v_xor_b32_e32 v3, v3, v2
	v_sub_u32_e32 v2, v3, v2
	global_store_byte v[0:1], v2, off
.LBB89_154:
.LBB89_155:
	v_add_u32_e32 v8, 0x80, v8
	s_mov_b64 s[6:7], -1
	s_branch .LBB89_266
.LBB89_156:
	s_mov_b64 s[4:5], -1
                                        ; implicit-def: $vgpr1
.LBB89_157:
	s_mov_b64 s[6:7], 0
.LBB89_158:
	s_and_b64 vcc, exec, s[6:7]
	s_cbranch_vccz .LBB89_162
; %bb.159:
	s_cmp_eq_u32 s10, 29
	s_cbranch_scc0 .LBB89_161
; %bb.160:
	global_load_dwordx2 v[4:5], v[2:3], off
	s_mov_b64 s[2:3], -1
	s_mov_b64 s[4:5], 0
	s_mov_b64 s[6:7], 0
	s_waitcnt vmcnt(0)
	v_ffbh_u32_e32 v1, v5
	v_min_u32_e32 v1, 32, v1
	v_lshlrev_b64 v[4:5], v1, v[4:5]
	v_min_u32_e32 v4, 1, v4
	v_or_b32_e32 v4, v5, v4
	v_cvt_f32_u32_e32 v4, v4
	v_sub_u32_e32 v1, 32, v1
	v_ldexp_f32 v1, v4, v1
	s_branch .LBB89_163
.LBB89_161:
	s_mov_b64 s[4:5], -1
                                        ; implicit-def: $vgpr1
.LBB89_162:
	s_mov_b64 s[6:7], 0
.LBB89_163:
	s_and_b64 vcc, exec, s[6:7]
	s_cbranch_vccz .LBB89_181
; %bb.164:
	s_cmp_lt_i32 s10, 27
	s_cbranch_scc1 .LBB89_167
; %bb.165:
	s_cmp_gt_i32 s10, 27
	s_cbranch_scc0 .LBB89_168
; %bb.166:
	global_load_dword v1, v[2:3], off
	s_mov_b64 s[2:3], 0
	s_waitcnt vmcnt(0)
	v_cvt_f32_u32_e32 v1, v1
	s_branch .LBB89_169
.LBB89_167:
	s_mov_b64 s[2:3], -1
                                        ; implicit-def: $vgpr1
	s_branch .LBB89_172
.LBB89_168:
	s_mov_b64 s[2:3], -1
                                        ; implicit-def: $vgpr1
.LBB89_169:
	s_andn2_b64 vcc, exec, s[2:3]
	s_cbranch_vccnz .LBB89_171
; %bb.170:
	global_load_ushort v1, v[2:3], off
	s_waitcnt vmcnt(0)
	v_cvt_f32_u32_e32 v1, v1
.LBB89_171:
	s_mov_b64 s[2:3], 0
.LBB89_172:
	s_andn2_b64 vcc, exec, s[2:3]
	s_cbranch_vccnz .LBB89_180
; %bb.173:
	global_load_ubyte v4, v[2:3], off
	s_movk_i32 s2, 0x7f
	s_waitcnt vmcnt(0)
	v_cmp_lt_i16_e32 vcc, s2, v4
	s_mov_b64 s[2:3], 0
	s_and_saveexec_b64 s[6:7], vcc
	s_xor_b64 s[6:7], exec, s[6:7]
	s_cbranch_execz .LBB89_193
; %bb.174:
	s_movk_i32 s2, 0x80
	v_cmp_eq_u16_e32 vcc, s2, v4
	s_mov_b64 s[2:3], -1
	s_and_saveexec_b64 s[8:9], vcc
; %bb.175:
	s_xor_b64 s[2:3], exec, -1
; %bb.176:
	s_or_b64 exec, exec, s[8:9]
	s_and_b64 s[2:3], s[2:3], exec
	s_or_saveexec_b64 s[6:7], s[6:7]
	v_mov_b32_e32 v1, 0x7f800001
	s_xor_b64 exec, exec, s[6:7]
	s_cbranch_execnz .LBB89_194
.LBB89_177:
	s_or_b64 exec, exec, s[6:7]
	s_and_saveexec_b64 s[6:7], s[2:3]
	s_cbranch_execz .LBB89_179
.LBB89_178:
	v_lshlrev_b32_e32 v1, 24, v4
	v_and_b32_e32 v4, 0xffff, v4
	v_and_b32_e32 v5, 7, v4
	v_ffbh_u32_e32 v7, v5
	v_min_u32_e32 v7, 32, v7
	v_subrev_u32_e32 v9, 28, v7
	v_bfe_u32 v6, v4, 3, 4
	v_lshlrev_b32_e32 v4, v9, v4
	v_sub_u32_e32 v7, 29, v7
	v_and_b32_e32 v4, 7, v4
	v_cmp_eq_u32_e32 vcc, 0, v6
	v_and_b32_e32 v1, 0x80000000, v1
	s_nop 0
	v_cndmask_b32_e32 v6, v6, v7, vcc
	v_cndmask_b32_e32 v4, v5, v4, vcc
	v_mov_b32_e32 v5, 0x3b800000
	v_lshlrev_b32_e32 v4, 20, v4
	v_lshl_add_u32 v5, v6, 23, v5
	v_or3_b32 v1, v1, v5, v4
.LBB89_179:
	s_or_b64 exec, exec, s[6:7]
.LBB89_180:
	s_mov_b64 s[2:3], -1
.LBB89_181:
	s_branch .LBB89_216
.LBB89_182:
	s_cmp_gt_i32 s10, 22
	s_cbranch_scc0 .LBB89_192
; %bb.183:
	s_cmp_lt_i32 s10, 24
	s_cbranch_scc1 .LBB89_195
; %bb.184:
	s_cmp_gt_i32 s10, 24
	s_cbranch_scc0 .LBB89_196
; %bb.185:
	global_load_ubyte v4, v[2:3], off
	s_movk_i32 s2, 0x7f
	s_waitcnt vmcnt(0)
	v_cmp_lt_i16_e32 vcc, s2, v4
	s_mov_b64 s[2:3], 0
	s_and_saveexec_b64 s[6:7], vcc
	s_xor_b64 s[6:7], exec, s[6:7]
	s_cbranch_execz .LBB89_208
; %bb.186:
	s_movk_i32 s2, 0x80
	v_cmp_eq_u16_e32 vcc, s2, v4
	s_mov_b64 s[2:3], -1
	s_and_saveexec_b64 s[8:9], vcc
; %bb.187:
	s_xor_b64 s[2:3], exec, -1
; %bb.188:
	s_or_b64 exec, exec, s[8:9]
	s_and_b64 s[2:3], s[2:3], exec
	s_or_saveexec_b64 s[6:7], s[6:7]
	v_mov_b32_e32 v1, 0x7f800001
	s_xor_b64 exec, exec, s[6:7]
	s_cbranch_execnz .LBB89_209
.LBB89_189:
	s_or_b64 exec, exec, s[6:7]
	s_and_saveexec_b64 s[6:7], s[2:3]
	s_cbranch_execz .LBB89_191
.LBB89_190:
	v_lshlrev_b32_e32 v1, 24, v4
	v_and_b32_e32 v4, 0xffff, v4
	v_and_b32_e32 v5, 3, v4
	v_ffbh_u32_e32 v7, v5
	v_min_u32_e32 v7, 32, v7
	v_subrev_u32_e32 v9, 29, v7
	v_bfe_u32 v6, v4, 2, 5
	v_lshlrev_b32_e32 v4, v9, v4
	v_sub_u32_e32 v7, 30, v7
	v_and_b32_e32 v4, 3, v4
	v_cmp_eq_u32_e32 vcc, 0, v6
	v_and_b32_e32 v1, 0x80000000, v1
	s_nop 0
	v_cndmask_b32_e32 v6, v6, v7, vcc
	v_cndmask_b32_e32 v4, v5, v4, vcc
	v_mov_b32_e32 v5, 0x37800000
	v_lshlrev_b32_e32 v4, 21, v4
	v_lshl_add_u32 v5, v6, 23, v5
	v_or3_b32 v1, v1, v5, v4
.LBB89_191:
	s_or_b64 exec, exec, s[6:7]
	s_mov_b64 s[2:3], 0
	s_branch .LBB89_197
.LBB89_192:
	s_mov_b64 s[6:7], -1
                                        ; implicit-def: $vgpr1
	s_branch .LBB89_203
.LBB89_193:
	s_or_saveexec_b64 s[6:7], s[6:7]
	v_mov_b32_e32 v1, 0x7f800001
	s_xor_b64 exec, exec, s[6:7]
	s_cbranch_execz .LBB89_177
.LBB89_194:
	v_cmp_ne_u16_e32 vcc, 0, v4
	s_andn2_b64 s[2:3], s[2:3], exec
	s_and_b64 s[8:9], vcc, exec
	v_mov_b32_e32 v1, 0
	s_or_b64 s[2:3], s[2:3], s[8:9]
	s_or_b64 exec, exec, s[6:7]
	s_and_saveexec_b64 s[6:7], s[2:3]
	s_cbranch_execnz .LBB89_178
	s_branch .LBB89_179
.LBB89_195:
	s_mov_b64 s[2:3], -1
                                        ; implicit-def: $vgpr1
	s_branch .LBB89_200
.LBB89_196:
	s_mov_b64 s[2:3], -1
                                        ; implicit-def: $vgpr1
.LBB89_197:
	s_and_b64 vcc, exec, s[2:3]
	s_cbranch_vccz .LBB89_199
; %bb.198:
	global_load_ubyte v1, v[2:3], off
	s_mov_b32 s2, 0x7f800000
	s_waitcnt vmcnt(0)
	v_lshlrev_b32_e32 v1, 24, v1
	v_and_b32_e32 v4, 0x7f000000, v1
	v_ffbh_u32_e32 v5, v4
	v_min_u32_e32 v5, 32, v5
	v_sub_u32_e64 v5, v5, 4 clamp
	v_lshlrev_b32_e32 v7, v5, v4
	v_lshlrev_b32_e32 v5, 23, v5
	v_lshrrev_b32_e32 v7, 4, v7
	v_add_u32_e32 v6, 0x1000000, v4
	v_sub_u32_e32 v5, v7, v5
	v_ashrrev_i32_e32 v6, 8, v6
	v_add_u32_e32 v5, 0x3c000000, v5
	v_and_or_b32 v5, v6, s2, v5
	v_cmp_ne_u32_e32 vcc, 0, v4
	s_brev_b32 s2, 1
	s_nop 0
	v_cndmask_b32_e32 v4, 0, v5, vcc
	v_and_or_b32 v1, v1, s2, v4
.LBB89_199:
	s_mov_b64 s[2:3], 0
.LBB89_200:
	s_andn2_b64 vcc, exec, s[2:3]
	s_cbranch_vccnz .LBB89_202
; %bb.201:
	global_load_ubyte v1, v[2:3], off
	s_movk_i32 s2, 0x7f00
	s_brev_b32 s3, 16
	s_waitcnt vmcnt(0)
	v_lshlrev_b16_e32 v4, 8, v1
	v_lshlrev_b32_e32 v1, 25, v1
	v_lshrrev_b32_e32 v5, 4, v1
	v_and_or_b32 v6, v4, s2, 0.5
	v_or_b32_e32 v5, 0x70000000, v5
	v_add_f32_e32 v6, -0.5, v6
	v_mul_f32_e32 v5, 0x7800000, v5
	v_cmp_gt_u32_e32 vcc, s3, v1
	v_bfe_i32 v4, v4, 0, 16
	s_brev_b32 s2, 1
	v_cndmask_b32_e32 v1, v5, v6, vcc
	v_and_or_b32 v1, v4, s2, v1
.LBB89_202:
	s_mov_b64 s[6:7], 0
	s_mov_b64 s[2:3], -1
.LBB89_203:
	s_andn2_b64 vcc, exec, s[6:7]
	s_cbranch_vccnz .LBB89_216
; %bb.204:
	s_cmp_gt_i32 s10, 14
	s_cbranch_scc0 .LBB89_207
; %bb.205:
	s_cmp_eq_u32 s10, 15
	s_cbranch_scc0 .LBB89_210
; %bb.206:
	global_load_ushort v1, v[2:3], off
	s_mov_b64 s[2:3], -1
	s_mov_b64 s[4:5], 0
	s_waitcnt vmcnt(0)
	v_lshlrev_b32_e32 v1, 16, v1
	s_branch .LBB89_211
.LBB89_207:
	s_mov_b64 s[6:7], -1
                                        ; implicit-def: $vgpr1
	s_branch .LBB89_212
.LBB89_208:
	s_or_saveexec_b64 s[6:7], s[6:7]
	v_mov_b32_e32 v1, 0x7f800001
	s_xor_b64 exec, exec, s[6:7]
	s_cbranch_execz .LBB89_189
.LBB89_209:
	v_cmp_ne_u16_e32 vcc, 0, v4
	s_andn2_b64 s[2:3], s[2:3], exec
	s_and_b64 s[8:9], vcc, exec
	v_mov_b32_e32 v1, 0
	s_or_b64 s[2:3], s[2:3], s[8:9]
	s_or_b64 exec, exec, s[6:7]
	s_and_saveexec_b64 s[6:7], s[2:3]
	s_cbranch_execnz .LBB89_190
	s_branch .LBB89_191
.LBB89_210:
	s_mov_b64 s[4:5], -1
                                        ; implicit-def: $vgpr1
.LBB89_211:
	s_mov_b64 s[6:7], 0
.LBB89_212:
	s_and_b64 vcc, exec, s[6:7]
	s_cbranch_vccz .LBB89_216
; %bb.213:
	s_cmp_eq_u32 s10, 11
	s_cbranch_scc0 .LBB89_215
; %bb.214:
	global_load_ubyte v1, v[2:3], off
	s_mov_b64 s[2:3], -1
	s_mov_b64 s[4:5], 0
	s_waitcnt vmcnt(0)
	v_cmp_ne_u16_e32 vcc, 0, v1
	s_nop 1
	v_cndmask_b32_e64 v1, 0, 1.0, vcc
	s_branch .LBB89_216
.LBB89_215:
	s_mov_b64 s[4:5], -1
                                        ; implicit-def: $vgpr1
.LBB89_216:
	s_branch .LBB89_25
.LBB89_217:
	s_cmp_lt_i32 s10, 5
	s_cbranch_scc1 .LBB89_222
; %bb.218:
	s_cmp_lt_i32 s10, 8
	s_cbranch_scc1 .LBB89_223
; %bb.219:
	;; [unrolled: 3-line block ×3, first 2 shown]
	s_cmp_gt_i32 s10, 9
	s_cbranch_scc0 .LBB89_225
; %bb.221:
	global_load_dwordx2 v[4:5], v[2:3], off
	s_mov_b64 s[2:3], 0
	s_waitcnt vmcnt(0)
	v_cvt_f32_f64_e32 v1, v[4:5]
	s_branch .LBB89_226
.LBB89_222:
                                        ; implicit-def: $vgpr1
	s_branch .LBB89_244
.LBB89_223:
	s_mov_b64 s[2:3], -1
                                        ; implicit-def: $vgpr1
	s_branch .LBB89_232
.LBB89_224:
	s_mov_b64 s[2:3], -1
                                        ; implicit-def: $vgpr1
	s_branch .LBB89_229
.LBB89_225:
	s_mov_b64 s[2:3], -1
                                        ; implicit-def: $vgpr1
.LBB89_226:
	s_andn2_b64 vcc, exec, s[2:3]
	s_cbranch_vccnz .LBB89_228
; %bb.227:
	global_load_dword v1, v[2:3], off
.LBB89_228:
	s_mov_b64 s[2:3], 0
.LBB89_229:
	s_andn2_b64 vcc, exec, s[2:3]
	s_cbranch_vccnz .LBB89_231
; %bb.230:
	global_load_dword v1, v[2:3], off
	s_waitcnt vmcnt(0)
	v_cvt_f32_f16_e32 v1, v1
.LBB89_231:
	s_mov_b64 s[2:3], 0
.LBB89_232:
	s_andn2_b64 vcc, exec, s[2:3]
	s_cbranch_vccnz .LBB89_243
; %bb.233:
	s_cmp_lt_i32 s10, 6
	s_cbranch_scc1 .LBB89_236
; %bb.234:
	s_cmp_gt_i32 s10, 6
	s_cbranch_scc0 .LBB89_237
; %bb.235:
	global_load_dwordx2 v[4:5], v[2:3], off
	s_mov_b64 s[2:3], 0
	s_waitcnt vmcnt(0)
	v_cvt_f32_f64_e32 v1, v[4:5]
	s_branch .LBB89_238
.LBB89_236:
	s_mov_b64 s[2:3], -1
                                        ; implicit-def: $vgpr1
	s_branch .LBB89_241
.LBB89_237:
	s_mov_b64 s[2:3], -1
                                        ; implicit-def: $vgpr1
.LBB89_238:
	s_andn2_b64 vcc, exec, s[2:3]
	s_cbranch_vccnz .LBB89_240
; %bb.239:
	global_load_dword v1, v[2:3], off
.LBB89_240:
	s_mov_b64 s[2:3], 0
.LBB89_241:
	s_andn2_b64 vcc, exec, s[2:3]
	s_cbranch_vccnz .LBB89_243
; %bb.242:
	global_load_ushort v1, v[2:3], off
	s_waitcnt vmcnt(0)
	v_cvt_f32_f16_e32 v1, v1
.LBB89_243:
	s_cbranch_execnz .LBB89_263
.LBB89_244:
	s_cmp_lt_i32 s10, 2
	s_cbranch_scc1 .LBB89_248
; %bb.245:
	s_cmp_lt_i32 s10, 3
	s_cbranch_scc1 .LBB89_249
; %bb.246:
	s_cmp_gt_i32 s10, 3
	s_cbranch_scc0 .LBB89_250
; %bb.247:
	global_load_dwordx2 v[4:5], v[2:3], off
	s_mov_b64 s[2:3], 0
	s_waitcnt vmcnt(0)
	v_xor_b32_e32 v6, v4, v5
	v_ffbh_i32_e32 v1, v5
	v_ashrrev_i32_e32 v6, 31, v6
	v_add_u32_e32 v1, -1, v1
	v_add_u32_e32 v6, 32, v6
	v_min_u32_e32 v1, v1, v6
	v_lshlrev_b64 v[4:5], v1, v[4:5]
	v_min_u32_e32 v4, 1, v4
	v_or_b32_e32 v4, v5, v4
	v_cvt_f32_i32_e32 v4, v4
	v_sub_u32_e32 v1, 32, v1
	v_ldexp_f32 v1, v4, v1
	s_branch .LBB89_251
.LBB89_248:
	s_mov_b64 s[2:3], -1
                                        ; implicit-def: $vgpr1
	s_branch .LBB89_257
.LBB89_249:
	s_mov_b64 s[2:3], -1
                                        ; implicit-def: $vgpr1
	s_branch .LBB89_254
.LBB89_250:
	s_mov_b64 s[2:3], -1
                                        ; implicit-def: $vgpr1
.LBB89_251:
	s_andn2_b64 vcc, exec, s[2:3]
	s_cbranch_vccnz .LBB89_253
; %bb.252:
	global_load_dword v1, v[2:3], off
	s_waitcnt vmcnt(0)
	v_cvt_f32_i32_e32 v1, v1
.LBB89_253:
	s_mov_b64 s[2:3], 0
.LBB89_254:
	s_andn2_b64 vcc, exec, s[2:3]
	s_cbranch_vccnz .LBB89_256
; %bb.255:
	global_load_sshort v1, v[2:3], off
	s_waitcnt vmcnt(0)
	v_cvt_f32_i32_e32 v1, v1
.LBB89_256:
	s_mov_b64 s[2:3], 0
.LBB89_257:
	s_andn2_b64 vcc, exec, s[2:3]
	s_cbranch_vccnz .LBB89_263
; %bb.258:
	s_cmp_gt_i32 s10, 0
	s_cbranch_scc0 .LBB89_260
; %bb.259:
	global_load_sbyte v1, v[2:3], off
	s_mov_b64 s[2:3], 0
	s_waitcnt vmcnt(0)
	v_cvt_f32_i32_e32 v1, v1
	s_branch .LBB89_261
.LBB89_260:
	s_mov_b64 s[2:3], -1
                                        ; implicit-def: $vgpr1
.LBB89_261:
	s_andn2_b64 vcc, exec, s[2:3]
	s_cbranch_vccnz .LBB89_263
; %bb.262:
	global_load_ubyte v1, v[2:3], off
	s_waitcnt vmcnt(0)
	v_cvt_f32_ubyte0_e32 v1, v1
.LBB89_263:
	s_branch .LBB89_26
.LBB89_264:
	s_mov_b64 s[2:3], 0
.LBB89_265:
	s_mov_b64 s[6:7], 0
                                        ; implicit-def: $vgpr8
.LBB89_266:
	s_and_b64 s[54:55], s[2:3], exec
	s_and_b64 s[56:57], s[4:5], exec
	s_orn2_b64 s[4:5], s[6:7], exec
.LBB89_267:
	s_or_b64 exec, exec, s[58:59]
	s_mov_b64 s[8:9], 0
	s_mov_b64 s[2:3], 0
                                        ; implicit-def: $vgpr2_vgpr3
                                        ; implicit-def: $vgpr0
                                        ; implicit-def: $vgpr1
	s_and_saveexec_b64 s[58:59], s[4:5]
	s_cbranch_execz .LBB89_275
; %bb.268:
	v_cmp_gt_i32_e32 vcc, s70, v8
	s_mov_b64 s[2:3], -1
	s_mov_b64 s[60:61], s[56:57]
	s_mov_b64 s[62:63], s[54:55]
	s_and_saveexec_b64 s[64:65], vcc
	s_cbranch_execz .LBB89_544
; %bb.269:
	s_andn2_b64 vcc, exec, s[42:43]
	s_cbranch_vccnz .LBB89_278
; %bb.270:
	s_andn2_b64 vcc, exec, s[52:53]
	s_cbranch_vccnz .LBB89_279
; %bb.271:
	s_add_i32 s63, s75, 1
	s_cmp_eq_u32 s72, 2
	s_cbranch_scc1 .LBB89_280
; %bb.272:
	s_and_b32 s62, s63, 28
	s_mov_b32 s66, 0
	v_mov_b32_e32 v0, 0
	v_mov_b32_e32 v2, 0
	s_mov_b64 s[2:3], s[34:35]
	s_mov_b64 s[60:61], s[50:51]
	v_mov_b32_e32 v4, v8
.LBB89_273:                             ; =>This Inner Loop Header: Depth=1
	s_load_dwordx8 s[12:19], s[2:3], 0x4
	s_load_dwordx4 s[36:39], s[2:3], 0x24
	s_load_dwordx8 s[4:11], s[60:61], 0x0
	s_add_u32 s2, s2, 48
	s_addc_u32 s3, s3, 0
	s_waitcnt vmcnt(0) lgkmcnt(0)
	v_mul_hi_u32 v1, s13, v4
	v_add_u32_e32 v1, v4, v1
	v_lshrrev_b32_e32 v1, s14, v1
	v_mul_lo_u32 v3, v1, s12
	v_mul_hi_u32 v5, s16, v1
	v_sub_u32_e32 v3, v4, v3
	v_add_u32_e32 v4, v1, v5
	v_lshrrev_b32_e32 v4, s17, v4
	v_mul_lo_u32 v6, v4, s15
	v_mul_hi_u32 v7, s19, v4
	v_sub_u32_e32 v1, v1, v6
	v_add_u32_e32 v6, v4, v7
	v_mul_lo_u32 v5, v3, s5
	v_mul_lo_u32 v3, v3, s4
	;; [unrolled: 1-line block ×4, first 2 shown]
	v_lshrrev_b32_e32 v6, s36, v6
	v_add3_u32 v0, v3, v0, v1
	v_mul_hi_u32 v3, s38, v6
	v_add3_u32 v1, v5, v2, v7
	v_mul_lo_u32 v2, v6, s18
	v_add_u32_e32 v3, v6, v3
	v_sub_u32_e32 v2, v4, v2
	v_lshrrev_b32_e32 v4, s39, v3
	s_add_i32 s66, s66, 4
	v_mul_lo_u32 v3, v4, s37
	s_add_u32 s60, s60, 32
	v_sub_u32_e32 v3, v6, v3
	s_addc_u32 s61, s61, 0
	v_mul_lo_u32 v5, v2, s8
	v_mul_lo_u32 v2, v2, s9
	;; [unrolled: 1-line block ×4, first 2 shown]
	s_cmp_eq_u32 s62, s66
	v_add3_u32 v2, v2, v1, v3
	v_add3_u32 v0, v5, v0, v6
	s_cbranch_scc0 .LBB89_273
; %bb.274:
	v_mov_b32_e32 v1, v2
	s_branch .LBB89_281
.LBB89_275:
	s_or_b64 exec, exec, s[58:59]
	s_mov_b64 s[4:5], 0
	s_and_saveexec_b64 s[6:7], s[56:57]
	s_cbranch_execnz .LBB89_922
.LBB89_276:
	s_or_b64 exec, exec, s[6:7]
	s_and_saveexec_b64 s[6:7], s[62:63]
	s_xor_b64 s[6:7], exec, s[6:7]
	s_cbranch_execz .LBB89_923
.LBB89_277:
	global_load_ubyte v1, v[2:3], off
	s_or_b64 s[2:3], s[2:3], exec
	s_waitcnt vmcnt(0)
	v_cmp_ne_u16_e32 vcc, 0, v1
	s_nop 1
	v_cndmask_b32_e64 v1, 0, 1.0, vcc
	s_or_b64 exec, exec, s[6:7]
	s_and_saveexec_b64 s[6:7], s[8:9]
	s_cbranch_execz .LBB89_969
	s_branch .LBB89_924
.LBB89_278:
                                        ; implicit-def: $vgpr2
                                        ; implicit-def: $vgpr0
	s_andn2_b64 vcc, exec, s[2:3]
	s_cbranch_vccz .LBB89_285
	s_branch .LBB89_287
.LBB89_279:
	v_mov_b32_e32 v2, 0
	v_mov_b32_e32 v0, 0
	s_branch .LBB89_284
.LBB89_280:
	v_mov_b32_e32 v0, 0
	s_mov_b32 s62, 0
	s_waitcnt vmcnt(0)
	v_mov_b32_e32 v1, v0
                                        ; implicit-def: $vgpr2
	v_mov_b32_e32 v4, v8
.LBB89_281:
	s_and_b32 s6, s63, 3
	s_cmp_eq_u32 s6, 0
	s_cbranch_scc1 .LBB89_284
; %bb.282:
	s_lshl_b32 s2, s62, 3
	s_add_u32 s2, s34, s2
	s_addc_u32 s3, s35, 0
	s_add_u32 s2, s2, 0xc4
	s_addc_u32 s3, s3, 0
	s_mul_i32 s4, s62, 12
	s_add_u32 s4, s34, s4
	s_addc_u32 s5, s35, 0
.LBB89_283:                             ; =>This Inner Loop Header: Depth=1
	s_load_dwordx2 s[8:9], s[4:5], 0x4
	s_load_dword s7, s[4:5], 0xc
	s_load_dwordx2 s[10:11], s[2:3], 0x0
	v_mov_b32_e32 v2, v1
	s_add_u32 s4, s4, 12
	s_waitcnt lgkmcnt(0)
	v_mul_hi_u32 v1, s9, v4
	v_add_u32_e32 v1, v4, v1
	v_lshrrev_b32_e32 v1, s7, v1
	s_addc_u32 s5, s5, 0
	v_mul_lo_u32 v3, v1, s8
	s_add_u32 s2, s2, 8
	v_sub_u32_e32 v5, v4, v3
	s_addc_u32 s3, s3, 0
	s_add_i32 s6, s6, -1
	v_mov_b32_e32 v4, v1
	v_mad_u64_u32 v[2:3], s[8:9], v5, s11, v[2:3]
	v_mad_u64_u32 v[0:1], s[8:9], v5, s10, v[0:1]
	s_cmp_lg_u32 s6, 0
	v_mov_b32_e32 v1, v2
	s_cbranch_scc1 .LBB89_283
.LBB89_284:
	s_cbranch_execnz .LBB89_287
.LBB89_285:
	s_waitcnt lgkmcnt(0)
	v_mul_hi_u32 v0, s29, v8
	v_add_u32_e32 v0, v8, v0
	s_waitcnt vmcnt(0)
	v_lshrrev_b32_e32 v1, s30, v0
	v_mul_lo_u32 v0, v1, s28
	v_sub_u32_e32 v0, v8, v0
	v_mul_lo_u32 v2, v0, s25
	s_andn2_b64 vcc, exec, s[48:49]
	v_mul_lo_u32 v0, v0, s24
	s_cbranch_vccnz .LBB89_287
; %bb.286:
	v_mul_hi_u32 v3, s46, v1
	v_add_u32_e32 v3, v1, v3
	v_lshrrev_b32_e32 v3, s47, v3
	v_mul_lo_u32 v3, v3, s31
	v_sub_u32_e32 v3, v1, v3
	v_mad_u64_u32 v[0:1], s[2:3], v3, s26, v[0:1]
	v_mad_u64_u32 v[2:3], s[2:3], v3, s27, v[2:3]
.LBB89_287:
	v_mov_b32_e32 v3, 0
	s_and_b32 s10, 0xffff, s74
	s_cmp_lt_i32 s10, 11
	s_waitcnt lgkmcnt(0)
	v_lshl_add_u64 v[2:3], s[22:23], 0, v[2:3]
	s_cbranch_scc1 .LBB89_294
; %bb.288:
	s_cmp_gt_i32 s10, 25
	s_cbranch_scc0 .LBB89_303
; %bb.289:
	s_cmp_gt_i32 s10, 28
	s_cbranch_scc0 .LBB89_305
	;; [unrolled: 3-line block ×4, first 2 shown]
; %bb.292:
	s_cmp_eq_u32 s10, 46
	s_mov_b64 s[6:7], 0
	s_cbranch_scc0 .LBB89_315
; %bb.293:
	global_load_dword v1, v[2:3], off
	s_mov_b64 s[2:3], -1
	s_mov_b64 s[4:5], 0
	s_waitcnt vmcnt(0)
	v_lshlrev_b32_e32 v1, 16, v1
	s_branch .LBB89_316
.LBB89_294:
	s_mov_b64 s[2:3], 0
                                        ; implicit-def: $vgpr1
	s_mov_b64 s[4:5], s[56:57]
	s_cbranch_execnz .LBB89_493
.LBB89_295:
	s_andn2_b64 vcc, exec, s[2:3]
	s_cbranch_vccnz .LBB89_541
.LBB89_296:
	s_waitcnt vmcnt(0)
	v_mul_f32_e32 v2, 0x3fb8aa3b, v1
	s_mov_b32 s2, 0x3fb8aa3b
	v_rndne_f32_e32 v3, v2
	v_sub_f32_e32 v4, v2, v3
	v_fma_f32 v2, v1, s2, -v2
	v_fmamk_f32 v2, v1, 0x32a5705f, v2
	v_add_f32_e32 v2, v4, v2
	v_exp_f32_e32 v2, v2
	v_cvt_i32_f32_e32 v3, v3
	s_mov_b32 s2, 0xc2ce8ed0
	v_cmp_ngt_f32_e32 vcc, s2, v1
	s_mov_b32 s2, 0x42b17218
	v_ldexp_f32 v2, v2, v3
	v_cndmask_b32_e32 v2, 0, v2, vcc
	v_mov_b32_e32 v3, 0x7f800000
	v_cmp_nlt_f32_e32 vcc, s2, v1
	v_mov_b32_e32 v1, 0
	s_and_b32 s12, s73, 0xff
	v_cndmask_b32_e32 v2, v3, v2, vcc
	s_cmp_lt_i32 s12, 11
	v_lshl_add_u64 v[0:1], s[20:21], 0, v[0:1]
	s_cbranch_scc1 .LBB89_304
; %bb.297:
	s_and_b32 s13, 0xffff, s12
	s_cmp_gt_i32 s13, 25
	s_cbranch_scc0 .LBB89_306
; %bb.298:
	s_cmp_gt_i32 s13, 28
	s_cbranch_scc0 .LBB89_308
; %bb.299:
	;; [unrolled: 3-line block ×4, first 2 shown]
	s_mov_b64 s[8:9], 0
	s_mov_b64 s[2:3], -1
	s_cmp_eq_u32 s13, 46
	s_mov_b64 s[6:7], 0
	s_cbranch_scc0 .LBB89_320
; %bb.302:
	v_bfe_u32 v3, v2, 16, 1
	s_movk_i32 s2, 0x7fff
	v_add3_u32 v3, v2, v3, s2
	v_cmp_o_f32_e32 vcc, v2, v2
	v_mov_b32_e32 v4, 0x7fc0
	s_mov_b64 s[6:7], -1
	v_cndmask_b32_sdwa v3, v4, v3, vcc dst_sel:DWORD dst_unused:UNUSED_PAD src0_sel:DWORD src1_sel:WORD_1
	global_store_dword v[0:1], v3, off
	s_mov_b64 s[2:3], 0
	s_branch .LBB89_320
.LBB89_303:
	s_mov_b64 s[6:7], -1
	s_mov_b64 s[2:3], 0
	s_mov_b64 s[4:5], s[56:57]
                                        ; implicit-def: $vgpr1
	s_branch .LBB89_457
.LBB89_304:
	s_mov_b64 s[8:9], -1
	s_mov_b64 s[6:7], 0
	s_mov_b64 s[2:3], s[54:55]
	s_branch .LBB89_389
.LBB89_305:
	s_mov_b64 s[6:7], -1
	s_mov_b64 s[2:3], 0
	s_mov_b64 s[4:5], s[56:57]
                                        ; implicit-def: $vgpr1
	s_branch .LBB89_438
.LBB89_306:
	s_mov_b64 s[8:9], -1
	s_mov_b64 s[6:7], 0
	s_mov_b64 s[2:3], s[54:55]
	s_branch .LBB89_347
.LBB89_307:
	s_mov_b64 s[6:7], -1
	s_mov_b64 s[2:3], 0
	s_mov_b64 s[4:5], s[56:57]
                                        ; implicit-def: $vgpr1
	s_branch .LBB89_433
.LBB89_308:
	s_mov_b64 s[8:9], -1
	s_mov_b64 s[6:7], 0
	s_mov_b64 s[2:3], s[54:55]
	s_branch .LBB89_330
.LBB89_309:
	s_andn2_saveexec_b64 s[10:11], s[10:11]
	s_cbranch_execz .LBB89_69
.LBB89_310:
	s_mov_b32 s14, 0x46000000
	v_add_f32_e64 v3, |v2|, s14
	v_and_b32_e32 v3, 0xff, v3
	v_cmp_ne_u32_e32 vcc, 0, v3
	s_andn2_b64 s[8:9], s[8:9], exec
	s_and_b64 s[14:15], vcc, exec
	s_or_b64 s[8:9], s[8:9], s[14:15]
	s_or_b64 exec, exec, s[10:11]
	v_mov_b32_e32 v4, 0
	s_and_saveexec_b64 s[10:11], s[8:9]
	s_cbranch_execnz .LBB89_70
	s_branch .LBB89_71
.LBB89_311:
	s_mov_b64 s[6:7], -1
	s_mov_b64 s[2:3], 0
	s_mov_b64 s[4:5], s[56:57]
                                        ; implicit-def: $vgpr1
	s_branch .LBB89_316
.LBB89_312:
	s_mov_b64 s[8:9], -1
	s_mov_b64 s[6:7], 0
	s_mov_b64 s[2:3], s[54:55]
	s_branch .LBB89_326
.LBB89_313:
	s_andn2_saveexec_b64 s[10:11], s[10:11]
	s_cbranch_execz .LBB89_82
.LBB89_314:
	s_mov_b32 s14, 0x42800000
	v_add_f32_e64 v3, |v2|, s14
	v_and_b32_e32 v3, 0xff, v3
	v_cmp_ne_u32_e32 vcc, 0, v3
	s_andn2_b64 s[8:9], s[8:9], exec
	s_and_b64 s[14:15], vcc, exec
	s_or_b64 s[8:9], s[8:9], s[14:15]
	s_or_b64 exec, exec, s[10:11]
	v_mov_b32_e32 v4, 0
	s_and_saveexec_b64 s[10:11], s[8:9]
	s_cbranch_execnz .LBB89_83
	s_branch .LBB89_84
.LBB89_315:
	s_mov_b64 s[4:5], -1
                                        ; implicit-def: $vgpr1
	s_mov_b64 s[2:3], 0
.LBB89_316:
	s_and_b64 vcc, exec, s[6:7]
	s_cbranch_vccz .LBB89_432
; %bb.317:
	s_cmp_eq_u32 s10, 44
	s_cbranch_scc0 .LBB89_431
; %bb.318:
	global_load_ubyte v1, v[2:3], off
	s_movk_i32 s4, 0xff
	v_mov_b32_e32 v4, 0x7f800001
	v_mov_b32_e32 v5, 0x400000
	s_mov_b64 s[2:3], -1
	s_waitcnt vmcnt(0)
	v_lshlrev_b32_e32 v6, 23, v1
	v_cmp_ne_u32_e32 vcc, s4, v1
	s_mov_b64 s[4:5], 0
	s_nop 0
	v_cndmask_b32_e32 v4, v4, v6, vcc
	v_cmp_ne_u32_e32 vcc, 0, v1
	s_nop 1
	v_cndmask_b32_e32 v1, v5, v4, vcc
	s_branch .LBB89_432
.LBB89_319:
	s_mov_b64 s[8:9], -1
	s_mov_b64 s[6:7], 0
	s_mov_b64 s[2:3], s[54:55]
.LBB89_320:
	s_and_b64 vcc, exec, s[8:9]
	s_cbranch_vccz .LBB89_325
; %bb.321:
	s_cmp_eq_u32 s13, 44
	s_mov_b64 s[2:3], -1
	s_cbranch_scc0 .LBB89_325
; %bb.322:
	v_bfe_u32 v3, v2, 23, 8
	s_movk_i32 s2, 0xff
	v_cmp_ne_u32_e32 vcc, s2, v3
	v_mov_b32_e32 v4, 0xff
	s_and_saveexec_b64 s[6:7], vcc
; %bb.323:
	s_mov_b32 s2, 0x3fffff
	v_and_b32_e32 v5, 0x400000, v2
	v_and_or_b32 v3, v2, s2, v3
	v_cmp_ne_u32_e32 vcc, 0, v5
	v_cmp_ne_u32_e64 s[2:3], 0, v3
	s_and_b64 s[2:3], vcc, s[2:3]
	v_lshrrev_b32_e32 v4, 23, v2
	v_cndmask_b32_e64 v3, 0, 1, s[2:3]
	v_add_u32_e32 v4, v4, v3
; %bb.324:
	s_or_b64 exec, exec, s[6:7]
	s_mov_b64 s[6:7], -1
	s_mov_b64 s[2:3], 0
	global_store_byte v[0:1], v4, off
.LBB89_325:
	s_mov_b64 s[8:9], 0
.LBB89_326:
	s_and_b64 vcc, exec, s[8:9]
	s_cbranch_vccz .LBB89_329
; %bb.327:
	s_cmp_eq_u32 s13, 29
	s_mov_b64 s[2:3], -1
	s_cbranch_scc0 .LBB89_329
; %bb.328:
	v_trunc_f32_e32 v3, v2
	v_mul_f32_e32 v4, 0x2f800000, v3
	v_floor_f32_e32 v4, v4
	v_fmamk_f32 v3, v4, 0xcf800000, v3
	v_cvt_u32_f32_e32 v5, v4
	v_cvt_u32_f32_e32 v4, v3
	s_mov_b64 s[6:7], -1
	s_mov_b64 s[2:3], 0
	s_mov_b64 s[8:9], 0
	global_store_dwordx2 v[0:1], v[4:5], off
	s_branch .LBB89_330
.LBB89_329:
	s_mov_b64 s[8:9], 0
.LBB89_330:
	s_and_b64 vcc, exec, s[8:9]
	s_cbranch_vccz .LBB89_346
; %bb.331:
	s_cmp_lt_i32 s13, 27
	s_mov_b64 s[6:7], -1
	s_cbranch_scc1 .LBB89_337
; %bb.332:
	v_cvt_u32_f32_e32 v3, v2
	s_cmp_gt_i32 s13, 27
	s_cbranch_scc0 .LBB89_334
; %bb.333:
	s_mov_b64 s[6:7], 0
	global_store_dword v[0:1], v3, off
.LBB89_334:
	s_andn2_b64 vcc, exec, s[6:7]
	s_cbranch_vccnz .LBB89_336
; %bb.335:
	global_store_short v[0:1], v3, off
.LBB89_336:
	s_mov_b64 s[6:7], 0
.LBB89_337:
	s_andn2_b64 vcc, exec, s[6:7]
	s_cbranch_vccnz .LBB89_345
; %bb.338:
	v_and_b32_e32 v3, 0x7fffffff, v2
	s_mov_b32 s6, 0x43800000
	v_cmp_gt_u32_e32 vcc, s6, v3
	v_mov_b32_e32 v4, 0x80
	s_and_saveexec_b64 s[6:7], vcc
	s_cbranch_execz .LBB89_344
; %bb.339:
	s_mov_b32 s8, 0x3bffffff
	v_cmp_lt_u32_e32 vcc, s8, v3
	s_mov_b64 s[8:9], 0
                                        ; implicit-def: $vgpr3
	s_and_saveexec_b64 s[10:11], vcc
	s_xor_b64 s[10:11], exec, s[10:11]
	s_cbranch_execz .LBB89_573
; %bb.340:
	v_bfe_u32 v3, v2, 20, 1
	s_mov_b32 s14, 0x487ffff
	v_add3_u32 v3, v2, v3, s14
	s_mov_b64 s[8:9], exec
	v_lshrrev_b32_e32 v3, 20, v3
	s_andn2_saveexec_b64 s[10:11], s[10:11]
	s_cbranch_execnz .LBB89_574
.LBB89_341:
	s_or_b64 exec, exec, s[10:11]
	v_mov_b32_e32 v4, 0
	s_and_saveexec_b64 s[10:11], s[8:9]
.LBB89_342:
	v_lshrrev_b32_e32 v4, 24, v2
	s_movk_i32 s8, 0x80
	v_and_or_b32 v4, v4, s8, v3
.LBB89_343:
	s_or_b64 exec, exec, s[10:11]
.LBB89_344:
	s_or_b64 exec, exec, s[6:7]
	global_store_byte v[0:1], v4, off
.LBB89_345:
	s_mov_b64 s[6:7], -1
.LBB89_346:
	s_mov_b64 s[8:9], 0
.LBB89_347:
	s_and_b64 vcc, exec, s[8:9]
	s_cbranch_vccz .LBB89_388
; %bb.348:
	s_cmp_gt_i32 s13, 22
	s_mov_b64 s[8:9], -1
	s_cbranch_scc0 .LBB89_380
; %bb.349:
	s_cmp_lt_i32 s13, 24
	s_mov_b64 s[6:7], -1
	s_cbranch_scc1 .LBB89_369
; %bb.350:
	s_cmp_gt_i32 s13, 24
	s_cbranch_scc0 .LBB89_358
; %bb.351:
	v_and_b32_e32 v3, 0x7fffffff, v2
	s_mov_b32 s6, 0x47800000
	v_cmp_gt_u32_e32 vcc, s6, v3
	v_mov_b32_e32 v4, 0x80
	s_and_saveexec_b64 s[6:7], vcc
	s_cbranch_execz .LBB89_357
; %bb.352:
	s_mov_b32 s8, 0x37ffffff
	v_cmp_lt_u32_e32 vcc, s8, v3
	s_mov_b64 s[8:9], 0
                                        ; implicit-def: $vgpr3
	s_and_saveexec_b64 s[10:11], vcc
	s_xor_b64 s[10:11], exec, s[10:11]
	s_cbranch_execz .LBB89_576
; %bb.353:
	v_bfe_u32 v3, v2, 21, 1
	s_mov_b32 s14, 0x88fffff
	v_add3_u32 v3, v2, v3, s14
	s_mov_b64 s[8:9], exec
	v_lshrrev_b32_e32 v3, 21, v3
	s_andn2_saveexec_b64 s[10:11], s[10:11]
	s_cbranch_execnz .LBB89_577
.LBB89_354:
	s_or_b64 exec, exec, s[10:11]
	v_mov_b32_e32 v4, 0
	s_and_saveexec_b64 s[10:11], s[8:9]
.LBB89_355:
	v_lshrrev_b32_e32 v4, 24, v2
	s_movk_i32 s8, 0x80
	v_and_or_b32 v4, v4, s8, v3
.LBB89_356:
	s_or_b64 exec, exec, s[10:11]
.LBB89_357:
	s_or_b64 exec, exec, s[6:7]
	s_mov_b64 s[6:7], 0
	global_store_byte v[0:1], v4, off
.LBB89_358:
	s_and_b64 vcc, exec, s[6:7]
	s_cbranch_vccz .LBB89_368
; %bb.359:
	v_and_b32_e32 v4, 0x7fffffff, v2
	s_mov_b32 s6, 0x43f00000
	v_cmp_gt_u32_e32 vcc, s6, v4
                                        ; implicit-def: $vgpr3
	s_and_saveexec_b64 s[6:7], vcc
	s_xor_b64 s[6:7], exec, s[6:7]
	s_cbranch_execz .LBB89_365
; %bb.360:
	s_mov_b32 s8, 0x3c7fffff
	v_cmp_lt_u32_e32 vcc, s8, v4
                                        ; implicit-def: $vgpr3
	s_and_saveexec_b64 s[8:9], vcc
	s_xor_b64 s[8:9], exec, s[8:9]
; %bb.361:
	v_bfe_u32 v3, v2, 20, 1
	s_mov_b32 s10, 0x407ffff
	v_add3_u32 v3, v2, v3, s10
	v_lshrrev_b32_e32 v4, 20, v3
	v_and_b32_e32 v3, 0xff00000, v3
	s_mov_b32 s10, 0x7f00000
	v_mov_b32_e32 v5, 0x7e
	v_cmp_ne_u32_e32 vcc, s10, v3
	s_nop 1
	v_cndmask_b32_e32 v3, v5, v4, vcc
; %bb.362:
	s_andn2_saveexec_b64 s[8:9], s[8:9]
; %bb.363:
	s_mov_b32 s10, 0x46800000
	v_add_f32_e64 v3, |v2|, s10
; %bb.364:
	s_or_b64 exec, exec, s[8:9]
                                        ; implicit-def: $vgpr4
.LBB89_365:
	s_andn2_saveexec_b64 s[6:7], s[6:7]
; %bb.366:
	s_mov_b32 s8, 0x7f800000
	v_mov_b32_e32 v3, 0x7e
	v_mov_b32_e32 v5, 0x7f
	v_cmp_lt_u32_e32 vcc, s8, v4
	s_nop 1
	v_cndmask_b32_e32 v3, v3, v5, vcc
; %bb.367:
	s_or_b64 exec, exec, s[6:7]
	v_lshrrev_b32_e32 v4, 24, v2
	s_movk_i32 s6, 0x80
	v_and_or_b32 v3, v4, s6, v3
	global_store_byte v[0:1], v3, off
.LBB89_368:
	s_mov_b64 s[6:7], 0
.LBB89_369:
	s_andn2_b64 vcc, exec, s[6:7]
	s_cbranch_vccnz .LBB89_379
; %bb.370:
	v_and_b32_e32 v4, 0x7fffffff, v2
	s_mov_b32 s6, 0x47800000
	v_cmp_gt_u32_e32 vcc, s6, v4
                                        ; implicit-def: $vgpr3
	s_and_saveexec_b64 s[6:7], vcc
	s_xor_b64 s[6:7], exec, s[6:7]
	s_cbranch_execz .LBB89_376
; %bb.371:
	s_mov_b32 s8, 0x387fffff
	v_cmp_lt_u32_e32 vcc, s8, v4
                                        ; implicit-def: $vgpr3
	s_and_saveexec_b64 s[8:9], vcc
	s_xor_b64 s[8:9], exec, s[8:9]
; %bb.372:
	v_bfe_u32 v3, v2, 21, 1
	s_mov_b32 s10, 0x80fffff
	v_add3_u32 v3, v2, v3, s10
	v_lshrrev_b32_e32 v3, 21, v3
; %bb.373:
	s_andn2_saveexec_b64 s[8:9], s[8:9]
; %bb.374:
	s_mov_b32 s10, 0x43000000
	v_add_f32_e64 v3, |v2|, s10
; %bb.375:
	s_or_b64 exec, exec, s[8:9]
                                        ; implicit-def: $vgpr4
.LBB89_376:
	s_andn2_saveexec_b64 s[6:7], s[6:7]
; %bb.377:
	s_mov_b32 s8, 0x7f800000
	v_mov_b32_e32 v3, 0x7c
	v_mov_b32_e32 v5, 0x7f
	v_cmp_lt_u32_e32 vcc, s8, v4
	s_nop 1
	v_cndmask_b32_e32 v3, v3, v5, vcc
; %bb.378:
	s_or_b64 exec, exec, s[6:7]
	v_lshrrev_b32_e32 v4, 24, v2
	s_movk_i32 s6, 0x80
	v_and_or_b32 v3, v4, s6, v3
	global_store_byte v[0:1], v3, off
.LBB89_379:
	s_mov_b64 s[8:9], 0
	s_mov_b64 s[6:7], -1
.LBB89_380:
	s_andn2_b64 vcc, exec, s[8:9]
	s_cbranch_vccnz .LBB89_388
; %bb.381:
	s_cmp_gt_i32 s13, 14
	s_mov_b64 s[8:9], -1
	s_cbranch_scc0 .LBB89_385
; %bb.382:
	s_cmp_eq_u32 s13, 15
	s_mov_b64 s[2:3], -1
	s_cbranch_scc0 .LBB89_384
; %bb.383:
	v_bfe_u32 v3, v2, 16, 1
	s_movk_i32 s2, 0x7fff
	v_add3_u32 v3, v2, v3, s2
	v_cmp_o_f32_e32 vcc, v2, v2
	v_mov_b32_e32 v4, 0x7fc0
	s_mov_b64 s[6:7], -1
	v_cndmask_b32_sdwa v3, v4, v3, vcc dst_sel:DWORD dst_unused:UNUSED_PAD src0_sel:DWORD src1_sel:WORD_1
	global_store_short v[0:1], v3, off
	s_mov_b64 s[2:3], 0
.LBB89_384:
	s_mov_b64 s[8:9], 0
.LBB89_385:
	s_and_b64 vcc, exec, s[8:9]
	s_cbranch_vccz .LBB89_388
; %bb.386:
	s_cmp_eq_u32 s13, 11
	s_mov_b64 s[2:3], -1
	s_cbranch_scc0 .LBB89_388
; %bb.387:
	v_cmp_neq_f32_e32 vcc, 0, v2
	s_mov_b64 s[6:7], -1
	s_mov_b64 s[2:3], 0
	v_cndmask_b32_e64 v3, 0, 1, vcc
	global_store_byte v[0:1], v3, off
.LBB89_388:
	s_mov_b64 s[8:9], 0
.LBB89_389:
	s_and_b64 vcc, exec, s[8:9]
	s_cbranch_vccz .LBB89_428
; %bb.390:
	s_and_b32 s8, 0xffff, s12
	s_cmp_lt_i32 s8, 5
	s_mov_b64 s[6:7], -1
	s_cbranch_scc1 .LBB89_411
; %bb.391:
	s_cmp_lt_i32 s8, 8
	s_cbranch_scc1 .LBB89_401
; %bb.392:
	s_cmp_lt_i32 s8, 9
	s_cbranch_scc1 .LBB89_398
; %bb.393:
	s_cmp_gt_i32 s8, 9
	s_cbranch_scc0 .LBB89_395
; %bb.394:
	v_mov_b32_e32 v6, 0
	v_cvt_f64_f32_e32 v[4:5], v2
	v_mov_b32_e32 v7, v6
	s_mov_b64 s[6:7], 0
	global_store_dwordx4 v[0:1], v[4:7], off
.LBB89_395:
	s_andn2_b64 vcc, exec, s[6:7]
	s_cbranch_vccnz .LBB89_397
; %bb.396:
	v_mov_b32_e32 v3, 0
	global_store_dwordx2 v[0:1], v[2:3], off
.LBB89_397:
	s_mov_b64 s[6:7], 0
.LBB89_398:
	s_andn2_b64 vcc, exec, s[6:7]
	s_cbranch_vccnz .LBB89_400
; %bb.399:
	v_cvt_f16_f32_e32 v3, v2
	global_store_dword v[0:1], v3, off
.LBB89_400:
	s_mov_b64 s[6:7], 0
.LBB89_401:
	s_andn2_b64 vcc, exec, s[6:7]
	s_cbranch_vccnz .LBB89_410
; %bb.402:
	s_cmp_lt_i32 s8, 6
	s_mov_b64 s[6:7], -1
	s_cbranch_scc1 .LBB89_408
; %bb.403:
	s_cmp_gt_i32 s8, 6
	s_cbranch_scc0 .LBB89_405
; %bb.404:
	v_cvt_f64_f32_e32 v[4:5], v2
	s_mov_b64 s[6:7], 0
	global_store_dwordx2 v[0:1], v[4:5], off
.LBB89_405:
	s_andn2_b64 vcc, exec, s[6:7]
	s_cbranch_vccnz .LBB89_407
; %bb.406:
	global_store_dword v[0:1], v2, off
.LBB89_407:
	s_mov_b64 s[6:7], 0
.LBB89_408:
	s_andn2_b64 vcc, exec, s[6:7]
	s_cbranch_vccnz .LBB89_410
; %bb.409:
	v_cvt_f16_f32_e32 v3, v2
	global_store_short v[0:1], v3, off
.LBB89_410:
	s_mov_b64 s[6:7], 0
.LBB89_411:
	s_andn2_b64 vcc, exec, s[6:7]
	s_cbranch_vccnz .LBB89_427
; %bb.412:
	s_cmp_lt_i32 s8, 2
	s_mov_b64 s[6:7], -1
	s_cbranch_scc1 .LBB89_422
; %bb.413:
	s_cmp_lt_i32 s8, 3
	s_cbranch_scc1 .LBB89_419
; %bb.414:
	s_cmp_gt_i32 s8, 3
	s_cbranch_scc0 .LBB89_416
; %bb.415:
	v_trunc_f32_e32 v3, v2
	s_mov_b32 s6, 0x2f800000
	v_mul_f32_e64 v4, |v3|, s6
	v_floor_f32_e32 v4, v4
	s_mov_b32 s6, 0xcf800000
	v_cvt_u32_f32_e32 v5, v4
	v_fma_f32 v4, v4, s6, |v3|
	v_cvt_u32_f32_e32 v4, v4
	v_ashrrev_i32_e32 v3, 31, v3
	v_xor_b32_e32 v5, v5, v3
	s_mov_b64 s[6:7], 0
	v_xor_b32_e32 v4, v4, v3
	v_sub_co_u32_e32 v4, vcc, v4, v3
	s_nop 1
	v_subb_co_u32_e32 v5, vcc, v5, v3, vcc
	global_store_dwordx2 v[0:1], v[4:5], off
.LBB89_416:
	s_andn2_b64 vcc, exec, s[6:7]
	s_cbranch_vccnz .LBB89_418
; %bb.417:
	v_cvt_i32_f32_e32 v3, v2
	global_store_dword v[0:1], v3, off
.LBB89_418:
	s_mov_b64 s[6:7], 0
.LBB89_419:
	s_andn2_b64 vcc, exec, s[6:7]
	s_cbranch_vccnz .LBB89_421
; %bb.420:
	v_cvt_i32_f32_e32 v3, v2
	global_store_short v[0:1], v3, off
.LBB89_421:
	s_mov_b64 s[6:7], 0
.LBB89_422:
	s_andn2_b64 vcc, exec, s[6:7]
	s_cbranch_vccnz .LBB89_427
; %bb.423:
	s_cmp_gt_i32 s8, 0
	s_mov_b64 s[6:7], -1
	s_cbranch_scc0 .LBB89_425
; %bb.424:
	v_cvt_i32_f32_e32 v3, v2
	s_mov_b64 s[6:7], 0
	global_store_byte v[0:1], v3, off
.LBB89_425:
	s_andn2_b64 vcc, exec, s[6:7]
	s_cbranch_vccnz .LBB89_427
; %bb.426:
	v_trunc_f32_e32 v2, v2
	s_mov_b32 s6, 0x2f800000
	v_mul_f32_e64 v3, |v2|, s6
	v_floor_f32_e32 v3, v3
	s_mov_b32 s6, 0xcf800000
	v_fma_f32 v3, v3, s6, |v2|
	v_cvt_u32_f32_e32 v3, v3
	v_ashrrev_i32_e32 v2, 31, v2
	v_xor_b32_e32 v3, v3, v2
	v_sub_u32_e32 v2, v3, v2
	global_store_byte v[0:1], v2, off
.LBB89_427:
	s_mov_b64 s[6:7], -1
.LBB89_428:
	s_andn2_b64 vcc, exec, s[6:7]
	s_cbranch_vccnz .LBB89_430
; %bb.429:
	v_add_u32_e32 v8, 0x80, v8
	s_mov_b64 s[6:7], -1
	s_branch .LBB89_543
.LBB89_430:
	s_mov_b64 s[6:7], 0
	s_branch .LBB89_542
.LBB89_431:
	s_mov_b64 s[4:5], -1
                                        ; implicit-def: $vgpr1
.LBB89_432:
	s_mov_b64 s[6:7], 0
.LBB89_433:
	s_and_b64 vcc, exec, s[6:7]
	s_cbranch_vccz .LBB89_437
; %bb.434:
	s_cmp_eq_u32 s10, 29
	s_cbranch_scc0 .LBB89_436
; %bb.435:
	global_load_dwordx2 v[4:5], v[2:3], off
	s_mov_b64 s[2:3], -1
	s_mov_b64 s[4:5], 0
	s_mov_b64 s[6:7], 0
	s_waitcnt vmcnt(0)
	v_ffbh_u32_e32 v1, v5
	v_min_u32_e32 v1, 32, v1
	v_lshlrev_b64 v[4:5], v1, v[4:5]
	v_min_u32_e32 v4, 1, v4
	v_or_b32_e32 v4, v5, v4
	v_cvt_f32_u32_e32 v4, v4
	v_sub_u32_e32 v1, 32, v1
	v_ldexp_f32 v1, v4, v1
	s_branch .LBB89_438
.LBB89_436:
	s_mov_b64 s[4:5], -1
                                        ; implicit-def: $vgpr1
.LBB89_437:
	s_mov_b64 s[6:7], 0
.LBB89_438:
	s_and_b64 vcc, exec, s[6:7]
	s_cbranch_vccz .LBB89_456
; %bb.439:
	s_cmp_lt_i32 s10, 27
	s_cbranch_scc1 .LBB89_442
; %bb.440:
	s_cmp_gt_i32 s10, 27
	s_cbranch_scc0 .LBB89_443
; %bb.441:
	global_load_dword v1, v[2:3], off
	s_mov_b64 s[2:3], 0
	s_waitcnt vmcnt(0)
	v_cvt_f32_u32_e32 v1, v1
	s_branch .LBB89_444
.LBB89_442:
	s_mov_b64 s[2:3], -1
                                        ; implicit-def: $vgpr1
	s_branch .LBB89_447
.LBB89_443:
	s_mov_b64 s[2:3], -1
                                        ; implicit-def: $vgpr1
.LBB89_444:
	s_andn2_b64 vcc, exec, s[2:3]
	s_cbranch_vccnz .LBB89_446
; %bb.445:
	global_load_ushort v1, v[2:3], off
	s_waitcnt vmcnt(0)
	v_cvt_f32_u32_e32 v1, v1
.LBB89_446:
	s_mov_b64 s[2:3], 0
.LBB89_447:
	s_andn2_b64 vcc, exec, s[2:3]
	s_cbranch_vccnz .LBB89_455
; %bb.448:
	global_load_ubyte v4, v[2:3], off
	s_movk_i32 s2, 0x7f
	s_waitcnt vmcnt(0)
	v_cmp_lt_i16_e32 vcc, s2, v4
	s_mov_b64 s[2:3], 0
	s_and_saveexec_b64 s[6:7], vcc
	s_xor_b64 s[6:7], exec, s[6:7]
	s_cbranch_execz .LBB89_469
; %bb.449:
	s_movk_i32 s2, 0x80
	v_cmp_eq_u16_e32 vcc, s2, v4
	s_mov_b64 s[2:3], -1
	s_and_saveexec_b64 s[8:9], vcc
; %bb.450:
	s_xor_b64 s[2:3], exec, -1
; %bb.451:
	s_or_b64 exec, exec, s[8:9]
	s_and_b64 s[2:3], s[2:3], exec
	s_or_saveexec_b64 s[6:7], s[6:7]
	v_mov_b32_e32 v1, 0x7f800001
	s_xor_b64 exec, exec, s[6:7]
	s_cbranch_execnz .LBB89_470
.LBB89_452:
	s_or_b64 exec, exec, s[6:7]
	s_and_saveexec_b64 s[6:7], s[2:3]
	s_cbranch_execz .LBB89_454
.LBB89_453:
	v_lshlrev_b32_e32 v1, 24, v4
	v_and_b32_e32 v4, 0xffff, v4
	v_and_b32_e32 v5, 7, v4
	v_ffbh_u32_e32 v7, v5
	v_min_u32_e32 v7, 32, v7
	v_subrev_u32_e32 v9, 28, v7
	v_bfe_u32 v6, v4, 3, 4
	v_lshlrev_b32_e32 v4, v9, v4
	v_sub_u32_e32 v7, 29, v7
	v_and_b32_e32 v4, 7, v4
	v_cmp_eq_u32_e32 vcc, 0, v6
	v_and_b32_e32 v1, 0x80000000, v1
	s_nop 0
	v_cndmask_b32_e32 v6, v6, v7, vcc
	v_cndmask_b32_e32 v4, v5, v4, vcc
	v_mov_b32_e32 v5, 0x3b800000
	v_lshlrev_b32_e32 v4, 20, v4
	v_lshl_add_u32 v5, v6, 23, v5
	v_or3_b32 v1, v1, v5, v4
.LBB89_454:
	s_or_b64 exec, exec, s[6:7]
.LBB89_455:
	s_mov_b64 s[2:3], -1
.LBB89_456:
	s_mov_b64 s[6:7], 0
.LBB89_457:
	s_and_b64 vcc, exec, s[6:7]
	s_cbranch_vccz .LBB89_492
; %bb.458:
	s_cmp_gt_i32 s10, 22
	s_cbranch_scc0 .LBB89_468
; %bb.459:
	s_cmp_lt_i32 s10, 24
	s_cbranch_scc1 .LBB89_471
; %bb.460:
	s_cmp_gt_i32 s10, 24
	s_cbranch_scc0 .LBB89_472
; %bb.461:
	global_load_ubyte v4, v[2:3], off
	s_movk_i32 s2, 0x7f
	s_waitcnt vmcnt(0)
	v_cmp_lt_i16_e32 vcc, s2, v4
	s_mov_b64 s[2:3], 0
	s_and_saveexec_b64 s[6:7], vcc
	s_xor_b64 s[6:7], exec, s[6:7]
	s_cbranch_execz .LBB89_484
; %bb.462:
	s_movk_i32 s2, 0x80
	v_cmp_eq_u16_e32 vcc, s2, v4
	s_mov_b64 s[2:3], -1
	s_and_saveexec_b64 s[8:9], vcc
; %bb.463:
	s_xor_b64 s[2:3], exec, -1
; %bb.464:
	s_or_b64 exec, exec, s[8:9]
	s_and_b64 s[2:3], s[2:3], exec
	s_or_saveexec_b64 s[6:7], s[6:7]
	v_mov_b32_e32 v1, 0x7f800001
	s_xor_b64 exec, exec, s[6:7]
	s_cbranch_execnz .LBB89_485
.LBB89_465:
	s_or_b64 exec, exec, s[6:7]
	s_and_saveexec_b64 s[6:7], s[2:3]
	s_cbranch_execz .LBB89_467
.LBB89_466:
	v_lshlrev_b32_e32 v1, 24, v4
	v_and_b32_e32 v4, 0xffff, v4
	v_and_b32_e32 v5, 3, v4
	v_ffbh_u32_e32 v7, v5
	v_min_u32_e32 v7, 32, v7
	v_subrev_u32_e32 v9, 29, v7
	v_bfe_u32 v6, v4, 2, 5
	v_lshlrev_b32_e32 v4, v9, v4
	v_sub_u32_e32 v7, 30, v7
	v_and_b32_e32 v4, 3, v4
	v_cmp_eq_u32_e32 vcc, 0, v6
	v_and_b32_e32 v1, 0x80000000, v1
	s_nop 0
	v_cndmask_b32_e32 v6, v6, v7, vcc
	v_cndmask_b32_e32 v4, v5, v4, vcc
	v_mov_b32_e32 v5, 0x37800000
	v_lshlrev_b32_e32 v4, 21, v4
	v_lshl_add_u32 v5, v6, 23, v5
	v_or3_b32 v1, v1, v5, v4
.LBB89_467:
	s_or_b64 exec, exec, s[6:7]
	s_mov_b64 s[2:3], 0
	s_branch .LBB89_473
.LBB89_468:
	s_mov_b64 s[6:7], -1
                                        ; implicit-def: $vgpr1
	s_branch .LBB89_479
.LBB89_469:
	s_or_saveexec_b64 s[6:7], s[6:7]
	v_mov_b32_e32 v1, 0x7f800001
	s_xor_b64 exec, exec, s[6:7]
	s_cbranch_execz .LBB89_452
.LBB89_470:
	v_cmp_ne_u16_e32 vcc, 0, v4
	s_andn2_b64 s[2:3], s[2:3], exec
	s_and_b64 s[8:9], vcc, exec
	v_mov_b32_e32 v1, 0
	s_or_b64 s[2:3], s[2:3], s[8:9]
	s_or_b64 exec, exec, s[6:7]
	s_and_saveexec_b64 s[6:7], s[2:3]
	s_cbranch_execnz .LBB89_453
	s_branch .LBB89_454
.LBB89_471:
	s_mov_b64 s[2:3], -1
                                        ; implicit-def: $vgpr1
	s_branch .LBB89_476
.LBB89_472:
	s_mov_b64 s[2:3], -1
                                        ; implicit-def: $vgpr1
.LBB89_473:
	s_and_b64 vcc, exec, s[2:3]
	s_cbranch_vccz .LBB89_475
; %bb.474:
	global_load_ubyte v1, v[2:3], off
	s_mov_b32 s2, 0x7f800000
	s_waitcnt vmcnt(0)
	v_lshlrev_b32_e32 v1, 24, v1
	v_and_b32_e32 v4, 0x7f000000, v1
	v_ffbh_u32_e32 v5, v4
	v_min_u32_e32 v5, 32, v5
	v_sub_u32_e64 v5, v5, 4 clamp
	v_lshlrev_b32_e32 v7, v5, v4
	v_lshlrev_b32_e32 v5, 23, v5
	v_lshrrev_b32_e32 v7, 4, v7
	v_add_u32_e32 v6, 0x1000000, v4
	v_sub_u32_e32 v5, v7, v5
	v_ashrrev_i32_e32 v6, 8, v6
	v_add_u32_e32 v5, 0x3c000000, v5
	v_and_or_b32 v5, v6, s2, v5
	v_cmp_ne_u32_e32 vcc, 0, v4
	s_brev_b32 s2, 1
	s_nop 0
	v_cndmask_b32_e32 v4, 0, v5, vcc
	v_and_or_b32 v1, v1, s2, v4
.LBB89_475:
	s_mov_b64 s[2:3], 0
.LBB89_476:
	s_andn2_b64 vcc, exec, s[2:3]
	s_cbranch_vccnz .LBB89_478
; %bb.477:
	global_load_ubyte v1, v[2:3], off
	s_movk_i32 s2, 0x7f00
	s_brev_b32 s3, 16
	s_waitcnt vmcnt(0)
	v_lshlrev_b16_e32 v4, 8, v1
	v_lshlrev_b32_e32 v1, 25, v1
	v_lshrrev_b32_e32 v5, 4, v1
	v_and_or_b32 v6, v4, s2, 0.5
	v_or_b32_e32 v5, 0x70000000, v5
	v_add_f32_e32 v6, -0.5, v6
	v_mul_f32_e32 v5, 0x7800000, v5
	v_cmp_gt_u32_e32 vcc, s3, v1
	v_bfe_i32 v4, v4, 0, 16
	s_brev_b32 s2, 1
	v_cndmask_b32_e32 v1, v5, v6, vcc
	v_and_or_b32 v1, v4, s2, v1
.LBB89_478:
	s_mov_b64 s[6:7], 0
	s_mov_b64 s[2:3], -1
.LBB89_479:
	s_andn2_b64 vcc, exec, s[6:7]
	s_cbranch_vccnz .LBB89_492
; %bb.480:
	s_cmp_gt_i32 s10, 14
	s_cbranch_scc0 .LBB89_483
; %bb.481:
	s_cmp_eq_u32 s10, 15
	s_cbranch_scc0 .LBB89_486
; %bb.482:
	global_load_ushort v1, v[2:3], off
	s_mov_b64 s[2:3], -1
	s_mov_b64 s[4:5], 0
	s_waitcnt vmcnt(0)
	v_lshlrev_b32_e32 v1, 16, v1
	s_branch .LBB89_487
.LBB89_483:
	s_mov_b64 s[6:7], -1
                                        ; implicit-def: $vgpr1
	s_branch .LBB89_488
.LBB89_484:
	s_or_saveexec_b64 s[6:7], s[6:7]
	v_mov_b32_e32 v1, 0x7f800001
	s_xor_b64 exec, exec, s[6:7]
	s_cbranch_execz .LBB89_465
.LBB89_485:
	v_cmp_ne_u16_e32 vcc, 0, v4
	s_andn2_b64 s[2:3], s[2:3], exec
	s_and_b64 s[8:9], vcc, exec
	v_mov_b32_e32 v1, 0
	s_or_b64 s[2:3], s[2:3], s[8:9]
	s_or_b64 exec, exec, s[6:7]
	s_and_saveexec_b64 s[6:7], s[2:3]
	s_cbranch_execnz .LBB89_466
	s_branch .LBB89_467
.LBB89_486:
	s_mov_b64 s[4:5], -1
                                        ; implicit-def: $vgpr1
.LBB89_487:
	s_mov_b64 s[6:7], 0
.LBB89_488:
	s_and_b64 vcc, exec, s[6:7]
	s_cbranch_vccz .LBB89_492
; %bb.489:
	s_cmp_eq_u32 s10, 11
	s_cbranch_scc0 .LBB89_491
; %bb.490:
	global_load_ubyte v1, v[2:3], off
	s_mov_b64 s[2:3], -1
	s_mov_b64 s[4:5], 0
	s_waitcnt vmcnt(0)
	v_cmp_ne_u16_e32 vcc, 0, v1
	s_nop 1
	v_cndmask_b32_e64 v1, 0, 1.0, vcc
	s_branch .LBB89_492
.LBB89_491:
	s_mov_b64 s[4:5], -1
                                        ; implicit-def: $vgpr1
.LBB89_492:
	s_branch .LBB89_295
.LBB89_493:
	s_cmp_lt_i32 s10, 5
	s_cbranch_scc1 .LBB89_498
; %bb.494:
	s_cmp_lt_i32 s10, 8
	s_cbranch_scc1 .LBB89_499
; %bb.495:
	;; [unrolled: 3-line block ×3, first 2 shown]
	s_cmp_gt_i32 s10, 9
	s_cbranch_scc0 .LBB89_501
; %bb.497:
	global_load_dwordx2 v[4:5], v[2:3], off
	s_mov_b64 s[2:3], 0
	s_waitcnt vmcnt(0)
	v_cvt_f32_f64_e32 v1, v[4:5]
	s_branch .LBB89_502
.LBB89_498:
	s_mov_b64 s[2:3], -1
                                        ; implicit-def: $vgpr1
	s_branch .LBB89_520
.LBB89_499:
	s_mov_b64 s[2:3], -1
                                        ; implicit-def: $vgpr1
	s_branch .LBB89_508
.LBB89_500:
	s_mov_b64 s[2:3], -1
                                        ; implicit-def: $vgpr1
	s_branch .LBB89_505
.LBB89_501:
	s_mov_b64 s[2:3], -1
                                        ; implicit-def: $vgpr1
.LBB89_502:
	s_andn2_b64 vcc, exec, s[2:3]
	s_cbranch_vccnz .LBB89_504
; %bb.503:
	global_load_dword v1, v[2:3], off
.LBB89_504:
	s_mov_b64 s[2:3], 0
.LBB89_505:
	s_andn2_b64 vcc, exec, s[2:3]
	s_cbranch_vccnz .LBB89_507
; %bb.506:
	global_load_dword v1, v[2:3], off
	s_waitcnt vmcnt(0)
	v_cvt_f32_f16_e32 v1, v1
.LBB89_507:
	s_mov_b64 s[2:3], 0
.LBB89_508:
	s_andn2_b64 vcc, exec, s[2:3]
	s_cbranch_vccnz .LBB89_519
; %bb.509:
	s_cmp_lt_i32 s10, 6
	s_cbranch_scc1 .LBB89_512
; %bb.510:
	s_cmp_gt_i32 s10, 6
	s_cbranch_scc0 .LBB89_513
; %bb.511:
	global_load_dwordx2 v[4:5], v[2:3], off
	s_mov_b64 s[2:3], 0
	s_waitcnt vmcnt(0)
	v_cvt_f32_f64_e32 v1, v[4:5]
	s_branch .LBB89_514
.LBB89_512:
	s_mov_b64 s[2:3], -1
                                        ; implicit-def: $vgpr1
	s_branch .LBB89_517
.LBB89_513:
	s_mov_b64 s[2:3], -1
                                        ; implicit-def: $vgpr1
.LBB89_514:
	s_andn2_b64 vcc, exec, s[2:3]
	s_cbranch_vccnz .LBB89_516
; %bb.515:
	global_load_dword v1, v[2:3], off
.LBB89_516:
	s_mov_b64 s[2:3], 0
.LBB89_517:
	s_andn2_b64 vcc, exec, s[2:3]
	s_cbranch_vccnz .LBB89_519
; %bb.518:
	global_load_ushort v1, v[2:3], off
	s_waitcnt vmcnt(0)
	v_cvt_f32_f16_e32 v1, v1
.LBB89_519:
	s_mov_b64 s[2:3], 0
.LBB89_520:
	s_andn2_b64 vcc, exec, s[2:3]
	s_cbranch_vccnz .LBB89_540
; %bb.521:
	s_cmp_lt_i32 s10, 2
	s_cbranch_scc1 .LBB89_525
; %bb.522:
	s_cmp_lt_i32 s10, 3
	s_cbranch_scc1 .LBB89_526
; %bb.523:
	s_cmp_gt_i32 s10, 3
	s_cbranch_scc0 .LBB89_527
; %bb.524:
	global_load_dwordx2 v[4:5], v[2:3], off
	s_mov_b64 s[2:3], 0
	s_waitcnt vmcnt(0)
	v_xor_b32_e32 v6, v4, v5
	v_ffbh_i32_e32 v1, v5
	v_ashrrev_i32_e32 v6, 31, v6
	v_add_u32_e32 v1, -1, v1
	v_add_u32_e32 v6, 32, v6
	v_min_u32_e32 v1, v1, v6
	v_lshlrev_b64 v[4:5], v1, v[4:5]
	v_min_u32_e32 v4, 1, v4
	v_or_b32_e32 v4, v5, v4
	v_cvt_f32_i32_e32 v4, v4
	v_sub_u32_e32 v1, 32, v1
	v_ldexp_f32 v1, v4, v1
	s_branch .LBB89_528
.LBB89_525:
	s_mov_b64 s[2:3], -1
                                        ; implicit-def: $vgpr1
	s_branch .LBB89_534
.LBB89_526:
	s_mov_b64 s[2:3], -1
                                        ; implicit-def: $vgpr1
	s_branch .LBB89_531
.LBB89_527:
	s_mov_b64 s[2:3], -1
                                        ; implicit-def: $vgpr1
.LBB89_528:
	s_andn2_b64 vcc, exec, s[2:3]
	s_cbranch_vccnz .LBB89_530
; %bb.529:
	global_load_dword v1, v[2:3], off
	s_waitcnt vmcnt(0)
	v_cvt_f32_i32_e32 v1, v1
.LBB89_530:
	s_mov_b64 s[2:3], 0
.LBB89_531:
	s_andn2_b64 vcc, exec, s[2:3]
	s_cbranch_vccnz .LBB89_533
; %bb.532:
	global_load_sshort v1, v[2:3], off
	s_waitcnt vmcnt(0)
	v_cvt_f32_i32_e32 v1, v1
.LBB89_533:
	s_mov_b64 s[2:3], 0
.LBB89_534:
	s_andn2_b64 vcc, exec, s[2:3]
	s_cbranch_vccnz .LBB89_540
; %bb.535:
	s_cmp_gt_i32 s10, 0
	s_cbranch_scc0 .LBB89_537
; %bb.536:
	global_load_sbyte v1, v[2:3], off
	s_mov_b64 s[2:3], 0
	s_waitcnt vmcnt(0)
	v_cvt_f32_i32_e32 v1, v1
	s_branch .LBB89_538
.LBB89_537:
	s_mov_b64 s[2:3], -1
                                        ; implicit-def: $vgpr1
.LBB89_538:
	s_andn2_b64 vcc, exec, s[2:3]
	s_cbranch_vccnz .LBB89_540
; %bb.539:
	global_load_ubyte v1, v[2:3], off
	s_waitcnt vmcnt(0)
	v_cvt_f32_ubyte0_e32 v1, v1
.LBB89_540:
	s_branch .LBB89_296
.LBB89_541:
	s_mov_b64 s[6:7], 0
	s_mov_b64 s[2:3], s[54:55]
.LBB89_542:
                                        ; implicit-def: $vgpr8
.LBB89_543:
	s_andn2_b64 s[8:9], s[54:55], exec
	s_and_b64 s[2:3], s[2:3], exec
	s_or_b64 s[62:63], s[8:9], s[2:3]
	s_andn2_b64 s[2:3], s[56:57], exec
	s_and_b64 s[4:5], s[4:5], exec
	s_or_b64 s[60:61], s[2:3], s[4:5]
	s_orn2_b64 s[2:3], s[6:7], exec
.LBB89_544:
	s_or_b64 exec, exec, s[64:65]
	s_mov_b64 s[4:5], 0
	s_mov_b64 s[6:7], 0
	;; [unrolled: 1-line block ×3, first 2 shown]
                                        ; implicit-def: $vgpr2_vgpr3
                                        ; implicit-def: $vgpr0
                                        ; implicit-def: $vgpr1
	s_and_saveexec_b64 s[64:65], s[2:3]
	s_cbranch_execz .LBB89_921
; %bb.545:
	v_cmp_gt_i32_e32 vcc, s70, v8
	s_mov_b64 s[6:7], -1
	s_mov_b64 s[2:3], s[60:61]
	s_mov_b64 s[68:69], s[62:63]
	s_and_saveexec_b64 s[66:67], vcc
	s_cbranch_execz .LBB89_820
; %bb.546:
	s_andn2_b64 vcc, exec, s[42:43]
	s_cbranch_vccnz .LBB89_552
; %bb.547:
	s_andn2_b64 vcc, exec, s[52:53]
	s_cbranch_vccnz .LBB89_553
; %bb.548:
	s_add_i32 s76, s75, 1
	s_cmp_eq_u32 s72, 2
	s_cbranch_scc1 .LBB89_554
; %bb.549:
	s_and_b32 s71, s76, 28
	s_mov_b32 s77, 0
	v_mov_b32_e32 v0, 0
	v_mov_b32_e32 v2, 0
	s_mov_b64 s[2:3], s[34:35]
	s_mov_b64 s[68:69], s[50:51]
	v_mov_b32_e32 v4, v8
.LBB89_550:                             ; =>This Inner Loop Header: Depth=1
	s_load_dwordx8 s[12:19], s[2:3], 0x4
	s_load_dwordx4 s[36:39], s[2:3], 0x24
	s_load_dwordx8 s[4:11], s[68:69], 0x0
	s_add_u32 s2, s2, 48
	s_addc_u32 s3, s3, 0
	s_waitcnt vmcnt(0) lgkmcnt(0)
	v_mul_hi_u32 v1, s13, v4
	v_add_u32_e32 v1, v4, v1
	v_lshrrev_b32_e32 v1, s14, v1
	v_mul_lo_u32 v3, v1, s12
	v_mul_hi_u32 v5, s16, v1
	v_sub_u32_e32 v3, v4, v3
	v_add_u32_e32 v4, v1, v5
	v_lshrrev_b32_e32 v4, s17, v4
	v_mul_lo_u32 v6, v4, s15
	v_mul_hi_u32 v7, s19, v4
	v_sub_u32_e32 v1, v1, v6
	v_add_u32_e32 v6, v4, v7
	v_mul_lo_u32 v5, v3, s5
	v_mul_lo_u32 v3, v3, s4
	v_mul_lo_u32 v7, v1, s7
	v_mul_lo_u32 v1, v1, s6
	v_lshrrev_b32_e32 v6, s36, v6
	v_add3_u32 v0, v3, v0, v1
	v_mul_hi_u32 v3, s38, v6
	v_add3_u32 v1, v5, v2, v7
	v_mul_lo_u32 v2, v6, s18
	v_add_u32_e32 v3, v6, v3
	v_sub_u32_e32 v2, v4, v2
	v_lshrrev_b32_e32 v4, s39, v3
	s_add_i32 s77, s77, 4
	v_mul_lo_u32 v3, v4, s37
	s_add_u32 s68, s68, 32
	v_sub_u32_e32 v3, v6, v3
	s_addc_u32 s69, s69, 0
	v_mul_lo_u32 v5, v2, s8
	v_mul_lo_u32 v2, v2, s9
	;; [unrolled: 1-line block ×4, first 2 shown]
	s_cmp_eq_u32 s71, s77
	v_add3_u32 v2, v2, v1, v3
	v_add3_u32 v0, v5, v0, v6
	s_cbranch_scc0 .LBB89_550
; %bb.551:
	v_mov_b32_e32 v1, v2
	s_branch .LBB89_555
.LBB89_552:
	s_mov_b64 s[2:3], -1
                                        ; implicit-def: $vgpr2
                                        ; implicit-def: $vgpr0
	s_branch .LBB89_559
.LBB89_553:
	v_mov_b32_e32 v2, 0
	v_mov_b32_e32 v0, 0
	s_branch .LBB89_558
.LBB89_554:
	v_mov_b32_e32 v0, 0
	s_mov_b32 s71, 0
	s_waitcnt vmcnt(0)
	v_mov_b32_e32 v1, v0
                                        ; implicit-def: $vgpr2
	v_mov_b32_e32 v4, v8
.LBB89_555:
	s_and_b32 s6, s76, 3
	s_cmp_eq_u32 s6, 0
	s_cbranch_scc1 .LBB89_558
; %bb.556:
	s_lshl_b32 s2, s71, 3
	s_add_u32 s2, s34, s2
	s_addc_u32 s3, s35, 0
	s_add_u32 s2, s2, 0xc4
	s_addc_u32 s3, s3, 0
	s_mul_i32 s4, s71, 12
	s_add_u32 s4, s34, s4
	s_addc_u32 s5, s35, 0
.LBB89_557:                             ; =>This Inner Loop Header: Depth=1
	s_load_dwordx2 s[8:9], s[4:5], 0x4
	s_load_dword s7, s[4:5], 0xc
	s_load_dwordx2 s[10:11], s[2:3], 0x0
	v_mov_b32_e32 v2, v1
	s_add_u32 s4, s4, 12
	s_waitcnt lgkmcnt(0)
	v_mul_hi_u32 v1, s9, v4
	v_add_u32_e32 v1, v4, v1
	v_lshrrev_b32_e32 v1, s7, v1
	s_addc_u32 s5, s5, 0
	v_mul_lo_u32 v3, v1, s8
	s_add_u32 s2, s2, 8
	v_sub_u32_e32 v5, v4, v3
	s_addc_u32 s3, s3, 0
	s_add_i32 s6, s6, -1
	v_mov_b32_e32 v4, v1
	v_mad_u64_u32 v[2:3], s[8:9], v5, s11, v[2:3]
	v_mad_u64_u32 v[0:1], s[8:9], v5, s10, v[0:1]
	s_cmp_lg_u32 s6, 0
	v_mov_b32_e32 v1, v2
	s_cbranch_scc1 .LBB89_557
.LBB89_558:
	s_mov_b64 s[2:3], 0
.LBB89_559:
	s_andn2_b64 vcc, exec, s[2:3]
	s_cbranch_vccnz .LBB89_562
; %bb.560:
	s_waitcnt lgkmcnt(0)
	v_mul_hi_u32 v0, s29, v8
	v_add_u32_e32 v0, v8, v0
	s_waitcnt vmcnt(0)
	v_lshrrev_b32_e32 v1, s30, v0
	v_mul_lo_u32 v0, v1, s28
	v_sub_u32_e32 v0, v8, v0
	v_mul_lo_u32 v2, v0, s25
	s_andn2_b64 vcc, exec, s[48:49]
	v_mul_lo_u32 v0, v0, s24
	s_cbranch_vccnz .LBB89_562
; %bb.561:
	v_mul_hi_u32 v3, s46, v1
	v_add_u32_e32 v3, v1, v3
	v_lshrrev_b32_e32 v3, s47, v3
	v_mul_lo_u32 v3, v3, s31
	v_sub_u32_e32 v3, v1, v3
	v_mad_u64_u32 v[0:1], s[2:3], v3, s26, v[0:1]
	v_mad_u64_u32 v[2:3], s[2:3], v3, s27, v[2:3]
.LBB89_562:
	v_mov_b32_e32 v3, 0
	s_and_b32 s10, 0xffff, s74
	s_cmp_lt_i32 s10, 11
	s_waitcnt lgkmcnt(0)
	v_lshl_add_u64 v[2:3], s[22:23], 0, v[2:3]
	s_cbranch_scc1 .LBB89_569
; %bb.563:
	s_cmp_gt_i32 s10, 25
	s_cbranch_scc0 .LBB89_570
; %bb.564:
	s_cmp_gt_i32 s10, 28
	s_cbranch_scc0 .LBB89_571
	;; [unrolled: 3-line block ×4, first 2 shown]
; %bb.567:
	s_cmp_eq_u32 s10, 46
	s_mov_b64 s[6:7], 0
	s_cbranch_scc0 .LBB89_578
; %bb.568:
	global_load_dword v1, v[2:3], off
	s_mov_b64 s[2:3], -1
	s_mov_b64 s[4:5], 0
	s_waitcnt vmcnt(0)
	v_lshlrev_b32_e32 v1, 16, v1
	s_branch .LBB89_579
.LBB89_569:
	s_mov_b64 s[6:7], -1
	s_mov_b64 s[2:3], 0
                                        ; implicit-def: $vgpr1
	s_mov_b64 s[4:5], s[60:61]
	s_branch .LBB89_644
.LBB89_570:
	s_mov_b64 s[6:7], -1
	s_mov_b64 s[2:3], 0
	s_mov_b64 s[4:5], s[60:61]
                                        ; implicit-def: $vgpr1
	s_branch .LBB89_608
.LBB89_571:
	s_mov_b64 s[6:7], -1
	s_mov_b64 s[2:3], 0
	s_mov_b64 s[4:5], s[60:61]
                                        ; implicit-def: $vgpr1
	s_branch .LBB89_589
.LBB89_572:
	s_mov_b64 s[6:7], -1
	s_mov_b64 s[2:3], 0
	s_mov_b64 s[4:5], s[60:61]
                                        ; implicit-def: $vgpr1
	s_branch .LBB89_584
.LBB89_573:
	s_andn2_saveexec_b64 s[10:11], s[10:11]
	s_cbranch_execz .LBB89_341
.LBB89_574:
	s_mov_b32 s14, 0x46000000
	v_add_f32_e64 v3, |v2|, s14
	v_and_b32_e32 v3, 0xff, v3
	v_cmp_ne_u32_e32 vcc, 0, v3
	s_andn2_b64 s[8:9], s[8:9], exec
	s_and_b64 s[14:15], vcc, exec
	s_or_b64 s[8:9], s[8:9], s[14:15]
	s_or_b64 exec, exec, s[10:11]
	v_mov_b32_e32 v4, 0
	s_and_saveexec_b64 s[10:11], s[8:9]
	s_cbranch_execnz .LBB89_342
	s_branch .LBB89_343
.LBB89_575:
	s_mov_b64 s[6:7], -1
	s_mov_b64 s[2:3], 0
	s_mov_b64 s[4:5], s[60:61]
                                        ; implicit-def: $vgpr1
	s_branch .LBB89_579
.LBB89_576:
	s_andn2_saveexec_b64 s[10:11], s[10:11]
	s_cbranch_execz .LBB89_354
.LBB89_577:
	s_mov_b32 s14, 0x42800000
	v_add_f32_e64 v3, |v2|, s14
	v_and_b32_e32 v3, 0xff, v3
	v_cmp_ne_u32_e32 vcc, 0, v3
	s_andn2_b64 s[8:9], s[8:9], exec
	s_and_b64 s[14:15], vcc, exec
	s_or_b64 s[8:9], s[8:9], s[14:15]
	s_or_b64 exec, exec, s[10:11]
	v_mov_b32_e32 v4, 0
	s_and_saveexec_b64 s[10:11], s[8:9]
	s_cbranch_execnz .LBB89_355
	s_branch .LBB89_356
.LBB89_578:
	s_mov_b64 s[4:5], -1
                                        ; implicit-def: $vgpr1
	s_mov_b64 s[2:3], 0
.LBB89_579:
	s_and_b64 vcc, exec, s[6:7]
	s_cbranch_vccz .LBB89_583
; %bb.580:
	s_cmp_eq_u32 s10, 44
	s_cbranch_scc0 .LBB89_582
; %bb.581:
	global_load_ubyte v1, v[2:3], off
	s_movk_i32 s4, 0xff
	v_mov_b32_e32 v4, 0x7f800001
	v_mov_b32_e32 v5, 0x400000
	s_mov_b64 s[2:3], -1
	s_waitcnt vmcnt(0)
	v_lshlrev_b32_e32 v6, 23, v1
	v_cmp_ne_u32_e32 vcc, s4, v1
	s_mov_b64 s[4:5], 0
	s_nop 0
	v_cndmask_b32_e32 v4, v4, v6, vcc
	v_cmp_ne_u32_e32 vcc, 0, v1
	s_nop 1
	v_cndmask_b32_e32 v1, v5, v4, vcc
	s_branch .LBB89_583
.LBB89_582:
	s_mov_b64 s[4:5], -1
                                        ; implicit-def: $vgpr1
.LBB89_583:
	s_mov_b64 s[6:7], 0
.LBB89_584:
	s_and_b64 vcc, exec, s[6:7]
	s_cbranch_vccz .LBB89_588
; %bb.585:
	s_cmp_eq_u32 s10, 29
	s_cbranch_scc0 .LBB89_587
; %bb.586:
	global_load_dwordx2 v[4:5], v[2:3], off
	s_mov_b64 s[2:3], -1
	s_mov_b64 s[4:5], 0
	s_mov_b64 s[6:7], 0
	s_waitcnt vmcnt(0)
	v_ffbh_u32_e32 v1, v5
	v_min_u32_e32 v1, 32, v1
	v_lshlrev_b64 v[4:5], v1, v[4:5]
	v_min_u32_e32 v4, 1, v4
	v_or_b32_e32 v4, v5, v4
	v_cvt_f32_u32_e32 v4, v4
	v_sub_u32_e32 v1, 32, v1
	v_ldexp_f32 v1, v4, v1
	s_branch .LBB89_589
.LBB89_587:
	s_mov_b64 s[4:5], -1
                                        ; implicit-def: $vgpr1
.LBB89_588:
	s_mov_b64 s[6:7], 0
.LBB89_589:
	s_and_b64 vcc, exec, s[6:7]
	s_cbranch_vccz .LBB89_607
; %bb.590:
	s_cmp_lt_i32 s10, 27
	s_cbranch_scc1 .LBB89_593
; %bb.591:
	s_cmp_gt_i32 s10, 27
	s_cbranch_scc0 .LBB89_594
; %bb.592:
	global_load_dword v1, v[2:3], off
	s_mov_b64 s[2:3], 0
	s_waitcnt vmcnt(0)
	v_cvt_f32_u32_e32 v1, v1
	s_branch .LBB89_595
.LBB89_593:
	s_mov_b64 s[2:3], -1
                                        ; implicit-def: $vgpr1
	s_branch .LBB89_598
.LBB89_594:
	s_mov_b64 s[2:3], -1
                                        ; implicit-def: $vgpr1
.LBB89_595:
	s_andn2_b64 vcc, exec, s[2:3]
	s_cbranch_vccnz .LBB89_597
; %bb.596:
	global_load_ushort v1, v[2:3], off
	s_waitcnt vmcnt(0)
	v_cvt_f32_u32_e32 v1, v1
.LBB89_597:
	s_mov_b64 s[2:3], 0
.LBB89_598:
	s_andn2_b64 vcc, exec, s[2:3]
	s_cbranch_vccnz .LBB89_606
; %bb.599:
	global_load_ubyte v4, v[2:3], off
	s_movk_i32 s2, 0x7f
	s_waitcnt vmcnt(0)
	v_cmp_lt_i16_e32 vcc, s2, v4
	s_mov_b64 s[2:3], 0
	s_and_saveexec_b64 s[6:7], vcc
	s_xor_b64 s[6:7], exec, s[6:7]
	s_cbranch_execz .LBB89_620
; %bb.600:
	s_movk_i32 s2, 0x80
	v_cmp_eq_u16_e32 vcc, s2, v4
	s_mov_b64 s[2:3], -1
	s_and_saveexec_b64 s[8:9], vcc
; %bb.601:
	s_xor_b64 s[2:3], exec, -1
; %bb.602:
	s_or_b64 exec, exec, s[8:9]
	s_and_b64 s[2:3], s[2:3], exec
	s_or_saveexec_b64 s[6:7], s[6:7]
	v_mov_b32_e32 v1, 0x7f800001
	s_xor_b64 exec, exec, s[6:7]
	s_cbranch_execnz .LBB89_621
.LBB89_603:
	s_or_b64 exec, exec, s[6:7]
	s_and_saveexec_b64 s[6:7], s[2:3]
	s_cbranch_execz .LBB89_605
.LBB89_604:
	v_lshlrev_b32_e32 v1, 24, v4
	v_and_b32_e32 v4, 0xffff, v4
	v_and_b32_e32 v5, 7, v4
	v_ffbh_u32_e32 v7, v5
	v_min_u32_e32 v7, 32, v7
	v_subrev_u32_e32 v9, 28, v7
	v_bfe_u32 v6, v4, 3, 4
	v_lshlrev_b32_e32 v4, v9, v4
	v_sub_u32_e32 v7, 29, v7
	v_and_b32_e32 v4, 7, v4
	v_cmp_eq_u32_e32 vcc, 0, v6
	v_and_b32_e32 v1, 0x80000000, v1
	s_nop 0
	v_cndmask_b32_e32 v6, v6, v7, vcc
	v_cndmask_b32_e32 v4, v5, v4, vcc
	v_mov_b32_e32 v5, 0x3b800000
	v_lshlrev_b32_e32 v4, 20, v4
	v_lshl_add_u32 v5, v6, 23, v5
	v_or3_b32 v1, v1, v5, v4
.LBB89_605:
	s_or_b64 exec, exec, s[6:7]
.LBB89_606:
	s_mov_b64 s[2:3], -1
.LBB89_607:
	s_mov_b64 s[6:7], 0
.LBB89_608:
	s_and_b64 vcc, exec, s[6:7]
	s_cbranch_vccz .LBB89_643
; %bb.609:
	s_cmp_gt_i32 s10, 22
	s_cbranch_scc0 .LBB89_619
; %bb.610:
	s_cmp_lt_i32 s10, 24
	s_cbranch_scc1 .LBB89_622
; %bb.611:
	s_cmp_gt_i32 s10, 24
	s_cbranch_scc0 .LBB89_623
; %bb.612:
	global_load_ubyte v4, v[2:3], off
	s_movk_i32 s2, 0x7f
	s_waitcnt vmcnt(0)
	v_cmp_lt_i16_e32 vcc, s2, v4
	s_mov_b64 s[2:3], 0
	s_and_saveexec_b64 s[6:7], vcc
	s_xor_b64 s[6:7], exec, s[6:7]
	s_cbranch_execz .LBB89_635
; %bb.613:
	s_movk_i32 s2, 0x80
	v_cmp_eq_u16_e32 vcc, s2, v4
	s_mov_b64 s[2:3], -1
	s_and_saveexec_b64 s[8:9], vcc
; %bb.614:
	s_xor_b64 s[2:3], exec, -1
; %bb.615:
	s_or_b64 exec, exec, s[8:9]
	s_and_b64 s[2:3], s[2:3], exec
	s_or_saveexec_b64 s[6:7], s[6:7]
	v_mov_b32_e32 v1, 0x7f800001
	s_xor_b64 exec, exec, s[6:7]
	s_cbranch_execnz .LBB89_636
.LBB89_616:
	s_or_b64 exec, exec, s[6:7]
	s_and_saveexec_b64 s[6:7], s[2:3]
	s_cbranch_execz .LBB89_618
.LBB89_617:
	v_lshlrev_b32_e32 v1, 24, v4
	v_and_b32_e32 v4, 0xffff, v4
	v_and_b32_e32 v5, 3, v4
	v_ffbh_u32_e32 v7, v5
	v_min_u32_e32 v7, 32, v7
	v_subrev_u32_e32 v9, 29, v7
	v_bfe_u32 v6, v4, 2, 5
	v_lshlrev_b32_e32 v4, v9, v4
	v_sub_u32_e32 v7, 30, v7
	v_and_b32_e32 v4, 3, v4
	v_cmp_eq_u32_e32 vcc, 0, v6
	v_and_b32_e32 v1, 0x80000000, v1
	s_nop 0
	v_cndmask_b32_e32 v6, v6, v7, vcc
	v_cndmask_b32_e32 v4, v5, v4, vcc
	v_mov_b32_e32 v5, 0x37800000
	v_lshlrev_b32_e32 v4, 21, v4
	v_lshl_add_u32 v5, v6, 23, v5
	v_or3_b32 v1, v1, v5, v4
.LBB89_618:
	s_or_b64 exec, exec, s[6:7]
	s_mov_b64 s[2:3], 0
	s_branch .LBB89_624
.LBB89_619:
	s_mov_b64 s[6:7], -1
                                        ; implicit-def: $vgpr1
	s_branch .LBB89_630
.LBB89_620:
	s_or_saveexec_b64 s[6:7], s[6:7]
	v_mov_b32_e32 v1, 0x7f800001
	s_xor_b64 exec, exec, s[6:7]
	s_cbranch_execz .LBB89_603
.LBB89_621:
	v_cmp_ne_u16_e32 vcc, 0, v4
	s_andn2_b64 s[2:3], s[2:3], exec
	s_and_b64 s[8:9], vcc, exec
	v_mov_b32_e32 v1, 0
	s_or_b64 s[2:3], s[2:3], s[8:9]
	s_or_b64 exec, exec, s[6:7]
	s_and_saveexec_b64 s[6:7], s[2:3]
	s_cbranch_execnz .LBB89_604
	s_branch .LBB89_605
.LBB89_622:
	s_mov_b64 s[2:3], -1
                                        ; implicit-def: $vgpr1
	s_branch .LBB89_627
.LBB89_623:
	s_mov_b64 s[2:3], -1
                                        ; implicit-def: $vgpr1
.LBB89_624:
	s_and_b64 vcc, exec, s[2:3]
	s_cbranch_vccz .LBB89_626
; %bb.625:
	global_load_ubyte v1, v[2:3], off
	s_mov_b32 s2, 0x7f800000
	s_waitcnt vmcnt(0)
	v_lshlrev_b32_e32 v1, 24, v1
	v_and_b32_e32 v4, 0x7f000000, v1
	v_ffbh_u32_e32 v5, v4
	v_min_u32_e32 v5, 32, v5
	v_sub_u32_e64 v5, v5, 4 clamp
	v_lshlrev_b32_e32 v7, v5, v4
	v_lshlrev_b32_e32 v5, 23, v5
	v_lshrrev_b32_e32 v7, 4, v7
	v_add_u32_e32 v6, 0x1000000, v4
	v_sub_u32_e32 v5, v7, v5
	v_ashrrev_i32_e32 v6, 8, v6
	v_add_u32_e32 v5, 0x3c000000, v5
	v_and_or_b32 v5, v6, s2, v5
	v_cmp_ne_u32_e32 vcc, 0, v4
	s_brev_b32 s2, 1
	s_nop 0
	v_cndmask_b32_e32 v4, 0, v5, vcc
	v_and_or_b32 v1, v1, s2, v4
.LBB89_626:
	s_mov_b64 s[2:3], 0
.LBB89_627:
	s_andn2_b64 vcc, exec, s[2:3]
	s_cbranch_vccnz .LBB89_629
; %bb.628:
	global_load_ubyte v1, v[2:3], off
	s_movk_i32 s2, 0x7f00
	s_brev_b32 s3, 16
	s_waitcnt vmcnt(0)
	v_lshlrev_b16_e32 v4, 8, v1
	v_lshlrev_b32_e32 v1, 25, v1
	v_lshrrev_b32_e32 v5, 4, v1
	v_and_or_b32 v6, v4, s2, 0.5
	v_or_b32_e32 v5, 0x70000000, v5
	v_add_f32_e32 v6, -0.5, v6
	v_mul_f32_e32 v5, 0x7800000, v5
	v_cmp_gt_u32_e32 vcc, s3, v1
	v_bfe_i32 v4, v4, 0, 16
	s_brev_b32 s2, 1
	v_cndmask_b32_e32 v1, v5, v6, vcc
	v_and_or_b32 v1, v4, s2, v1
.LBB89_629:
	s_mov_b64 s[6:7], 0
	s_mov_b64 s[2:3], -1
.LBB89_630:
	s_andn2_b64 vcc, exec, s[6:7]
	s_cbranch_vccnz .LBB89_643
; %bb.631:
	s_cmp_gt_i32 s10, 14
	s_cbranch_scc0 .LBB89_634
; %bb.632:
	s_cmp_eq_u32 s10, 15
	s_cbranch_scc0 .LBB89_637
; %bb.633:
	global_load_ushort v1, v[2:3], off
	s_mov_b64 s[2:3], -1
	s_mov_b64 s[4:5], 0
	s_waitcnt vmcnt(0)
	v_lshlrev_b32_e32 v1, 16, v1
	s_branch .LBB89_638
.LBB89_634:
	s_mov_b64 s[6:7], -1
                                        ; implicit-def: $vgpr1
	s_branch .LBB89_639
.LBB89_635:
	s_or_saveexec_b64 s[6:7], s[6:7]
	v_mov_b32_e32 v1, 0x7f800001
	s_xor_b64 exec, exec, s[6:7]
	s_cbranch_execz .LBB89_616
.LBB89_636:
	v_cmp_ne_u16_e32 vcc, 0, v4
	s_andn2_b64 s[2:3], s[2:3], exec
	s_and_b64 s[8:9], vcc, exec
	v_mov_b32_e32 v1, 0
	s_or_b64 s[2:3], s[2:3], s[8:9]
	s_or_b64 exec, exec, s[6:7]
	s_and_saveexec_b64 s[6:7], s[2:3]
	s_cbranch_execnz .LBB89_617
	s_branch .LBB89_618
.LBB89_637:
	s_mov_b64 s[4:5], -1
                                        ; implicit-def: $vgpr1
.LBB89_638:
	s_mov_b64 s[6:7], 0
.LBB89_639:
	s_and_b64 vcc, exec, s[6:7]
	s_cbranch_vccz .LBB89_643
; %bb.640:
	s_cmp_eq_u32 s10, 11
	s_cbranch_scc0 .LBB89_642
; %bb.641:
	global_load_ubyte v1, v[2:3], off
	s_mov_b64 s[2:3], -1
	s_mov_b64 s[4:5], 0
	s_waitcnt vmcnt(0)
	v_cmp_ne_u16_e32 vcc, 0, v1
	s_nop 1
	v_cndmask_b32_e64 v1, 0, 1.0, vcc
	s_branch .LBB89_643
.LBB89_642:
	s_mov_b64 s[4:5], -1
                                        ; implicit-def: $vgpr1
.LBB89_643:
	s_mov_b64 s[6:7], 0
.LBB89_644:
	s_and_b64 vcc, exec, s[6:7]
	s_cbranch_vccz .LBB89_693
; %bb.645:
	s_cmp_lt_i32 s10, 5
	s_cbranch_scc1 .LBB89_650
; %bb.646:
	s_cmp_lt_i32 s10, 8
	s_cbranch_scc1 .LBB89_651
	;; [unrolled: 3-line block ×3, first 2 shown]
; %bb.648:
	s_cmp_gt_i32 s10, 9
	s_cbranch_scc0 .LBB89_653
; %bb.649:
	global_load_dwordx2 v[4:5], v[2:3], off
	s_mov_b64 s[2:3], 0
	s_waitcnt vmcnt(0)
	v_cvt_f32_f64_e32 v1, v[4:5]
	s_branch .LBB89_654
.LBB89_650:
	s_mov_b64 s[2:3], -1
                                        ; implicit-def: $vgpr1
	s_branch .LBB89_672
.LBB89_651:
	s_mov_b64 s[2:3], -1
                                        ; implicit-def: $vgpr1
	s_branch .LBB89_660
.LBB89_652:
	s_mov_b64 s[2:3], -1
                                        ; implicit-def: $vgpr1
	s_branch .LBB89_657
.LBB89_653:
	s_mov_b64 s[2:3], -1
                                        ; implicit-def: $vgpr1
.LBB89_654:
	s_andn2_b64 vcc, exec, s[2:3]
	s_cbranch_vccnz .LBB89_656
; %bb.655:
	global_load_dword v1, v[2:3], off
.LBB89_656:
	s_mov_b64 s[2:3], 0
.LBB89_657:
	s_andn2_b64 vcc, exec, s[2:3]
	s_cbranch_vccnz .LBB89_659
; %bb.658:
	global_load_dword v1, v[2:3], off
	s_waitcnt vmcnt(0)
	v_cvt_f32_f16_e32 v1, v1
.LBB89_659:
	s_mov_b64 s[2:3], 0
.LBB89_660:
	s_andn2_b64 vcc, exec, s[2:3]
	s_cbranch_vccnz .LBB89_671
; %bb.661:
	s_cmp_lt_i32 s10, 6
	s_cbranch_scc1 .LBB89_664
; %bb.662:
	s_cmp_gt_i32 s10, 6
	s_cbranch_scc0 .LBB89_665
; %bb.663:
	global_load_dwordx2 v[4:5], v[2:3], off
	s_mov_b64 s[2:3], 0
	s_waitcnt vmcnt(0)
	v_cvt_f32_f64_e32 v1, v[4:5]
	s_branch .LBB89_666
.LBB89_664:
	s_mov_b64 s[2:3], -1
                                        ; implicit-def: $vgpr1
	s_branch .LBB89_669
.LBB89_665:
	s_mov_b64 s[2:3], -1
                                        ; implicit-def: $vgpr1
.LBB89_666:
	s_andn2_b64 vcc, exec, s[2:3]
	s_cbranch_vccnz .LBB89_668
; %bb.667:
	global_load_dword v1, v[2:3], off
.LBB89_668:
	s_mov_b64 s[2:3], 0
.LBB89_669:
	s_andn2_b64 vcc, exec, s[2:3]
	s_cbranch_vccnz .LBB89_671
; %bb.670:
	global_load_ushort v1, v[2:3], off
	s_waitcnt vmcnt(0)
	v_cvt_f32_f16_e32 v1, v1
.LBB89_671:
	s_mov_b64 s[2:3], 0
.LBB89_672:
	s_andn2_b64 vcc, exec, s[2:3]
	s_cbranch_vccnz .LBB89_692
; %bb.673:
	s_cmp_lt_i32 s10, 2
	s_cbranch_scc1 .LBB89_677
; %bb.674:
	s_cmp_lt_i32 s10, 3
	s_cbranch_scc1 .LBB89_678
; %bb.675:
	s_cmp_gt_i32 s10, 3
	s_cbranch_scc0 .LBB89_679
; %bb.676:
	global_load_dwordx2 v[4:5], v[2:3], off
	s_mov_b64 s[2:3], 0
	s_waitcnt vmcnt(0)
	v_xor_b32_e32 v6, v4, v5
	v_ffbh_i32_e32 v1, v5
	v_ashrrev_i32_e32 v6, 31, v6
	v_add_u32_e32 v1, -1, v1
	v_add_u32_e32 v6, 32, v6
	v_min_u32_e32 v1, v1, v6
	v_lshlrev_b64 v[4:5], v1, v[4:5]
	v_min_u32_e32 v4, 1, v4
	v_or_b32_e32 v4, v5, v4
	v_cvt_f32_i32_e32 v4, v4
	v_sub_u32_e32 v1, 32, v1
	v_ldexp_f32 v1, v4, v1
	s_branch .LBB89_680
.LBB89_677:
	s_mov_b64 s[2:3], -1
                                        ; implicit-def: $vgpr1
	s_branch .LBB89_686
.LBB89_678:
	s_mov_b64 s[2:3], -1
                                        ; implicit-def: $vgpr1
	s_branch .LBB89_683
.LBB89_679:
	s_mov_b64 s[2:3], -1
                                        ; implicit-def: $vgpr1
.LBB89_680:
	s_andn2_b64 vcc, exec, s[2:3]
	s_cbranch_vccnz .LBB89_682
; %bb.681:
	global_load_dword v1, v[2:3], off
	s_waitcnt vmcnt(0)
	v_cvt_f32_i32_e32 v1, v1
.LBB89_682:
	s_mov_b64 s[2:3], 0
.LBB89_683:
	s_andn2_b64 vcc, exec, s[2:3]
	s_cbranch_vccnz .LBB89_685
; %bb.684:
	global_load_sshort v1, v[2:3], off
	s_waitcnt vmcnt(0)
	v_cvt_f32_i32_e32 v1, v1
.LBB89_685:
	s_mov_b64 s[2:3], 0
.LBB89_686:
	s_andn2_b64 vcc, exec, s[2:3]
	s_cbranch_vccnz .LBB89_692
; %bb.687:
	s_cmp_gt_i32 s10, 0
	s_cbranch_scc0 .LBB89_689
; %bb.688:
	global_load_sbyte v1, v[2:3], off
	s_mov_b64 s[2:3], 0
	s_waitcnt vmcnt(0)
	v_cvt_f32_i32_e32 v1, v1
	s_branch .LBB89_690
.LBB89_689:
	s_mov_b64 s[2:3], -1
                                        ; implicit-def: $vgpr1
.LBB89_690:
	s_andn2_b64 vcc, exec, s[2:3]
	s_cbranch_vccnz .LBB89_692
; %bb.691:
	global_load_ubyte v1, v[2:3], off
	s_waitcnt vmcnt(0)
	v_cvt_f32_ubyte0_e32 v1, v1
.LBB89_692:
	s_mov_b64 s[2:3], -1
.LBB89_693:
	s_andn2_b64 vcc, exec, s[2:3]
	s_cbranch_vccnz .LBB89_701
; %bb.694:
	s_waitcnt vmcnt(0)
	v_mul_f32_e32 v2, 0x3fb8aa3b, v1
	s_mov_b32 s2, 0x3fb8aa3b
	v_rndne_f32_e32 v3, v2
	v_sub_f32_e32 v4, v2, v3
	v_fma_f32 v2, v1, s2, -v2
	v_fmamk_f32 v2, v1, 0x32a5705f, v2
	v_add_f32_e32 v2, v4, v2
	v_exp_f32_e32 v2, v2
	v_cvt_i32_f32_e32 v3, v3
	s_mov_b32 s2, 0xc2ce8ed0
	v_cmp_ngt_f32_e32 vcc, s2, v1
	s_mov_b32 s2, 0x42b17218
	v_ldexp_f32 v2, v2, v3
	v_cndmask_b32_e32 v2, 0, v2, vcc
	v_mov_b32_e32 v3, 0x7f800000
	v_cmp_nlt_f32_e32 vcc, s2, v1
	v_mov_b32_e32 v1, 0
	s_and_b32 s12, s73, 0xff
	v_cndmask_b32_e32 v2, v3, v2, vcc
	s_cmp_lt_i32 s12, 11
	v_lshl_add_u64 v[0:1], s[20:21], 0, v[0:1]
	s_cbranch_scc1 .LBB89_702
; %bb.695:
	s_and_b32 s13, 0xffff, s12
	s_cmp_gt_i32 s13, 25
	s_cbranch_scc0 .LBB89_703
; %bb.696:
	s_cmp_gt_i32 s13, 28
	s_cbranch_scc0 .LBB89_704
; %bb.697:
	;; [unrolled: 3-line block ×4, first 2 shown]
	s_mov_b64 s[8:9], 0
	s_mov_b64 s[2:3], -1
	s_cmp_eq_u32 s13, 46
	s_mov_b64 s[6:7], 0
	s_cbranch_scc0 .LBB89_707
; %bb.700:
	v_bfe_u32 v3, v2, 16, 1
	s_movk_i32 s2, 0x7fff
	v_add3_u32 v3, v2, v3, s2
	v_cmp_o_f32_e32 vcc, v2, v2
	v_mov_b32_e32 v4, 0x7fc0
	s_mov_b64 s[6:7], -1
	v_cndmask_b32_sdwa v3, v4, v3, vcc dst_sel:DWORD dst_unused:UNUSED_PAD src0_sel:DWORD src1_sel:WORD_1
	global_store_dword v[0:1], v3, off
	s_mov_b64 s[2:3], 0
	s_branch .LBB89_707
.LBB89_701:
	s_mov_b64 s[6:7], 0
	s_mov_b64 s[2:3], s[62:63]
	s_branch .LBB89_818
.LBB89_702:
	s_mov_b64 s[8:9], -1
	s_mov_b64 s[6:7], 0
	s_mov_b64 s[2:3], s[62:63]
	s_branch .LBB89_776
.LBB89_703:
	s_mov_b64 s[8:9], -1
	s_mov_b64 s[6:7], 0
	s_mov_b64 s[2:3], s[62:63]
	s_branch .LBB89_734
.LBB89_704:
	s_mov_b64 s[8:9], -1
	s_mov_b64 s[6:7], 0
	s_mov_b64 s[2:3], s[62:63]
	s_branch .LBB89_717
.LBB89_705:
	s_mov_b64 s[8:9], -1
	s_mov_b64 s[6:7], 0
	s_mov_b64 s[2:3], s[62:63]
	s_branch .LBB89_713
.LBB89_706:
	s_mov_b64 s[8:9], -1
	s_mov_b64 s[6:7], 0
	s_mov_b64 s[2:3], s[62:63]
.LBB89_707:
	s_and_b64 vcc, exec, s[8:9]
	s_cbranch_vccz .LBB89_712
; %bb.708:
	s_cmp_eq_u32 s13, 44
	s_mov_b64 s[2:3], -1
	s_cbranch_scc0 .LBB89_712
; %bb.709:
	v_bfe_u32 v3, v2, 23, 8
	s_movk_i32 s2, 0xff
	v_cmp_ne_u32_e32 vcc, s2, v3
	v_mov_b32_e32 v4, 0xff
	s_and_saveexec_b64 s[6:7], vcc
; %bb.710:
	s_mov_b32 s2, 0x3fffff
	v_and_b32_e32 v5, 0x400000, v2
	v_and_or_b32 v3, v2, s2, v3
	v_cmp_ne_u32_e32 vcc, 0, v5
	v_cmp_ne_u32_e64 s[2:3], 0, v3
	s_and_b64 s[2:3], vcc, s[2:3]
	v_lshrrev_b32_e32 v4, 23, v2
	v_cndmask_b32_e64 v3, 0, 1, s[2:3]
	v_add_u32_e32 v4, v4, v3
; %bb.711:
	s_or_b64 exec, exec, s[6:7]
	s_mov_b64 s[6:7], -1
	s_mov_b64 s[2:3], 0
	global_store_byte v[0:1], v4, off
.LBB89_712:
	s_mov_b64 s[8:9], 0
.LBB89_713:
	s_and_b64 vcc, exec, s[8:9]
	s_cbranch_vccz .LBB89_716
; %bb.714:
	s_cmp_eq_u32 s13, 29
	s_mov_b64 s[2:3], -1
	s_cbranch_scc0 .LBB89_716
; %bb.715:
	v_trunc_f32_e32 v3, v2
	v_mul_f32_e32 v4, 0x2f800000, v3
	v_floor_f32_e32 v4, v4
	v_fmamk_f32 v3, v4, 0xcf800000, v3
	v_cvt_u32_f32_e32 v5, v4
	v_cvt_u32_f32_e32 v4, v3
	s_mov_b64 s[6:7], -1
	s_mov_b64 s[2:3], 0
	s_mov_b64 s[8:9], 0
	global_store_dwordx2 v[0:1], v[4:5], off
	s_branch .LBB89_717
.LBB89_716:
	s_mov_b64 s[8:9], 0
.LBB89_717:
	s_and_b64 vcc, exec, s[8:9]
	s_cbranch_vccz .LBB89_733
; %bb.718:
	s_cmp_lt_i32 s13, 27
	s_mov_b64 s[6:7], -1
	s_cbranch_scc1 .LBB89_724
; %bb.719:
	v_cvt_u32_f32_e32 v3, v2
	s_cmp_gt_i32 s13, 27
	s_cbranch_scc0 .LBB89_721
; %bb.720:
	s_mov_b64 s[6:7], 0
	global_store_dword v[0:1], v3, off
.LBB89_721:
	s_andn2_b64 vcc, exec, s[6:7]
	s_cbranch_vccnz .LBB89_723
; %bb.722:
	global_store_short v[0:1], v3, off
.LBB89_723:
	s_mov_b64 s[6:7], 0
.LBB89_724:
	s_andn2_b64 vcc, exec, s[6:7]
	s_cbranch_vccnz .LBB89_732
; %bb.725:
	v_and_b32_e32 v3, 0x7fffffff, v2
	s_mov_b32 s6, 0x43800000
	v_cmp_gt_u32_e32 vcc, s6, v3
	v_mov_b32_e32 v4, 0x80
	s_and_saveexec_b64 s[6:7], vcc
	s_cbranch_execz .LBB89_731
; %bb.726:
	s_mov_b32 s8, 0x3bffffff
	v_cmp_lt_u32_e32 vcc, s8, v3
	s_mov_b64 s[8:9], 0
                                        ; implicit-def: $vgpr3
	s_and_saveexec_b64 s[10:11], vcc
	s_xor_b64 s[10:11], exec, s[10:11]
	s_cbranch_execz .LBB89_849
; %bb.727:
	v_bfe_u32 v3, v2, 20, 1
	s_mov_b32 s14, 0x487ffff
	v_add3_u32 v3, v2, v3, s14
	s_mov_b64 s[8:9], exec
	v_lshrrev_b32_e32 v3, 20, v3
	s_andn2_saveexec_b64 s[10:11], s[10:11]
	s_cbranch_execnz .LBB89_850
.LBB89_728:
	s_or_b64 exec, exec, s[10:11]
	v_mov_b32_e32 v4, 0
	s_and_saveexec_b64 s[10:11], s[8:9]
.LBB89_729:
	v_lshrrev_b32_e32 v4, 24, v2
	s_movk_i32 s8, 0x80
	v_and_or_b32 v4, v4, s8, v3
.LBB89_730:
	s_or_b64 exec, exec, s[10:11]
.LBB89_731:
	s_or_b64 exec, exec, s[6:7]
	global_store_byte v[0:1], v4, off
.LBB89_732:
	s_mov_b64 s[6:7], -1
.LBB89_733:
	s_mov_b64 s[8:9], 0
.LBB89_734:
	s_and_b64 vcc, exec, s[8:9]
	s_cbranch_vccz .LBB89_775
; %bb.735:
	s_cmp_gt_i32 s13, 22
	s_mov_b64 s[8:9], -1
	s_cbranch_scc0 .LBB89_767
; %bb.736:
	s_cmp_lt_i32 s13, 24
	s_mov_b64 s[6:7], -1
	s_cbranch_scc1 .LBB89_756
; %bb.737:
	s_cmp_gt_i32 s13, 24
	s_cbranch_scc0 .LBB89_745
; %bb.738:
	v_and_b32_e32 v3, 0x7fffffff, v2
	s_mov_b32 s6, 0x47800000
	v_cmp_gt_u32_e32 vcc, s6, v3
	v_mov_b32_e32 v4, 0x80
	s_and_saveexec_b64 s[6:7], vcc
	s_cbranch_execz .LBB89_744
; %bb.739:
	s_mov_b32 s8, 0x37ffffff
	v_cmp_lt_u32_e32 vcc, s8, v3
	s_mov_b64 s[8:9], 0
                                        ; implicit-def: $vgpr3
	s_and_saveexec_b64 s[10:11], vcc
	s_xor_b64 s[10:11], exec, s[10:11]
	s_cbranch_execz .LBB89_852
; %bb.740:
	v_bfe_u32 v3, v2, 21, 1
	s_mov_b32 s14, 0x88fffff
	v_add3_u32 v3, v2, v3, s14
	s_mov_b64 s[8:9], exec
	v_lshrrev_b32_e32 v3, 21, v3
	s_andn2_saveexec_b64 s[10:11], s[10:11]
	s_cbranch_execnz .LBB89_853
.LBB89_741:
	s_or_b64 exec, exec, s[10:11]
	v_mov_b32_e32 v4, 0
	s_and_saveexec_b64 s[10:11], s[8:9]
.LBB89_742:
	v_lshrrev_b32_e32 v4, 24, v2
	s_movk_i32 s8, 0x80
	v_and_or_b32 v4, v4, s8, v3
.LBB89_743:
	s_or_b64 exec, exec, s[10:11]
.LBB89_744:
	s_or_b64 exec, exec, s[6:7]
	s_mov_b64 s[6:7], 0
	global_store_byte v[0:1], v4, off
.LBB89_745:
	s_and_b64 vcc, exec, s[6:7]
	s_cbranch_vccz .LBB89_755
; %bb.746:
	v_and_b32_e32 v4, 0x7fffffff, v2
	s_mov_b32 s6, 0x43f00000
	v_cmp_gt_u32_e32 vcc, s6, v4
                                        ; implicit-def: $vgpr3
	s_and_saveexec_b64 s[6:7], vcc
	s_xor_b64 s[6:7], exec, s[6:7]
	s_cbranch_execz .LBB89_752
; %bb.747:
	s_mov_b32 s8, 0x3c7fffff
	v_cmp_lt_u32_e32 vcc, s8, v4
                                        ; implicit-def: $vgpr3
	s_and_saveexec_b64 s[8:9], vcc
	s_xor_b64 s[8:9], exec, s[8:9]
; %bb.748:
	v_bfe_u32 v3, v2, 20, 1
	s_mov_b32 s10, 0x407ffff
	v_add3_u32 v3, v2, v3, s10
	v_lshrrev_b32_e32 v4, 20, v3
	v_and_b32_e32 v3, 0xff00000, v3
	s_mov_b32 s10, 0x7f00000
	v_mov_b32_e32 v5, 0x7e
	v_cmp_ne_u32_e32 vcc, s10, v3
	s_nop 1
	v_cndmask_b32_e32 v3, v5, v4, vcc
; %bb.749:
	s_andn2_saveexec_b64 s[8:9], s[8:9]
; %bb.750:
	s_mov_b32 s10, 0x46800000
	v_add_f32_e64 v3, |v2|, s10
; %bb.751:
	s_or_b64 exec, exec, s[8:9]
                                        ; implicit-def: $vgpr4
.LBB89_752:
	s_andn2_saveexec_b64 s[6:7], s[6:7]
; %bb.753:
	s_mov_b32 s8, 0x7f800000
	v_mov_b32_e32 v3, 0x7e
	v_mov_b32_e32 v5, 0x7f
	v_cmp_lt_u32_e32 vcc, s8, v4
	s_nop 1
	v_cndmask_b32_e32 v3, v3, v5, vcc
; %bb.754:
	s_or_b64 exec, exec, s[6:7]
	v_lshrrev_b32_e32 v4, 24, v2
	s_movk_i32 s6, 0x80
	v_and_or_b32 v3, v4, s6, v3
	global_store_byte v[0:1], v3, off
.LBB89_755:
	s_mov_b64 s[6:7], 0
.LBB89_756:
	s_andn2_b64 vcc, exec, s[6:7]
	s_cbranch_vccnz .LBB89_766
; %bb.757:
	v_and_b32_e32 v4, 0x7fffffff, v2
	s_mov_b32 s6, 0x47800000
	v_cmp_gt_u32_e32 vcc, s6, v4
                                        ; implicit-def: $vgpr3
	s_and_saveexec_b64 s[6:7], vcc
	s_xor_b64 s[6:7], exec, s[6:7]
	s_cbranch_execz .LBB89_763
; %bb.758:
	s_mov_b32 s8, 0x387fffff
	v_cmp_lt_u32_e32 vcc, s8, v4
                                        ; implicit-def: $vgpr3
	s_and_saveexec_b64 s[8:9], vcc
	s_xor_b64 s[8:9], exec, s[8:9]
; %bb.759:
	v_bfe_u32 v3, v2, 21, 1
	s_mov_b32 s10, 0x80fffff
	v_add3_u32 v3, v2, v3, s10
	v_lshrrev_b32_e32 v3, 21, v3
; %bb.760:
	s_andn2_saveexec_b64 s[8:9], s[8:9]
; %bb.761:
	s_mov_b32 s10, 0x43000000
	v_add_f32_e64 v3, |v2|, s10
; %bb.762:
	s_or_b64 exec, exec, s[8:9]
                                        ; implicit-def: $vgpr4
.LBB89_763:
	s_andn2_saveexec_b64 s[6:7], s[6:7]
; %bb.764:
	s_mov_b32 s8, 0x7f800000
	v_mov_b32_e32 v3, 0x7c
	v_mov_b32_e32 v5, 0x7f
	v_cmp_lt_u32_e32 vcc, s8, v4
	s_nop 1
	v_cndmask_b32_e32 v3, v3, v5, vcc
; %bb.765:
	s_or_b64 exec, exec, s[6:7]
	v_lshrrev_b32_e32 v4, 24, v2
	s_movk_i32 s6, 0x80
	v_and_or_b32 v3, v4, s6, v3
	global_store_byte v[0:1], v3, off
.LBB89_766:
	s_mov_b64 s[8:9], 0
	s_mov_b64 s[6:7], -1
.LBB89_767:
	s_andn2_b64 vcc, exec, s[8:9]
	s_cbranch_vccnz .LBB89_775
; %bb.768:
	s_cmp_gt_i32 s13, 14
	s_mov_b64 s[8:9], -1
	s_cbranch_scc0 .LBB89_772
; %bb.769:
	s_cmp_eq_u32 s13, 15
	s_mov_b64 s[2:3], -1
	s_cbranch_scc0 .LBB89_771
; %bb.770:
	v_bfe_u32 v3, v2, 16, 1
	s_movk_i32 s2, 0x7fff
	v_add3_u32 v3, v2, v3, s2
	v_cmp_o_f32_e32 vcc, v2, v2
	v_mov_b32_e32 v4, 0x7fc0
	s_mov_b64 s[6:7], -1
	v_cndmask_b32_sdwa v3, v4, v3, vcc dst_sel:DWORD dst_unused:UNUSED_PAD src0_sel:DWORD src1_sel:WORD_1
	global_store_short v[0:1], v3, off
	s_mov_b64 s[2:3], 0
.LBB89_771:
	s_mov_b64 s[8:9], 0
.LBB89_772:
	s_and_b64 vcc, exec, s[8:9]
	s_cbranch_vccz .LBB89_775
; %bb.773:
	s_cmp_eq_u32 s13, 11
	s_mov_b64 s[2:3], -1
	s_cbranch_scc0 .LBB89_775
; %bb.774:
	v_cmp_neq_f32_e32 vcc, 0, v2
	s_mov_b64 s[6:7], -1
	s_mov_b64 s[2:3], 0
	v_cndmask_b32_e64 v3, 0, 1, vcc
	global_store_byte v[0:1], v3, off
.LBB89_775:
	s_mov_b64 s[8:9], 0
.LBB89_776:
	s_and_b64 vcc, exec, s[8:9]
	s_cbranch_vccz .LBB89_815
; %bb.777:
	s_and_b32 s8, 0xffff, s12
	s_cmp_lt_i32 s8, 5
	s_mov_b64 s[6:7], -1
	s_cbranch_scc1 .LBB89_798
; %bb.778:
	s_cmp_lt_i32 s8, 8
	s_cbranch_scc1 .LBB89_788
; %bb.779:
	s_cmp_lt_i32 s8, 9
	s_cbranch_scc1 .LBB89_785
; %bb.780:
	s_cmp_gt_i32 s8, 9
	s_cbranch_scc0 .LBB89_782
; %bb.781:
	v_mov_b32_e32 v6, 0
	v_cvt_f64_f32_e32 v[4:5], v2
	v_mov_b32_e32 v7, v6
	s_mov_b64 s[6:7], 0
	global_store_dwordx4 v[0:1], v[4:7], off
.LBB89_782:
	s_andn2_b64 vcc, exec, s[6:7]
	s_cbranch_vccnz .LBB89_784
; %bb.783:
	v_mov_b32_e32 v3, 0
	global_store_dwordx2 v[0:1], v[2:3], off
.LBB89_784:
	s_mov_b64 s[6:7], 0
.LBB89_785:
	s_andn2_b64 vcc, exec, s[6:7]
	s_cbranch_vccnz .LBB89_787
; %bb.786:
	v_cvt_f16_f32_e32 v3, v2
	global_store_dword v[0:1], v3, off
.LBB89_787:
	s_mov_b64 s[6:7], 0
.LBB89_788:
	s_andn2_b64 vcc, exec, s[6:7]
	s_cbranch_vccnz .LBB89_797
; %bb.789:
	s_cmp_lt_i32 s8, 6
	s_mov_b64 s[6:7], -1
	s_cbranch_scc1 .LBB89_795
; %bb.790:
	s_cmp_gt_i32 s8, 6
	s_cbranch_scc0 .LBB89_792
; %bb.791:
	v_cvt_f64_f32_e32 v[4:5], v2
	s_mov_b64 s[6:7], 0
	global_store_dwordx2 v[0:1], v[4:5], off
.LBB89_792:
	s_andn2_b64 vcc, exec, s[6:7]
	s_cbranch_vccnz .LBB89_794
; %bb.793:
	global_store_dword v[0:1], v2, off
.LBB89_794:
	s_mov_b64 s[6:7], 0
.LBB89_795:
	s_andn2_b64 vcc, exec, s[6:7]
	s_cbranch_vccnz .LBB89_797
; %bb.796:
	v_cvt_f16_f32_e32 v3, v2
	global_store_short v[0:1], v3, off
.LBB89_797:
	s_mov_b64 s[6:7], 0
.LBB89_798:
	s_andn2_b64 vcc, exec, s[6:7]
	s_cbranch_vccnz .LBB89_814
; %bb.799:
	s_cmp_lt_i32 s8, 2
	s_mov_b64 s[6:7], -1
	s_cbranch_scc1 .LBB89_809
; %bb.800:
	s_cmp_lt_i32 s8, 3
	s_cbranch_scc1 .LBB89_806
; %bb.801:
	s_cmp_gt_i32 s8, 3
	s_cbranch_scc0 .LBB89_803
; %bb.802:
	v_trunc_f32_e32 v3, v2
	s_mov_b32 s6, 0x2f800000
	v_mul_f32_e64 v4, |v3|, s6
	v_floor_f32_e32 v4, v4
	s_mov_b32 s6, 0xcf800000
	v_cvt_u32_f32_e32 v5, v4
	v_fma_f32 v4, v4, s6, |v3|
	v_cvt_u32_f32_e32 v4, v4
	v_ashrrev_i32_e32 v3, 31, v3
	v_xor_b32_e32 v5, v5, v3
	s_mov_b64 s[6:7], 0
	v_xor_b32_e32 v4, v4, v3
	v_sub_co_u32_e32 v4, vcc, v4, v3
	s_nop 1
	v_subb_co_u32_e32 v5, vcc, v5, v3, vcc
	global_store_dwordx2 v[0:1], v[4:5], off
.LBB89_803:
	s_andn2_b64 vcc, exec, s[6:7]
	s_cbranch_vccnz .LBB89_805
; %bb.804:
	v_cvt_i32_f32_e32 v3, v2
	global_store_dword v[0:1], v3, off
.LBB89_805:
	s_mov_b64 s[6:7], 0
.LBB89_806:
	s_andn2_b64 vcc, exec, s[6:7]
	s_cbranch_vccnz .LBB89_808
; %bb.807:
	v_cvt_i32_f32_e32 v3, v2
	global_store_short v[0:1], v3, off
.LBB89_808:
	s_mov_b64 s[6:7], 0
.LBB89_809:
	s_andn2_b64 vcc, exec, s[6:7]
	s_cbranch_vccnz .LBB89_814
; %bb.810:
	s_cmp_gt_i32 s8, 0
	s_mov_b64 s[6:7], -1
	s_cbranch_scc0 .LBB89_812
; %bb.811:
	v_cvt_i32_f32_e32 v3, v2
	s_mov_b64 s[6:7], 0
	global_store_byte v[0:1], v3, off
.LBB89_812:
	s_andn2_b64 vcc, exec, s[6:7]
	s_cbranch_vccnz .LBB89_814
; %bb.813:
	v_trunc_f32_e32 v2, v2
	s_mov_b32 s6, 0x2f800000
	v_mul_f32_e64 v3, |v2|, s6
	v_floor_f32_e32 v3, v3
	s_mov_b32 s6, 0xcf800000
	v_fma_f32 v3, v3, s6, |v2|
	v_cvt_u32_f32_e32 v3, v3
	v_ashrrev_i32_e32 v2, 31, v2
	v_xor_b32_e32 v3, v3, v2
	v_sub_u32_e32 v2, v3, v2
	global_store_byte v[0:1], v2, off
.LBB89_814:
	s_mov_b64 s[6:7], -1
.LBB89_815:
	s_andn2_b64 vcc, exec, s[6:7]
	s_cbranch_vccnz .LBB89_817
; %bb.816:
	v_add_u32_e32 v8, 0x80, v8
	s_mov_b64 s[6:7], -1
	s_branch .LBB89_819
.LBB89_817:
	s_mov_b64 s[6:7], 0
.LBB89_818:
                                        ; implicit-def: $vgpr8
.LBB89_819:
	s_andn2_b64 s[8:9], s[62:63], exec
	s_and_b64 s[2:3], s[2:3], exec
	s_or_b64 s[68:69], s[8:9], s[2:3]
	s_andn2_b64 s[2:3], s[60:61], exec
	s_and_b64 s[4:5], s[4:5], exec
	s_or_b64 s[2:3], s[2:3], s[4:5]
	s_orn2_b64 s[6:7], s[6:7], exec
.LBB89_820:
	s_or_b64 exec, exec, s[66:67]
	s_mov_b64 s[4:5], 0
	s_mov_b64 s[10:11], 0
	s_mov_b64 s[8:9], 0
                                        ; implicit-def: $vgpr2_vgpr3
                                        ; implicit-def: $vgpr0
                                        ; implicit-def: $vgpr1
	s_and_saveexec_b64 s[66:67], s[6:7]
	s_cbranch_execz .LBB89_920
; %bb.821:
	v_cmp_gt_i32_e32 vcc, s70, v8
	s_mov_b64 s[6:7], 0
	s_mov_b64 s[12:13], s[2:3]
                                        ; implicit-def: $vgpr2_vgpr3
                                        ; implicit-def: $vgpr0
                                        ; implicit-def: $vgpr1
	s_and_saveexec_b64 s[70:71], vcc
	s_cbranch_execz .LBB89_919
; %bb.822:
	s_andn2_b64 vcc, exec, s[42:43]
	s_cbranch_vccnz .LBB89_828
; %bb.823:
	s_andn2_b64 vcc, exec, s[52:53]
	s_cbranch_vccnz .LBB89_829
; %bb.824:
	s_add_i32 s76, s75, 1
	s_cmp_eq_u32 s72, 2
	s_cbranch_scc1 .LBB89_830
; %bb.825:
	s_and_b32 s75, s76, 28
	s_mov_b32 s77, 0
	v_mov_b32_e32 v0, 0
	v_mov_b32_e32 v2, 0
	s_mov_b64 s[52:53], s[34:35]
	v_mov_b32_e32 v4, v8
.LBB89_826:                             ; =>This Inner Loop Header: Depth=1
	s_load_dwordx8 s[12:19], s[52:53], 0x4
	s_load_dwordx4 s[36:39], s[52:53], 0x24
	s_load_dwordx8 s[4:11], s[50:51], 0x0
	s_add_u32 s52, s52, 48
	s_addc_u32 s53, s53, 0
	s_waitcnt vmcnt(0) lgkmcnt(0)
	v_mul_hi_u32 v1, s13, v4
	v_add_u32_e32 v1, v4, v1
	v_lshrrev_b32_e32 v1, s14, v1
	v_mul_lo_u32 v3, v1, s12
	v_mul_hi_u32 v5, s16, v1
	v_sub_u32_e32 v3, v4, v3
	v_add_u32_e32 v4, v1, v5
	v_lshrrev_b32_e32 v4, s17, v4
	v_mul_lo_u32 v6, v4, s15
	v_mul_hi_u32 v7, s19, v4
	v_sub_u32_e32 v1, v1, v6
	v_add_u32_e32 v6, v4, v7
	v_mul_lo_u32 v5, v3, s5
	v_mul_lo_u32 v3, v3, s4
	;; [unrolled: 1-line block ×4, first 2 shown]
	v_lshrrev_b32_e32 v6, s36, v6
	v_add3_u32 v0, v3, v0, v1
	v_mul_hi_u32 v3, s38, v6
	v_add3_u32 v1, v5, v2, v7
	v_mul_lo_u32 v2, v6, s18
	v_add_u32_e32 v3, v6, v3
	v_sub_u32_e32 v2, v4, v2
	v_lshrrev_b32_e32 v4, s39, v3
	s_add_i32 s77, s77, 4
	v_mul_lo_u32 v3, v4, s37
	s_add_u32 s50, s50, 32
	v_sub_u32_e32 v3, v6, v3
	s_addc_u32 s51, s51, 0
	v_mul_lo_u32 v5, v2, s8
	v_mul_lo_u32 v2, v2, s9
	;; [unrolled: 1-line block ×4, first 2 shown]
	s_cmp_eq_u32 s75, s77
	v_add3_u32 v2, v2, v1, v3
	v_add3_u32 v0, v5, v0, v6
	s_cbranch_scc0 .LBB89_826
; %bb.827:
	v_mov_b32_e32 v1, v2
	s_branch .LBB89_831
.LBB89_828:
	s_mov_b64 s[4:5], -1
                                        ; implicit-def: $vgpr2
                                        ; implicit-def: $vgpr0
	s_branch .LBB89_835
.LBB89_829:
	v_mov_b32_e32 v2, 0
	v_mov_b32_e32 v0, 0
	s_branch .LBB89_834
.LBB89_830:
	v_mov_b32_e32 v0, 0
	s_mov_b32 s75, 0
	s_waitcnt vmcnt(0)
	v_mov_b32_e32 v1, v0
                                        ; implicit-def: $vgpr2
	v_mov_b32_e32 v4, v8
.LBB89_831:
	s_and_b32 s8, s76, 3
	s_cmp_eq_u32 s8, 0
	s_cbranch_scc1 .LBB89_834
; %bb.832:
	s_lshl_b32 s4, s75, 3
	s_add_u32 s4, s34, s4
	s_addc_u32 s5, s35, 0
	s_add_u32 s4, s4, 0xc4
	s_addc_u32 s5, s5, 0
	s_mul_i32 s6, s75, 12
	s_add_u32 s6, s34, s6
	s_addc_u32 s7, s35, 0
.LBB89_833:                             ; =>This Inner Loop Header: Depth=1
	s_load_dwordx2 s[10:11], s[6:7], 0x4
	s_load_dword s9, s[6:7], 0xc
	s_load_dwordx2 s[12:13], s[4:5], 0x0
	v_mov_b32_e32 v2, v1
	s_add_u32 s6, s6, 12
	s_waitcnt lgkmcnt(0)
	v_mul_hi_u32 v1, s11, v4
	v_add_u32_e32 v1, v4, v1
	v_lshrrev_b32_e32 v1, s9, v1
	s_addc_u32 s7, s7, 0
	v_mul_lo_u32 v3, v1, s10
	s_add_u32 s4, s4, 8
	v_sub_u32_e32 v5, v4, v3
	s_addc_u32 s5, s5, 0
	s_add_i32 s8, s8, -1
	v_mov_b32_e32 v4, v1
	v_mad_u64_u32 v[2:3], s[10:11], v5, s13, v[2:3]
	v_mad_u64_u32 v[0:1], s[10:11], v5, s12, v[0:1]
	s_cmp_lg_u32 s8, 0
	v_mov_b32_e32 v1, v2
	s_cbranch_scc1 .LBB89_833
.LBB89_834:
	s_mov_b64 s[4:5], 0
.LBB89_835:
	s_andn2_b64 vcc, exec, s[4:5]
	s_cbranch_vccnz .LBB89_838
; %bb.836:
	s_waitcnt lgkmcnt(0)
	v_mul_hi_u32 v0, s29, v8
	v_add_u32_e32 v0, v8, v0
	s_waitcnt vmcnt(0)
	v_lshrrev_b32_e32 v1, s30, v0
	v_mul_lo_u32 v0, v1, s28
	v_sub_u32_e32 v0, v8, v0
	v_mul_lo_u32 v2, v0, s25
	s_andn2_b64 vcc, exec, s[48:49]
	v_mul_lo_u32 v0, v0, s24
	s_cbranch_vccnz .LBB89_838
; %bb.837:
	v_mul_hi_u32 v3, s46, v1
	v_add_u32_e32 v3, v1, v3
	v_lshrrev_b32_e32 v3, s47, v3
	v_mul_lo_u32 v3, v3, s31
	v_sub_u32_e32 v3, v1, v3
	v_mad_u64_u32 v[0:1], s[4:5], v3, s26, v[0:1]
	v_mad_u64_u32 v[2:3], s[4:5], v3, s27, v[2:3]
.LBB89_838:
	v_mov_b32_e32 v3, 0
	s_and_b32 s14, 0xffff, s74
	s_cmp_lt_i32 s14, 11
	s_waitcnt lgkmcnt(0)
	v_lshl_add_u64 v[2:3], s[22:23], 0, v[2:3]
	s_cbranch_scc1 .LBB89_845
; %bb.839:
	s_cmp_gt_i32 s14, 25
	s_mov_b64 s[6:7], 0
	s_cbranch_scc0 .LBB89_846
; %bb.840:
	s_cmp_gt_i32 s14, 28
	s_cbranch_scc0 .LBB89_847
; %bb.841:
	s_cmp_gt_i32 s14, 43
	;; [unrolled: 3-line block ×3, first 2 shown]
	s_cbranch_scc0 .LBB89_851
; %bb.843:
	s_cmp_eq_u32 s14, 46
	s_mov_b64 s[10:11], 0
	s_cbranch_scc0 .LBB89_854
; %bb.844:
	global_load_dword v1, v[2:3], off
	s_mov_b64 s[4:5], 0
	s_mov_b64 s[8:9], -1
	s_waitcnt vmcnt(0)
	v_lshlrev_b32_e32 v1, 16, v1
	s_branch .LBB89_855
.LBB89_845:
	s_mov_b64 s[10:11], -1
	s_mov_b64 s[8:9], 0
	s_mov_b64 s[6:7], 0
	;; [unrolled: 1-line block ×3, first 2 shown]
                                        ; implicit-def: $vgpr1
	s_branch .LBB89_918
.LBB89_846:
	s_mov_b64 s[10:11], -1
	s_mov_b64 s[8:9], 0
	s_mov_b64 s[4:5], s[2:3]
                                        ; implicit-def: $vgpr1
	s_branch .LBB89_884
.LBB89_847:
	s_mov_b64 s[10:11], -1
	s_mov_b64 s[8:9], 0
	s_mov_b64 s[4:5], s[2:3]
                                        ; implicit-def: $vgpr1
	s_branch .LBB89_865
.LBB89_848:
	s_mov_b64 s[10:11], -1
	s_mov_b64 s[8:9], 0
	s_mov_b64 s[4:5], s[2:3]
                                        ; implicit-def: $vgpr1
	s_branch .LBB89_860
.LBB89_849:
	s_andn2_saveexec_b64 s[10:11], s[10:11]
	s_cbranch_execz .LBB89_728
.LBB89_850:
	s_mov_b32 s14, 0x46000000
	v_add_f32_e64 v3, |v2|, s14
	v_and_b32_e32 v3, 0xff, v3
	v_cmp_ne_u32_e32 vcc, 0, v3
	s_andn2_b64 s[8:9], s[8:9], exec
	s_and_b64 s[14:15], vcc, exec
	s_or_b64 s[8:9], s[8:9], s[14:15]
	s_or_b64 exec, exec, s[10:11]
	v_mov_b32_e32 v4, 0
	s_and_saveexec_b64 s[10:11], s[8:9]
	s_cbranch_execnz .LBB89_729
	s_branch .LBB89_730
.LBB89_851:
	s_mov_b64 s[10:11], -1
	s_mov_b64 s[8:9], 0
	s_mov_b64 s[4:5], s[2:3]
                                        ; implicit-def: $vgpr1
	s_branch .LBB89_855
.LBB89_852:
	s_andn2_saveexec_b64 s[10:11], s[10:11]
	s_cbranch_execz .LBB89_741
.LBB89_853:
	s_mov_b32 s14, 0x42800000
	v_add_f32_e64 v3, |v2|, s14
	v_and_b32_e32 v3, 0xff, v3
	v_cmp_ne_u32_e32 vcc, 0, v3
	s_andn2_b64 s[8:9], s[8:9], exec
	s_and_b64 s[14:15], vcc, exec
	s_or_b64 s[8:9], s[8:9], s[14:15]
	s_or_b64 exec, exec, s[10:11]
	v_mov_b32_e32 v4, 0
	s_and_saveexec_b64 s[10:11], s[8:9]
	s_cbranch_execnz .LBB89_742
	s_branch .LBB89_743
.LBB89_854:
	s_mov_b64 s[4:5], -1
                                        ; implicit-def: $vgpr1
	s_mov_b64 s[8:9], 0
.LBB89_855:
	s_and_b64 vcc, exec, s[10:11]
	s_cbranch_vccz .LBB89_859
; %bb.856:
	s_cmp_eq_u32 s14, 44
	s_cbranch_scc0 .LBB89_858
; %bb.857:
	global_load_ubyte v1, v[2:3], off
	s_movk_i32 s8, 0xff
	v_mov_b32_e32 v4, 0x7f800001
	v_mov_b32_e32 v5, 0x400000
	s_mov_b64 s[4:5], 0
	s_waitcnt vmcnt(0)
	v_lshlrev_b32_e32 v6, 23, v1
	v_cmp_ne_u32_e32 vcc, s8, v1
	s_mov_b64 s[8:9], -1
	s_nop 0
	v_cndmask_b32_e32 v4, v4, v6, vcc
	v_cmp_ne_u32_e32 vcc, 0, v1
	s_nop 1
	v_cndmask_b32_e32 v1, v5, v4, vcc
	s_branch .LBB89_859
.LBB89_858:
	s_mov_b64 s[4:5], -1
                                        ; implicit-def: $vgpr1
.LBB89_859:
	s_mov_b64 s[10:11], 0
.LBB89_860:
	s_and_b64 vcc, exec, s[10:11]
	s_cbranch_vccz .LBB89_864
; %bb.861:
	s_cmp_eq_u32 s14, 29
	s_cbranch_scc0 .LBB89_863
; %bb.862:
	global_load_dwordx2 v[4:5], v[2:3], off
	s_mov_b64 s[4:5], 0
	s_mov_b64 s[8:9], -1
	s_mov_b64 s[10:11], 0
	s_waitcnt vmcnt(0)
	v_ffbh_u32_e32 v1, v5
	v_min_u32_e32 v1, 32, v1
	v_lshlrev_b64 v[4:5], v1, v[4:5]
	v_min_u32_e32 v4, 1, v4
	v_or_b32_e32 v4, v5, v4
	v_cvt_f32_u32_e32 v4, v4
	v_sub_u32_e32 v1, 32, v1
	v_ldexp_f32 v1, v4, v1
	s_branch .LBB89_865
.LBB89_863:
	s_mov_b64 s[4:5], -1
                                        ; implicit-def: $vgpr1
.LBB89_864:
	s_mov_b64 s[10:11], 0
.LBB89_865:
	s_and_b64 vcc, exec, s[10:11]
	s_cbranch_vccz .LBB89_883
; %bb.866:
	s_cmp_lt_i32 s14, 27
	s_cbranch_scc1 .LBB89_869
; %bb.867:
	s_cmp_gt_i32 s14, 27
	s_cbranch_scc0 .LBB89_870
; %bb.868:
	global_load_dword v1, v[2:3], off
	s_mov_b64 s[8:9], 0
	s_waitcnt vmcnt(0)
	v_cvt_f32_u32_e32 v1, v1
	s_branch .LBB89_871
.LBB89_869:
	s_mov_b64 s[8:9], -1
                                        ; implicit-def: $vgpr1
	s_branch .LBB89_874
.LBB89_870:
	s_mov_b64 s[8:9], -1
                                        ; implicit-def: $vgpr1
.LBB89_871:
	s_andn2_b64 vcc, exec, s[8:9]
	s_cbranch_vccnz .LBB89_873
; %bb.872:
	global_load_ushort v1, v[2:3], off
	s_waitcnt vmcnt(0)
	v_cvt_f32_u32_e32 v1, v1
.LBB89_873:
	s_mov_b64 s[8:9], 0
.LBB89_874:
	s_andn2_b64 vcc, exec, s[8:9]
	s_cbranch_vccnz .LBB89_882
; %bb.875:
	global_load_ubyte v4, v[2:3], off
	s_movk_i32 s8, 0x7f
	s_waitcnt vmcnt(0)
	v_cmp_lt_i16_e32 vcc, s8, v4
	s_mov_b64 s[8:9], 0
	s_and_saveexec_b64 s[10:11], vcc
	s_xor_b64 s[10:11], exec, s[10:11]
	s_cbranch_execz .LBB89_896
; %bb.876:
	s_movk_i32 s8, 0x80
	v_cmp_eq_u16_e32 vcc, s8, v4
	s_mov_b64 s[8:9], -1
	s_and_saveexec_b64 s[12:13], vcc
; %bb.877:
	s_xor_b64 s[8:9], exec, -1
; %bb.878:
	s_or_b64 exec, exec, s[12:13]
	s_and_b64 s[8:9], s[8:9], exec
	s_or_saveexec_b64 s[10:11], s[10:11]
	v_mov_b32_e32 v1, 0x7f800001
	s_xor_b64 exec, exec, s[10:11]
	s_cbranch_execnz .LBB89_897
.LBB89_879:
	s_or_b64 exec, exec, s[10:11]
	s_and_saveexec_b64 s[10:11], s[8:9]
	s_cbranch_execz .LBB89_881
.LBB89_880:
	v_lshlrev_b32_e32 v1, 24, v4
	v_and_b32_e32 v4, 0xffff, v4
	v_and_b32_e32 v5, 7, v4
	v_ffbh_u32_e32 v7, v5
	v_min_u32_e32 v7, 32, v7
	v_subrev_u32_e32 v8, 28, v7
	v_bfe_u32 v6, v4, 3, 4
	v_lshlrev_b32_e32 v4, v8, v4
	v_sub_u32_e32 v7, 29, v7
	v_and_b32_e32 v4, 7, v4
	v_cmp_eq_u32_e32 vcc, 0, v6
	v_and_b32_e32 v1, 0x80000000, v1
	s_nop 0
	v_cndmask_b32_e32 v6, v6, v7, vcc
	v_cndmask_b32_e32 v4, v5, v4, vcc
	v_mov_b32_e32 v5, 0x3b800000
	v_lshlrev_b32_e32 v4, 20, v4
	v_lshl_add_u32 v5, v6, 23, v5
	v_or3_b32 v1, v1, v5, v4
.LBB89_881:
	s_or_b64 exec, exec, s[10:11]
.LBB89_882:
	s_mov_b64 s[8:9], -1
.LBB89_883:
	s_mov_b64 s[10:11], 0
.LBB89_884:
	s_and_b64 vcc, exec, s[10:11]
	s_cbranch_vccz .LBB89_917
; %bb.885:
	s_cmp_gt_i32 s14, 22
	s_cbranch_scc0 .LBB89_895
; %bb.886:
	s_cmp_lt_i32 s14, 24
	s_cbranch_scc1 .LBB89_898
; %bb.887:
	s_cmp_gt_i32 s14, 24
	s_cbranch_scc0 .LBB89_899
; %bb.888:
	global_load_ubyte v4, v[2:3], off
	s_movk_i32 s6, 0x7f
	s_waitcnt vmcnt(0)
	v_cmp_lt_i16_e32 vcc, s6, v4
	s_mov_b64 s[6:7], 0
	s_and_saveexec_b64 s[8:9], vcc
	s_xor_b64 s[8:9], exec, s[8:9]
	s_cbranch_execz .LBB89_911
; %bb.889:
	s_movk_i32 s6, 0x80
	v_cmp_eq_u16_e32 vcc, s6, v4
	s_mov_b64 s[6:7], -1
	s_and_saveexec_b64 s[10:11], vcc
; %bb.890:
	s_xor_b64 s[6:7], exec, -1
; %bb.891:
	s_or_b64 exec, exec, s[10:11]
	s_and_b64 s[6:7], s[6:7], exec
	s_or_saveexec_b64 s[8:9], s[8:9]
	v_mov_b32_e32 v1, 0x7f800001
	s_xor_b64 exec, exec, s[8:9]
	s_cbranch_execnz .LBB89_912
.LBB89_892:
	s_or_b64 exec, exec, s[8:9]
	s_and_saveexec_b64 s[8:9], s[6:7]
	s_cbranch_execz .LBB89_894
.LBB89_893:
	v_lshlrev_b32_e32 v1, 24, v4
	v_and_b32_e32 v4, 0xffff, v4
	v_and_b32_e32 v5, 3, v4
	v_ffbh_u32_e32 v7, v5
	v_min_u32_e32 v7, 32, v7
	v_subrev_u32_e32 v8, 29, v7
	v_bfe_u32 v6, v4, 2, 5
	v_lshlrev_b32_e32 v4, v8, v4
	v_sub_u32_e32 v7, 30, v7
	v_and_b32_e32 v4, 3, v4
	v_cmp_eq_u32_e32 vcc, 0, v6
	v_and_b32_e32 v1, 0x80000000, v1
	s_nop 0
	v_cndmask_b32_e32 v6, v6, v7, vcc
	v_cndmask_b32_e32 v4, v5, v4, vcc
	v_mov_b32_e32 v5, 0x37800000
	v_lshlrev_b32_e32 v4, 21, v4
	v_lshl_add_u32 v5, v6, 23, v5
	v_or3_b32 v1, v1, v5, v4
.LBB89_894:
	s_or_b64 exec, exec, s[8:9]
	s_mov_b64 s[6:7], 0
	s_branch .LBB89_900
.LBB89_895:
	s_mov_b64 s[6:7], -1
                                        ; implicit-def: $vgpr1
	s_branch .LBB89_906
.LBB89_896:
	s_or_saveexec_b64 s[10:11], s[10:11]
	v_mov_b32_e32 v1, 0x7f800001
	s_xor_b64 exec, exec, s[10:11]
	s_cbranch_execz .LBB89_879
.LBB89_897:
	v_cmp_ne_u16_e32 vcc, 0, v4
	s_andn2_b64 s[8:9], s[8:9], exec
	s_and_b64 s[12:13], vcc, exec
	v_mov_b32_e32 v1, 0
	s_or_b64 s[8:9], s[8:9], s[12:13]
	s_or_b64 exec, exec, s[10:11]
	s_and_saveexec_b64 s[10:11], s[8:9]
	s_cbranch_execnz .LBB89_880
	s_branch .LBB89_881
.LBB89_898:
	s_mov_b64 s[6:7], -1
                                        ; implicit-def: $vgpr1
	s_branch .LBB89_903
.LBB89_899:
	s_mov_b64 s[6:7], -1
                                        ; implicit-def: $vgpr1
.LBB89_900:
	s_and_b64 vcc, exec, s[6:7]
	s_cbranch_vccz .LBB89_902
; %bb.901:
	global_load_ubyte v1, v[2:3], off
	s_mov_b32 s6, 0x7f800000
	s_waitcnt vmcnt(0)
	v_lshlrev_b32_e32 v1, 24, v1
	v_and_b32_e32 v4, 0x7f000000, v1
	v_ffbh_u32_e32 v5, v4
	v_min_u32_e32 v5, 32, v5
	v_sub_u32_e64 v5, v5, 4 clamp
	v_lshlrev_b32_e32 v7, v5, v4
	v_lshlrev_b32_e32 v5, 23, v5
	v_lshrrev_b32_e32 v7, 4, v7
	v_add_u32_e32 v6, 0x1000000, v4
	v_sub_u32_e32 v5, v7, v5
	v_ashrrev_i32_e32 v6, 8, v6
	v_add_u32_e32 v5, 0x3c000000, v5
	v_and_or_b32 v5, v6, s6, v5
	v_cmp_ne_u32_e32 vcc, 0, v4
	s_brev_b32 s6, 1
	s_nop 0
	v_cndmask_b32_e32 v4, 0, v5, vcc
	v_and_or_b32 v1, v1, s6, v4
.LBB89_902:
	s_mov_b64 s[6:7], 0
.LBB89_903:
	s_andn2_b64 vcc, exec, s[6:7]
	s_cbranch_vccnz .LBB89_905
; %bb.904:
	global_load_ubyte v1, v[2:3], off
	s_movk_i32 s6, 0x7f00
	s_brev_b32 s7, 16
	s_waitcnt vmcnt(0)
	v_lshlrev_b16_e32 v4, 8, v1
	v_lshlrev_b32_e32 v1, 25, v1
	v_lshrrev_b32_e32 v5, 4, v1
	v_and_or_b32 v6, v4, s6, 0.5
	v_or_b32_e32 v5, 0x70000000, v5
	v_add_f32_e32 v6, -0.5, v6
	v_mul_f32_e32 v5, 0x7800000, v5
	v_cmp_gt_u32_e32 vcc, s7, v1
	v_bfe_i32 v4, v4, 0, 16
	s_brev_b32 s6, 1
	v_cndmask_b32_e32 v1, v5, v6, vcc
	v_and_or_b32 v1, v4, s6, v1
.LBB89_905:
	s_mov_b64 s[6:7], 0
	s_mov_b64 s[8:9], -1
.LBB89_906:
	s_andn2_b64 vcc, exec, s[6:7]
	s_mov_b64 s[6:7], 0
	s_cbranch_vccnz .LBB89_917
; %bb.907:
	s_cmp_gt_i32 s14, 14
	s_cbranch_scc0 .LBB89_910
; %bb.908:
	s_cmp_eq_u32 s14, 15
	s_cbranch_scc0 .LBB89_913
; %bb.909:
	global_load_ushort v1, v[2:3], off
	s_mov_b64 s[4:5], 0
	s_mov_b64 s[8:9], -1
	s_waitcnt vmcnt(0)
	v_lshlrev_b32_e32 v1, 16, v1
	s_branch .LBB89_914
.LBB89_910:
	s_mov_b64 s[10:11], -1
                                        ; implicit-def: $vgpr1
	s_branch .LBB89_915
.LBB89_911:
	s_or_saveexec_b64 s[8:9], s[8:9]
	v_mov_b32_e32 v1, 0x7f800001
	s_xor_b64 exec, exec, s[8:9]
	s_cbranch_execz .LBB89_892
.LBB89_912:
	v_cmp_ne_u16_e32 vcc, 0, v4
	s_andn2_b64 s[6:7], s[6:7], exec
	s_and_b64 s[10:11], vcc, exec
	v_mov_b32_e32 v1, 0
	s_or_b64 s[6:7], s[6:7], s[10:11]
	s_or_b64 exec, exec, s[8:9]
	s_and_saveexec_b64 s[8:9], s[6:7]
	s_cbranch_execnz .LBB89_893
	s_branch .LBB89_894
.LBB89_913:
	s_mov_b64 s[4:5], -1
                                        ; implicit-def: $vgpr1
.LBB89_914:
	s_mov_b64 s[10:11], 0
.LBB89_915:
	s_and_b64 vcc, exec, s[10:11]
	s_cbranch_vccz .LBB89_917
; %bb.916:
	s_cmp_lg_u32 s14, 11
	s_cselect_b64 s[10:11], -1, 0
	s_andn2_b64 s[4:5], s[4:5], exec
	s_and_b64 s[10:11], s[10:11], exec
	s_mov_b64 s[6:7], -1
	s_or_b64 s[4:5], s[4:5], s[10:11]
.LBB89_917:
	s_mov_b64 s[10:11], 0
.LBB89_918:
	s_andn2_b64 s[12:13], s[2:3], exec
	s_and_b64 s[4:5], s[4:5], exec
	s_and_b64 s[8:9], s[8:9], exec
	;; [unrolled: 1-line block ×4, first 2 shown]
	s_or_b64 s[12:13], s[12:13], s[4:5]
.LBB89_919:
	s_or_b64 exec, exec, s[70:71]
	s_and_b64 s[4:5], s[6:7], exec
	s_andn2_b64 s[2:3], s[2:3], exec
	s_and_b64 s[6:7], s[12:13], exec
	s_and_b64 s[8:9], s[8:9], exec
	;; [unrolled: 1-line block ×3, first 2 shown]
	s_or_b64 s[2:3], s[2:3], s[6:7]
.LBB89_920:
	s_or_b64 exec, exec, s[66:67]
	s_andn2_b64 s[6:7], s[62:63], exec
	s_and_b64 s[12:13], s[68:69], exec
	s_or_b64 s[62:63], s[6:7], s[12:13]
	s_and_b64 s[6:7], s[10:11], exec
	s_andn2_b64 s[10:11], s[60:61], exec
	s_and_b64 s[2:3], s[2:3], exec
	s_and_b64 s[8:9], s[8:9], exec
	;; [unrolled: 1-line block ×3, first 2 shown]
	s_or_b64 s[60:61], s[10:11], s[2:3]
.LBB89_921:
	s_or_b64 exec, exec, s[64:65]
	s_andn2_b64 s[2:3], s[54:55], exec
	s_and_b64 s[10:11], s[62:63], exec
	s_or_b64 s[54:55], s[2:3], s[10:11]
	s_and_b64 s[2:3], s[8:9], exec
	s_and_b64 s[8:9], s[6:7], exec
	;; [unrolled: 1-line block ×3, first 2 shown]
	s_andn2_b64 s[4:5], s[56:57], exec
	s_and_b64 s[6:7], s[60:61], exec
	s_or_b64 s[56:57], s[4:5], s[6:7]
	s_or_b64 exec, exec, s[58:59]
	s_mov_b64 s[4:5], 0
	s_and_saveexec_b64 s[6:7], s[56:57]
	s_cbranch_execz .LBB89_276
.LBB89_922:
	s_mov_b64 s[4:5], exec
	s_andn2_b64 s[62:63], s[62:63], exec
	s_trap 2
	s_or_b64 exec, exec, s[6:7]
	s_and_saveexec_b64 s[6:7], s[62:63]
	s_xor_b64 s[6:7], exec, s[6:7]
	s_cbranch_execnz .LBB89_277
.LBB89_923:
	s_or_b64 exec, exec, s[6:7]
	s_and_saveexec_b64 s[6:7], s[8:9]
	s_cbranch_execz .LBB89_969
.LBB89_924:
	s_sext_i32_i16 s8, s74
	s_cmp_lt_i32 s8, 5
	s_cbranch_scc1 .LBB89_929
; %bb.925:
	s_cmp_lt_i32 s8, 8
	s_cbranch_scc1 .LBB89_930
; %bb.926:
	;; [unrolled: 3-line block ×3, first 2 shown]
	s_cmp_gt_i32 s8, 9
	s_cbranch_scc0 .LBB89_932
; %bb.928:
	global_load_dwordx2 v[4:5], v[2:3], off
	s_mov_b64 s[8:9], 0
	s_waitcnt vmcnt(0)
	v_cvt_f32_f64_e32 v1, v[4:5]
	s_branch .LBB89_933
.LBB89_929:
                                        ; implicit-def: $vgpr1
	s_branch .LBB89_950
.LBB89_930:
                                        ; implicit-def: $vgpr1
	s_branch .LBB89_939
.LBB89_931:
	s_mov_b64 s[8:9], -1
                                        ; implicit-def: $vgpr1
	s_branch .LBB89_936
.LBB89_932:
	s_mov_b64 s[8:9], -1
                                        ; implicit-def: $vgpr1
.LBB89_933:
	s_andn2_b64 vcc, exec, s[8:9]
	s_cbranch_vccnz .LBB89_935
; %bb.934:
	global_load_dword v1, v[2:3], off
.LBB89_935:
	s_mov_b64 s[8:9], 0
.LBB89_936:
	s_andn2_b64 vcc, exec, s[8:9]
	s_cbranch_vccnz .LBB89_938
; %bb.937:
	global_load_dword v1, v[2:3], off
	s_waitcnt vmcnt(0)
	v_cvt_f32_f16_e32 v1, v1
.LBB89_938:
	s_cbranch_execnz .LBB89_949
.LBB89_939:
	s_sext_i32_i16 s8, s74
	s_cmp_lt_i32 s8, 6
	s_cbranch_scc1 .LBB89_942
; %bb.940:
	s_cmp_gt_i32 s8, 6
	s_cbranch_scc0 .LBB89_943
; %bb.941:
	global_load_dwordx2 v[4:5], v[2:3], off
	s_mov_b64 s[8:9], 0
	s_waitcnt vmcnt(0)
	v_cvt_f32_f64_e32 v1, v[4:5]
	s_branch .LBB89_944
.LBB89_942:
	s_mov_b64 s[8:9], -1
                                        ; implicit-def: $vgpr1
	s_branch .LBB89_947
.LBB89_943:
	s_mov_b64 s[8:9], -1
                                        ; implicit-def: $vgpr1
.LBB89_944:
	s_andn2_b64 vcc, exec, s[8:9]
	s_cbranch_vccnz .LBB89_946
; %bb.945:
	global_load_dword v1, v[2:3], off
.LBB89_946:
	s_mov_b64 s[8:9], 0
.LBB89_947:
	s_andn2_b64 vcc, exec, s[8:9]
	s_cbranch_vccnz .LBB89_949
; %bb.948:
	global_load_ushort v1, v[2:3], off
	s_waitcnt vmcnt(0)
	v_cvt_f32_f16_e32 v1, v1
.LBB89_949:
	s_cbranch_execnz .LBB89_968
.LBB89_950:
	s_sext_i32_i16 s8, s74
	s_cmp_lt_i32 s8, 2
	s_cbranch_scc1 .LBB89_954
; %bb.951:
	s_cmp_lt_i32 s8, 3
	s_cbranch_scc1 .LBB89_955
; %bb.952:
	s_cmp_gt_i32 s8, 3
	s_cbranch_scc0 .LBB89_956
; %bb.953:
	global_load_dwordx2 v[4:5], v[2:3], off
	s_mov_b64 s[8:9], 0
	s_waitcnt vmcnt(0)
	v_xor_b32_e32 v6, v4, v5
	v_ffbh_i32_e32 v1, v5
	v_ashrrev_i32_e32 v6, 31, v6
	v_add_u32_e32 v1, -1, v1
	v_add_u32_e32 v6, 32, v6
	v_min_u32_e32 v1, v1, v6
	v_lshlrev_b64 v[4:5], v1, v[4:5]
	v_min_u32_e32 v4, 1, v4
	v_or_b32_e32 v4, v5, v4
	v_cvt_f32_i32_e32 v4, v4
	v_sub_u32_e32 v1, 32, v1
	v_ldexp_f32 v1, v4, v1
	s_branch .LBB89_957
.LBB89_954:
                                        ; implicit-def: $vgpr1
	s_branch .LBB89_963
.LBB89_955:
	s_mov_b64 s[8:9], -1
                                        ; implicit-def: $vgpr1
	s_branch .LBB89_960
.LBB89_956:
	s_mov_b64 s[8:9], -1
                                        ; implicit-def: $vgpr1
.LBB89_957:
	s_andn2_b64 vcc, exec, s[8:9]
	s_cbranch_vccnz .LBB89_959
; %bb.958:
	global_load_dword v1, v[2:3], off
	s_waitcnt vmcnt(0)
	v_cvt_f32_i32_e32 v1, v1
.LBB89_959:
	s_mov_b64 s[8:9], 0
.LBB89_960:
	s_andn2_b64 vcc, exec, s[8:9]
	s_cbranch_vccnz .LBB89_962
; %bb.961:
	global_load_sshort v1, v[2:3], off
	s_waitcnt vmcnt(0)
	v_cvt_f32_i32_e32 v1, v1
.LBB89_962:
	s_cbranch_execnz .LBB89_968
.LBB89_963:
	s_sext_i32_i16 s8, s74
	s_cmp_gt_i32 s8, 0
	s_cbranch_scc0 .LBB89_965
; %bb.964:
	global_load_sbyte v1, v[2:3], off
	s_mov_b64 s[8:9], 0
	s_waitcnt vmcnt(0)
	v_cvt_f32_i32_e32 v1, v1
	s_branch .LBB89_966
.LBB89_965:
	s_mov_b64 s[8:9], -1
                                        ; implicit-def: $vgpr1
.LBB89_966:
	s_andn2_b64 vcc, exec, s[8:9]
	s_cbranch_vccnz .LBB89_968
; %bb.967:
	global_load_ubyte v1, v[2:3], off
	s_waitcnt vmcnt(0)
	v_cvt_f32_ubyte0_e32 v1, v1
.LBB89_968:
	s_or_b64 s[2:3], s[2:3], exec
.LBB89_969:
	s_or_b64 exec, exec, s[6:7]
	s_mov_b64 s[10:11], 0
	s_mov_b64 s[8:9], 0
                                        ; implicit-def: $sgpr16
                                        ; implicit-def: $vgpr2_vgpr3
                                        ; implicit-def: $vgpr4
	s_and_saveexec_b64 s[6:7], s[2:3]
	s_cbranch_execz .LBB89_987
; %bb.970:
	s_waitcnt vmcnt(0)
	v_mul_f32_e32 v2, 0x3fb8aa3b, v1
	s_mov_b32 s2, 0x3fb8aa3b
	v_rndne_f32_e32 v3, v2
	v_sub_f32_e32 v4, v2, v3
	v_fma_f32 v2, v1, s2, -v2
	v_fmamk_f32 v2, v1, 0x32a5705f, v2
	v_add_f32_e32 v2, v4, v2
	v_exp_f32_e32 v2, v2
	v_cvt_i32_f32_e32 v3, v3
	s_mov_b32 s2, 0xc2ce8ed0
	v_cmp_ngt_f32_e32 vcc, s2, v1
	s_mov_b32 s2, 0x42b17218
	v_ldexp_f32 v2, v2, v3
	v_cndmask_b32_e32 v2, 0, v2, vcc
	v_mov_b32_e32 v3, 0x7f800000
	v_cmp_nlt_f32_e32 vcc, s2, v1
	v_mov_b32_e32 v1, 0
	s_and_b32 s16, s73, 0xff
	v_cndmask_b32_e32 v4, v3, v2, vcc
	s_cmp_lt_i32 s16, 11
	s_waitcnt lgkmcnt(0)
	v_lshl_add_u64 v[2:3], s[20:21], 0, v[0:1]
	s_cbranch_scc1 .LBB89_990
; %bb.971:
	s_and_b32 s17, 0xffff, s16
	s_mov_b64 s[10:11], -1
	s_cmp_gt_i32 s17, 25
	s_mov_b64 s[2:3], s[54:55]
	s_cbranch_scc0 .LBB89_1008
; %bb.972:
	s_mov_b64 s[8:9], -1
	s_cmp_gt_i32 s17, 28
	s_mov_b64 s[2:3], s[54:55]
	s_cbranch_scc0 .LBB89_992
; %bb.973:
	s_cmp_gt_i32 s17, 43
	s_mov_b64 s[2:3], s[54:55]
	s_cbranch_scc0 .LBB89_984
; %bb.974:
	s_cmp_gt_i32 s17, 45
	s_mov_b64 s[2:3], s[54:55]
	s_cbranch_scc0 .LBB89_978
; %bb.975:
	s_cmp_eq_u32 s17, 46
	s_mov_b64 s[2:3], -1
	s_cbranch_scc0 .LBB89_977
; %bb.976:
	v_bfe_u32 v0, v4, 16, 1
	s_movk_i32 s2, 0x7fff
	v_add3_u32 v0, v4, v0, s2
	v_cmp_o_f32_e32 vcc, v4, v4
	v_mov_b32_e32 v1, 0x7fc0
	s_mov_b64 s[2:3], 0
	v_cndmask_b32_sdwa v0, v1, v0, vcc dst_sel:DWORD dst_unused:UNUSED_PAD src0_sel:DWORD src1_sel:WORD_1
	global_store_dword v[2:3], v0, off
.LBB89_977:
	s_mov_b64 s[8:9], 0
.LBB89_978:
	s_and_b64 vcc, exec, s[8:9]
	s_cbranch_vccz .LBB89_983
; %bb.979:
	s_cmp_eq_u32 s17, 44
	s_mov_b64 s[2:3], -1
	s_cbranch_scc0 .LBB89_983
; %bb.980:
	v_bfe_u32 v0, v4, 23, 8
	s_movk_i32 s2, 0xff
	v_cmp_ne_u32_e32 vcc, s2, v0
	v_mov_b32_e32 v1, 0xff
	s_and_saveexec_b64 s[8:9], vcc
; %bb.981:
	s_mov_b32 s2, 0x3fffff
	v_and_b32_e32 v5, 0x400000, v4
	v_and_or_b32 v0, v4, s2, v0
	v_cmp_ne_u32_e32 vcc, 0, v5
	v_cmp_ne_u32_e64 s[2:3], 0, v0
	s_and_b64 s[2:3], vcc, s[2:3]
	v_lshrrev_b32_e32 v1, 23, v4
	v_cndmask_b32_e64 v0, 0, 1, s[2:3]
	v_add_u32_e32 v1, v1, v0
; %bb.982:
	s_or_b64 exec, exec, s[8:9]
	s_mov_b64 s[2:3], 0
	global_store_byte v[2:3], v1, off
.LBB89_983:
	s_mov_b64 s[8:9], 0
.LBB89_984:
	s_and_b64 vcc, exec, s[8:9]
	s_cbranch_vccz .LBB89_991
; %bb.985:
	s_cmp_eq_u32 s17, 29
	s_mov_b64 s[2:3], -1
	s_cbranch_scc0 .LBB89_991
; %bb.986:
	v_trunc_f32_e32 v0, v4
	v_mul_f32_e32 v1, 0x2f800000, v0
	v_floor_f32_e32 v5, v1
	v_fmamk_f32 v0, v5, 0xcf800000, v0
	v_cvt_u32_f32_e32 v1, v5
	v_cvt_u32_f32_e32 v0, v0
	s_mov_b64 s[2:3], 0
	s_mov_b64 s[8:9], 0
	global_store_dwordx2 v[2:3], v[0:1], off
	s_branch .LBB89_992
.LBB89_987:
	s_or_b64 exec, exec, s[6:7]
	s_and_saveexec_b64 s[2:3], s[54:55]
	s_cbranch_execnz .LBB89_1050
.LBB89_988:
	s_or_b64 exec, exec, s[2:3]
	s_and_saveexec_b64 s[2:3], s[10:11]
	s_xor_b64 s[2:3], exec, s[2:3]
	s_cbranch_execz .LBB89_1051
.LBB89_989:
	v_cmp_neq_f32_e32 vcc, 0, v4
	s_nop 1
	v_cndmask_b32_e64 v0, 0, 1, vcc
	global_store_byte v[2:3], v0, off
	s_or_b64 exec, exec, s[2:3]
	s_and_saveexec_b64 s[2:3], s[8:9]
	s_xor_b64 s[2:3], exec, s[2:3]
	s_cbranch_execz .LBB89_1089
	s_branch .LBB89_1052
.LBB89_990:
	s_mov_b64 s[8:9], -1
	s_mov_b64 s[2:3], s[54:55]
	s_branch .LBB89_1049
.LBB89_991:
	s_mov_b64 s[8:9], 0
.LBB89_992:
	s_and_b64 vcc, exec, s[8:9]
	s_cbranch_vccz .LBB89_1007
; %bb.993:
	s_cmp_lt_i32 s17, 27
	s_mov_b64 s[8:9], -1
	s_cbranch_scc1 .LBB89_999
; %bb.994:
	s_cmp_gt_i32 s17, 27
	s_cbranch_scc0 .LBB89_996
; %bb.995:
	v_cvt_u32_f32_e32 v0, v4
	s_mov_b64 s[8:9], 0
	global_store_dword v[2:3], v0, off
.LBB89_996:
	s_andn2_b64 vcc, exec, s[8:9]
	s_cbranch_vccnz .LBB89_998
; %bb.997:
	v_cvt_u32_f32_e32 v0, v4
	global_store_short v[2:3], v0, off
.LBB89_998:
	s_mov_b64 s[8:9], 0
.LBB89_999:
	s_andn2_b64 vcc, exec, s[8:9]
	s_cbranch_vccnz .LBB89_1007
; %bb.1000:
	v_and_b32_e32 v0, 0x7fffffff, v4
	s_mov_b32 s8, 0x43800000
	v_cmp_gt_u32_e32 vcc, s8, v0
	v_mov_b32_e32 v1, 0x80
	s_and_saveexec_b64 s[8:9], vcc
	s_cbranch_execz .LBB89_1006
; %bb.1001:
	s_mov_b32 s10, 0x3bffffff
	v_cmp_lt_u32_e32 vcc, s10, v0
	s_mov_b64 s[10:11], 0
                                        ; implicit-def: $vgpr0
	s_and_saveexec_b64 s[12:13], vcc
	s_xor_b64 s[12:13], exec, s[12:13]
	s_cbranch_execz .LBB89_1160
; %bb.1002:
	v_bfe_u32 v0, v4, 20, 1
	s_mov_b32 s14, 0x487ffff
	v_add3_u32 v0, v4, v0, s14
	s_mov_b64 s[10:11], exec
	v_lshrrev_b32_e32 v0, 20, v0
	s_andn2_saveexec_b64 s[12:13], s[12:13]
	s_cbranch_execnz .LBB89_1161
.LBB89_1003:
	s_or_b64 exec, exec, s[12:13]
	v_mov_b32_e32 v1, 0
	s_and_saveexec_b64 s[12:13], s[10:11]
.LBB89_1004:
	v_lshrrev_b32_e32 v1, 24, v4
	s_movk_i32 s10, 0x80
	v_and_or_b32 v1, v1, s10, v0
.LBB89_1005:
	s_or_b64 exec, exec, s[12:13]
.LBB89_1006:
	s_or_b64 exec, exec, s[8:9]
	global_store_byte v[2:3], v1, off
.LBB89_1007:
	s_mov_b64 s[10:11], 0
.LBB89_1008:
	s_mov_b64 s[8:9], 0
	s_and_b64 vcc, exec, s[10:11]
	s_cbranch_vccz .LBB89_1048
; %bb.1009:
	s_cmp_gt_i32 s17, 22
	s_mov_b64 s[10:11], -1
	s_cbranch_scc0 .LBB89_1041
; %bb.1010:
	s_cmp_lt_i32 s17, 24
	s_cbranch_scc1 .LBB89_1030
; %bb.1011:
	s_cmp_gt_i32 s17, 24
	s_cbranch_scc0 .LBB89_1019
; %bb.1012:
	v_and_b32_e32 v0, 0x7fffffff, v4
	s_mov_b32 s10, 0x47800000
	v_cmp_gt_u32_e32 vcc, s10, v0
	v_mov_b32_e32 v1, 0x80
	s_and_saveexec_b64 s[10:11], vcc
	s_cbranch_execz .LBB89_1018
; %bb.1013:
	s_mov_b32 s12, 0x37ffffff
	v_cmp_lt_u32_e32 vcc, s12, v0
	s_mov_b64 s[12:13], 0
                                        ; implicit-def: $vgpr0
	s_and_saveexec_b64 s[14:15], vcc
	s_xor_b64 s[14:15], exec, s[14:15]
	s_cbranch_execz .LBB89_1285
; %bb.1014:
	v_bfe_u32 v0, v4, 21, 1
	s_mov_b32 s18, 0x88fffff
	v_add3_u32 v0, v4, v0, s18
	s_mov_b64 s[12:13], exec
	v_lshrrev_b32_e32 v0, 21, v0
	s_andn2_saveexec_b64 s[14:15], s[14:15]
	s_cbranch_execnz .LBB89_1286
.LBB89_1015:
	s_or_b64 exec, exec, s[14:15]
	v_mov_b32_e32 v1, 0
	s_and_saveexec_b64 s[14:15], s[12:13]
.LBB89_1016:
	v_lshrrev_b32_e32 v1, 24, v4
	s_movk_i32 s12, 0x80
	v_and_or_b32 v1, v1, s12, v0
.LBB89_1017:
	s_or_b64 exec, exec, s[14:15]
.LBB89_1018:
	s_or_b64 exec, exec, s[10:11]
	s_mov_b64 s[10:11], 0
	global_store_byte v[2:3], v1, off
.LBB89_1019:
	s_and_b64 vcc, exec, s[10:11]
	s_cbranch_vccz .LBB89_1029
; %bb.1020:
	v_and_b32_e32 v1, 0x7fffffff, v4
	s_mov_b32 s10, 0x43f00000
	v_cmp_gt_u32_e32 vcc, s10, v1
                                        ; implicit-def: $vgpr0
	s_and_saveexec_b64 s[10:11], vcc
	s_xor_b64 s[10:11], exec, s[10:11]
	s_cbranch_execz .LBB89_1026
; %bb.1021:
	s_mov_b32 s12, 0x3c7fffff
	v_cmp_lt_u32_e32 vcc, s12, v1
                                        ; implicit-def: $vgpr0
	s_and_saveexec_b64 s[12:13], vcc
	s_xor_b64 s[12:13], exec, s[12:13]
; %bb.1022:
	v_bfe_u32 v0, v4, 20, 1
	s_mov_b32 s14, 0x407ffff
	v_add3_u32 v0, v4, v0, s14
	v_lshrrev_b32_e32 v1, 20, v0
	v_and_b32_e32 v0, 0xff00000, v0
	s_mov_b32 s14, 0x7f00000
	v_mov_b32_e32 v5, 0x7e
	v_cmp_ne_u32_e32 vcc, s14, v0
	s_nop 1
	v_cndmask_b32_e32 v0, v5, v1, vcc
; %bb.1023:
	s_andn2_saveexec_b64 s[12:13], s[12:13]
; %bb.1024:
	s_mov_b32 s14, 0x46800000
	v_add_f32_e64 v0, |v4|, s14
; %bb.1025:
	s_or_b64 exec, exec, s[12:13]
                                        ; implicit-def: $vgpr1
.LBB89_1026:
	s_andn2_saveexec_b64 s[10:11], s[10:11]
; %bb.1027:
	s_mov_b32 s12, 0x7f800000
	v_mov_b32_e32 v0, 0x7e
	v_mov_b32_e32 v5, 0x7f
	v_cmp_lt_u32_e32 vcc, s12, v1
	s_nop 1
	v_cndmask_b32_e32 v0, v0, v5, vcc
; %bb.1028:
	s_or_b64 exec, exec, s[10:11]
	v_lshrrev_b32_e32 v1, 24, v4
	s_movk_i32 s10, 0x80
	v_and_or_b32 v0, v1, s10, v0
	global_store_byte v[2:3], v0, off
.LBB89_1029:
	s_mov_b64 s[10:11], 0
.LBB89_1030:
	s_andn2_b64 vcc, exec, s[10:11]
	s_cbranch_vccnz .LBB89_1040
; %bb.1031:
	v_and_b32_e32 v1, 0x7fffffff, v4
	s_mov_b32 s10, 0x47800000
	v_cmp_gt_u32_e32 vcc, s10, v1
                                        ; implicit-def: $vgpr0
	s_and_saveexec_b64 s[10:11], vcc
	s_xor_b64 s[10:11], exec, s[10:11]
	s_cbranch_execz .LBB89_1037
; %bb.1032:
	s_mov_b32 s12, 0x387fffff
	v_cmp_lt_u32_e32 vcc, s12, v1
                                        ; implicit-def: $vgpr0
	s_and_saveexec_b64 s[12:13], vcc
	s_xor_b64 s[12:13], exec, s[12:13]
; %bb.1033:
	v_bfe_u32 v0, v4, 21, 1
	s_mov_b32 s14, 0x80fffff
	v_add3_u32 v0, v4, v0, s14
	v_lshrrev_b32_e32 v0, 21, v0
; %bb.1034:
	s_andn2_saveexec_b64 s[12:13], s[12:13]
; %bb.1035:
	s_mov_b32 s14, 0x43000000
	v_add_f32_e64 v0, |v4|, s14
; %bb.1036:
	s_or_b64 exec, exec, s[12:13]
                                        ; implicit-def: $vgpr1
.LBB89_1037:
	s_andn2_saveexec_b64 s[10:11], s[10:11]
; %bb.1038:
	s_mov_b32 s12, 0x7f800000
	v_mov_b32_e32 v0, 0x7c
	v_mov_b32_e32 v5, 0x7f
	v_cmp_lt_u32_e32 vcc, s12, v1
	s_nop 1
	v_cndmask_b32_e32 v0, v0, v5, vcc
; %bb.1039:
	s_or_b64 exec, exec, s[10:11]
	v_lshrrev_b32_e32 v1, 24, v4
	s_movk_i32 s10, 0x80
	v_and_or_b32 v0, v1, s10, v0
	global_store_byte v[2:3], v0, off
.LBB89_1040:
	s_mov_b64 s[10:11], 0
.LBB89_1041:
	s_andn2_b64 vcc, exec, s[10:11]
	s_mov_b64 s[10:11], 0
	s_cbranch_vccnz .LBB89_1049
; %bb.1042:
	s_cmp_gt_i32 s17, 14
	s_mov_b64 s[12:13], -1
	s_cbranch_scc0 .LBB89_1046
; %bb.1043:
	s_cmp_eq_u32 s17, 15
	s_mov_b64 s[2:3], -1
	s_cbranch_scc0 .LBB89_1045
; %bb.1044:
	v_bfe_u32 v0, v4, 16, 1
	s_movk_i32 s2, 0x7fff
	v_add3_u32 v0, v4, v0, s2
	v_cmp_o_f32_e32 vcc, v4, v4
	v_mov_b32_e32 v1, 0x7fc0
	s_mov_b64 s[2:3], 0
	v_cndmask_b32_sdwa v0, v1, v0, vcc dst_sel:DWORD dst_unused:UNUSED_PAD src0_sel:DWORD src1_sel:WORD_1
	global_store_short v[2:3], v0, off
.LBB89_1045:
	s_mov_b64 s[12:13], 0
.LBB89_1046:
	s_and_b64 vcc, exec, s[12:13]
	s_cbranch_vccz .LBB89_1049
; %bb.1047:
	s_cmp_lg_u32 s17, 11
	s_cselect_b64 s[12:13], -1, 0
	s_andn2_b64 s[2:3], s[2:3], exec
	s_and_b64 s[12:13], s[12:13], exec
	s_mov_b64 s[10:11], -1
	s_or_b64 s[2:3], s[2:3], s[12:13]
	s_branch .LBB89_1049
.LBB89_1048:
	s_mov_b64 s[10:11], 0
.LBB89_1049:
	s_andn2_b64 s[12:13], s[54:55], exec
	s_and_b64 s[2:3], s[2:3], exec
	s_and_b64 s[8:9], s[8:9], exec
	;; [unrolled: 1-line block ×3, first 2 shown]
	s_or_b64 s[54:55], s[12:13], s[2:3]
	s_or_b64 exec, exec, s[6:7]
	s_and_saveexec_b64 s[2:3], s[54:55]
	s_cbranch_execz .LBB89_988
.LBB89_1050:
	s_or_b64 s[4:5], s[4:5], exec
	s_andn2_b64 s[10:11], s[10:11], exec
	s_trap 2
	s_or_b64 exec, exec, s[2:3]
	s_and_saveexec_b64 s[2:3], s[10:11]
	s_xor_b64 s[2:3], exec, s[2:3]
	s_cbranch_execnz .LBB89_989
.LBB89_1051:
	s_or_b64 exec, exec, s[2:3]
	s_and_saveexec_b64 s[2:3], s[8:9]
	s_xor_b64 s[2:3], exec, s[2:3]
	s_cbranch_execz .LBB89_1089
.LBB89_1052:
	s_sext_i32_i16 s8, s16
	s_cmp_lt_i32 s8, 5
	s_mov_b64 s[6:7], -1
	s_cbranch_scc1 .LBB89_1073
; %bb.1053:
	s_cmp_lt_i32 s8, 8
	s_cbranch_scc1 .LBB89_1063
; %bb.1054:
	s_cmp_lt_i32 s8, 9
	s_cbranch_scc1 .LBB89_1060
; %bb.1055:
	s_cmp_gt_i32 s8, 9
	s_cbranch_scc0 .LBB89_1057
; %bb.1056:
	v_mov_b32_e32 v8, 0
	v_cvt_f64_f32_e32 v[6:7], v4
	v_mov_b32_e32 v9, v8
	s_mov_b64 s[6:7], 0
	global_store_dwordx4 v[2:3], v[6:9], off
.LBB89_1057:
	s_andn2_b64 vcc, exec, s[6:7]
	s_cbranch_vccnz .LBB89_1059
; %bb.1058:
	v_mov_b32_e32 v5, 0
	global_store_dwordx2 v[2:3], v[4:5], off
.LBB89_1059:
	s_mov_b64 s[6:7], 0
.LBB89_1060:
	s_andn2_b64 vcc, exec, s[6:7]
	s_cbranch_vccnz .LBB89_1062
; %bb.1061:
	v_cvt_f16_f32_e32 v0, v4
	global_store_dword v[2:3], v0, off
.LBB89_1062:
	s_mov_b64 s[6:7], 0
.LBB89_1063:
	s_andn2_b64 vcc, exec, s[6:7]
	s_cbranch_vccnz .LBB89_1072
; %bb.1064:
	s_sext_i32_i16 s8, s16
	s_cmp_lt_i32 s8, 6
	s_mov_b64 s[6:7], -1
	s_cbranch_scc1 .LBB89_1070
; %bb.1065:
	s_cmp_gt_i32 s8, 6
	s_cbranch_scc0 .LBB89_1067
; %bb.1066:
	s_waitcnt vmcnt(0)
	v_cvt_f64_f32_e32 v[0:1], v4
	s_mov_b64 s[6:7], 0
	global_store_dwordx2 v[2:3], v[0:1], off
.LBB89_1067:
	s_andn2_b64 vcc, exec, s[6:7]
	s_cbranch_vccnz .LBB89_1069
; %bb.1068:
	global_store_dword v[2:3], v4, off
.LBB89_1069:
	s_mov_b64 s[6:7], 0
.LBB89_1070:
	s_andn2_b64 vcc, exec, s[6:7]
	s_cbranch_vccnz .LBB89_1072
; %bb.1071:
	v_cvt_f16_f32_e32 v0, v4
	global_store_short v[2:3], v0, off
.LBB89_1072:
	s_mov_b64 s[6:7], 0
.LBB89_1073:
	s_andn2_b64 vcc, exec, s[6:7]
	s_cbranch_vccnz .LBB89_1089
; %bb.1074:
	s_sext_i32_i16 s8, s16
	s_cmp_lt_i32 s8, 2
	s_mov_b64 s[6:7], -1
	s_cbranch_scc1 .LBB89_1084
; %bb.1075:
	s_cmp_lt_i32 s8, 3
	s_cbranch_scc1 .LBB89_1081
; %bb.1076:
	s_cmp_gt_i32 s8, 3
	s_cbranch_scc0 .LBB89_1078
; %bb.1077:
	v_trunc_f32_e32 v0, v4
	s_mov_b32 s6, 0x2f800000
	s_waitcnt vmcnt(0)
	v_mul_f32_e64 v1, |v0|, s6
	v_floor_f32_e32 v1, v1
	s_mov_b32 s6, 0xcf800000
	v_cvt_u32_f32_e32 v5, v1
	v_fma_f32 v1, v1, s6, |v0|
	v_cvt_u32_f32_e32 v1, v1
	v_ashrrev_i32_e32 v6, 31, v0
	v_xor_b32_e32 v5, v5, v6
	s_mov_b64 s[6:7], 0
	v_xor_b32_e32 v0, v1, v6
	v_sub_co_u32_e32 v0, vcc, v0, v6
	s_nop 1
	v_subb_co_u32_e32 v1, vcc, v5, v6, vcc
	global_store_dwordx2 v[2:3], v[0:1], off
.LBB89_1078:
	s_andn2_b64 vcc, exec, s[6:7]
	s_cbranch_vccnz .LBB89_1080
; %bb.1079:
	v_cvt_i32_f32_e32 v0, v4
	global_store_dword v[2:3], v0, off
.LBB89_1080:
	s_mov_b64 s[6:7], 0
.LBB89_1081:
	s_andn2_b64 vcc, exec, s[6:7]
	s_cbranch_vccnz .LBB89_1083
; %bb.1082:
	v_cvt_i32_f32_e32 v0, v4
	global_store_short v[2:3], v0, off
.LBB89_1083:
	s_mov_b64 s[6:7], 0
.LBB89_1084:
	s_andn2_b64 vcc, exec, s[6:7]
	s_cbranch_vccnz .LBB89_1089
; %bb.1085:
	s_sext_i32_i16 s6, s16
	s_cmp_gt_i32 s6, 0
	s_mov_b64 s[6:7], -1
	s_cbranch_scc0 .LBB89_1087
; %bb.1086:
	v_cvt_i32_f32_e32 v0, v4
	s_mov_b64 s[6:7], 0
	global_store_byte v[2:3], v0, off
.LBB89_1087:
	s_andn2_b64 vcc, exec, s[6:7]
	s_cbranch_vccnz .LBB89_1089
; %bb.1088:
	v_trunc_f32_e32 v0, v4
	s_mov_b32 s6, 0x2f800000
	s_waitcnt vmcnt(0)
	v_mul_f32_e64 v1, |v0|, s6
	v_floor_f32_e32 v1, v1
	s_mov_b32 s6, 0xcf800000
	v_fma_f32 v1, v1, s6, |v0|
	v_cvt_u32_f32_e32 v1, v1
	v_ashrrev_i32_e32 v0, 31, v0
	v_xor_b32_e32 v1, v1, v0
	v_sub_u32_e32 v0, v1, v0
	global_store_byte v[2:3], v0, off
.LBB89_1089:
	s_or_b64 exec, exec, s[2:3]
	s_waitcnt lgkmcnt(0)
	s_and_b64 s[24:25], s[4:5], exec
                                        ; implicit-def: $vgpr16
                                        ; implicit-def: $vgpr8
.LBB89_1090:
	s_or_saveexec_b64 s[26:27], s[44:45]
	s_mov_b64 s[6:7], 0
                                        ; implicit-def: $vgpr0_vgpr1
                                        ; implicit-def: $sgpr14
                                        ; implicit-def: $vgpr2
	s_xor_b64 exec, exec, s[26:27]
	s_cbranch_execz .LBB89_2094
; %bb.1091:
	v_cndmask_b32_e64 v0, 0, 1, s[42:43]
	v_cmp_ne_u32_e64 s[2:3], 1, v0
	s_andn2_b64 vcc, exec, s[42:43]
	s_cbranch_vccnz .LBB89_1097
; %bb.1092:
	s_cmp_lg_u32 s33, 0
	s_mov_b32 s36, 0
	s_cbranch_scc0 .LBB89_1098
; %bb.1093:
	s_min_u32 s37, s72, 15
	s_add_i32 s37, s37, 1
	s_cmp_eq_u32 s72, 2
	s_cbranch_scc1 .LBB89_1099
; %bb.1094:
	s_and_b32 s36, s37, 28
	s_add_u32 s28, s34, 0xc4
	s_addc_u32 s29, s35, 0
	s_mov_b32 s38, 0
	v_mov_b32_e32 v6, 0
	v_mov_b32_e32 v14, 0
	s_mov_b64 s[30:31], s[34:35]
	v_mov_b32_e32 v0, v8
.LBB89_1095:                            ; =>This Inner Loop Header: Depth=1
	s_load_dwordx8 s[12:19], s[30:31], 0x4
	s_load_dwordx4 s[20:23], s[30:31], 0x24
	s_load_dwordx8 s[4:11], s[28:29], 0x0
	s_add_u32 s30, s30, 48
	s_addc_u32 s31, s31, 0
	s_waitcnt vmcnt(0) lgkmcnt(0)
	v_mul_hi_u32 v1, s13, v0
	v_add_u32_e32 v1, v0, v1
	v_lshrrev_b32_e32 v1, s14, v1
	v_mul_lo_u32 v2, v1, s12
	v_mul_hi_u32 v3, s16, v1
	v_sub_u32_e32 v0, v0, v2
	v_add_u32_e32 v2, v1, v3
	v_lshrrev_b32_e32 v2, s17, v2
	v_mul_lo_u32 v4, v2, s15
	v_mul_hi_u32 v5, s19, v2
	v_sub_u32_e32 v1, v1, v4
	v_add_u32_e32 v4, v2, v5
	v_mul_lo_u32 v3, v0, s5
	v_mul_lo_u32 v0, v0, s4
	;; [unrolled: 1-line block ×4, first 2 shown]
	v_lshrrev_b32_e32 v4, s20, v4
	v_add3_u32 v1, v0, v6, v1
	v_add3_u32 v3, v3, v14, v5
	v_mul_lo_u32 v0, v4, s18
	v_mul_hi_u32 v5, s22, v4
	v_sub_u32_e32 v0, v2, v0
	v_add_u32_e32 v2, v4, v5
	v_mul_lo_u32 v5, v0, s8
	v_mul_lo_u32 v6, v0, s9
	v_lshrrev_b32_e32 v0, s23, v2
	s_add_i32 s38, s38, 4
	v_mul_lo_u32 v2, v0, s21
	s_add_u32 s28, s28, 32
	v_sub_u32_e32 v2, v4, v2
	s_addc_u32 s29, s29, 0
	v_mul_lo_u32 v4, v2, s10
	v_mul_lo_u32 v2, v2, s11
	s_cmp_lg_u32 s36, s38
	v_add3_u32 v14, v6, v3, v2
	v_add3_u32 v6, v5, v1, v4
	s_cbranch_scc1 .LBB89_1095
; %bb.1096:
	v_mov_b32_e32 v1, v14
	s_and_b32 s8, s37, 3
	s_cmp_eq_u32 s8, 0
	s_cbranch_scc0 .LBB89_1100
	s_branch .LBB89_1102
.LBB89_1097:
                                        ; implicit-def: $vgpr14
                                        ; implicit-def: $vgpr6
	s_branch .LBB89_1103
.LBB89_1098:
	v_mov_b32_e32 v14, 0
	v_mov_b32_e32 v6, 0
	s_branch .LBB89_1102
.LBB89_1099:
	v_mov_b32_e32 v6, 0
                                        ; implicit-def: $vgpr14
	s_waitcnt vmcnt(0)
	v_mov_b32_e32 v1, v6
	v_mov_b32_e32 v0, v8
	s_and_b32 s8, s37, 3
	s_cmp_eq_u32 s8, 0
	s_cbranch_scc1 .LBB89_1102
.LBB89_1100:
	s_lshl_b32 s4, s36, 3
	s_add_u32 s4, s34, s4
	s_addc_u32 s5, s35, 0
	s_add_u32 s4, s4, 0xc4
	s_addc_u32 s5, s5, 0
	s_mul_i32 s6, s36, 12
	s_add_u32 s6, s34, s6
	s_addc_u32 s7, s35, 0
.LBB89_1101:                            ; =>This Inner Loop Header: Depth=1
	s_load_dwordx2 s[10:11], s[6:7], 0x4
	s_load_dword s9, s[6:7], 0xc
	s_load_dwordx2 s[12:13], s[4:5], 0x0
	v_mov_b32_e32 v2, v1
	s_add_u32 s6, s6, 12
	s_waitcnt lgkmcnt(0)
	v_mul_hi_u32 v1, s11, v0
	v_add_u32_e32 v1, v0, v1
	v_lshrrev_b32_e32 v1, s9, v1
	s_addc_u32 s7, s7, 0
	v_mul_lo_u32 v3, v1, s10
	s_add_u32 s4, s4, 8
	v_sub_u32_e32 v3, v0, v3
	s_addc_u32 s5, s5, 0
	s_add_i32 s8, s8, -1
	v_mad_u64_u32 v[14:15], s[10:11], v3, s13, v[2:3]
	s_cmp_lg_u32 s8, 0
	v_mov_b32_e32 v0, v1
	v_mad_u64_u32 v[6:7], s[10:11], v3, s12, v[6:7]
	v_mov_b32_e32 v1, v14
	s_cbranch_scc1 .LBB89_1101
.LBB89_1102:
	s_cbranch_execnz .LBB89_1105
.LBB89_1103:
	s_load_dwordx4 s[4:7], s[34:35], 0x4
	s_load_dwordx2 s[8:9], s[34:35], 0xc4
	s_cmp_lt_u32 s33, 2
	s_waitcnt lgkmcnt(0)
	v_mul_hi_u32 v0, s5, v8
	v_add_u32_e32 v0, v8, v0
	v_lshrrev_b32_e32 v0, s6, v0
	s_waitcnt vmcnt(0)
	v_mul_lo_u32 v1, v0, s4
	v_sub_u32_e32 v1, v8, v1
	v_mul_lo_u32 v14, v1, s9
	v_mul_lo_u32 v6, v1, s8
	s_cbranch_scc1 .LBB89_1105
; %bb.1104:
	s_load_dwordx4 s[4:7], s[34:35], 0x10
	s_load_dwordx2 s[8:9], s[34:35], 0xcc
	s_waitcnt lgkmcnt(0)
	v_mul_hi_u32 v1, s5, v0
	v_add_u32_e32 v1, v0, v1
	v_lshrrev_b32_e32 v1, s6, v1
	v_mul_lo_u32 v1, v1, s4
	v_sub_u32_e32 v0, v0, v1
	v_mad_u64_u32 v[6:7], s[4:5], v0, s8, v[6:7]
	v_mad_u64_u32 v[14:15], s[4:5], v0, s9, v[14:15]
.LBB89_1105:
	s_and_b64 vcc, exec, s[2:3]
	v_add_u32_e32 v0, 0x80, v8
	s_cbranch_vccnz .LBB89_1111
; %bb.1106:
	s_cmp_lg_u32 s33, 0
	s_mov_b32 s36, 0
	s_cbranch_scc0 .LBB89_1112
; %bb.1107:
	s_min_u32 s37, s72, 15
	s_add_i32 s37, s37, 1
	s_cmp_eq_u32 s72, 2
	s_cbranch_scc1 .LBB89_1113
; %bb.1108:
	s_and_b32 s36, s37, 28
	s_add_u32 s28, s34, 0xc4
	s_addc_u32 s29, s35, 0
	s_mov_b32 s38, 0
	v_mov_b32_e32 v4, 0
	v_mov_b32_e32 v12, 0
	s_mov_b64 s[30:31], s[34:35]
	v_mov_b32_e32 v2, v0
.LBB89_1109:                            ; =>This Inner Loop Header: Depth=1
	s_load_dwordx8 s[12:19], s[30:31], 0x4
	s_load_dwordx4 s[20:23], s[30:31], 0x24
	s_load_dwordx8 s[4:11], s[28:29], 0x0
	s_add_u32 s30, s30, 48
	s_addc_u32 s31, s31, 0
	s_waitcnt vmcnt(0) lgkmcnt(0)
	v_mul_hi_u32 v1, s13, v2
	v_add_u32_e32 v1, v2, v1
	v_lshrrev_b32_e32 v1, s14, v1
	v_mul_lo_u32 v3, v1, s12
	v_mul_hi_u32 v5, s16, v1
	v_sub_u32_e32 v2, v2, v3
	v_add_u32_e32 v3, v1, v5
	v_lshrrev_b32_e32 v3, s17, v3
	v_mul_lo_u32 v7, v3, s15
	v_mul_hi_u32 v9, s19, v3
	v_sub_u32_e32 v1, v1, v7
	v_add_u32_e32 v7, v3, v9
	v_mul_lo_u32 v5, v2, s5
	v_mul_lo_u32 v2, v2, s4
	;; [unrolled: 1-line block ×4, first 2 shown]
	v_lshrrev_b32_e32 v7, s20, v7
	v_add3_u32 v1, v2, v4, v1
	v_add3_u32 v4, v5, v12, v9
	v_mul_lo_u32 v2, v7, s18
	v_mul_hi_u32 v5, s22, v7
	v_sub_u32_e32 v2, v3, v2
	v_add_u32_e32 v3, v7, v5
	v_mul_lo_u32 v5, v2, s8
	v_mul_lo_u32 v9, v2, s9
	v_lshrrev_b32_e32 v2, s23, v3
	s_add_i32 s38, s38, 4
	v_mul_lo_u32 v3, v2, s21
	s_add_u32 s28, s28, 32
	v_sub_u32_e32 v3, v7, v3
	s_addc_u32 s29, s29, 0
	v_mul_lo_u32 v7, v3, s10
	v_mul_lo_u32 v3, v3, s11
	s_cmp_lg_u32 s36, s38
	v_add3_u32 v12, v9, v4, v3
	v_add3_u32 v4, v5, v1, v7
	s_cbranch_scc1 .LBB89_1109
; %bb.1110:
	v_mov_b32_e32 v1, v12
	s_and_b32 s8, s37, 3
	s_cmp_eq_u32 s8, 0
	s_cbranch_scc0 .LBB89_1114
	s_branch .LBB89_1116
.LBB89_1111:
                                        ; implicit-def: $vgpr12
                                        ; implicit-def: $vgpr4
	s_branch .LBB89_1117
.LBB89_1112:
	v_mov_b32_e32 v12, 0
	v_mov_b32_e32 v4, 0
	s_branch .LBB89_1116
.LBB89_1113:
	v_mov_b32_e32 v4, 0
                                        ; implicit-def: $vgpr12
	s_waitcnt vmcnt(0)
	v_mov_b32_e32 v1, v4
	v_mov_b32_e32 v2, v0
	s_and_b32 s8, s37, 3
	s_cmp_eq_u32 s8, 0
	s_cbranch_scc1 .LBB89_1116
.LBB89_1114:
	s_lshl_b32 s4, s36, 3
	s_add_u32 s4, s34, s4
	s_addc_u32 s5, s35, 0
	s_add_u32 s4, s4, 0xc4
	s_addc_u32 s5, s5, 0
	s_mul_i32 s6, s36, 12
	s_add_u32 s6, s34, s6
	s_addc_u32 s7, s35, 0
.LBB89_1115:                            ; =>This Inner Loop Header: Depth=1
	s_load_dwordx2 s[10:11], s[6:7], 0x4
	s_load_dword s9, s[6:7], 0xc
	s_load_dwordx2 s[12:13], s[4:5], 0x0
	v_mov_b32_e32 v10, v1
	s_add_u32 s6, s6, 12
	s_waitcnt lgkmcnt(0)
	v_mul_hi_u32 v1, s11, v2
	v_add_u32_e32 v1, v2, v1
	v_lshrrev_b32_e32 v1, s9, v1
	s_addc_u32 s7, s7, 0
	v_mul_lo_u32 v3, v1, s10
	s_add_u32 s4, s4, 8
	v_sub_u32_e32 v3, v2, v3
	s_addc_u32 s5, s5, 0
	s_add_i32 s8, s8, -1
	v_mad_u64_u32 v[12:13], s[10:11], v3, s13, v[10:11]
	s_cmp_lg_u32 s8, 0
	v_mov_b32_e32 v2, v1
	v_mad_u64_u32 v[4:5], s[10:11], v3, s12, v[4:5]
	v_mov_b32_e32 v1, v12
	s_cbranch_scc1 .LBB89_1115
.LBB89_1116:
	s_cbranch_execnz .LBB89_1119
.LBB89_1117:
	s_load_dwordx4 s[4:7], s[34:35], 0x4
	s_load_dwordx2 s[8:9], s[34:35], 0xc4
	s_cmp_lt_u32 s33, 2
	s_waitcnt vmcnt(0) lgkmcnt(0)
	v_mul_hi_u32 v1, s5, v0
	v_add_u32_e32 v1, v0, v1
	v_lshrrev_b32_e32 v1, s6, v1
	v_mul_lo_u32 v2, v1, s4
	v_sub_u32_e32 v0, v0, v2
	v_mul_lo_u32 v12, v0, s9
	v_mul_lo_u32 v4, v0, s8
	s_cbranch_scc1 .LBB89_1119
; %bb.1118:
	s_load_dwordx4 s[4:7], s[34:35], 0x10
	s_load_dwordx2 s[8:9], s[34:35], 0xcc
	s_waitcnt lgkmcnt(0)
	v_mul_hi_u32 v0, s5, v1
	v_add_u32_e32 v0, v1, v0
	v_lshrrev_b32_e32 v0, s6, v0
	v_mul_lo_u32 v0, v0, s4
	v_sub_u32_e32 v0, v1, v0
	v_mad_u64_u32 v[4:5], s[4:5], v0, s8, v[4:5]
	v_mad_u64_u32 v[12:13], s[4:5], v0, s9, v[12:13]
.LBB89_1119:
	s_and_b64 vcc, exec, s[2:3]
	v_add_u32_e32 v0, 0x100, v8
	s_cbranch_vccnz .LBB89_1125
; %bb.1120:
	s_cmp_lg_u32 s33, 0
	s_mov_b32 s36, 0
	s_cbranch_scc0 .LBB89_1126
; %bb.1121:
	s_min_u32 s37, s72, 15
	s_add_i32 s37, s37, 1
	s_cmp_eq_u32 s72, 2
	s_cbranch_scc1 .LBB89_1127
; %bb.1122:
	s_and_b32 s36, s37, 28
	s_add_u32 s28, s34, 0xc4
	s_addc_u32 s29, s35, 0
	s_mov_b32 s38, 0
	v_mov_b32_e32 v2, 0
	v_mov_b32_e32 v10, 0
	s_mov_b64 s[30:31], s[34:35]
	v_mov_b32_e32 v5, v0
.LBB89_1123:                            ; =>This Inner Loop Header: Depth=1
	s_load_dwordx8 s[12:19], s[30:31], 0x4
	s_load_dwordx4 s[20:23], s[30:31], 0x24
	s_load_dwordx8 s[4:11], s[28:29], 0x0
	s_add_u32 s30, s30, 48
	s_addc_u32 s31, s31, 0
	s_waitcnt vmcnt(0) lgkmcnt(0)
	v_mul_hi_u32 v1, s13, v5
	v_add_u32_e32 v1, v5, v1
	v_lshrrev_b32_e32 v1, s14, v1
	v_mul_lo_u32 v3, v1, s12
	v_mul_hi_u32 v7, s16, v1
	v_sub_u32_e32 v3, v5, v3
	v_add_u32_e32 v5, v1, v7
	v_lshrrev_b32_e32 v5, s17, v5
	v_mul_lo_u32 v8, v5, s15
	v_mul_hi_u32 v9, s19, v5
	v_sub_u32_e32 v1, v1, v8
	v_add_u32_e32 v8, v5, v9
	v_mul_lo_u32 v7, v3, s5
	v_mul_lo_u32 v3, v3, s4
	;; [unrolled: 1-line block ×4, first 2 shown]
	v_lshrrev_b32_e32 v8, s20, v8
	v_add3_u32 v1, v3, v2, v1
	v_add3_u32 v2, v7, v10, v9
	v_mul_lo_u32 v3, v8, s18
	v_mul_hi_u32 v7, s22, v8
	v_sub_u32_e32 v3, v5, v3
	v_add_u32_e32 v5, v8, v7
	v_lshrrev_b32_e32 v5, s23, v5
	s_add_i32 s38, s38, 4
	v_mul_lo_u32 v9, v5, s21
	s_add_u32 s28, s28, 32
	v_sub_u32_e32 v8, v8, v9
	s_addc_u32 s29, s29, 0
	v_mul_lo_u32 v7, v3, s8
	v_mul_lo_u32 v3, v3, s9
	;; [unrolled: 1-line block ×4, first 2 shown]
	s_cmp_lg_u32 s36, s38
	v_add3_u32 v10, v3, v2, v8
	v_add3_u32 v2, v7, v1, v9
	s_cbranch_scc1 .LBB89_1123
; %bb.1124:
	v_mov_b32_e32 v1, v10
	s_and_b32 s8, s37, 3
	s_cmp_eq_u32 s8, 0
	s_cbranch_scc0 .LBB89_1128
	s_branch .LBB89_1130
.LBB89_1125:
                                        ; implicit-def: $vgpr10
                                        ; implicit-def: $vgpr2
	s_branch .LBB89_1131
.LBB89_1126:
	v_mov_b32_e32 v10, 0
	v_mov_b32_e32 v2, 0
	s_branch .LBB89_1130
.LBB89_1127:
	v_mov_b32_e32 v2, 0
                                        ; implicit-def: $vgpr10
	s_waitcnt vmcnt(0)
	v_mov_b32_e32 v1, v2
	v_mov_b32_e32 v5, v0
	s_and_b32 s8, s37, 3
	s_cmp_eq_u32 s8, 0
	s_cbranch_scc1 .LBB89_1130
.LBB89_1128:
	s_lshl_b32 s4, s36, 3
	s_add_u32 s4, s34, s4
	s_addc_u32 s5, s35, 0
	s_add_u32 s4, s4, 0xc4
	s_addc_u32 s5, s5, 0
	s_mul_i32 s6, s36, 12
	s_add_u32 s6, s34, s6
	s_addc_u32 s7, s35, 0
.LBB89_1129:                            ; =>This Inner Loop Header: Depth=1
	s_load_dwordx2 s[10:11], s[6:7], 0x4
	s_load_dword s9, s[6:7], 0xc
	s_load_dwordx2 s[12:13], s[4:5], 0x0
	v_mov_b32_e32 v8, v1
	s_add_u32 s6, s6, 12
	s_waitcnt lgkmcnt(0)
	v_mul_hi_u32 v1, s11, v5
	v_add_u32_e32 v1, v5, v1
	v_lshrrev_b32_e32 v1, s9, v1
	s_addc_u32 s7, s7, 0
	v_mul_lo_u32 v3, v1, s10
	s_add_u32 s4, s4, 8
	v_sub_u32_e32 v3, v5, v3
	s_addc_u32 s5, s5, 0
	s_add_i32 s8, s8, -1
	v_mad_u64_u32 v[10:11], s[10:11], v3, s13, v[8:9]
	s_cmp_lg_u32 s8, 0
	v_mov_b32_e32 v5, v1
	v_mad_u64_u32 v[2:3], s[10:11], v3, s12, v[2:3]
	v_mov_b32_e32 v1, v10
	s_cbranch_scc1 .LBB89_1129
.LBB89_1130:
	s_cbranch_execnz .LBB89_1133
.LBB89_1131:
	s_load_dwordx4 s[4:7], s[34:35], 0x4
	s_load_dwordx2 s[8:9], s[34:35], 0xc4
	s_cmp_lt_u32 s33, 2
	s_waitcnt vmcnt(0) lgkmcnt(0)
	v_mul_hi_u32 v1, s5, v0
	v_add_u32_e32 v1, v0, v1
	v_lshrrev_b32_e32 v1, s6, v1
	v_mul_lo_u32 v2, v1, s4
	v_sub_u32_e32 v0, v0, v2
	v_mul_lo_u32 v10, v0, s9
	v_mul_lo_u32 v2, v0, s8
	s_cbranch_scc1 .LBB89_1133
; %bb.1132:
	s_load_dwordx4 s[4:7], s[34:35], 0x10
	s_load_dwordx2 s[8:9], s[34:35], 0xcc
	s_waitcnt lgkmcnt(0)
	v_mul_hi_u32 v0, s5, v1
	v_add_u32_e32 v0, v1, v0
	v_lshrrev_b32_e32 v0, s6, v0
	v_mul_lo_u32 v0, v0, s4
	v_sub_u32_e32 v0, v1, v0
	v_mad_u64_u32 v[2:3], s[4:5], v0, s8, v[2:3]
	v_mad_u64_u32 v[10:11], s[4:5], v0, s9, v[10:11]
.LBB89_1133:
	s_and_b64 vcc, exec, s[2:3]
	s_cbranch_vccnz .LBB89_1139
; %bb.1134:
	s_cmp_lg_u32 s33, 0
	s_mov_b32 s30, 0
	s_cbranch_scc0 .LBB89_1140
; %bb.1135:
	s_min_u32 s31, s72, 15
	s_add_i32 s31, s31, 1
	s_cmp_eq_u32 s72, 2
	s_cbranch_scc1 .LBB89_1141
; %bb.1136:
	s_and_b32 s30, s31, 28
	s_add_u32 s2, s34, 0xc4
	s_addc_u32 s3, s35, 0
	s_mov_b32 s36, 0
	v_mov_b32_e32 v0, 0
	v_mov_b32_e32 v8, 0
	s_mov_b64 s[28:29], s[34:35]
	v_mov_b32_e32 v3, v16
.LBB89_1137:                            ; =>This Inner Loop Header: Depth=1
	s_load_dwordx8 s[12:19], s[28:29], 0x4
	s_load_dwordx4 s[20:23], s[28:29], 0x24
	s_load_dwordx8 s[4:11], s[2:3], 0x0
	s_add_u32 s28, s28, 48
	s_addc_u32 s29, s29, 0
	s_waitcnt vmcnt(0) lgkmcnt(0)
	v_mul_hi_u32 v1, s13, v3
	v_add_u32_e32 v1, v3, v1
	v_lshrrev_b32_e32 v1, s14, v1
	v_mul_lo_u32 v5, v1, s12
	v_mul_hi_u32 v7, s16, v1
	v_sub_u32_e32 v3, v3, v5
	v_add_u32_e32 v5, v1, v7
	v_lshrrev_b32_e32 v5, s17, v5
	v_mul_lo_u32 v9, v5, s15
	v_mul_hi_u32 v11, s19, v5
	v_sub_u32_e32 v1, v1, v9
	v_add_u32_e32 v9, v5, v11
	v_mul_lo_u32 v7, v3, s5
	v_mul_lo_u32 v3, v3, s4
	;; [unrolled: 1-line block ×4, first 2 shown]
	v_lshrrev_b32_e32 v9, s20, v9
	v_add3_u32 v0, v3, v0, v1
	v_add3_u32 v1, v7, v8, v11
	v_mul_lo_u32 v3, v9, s18
	v_mul_hi_u32 v7, s22, v9
	v_sub_u32_e32 v3, v5, v3
	v_add_u32_e32 v5, v9, v7
	v_mul_lo_u32 v7, v3, s8
	v_mul_lo_u32 v8, v3, s9
	v_lshrrev_b32_e32 v3, s23, v5
	s_add_i32 s36, s36, 4
	v_mul_lo_u32 v5, v3, s21
	s_add_u32 s2, s2, 32
	v_sub_u32_e32 v5, v9, v5
	s_addc_u32 s3, s3, 0
	v_mul_lo_u32 v9, v5, s10
	v_mul_lo_u32 v5, v5, s11
	s_cmp_lg_u32 s30, s36
	v_add3_u32 v8, v8, v1, v5
	v_add3_u32 v0, v7, v0, v9
	s_cbranch_scc1 .LBB89_1137
; %bb.1138:
	v_mov_b32_e32 v1, v8
	s_and_b32 s6, s31, 3
	s_cmp_eq_u32 s6, 0
	s_cbranch_scc0 .LBB89_1142
	s_branch .LBB89_1144
.LBB89_1139:
                                        ; implicit-def: $vgpr8
                                        ; implicit-def: $vgpr0
	s_branch .LBB89_1145
.LBB89_1140:
	v_mov_b32_e32 v8, 0
	v_mov_b32_e32 v0, 0
	s_branch .LBB89_1144
.LBB89_1141:
	v_mov_b32_e32 v0, 0
                                        ; implicit-def: $vgpr8
	s_waitcnt vmcnt(0)
	v_mov_b32_e32 v1, v0
	v_mov_b32_e32 v3, v16
	s_and_b32 s6, s31, 3
	s_cmp_eq_u32 s6, 0
	s_cbranch_scc1 .LBB89_1144
.LBB89_1142:
	s_lshl_b32 s2, s30, 3
	s_add_u32 s2, s34, s2
	s_addc_u32 s3, s35, 0
	s_add_u32 s2, s2, 0xc4
	s_addc_u32 s3, s3, 0
	s_mul_i32 s4, s30, 12
	s_add_u32 s4, s34, s4
	s_addc_u32 s5, s35, 0
.LBB89_1143:                            ; =>This Inner Loop Header: Depth=1
	s_load_dwordx2 s[8:9], s[4:5], 0x4
	s_load_dword s7, s[4:5], 0xc
	s_load_dwordx2 s[10:11], s[2:3], 0x0
	v_mov_b32_e32 v8, v1
	s_add_u32 s4, s4, 12
	s_waitcnt lgkmcnt(0)
	v_mul_hi_u32 v1, s9, v3
	v_add_u32_e32 v1, v3, v1
	v_lshrrev_b32_e32 v1, s7, v1
	s_addc_u32 s5, s5, 0
	v_mul_lo_u32 v5, v1, s8
	s_add_u32 s2, s2, 8
	v_sub_u32_e32 v5, v3, v5
	s_addc_u32 s3, s3, 0
	s_add_i32 s6, s6, -1
	v_mov_b32_e32 v3, v1
	v_mad_u64_u32 v[8:9], s[8:9], v5, s11, v[8:9]
	v_mad_u64_u32 v[0:1], s[8:9], v5, s10, v[0:1]
	s_cmp_lg_u32 s6, 0
	v_mov_b32_e32 v1, v8
	s_cbranch_scc1 .LBB89_1143
.LBB89_1144:
	s_cbranch_execnz .LBB89_1147
.LBB89_1145:
	s_load_dwordx4 s[4:7], s[34:35], 0x4
	s_load_dwordx2 s[2:3], s[34:35], 0xc4
	s_cmp_lt_u32 s33, 2
	s_waitcnt lgkmcnt(0)
	v_mul_hi_u32 v0, s5, v16
	v_add_u32_e32 v0, v16, v0
	s_waitcnt vmcnt(0)
	v_lshrrev_b32_e32 v1, s6, v0
	v_mul_lo_u32 v0, v1, s4
	v_sub_u32_e32 v0, v16, v0
	v_mul_lo_u32 v8, v0, s3
	v_mul_lo_u32 v0, v0, s2
	s_cbranch_scc1 .LBB89_1147
; %bb.1146:
	s_load_dwordx4 s[4:7], s[34:35], 0x10
	s_load_dwordx2 s[2:3], s[34:35], 0xcc
	s_waitcnt lgkmcnt(0)
	v_mul_hi_u32 v3, s5, v1
	v_add_u32_e32 v3, v1, v3
	v_lshrrev_b32_e32 v3, s6, v3
	v_mul_lo_u32 v3, v3, s4
	v_sub_u32_e32 v3, v1, v3
	v_mad_u64_u32 v[0:1], s[4:5], v3, s2, v[0:1]
	v_mad_u64_u32 v[8:9], s[2:3], v3, s3, v[8:9]
.LBB89_1147:
	s_load_dword s16, s[0:1], 0x160
	s_load_dwordx4 s[4:7], s[34:35], 0x148
	v_mov_b32_e32 v15, 0
	s_waitcnt lgkmcnt(0)
	s_bfe_u32 s14, s16, 0x80010
	s_cmp_lt_i32 s14, 11
	v_lshl_add_u64 v[14:15], s[6:7], 0, v[14:15]
	s_cbranch_scc1 .LBB89_1154
; %bb.1148:
	s_and_b32 s15, 0xffff, s14
	s_cmp_gt_i32 s15, 25
	s_mov_b64 s[8:9], 0
	s_cbranch_scc0 .LBB89_1156
; %bb.1149:
	s_cmp_gt_i32 s15, 28
	s_cbranch_scc0 .LBB89_1157
; %bb.1150:
	s_cmp_gt_i32 s15, 43
	;; [unrolled: 3-line block ×3, first 2 shown]
	s_cbranch_scc0 .LBB89_1159
; %bb.1152:
	s_cmp_eq_u32 s15, 46
	s_mov_b64 s[2:3], 0
	s_cbranch_scc0 .LBB89_1162
; %bb.1153:
	global_load_dword v1, v[14:15], off
	s_mov_b64 s[0:1], 0
	s_mov_b64 s[10:11], -1
	s_waitcnt vmcnt(0)
	v_lshlrev_b32_e32 v7, 16, v1
	s_branch .LBB89_1163
.LBB89_1154:
	s_mov_b64 s[10:11], 0
                                        ; implicit-def: $vgpr7
	s_mov_b64 s[2:3], s[24:25]
	s_cbranch_execnz .LBB89_1226
.LBB89_1155:
	s_andn2_b64 vcc, exec, s[10:11]
	s_cbranch_vccz .LBB89_1271
	s_branch .LBB89_2092
.LBB89_1156:
	s_mov_b64 s[10:11], 0
	s_mov_b64 s[0:1], 0
                                        ; implicit-def: $vgpr7
	s_cbranch_execnz .LBB89_1191
	s_branch .LBB89_1222
.LBB89_1157:
	s_mov_b64 s[2:3], -1
	s_mov_b64 s[10:11], 0
	s_mov_b64 s[0:1], 0
                                        ; implicit-def: $vgpr7
	s_branch .LBB89_1172
.LBB89_1158:
	s_mov_b64 s[10:11], 0
	s_mov_b64 s[0:1], 0
                                        ; implicit-def: $vgpr7
	s_cbranch_execnz .LBB89_1168
	s_branch .LBB89_1171
.LBB89_1159:
	s_mov_b64 s[2:3], -1
	s_mov_b64 s[10:11], 0
	s_mov_b64 s[0:1], 0
                                        ; implicit-def: $vgpr7
	s_branch .LBB89_1163
.LBB89_1160:
	s_andn2_saveexec_b64 s[12:13], s[12:13]
	s_cbranch_execz .LBB89_1003
.LBB89_1161:
	s_mov_b32 s14, 0x46000000
	v_add_f32_e64 v0, |v4|, s14
	v_and_b32_e32 v0, 0xff, v0
	v_cmp_ne_u32_e32 vcc, 0, v0
	s_andn2_b64 s[10:11], s[10:11], exec
	s_and_b64 s[14:15], vcc, exec
	s_or_b64 s[10:11], s[10:11], s[14:15]
	s_or_b64 exec, exec, s[12:13]
	v_mov_b32_e32 v1, 0
	s_and_saveexec_b64 s[12:13], s[10:11]
	s_cbranch_execnz .LBB89_1004
	s_branch .LBB89_1005
.LBB89_1162:
	s_mov_b64 s[0:1], -1
                                        ; implicit-def: $vgpr7
	s_mov_b64 s[10:11], 0
.LBB89_1163:
	s_and_b64 vcc, exec, s[2:3]
	s_cbranch_vccz .LBB89_1166
; %bb.1164:
	s_cmp_eq_u32 s15, 44
	s_cbranch_scc0 .LBB89_1167
; %bb.1165:
	global_load_ubyte v1, v[14:15], off
	s_movk_i32 s2, 0xff
	v_mov_b32_e32 v3, 0x7f800001
	v_mov_b32_e32 v5, 0x400000
	s_mov_b64 s[0:1], 0
	s_mov_b64 s[10:11], -1
	s_waitcnt vmcnt(0)
	v_lshlrev_b32_e32 v7, 23, v1
	v_cmp_ne_u32_e32 vcc, s2, v1
	s_nop 1
	v_cndmask_b32_e32 v3, v3, v7, vcc
	v_cmp_ne_u32_e32 vcc, 0, v1
	s_nop 1
	v_cndmask_b32_e32 v7, v5, v3, vcc
.LBB89_1166:
	s_branch .LBB89_1171
.LBB89_1167:
	s_mov_b64 s[0:1], -1
                                        ; implicit-def: $vgpr7
	s_branch .LBB89_1171
.LBB89_1168:
	s_cmp_eq_u32 s15, 29
	s_cbranch_scc0 .LBB89_1170
; %bb.1169:
	global_load_dwordx2 v[16:17], v[14:15], off
	s_mov_b64 s[0:1], 0
	s_mov_b64 s[10:11], -1
	s_mov_b64 s[2:3], 0
	s_waitcnt vmcnt(0)
	v_ffbh_u32_e32 v1, v17
	v_min_u32_e32 v1, 32, v1
	v_lshlrev_b64 v[16:17], v1, v[16:17]
	v_min_u32_e32 v3, 1, v16
	v_or_b32_e32 v3, v17, v3
	v_cvt_f32_u32_e32 v3, v3
	v_sub_u32_e32 v1, 32, v1
	v_ldexp_f32 v7, v3, v1
	s_branch .LBB89_1172
.LBB89_1170:
	s_mov_b64 s[0:1], -1
                                        ; implicit-def: $vgpr7
.LBB89_1171:
	s_mov_b64 s[2:3], 0
.LBB89_1172:
	s_and_b64 vcc, exec, s[2:3]
	s_cbranch_vccz .LBB89_1190
; %bb.1173:
	s_cmp_lt_i32 s15, 27
	s_cbranch_scc1 .LBB89_1176
; %bb.1174:
	s_cmp_gt_i32 s15, 27
	s_cbranch_scc0 .LBB89_1177
; %bb.1175:
	global_load_dword v1, v[14:15], off
	s_mov_b64 s[2:3], 0
	s_waitcnt vmcnt(0)
	v_cvt_f32_u32_e32 v7, v1
	s_branch .LBB89_1178
.LBB89_1176:
	s_mov_b64 s[2:3], -1
                                        ; implicit-def: $vgpr7
	s_branch .LBB89_1181
.LBB89_1177:
	s_mov_b64 s[2:3], -1
                                        ; implicit-def: $vgpr7
.LBB89_1178:
	s_andn2_b64 vcc, exec, s[2:3]
	s_cbranch_vccnz .LBB89_1180
; %bb.1179:
	global_load_ushort v1, v[14:15], off
	s_waitcnt vmcnt(0)
	v_cvt_f32_u32_e32 v7, v1
.LBB89_1180:
	s_mov_b64 s[2:3], 0
.LBB89_1181:
	s_andn2_b64 vcc, exec, s[2:3]
	s_cbranch_vccnz .LBB89_1189
; %bb.1182:
	global_load_ubyte v1, v[14:15], off
	s_movk_i32 s2, 0x7f
	s_waitcnt vmcnt(0)
	v_cmp_lt_i16_e32 vcc, s2, v1
	s_mov_b64 s[2:3], 0
	s_and_saveexec_b64 s[10:11], vcc
	s_xor_b64 s[10:11], exec, s[10:11]
	s_cbranch_execz .LBB89_1202
; %bb.1183:
	s_movk_i32 s2, 0x80
	v_cmp_eq_u16_e32 vcc, s2, v1
	s_mov_b64 s[2:3], -1
	s_and_saveexec_b64 s[12:13], vcc
; %bb.1184:
	s_xor_b64 s[2:3], exec, -1
; %bb.1185:
	s_or_b64 exec, exec, s[12:13]
	s_and_b64 s[2:3], s[2:3], exec
	s_or_saveexec_b64 s[10:11], s[10:11]
	v_mov_b32_e32 v7, 0x7f800001
	s_xor_b64 exec, exec, s[10:11]
	s_cbranch_execnz .LBB89_1203
.LBB89_1186:
	s_or_b64 exec, exec, s[10:11]
	s_and_saveexec_b64 s[10:11], s[2:3]
	s_cbranch_execz .LBB89_1188
.LBB89_1187:
	v_lshlrev_b32_e32 v3, 24, v1
	v_and_b32_e32 v1, 0xffff, v1
	v_and_b32_e32 v5, 7, v1
	v_ffbh_u32_e32 v9, v5
	v_min_u32_e32 v9, 32, v9
	v_subrev_u32_e32 v11, 28, v9
	v_bfe_u32 v7, v1, 3, 4
	v_lshlrev_b32_e32 v1, v11, v1
	v_sub_u32_e32 v9, 29, v9
	v_and_b32_e32 v1, 7, v1
	v_cmp_eq_u32_e32 vcc, 0, v7
	v_and_b32_e32 v3, 0x80000000, v3
	s_nop 0
	v_cndmask_b32_e32 v7, v7, v9, vcc
	v_cndmask_b32_e32 v1, v5, v1, vcc
	v_mov_b32_e32 v5, 0x3b800000
	v_lshlrev_b32_e32 v1, 20, v1
	v_lshl_add_u32 v5, v7, 23, v5
	v_or3_b32 v7, v3, v5, v1
.LBB89_1188:
	s_or_b64 exec, exec, s[10:11]
.LBB89_1189:
	s_mov_b64 s[10:11], -1
.LBB89_1190:
	s_branch .LBB89_1222
.LBB89_1191:
	s_cmp_gt_i32 s15, 22
	s_cbranch_scc0 .LBB89_1201
; %bb.1192:
	s_cmp_lt_i32 s15, 24
	s_cbranch_scc1 .LBB89_1204
; %bb.1193:
	s_cmp_gt_i32 s15, 24
	s_cbranch_scc0 .LBB89_1205
; %bb.1194:
	global_load_ubyte v1, v[14:15], off
	s_movk_i32 s2, 0x7f
	s_waitcnt vmcnt(0)
	v_cmp_lt_i16_e32 vcc, s2, v1
	s_mov_b64 s[2:3], 0
	s_and_saveexec_b64 s[8:9], vcc
	s_xor_b64 s[8:9], exec, s[8:9]
	s_cbranch_execz .LBB89_1216
; %bb.1195:
	s_movk_i32 s2, 0x80
	v_cmp_eq_u16_e32 vcc, s2, v1
	s_mov_b64 s[2:3], -1
	s_and_saveexec_b64 s[10:11], vcc
; %bb.1196:
	s_xor_b64 s[2:3], exec, -1
; %bb.1197:
	s_or_b64 exec, exec, s[10:11]
	s_and_b64 s[2:3], s[2:3], exec
	s_or_saveexec_b64 s[8:9], s[8:9]
	v_mov_b32_e32 v7, 0x7f800001
	s_xor_b64 exec, exec, s[8:9]
	s_cbranch_execnz .LBB89_1217
.LBB89_1198:
	s_or_b64 exec, exec, s[8:9]
	s_and_saveexec_b64 s[8:9], s[2:3]
	s_cbranch_execz .LBB89_1200
.LBB89_1199:
	v_lshlrev_b32_e32 v3, 24, v1
	v_and_b32_e32 v1, 0xffff, v1
	v_and_b32_e32 v5, 3, v1
	v_ffbh_u32_e32 v9, v5
	v_min_u32_e32 v9, 32, v9
	v_subrev_u32_e32 v11, 29, v9
	v_bfe_u32 v7, v1, 2, 5
	v_lshlrev_b32_e32 v1, v11, v1
	v_sub_u32_e32 v9, 30, v9
	v_and_b32_e32 v1, 3, v1
	v_cmp_eq_u32_e32 vcc, 0, v7
	v_and_b32_e32 v3, 0x80000000, v3
	s_nop 0
	v_cndmask_b32_e32 v7, v7, v9, vcc
	v_cndmask_b32_e32 v1, v5, v1, vcc
	v_mov_b32_e32 v5, 0x37800000
	v_lshlrev_b32_e32 v1, 21, v1
	v_lshl_add_u32 v5, v7, 23, v5
	v_or3_b32 v7, v3, v5, v1
.LBB89_1200:
	s_or_b64 exec, exec, s[8:9]
	s_mov_b64 s[2:3], 0
	s_branch .LBB89_1206
.LBB89_1201:
                                        ; implicit-def: $vgpr7
	s_mov_b64 s[8:9], 0
	s_branch .LBB89_1212
.LBB89_1202:
	s_or_saveexec_b64 s[10:11], s[10:11]
	v_mov_b32_e32 v7, 0x7f800001
	s_xor_b64 exec, exec, s[10:11]
	s_cbranch_execz .LBB89_1186
.LBB89_1203:
	v_cmp_ne_u16_e32 vcc, 0, v1
	s_andn2_b64 s[2:3], s[2:3], exec
	s_and_b64 s[12:13], vcc, exec
	v_mov_b32_e32 v7, 0
	s_or_b64 s[2:3], s[2:3], s[12:13]
	s_or_b64 exec, exec, s[10:11]
	s_and_saveexec_b64 s[10:11], s[2:3]
	s_cbranch_execnz .LBB89_1187
	s_branch .LBB89_1188
.LBB89_1204:
	s_mov_b64 s[2:3], -1
                                        ; implicit-def: $vgpr7
	s_branch .LBB89_1209
.LBB89_1205:
	s_mov_b64 s[2:3], -1
                                        ; implicit-def: $vgpr7
.LBB89_1206:
	s_and_b64 vcc, exec, s[2:3]
	s_cbranch_vccz .LBB89_1208
; %bb.1207:
	global_load_ubyte v1, v[14:15], off
	s_mov_b32 s2, 0x7f800000
	s_waitcnt vmcnt(0)
	v_lshlrev_b32_e32 v1, 24, v1
	v_and_b32_e32 v3, 0x7f000000, v1
	v_ffbh_u32_e32 v5, v3
	v_min_u32_e32 v5, 32, v5
	v_sub_u32_e64 v5, v5, 4 clamp
	v_lshlrev_b32_e32 v9, v5, v3
	v_lshlrev_b32_e32 v5, 23, v5
	v_lshrrev_b32_e32 v9, 4, v9
	v_add_u32_e32 v7, 0x1000000, v3
	v_sub_u32_e32 v5, v9, v5
	v_ashrrev_i32_e32 v7, 8, v7
	v_add_u32_e32 v5, 0x3c000000, v5
	v_and_or_b32 v5, v7, s2, v5
	v_cmp_ne_u32_e32 vcc, 0, v3
	s_brev_b32 s2, 1
	s_nop 0
	v_cndmask_b32_e32 v3, 0, v5, vcc
	v_and_or_b32 v7, v1, s2, v3
.LBB89_1208:
	s_mov_b64 s[2:3], 0
.LBB89_1209:
	s_andn2_b64 vcc, exec, s[2:3]
	s_cbranch_vccnz .LBB89_1211
; %bb.1210:
	global_load_ubyte v1, v[14:15], off
	s_movk_i32 s2, 0x7f00
	s_brev_b32 s3, 16
	s_waitcnt vmcnt(0)
	v_lshlrev_b16_e32 v3, 8, v1
	v_lshlrev_b32_e32 v1, 25, v1
	v_lshrrev_b32_e32 v5, 4, v1
	v_and_or_b32 v7, v3, s2, 0.5
	v_or_b32_e32 v5, 0x70000000, v5
	v_add_f32_e32 v7, -0.5, v7
	v_mul_f32_e32 v5, 0x7800000, v5
	v_cmp_gt_u32_e32 vcc, s3, v1
	v_bfe_i32 v3, v3, 0, 16
	s_brev_b32 s2, 1
	v_cndmask_b32_e32 v1, v5, v7, vcc
	v_and_or_b32 v7, v3, s2, v1
.LBB89_1211:
	s_mov_b64 s[10:11], -1
	s_mov_b64 s[8:9], 0
	s_cbranch_execnz .LBB89_1222
.LBB89_1212:
	s_cmp_gt_i32 s15, 14
	s_cbranch_scc0 .LBB89_1215
; %bb.1213:
	s_cmp_eq_u32 s15, 15
	s_cbranch_scc0 .LBB89_1218
; %bb.1214:
	global_load_ushort v1, v[14:15], off
	s_mov_b64 s[0:1], 0
	s_mov_b64 s[10:11], -1
	s_waitcnt vmcnt(0)
	v_lshlrev_b32_e32 v7, 16, v1
	s_branch .LBB89_1219
.LBB89_1215:
	s_mov_b64 s[2:3], -1
                                        ; implicit-def: $vgpr7
	s_branch .LBB89_1220
.LBB89_1216:
	s_or_saveexec_b64 s[8:9], s[8:9]
	v_mov_b32_e32 v7, 0x7f800001
	s_xor_b64 exec, exec, s[8:9]
	s_cbranch_execz .LBB89_1198
.LBB89_1217:
	v_cmp_ne_u16_e32 vcc, 0, v1
	s_andn2_b64 s[2:3], s[2:3], exec
	s_and_b64 s[10:11], vcc, exec
	v_mov_b32_e32 v7, 0
	s_or_b64 s[2:3], s[2:3], s[10:11]
	s_or_b64 exec, exec, s[8:9]
	s_and_saveexec_b64 s[8:9], s[2:3]
	s_cbranch_execnz .LBB89_1199
	s_branch .LBB89_1200
.LBB89_1218:
	s_mov_b64 s[0:1], -1
                                        ; implicit-def: $vgpr7
.LBB89_1219:
	s_mov_b64 s[2:3], 0
.LBB89_1220:
	s_and_b64 vcc, exec, s[2:3]
	s_cbranch_vccz .LBB89_1222
; %bb.1221:
	s_cmp_lg_u32 s15, 11
	s_mov_b64 s[8:9], -1
	s_cselect_b64 s[0:1], -1, 0
.LBB89_1222:
	s_and_b64 vcc, exec, s[0:1]
	s_mov_b64 s[2:3], s[24:25]
	s_cbranch_vccnz .LBB89_1283
; %bb.1223:
	s_andn2_b64 vcc, exec, s[8:9]
	s_cbranch_vccnz .LBB89_1225
.LBB89_1224:
	global_load_ubyte v1, v[14:15], off
	s_mov_b64 s[10:11], -1
	s_waitcnt vmcnt(0)
	v_cmp_ne_u16_e32 vcc, 0, v1
	s_nop 1
	v_cndmask_b32_e64 v7, 0, 1.0, vcc
.LBB89_1225:
	s_branch .LBB89_1155
.LBB89_1226:
	s_and_b32 s8, 0xffff, s14
	s_cmp_lt_i32 s8, 5
	s_cbranch_scc1 .LBB89_1231
; %bb.1227:
	s_cmp_lt_i32 s8, 8
	s_cbranch_scc1 .LBB89_1232
; %bb.1228:
	;; [unrolled: 3-line block ×3, first 2 shown]
	s_cmp_gt_i32 s8, 9
	s_cbranch_scc0 .LBB89_1234
; %bb.1230:
	global_load_dwordx2 v[16:17], v[14:15], off
	s_mov_b64 s[0:1], 0
	s_waitcnt vmcnt(0)
	v_cvt_f32_f64_e32 v7, v[16:17]
	s_branch .LBB89_1235
.LBB89_1231:
                                        ; implicit-def: $vgpr7
	s_branch .LBB89_1252
.LBB89_1232:
                                        ; implicit-def: $vgpr7
	s_branch .LBB89_1241
.LBB89_1233:
	s_mov_b64 s[0:1], -1
                                        ; implicit-def: $vgpr7
	s_branch .LBB89_1238
.LBB89_1234:
	s_mov_b64 s[0:1], -1
                                        ; implicit-def: $vgpr7
.LBB89_1235:
	s_andn2_b64 vcc, exec, s[0:1]
	s_cbranch_vccnz .LBB89_1237
; %bb.1236:
	global_load_dword v7, v[14:15], off
.LBB89_1237:
	s_mov_b64 s[0:1], 0
.LBB89_1238:
	s_andn2_b64 vcc, exec, s[0:1]
	s_cbranch_vccnz .LBB89_1240
; %bb.1239:
	global_load_dword v1, v[14:15], off
	s_waitcnt vmcnt(0)
	v_cvt_f32_f16_e32 v7, v1
.LBB89_1240:
	s_cbranch_execnz .LBB89_1251
.LBB89_1241:
	s_cmp_lt_i32 s8, 6
	s_cbranch_scc1 .LBB89_1244
; %bb.1242:
	s_cmp_gt_i32 s8, 6
	s_cbranch_scc0 .LBB89_1245
; %bb.1243:
	global_load_dwordx2 v[16:17], v[14:15], off
	s_mov_b64 s[0:1], 0
	s_waitcnt vmcnt(0)
	v_cvt_f32_f64_e32 v7, v[16:17]
	s_branch .LBB89_1246
.LBB89_1244:
	s_mov_b64 s[0:1], -1
                                        ; implicit-def: $vgpr7
	s_branch .LBB89_1249
.LBB89_1245:
	s_mov_b64 s[0:1], -1
                                        ; implicit-def: $vgpr7
.LBB89_1246:
	s_andn2_b64 vcc, exec, s[0:1]
	s_cbranch_vccnz .LBB89_1248
; %bb.1247:
	global_load_dword v7, v[14:15], off
.LBB89_1248:
	s_mov_b64 s[0:1], 0
.LBB89_1249:
	s_andn2_b64 vcc, exec, s[0:1]
	s_cbranch_vccnz .LBB89_1251
; %bb.1250:
	global_load_ushort v1, v[14:15], off
	s_waitcnt vmcnt(0)
	v_cvt_f32_f16_e32 v7, v1
.LBB89_1251:
	s_cbranch_execnz .LBB89_1270
.LBB89_1252:
	s_cmp_lt_i32 s8, 2
	s_cbranch_scc1 .LBB89_1256
; %bb.1253:
	s_cmp_lt_i32 s8, 3
	s_cbranch_scc1 .LBB89_1257
; %bb.1254:
	s_cmp_gt_i32 s8, 3
	s_cbranch_scc0 .LBB89_1258
; %bb.1255:
	global_load_dwordx2 v[16:17], v[14:15], off
	s_mov_b64 s[0:1], 0
	s_waitcnt vmcnt(0)
	v_xor_b32_e32 v3, v16, v17
	v_ffbh_i32_e32 v1, v17
	v_ashrrev_i32_e32 v3, 31, v3
	v_add_u32_e32 v1, -1, v1
	v_add_u32_e32 v3, 32, v3
	v_min_u32_e32 v1, v1, v3
	v_lshlrev_b64 v[16:17], v1, v[16:17]
	v_min_u32_e32 v3, 1, v16
	v_or_b32_e32 v3, v17, v3
	v_cvt_f32_i32_e32 v3, v3
	v_sub_u32_e32 v1, 32, v1
	v_ldexp_f32 v7, v3, v1
	s_branch .LBB89_1259
.LBB89_1256:
                                        ; implicit-def: $vgpr7
	s_branch .LBB89_1265
.LBB89_1257:
	s_mov_b64 s[0:1], -1
                                        ; implicit-def: $vgpr7
	s_branch .LBB89_1262
.LBB89_1258:
	s_mov_b64 s[0:1], -1
                                        ; implicit-def: $vgpr7
.LBB89_1259:
	s_andn2_b64 vcc, exec, s[0:1]
	s_cbranch_vccnz .LBB89_1261
; %bb.1260:
	global_load_dword v1, v[14:15], off
	s_waitcnt vmcnt(0)
	v_cvt_f32_i32_e32 v7, v1
.LBB89_1261:
	s_mov_b64 s[0:1], 0
.LBB89_1262:
	s_andn2_b64 vcc, exec, s[0:1]
	s_cbranch_vccnz .LBB89_1264
; %bb.1263:
	global_load_sshort v1, v[14:15], off
	s_waitcnt vmcnt(0)
	v_cvt_f32_i32_e32 v7, v1
.LBB89_1264:
	s_cbranch_execnz .LBB89_1270
.LBB89_1265:
	s_cmp_gt_i32 s8, 0
	s_cbranch_scc0 .LBB89_1267
; %bb.1266:
	global_load_sbyte v1, v[14:15], off
	s_mov_b64 s[0:1], 0
	s_waitcnt vmcnt(0)
	v_cvt_f32_i32_e32 v7, v1
	s_branch .LBB89_1268
.LBB89_1267:
	s_mov_b64 s[0:1], -1
                                        ; implicit-def: $vgpr7
.LBB89_1268:
	s_andn2_b64 vcc, exec, s[0:1]
	s_cbranch_vccnz .LBB89_1270
; %bb.1269:
	global_load_ubyte v1, v[14:15], off
	s_waitcnt vmcnt(0)
	v_cvt_f32_ubyte0_e32 v7, v1
.LBB89_1270:
.LBB89_1271:
	s_lshr_b32 s0, s16, 16
	v_mov_b32_e32 v13, 0
	s_and_b32 s17, s0, 0xff
	s_cmp_lt_i32 s17, 11
	v_lshl_add_u64 v[12:13], s[6:7], 0, v[12:13]
	s_cbranch_scc1 .LBB89_1278
; %bb.1272:
	s_and_b32 s18, 0xffff, s17
	s_cmp_gt_i32 s18, 25
	s_mov_b64 s[8:9], 0
	s_cbranch_scc0 .LBB89_1280
; %bb.1273:
	s_cmp_gt_i32 s18, 28
	s_cbranch_scc0 .LBB89_1281
; %bb.1274:
	s_cmp_gt_i32 s18, 43
	;; [unrolled: 3-line block ×3, first 2 shown]
	s_cbranch_scc0 .LBB89_1284
; %bb.1276:
	s_cmp_eq_u32 s18, 46
	s_mov_b64 s[12:13], 0
	s_cbranch_scc0 .LBB89_1287
; %bb.1277:
	global_load_dword v1, v[12:13], off
	s_mov_b64 s[0:1], 0
	s_mov_b64 s[10:11], -1
	s_waitcnt vmcnt(0)
	v_lshlrev_b32_e32 v5, 16, v1
	s_branch .LBB89_1288
.LBB89_1278:
	s_mov_b64 s[10:11], 0
                                        ; implicit-def: $vgpr5
	s_cbranch_execnz .LBB89_1353
.LBB89_1279:
	s_andn2_b64 vcc, exec, s[10:11]
	s_cbranch_vccnz .LBB89_2092
	s_branch .LBB89_1400
.LBB89_1280:
	s_mov_b64 s[10:11], 0
	s_mov_b64 s[0:1], 0
                                        ; implicit-def: $vgpr5
	s_cbranch_execnz .LBB89_1317
	s_branch .LBB89_1349
.LBB89_1281:
	s_mov_b64 s[12:13], -1
	s_mov_b64 s[10:11], 0
	s_mov_b64 s[0:1], 0
                                        ; implicit-def: $vgpr5
	s_branch .LBB89_1298
.LBB89_1282:
	s_mov_b64 s[12:13], -1
	s_mov_b64 s[10:11], 0
	s_mov_b64 s[0:1], 0
                                        ; implicit-def: $vgpr5
	s_branch .LBB89_1293
.LBB89_1283:
	s_or_b64 s[2:3], s[24:25], exec
	s_trap 2
	s_cbranch_execz .LBB89_1224
	s_branch .LBB89_1225
.LBB89_1284:
	s_mov_b64 s[12:13], -1
	s_mov_b64 s[10:11], 0
	s_mov_b64 s[0:1], 0
                                        ; implicit-def: $vgpr5
	s_branch .LBB89_1288
.LBB89_1285:
	s_andn2_saveexec_b64 s[14:15], s[14:15]
	s_cbranch_execz .LBB89_1015
.LBB89_1286:
	s_mov_b32 s18, 0x42800000
	v_add_f32_e64 v0, |v4|, s18
	v_and_b32_e32 v0, 0xff, v0
	v_cmp_ne_u32_e32 vcc, 0, v0
	s_andn2_b64 s[12:13], s[12:13], exec
	s_and_b64 s[18:19], vcc, exec
	s_or_b64 s[12:13], s[12:13], s[18:19]
	s_or_b64 exec, exec, s[14:15]
	v_mov_b32_e32 v1, 0
	s_and_saveexec_b64 s[14:15], s[12:13]
	s_cbranch_execnz .LBB89_1016
	s_branch .LBB89_1017
.LBB89_1287:
	s_mov_b64 s[0:1], -1
                                        ; implicit-def: $vgpr5
	s_mov_b64 s[10:11], 0
.LBB89_1288:
	s_and_b64 vcc, exec, s[12:13]
	s_cbranch_vccz .LBB89_1292
; %bb.1289:
	s_cmp_eq_u32 s18, 44
	s_cbranch_scc0 .LBB89_1291
; %bb.1290:
	global_load_ubyte v1, v[12:13], off
	s_movk_i32 s10, 0xff
	v_mov_b32_e32 v3, 0x7f800001
	v_mov_b32_e32 v5, 0x400000
	s_mov_b64 s[0:1], 0
	s_waitcnt vmcnt(0)
	v_lshlrev_b32_e32 v9, 23, v1
	v_cmp_ne_u32_e32 vcc, s10, v1
	s_mov_b64 s[10:11], -1
	s_nop 0
	v_cndmask_b32_e32 v3, v3, v9, vcc
	v_cmp_ne_u32_e32 vcc, 0, v1
	s_nop 1
	v_cndmask_b32_e32 v5, v5, v3, vcc
	s_branch .LBB89_1292
.LBB89_1291:
	s_mov_b64 s[0:1], -1
                                        ; implicit-def: $vgpr5
.LBB89_1292:
	s_mov_b64 s[12:13], 0
.LBB89_1293:
	s_and_b64 vcc, exec, s[12:13]
	s_cbranch_vccz .LBB89_1297
; %bb.1294:
	s_cmp_eq_u32 s18, 29
	s_cbranch_scc0 .LBB89_1296
; %bb.1295:
	global_load_dwordx2 v[14:15], v[12:13], off
	s_mov_b64 s[0:1], 0
	s_mov_b64 s[10:11], -1
	s_mov_b64 s[12:13], 0
	s_waitcnt vmcnt(0)
	v_ffbh_u32_e32 v1, v15
	v_min_u32_e32 v1, 32, v1
	v_lshlrev_b64 v[14:15], v1, v[14:15]
	v_min_u32_e32 v3, 1, v14
	v_or_b32_e32 v3, v15, v3
	v_cvt_f32_u32_e32 v3, v3
	v_sub_u32_e32 v1, 32, v1
	v_ldexp_f32 v5, v3, v1
	s_branch .LBB89_1298
.LBB89_1296:
	s_mov_b64 s[0:1], -1
                                        ; implicit-def: $vgpr5
.LBB89_1297:
	s_mov_b64 s[12:13], 0
.LBB89_1298:
	s_and_b64 vcc, exec, s[12:13]
	s_cbranch_vccz .LBB89_1316
; %bb.1299:
	s_cmp_lt_i32 s18, 27
	s_cbranch_scc1 .LBB89_1302
; %bb.1300:
	s_cmp_gt_i32 s18, 27
	s_cbranch_scc0 .LBB89_1303
; %bb.1301:
	global_load_dword v1, v[12:13], off
	s_mov_b64 s[10:11], 0
	s_waitcnt vmcnt(0)
	v_cvt_f32_u32_e32 v5, v1
	s_branch .LBB89_1304
.LBB89_1302:
	s_mov_b64 s[10:11], -1
                                        ; implicit-def: $vgpr5
	s_branch .LBB89_1307
.LBB89_1303:
	s_mov_b64 s[10:11], -1
                                        ; implicit-def: $vgpr5
.LBB89_1304:
	s_andn2_b64 vcc, exec, s[10:11]
	s_cbranch_vccnz .LBB89_1306
; %bb.1305:
	global_load_ushort v1, v[12:13], off
	s_waitcnt vmcnt(0)
	v_cvt_f32_u32_e32 v5, v1
.LBB89_1306:
	s_mov_b64 s[10:11], 0
.LBB89_1307:
	s_andn2_b64 vcc, exec, s[10:11]
	s_cbranch_vccnz .LBB89_1315
; %bb.1308:
	global_load_ubyte v1, v[12:13], off
	s_movk_i32 s10, 0x7f
	s_waitcnt vmcnt(0)
	v_cmp_lt_i16_e32 vcc, s10, v1
	s_mov_b64 s[10:11], 0
	s_and_saveexec_b64 s[12:13], vcc
	s_xor_b64 s[12:13], exec, s[12:13]
	s_cbranch_execz .LBB89_1328
; %bb.1309:
	s_movk_i32 s10, 0x80
	v_cmp_eq_u16_e32 vcc, s10, v1
	s_mov_b64 s[10:11], -1
	s_and_saveexec_b64 s[14:15], vcc
; %bb.1310:
	s_xor_b64 s[10:11], exec, -1
; %bb.1311:
	s_or_b64 exec, exec, s[14:15]
	s_and_b64 s[10:11], s[10:11], exec
	s_or_saveexec_b64 s[12:13], s[12:13]
	v_mov_b32_e32 v5, 0x7f800001
	s_xor_b64 exec, exec, s[12:13]
	s_cbranch_execnz .LBB89_1329
.LBB89_1312:
	s_or_b64 exec, exec, s[12:13]
	s_and_saveexec_b64 s[12:13], s[10:11]
	s_cbranch_execz .LBB89_1314
.LBB89_1313:
	v_lshlrev_b32_e32 v3, 24, v1
	v_and_b32_e32 v1, 0xffff, v1
	v_and_b32_e32 v5, 7, v1
	v_ffbh_u32_e32 v11, v5
	v_min_u32_e32 v11, 32, v11
	v_subrev_u32_e32 v14, 28, v11
	v_bfe_u32 v9, v1, 3, 4
	v_lshlrev_b32_e32 v1, v14, v1
	v_sub_u32_e32 v11, 29, v11
	v_and_b32_e32 v1, 7, v1
	v_cmp_eq_u32_e32 vcc, 0, v9
	v_and_b32_e32 v3, 0x80000000, v3
	s_nop 0
	v_cndmask_b32_e32 v9, v9, v11, vcc
	v_cndmask_b32_e32 v1, v5, v1, vcc
	v_mov_b32_e32 v5, 0x3b800000
	v_lshlrev_b32_e32 v1, 20, v1
	v_lshl_add_u32 v5, v9, 23, v5
	v_or3_b32 v5, v3, v5, v1
.LBB89_1314:
	s_or_b64 exec, exec, s[12:13]
.LBB89_1315:
	s_mov_b64 s[10:11], -1
.LBB89_1316:
	s_branch .LBB89_1349
.LBB89_1317:
	s_cmp_gt_i32 s18, 22
	s_cbranch_scc0 .LBB89_1327
; %bb.1318:
	s_cmp_lt_i32 s18, 24
	s_cbranch_scc1 .LBB89_1330
; %bb.1319:
	s_cmp_gt_i32 s18, 24
	s_cbranch_scc0 .LBB89_1331
; %bb.1320:
	global_load_ubyte v1, v[12:13], off
	s_movk_i32 s8, 0x7f
	s_waitcnt vmcnt(0)
	v_cmp_lt_i16_e32 vcc, s8, v1
	s_mov_b64 s[8:9], 0
	s_and_saveexec_b64 s[10:11], vcc
	s_xor_b64 s[10:11], exec, s[10:11]
	s_cbranch_execz .LBB89_1343
; %bb.1321:
	s_movk_i32 s8, 0x80
	v_cmp_eq_u16_e32 vcc, s8, v1
	s_mov_b64 s[8:9], -1
	s_and_saveexec_b64 s[12:13], vcc
; %bb.1322:
	s_xor_b64 s[8:9], exec, -1
; %bb.1323:
	s_or_b64 exec, exec, s[12:13]
	s_and_b64 s[8:9], s[8:9], exec
	s_or_saveexec_b64 s[10:11], s[10:11]
	v_mov_b32_e32 v5, 0x7f800001
	s_xor_b64 exec, exec, s[10:11]
	s_cbranch_execnz .LBB89_1344
.LBB89_1324:
	s_or_b64 exec, exec, s[10:11]
	s_and_saveexec_b64 s[10:11], s[8:9]
	s_cbranch_execz .LBB89_1326
.LBB89_1325:
	v_lshlrev_b32_e32 v3, 24, v1
	v_and_b32_e32 v1, 0xffff, v1
	v_and_b32_e32 v5, 3, v1
	v_ffbh_u32_e32 v11, v5
	v_min_u32_e32 v11, 32, v11
	v_subrev_u32_e32 v14, 29, v11
	v_bfe_u32 v9, v1, 2, 5
	v_lshlrev_b32_e32 v1, v14, v1
	v_sub_u32_e32 v11, 30, v11
	v_and_b32_e32 v1, 3, v1
	v_cmp_eq_u32_e32 vcc, 0, v9
	v_and_b32_e32 v3, 0x80000000, v3
	s_nop 0
	v_cndmask_b32_e32 v9, v9, v11, vcc
	v_cndmask_b32_e32 v1, v5, v1, vcc
	v_mov_b32_e32 v5, 0x37800000
	v_lshlrev_b32_e32 v1, 21, v1
	v_lshl_add_u32 v5, v9, 23, v5
	v_or3_b32 v5, v3, v5, v1
.LBB89_1326:
	s_or_b64 exec, exec, s[10:11]
	s_mov_b64 s[8:9], 0
	s_branch .LBB89_1332
.LBB89_1327:
	s_mov_b64 s[8:9], -1
                                        ; implicit-def: $vgpr5
	s_branch .LBB89_1338
.LBB89_1328:
	s_or_saveexec_b64 s[12:13], s[12:13]
	v_mov_b32_e32 v5, 0x7f800001
	s_xor_b64 exec, exec, s[12:13]
	s_cbranch_execz .LBB89_1312
.LBB89_1329:
	v_cmp_ne_u16_e32 vcc, 0, v1
	s_andn2_b64 s[10:11], s[10:11], exec
	s_and_b64 s[14:15], vcc, exec
	v_mov_b32_e32 v5, 0
	s_or_b64 s[10:11], s[10:11], s[14:15]
	s_or_b64 exec, exec, s[12:13]
	s_and_saveexec_b64 s[12:13], s[10:11]
	s_cbranch_execnz .LBB89_1313
	s_branch .LBB89_1314
.LBB89_1330:
	s_mov_b64 s[8:9], -1
                                        ; implicit-def: $vgpr5
	s_branch .LBB89_1335
.LBB89_1331:
	s_mov_b64 s[8:9], -1
                                        ; implicit-def: $vgpr5
.LBB89_1332:
	s_and_b64 vcc, exec, s[8:9]
	s_cbranch_vccz .LBB89_1334
; %bb.1333:
	global_load_ubyte v1, v[12:13], off
	s_mov_b32 s8, 0x7f800000
	s_waitcnt vmcnt(0)
	v_lshlrev_b32_e32 v1, 24, v1
	v_and_b32_e32 v3, 0x7f000000, v1
	v_ffbh_u32_e32 v5, v3
	v_min_u32_e32 v5, 32, v5
	v_sub_u32_e64 v5, v5, 4 clamp
	v_lshlrev_b32_e32 v11, v5, v3
	v_lshlrev_b32_e32 v5, 23, v5
	v_lshrrev_b32_e32 v11, 4, v11
	v_add_u32_e32 v9, 0x1000000, v3
	v_sub_u32_e32 v5, v11, v5
	v_ashrrev_i32_e32 v9, 8, v9
	v_add_u32_e32 v5, 0x3c000000, v5
	v_and_or_b32 v5, v9, s8, v5
	v_cmp_ne_u32_e32 vcc, 0, v3
	s_brev_b32 s8, 1
	s_nop 0
	v_cndmask_b32_e32 v3, 0, v5, vcc
	v_and_or_b32 v5, v1, s8, v3
.LBB89_1334:
	s_mov_b64 s[8:9], 0
.LBB89_1335:
	s_andn2_b64 vcc, exec, s[8:9]
	s_cbranch_vccnz .LBB89_1337
; %bb.1336:
	global_load_ubyte v1, v[12:13], off
	s_movk_i32 s8, 0x7f00
	s_brev_b32 s9, 16
	s_waitcnt vmcnt(0)
	v_lshlrev_b16_e32 v3, 8, v1
	v_lshlrev_b32_e32 v1, 25, v1
	v_lshrrev_b32_e32 v5, 4, v1
	v_and_or_b32 v9, v3, s8, 0.5
	v_or_b32_e32 v5, 0x70000000, v5
	v_add_f32_e32 v9, -0.5, v9
	v_mul_f32_e32 v5, 0x7800000, v5
	v_cmp_gt_u32_e32 vcc, s9, v1
	v_bfe_i32 v3, v3, 0, 16
	s_brev_b32 s8, 1
	v_cndmask_b32_e32 v1, v5, v9, vcc
	v_and_or_b32 v5, v3, s8, v1
.LBB89_1337:
	s_mov_b64 s[8:9], 0
	s_mov_b64 s[10:11], -1
.LBB89_1338:
	s_andn2_b64 vcc, exec, s[8:9]
	s_mov_b64 s[8:9], 0
	s_cbranch_vccnz .LBB89_1349
; %bb.1339:
	s_cmp_gt_i32 s18, 14
	s_cbranch_scc0 .LBB89_1342
; %bb.1340:
	s_cmp_eq_u32 s18, 15
	s_cbranch_scc0 .LBB89_1345
; %bb.1341:
	global_load_ushort v1, v[12:13], off
	s_mov_b64 s[0:1], 0
	s_mov_b64 s[10:11], -1
	s_waitcnt vmcnt(0)
	v_lshlrev_b32_e32 v5, 16, v1
	s_branch .LBB89_1346
.LBB89_1342:
	s_mov_b64 s[12:13], -1
                                        ; implicit-def: $vgpr5
	s_branch .LBB89_1347
.LBB89_1343:
	s_or_saveexec_b64 s[10:11], s[10:11]
	v_mov_b32_e32 v5, 0x7f800001
	s_xor_b64 exec, exec, s[10:11]
	s_cbranch_execz .LBB89_1324
.LBB89_1344:
	v_cmp_ne_u16_e32 vcc, 0, v1
	s_andn2_b64 s[8:9], s[8:9], exec
	s_and_b64 s[12:13], vcc, exec
	v_mov_b32_e32 v5, 0
	s_or_b64 s[8:9], s[8:9], s[12:13]
	s_or_b64 exec, exec, s[10:11]
	s_and_saveexec_b64 s[10:11], s[8:9]
	s_cbranch_execnz .LBB89_1325
	s_branch .LBB89_1326
.LBB89_1345:
	s_mov_b64 s[0:1], -1
                                        ; implicit-def: $vgpr5
.LBB89_1346:
	s_mov_b64 s[12:13], 0
.LBB89_1347:
	s_and_b64 vcc, exec, s[12:13]
	s_cbranch_vccz .LBB89_1349
; %bb.1348:
	s_cmp_lg_u32 s18, 11
	s_mov_b64 s[8:9], -1
	s_cselect_b64 s[0:1], -1, 0
.LBB89_1349:
	s_and_b64 vcc, exec, s[0:1]
	s_cbranch_vccnz .LBB89_1412
; %bb.1350:
	s_andn2_b64 vcc, exec, s[8:9]
	s_cbranch_vccnz .LBB89_1352
.LBB89_1351:
	global_load_ubyte v1, v[12:13], off
	s_mov_b64 s[10:11], -1
	s_waitcnt vmcnt(0)
	v_cmp_ne_u16_e32 vcc, 0, v1
	s_nop 1
	v_cndmask_b32_e64 v5, 0, 1.0, vcc
.LBB89_1352:
	s_branch .LBB89_1279
.LBB89_1353:
	s_and_b32 s8, 0xffff, s17
	s_cmp_lt_i32 s8, 5
	s_cbranch_scc1 .LBB89_1358
; %bb.1354:
	s_cmp_lt_i32 s8, 8
	s_cbranch_scc1 .LBB89_1359
; %bb.1355:
	;; [unrolled: 3-line block ×3, first 2 shown]
	s_cmp_gt_i32 s8, 9
	s_cbranch_scc0 .LBB89_1361
; %bb.1357:
	global_load_dwordx2 v[14:15], v[12:13], off
	s_mov_b64 s[0:1], 0
	s_waitcnt vmcnt(0)
	v_cvt_f32_f64_e32 v5, v[14:15]
	s_branch .LBB89_1362
.LBB89_1358:
                                        ; implicit-def: $vgpr5
	s_branch .LBB89_1380
.LBB89_1359:
	s_mov_b64 s[0:1], -1
                                        ; implicit-def: $vgpr5
	s_branch .LBB89_1368
.LBB89_1360:
	s_mov_b64 s[0:1], -1
                                        ; implicit-def: $vgpr5
	s_branch .LBB89_1365
.LBB89_1361:
	s_mov_b64 s[0:1], -1
                                        ; implicit-def: $vgpr5
.LBB89_1362:
	s_andn2_b64 vcc, exec, s[0:1]
	s_cbranch_vccnz .LBB89_1364
; %bb.1363:
	global_load_dword v5, v[12:13], off
.LBB89_1364:
	s_mov_b64 s[0:1], 0
.LBB89_1365:
	s_andn2_b64 vcc, exec, s[0:1]
	s_cbranch_vccnz .LBB89_1367
; %bb.1366:
	global_load_dword v1, v[12:13], off
	s_waitcnt vmcnt(0)
	v_cvt_f32_f16_e32 v5, v1
.LBB89_1367:
	s_mov_b64 s[0:1], 0
.LBB89_1368:
	s_andn2_b64 vcc, exec, s[0:1]
	s_cbranch_vccnz .LBB89_1379
; %bb.1369:
	s_cmp_lt_i32 s8, 6
	s_cbranch_scc1 .LBB89_1372
; %bb.1370:
	s_cmp_gt_i32 s8, 6
	s_cbranch_scc0 .LBB89_1373
; %bb.1371:
	global_load_dwordx2 v[14:15], v[12:13], off
	s_mov_b64 s[0:1], 0
	s_waitcnt vmcnt(0)
	v_cvt_f32_f64_e32 v5, v[14:15]
	s_branch .LBB89_1374
.LBB89_1372:
	s_mov_b64 s[0:1], -1
                                        ; implicit-def: $vgpr5
	s_branch .LBB89_1377
.LBB89_1373:
	s_mov_b64 s[0:1], -1
                                        ; implicit-def: $vgpr5
.LBB89_1374:
	s_andn2_b64 vcc, exec, s[0:1]
	s_cbranch_vccnz .LBB89_1376
; %bb.1375:
	global_load_dword v5, v[12:13], off
.LBB89_1376:
	s_mov_b64 s[0:1], 0
.LBB89_1377:
	s_andn2_b64 vcc, exec, s[0:1]
	s_cbranch_vccnz .LBB89_1379
; %bb.1378:
	global_load_ushort v1, v[12:13], off
	s_waitcnt vmcnt(0)
	v_cvt_f32_f16_e32 v5, v1
.LBB89_1379:
	s_cbranch_execnz .LBB89_1399
.LBB89_1380:
	s_cmp_lt_i32 s8, 2
	s_cbranch_scc1 .LBB89_1384
; %bb.1381:
	s_cmp_lt_i32 s8, 3
	s_cbranch_scc1 .LBB89_1385
; %bb.1382:
	s_cmp_gt_i32 s8, 3
	s_cbranch_scc0 .LBB89_1386
; %bb.1383:
	global_load_dwordx2 v[14:15], v[12:13], off
	s_mov_b64 s[0:1], 0
	s_waitcnt vmcnt(0)
	v_xor_b32_e32 v3, v14, v15
	v_ffbh_i32_e32 v1, v15
	v_ashrrev_i32_e32 v3, 31, v3
	v_add_u32_e32 v1, -1, v1
	v_add_u32_e32 v3, 32, v3
	v_min_u32_e32 v1, v1, v3
	v_lshlrev_b64 v[14:15], v1, v[14:15]
	v_min_u32_e32 v3, 1, v14
	v_or_b32_e32 v3, v15, v3
	v_cvt_f32_i32_e32 v3, v3
	v_sub_u32_e32 v1, 32, v1
	v_ldexp_f32 v5, v3, v1
	s_branch .LBB89_1387
.LBB89_1384:
	s_mov_b64 s[0:1], -1
                                        ; implicit-def: $vgpr5
	s_branch .LBB89_1393
.LBB89_1385:
	s_mov_b64 s[0:1], -1
                                        ; implicit-def: $vgpr5
	s_branch .LBB89_1390
.LBB89_1386:
	s_mov_b64 s[0:1], -1
                                        ; implicit-def: $vgpr5
.LBB89_1387:
	s_andn2_b64 vcc, exec, s[0:1]
	s_cbranch_vccnz .LBB89_1389
; %bb.1388:
	global_load_dword v1, v[12:13], off
	s_waitcnt vmcnt(0)
	v_cvt_f32_i32_e32 v5, v1
.LBB89_1389:
	s_mov_b64 s[0:1], 0
.LBB89_1390:
	s_andn2_b64 vcc, exec, s[0:1]
	s_cbranch_vccnz .LBB89_1392
; %bb.1391:
	global_load_sshort v1, v[12:13], off
	s_waitcnt vmcnt(0)
	v_cvt_f32_i32_e32 v5, v1
.LBB89_1392:
	s_mov_b64 s[0:1], 0
.LBB89_1393:
	s_andn2_b64 vcc, exec, s[0:1]
	s_cbranch_vccnz .LBB89_1399
; %bb.1394:
	s_cmp_gt_i32 s8, 0
	s_cbranch_scc0 .LBB89_1396
; %bb.1395:
	global_load_sbyte v1, v[12:13], off
	s_mov_b64 s[0:1], 0
	s_waitcnt vmcnt(0)
	v_cvt_f32_i32_e32 v5, v1
	s_branch .LBB89_1397
.LBB89_1396:
	s_mov_b64 s[0:1], -1
                                        ; implicit-def: $vgpr5
.LBB89_1397:
	s_andn2_b64 vcc, exec, s[0:1]
	s_cbranch_vccnz .LBB89_1399
; %bb.1398:
	global_load_ubyte v1, v[12:13], off
	s_waitcnt vmcnt(0)
	v_cvt_f32_ubyte0_e32 v5, v1
.LBB89_1399:
.LBB89_1400:
	v_mov_b32_e32 v11, 0
	s_cmp_lt_i32 s17, 11
	v_lshl_add_u64 v[10:11], s[6:7], 0, v[10:11]
	s_cbranch_scc1 .LBB89_1407
; %bb.1401:
	s_and_b32 s18, 0xffff, s17
	s_cmp_gt_i32 s18, 25
	s_mov_b64 s[8:9], 0
	s_cbranch_scc0 .LBB89_1409
; %bb.1402:
	s_cmp_gt_i32 s18, 28
	s_cbranch_scc0 .LBB89_1410
; %bb.1403:
	s_cmp_gt_i32 s18, 43
	;; [unrolled: 3-line block ×3, first 2 shown]
	s_cbranch_scc0 .LBB89_1413
; %bb.1405:
	s_cmp_eq_u32 s18, 46
	s_mov_b64 s[12:13], 0
	s_cbranch_scc0 .LBB89_1414
; %bb.1406:
	global_load_dword v1, v[10:11], off
	s_mov_b64 s[0:1], 0
	s_mov_b64 s[10:11], -1
	s_waitcnt vmcnt(0)
	v_lshlrev_b32_e32 v3, 16, v1
	s_branch .LBB89_1415
.LBB89_1407:
	s_mov_b64 s[10:11], 0
                                        ; implicit-def: $vgpr3
	s_cbranch_execnz .LBB89_1481
.LBB89_1408:
	s_andn2_b64 vcc, exec, s[10:11]
	s_cbranch_vccnz .LBB89_2092
	s_branch .LBB89_1529
.LBB89_1409:
	s_mov_b64 s[12:13], -1
	s_mov_b64 s[10:11], 0
	s_mov_b64 s[0:1], 0
                                        ; implicit-def: $vgpr3
	s_branch .LBB89_1444
.LBB89_1410:
	s_mov_b64 s[12:13], -1
	s_mov_b64 s[10:11], 0
	s_mov_b64 s[0:1], 0
                                        ; implicit-def: $vgpr3
	s_branch .LBB89_1425
.LBB89_1411:
	s_mov_b64 s[12:13], -1
	s_mov_b64 s[10:11], 0
	s_mov_b64 s[0:1], 0
                                        ; implicit-def: $vgpr3
	s_branch .LBB89_1420
.LBB89_1412:
	s_trap 2
	s_or_b64 s[2:3], s[2:3], exec
	s_cbranch_execz .LBB89_1351
	s_branch .LBB89_1352
.LBB89_1413:
	s_mov_b64 s[12:13], -1
	s_mov_b64 s[10:11], 0
	s_mov_b64 s[0:1], 0
                                        ; implicit-def: $vgpr3
	s_branch .LBB89_1415
.LBB89_1414:
	s_mov_b64 s[0:1], -1
                                        ; implicit-def: $vgpr3
	s_mov_b64 s[10:11], 0
.LBB89_1415:
	s_and_b64 vcc, exec, s[12:13]
	s_cbranch_vccz .LBB89_1419
; %bb.1416:
	s_cmp_eq_u32 s18, 44
	s_cbranch_scc0 .LBB89_1418
; %bb.1417:
	global_load_ubyte v1, v[10:11], off
	s_movk_i32 s10, 0xff
	v_mov_b32_e32 v3, 0x7f800001
	v_mov_b32_e32 v9, 0x400000
	s_mov_b64 s[0:1], 0
	s_waitcnt vmcnt(0)
	v_lshlrev_b32_e32 v12, 23, v1
	v_cmp_ne_u32_e32 vcc, s10, v1
	s_mov_b64 s[10:11], -1
	s_nop 0
	v_cndmask_b32_e32 v3, v3, v12, vcc
	v_cmp_ne_u32_e32 vcc, 0, v1
	s_nop 1
	v_cndmask_b32_e32 v3, v9, v3, vcc
	s_branch .LBB89_1419
.LBB89_1418:
	s_mov_b64 s[0:1], -1
                                        ; implicit-def: $vgpr3
.LBB89_1419:
	s_mov_b64 s[12:13], 0
.LBB89_1420:
	s_and_b64 vcc, exec, s[12:13]
	s_cbranch_vccz .LBB89_1424
; %bb.1421:
	s_cmp_eq_u32 s18, 29
	s_cbranch_scc0 .LBB89_1423
; %bb.1422:
	global_load_dwordx2 v[12:13], v[10:11], off
	s_mov_b64 s[0:1], 0
	s_mov_b64 s[10:11], -1
	s_mov_b64 s[12:13], 0
	s_waitcnt vmcnt(0)
	v_ffbh_u32_e32 v1, v13
	v_min_u32_e32 v1, 32, v1
	v_lshlrev_b64 v[12:13], v1, v[12:13]
	v_min_u32_e32 v3, 1, v12
	v_or_b32_e32 v3, v13, v3
	v_cvt_f32_u32_e32 v3, v3
	v_sub_u32_e32 v1, 32, v1
	v_ldexp_f32 v3, v3, v1
	s_branch .LBB89_1425
.LBB89_1423:
	s_mov_b64 s[0:1], -1
                                        ; implicit-def: $vgpr3
.LBB89_1424:
	s_mov_b64 s[12:13], 0
.LBB89_1425:
	s_and_b64 vcc, exec, s[12:13]
	s_cbranch_vccz .LBB89_1443
; %bb.1426:
	s_cmp_lt_i32 s18, 27
	s_cbranch_scc1 .LBB89_1429
; %bb.1427:
	s_cmp_gt_i32 s18, 27
	s_cbranch_scc0 .LBB89_1430
; %bb.1428:
	global_load_dword v1, v[10:11], off
	s_mov_b64 s[10:11], 0
	s_waitcnt vmcnt(0)
	v_cvt_f32_u32_e32 v3, v1
	s_branch .LBB89_1431
.LBB89_1429:
	s_mov_b64 s[10:11], -1
                                        ; implicit-def: $vgpr3
	s_branch .LBB89_1434
.LBB89_1430:
	s_mov_b64 s[10:11], -1
                                        ; implicit-def: $vgpr3
.LBB89_1431:
	s_andn2_b64 vcc, exec, s[10:11]
	s_cbranch_vccnz .LBB89_1433
; %bb.1432:
	global_load_ushort v1, v[10:11], off
	s_waitcnt vmcnt(0)
	v_cvt_f32_u32_e32 v3, v1
.LBB89_1433:
	s_mov_b64 s[10:11], 0
.LBB89_1434:
	s_andn2_b64 vcc, exec, s[10:11]
	s_cbranch_vccnz .LBB89_1442
; %bb.1435:
	global_load_ubyte v1, v[10:11], off
	s_movk_i32 s10, 0x7f
	s_waitcnt vmcnt(0)
	v_cmp_lt_i16_e32 vcc, s10, v1
	s_mov_b64 s[10:11], 0
	s_and_saveexec_b64 s[12:13], vcc
	s_xor_b64 s[12:13], exec, s[12:13]
	s_cbranch_execz .LBB89_1456
; %bb.1436:
	s_movk_i32 s10, 0x80
	v_cmp_eq_u16_e32 vcc, s10, v1
	s_mov_b64 s[10:11], -1
	s_and_saveexec_b64 s[14:15], vcc
; %bb.1437:
	s_xor_b64 s[10:11], exec, -1
; %bb.1438:
	s_or_b64 exec, exec, s[14:15]
	s_and_b64 s[10:11], s[10:11], exec
	s_or_saveexec_b64 s[12:13], s[12:13]
	v_mov_b32_e32 v3, 0x7f800001
	s_xor_b64 exec, exec, s[12:13]
	s_cbranch_execnz .LBB89_1457
.LBB89_1439:
	s_or_b64 exec, exec, s[12:13]
	s_and_saveexec_b64 s[12:13], s[10:11]
	s_cbranch_execz .LBB89_1441
.LBB89_1440:
	v_lshlrev_b32_e32 v3, 24, v1
	v_and_b32_e32 v1, 0xffff, v1
	v_and_b32_e32 v9, 7, v1
	v_ffbh_u32_e32 v13, v9
	v_min_u32_e32 v13, 32, v13
	v_subrev_u32_e32 v14, 28, v13
	v_bfe_u32 v12, v1, 3, 4
	v_lshlrev_b32_e32 v1, v14, v1
	v_sub_u32_e32 v13, 29, v13
	v_and_b32_e32 v1, 7, v1
	v_cmp_eq_u32_e32 vcc, 0, v12
	v_and_b32_e32 v3, 0x80000000, v3
	s_nop 0
	v_cndmask_b32_e32 v12, v12, v13, vcc
	v_cndmask_b32_e32 v1, v9, v1, vcc
	v_mov_b32_e32 v9, 0x3b800000
	v_lshlrev_b32_e32 v1, 20, v1
	v_lshl_add_u32 v9, v12, 23, v9
	v_or3_b32 v3, v3, v9, v1
.LBB89_1441:
	s_or_b64 exec, exec, s[12:13]
.LBB89_1442:
	s_mov_b64 s[10:11], -1
.LBB89_1443:
	s_mov_b64 s[12:13], 0
.LBB89_1444:
	s_and_b64 vcc, exec, s[12:13]
	s_cbranch_vccz .LBB89_1477
; %bb.1445:
	s_cmp_gt_i32 s18, 22
	s_cbranch_scc0 .LBB89_1455
; %bb.1446:
	s_cmp_lt_i32 s18, 24
	s_cbranch_scc1 .LBB89_1458
; %bb.1447:
	s_cmp_gt_i32 s18, 24
	s_cbranch_scc0 .LBB89_1459
; %bb.1448:
	global_load_ubyte v1, v[10:11], off
	s_movk_i32 s8, 0x7f
	s_waitcnt vmcnt(0)
	v_cmp_lt_i16_e32 vcc, s8, v1
	s_mov_b64 s[8:9], 0
	s_and_saveexec_b64 s[10:11], vcc
	s_xor_b64 s[10:11], exec, s[10:11]
	s_cbranch_execz .LBB89_1471
; %bb.1449:
	s_movk_i32 s8, 0x80
	v_cmp_eq_u16_e32 vcc, s8, v1
	s_mov_b64 s[8:9], -1
	s_and_saveexec_b64 s[12:13], vcc
; %bb.1450:
	s_xor_b64 s[8:9], exec, -1
; %bb.1451:
	s_or_b64 exec, exec, s[12:13]
	s_and_b64 s[8:9], s[8:9], exec
	s_or_saveexec_b64 s[10:11], s[10:11]
	v_mov_b32_e32 v3, 0x7f800001
	s_xor_b64 exec, exec, s[10:11]
	s_cbranch_execnz .LBB89_1472
.LBB89_1452:
	s_or_b64 exec, exec, s[10:11]
	s_and_saveexec_b64 s[10:11], s[8:9]
	s_cbranch_execz .LBB89_1454
.LBB89_1453:
	v_lshlrev_b32_e32 v3, 24, v1
	v_and_b32_e32 v1, 0xffff, v1
	v_and_b32_e32 v9, 3, v1
	v_ffbh_u32_e32 v13, v9
	v_min_u32_e32 v13, 32, v13
	v_subrev_u32_e32 v14, 29, v13
	v_bfe_u32 v12, v1, 2, 5
	v_lshlrev_b32_e32 v1, v14, v1
	v_sub_u32_e32 v13, 30, v13
	v_and_b32_e32 v1, 3, v1
	v_cmp_eq_u32_e32 vcc, 0, v12
	v_and_b32_e32 v3, 0x80000000, v3
	s_nop 0
	v_cndmask_b32_e32 v12, v12, v13, vcc
	v_cndmask_b32_e32 v1, v9, v1, vcc
	v_mov_b32_e32 v9, 0x37800000
	v_lshlrev_b32_e32 v1, 21, v1
	v_lshl_add_u32 v9, v12, 23, v9
	v_or3_b32 v3, v3, v9, v1
.LBB89_1454:
	s_or_b64 exec, exec, s[10:11]
	s_mov_b64 s[8:9], 0
	s_branch .LBB89_1460
.LBB89_1455:
	s_mov_b64 s[8:9], -1
                                        ; implicit-def: $vgpr3
	s_branch .LBB89_1466
.LBB89_1456:
	s_or_saveexec_b64 s[12:13], s[12:13]
	v_mov_b32_e32 v3, 0x7f800001
	s_xor_b64 exec, exec, s[12:13]
	s_cbranch_execz .LBB89_1439
.LBB89_1457:
	v_cmp_ne_u16_e32 vcc, 0, v1
	s_andn2_b64 s[10:11], s[10:11], exec
	s_and_b64 s[14:15], vcc, exec
	v_mov_b32_e32 v3, 0
	s_or_b64 s[10:11], s[10:11], s[14:15]
	s_or_b64 exec, exec, s[12:13]
	s_and_saveexec_b64 s[12:13], s[10:11]
	s_cbranch_execnz .LBB89_1440
	s_branch .LBB89_1441
.LBB89_1458:
	s_mov_b64 s[8:9], -1
                                        ; implicit-def: $vgpr3
	s_branch .LBB89_1463
.LBB89_1459:
	s_mov_b64 s[8:9], -1
                                        ; implicit-def: $vgpr3
.LBB89_1460:
	s_and_b64 vcc, exec, s[8:9]
	s_cbranch_vccz .LBB89_1462
; %bb.1461:
	global_load_ubyte v1, v[10:11], off
	s_mov_b32 s8, 0x7f800000
	s_waitcnt vmcnt(0)
	v_lshlrev_b32_e32 v1, 24, v1
	v_and_b32_e32 v3, 0x7f000000, v1
	v_ffbh_u32_e32 v9, v3
	v_min_u32_e32 v9, 32, v9
	v_sub_u32_e64 v9, v9, 4 clamp
	v_lshlrev_b32_e32 v13, v9, v3
	v_lshlrev_b32_e32 v9, 23, v9
	v_lshrrev_b32_e32 v13, 4, v13
	v_add_u32_e32 v12, 0x1000000, v3
	v_sub_u32_e32 v9, v13, v9
	v_ashrrev_i32_e32 v12, 8, v12
	v_add_u32_e32 v9, 0x3c000000, v9
	v_and_or_b32 v9, v12, s8, v9
	v_cmp_ne_u32_e32 vcc, 0, v3
	s_brev_b32 s8, 1
	s_nop 0
	v_cndmask_b32_e32 v3, 0, v9, vcc
	v_and_or_b32 v3, v1, s8, v3
.LBB89_1462:
	s_mov_b64 s[8:9], 0
.LBB89_1463:
	s_andn2_b64 vcc, exec, s[8:9]
	s_cbranch_vccnz .LBB89_1465
; %bb.1464:
	global_load_ubyte v1, v[10:11], off
	s_movk_i32 s8, 0x7f00
	s_brev_b32 s9, 16
	s_waitcnt vmcnt(0)
	v_lshlrev_b16_e32 v3, 8, v1
	v_lshlrev_b32_e32 v1, 25, v1
	v_lshrrev_b32_e32 v9, 4, v1
	v_and_or_b32 v12, v3, s8, 0.5
	v_or_b32_e32 v9, 0x70000000, v9
	v_add_f32_e32 v12, -0.5, v12
	v_mul_f32_e32 v9, 0x7800000, v9
	v_cmp_gt_u32_e32 vcc, s9, v1
	v_bfe_i32 v3, v3, 0, 16
	s_brev_b32 s8, 1
	v_cndmask_b32_e32 v1, v9, v12, vcc
	v_and_or_b32 v3, v3, s8, v1
.LBB89_1465:
	s_mov_b64 s[8:9], 0
	s_mov_b64 s[10:11], -1
.LBB89_1466:
	s_andn2_b64 vcc, exec, s[8:9]
	s_mov_b64 s[8:9], 0
	s_cbranch_vccnz .LBB89_1477
; %bb.1467:
	s_cmp_gt_i32 s18, 14
	s_cbranch_scc0 .LBB89_1470
; %bb.1468:
	s_cmp_eq_u32 s18, 15
	s_cbranch_scc0 .LBB89_1473
; %bb.1469:
	global_load_ushort v1, v[10:11], off
	s_mov_b64 s[0:1], 0
	s_mov_b64 s[10:11], -1
	s_waitcnt vmcnt(0)
	v_lshlrev_b32_e32 v3, 16, v1
	s_branch .LBB89_1474
.LBB89_1470:
	s_mov_b64 s[12:13], -1
                                        ; implicit-def: $vgpr3
	s_branch .LBB89_1475
.LBB89_1471:
	s_or_saveexec_b64 s[10:11], s[10:11]
	v_mov_b32_e32 v3, 0x7f800001
	s_xor_b64 exec, exec, s[10:11]
	s_cbranch_execz .LBB89_1452
.LBB89_1472:
	v_cmp_ne_u16_e32 vcc, 0, v1
	s_andn2_b64 s[8:9], s[8:9], exec
	s_and_b64 s[12:13], vcc, exec
	v_mov_b32_e32 v3, 0
	s_or_b64 s[8:9], s[8:9], s[12:13]
	s_or_b64 exec, exec, s[10:11]
	s_and_saveexec_b64 s[10:11], s[8:9]
	s_cbranch_execnz .LBB89_1453
	s_branch .LBB89_1454
.LBB89_1473:
	s_mov_b64 s[0:1], -1
                                        ; implicit-def: $vgpr3
.LBB89_1474:
	s_mov_b64 s[12:13], 0
.LBB89_1475:
	s_and_b64 vcc, exec, s[12:13]
	s_cbranch_vccz .LBB89_1477
; %bb.1476:
	s_cmp_lg_u32 s18, 11
	s_mov_b64 s[8:9], -1
	s_cselect_b64 s[0:1], -1, 0
.LBB89_1477:
	s_and_b64 vcc, exec, s[0:1]
	s_cbranch_vccnz .LBB89_1540
; %bb.1478:
	s_andn2_b64 vcc, exec, s[8:9]
	s_cbranch_vccnz .LBB89_1480
.LBB89_1479:
	global_load_ubyte v1, v[10:11], off
	s_mov_b64 s[10:11], -1
	s_waitcnt vmcnt(0)
	v_cmp_ne_u16_e32 vcc, 0, v1
	s_nop 1
	v_cndmask_b32_e64 v3, 0, 1.0, vcc
.LBB89_1480:
	s_branch .LBB89_1408
.LBB89_1481:
	s_and_b32 s8, 0xffff, s17
	s_cmp_lt_i32 s8, 5
	s_cbranch_scc1 .LBB89_1486
; %bb.1482:
	s_cmp_lt_i32 s8, 8
	s_cbranch_scc1 .LBB89_1487
; %bb.1483:
	;; [unrolled: 3-line block ×3, first 2 shown]
	s_cmp_gt_i32 s8, 9
	s_cbranch_scc0 .LBB89_1489
; %bb.1485:
	global_load_dwordx2 v[12:13], v[10:11], off
	s_mov_b64 s[0:1], 0
	s_waitcnt vmcnt(0)
	v_cvt_f32_f64_e32 v3, v[12:13]
	s_branch .LBB89_1490
.LBB89_1486:
	s_mov_b64 s[0:1], -1
                                        ; implicit-def: $vgpr3
	s_branch .LBB89_1508
.LBB89_1487:
	s_mov_b64 s[0:1], -1
                                        ; implicit-def: $vgpr3
	s_branch .LBB89_1496
.LBB89_1488:
	s_mov_b64 s[0:1], -1
                                        ; implicit-def: $vgpr3
	s_branch .LBB89_1493
.LBB89_1489:
	s_mov_b64 s[0:1], -1
                                        ; implicit-def: $vgpr3
.LBB89_1490:
	s_andn2_b64 vcc, exec, s[0:1]
	s_cbranch_vccnz .LBB89_1492
; %bb.1491:
	global_load_dword v3, v[10:11], off
.LBB89_1492:
	s_mov_b64 s[0:1], 0
.LBB89_1493:
	s_andn2_b64 vcc, exec, s[0:1]
	s_cbranch_vccnz .LBB89_1495
; %bb.1494:
	global_load_dword v1, v[10:11], off
	s_waitcnt vmcnt(0)
	v_cvt_f32_f16_e32 v3, v1
.LBB89_1495:
	s_mov_b64 s[0:1], 0
.LBB89_1496:
	s_andn2_b64 vcc, exec, s[0:1]
	s_cbranch_vccnz .LBB89_1507
; %bb.1497:
	s_cmp_lt_i32 s8, 6
	s_cbranch_scc1 .LBB89_1500
; %bb.1498:
	s_cmp_gt_i32 s8, 6
	s_cbranch_scc0 .LBB89_1501
; %bb.1499:
	global_load_dwordx2 v[12:13], v[10:11], off
	s_mov_b64 s[0:1], 0
	s_waitcnt vmcnt(0)
	v_cvt_f32_f64_e32 v3, v[12:13]
	s_branch .LBB89_1502
.LBB89_1500:
	s_mov_b64 s[0:1], -1
                                        ; implicit-def: $vgpr3
	s_branch .LBB89_1505
.LBB89_1501:
	s_mov_b64 s[0:1], -1
                                        ; implicit-def: $vgpr3
.LBB89_1502:
	s_andn2_b64 vcc, exec, s[0:1]
	s_cbranch_vccnz .LBB89_1504
; %bb.1503:
	global_load_dword v3, v[10:11], off
.LBB89_1504:
	s_mov_b64 s[0:1], 0
.LBB89_1505:
	s_andn2_b64 vcc, exec, s[0:1]
	s_cbranch_vccnz .LBB89_1507
; %bb.1506:
	global_load_ushort v1, v[10:11], off
	s_waitcnt vmcnt(0)
	v_cvt_f32_f16_e32 v3, v1
.LBB89_1507:
	s_mov_b64 s[0:1], 0
.LBB89_1508:
	s_andn2_b64 vcc, exec, s[0:1]
	s_cbranch_vccnz .LBB89_1528
; %bb.1509:
	s_cmp_lt_i32 s8, 2
	s_cbranch_scc1 .LBB89_1513
; %bb.1510:
	s_cmp_lt_i32 s8, 3
	s_cbranch_scc1 .LBB89_1514
; %bb.1511:
	s_cmp_gt_i32 s8, 3
	s_cbranch_scc0 .LBB89_1515
; %bb.1512:
	global_load_dwordx2 v[12:13], v[10:11], off
	s_mov_b64 s[0:1], 0
	s_waitcnt vmcnt(0)
	v_xor_b32_e32 v3, v12, v13
	v_ffbh_i32_e32 v1, v13
	v_ashrrev_i32_e32 v3, 31, v3
	v_add_u32_e32 v1, -1, v1
	v_add_u32_e32 v3, 32, v3
	v_min_u32_e32 v1, v1, v3
	v_lshlrev_b64 v[12:13], v1, v[12:13]
	v_min_u32_e32 v3, 1, v12
	v_or_b32_e32 v3, v13, v3
	v_cvt_f32_i32_e32 v3, v3
	v_sub_u32_e32 v1, 32, v1
	v_ldexp_f32 v3, v3, v1
	s_branch .LBB89_1516
.LBB89_1513:
	s_mov_b64 s[0:1], -1
                                        ; implicit-def: $vgpr3
	s_branch .LBB89_1522
.LBB89_1514:
	s_mov_b64 s[0:1], -1
                                        ; implicit-def: $vgpr3
	s_branch .LBB89_1519
.LBB89_1515:
	s_mov_b64 s[0:1], -1
                                        ; implicit-def: $vgpr3
.LBB89_1516:
	s_andn2_b64 vcc, exec, s[0:1]
	s_cbranch_vccnz .LBB89_1518
; %bb.1517:
	global_load_dword v1, v[10:11], off
	s_waitcnt vmcnt(0)
	v_cvt_f32_i32_e32 v3, v1
.LBB89_1518:
	s_mov_b64 s[0:1], 0
.LBB89_1519:
	s_andn2_b64 vcc, exec, s[0:1]
	s_cbranch_vccnz .LBB89_1521
; %bb.1520:
	global_load_sshort v1, v[10:11], off
	s_waitcnt vmcnt(0)
	v_cvt_f32_i32_e32 v3, v1
.LBB89_1521:
	s_mov_b64 s[0:1], 0
.LBB89_1522:
	s_andn2_b64 vcc, exec, s[0:1]
	s_cbranch_vccnz .LBB89_1528
; %bb.1523:
	s_cmp_gt_i32 s8, 0
	s_cbranch_scc0 .LBB89_1525
; %bb.1524:
	global_load_sbyte v1, v[10:11], off
	s_mov_b64 s[0:1], 0
	s_waitcnt vmcnt(0)
	v_cvt_f32_i32_e32 v3, v1
	s_branch .LBB89_1526
.LBB89_1525:
	s_mov_b64 s[0:1], -1
                                        ; implicit-def: $vgpr3
.LBB89_1526:
	s_andn2_b64 vcc, exec, s[0:1]
	s_cbranch_vccnz .LBB89_1528
; %bb.1527:
	global_load_ubyte v1, v[10:11], off
	s_waitcnt vmcnt(0)
	v_cvt_f32_ubyte0_e32 v3, v1
.LBB89_1528:
.LBB89_1529:
	v_mov_b32_e32 v9, 0
	s_cmp_lt_i32 s17, 11
	v_lshl_add_u64 v[8:9], s[6:7], 0, v[8:9]
	s_cbranch_scc1 .LBB89_1536
; %bb.1530:
	s_and_b32 s14, 0xffff, s17
	s_cmp_gt_i32 s14, 25
	s_mov_b64 s[6:7], 0
	s_cbranch_scc0 .LBB89_1537
; %bb.1531:
	s_cmp_gt_i32 s14, 28
	s_cbranch_scc0 .LBB89_1538
; %bb.1532:
	s_cmp_gt_i32 s14, 43
	;; [unrolled: 3-line block ×3, first 2 shown]
	s_cbranch_scc0 .LBB89_1541
; %bb.1534:
	s_cmp_eq_u32 s14, 46
	s_mov_b64 s[10:11], 0
	s_cbranch_scc0 .LBB89_1542
; %bb.1535:
	global_load_dword v1, v[8:9], off
	s_mov_b64 s[0:1], 0
	s_mov_b64 s[8:9], -1
	s_waitcnt vmcnt(0)
	v_lshlrev_b32_e32 v1, 16, v1
	s_branch .LBB89_1543
.LBB89_1536:
	s_mov_b64 s[0:1], -1
	s_mov_b64 s[8:9], 0
                                        ; implicit-def: $vgpr1
	s_branch .LBB89_1609
.LBB89_1537:
	s_mov_b64 s[10:11], -1
	s_mov_b64 s[8:9], 0
	s_mov_b64 s[0:1], 0
                                        ; implicit-def: $vgpr1
	s_branch .LBB89_1572
.LBB89_1538:
	s_mov_b64 s[10:11], -1
	s_mov_b64 s[8:9], 0
	s_mov_b64 s[0:1], 0
                                        ; implicit-def: $vgpr1
	s_branch .LBB89_1553
.LBB89_1539:
	s_mov_b64 s[10:11], -1
	s_mov_b64 s[8:9], 0
	s_mov_b64 s[0:1], 0
                                        ; implicit-def: $vgpr1
	s_branch .LBB89_1548
.LBB89_1540:
	s_trap 2
	s_or_b64 s[2:3], s[2:3], exec
	s_cbranch_execz .LBB89_1479
	s_branch .LBB89_1480
.LBB89_1541:
	s_mov_b64 s[10:11], -1
	s_mov_b64 s[8:9], 0
	s_mov_b64 s[0:1], 0
                                        ; implicit-def: $vgpr1
	s_branch .LBB89_1543
.LBB89_1542:
	s_mov_b64 s[0:1], -1
                                        ; implicit-def: $vgpr1
	s_mov_b64 s[8:9], 0
.LBB89_1543:
	s_and_b64 vcc, exec, s[10:11]
	s_cbranch_vccz .LBB89_1547
; %bb.1544:
	s_cmp_eq_u32 s14, 44
	s_cbranch_scc0 .LBB89_1546
; %bb.1545:
	global_load_ubyte v1, v[8:9], off
	s_movk_i32 s8, 0xff
	v_mov_b32_e32 v10, 0x7f800001
	v_mov_b32_e32 v11, 0x400000
	s_mov_b64 s[0:1], 0
	s_waitcnt vmcnt(0)
	v_lshlrev_b32_e32 v12, 23, v1
	v_cmp_ne_u32_e32 vcc, s8, v1
	s_mov_b64 s[8:9], -1
	s_nop 0
	v_cndmask_b32_e32 v10, v10, v12, vcc
	v_cmp_ne_u32_e32 vcc, 0, v1
	s_nop 1
	v_cndmask_b32_e32 v1, v11, v10, vcc
	s_branch .LBB89_1547
.LBB89_1546:
	s_mov_b64 s[0:1], -1
                                        ; implicit-def: $vgpr1
.LBB89_1547:
	s_mov_b64 s[10:11], 0
.LBB89_1548:
	s_and_b64 vcc, exec, s[10:11]
	s_cbranch_vccz .LBB89_1552
; %bb.1549:
	s_cmp_eq_u32 s14, 29
	s_cbranch_scc0 .LBB89_1551
; %bb.1550:
	global_load_dwordx2 v[10:11], v[8:9], off
	s_mov_b64 s[0:1], 0
	s_mov_b64 s[8:9], -1
	s_mov_b64 s[10:11], 0
	s_waitcnt vmcnt(0)
	v_ffbh_u32_e32 v1, v11
	v_min_u32_e32 v1, 32, v1
	v_lshlrev_b64 v[10:11], v1, v[10:11]
	v_min_u32_e32 v10, 1, v10
	v_or_b32_e32 v10, v11, v10
	v_cvt_f32_u32_e32 v10, v10
	v_sub_u32_e32 v1, 32, v1
	v_ldexp_f32 v1, v10, v1
	s_branch .LBB89_1553
.LBB89_1551:
	s_mov_b64 s[0:1], -1
                                        ; implicit-def: $vgpr1
.LBB89_1552:
	s_mov_b64 s[10:11], 0
.LBB89_1553:
	s_and_b64 vcc, exec, s[10:11]
	s_cbranch_vccz .LBB89_1571
; %bb.1554:
	s_cmp_lt_i32 s14, 27
	s_cbranch_scc1 .LBB89_1557
; %bb.1555:
	s_cmp_gt_i32 s14, 27
	s_cbranch_scc0 .LBB89_1558
; %bb.1556:
	global_load_dword v1, v[8:9], off
	s_mov_b64 s[8:9], 0
	s_waitcnt vmcnt(0)
	v_cvt_f32_u32_e32 v1, v1
	s_branch .LBB89_1559
.LBB89_1557:
	s_mov_b64 s[8:9], -1
                                        ; implicit-def: $vgpr1
	s_branch .LBB89_1562
.LBB89_1558:
	s_mov_b64 s[8:9], -1
                                        ; implicit-def: $vgpr1
.LBB89_1559:
	s_andn2_b64 vcc, exec, s[8:9]
	s_cbranch_vccnz .LBB89_1561
; %bb.1560:
	global_load_ushort v1, v[8:9], off
	s_waitcnt vmcnt(0)
	v_cvt_f32_u32_e32 v1, v1
.LBB89_1561:
	s_mov_b64 s[8:9], 0
.LBB89_1562:
	s_andn2_b64 vcc, exec, s[8:9]
	s_cbranch_vccnz .LBB89_1570
; %bb.1563:
	global_load_ubyte v10, v[8:9], off
	s_movk_i32 s8, 0x7f
	s_waitcnt vmcnt(0)
	v_cmp_lt_i16_e32 vcc, s8, v10
	s_mov_b64 s[8:9], 0
	s_and_saveexec_b64 s[10:11], vcc
	s_xor_b64 s[10:11], exec, s[10:11]
	s_cbranch_execz .LBB89_1584
; %bb.1564:
	s_movk_i32 s8, 0x80
	v_cmp_eq_u16_e32 vcc, s8, v10
	s_mov_b64 s[8:9], -1
	s_and_saveexec_b64 s[12:13], vcc
; %bb.1565:
	s_xor_b64 s[8:9], exec, -1
; %bb.1566:
	s_or_b64 exec, exec, s[12:13]
	s_and_b64 s[8:9], s[8:9], exec
	s_or_saveexec_b64 s[10:11], s[10:11]
	v_mov_b32_e32 v1, 0x7f800001
	s_xor_b64 exec, exec, s[10:11]
	s_cbranch_execnz .LBB89_1585
.LBB89_1567:
	s_or_b64 exec, exec, s[10:11]
	s_and_saveexec_b64 s[10:11], s[8:9]
	s_cbranch_execz .LBB89_1569
.LBB89_1568:
	v_lshlrev_b32_e32 v1, 24, v10
	v_and_b32_e32 v10, 0xffff, v10
	v_and_b32_e32 v11, 7, v10
	v_ffbh_u32_e32 v13, v11
	v_min_u32_e32 v13, 32, v13
	v_subrev_u32_e32 v14, 28, v13
	v_bfe_u32 v12, v10, 3, 4
	v_lshlrev_b32_e32 v10, v14, v10
	v_sub_u32_e32 v13, 29, v13
	v_and_b32_e32 v10, 7, v10
	v_cmp_eq_u32_e32 vcc, 0, v12
	v_and_b32_e32 v1, 0x80000000, v1
	s_nop 0
	v_cndmask_b32_e32 v12, v12, v13, vcc
	v_cndmask_b32_e32 v10, v11, v10, vcc
	v_mov_b32_e32 v11, 0x3b800000
	v_lshlrev_b32_e32 v10, 20, v10
	v_lshl_add_u32 v11, v12, 23, v11
	v_or3_b32 v1, v1, v11, v10
.LBB89_1569:
	s_or_b64 exec, exec, s[10:11]
.LBB89_1570:
	s_mov_b64 s[8:9], -1
.LBB89_1571:
	s_mov_b64 s[10:11], 0
.LBB89_1572:
	s_and_b64 vcc, exec, s[10:11]
	s_cbranch_vccz .LBB89_1605
; %bb.1573:
	s_cmp_gt_i32 s14, 22
	s_cbranch_scc0 .LBB89_1583
; %bb.1574:
	s_cmp_lt_i32 s14, 24
	s_cbranch_scc1 .LBB89_1586
; %bb.1575:
	s_cmp_gt_i32 s14, 24
	s_cbranch_scc0 .LBB89_1587
; %bb.1576:
	global_load_ubyte v10, v[8:9], off
	s_movk_i32 s6, 0x7f
	s_waitcnt vmcnt(0)
	v_cmp_lt_i16_e32 vcc, s6, v10
	s_mov_b64 s[6:7], 0
	s_and_saveexec_b64 s[8:9], vcc
	s_xor_b64 s[8:9], exec, s[8:9]
	s_cbranch_execz .LBB89_1599
; %bb.1577:
	s_movk_i32 s6, 0x80
	v_cmp_eq_u16_e32 vcc, s6, v10
	s_mov_b64 s[6:7], -1
	s_and_saveexec_b64 s[10:11], vcc
; %bb.1578:
	s_xor_b64 s[6:7], exec, -1
; %bb.1579:
	s_or_b64 exec, exec, s[10:11]
	s_and_b64 s[6:7], s[6:7], exec
	s_or_saveexec_b64 s[8:9], s[8:9]
	v_mov_b32_e32 v1, 0x7f800001
	s_xor_b64 exec, exec, s[8:9]
	s_cbranch_execnz .LBB89_1600
.LBB89_1580:
	s_or_b64 exec, exec, s[8:9]
	s_and_saveexec_b64 s[8:9], s[6:7]
	s_cbranch_execz .LBB89_1582
.LBB89_1581:
	v_lshlrev_b32_e32 v1, 24, v10
	v_and_b32_e32 v10, 0xffff, v10
	v_and_b32_e32 v11, 3, v10
	v_ffbh_u32_e32 v13, v11
	v_min_u32_e32 v13, 32, v13
	v_subrev_u32_e32 v14, 29, v13
	v_bfe_u32 v12, v10, 2, 5
	v_lshlrev_b32_e32 v10, v14, v10
	v_sub_u32_e32 v13, 30, v13
	v_and_b32_e32 v10, 3, v10
	v_cmp_eq_u32_e32 vcc, 0, v12
	v_and_b32_e32 v1, 0x80000000, v1
	s_nop 0
	v_cndmask_b32_e32 v12, v12, v13, vcc
	v_cndmask_b32_e32 v10, v11, v10, vcc
	v_mov_b32_e32 v11, 0x37800000
	v_lshlrev_b32_e32 v10, 21, v10
	v_lshl_add_u32 v11, v12, 23, v11
	v_or3_b32 v1, v1, v11, v10
.LBB89_1582:
	s_or_b64 exec, exec, s[8:9]
	s_mov_b64 s[6:7], 0
	s_branch .LBB89_1588
.LBB89_1583:
	s_mov_b64 s[6:7], -1
                                        ; implicit-def: $vgpr1
	s_branch .LBB89_1594
.LBB89_1584:
	s_or_saveexec_b64 s[10:11], s[10:11]
	v_mov_b32_e32 v1, 0x7f800001
	s_xor_b64 exec, exec, s[10:11]
	s_cbranch_execz .LBB89_1567
.LBB89_1585:
	v_cmp_ne_u16_e32 vcc, 0, v10
	s_andn2_b64 s[8:9], s[8:9], exec
	s_and_b64 s[12:13], vcc, exec
	v_mov_b32_e32 v1, 0
	s_or_b64 s[8:9], s[8:9], s[12:13]
	s_or_b64 exec, exec, s[10:11]
	s_and_saveexec_b64 s[10:11], s[8:9]
	s_cbranch_execnz .LBB89_1568
	s_branch .LBB89_1569
.LBB89_1586:
	s_mov_b64 s[6:7], -1
                                        ; implicit-def: $vgpr1
	s_branch .LBB89_1591
.LBB89_1587:
	s_mov_b64 s[6:7], -1
                                        ; implicit-def: $vgpr1
.LBB89_1588:
	s_and_b64 vcc, exec, s[6:7]
	s_cbranch_vccz .LBB89_1590
; %bb.1589:
	global_load_ubyte v1, v[8:9], off
	s_mov_b32 s6, 0x7f800000
	s_waitcnt vmcnt(0)
	v_lshlrev_b32_e32 v1, 24, v1
	v_and_b32_e32 v10, 0x7f000000, v1
	v_ffbh_u32_e32 v11, v10
	v_min_u32_e32 v11, 32, v11
	v_sub_u32_e64 v11, v11, 4 clamp
	v_lshlrev_b32_e32 v13, v11, v10
	v_lshlrev_b32_e32 v11, 23, v11
	v_lshrrev_b32_e32 v13, 4, v13
	v_add_u32_e32 v12, 0x1000000, v10
	v_sub_u32_e32 v11, v13, v11
	v_ashrrev_i32_e32 v12, 8, v12
	v_add_u32_e32 v11, 0x3c000000, v11
	v_and_or_b32 v11, v12, s6, v11
	v_cmp_ne_u32_e32 vcc, 0, v10
	s_brev_b32 s6, 1
	s_nop 0
	v_cndmask_b32_e32 v10, 0, v11, vcc
	v_and_or_b32 v1, v1, s6, v10
.LBB89_1590:
	s_mov_b64 s[6:7], 0
.LBB89_1591:
	s_andn2_b64 vcc, exec, s[6:7]
	s_cbranch_vccnz .LBB89_1593
; %bb.1592:
	global_load_ubyte v1, v[8:9], off
	s_movk_i32 s6, 0x7f00
	s_brev_b32 s7, 16
	s_waitcnt vmcnt(0)
	v_lshlrev_b16_e32 v10, 8, v1
	v_lshlrev_b32_e32 v1, 25, v1
	v_lshrrev_b32_e32 v11, 4, v1
	v_and_or_b32 v12, v10, s6, 0.5
	v_or_b32_e32 v11, 0x70000000, v11
	v_add_f32_e32 v12, -0.5, v12
	v_mul_f32_e32 v11, 0x7800000, v11
	v_cmp_gt_u32_e32 vcc, s7, v1
	v_bfe_i32 v10, v10, 0, 16
	s_brev_b32 s6, 1
	v_cndmask_b32_e32 v1, v11, v12, vcc
	v_and_or_b32 v1, v10, s6, v1
.LBB89_1593:
	s_mov_b64 s[6:7], 0
	s_mov_b64 s[8:9], -1
.LBB89_1594:
	s_andn2_b64 vcc, exec, s[6:7]
	s_mov_b64 s[6:7], 0
	s_cbranch_vccnz .LBB89_1605
; %bb.1595:
	s_cmp_gt_i32 s14, 14
	s_cbranch_scc0 .LBB89_1598
; %bb.1596:
	s_cmp_eq_u32 s14, 15
	s_cbranch_scc0 .LBB89_1601
; %bb.1597:
	global_load_ushort v1, v[8:9], off
	s_mov_b64 s[0:1], 0
	s_mov_b64 s[8:9], -1
	s_waitcnt vmcnt(0)
	v_lshlrev_b32_e32 v1, 16, v1
	s_branch .LBB89_1602
.LBB89_1598:
	s_mov_b64 s[10:11], -1
                                        ; implicit-def: $vgpr1
	s_branch .LBB89_1603
.LBB89_1599:
	s_or_saveexec_b64 s[8:9], s[8:9]
	v_mov_b32_e32 v1, 0x7f800001
	s_xor_b64 exec, exec, s[8:9]
	s_cbranch_execz .LBB89_1580
.LBB89_1600:
	v_cmp_ne_u16_e32 vcc, 0, v10
	s_andn2_b64 s[6:7], s[6:7], exec
	s_and_b64 s[10:11], vcc, exec
	v_mov_b32_e32 v1, 0
	s_or_b64 s[6:7], s[6:7], s[10:11]
	s_or_b64 exec, exec, s[8:9]
	s_and_saveexec_b64 s[8:9], s[6:7]
	s_cbranch_execnz .LBB89_1581
	s_branch .LBB89_1582
.LBB89_1601:
	s_mov_b64 s[0:1], -1
                                        ; implicit-def: $vgpr1
.LBB89_1602:
	s_mov_b64 s[10:11], 0
.LBB89_1603:
	s_and_b64 vcc, exec, s[10:11]
	s_cbranch_vccz .LBB89_1605
; %bb.1604:
	s_cmp_lg_u32 s14, 11
	s_mov_b64 s[6:7], -1
	s_cselect_b64 s[0:1], -1, 0
.LBB89_1605:
	s_and_b64 vcc, exec, s[0:1]
	s_cbranch_vccnz .LBB89_2138
; %bb.1606:
	s_andn2_b64 vcc, exec, s[6:7]
	s_cbranch_vccnz .LBB89_1608
.LBB89_1607:
	global_load_ubyte v1, v[8:9], off
	s_mov_b64 s[8:9], -1
	s_waitcnt vmcnt(0)
	v_cmp_ne_u16_e32 vcc, 0, v1
	s_nop 1
	v_cndmask_b32_e64 v1, 0, 1.0, vcc
.LBB89_1608:
	s_mov_b64 s[0:1], 0
.LBB89_1609:
	s_and_b64 vcc, exec, s[0:1]
	s_cbranch_vccz .LBB89_1658
; %bb.1610:
	s_and_b32 s6, 0xffff, s17
	s_cmp_lt_i32 s6, 5
	s_cbranch_scc1 .LBB89_1615
; %bb.1611:
	s_cmp_lt_i32 s6, 8
	s_cbranch_scc1 .LBB89_1616
; %bb.1612:
	s_cmp_lt_i32 s6, 9
	s_cbranch_scc1 .LBB89_1617
; %bb.1613:
	s_cmp_gt_i32 s6, 9
	s_cbranch_scc0 .LBB89_1618
; %bb.1614:
	global_load_dwordx2 v[10:11], v[8:9], off
	s_mov_b64 s[0:1], 0
	s_waitcnt vmcnt(0)
	v_cvt_f32_f64_e32 v1, v[10:11]
	s_branch .LBB89_1619
.LBB89_1615:
	s_mov_b64 s[0:1], -1
                                        ; implicit-def: $vgpr1
	s_branch .LBB89_1637
.LBB89_1616:
	s_mov_b64 s[0:1], -1
                                        ; implicit-def: $vgpr1
	s_branch .LBB89_1625
.LBB89_1617:
	s_mov_b64 s[0:1], -1
                                        ; implicit-def: $vgpr1
	s_branch .LBB89_1622
.LBB89_1618:
	s_mov_b64 s[0:1], -1
                                        ; implicit-def: $vgpr1
.LBB89_1619:
	s_andn2_b64 vcc, exec, s[0:1]
	s_cbranch_vccnz .LBB89_1621
; %bb.1620:
	global_load_dword v1, v[8:9], off
.LBB89_1621:
	s_mov_b64 s[0:1], 0
.LBB89_1622:
	s_andn2_b64 vcc, exec, s[0:1]
	s_cbranch_vccnz .LBB89_1624
; %bb.1623:
	global_load_dword v1, v[8:9], off
	s_waitcnt vmcnt(0)
	v_cvt_f32_f16_e32 v1, v1
.LBB89_1624:
	s_mov_b64 s[0:1], 0
.LBB89_1625:
	s_andn2_b64 vcc, exec, s[0:1]
	s_cbranch_vccnz .LBB89_1636
; %bb.1626:
	s_cmp_lt_i32 s6, 6
	s_cbranch_scc1 .LBB89_1629
; %bb.1627:
	s_cmp_gt_i32 s6, 6
	s_cbranch_scc0 .LBB89_1630
; %bb.1628:
	global_load_dwordx2 v[10:11], v[8:9], off
	s_mov_b64 s[0:1], 0
	s_waitcnt vmcnt(0)
	v_cvt_f32_f64_e32 v1, v[10:11]
	s_branch .LBB89_1631
.LBB89_1629:
	s_mov_b64 s[0:1], -1
                                        ; implicit-def: $vgpr1
	s_branch .LBB89_1634
.LBB89_1630:
	s_mov_b64 s[0:1], -1
                                        ; implicit-def: $vgpr1
.LBB89_1631:
	s_andn2_b64 vcc, exec, s[0:1]
	s_cbranch_vccnz .LBB89_1633
; %bb.1632:
	global_load_dword v1, v[8:9], off
.LBB89_1633:
	s_mov_b64 s[0:1], 0
.LBB89_1634:
	s_andn2_b64 vcc, exec, s[0:1]
	s_cbranch_vccnz .LBB89_1636
; %bb.1635:
	global_load_ushort v1, v[8:9], off
	s_waitcnt vmcnt(0)
	v_cvt_f32_f16_e32 v1, v1
.LBB89_1636:
	s_mov_b64 s[0:1], 0
.LBB89_1637:
	s_andn2_b64 vcc, exec, s[0:1]
	s_cbranch_vccnz .LBB89_1657
; %bb.1638:
	s_cmp_lt_i32 s6, 2
	s_cbranch_scc1 .LBB89_1642
; %bb.1639:
	s_cmp_lt_i32 s6, 3
	s_cbranch_scc1 .LBB89_1643
; %bb.1640:
	s_cmp_gt_i32 s6, 3
	s_cbranch_scc0 .LBB89_1644
; %bb.1641:
	global_load_dwordx2 v[10:11], v[8:9], off
	s_mov_b64 s[0:1], 0
	s_waitcnt vmcnt(0)
	v_xor_b32_e32 v12, v10, v11
	v_ffbh_i32_e32 v1, v11
	v_ashrrev_i32_e32 v12, 31, v12
	v_add_u32_e32 v1, -1, v1
	v_add_u32_e32 v12, 32, v12
	v_min_u32_e32 v1, v1, v12
	v_lshlrev_b64 v[10:11], v1, v[10:11]
	v_min_u32_e32 v10, 1, v10
	v_or_b32_e32 v10, v11, v10
	v_cvt_f32_i32_e32 v10, v10
	v_sub_u32_e32 v1, 32, v1
	v_ldexp_f32 v1, v10, v1
	s_branch .LBB89_1645
.LBB89_1642:
	s_mov_b64 s[0:1], -1
                                        ; implicit-def: $vgpr1
	s_branch .LBB89_1651
.LBB89_1643:
	s_mov_b64 s[0:1], -1
                                        ; implicit-def: $vgpr1
	s_branch .LBB89_1648
.LBB89_1644:
	s_mov_b64 s[0:1], -1
                                        ; implicit-def: $vgpr1
.LBB89_1645:
	s_andn2_b64 vcc, exec, s[0:1]
	s_cbranch_vccnz .LBB89_1647
; %bb.1646:
	global_load_dword v1, v[8:9], off
	s_waitcnt vmcnt(0)
	v_cvt_f32_i32_e32 v1, v1
.LBB89_1647:
	s_mov_b64 s[0:1], 0
.LBB89_1648:
	s_andn2_b64 vcc, exec, s[0:1]
	s_cbranch_vccnz .LBB89_1650
; %bb.1649:
	global_load_sshort v1, v[8:9], off
	s_waitcnt vmcnt(0)
	v_cvt_f32_i32_e32 v1, v1
.LBB89_1650:
	s_mov_b64 s[0:1], 0
.LBB89_1651:
	s_andn2_b64 vcc, exec, s[0:1]
	s_cbranch_vccnz .LBB89_1657
; %bb.1652:
	s_cmp_gt_i32 s6, 0
	s_cbranch_scc0 .LBB89_1654
; %bb.1653:
	global_load_sbyte v1, v[8:9], off
	s_mov_b64 s[0:1], 0
	s_waitcnt vmcnt(0)
	v_cvt_f32_i32_e32 v1, v1
	s_branch .LBB89_1655
.LBB89_1654:
	s_mov_b64 s[0:1], -1
                                        ; implicit-def: $vgpr1
.LBB89_1655:
	s_andn2_b64 vcc, exec, s[0:1]
	s_cbranch_vccnz .LBB89_1657
; %bb.1656:
	global_load_ubyte v1, v[8:9], off
	s_waitcnt vmcnt(0)
	v_cvt_f32_ubyte0_e32 v1, v1
.LBB89_1657:
	s_mov_b64 s[8:9], -1
.LBB89_1658:
	s_andn2_b64 vcc, exec, s[8:9]
	s_cbranch_vccnz .LBB89_2092
; %bb.1659:
	s_waitcnt vmcnt(0)
	v_mul_f32_e32 v8, 0x3fb8aa3b, v7
	s_mov_b32 s0, 0x3fb8aa3b
	v_rndne_f32_e32 v9, v8
	v_sub_f32_e32 v10, v8, v9
	v_fma_f32 v8, v7, s0, -v8
	v_fmamk_f32 v8, v7, 0x32a5705f, v8
	v_add_f32_e32 v8, v10, v8
	v_exp_f32_e32 v8, v8
	v_cvt_i32_f32_e32 v9, v9
	s_mov_b32 s0, 0xc2ce8ed0
	v_cmp_ngt_f32_e32 vcc, s0, v7
	s_mov_b32 s0, 0x42b17218
	v_ldexp_f32 v8, v8, v9
	s_bfe_u32 s14, s16, 0x80008
	v_cndmask_b32_e32 v8, 0, v8, vcc
	v_mov_b32_e32 v9, 0x7f800000
	v_cmp_nlt_f32_e32 vcc, s0, v7
	v_mov_b32_e32 v7, 0
	s_cmp_lt_i32 s14, 11
	v_cndmask_b32_e32 v8, v9, v8, vcc
	v_lshl_add_u64 v[6:7], s[4:5], 0, v[6:7]
	s_cbranch_scc1 .LBB89_1737
; %bb.1660:
	s_and_b32 s15, 0xffff, s14
	s_mov_b64 s[10:11], -1
	s_mov_b64 s[6:7], 0
	s_cmp_gt_i32 s15, 25
	s_mov_b64 s[8:9], 0
	s_mov_b64 s[0:1], 0
	s_cbranch_scc0 .LBB89_1693
; %bb.1661:
	s_cmp_gt_i32 s15, 28
	s_cbranch_scc0 .LBB89_1676
; %bb.1662:
	s_cmp_gt_i32 s15, 43
	;; [unrolled: 3-line block ×3, first 2 shown]
	s_cbranch_scc0 .LBB89_1666
; %bb.1664:
	s_mov_b64 s[0:1], -1
	s_mov_b64 s[10:11], 0
	s_cmp_eq_u32 s15, 46
	s_cbranch_scc0 .LBB89_1666
; %bb.1665:
	v_bfe_u32 v9, v8, 16, 1
	s_movk_i32 s0, 0x7fff
	v_add3_u32 v9, v8, v9, s0
	v_cmp_o_f32_e32 vcc, v8, v8
	v_mov_b32_e32 v10, 0x7fc0
	s_mov_b64 s[0:1], 0
	v_cndmask_b32_sdwa v9, v10, v9, vcc dst_sel:DWORD dst_unused:UNUSED_PAD src0_sel:DWORD src1_sel:WORD_1
	global_store_dword v[6:7], v9, off
	s_mov_b64 s[8:9], -1
.LBB89_1666:
	s_and_b64 vcc, exec, s[10:11]
	s_cbranch_vccz .LBB89_1671
; %bb.1667:
	s_cmp_eq_u32 s15, 44
	s_mov_b64 s[0:1], -1
	s_cbranch_scc0 .LBB89_1671
; %bb.1668:
	v_bfe_u32 v9, v8, 23, 8
	s_movk_i32 s0, 0xff
	v_cmp_ne_u32_e32 vcc, s0, v9
	v_mov_b32_e32 v10, 0xff
	s_and_saveexec_b64 s[8:9], vcc
; %bb.1669:
	s_mov_b32 s0, 0x3fffff
	v_and_b32_e32 v11, 0x400000, v8
	v_and_or_b32 v9, v8, s0, v9
	v_cmp_ne_u32_e32 vcc, 0, v11
	v_cmp_ne_u32_e64 s[0:1], 0, v9
	s_and_b64 s[0:1], vcc, s[0:1]
	v_lshrrev_b32_e32 v10, 23, v8
	v_cndmask_b32_e64 v9, 0, 1, s[0:1]
	v_add_u32_e32 v10, v10, v9
; %bb.1670:
	s_or_b64 exec, exec, s[8:9]
	s_mov_b64 s[0:1], 0
	s_mov_b64 s[8:9], -1
	global_store_byte v[6:7], v10, off
.LBB89_1671:
	s_mov_b64 s[10:11], 0
.LBB89_1672:
	s_and_b64 vcc, exec, s[10:11]
	s_cbranch_vccz .LBB89_1675
; %bb.1673:
	s_cmp_eq_u32 s15, 29
	s_mov_b64 s[0:1], -1
	s_cbranch_scc0 .LBB89_1675
; %bb.1674:
	v_trunc_f32_e32 v9, v8
	v_mul_f32_e32 v10, 0x2f800000, v9
	v_floor_f32_e32 v10, v10
	v_fmamk_f32 v9, v10, 0xcf800000, v9
	v_cvt_u32_f32_e32 v11, v10
	v_cvt_u32_f32_e32 v10, v9
	s_mov_b64 s[0:1], 0
	s_mov_b64 s[8:9], -1
	global_store_dwordx2 v[6:7], v[10:11], off
.LBB89_1675:
	s_mov_b64 s[10:11], 0
.LBB89_1676:
	s_and_b64 vcc, exec, s[10:11]
	s_cbranch_vccz .LBB89_1692
; %bb.1677:
	s_cmp_lt_i32 s15, 27
	s_mov_b64 s[8:9], -1
	s_cbranch_scc1 .LBB89_1683
; %bb.1678:
	v_cvt_u32_f32_e32 v9, v8
	s_cmp_gt_i32 s15, 27
	s_cbranch_scc0 .LBB89_1680
; %bb.1679:
	s_mov_b64 s[8:9], 0
	global_store_dword v[6:7], v9, off
.LBB89_1680:
	s_andn2_b64 vcc, exec, s[8:9]
	s_cbranch_vccnz .LBB89_1682
; %bb.1681:
	global_store_short v[6:7], v9, off
.LBB89_1682:
	s_mov_b64 s[8:9], 0
.LBB89_1683:
	s_andn2_b64 vcc, exec, s[8:9]
	s_cbranch_vccnz .LBB89_1691
; %bb.1684:
	v_and_b32_e32 v9, 0x7fffffff, v8
	s_mov_b32 s8, 0x43800000
	v_cmp_gt_u32_e32 vcc, s8, v9
	v_mov_b32_e32 v10, 0x80
	s_and_saveexec_b64 s[8:9], vcc
	s_cbranch_execz .LBB89_1690
; %bb.1685:
	s_mov_b32 s10, 0x3bffffff
	v_cmp_lt_u32_e32 vcc, s10, v9
	s_mov_b64 s[10:11], 0
                                        ; implicit-def: $vgpr9
	s_and_saveexec_b64 s[12:13], vcc
	s_xor_b64 s[12:13], exec, s[12:13]
	s_cbranch_execz .LBB89_2139
; %bb.1686:
	v_bfe_u32 v9, v8, 20, 1
	s_mov_b32 s17, 0x487ffff
	v_add3_u32 v9, v8, v9, s17
	s_mov_b64 s[10:11], exec
	v_lshrrev_b32_e32 v9, 20, v9
	s_andn2_saveexec_b64 s[12:13], s[12:13]
	s_cbranch_execnz .LBB89_2140
.LBB89_1687:
	s_or_b64 exec, exec, s[12:13]
	v_mov_b32_e32 v10, 0
	s_and_saveexec_b64 s[12:13], s[10:11]
.LBB89_1688:
	v_lshrrev_b32_e32 v10, 24, v8
	s_movk_i32 s10, 0x80
	v_and_or_b32 v10, v10, s10, v9
.LBB89_1689:
	s_or_b64 exec, exec, s[12:13]
.LBB89_1690:
	s_or_b64 exec, exec, s[8:9]
	global_store_byte v[6:7], v10, off
.LBB89_1691:
	s_mov_b64 s[8:9], -1
.LBB89_1692:
	s_mov_b64 s[10:11], 0
.LBB89_1693:
	s_and_b64 vcc, exec, s[10:11]
	s_cbranch_vccz .LBB89_1733
; %bb.1694:
	s_cmp_gt_i32 s15, 22
	s_mov_b64 s[6:7], -1
	s_cbranch_scc0 .LBB89_1726
; %bb.1695:
	s_cmp_lt_i32 s15, 24
	s_cbranch_scc1 .LBB89_1715
; %bb.1696:
	s_cmp_gt_i32 s15, 24
	s_cbranch_scc0 .LBB89_1704
; %bb.1697:
	v_and_b32_e32 v9, 0x7fffffff, v8
	s_mov_b32 s6, 0x47800000
	v_cmp_gt_u32_e32 vcc, s6, v9
	v_mov_b32_e32 v10, 0x80
	s_and_saveexec_b64 s[6:7], vcc
	s_cbranch_execz .LBB89_1703
; %bb.1698:
	s_mov_b32 s8, 0x37ffffff
	v_cmp_lt_u32_e32 vcc, s8, v9
	s_mov_b64 s[8:9], 0
                                        ; implicit-def: $vgpr9
	s_and_saveexec_b64 s[10:11], vcc
	s_xor_b64 s[10:11], exec, s[10:11]
	s_cbranch_execz .LBB89_2142
; %bb.1699:
	v_bfe_u32 v9, v8, 21, 1
	s_mov_b32 s12, 0x88fffff
	v_add3_u32 v9, v8, v9, s12
	s_mov_b64 s[8:9], exec
	v_lshrrev_b32_e32 v9, 21, v9
	s_andn2_saveexec_b64 s[10:11], s[10:11]
	s_cbranch_execnz .LBB89_2143
.LBB89_1700:
	s_or_b64 exec, exec, s[10:11]
	v_mov_b32_e32 v10, 0
	s_and_saveexec_b64 s[10:11], s[8:9]
.LBB89_1701:
	v_lshrrev_b32_e32 v10, 24, v8
	s_movk_i32 s8, 0x80
	v_and_or_b32 v10, v10, s8, v9
.LBB89_1702:
	s_or_b64 exec, exec, s[10:11]
.LBB89_1703:
	s_or_b64 exec, exec, s[6:7]
	s_mov_b64 s[6:7], 0
	global_store_byte v[6:7], v10, off
.LBB89_1704:
	s_and_b64 vcc, exec, s[6:7]
	s_cbranch_vccz .LBB89_1714
; %bb.1705:
	v_and_b32_e32 v10, 0x7fffffff, v8
	s_mov_b32 s6, 0x43f00000
	v_cmp_gt_u32_e32 vcc, s6, v10
                                        ; implicit-def: $vgpr9
	s_and_saveexec_b64 s[6:7], vcc
	s_xor_b64 s[6:7], exec, s[6:7]
	s_cbranch_execz .LBB89_1711
; %bb.1706:
	s_mov_b32 s8, 0x3c7fffff
	v_cmp_lt_u32_e32 vcc, s8, v10
                                        ; implicit-def: $vgpr9
	s_and_saveexec_b64 s[8:9], vcc
	s_xor_b64 s[8:9], exec, s[8:9]
; %bb.1707:
	v_bfe_u32 v9, v8, 20, 1
	s_mov_b32 s10, 0x407ffff
	v_add3_u32 v9, v8, v9, s10
	v_lshrrev_b32_e32 v10, 20, v9
	v_and_b32_e32 v9, 0xff00000, v9
	s_mov_b32 s10, 0x7f00000
	v_mov_b32_e32 v11, 0x7e
	v_cmp_ne_u32_e32 vcc, s10, v9
	s_nop 1
	v_cndmask_b32_e32 v9, v11, v10, vcc
; %bb.1708:
	s_andn2_saveexec_b64 s[8:9], s[8:9]
; %bb.1709:
	s_mov_b32 s10, 0x46800000
	v_add_f32_e64 v9, |v8|, s10
; %bb.1710:
	s_or_b64 exec, exec, s[8:9]
                                        ; implicit-def: $vgpr10
.LBB89_1711:
	s_andn2_saveexec_b64 s[6:7], s[6:7]
; %bb.1712:
	s_mov_b32 s8, 0x7f800000
	v_mov_b32_e32 v9, 0x7e
	v_mov_b32_e32 v11, 0x7f
	v_cmp_lt_u32_e32 vcc, s8, v10
	s_nop 1
	v_cndmask_b32_e32 v9, v9, v11, vcc
; %bb.1713:
	s_or_b64 exec, exec, s[6:7]
	v_lshrrev_b32_e32 v10, 24, v8
	s_movk_i32 s6, 0x80
	v_and_or_b32 v9, v10, s6, v9
	global_store_byte v[6:7], v9, off
.LBB89_1714:
	s_mov_b64 s[6:7], 0
.LBB89_1715:
	s_andn2_b64 vcc, exec, s[6:7]
	s_cbranch_vccnz .LBB89_1725
; %bb.1716:
	v_and_b32_e32 v10, 0x7fffffff, v8
	s_mov_b32 s6, 0x47800000
	v_cmp_gt_u32_e32 vcc, s6, v10
                                        ; implicit-def: $vgpr9
	s_and_saveexec_b64 s[6:7], vcc
	s_xor_b64 s[6:7], exec, s[6:7]
	s_cbranch_execz .LBB89_1722
; %bb.1717:
	s_mov_b32 s8, 0x387fffff
	v_cmp_lt_u32_e32 vcc, s8, v10
                                        ; implicit-def: $vgpr9
	s_and_saveexec_b64 s[8:9], vcc
	s_xor_b64 s[8:9], exec, s[8:9]
; %bb.1718:
	v_bfe_u32 v9, v8, 21, 1
	s_mov_b32 s10, 0x80fffff
	v_add3_u32 v9, v8, v9, s10
	v_lshrrev_b32_e32 v9, 21, v9
; %bb.1719:
	s_andn2_saveexec_b64 s[8:9], s[8:9]
; %bb.1720:
	s_mov_b32 s10, 0x43000000
	v_add_f32_e64 v9, |v8|, s10
; %bb.1721:
	s_or_b64 exec, exec, s[8:9]
                                        ; implicit-def: $vgpr10
.LBB89_1722:
	s_andn2_saveexec_b64 s[6:7], s[6:7]
; %bb.1723:
	s_mov_b32 s8, 0x7f800000
	v_mov_b32_e32 v9, 0x7c
	v_mov_b32_e32 v11, 0x7f
	v_cmp_lt_u32_e32 vcc, s8, v10
	s_nop 1
	v_cndmask_b32_e32 v9, v9, v11, vcc
; %bb.1724:
	s_or_b64 exec, exec, s[6:7]
	v_lshrrev_b32_e32 v10, 24, v8
	s_movk_i32 s6, 0x80
	v_and_or_b32 v9, v10, s6, v9
	global_store_byte v[6:7], v9, off
.LBB89_1725:
	s_mov_b64 s[6:7], 0
	s_mov_b64 s[8:9], -1
.LBB89_1726:
	s_andn2_b64 vcc, exec, s[6:7]
	s_mov_b64 s[6:7], 0
	s_cbranch_vccnz .LBB89_1733
; %bb.1727:
	s_cmp_gt_i32 s15, 14
	s_mov_b64 s[10:11], -1
	s_cbranch_scc0 .LBB89_1731
; %bb.1728:
	s_cmp_eq_u32 s15, 15
	s_mov_b64 s[0:1], -1
	s_cbranch_scc0 .LBB89_1730
; %bb.1729:
	v_bfe_u32 v9, v8, 16, 1
	s_movk_i32 s0, 0x7fff
	v_add3_u32 v9, v8, v9, s0
	v_cmp_o_f32_e32 vcc, v8, v8
	v_mov_b32_e32 v10, 0x7fc0
	s_mov_b64 s[0:1], 0
	v_cndmask_b32_sdwa v9, v10, v9, vcc dst_sel:DWORD dst_unused:UNUSED_PAD src0_sel:DWORD src1_sel:WORD_1
	global_store_short v[6:7], v9, off
	s_mov_b64 s[8:9], -1
.LBB89_1730:
	s_mov_b64 s[10:11], 0
.LBB89_1731:
	s_and_b64 vcc, exec, s[10:11]
	s_cbranch_vccz .LBB89_1733
; %bb.1732:
	s_cmp_lg_u32 s15, 11
	s_mov_b64 s[6:7], -1
	s_cselect_b64 s[0:1], -1, 0
.LBB89_1733:
	s_and_b64 vcc, exec, s[0:1]
	s_cbranch_vccnz .LBB89_2141
; %bb.1734:
	s_andn2_b64 vcc, exec, s[6:7]
	s_cbranch_vccnz .LBB89_1736
.LBB89_1735:
	v_cmp_neq_f32_e32 vcc, 0, v8
	s_mov_b64 s[8:9], -1
	s_nop 0
	v_cndmask_b32_e64 v9, 0, 1, vcc
	global_store_byte v[6:7], v9, off
.LBB89_1736:
	s_mov_b64 s[0:1], 0
	s_branch .LBB89_1738
.LBB89_1737:
	s_mov_b64 s[0:1], -1
	s_mov_b64 s[8:9], 0
.LBB89_1738:
	s_and_b64 vcc, exec, s[0:1]
	s_cbranch_vccz .LBB89_1777
; %bb.1739:
	s_and_b32 s6, 0xffff, s14
	s_cmp_lt_i32 s6, 5
	s_mov_b64 s[0:1], -1
	s_cbranch_scc1 .LBB89_1760
; %bb.1740:
	s_cmp_lt_i32 s6, 8
	s_cbranch_scc1 .LBB89_1750
; %bb.1741:
	s_cmp_lt_i32 s6, 9
	s_cbranch_scc1 .LBB89_1747
; %bb.1742:
	s_cmp_gt_i32 s6, 9
	s_cbranch_scc0 .LBB89_1744
; %bb.1743:
	v_mov_b32_e32 v12, 0
	v_cvt_f64_f32_e32 v[10:11], v8
	v_mov_b32_e32 v13, v12
	global_store_dwordx4 v[6:7], v[10:13], off
	s_mov_b64 s[0:1], 0
.LBB89_1744:
	s_andn2_b64 vcc, exec, s[0:1]
	s_cbranch_vccnz .LBB89_1746
; %bb.1745:
	v_mov_b32_e32 v9, 0
	global_store_dwordx2 v[6:7], v[8:9], off
.LBB89_1746:
	s_mov_b64 s[0:1], 0
.LBB89_1747:
	s_andn2_b64 vcc, exec, s[0:1]
	s_cbranch_vccnz .LBB89_1749
; %bb.1748:
	v_cvt_f16_f32_e32 v9, v8
	global_store_dword v[6:7], v9, off
.LBB89_1749:
	s_mov_b64 s[0:1], 0
.LBB89_1750:
	s_andn2_b64 vcc, exec, s[0:1]
	s_cbranch_vccnz .LBB89_1759
; %bb.1751:
	s_cmp_lt_i32 s6, 6
	s_mov_b64 s[0:1], -1
	s_cbranch_scc1 .LBB89_1757
; %bb.1752:
	s_cmp_gt_i32 s6, 6
	s_cbranch_scc0 .LBB89_1754
; %bb.1753:
	v_cvt_f64_f32_e32 v[10:11], v8
	global_store_dwordx2 v[6:7], v[10:11], off
	s_mov_b64 s[0:1], 0
.LBB89_1754:
	s_andn2_b64 vcc, exec, s[0:1]
	s_cbranch_vccnz .LBB89_1756
; %bb.1755:
	global_store_dword v[6:7], v8, off
.LBB89_1756:
	s_mov_b64 s[0:1], 0
.LBB89_1757:
	s_andn2_b64 vcc, exec, s[0:1]
	s_cbranch_vccnz .LBB89_1759
; %bb.1758:
	v_cvt_f16_f32_e32 v9, v8
	global_store_short v[6:7], v9, off
.LBB89_1759:
	s_mov_b64 s[0:1], 0
.LBB89_1760:
	s_andn2_b64 vcc, exec, s[0:1]
	s_cbranch_vccnz .LBB89_1776
; %bb.1761:
	s_cmp_lt_i32 s6, 2
	s_mov_b64 s[0:1], -1
	s_cbranch_scc1 .LBB89_1771
; %bb.1762:
	s_cmp_lt_i32 s6, 3
	s_cbranch_scc1 .LBB89_1768
; %bb.1763:
	s_cmp_gt_i32 s6, 3
	s_cbranch_scc0 .LBB89_1765
; %bb.1764:
	v_trunc_f32_e32 v9, v8
	s_mov_b32 s0, 0x2f800000
	v_mul_f32_e64 v10, |v9|, s0
	v_floor_f32_e32 v10, v10
	s_mov_b32 s0, 0xcf800000
	v_cvt_u32_f32_e32 v11, v10
	v_fma_f32 v10, v10, s0, |v9|
	v_cvt_u32_f32_e32 v10, v10
	v_ashrrev_i32_e32 v9, 31, v9
	v_xor_b32_e32 v11, v11, v9
	s_mov_b64 s[0:1], 0
	v_xor_b32_e32 v10, v10, v9
	v_sub_co_u32_e32 v10, vcc, v10, v9
	s_nop 1
	v_subb_co_u32_e32 v11, vcc, v11, v9, vcc
	global_store_dwordx2 v[6:7], v[10:11], off
.LBB89_1765:
	s_andn2_b64 vcc, exec, s[0:1]
	s_cbranch_vccnz .LBB89_1767
; %bb.1766:
	v_cvt_i32_f32_e32 v9, v8
	global_store_dword v[6:7], v9, off
.LBB89_1767:
	s_mov_b64 s[0:1], 0
.LBB89_1768:
	s_andn2_b64 vcc, exec, s[0:1]
	s_cbranch_vccnz .LBB89_1770
; %bb.1769:
	v_cvt_i32_f32_e32 v9, v8
	global_store_short v[6:7], v9, off
.LBB89_1770:
	s_mov_b64 s[0:1], 0
.LBB89_1771:
	s_andn2_b64 vcc, exec, s[0:1]
	s_cbranch_vccnz .LBB89_1776
; %bb.1772:
	s_cmp_gt_i32 s6, 0
	s_mov_b64 s[0:1], -1
	s_cbranch_scc0 .LBB89_1774
; %bb.1773:
	v_cvt_i32_f32_e32 v9, v8
	s_mov_b64 s[0:1], 0
	global_store_byte v[6:7], v9, off
.LBB89_1774:
	s_andn2_b64 vcc, exec, s[0:1]
	s_cbranch_vccnz .LBB89_1776
; %bb.1775:
	v_trunc_f32_e32 v8, v8
	s_mov_b32 s0, 0x2f800000
	v_mul_f32_e64 v9, |v8|, s0
	v_floor_f32_e32 v9, v9
	s_mov_b32 s0, 0xcf800000
	v_fma_f32 v9, v9, s0, |v8|
	v_cvt_u32_f32_e32 v9, v9
	v_ashrrev_i32_e32 v8, 31, v8
	v_xor_b32_e32 v9, v9, v8
	v_sub_u32_e32 v8, v9, v8
	global_store_byte v[6:7], v8, off
.LBB89_1776:
	s_mov_b64 s[8:9], -1
.LBB89_1777:
	s_andn2_b64 vcc, exec, s[8:9]
	s_cbranch_vccnz .LBB89_2092
; %bb.1778:
	v_mul_f32_e32 v6, 0x3fb8aa3b, v5
	s_mov_b32 s0, 0x3fb8aa3b
	v_rndne_f32_e32 v7, v6
	v_sub_f32_e32 v8, v6, v7
	v_fma_f32 v6, v5, s0, -v6
	v_fmamk_f32 v6, v5, 0x32a5705f, v6
	v_add_f32_e32 v6, v8, v6
	v_exp_f32_e32 v6, v6
	v_cvt_i32_f32_e32 v7, v7
	s_lshr_b32 s0, s16, 8
	s_and_b32 s14, s0, 0xff
	s_mov_b32 s0, 0xc2ce8ed0
	v_ldexp_f32 v6, v6, v7
	v_cmp_ngt_f32_e32 vcc, s0, v5
	s_mov_b32 s0, 0x42b17218
	v_mov_b32_e32 v7, 0x7f800000
	v_cndmask_b32_e32 v6, 0, v6, vcc
	v_cmp_nlt_f32_e32 vcc, s0, v5
	v_mov_b32_e32 v5, 0
	s_cmp_lt_i32 s14, 11
	v_cndmask_b32_e32 v6, v7, v6, vcc
	v_lshl_add_u64 v[4:5], s[4:5], 0, v[4:5]
	s_cbranch_scc1 .LBB89_1856
; %bb.1779:
	s_and_b32 s15, 0xffff, s14
	s_mov_b64 s[10:11], -1
	s_mov_b64 s[6:7], 0
	s_cmp_gt_i32 s15, 25
	s_mov_b64 s[8:9], 0
	s_mov_b64 s[0:1], 0
	s_cbranch_scc0 .LBB89_1812
; %bb.1780:
	s_cmp_gt_i32 s15, 28
	s_cbranch_scc0 .LBB89_1795
; %bb.1781:
	s_cmp_gt_i32 s15, 43
	;; [unrolled: 3-line block ×3, first 2 shown]
	s_cbranch_scc0 .LBB89_1785
; %bb.1783:
	s_mov_b64 s[0:1], -1
	s_mov_b64 s[10:11], 0
	s_cmp_eq_u32 s15, 46
	s_cbranch_scc0 .LBB89_1785
; %bb.1784:
	v_bfe_u32 v7, v6, 16, 1
	s_movk_i32 s0, 0x7fff
	v_add3_u32 v7, v6, v7, s0
	v_cmp_o_f32_e32 vcc, v6, v6
	v_mov_b32_e32 v8, 0x7fc0
	s_mov_b64 s[0:1], 0
	v_cndmask_b32_sdwa v7, v8, v7, vcc dst_sel:DWORD dst_unused:UNUSED_PAD src0_sel:DWORD src1_sel:WORD_1
	global_store_dword v[4:5], v7, off
	s_mov_b64 s[8:9], -1
.LBB89_1785:
	s_and_b64 vcc, exec, s[10:11]
	s_cbranch_vccz .LBB89_1790
; %bb.1786:
	s_cmp_eq_u32 s15, 44
	s_mov_b64 s[0:1], -1
	s_cbranch_scc0 .LBB89_1790
; %bb.1787:
	v_bfe_u32 v7, v6, 23, 8
	s_movk_i32 s0, 0xff
	v_cmp_ne_u32_e32 vcc, s0, v7
	v_mov_b32_e32 v8, 0xff
	s_and_saveexec_b64 s[8:9], vcc
; %bb.1788:
	s_mov_b32 s0, 0x3fffff
	v_and_b32_e32 v9, 0x400000, v6
	v_and_or_b32 v7, v6, s0, v7
	v_cmp_ne_u32_e32 vcc, 0, v9
	v_cmp_ne_u32_e64 s[0:1], 0, v7
	s_and_b64 s[0:1], vcc, s[0:1]
	v_lshrrev_b32_e32 v8, 23, v6
	v_cndmask_b32_e64 v7, 0, 1, s[0:1]
	v_add_u32_e32 v8, v8, v7
; %bb.1789:
	s_or_b64 exec, exec, s[8:9]
	s_mov_b64 s[0:1], 0
	s_mov_b64 s[8:9], -1
	global_store_byte v[4:5], v8, off
.LBB89_1790:
	s_mov_b64 s[10:11], 0
.LBB89_1791:
	s_and_b64 vcc, exec, s[10:11]
	s_cbranch_vccz .LBB89_1794
; %bb.1792:
	s_cmp_eq_u32 s15, 29
	s_mov_b64 s[0:1], -1
	s_cbranch_scc0 .LBB89_1794
; %bb.1793:
	v_trunc_f32_e32 v7, v6
	v_mul_f32_e32 v8, 0x2f800000, v7
	v_floor_f32_e32 v8, v8
	v_fmamk_f32 v7, v8, 0xcf800000, v7
	v_cvt_u32_f32_e32 v9, v8
	v_cvt_u32_f32_e32 v8, v7
	s_mov_b64 s[0:1], 0
	s_mov_b64 s[8:9], -1
	global_store_dwordx2 v[4:5], v[8:9], off
.LBB89_1794:
	s_mov_b64 s[10:11], 0
.LBB89_1795:
	s_and_b64 vcc, exec, s[10:11]
	s_cbranch_vccz .LBB89_1811
; %bb.1796:
	s_cmp_lt_i32 s15, 27
	s_mov_b64 s[8:9], -1
	s_cbranch_scc1 .LBB89_1802
; %bb.1797:
	s_cmp_gt_i32 s15, 27
	s_cbranch_scc0 .LBB89_1799
; %bb.1798:
	v_cvt_u32_f32_e32 v7, v6
	s_mov_b64 s[8:9], 0
	global_store_dword v[4:5], v7, off
.LBB89_1799:
	s_andn2_b64 vcc, exec, s[8:9]
	s_cbranch_vccnz .LBB89_1801
; %bb.1800:
	v_cvt_u32_f32_e32 v7, v6
	global_store_short v[4:5], v7, off
.LBB89_1801:
	s_mov_b64 s[8:9], 0
.LBB89_1802:
	s_andn2_b64 vcc, exec, s[8:9]
	s_cbranch_vccnz .LBB89_1810
; %bb.1803:
	v_and_b32_e32 v7, 0x7fffffff, v6
	s_mov_b32 s8, 0x43800000
	v_cmp_gt_u32_e32 vcc, s8, v7
	v_mov_b32_e32 v8, 0x80
	s_and_saveexec_b64 s[8:9], vcc
	s_cbranch_execz .LBB89_1809
; %bb.1804:
	s_mov_b32 s10, 0x3bffffff
	v_cmp_lt_u32_e32 vcc, s10, v7
	s_mov_b64 s[10:11], 0
                                        ; implicit-def: $vgpr7
	s_and_saveexec_b64 s[12:13], vcc
	s_xor_b64 s[12:13], exec, s[12:13]
	s_cbranch_execz .LBB89_2144
; %bb.1805:
	v_bfe_u32 v7, v6, 20, 1
	s_mov_b32 s16, 0x487ffff
	v_add3_u32 v7, v6, v7, s16
	s_mov_b64 s[10:11], exec
	v_lshrrev_b32_e32 v7, 20, v7
	s_andn2_saveexec_b64 s[12:13], s[12:13]
	s_cbranch_execnz .LBB89_2145
.LBB89_1806:
	s_or_b64 exec, exec, s[12:13]
	v_mov_b32_e32 v8, 0
	s_and_saveexec_b64 s[12:13], s[10:11]
.LBB89_1807:
	v_lshrrev_b32_e32 v8, 24, v6
	s_movk_i32 s10, 0x80
	v_and_or_b32 v8, v8, s10, v7
.LBB89_1808:
	s_or_b64 exec, exec, s[12:13]
.LBB89_1809:
	s_or_b64 exec, exec, s[8:9]
	global_store_byte v[4:5], v8, off
.LBB89_1810:
	s_mov_b64 s[8:9], -1
.LBB89_1811:
	s_mov_b64 s[10:11], 0
.LBB89_1812:
	s_and_b64 vcc, exec, s[10:11]
	s_cbranch_vccz .LBB89_1852
; %bb.1813:
	s_cmp_gt_i32 s15, 22
	s_mov_b64 s[6:7], -1
	s_cbranch_scc0 .LBB89_1845
; %bb.1814:
	s_cmp_lt_i32 s15, 24
	s_cbranch_scc1 .LBB89_1834
; %bb.1815:
	s_cmp_gt_i32 s15, 24
	s_cbranch_scc0 .LBB89_1823
; %bb.1816:
	v_and_b32_e32 v7, 0x7fffffff, v6
	s_mov_b32 s6, 0x47800000
	v_cmp_gt_u32_e32 vcc, s6, v7
	v_mov_b32_e32 v8, 0x80
	s_and_saveexec_b64 s[6:7], vcc
	s_cbranch_execz .LBB89_1822
; %bb.1817:
	s_mov_b32 s8, 0x37ffffff
	v_cmp_lt_u32_e32 vcc, s8, v7
	s_mov_b64 s[8:9], 0
                                        ; implicit-def: $vgpr7
	s_and_saveexec_b64 s[10:11], vcc
	s_xor_b64 s[10:11], exec, s[10:11]
	s_cbranch_execz .LBB89_2147
; %bb.1818:
	v_bfe_u32 v7, v6, 21, 1
	s_mov_b32 s12, 0x88fffff
	v_add3_u32 v7, v6, v7, s12
	s_mov_b64 s[8:9], exec
	v_lshrrev_b32_e32 v7, 21, v7
	s_andn2_saveexec_b64 s[10:11], s[10:11]
	s_cbranch_execnz .LBB89_2148
.LBB89_1819:
	s_or_b64 exec, exec, s[10:11]
	v_mov_b32_e32 v8, 0
	s_and_saveexec_b64 s[10:11], s[8:9]
.LBB89_1820:
	v_lshrrev_b32_e32 v8, 24, v6
	s_movk_i32 s8, 0x80
	v_and_or_b32 v8, v8, s8, v7
.LBB89_1821:
	s_or_b64 exec, exec, s[10:11]
.LBB89_1822:
	s_or_b64 exec, exec, s[6:7]
	s_mov_b64 s[6:7], 0
	global_store_byte v[4:5], v8, off
.LBB89_1823:
	s_and_b64 vcc, exec, s[6:7]
	s_cbranch_vccz .LBB89_1833
; %bb.1824:
	v_and_b32_e32 v8, 0x7fffffff, v6
	s_mov_b32 s6, 0x43f00000
	v_cmp_gt_u32_e32 vcc, s6, v8
                                        ; implicit-def: $vgpr7
	s_and_saveexec_b64 s[6:7], vcc
	s_xor_b64 s[6:7], exec, s[6:7]
	s_cbranch_execz .LBB89_1830
; %bb.1825:
	s_mov_b32 s8, 0x3c7fffff
	v_cmp_lt_u32_e32 vcc, s8, v8
                                        ; implicit-def: $vgpr7
	s_and_saveexec_b64 s[8:9], vcc
	s_xor_b64 s[8:9], exec, s[8:9]
; %bb.1826:
	v_bfe_u32 v7, v6, 20, 1
	s_mov_b32 s10, 0x407ffff
	v_add3_u32 v7, v6, v7, s10
	v_lshrrev_b32_e32 v8, 20, v7
	v_and_b32_e32 v7, 0xff00000, v7
	s_mov_b32 s10, 0x7f00000
	v_mov_b32_e32 v9, 0x7e
	v_cmp_ne_u32_e32 vcc, s10, v7
	s_nop 1
	v_cndmask_b32_e32 v7, v9, v8, vcc
; %bb.1827:
	s_andn2_saveexec_b64 s[8:9], s[8:9]
; %bb.1828:
	s_mov_b32 s10, 0x46800000
	v_add_f32_e64 v7, |v6|, s10
; %bb.1829:
	s_or_b64 exec, exec, s[8:9]
                                        ; implicit-def: $vgpr8
.LBB89_1830:
	s_andn2_saveexec_b64 s[6:7], s[6:7]
; %bb.1831:
	s_mov_b32 s8, 0x7f800000
	v_mov_b32_e32 v7, 0x7e
	v_mov_b32_e32 v9, 0x7f
	v_cmp_lt_u32_e32 vcc, s8, v8
	s_nop 1
	v_cndmask_b32_e32 v7, v7, v9, vcc
; %bb.1832:
	s_or_b64 exec, exec, s[6:7]
	v_lshrrev_b32_e32 v8, 24, v6
	s_movk_i32 s6, 0x80
	v_and_or_b32 v7, v8, s6, v7
	global_store_byte v[4:5], v7, off
.LBB89_1833:
	s_mov_b64 s[6:7], 0
.LBB89_1834:
	s_andn2_b64 vcc, exec, s[6:7]
	s_cbranch_vccnz .LBB89_1844
; %bb.1835:
	v_and_b32_e32 v8, 0x7fffffff, v6
	s_mov_b32 s6, 0x47800000
	v_cmp_gt_u32_e32 vcc, s6, v8
                                        ; implicit-def: $vgpr7
	s_and_saveexec_b64 s[6:7], vcc
	s_xor_b64 s[6:7], exec, s[6:7]
	s_cbranch_execz .LBB89_1841
; %bb.1836:
	s_mov_b32 s8, 0x387fffff
	v_cmp_lt_u32_e32 vcc, s8, v8
                                        ; implicit-def: $vgpr7
	s_and_saveexec_b64 s[8:9], vcc
	s_xor_b64 s[8:9], exec, s[8:9]
; %bb.1837:
	v_bfe_u32 v7, v6, 21, 1
	s_mov_b32 s10, 0x80fffff
	v_add3_u32 v7, v6, v7, s10
	v_lshrrev_b32_e32 v7, 21, v7
; %bb.1838:
	s_andn2_saveexec_b64 s[8:9], s[8:9]
; %bb.1839:
	s_mov_b32 s10, 0x43000000
	v_add_f32_e64 v7, |v6|, s10
; %bb.1840:
	s_or_b64 exec, exec, s[8:9]
                                        ; implicit-def: $vgpr8
.LBB89_1841:
	s_andn2_saveexec_b64 s[6:7], s[6:7]
; %bb.1842:
	s_mov_b32 s8, 0x7f800000
	v_mov_b32_e32 v7, 0x7c
	v_mov_b32_e32 v9, 0x7f
	v_cmp_lt_u32_e32 vcc, s8, v8
	s_nop 1
	v_cndmask_b32_e32 v7, v7, v9, vcc
; %bb.1843:
	s_or_b64 exec, exec, s[6:7]
	v_lshrrev_b32_e32 v8, 24, v6
	s_movk_i32 s6, 0x80
	v_and_or_b32 v7, v8, s6, v7
	global_store_byte v[4:5], v7, off
.LBB89_1844:
	s_mov_b64 s[6:7], 0
	s_mov_b64 s[8:9], -1
.LBB89_1845:
	s_andn2_b64 vcc, exec, s[6:7]
	s_mov_b64 s[6:7], 0
	s_cbranch_vccnz .LBB89_1852
; %bb.1846:
	s_cmp_gt_i32 s15, 14
	s_mov_b64 s[10:11], -1
	s_cbranch_scc0 .LBB89_1850
; %bb.1847:
	s_cmp_eq_u32 s15, 15
	s_mov_b64 s[0:1], -1
	s_cbranch_scc0 .LBB89_1849
; %bb.1848:
	v_bfe_u32 v7, v6, 16, 1
	s_movk_i32 s0, 0x7fff
	v_add3_u32 v7, v6, v7, s0
	v_cmp_o_f32_e32 vcc, v6, v6
	v_mov_b32_e32 v8, 0x7fc0
	s_mov_b64 s[0:1], 0
	v_cndmask_b32_sdwa v7, v8, v7, vcc dst_sel:DWORD dst_unused:UNUSED_PAD src0_sel:DWORD src1_sel:WORD_1
	global_store_short v[4:5], v7, off
	s_mov_b64 s[8:9], -1
.LBB89_1849:
	s_mov_b64 s[10:11], 0
.LBB89_1850:
	s_and_b64 vcc, exec, s[10:11]
	s_cbranch_vccz .LBB89_1852
; %bb.1851:
	s_cmp_lg_u32 s15, 11
	s_mov_b64 s[6:7], -1
	s_cselect_b64 s[0:1], -1, 0
.LBB89_1852:
	s_and_b64 vcc, exec, s[0:1]
	s_cbranch_vccnz .LBB89_2146
; %bb.1853:
	s_andn2_b64 vcc, exec, s[6:7]
	s_cbranch_vccnz .LBB89_1855
.LBB89_1854:
	v_cmp_neq_f32_e32 vcc, 0, v6
	s_mov_b64 s[8:9], -1
	s_nop 0
	v_cndmask_b32_e64 v7, 0, 1, vcc
	global_store_byte v[4:5], v7, off
.LBB89_1855:
	s_mov_b64 s[0:1], 0
	s_branch .LBB89_1857
.LBB89_1856:
	s_mov_b64 s[0:1], -1
	s_mov_b64 s[8:9], 0
.LBB89_1857:
	s_and_b64 vcc, exec, s[0:1]
	s_cbranch_vccz .LBB89_1896
; %bb.1858:
	s_and_b32 s6, 0xffff, s14
	s_cmp_lt_i32 s6, 5
	s_mov_b64 s[0:1], -1
	s_cbranch_scc1 .LBB89_1879
; %bb.1859:
	s_cmp_lt_i32 s6, 8
	s_cbranch_scc1 .LBB89_1869
; %bb.1860:
	s_cmp_lt_i32 s6, 9
	s_cbranch_scc1 .LBB89_1866
; %bb.1861:
	s_cmp_gt_i32 s6, 9
	s_cbranch_scc0 .LBB89_1863
; %bb.1862:
	v_mov_b32_e32 v10, 0
	v_cvt_f64_f32_e32 v[8:9], v6
	v_mov_b32_e32 v11, v10
	global_store_dwordx4 v[4:5], v[8:11], off
	s_mov_b64 s[0:1], 0
.LBB89_1863:
	s_andn2_b64 vcc, exec, s[0:1]
	s_cbranch_vccnz .LBB89_1865
; %bb.1864:
	v_mov_b32_e32 v7, 0
	global_store_dwordx2 v[4:5], v[6:7], off
.LBB89_1865:
	s_mov_b64 s[0:1], 0
.LBB89_1866:
	s_andn2_b64 vcc, exec, s[0:1]
	s_cbranch_vccnz .LBB89_1868
; %bb.1867:
	v_cvt_f16_f32_e32 v7, v6
	global_store_dword v[4:5], v7, off
.LBB89_1868:
	s_mov_b64 s[0:1], 0
.LBB89_1869:
	s_andn2_b64 vcc, exec, s[0:1]
	s_cbranch_vccnz .LBB89_1878
; %bb.1870:
	s_cmp_lt_i32 s6, 6
	s_mov_b64 s[0:1], -1
	s_cbranch_scc1 .LBB89_1876
; %bb.1871:
	s_cmp_gt_i32 s6, 6
	s_cbranch_scc0 .LBB89_1873
; %bb.1872:
	v_cvt_f64_f32_e32 v[8:9], v6
	global_store_dwordx2 v[4:5], v[8:9], off
	s_mov_b64 s[0:1], 0
.LBB89_1873:
	s_andn2_b64 vcc, exec, s[0:1]
	s_cbranch_vccnz .LBB89_1875
; %bb.1874:
	global_store_dword v[4:5], v6, off
.LBB89_1875:
	s_mov_b64 s[0:1], 0
.LBB89_1876:
	s_andn2_b64 vcc, exec, s[0:1]
	s_cbranch_vccnz .LBB89_1878
; %bb.1877:
	v_cvt_f16_f32_e32 v7, v6
	global_store_short v[4:5], v7, off
.LBB89_1878:
	s_mov_b64 s[0:1], 0
.LBB89_1879:
	s_andn2_b64 vcc, exec, s[0:1]
	s_cbranch_vccnz .LBB89_1895
; %bb.1880:
	s_cmp_lt_i32 s6, 2
	s_mov_b64 s[0:1], -1
	s_cbranch_scc1 .LBB89_1890
; %bb.1881:
	s_cmp_lt_i32 s6, 3
	s_cbranch_scc1 .LBB89_1887
; %bb.1882:
	s_cmp_gt_i32 s6, 3
	s_cbranch_scc0 .LBB89_1884
; %bb.1883:
	v_trunc_f32_e32 v7, v6
	s_mov_b32 s0, 0x2f800000
	v_mul_f32_e64 v8, |v7|, s0
	v_floor_f32_e32 v8, v8
	s_mov_b32 s0, 0xcf800000
	v_cvt_u32_f32_e32 v9, v8
	v_fma_f32 v8, v8, s0, |v7|
	v_cvt_u32_f32_e32 v8, v8
	v_ashrrev_i32_e32 v7, 31, v7
	v_xor_b32_e32 v9, v9, v7
	s_mov_b64 s[0:1], 0
	v_xor_b32_e32 v8, v8, v7
	v_sub_co_u32_e32 v8, vcc, v8, v7
	s_nop 1
	v_subb_co_u32_e32 v9, vcc, v9, v7, vcc
	global_store_dwordx2 v[4:5], v[8:9], off
.LBB89_1884:
	s_andn2_b64 vcc, exec, s[0:1]
	s_cbranch_vccnz .LBB89_1886
; %bb.1885:
	v_cvt_i32_f32_e32 v7, v6
	global_store_dword v[4:5], v7, off
.LBB89_1886:
	s_mov_b64 s[0:1], 0
.LBB89_1887:
	s_andn2_b64 vcc, exec, s[0:1]
	s_cbranch_vccnz .LBB89_1889
; %bb.1888:
	v_cvt_i32_f32_e32 v7, v6
	global_store_short v[4:5], v7, off
.LBB89_1889:
	s_mov_b64 s[0:1], 0
.LBB89_1890:
	s_andn2_b64 vcc, exec, s[0:1]
	s_cbranch_vccnz .LBB89_1895
; %bb.1891:
	s_cmp_gt_i32 s6, 0
	s_mov_b64 s[0:1], -1
	s_cbranch_scc0 .LBB89_1893
; %bb.1892:
	v_cvt_i32_f32_e32 v7, v6
	s_mov_b64 s[0:1], 0
	global_store_byte v[4:5], v7, off
.LBB89_1893:
	s_andn2_b64 vcc, exec, s[0:1]
	s_cbranch_vccnz .LBB89_1895
; %bb.1894:
	v_trunc_f32_e32 v6, v6
	s_mov_b32 s0, 0x2f800000
	v_mul_f32_e64 v7, |v6|, s0
	v_floor_f32_e32 v7, v7
	s_mov_b32 s0, 0xcf800000
	v_fma_f32 v7, v7, s0, |v6|
	v_cvt_u32_f32_e32 v7, v7
	v_ashrrev_i32_e32 v6, 31, v6
	v_xor_b32_e32 v7, v7, v6
	v_sub_u32_e32 v6, v7, v6
	global_store_byte v[4:5], v6, off
.LBB89_1895:
	s_mov_b64 s[8:9], -1
.LBB89_1896:
	s_andn2_b64 vcc, exec, s[8:9]
	s_cbranch_vccnz .LBB89_2092
; %bb.1897:
	v_mul_f32_e32 v4, 0x3fb8aa3b, v3
	s_mov_b32 s0, 0x3fb8aa3b
	v_rndne_f32_e32 v5, v4
	v_sub_f32_e32 v6, v4, v5
	v_fma_f32 v4, v3, s0, -v4
	v_fmamk_f32 v4, v3, 0x32a5705f, v4
	v_add_f32_e32 v4, v6, v4
	v_exp_f32_e32 v4, v4
	v_cvt_i32_f32_e32 v5, v5
	s_mov_b32 s0, 0xc2ce8ed0
	v_cmp_ngt_f32_e32 vcc, s0, v3
	s_mov_b32 s0, 0x42b17218
	v_ldexp_f32 v4, v4, v5
	v_cndmask_b32_e32 v4, 0, v4, vcc
	v_mov_b32_e32 v5, 0x7f800000
	v_cmp_nlt_f32_e32 vcc, s0, v3
	v_mov_b32_e32 v3, 0
	s_cmp_lt_i32 s14, 11
	v_cndmask_b32_e32 v4, v5, v4, vcc
	v_lshl_add_u64 v[2:3], s[4:5], 0, v[2:3]
	s_cbranch_scc1 .LBB89_1975
; %bb.1898:
	s_and_b32 s15, 0xffff, s14
	s_mov_b64 s[10:11], -1
	s_mov_b64 s[6:7], 0
	s_cmp_gt_i32 s15, 25
	s_mov_b64 s[8:9], 0
	s_mov_b64 s[0:1], 0
	s_cbranch_scc0 .LBB89_1931
; %bb.1899:
	s_cmp_gt_i32 s15, 28
	s_cbranch_scc0 .LBB89_1914
; %bb.1900:
	s_cmp_gt_i32 s15, 43
	;; [unrolled: 3-line block ×3, first 2 shown]
	s_cbranch_scc0 .LBB89_1904
; %bb.1902:
	s_mov_b64 s[0:1], -1
	s_mov_b64 s[10:11], 0
	s_cmp_eq_u32 s15, 46
	s_cbranch_scc0 .LBB89_1904
; %bb.1903:
	v_bfe_u32 v5, v4, 16, 1
	s_movk_i32 s0, 0x7fff
	v_add3_u32 v5, v4, v5, s0
	v_cmp_o_f32_e32 vcc, v4, v4
	v_mov_b32_e32 v6, 0x7fc0
	s_mov_b64 s[0:1], 0
	v_cndmask_b32_sdwa v5, v6, v5, vcc dst_sel:DWORD dst_unused:UNUSED_PAD src0_sel:DWORD src1_sel:WORD_1
	global_store_dword v[2:3], v5, off
	s_mov_b64 s[8:9], -1
.LBB89_1904:
	s_and_b64 vcc, exec, s[10:11]
	s_cbranch_vccz .LBB89_1909
; %bb.1905:
	s_cmp_eq_u32 s15, 44
	s_mov_b64 s[0:1], -1
	s_cbranch_scc0 .LBB89_1909
; %bb.1906:
	v_bfe_u32 v5, v4, 23, 8
	s_movk_i32 s0, 0xff
	v_cmp_ne_u32_e32 vcc, s0, v5
	v_mov_b32_e32 v6, 0xff
	s_and_saveexec_b64 s[8:9], vcc
; %bb.1907:
	s_mov_b32 s0, 0x3fffff
	v_and_b32_e32 v7, 0x400000, v4
	v_and_or_b32 v5, v4, s0, v5
	v_cmp_ne_u32_e32 vcc, 0, v7
	v_cmp_ne_u32_e64 s[0:1], 0, v5
	s_and_b64 s[0:1], vcc, s[0:1]
	v_lshrrev_b32_e32 v6, 23, v4
	v_cndmask_b32_e64 v5, 0, 1, s[0:1]
	v_add_u32_e32 v6, v6, v5
; %bb.1908:
	s_or_b64 exec, exec, s[8:9]
	s_mov_b64 s[0:1], 0
	s_mov_b64 s[8:9], -1
	global_store_byte v[2:3], v6, off
.LBB89_1909:
	s_mov_b64 s[10:11], 0
.LBB89_1910:
	s_and_b64 vcc, exec, s[10:11]
	s_cbranch_vccz .LBB89_1913
; %bb.1911:
	s_cmp_eq_u32 s15, 29
	s_mov_b64 s[0:1], -1
	s_cbranch_scc0 .LBB89_1913
; %bb.1912:
	v_trunc_f32_e32 v5, v4
	v_mul_f32_e32 v6, 0x2f800000, v5
	v_floor_f32_e32 v6, v6
	v_fmamk_f32 v5, v6, 0xcf800000, v5
	v_cvt_u32_f32_e32 v7, v6
	v_cvt_u32_f32_e32 v6, v5
	s_mov_b64 s[0:1], 0
	s_mov_b64 s[8:9], -1
	global_store_dwordx2 v[2:3], v[6:7], off
.LBB89_1913:
	s_mov_b64 s[10:11], 0
.LBB89_1914:
	s_and_b64 vcc, exec, s[10:11]
	s_cbranch_vccz .LBB89_1930
; %bb.1915:
	s_cmp_lt_i32 s15, 27
	s_mov_b64 s[8:9], -1
	s_cbranch_scc1 .LBB89_1921
; %bb.1916:
	v_cvt_u32_f32_e32 v5, v4
	s_cmp_gt_i32 s15, 27
	s_cbranch_scc0 .LBB89_1918
; %bb.1917:
	s_mov_b64 s[8:9], 0
	global_store_dword v[2:3], v5, off
.LBB89_1918:
	s_andn2_b64 vcc, exec, s[8:9]
	s_cbranch_vccnz .LBB89_1920
; %bb.1919:
	global_store_short v[2:3], v5, off
.LBB89_1920:
	s_mov_b64 s[8:9], 0
.LBB89_1921:
	s_andn2_b64 vcc, exec, s[8:9]
	s_cbranch_vccnz .LBB89_1929
; %bb.1922:
	v_and_b32_e32 v5, 0x7fffffff, v4
	s_mov_b32 s8, 0x43800000
	v_cmp_gt_u32_e32 vcc, s8, v5
	v_mov_b32_e32 v6, 0x80
	s_and_saveexec_b64 s[8:9], vcc
	s_cbranch_execz .LBB89_1928
; %bb.1923:
	s_mov_b32 s10, 0x3bffffff
	v_cmp_lt_u32_e32 vcc, s10, v5
	s_mov_b64 s[10:11], 0
                                        ; implicit-def: $vgpr5
	s_and_saveexec_b64 s[12:13], vcc
	s_xor_b64 s[12:13], exec, s[12:13]
	s_cbranch_execz .LBB89_2149
; %bb.1924:
	v_bfe_u32 v5, v4, 20, 1
	s_mov_b32 s16, 0x487ffff
	v_add3_u32 v5, v4, v5, s16
	s_mov_b64 s[10:11], exec
	v_lshrrev_b32_e32 v5, 20, v5
	s_andn2_saveexec_b64 s[12:13], s[12:13]
	s_cbranch_execnz .LBB89_2150
.LBB89_1925:
	s_or_b64 exec, exec, s[12:13]
	v_mov_b32_e32 v6, 0
	s_and_saveexec_b64 s[12:13], s[10:11]
.LBB89_1926:
	v_lshrrev_b32_e32 v6, 24, v4
	s_movk_i32 s10, 0x80
	v_and_or_b32 v6, v6, s10, v5
.LBB89_1927:
	s_or_b64 exec, exec, s[12:13]
.LBB89_1928:
	s_or_b64 exec, exec, s[8:9]
	global_store_byte v[2:3], v6, off
.LBB89_1929:
	s_mov_b64 s[8:9], -1
.LBB89_1930:
	s_mov_b64 s[10:11], 0
.LBB89_1931:
	s_and_b64 vcc, exec, s[10:11]
	s_cbranch_vccz .LBB89_1971
; %bb.1932:
	s_cmp_gt_i32 s15, 22
	s_mov_b64 s[6:7], -1
	s_cbranch_scc0 .LBB89_1964
; %bb.1933:
	s_cmp_lt_i32 s15, 24
	s_cbranch_scc1 .LBB89_1953
; %bb.1934:
	s_cmp_gt_i32 s15, 24
	s_cbranch_scc0 .LBB89_1942
; %bb.1935:
	v_and_b32_e32 v5, 0x7fffffff, v4
	s_mov_b32 s6, 0x47800000
	v_cmp_gt_u32_e32 vcc, s6, v5
	v_mov_b32_e32 v6, 0x80
	s_and_saveexec_b64 s[6:7], vcc
	s_cbranch_execz .LBB89_1941
; %bb.1936:
	s_mov_b32 s8, 0x37ffffff
	v_cmp_lt_u32_e32 vcc, s8, v5
	s_mov_b64 s[8:9], 0
                                        ; implicit-def: $vgpr5
	s_and_saveexec_b64 s[10:11], vcc
	s_xor_b64 s[10:11], exec, s[10:11]
	s_cbranch_execz .LBB89_2152
; %bb.1937:
	v_bfe_u32 v5, v4, 21, 1
	s_mov_b32 s12, 0x88fffff
	v_add3_u32 v5, v4, v5, s12
	s_mov_b64 s[8:9], exec
	v_lshrrev_b32_e32 v5, 21, v5
	s_andn2_saveexec_b64 s[10:11], s[10:11]
	s_cbranch_execnz .LBB89_2153
.LBB89_1938:
	s_or_b64 exec, exec, s[10:11]
	v_mov_b32_e32 v6, 0
	s_and_saveexec_b64 s[10:11], s[8:9]
.LBB89_1939:
	v_lshrrev_b32_e32 v6, 24, v4
	s_movk_i32 s8, 0x80
	v_and_or_b32 v6, v6, s8, v5
.LBB89_1940:
	s_or_b64 exec, exec, s[10:11]
.LBB89_1941:
	s_or_b64 exec, exec, s[6:7]
	s_mov_b64 s[6:7], 0
	global_store_byte v[2:3], v6, off
.LBB89_1942:
	s_and_b64 vcc, exec, s[6:7]
	s_cbranch_vccz .LBB89_1952
; %bb.1943:
	v_and_b32_e32 v6, 0x7fffffff, v4
	s_mov_b32 s6, 0x43f00000
	v_cmp_gt_u32_e32 vcc, s6, v6
                                        ; implicit-def: $vgpr5
	s_and_saveexec_b64 s[6:7], vcc
	s_xor_b64 s[6:7], exec, s[6:7]
	s_cbranch_execz .LBB89_1949
; %bb.1944:
	s_mov_b32 s8, 0x3c7fffff
	v_cmp_lt_u32_e32 vcc, s8, v6
                                        ; implicit-def: $vgpr5
	s_and_saveexec_b64 s[8:9], vcc
	s_xor_b64 s[8:9], exec, s[8:9]
; %bb.1945:
	v_bfe_u32 v5, v4, 20, 1
	s_mov_b32 s10, 0x407ffff
	v_add3_u32 v5, v4, v5, s10
	v_lshrrev_b32_e32 v6, 20, v5
	v_and_b32_e32 v5, 0xff00000, v5
	s_mov_b32 s10, 0x7f00000
	v_mov_b32_e32 v7, 0x7e
	v_cmp_ne_u32_e32 vcc, s10, v5
	s_nop 1
	v_cndmask_b32_e32 v5, v7, v6, vcc
; %bb.1946:
	s_andn2_saveexec_b64 s[8:9], s[8:9]
; %bb.1947:
	s_mov_b32 s10, 0x46800000
	v_add_f32_e64 v5, |v4|, s10
; %bb.1948:
	s_or_b64 exec, exec, s[8:9]
                                        ; implicit-def: $vgpr6
.LBB89_1949:
	s_andn2_saveexec_b64 s[6:7], s[6:7]
; %bb.1950:
	s_mov_b32 s8, 0x7f800000
	v_mov_b32_e32 v5, 0x7e
	v_mov_b32_e32 v7, 0x7f
	v_cmp_lt_u32_e32 vcc, s8, v6
	s_nop 1
	v_cndmask_b32_e32 v5, v5, v7, vcc
; %bb.1951:
	s_or_b64 exec, exec, s[6:7]
	v_lshrrev_b32_e32 v6, 24, v4
	s_movk_i32 s6, 0x80
	v_and_or_b32 v5, v6, s6, v5
	global_store_byte v[2:3], v5, off
.LBB89_1952:
	s_mov_b64 s[6:7], 0
.LBB89_1953:
	s_andn2_b64 vcc, exec, s[6:7]
	s_cbranch_vccnz .LBB89_1963
; %bb.1954:
	v_and_b32_e32 v6, 0x7fffffff, v4
	s_mov_b32 s6, 0x47800000
	v_cmp_gt_u32_e32 vcc, s6, v6
                                        ; implicit-def: $vgpr5
	s_and_saveexec_b64 s[6:7], vcc
	s_xor_b64 s[6:7], exec, s[6:7]
	s_cbranch_execz .LBB89_1960
; %bb.1955:
	s_mov_b32 s8, 0x387fffff
	v_cmp_lt_u32_e32 vcc, s8, v6
                                        ; implicit-def: $vgpr5
	s_and_saveexec_b64 s[8:9], vcc
	s_xor_b64 s[8:9], exec, s[8:9]
; %bb.1956:
	v_bfe_u32 v5, v4, 21, 1
	s_mov_b32 s10, 0x80fffff
	v_add3_u32 v5, v4, v5, s10
	v_lshrrev_b32_e32 v5, 21, v5
; %bb.1957:
	s_andn2_saveexec_b64 s[8:9], s[8:9]
; %bb.1958:
	s_mov_b32 s10, 0x43000000
	v_add_f32_e64 v5, |v4|, s10
; %bb.1959:
	s_or_b64 exec, exec, s[8:9]
                                        ; implicit-def: $vgpr6
.LBB89_1960:
	s_andn2_saveexec_b64 s[6:7], s[6:7]
; %bb.1961:
	s_mov_b32 s8, 0x7f800000
	v_mov_b32_e32 v5, 0x7c
	v_mov_b32_e32 v7, 0x7f
	v_cmp_lt_u32_e32 vcc, s8, v6
	s_nop 1
	v_cndmask_b32_e32 v5, v5, v7, vcc
; %bb.1962:
	s_or_b64 exec, exec, s[6:7]
	v_lshrrev_b32_e32 v6, 24, v4
	s_movk_i32 s6, 0x80
	v_and_or_b32 v5, v6, s6, v5
	global_store_byte v[2:3], v5, off
.LBB89_1963:
	s_mov_b64 s[6:7], 0
	s_mov_b64 s[8:9], -1
.LBB89_1964:
	s_andn2_b64 vcc, exec, s[6:7]
	s_mov_b64 s[6:7], 0
	s_cbranch_vccnz .LBB89_1971
; %bb.1965:
	s_cmp_gt_i32 s15, 14
	s_mov_b64 s[10:11], -1
	s_cbranch_scc0 .LBB89_1969
; %bb.1966:
	s_cmp_eq_u32 s15, 15
	s_mov_b64 s[0:1], -1
	s_cbranch_scc0 .LBB89_1968
; %bb.1967:
	v_bfe_u32 v5, v4, 16, 1
	s_movk_i32 s0, 0x7fff
	v_add3_u32 v5, v4, v5, s0
	v_cmp_o_f32_e32 vcc, v4, v4
	v_mov_b32_e32 v6, 0x7fc0
	s_mov_b64 s[0:1], 0
	v_cndmask_b32_sdwa v5, v6, v5, vcc dst_sel:DWORD dst_unused:UNUSED_PAD src0_sel:DWORD src1_sel:WORD_1
	global_store_short v[2:3], v5, off
	s_mov_b64 s[8:9], -1
.LBB89_1968:
	s_mov_b64 s[10:11], 0
.LBB89_1969:
	s_and_b64 vcc, exec, s[10:11]
	s_cbranch_vccz .LBB89_1971
; %bb.1970:
	s_cmp_lg_u32 s15, 11
	s_mov_b64 s[6:7], -1
	s_cselect_b64 s[0:1], -1, 0
.LBB89_1971:
	s_and_b64 vcc, exec, s[0:1]
	s_cbranch_vccnz .LBB89_2151
; %bb.1972:
	s_andn2_b64 vcc, exec, s[6:7]
	s_cbranch_vccnz .LBB89_1974
.LBB89_1973:
	v_cmp_neq_f32_e32 vcc, 0, v4
	s_mov_b64 s[8:9], -1
	s_nop 0
	v_cndmask_b32_e64 v5, 0, 1, vcc
	global_store_byte v[2:3], v5, off
.LBB89_1974:
	s_mov_b64 s[0:1], 0
	s_branch .LBB89_1976
.LBB89_1975:
	s_mov_b64 s[0:1], -1
	s_mov_b64 s[8:9], 0
.LBB89_1976:
	s_and_b64 vcc, exec, s[0:1]
	s_cbranch_vccz .LBB89_2015
; %bb.1977:
	s_and_b32 s6, 0xffff, s14
	s_cmp_lt_i32 s6, 5
	s_mov_b64 s[0:1], -1
	s_cbranch_scc1 .LBB89_1998
; %bb.1978:
	s_cmp_lt_i32 s6, 8
	s_cbranch_scc1 .LBB89_1988
; %bb.1979:
	s_cmp_lt_i32 s6, 9
	s_cbranch_scc1 .LBB89_1985
; %bb.1980:
	s_cmp_gt_i32 s6, 9
	s_cbranch_scc0 .LBB89_1982
; %bb.1981:
	v_mov_b32_e32 v8, 0
	v_cvt_f64_f32_e32 v[6:7], v4
	v_mov_b32_e32 v9, v8
	global_store_dwordx4 v[2:3], v[6:9], off
	s_mov_b64 s[0:1], 0
.LBB89_1982:
	s_andn2_b64 vcc, exec, s[0:1]
	s_cbranch_vccnz .LBB89_1984
; %bb.1983:
	v_mov_b32_e32 v5, 0
	global_store_dwordx2 v[2:3], v[4:5], off
.LBB89_1984:
	s_mov_b64 s[0:1], 0
.LBB89_1985:
	s_andn2_b64 vcc, exec, s[0:1]
	s_cbranch_vccnz .LBB89_1987
; %bb.1986:
	v_cvt_f16_f32_e32 v5, v4
	global_store_dword v[2:3], v5, off
.LBB89_1987:
	s_mov_b64 s[0:1], 0
.LBB89_1988:
	s_andn2_b64 vcc, exec, s[0:1]
	s_cbranch_vccnz .LBB89_1997
; %bb.1989:
	s_cmp_lt_i32 s6, 6
	s_mov_b64 s[0:1], -1
	s_cbranch_scc1 .LBB89_1995
; %bb.1990:
	s_cmp_gt_i32 s6, 6
	s_cbranch_scc0 .LBB89_1992
; %bb.1991:
	v_cvt_f64_f32_e32 v[6:7], v4
	global_store_dwordx2 v[2:3], v[6:7], off
	s_mov_b64 s[0:1], 0
.LBB89_1992:
	s_andn2_b64 vcc, exec, s[0:1]
	s_cbranch_vccnz .LBB89_1994
; %bb.1993:
	global_store_dword v[2:3], v4, off
.LBB89_1994:
	s_mov_b64 s[0:1], 0
.LBB89_1995:
	s_andn2_b64 vcc, exec, s[0:1]
	s_cbranch_vccnz .LBB89_1997
; %bb.1996:
	v_cvt_f16_f32_e32 v5, v4
	global_store_short v[2:3], v5, off
.LBB89_1997:
	s_mov_b64 s[0:1], 0
.LBB89_1998:
	s_andn2_b64 vcc, exec, s[0:1]
	s_cbranch_vccnz .LBB89_2014
; %bb.1999:
	s_cmp_lt_i32 s6, 2
	s_mov_b64 s[0:1], -1
	s_cbranch_scc1 .LBB89_2009
; %bb.2000:
	s_cmp_lt_i32 s6, 3
	s_cbranch_scc1 .LBB89_2006
; %bb.2001:
	s_cmp_gt_i32 s6, 3
	s_cbranch_scc0 .LBB89_2003
; %bb.2002:
	v_trunc_f32_e32 v5, v4
	s_mov_b32 s0, 0x2f800000
	v_mul_f32_e64 v6, |v5|, s0
	v_floor_f32_e32 v6, v6
	s_mov_b32 s0, 0xcf800000
	v_cvt_u32_f32_e32 v7, v6
	v_fma_f32 v6, v6, s0, |v5|
	v_cvt_u32_f32_e32 v6, v6
	v_ashrrev_i32_e32 v5, 31, v5
	v_xor_b32_e32 v7, v7, v5
	s_mov_b64 s[0:1], 0
	v_xor_b32_e32 v6, v6, v5
	v_sub_co_u32_e32 v6, vcc, v6, v5
	s_nop 1
	v_subb_co_u32_e32 v7, vcc, v7, v5, vcc
	global_store_dwordx2 v[2:3], v[6:7], off
.LBB89_2003:
	s_andn2_b64 vcc, exec, s[0:1]
	s_cbranch_vccnz .LBB89_2005
; %bb.2004:
	v_cvt_i32_f32_e32 v5, v4
	global_store_dword v[2:3], v5, off
.LBB89_2005:
	s_mov_b64 s[0:1], 0
.LBB89_2006:
	s_andn2_b64 vcc, exec, s[0:1]
	s_cbranch_vccnz .LBB89_2008
; %bb.2007:
	v_cvt_i32_f32_e32 v5, v4
	global_store_short v[2:3], v5, off
.LBB89_2008:
	s_mov_b64 s[0:1], 0
.LBB89_2009:
	s_andn2_b64 vcc, exec, s[0:1]
	s_cbranch_vccnz .LBB89_2014
; %bb.2010:
	s_cmp_gt_i32 s6, 0
	s_mov_b64 s[0:1], -1
	s_cbranch_scc0 .LBB89_2012
; %bb.2011:
	v_cvt_i32_f32_e32 v5, v4
	s_mov_b64 s[0:1], 0
	global_store_byte v[2:3], v5, off
.LBB89_2012:
	s_andn2_b64 vcc, exec, s[0:1]
	s_cbranch_vccnz .LBB89_2014
; %bb.2013:
	v_trunc_f32_e32 v4, v4
	s_mov_b32 s0, 0x2f800000
	v_mul_f32_e64 v5, |v4|, s0
	v_floor_f32_e32 v5, v5
	s_mov_b32 s0, 0xcf800000
	v_fma_f32 v5, v5, s0, |v4|
	v_cvt_u32_f32_e32 v5, v5
	v_ashrrev_i32_e32 v4, 31, v4
	v_xor_b32_e32 v5, v5, v4
	v_sub_u32_e32 v4, v5, v4
	global_store_byte v[2:3], v4, off
.LBB89_2014:
	s_mov_b64 s[8:9], -1
.LBB89_2015:
	s_andn2_b64 vcc, exec, s[8:9]
	s_cbranch_vccnz .LBB89_2092
; %bb.2016:
	v_mul_f32_e32 v2, 0x3fb8aa3b, v1
	s_mov_b32 s0, 0x3fb8aa3b
	v_rndne_f32_e32 v3, v2
	v_sub_f32_e32 v4, v2, v3
	v_fma_f32 v2, v1, s0, -v2
	v_fmamk_f32 v2, v1, 0x32a5705f, v2
	v_add_f32_e32 v2, v4, v2
	v_exp_f32_e32 v2, v2
	v_cvt_i32_f32_e32 v3, v3
	s_mov_b32 s0, 0xc2ce8ed0
	v_cmp_ngt_f32_e32 vcc, s0, v1
	s_mov_b32 s0, 0x42b17218
	v_ldexp_f32 v2, v2, v3
	v_cndmask_b32_e32 v2, 0, v2, vcc
	v_mov_b32_e32 v3, 0x7f800000
	v_cmp_nlt_f32_e32 vcc, s0, v1
	v_mov_b32_e32 v1, 0
	s_cmp_lt_i32 s14, 11
	v_cndmask_b32_e32 v2, v3, v2, vcc
	v_lshl_add_u64 v[0:1], s[4:5], 0, v[0:1]
	s_cbranch_scc1 .LBB89_2137
; %bb.2017:
	s_and_b32 s12, 0xffff, s14
	s_mov_b64 s[6:7], -1
	s_mov_b64 s[4:5], 0
	s_cmp_gt_i32 s12, 25
	s_mov_b64 s[0:1], 0
	s_cbranch_scc0 .LBB89_2050
; %bb.2018:
	s_cmp_gt_i32 s12, 28
	s_cbranch_scc0 .LBB89_2034
; %bb.2019:
	s_cmp_gt_i32 s12, 43
	;; [unrolled: 3-line block ×3, first 2 shown]
	s_cbranch_scc0 .LBB89_2024
; %bb.2021:
	s_cmp_eq_u32 s12, 46
	s_mov_b64 s[0:1], -1
	s_cbranch_scc0 .LBB89_2023
; %bb.2022:
	v_bfe_u32 v3, v2, 16, 1
	s_movk_i32 s0, 0x7fff
	v_add3_u32 v3, v2, v3, s0
	v_cmp_o_f32_e32 vcc, v2, v2
	v_mov_b32_e32 v4, 0x7fc0
	s_mov_b64 s[0:1], 0
	v_cndmask_b32_sdwa v3, v4, v3, vcc dst_sel:DWORD dst_unused:UNUSED_PAD src0_sel:DWORD src1_sel:WORD_1
	global_store_dword v[0:1], v3, off
.LBB89_2023:
	s_mov_b64 s[6:7], 0
.LBB89_2024:
	s_and_b64 vcc, exec, s[6:7]
	s_cbranch_vccz .LBB89_2029
; %bb.2025:
	s_cmp_eq_u32 s12, 44
	s_mov_b64 s[0:1], -1
	s_cbranch_scc0 .LBB89_2029
; %bb.2026:
	v_bfe_u32 v3, v2, 23, 8
	s_movk_i32 s0, 0xff
	v_cmp_ne_u32_e32 vcc, s0, v3
	v_mov_b32_e32 v4, 0xff
	s_and_saveexec_b64 s[6:7], vcc
; %bb.2027:
	s_mov_b32 s0, 0x3fffff
	v_and_b32_e32 v5, 0x400000, v2
	v_and_or_b32 v3, v2, s0, v3
	v_cmp_ne_u32_e32 vcc, 0, v5
	v_cmp_ne_u32_e64 s[0:1], 0, v3
	s_and_b64 s[0:1], vcc, s[0:1]
	v_lshrrev_b32_e32 v4, 23, v2
	v_cndmask_b32_e64 v3, 0, 1, s[0:1]
	v_add_u32_e32 v4, v4, v3
; %bb.2028:
	s_or_b64 exec, exec, s[6:7]
	s_mov_b64 s[0:1], 0
	global_store_byte v[0:1], v4, off
.LBB89_2029:
	s_mov_b64 s[6:7], 0
.LBB89_2030:
	s_and_b64 vcc, exec, s[6:7]
	s_cbranch_vccz .LBB89_2033
; %bb.2031:
	s_cmp_eq_u32 s12, 29
	s_mov_b64 s[0:1], -1
	s_cbranch_scc0 .LBB89_2033
; %bb.2032:
	v_trunc_f32_e32 v3, v2
	v_mul_f32_e32 v4, 0x2f800000, v3
	v_floor_f32_e32 v4, v4
	v_fmamk_f32 v3, v4, 0xcf800000, v3
	v_cvt_u32_f32_e32 v5, v4
	v_cvt_u32_f32_e32 v4, v3
	s_mov_b64 s[0:1], 0
	global_store_dwordx2 v[0:1], v[4:5], off
.LBB89_2033:
	s_mov_b64 s[6:7], 0
.LBB89_2034:
	s_and_b64 vcc, exec, s[6:7]
	s_cbranch_vccz .LBB89_2049
; %bb.2035:
	s_cmp_lt_i32 s12, 27
	s_mov_b64 s[6:7], -1
	s_cbranch_scc1 .LBB89_2041
; %bb.2036:
	s_cmp_gt_i32 s12, 27
	s_cbranch_scc0 .LBB89_2038
; %bb.2037:
	v_cvt_u32_f32_e32 v3, v2
	s_mov_b64 s[6:7], 0
	global_store_dword v[0:1], v3, off
.LBB89_2038:
	s_andn2_b64 vcc, exec, s[6:7]
	s_cbranch_vccnz .LBB89_2040
; %bb.2039:
	v_cvt_u32_f32_e32 v3, v2
	global_store_short v[0:1], v3, off
.LBB89_2040:
	s_mov_b64 s[6:7], 0
.LBB89_2041:
	s_andn2_b64 vcc, exec, s[6:7]
	s_cbranch_vccnz .LBB89_2049
; %bb.2042:
	v_and_b32_e32 v3, 0x7fffffff, v2
	s_mov_b32 s6, 0x43800000
	v_cmp_gt_u32_e32 vcc, s6, v3
	v_mov_b32_e32 v4, 0x80
	s_and_saveexec_b64 s[6:7], vcc
	s_cbranch_execz .LBB89_2048
; %bb.2043:
	s_mov_b32 s8, 0x3bffffff
	v_cmp_lt_u32_e32 vcc, s8, v3
	s_mov_b64 s[8:9], 0
                                        ; implicit-def: $vgpr3
	s_and_saveexec_b64 s[10:11], vcc
	s_xor_b64 s[10:11], exec, s[10:11]
	s_cbranch_execz .LBB89_2154
; %bb.2044:
	v_bfe_u32 v3, v2, 20, 1
	s_mov_b32 s13, 0x487ffff
	v_add3_u32 v3, v2, v3, s13
	s_mov_b64 s[8:9], exec
	v_lshrrev_b32_e32 v3, 20, v3
	s_andn2_saveexec_b64 s[10:11], s[10:11]
	s_cbranch_execnz .LBB89_2155
.LBB89_2045:
	s_or_b64 exec, exec, s[10:11]
	v_mov_b32_e32 v4, 0
	s_and_saveexec_b64 s[10:11], s[8:9]
.LBB89_2046:
	v_lshrrev_b32_e32 v4, 24, v2
	s_movk_i32 s8, 0x80
	v_and_or_b32 v4, v4, s8, v3
.LBB89_2047:
	s_or_b64 exec, exec, s[10:11]
.LBB89_2048:
	s_or_b64 exec, exec, s[6:7]
	global_store_byte v[0:1], v4, off
.LBB89_2049:
	s_mov_b64 s[6:7], 0
.LBB89_2050:
	s_and_b64 vcc, exec, s[6:7]
	s_cbranch_vccz .LBB89_2090
; %bb.2051:
	s_cmp_gt_i32 s12, 22
	s_mov_b64 s[4:5], -1
	s_cbranch_scc0 .LBB89_2083
; %bb.2052:
	s_cmp_lt_i32 s12, 24
	s_cbranch_scc1 .LBB89_2072
; %bb.2053:
	s_cmp_gt_i32 s12, 24
	s_cbranch_scc0 .LBB89_2061
; %bb.2054:
	v_and_b32_e32 v3, 0x7fffffff, v2
	s_mov_b32 s4, 0x47800000
	v_cmp_gt_u32_e32 vcc, s4, v3
	v_mov_b32_e32 v4, 0x80
	s_and_saveexec_b64 s[4:5], vcc
	s_cbranch_execz .LBB89_2060
; %bb.2055:
	s_mov_b32 s6, 0x37ffffff
	v_cmp_lt_u32_e32 vcc, s6, v3
	s_mov_b64 s[6:7], 0
                                        ; implicit-def: $vgpr3
	s_and_saveexec_b64 s[8:9], vcc
	s_xor_b64 s[8:9], exec, s[8:9]
	s_cbranch_execz .LBB89_2157
; %bb.2056:
	v_bfe_u32 v3, v2, 21, 1
	s_mov_b32 s10, 0x88fffff
	v_add3_u32 v3, v2, v3, s10
	s_mov_b64 s[6:7], exec
	v_lshrrev_b32_e32 v3, 21, v3
	s_andn2_saveexec_b64 s[8:9], s[8:9]
	s_cbranch_execnz .LBB89_2158
.LBB89_2057:
	s_or_b64 exec, exec, s[8:9]
	v_mov_b32_e32 v4, 0
	s_and_saveexec_b64 s[8:9], s[6:7]
.LBB89_2058:
	v_lshrrev_b32_e32 v4, 24, v2
	s_movk_i32 s6, 0x80
	v_and_or_b32 v4, v4, s6, v3
.LBB89_2059:
	s_or_b64 exec, exec, s[8:9]
.LBB89_2060:
	s_or_b64 exec, exec, s[4:5]
	s_mov_b64 s[4:5], 0
	global_store_byte v[0:1], v4, off
.LBB89_2061:
	s_and_b64 vcc, exec, s[4:5]
	s_cbranch_vccz .LBB89_2071
; %bb.2062:
	v_and_b32_e32 v4, 0x7fffffff, v2
	s_mov_b32 s4, 0x43f00000
	v_cmp_gt_u32_e32 vcc, s4, v4
                                        ; implicit-def: $vgpr3
	s_and_saveexec_b64 s[4:5], vcc
	s_xor_b64 s[4:5], exec, s[4:5]
	s_cbranch_execz .LBB89_2068
; %bb.2063:
	s_mov_b32 s6, 0x3c7fffff
	v_cmp_lt_u32_e32 vcc, s6, v4
                                        ; implicit-def: $vgpr3
	s_and_saveexec_b64 s[6:7], vcc
	s_xor_b64 s[6:7], exec, s[6:7]
; %bb.2064:
	v_bfe_u32 v3, v2, 20, 1
	s_mov_b32 s8, 0x407ffff
	v_add3_u32 v3, v2, v3, s8
	v_lshrrev_b32_e32 v4, 20, v3
	v_and_b32_e32 v3, 0xff00000, v3
	s_mov_b32 s8, 0x7f00000
	v_mov_b32_e32 v5, 0x7e
	v_cmp_ne_u32_e32 vcc, s8, v3
	s_nop 1
	v_cndmask_b32_e32 v3, v5, v4, vcc
; %bb.2065:
	s_andn2_saveexec_b64 s[6:7], s[6:7]
; %bb.2066:
	s_mov_b32 s8, 0x46800000
	v_add_f32_e64 v3, |v2|, s8
; %bb.2067:
	s_or_b64 exec, exec, s[6:7]
                                        ; implicit-def: $vgpr4
.LBB89_2068:
	s_andn2_saveexec_b64 s[4:5], s[4:5]
; %bb.2069:
	s_mov_b32 s6, 0x7f800000
	v_mov_b32_e32 v3, 0x7e
	v_mov_b32_e32 v5, 0x7f
	v_cmp_lt_u32_e32 vcc, s6, v4
	s_nop 1
	v_cndmask_b32_e32 v3, v3, v5, vcc
; %bb.2070:
	s_or_b64 exec, exec, s[4:5]
	v_lshrrev_b32_e32 v4, 24, v2
	s_movk_i32 s4, 0x80
	v_and_or_b32 v3, v4, s4, v3
	global_store_byte v[0:1], v3, off
.LBB89_2071:
	s_mov_b64 s[4:5], 0
.LBB89_2072:
	s_andn2_b64 vcc, exec, s[4:5]
	s_cbranch_vccnz .LBB89_2082
; %bb.2073:
	v_and_b32_e32 v4, 0x7fffffff, v2
	s_mov_b32 s4, 0x47800000
	v_cmp_gt_u32_e32 vcc, s4, v4
                                        ; implicit-def: $vgpr3
	s_and_saveexec_b64 s[4:5], vcc
	s_xor_b64 s[4:5], exec, s[4:5]
	s_cbranch_execz .LBB89_2079
; %bb.2074:
	s_mov_b32 s6, 0x387fffff
	v_cmp_lt_u32_e32 vcc, s6, v4
                                        ; implicit-def: $vgpr3
	s_and_saveexec_b64 s[6:7], vcc
	s_xor_b64 s[6:7], exec, s[6:7]
; %bb.2075:
	v_bfe_u32 v3, v2, 21, 1
	s_mov_b32 s8, 0x80fffff
	v_add3_u32 v3, v2, v3, s8
	v_lshrrev_b32_e32 v3, 21, v3
; %bb.2076:
	s_andn2_saveexec_b64 s[6:7], s[6:7]
; %bb.2077:
	s_mov_b32 s8, 0x43000000
	v_add_f32_e64 v3, |v2|, s8
; %bb.2078:
	s_or_b64 exec, exec, s[6:7]
                                        ; implicit-def: $vgpr4
.LBB89_2079:
	s_andn2_saveexec_b64 s[4:5], s[4:5]
; %bb.2080:
	s_mov_b32 s6, 0x7f800000
	v_mov_b32_e32 v3, 0x7c
	v_mov_b32_e32 v5, 0x7f
	v_cmp_lt_u32_e32 vcc, s6, v4
	s_nop 1
	v_cndmask_b32_e32 v3, v3, v5, vcc
; %bb.2081:
	s_or_b64 exec, exec, s[4:5]
	v_lshrrev_b32_e32 v4, 24, v2
	s_movk_i32 s4, 0x80
	v_and_or_b32 v3, v4, s4, v3
	global_store_byte v[0:1], v3, off
.LBB89_2082:
	s_mov_b64 s[4:5], 0
.LBB89_2083:
	s_andn2_b64 vcc, exec, s[4:5]
	s_mov_b64 s[4:5], 0
	s_cbranch_vccnz .LBB89_2090
; %bb.2084:
	s_cmp_gt_i32 s12, 14
	s_mov_b64 s[6:7], -1
	s_cbranch_scc0 .LBB89_2088
; %bb.2085:
	s_cmp_eq_u32 s12, 15
	s_mov_b64 s[0:1], -1
	s_cbranch_scc0 .LBB89_2087
; %bb.2086:
	v_bfe_u32 v3, v2, 16, 1
	s_movk_i32 s0, 0x7fff
	v_add3_u32 v3, v2, v3, s0
	v_cmp_o_f32_e32 vcc, v2, v2
	v_mov_b32_e32 v4, 0x7fc0
	s_mov_b64 s[0:1], 0
	v_cndmask_b32_sdwa v3, v4, v3, vcc dst_sel:DWORD dst_unused:UNUSED_PAD src0_sel:DWORD src1_sel:WORD_1
	global_store_short v[0:1], v3, off
.LBB89_2087:
	s_mov_b64 s[6:7], 0
.LBB89_2088:
	s_and_b64 vcc, exec, s[6:7]
	s_cbranch_vccz .LBB89_2090
; %bb.2089:
	s_cmp_lg_u32 s12, 11
	s_mov_b64 s[4:5], -1
	s_cselect_b64 s[0:1], -1, 0
.LBB89_2090:
	s_and_b64 vcc, exec, s[0:1]
	s_cbranch_vccnz .LBB89_2156
.LBB89_2091:
	s_mov_b64 s[0:1], 0
	s_branch .LBB89_2093
.LBB89_2092:
	s_mov_b64 s[0:1], 0
	s_mov_b64 s[4:5], 0
                                        ; implicit-def: $vgpr0_vgpr1
                                        ; implicit-def: $sgpr14
                                        ; implicit-def: $vgpr2
.LBB89_2093:
	s_and_b64 s[6:7], s[0:1], exec
	s_andn2_b64 s[0:1], s[24:25], exec
	s_and_b64 s[2:3], s[2:3], exec
	s_and_b64 s[40:41], s[4:5], exec
	s_or_b64 s[24:25], s[0:1], s[2:3]
.LBB89_2094:
	s_or_b64 exec, exec, s[26:27]
	s_and_saveexec_b64 s[0:1], s[24:25]
	s_cbranch_execz .LBB89_2097
; %bb.2095:
	; divergent unreachable
	s_or_b64 exec, exec, s[0:1]
	s_and_saveexec_b64 s[0:1], s[40:41]
	s_xor_b64 s[0:1], exec, s[0:1]
	s_cbranch_execnz .LBB89_2098
.LBB89_2096:
	s_or_b64 exec, exec, s[0:1]
	s_and_saveexec_b64 s[0:1], s[6:7]
	s_cbranch_execnz .LBB89_2099
	s_branch .LBB89_2136
.LBB89_2097:
	s_or_b64 exec, exec, s[0:1]
	s_and_saveexec_b64 s[0:1], s[40:41]
	s_xor_b64 s[0:1], exec, s[0:1]
	s_cbranch_execz .LBB89_2096
.LBB89_2098:
	v_cmp_neq_f32_e32 vcc, 0, v2
	s_waitcnt vmcnt(0)
	s_nop 0
	v_cndmask_b32_e64 v3, 0, 1, vcc
	global_store_byte v[0:1], v3, off
	s_or_b64 exec, exec, s[0:1]
	s_and_saveexec_b64 s[0:1], s[6:7]
	s_cbranch_execz .LBB89_2136
.LBB89_2099:
	s_sext_i32_i16 s2, s14
	s_cmp_lt_i32 s2, 5
	s_mov_b64 s[0:1], -1
	s_cbranch_scc1 .LBB89_2120
; %bb.2100:
	s_cmp_lt_i32 s2, 8
	s_cbranch_scc1 .LBB89_2110
; %bb.2101:
	s_cmp_lt_i32 s2, 9
	s_cbranch_scc1 .LBB89_2107
; %bb.2102:
	s_cmp_gt_i32 s2, 9
	s_cbranch_scc0 .LBB89_2104
; %bb.2103:
	v_mov_b32_e32 v6, 0
	s_waitcnt vmcnt(0)
	v_cvt_f64_f32_e32 v[4:5], v2
	v_mov_b32_e32 v7, v6
	global_store_dwordx4 v[0:1], v[4:7], off
	s_mov_b64 s[0:1], 0
.LBB89_2104:
	s_andn2_b64 vcc, exec, s[0:1]
	s_cbranch_vccnz .LBB89_2106
; %bb.2105:
	s_waitcnt vmcnt(0)
	v_mov_b32_e32 v3, 0
	global_store_dwordx2 v[0:1], v[2:3], off
.LBB89_2106:
	s_mov_b64 s[0:1], 0
.LBB89_2107:
	s_andn2_b64 vcc, exec, s[0:1]
	s_cbranch_vccnz .LBB89_2109
; %bb.2108:
	s_waitcnt vmcnt(0)
	v_cvt_f16_f32_e32 v3, v2
	global_store_dword v[0:1], v3, off
.LBB89_2109:
	s_mov_b64 s[0:1], 0
.LBB89_2110:
	s_andn2_b64 vcc, exec, s[0:1]
	s_cbranch_vccnz .LBB89_2119
; %bb.2111:
	s_sext_i32_i16 s2, s14
	s_cmp_lt_i32 s2, 6
	s_mov_b64 s[0:1], -1
	s_cbranch_scc1 .LBB89_2117
; %bb.2112:
	s_cmp_gt_i32 s2, 6
	s_cbranch_scc0 .LBB89_2114
; %bb.2113:
	s_waitcnt vmcnt(0)
	v_cvt_f64_f32_e32 v[4:5], v2
	global_store_dwordx2 v[0:1], v[4:5], off
	s_mov_b64 s[0:1], 0
.LBB89_2114:
	s_andn2_b64 vcc, exec, s[0:1]
	s_cbranch_vccnz .LBB89_2116
; %bb.2115:
	s_waitcnt vmcnt(0)
	global_store_dword v[0:1], v2, off
.LBB89_2116:
	s_mov_b64 s[0:1], 0
.LBB89_2117:
	s_andn2_b64 vcc, exec, s[0:1]
	s_cbranch_vccnz .LBB89_2119
; %bb.2118:
	s_waitcnt vmcnt(0)
	v_cvt_f16_f32_e32 v3, v2
	global_store_short v[0:1], v3, off
.LBB89_2119:
	s_mov_b64 s[0:1], 0
.LBB89_2120:
	s_andn2_b64 vcc, exec, s[0:1]
	s_cbranch_vccnz .LBB89_2136
; %bb.2121:
	s_sext_i32_i16 s2, s14
	s_cmp_lt_i32 s2, 2
	s_mov_b64 s[0:1], -1
	s_cbranch_scc1 .LBB89_2131
; %bb.2122:
	s_cmp_lt_i32 s2, 3
	s_cbranch_scc1 .LBB89_2128
; %bb.2123:
	s_cmp_gt_i32 s2, 3
	s_cbranch_scc0 .LBB89_2125
; %bb.2124:
	s_waitcnt vmcnt(0)
	v_trunc_f32_e32 v3, v2
	s_mov_b32 s0, 0x2f800000
	v_mul_f32_e64 v4, |v3|, s0
	v_floor_f32_e32 v4, v4
	s_mov_b32 s0, 0xcf800000
	v_cvt_u32_f32_e32 v5, v4
	v_fma_f32 v4, v4, s0, |v3|
	v_cvt_u32_f32_e32 v4, v4
	v_ashrrev_i32_e32 v3, 31, v3
	v_xor_b32_e32 v5, v5, v3
	s_mov_b64 s[0:1], 0
	v_xor_b32_e32 v4, v4, v3
	v_sub_co_u32_e32 v4, vcc, v4, v3
	s_nop 1
	v_subb_co_u32_e32 v5, vcc, v5, v3, vcc
	global_store_dwordx2 v[0:1], v[4:5], off
.LBB89_2125:
	s_andn2_b64 vcc, exec, s[0:1]
	s_cbranch_vccnz .LBB89_2127
; %bb.2126:
	s_waitcnt vmcnt(0)
	v_cvt_i32_f32_e32 v3, v2
	global_store_dword v[0:1], v3, off
.LBB89_2127:
	s_mov_b64 s[0:1], 0
.LBB89_2128:
	s_andn2_b64 vcc, exec, s[0:1]
	s_cbranch_vccnz .LBB89_2130
; %bb.2129:
	s_waitcnt vmcnt(0)
	v_cvt_i32_f32_e32 v3, v2
	global_store_short v[0:1], v3, off
.LBB89_2130:
	s_mov_b64 s[0:1], 0
.LBB89_2131:
	s_andn2_b64 vcc, exec, s[0:1]
	s_cbranch_vccnz .LBB89_2136
; %bb.2132:
	s_sext_i32_i16 s0, s14
	s_cmp_gt_i32 s0, 0
	s_mov_b64 s[0:1], -1
	s_cbranch_scc0 .LBB89_2134
; %bb.2133:
	s_waitcnt vmcnt(0)
	v_cvt_i32_f32_e32 v3, v2
	s_mov_b64 s[0:1], 0
	global_store_byte v[0:1], v3, off
.LBB89_2134:
	s_andn2_b64 vcc, exec, s[0:1]
	s_cbranch_vccnz .LBB89_2136
; %bb.2135:
	v_trunc_f32_e32 v2, v2
	s_mov_b32 s0, 0x2f800000
	s_waitcnt vmcnt(0)
	v_mul_f32_e64 v3, |v2|, s0
	v_floor_f32_e32 v3, v3
	s_mov_b32 s0, 0xcf800000
	v_fma_f32 v3, v3, s0, |v2|
	v_cvt_u32_f32_e32 v3, v3
	v_ashrrev_i32_e32 v2, 31, v2
	v_xor_b32_e32 v3, v3, v2
	v_sub_u32_e32 v2, v3, v2
	global_store_byte v[0:1], v2, off
	s_endpgm
.LBB89_2136:
	s_endpgm
.LBB89_2137:
	s_mov_b64 s[4:5], 0
	s_mov_b64 s[0:1], -1
	s_branch .LBB89_2093
.LBB89_2138:
	s_trap 2
	s_or_b64 s[2:3], s[2:3], exec
	s_cbranch_execz .LBB89_1607
	s_branch .LBB89_1608
.LBB89_2139:
	s_andn2_saveexec_b64 s[12:13], s[12:13]
	s_cbranch_execz .LBB89_1687
.LBB89_2140:
	s_mov_b32 s17, 0x46000000
	v_add_f32_e64 v9, |v8|, s17
	v_and_b32_e32 v9, 0xff, v9
	v_cmp_ne_u32_e32 vcc, 0, v9
	s_andn2_b64 s[10:11], s[10:11], exec
	s_and_b64 s[18:19], vcc, exec
	s_or_b64 s[10:11], s[10:11], s[18:19]
	s_or_b64 exec, exec, s[12:13]
	v_mov_b32_e32 v10, 0
	s_and_saveexec_b64 s[12:13], s[10:11]
	s_cbranch_execnz .LBB89_1688
	s_branch .LBB89_1689
.LBB89_2141:
	s_trap 2
	s_or_b64 s[2:3], s[2:3], exec
	s_cbranch_execz .LBB89_1735
	s_branch .LBB89_1736
.LBB89_2142:
	s_andn2_saveexec_b64 s[10:11], s[10:11]
	s_cbranch_execz .LBB89_1700
.LBB89_2143:
	s_mov_b32 s12, 0x42800000
	v_add_f32_e64 v9, |v8|, s12
	v_and_b32_e32 v9, 0xff, v9
	v_cmp_ne_u32_e32 vcc, 0, v9
	s_andn2_b64 s[8:9], s[8:9], exec
	s_and_b64 s[12:13], vcc, exec
	s_or_b64 s[8:9], s[8:9], s[12:13]
	s_or_b64 exec, exec, s[10:11]
	v_mov_b32_e32 v10, 0
	s_and_saveexec_b64 s[10:11], s[8:9]
	s_cbranch_execnz .LBB89_1701
	s_branch .LBB89_1702
.LBB89_2144:
	s_andn2_saveexec_b64 s[12:13], s[12:13]
	s_cbranch_execz .LBB89_1806
.LBB89_2145:
	s_mov_b32 s16, 0x46000000
	v_add_f32_e64 v7, |v6|, s16
	v_and_b32_e32 v7, 0xff, v7
	v_cmp_ne_u32_e32 vcc, 0, v7
	s_andn2_b64 s[10:11], s[10:11], exec
	s_and_b64 s[16:17], vcc, exec
	s_or_b64 s[10:11], s[10:11], s[16:17]
	s_or_b64 exec, exec, s[12:13]
	v_mov_b32_e32 v8, 0
	s_and_saveexec_b64 s[12:13], s[10:11]
	s_cbranch_execnz .LBB89_1807
	s_branch .LBB89_1808
.LBB89_2146:
	s_trap 2
	s_or_b64 s[2:3], s[2:3], exec
	s_cbranch_execz .LBB89_1854
	s_branch .LBB89_1855
.LBB89_2147:
	s_andn2_saveexec_b64 s[10:11], s[10:11]
	s_cbranch_execz .LBB89_1819
.LBB89_2148:
	s_mov_b32 s12, 0x42800000
	v_add_f32_e64 v7, |v6|, s12
	v_and_b32_e32 v7, 0xff, v7
	v_cmp_ne_u32_e32 vcc, 0, v7
	s_andn2_b64 s[8:9], s[8:9], exec
	s_and_b64 s[12:13], vcc, exec
	s_or_b64 s[8:9], s[8:9], s[12:13]
	s_or_b64 exec, exec, s[10:11]
	v_mov_b32_e32 v8, 0
	s_and_saveexec_b64 s[10:11], s[8:9]
	s_cbranch_execnz .LBB89_1820
	s_branch .LBB89_1821
.LBB89_2149:
	s_andn2_saveexec_b64 s[12:13], s[12:13]
	s_cbranch_execz .LBB89_1925
.LBB89_2150:
	s_mov_b32 s16, 0x46000000
	v_add_f32_e64 v5, |v4|, s16
	v_and_b32_e32 v5, 0xff, v5
	v_cmp_ne_u32_e32 vcc, 0, v5
	s_andn2_b64 s[10:11], s[10:11], exec
	s_and_b64 s[16:17], vcc, exec
	s_or_b64 s[10:11], s[10:11], s[16:17]
	s_or_b64 exec, exec, s[12:13]
	v_mov_b32_e32 v6, 0
	s_and_saveexec_b64 s[12:13], s[10:11]
	s_cbranch_execnz .LBB89_1926
	s_branch .LBB89_1927
.LBB89_2151:
	s_trap 2
	s_or_b64 s[2:3], s[2:3], exec
	s_cbranch_execz .LBB89_1973
	s_branch .LBB89_1974
.LBB89_2152:
	s_andn2_saveexec_b64 s[10:11], s[10:11]
	s_cbranch_execz .LBB89_1938
.LBB89_2153:
	s_mov_b32 s12, 0x42800000
	v_add_f32_e64 v5, |v4|, s12
	v_and_b32_e32 v5, 0xff, v5
	v_cmp_ne_u32_e32 vcc, 0, v5
	s_andn2_b64 s[8:9], s[8:9], exec
	s_and_b64 s[12:13], vcc, exec
	s_or_b64 s[8:9], s[8:9], s[12:13]
	s_or_b64 exec, exec, s[10:11]
	v_mov_b32_e32 v6, 0
	s_and_saveexec_b64 s[10:11], s[8:9]
	s_cbranch_execnz .LBB89_1939
	s_branch .LBB89_1940
.LBB89_2154:
	s_andn2_saveexec_b64 s[10:11], s[10:11]
	s_cbranch_execz .LBB89_2045
.LBB89_2155:
	s_mov_b32 s13, 0x46000000
	v_add_f32_e64 v3, |v2|, s13
	v_and_b32_e32 v3, 0xff, v3
	v_cmp_ne_u32_e32 vcc, 0, v3
	s_andn2_b64 s[8:9], s[8:9], exec
	s_and_b64 s[16:17], vcc, exec
	s_or_b64 s[8:9], s[8:9], s[16:17]
	s_or_b64 exec, exec, s[10:11]
	v_mov_b32_e32 v4, 0
	s_and_saveexec_b64 s[10:11], s[8:9]
	s_cbranch_execnz .LBB89_2046
	s_branch .LBB89_2047
.LBB89_2156:
	s_mov_b64 s[4:5], 0
	s_or_b64 s[2:3], s[2:3], exec
	s_trap 2
	s_branch .LBB89_2091
.LBB89_2157:
	s_andn2_saveexec_b64 s[8:9], s[8:9]
	s_cbranch_execz .LBB89_2057
.LBB89_2158:
	s_mov_b32 s10, 0x42800000
	v_add_f32_e64 v3, |v2|, s10
	v_and_b32_e32 v3, 0xff, v3
	v_cmp_ne_u32_e32 vcc, 0, v3
	s_andn2_b64 s[6:7], s[6:7], exec
	s_and_b64 s[10:11], vcc, exec
	s_or_b64 s[6:7], s[6:7], s[10:11]
	s_or_b64 exec, exec, s[8:9]
	v_mov_b32_e32 v4, 0
	s_and_saveexec_b64 s[8:9], s[6:7]
	s_cbranch_execnz .LBB89_2058
	s_branch .LBB89_2059
	.section	.rodata,"a",@progbits
	.p2align	6, 0x0
	.amdhsa_kernel _ZN2at6native32elementwise_kernel_manual_unrollILi128ELi4EZNS0_15gpu_kernel_implIZZZNS0_15exp_kernel_cudaERNS_18TensorIteratorBaseEENKUlvE0_clEvENKUlvE0_clEvEUlfE_EEvS4_RKT_EUlibE0_EEviT1_
		.amdhsa_group_segment_fixed_size 0
		.amdhsa_private_segment_fixed_size 0
		.amdhsa_kernarg_size 360
		.amdhsa_user_sgpr_count 2
		.amdhsa_user_sgpr_dispatch_ptr 0
		.amdhsa_user_sgpr_queue_ptr 0
		.amdhsa_user_sgpr_kernarg_segment_ptr 1
		.amdhsa_user_sgpr_dispatch_id 0
		.amdhsa_user_sgpr_kernarg_preload_length 0
		.amdhsa_user_sgpr_kernarg_preload_offset 0
		.amdhsa_user_sgpr_private_segment_size 0
		.amdhsa_uses_dynamic_stack 0
		.amdhsa_enable_private_segment 0
		.amdhsa_system_sgpr_workgroup_id_x 1
		.amdhsa_system_sgpr_workgroup_id_y 0
		.amdhsa_system_sgpr_workgroup_id_z 0
		.amdhsa_system_sgpr_workgroup_info 0
		.amdhsa_system_vgpr_workitem_id 0
		.amdhsa_next_free_vgpr 18
		.amdhsa_next_free_sgpr 78
		.amdhsa_accum_offset 20
		.amdhsa_reserve_vcc 1
		.amdhsa_float_round_mode_32 0
		.amdhsa_float_round_mode_16_64 0
		.amdhsa_float_denorm_mode_32 3
		.amdhsa_float_denorm_mode_16_64 3
		.amdhsa_dx10_clamp 1
		.amdhsa_ieee_mode 1
		.amdhsa_fp16_overflow 0
		.amdhsa_tg_split 0
		.amdhsa_exception_fp_ieee_invalid_op 0
		.amdhsa_exception_fp_denorm_src 0
		.amdhsa_exception_fp_ieee_div_zero 0
		.amdhsa_exception_fp_ieee_overflow 0
		.amdhsa_exception_fp_ieee_underflow 0
		.amdhsa_exception_fp_ieee_inexact 0
		.amdhsa_exception_int_div_zero 0
	.end_amdhsa_kernel
	.section	.text._ZN2at6native32elementwise_kernel_manual_unrollILi128ELi4EZNS0_15gpu_kernel_implIZZZNS0_15exp_kernel_cudaERNS_18TensorIteratorBaseEENKUlvE0_clEvENKUlvE0_clEvEUlfE_EEvS4_RKT_EUlibE0_EEviT1_,"axG",@progbits,_ZN2at6native32elementwise_kernel_manual_unrollILi128ELi4EZNS0_15gpu_kernel_implIZZZNS0_15exp_kernel_cudaERNS_18TensorIteratorBaseEENKUlvE0_clEvENKUlvE0_clEvEUlfE_EEvS4_RKT_EUlibE0_EEviT1_,comdat
.Lfunc_end89:
	.size	_ZN2at6native32elementwise_kernel_manual_unrollILi128ELi4EZNS0_15gpu_kernel_implIZZZNS0_15exp_kernel_cudaERNS_18TensorIteratorBaseEENKUlvE0_clEvENKUlvE0_clEvEUlfE_EEvS4_RKT_EUlibE0_EEviT1_, .Lfunc_end89-_ZN2at6native32elementwise_kernel_manual_unrollILi128ELi4EZNS0_15gpu_kernel_implIZZZNS0_15exp_kernel_cudaERNS_18TensorIteratorBaseEENKUlvE0_clEvENKUlvE0_clEvEUlfE_EEvS4_RKT_EUlibE0_EEviT1_
                                        ; -- End function
	.set _ZN2at6native32elementwise_kernel_manual_unrollILi128ELi4EZNS0_15gpu_kernel_implIZZZNS0_15exp_kernel_cudaERNS_18TensorIteratorBaseEENKUlvE0_clEvENKUlvE0_clEvEUlfE_EEvS4_RKT_EUlibE0_EEviT1_.num_vgpr, 18
	.set _ZN2at6native32elementwise_kernel_manual_unrollILi128ELi4EZNS0_15gpu_kernel_implIZZZNS0_15exp_kernel_cudaERNS_18TensorIteratorBaseEENKUlvE0_clEvENKUlvE0_clEvEUlfE_EEvS4_RKT_EUlibE0_EEviT1_.num_agpr, 0
	.set _ZN2at6native32elementwise_kernel_manual_unrollILi128ELi4EZNS0_15gpu_kernel_implIZZZNS0_15exp_kernel_cudaERNS_18TensorIteratorBaseEENKUlvE0_clEvENKUlvE0_clEvEUlfE_EEvS4_RKT_EUlibE0_EEviT1_.numbered_sgpr, 78
	.set _ZN2at6native32elementwise_kernel_manual_unrollILi128ELi4EZNS0_15gpu_kernel_implIZZZNS0_15exp_kernel_cudaERNS_18TensorIteratorBaseEENKUlvE0_clEvENKUlvE0_clEvEUlfE_EEvS4_RKT_EUlibE0_EEviT1_.num_named_barrier, 0
	.set _ZN2at6native32elementwise_kernel_manual_unrollILi128ELi4EZNS0_15gpu_kernel_implIZZZNS0_15exp_kernel_cudaERNS_18TensorIteratorBaseEENKUlvE0_clEvENKUlvE0_clEvEUlfE_EEvS4_RKT_EUlibE0_EEviT1_.private_seg_size, 0
	.set _ZN2at6native32elementwise_kernel_manual_unrollILi128ELi4EZNS0_15gpu_kernel_implIZZZNS0_15exp_kernel_cudaERNS_18TensorIteratorBaseEENKUlvE0_clEvENKUlvE0_clEvEUlfE_EEvS4_RKT_EUlibE0_EEviT1_.uses_vcc, 1
	.set _ZN2at6native32elementwise_kernel_manual_unrollILi128ELi4EZNS0_15gpu_kernel_implIZZZNS0_15exp_kernel_cudaERNS_18TensorIteratorBaseEENKUlvE0_clEvENKUlvE0_clEvEUlfE_EEvS4_RKT_EUlibE0_EEviT1_.uses_flat_scratch, 0
	.set _ZN2at6native32elementwise_kernel_manual_unrollILi128ELi4EZNS0_15gpu_kernel_implIZZZNS0_15exp_kernel_cudaERNS_18TensorIteratorBaseEENKUlvE0_clEvENKUlvE0_clEvEUlfE_EEvS4_RKT_EUlibE0_EEviT1_.has_dyn_sized_stack, 0
	.set _ZN2at6native32elementwise_kernel_manual_unrollILi128ELi4EZNS0_15gpu_kernel_implIZZZNS0_15exp_kernel_cudaERNS_18TensorIteratorBaseEENKUlvE0_clEvENKUlvE0_clEvEUlfE_EEvS4_RKT_EUlibE0_EEviT1_.has_recursion, 0
	.set _ZN2at6native32elementwise_kernel_manual_unrollILi128ELi4EZNS0_15gpu_kernel_implIZZZNS0_15exp_kernel_cudaERNS_18TensorIteratorBaseEENKUlvE0_clEvENKUlvE0_clEvEUlfE_EEvS4_RKT_EUlibE0_EEviT1_.has_indirect_call, 0
	.section	.AMDGPU.csdata,"",@progbits
; Kernel info:
; codeLenInByte = 38748
; TotalNumSgprs: 84
; NumVgprs: 18
; NumAgprs: 0
; TotalNumVgprs: 18
; ScratchSize: 0
; MemoryBound: 1
; FloatMode: 240
; IeeeMode: 1
; LDSByteSize: 0 bytes/workgroup (compile time only)
; SGPRBlocks: 10
; VGPRBlocks: 2
; NumSGPRsForWavesPerEU: 84
; NumVGPRsForWavesPerEU: 18
; AccumOffset: 20
; Occupancy: 8
; WaveLimiterHint : 1
; COMPUTE_PGM_RSRC2:SCRATCH_EN: 0
; COMPUTE_PGM_RSRC2:USER_SGPR: 2
; COMPUTE_PGM_RSRC2:TRAP_HANDLER: 0
; COMPUTE_PGM_RSRC2:TGID_X_EN: 1
; COMPUTE_PGM_RSRC2:TGID_Y_EN: 0
; COMPUTE_PGM_RSRC2:TGID_Z_EN: 0
; COMPUTE_PGM_RSRC2:TIDIG_COMP_CNT: 0
; COMPUTE_PGM_RSRC3_GFX90A:ACCUM_OFFSET: 4
; COMPUTE_PGM_RSRC3_GFX90A:TG_SPLIT: 0
	.section	.text._ZN2at6native29vectorized_elementwise_kernelILi16EZZZNS0_15exp_kernel_cudaERNS_18TensorIteratorBaseEENKUlvE0_clEvENKUlvE1_clEvEUlN3c104HalfEE_St5arrayIPcLm2EEEEviT0_T1_,"axG",@progbits,_ZN2at6native29vectorized_elementwise_kernelILi16EZZZNS0_15exp_kernel_cudaERNS_18TensorIteratorBaseEENKUlvE0_clEvENKUlvE1_clEvEUlN3c104HalfEE_St5arrayIPcLm2EEEEviT0_T1_,comdat
	.globl	_ZN2at6native29vectorized_elementwise_kernelILi16EZZZNS0_15exp_kernel_cudaERNS_18TensorIteratorBaseEENKUlvE0_clEvENKUlvE1_clEvEUlN3c104HalfEE_St5arrayIPcLm2EEEEviT0_T1_ ; -- Begin function _ZN2at6native29vectorized_elementwise_kernelILi16EZZZNS0_15exp_kernel_cudaERNS_18TensorIteratorBaseEENKUlvE0_clEvENKUlvE1_clEvEUlN3c104HalfEE_St5arrayIPcLm2EEEEviT0_T1_
	.p2align	8
	.type	_ZN2at6native29vectorized_elementwise_kernelILi16EZZZNS0_15exp_kernel_cudaERNS_18TensorIteratorBaseEENKUlvE0_clEvENKUlvE1_clEvEUlN3c104HalfEE_St5arrayIPcLm2EEEEviT0_T1_,@function
_ZN2at6native29vectorized_elementwise_kernelILi16EZZZNS0_15exp_kernel_cudaERNS_18TensorIteratorBaseEENKUlvE0_clEvENKUlvE1_clEvEUlN3c104HalfEE_St5arrayIPcLm2EEEEviT0_T1_: ; @_ZN2at6native29vectorized_elementwise_kernelILi16EZZZNS0_15exp_kernel_cudaERNS_18TensorIteratorBaseEENKUlvE0_clEvENKUlvE1_clEvEUlN3c104HalfEE_St5arrayIPcLm2EEEEviT0_T1_
; %bb.0:
	s_load_dword s3, s[0:1], 0x0
	s_load_dwordx4 s[4:7], s[0:1], 0x8
	s_lshl_b32 s2, s2, 11
	s_mov_b64 s[0:1], -1
	s_waitcnt lgkmcnt(0)
	s_sub_i32 s10, s3, s2
	s_cmpk_gt_i32 s10, 0x7ff
	s_cbranch_scc0 .LBB90_2
; %bb.1:
	s_ashr_i32 s3, s2, 31
	s_lshl_b64 s[0:1], s[2:3], 1
	s_add_u32 s8, s6, s0
	s_addc_u32 s9, s7, s1
	v_lshlrev_b32_e32 v1, 4, v0
	global_load_dwordx4 v[2:5], v1, s[8:9]
	s_mov_b32 s3, 0x3fb8aa3b
	s_mov_b32 s8, 0x32a5705f
	;; [unrolled: 1-line block ×4, first 2 shown]
	v_mov_b32_e32 v6, 0x7f800000
	s_add_u32 s0, s4, s0
	s_addc_u32 s1, s5, s1
	s_waitcnt vmcnt(0)
	v_cvt_f32_f16_e32 v7, v2
	v_cvt_f32_f16_sdwa v8, v2 dst_sel:DWORD dst_unused:UNUSED_PAD src0_sel:WORD_1
	v_cvt_f32_f16_e32 v9, v3
	v_cvt_f32_f16_sdwa v10, v3 dst_sel:DWORD dst_unused:UNUSED_PAD src0_sel:WORD_1
	v_cvt_f32_f16_e32 v11, v4
	v_mul_f32_e32 v14, 0x3fb8aa3b, v7
	v_cvt_f32_f16_sdwa v12, v4 dst_sel:DWORD dst_unused:UNUSED_PAD src0_sel:WORD_1
	v_mul_f32_e32 v15, 0x3fb8aa3b, v8
	v_fma_mix_f32 v21, v2, s3, -v14 op_sel_hi:[1,0,0]
	v_rndne_f32_e32 v22, v14
	v_mul_f32_e32 v16, 0x3fb8aa3b, v9
	v_fma_mix_f32 v23, v2, s3, -v15 op_sel:[1,0,0] op_sel_hi:[1,0,0]
	v_rndne_f32_e32 v24, v15
	v_fma_mix_f32 v21, v2, s8, v21 op_sel_hi:[1,0,0]
	v_sub_f32_e32 v14, v14, v22
	v_mul_f32_e32 v17, 0x3fb8aa3b, v10
	v_fma_mix_f32 v25, v3, s3, -v16 op_sel_hi:[1,0,0]
	v_rndne_f32_e32 v26, v16
	v_fma_mix_f32 v2, v2, s8, v23 op_sel:[1,0,0] op_sel_hi:[1,0,0]
	v_sub_f32_e32 v15, v15, v24
	v_add_f32_e32 v14, v14, v21
	v_mul_f32_e32 v18, 0x3fb8aa3b, v11
	v_fma_mix_f32 v27, v3, s3, -v17 op_sel:[1,0,0] op_sel_hi:[1,0,0]
	v_rndne_f32_e32 v28, v17
	v_cvt_i32_f32_e32 v22, v22
	v_cvt_i32_f32_e32 v23, v24
	v_fma_mix_f32 v24, v3, s8, v25 op_sel_hi:[1,0,0]
	v_sub_f32_e32 v16, v16, v26
	v_add_f32_e32 v2, v15, v2
	v_exp_f32_e32 v14, v14
	v_mul_f32_e32 v19, 0x3fb8aa3b, v12
	v_fma_mix_f32 v29, v4, s3, -v18 op_sel_hi:[1,0,0]
	v_rndne_f32_e32 v30, v18
	v_fma_mix_f32 v3, v3, s8, v27 op_sel:[1,0,0] op_sel_hi:[1,0,0]
	v_sub_f32_e32 v17, v17, v28
	v_add_f32_e32 v15, v16, v24
	v_exp_f32_e32 v2, v2
	v_fma_mix_f32 v31, v4, s3, -v19 op_sel:[1,0,0] op_sel_hi:[1,0,0]
	v_rndne_f32_e32 v32, v19
	v_cvt_i32_f32_e32 v25, v26
	v_fma_mix_f32 v27, v4, s8, v29 op_sel_hi:[1,0,0]
	v_sub_f32_e32 v18, v18, v30
	v_add_f32_e32 v3, v17, v3
	v_exp_f32_e32 v15, v15
	v_cvt_i32_f32_e32 v26, v28
	v_fma_mix_f32 v4, v4, s8, v31 op_sel:[1,0,0] op_sel_hi:[1,0,0]
	v_sub_f32_e32 v19, v19, v32
	v_add_f32_e32 v16, v18, v27
	v_exp_f32_e32 v3, v3
	v_cvt_i32_f32_e32 v28, v30
	v_add_f32_e32 v4, v19, v4
	v_exp_f32_e32 v16, v16
	v_ldexp_f32 v14, v14, v22
	v_cmp_ngt_f32_e32 vcc, s9, v7
	v_cvt_i32_f32_e32 v29, v32
	v_exp_f32_e32 v4, v4
	v_ldexp_f32 v2, v2, v23
	v_cndmask_b32_e32 v14, 0, v14, vcc
	v_cmp_ngt_f32_e32 vcc, s9, v8
	v_cvt_f32_f16_e32 v13, v5
	v_ldexp_f32 v15, v15, v25
	v_cndmask_b32_e32 v2, 0, v2, vcc
	v_cmp_ngt_f32_e32 vcc, s9, v9
	v_ldexp_f32 v3, v3, v26
	v_ldexp_f32 v16, v16, v28
	v_cndmask_b32_e32 v15, 0, v15, vcc
	v_cmp_ngt_f32_e32 vcc, s9, v10
	v_ldexp_f32 v4, v4, v29
	v_mul_f32_e32 v20, 0x3fb8aa3b, v13
	v_cndmask_b32_e32 v3, 0, v3, vcc
	v_cmp_ngt_f32_e32 vcc, s9, v11
	v_fma_mix_f32 v33, v5, s3, -v20 op_sel_hi:[1,0,0]
	v_rndne_f32_e32 v34, v20
	v_cndmask_b32_e32 v16, 0, v16, vcc
	v_cmp_ngt_f32_e32 vcc, s9, v12
	v_fma_mix_f32 v30, v5, s8, v33 op_sel_hi:[1,0,0]
	v_sub_f32_e32 v20, v20, v34
	v_cndmask_b32_e32 v4, 0, v4, vcc
	v_cmp_nlt_f32_e32 vcc, s11, v7
	s_nop 1
	v_cndmask_b32_e32 v7, v6, v14, vcc
	v_cmp_nlt_f32_e32 vcc, s11, v8
	v_cvt_f32_f16_sdwa v14, v5 dst_sel:DWORD dst_unused:UNUSED_PAD src0_sel:WORD_1
	s_nop 0
	v_cndmask_b32_e32 v2, v6, v2, vcc
	v_cmp_nlt_f32_e32 vcc, s11, v9
	v_cvt_pk_f16_f32 v2, v7, v2
	s_nop 0
	v_cndmask_b32_e32 v8, v6, v15, vcc
	v_cmp_nlt_f32_e32 vcc, s11, v10
	v_add_f32_e32 v10, v20, v30
	v_exp_f32_e32 v10, v10
	v_cndmask_b32_e32 v3, v6, v3, vcc
	v_cmp_nlt_f32_e32 vcc, s11, v11
	v_cvt_i32_f32_e32 v11, v34
	v_cvt_pk_f16_f32 v3, v8, v3
	v_cndmask_b32_e32 v9, v6, v16, vcc
	v_cmp_nlt_f32_e32 vcc, s11, v12
	v_ldexp_f32 v10, v10, v11
	v_mul_f32_e32 v11, 0x3fb8aa3b, v14
	v_fma_mix_f32 v12, v5, s3, -v11 op_sel:[1,0,0] op_sel_hi:[1,0,0]
	v_cndmask_b32_e32 v4, v6, v4, vcc
	v_fma_mix_f32 v5, v5, s8, v12 op_sel:[1,0,0] op_sel_hi:[1,0,0]
	v_rndne_f32_e32 v12, v11
	v_sub_f32_e32 v11, v11, v12
	v_add_f32_e32 v5, v11, v5
	v_exp_f32_e32 v5, v5
	v_cvt_i32_f32_e32 v11, v12
	v_cmp_ngt_f32_e32 vcc, s9, v13
	v_cvt_pk_f16_f32 v4, v9, v4
	v_ldexp_f32 v5, v5, v11
	v_cndmask_b32_e32 v10, 0, v10, vcc
	v_cmp_nlt_f32_e32 vcc, s11, v13
	s_nop 1
	v_cndmask_b32_e32 v10, v6, v10, vcc
	v_cmp_ngt_f32_e32 vcc, s9, v14
	s_nop 1
	v_cndmask_b32_e32 v5, 0, v5, vcc
	v_cmp_nlt_f32_e32 vcc, s11, v14
	s_nop 1
	v_cndmask_b32_e32 v5, v6, v5, vcc
	v_cvt_pk_f16_f32 v5, v10, v5
	global_store_dwordx4 v1, v[2:5], s[0:1]
	s_mov_b64 s[0:1], 0
.LBB90_2:
	s_andn2_b64 vcc, exec, s[0:1]
	s_cbranch_vccnz .LBB90_26
; %bb.3:
	v_cmp_gt_i32_e32 vcc, s10, v0
	v_mov_b32_e32 v1, 0x3c00
	v_or_b32_e32 v2, s2, v0
	v_mov_b32_e32 v4, 0x3c00
	v_mov_b32_e32 v3, v0
	s_and_saveexec_b64 s[8:9], vcc
	s_cbranch_execz .LBB90_5
; %bb.4:
	v_mov_b32_e32 v3, 0
	v_lshl_add_u64 v[4:5], v[2:3], 1, s[6:7]
	global_load_ushort v3, v[4:5], off
	s_mov_b32 s0, 0x3fb8aa3b
	s_mov_b32 s1, 0x32a5705f
	;; [unrolled: 1-line block ×3, first 2 shown]
	s_waitcnt vmcnt(0)
	v_cvt_f32_f16_e32 v4, v3
	v_mul_f32_e32 v5, 0x3fb8aa3b, v4
	v_fma_mix_f32 v6, v3, s0, -v5 op_sel_hi:[1,0,0]
	v_rndne_f32_e32 v7, v5
	v_fma_mix_f32 v3, v3, s1, v6 op_sel_hi:[1,0,0]
	v_sub_f32_e32 v5, v5, v7
	v_add_f32_e32 v3, v5, v3
	v_cvt_i32_f32_e32 v6, v7
	v_exp_f32_e32 v3, v3
	s_mov_b32 s0, 0xc2ce8ed0
	v_cmp_ngt_f32_e64 s[0:1], s0, v4
	v_mov_b32_e32 v5, 0x7f800000
	v_ldexp_f32 v3, v3, v6
	v_cndmask_b32_e64 v3, 0, v3, s[0:1]
	v_cmp_nlt_f32_e64 s[0:1], s3, v4
	s_nop 1
	v_cndmask_b32_e64 v3, v5, v3, s[0:1]
	v_cvt_f16_f32_e32 v4, v3
	v_or_b32_e32 v3, 0x100, v0
.LBB90_5:
	s_or_b64 exec, exec, s[8:9]
	v_cmp_gt_i32_e64 s[0:1], s10, v3
	s_and_saveexec_b64 s[8:9], s[0:1]
	s_cbranch_execz .LBB90_7
; %bb.6:
	v_add_u32_e32 v6, s2, v3
	v_mov_b32_e32 v7, 0
	v_lshl_add_u64 v[6:7], v[6:7], 1, s[6:7]
	global_load_ushort v1, v[6:7], off
	s_mov_b32 s0, 0x3fb8aa3b
	s_mov_b32 s1, 0x32a5705f
	;; [unrolled: 1-line block ×3, first 2 shown]
	v_add_u32_e32 v3, 0x100, v3
	s_waitcnt vmcnt(0)
	v_cvt_f32_f16_e32 v5, v1
	v_mul_f32_e32 v6, 0x3fb8aa3b, v5
	v_fma_mix_f32 v7, v1, s0, -v6 op_sel_hi:[1,0,0]
	v_rndne_f32_e32 v8, v6
	v_fma_mix_f32 v1, v1, s1, v7 op_sel_hi:[1,0,0]
	v_sub_f32_e32 v6, v6, v8
	v_add_f32_e32 v1, v6, v1
	v_cvt_i32_f32_e32 v7, v8
	v_exp_f32_e32 v1, v1
	s_mov_b32 s0, 0xc2ce8ed0
	v_cmp_ngt_f32_e64 s[0:1], s0, v5
	v_mov_b32_e32 v6, 0x7f800000
	v_ldexp_f32 v1, v1, v7
	v_cndmask_b32_e64 v1, 0, v1, s[0:1]
	v_cmp_nlt_f32_e64 s[0:1], s3, v5
	s_nop 1
	v_cndmask_b32_e64 v1, v6, v1, s[0:1]
	v_cvt_f16_f32_e32 v1, v1
.LBB90_7:
	s_or_b64 exec, exec, s[8:9]
	v_cmp_gt_i32_e64 s[0:1], s10, v3
	v_mov_b32_e32 v5, 0x3c00
	v_mov_b32_e32 v6, 0x3c00
	s_and_saveexec_b64 s[8:9], s[0:1]
	s_cbranch_execz .LBB90_9
; %bb.8:
	v_add_u32_e32 v6, s2, v3
	v_mov_b32_e32 v7, 0
	v_lshl_add_u64 v[6:7], v[6:7], 1, s[6:7]
	global_load_ushort v6, v[6:7], off
	s_mov_b32 s0, 0x3fb8aa3b
	s_mov_b32 s1, 0x32a5705f
	;; [unrolled: 1-line block ×3, first 2 shown]
	v_add_u32_e32 v3, 0x100, v3
	s_waitcnt vmcnt(0)
	v_cvt_f32_f16_e32 v7, v6
	v_mul_f32_e32 v8, 0x3fb8aa3b, v7
	v_fma_mix_f32 v9, v6, s0, -v8 op_sel_hi:[1,0,0]
	v_rndne_f32_e32 v10, v8
	v_fma_mix_f32 v6, v6, s1, v9 op_sel_hi:[1,0,0]
	v_sub_f32_e32 v8, v8, v10
	v_add_f32_e32 v6, v8, v6
	v_cvt_i32_f32_e32 v9, v10
	v_exp_f32_e32 v6, v6
	s_mov_b32 s0, 0xc2ce8ed0
	v_cmp_ngt_f32_e64 s[0:1], s0, v7
	v_mov_b32_e32 v8, 0x7f800000
	v_ldexp_f32 v6, v6, v9
	v_cndmask_b32_e64 v6, 0, v6, s[0:1]
	v_cmp_nlt_f32_e64 s[0:1], s3, v7
	s_nop 1
	v_cndmask_b32_e64 v6, v8, v6, s[0:1]
	v_cvt_f16_f32_e32 v6, v6
.LBB90_9:
	s_or_b64 exec, exec, s[8:9]
	v_cmp_gt_i32_e64 s[0:1], s10, v3
	s_and_saveexec_b64 s[8:9], s[0:1]
	s_cbranch_execz .LBB90_11
; %bb.10:
	v_add_u32_e32 v8, s2, v3
	v_mov_b32_e32 v9, 0
	v_lshl_add_u64 v[8:9], v[8:9], 1, s[6:7]
	global_load_ushort v5, v[8:9], off
	s_mov_b32 s0, 0x3fb8aa3b
	s_mov_b32 s1, 0x32a5705f
	;; [unrolled: 1-line block ×3, first 2 shown]
	v_add_u32_e32 v3, 0x100, v3
	s_waitcnt vmcnt(0)
	v_cvt_f32_f16_e32 v7, v5
	v_mul_f32_e32 v8, 0x3fb8aa3b, v7
	v_fma_mix_f32 v9, v5, s0, -v8 op_sel_hi:[1,0,0]
	v_rndne_f32_e32 v10, v8
	v_fma_mix_f32 v5, v5, s1, v9 op_sel_hi:[1,0,0]
	v_sub_f32_e32 v8, v8, v10
	v_add_f32_e32 v5, v8, v5
	v_cvt_i32_f32_e32 v9, v10
	v_exp_f32_e32 v5, v5
	s_mov_b32 s0, 0xc2ce8ed0
	v_cmp_ngt_f32_e64 s[0:1], s0, v7
	v_mov_b32_e32 v8, 0x7f800000
	v_ldexp_f32 v5, v5, v9
	v_cndmask_b32_e64 v5, 0, v5, s[0:1]
	v_cmp_nlt_f32_e64 s[0:1], s3, v7
	s_nop 1
	v_cndmask_b32_e64 v5, v8, v5, s[0:1]
	v_cvt_f16_f32_e32 v5, v5
.LBB90_11:
	s_or_b64 exec, exec, s[8:9]
	v_cmp_gt_i32_e64 s[0:1], s10, v3
	v_mov_b32_e32 v7, 0x3c00
	v_mov_b32_e32 v8, 0x3c00
	s_and_saveexec_b64 s[8:9], s[0:1]
	s_cbranch_execz .LBB90_13
; %bb.12:
	v_add_u32_e32 v8, s2, v3
	v_mov_b32_e32 v9, 0
	v_lshl_add_u64 v[8:9], v[8:9], 1, s[6:7]
	global_load_ushort v8, v[8:9], off
	s_mov_b32 s0, 0x3fb8aa3b
	s_mov_b32 s1, 0x32a5705f
	;; [unrolled: 1-line block ×3, first 2 shown]
	v_add_u32_e32 v3, 0x100, v3
	s_waitcnt vmcnt(0)
	v_cvt_f32_f16_e32 v9, v8
	v_mul_f32_e32 v10, 0x3fb8aa3b, v9
	v_fma_mix_f32 v11, v8, s0, -v10 op_sel_hi:[1,0,0]
	v_rndne_f32_e32 v12, v10
	v_fma_mix_f32 v8, v8, s1, v11 op_sel_hi:[1,0,0]
	v_sub_f32_e32 v10, v10, v12
	v_add_f32_e32 v8, v10, v8
	v_cvt_i32_f32_e32 v11, v12
	v_exp_f32_e32 v8, v8
	s_mov_b32 s0, 0xc2ce8ed0
	v_cmp_ngt_f32_e64 s[0:1], s0, v9
	v_mov_b32_e32 v10, 0x7f800000
	v_ldexp_f32 v8, v8, v11
	v_cndmask_b32_e64 v8, 0, v8, s[0:1]
	v_cmp_nlt_f32_e64 s[0:1], s3, v9
	s_nop 1
	v_cndmask_b32_e64 v8, v10, v8, s[0:1]
	v_cvt_f16_f32_e32 v8, v8
.LBB90_13:
	s_or_b64 exec, exec, s[8:9]
	v_cmp_gt_i32_e64 s[0:1], s10, v3
	s_and_saveexec_b64 s[8:9], s[0:1]
	s_cbranch_execz .LBB90_15
; %bb.14:
	v_add_u32_e32 v10, s2, v3
	v_mov_b32_e32 v11, 0
	v_lshl_add_u64 v[10:11], v[10:11], 1, s[6:7]
	global_load_ushort v7, v[10:11], off
	s_mov_b32 s0, 0x3fb8aa3b
	s_mov_b32 s1, 0x32a5705f
	;; [unrolled: 1-line block ×3, first 2 shown]
	v_add_u32_e32 v3, 0x100, v3
	s_waitcnt vmcnt(0)
	v_cvt_f32_f16_e32 v9, v7
	v_mul_f32_e32 v10, 0x3fb8aa3b, v9
	v_fma_mix_f32 v11, v7, s0, -v10 op_sel_hi:[1,0,0]
	v_rndne_f32_e32 v12, v10
	v_fma_mix_f32 v7, v7, s1, v11 op_sel_hi:[1,0,0]
	v_sub_f32_e32 v10, v10, v12
	v_add_f32_e32 v7, v10, v7
	v_cvt_i32_f32_e32 v11, v12
	v_exp_f32_e32 v7, v7
	s_mov_b32 s0, 0xc2ce8ed0
	v_cmp_ngt_f32_e64 s[0:1], s0, v9
	v_mov_b32_e32 v10, 0x7f800000
	v_ldexp_f32 v7, v7, v11
	v_cndmask_b32_e64 v7, 0, v7, s[0:1]
	v_cmp_nlt_f32_e64 s[0:1], s3, v9
	s_nop 1
	v_cndmask_b32_e64 v7, v10, v7, s[0:1]
	v_cvt_f16_f32_e32 v7, v7
.LBB90_15:
	s_or_b64 exec, exec, s[8:9]
	v_cmp_gt_i32_e64 s[0:1], s10, v3
	v_mov_b32_e32 v9, 0x3c00
	v_mov_b32_e32 v10, 0x3c00
	s_and_saveexec_b64 s[8:9], s[0:1]
	s_cbranch_execnz .LBB90_27
; %bb.16:
	s_or_b64 exec, exec, s[8:9]
	v_cmp_gt_i32_e64 s[0:1], s10, v3
	s_and_saveexec_b64 s[8:9], s[0:1]
	s_cbranch_execnz .LBB90_28
.LBB90_17:
	s_or_b64 exec, exec, s[8:9]
	s_and_saveexec_b64 s[0:1], vcc
	s_cbranch_execnz .LBB90_29
.LBB90_18:
	s_or_b64 exec, exec, s[0:1]
	v_cmp_gt_i32_e32 vcc, s10, v0
	s_and_saveexec_b64 s[0:1], vcc
	s_cbranch_execnz .LBB90_30
.LBB90_19:
	s_or_b64 exec, exec, s[0:1]
	v_cmp_gt_i32_e32 vcc, s10, v0
	s_and_saveexec_b64 s[0:1], vcc
	s_cbranch_execnz .LBB90_31
.LBB90_20:
	s_or_b64 exec, exec, s[0:1]
	v_cmp_gt_i32_e32 vcc, s10, v0
	s_and_saveexec_b64 s[0:1], vcc
	s_cbranch_execnz .LBB90_32
.LBB90_21:
	s_or_b64 exec, exec, s[0:1]
	v_cmp_gt_i32_e32 vcc, s10, v0
	s_and_saveexec_b64 s[0:1], vcc
	s_cbranch_execnz .LBB90_33
.LBB90_22:
	s_or_b64 exec, exec, s[0:1]
	v_cmp_gt_i32_e32 vcc, s10, v0
	s_and_saveexec_b64 s[0:1], vcc
	s_cbranch_execnz .LBB90_34
.LBB90_23:
	s_or_b64 exec, exec, s[0:1]
	v_cmp_gt_i32_e32 vcc, s10, v0
	s_and_saveexec_b64 s[0:1], vcc
	s_cbranch_execnz .LBB90_35
.LBB90_24:
	s_or_b64 exec, exec, s[0:1]
	v_cmp_gt_i32_e32 vcc, s10, v0
	s_and_saveexec_b64 s[0:1], vcc
	s_cbranch_execz .LBB90_26
.LBB90_25:
	v_add_u32_e32 v0, s2, v0
	v_mov_b32_e32 v1, 0
	v_lshl_add_u64 v[0:1], v[0:1], 1, s[4:5]
	global_store_short v[0:1], v9, off
.LBB90_26:
	s_endpgm
.LBB90_27:
	v_add_u32_e32 v10, s2, v3
	v_mov_b32_e32 v11, 0
	v_lshl_add_u64 v[10:11], v[10:11], 1, s[6:7]
	global_load_ushort v10, v[10:11], off
	s_mov_b32 s0, 0x3fb8aa3b
	s_mov_b32 s1, 0x32a5705f
	;; [unrolled: 1-line block ×3, first 2 shown]
	v_add_u32_e32 v3, 0x100, v3
	s_waitcnt vmcnt(0)
	v_cvt_f32_f16_e32 v11, v10
	v_mul_f32_e32 v12, 0x3fb8aa3b, v11
	v_fma_mix_f32 v13, v10, s0, -v12 op_sel_hi:[1,0,0]
	v_rndne_f32_e32 v14, v12
	v_fma_mix_f32 v10, v10, s1, v13 op_sel_hi:[1,0,0]
	v_sub_f32_e32 v12, v12, v14
	v_add_f32_e32 v10, v12, v10
	v_cvt_i32_f32_e32 v13, v14
	v_exp_f32_e32 v10, v10
	s_mov_b32 s0, 0xc2ce8ed0
	v_cmp_ngt_f32_e64 s[0:1], s0, v11
	v_mov_b32_e32 v12, 0x7f800000
	v_ldexp_f32 v10, v10, v13
	v_cndmask_b32_e64 v10, 0, v10, s[0:1]
	v_cmp_nlt_f32_e64 s[0:1], s3, v11
	s_nop 1
	v_cndmask_b32_e64 v10, v12, v10, s[0:1]
	v_cvt_f16_f32_e32 v10, v10
	s_or_b64 exec, exec, s[8:9]
	v_cmp_gt_i32_e64 s[0:1], s10, v3
	s_and_saveexec_b64 s[8:9], s[0:1]
	s_cbranch_execz .LBB90_17
.LBB90_28:
	v_add_u32_e32 v12, s2, v3
	v_mov_b32_e32 v13, 0
	v_lshl_add_u64 v[12:13], v[12:13], 1, s[6:7]
	global_load_ushort v3, v[12:13], off
	s_mov_b32 s0, 0x3fb8aa3b
	s_mov_b32 s1, 0x32a5705f
	;; [unrolled: 1-line block ×3, first 2 shown]
	s_waitcnt vmcnt(0)
	v_cvt_f32_f16_e32 v9, v3
	v_mul_f32_e32 v11, 0x3fb8aa3b, v9
	v_fma_mix_f32 v12, v3, s0, -v11 op_sel_hi:[1,0,0]
	v_rndne_f32_e32 v13, v11
	v_fma_mix_f32 v3, v3, s1, v12 op_sel_hi:[1,0,0]
	v_sub_f32_e32 v11, v11, v13
	v_add_f32_e32 v3, v11, v3
	v_cvt_i32_f32_e32 v12, v13
	v_exp_f32_e32 v3, v3
	s_mov_b32 s0, 0xc2ce8ed0
	v_cmp_ngt_f32_e64 s[0:1], s0, v9
	v_mov_b32_e32 v11, 0x7f800000
	v_ldexp_f32 v3, v3, v12
	v_cndmask_b32_e64 v3, 0, v3, s[0:1]
	v_cmp_nlt_f32_e64 s[0:1], s3, v9
	s_nop 1
	v_cndmask_b32_e64 v3, v11, v3, s[0:1]
	v_cvt_f16_f32_e32 v9, v3
	s_or_b64 exec, exec, s[8:9]
	s_and_saveexec_b64 s[0:1], vcc
	s_cbranch_execz .LBB90_18
.LBB90_29:
	v_mov_b32_e32 v3, 0
	v_or_b32_e32 v0, 0x100, v0
	v_lshl_add_u64 v[2:3], v[2:3], 1, s[4:5]
	global_store_short v[2:3], v4, off
	s_or_b64 exec, exec, s[0:1]
	v_cmp_gt_i32_e32 vcc, s10, v0
	s_and_saveexec_b64 s[0:1], vcc
	s_cbranch_execz .LBB90_19
.LBB90_30:
	v_add_u32_e32 v2, s2, v0
	v_mov_b32_e32 v3, 0
	v_lshl_add_u64 v[2:3], v[2:3], 1, s[4:5]
	v_add_u32_e32 v0, 0x100, v0
	global_store_short v[2:3], v1, off
	s_or_b64 exec, exec, s[0:1]
	v_cmp_gt_i32_e32 vcc, s10, v0
	s_and_saveexec_b64 s[0:1], vcc
	s_cbranch_execz .LBB90_20
.LBB90_31:
	v_add_u32_e32 v2, s2, v0
	v_mov_b32_e32 v3, 0
	v_lshl_add_u64 v[2:3], v[2:3], 1, s[4:5]
	v_add_u32_e32 v0, 0x100, v0
	global_store_short v[2:3], v6, off
	s_or_b64 exec, exec, s[0:1]
	v_cmp_gt_i32_e32 vcc, s10, v0
	s_and_saveexec_b64 s[0:1], vcc
	s_cbranch_execz .LBB90_21
.LBB90_32:
	v_add_u32_e32 v2, s2, v0
	v_mov_b32_e32 v3, 0
	v_lshl_add_u64 v[2:3], v[2:3], 1, s[4:5]
	v_add_u32_e32 v0, 0x100, v0
	global_store_short v[2:3], v5, off
	s_or_b64 exec, exec, s[0:1]
	v_cmp_gt_i32_e32 vcc, s10, v0
	s_and_saveexec_b64 s[0:1], vcc
	s_cbranch_execz .LBB90_22
.LBB90_33:
	v_add_u32_e32 v2, s2, v0
	v_mov_b32_e32 v3, 0
	v_lshl_add_u64 v[2:3], v[2:3], 1, s[4:5]
	v_add_u32_e32 v0, 0x100, v0
	global_store_short v[2:3], v8, off
	s_or_b64 exec, exec, s[0:1]
	v_cmp_gt_i32_e32 vcc, s10, v0
	s_and_saveexec_b64 s[0:1], vcc
	s_cbranch_execz .LBB90_23
.LBB90_34:
	v_add_u32_e32 v2, s2, v0
	v_mov_b32_e32 v3, 0
	v_lshl_add_u64 v[2:3], v[2:3], 1, s[4:5]
	v_add_u32_e32 v0, 0x100, v0
	global_store_short v[2:3], v7, off
	s_or_b64 exec, exec, s[0:1]
	v_cmp_gt_i32_e32 vcc, s10, v0
	s_and_saveexec_b64 s[0:1], vcc
	s_cbranch_execz .LBB90_24
.LBB90_35:
	v_add_u32_e32 v2, s2, v0
	v_mov_b32_e32 v3, 0
	v_lshl_add_u64 v[2:3], v[2:3], 1, s[4:5]
	v_add_u32_e32 v0, 0x100, v0
	global_store_short v[2:3], v10, off
	s_or_b64 exec, exec, s[0:1]
	v_cmp_gt_i32_e32 vcc, s10, v0
	s_and_saveexec_b64 s[0:1], vcc
	s_cbranch_execnz .LBB90_25
	s_branch .LBB90_26
	.section	.rodata,"a",@progbits
	.p2align	6, 0x0
	.amdhsa_kernel _ZN2at6native29vectorized_elementwise_kernelILi16EZZZNS0_15exp_kernel_cudaERNS_18TensorIteratorBaseEENKUlvE0_clEvENKUlvE1_clEvEUlN3c104HalfEE_St5arrayIPcLm2EEEEviT0_T1_
		.amdhsa_group_segment_fixed_size 0
		.amdhsa_private_segment_fixed_size 0
		.amdhsa_kernarg_size 24
		.amdhsa_user_sgpr_count 2
		.amdhsa_user_sgpr_dispatch_ptr 0
		.amdhsa_user_sgpr_queue_ptr 0
		.amdhsa_user_sgpr_kernarg_segment_ptr 1
		.amdhsa_user_sgpr_dispatch_id 0
		.amdhsa_user_sgpr_kernarg_preload_length 0
		.amdhsa_user_sgpr_kernarg_preload_offset 0
		.amdhsa_user_sgpr_private_segment_size 0
		.amdhsa_uses_dynamic_stack 0
		.amdhsa_enable_private_segment 0
		.amdhsa_system_sgpr_workgroup_id_x 1
		.amdhsa_system_sgpr_workgroup_id_y 0
		.amdhsa_system_sgpr_workgroup_id_z 0
		.amdhsa_system_sgpr_workgroup_info 0
		.amdhsa_system_vgpr_workitem_id 0
		.amdhsa_next_free_vgpr 35
		.amdhsa_next_free_sgpr 12
		.amdhsa_accum_offset 36
		.amdhsa_reserve_vcc 1
		.amdhsa_float_round_mode_32 0
		.amdhsa_float_round_mode_16_64 0
		.amdhsa_float_denorm_mode_32 3
		.amdhsa_float_denorm_mode_16_64 3
		.amdhsa_dx10_clamp 1
		.amdhsa_ieee_mode 1
		.amdhsa_fp16_overflow 0
		.amdhsa_tg_split 0
		.amdhsa_exception_fp_ieee_invalid_op 0
		.amdhsa_exception_fp_denorm_src 0
		.amdhsa_exception_fp_ieee_div_zero 0
		.amdhsa_exception_fp_ieee_overflow 0
		.amdhsa_exception_fp_ieee_underflow 0
		.amdhsa_exception_fp_ieee_inexact 0
		.amdhsa_exception_int_div_zero 0
	.end_amdhsa_kernel
	.section	.text._ZN2at6native29vectorized_elementwise_kernelILi16EZZZNS0_15exp_kernel_cudaERNS_18TensorIteratorBaseEENKUlvE0_clEvENKUlvE1_clEvEUlN3c104HalfEE_St5arrayIPcLm2EEEEviT0_T1_,"axG",@progbits,_ZN2at6native29vectorized_elementwise_kernelILi16EZZZNS0_15exp_kernel_cudaERNS_18TensorIteratorBaseEENKUlvE0_clEvENKUlvE1_clEvEUlN3c104HalfEE_St5arrayIPcLm2EEEEviT0_T1_,comdat
.Lfunc_end90:
	.size	_ZN2at6native29vectorized_elementwise_kernelILi16EZZZNS0_15exp_kernel_cudaERNS_18TensorIteratorBaseEENKUlvE0_clEvENKUlvE1_clEvEUlN3c104HalfEE_St5arrayIPcLm2EEEEviT0_T1_, .Lfunc_end90-_ZN2at6native29vectorized_elementwise_kernelILi16EZZZNS0_15exp_kernel_cudaERNS_18TensorIteratorBaseEENKUlvE0_clEvENKUlvE1_clEvEUlN3c104HalfEE_St5arrayIPcLm2EEEEviT0_T1_
                                        ; -- End function
	.set _ZN2at6native29vectorized_elementwise_kernelILi16EZZZNS0_15exp_kernel_cudaERNS_18TensorIteratorBaseEENKUlvE0_clEvENKUlvE1_clEvEUlN3c104HalfEE_St5arrayIPcLm2EEEEviT0_T1_.num_vgpr, 35
	.set _ZN2at6native29vectorized_elementwise_kernelILi16EZZZNS0_15exp_kernel_cudaERNS_18TensorIteratorBaseEENKUlvE0_clEvENKUlvE1_clEvEUlN3c104HalfEE_St5arrayIPcLm2EEEEviT0_T1_.num_agpr, 0
	.set _ZN2at6native29vectorized_elementwise_kernelILi16EZZZNS0_15exp_kernel_cudaERNS_18TensorIteratorBaseEENKUlvE0_clEvENKUlvE1_clEvEUlN3c104HalfEE_St5arrayIPcLm2EEEEviT0_T1_.numbered_sgpr, 12
	.set _ZN2at6native29vectorized_elementwise_kernelILi16EZZZNS0_15exp_kernel_cudaERNS_18TensorIteratorBaseEENKUlvE0_clEvENKUlvE1_clEvEUlN3c104HalfEE_St5arrayIPcLm2EEEEviT0_T1_.num_named_barrier, 0
	.set _ZN2at6native29vectorized_elementwise_kernelILi16EZZZNS0_15exp_kernel_cudaERNS_18TensorIteratorBaseEENKUlvE0_clEvENKUlvE1_clEvEUlN3c104HalfEE_St5arrayIPcLm2EEEEviT0_T1_.private_seg_size, 0
	.set _ZN2at6native29vectorized_elementwise_kernelILi16EZZZNS0_15exp_kernel_cudaERNS_18TensorIteratorBaseEENKUlvE0_clEvENKUlvE1_clEvEUlN3c104HalfEE_St5arrayIPcLm2EEEEviT0_T1_.uses_vcc, 1
	.set _ZN2at6native29vectorized_elementwise_kernelILi16EZZZNS0_15exp_kernel_cudaERNS_18TensorIteratorBaseEENKUlvE0_clEvENKUlvE1_clEvEUlN3c104HalfEE_St5arrayIPcLm2EEEEviT0_T1_.uses_flat_scratch, 0
	.set _ZN2at6native29vectorized_elementwise_kernelILi16EZZZNS0_15exp_kernel_cudaERNS_18TensorIteratorBaseEENKUlvE0_clEvENKUlvE1_clEvEUlN3c104HalfEE_St5arrayIPcLm2EEEEviT0_T1_.has_dyn_sized_stack, 0
	.set _ZN2at6native29vectorized_elementwise_kernelILi16EZZZNS0_15exp_kernel_cudaERNS_18TensorIteratorBaseEENKUlvE0_clEvENKUlvE1_clEvEUlN3c104HalfEE_St5arrayIPcLm2EEEEviT0_T1_.has_recursion, 0
	.set _ZN2at6native29vectorized_elementwise_kernelILi16EZZZNS0_15exp_kernel_cudaERNS_18TensorIteratorBaseEENKUlvE0_clEvENKUlvE1_clEvEUlN3c104HalfEE_St5arrayIPcLm2EEEEviT0_T1_.has_indirect_call, 0
	.section	.AMDGPU.csdata,"",@progbits
; Kernel info:
; codeLenInByte = 2896
; TotalNumSgprs: 18
; NumVgprs: 35
; NumAgprs: 0
; TotalNumVgprs: 35
; ScratchSize: 0
; MemoryBound: 0
; FloatMode: 240
; IeeeMode: 1
; LDSByteSize: 0 bytes/workgroup (compile time only)
; SGPRBlocks: 2
; VGPRBlocks: 4
; NumSGPRsForWavesPerEU: 18
; NumVGPRsForWavesPerEU: 35
; AccumOffset: 36
; Occupancy: 8
; WaveLimiterHint : 0
; COMPUTE_PGM_RSRC2:SCRATCH_EN: 0
; COMPUTE_PGM_RSRC2:USER_SGPR: 2
; COMPUTE_PGM_RSRC2:TRAP_HANDLER: 0
; COMPUTE_PGM_RSRC2:TGID_X_EN: 1
; COMPUTE_PGM_RSRC2:TGID_Y_EN: 0
; COMPUTE_PGM_RSRC2:TGID_Z_EN: 0
; COMPUTE_PGM_RSRC2:TIDIG_COMP_CNT: 0
; COMPUTE_PGM_RSRC3_GFX90A:ACCUM_OFFSET: 8
; COMPUTE_PGM_RSRC3_GFX90A:TG_SPLIT: 0
	.section	.text._ZN2at6native29vectorized_elementwise_kernelILi8EZZZNS0_15exp_kernel_cudaERNS_18TensorIteratorBaseEENKUlvE0_clEvENKUlvE1_clEvEUlN3c104HalfEE_St5arrayIPcLm2EEEEviT0_T1_,"axG",@progbits,_ZN2at6native29vectorized_elementwise_kernelILi8EZZZNS0_15exp_kernel_cudaERNS_18TensorIteratorBaseEENKUlvE0_clEvENKUlvE1_clEvEUlN3c104HalfEE_St5arrayIPcLm2EEEEviT0_T1_,comdat
	.globl	_ZN2at6native29vectorized_elementwise_kernelILi8EZZZNS0_15exp_kernel_cudaERNS_18TensorIteratorBaseEENKUlvE0_clEvENKUlvE1_clEvEUlN3c104HalfEE_St5arrayIPcLm2EEEEviT0_T1_ ; -- Begin function _ZN2at6native29vectorized_elementwise_kernelILi8EZZZNS0_15exp_kernel_cudaERNS_18TensorIteratorBaseEENKUlvE0_clEvENKUlvE1_clEvEUlN3c104HalfEE_St5arrayIPcLm2EEEEviT0_T1_
	.p2align	8
	.type	_ZN2at6native29vectorized_elementwise_kernelILi8EZZZNS0_15exp_kernel_cudaERNS_18TensorIteratorBaseEENKUlvE0_clEvENKUlvE1_clEvEUlN3c104HalfEE_St5arrayIPcLm2EEEEviT0_T1_,@function
_ZN2at6native29vectorized_elementwise_kernelILi8EZZZNS0_15exp_kernel_cudaERNS_18TensorIteratorBaseEENKUlvE0_clEvENKUlvE1_clEvEUlN3c104HalfEE_St5arrayIPcLm2EEEEviT0_T1_: ; @_ZN2at6native29vectorized_elementwise_kernelILi8EZZZNS0_15exp_kernel_cudaERNS_18TensorIteratorBaseEENKUlvE0_clEvENKUlvE1_clEvEUlN3c104HalfEE_St5arrayIPcLm2EEEEviT0_T1_
; %bb.0:
	s_load_dword s3, s[0:1], 0x0
	s_load_dwordx4 s[4:7], s[0:1], 0x8
	s_lshl_b32 s2, s2, 11
	s_mov_b64 s[0:1], -1
	s_waitcnt lgkmcnt(0)
	s_sub_i32 s10, s3, s2
	s_cmpk_gt_i32 s10, 0x7ff
	s_cbranch_scc0 .LBB91_2
; %bb.1:
	s_ashr_i32 s3, s2, 31
	s_lshl_b64 s[0:1], s[2:3], 1
	s_add_u32 s8, s6, s0
	s_addc_u32 s9, s7, s1
	v_lshlrev_b32_e32 v1, 4, v0
	global_load_dwordx4 v[2:5], v1, s[8:9]
	s_mov_b32 s3, 0x3fb8aa3b
	s_mov_b32 s8, 0x32a5705f
	;; [unrolled: 1-line block ×4, first 2 shown]
	v_mov_b32_e32 v6, 0x7f800000
	s_add_u32 s0, s4, s0
	s_addc_u32 s1, s5, s1
	s_waitcnt vmcnt(0)
	v_cvt_f32_f16_e32 v7, v2
	v_cvt_f32_f16_sdwa v8, v2 dst_sel:DWORD dst_unused:UNUSED_PAD src0_sel:WORD_1
	v_cvt_f32_f16_e32 v9, v3
	v_cvt_f32_f16_sdwa v10, v3 dst_sel:DWORD dst_unused:UNUSED_PAD src0_sel:WORD_1
	v_cvt_f32_f16_e32 v11, v4
	v_mul_f32_e32 v14, 0x3fb8aa3b, v7
	v_cvt_f32_f16_sdwa v12, v4 dst_sel:DWORD dst_unused:UNUSED_PAD src0_sel:WORD_1
	v_mul_f32_e32 v15, 0x3fb8aa3b, v8
	v_fma_mix_f32 v21, v2, s3, -v14 op_sel_hi:[1,0,0]
	v_rndne_f32_e32 v22, v14
	v_mul_f32_e32 v16, 0x3fb8aa3b, v9
	v_fma_mix_f32 v23, v2, s3, -v15 op_sel:[1,0,0] op_sel_hi:[1,0,0]
	v_rndne_f32_e32 v24, v15
	v_fma_mix_f32 v21, v2, s8, v21 op_sel_hi:[1,0,0]
	v_sub_f32_e32 v14, v14, v22
	v_mul_f32_e32 v17, 0x3fb8aa3b, v10
	v_fma_mix_f32 v25, v3, s3, -v16 op_sel_hi:[1,0,0]
	v_rndne_f32_e32 v26, v16
	v_fma_mix_f32 v2, v2, s8, v23 op_sel:[1,0,0] op_sel_hi:[1,0,0]
	v_sub_f32_e32 v15, v15, v24
	v_add_f32_e32 v14, v14, v21
	v_mul_f32_e32 v18, 0x3fb8aa3b, v11
	v_fma_mix_f32 v27, v3, s3, -v17 op_sel:[1,0,0] op_sel_hi:[1,0,0]
	v_rndne_f32_e32 v28, v17
	v_cvt_i32_f32_e32 v22, v22
	v_cvt_i32_f32_e32 v23, v24
	v_fma_mix_f32 v24, v3, s8, v25 op_sel_hi:[1,0,0]
	v_sub_f32_e32 v16, v16, v26
	v_add_f32_e32 v2, v15, v2
	v_exp_f32_e32 v14, v14
	v_mul_f32_e32 v19, 0x3fb8aa3b, v12
	v_fma_mix_f32 v29, v4, s3, -v18 op_sel_hi:[1,0,0]
	v_rndne_f32_e32 v30, v18
	v_fma_mix_f32 v3, v3, s8, v27 op_sel:[1,0,0] op_sel_hi:[1,0,0]
	v_sub_f32_e32 v17, v17, v28
	v_add_f32_e32 v15, v16, v24
	v_exp_f32_e32 v2, v2
	v_fma_mix_f32 v31, v4, s3, -v19 op_sel:[1,0,0] op_sel_hi:[1,0,0]
	v_rndne_f32_e32 v32, v19
	v_cvt_i32_f32_e32 v25, v26
	v_fma_mix_f32 v27, v4, s8, v29 op_sel_hi:[1,0,0]
	v_sub_f32_e32 v18, v18, v30
	v_add_f32_e32 v3, v17, v3
	v_exp_f32_e32 v15, v15
	v_cvt_i32_f32_e32 v26, v28
	v_fma_mix_f32 v4, v4, s8, v31 op_sel:[1,0,0] op_sel_hi:[1,0,0]
	v_sub_f32_e32 v19, v19, v32
	v_add_f32_e32 v16, v18, v27
	v_exp_f32_e32 v3, v3
	v_cvt_i32_f32_e32 v28, v30
	v_add_f32_e32 v4, v19, v4
	v_exp_f32_e32 v16, v16
	v_ldexp_f32 v14, v14, v22
	v_cmp_ngt_f32_e32 vcc, s9, v7
	v_cvt_i32_f32_e32 v29, v32
	v_exp_f32_e32 v4, v4
	v_ldexp_f32 v2, v2, v23
	v_cndmask_b32_e32 v14, 0, v14, vcc
	v_cmp_ngt_f32_e32 vcc, s9, v8
	v_cvt_f32_f16_e32 v13, v5
	v_ldexp_f32 v15, v15, v25
	v_cndmask_b32_e32 v2, 0, v2, vcc
	v_cmp_ngt_f32_e32 vcc, s9, v9
	v_ldexp_f32 v3, v3, v26
	v_ldexp_f32 v16, v16, v28
	v_cndmask_b32_e32 v15, 0, v15, vcc
	v_cmp_ngt_f32_e32 vcc, s9, v10
	v_ldexp_f32 v4, v4, v29
	v_mul_f32_e32 v20, 0x3fb8aa3b, v13
	v_cndmask_b32_e32 v3, 0, v3, vcc
	v_cmp_ngt_f32_e32 vcc, s9, v11
	v_fma_mix_f32 v33, v5, s3, -v20 op_sel_hi:[1,0,0]
	v_rndne_f32_e32 v34, v20
	v_cndmask_b32_e32 v16, 0, v16, vcc
	v_cmp_ngt_f32_e32 vcc, s9, v12
	v_fma_mix_f32 v30, v5, s8, v33 op_sel_hi:[1,0,0]
	v_sub_f32_e32 v20, v20, v34
	v_cndmask_b32_e32 v4, 0, v4, vcc
	v_cmp_nlt_f32_e32 vcc, s11, v7
	s_nop 1
	v_cndmask_b32_e32 v7, v6, v14, vcc
	v_cmp_nlt_f32_e32 vcc, s11, v8
	v_cvt_f32_f16_sdwa v14, v5 dst_sel:DWORD dst_unused:UNUSED_PAD src0_sel:WORD_1
	s_nop 0
	v_cndmask_b32_e32 v2, v6, v2, vcc
	v_cmp_nlt_f32_e32 vcc, s11, v9
	v_cvt_pk_f16_f32 v2, v7, v2
	s_nop 0
	v_cndmask_b32_e32 v8, v6, v15, vcc
	v_cmp_nlt_f32_e32 vcc, s11, v10
	v_add_f32_e32 v10, v20, v30
	v_exp_f32_e32 v10, v10
	v_cndmask_b32_e32 v3, v6, v3, vcc
	v_cmp_nlt_f32_e32 vcc, s11, v11
	v_cvt_i32_f32_e32 v11, v34
	v_cvt_pk_f16_f32 v3, v8, v3
	v_cndmask_b32_e32 v9, v6, v16, vcc
	v_cmp_nlt_f32_e32 vcc, s11, v12
	v_ldexp_f32 v10, v10, v11
	v_mul_f32_e32 v11, 0x3fb8aa3b, v14
	v_fma_mix_f32 v12, v5, s3, -v11 op_sel:[1,0,0] op_sel_hi:[1,0,0]
	v_cndmask_b32_e32 v4, v6, v4, vcc
	v_fma_mix_f32 v5, v5, s8, v12 op_sel:[1,0,0] op_sel_hi:[1,0,0]
	v_rndne_f32_e32 v12, v11
	v_sub_f32_e32 v11, v11, v12
	v_add_f32_e32 v5, v11, v5
	v_exp_f32_e32 v5, v5
	v_cvt_i32_f32_e32 v11, v12
	v_cmp_ngt_f32_e32 vcc, s9, v13
	v_cvt_pk_f16_f32 v4, v9, v4
	v_ldexp_f32 v5, v5, v11
	v_cndmask_b32_e32 v10, 0, v10, vcc
	v_cmp_nlt_f32_e32 vcc, s11, v13
	s_nop 1
	v_cndmask_b32_e32 v10, v6, v10, vcc
	v_cmp_ngt_f32_e32 vcc, s9, v14
	s_nop 1
	v_cndmask_b32_e32 v5, 0, v5, vcc
	v_cmp_nlt_f32_e32 vcc, s11, v14
	s_nop 1
	v_cndmask_b32_e32 v5, v6, v5, vcc
	v_cvt_pk_f16_f32 v5, v10, v5
	global_store_dwordx4 v1, v[2:5], s[0:1]
	s_mov_b64 s[0:1], 0
.LBB91_2:
	s_andn2_b64 vcc, exec, s[0:1]
	s_cbranch_vccnz .LBB91_26
; %bb.3:
	v_cmp_gt_i32_e32 vcc, s10, v0
	v_mov_b32_e32 v1, 0x3c00
	v_or_b32_e32 v2, s2, v0
	v_mov_b32_e32 v4, 0x3c00
	v_mov_b32_e32 v3, v0
	s_and_saveexec_b64 s[8:9], vcc
	s_cbranch_execz .LBB91_5
; %bb.4:
	v_mov_b32_e32 v3, 0
	v_lshl_add_u64 v[4:5], v[2:3], 1, s[6:7]
	global_load_ushort v3, v[4:5], off
	s_mov_b32 s0, 0x3fb8aa3b
	s_mov_b32 s1, 0x32a5705f
	;; [unrolled: 1-line block ×3, first 2 shown]
	s_waitcnt vmcnt(0)
	v_cvt_f32_f16_e32 v4, v3
	v_mul_f32_e32 v5, 0x3fb8aa3b, v4
	v_fma_mix_f32 v6, v3, s0, -v5 op_sel_hi:[1,0,0]
	v_rndne_f32_e32 v7, v5
	v_fma_mix_f32 v3, v3, s1, v6 op_sel_hi:[1,0,0]
	v_sub_f32_e32 v5, v5, v7
	v_add_f32_e32 v3, v5, v3
	v_cvt_i32_f32_e32 v6, v7
	v_exp_f32_e32 v3, v3
	s_mov_b32 s0, 0xc2ce8ed0
	v_cmp_ngt_f32_e64 s[0:1], s0, v4
	v_mov_b32_e32 v5, 0x7f800000
	v_ldexp_f32 v3, v3, v6
	v_cndmask_b32_e64 v3, 0, v3, s[0:1]
	v_cmp_nlt_f32_e64 s[0:1], s3, v4
	s_nop 1
	v_cndmask_b32_e64 v3, v5, v3, s[0:1]
	v_cvt_f16_f32_e32 v4, v3
	v_or_b32_e32 v3, 0x100, v0
.LBB91_5:
	s_or_b64 exec, exec, s[8:9]
	v_cmp_gt_i32_e64 s[0:1], s10, v3
	s_and_saveexec_b64 s[8:9], s[0:1]
	s_cbranch_execz .LBB91_7
; %bb.6:
	v_add_u32_e32 v6, s2, v3
	v_mov_b32_e32 v7, 0
	v_lshl_add_u64 v[6:7], v[6:7], 1, s[6:7]
	global_load_ushort v1, v[6:7], off
	s_mov_b32 s0, 0x3fb8aa3b
	s_mov_b32 s1, 0x32a5705f
	;; [unrolled: 1-line block ×3, first 2 shown]
	v_add_u32_e32 v3, 0x100, v3
	s_waitcnt vmcnt(0)
	v_cvt_f32_f16_e32 v5, v1
	v_mul_f32_e32 v6, 0x3fb8aa3b, v5
	v_fma_mix_f32 v7, v1, s0, -v6 op_sel_hi:[1,0,0]
	v_rndne_f32_e32 v8, v6
	v_fma_mix_f32 v1, v1, s1, v7 op_sel_hi:[1,0,0]
	v_sub_f32_e32 v6, v6, v8
	v_add_f32_e32 v1, v6, v1
	v_cvt_i32_f32_e32 v7, v8
	v_exp_f32_e32 v1, v1
	s_mov_b32 s0, 0xc2ce8ed0
	v_cmp_ngt_f32_e64 s[0:1], s0, v5
	v_mov_b32_e32 v6, 0x7f800000
	v_ldexp_f32 v1, v1, v7
	v_cndmask_b32_e64 v1, 0, v1, s[0:1]
	v_cmp_nlt_f32_e64 s[0:1], s3, v5
	s_nop 1
	v_cndmask_b32_e64 v1, v6, v1, s[0:1]
	v_cvt_f16_f32_e32 v1, v1
.LBB91_7:
	s_or_b64 exec, exec, s[8:9]
	v_cmp_gt_i32_e64 s[0:1], s10, v3
	v_mov_b32_e32 v5, 0x3c00
	v_mov_b32_e32 v6, 0x3c00
	s_and_saveexec_b64 s[8:9], s[0:1]
	s_cbranch_execz .LBB91_9
; %bb.8:
	v_add_u32_e32 v6, s2, v3
	v_mov_b32_e32 v7, 0
	v_lshl_add_u64 v[6:7], v[6:7], 1, s[6:7]
	global_load_ushort v6, v[6:7], off
	s_mov_b32 s0, 0x3fb8aa3b
	s_mov_b32 s1, 0x32a5705f
	;; [unrolled: 1-line block ×3, first 2 shown]
	v_add_u32_e32 v3, 0x100, v3
	s_waitcnt vmcnt(0)
	v_cvt_f32_f16_e32 v7, v6
	v_mul_f32_e32 v8, 0x3fb8aa3b, v7
	v_fma_mix_f32 v9, v6, s0, -v8 op_sel_hi:[1,0,0]
	v_rndne_f32_e32 v10, v8
	v_fma_mix_f32 v6, v6, s1, v9 op_sel_hi:[1,0,0]
	v_sub_f32_e32 v8, v8, v10
	v_add_f32_e32 v6, v8, v6
	v_cvt_i32_f32_e32 v9, v10
	v_exp_f32_e32 v6, v6
	s_mov_b32 s0, 0xc2ce8ed0
	v_cmp_ngt_f32_e64 s[0:1], s0, v7
	v_mov_b32_e32 v8, 0x7f800000
	v_ldexp_f32 v6, v6, v9
	v_cndmask_b32_e64 v6, 0, v6, s[0:1]
	v_cmp_nlt_f32_e64 s[0:1], s3, v7
	s_nop 1
	v_cndmask_b32_e64 v6, v8, v6, s[0:1]
	v_cvt_f16_f32_e32 v6, v6
.LBB91_9:
	s_or_b64 exec, exec, s[8:9]
	v_cmp_gt_i32_e64 s[0:1], s10, v3
	s_and_saveexec_b64 s[8:9], s[0:1]
	s_cbranch_execz .LBB91_11
; %bb.10:
	v_add_u32_e32 v8, s2, v3
	v_mov_b32_e32 v9, 0
	v_lshl_add_u64 v[8:9], v[8:9], 1, s[6:7]
	global_load_ushort v5, v[8:9], off
	s_mov_b32 s0, 0x3fb8aa3b
	s_mov_b32 s1, 0x32a5705f
	;; [unrolled: 1-line block ×3, first 2 shown]
	v_add_u32_e32 v3, 0x100, v3
	s_waitcnt vmcnt(0)
	v_cvt_f32_f16_e32 v7, v5
	v_mul_f32_e32 v8, 0x3fb8aa3b, v7
	v_fma_mix_f32 v9, v5, s0, -v8 op_sel_hi:[1,0,0]
	v_rndne_f32_e32 v10, v8
	v_fma_mix_f32 v5, v5, s1, v9 op_sel_hi:[1,0,0]
	v_sub_f32_e32 v8, v8, v10
	v_add_f32_e32 v5, v8, v5
	v_cvt_i32_f32_e32 v9, v10
	v_exp_f32_e32 v5, v5
	s_mov_b32 s0, 0xc2ce8ed0
	v_cmp_ngt_f32_e64 s[0:1], s0, v7
	v_mov_b32_e32 v8, 0x7f800000
	v_ldexp_f32 v5, v5, v9
	v_cndmask_b32_e64 v5, 0, v5, s[0:1]
	v_cmp_nlt_f32_e64 s[0:1], s3, v7
	s_nop 1
	v_cndmask_b32_e64 v5, v8, v5, s[0:1]
	v_cvt_f16_f32_e32 v5, v5
.LBB91_11:
	s_or_b64 exec, exec, s[8:9]
	v_cmp_gt_i32_e64 s[0:1], s10, v3
	v_mov_b32_e32 v7, 0x3c00
	v_mov_b32_e32 v8, 0x3c00
	s_and_saveexec_b64 s[8:9], s[0:1]
	s_cbranch_execz .LBB91_13
; %bb.12:
	v_add_u32_e32 v8, s2, v3
	v_mov_b32_e32 v9, 0
	v_lshl_add_u64 v[8:9], v[8:9], 1, s[6:7]
	global_load_ushort v8, v[8:9], off
	s_mov_b32 s0, 0x3fb8aa3b
	s_mov_b32 s1, 0x32a5705f
	;; [unrolled: 1-line block ×3, first 2 shown]
	v_add_u32_e32 v3, 0x100, v3
	s_waitcnt vmcnt(0)
	v_cvt_f32_f16_e32 v9, v8
	v_mul_f32_e32 v10, 0x3fb8aa3b, v9
	v_fma_mix_f32 v11, v8, s0, -v10 op_sel_hi:[1,0,0]
	v_rndne_f32_e32 v12, v10
	v_fma_mix_f32 v8, v8, s1, v11 op_sel_hi:[1,0,0]
	v_sub_f32_e32 v10, v10, v12
	v_add_f32_e32 v8, v10, v8
	v_cvt_i32_f32_e32 v11, v12
	v_exp_f32_e32 v8, v8
	s_mov_b32 s0, 0xc2ce8ed0
	v_cmp_ngt_f32_e64 s[0:1], s0, v9
	v_mov_b32_e32 v10, 0x7f800000
	v_ldexp_f32 v8, v8, v11
	v_cndmask_b32_e64 v8, 0, v8, s[0:1]
	v_cmp_nlt_f32_e64 s[0:1], s3, v9
	s_nop 1
	v_cndmask_b32_e64 v8, v10, v8, s[0:1]
	v_cvt_f16_f32_e32 v8, v8
.LBB91_13:
	s_or_b64 exec, exec, s[8:9]
	v_cmp_gt_i32_e64 s[0:1], s10, v3
	s_and_saveexec_b64 s[8:9], s[0:1]
	s_cbranch_execz .LBB91_15
; %bb.14:
	v_add_u32_e32 v10, s2, v3
	v_mov_b32_e32 v11, 0
	v_lshl_add_u64 v[10:11], v[10:11], 1, s[6:7]
	global_load_ushort v7, v[10:11], off
	s_mov_b32 s0, 0x3fb8aa3b
	s_mov_b32 s1, 0x32a5705f
	;; [unrolled: 1-line block ×3, first 2 shown]
	v_add_u32_e32 v3, 0x100, v3
	s_waitcnt vmcnt(0)
	v_cvt_f32_f16_e32 v9, v7
	v_mul_f32_e32 v10, 0x3fb8aa3b, v9
	v_fma_mix_f32 v11, v7, s0, -v10 op_sel_hi:[1,0,0]
	v_rndne_f32_e32 v12, v10
	v_fma_mix_f32 v7, v7, s1, v11 op_sel_hi:[1,0,0]
	v_sub_f32_e32 v10, v10, v12
	v_add_f32_e32 v7, v10, v7
	v_cvt_i32_f32_e32 v11, v12
	v_exp_f32_e32 v7, v7
	s_mov_b32 s0, 0xc2ce8ed0
	v_cmp_ngt_f32_e64 s[0:1], s0, v9
	v_mov_b32_e32 v10, 0x7f800000
	v_ldexp_f32 v7, v7, v11
	v_cndmask_b32_e64 v7, 0, v7, s[0:1]
	v_cmp_nlt_f32_e64 s[0:1], s3, v9
	s_nop 1
	v_cndmask_b32_e64 v7, v10, v7, s[0:1]
	v_cvt_f16_f32_e32 v7, v7
.LBB91_15:
	s_or_b64 exec, exec, s[8:9]
	v_cmp_gt_i32_e64 s[0:1], s10, v3
	v_mov_b32_e32 v9, 0x3c00
	v_mov_b32_e32 v10, 0x3c00
	s_and_saveexec_b64 s[8:9], s[0:1]
	s_cbranch_execnz .LBB91_27
; %bb.16:
	s_or_b64 exec, exec, s[8:9]
	v_cmp_gt_i32_e64 s[0:1], s10, v3
	s_and_saveexec_b64 s[8:9], s[0:1]
	s_cbranch_execnz .LBB91_28
.LBB91_17:
	s_or_b64 exec, exec, s[8:9]
	s_and_saveexec_b64 s[0:1], vcc
	s_cbranch_execnz .LBB91_29
.LBB91_18:
	s_or_b64 exec, exec, s[0:1]
	v_cmp_gt_i32_e32 vcc, s10, v0
	s_and_saveexec_b64 s[0:1], vcc
	s_cbranch_execnz .LBB91_30
.LBB91_19:
	s_or_b64 exec, exec, s[0:1]
	v_cmp_gt_i32_e32 vcc, s10, v0
	s_and_saveexec_b64 s[0:1], vcc
	s_cbranch_execnz .LBB91_31
.LBB91_20:
	s_or_b64 exec, exec, s[0:1]
	v_cmp_gt_i32_e32 vcc, s10, v0
	s_and_saveexec_b64 s[0:1], vcc
	s_cbranch_execnz .LBB91_32
.LBB91_21:
	s_or_b64 exec, exec, s[0:1]
	v_cmp_gt_i32_e32 vcc, s10, v0
	s_and_saveexec_b64 s[0:1], vcc
	s_cbranch_execnz .LBB91_33
.LBB91_22:
	s_or_b64 exec, exec, s[0:1]
	v_cmp_gt_i32_e32 vcc, s10, v0
	s_and_saveexec_b64 s[0:1], vcc
	s_cbranch_execnz .LBB91_34
.LBB91_23:
	s_or_b64 exec, exec, s[0:1]
	v_cmp_gt_i32_e32 vcc, s10, v0
	s_and_saveexec_b64 s[0:1], vcc
	s_cbranch_execnz .LBB91_35
.LBB91_24:
	s_or_b64 exec, exec, s[0:1]
	v_cmp_gt_i32_e32 vcc, s10, v0
	s_and_saveexec_b64 s[0:1], vcc
	s_cbranch_execz .LBB91_26
.LBB91_25:
	v_add_u32_e32 v0, s2, v0
	v_mov_b32_e32 v1, 0
	v_lshl_add_u64 v[0:1], v[0:1], 1, s[4:5]
	global_store_short v[0:1], v9, off
.LBB91_26:
	s_endpgm
.LBB91_27:
	v_add_u32_e32 v10, s2, v3
	v_mov_b32_e32 v11, 0
	v_lshl_add_u64 v[10:11], v[10:11], 1, s[6:7]
	global_load_ushort v10, v[10:11], off
	s_mov_b32 s0, 0x3fb8aa3b
	s_mov_b32 s1, 0x32a5705f
	;; [unrolled: 1-line block ×3, first 2 shown]
	v_add_u32_e32 v3, 0x100, v3
	s_waitcnt vmcnt(0)
	v_cvt_f32_f16_e32 v11, v10
	v_mul_f32_e32 v12, 0x3fb8aa3b, v11
	v_fma_mix_f32 v13, v10, s0, -v12 op_sel_hi:[1,0,0]
	v_rndne_f32_e32 v14, v12
	v_fma_mix_f32 v10, v10, s1, v13 op_sel_hi:[1,0,0]
	v_sub_f32_e32 v12, v12, v14
	v_add_f32_e32 v10, v12, v10
	v_cvt_i32_f32_e32 v13, v14
	v_exp_f32_e32 v10, v10
	s_mov_b32 s0, 0xc2ce8ed0
	v_cmp_ngt_f32_e64 s[0:1], s0, v11
	v_mov_b32_e32 v12, 0x7f800000
	v_ldexp_f32 v10, v10, v13
	v_cndmask_b32_e64 v10, 0, v10, s[0:1]
	v_cmp_nlt_f32_e64 s[0:1], s3, v11
	s_nop 1
	v_cndmask_b32_e64 v10, v12, v10, s[0:1]
	v_cvt_f16_f32_e32 v10, v10
	s_or_b64 exec, exec, s[8:9]
	v_cmp_gt_i32_e64 s[0:1], s10, v3
	s_and_saveexec_b64 s[8:9], s[0:1]
	s_cbranch_execz .LBB91_17
.LBB91_28:
	v_add_u32_e32 v12, s2, v3
	v_mov_b32_e32 v13, 0
	v_lshl_add_u64 v[12:13], v[12:13], 1, s[6:7]
	global_load_ushort v3, v[12:13], off
	s_mov_b32 s0, 0x3fb8aa3b
	s_mov_b32 s1, 0x32a5705f
	s_mov_b32 s3, 0x42b17218
	s_waitcnt vmcnt(0)
	v_cvt_f32_f16_e32 v9, v3
	v_mul_f32_e32 v11, 0x3fb8aa3b, v9
	v_fma_mix_f32 v12, v3, s0, -v11 op_sel_hi:[1,0,0]
	v_rndne_f32_e32 v13, v11
	v_fma_mix_f32 v3, v3, s1, v12 op_sel_hi:[1,0,0]
	v_sub_f32_e32 v11, v11, v13
	v_add_f32_e32 v3, v11, v3
	v_cvt_i32_f32_e32 v12, v13
	v_exp_f32_e32 v3, v3
	s_mov_b32 s0, 0xc2ce8ed0
	v_cmp_ngt_f32_e64 s[0:1], s0, v9
	v_mov_b32_e32 v11, 0x7f800000
	v_ldexp_f32 v3, v3, v12
	v_cndmask_b32_e64 v3, 0, v3, s[0:1]
	v_cmp_nlt_f32_e64 s[0:1], s3, v9
	s_nop 1
	v_cndmask_b32_e64 v3, v11, v3, s[0:1]
	v_cvt_f16_f32_e32 v9, v3
	s_or_b64 exec, exec, s[8:9]
	s_and_saveexec_b64 s[0:1], vcc
	s_cbranch_execz .LBB91_18
.LBB91_29:
	v_mov_b32_e32 v3, 0
	v_or_b32_e32 v0, 0x100, v0
	v_lshl_add_u64 v[2:3], v[2:3], 1, s[4:5]
	global_store_short v[2:3], v4, off
	s_or_b64 exec, exec, s[0:1]
	v_cmp_gt_i32_e32 vcc, s10, v0
	s_and_saveexec_b64 s[0:1], vcc
	s_cbranch_execz .LBB91_19
.LBB91_30:
	v_add_u32_e32 v2, s2, v0
	v_mov_b32_e32 v3, 0
	v_lshl_add_u64 v[2:3], v[2:3], 1, s[4:5]
	v_add_u32_e32 v0, 0x100, v0
	global_store_short v[2:3], v1, off
	s_or_b64 exec, exec, s[0:1]
	v_cmp_gt_i32_e32 vcc, s10, v0
	s_and_saveexec_b64 s[0:1], vcc
	s_cbranch_execz .LBB91_20
.LBB91_31:
	v_add_u32_e32 v2, s2, v0
	v_mov_b32_e32 v3, 0
	v_lshl_add_u64 v[2:3], v[2:3], 1, s[4:5]
	v_add_u32_e32 v0, 0x100, v0
	global_store_short v[2:3], v6, off
	s_or_b64 exec, exec, s[0:1]
	v_cmp_gt_i32_e32 vcc, s10, v0
	s_and_saveexec_b64 s[0:1], vcc
	s_cbranch_execz .LBB91_21
.LBB91_32:
	v_add_u32_e32 v2, s2, v0
	v_mov_b32_e32 v3, 0
	v_lshl_add_u64 v[2:3], v[2:3], 1, s[4:5]
	v_add_u32_e32 v0, 0x100, v0
	global_store_short v[2:3], v5, off
	s_or_b64 exec, exec, s[0:1]
	v_cmp_gt_i32_e32 vcc, s10, v0
	s_and_saveexec_b64 s[0:1], vcc
	s_cbranch_execz .LBB91_22
.LBB91_33:
	v_add_u32_e32 v2, s2, v0
	v_mov_b32_e32 v3, 0
	v_lshl_add_u64 v[2:3], v[2:3], 1, s[4:5]
	v_add_u32_e32 v0, 0x100, v0
	global_store_short v[2:3], v8, off
	s_or_b64 exec, exec, s[0:1]
	v_cmp_gt_i32_e32 vcc, s10, v0
	s_and_saveexec_b64 s[0:1], vcc
	s_cbranch_execz .LBB91_23
.LBB91_34:
	v_add_u32_e32 v2, s2, v0
	v_mov_b32_e32 v3, 0
	v_lshl_add_u64 v[2:3], v[2:3], 1, s[4:5]
	v_add_u32_e32 v0, 0x100, v0
	global_store_short v[2:3], v7, off
	s_or_b64 exec, exec, s[0:1]
	v_cmp_gt_i32_e32 vcc, s10, v0
	s_and_saveexec_b64 s[0:1], vcc
	s_cbranch_execz .LBB91_24
.LBB91_35:
	v_add_u32_e32 v2, s2, v0
	v_mov_b32_e32 v3, 0
	v_lshl_add_u64 v[2:3], v[2:3], 1, s[4:5]
	v_add_u32_e32 v0, 0x100, v0
	global_store_short v[2:3], v10, off
	s_or_b64 exec, exec, s[0:1]
	v_cmp_gt_i32_e32 vcc, s10, v0
	s_and_saveexec_b64 s[0:1], vcc
	s_cbranch_execnz .LBB91_25
	s_branch .LBB91_26
	.section	.rodata,"a",@progbits
	.p2align	6, 0x0
	.amdhsa_kernel _ZN2at6native29vectorized_elementwise_kernelILi8EZZZNS0_15exp_kernel_cudaERNS_18TensorIteratorBaseEENKUlvE0_clEvENKUlvE1_clEvEUlN3c104HalfEE_St5arrayIPcLm2EEEEviT0_T1_
		.amdhsa_group_segment_fixed_size 0
		.amdhsa_private_segment_fixed_size 0
		.amdhsa_kernarg_size 24
		.amdhsa_user_sgpr_count 2
		.amdhsa_user_sgpr_dispatch_ptr 0
		.amdhsa_user_sgpr_queue_ptr 0
		.amdhsa_user_sgpr_kernarg_segment_ptr 1
		.amdhsa_user_sgpr_dispatch_id 0
		.amdhsa_user_sgpr_kernarg_preload_length 0
		.amdhsa_user_sgpr_kernarg_preload_offset 0
		.amdhsa_user_sgpr_private_segment_size 0
		.amdhsa_uses_dynamic_stack 0
		.amdhsa_enable_private_segment 0
		.amdhsa_system_sgpr_workgroup_id_x 1
		.amdhsa_system_sgpr_workgroup_id_y 0
		.amdhsa_system_sgpr_workgroup_id_z 0
		.amdhsa_system_sgpr_workgroup_info 0
		.amdhsa_system_vgpr_workitem_id 0
		.amdhsa_next_free_vgpr 35
		.amdhsa_next_free_sgpr 12
		.amdhsa_accum_offset 36
		.amdhsa_reserve_vcc 1
		.amdhsa_float_round_mode_32 0
		.amdhsa_float_round_mode_16_64 0
		.amdhsa_float_denorm_mode_32 3
		.amdhsa_float_denorm_mode_16_64 3
		.amdhsa_dx10_clamp 1
		.amdhsa_ieee_mode 1
		.amdhsa_fp16_overflow 0
		.amdhsa_tg_split 0
		.amdhsa_exception_fp_ieee_invalid_op 0
		.amdhsa_exception_fp_denorm_src 0
		.amdhsa_exception_fp_ieee_div_zero 0
		.amdhsa_exception_fp_ieee_overflow 0
		.amdhsa_exception_fp_ieee_underflow 0
		.amdhsa_exception_fp_ieee_inexact 0
		.amdhsa_exception_int_div_zero 0
	.end_amdhsa_kernel
	.section	.text._ZN2at6native29vectorized_elementwise_kernelILi8EZZZNS0_15exp_kernel_cudaERNS_18TensorIteratorBaseEENKUlvE0_clEvENKUlvE1_clEvEUlN3c104HalfEE_St5arrayIPcLm2EEEEviT0_T1_,"axG",@progbits,_ZN2at6native29vectorized_elementwise_kernelILi8EZZZNS0_15exp_kernel_cudaERNS_18TensorIteratorBaseEENKUlvE0_clEvENKUlvE1_clEvEUlN3c104HalfEE_St5arrayIPcLm2EEEEviT0_T1_,comdat
.Lfunc_end91:
	.size	_ZN2at6native29vectorized_elementwise_kernelILi8EZZZNS0_15exp_kernel_cudaERNS_18TensorIteratorBaseEENKUlvE0_clEvENKUlvE1_clEvEUlN3c104HalfEE_St5arrayIPcLm2EEEEviT0_T1_, .Lfunc_end91-_ZN2at6native29vectorized_elementwise_kernelILi8EZZZNS0_15exp_kernel_cudaERNS_18TensorIteratorBaseEENKUlvE0_clEvENKUlvE1_clEvEUlN3c104HalfEE_St5arrayIPcLm2EEEEviT0_T1_
                                        ; -- End function
	.set _ZN2at6native29vectorized_elementwise_kernelILi8EZZZNS0_15exp_kernel_cudaERNS_18TensorIteratorBaseEENKUlvE0_clEvENKUlvE1_clEvEUlN3c104HalfEE_St5arrayIPcLm2EEEEviT0_T1_.num_vgpr, 35
	.set _ZN2at6native29vectorized_elementwise_kernelILi8EZZZNS0_15exp_kernel_cudaERNS_18TensorIteratorBaseEENKUlvE0_clEvENKUlvE1_clEvEUlN3c104HalfEE_St5arrayIPcLm2EEEEviT0_T1_.num_agpr, 0
	.set _ZN2at6native29vectorized_elementwise_kernelILi8EZZZNS0_15exp_kernel_cudaERNS_18TensorIteratorBaseEENKUlvE0_clEvENKUlvE1_clEvEUlN3c104HalfEE_St5arrayIPcLm2EEEEviT0_T1_.numbered_sgpr, 12
	.set _ZN2at6native29vectorized_elementwise_kernelILi8EZZZNS0_15exp_kernel_cudaERNS_18TensorIteratorBaseEENKUlvE0_clEvENKUlvE1_clEvEUlN3c104HalfEE_St5arrayIPcLm2EEEEviT0_T1_.num_named_barrier, 0
	.set _ZN2at6native29vectorized_elementwise_kernelILi8EZZZNS0_15exp_kernel_cudaERNS_18TensorIteratorBaseEENKUlvE0_clEvENKUlvE1_clEvEUlN3c104HalfEE_St5arrayIPcLm2EEEEviT0_T1_.private_seg_size, 0
	.set _ZN2at6native29vectorized_elementwise_kernelILi8EZZZNS0_15exp_kernel_cudaERNS_18TensorIteratorBaseEENKUlvE0_clEvENKUlvE1_clEvEUlN3c104HalfEE_St5arrayIPcLm2EEEEviT0_T1_.uses_vcc, 1
	.set _ZN2at6native29vectorized_elementwise_kernelILi8EZZZNS0_15exp_kernel_cudaERNS_18TensorIteratorBaseEENKUlvE0_clEvENKUlvE1_clEvEUlN3c104HalfEE_St5arrayIPcLm2EEEEviT0_T1_.uses_flat_scratch, 0
	.set _ZN2at6native29vectorized_elementwise_kernelILi8EZZZNS0_15exp_kernel_cudaERNS_18TensorIteratorBaseEENKUlvE0_clEvENKUlvE1_clEvEUlN3c104HalfEE_St5arrayIPcLm2EEEEviT0_T1_.has_dyn_sized_stack, 0
	.set _ZN2at6native29vectorized_elementwise_kernelILi8EZZZNS0_15exp_kernel_cudaERNS_18TensorIteratorBaseEENKUlvE0_clEvENKUlvE1_clEvEUlN3c104HalfEE_St5arrayIPcLm2EEEEviT0_T1_.has_recursion, 0
	.set _ZN2at6native29vectorized_elementwise_kernelILi8EZZZNS0_15exp_kernel_cudaERNS_18TensorIteratorBaseEENKUlvE0_clEvENKUlvE1_clEvEUlN3c104HalfEE_St5arrayIPcLm2EEEEviT0_T1_.has_indirect_call, 0
	.section	.AMDGPU.csdata,"",@progbits
; Kernel info:
; codeLenInByte = 2896
; TotalNumSgprs: 18
; NumVgprs: 35
; NumAgprs: 0
; TotalNumVgprs: 35
; ScratchSize: 0
; MemoryBound: 0
; FloatMode: 240
; IeeeMode: 1
; LDSByteSize: 0 bytes/workgroup (compile time only)
; SGPRBlocks: 2
; VGPRBlocks: 4
; NumSGPRsForWavesPerEU: 18
; NumVGPRsForWavesPerEU: 35
; AccumOffset: 36
; Occupancy: 8
; WaveLimiterHint : 0
; COMPUTE_PGM_RSRC2:SCRATCH_EN: 0
; COMPUTE_PGM_RSRC2:USER_SGPR: 2
; COMPUTE_PGM_RSRC2:TRAP_HANDLER: 0
; COMPUTE_PGM_RSRC2:TGID_X_EN: 1
; COMPUTE_PGM_RSRC2:TGID_Y_EN: 0
; COMPUTE_PGM_RSRC2:TGID_Z_EN: 0
; COMPUTE_PGM_RSRC2:TIDIG_COMP_CNT: 0
; COMPUTE_PGM_RSRC3_GFX90A:ACCUM_OFFSET: 8
; COMPUTE_PGM_RSRC3_GFX90A:TG_SPLIT: 0
	.section	.text._ZN2at6native29vectorized_elementwise_kernelILi4EZZZNS0_15exp_kernel_cudaERNS_18TensorIteratorBaseEENKUlvE0_clEvENKUlvE1_clEvEUlN3c104HalfEE_St5arrayIPcLm2EEEEviT0_T1_,"axG",@progbits,_ZN2at6native29vectorized_elementwise_kernelILi4EZZZNS0_15exp_kernel_cudaERNS_18TensorIteratorBaseEENKUlvE0_clEvENKUlvE1_clEvEUlN3c104HalfEE_St5arrayIPcLm2EEEEviT0_T1_,comdat
	.globl	_ZN2at6native29vectorized_elementwise_kernelILi4EZZZNS0_15exp_kernel_cudaERNS_18TensorIteratorBaseEENKUlvE0_clEvENKUlvE1_clEvEUlN3c104HalfEE_St5arrayIPcLm2EEEEviT0_T1_ ; -- Begin function _ZN2at6native29vectorized_elementwise_kernelILi4EZZZNS0_15exp_kernel_cudaERNS_18TensorIteratorBaseEENKUlvE0_clEvENKUlvE1_clEvEUlN3c104HalfEE_St5arrayIPcLm2EEEEviT0_T1_
	.p2align	8
	.type	_ZN2at6native29vectorized_elementwise_kernelILi4EZZZNS0_15exp_kernel_cudaERNS_18TensorIteratorBaseEENKUlvE0_clEvENKUlvE1_clEvEUlN3c104HalfEE_St5arrayIPcLm2EEEEviT0_T1_,@function
_ZN2at6native29vectorized_elementwise_kernelILi4EZZZNS0_15exp_kernel_cudaERNS_18TensorIteratorBaseEENKUlvE0_clEvENKUlvE1_clEvEUlN3c104HalfEE_St5arrayIPcLm2EEEEviT0_T1_: ; @_ZN2at6native29vectorized_elementwise_kernelILi4EZZZNS0_15exp_kernel_cudaERNS_18TensorIteratorBaseEENKUlvE0_clEvENKUlvE1_clEvEUlN3c104HalfEE_St5arrayIPcLm2EEEEviT0_T1_
; %bb.0:
	s_load_dword s3, s[0:1], 0x0
	s_load_dwordx4 s[4:7], s[0:1], 0x8
	s_lshl_b32 s2, s2, 11
	s_mov_b64 s[0:1], -1
	s_waitcnt lgkmcnt(0)
	s_sub_i32 s10, s3, s2
	s_cmpk_gt_i32 s10, 0x7ff
	s_cbranch_scc0 .LBB92_2
; %bb.1:
	s_ashr_i32 s3, s2, 31
	s_lshl_b64 s[0:1], s[2:3], 1
	s_add_u32 s8, s6, s0
	s_addc_u32 s9, s7, s1
	v_lshlrev_b32_e32 v1, 3, v0
	global_load_dwordx2 v[2:3], v1, s[8:9]
	global_load_dwordx2 v[4:5], v1, s[8:9] offset:2048
	s_mov_b32 s3, 0x3fb8aa3b
	s_mov_b32 s8, 0x32a5705f
	;; [unrolled: 1-line block ×4, first 2 shown]
	v_mov_b32_e32 v6, 0x7f800000
	s_add_u32 s0, s4, s0
	s_addc_u32 s1, s5, s1
	s_waitcnt vmcnt(1)
	v_cvt_f32_f16_e32 v7, v2
	v_cvt_f32_f16_sdwa v8, v2 dst_sel:DWORD dst_unused:UNUSED_PAD src0_sel:WORD_1
	v_cvt_f32_f16_e32 v9, v3
	v_cvt_f32_f16_sdwa v10, v3 dst_sel:DWORD dst_unused:UNUSED_PAD src0_sel:WORD_1
	s_waitcnt vmcnt(0)
	v_cvt_f32_f16_e32 v11, v4
	v_mul_f32_e32 v14, 0x3fb8aa3b, v7
	v_cvt_f32_f16_sdwa v12, v4 dst_sel:DWORD dst_unused:UNUSED_PAD src0_sel:WORD_1
	v_mul_f32_e32 v15, 0x3fb8aa3b, v8
	v_fma_mix_f32 v21, v2, s3, -v14 op_sel_hi:[1,0,0]
	v_rndne_f32_e32 v22, v14
	v_mul_f32_e32 v16, 0x3fb8aa3b, v9
	v_fma_mix_f32 v23, v2, s3, -v15 op_sel:[1,0,0] op_sel_hi:[1,0,0]
	v_rndne_f32_e32 v24, v15
	v_fma_mix_f32 v21, v2, s8, v21 op_sel_hi:[1,0,0]
	v_sub_f32_e32 v14, v14, v22
	v_mul_f32_e32 v17, 0x3fb8aa3b, v10
	v_fma_mix_f32 v25, v3, s3, -v16 op_sel_hi:[1,0,0]
	v_rndne_f32_e32 v26, v16
	v_fma_mix_f32 v2, v2, s8, v23 op_sel:[1,0,0] op_sel_hi:[1,0,0]
	v_sub_f32_e32 v15, v15, v24
	v_add_f32_e32 v14, v14, v21
	v_mul_f32_e32 v18, 0x3fb8aa3b, v11
	v_fma_mix_f32 v27, v3, s3, -v17 op_sel:[1,0,0] op_sel_hi:[1,0,0]
	v_rndne_f32_e32 v28, v17
	v_cvt_i32_f32_e32 v22, v22
	v_cvt_i32_f32_e32 v23, v24
	v_fma_mix_f32 v24, v3, s8, v25 op_sel_hi:[1,0,0]
	v_sub_f32_e32 v16, v16, v26
	v_add_f32_e32 v2, v15, v2
	v_exp_f32_e32 v14, v14
	v_mul_f32_e32 v19, 0x3fb8aa3b, v12
	v_fma_mix_f32 v29, v4, s3, -v18 op_sel_hi:[1,0,0]
	v_rndne_f32_e32 v30, v18
	v_fma_mix_f32 v3, v3, s8, v27 op_sel:[1,0,0] op_sel_hi:[1,0,0]
	v_sub_f32_e32 v17, v17, v28
	v_add_f32_e32 v15, v16, v24
	v_exp_f32_e32 v2, v2
	v_fma_mix_f32 v31, v4, s3, -v19 op_sel:[1,0,0] op_sel_hi:[1,0,0]
	v_rndne_f32_e32 v32, v19
	v_cvt_i32_f32_e32 v25, v26
	v_fma_mix_f32 v27, v4, s8, v29 op_sel_hi:[1,0,0]
	v_sub_f32_e32 v18, v18, v30
	v_add_f32_e32 v3, v17, v3
	v_exp_f32_e32 v15, v15
	v_cvt_i32_f32_e32 v26, v28
	v_fma_mix_f32 v4, v4, s8, v31 op_sel:[1,0,0] op_sel_hi:[1,0,0]
	v_sub_f32_e32 v19, v19, v32
	v_add_f32_e32 v16, v18, v27
	v_exp_f32_e32 v3, v3
	v_cvt_i32_f32_e32 v28, v30
	v_add_f32_e32 v4, v19, v4
	v_exp_f32_e32 v16, v16
	v_ldexp_f32 v14, v14, v22
	v_cmp_ngt_f32_e32 vcc, s9, v7
	v_cvt_i32_f32_e32 v29, v32
	v_exp_f32_e32 v4, v4
	v_ldexp_f32 v2, v2, v23
	v_cndmask_b32_e32 v14, 0, v14, vcc
	v_cmp_ngt_f32_e32 vcc, s9, v8
	v_ldexp_f32 v15, v15, v25
	v_cvt_f32_f16_e32 v13, v5
	v_cndmask_b32_e32 v2, 0, v2, vcc
	v_cmp_ngt_f32_e32 vcc, s9, v9
	v_ldexp_f32 v3, v3, v26
	v_ldexp_f32 v16, v16, v28
	v_cndmask_b32_e32 v15, 0, v15, vcc
	v_cmp_ngt_f32_e32 vcc, s9, v10
	v_ldexp_f32 v4, v4, v29
	v_mul_f32_e32 v20, 0x3fb8aa3b, v13
	v_cndmask_b32_e32 v3, 0, v3, vcc
	v_cmp_ngt_f32_e32 vcc, s9, v11
	v_fma_mix_f32 v33, v5, s3, -v20 op_sel_hi:[1,0,0]
	v_rndne_f32_e32 v34, v20
	v_cndmask_b32_e32 v16, 0, v16, vcc
	v_cmp_ngt_f32_e32 vcc, s9, v12
	v_fma_mix_f32 v30, v5, s8, v33 op_sel_hi:[1,0,0]
	s_nop 0
	v_cndmask_b32_e32 v4, 0, v4, vcc
	v_cmp_nlt_f32_e32 vcc, s11, v7
	s_nop 1
	v_cndmask_b32_e32 v7, v6, v14, vcc
	v_cmp_nlt_f32_e32 vcc, s11, v8
	v_cvt_f32_f16_sdwa v14, v5 dst_sel:DWORD dst_unused:UNUSED_PAD src0_sel:WORD_1
	s_nop 0
	v_cndmask_b32_e32 v2, v6, v2, vcc
	v_cmp_nlt_f32_e32 vcc, s11, v9
	v_cvt_pk_f16_f32 v2, v7, v2
	s_nop 0
	v_cndmask_b32_e32 v8, v6, v15, vcc
	v_cmp_nlt_f32_e32 vcc, s11, v10
	v_sub_f32_e32 v10, v20, v34
	v_add_f32_e32 v10, v10, v30
	v_cndmask_b32_e32 v3, v6, v3, vcc
	v_cmp_nlt_f32_e32 vcc, s11, v11
	v_exp_f32_e32 v10, v10
	v_cvt_i32_f32_e32 v11, v34
	v_cndmask_b32_e32 v9, v6, v16, vcc
	v_cmp_nlt_f32_e32 vcc, s11, v12
	v_cvt_pk_f16_f32 v3, v8, v3
	v_ldexp_f32 v10, v10, v11
	v_mul_f32_e32 v11, 0x3fb8aa3b, v14
	v_fma_mix_f32 v12, v5, s3, -v11 op_sel:[1,0,0] op_sel_hi:[1,0,0]
	v_cndmask_b32_e32 v4, v6, v4, vcc
	v_fma_mix_f32 v5, v5, s8, v12 op_sel:[1,0,0] op_sel_hi:[1,0,0]
	v_rndne_f32_e32 v12, v11
	v_sub_f32_e32 v11, v11, v12
	v_add_f32_e32 v5, v11, v5
	v_exp_f32_e32 v5, v5
	v_cvt_i32_f32_e32 v11, v12
	v_cmp_ngt_f32_e32 vcc, s9, v13
	global_store_dwordx2 v1, v[2:3], s[0:1]
	v_cvt_pk_f16_f32 v2, v9, v4
	v_cndmask_b32_e32 v10, 0, v10, vcc
	v_cmp_nlt_f32_e32 vcc, s11, v13
	v_ldexp_f32 v5, v5, v11
	s_nop 0
	v_cndmask_b32_e32 v10, v6, v10, vcc
	v_cmp_ngt_f32_e32 vcc, s9, v14
	s_nop 1
	v_cndmask_b32_e32 v5, 0, v5, vcc
	v_cmp_nlt_f32_e32 vcc, s11, v14
	s_nop 1
	v_cndmask_b32_e32 v5, v6, v5, vcc
	v_cvt_pk_f16_f32 v3, v10, v5
	global_store_dwordx2 v1, v[2:3], s[0:1] offset:2048
	s_mov_b64 s[0:1], 0
.LBB92_2:
	s_andn2_b64 vcc, exec, s[0:1]
	s_cbranch_vccnz .LBB92_26
; %bb.3:
	v_cmp_gt_i32_e32 vcc, s10, v0
	v_mov_b32_e32 v1, 0x3c00
	v_or_b32_e32 v2, s2, v0
	v_mov_b32_e32 v4, 0x3c00
	v_mov_b32_e32 v3, v0
	s_and_saveexec_b64 s[8:9], vcc
	s_cbranch_execz .LBB92_5
; %bb.4:
	v_mov_b32_e32 v3, 0
	v_lshl_add_u64 v[4:5], v[2:3], 1, s[6:7]
	global_load_ushort v3, v[4:5], off
	s_mov_b32 s0, 0x3fb8aa3b
	s_mov_b32 s1, 0x32a5705f
	;; [unrolled: 1-line block ×3, first 2 shown]
	s_waitcnt vmcnt(0)
	v_cvt_f32_f16_e32 v4, v3
	v_mul_f32_e32 v5, 0x3fb8aa3b, v4
	v_fma_mix_f32 v6, v3, s0, -v5 op_sel_hi:[1,0,0]
	v_rndne_f32_e32 v7, v5
	v_fma_mix_f32 v3, v3, s1, v6 op_sel_hi:[1,0,0]
	v_sub_f32_e32 v5, v5, v7
	v_add_f32_e32 v3, v5, v3
	v_cvt_i32_f32_e32 v6, v7
	v_exp_f32_e32 v3, v3
	s_mov_b32 s0, 0xc2ce8ed0
	v_cmp_ngt_f32_e64 s[0:1], s0, v4
	v_mov_b32_e32 v5, 0x7f800000
	v_ldexp_f32 v3, v3, v6
	v_cndmask_b32_e64 v3, 0, v3, s[0:1]
	v_cmp_nlt_f32_e64 s[0:1], s3, v4
	s_nop 1
	v_cndmask_b32_e64 v3, v5, v3, s[0:1]
	v_cvt_f16_f32_e32 v4, v3
	v_or_b32_e32 v3, 0x100, v0
.LBB92_5:
	s_or_b64 exec, exec, s[8:9]
	v_cmp_gt_i32_e64 s[0:1], s10, v3
	s_and_saveexec_b64 s[8:9], s[0:1]
	s_cbranch_execz .LBB92_7
; %bb.6:
	v_add_u32_e32 v6, s2, v3
	v_mov_b32_e32 v7, 0
	v_lshl_add_u64 v[6:7], v[6:7], 1, s[6:7]
	global_load_ushort v1, v[6:7], off
	s_mov_b32 s0, 0x3fb8aa3b
	s_mov_b32 s1, 0x32a5705f
	;; [unrolled: 1-line block ×3, first 2 shown]
	v_add_u32_e32 v3, 0x100, v3
	s_waitcnt vmcnt(0)
	v_cvt_f32_f16_e32 v5, v1
	v_mul_f32_e32 v6, 0x3fb8aa3b, v5
	v_fma_mix_f32 v7, v1, s0, -v6 op_sel_hi:[1,0,0]
	v_rndne_f32_e32 v8, v6
	v_fma_mix_f32 v1, v1, s1, v7 op_sel_hi:[1,0,0]
	v_sub_f32_e32 v6, v6, v8
	v_add_f32_e32 v1, v6, v1
	v_cvt_i32_f32_e32 v7, v8
	v_exp_f32_e32 v1, v1
	s_mov_b32 s0, 0xc2ce8ed0
	v_cmp_ngt_f32_e64 s[0:1], s0, v5
	v_mov_b32_e32 v6, 0x7f800000
	v_ldexp_f32 v1, v1, v7
	v_cndmask_b32_e64 v1, 0, v1, s[0:1]
	v_cmp_nlt_f32_e64 s[0:1], s3, v5
	s_nop 1
	v_cndmask_b32_e64 v1, v6, v1, s[0:1]
	v_cvt_f16_f32_e32 v1, v1
.LBB92_7:
	s_or_b64 exec, exec, s[8:9]
	v_cmp_gt_i32_e64 s[0:1], s10, v3
	v_mov_b32_e32 v5, 0x3c00
	v_mov_b32_e32 v6, 0x3c00
	s_and_saveexec_b64 s[8:9], s[0:1]
	s_cbranch_execz .LBB92_9
; %bb.8:
	v_add_u32_e32 v6, s2, v3
	v_mov_b32_e32 v7, 0
	v_lshl_add_u64 v[6:7], v[6:7], 1, s[6:7]
	global_load_ushort v6, v[6:7], off
	s_mov_b32 s0, 0x3fb8aa3b
	s_mov_b32 s1, 0x32a5705f
	;; [unrolled: 1-line block ×3, first 2 shown]
	v_add_u32_e32 v3, 0x100, v3
	s_waitcnt vmcnt(0)
	v_cvt_f32_f16_e32 v7, v6
	v_mul_f32_e32 v8, 0x3fb8aa3b, v7
	v_fma_mix_f32 v9, v6, s0, -v8 op_sel_hi:[1,0,0]
	v_rndne_f32_e32 v10, v8
	v_fma_mix_f32 v6, v6, s1, v9 op_sel_hi:[1,0,0]
	v_sub_f32_e32 v8, v8, v10
	v_add_f32_e32 v6, v8, v6
	v_cvt_i32_f32_e32 v9, v10
	v_exp_f32_e32 v6, v6
	s_mov_b32 s0, 0xc2ce8ed0
	v_cmp_ngt_f32_e64 s[0:1], s0, v7
	v_mov_b32_e32 v8, 0x7f800000
	v_ldexp_f32 v6, v6, v9
	v_cndmask_b32_e64 v6, 0, v6, s[0:1]
	v_cmp_nlt_f32_e64 s[0:1], s3, v7
	s_nop 1
	v_cndmask_b32_e64 v6, v8, v6, s[0:1]
	v_cvt_f16_f32_e32 v6, v6
.LBB92_9:
	s_or_b64 exec, exec, s[8:9]
	v_cmp_gt_i32_e64 s[0:1], s10, v3
	s_and_saveexec_b64 s[8:9], s[0:1]
	s_cbranch_execz .LBB92_11
; %bb.10:
	v_add_u32_e32 v8, s2, v3
	v_mov_b32_e32 v9, 0
	v_lshl_add_u64 v[8:9], v[8:9], 1, s[6:7]
	global_load_ushort v5, v[8:9], off
	s_mov_b32 s0, 0x3fb8aa3b
	s_mov_b32 s1, 0x32a5705f
	;; [unrolled: 1-line block ×3, first 2 shown]
	v_add_u32_e32 v3, 0x100, v3
	s_waitcnt vmcnt(0)
	v_cvt_f32_f16_e32 v7, v5
	v_mul_f32_e32 v8, 0x3fb8aa3b, v7
	v_fma_mix_f32 v9, v5, s0, -v8 op_sel_hi:[1,0,0]
	v_rndne_f32_e32 v10, v8
	v_fma_mix_f32 v5, v5, s1, v9 op_sel_hi:[1,0,0]
	v_sub_f32_e32 v8, v8, v10
	v_add_f32_e32 v5, v8, v5
	v_cvt_i32_f32_e32 v9, v10
	v_exp_f32_e32 v5, v5
	s_mov_b32 s0, 0xc2ce8ed0
	v_cmp_ngt_f32_e64 s[0:1], s0, v7
	v_mov_b32_e32 v8, 0x7f800000
	v_ldexp_f32 v5, v5, v9
	v_cndmask_b32_e64 v5, 0, v5, s[0:1]
	v_cmp_nlt_f32_e64 s[0:1], s3, v7
	s_nop 1
	v_cndmask_b32_e64 v5, v8, v5, s[0:1]
	v_cvt_f16_f32_e32 v5, v5
.LBB92_11:
	s_or_b64 exec, exec, s[8:9]
	v_cmp_gt_i32_e64 s[0:1], s10, v3
	v_mov_b32_e32 v7, 0x3c00
	v_mov_b32_e32 v8, 0x3c00
	s_and_saveexec_b64 s[8:9], s[0:1]
	s_cbranch_execz .LBB92_13
; %bb.12:
	v_add_u32_e32 v8, s2, v3
	v_mov_b32_e32 v9, 0
	v_lshl_add_u64 v[8:9], v[8:9], 1, s[6:7]
	global_load_ushort v8, v[8:9], off
	s_mov_b32 s0, 0x3fb8aa3b
	s_mov_b32 s1, 0x32a5705f
	;; [unrolled: 1-line block ×3, first 2 shown]
	v_add_u32_e32 v3, 0x100, v3
	s_waitcnt vmcnt(0)
	v_cvt_f32_f16_e32 v9, v8
	v_mul_f32_e32 v10, 0x3fb8aa3b, v9
	v_fma_mix_f32 v11, v8, s0, -v10 op_sel_hi:[1,0,0]
	v_rndne_f32_e32 v12, v10
	v_fma_mix_f32 v8, v8, s1, v11 op_sel_hi:[1,0,0]
	v_sub_f32_e32 v10, v10, v12
	v_add_f32_e32 v8, v10, v8
	v_cvt_i32_f32_e32 v11, v12
	v_exp_f32_e32 v8, v8
	s_mov_b32 s0, 0xc2ce8ed0
	v_cmp_ngt_f32_e64 s[0:1], s0, v9
	v_mov_b32_e32 v10, 0x7f800000
	v_ldexp_f32 v8, v8, v11
	v_cndmask_b32_e64 v8, 0, v8, s[0:1]
	v_cmp_nlt_f32_e64 s[0:1], s3, v9
	s_nop 1
	v_cndmask_b32_e64 v8, v10, v8, s[0:1]
	v_cvt_f16_f32_e32 v8, v8
.LBB92_13:
	s_or_b64 exec, exec, s[8:9]
	v_cmp_gt_i32_e64 s[0:1], s10, v3
	s_and_saveexec_b64 s[8:9], s[0:1]
	s_cbranch_execz .LBB92_15
; %bb.14:
	v_add_u32_e32 v10, s2, v3
	v_mov_b32_e32 v11, 0
	v_lshl_add_u64 v[10:11], v[10:11], 1, s[6:7]
	global_load_ushort v7, v[10:11], off
	s_mov_b32 s0, 0x3fb8aa3b
	s_mov_b32 s1, 0x32a5705f
	;; [unrolled: 1-line block ×3, first 2 shown]
	v_add_u32_e32 v3, 0x100, v3
	s_waitcnt vmcnt(0)
	v_cvt_f32_f16_e32 v9, v7
	v_mul_f32_e32 v10, 0x3fb8aa3b, v9
	v_fma_mix_f32 v11, v7, s0, -v10 op_sel_hi:[1,0,0]
	v_rndne_f32_e32 v12, v10
	v_fma_mix_f32 v7, v7, s1, v11 op_sel_hi:[1,0,0]
	v_sub_f32_e32 v10, v10, v12
	v_add_f32_e32 v7, v10, v7
	v_cvt_i32_f32_e32 v11, v12
	v_exp_f32_e32 v7, v7
	s_mov_b32 s0, 0xc2ce8ed0
	v_cmp_ngt_f32_e64 s[0:1], s0, v9
	v_mov_b32_e32 v10, 0x7f800000
	v_ldexp_f32 v7, v7, v11
	v_cndmask_b32_e64 v7, 0, v7, s[0:1]
	v_cmp_nlt_f32_e64 s[0:1], s3, v9
	s_nop 1
	v_cndmask_b32_e64 v7, v10, v7, s[0:1]
	v_cvt_f16_f32_e32 v7, v7
.LBB92_15:
	s_or_b64 exec, exec, s[8:9]
	v_cmp_gt_i32_e64 s[0:1], s10, v3
	v_mov_b32_e32 v9, 0x3c00
	v_mov_b32_e32 v10, 0x3c00
	s_and_saveexec_b64 s[8:9], s[0:1]
	s_cbranch_execnz .LBB92_27
; %bb.16:
	s_or_b64 exec, exec, s[8:9]
	v_cmp_gt_i32_e64 s[0:1], s10, v3
	s_and_saveexec_b64 s[8:9], s[0:1]
	s_cbranch_execnz .LBB92_28
.LBB92_17:
	s_or_b64 exec, exec, s[8:9]
	s_and_saveexec_b64 s[0:1], vcc
	s_cbranch_execnz .LBB92_29
.LBB92_18:
	s_or_b64 exec, exec, s[0:1]
	v_cmp_gt_i32_e32 vcc, s10, v0
	s_and_saveexec_b64 s[0:1], vcc
	s_cbranch_execnz .LBB92_30
.LBB92_19:
	s_or_b64 exec, exec, s[0:1]
	v_cmp_gt_i32_e32 vcc, s10, v0
	s_and_saveexec_b64 s[0:1], vcc
	s_cbranch_execnz .LBB92_31
.LBB92_20:
	s_or_b64 exec, exec, s[0:1]
	v_cmp_gt_i32_e32 vcc, s10, v0
	s_and_saveexec_b64 s[0:1], vcc
	s_cbranch_execnz .LBB92_32
.LBB92_21:
	s_or_b64 exec, exec, s[0:1]
	v_cmp_gt_i32_e32 vcc, s10, v0
	s_and_saveexec_b64 s[0:1], vcc
	s_cbranch_execnz .LBB92_33
.LBB92_22:
	s_or_b64 exec, exec, s[0:1]
	v_cmp_gt_i32_e32 vcc, s10, v0
	s_and_saveexec_b64 s[0:1], vcc
	s_cbranch_execnz .LBB92_34
.LBB92_23:
	s_or_b64 exec, exec, s[0:1]
	v_cmp_gt_i32_e32 vcc, s10, v0
	s_and_saveexec_b64 s[0:1], vcc
	s_cbranch_execnz .LBB92_35
.LBB92_24:
	s_or_b64 exec, exec, s[0:1]
	v_cmp_gt_i32_e32 vcc, s10, v0
	s_and_saveexec_b64 s[0:1], vcc
	s_cbranch_execz .LBB92_26
.LBB92_25:
	v_add_u32_e32 v0, s2, v0
	v_mov_b32_e32 v1, 0
	v_lshl_add_u64 v[0:1], v[0:1], 1, s[4:5]
	global_store_short v[0:1], v9, off
.LBB92_26:
	s_endpgm
.LBB92_27:
	v_add_u32_e32 v10, s2, v3
	v_mov_b32_e32 v11, 0
	v_lshl_add_u64 v[10:11], v[10:11], 1, s[6:7]
	global_load_ushort v10, v[10:11], off
	s_mov_b32 s0, 0x3fb8aa3b
	s_mov_b32 s1, 0x32a5705f
	;; [unrolled: 1-line block ×3, first 2 shown]
	v_add_u32_e32 v3, 0x100, v3
	s_waitcnt vmcnt(0)
	v_cvt_f32_f16_e32 v11, v10
	v_mul_f32_e32 v12, 0x3fb8aa3b, v11
	v_fma_mix_f32 v13, v10, s0, -v12 op_sel_hi:[1,0,0]
	v_rndne_f32_e32 v14, v12
	v_fma_mix_f32 v10, v10, s1, v13 op_sel_hi:[1,0,0]
	v_sub_f32_e32 v12, v12, v14
	v_add_f32_e32 v10, v12, v10
	v_cvt_i32_f32_e32 v13, v14
	v_exp_f32_e32 v10, v10
	s_mov_b32 s0, 0xc2ce8ed0
	v_cmp_ngt_f32_e64 s[0:1], s0, v11
	v_mov_b32_e32 v12, 0x7f800000
	v_ldexp_f32 v10, v10, v13
	v_cndmask_b32_e64 v10, 0, v10, s[0:1]
	v_cmp_nlt_f32_e64 s[0:1], s3, v11
	s_nop 1
	v_cndmask_b32_e64 v10, v12, v10, s[0:1]
	v_cvt_f16_f32_e32 v10, v10
	s_or_b64 exec, exec, s[8:9]
	v_cmp_gt_i32_e64 s[0:1], s10, v3
	s_and_saveexec_b64 s[8:9], s[0:1]
	s_cbranch_execz .LBB92_17
.LBB92_28:
	v_add_u32_e32 v12, s2, v3
	v_mov_b32_e32 v13, 0
	v_lshl_add_u64 v[12:13], v[12:13], 1, s[6:7]
	global_load_ushort v3, v[12:13], off
	s_mov_b32 s0, 0x3fb8aa3b
	s_mov_b32 s1, 0x32a5705f
	;; [unrolled: 1-line block ×3, first 2 shown]
	s_waitcnt vmcnt(0)
	v_cvt_f32_f16_e32 v9, v3
	v_mul_f32_e32 v11, 0x3fb8aa3b, v9
	v_fma_mix_f32 v12, v3, s0, -v11 op_sel_hi:[1,0,0]
	v_rndne_f32_e32 v13, v11
	v_fma_mix_f32 v3, v3, s1, v12 op_sel_hi:[1,0,0]
	v_sub_f32_e32 v11, v11, v13
	v_add_f32_e32 v3, v11, v3
	v_cvt_i32_f32_e32 v12, v13
	v_exp_f32_e32 v3, v3
	s_mov_b32 s0, 0xc2ce8ed0
	v_cmp_ngt_f32_e64 s[0:1], s0, v9
	v_mov_b32_e32 v11, 0x7f800000
	v_ldexp_f32 v3, v3, v12
	v_cndmask_b32_e64 v3, 0, v3, s[0:1]
	v_cmp_nlt_f32_e64 s[0:1], s3, v9
	s_nop 1
	v_cndmask_b32_e64 v3, v11, v3, s[0:1]
	v_cvt_f16_f32_e32 v9, v3
	s_or_b64 exec, exec, s[8:9]
	s_and_saveexec_b64 s[0:1], vcc
	s_cbranch_execz .LBB92_18
.LBB92_29:
	v_mov_b32_e32 v3, 0
	v_or_b32_e32 v0, 0x100, v0
	v_lshl_add_u64 v[2:3], v[2:3], 1, s[4:5]
	global_store_short v[2:3], v4, off
	s_or_b64 exec, exec, s[0:1]
	v_cmp_gt_i32_e32 vcc, s10, v0
	s_and_saveexec_b64 s[0:1], vcc
	s_cbranch_execz .LBB92_19
.LBB92_30:
	v_add_u32_e32 v2, s2, v0
	v_mov_b32_e32 v3, 0
	v_lshl_add_u64 v[2:3], v[2:3], 1, s[4:5]
	v_add_u32_e32 v0, 0x100, v0
	global_store_short v[2:3], v1, off
	s_or_b64 exec, exec, s[0:1]
	v_cmp_gt_i32_e32 vcc, s10, v0
	s_and_saveexec_b64 s[0:1], vcc
	s_cbranch_execz .LBB92_20
.LBB92_31:
	v_add_u32_e32 v2, s2, v0
	v_mov_b32_e32 v3, 0
	v_lshl_add_u64 v[2:3], v[2:3], 1, s[4:5]
	v_add_u32_e32 v0, 0x100, v0
	global_store_short v[2:3], v6, off
	s_or_b64 exec, exec, s[0:1]
	v_cmp_gt_i32_e32 vcc, s10, v0
	s_and_saveexec_b64 s[0:1], vcc
	s_cbranch_execz .LBB92_21
.LBB92_32:
	v_add_u32_e32 v2, s2, v0
	v_mov_b32_e32 v3, 0
	v_lshl_add_u64 v[2:3], v[2:3], 1, s[4:5]
	v_add_u32_e32 v0, 0x100, v0
	global_store_short v[2:3], v5, off
	s_or_b64 exec, exec, s[0:1]
	v_cmp_gt_i32_e32 vcc, s10, v0
	s_and_saveexec_b64 s[0:1], vcc
	s_cbranch_execz .LBB92_22
.LBB92_33:
	v_add_u32_e32 v2, s2, v0
	v_mov_b32_e32 v3, 0
	v_lshl_add_u64 v[2:3], v[2:3], 1, s[4:5]
	v_add_u32_e32 v0, 0x100, v0
	global_store_short v[2:3], v8, off
	s_or_b64 exec, exec, s[0:1]
	v_cmp_gt_i32_e32 vcc, s10, v0
	s_and_saveexec_b64 s[0:1], vcc
	s_cbranch_execz .LBB92_23
.LBB92_34:
	v_add_u32_e32 v2, s2, v0
	v_mov_b32_e32 v3, 0
	v_lshl_add_u64 v[2:3], v[2:3], 1, s[4:5]
	v_add_u32_e32 v0, 0x100, v0
	global_store_short v[2:3], v7, off
	s_or_b64 exec, exec, s[0:1]
	v_cmp_gt_i32_e32 vcc, s10, v0
	s_and_saveexec_b64 s[0:1], vcc
	s_cbranch_execz .LBB92_24
.LBB92_35:
	v_add_u32_e32 v2, s2, v0
	v_mov_b32_e32 v3, 0
	v_lshl_add_u64 v[2:3], v[2:3], 1, s[4:5]
	v_add_u32_e32 v0, 0x100, v0
	global_store_short v[2:3], v10, off
	s_or_b64 exec, exec, s[0:1]
	v_cmp_gt_i32_e32 vcc, s10, v0
	s_and_saveexec_b64 s[0:1], vcc
	s_cbranch_execnz .LBB92_25
	s_branch .LBB92_26
	.section	.rodata,"a",@progbits
	.p2align	6, 0x0
	.amdhsa_kernel _ZN2at6native29vectorized_elementwise_kernelILi4EZZZNS0_15exp_kernel_cudaERNS_18TensorIteratorBaseEENKUlvE0_clEvENKUlvE1_clEvEUlN3c104HalfEE_St5arrayIPcLm2EEEEviT0_T1_
		.amdhsa_group_segment_fixed_size 0
		.amdhsa_private_segment_fixed_size 0
		.amdhsa_kernarg_size 24
		.amdhsa_user_sgpr_count 2
		.amdhsa_user_sgpr_dispatch_ptr 0
		.amdhsa_user_sgpr_queue_ptr 0
		.amdhsa_user_sgpr_kernarg_segment_ptr 1
		.amdhsa_user_sgpr_dispatch_id 0
		.amdhsa_user_sgpr_kernarg_preload_length 0
		.amdhsa_user_sgpr_kernarg_preload_offset 0
		.amdhsa_user_sgpr_private_segment_size 0
		.amdhsa_uses_dynamic_stack 0
		.amdhsa_enable_private_segment 0
		.amdhsa_system_sgpr_workgroup_id_x 1
		.amdhsa_system_sgpr_workgroup_id_y 0
		.amdhsa_system_sgpr_workgroup_id_z 0
		.amdhsa_system_sgpr_workgroup_info 0
		.amdhsa_system_vgpr_workitem_id 0
		.amdhsa_next_free_vgpr 35
		.amdhsa_next_free_sgpr 12
		.amdhsa_accum_offset 36
		.amdhsa_reserve_vcc 1
		.amdhsa_float_round_mode_32 0
		.amdhsa_float_round_mode_16_64 0
		.amdhsa_float_denorm_mode_32 3
		.amdhsa_float_denorm_mode_16_64 3
		.amdhsa_dx10_clamp 1
		.amdhsa_ieee_mode 1
		.amdhsa_fp16_overflow 0
		.amdhsa_tg_split 0
		.amdhsa_exception_fp_ieee_invalid_op 0
		.amdhsa_exception_fp_denorm_src 0
		.amdhsa_exception_fp_ieee_div_zero 0
		.amdhsa_exception_fp_ieee_overflow 0
		.amdhsa_exception_fp_ieee_underflow 0
		.amdhsa_exception_fp_ieee_inexact 0
		.amdhsa_exception_int_div_zero 0
	.end_amdhsa_kernel
	.section	.text._ZN2at6native29vectorized_elementwise_kernelILi4EZZZNS0_15exp_kernel_cudaERNS_18TensorIteratorBaseEENKUlvE0_clEvENKUlvE1_clEvEUlN3c104HalfEE_St5arrayIPcLm2EEEEviT0_T1_,"axG",@progbits,_ZN2at6native29vectorized_elementwise_kernelILi4EZZZNS0_15exp_kernel_cudaERNS_18TensorIteratorBaseEENKUlvE0_clEvENKUlvE1_clEvEUlN3c104HalfEE_St5arrayIPcLm2EEEEviT0_T1_,comdat
.Lfunc_end92:
	.size	_ZN2at6native29vectorized_elementwise_kernelILi4EZZZNS0_15exp_kernel_cudaERNS_18TensorIteratorBaseEENKUlvE0_clEvENKUlvE1_clEvEUlN3c104HalfEE_St5arrayIPcLm2EEEEviT0_T1_, .Lfunc_end92-_ZN2at6native29vectorized_elementwise_kernelILi4EZZZNS0_15exp_kernel_cudaERNS_18TensorIteratorBaseEENKUlvE0_clEvENKUlvE1_clEvEUlN3c104HalfEE_St5arrayIPcLm2EEEEviT0_T1_
                                        ; -- End function
	.set _ZN2at6native29vectorized_elementwise_kernelILi4EZZZNS0_15exp_kernel_cudaERNS_18TensorIteratorBaseEENKUlvE0_clEvENKUlvE1_clEvEUlN3c104HalfEE_St5arrayIPcLm2EEEEviT0_T1_.num_vgpr, 35
	.set _ZN2at6native29vectorized_elementwise_kernelILi4EZZZNS0_15exp_kernel_cudaERNS_18TensorIteratorBaseEENKUlvE0_clEvENKUlvE1_clEvEUlN3c104HalfEE_St5arrayIPcLm2EEEEviT0_T1_.num_agpr, 0
	.set _ZN2at6native29vectorized_elementwise_kernelILi4EZZZNS0_15exp_kernel_cudaERNS_18TensorIteratorBaseEENKUlvE0_clEvENKUlvE1_clEvEUlN3c104HalfEE_St5arrayIPcLm2EEEEviT0_T1_.numbered_sgpr, 12
	.set _ZN2at6native29vectorized_elementwise_kernelILi4EZZZNS0_15exp_kernel_cudaERNS_18TensorIteratorBaseEENKUlvE0_clEvENKUlvE1_clEvEUlN3c104HalfEE_St5arrayIPcLm2EEEEviT0_T1_.num_named_barrier, 0
	.set _ZN2at6native29vectorized_elementwise_kernelILi4EZZZNS0_15exp_kernel_cudaERNS_18TensorIteratorBaseEENKUlvE0_clEvENKUlvE1_clEvEUlN3c104HalfEE_St5arrayIPcLm2EEEEviT0_T1_.private_seg_size, 0
	.set _ZN2at6native29vectorized_elementwise_kernelILi4EZZZNS0_15exp_kernel_cudaERNS_18TensorIteratorBaseEENKUlvE0_clEvENKUlvE1_clEvEUlN3c104HalfEE_St5arrayIPcLm2EEEEviT0_T1_.uses_vcc, 1
	.set _ZN2at6native29vectorized_elementwise_kernelILi4EZZZNS0_15exp_kernel_cudaERNS_18TensorIteratorBaseEENKUlvE0_clEvENKUlvE1_clEvEUlN3c104HalfEE_St5arrayIPcLm2EEEEviT0_T1_.uses_flat_scratch, 0
	.set _ZN2at6native29vectorized_elementwise_kernelILi4EZZZNS0_15exp_kernel_cudaERNS_18TensorIteratorBaseEENKUlvE0_clEvENKUlvE1_clEvEUlN3c104HalfEE_St5arrayIPcLm2EEEEviT0_T1_.has_dyn_sized_stack, 0
	.set _ZN2at6native29vectorized_elementwise_kernelILi4EZZZNS0_15exp_kernel_cudaERNS_18TensorIteratorBaseEENKUlvE0_clEvENKUlvE1_clEvEUlN3c104HalfEE_St5arrayIPcLm2EEEEviT0_T1_.has_recursion, 0
	.set _ZN2at6native29vectorized_elementwise_kernelILi4EZZZNS0_15exp_kernel_cudaERNS_18TensorIteratorBaseEENKUlvE0_clEvENKUlvE1_clEvEUlN3c104HalfEE_St5arrayIPcLm2EEEEviT0_T1_.has_indirect_call, 0
	.section	.AMDGPU.csdata,"",@progbits
; Kernel info:
; codeLenInByte = 2920
; TotalNumSgprs: 18
; NumVgprs: 35
; NumAgprs: 0
; TotalNumVgprs: 35
; ScratchSize: 0
; MemoryBound: 0
; FloatMode: 240
; IeeeMode: 1
; LDSByteSize: 0 bytes/workgroup (compile time only)
; SGPRBlocks: 2
; VGPRBlocks: 4
; NumSGPRsForWavesPerEU: 18
; NumVGPRsForWavesPerEU: 35
; AccumOffset: 36
; Occupancy: 8
; WaveLimiterHint : 1
; COMPUTE_PGM_RSRC2:SCRATCH_EN: 0
; COMPUTE_PGM_RSRC2:USER_SGPR: 2
; COMPUTE_PGM_RSRC2:TRAP_HANDLER: 0
; COMPUTE_PGM_RSRC2:TGID_X_EN: 1
; COMPUTE_PGM_RSRC2:TGID_Y_EN: 0
; COMPUTE_PGM_RSRC2:TGID_Z_EN: 0
; COMPUTE_PGM_RSRC2:TIDIG_COMP_CNT: 0
; COMPUTE_PGM_RSRC3_GFX90A:ACCUM_OFFSET: 8
; COMPUTE_PGM_RSRC3_GFX90A:TG_SPLIT: 0
	.section	.text._ZN2at6native29vectorized_elementwise_kernelILi2EZZZNS0_15exp_kernel_cudaERNS_18TensorIteratorBaseEENKUlvE0_clEvENKUlvE1_clEvEUlN3c104HalfEE_St5arrayIPcLm2EEEEviT0_T1_,"axG",@progbits,_ZN2at6native29vectorized_elementwise_kernelILi2EZZZNS0_15exp_kernel_cudaERNS_18TensorIteratorBaseEENKUlvE0_clEvENKUlvE1_clEvEUlN3c104HalfEE_St5arrayIPcLm2EEEEviT0_T1_,comdat
	.globl	_ZN2at6native29vectorized_elementwise_kernelILi2EZZZNS0_15exp_kernel_cudaERNS_18TensorIteratorBaseEENKUlvE0_clEvENKUlvE1_clEvEUlN3c104HalfEE_St5arrayIPcLm2EEEEviT0_T1_ ; -- Begin function _ZN2at6native29vectorized_elementwise_kernelILi2EZZZNS0_15exp_kernel_cudaERNS_18TensorIteratorBaseEENKUlvE0_clEvENKUlvE1_clEvEUlN3c104HalfEE_St5arrayIPcLm2EEEEviT0_T1_
	.p2align	8
	.type	_ZN2at6native29vectorized_elementwise_kernelILi2EZZZNS0_15exp_kernel_cudaERNS_18TensorIteratorBaseEENKUlvE0_clEvENKUlvE1_clEvEUlN3c104HalfEE_St5arrayIPcLm2EEEEviT0_T1_,@function
_ZN2at6native29vectorized_elementwise_kernelILi2EZZZNS0_15exp_kernel_cudaERNS_18TensorIteratorBaseEENKUlvE0_clEvENKUlvE1_clEvEUlN3c104HalfEE_St5arrayIPcLm2EEEEviT0_T1_: ; @_ZN2at6native29vectorized_elementwise_kernelILi2EZZZNS0_15exp_kernel_cudaERNS_18TensorIteratorBaseEENKUlvE0_clEvENKUlvE1_clEvEUlN3c104HalfEE_St5arrayIPcLm2EEEEviT0_T1_
; %bb.0:
	s_load_dword s3, s[0:1], 0x0
	s_load_dwordx4 s[4:7], s[0:1], 0x8
	s_lshl_b32 s2, s2, 11
	s_mov_b64 s[0:1], -1
	s_waitcnt lgkmcnt(0)
	s_sub_i32 s10, s3, s2
	s_cmpk_gt_i32 s10, 0x7ff
	s_cbranch_scc0 .LBB93_2
; %bb.1:
	s_ashr_i32 s3, s2, 31
	s_lshl_b64 s[0:1], s[2:3], 1
	s_add_u32 s8, s6, s0
	s_addc_u32 s9, s7, s1
	v_lshlrev_b32_e32 v1, 2, v0
	global_load_dword v2, v1, s[8:9]
	global_load_dword v3, v1, s[8:9] offset:1024
	global_load_dword v4, v1, s[8:9] offset:2048
	;; [unrolled: 1-line block ×3, first 2 shown]
	s_mov_b32 s3, 0x3fb8aa3b
	s_mov_b32 s8, 0x32a5705f
	;; [unrolled: 1-line block ×4, first 2 shown]
	v_mov_b32_e32 v6, 0x7f800000
	s_add_u32 s0, s4, s0
	s_addc_u32 s1, s5, s1
	s_waitcnt vmcnt(3)
	v_cvt_f32_f16_e32 v7, v2
	v_cvt_f32_f16_sdwa v8, v2 dst_sel:DWORD dst_unused:UNUSED_PAD src0_sel:WORD_1
	s_waitcnt vmcnt(2)
	v_cvt_f32_f16_e32 v9, v3
	v_cvt_f32_f16_sdwa v10, v3 dst_sel:DWORD dst_unused:UNUSED_PAD src0_sel:WORD_1
	s_waitcnt vmcnt(1)
	v_cvt_f32_f16_e32 v11, v4
	v_mul_f32_e32 v14, 0x3fb8aa3b, v7
	v_cvt_f32_f16_sdwa v12, v4 dst_sel:DWORD dst_unused:UNUSED_PAD src0_sel:WORD_1
	v_mul_f32_e32 v15, 0x3fb8aa3b, v8
	v_fma_mix_f32 v21, v2, s3, -v14 op_sel_hi:[1,0,0]
	v_rndne_f32_e32 v22, v14
	v_mul_f32_e32 v16, 0x3fb8aa3b, v9
	v_fma_mix_f32 v23, v2, s3, -v15 op_sel:[1,0,0] op_sel_hi:[1,0,0]
	v_rndne_f32_e32 v24, v15
	v_fma_mix_f32 v21, v2, s8, v21 op_sel_hi:[1,0,0]
	v_sub_f32_e32 v14, v14, v22
	v_mul_f32_e32 v17, 0x3fb8aa3b, v10
	v_fma_mix_f32 v25, v3, s3, -v16 op_sel_hi:[1,0,0]
	v_rndne_f32_e32 v26, v16
	v_fma_mix_f32 v2, v2, s8, v23 op_sel:[1,0,0] op_sel_hi:[1,0,0]
	v_sub_f32_e32 v15, v15, v24
	v_add_f32_e32 v14, v14, v21
	v_mul_f32_e32 v18, 0x3fb8aa3b, v11
	v_fma_mix_f32 v27, v3, s3, -v17 op_sel:[1,0,0] op_sel_hi:[1,0,0]
	v_rndne_f32_e32 v28, v17
	v_cvt_i32_f32_e32 v22, v22
	v_cvt_i32_f32_e32 v23, v24
	v_fma_mix_f32 v24, v3, s8, v25 op_sel_hi:[1,0,0]
	v_sub_f32_e32 v16, v16, v26
	v_add_f32_e32 v2, v15, v2
	v_exp_f32_e32 v14, v14
	v_mul_f32_e32 v19, 0x3fb8aa3b, v12
	v_fma_mix_f32 v29, v4, s3, -v18 op_sel_hi:[1,0,0]
	v_rndne_f32_e32 v30, v18
	v_fma_mix_f32 v3, v3, s8, v27 op_sel:[1,0,0] op_sel_hi:[1,0,0]
	v_sub_f32_e32 v17, v17, v28
	v_add_f32_e32 v15, v16, v24
	v_exp_f32_e32 v2, v2
	v_fma_mix_f32 v31, v4, s3, -v19 op_sel:[1,0,0] op_sel_hi:[1,0,0]
	v_rndne_f32_e32 v32, v19
	v_cvt_i32_f32_e32 v25, v26
	v_fma_mix_f32 v27, v4, s8, v29 op_sel_hi:[1,0,0]
	v_sub_f32_e32 v18, v18, v30
	v_add_f32_e32 v3, v17, v3
	v_exp_f32_e32 v15, v15
	v_cvt_i32_f32_e32 v26, v28
	v_fma_mix_f32 v4, v4, s8, v31 op_sel:[1,0,0] op_sel_hi:[1,0,0]
	v_sub_f32_e32 v19, v19, v32
	v_add_f32_e32 v16, v18, v27
	v_exp_f32_e32 v3, v3
	v_cvt_i32_f32_e32 v28, v30
	v_add_f32_e32 v4, v19, v4
	v_exp_f32_e32 v16, v16
	v_ldexp_f32 v14, v14, v22
	v_cmp_ngt_f32_e32 vcc, s9, v7
	v_cvt_i32_f32_e32 v29, v32
	v_exp_f32_e32 v4, v4
	v_ldexp_f32 v2, v2, v23
	v_cndmask_b32_e32 v14, 0, v14, vcc
	v_cmp_ngt_f32_e32 vcc, s9, v8
	v_ldexp_f32 v15, v15, v25
	v_ldexp_f32 v3, v3, v26
	v_cndmask_b32_e32 v2, 0, v2, vcc
	v_cmp_ngt_f32_e32 vcc, s9, v9
	v_ldexp_f32 v16, v16, v28
	s_waitcnt vmcnt(0)
	v_cvt_f32_f16_e32 v13, v5
	v_cndmask_b32_e32 v15, 0, v15, vcc
	v_cmp_ngt_f32_e32 vcc, s9, v10
	v_ldexp_f32 v4, v4, v29
	v_mul_f32_e32 v20, 0x3fb8aa3b, v13
	v_cndmask_b32_e32 v3, 0, v3, vcc
	v_cmp_ngt_f32_e32 vcc, s9, v11
	v_fma_mix_f32 v33, v5, s3, -v20 op_sel_hi:[1,0,0]
	s_nop 0
	v_cndmask_b32_e32 v16, 0, v16, vcc
	v_cmp_ngt_f32_e32 vcc, s9, v12
	s_nop 1
	v_cndmask_b32_e32 v4, 0, v4, vcc
	v_cmp_nlt_f32_e32 vcc, s11, v7
	s_nop 1
	v_cndmask_b32_e32 v7, v6, v14, vcc
	v_cmp_nlt_f32_e32 vcc, s11, v8
	;; [unrolled: 3-line block ×3, first 2 shown]
	v_cvt_pk_f16_f32 v2, v7, v2
	global_store_dword v1, v2, s[0:1]
	v_cndmask_b32_e32 v8, v6, v15, vcc
	v_cmp_nlt_f32_e32 vcc, s11, v10
	v_fma_mix_f32 v10, v5, s8, v33 op_sel_hi:[1,0,0]
	s_nop 0
	v_cndmask_b32_e32 v3, v6, v3, vcc
	v_cmp_nlt_f32_e32 vcc, s11, v11
	v_rndne_f32_e32 v11, v20
	v_sub_f32_e32 v14, v20, v11
	v_add_f32_e32 v10, v14, v10
	v_exp_f32_e32 v10, v10
	v_cvt_i32_f32_e32 v11, v11
	v_cvt_f32_f16_sdwa v14, v5 dst_sel:DWORD dst_unused:UNUSED_PAD src0_sel:WORD_1
	v_cndmask_b32_e32 v9, v6, v16, vcc
	v_cmp_nlt_f32_e32 vcc, s11, v12
	v_ldexp_f32 v10, v10, v11
	v_mul_f32_e32 v11, 0x3fb8aa3b, v14
	v_fma_mix_f32 v12, v5, s3, -v11 op_sel:[1,0,0] op_sel_hi:[1,0,0]
	v_cndmask_b32_e32 v4, v6, v4, vcc
	v_fma_mix_f32 v5, v5, s8, v12 op_sel:[1,0,0] op_sel_hi:[1,0,0]
	v_rndne_f32_e32 v12, v11
	v_sub_f32_e32 v11, v11, v12
	v_add_f32_e32 v5, v11, v5
	v_exp_f32_e32 v5, v5
	v_cvt_i32_f32_e32 v11, v12
	v_cmp_ngt_f32_e32 vcc, s9, v13
	v_cvt_pk_f16_f32 v2, v8, v3
	global_store_dword v1, v2, s[0:1] offset:1024
	v_cndmask_b32_e32 v10, 0, v10, vcc
	v_cmp_nlt_f32_e32 vcc, s11, v13
	v_ldexp_f32 v5, v5, v11
	v_cvt_pk_f16_f32 v2, v9, v4
	v_cndmask_b32_e32 v10, v6, v10, vcc
	v_cmp_ngt_f32_e32 vcc, s9, v14
	global_store_dword v1, v2, s[0:1] offset:2048
	s_nop 0
	v_cndmask_b32_e32 v5, 0, v5, vcc
	v_cmp_nlt_f32_e32 vcc, s11, v14
	s_nop 1
	v_cndmask_b32_e32 v5, v6, v5, vcc
	v_cvt_pk_f16_f32 v2, v10, v5
	global_store_dword v1, v2, s[0:1] offset:3072
	s_mov_b64 s[0:1], 0
.LBB93_2:
	s_andn2_b64 vcc, exec, s[0:1]
	s_cbranch_vccnz .LBB93_26
; %bb.3:
	v_cmp_gt_i32_e32 vcc, s10, v0
	v_mov_b32_e32 v1, 0x3c00
	v_or_b32_e32 v2, s2, v0
	v_mov_b32_e32 v4, 0x3c00
	v_mov_b32_e32 v3, v0
	s_and_saveexec_b64 s[8:9], vcc
	s_cbranch_execz .LBB93_5
; %bb.4:
	v_mov_b32_e32 v3, 0
	v_lshl_add_u64 v[4:5], v[2:3], 1, s[6:7]
	global_load_ushort v3, v[4:5], off
	s_mov_b32 s0, 0x3fb8aa3b
	s_mov_b32 s1, 0x32a5705f
	;; [unrolled: 1-line block ×3, first 2 shown]
	s_waitcnt vmcnt(0)
	v_cvt_f32_f16_e32 v4, v3
	v_mul_f32_e32 v5, 0x3fb8aa3b, v4
	v_fma_mix_f32 v6, v3, s0, -v5 op_sel_hi:[1,0,0]
	v_rndne_f32_e32 v7, v5
	v_fma_mix_f32 v3, v3, s1, v6 op_sel_hi:[1,0,0]
	v_sub_f32_e32 v5, v5, v7
	v_add_f32_e32 v3, v5, v3
	v_cvt_i32_f32_e32 v6, v7
	v_exp_f32_e32 v3, v3
	s_mov_b32 s0, 0xc2ce8ed0
	v_cmp_ngt_f32_e64 s[0:1], s0, v4
	v_mov_b32_e32 v5, 0x7f800000
	v_ldexp_f32 v3, v3, v6
	v_cndmask_b32_e64 v3, 0, v3, s[0:1]
	v_cmp_nlt_f32_e64 s[0:1], s3, v4
	s_nop 1
	v_cndmask_b32_e64 v3, v5, v3, s[0:1]
	v_cvt_f16_f32_e32 v4, v3
	v_or_b32_e32 v3, 0x100, v0
.LBB93_5:
	s_or_b64 exec, exec, s[8:9]
	v_cmp_gt_i32_e64 s[0:1], s10, v3
	s_and_saveexec_b64 s[8:9], s[0:1]
	s_cbranch_execz .LBB93_7
; %bb.6:
	v_add_u32_e32 v6, s2, v3
	v_mov_b32_e32 v7, 0
	v_lshl_add_u64 v[6:7], v[6:7], 1, s[6:7]
	global_load_ushort v1, v[6:7], off
	s_mov_b32 s0, 0x3fb8aa3b
	s_mov_b32 s1, 0x32a5705f
	;; [unrolled: 1-line block ×3, first 2 shown]
	v_add_u32_e32 v3, 0x100, v3
	s_waitcnt vmcnt(0)
	v_cvt_f32_f16_e32 v5, v1
	v_mul_f32_e32 v6, 0x3fb8aa3b, v5
	v_fma_mix_f32 v7, v1, s0, -v6 op_sel_hi:[1,0,0]
	v_rndne_f32_e32 v8, v6
	v_fma_mix_f32 v1, v1, s1, v7 op_sel_hi:[1,0,0]
	v_sub_f32_e32 v6, v6, v8
	v_add_f32_e32 v1, v6, v1
	v_cvt_i32_f32_e32 v7, v8
	v_exp_f32_e32 v1, v1
	s_mov_b32 s0, 0xc2ce8ed0
	v_cmp_ngt_f32_e64 s[0:1], s0, v5
	v_mov_b32_e32 v6, 0x7f800000
	v_ldexp_f32 v1, v1, v7
	v_cndmask_b32_e64 v1, 0, v1, s[0:1]
	v_cmp_nlt_f32_e64 s[0:1], s3, v5
	s_nop 1
	v_cndmask_b32_e64 v1, v6, v1, s[0:1]
	v_cvt_f16_f32_e32 v1, v1
.LBB93_7:
	s_or_b64 exec, exec, s[8:9]
	v_cmp_gt_i32_e64 s[0:1], s10, v3
	v_mov_b32_e32 v5, 0x3c00
	v_mov_b32_e32 v6, 0x3c00
	s_and_saveexec_b64 s[8:9], s[0:1]
	s_cbranch_execz .LBB93_9
; %bb.8:
	v_add_u32_e32 v6, s2, v3
	v_mov_b32_e32 v7, 0
	v_lshl_add_u64 v[6:7], v[6:7], 1, s[6:7]
	global_load_ushort v6, v[6:7], off
	s_mov_b32 s0, 0x3fb8aa3b
	s_mov_b32 s1, 0x32a5705f
	;; [unrolled: 1-line block ×3, first 2 shown]
	v_add_u32_e32 v3, 0x100, v3
	s_waitcnt vmcnt(0)
	v_cvt_f32_f16_e32 v7, v6
	v_mul_f32_e32 v8, 0x3fb8aa3b, v7
	v_fma_mix_f32 v9, v6, s0, -v8 op_sel_hi:[1,0,0]
	v_rndne_f32_e32 v10, v8
	v_fma_mix_f32 v6, v6, s1, v9 op_sel_hi:[1,0,0]
	v_sub_f32_e32 v8, v8, v10
	v_add_f32_e32 v6, v8, v6
	v_cvt_i32_f32_e32 v9, v10
	v_exp_f32_e32 v6, v6
	s_mov_b32 s0, 0xc2ce8ed0
	v_cmp_ngt_f32_e64 s[0:1], s0, v7
	v_mov_b32_e32 v8, 0x7f800000
	v_ldexp_f32 v6, v6, v9
	v_cndmask_b32_e64 v6, 0, v6, s[0:1]
	v_cmp_nlt_f32_e64 s[0:1], s3, v7
	s_nop 1
	v_cndmask_b32_e64 v6, v8, v6, s[0:1]
	v_cvt_f16_f32_e32 v6, v6
.LBB93_9:
	s_or_b64 exec, exec, s[8:9]
	v_cmp_gt_i32_e64 s[0:1], s10, v3
	s_and_saveexec_b64 s[8:9], s[0:1]
	s_cbranch_execz .LBB93_11
; %bb.10:
	v_add_u32_e32 v8, s2, v3
	v_mov_b32_e32 v9, 0
	v_lshl_add_u64 v[8:9], v[8:9], 1, s[6:7]
	global_load_ushort v5, v[8:9], off
	s_mov_b32 s0, 0x3fb8aa3b
	s_mov_b32 s1, 0x32a5705f
	;; [unrolled: 1-line block ×3, first 2 shown]
	v_add_u32_e32 v3, 0x100, v3
	s_waitcnt vmcnt(0)
	v_cvt_f32_f16_e32 v7, v5
	v_mul_f32_e32 v8, 0x3fb8aa3b, v7
	v_fma_mix_f32 v9, v5, s0, -v8 op_sel_hi:[1,0,0]
	v_rndne_f32_e32 v10, v8
	v_fma_mix_f32 v5, v5, s1, v9 op_sel_hi:[1,0,0]
	v_sub_f32_e32 v8, v8, v10
	v_add_f32_e32 v5, v8, v5
	v_cvt_i32_f32_e32 v9, v10
	v_exp_f32_e32 v5, v5
	s_mov_b32 s0, 0xc2ce8ed0
	v_cmp_ngt_f32_e64 s[0:1], s0, v7
	v_mov_b32_e32 v8, 0x7f800000
	v_ldexp_f32 v5, v5, v9
	v_cndmask_b32_e64 v5, 0, v5, s[0:1]
	v_cmp_nlt_f32_e64 s[0:1], s3, v7
	s_nop 1
	v_cndmask_b32_e64 v5, v8, v5, s[0:1]
	v_cvt_f16_f32_e32 v5, v5
.LBB93_11:
	s_or_b64 exec, exec, s[8:9]
	v_cmp_gt_i32_e64 s[0:1], s10, v3
	v_mov_b32_e32 v7, 0x3c00
	v_mov_b32_e32 v8, 0x3c00
	s_and_saveexec_b64 s[8:9], s[0:1]
	s_cbranch_execz .LBB93_13
; %bb.12:
	v_add_u32_e32 v8, s2, v3
	v_mov_b32_e32 v9, 0
	v_lshl_add_u64 v[8:9], v[8:9], 1, s[6:7]
	global_load_ushort v8, v[8:9], off
	s_mov_b32 s0, 0x3fb8aa3b
	s_mov_b32 s1, 0x32a5705f
	;; [unrolled: 1-line block ×3, first 2 shown]
	v_add_u32_e32 v3, 0x100, v3
	s_waitcnt vmcnt(0)
	v_cvt_f32_f16_e32 v9, v8
	v_mul_f32_e32 v10, 0x3fb8aa3b, v9
	v_fma_mix_f32 v11, v8, s0, -v10 op_sel_hi:[1,0,0]
	v_rndne_f32_e32 v12, v10
	v_fma_mix_f32 v8, v8, s1, v11 op_sel_hi:[1,0,0]
	v_sub_f32_e32 v10, v10, v12
	v_add_f32_e32 v8, v10, v8
	v_cvt_i32_f32_e32 v11, v12
	v_exp_f32_e32 v8, v8
	s_mov_b32 s0, 0xc2ce8ed0
	v_cmp_ngt_f32_e64 s[0:1], s0, v9
	v_mov_b32_e32 v10, 0x7f800000
	v_ldexp_f32 v8, v8, v11
	v_cndmask_b32_e64 v8, 0, v8, s[0:1]
	v_cmp_nlt_f32_e64 s[0:1], s3, v9
	s_nop 1
	v_cndmask_b32_e64 v8, v10, v8, s[0:1]
	v_cvt_f16_f32_e32 v8, v8
.LBB93_13:
	s_or_b64 exec, exec, s[8:9]
	v_cmp_gt_i32_e64 s[0:1], s10, v3
	s_and_saveexec_b64 s[8:9], s[0:1]
	s_cbranch_execz .LBB93_15
; %bb.14:
	v_add_u32_e32 v10, s2, v3
	v_mov_b32_e32 v11, 0
	v_lshl_add_u64 v[10:11], v[10:11], 1, s[6:7]
	global_load_ushort v7, v[10:11], off
	s_mov_b32 s0, 0x3fb8aa3b
	s_mov_b32 s1, 0x32a5705f
	;; [unrolled: 1-line block ×3, first 2 shown]
	v_add_u32_e32 v3, 0x100, v3
	s_waitcnt vmcnt(0)
	v_cvt_f32_f16_e32 v9, v7
	v_mul_f32_e32 v10, 0x3fb8aa3b, v9
	v_fma_mix_f32 v11, v7, s0, -v10 op_sel_hi:[1,0,0]
	v_rndne_f32_e32 v12, v10
	v_fma_mix_f32 v7, v7, s1, v11 op_sel_hi:[1,0,0]
	v_sub_f32_e32 v10, v10, v12
	v_add_f32_e32 v7, v10, v7
	v_cvt_i32_f32_e32 v11, v12
	v_exp_f32_e32 v7, v7
	s_mov_b32 s0, 0xc2ce8ed0
	v_cmp_ngt_f32_e64 s[0:1], s0, v9
	v_mov_b32_e32 v10, 0x7f800000
	v_ldexp_f32 v7, v7, v11
	v_cndmask_b32_e64 v7, 0, v7, s[0:1]
	v_cmp_nlt_f32_e64 s[0:1], s3, v9
	s_nop 1
	v_cndmask_b32_e64 v7, v10, v7, s[0:1]
	v_cvt_f16_f32_e32 v7, v7
.LBB93_15:
	s_or_b64 exec, exec, s[8:9]
	v_cmp_gt_i32_e64 s[0:1], s10, v3
	v_mov_b32_e32 v9, 0x3c00
	v_mov_b32_e32 v10, 0x3c00
	s_and_saveexec_b64 s[8:9], s[0:1]
	s_cbranch_execnz .LBB93_27
; %bb.16:
	s_or_b64 exec, exec, s[8:9]
	v_cmp_gt_i32_e64 s[0:1], s10, v3
	s_and_saveexec_b64 s[8:9], s[0:1]
	s_cbranch_execnz .LBB93_28
.LBB93_17:
	s_or_b64 exec, exec, s[8:9]
	s_and_saveexec_b64 s[0:1], vcc
	s_cbranch_execnz .LBB93_29
.LBB93_18:
	s_or_b64 exec, exec, s[0:1]
	v_cmp_gt_i32_e32 vcc, s10, v0
	s_and_saveexec_b64 s[0:1], vcc
	s_cbranch_execnz .LBB93_30
.LBB93_19:
	s_or_b64 exec, exec, s[0:1]
	v_cmp_gt_i32_e32 vcc, s10, v0
	s_and_saveexec_b64 s[0:1], vcc
	s_cbranch_execnz .LBB93_31
.LBB93_20:
	s_or_b64 exec, exec, s[0:1]
	v_cmp_gt_i32_e32 vcc, s10, v0
	s_and_saveexec_b64 s[0:1], vcc
	s_cbranch_execnz .LBB93_32
.LBB93_21:
	s_or_b64 exec, exec, s[0:1]
	v_cmp_gt_i32_e32 vcc, s10, v0
	s_and_saveexec_b64 s[0:1], vcc
	s_cbranch_execnz .LBB93_33
.LBB93_22:
	s_or_b64 exec, exec, s[0:1]
	v_cmp_gt_i32_e32 vcc, s10, v0
	s_and_saveexec_b64 s[0:1], vcc
	s_cbranch_execnz .LBB93_34
.LBB93_23:
	s_or_b64 exec, exec, s[0:1]
	v_cmp_gt_i32_e32 vcc, s10, v0
	s_and_saveexec_b64 s[0:1], vcc
	s_cbranch_execnz .LBB93_35
.LBB93_24:
	s_or_b64 exec, exec, s[0:1]
	v_cmp_gt_i32_e32 vcc, s10, v0
	s_and_saveexec_b64 s[0:1], vcc
	s_cbranch_execz .LBB93_26
.LBB93_25:
	v_add_u32_e32 v0, s2, v0
	v_mov_b32_e32 v1, 0
	v_lshl_add_u64 v[0:1], v[0:1], 1, s[4:5]
	global_store_short v[0:1], v9, off
.LBB93_26:
	s_endpgm
.LBB93_27:
	v_add_u32_e32 v10, s2, v3
	v_mov_b32_e32 v11, 0
	v_lshl_add_u64 v[10:11], v[10:11], 1, s[6:7]
	global_load_ushort v10, v[10:11], off
	s_mov_b32 s0, 0x3fb8aa3b
	s_mov_b32 s1, 0x32a5705f
	;; [unrolled: 1-line block ×3, first 2 shown]
	v_add_u32_e32 v3, 0x100, v3
	s_waitcnt vmcnt(0)
	v_cvt_f32_f16_e32 v11, v10
	v_mul_f32_e32 v12, 0x3fb8aa3b, v11
	v_fma_mix_f32 v13, v10, s0, -v12 op_sel_hi:[1,0,0]
	v_rndne_f32_e32 v14, v12
	v_fma_mix_f32 v10, v10, s1, v13 op_sel_hi:[1,0,0]
	v_sub_f32_e32 v12, v12, v14
	v_add_f32_e32 v10, v12, v10
	v_cvt_i32_f32_e32 v13, v14
	v_exp_f32_e32 v10, v10
	s_mov_b32 s0, 0xc2ce8ed0
	v_cmp_ngt_f32_e64 s[0:1], s0, v11
	v_mov_b32_e32 v12, 0x7f800000
	v_ldexp_f32 v10, v10, v13
	v_cndmask_b32_e64 v10, 0, v10, s[0:1]
	v_cmp_nlt_f32_e64 s[0:1], s3, v11
	s_nop 1
	v_cndmask_b32_e64 v10, v12, v10, s[0:1]
	v_cvt_f16_f32_e32 v10, v10
	s_or_b64 exec, exec, s[8:9]
	v_cmp_gt_i32_e64 s[0:1], s10, v3
	s_and_saveexec_b64 s[8:9], s[0:1]
	s_cbranch_execz .LBB93_17
.LBB93_28:
	v_add_u32_e32 v12, s2, v3
	v_mov_b32_e32 v13, 0
	v_lshl_add_u64 v[12:13], v[12:13], 1, s[6:7]
	global_load_ushort v3, v[12:13], off
	s_mov_b32 s0, 0x3fb8aa3b
	s_mov_b32 s1, 0x32a5705f
	;; [unrolled: 1-line block ×3, first 2 shown]
	s_waitcnt vmcnt(0)
	v_cvt_f32_f16_e32 v9, v3
	v_mul_f32_e32 v11, 0x3fb8aa3b, v9
	v_fma_mix_f32 v12, v3, s0, -v11 op_sel_hi:[1,0,0]
	v_rndne_f32_e32 v13, v11
	v_fma_mix_f32 v3, v3, s1, v12 op_sel_hi:[1,0,0]
	v_sub_f32_e32 v11, v11, v13
	v_add_f32_e32 v3, v11, v3
	v_cvt_i32_f32_e32 v12, v13
	v_exp_f32_e32 v3, v3
	s_mov_b32 s0, 0xc2ce8ed0
	v_cmp_ngt_f32_e64 s[0:1], s0, v9
	v_mov_b32_e32 v11, 0x7f800000
	v_ldexp_f32 v3, v3, v12
	v_cndmask_b32_e64 v3, 0, v3, s[0:1]
	v_cmp_nlt_f32_e64 s[0:1], s3, v9
	s_nop 1
	v_cndmask_b32_e64 v3, v11, v3, s[0:1]
	v_cvt_f16_f32_e32 v9, v3
	s_or_b64 exec, exec, s[8:9]
	s_and_saveexec_b64 s[0:1], vcc
	s_cbranch_execz .LBB93_18
.LBB93_29:
	v_mov_b32_e32 v3, 0
	v_or_b32_e32 v0, 0x100, v0
	v_lshl_add_u64 v[2:3], v[2:3], 1, s[4:5]
	global_store_short v[2:3], v4, off
	s_or_b64 exec, exec, s[0:1]
	v_cmp_gt_i32_e32 vcc, s10, v0
	s_and_saveexec_b64 s[0:1], vcc
	s_cbranch_execz .LBB93_19
.LBB93_30:
	v_add_u32_e32 v2, s2, v0
	v_mov_b32_e32 v3, 0
	v_lshl_add_u64 v[2:3], v[2:3], 1, s[4:5]
	v_add_u32_e32 v0, 0x100, v0
	global_store_short v[2:3], v1, off
	s_or_b64 exec, exec, s[0:1]
	v_cmp_gt_i32_e32 vcc, s10, v0
	s_and_saveexec_b64 s[0:1], vcc
	s_cbranch_execz .LBB93_20
.LBB93_31:
	v_add_u32_e32 v2, s2, v0
	v_mov_b32_e32 v3, 0
	v_lshl_add_u64 v[2:3], v[2:3], 1, s[4:5]
	v_add_u32_e32 v0, 0x100, v0
	global_store_short v[2:3], v6, off
	s_or_b64 exec, exec, s[0:1]
	v_cmp_gt_i32_e32 vcc, s10, v0
	s_and_saveexec_b64 s[0:1], vcc
	s_cbranch_execz .LBB93_21
.LBB93_32:
	v_add_u32_e32 v2, s2, v0
	v_mov_b32_e32 v3, 0
	v_lshl_add_u64 v[2:3], v[2:3], 1, s[4:5]
	v_add_u32_e32 v0, 0x100, v0
	global_store_short v[2:3], v5, off
	s_or_b64 exec, exec, s[0:1]
	v_cmp_gt_i32_e32 vcc, s10, v0
	s_and_saveexec_b64 s[0:1], vcc
	s_cbranch_execz .LBB93_22
.LBB93_33:
	v_add_u32_e32 v2, s2, v0
	v_mov_b32_e32 v3, 0
	v_lshl_add_u64 v[2:3], v[2:3], 1, s[4:5]
	v_add_u32_e32 v0, 0x100, v0
	global_store_short v[2:3], v8, off
	s_or_b64 exec, exec, s[0:1]
	v_cmp_gt_i32_e32 vcc, s10, v0
	s_and_saveexec_b64 s[0:1], vcc
	s_cbranch_execz .LBB93_23
.LBB93_34:
	v_add_u32_e32 v2, s2, v0
	v_mov_b32_e32 v3, 0
	v_lshl_add_u64 v[2:3], v[2:3], 1, s[4:5]
	v_add_u32_e32 v0, 0x100, v0
	global_store_short v[2:3], v7, off
	s_or_b64 exec, exec, s[0:1]
	v_cmp_gt_i32_e32 vcc, s10, v0
	s_and_saveexec_b64 s[0:1], vcc
	s_cbranch_execz .LBB93_24
.LBB93_35:
	v_add_u32_e32 v2, s2, v0
	v_mov_b32_e32 v3, 0
	v_lshl_add_u64 v[2:3], v[2:3], 1, s[4:5]
	v_add_u32_e32 v0, 0x100, v0
	global_store_short v[2:3], v10, off
	s_or_b64 exec, exec, s[0:1]
	v_cmp_gt_i32_e32 vcc, s10, v0
	s_and_saveexec_b64 s[0:1], vcc
	s_cbranch_execnz .LBB93_25
	s_branch .LBB93_26
	.section	.rodata,"a",@progbits
	.p2align	6, 0x0
	.amdhsa_kernel _ZN2at6native29vectorized_elementwise_kernelILi2EZZZNS0_15exp_kernel_cudaERNS_18TensorIteratorBaseEENKUlvE0_clEvENKUlvE1_clEvEUlN3c104HalfEE_St5arrayIPcLm2EEEEviT0_T1_
		.amdhsa_group_segment_fixed_size 0
		.amdhsa_private_segment_fixed_size 0
		.amdhsa_kernarg_size 24
		.amdhsa_user_sgpr_count 2
		.amdhsa_user_sgpr_dispatch_ptr 0
		.amdhsa_user_sgpr_queue_ptr 0
		.amdhsa_user_sgpr_kernarg_segment_ptr 1
		.amdhsa_user_sgpr_dispatch_id 0
		.amdhsa_user_sgpr_kernarg_preload_length 0
		.amdhsa_user_sgpr_kernarg_preload_offset 0
		.amdhsa_user_sgpr_private_segment_size 0
		.amdhsa_uses_dynamic_stack 0
		.amdhsa_enable_private_segment 0
		.amdhsa_system_sgpr_workgroup_id_x 1
		.amdhsa_system_sgpr_workgroup_id_y 0
		.amdhsa_system_sgpr_workgroup_id_z 0
		.amdhsa_system_sgpr_workgroup_info 0
		.amdhsa_system_vgpr_workitem_id 0
		.amdhsa_next_free_vgpr 34
		.amdhsa_next_free_sgpr 12
		.amdhsa_accum_offset 36
		.amdhsa_reserve_vcc 1
		.amdhsa_float_round_mode_32 0
		.amdhsa_float_round_mode_16_64 0
		.amdhsa_float_denorm_mode_32 3
		.amdhsa_float_denorm_mode_16_64 3
		.amdhsa_dx10_clamp 1
		.amdhsa_ieee_mode 1
		.amdhsa_fp16_overflow 0
		.amdhsa_tg_split 0
		.amdhsa_exception_fp_ieee_invalid_op 0
		.amdhsa_exception_fp_denorm_src 0
		.amdhsa_exception_fp_ieee_div_zero 0
		.amdhsa_exception_fp_ieee_overflow 0
		.amdhsa_exception_fp_ieee_underflow 0
		.amdhsa_exception_fp_ieee_inexact 0
		.amdhsa_exception_int_div_zero 0
	.end_amdhsa_kernel
	.section	.text._ZN2at6native29vectorized_elementwise_kernelILi2EZZZNS0_15exp_kernel_cudaERNS_18TensorIteratorBaseEENKUlvE0_clEvENKUlvE1_clEvEUlN3c104HalfEE_St5arrayIPcLm2EEEEviT0_T1_,"axG",@progbits,_ZN2at6native29vectorized_elementwise_kernelILi2EZZZNS0_15exp_kernel_cudaERNS_18TensorIteratorBaseEENKUlvE0_clEvENKUlvE1_clEvEUlN3c104HalfEE_St5arrayIPcLm2EEEEviT0_T1_,comdat
.Lfunc_end93:
	.size	_ZN2at6native29vectorized_elementwise_kernelILi2EZZZNS0_15exp_kernel_cudaERNS_18TensorIteratorBaseEENKUlvE0_clEvENKUlvE1_clEvEUlN3c104HalfEE_St5arrayIPcLm2EEEEviT0_T1_, .Lfunc_end93-_ZN2at6native29vectorized_elementwise_kernelILi2EZZZNS0_15exp_kernel_cudaERNS_18TensorIteratorBaseEENKUlvE0_clEvENKUlvE1_clEvEUlN3c104HalfEE_St5arrayIPcLm2EEEEviT0_T1_
                                        ; -- End function
	.set _ZN2at6native29vectorized_elementwise_kernelILi2EZZZNS0_15exp_kernel_cudaERNS_18TensorIteratorBaseEENKUlvE0_clEvENKUlvE1_clEvEUlN3c104HalfEE_St5arrayIPcLm2EEEEviT0_T1_.num_vgpr, 34
	.set _ZN2at6native29vectorized_elementwise_kernelILi2EZZZNS0_15exp_kernel_cudaERNS_18TensorIteratorBaseEENKUlvE0_clEvENKUlvE1_clEvEUlN3c104HalfEE_St5arrayIPcLm2EEEEviT0_T1_.num_agpr, 0
	.set _ZN2at6native29vectorized_elementwise_kernelILi2EZZZNS0_15exp_kernel_cudaERNS_18TensorIteratorBaseEENKUlvE0_clEvENKUlvE1_clEvEUlN3c104HalfEE_St5arrayIPcLm2EEEEviT0_T1_.numbered_sgpr, 12
	.set _ZN2at6native29vectorized_elementwise_kernelILi2EZZZNS0_15exp_kernel_cudaERNS_18TensorIteratorBaseEENKUlvE0_clEvENKUlvE1_clEvEUlN3c104HalfEE_St5arrayIPcLm2EEEEviT0_T1_.num_named_barrier, 0
	.set _ZN2at6native29vectorized_elementwise_kernelILi2EZZZNS0_15exp_kernel_cudaERNS_18TensorIteratorBaseEENKUlvE0_clEvENKUlvE1_clEvEUlN3c104HalfEE_St5arrayIPcLm2EEEEviT0_T1_.private_seg_size, 0
	.set _ZN2at6native29vectorized_elementwise_kernelILi2EZZZNS0_15exp_kernel_cudaERNS_18TensorIteratorBaseEENKUlvE0_clEvENKUlvE1_clEvEUlN3c104HalfEE_St5arrayIPcLm2EEEEviT0_T1_.uses_vcc, 1
	.set _ZN2at6native29vectorized_elementwise_kernelILi2EZZZNS0_15exp_kernel_cudaERNS_18TensorIteratorBaseEENKUlvE0_clEvENKUlvE1_clEvEUlN3c104HalfEE_St5arrayIPcLm2EEEEviT0_T1_.uses_flat_scratch, 0
	.set _ZN2at6native29vectorized_elementwise_kernelILi2EZZZNS0_15exp_kernel_cudaERNS_18TensorIteratorBaseEENKUlvE0_clEvENKUlvE1_clEvEUlN3c104HalfEE_St5arrayIPcLm2EEEEviT0_T1_.has_dyn_sized_stack, 0
	.set _ZN2at6native29vectorized_elementwise_kernelILi2EZZZNS0_15exp_kernel_cudaERNS_18TensorIteratorBaseEENKUlvE0_clEvENKUlvE1_clEvEUlN3c104HalfEE_St5arrayIPcLm2EEEEviT0_T1_.has_recursion, 0
	.set _ZN2at6native29vectorized_elementwise_kernelILi2EZZZNS0_15exp_kernel_cudaERNS_18TensorIteratorBaseEENKUlvE0_clEvENKUlvE1_clEvEUlN3c104HalfEE_St5arrayIPcLm2EEEEviT0_T1_.has_indirect_call, 0
	.section	.AMDGPU.csdata,"",@progbits
; Kernel info:
; codeLenInByte = 2960
; TotalNumSgprs: 18
; NumVgprs: 34
; NumAgprs: 0
; TotalNumVgprs: 34
; ScratchSize: 0
; MemoryBound: 0
; FloatMode: 240
; IeeeMode: 1
; LDSByteSize: 0 bytes/workgroup (compile time only)
; SGPRBlocks: 2
; VGPRBlocks: 4
; NumSGPRsForWavesPerEU: 18
; NumVGPRsForWavesPerEU: 34
; AccumOffset: 36
; Occupancy: 8
; WaveLimiterHint : 1
; COMPUTE_PGM_RSRC2:SCRATCH_EN: 0
; COMPUTE_PGM_RSRC2:USER_SGPR: 2
; COMPUTE_PGM_RSRC2:TRAP_HANDLER: 0
; COMPUTE_PGM_RSRC2:TGID_X_EN: 1
; COMPUTE_PGM_RSRC2:TGID_Y_EN: 0
; COMPUTE_PGM_RSRC2:TGID_Z_EN: 0
; COMPUTE_PGM_RSRC2:TIDIG_COMP_CNT: 0
; COMPUTE_PGM_RSRC3_GFX90A:ACCUM_OFFSET: 8
; COMPUTE_PGM_RSRC3_GFX90A:TG_SPLIT: 0
	.section	.text._ZN2at6native27unrolled_elementwise_kernelIZZZNS0_15exp_kernel_cudaERNS_18TensorIteratorBaseEENKUlvE0_clEvENKUlvE1_clEvEUlN3c104HalfEE_St5arrayIPcLm2EELi4E23TrivialOffsetCalculatorILi1EjESD_NS0_6memory15LoadWithoutCastENSE_16StoreWithoutCastEEEviT_T0_T2_T3_T4_T5_,"axG",@progbits,_ZN2at6native27unrolled_elementwise_kernelIZZZNS0_15exp_kernel_cudaERNS_18TensorIteratorBaseEENKUlvE0_clEvENKUlvE1_clEvEUlN3c104HalfEE_St5arrayIPcLm2EELi4E23TrivialOffsetCalculatorILi1EjESD_NS0_6memory15LoadWithoutCastENSE_16StoreWithoutCastEEEviT_T0_T2_T3_T4_T5_,comdat
	.globl	_ZN2at6native27unrolled_elementwise_kernelIZZZNS0_15exp_kernel_cudaERNS_18TensorIteratorBaseEENKUlvE0_clEvENKUlvE1_clEvEUlN3c104HalfEE_St5arrayIPcLm2EELi4E23TrivialOffsetCalculatorILi1EjESD_NS0_6memory15LoadWithoutCastENSE_16StoreWithoutCastEEEviT_T0_T2_T3_T4_T5_ ; -- Begin function _ZN2at6native27unrolled_elementwise_kernelIZZZNS0_15exp_kernel_cudaERNS_18TensorIteratorBaseEENKUlvE0_clEvENKUlvE1_clEvEUlN3c104HalfEE_St5arrayIPcLm2EELi4E23TrivialOffsetCalculatorILi1EjESD_NS0_6memory15LoadWithoutCastENSE_16StoreWithoutCastEEEviT_T0_T2_T3_T4_T5_
	.p2align	8
	.type	_ZN2at6native27unrolled_elementwise_kernelIZZZNS0_15exp_kernel_cudaERNS_18TensorIteratorBaseEENKUlvE0_clEvENKUlvE1_clEvEUlN3c104HalfEE_St5arrayIPcLm2EELi4E23TrivialOffsetCalculatorILi1EjESD_NS0_6memory15LoadWithoutCastENSE_16StoreWithoutCastEEEviT_T0_T2_T3_T4_T5_,@function
_ZN2at6native27unrolled_elementwise_kernelIZZZNS0_15exp_kernel_cudaERNS_18TensorIteratorBaseEENKUlvE0_clEvENKUlvE1_clEvEUlN3c104HalfEE_St5arrayIPcLm2EELi4E23TrivialOffsetCalculatorILi1EjESD_NS0_6memory15LoadWithoutCastENSE_16StoreWithoutCastEEEviT_T0_T2_T3_T4_T5_: ; @_ZN2at6native27unrolled_elementwise_kernelIZZZNS0_15exp_kernel_cudaERNS_18TensorIteratorBaseEENKUlvE0_clEvENKUlvE1_clEvEUlN3c104HalfEE_St5arrayIPcLm2EELi4E23TrivialOffsetCalculatorILi1EjESD_NS0_6memory15LoadWithoutCastENSE_16StoreWithoutCastEEEviT_T0_T2_T3_T4_T5_
; %bb.0:
	s_load_dword s3, s[0:1], 0x0
	s_load_dwordx4 s[4:7], s[0:1], 0x8
	s_lshl_b32 s8, s2, 10
	v_mov_b32_e32 v1, 0x3c00
	v_or_b32_e32 v2, s8, v0
	s_waitcnt lgkmcnt(0)
	s_sub_i32 s9, s3, s8
	v_cmp_gt_i32_e32 vcc, s9, v0
	v_mov_b32_e32 v4, 0x3c00
	v_mov_b32_e32 v3, v0
	s_and_saveexec_b64 s[2:3], vcc
	s_cbranch_execz .LBB94_2
; %bb.1:
	v_mov_b32_e32 v3, 0
	v_lshl_add_u64 v[4:5], v[2:3], 1, s[6:7]
	global_load_ushort v3, v[4:5], off
	s_mov_b32 s0, 0x3fb8aa3b
	s_mov_b32 s1, 0x32a5705f
	;; [unrolled: 1-line block ×3, first 2 shown]
	s_waitcnt vmcnt(0)
	v_cvt_f32_f16_e32 v4, v3
	v_mul_f32_e32 v5, 0x3fb8aa3b, v4
	v_fma_mix_f32 v6, v3, s0, -v5 op_sel_hi:[1,0,0]
	v_rndne_f32_e32 v7, v5
	v_fma_mix_f32 v3, v3, s1, v6 op_sel_hi:[1,0,0]
	v_sub_f32_e32 v5, v5, v7
	v_add_f32_e32 v3, v5, v3
	v_cvt_i32_f32_e32 v6, v7
	v_exp_f32_e32 v3, v3
	s_mov_b32 s0, 0xc2ce8ed0
	v_cmp_ngt_f32_e64 s[0:1], s0, v4
	v_mov_b32_e32 v5, 0x7f800000
	v_ldexp_f32 v3, v3, v6
	v_cndmask_b32_e64 v3, 0, v3, s[0:1]
	v_cmp_nlt_f32_e64 s[0:1], s10, v4
	s_nop 1
	v_cndmask_b32_e64 v3, v5, v3, s[0:1]
	v_cvt_f16_f32_e32 v4, v3
	v_or_b32_e32 v3, 0x100, v0
.LBB94_2:
	s_or_b64 exec, exec, s[2:3]
	v_cmp_gt_i32_e64 s[0:1], s9, v3
	s_and_saveexec_b64 s[2:3], s[0:1]
	s_cbranch_execz .LBB94_4
; %bb.3:
	v_add_u32_e32 v6, s8, v3
	v_mov_b32_e32 v7, 0
	v_lshl_add_u64 v[6:7], v[6:7], 1, s[6:7]
	global_load_ushort v1, v[6:7], off
	s_mov_b32 s0, 0x3fb8aa3b
	s_mov_b32 s1, 0x32a5705f
	;; [unrolled: 1-line block ×3, first 2 shown]
	v_add_u32_e32 v3, 0x100, v3
	s_waitcnt vmcnt(0)
	v_cvt_f32_f16_e32 v5, v1
	v_mul_f32_e32 v6, 0x3fb8aa3b, v5
	v_fma_mix_f32 v7, v1, s0, -v6 op_sel_hi:[1,0,0]
	v_rndne_f32_e32 v8, v6
	v_fma_mix_f32 v1, v1, s1, v7 op_sel_hi:[1,0,0]
	v_sub_f32_e32 v6, v6, v8
	v_add_f32_e32 v1, v6, v1
	v_cvt_i32_f32_e32 v7, v8
	v_exp_f32_e32 v1, v1
	s_mov_b32 s0, 0xc2ce8ed0
	v_cmp_ngt_f32_e64 s[0:1], s0, v5
	v_mov_b32_e32 v6, 0x7f800000
	v_ldexp_f32 v1, v1, v7
	v_cndmask_b32_e64 v1, 0, v1, s[0:1]
	v_cmp_nlt_f32_e64 s[0:1], s10, v5
	s_nop 1
	v_cndmask_b32_e64 v1, v6, v1, s[0:1]
	v_cvt_f16_f32_e32 v1, v1
.LBB94_4:
	s_or_b64 exec, exec, s[2:3]
	v_cmp_gt_i32_e64 s[0:1], s9, v3
	v_mov_b32_e32 v5, 0x3c00
	v_mov_b32_e32 v6, 0x3c00
	s_and_saveexec_b64 s[2:3], s[0:1]
	s_cbranch_execnz .LBB94_11
; %bb.5:
	s_or_b64 exec, exec, s[2:3]
	v_cmp_gt_i32_e64 s[0:1], s9, v3
	s_and_saveexec_b64 s[2:3], s[0:1]
	s_cbranch_execnz .LBB94_12
.LBB94_6:
	s_or_b64 exec, exec, s[2:3]
	s_and_saveexec_b64 s[0:1], vcc
	s_cbranch_execnz .LBB94_13
.LBB94_7:
	s_or_b64 exec, exec, s[0:1]
	v_cmp_gt_i32_e32 vcc, s9, v0
	s_and_saveexec_b64 s[0:1], vcc
	s_cbranch_execnz .LBB94_14
.LBB94_8:
	s_or_b64 exec, exec, s[0:1]
	v_cmp_gt_i32_e32 vcc, s9, v0
	s_and_saveexec_b64 s[0:1], vcc
	s_cbranch_execnz .LBB94_15
.LBB94_9:
	s_or_b64 exec, exec, s[0:1]
	v_cmp_gt_i32_e32 vcc, s9, v0
	s_and_saveexec_b64 s[0:1], vcc
	s_cbranch_execnz .LBB94_16
.LBB94_10:
	s_endpgm
.LBB94_11:
	v_add_u32_e32 v6, s8, v3
	v_mov_b32_e32 v7, 0
	v_lshl_add_u64 v[6:7], v[6:7], 1, s[6:7]
	global_load_ushort v6, v[6:7], off
	s_mov_b32 s0, 0x3fb8aa3b
	s_mov_b32 s1, 0x32a5705f
	;; [unrolled: 1-line block ×3, first 2 shown]
	v_add_u32_e32 v3, 0x100, v3
	s_waitcnt vmcnt(0)
	v_cvt_f32_f16_e32 v7, v6
	v_mul_f32_e32 v8, 0x3fb8aa3b, v7
	v_fma_mix_f32 v9, v6, s0, -v8 op_sel_hi:[1,0,0]
	v_rndne_f32_e32 v10, v8
	v_fma_mix_f32 v6, v6, s1, v9 op_sel_hi:[1,0,0]
	v_sub_f32_e32 v8, v8, v10
	v_add_f32_e32 v6, v8, v6
	v_cvt_i32_f32_e32 v9, v10
	v_exp_f32_e32 v6, v6
	s_mov_b32 s0, 0xc2ce8ed0
	v_cmp_ngt_f32_e64 s[0:1], s0, v7
	v_mov_b32_e32 v8, 0x7f800000
	v_ldexp_f32 v6, v6, v9
	v_cndmask_b32_e64 v6, 0, v6, s[0:1]
	v_cmp_nlt_f32_e64 s[0:1], s10, v7
	s_nop 1
	v_cndmask_b32_e64 v6, v8, v6, s[0:1]
	v_cvt_f16_f32_e32 v6, v6
	s_or_b64 exec, exec, s[2:3]
	v_cmp_gt_i32_e64 s[0:1], s9, v3
	s_and_saveexec_b64 s[2:3], s[0:1]
	s_cbranch_execz .LBB94_6
.LBB94_12:
	v_add_u32_e32 v8, s8, v3
	v_mov_b32_e32 v9, 0
	v_lshl_add_u64 v[8:9], v[8:9], 1, s[6:7]
	global_load_ushort v3, v[8:9], off
	s_mov_b32 s0, 0x3fb8aa3b
	s_mov_b32 s1, 0x32a5705f
	;; [unrolled: 1-line block ×3, first 2 shown]
	s_waitcnt vmcnt(0)
	v_cvt_f32_f16_e32 v5, v3
	v_mul_f32_e32 v7, 0x3fb8aa3b, v5
	v_fma_mix_f32 v8, v3, s0, -v7 op_sel_hi:[1,0,0]
	v_rndne_f32_e32 v9, v7
	v_fma_mix_f32 v3, v3, s1, v8 op_sel_hi:[1,0,0]
	v_sub_f32_e32 v7, v7, v9
	v_add_f32_e32 v3, v7, v3
	v_cvt_i32_f32_e32 v8, v9
	v_exp_f32_e32 v3, v3
	s_mov_b32 s0, 0xc2ce8ed0
	v_cmp_ngt_f32_e64 s[0:1], s0, v5
	v_mov_b32_e32 v7, 0x7f800000
	v_ldexp_f32 v3, v3, v8
	v_cndmask_b32_e64 v3, 0, v3, s[0:1]
	v_cmp_nlt_f32_e64 s[0:1], s6, v5
	s_nop 1
	v_cndmask_b32_e64 v3, v7, v3, s[0:1]
	v_cvt_f16_f32_e32 v5, v3
	s_or_b64 exec, exec, s[2:3]
	s_and_saveexec_b64 s[0:1], vcc
	s_cbranch_execz .LBB94_7
.LBB94_13:
	v_mov_b32_e32 v3, 0
	v_lshl_add_u64 v[2:3], v[2:3], 1, s[4:5]
	v_or_b32_e32 v0, 0x100, v0
	global_store_short v[2:3], v4, off
	s_or_b64 exec, exec, s[0:1]
	v_cmp_gt_i32_e32 vcc, s9, v0
	s_and_saveexec_b64 s[0:1], vcc
	s_cbranch_execz .LBB94_8
.LBB94_14:
	v_add_u32_e32 v4, 0x100, v0
	v_add_u32_e32 v2, s8, v0
	v_mov_b32_e32 v3, 0
	v_lshl_add_u64 v[2:3], v[2:3], 1, s[4:5]
	v_mov_b32_e32 v0, v4
	global_store_short v[2:3], v1, off
	s_or_b64 exec, exec, s[0:1]
	v_cmp_gt_i32_e32 vcc, s9, v0
	s_and_saveexec_b64 s[0:1], vcc
	s_cbranch_execz .LBB94_9
.LBB94_15:
	v_add_u32_e32 v2, 0x100, v0
	v_add_u32_e32 v0, s8, v0
	v_mov_b32_e32 v1, 0
	v_lshl_add_u64 v[0:1], v[0:1], 1, s[4:5]
	global_store_short v[0:1], v6, off
	v_mov_b32_e32 v0, v2
	s_or_b64 exec, exec, s[0:1]
	v_cmp_gt_i32_e32 vcc, s9, v0
	s_and_saveexec_b64 s[0:1], vcc
	s_cbranch_execz .LBB94_10
.LBB94_16:
	v_add_u32_e32 v0, s8, v0
	v_mov_b32_e32 v1, 0
	v_lshl_add_u64 v[0:1], v[0:1], 1, s[4:5]
	global_store_short v[0:1], v5, off
	s_endpgm
	.section	.rodata,"a",@progbits
	.p2align	6, 0x0
	.amdhsa_kernel _ZN2at6native27unrolled_elementwise_kernelIZZZNS0_15exp_kernel_cudaERNS_18TensorIteratorBaseEENKUlvE0_clEvENKUlvE1_clEvEUlN3c104HalfEE_St5arrayIPcLm2EELi4E23TrivialOffsetCalculatorILi1EjESD_NS0_6memory15LoadWithoutCastENSE_16StoreWithoutCastEEEviT_T0_T2_T3_T4_T5_
		.amdhsa_group_segment_fixed_size 0
		.amdhsa_private_segment_fixed_size 0
		.amdhsa_kernarg_size 28
		.amdhsa_user_sgpr_count 2
		.amdhsa_user_sgpr_dispatch_ptr 0
		.amdhsa_user_sgpr_queue_ptr 0
		.amdhsa_user_sgpr_kernarg_segment_ptr 1
		.amdhsa_user_sgpr_dispatch_id 0
		.amdhsa_user_sgpr_kernarg_preload_length 0
		.amdhsa_user_sgpr_kernarg_preload_offset 0
		.amdhsa_user_sgpr_private_segment_size 0
		.amdhsa_uses_dynamic_stack 0
		.amdhsa_enable_private_segment 0
		.amdhsa_system_sgpr_workgroup_id_x 1
		.amdhsa_system_sgpr_workgroup_id_y 0
		.amdhsa_system_sgpr_workgroup_id_z 0
		.amdhsa_system_sgpr_workgroup_info 0
		.amdhsa_system_vgpr_workitem_id 0
		.amdhsa_next_free_vgpr 11
		.amdhsa_next_free_sgpr 11
		.amdhsa_accum_offset 12
		.amdhsa_reserve_vcc 1
		.amdhsa_float_round_mode_32 0
		.amdhsa_float_round_mode_16_64 0
		.amdhsa_float_denorm_mode_32 3
		.amdhsa_float_denorm_mode_16_64 3
		.amdhsa_dx10_clamp 1
		.amdhsa_ieee_mode 1
		.amdhsa_fp16_overflow 0
		.amdhsa_tg_split 0
		.amdhsa_exception_fp_ieee_invalid_op 0
		.amdhsa_exception_fp_denorm_src 0
		.amdhsa_exception_fp_ieee_div_zero 0
		.amdhsa_exception_fp_ieee_overflow 0
		.amdhsa_exception_fp_ieee_underflow 0
		.amdhsa_exception_fp_ieee_inexact 0
		.amdhsa_exception_int_div_zero 0
	.end_amdhsa_kernel
	.section	.text._ZN2at6native27unrolled_elementwise_kernelIZZZNS0_15exp_kernel_cudaERNS_18TensorIteratorBaseEENKUlvE0_clEvENKUlvE1_clEvEUlN3c104HalfEE_St5arrayIPcLm2EELi4E23TrivialOffsetCalculatorILi1EjESD_NS0_6memory15LoadWithoutCastENSE_16StoreWithoutCastEEEviT_T0_T2_T3_T4_T5_,"axG",@progbits,_ZN2at6native27unrolled_elementwise_kernelIZZZNS0_15exp_kernel_cudaERNS_18TensorIteratorBaseEENKUlvE0_clEvENKUlvE1_clEvEUlN3c104HalfEE_St5arrayIPcLm2EELi4E23TrivialOffsetCalculatorILi1EjESD_NS0_6memory15LoadWithoutCastENSE_16StoreWithoutCastEEEviT_T0_T2_T3_T4_T5_,comdat
.Lfunc_end94:
	.size	_ZN2at6native27unrolled_elementwise_kernelIZZZNS0_15exp_kernel_cudaERNS_18TensorIteratorBaseEENKUlvE0_clEvENKUlvE1_clEvEUlN3c104HalfEE_St5arrayIPcLm2EELi4E23TrivialOffsetCalculatorILi1EjESD_NS0_6memory15LoadWithoutCastENSE_16StoreWithoutCastEEEviT_T0_T2_T3_T4_T5_, .Lfunc_end94-_ZN2at6native27unrolled_elementwise_kernelIZZZNS0_15exp_kernel_cudaERNS_18TensorIteratorBaseEENKUlvE0_clEvENKUlvE1_clEvEUlN3c104HalfEE_St5arrayIPcLm2EELi4E23TrivialOffsetCalculatorILi1EjESD_NS0_6memory15LoadWithoutCastENSE_16StoreWithoutCastEEEviT_T0_T2_T3_T4_T5_
                                        ; -- End function
	.set _ZN2at6native27unrolled_elementwise_kernelIZZZNS0_15exp_kernel_cudaERNS_18TensorIteratorBaseEENKUlvE0_clEvENKUlvE1_clEvEUlN3c104HalfEE_St5arrayIPcLm2EELi4E23TrivialOffsetCalculatorILi1EjESD_NS0_6memory15LoadWithoutCastENSE_16StoreWithoutCastEEEviT_T0_T2_T3_T4_T5_.num_vgpr, 11
	.set _ZN2at6native27unrolled_elementwise_kernelIZZZNS0_15exp_kernel_cudaERNS_18TensorIteratorBaseEENKUlvE0_clEvENKUlvE1_clEvEUlN3c104HalfEE_St5arrayIPcLm2EELi4E23TrivialOffsetCalculatorILi1EjESD_NS0_6memory15LoadWithoutCastENSE_16StoreWithoutCastEEEviT_T0_T2_T3_T4_T5_.num_agpr, 0
	.set _ZN2at6native27unrolled_elementwise_kernelIZZZNS0_15exp_kernel_cudaERNS_18TensorIteratorBaseEENKUlvE0_clEvENKUlvE1_clEvEUlN3c104HalfEE_St5arrayIPcLm2EELi4E23TrivialOffsetCalculatorILi1EjESD_NS0_6memory15LoadWithoutCastENSE_16StoreWithoutCastEEEviT_T0_T2_T3_T4_T5_.numbered_sgpr, 11
	.set _ZN2at6native27unrolled_elementwise_kernelIZZZNS0_15exp_kernel_cudaERNS_18TensorIteratorBaseEENKUlvE0_clEvENKUlvE1_clEvEUlN3c104HalfEE_St5arrayIPcLm2EELi4E23TrivialOffsetCalculatorILi1EjESD_NS0_6memory15LoadWithoutCastENSE_16StoreWithoutCastEEEviT_T0_T2_T3_T4_T5_.num_named_barrier, 0
	.set _ZN2at6native27unrolled_elementwise_kernelIZZZNS0_15exp_kernel_cudaERNS_18TensorIteratorBaseEENKUlvE0_clEvENKUlvE1_clEvEUlN3c104HalfEE_St5arrayIPcLm2EELi4E23TrivialOffsetCalculatorILi1EjESD_NS0_6memory15LoadWithoutCastENSE_16StoreWithoutCastEEEviT_T0_T2_T3_T4_T5_.private_seg_size, 0
	.set _ZN2at6native27unrolled_elementwise_kernelIZZZNS0_15exp_kernel_cudaERNS_18TensorIteratorBaseEENKUlvE0_clEvENKUlvE1_clEvEUlN3c104HalfEE_St5arrayIPcLm2EELi4E23TrivialOffsetCalculatorILi1EjESD_NS0_6memory15LoadWithoutCastENSE_16StoreWithoutCastEEEviT_T0_T2_T3_T4_T5_.uses_vcc, 1
	.set _ZN2at6native27unrolled_elementwise_kernelIZZZNS0_15exp_kernel_cudaERNS_18TensorIteratorBaseEENKUlvE0_clEvENKUlvE1_clEvEUlN3c104HalfEE_St5arrayIPcLm2EELi4E23TrivialOffsetCalculatorILi1EjESD_NS0_6memory15LoadWithoutCastENSE_16StoreWithoutCastEEEviT_T0_T2_T3_T4_T5_.uses_flat_scratch, 0
	.set _ZN2at6native27unrolled_elementwise_kernelIZZZNS0_15exp_kernel_cudaERNS_18TensorIteratorBaseEENKUlvE0_clEvENKUlvE1_clEvEUlN3c104HalfEE_St5arrayIPcLm2EELi4E23TrivialOffsetCalculatorILi1EjESD_NS0_6memory15LoadWithoutCastENSE_16StoreWithoutCastEEEviT_T0_T2_T3_T4_T5_.has_dyn_sized_stack, 0
	.set _ZN2at6native27unrolled_elementwise_kernelIZZZNS0_15exp_kernel_cudaERNS_18TensorIteratorBaseEENKUlvE0_clEvENKUlvE1_clEvEUlN3c104HalfEE_St5arrayIPcLm2EELi4E23TrivialOffsetCalculatorILi1EjESD_NS0_6memory15LoadWithoutCastENSE_16StoreWithoutCastEEEviT_T0_T2_T3_T4_T5_.has_recursion, 0
	.set _ZN2at6native27unrolled_elementwise_kernelIZZZNS0_15exp_kernel_cudaERNS_18TensorIteratorBaseEENKUlvE0_clEvENKUlvE1_clEvEUlN3c104HalfEE_St5arrayIPcLm2EELi4E23TrivialOffsetCalculatorILi1EjESD_NS0_6memory15LoadWithoutCastENSE_16StoreWithoutCastEEEviT_T0_T2_T3_T4_T5_.has_indirect_call, 0
	.section	.AMDGPU.csdata,"",@progbits
; Kernel info:
; codeLenInByte = 1088
; TotalNumSgprs: 17
; NumVgprs: 11
; NumAgprs: 0
; TotalNumVgprs: 11
; ScratchSize: 0
; MemoryBound: 0
; FloatMode: 240
; IeeeMode: 1
; LDSByteSize: 0 bytes/workgroup (compile time only)
; SGPRBlocks: 2
; VGPRBlocks: 1
; NumSGPRsForWavesPerEU: 17
; NumVGPRsForWavesPerEU: 11
; AccumOffset: 12
; Occupancy: 8
; WaveLimiterHint : 0
; COMPUTE_PGM_RSRC2:SCRATCH_EN: 0
; COMPUTE_PGM_RSRC2:USER_SGPR: 2
; COMPUTE_PGM_RSRC2:TRAP_HANDLER: 0
; COMPUTE_PGM_RSRC2:TGID_X_EN: 1
; COMPUTE_PGM_RSRC2:TGID_Y_EN: 0
; COMPUTE_PGM_RSRC2:TGID_Z_EN: 0
; COMPUTE_PGM_RSRC2:TIDIG_COMP_CNT: 0
; COMPUTE_PGM_RSRC3_GFX90A:ACCUM_OFFSET: 2
; COMPUTE_PGM_RSRC3_GFX90A:TG_SPLIT: 0
	.section	.text._ZN2at6native32elementwise_kernel_manual_unrollILi128ELi8EZNS0_22gpu_kernel_impl_nocastIZZZNS0_15exp_kernel_cudaERNS_18TensorIteratorBaseEENKUlvE0_clEvENKUlvE1_clEvEUlN3c104HalfEE_EEvS4_RKT_EUlibE_EEviT1_,"axG",@progbits,_ZN2at6native32elementwise_kernel_manual_unrollILi128ELi8EZNS0_22gpu_kernel_impl_nocastIZZZNS0_15exp_kernel_cudaERNS_18TensorIteratorBaseEENKUlvE0_clEvENKUlvE1_clEvEUlN3c104HalfEE_EEvS4_RKT_EUlibE_EEviT1_,comdat
	.globl	_ZN2at6native32elementwise_kernel_manual_unrollILi128ELi8EZNS0_22gpu_kernel_impl_nocastIZZZNS0_15exp_kernel_cudaERNS_18TensorIteratorBaseEENKUlvE0_clEvENKUlvE1_clEvEUlN3c104HalfEE_EEvS4_RKT_EUlibE_EEviT1_ ; -- Begin function _ZN2at6native32elementwise_kernel_manual_unrollILi128ELi8EZNS0_22gpu_kernel_impl_nocastIZZZNS0_15exp_kernel_cudaERNS_18TensorIteratorBaseEENKUlvE0_clEvENKUlvE1_clEvEUlN3c104HalfEE_EEvS4_RKT_EUlibE_EEviT1_
	.p2align	8
	.type	_ZN2at6native32elementwise_kernel_manual_unrollILi128ELi8EZNS0_22gpu_kernel_impl_nocastIZZZNS0_15exp_kernel_cudaERNS_18TensorIteratorBaseEENKUlvE0_clEvENKUlvE1_clEvEUlN3c104HalfEE_EEvS4_RKT_EUlibE_EEviT1_,@function
_ZN2at6native32elementwise_kernel_manual_unrollILi128ELi8EZNS0_22gpu_kernel_impl_nocastIZZZNS0_15exp_kernel_cudaERNS_18TensorIteratorBaseEENKUlvE0_clEvENKUlvE1_clEvEUlN3c104HalfEE_EEvS4_RKT_EUlibE_EEviT1_: ; @_ZN2at6native32elementwise_kernel_manual_unrollILi128ELi8EZNS0_22gpu_kernel_impl_nocastIZZZNS0_15exp_kernel_cudaERNS_18TensorIteratorBaseEENKUlvE0_clEvENKUlvE1_clEvEUlN3c104HalfEE_EEvS4_RKT_EUlibE_EEviT1_
; %bb.0:
	s_load_dword s55, s[0:1], 0x0
	s_load_dword s33, s[0:1], 0x8
	s_add_u32 s34, s0, 8
	s_addc_u32 s35, s1, 0
	v_lshl_or_b32 v24, s2, 10, v0
	v_or_b32_e32 v32, 0x380, v24
	s_waitcnt lgkmcnt(0)
	s_add_i32 s54, s33, -1
	s_cmp_gt_u32 s54, 1
	v_cmp_le_i32_e32 vcc, s55, v32
	s_cselect_b64 s[36:37], -1, 0
	s_and_saveexec_b64 s[0:1], vcc
	s_xor_b64 s[38:39], exec, s[0:1]
	s_cbranch_execz .LBB95_8
; %bb.1:
	s_load_dwordx4 s[24:27], s[34:35], 0x4
	s_load_dwordx2 s[40:41], s[34:35], 0x14
	s_load_dwordx4 s[20:23], s[34:35], 0xc4
	s_load_dwordx4 s[16:19], s[34:35], 0x148
	s_cmp_lg_u32 s33, 0
	s_cselect_b64 s[46:47], -1, 0
	s_add_u32 s44, s34, 0xc4
	s_addc_u32 s45, s35, 0
	s_min_u32 s56, s54, 15
	s_cmp_gt_u32 s33, 1
	s_cselect_b64 s[42:43], -1, 0
	v_cmp_gt_i32_e32 vcc, s55, v24
	s_and_saveexec_b64 s[48:49], vcc
	s_cbranch_execz .LBB95_15
; %bb.2:
	s_andn2_b64 vcc, exec, s[36:37]
	s_cbranch_vccnz .LBB95_23
; %bb.3:
	s_andn2_b64 vcc, exec, s[46:47]
	s_cbranch_vccnz .LBB95_131
; %bb.4:
	s_add_i32 s58, s56, 1
	s_cmp_eq_u32 s54, 2
	s_cbranch_scc1 .LBB95_133
; %bb.5:
	s_and_b32 s57, s58, 28
	s_mov_b32 s59, 0
	v_mov_b32_e32 v0, 0
	v_mov_b32_e32 v2, 0
	s_mov_b64 s[50:51], s[34:35]
	s_mov_b64 s[52:53], s[44:45]
	v_mov_b32_e32 v4, v24
.LBB95_6:                               ; =>This Inner Loop Header: Depth=1
	s_load_dwordx8 s[8:15], s[50:51], 0x4
	s_load_dwordx4 s[28:31], s[50:51], 0x24
	s_load_dwordx8 s[0:7], s[52:53], 0x0
	s_add_u32 s50, s50, 48
	s_addc_u32 s51, s51, 0
	s_waitcnt lgkmcnt(0)
	v_mul_hi_u32 v1, s9, v4
	v_add_u32_e32 v1, v4, v1
	v_lshrrev_b32_e32 v1, s10, v1
	v_mul_lo_u32 v3, v1, s8
	v_mul_hi_u32 v5, s12, v1
	v_sub_u32_e32 v3, v4, v3
	v_add_u32_e32 v4, v1, v5
	v_lshrrev_b32_e32 v4, s13, v4
	v_mul_lo_u32 v6, v4, s11
	v_mul_hi_u32 v7, s15, v4
	v_sub_u32_e32 v1, v1, v6
	v_add_u32_e32 v6, v4, v7
	v_mul_lo_u32 v5, v3, s1
	v_mul_lo_u32 v3, v3, s0
	;; [unrolled: 1-line block ×4, first 2 shown]
	v_lshrrev_b32_e32 v6, s28, v6
	v_add3_u32 v0, v3, v0, v1
	v_mul_hi_u32 v3, s30, v6
	v_add3_u32 v1, v5, v2, v7
	v_mul_lo_u32 v2, v6, s14
	v_add_u32_e32 v3, v6, v3
	v_sub_u32_e32 v2, v4, v2
	v_lshrrev_b32_e32 v4, s31, v3
	s_add_i32 s59, s59, 4
	v_mul_lo_u32 v3, v4, s29
	s_add_u32 s52, s52, 32
	v_sub_u32_e32 v3, v6, v3
	s_addc_u32 s53, s53, 0
	v_mul_lo_u32 v5, v2, s4
	v_mul_lo_u32 v2, v2, s5
	;; [unrolled: 1-line block ×4, first 2 shown]
	s_cmp_lg_u32 s57, s59
	v_add3_u32 v2, v2, v1, v3
	v_add3_u32 v0, v5, v0, v6
	s_cbranch_scc1 .LBB95_6
; %bb.7:
	v_mov_b32_e32 v1, v2
	s_branch .LBB95_134
.LBB95_8:
	s_andn2_saveexec_b64 s[0:1], s[38:39]
	s_cbranch_execz .LBB95_228
.LBB95_9:
	v_cndmask_b32_e64 v0, 0, 1, s[36:37]
	v_cmp_ne_u32_e64 s[0:1], 1, v0
	s_andn2_b64 vcc, exec, s[36:37]
	s_cbranch_vccnz .LBB95_22
; %bb.10:
	s_cmp_lg_u32 s33, 0
	s_waitcnt lgkmcnt(0)
	s_mov_b32 s26, 0
	s_cbranch_scc0 .LBB95_25
; %bb.11:
	s_min_u32 s27, s54, 15
	s_add_i32 s27, s27, 1
	s_cmp_eq_u32 s54, 2
	s_cbranch_scc1 .LBB95_26
; %bb.12:
	s_and_b32 s26, s27, 28
	s_add_u32 s2, s34, 0xc4
	s_addc_u32 s3, s35, 0
	s_mov_b32 s28, 0
	v_mov_b32_e32 v0, 0
	v_mov_b32_e32 v2, 0
	s_mov_b64 s[24:25], s[34:35]
	v_mov_b32_e32 v4, v24
.LBB95_13:                              ; =>This Inner Loop Header: Depth=1
	s_load_dwordx8 s[12:19], s[24:25], 0x4
	s_load_dwordx4 s[20:23], s[24:25], 0x24
	s_load_dwordx8 s[4:11], s[2:3], 0x0
	s_add_u32 s24, s24, 48
	s_addc_u32 s25, s25, 0
	s_waitcnt lgkmcnt(0)
	v_mul_hi_u32 v1, s13, v4
	v_add_u32_e32 v1, v4, v1
	v_lshrrev_b32_e32 v1, s14, v1
	v_mul_lo_u32 v3, v1, s12
	v_mul_hi_u32 v5, s16, v1
	v_sub_u32_e32 v3, v4, v3
	v_add_u32_e32 v4, v1, v5
	v_lshrrev_b32_e32 v4, s17, v4
	v_mul_lo_u32 v6, v4, s15
	v_mul_hi_u32 v7, s19, v4
	v_sub_u32_e32 v1, v1, v6
	v_add_u32_e32 v6, v4, v7
	v_mul_lo_u32 v5, v3, s5
	v_mul_lo_u32 v3, v3, s4
	;; [unrolled: 1-line block ×4, first 2 shown]
	v_lshrrev_b32_e32 v6, s20, v6
	v_add3_u32 v0, v3, v0, v1
	v_mul_hi_u32 v3, s22, v6
	v_add3_u32 v1, v5, v2, v7
	v_mul_lo_u32 v2, v6, s18
	v_add_u32_e32 v3, v6, v3
	v_sub_u32_e32 v2, v4, v2
	v_lshrrev_b32_e32 v4, s23, v3
	s_add_i32 s28, s28, 4
	v_mul_lo_u32 v3, v4, s21
	s_add_u32 s2, s2, 32
	v_sub_u32_e32 v3, v6, v3
	s_addc_u32 s3, s3, 0
	v_mul_lo_u32 v5, v2, s8
	v_mul_lo_u32 v2, v2, s9
	;; [unrolled: 1-line block ×4, first 2 shown]
	s_cmp_lg_u32 s26, s28
	v_add3_u32 v2, v2, v1, v3
	v_add3_u32 v0, v5, v0, v6
	s_cbranch_scc1 .LBB95_13
; %bb.14:
	v_mov_b32_e32 v1, v2
	s_and_b32 s6, s27, 3
	s_cmp_eq_u32 s6, 0
	s_cbranch_scc0 .LBB95_27
	s_branch .LBB95_29
.LBB95_15:
	s_or_b64 exec, exec, s[48:49]
	v_cmp_gt_i32_e32 vcc, s55, v24
	s_and_saveexec_b64 s[48:49], vcc
	s_cbranch_execz .LBB95_141
.LBB95_16:
	s_andn2_b64 vcc, exec, s[36:37]
	s_cbranch_vccnz .LBB95_24
; %bb.17:
	s_andn2_b64 vcc, exec, s[46:47]
	s_cbranch_vccnz .LBB95_132
; %bb.18:
	s_add_i32 s58, s56, 1
	s_cmp_eq_u32 s54, 2
	s_cbranch_scc1 .LBB95_150
; %bb.19:
	s_and_b32 s57, s58, 28
	s_mov_b32 s59, 0
	v_mov_b32_e32 v0, 0
	v_mov_b32_e32 v2, 0
	s_mov_b64 s[50:51], s[34:35]
	s_mov_b64 s[52:53], s[44:45]
	v_mov_b32_e32 v4, v24
.LBB95_20:                              ; =>This Inner Loop Header: Depth=1
	s_load_dwordx8 s[8:15], s[50:51], 0x4
	s_load_dwordx4 s[28:31], s[50:51], 0x24
	s_load_dwordx8 s[0:7], s[52:53], 0x0
	s_add_u32 s50, s50, 48
	s_addc_u32 s51, s51, 0
	s_waitcnt lgkmcnt(0)
	v_mul_hi_u32 v1, s9, v4
	v_add_u32_e32 v1, v4, v1
	v_lshrrev_b32_e32 v1, s10, v1
	v_mul_lo_u32 v3, v1, s8
	v_mul_hi_u32 v5, s12, v1
	v_sub_u32_e32 v3, v4, v3
	v_add_u32_e32 v4, v1, v5
	v_lshrrev_b32_e32 v4, s13, v4
	v_mul_lo_u32 v6, v4, s11
	v_mul_hi_u32 v7, s15, v4
	v_sub_u32_e32 v1, v1, v6
	v_add_u32_e32 v6, v4, v7
	v_mul_lo_u32 v5, v3, s1
	v_mul_lo_u32 v3, v3, s0
	;; [unrolled: 1-line block ×4, first 2 shown]
	v_lshrrev_b32_e32 v6, s28, v6
	v_add3_u32 v0, v3, v0, v1
	v_mul_hi_u32 v3, s30, v6
	v_add3_u32 v1, v5, v2, v7
	v_mul_lo_u32 v2, v6, s14
	v_add_u32_e32 v3, v6, v3
	v_sub_u32_e32 v2, v4, v2
	v_lshrrev_b32_e32 v4, s31, v3
	s_add_i32 s59, s59, 4
	v_mul_lo_u32 v3, v4, s29
	s_add_u32 s52, s52, 32
	v_sub_u32_e32 v3, v6, v3
	s_addc_u32 s53, s53, 0
	v_mul_lo_u32 v5, v2, s4
	v_mul_lo_u32 v2, v2, s5
	;; [unrolled: 1-line block ×4, first 2 shown]
	s_cmp_eq_u32 s57, s59
	v_add3_u32 v2, v2, v1, v3
	v_add3_u32 v0, v5, v0, v6
	s_cbranch_scc0 .LBB95_20
; %bb.21:
	v_mov_b32_e32 v1, v2
	s_branch .LBB95_151
.LBB95_22:
                                        ; implicit-def: $vgpr2
                                        ; implicit-def: $vgpr0
	s_branch .LBB95_30
.LBB95_23:
                                        ; implicit-def: $vgpr2
                                        ; implicit-def: $vgpr0
	s_branch .LBB95_138
.LBB95_24:
                                        ; implicit-def: $vgpr2
                                        ; implicit-def: $vgpr0
	s_branch .LBB95_155
.LBB95_25:
	v_mov_b32_e32 v2, 0
	v_mov_b32_e32 v0, 0
	s_branch .LBB95_29
.LBB95_26:
	v_mov_b32_e32 v0, 0
                                        ; implicit-def: $vgpr2
	v_mov_b32_e32 v1, v0
	v_mov_b32_e32 v4, v24
	s_and_b32 s6, s27, 3
	s_cmp_eq_u32 s6, 0
	s_cbranch_scc1 .LBB95_29
.LBB95_27:
	s_lshl_b32 s2, s26, 3
	s_add_u32 s2, s34, s2
	s_addc_u32 s3, s35, 0
	s_add_u32 s2, s2, 0xc4
	s_addc_u32 s3, s3, 0
	s_mul_i32 s4, s26, 12
	s_add_u32 s4, s34, s4
	s_addc_u32 s5, s35, 0
.LBB95_28:                              ; =>This Inner Loop Header: Depth=1
	s_load_dwordx2 s[8:9], s[4:5], 0x4
	s_load_dword s7, s[4:5], 0xc
	s_load_dwordx2 s[10:11], s[2:3], 0x0
	v_mov_b32_e32 v2, v1
	s_add_u32 s4, s4, 12
	s_waitcnt lgkmcnt(0)
	v_mul_hi_u32 v1, s9, v4
	v_add_u32_e32 v1, v4, v1
	v_lshrrev_b32_e32 v1, s7, v1
	s_addc_u32 s5, s5, 0
	v_mul_lo_u32 v3, v1, s8
	s_add_u32 s2, s2, 8
	v_sub_u32_e32 v5, v4, v3
	s_addc_u32 s3, s3, 0
	s_add_i32 s6, s6, -1
	v_mov_b32_e32 v4, v1
	v_mad_u64_u32 v[2:3], s[8:9], v5, s11, v[2:3]
	v_mad_u64_u32 v[0:1], s[8:9], v5, s10, v[0:1]
	s_cmp_lg_u32 s6, 0
	v_mov_b32_e32 v1, v2
	s_cbranch_scc1 .LBB95_28
.LBB95_29:
	s_cbranch_execnz .LBB95_32
.LBB95_30:
	s_load_dwordx4 s[4:7], s[34:35], 0x4
	s_load_dwordx2 s[2:3], s[34:35], 0xc4
	s_cmp_lt_u32 s33, 2
	s_waitcnt lgkmcnt(0)
	v_mul_hi_u32 v0, s5, v24
	v_add_u32_e32 v0, v24, v0
	v_lshrrev_b32_e32 v1, s6, v0
	v_mul_lo_u32 v0, v1, s4
	v_sub_u32_e32 v0, v24, v0
	v_mul_lo_u32 v2, v0, s3
	v_mul_lo_u32 v0, v0, s2
	s_cbranch_scc1 .LBB95_32
; %bb.31:
	s_load_dwordx4 s[4:7], s[34:35], 0x10
	s_load_dwordx2 s[2:3], s[34:35], 0xcc
	s_waitcnt lgkmcnt(0)
	v_mul_hi_u32 v3, s5, v1
	v_add_u32_e32 v3, v1, v3
	v_lshrrev_b32_e32 v3, s6, v3
	v_mul_lo_u32 v3, v3, s4
	v_sub_u32_e32 v3, v1, v3
	v_mad_u64_u32 v[0:1], s[4:5], v3, s2, v[0:1]
	v_mad_u64_u32 v[2:3], s[2:3], v3, s3, v[2:3]
.LBB95_32:
	s_and_b64 vcc, exec, s[0:1]
	v_add_u32_e32 v3, 0x80, v24
	s_cbranch_vccnz .LBB95_38
; %bb.33:
	s_cmp_lg_u32 s33, 0
	s_waitcnt lgkmcnt(0)
	s_mov_b32 s26, 0
	s_cbranch_scc0 .LBB95_39
; %bb.34:
	s_min_u32 s27, s54, 15
	s_add_i32 s27, s27, 1
	s_cmp_eq_u32 s54, 2
	s_cbranch_scc1 .LBB95_40
; %bb.35:
	s_and_b32 s26, s27, 28
	s_add_u32 s2, s34, 0xc4
	s_addc_u32 s3, s35, 0
	s_mov_b32 s28, 0
	v_mov_b32_e32 v4, 0
	v_mov_b32_e32 v6, 0
	s_mov_b64 s[24:25], s[34:35]
	v_mov_b32_e32 v8, v3
.LBB95_36:                              ; =>This Inner Loop Header: Depth=1
	s_load_dwordx8 s[12:19], s[24:25], 0x4
	s_load_dwordx4 s[20:23], s[24:25], 0x24
	s_load_dwordx8 s[4:11], s[2:3], 0x0
	s_add_u32 s24, s24, 48
	s_addc_u32 s25, s25, 0
	s_waitcnt lgkmcnt(0)
	v_mul_hi_u32 v1, s13, v8
	v_add_u32_e32 v1, v8, v1
	v_lshrrev_b32_e32 v1, s14, v1
	v_mul_hi_u32 v7, s16, v1
	v_add_u32_e32 v7, v1, v7
	v_lshrrev_b32_e32 v7, s17, v7
	v_mul_lo_u32 v5, v1, s12
	v_mul_lo_u32 v9, v7, s15
	v_mul_hi_u32 v10, s19, v7
	v_sub_u32_e32 v5, v8, v5
	v_sub_u32_e32 v1, v1, v9
	v_add_u32_e32 v9, v7, v10
	v_mul_lo_u32 v8, v5, s5
	v_mul_lo_u32 v5, v5, s4
	;; [unrolled: 1-line block ×4, first 2 shown]
	v_lshrrev_b32_e32 v9, s20, v9
	v_add3_u32 v1, v5, v4, v1
	v_add3_u32 v4, v8, v6, v10
	v_mul_hi_u32 v6, s22, v9
	v_add_u32_e32 v6, v9, v6
	v_lshrrev_b32_e32 v8, s23, v6
	s_add_i32 s28, s28, 4
	v_mul_lo_u32 v5, v9, s18
	v_mul_lo_u32 v6, v8, s21
	s_add_u32 s2, s2, 32
	v_sub_u32_e32 v5, v7, v5
	v_sub_u32_e32 v6, v9, v6
	s_addc_u32 s3, s3, 0
	v_mul_lo_u32 v7, v5, s8
	v_mul_lo_u32 v5, v5, s9
	;; [unrolled: 1-line block ×4, first 2 shown]
	s_cmp_lg_u32 s26, s28
	v_add3_u32 v6, v5, v4, v6
	v_add3_u32 v4, v7, v1, v9
	s_cbranch_scc1 .LBB95_36
; %bb.37:
	v_mov_b32_e32 v1, v6
	s_and_b32 s6, s27, 3
	s_cmp_eq_u32 s6, 0
	s_cbranch_scc0 .LBB95_41
	s_branch .LBB95_43
.LBB95_38:
                                        ; implicit-def: $vgpr6
                                        ; implicit-def: $vgpr4
	s_branch .LBB95_44
.LBB95_39:
	v_mov_b32_e32 v6, 0
	v_mov_b32_e32 v4, 0
	s_branch .LBB95_43
.LBB95_40:
	v_mov_b32_e32 v4, 0
                                        ; implicit-def: $vgpr6
	v_mov_b32_e32 v1, v4
	v_mov_b32_e32 v8, v3
	s_and_b32 s6, s27, 3
	s_cmp_eq_u32 s6, 0
	s_cbranch_scc1 .LBB95_43
.LBB95_41:
	s_lshl_b32 s2, s26, 3
	s_add_u32 s2, s34, s2
	s_addc_u32 s3, s35, 0
	s_add_u32 s2, s2, 0xc4
	s_addc_u32 s3, s3, 0
	s_mul_i32 s4, s26, 12
	s_add_u32 s4, s34, s4
	s_addc_u32 s5, s35, 0
.LBB95_42:                              ; =>This Inner Loop Header: Depth=1
	s_load_dwordx2 s[8:9], s[4:5], 0x4
	s_load_dword s7, s[4:5], 0xc
	s_load_dwordx2 s[10:11], s[2:3], 0x0
	v_mov_b32_e32 v6, v1
	s_add_u32 s4, s4, 12
	s_waitcnt lgkmcnt(0)
	v_mul_hi_u32 v1, s9, v8
	v_add_u32_e32 v1, v8, v1
	v_lshrrev_b32_e32 v1, s7, v1
	s_addc_u32 s5, s5, 0
	v_mul_lo_u32 v5, v1, s8
	s_add_u32 s2, s2, 8
	v_sub_u32_e32 v5, v8, v5
	s_addc_u32 s3, s3, 0
	s_add_i32 s6, s6, -1
	v_mad_u64_u32 v[6:7], s[8:9], v5, s11, v[6:7]
	s_cmp_lg_u32 s6, 0
	v_mov_b32_e32 v8, v1
	v_mad_u64_u32 v[4:5], s[8:9], v5, s10, v[4:5]
	v_mov_b32_e32 v1, v6
	s_cbranch_scc1 .LBB95_42
.LBB95_43:
	s_cbranch_execnz .LBB95_46
.LBB95_44:
	s_load_dwordx4 s[4:7], s[34:35], 0x4
	s_load_dwordx2 s[2:3], s[34:35], 0xc4
	s_cmp_lt_u32 s33, 2
	s_waitcnt lgkmcnt(0)
	v_mul_hi_u32 v1, s5, v3
	v_add_u32_e32 v1, v3, v1
	v_lshrrev_b32_e32 v1, s6, v1
	v_mul_lo_u32 v4, v1, s4
	v_sub_u32_e32 v3, v3, v4
	v_mul_lo_u32 v6, v3, s3
	v_mul_lo_u32 v4, v3, s2
	s_cbranch_scc1 .LBB95_46
; %bb.45:
	s_load_dwordx4 s[4:7], s[34:35], 0x10
	s_load_dwordx2 s[2:3], s[34:35], 0xcc
	s_waitcnt lgkmcnt(0)
	v_mul_hi_u32 v3, s5, v1
	v_add_u32_e32 v3, v1, v3
	v_lshrrev_b32_e32 v3, s6, v3
	v_mul_lo_u32 v3, v3, s4
	v_sub_u32_e32 v1, v1, v3
	v_mad_u64_u32 v[4:5], s[4:5], v1, s2, v[4:5]
	v_mad_u64_u32 v[6:7], s[2:3], v1, s3, v[6:7]
.LBB95_46:
	s_and_b64 vcc, exec, s[0:1]
	v_add_u32_e32 v3, 0x100, v24
	s_cbranch_vccnz .LBB95_52
; %bb.47:
	s_cmp_lg_u32 s33, 0
	s_waitcnt lgkmcnt(0)
	s_mov_b32 s26, 0
	s_cbranch_scc0 .LBB95_53
; %bb.48:
	s_min_u32 s27, s54, 15
	s_add_i32 s27, s27, 1
	s_cmp_eq_u32 s54, 2
	s_cbranch_scc1 .LBB95_54
; %bb.49:
	s_and_b32 s26, s27, 28
	s_add_u32 s2, s34, 0xc4
	s_addc_u32 s3, s35, 0
	s_mov_b32 s28, 0
	v_mov_b32_e32 v8, 0
	v_mov_b32_e32 v10, 0
	s_mov_b64 s[24:25], s[34:35]
	v_mov_b32_e32 v5, v3
.LBB95_50:                              ; =>This Inner Loop Header: Depth=1
	s_load_dwordx8 s[12:19], s[24:25], 0x4
	s_load_dwordx4 s[20:23], s[24:25], 0x24
	s_load_dwordx8 s[4:11], s[2:3], 0x0
	s_add_u32 s24, s24, 48
	s_addc_u32 s25, s25, 0
	s_waitcnt lgkmcnt(0)
	v_mul_hi_u32 v1, s13, v5
	v_add_u32_e32 v1, v5, v1
	v_lshrrev_b32_e32 v1, s14, v1
	v_mul_lo_u32 v7, v1, s12
	v_mul_hi_u32 v9, s16, v1
	v_sub_u32_e32 v5, v5, v7
	v_add_u32_e32 v7, v1, v9
	v_lshrrev_b32_e32 v7, s17, v7
	v_mul_lo_u32 v11, v7, s15
	v_mul_hi_u32 v12, s19, v7
	v_sub_u32_e32 v1, v1, v11
	v_add_u32_e32 v11, v7, v12
	v_mul_lo_u32 v9, v5, s5
	v_mul_lo_u32 v5, v5, s4
	;; [unrolled: 1-line block ×4, first 2 shown]
	v_lshrrev_b32_e32 v11, s20, v11
	v_add3_u32 v1, v5, v8, v1
	v_add3_u32 v8, v9, v10, v12
	v_mul_lo_u32 v5, v11, s18
	v_mul_hi_u32 v9, s22, v11
	v_sub_u32_e32 v5, v7, v5
	v_add_u32_e32 v7, v11, v9
	v_mul_lo_u32 v9, v5, s8
	v_mul_lo_u32 v10, v5, s9
	v_lshrrev_b32_e32 v5, s23, v7
	s_add_i32 s28, s28, 4
	v_mul_lo_u32 v7, v5, s21
	s_add_u32 s2, s2, 32
	v_sub_u32_e32 v7, v11, v7
	s_addc_u32 s3, s3, 0
	v_mul_lo_u32 v11, v7, s10
	v_mul_lo_u32 v7, v7, s11
	s_cmp_lg_u32 s26, s28
	v_add3_u32 v10, v10, v8, v7
	v_add3_u32 v8, v9, v1, v11
	s_cbranch_scc1 .LBB95_50
; %bb.51:
	v_mov_b32_e32 v1, v10
	s_and_b32 s6, s27, 3
	s_cmp_eq_u32 s6, 0
	s_cbranch_scc0 .LBB95_55
	s_branch .LBB95_57
.LBB95_52:
                                        ; implicit-def: $vgpr10
                                        ; implicit-def: $vgpr8
	s_branch .LBB95_58
.LBB95_53:
	v_mov_b32_e32 v10, 0
	v_mov_b32_e32 v8, 0
	s_branch .LBB95_57
.LBB95_54:
	v_mov_b32_e32 v8, 0
                                        ; implicit-def: $vgpr10
	v_mov_b32_e32 v1, v8
	v_mov_b32_e32 v5, v3
	s_and_b32 s6, s27, 3
	s_cmp_eq_u32 s6, 0
	s_cbranch_scc1 .LBB95_57
.LBB95_55:
	s_lshl_b32 s2, s26, 3
	s_add_u32 s2, s34, s2
	s_addc_u32 s3, s35, 0
	s_add_u32 s2, s2, 0xc4
	s_addc_u32 s3, s3, 0
	s_mul_i32 s4, s26, 12
	s_add_u32 s4, s34, s4
	s_addc_u32 s5, s35, 0
.LBB95_56:                              ; =>This Inner Loop Header: Depth=1
	s_load_dwordx2 s[8:9], s[4:5], 0x4
	s_load_dword s7, s[4:5], 0xc
	s_load_dwordx2 s[10:11], s[2:3], 0x0
	v_mov_b32_e32 v10, v1
	s_add_u32 s4, s4, 12
	s_waitcnt lgkmcnt(0)
	v_mul_hi_u32 v1, s9, v5
	v_add_u32_e32 v1, v5, v1
	v_lshrrev_b32_e32 v1, s7, v1
	s_addc_u32 s5, s5, 0
	v_mul_lo_u32 v7, v1, s8
	s_add_u32 s2, s2, 8
	v_sub_u32_e32 v7, v5, v7
	s_addc_u32 s3, s3, 0
	s_add_i32 s6, s6, -1
	v_mad_u64_u32 v[10:11], s[8:9], v7, s11, v[10:11]
	s_cmp_lg_u32 s6, 0
	v_mov_b32_e32 v5, v1
	v_mad_u64_u32 v[8:9], s[8:9], v7, s10, v[8:9]
	v_mov_b32_e32 v1, v10
	s_cbranch_scc1 .LBB95_56
.LBB95_57:
	s_cbranch_execnz .LBB95_60
.LBB95_58:
	s_load_dwordx4 s[4:7], s[34:35], 0x4
	s_load_dwordx2 s[2:3], s[34:35], 0xc4
	s_cmp_lt_u32 s33, 2
	s_waitcnt lgkmcnt(0)
	v_mul_hi_u32 v1, s5, v3
	v_add_u32_e32 v1, v3, v1
	v_lshrrev_b32_e32 v1, s6, v1
	v_mul_lo_u32 v5, v1, s4
	v_sub_u32_e32 v3, v3, v5
	v_mul_lo_u32 v10, v3, s3
	v_mul_lo_u32 v8, v3, s2
	s_cbranch_scc1 .LBB95_60
; %bb.59:
	s_load_dwordx4 s[4:7], s[34:35], 0x10
	s_load_dwordx2 s[2:3], s[34:35], 0xcc
	s_waitcnt lgkmcnt(0)
	v_mul_hi_u32 v3, s5, v1
	v_add_u32_e32 v3, v1, v3
	v_lshrrev_b32_e32 v3, s6, v3
	v_mul_lo_u32 v3, v3, s4
	v_sub_u32_e32 v1, v1, v3
	v_mad_u64_u32 v[8:9], s[4:5], v1, s2, v[8:9]
	v_mad_u64_u32 v[10:11], s[2:3], v1, s3, v[10:11]
.LBB95_60:
	s_and_b64 vcc, exec, s[0:1]
	v_add_u32_e32 v3, 0x180, v24
	s_cbranch_vccnz .LBB95_66
; %bb.61:
	s_cmp_lg_u32 s33, 0
	s_waitcnt lgkmcnt(0)
	s_mov_b32 s26, 0
	s_cbranch_scc0 .LBB95_67
; %bb.62:
	s_min_u32 s27, s54, 15
	s_add_i32 s27, s27, 1
	s_cmp_eq_u32 s54, 2
	s_cbranch_scc1 .LBB95_68
; %bb.63:
	s_and_b32 s26, s27, 28
	s_add_u32 s2, s34, 0xc4
	s_addc_u32 s3, s35, 0
	s_mov_b32 s28, 0
	v_mov_b32_e32 v12, 0
	v_mov_b32_e32 v14, 0
	s_mov_b64 s[24:25], s[34:35]
	v_mov_b32_e32 v5, v3
.LBB95_64:                              ; =>This Inner Loop Header: Depth=1
	s_load_dwordx8 s[12:19], s[24:25], 0x4
	s_load_dwordx4 s[20:23], s[24:25], 0x24
	s_load_dwordx8 s[4:11], s[2:3], 0x0
	s_add_u32 s24, s24, 48
	s_addc_u32 s25, s25, 0
	s_waitcnt lgkmcnt(0)
	v_mul_hi_u32 v1, s13, v5
	v_add_u32_e32 v1, v5, v1
	v_lshrrev_b32_e32 v1, s14, v1
	v_mul_lo_u32 v7, v1, s12
	v_mul_hi_u32 v9, s16, v1
	v_sub_u32_e32 v5, v5, v7
	v_add_u32_e32 v7, v1, v9
	v_lshrrev_b32_e32 v7, s17, v7
	v_mul_lo_u32 v11, v7, s15
	v_mul_hi_u32 v13, s19, v7
	v_sub_u32_e32 v1, v1, v11
	v_add_u32_e32 v11, v7, v13
	v_mul_lo_u32 v9, v5, s5
	v_mul_lo_u32 v5, v5, s4
	;; [unrolled: 1-line block ×4, first 2 shown]
	v_lshrrev_b32_e32 v11, s20, v11
	v_add3_u32 v1, v5, v12, v1
	v_mul_lo_u32 v5, v11, s18
	v_mul_hi_u32 v12, s22, v11
	v_sub_u32_e32 v5, v7, v5
	v_add_u32_e32 v7, v11, v12
	v_add3_u32 v9, v9, v14, v13
	v_mul_lo_u32 v12, v5, s8
	v_mul_lo_u32 v13, v5, s9
	v_lshrrev_b32_e32 v5, s23, v7
	s_add_i32 s28, s28, 4
	v_mul_lo_u32 v7, v5, s21
	s_add_u32 s2, s2, 32
	v_sub_u32_e32 v7, v11, v7
	s_addc_u32 s3, s3, 0
	v_mul_lo_u32 v11, v7, s10
	v_mul_lo_u32 v7, v7, s11
	s_cmp_lg_u32 s26, s28
	v_add3_u32 v14, v13, v9, v7
	v_add3_u32 v12, v12, v1, v11
	s_cbranch_scc1 .LBB95_64
; %bb.65:
	v_mov_b32_e32 v1, v14
	s_and_b32 s6, s27, 3
	s_cmp_eq_u32 s6, 0
	s_cbranch_scc0 .LBB95_69
	s_branch .LBB95_71
.LBB95_66:
                                        ; implicit-def: $vgpr14
                                        ; implicit-def: $vgpr12
	s_branch .LBB95_72
.LBB95_67:
	v_mov_b32_e32 v14, 0
	v_mov_b32_e32 v12, 0
	s_branch .LBB95_71
.LBB95_68:
	v_mov_b32_e32 v12, 0
                                        ; implicit-def: $vgpr14
	v_mov_b32_e32 v1, v12
	v_mov_b32_e32 v5, v3
	s_and_b32 s6, s27, 3
	s_cmp_eq_u32 s6, 0
	s_cbranch_scc1 .LBB95_71
.LBB95_69:
	s_lshl_b32 s2, s26, 3
	s_add_u32 s2, s34, s2
	s_addc_u32 s3, s35, 0
	s_add_u32 s2, s2, 0xc4
	s_addc_u32 s3, s3, 0
	s_mul_i32 s4, s26, 12
	s_add_u32 s4, s34, s4
	s_addc_u32 s5, s35, 0
.LBB95_70:                              ; =>This Inner Loop Header: Depth=1
	s_load_dwordx2 s[8:9], s[4:5], 0x4
	s_load_dword s7, s[4:5], 0xc
	s_load_dwordx2 s[10:11], s[2:3], 0x0
	v_mov_b32_e32 v14, v1
	s_add_u32 s4, s4, 12
	s_waitcnt lgkmcnt(0)
	v_mul_hi_u32 v1, s9, v5
	v_add_u32_e32 v1, v5, v1
	v_lshrrev_b32_e32 v1, s7, v1
	s_addc_u32 s5, s5, 0
	v_mul_lo_u32 v7, v1, s8
	s_add_u32 s2, s2, 8
	v_sub_u32_e32 v7, v5, v7
	s_addc_u32 s3, s3, 0
	s_add_i32 s6, s6, -1
	v_mad_u64_u32 v[14:15], s[8:9], v7, s11, v[14:15]
	s_cmp_lg_u32 s6, 0
	v_mov_b32_e32 v5, v1
	v_mad_u64_u32 v[12:13], s[8:9], v7, s10, v[12:13]
	v_mov_b32_e32 v1, v14
	s_cbranch_scc1 .LBB95_70
.LBB95_71:
	s_cbranch_execnz .LBB95_74
.LBB95_72:
	s_load_dwordx4 s[4:7], s[34:35], 0x4
	s_load_dwordx2 s[2:3], s[34:35], 0xc4
	s_cmp_lt_u32 s33, 2
	s_waitcnt lgkmcnt(0)
	v_mul_hi_u32 v1, s5, v3
	v_add_u32_e32 v1, v3, v1
	v_lshrrev_b32_e32 v1, s6, v1
	v_mul_lo_u32 v5, v1, s4
	v_sub_u32_e32 v3, v3, v5
	v_mul_lo_u32 v14, v3, s3
	v_mul_lo_u32 v12, v3, s2
	s_cbranch_scc1 .LBB95_74
; %bb.73:
	s_load_dwordx4 s[4:7], s[34:35], 0x10
	s_load_dwordx2 s[2:3], s[34:35], 0xcc
	s_waitcnt lgkmcnt(0)
	v_mul_hi_u32 v3, s5, v1
	v_add_u32_e32 v3, v1, v3
	v_lshrrev_b32_e32 v3, s6, v3
	v_mul_lo_u32 v3, v3, s4
	v_sub_u32_e32 v1, v1, v3
	v_mad_u64_u32 v[12:13], s[4:5], v1, s2, v[12:13]
	v_mad_u64_u32 v[14:15], s[2:3], v1, s3, v[14:15]
.LBB95_74:
	s_and_b64 vcc, exec, s[0:1]
	v_add_u32_e32 v3, 0x200, v24
	s_cbranch_vccnz .LBB95_80
; %bb.75:
	s_cmp_lg_u32 s33, 0
	s_waitcnt lgkmcnt(0)
	s_mov_b32 s26, 0
	s_cbranch_scc0 .LBB95_81
; %bb.76:
	s_min_u32 s27, s54, 15
	s_add_i32 s27, s27, 1
	s_cmp_eq_u32 s54, 2
	s_cbranch_scc1 .LBB95_82
; %bb.77:
	s_and_b32 s26, s27, 28
	s_add_u32 s2, s34, 0xc4
	s_addc_u32 s3, s35, 0
	s_mov_b32 s28, 0
	v_mov_b32_e32 v16, 0
	v_mov_b32_e32 v18, 0
	s_mov_b64 s[24:25], s[34:35]
	v_mov_b32_e32 v5, v3
.LBB95_78:                              ; =>This Inner Loop Header: Depth=1
	s_load_dwordx8 s[12:19], s[24:25], 0x4
	s_load_dwordx4 s[20:23], s[24:25], 0x24
	s_load_dwordx8 s[4:11], s[2:3], 0x0
	s_add_u32 s24, s24, 48
	s_addc_u32 s25, s25, 0
	s_waitcnt lgkmcnt(0)
	v_mul_hi_u32 v1, s13, v5
	v_add_u32_e32 v1, v5, v1
	v_lshrrev_b32_e32 v1, s14, v1
	v_mul_lo_u32 v7, v1, s12
	v_mul_hi_u32 v9, s16, v1
	v_sub_u32_e32 v5, v5, v7
	v_add_u32_e32 v7, v1, v9
	v_lshrrev_b32_e32 v7, s17, v7
	v_mul_lo_u32 v11, v7, s15
	v_mul_hi_u32 v13, s19, v7
	v_sub_u32_e32 v1, v1, v11
	v_add_u32_e32 v11, v7, v13
	v_mul_lo_u32 v9, v5, s5
	v_mul_lo_u32 v5, v5, s4
	;; [unrolled: 1-line block ×4, first 2 shown]
	v_lshrrev_b32_e32 v11, s20, v11
	v_add3_u32 v1, v5, v16, v1
	v_add3_u32 v9, v9, v18, v13
	v_mul_lo_u32 v5, v11, s18
	v_mul_hi_u32 v13, s22, v11
	v_sub_u32_e32 v5, v7, v5
	v_add_u32_e32 v7, v11, v13
	v_mul_lo_u32 v13, v5, s8
	v_mul_lo_u32 v15, v5, s9
	v_lshrrev_b32_e32 v5, s23, v7
	s_add_i32 s28, s28, 4
	v_mul_lo_u32 v7, v5, s21
	s_add_u32 s2, s2, 32
	v_sub_u32_e32 v7, v11, v7
	s_addc_u32 s3, s3, 0
	v_mul_lo_u32 v11, v7, s10
	v_mul_lo_u32 v7, v7, s11
	s_cmp_lg_u32 s26, s28
	v_add3_u32 v18, v15, v9, v7
	v_add3_u32 v16, v13, v1, v11
	s_cbranch_scc1 .LBB95_78
; %bb.79:
	v_mov_b32_e32 v1, v18
	s_and_b32 s6, s27, 3
	s_cmp_eq_u32 s6, 0
	s_cbranch_scc0 .LBB95_83
	s_branch .LBB95_85
.LBB95_80:
                                        ; implicit-def: $vgpr18
                                        ; implicit-def: $vgpr16
	s_branch .LBB95_86
.LBB95_81:
	v_mov_b32_e32 v18, 0
	v_mov_b32_e32 v16, 0
	s_branch .LBB95_85
.LBB95_82:
	v_mov_b32_e32 v16, 0
                                        ; implicit-def: $vgpr18
	v_mov_b32_e32 v1, v16
	v_mov_b32_e32 v5, v3
	s_and_b32 s6, s27, 3
	s_cmp_eq_u32 s6, 0
	s_cbranch_scc1 .LBB95_85
.LBB95_83:
	s_lshl_b32 s2, s26, 3
	s_add_u32 s2, s34, s2
	s_addc_u32 s3, s35, 0
	s_add_u32 s2, s2, 0xc4
	s_addc_u32 s3, s3, 0
	s_mul_i32 s4, s26, 12
	s_add_u32 s4, s34, s4
	s_addc_u32 s5, s35, 0
.LBB95_84:                              ; =>This Inner Loop Header: Depth=1
	s_load_dwordx2 s[8:9], s[4:5], 0x4
	s_load_dword s7, s[4:5], 0xc
	s_load_dwordx2 s[10:11], s[2:3], 0x0
	v_mov_b32_e32 v18, v1
	s_add_u32 s4, s4, 12
	s_waitcnt lgkmcnt(0)
	v_mul_hi_u32 v1, s9, v5
	v_add_u32_e32 v1, v5, v1
	v_lshrrev_b32_e32 v1, s7, v1
	s_addc_u32 s5, s5, 0
	v_mul_lo_u32 v7, v1, s8
	s_add_u32 s2, s2, 8
	v_sub_u32_e32 v7, v5, v7
	s_addc_u32 s3, s3, 0
	s_add_i32 s6, s6, -1
	v_mad_u64_u32 v[18:19], s[8:9], v7, s11, v[18:19]
	s_cmp_lg_u32 s6, 0
	v_mov_b32_e32 v5, v1
	v_mad_u64_u32 v[16:17], s[8:9], v7, s10, v[16:17]
	v_mov_b32_e32 v1, v18
	s_cbranch_scc1 .LBB95_84
.LBB95_85:
	s_cbranch_execnz .LBB95_88
.LBB95_86:
	s_load_dwordx4 s[4:7], s[34:35], 0x4
	s_load_dwordx2 s[2:3], s[34:35], 0xc4
	s_cmp_lt_u32 s33, 2
	s_waitcnt lgkmcnt(0)
	v_mul_hi_u32 v1, s5, v3
	v_add_u32_e32 v1, v3, v1
	v_lshrrev_b32_e32 v1, s6, v1
	v_mul_lo_u32 v5, v1, s4
	v_sub_u32_e32 v3, v3, v5
	v_mul_lo_u32 v18, v3, s3
	v_mul_lo_u32 v16, v3, s2
	s_cbranch_scc1 .LBB95_88
; %bb.87:
	s_load_dwordx4 s[4:7], s[34:35], 0x10
	s_load_dwordx2 s[2:3], s[34:35], 0xcc
	s_waitcnt lgkmcnt(0)
	v_mul_hi_u32 v3, s5, v1
	v_add_u32_e32 v3, v1, v3
	v_lshrrev_b32_e32 v3, s6, v3
	v_mul_lo_u32 v3, v3, s4
	v_sub_u32_e32 v1, v1, v3
	v_mad_u64_u32 v[16:17], s[4:5], v1, s2, v[16:17]
	v_mad_u64_u32 v[18:19], s[2:3], v1, s3, v[18:19]
.LBB95_88:
	s_and_b64 vcc, exec, s[0:1]
	v_add_u32_e32 v3, 0x280, v24
	s_cbranch_vccnz .LBB95_94
; %bb.89:
	s_cmp_lg_u32 s33, 0
	s_waitcnt lgkmcnt(0)
	s_mov_b32 s26, 0
	s_cbranch_scc0 .LBB95_95
; %bb.90:
	s_min_u32 s27, s54, 15
	s_add_i32 s27, s27, 1
	s_cmp_eq_u32 s54, 2
	s_cbranch_scc1 .LBB95_96
; %bb.91:
	s_and_b32 s26, s27, 28
	s_add_u32 s2, s34, 0xc4
	s_addc_u32 s3, s35, 0
	s_mov_b32 s28, 0
	v_mov_b32_e32 v20, 0
	v_mov_b32_e32 v22, 0
	s_mov_b64 s[24:25], s[34:35]
	v_mov_b32_e32 v5, v3
.LBB95_92:                              ; =>This Inner Loop Header: Depth=1
	s_load_dwordx8 s[12:19], s[24:25], 0x4
	s_load_dwordx4 s[20:23], s[24:25], 0x24
	s_load_dwordx8 s[4:11], s[2:3], 0x0
	s_add_u32 s24, s24, 48
	s_addc_u32 s25, s25, 0
	s_waitcnt lgkmcnt(0)
	v_mul_hi_u32 v1, s13, v5
	v_add_u32_e32 v1, v5, v1
	v_lshrrev_b32_e32 v1, s14, v1
	v_mul_lo_u32 v7, v1, s12
	v_mul_hi_u32 v9, s16, v1
	v_sub_u32_e32 v5, v5, v7
	v_add_u32_e32 v7, v1, v9
	v_lshrrev_b32_e32 v7, s17, v7
	v_mul_lo_u32 v11, v7, s15
	v_mul_hi_u32 v13, s19, v7
	v_sub_u32_e32 v1, v1, v11
	v_add_u32_e32 v11, v7, v13
	v_mul_lo_u32 v9, v5, s5
	v_mul_lo_u32 v5, v5, s4
	v_mul_lo_u32 v13, v1, s7
	v_mul_lo_u32 v1, v1, s6
	v_lshrrev_b32_e32 v11, s20, v11
	v_add3_u32 v1, v5, v20, v1
	v_add3_u32 v9, v9, v22, v13
	v_mul_lo_u32 v5, v11, s18
	v_mul_hi_u32 v13, s22, v11
	v_sub_u32_e32 v5, v7, v5
	v_add_u32_e32 v7, v11, v13
	v_mul_lo_u32 v13, v5, s8
	v_mul_lo_u32 v15, v5, s9
	v_lshrrev_b32_e32 v5, s23, v7
	s_add_i32 s28, s28, 4
	v_mul_lo_u32 v7, v5, s21
	s_add_u32 s2, s2, 32
	v_sub_u32_e32 v7, v11, v7
	s_addc_u32 s3, s3, 0
	v_mul_lo_u32 v11, v7, s10
	v_mul_lo_u32 v7, v7, s11
	s_cmp_lg_u32 s26, s28
	v_add3_u32 v22, v15, v9, v7
	v_add3_u32 v20, v13, v1, v11
	s_cbranch_scc1 .LBB95_92
; %bb.93:
	v_mov_b32_e32 v1, v22
	s_and_b32 s6, s27, 3
	s_cmp_eq_u32 s6, 0
	s_cbranch_scc0 .LBB95_97
	s_branch .LBB95_99
.LBB95_94:
                                        ; implicit-def: $vgpr22
                                        ; implicit-def: $vgpr20
	s_branch .LBB95_100
.LBB95_95:
	v_mov_b32_e32 v22, 0
	v_mov_b32_e32 v20, 0
	s_branch .LBB95_99
.LBB95_96:
	v_mov_b32_e32 v20, 0
                                        ; implicit-def: $vgpr22
	v_mov_b32_e32 v1, v20
	v_mov_b32_e32 v5, v3
	s_and_b32 s6, s27, 3
	s_cmp_eq_u32 s6, 0
	s_cbranch_scc1 .LBB95_99
.LBB95_97:
	s_lshl_b32 s2, s26, 3
	s_add_u32 s2, s34, s2
	s_addc_u32 s3, s35, 0
	s_add_u32 s2, s2, 0xc4
	s_addc_u32 s3, s3, 0
	s_mul_i32 s4, s26, 12
	s_add_u32 s4, s34, s4
	s_addc_u32 s5, s35, 0
.LBB95_98:                              ; =>This Inner Loop Header: Depth=1
	s_load_dwordx2 s[8:9], s[4:5], 0x4
	s_load_dword s7, s[4:5], 0xc
	s_load_dwordx2 s[10:11], s[2:3], 0x0
	v_mov_b32_e32 v22, v1
	s_add_u32 s4, s4, 12
	s_waitcnt lgkmcnt(0)
	v_mul_hi_u32 v1, s9, v5
	v_add_u32_e32 v1, v5, v1
	v_lshrrev_b32_e32 v1, s7, v1
	s_addc_u32 s5, s5, 0
	v_mul_lo_u32 v7, v1, s8
	s_add_u32 s2, s2, 8
	v_sub_u32_e32 v7, v5, v7
	s_addc_u32 s3, s3, 0
	s_add_i32 s6, s6, -1
	v_mad_u64_u32 v[22:23], s[8:9], v7, s11, v[22:23]
	s_cmp_lg_u32 s6, 0
	v_mov_b32_e32 v5, v1
	v_mad_u64_u32 v[20:21], s[8:9], v7, s10, v[20:21]
	v_mov_b32_e32 v1, v22
	s_cbranch_scc1 .LBB95_98
.LBB95_99:
	s_cbranch_execnz .LBB95_102
.LBB95_100:
	s_load_dwordx4 s[4:7], s[34:35], 0x4
	s_load_dwordx2 s[2:3], s[34:35], 0xc4
	s_cmp_lt_u32 s33, 2
	s_waitcnt lgkmcnt(0)
	v_mul_hi_u32 v1, s5, v3
	v_add_u32_e32 v1, v3, v1
	v_lshrrev_b32_e32 v1, s6, v1
	v_mul_lo_u32 v5, v1, s4
	v_sub_u32_e32 v3, v3, v5
	v_mul_lo_u32 v22, v3, s3
	v_mul_lo_u32 v20, v3, s2
	s_cbranch_scc1 .LBB95_102
; %bb.101:
	s_load_dwordx4 s[4:7], s[34:35], 0x10
	s_load_dwordx2 s[2:3], s[34:35], 0xcc
	s_waitcnt lgkmcnt(0)
	v_mul_hi_u32 v3, s5, v1
	v_add_u32_e32 v3, v1, v3
	v_lshrrev_b32_e32 v3, s6, v3
	v_mul_lo_u32 v3, v3, s4
	v_sub_u32_e32 v1, v1, v3
	v_mad_u64_u32 v[20:21], s[4:5], v1, s2, v[20:21]
	v_mad_u64_u32 v[22:23], s[2:3], v1, s3, v[22:23]
.LBB95_102:
	s_and_b64 vcc, exec, s[0:1]
	v_add_u32_e32 v3, 0x300, v24
	s_cbranch_vccnz .LBB95_108
; %bb.103:
	s_cmp_lg_u32 s33, 0
	s_waitcnt lgkmcnt(0)
	s_mov_b32 s26, 0
	s_cbranch_scc0 .LBB95_109
; %bb.104:
	s_min_u32 s27, s54, 15
	s_add_i32 s27, s27, 1
	s_cmp_eq_u32 s54, 2
	s_cbranch_scc1 .LBB95_110
; %bb.105:
	s_and_b32 s26, s27, 28
	s_add_u32 s2, s34, 0xc4
	s_addc_u32 s3, s35, 0
	s_mov_b32 s28, 0
	v_mov_b32_e32 v24, 0
	v_mov_b32_e32 v26, 0
	s_mov_b64 s[24:25], s[34:35]
	v_mov_b32_e32 v5, v3
.LBB95_106:                             ; =>This Inner Loop Header: Depth=1
	s_load_dwordx8 s[12:19], s[24:25], 0x4
	s_load_dwordx4 s[20:23], s[24:25], 0x24
	s_load_dwordx8 s[4:11], s[2:3], 0x0
	s_add_u32 s24, s24, 48
	s_addc_u32 s25, s25, 0
	s_waitcnt lgkmcnt(0)
	v_mul_hi_u32 v1, s13, v5
	v_add_u32_e32 v1, v5, v1
	v_lshrrev_b32_e32 v1, s14, v1
	v_mul_lo_u32 v7, v1, s12
	v_mul_hi_u32 v9, s16, v1
	v_sub_u32_e32 v5, v5, v7
	v_add_u32_e32 v7, v1, v9
	v_lshrrev_b32_e32 v7, s17, v7
	v_mul_lo_u32 v11, v7, s15
	v_mul_hi_u32 v13, s19, v7
	v_sub_u32_e32 v1, v1, v11
	v_add_u32_e32 v11, v7, v13
	v_mul_lo_u32 v9, v5, s5
	v_mul_lo_u32 v5, v5, s4
	;; [unrolled: 1-line block ×4, first 2 shown]
	v_lshrrev_b32_e32 v11, s20, v11
	v_add3_u32 v1, v5, v24, v1
	v_add3_u32 v9, v9, v26, v13
	v_mul_lo_u32 v5, v11, s18
	v_mul_hi_u32 v13, s22, v11
	v_sub_u32_e32 v5, v7, v5
	v_add_u32_e32 v7, v11, v13
	v_mul_lo_u32 v13, v5, s8
	v_mul_lo_u32 v15, v5, s9
	v_lshrrev_b32_e32 v5, s23, v7
	s_add_i32 s28, s28, 4
	v_mul_lo_u32 v7, v5, s21
	s_add_u32 s2, s2, 32
	v_sub_u32_e32 v7, v11, v7
	s_addc_u32 s3, s3, 0
	v_mul_lo_u32 v11, v7, s10
	v_mul_lo_u32 v7, v7, s11
	s_cmp_lg_u32 s26, s28
	v_add3_u32 v26, v15, v9, v7
	v_add3_u32 v24, v13, v1, v11
	s_cbranch_scc1 .LBB95_106
; %bb.107:
	v_mov_b32_e32 v1, v26
	s_and_b32 s6, s27, 3
	s_cmp_eq_u32 s6, 0
	s_cbranch_scc0 .LBB95_111
	s_branch .LBB95_113
.LBB95_108:
                                        ; implicit-def: $vgpr26
                                        ; implicit-def: $vgpr24
	s_branch .LBB95_114
.LBB95_109:
	v_mov_b32_e32 v26, 0
	v_mov_b32_e32 v24, 0
	s_branch .LBB95_113
.LBB95_110:
	v_mov_b32_e32 v24, 0
                                        ; implicit-def: $vgpr26
	v_mov_b32_e32 v1, v24
	v_mov_b32_e32 v5, v3
	s_and_b32 s6, s27, 3
	s_cmp_eq_u32 s6, 0
	s_cbranch_scc1 .LBB95_113
.LBB95_111:
	s_lshl_b32 s2, s26, 3
	s_add_u32 s2, s34, s2
	s_addc_u32 s3, s35, 0
	s_add_u32 s2, s2, 0xc4
	s_addc_u32 s3, s3, 0
	s_mul_i32 s4, s26, 12
	s_add_u32 s4, s34, s4
	s_addc_u32 s5, s35, 0
.LBB95_112:                             ; =>This Inner Loop Header: Depth=1
	s_load_dwordx2 s[8:9], s[4:5], 0x4
	s_load_dword s7, s[4:5], 0xc
	s_load_dwordx2 s[10:11], s[2:3], 0x0
	v_mov_b32_e32 v26, v1
	s_add_u32 s4, s4, 12
	s_waitcnt lgkmcnt(0)
	v_mul_hi_u32 v1, s9, v5
	v_add_u32_e32 v1, v5, v1
	v_lshrrev_b32_e32 v1, s7, v1
	s_addc_u32 s5, s5, 0
	v_mul_lo_u32 v7, v1, s8
	s_add_u32 s2, s2, 8
	v_sub_u32_e32 v7, v5, v7
	s_addc_u32 s3, s3, 0
	s_add_i32 s6, s6, -1
	v_mad_u64_u32 v[26:27], s[8:9], v7, s11, v[26:27]
	s_cmp_lg_u32 s6, 0
	v_mov_b32_e32 v5, v1
	v_mad_u64_u32 v[24:25], s[8:9], v7, s10, v[24:25]
	v_mov_b32_e32 v1, v26
	s_cbranch_scc1 .LBB95_112
.LBB95_113:
	s_cbranch_execnz .LBB95_116
.LBB95_114:
	s_load_dwordx4 s[4:7], s[34:35], 0x4
	s_load_dwordx2 s[2:3], s[34:35], 0xc4
	s_cmp_lt_u32 s33, 2
	s_waitcnt lgkmcnt(0)
	v_mul_hi_u32 v1, s5, v3
	v_add_u32_e32 v1, v3, v1
	v_lshrrev_b32_e32 v1, s6, v1
	v_mul_lo_u32 v5, v1, s4
	v_sub_u32_e32 v3, v3, v5
	v_mul_lo_u32 v26, v3, s3
	v_mul_lo_u32 v24, v3, s2
	s_cbranch_scc1 .LBB95_116
; %bb.115:
	s_load_dwordx4 s[4:7], s[34:35], 0x10
	s_load_dwordx2 s[2:3], s[34:35], 0xcc
	s_waitcnt lgkmcnt(0)
	v_mul_hi_u32 v3, s5, v1
	v_add_u32_e32 v3, v1, v3
	v_lshrrev_b32_e32 v3, s6, v3
	v_mul_lo_u32 v3, v3, s4
	v_sub_u32_e32 v1, v1, v3
	v_mad_u64_u32 v[24:25], s[4:5], v1, s2, v[24:25]
	v_mad_u64_u32 v[26:27], s[2:3], v1, s3, v[26:27]
.LBB95_116:
	s_and_b64 vcc, exec, s[0:1]
	s_cbranch_vccnz .LBB95_122
; %bb.117:
	s_cmp_lg_u32 s33, 0
	s_waitcnt lgkmcnt(0)
	s_mov_b32 s24, 0
	s_cbranch_scc0 .LBB95_123
; %bb.118:
	s_min_u32 s25, s54, 15
	s_add_i32 s25, s25, 1
	s_cmp_eq_u32 s54, 2
	s_cbranch_scc1 .LBB95_124
; %bb.119:
	s_and_b32 s24, s25, 28
	s_add_u32 s20, s34, 0xc4
	s_addc_u32 s21, s35, 0
	s_mov_b32 s26, 0
	v_mov_b32_e32 v28, 0
	v_mov_b32_e32 v30, 0
	s_mov_b64 s[22:23], s[34:35]
	v_mov_b32_e32 v3, v32
.LBB95_120:                             ; =>This Inner Loop Header: Depth=1
	s_load_dwordx8 s[8:15], s[22:23], 0x4
	s_load_dwordx4 s[16:19], s[22:23], 0x24
	s_load_dwordx8 s[0:7], s[20:21], 0x0
	s_add_u32 s22, s22, 48
	s_addc_u32 s23, s23, 0
	s_waitcnt lgkmcnt(0)
	v_mul_hi_u32 v1, s9, v3
	v_add_u32_e32 v1, v3, v1
	v_lshrrev_b32_e32 v1, s10, v1
	v_mul_lo_u32 v5, v1, s8
	v_mul_hi_u32 v7, s12, v1
	v_sub_u32_e32 v3, v3, v5
	v_add_u32_e32 v5, v1, v7
	v_lshrrev_b32_e32 v5, s13, v5
	v_mul_lo_u32 v9, v5, s11
	v_mul_hi_u32 v11, s15, v5
	v_sub_u32_e32 v1, v1, v9
	v_add_u32_e32 v9, v5, v11
	v_mul_lo_u32 v7, v3, s1
	v_mul_lo_u32 v3, v3, s0
	;; [unrolled: 1-line block ×4, first 2 shown]
	v_lshrrev_b32_e32 v9, s16, v9
	v_add3_u32 v1, v3, v28, v1
	v_add3_u32 v7, v7, v30, v11
	v_mul_lo_u32 v3, v9, s14
	v_mul_hi_u32 v11, s18, v9
	v_sub_u32_e32 v3, v5, v3
	v_add_u32_e32 v5, v9, v11
	v_mul_lo_u32 v11, v3, s4
	v_mul_lo_u32 v13, v3, s5
	v_lshrrev_b32_e32 v3, s19, v5
	s_add_i32 s26, s26, 4
	v_mul_lo_u32 v5, v3, s17
	s_add_u32 s20, s20, 32
	v_sub_u32_e32 v5, v9, v5
	s_addc_u32 s21, s21, 0
	v_mul_lo_u32 v9, v5, s6
	v_mul_lo_u32 v5, v5, s7
	s_cmp_lg_u32 s24, s26
	v_add3_u32 v30, v13, v7, v5
	v_add3_u32 v28, v11, v1, v9
	s_cbranch_scc1 .LBB95_120
; %bb.121:
	v_mov_b32_e32 v1, v30
	s_and_b32 s4, s25, 3
	s_cmp_eq_u32 s4, 0
	s_cbranch_scc0 .LBB95_125
	s_branch .LBB95_127
.LBB95_122:
                                        ; implicit-def: $vgpr30
                                        ; implicit-def: $vgpr28
	s_branch .LBB95_128
.LBB95_123:
	v_mov_b32_e32 v30, 0
	v_mov_b32_e32 v28, 0
	s_branch .LBB95_127
.LBB95_124:
	v_mov_b32_e32 v28, 0
                                        ; implicit-def: $vgpr30
	v_mov_b32_e32 v1, v28
	v_mov_b32_e32 v3, v32
	s_and_b32 s4, s25, 3
	s_cmp_eq_u32 s4, 0
	s_cbranch_scc1 .LBB95_127
.LBB95_125:
	s_lshl_b32 s0, s24, 3
	s_add_u32 s0, s34, s0
	s_addc_u32 s1, s35, 0
	s_add_u32 s0, s0, 0xc4
	s_addc_u32 s1, s1, 0
	s_mul_i32 s2, s24, 12
	s_add_u32 s2, s34, s2
	s_addc_u32 s3, s35, 0
.LBB95_126:                             ; =>This Inner Loop Header: Depth=1
	s_load_dwordx2 s[6:7], s[2:3], 0x4
	s_load_dword s5, s[2:3], 0xc
	s_load_dwordx2 s[8:9], s[0:1], 0x0
	v_mov_b32_e32 v30, v1
	s_add_u32 s2, s2, 12
	s_waitcnt lgkmcnt(0)
	v_mul_hi_u32 v1, s7, v3
	v_add_u32_e32 v1, v3, v1
	v_lshrrev_b32_e32 v1, s5, v1
	s_addc_u32 s3, s3, 0
	v_mul_lo_u32 v5, v1, s6
	s_add_u32 s0, s0, 8
	v_sub_u32_e32 v5, v3, v5
	s_addc_u32 s1, s1, 0
	s_add_i32 s4, s4, -1
	v_mad_u64_u32 v[30:31], s[6:7], v5, s9, v[30:31]
	s_cmp_lg_u32 s4, 0
	v_mov_b32_e32 v3, v1
	v_mad_u64_u32 v[28:29], s[6:7], v5, s8, v[28:29]
	v_mov_b32_e32 v1, v30
	s_cbranch_scc1 .LBB95_126
.LBB95_127:
	s_cbranch_execnz .LBB95_130
.LBB95_128:
	s_load_dwordx4 s[0:3], s[34:35], 0x4
	s_load_dwordx2 s[4:5], s[34:35], 0xc4
	s_cmp_lt_u32 s33, 2
	s_waitcnt lgkmcnt(0)
	v_mul_hi_u32 v1, s1, v32
	v_add_u32_e32 v1, v32, v1
	v_lshrrev_b32_e32 v1, s2, v1
	v_mul_lo_u32 v3, v1, s0
	v_sub_u32_e32 v3, v32, v3
	v_mul_lo_u32 v30, v3, s5
	v_mul_lo_u32 v28, v3, s4
	s_cbranch_scc1 .LBB95_130
; %bb.129:
	s_load_dwordx4 s[0:3], s[34:35], 0x10
	s_load_dwordx2 s[4:5], s[34:35], 0xcc
	s_waitcnt lgkmcnt(0)
	v_mul_hi_u32 v3, s1, v1
	v_add_u32_e32 v3, v1, v3
	v_lshrrev_b32_e32 v3, s2, v3
	v_mul_lo_u32 v3, v3, s0
	v_sub_u32_e32 v1, v1, v3
	v_mad_u64_u32 v[28:29], s[0:1], v1, s4, v[28:29]
	v_mad_u64_u32 v[30:31], s[0:1], v1, s5, v[30:31]
.LBB95_130:
	s_load_dwordx4 s[0:3], s[34:35], 0x148
	s_mov_b32 s4, 0x3fb8aa3b
	s_mov_b32 s5, 0x32a5705f
	;; [unrolled: 1-line block ×4, first 2 shown]
	s_waitcnt lgkmcnt(0)
	global_load_ushort v1, v2, s[2:3]
	global_load_ushort v3, v6, s[2:3]
	;; [unrolled: 1-line block ×8, first 2 shown]
	v_mov_b32_e32 v2, 0x7f800000
	s_waitcnt vmcnt(7)
	v_cvt_f32_f16_e32 v10, v1
	s_waitcnt vmcnt(6)
	v_cvt_f32_f16_e32 v14, v3
	;; [unrolled: 2-line block ×5, first 2 shown]
	v_mul_f32_e32 v22, 0x3fb8aa3b, v10
	v_mul_f32_e32 v23, 0x3fb8aa3b, v14
	v_fma_mix_f32 v30, v1, s4, -v22 op_sel_hi:[1,0,0]
	v_rndne_f32_e32 v31, v22
	v_mul_f32_e32 v25, 0x3fb8aa3b, v15
	v_fma_mix_f32 v32, v3, s4, -v23 op_sel_hi:[1,0,0]
	v_rndne_f32_e32 v33, v23
	v_fma_mix_f32 v1, v1, s5, v30 op_sel_hi:[1,0,0]
	v_sub_f32_e32 v22, v22, v31
	v_mul_f32_e32 v26, 0x3fb8aa3b, v17
	v_fma_mix_f32 v34, v5, s4, -v25 op_sel_hi:[1,0,0]
	v_rndne_f32_e32 v35, v25
	v_fma_mix_f32 v3, v3, s5, v32 op_sel_hi:[1,0,0]
	v_sub_f32_e32 v23, v23, v33
	v_add_f32_e32 v1, v22, v1
	v_mul_f32_e32 v27, 0x3fb8aa3b, v18
	v_fma_mix_f32 v36, v7, s4, -v26 op_sel_hi:[1,0,0]
	v_rndne_f32_e32 v37, v26
	v_cvt_i32_f32_e32 v30, v31
	v_fma_mix_f32 v5, v5, s5, v34 op_sel_hi:[1,0,0]
	v_sub_f32_e32 v25, v25, v35
	v_add_f32_e32 v3, v23, v3
	v_exp_f32_e32 v1, v1
	v_fma_mix_f32 v38, v9, s4, -v27 op_sel_hi:[1,0,0]
	v_rndne_f32_e32 v39, v27
	v_cvt_i32_f32_e32 v31, v33
	v_fma_mix_f32 v7, v7, s5, v36 op_sel_hi:[1,0,0]
	v_sub_f32_e32 v26, v26, v37
	v_add_f32_e32 v5, v25, v5
	v_exp_f32_e32 v3, v3
	s_waitcnt vmcnt(2)
	v_cvt_f32_f16_e32 v19, v11
	v_cvt_i32_f32_e32 v32, v35
	v_fma_mix_f32 v9, v9, s5, v38 op_sel_hi:[1,0,0]
	v_sub_f32_e32 v27, v27, v39
	v_add_f32_e32 v7, v26, v7
	v_exp_f32_e32 v5, v5
	v_cvt_i32_f32_e32 v33, v37
	v_add_f32_e32 v9, v27, v9
	v_exp_f32_e32 v7, v7
	v_cvt_i32_f32_e32 v34, v39
	v_exp_f32_e32 v9, v9
	v_ldexp_f32 v1, v1, v30
	v_cmp_ngt_f32_e32 vcc, s6, v10
	v_ldexp_f32 v3, v3, v31
	v_mul_f32_e32 v29, 0x3fb8aa3b, v19
	v_cndmask_b32_e32 v1, 0, v1, vcc
	v_cmp_ngt_f32_e32 vcc, s6, v14
	v_ldexp_f32 v5, v5, v32
	v_fma_mix_f32 v40, v11, s4, -v29 op_sel_hi:[1,0,0]
	v_cndmask_b32_e32 v3, 0, v3, vcc
	v_cmp_ngt_f32_e32 vcc, s6, v15
	v_rndne_f32_e32 v41, v29
	v_ldexp_f32 v7, v7, v33
	v_cndmask_b32_e32 v5, 0, v5, vcc
	v_cmp_ngt_f32_e32 vcc, s6, v17
	v_fma_mix_f32 v11, v11, s5, v40 op_sel_hi:[1,0,0]
	v_sub_f32_e32 v29, v29, v41
	v_ldexp_f32 v9, v9, v34
	v_cndmask_b32_e32 v7, 0, v7, vcc
	v_cmp_ngt_f32_e32 vcc, s6, v18
	v_add_f32_e32 v11, v29, v11
	v_cvt_i32_f32_e32 v35, v41
	v_cndmask_b32_e32 v9, 0, v9, vcc
	v_cmp_nlt_f32_e32 vcc, s7, v10
	v_exp_f32_e32 v11, v11
	s_waitcnt vmcnt(1)
	v_cvt_f32_f16_e32 v21, v13
	v_cndmask_b32_e32 v1, v2, v1, vcc
	v_cmp_nlt_f32_e32 vcc, s7, v14
	v_ldexp_f32 v11, v11, v35
	v_cvt_f16_f32_e32 v1, v1
	v_cndmask_b32_e32 v3, v2, v3, vcc
	v_cmp_nlt_f32_e32 vcc, s7, v15
	v_cvt_f16_f32_e32 v3, v3
	s_nop 0
	v_cndmask_b32_e32 v5, v2, v5, vcc
	v_cmp_nlt_f32_e32 vcc, s7, v17
	v_cvt_f16_f32_e32 v5, v5
	s_nop 0
	;; [unrolled: 4-line block ×3, first 2 shown]
	v_cndmask_b32_e32 v9, v2, v9, vcc
	v_cmp_ngt_f32_e32 vcc, s6, v19
	v_cvt_f16_f32_e32 v9, v9
	s_nop 0
	v_cndmask_b32_e32 v10, 0, v11, vcc
	v_mul_f32_e32 v11, 0x3fb8aa3b, v21
	v_fma_mix_f32 v14, v13, s4, -v11 op_sel_hi:[1,0,0]
	v_cmp_nlt_f32_e32 vcc, s7, v19
	v_fma_mix_f32 v13, v13, s5, v14 op_sel_hi:[1,0,0]
	v_rndne_f32_e32 v14, v11
	v_sub_f32_e32 v11, v11, v14
	v_add_f32_e32 v11, v11, v13
	v_exp_f32_e32 v11, v11
	v_cvt_i32_f32_e32 v13, v14
	s_waitcnt vmcnt(0)
	v_cvt_f32_f16_e32 v14, v6
	v_cndmask_b32_e32 v10, v2, v10, vcc
	v_cmp_ngt_f32_e32 vcc, s6, v21
	v_ldexp_f32 v11, v11, v13
	v_mul_f32_e32 v13, 0x3fb8aa3b, v14
	v_fma_mix_f32 v15, v6, s4, -v13 op_sel_hi:[1,0,0]
	v_cndmask_b32_e32 v11, 0, v11, vcc
	v_fma_mix_f32 v6, v6, s5, v15 op_sel_hi:[1,0,0]
	v_rndne_f32_e32 v15, v13
	v_sub_f32_e32 v13, v13, v15
	v_add_f32_e32 v6, v13, v6
	v_exp_f32_e32 v6, v6
	v_cvt_i32_f32_e32 v13, v15
	v_cmp_nlt_f32_e32 vcc, s7, v21
	v_cvt_f16_f32_e32 v10, v10
	v_ldexp_f32 v6, v6, v13
	v_cndmask_b32_e32 v11, v2, v11, vcc
	v_cmp_ngt_f32_e32 vcc, s6, v14
	v_cvt_f16_f32_e32 v11, v11
	s_nop 0
	v_cndmask_b32_e32 v6, 0, v6, vcc
	v_cmp_nlt_f32_e32 vcc, s7, v14
	s_nop 1
	v_cndmask_b32_e32 v2, v2, v6, vcc
	v_cvt_f16_f32_e32 v2, v2
	global_store_short v0, v1, s[0:1]
	global_store_short v4, v3, s[0:1]
	global_store_short v8, v5, s[0:1]
	global_store_short v12, v7, s[0:1]
	global_store_short v16, v9, s[0:1]
	global_store_short v20, v10, s[0:1]
	global_store_short v24, v11, s[0:1]
	global_store_short v28, v2, s[0:1]
	s_endpgm
.LBB95_131:
	v_mov_b32_e32 v2, 0
	v_mov_b32_e32 v0, 0
	s_branch .LBB95_137
.LBB95_132:
	v_mov_b32_e32 v2, 0
	v_mov_b32_e32 v0, 0
	s_branch .LBB95_154
.LBB95_133:
	v_mov_b32_e32 v0, 0
	s_mov_b32 s57, 0
	v_mov_b32_e32 v1, v0
                                        ; implicit-def: $vgpr2
	v_mov_b32_e32 v4, v24
.LBB95_134:
	s_and_b32 s4, s58, 3
	s_cmp_eq_u32 s4, 0
	s_cbranch_scc1 .LBB95_137
; %bb.135:
	s_lshl_b32 s0, s57, 3
	s_add_u32 s0, s34, s0
	s_addc_u32 s1, s35, 0
	s_add_u32 s0, s0, 0xc4
	s_addc_u32 s1, s1, 0
	s_mul_i32 s2, s57, 12
	s_add_u32 s2, s34, s2
	s_addc_u32 s3, s35, 0
.LBB95_136:                             ; =>This Inner Loop Header: Depth=1
	s_load_dwordx2 s[6:7], s[2:3], 0x4
	s_load_dword s5, s[2:3], 0xc
	s_load_dwordx2 s[8:9], s[0:1], 0x0
	v_mov_b32_e32 v2, v1
	s_add_u32 s2, s2, 12
	s_waitcnt lgkmcnt(0)
	v_mul_hi_u32 v1, s7, v4
	v_add_u32_e32 v1, v4, v1
	v_lshrrev_b32_e32 v1, s5, v1
	s_addc_u32 s3, s3, 0
	v_mul_lo_u32 v3, v1, s6
	s_add_u32 s0, s0, 8
	v_sub_u32_e32 v5, v4, v3
	s_addc_u32 s1, s1, 0
	s_add_i32 s4, s4, -1
	v_mov_b32_e32 v4, v1
	v_mad_u64_u32 v[2:3], s[6:7], v5, s9, v[2:3]
	v_mad_u64_u32 v[0:1], s[6:7], v5, s8, v[0:1]
	s_cmp_lg_u32 s4, 0
	v_mov_b32_e32 v1, v2
	s_cbranch_scc1 .LBB95_136
.LBB95_137:
	s_cbranch_execnz .LBB95_140
.LBB95_138:
	s_waitcnt lgkmcnt(0)
	v_mul_hi_u32 v0, s25, v24
	v_add_u32_e32 v0, v24, v0
	v_lshrrev_b32_e32 v1, s26, v0
	v_mul_lo_u32 v0, v1, s24
	v_sub_u32_e32 v0, v24, v0
	v_mul_lo_u32 v2, v0, s21
	s_andn2_b64 vcc, exec, s[42:43]
	v_mul_lo_u32 v0, v0, s20
	s_cbranch_vccnz .LBB95_140
; %bb.139:
	v_mul_hi_u32 v3, s40, v1
	v_add_u32_e32 v3, v1, v3
	v_lshrrev_b32_e32 v3, s41, v3
	v_mul_lo_u32 v3, v3, s27
	v_sub_u32_e32 v3, v1, v3
	v_mad_u64_u32 v[0:1], s[0:1], v3, s22, v[0:1]
	v_mad_u64_u32 v[2:3], s[0:1], v3, s23, v[2:3]
.LBB95_140:
	s_waitcnt lgkmcnt(0)
	global_load_ushort v1, v2, s[18:19]
	s_mov_b32 s0, 0x3fb8aa3b
	s_mov_b32 s1, 0x32a5705f
	v_add_u32_e32 v24, 0x80, v24
	s_waitcnt vmcnt(0)
	v_cvt_f32_f16_e32 v2, v1
	v_mul_f32_e32 v3, 0x3fb8aa3b, v2
	v_fma_mix_f32 v4, v1, s0, -v3 op_sel_hi:[1,0,0]
	v_rndne_f32_e32 v5, v3
	v_fma_mix_f32 v1, v1, s1, v4 op_sel_hi:[1,0,0]
	v_sub_f32_e32 v3, v3, v5
	v_add_f32_e32 v1, v3, v1
	v_cvt_i32_f32_e32 v4, v5
	v_exp_f32_e32 v1, v1
	s_mov_b32 s0, 0xc2ce8ed0
	s_mov_b32 s1, 0x42b17218
	v_cmp_ngt_f32_e32 vcc, s0, v2
	v_ldexp_f32 v1, v1, v4
	v_mov_b32_e32 v3, 0x7f800000
	v_cndmask_b32_e32 v1, 0, v1, vcc
	v_cmp_nlt_f32_e32 vcc, s1, v2
	s_nop 1
	v_cndmask_b32_e32 v1, v3, v1, vcc
	v_cvt_f16_f32_e32 v1, v1
	global_store_short v0, v1, s[16:17]
	s_or_b64 exec, exec, s[48:49]
	v_cmp_gt_i32_e32 vcc, s55, v24
	s_and_saveexec_b64 s[48:49], vcc
	s_cbranch_execnz .LBB95_16
.LBB95_141:
	s_or_b64 exec, exec, s[48:49]
	v_cmp_gt_i32_e32 vcc, s55, v24
	s_and_saveexec_b64 s[48:49], vcc
	s_cbranch_execz .LBB95_158
.LBB95_142:
	s_andn2_b64 vcc, exec, s[36:37]
	s_cbranch_vccnz .LBB95_148
; %bb.143:
	s_andn2_b64 vcc, exec, s[46:47]
	s_cbranch_vccnz .LBB95_149
; %bb.144:
	s_add_i32 s58, s56, 1
	s_cmp_eq_u32 s54, 2
	s_cbranch_scc1 .LBB95_167
; %bb.145:
	s_and_b32 s57, s58, 28
	s_mov_b32 s59, 0
	v_mov_b32_e32 v0, 0
	v_mov_b32_e32 v2, 0
	s_mov_b64 s[50:51], s[34:35]
	s_mov_b64 s[52:53], s[44:45]
	v_mov_b32_e32 v4, v24
.LBB95_146:                             ; =>This Inner Loop Header: Depth=1
	s_load_dwordx8 s[8:15], s[50:51], 0x4
	s_load_dwordx4 s[28:31], s[50:51], 0x24
	s_load_dwordx8 s[0:7], s[52:53], 0x0
	s_add_u32 s50, s50, 48
	s_addc_u32 s51, s51, 0
	s_waitcnt lgkmcnt(0)
	v_mul_hi_u32 v1, s9, v4
	v_add_u32_e32 v1, v4, v1
	v_lshrrev_b32_e32 v1, s10, v1
	v_mul_lo_u32 v3, v1, s8
	v_mul_hi_u32 v5, s12, v1
	v_sub_u32_e32 v3, v4, v3
	v_add_u32_e32 v4, v1, v5
	v_lshrrev_b32_e32 v4, s13, v4
	v_mul_lo_u32 v6, v4, s11
	v_mul_hi_u32 v7, s15, v4
	v_sub_u32_e32 v1, v1, v6
	v_add_u32_e32 v6, v4, v7
	v_mul_lo_u32 v5, v3, s1
	v_mul_lo_u32 v3, v3, s0
	;; [unrolled: 1-line block ×4, first 2 shown]
	v_lshrrev_b32_e32 v6, s28, v6
	v_add3_u32 v0, v3, v0, v1
	v_mul_hi_u32 v3, s30, v6
	v_add3_u32 v1, v5, v2, v7
	v_mul_lo_u32 v2, v6, s14
	v_add_u32_e32 v3, v6, v3
	v_sub_u32_e32 v2, v4, v2
	v_lshrrev_b32_e32 v4, s31, v3
	s_add_i32 s59, s59, 4
	v_mul_lo_u32 v3, v4, s29
	s_add_u32 s52, s52, 32
	v_sub_u32_e32 v3, v6, v3
	s_addc_u32 s53, s53, 0
	v_mul_lo_u32 v5, v2, s4
	v_mul_lo_u32 v2, v2, s5
	;; [unrolled: 1-line block ×4, first 2 shown]
	s_cmp_eq_u32 s57, s59
	v_add3_u32 v2, v2, v1, v3
	v_add3_u32 v0, v5, v0, v6
	s_cbranch_scc0 .LBB95_146
; %bb.147:
	v_mov_b32_e32 v1, v2
	s_branch .LBB95_168
.LBB95_148:
                                        ; implicit-def: $vgpr2
                                        ; implicit-def: $vgpr0
	s_branch .LBB95_172
.LBB95_149:
	v_mov_b32_e32 v2, 0
	v_mov_b32_e32 v0, 0
	s_branch .LBB95_171
.LBB95_150:
	v_mov_b32_e32 v0, 0
	s_mov_b32 s57, 0
	v_mov_b32_e32 v1, v0
                                        ; implicit-def: $vgpr2
	v_mov_b32_e32 v4, v24
.LBB95_151:
	s_and_b32 s4, s58, 3
	s_cmp_eq_u32 s4, 0
	s_cbranch_scc1 .LBB95_154
; %bb.152:
	s_lshl_b32 s0, s57, 3
	s_add_u32 s0, s34, s0
	s_addc_u32 s1, s35, 0
	s_add_u32 s0, s0, 0xc4
	s_addc_u32 s1, s1, 0
	s_mul_i32 s2, s57, 12
	s_add_u32 s2, s34, s2
	s_addc_u32 s3, s35, 0
.LBB95_153:                             ; =>This Inner Loop Header: Depth=1
	s_load_dwordx2 s[6:7], s[2:3], 0x4
	s_load_dword s5, s[2:3], 0xc
	s_load_dwordx2 s[8:9], s[0:1], 0x0
	v_mov_b32_e32 v2, v1
	s_add_u32 s2, s2, 12
	s_waitcnt lgkmcnt(0)
	v_mul_hi_u32 v1, s7, v4
	v_add_u32_e32 v1, v4, v1
	v_lshrrev_b32_e32 v1, s5, v1
	s_addc_u32 s3, s3, 0
	v_mul_lo_u32 v3, v1, s6
	s_add_u32 s0, s0, 8
	v_sub_u32_e32 v5, v4, v3
	s_addc_u32 s1, s1, 0
	s_add_i32 s4, s4, -1
	v_mov_b32_e32 v4, v1
	v_mad_u64_u32 v[2:3], s[6:7], v5, s9, v[2:3]
	v_mad_u64_u32 v[0:1], s[6:7], v5, s8, v[0:1]
	s_cmp_lg_u32 s4, 0
	v_mov_b32_e32 v1, v2
	s_cbranch_scc1 .LBB95_153
.LBB95_154:
	s_cbranch_execnz .LBB95_157
.LBB95_155:
	s_waitcnt lgkmcnt(0)
	v_mul_hi_u32 v0, s25, v24
	v_add_u32_e32 v0, v24, v0
	v_lshrrev_b32_e32 v1, s26, v0
	v_mul_lo_u32 v0, v1, s24
	v_sub_u32_e32 v0, v24, v0
	v_mul_lo_u32 v2, v0, s21
	s_andn2_b64 vcc, exec, s[42:43]
	v_mul_lo_u32 v0, v0, s20
	s_cbranch_vccnz .LBB95_157
; %bb.156:
	v_mul_hi_u32 v3, s40, v1
	v_add_u32_e32 v3, v1, v3
	v_lshrrev_b32_e32 v3, s41, v3
	v_mul_lo_u32 v3, v3, s27
	v_sub_u32_e32 v3, v1, v3
	v_mad_u64_u32 v[0:1], s[0:1], v3, s22, v[0:1]
	v_mad_u64_u32 v[2:3], s[0:1], v3, s23, v[2:3]
.LBB95_157:
	s_waitcnt lgkmcnt(0)
	global_load_ushort v1, v2, s[18:19]
	s_mov_b32 s0, 0x3fb8aa3b
	s_mov_b32 s1, 0x32a5705f
	v_add_u32_e32 v24, 0x80, v24
	s_waitcnt vmcnt(0)
	v_cvt_f32_f16_e32 v2, v1
	v_mul_f32_e32 v3, 0x3fb8aa3b, v2
	v_fma_mix_f32 v4, v1, s0, -v3 op_sel_hi:[1,0,0]
	v_rndne_f32_e32 v5, v3
	v_fma_mix_f32 v1, v1, s1, v4 op_sel_hi:[1,0,0]
	v_sub_f32_e32 v3, v3, v5
	v_add_f32_e32 v1, v3, v1
	v_cvt_i32_f32_e32 v4, v5
	v_exp_f32_e32 v1, v1
	s_mov_b32 s0, 0xc2ce8ed0
	s_mov_b32 s1, 0x42b17218
	v_cmp_ngt_f32_e32 vcc, s0, v2
	v_ldexp_f32 v1, v1, v4
	v_mov_b32_e32 v3, 0x7f800000
	v_cndmask_b32_e32 v1, 0, v1, vcc
	v_cmp_nlt_f32_e32 vcc, s1, v2
	s_nop 1
	v_cndmask_b32_e32 v1, v3, v1, vcc
	v_cvt_f16_f32_e32 v1, v1
	global_store_short v0, v1, s[16:17]
	s_or_b64 exec, exec, s[48:49]
	v_cmp_gt_i32_e32 vcc, s55, v24
	s_and_saveexec_b64 s[48:49], vcc
	s_cbranch_execnz .LBB95_142
.LBB95_158:
	s_or_b64 exec, exec, s[48:49]
	v_cmp_gt_i32_e32 vcc, s55, v24
	s_and_saveexec_b64 s[48:49], vcc
	s_cbranch_execz .LBB95_175
.LBB95_159:
	s_andn2_b64 vcc, exec, s[36:37]
	s_cbranch_vccnz .LBB95_165
; %bb.160:
	s_andn2_b64 vcc, exec, s[46:47]
	s_cbranch_vccnz .LBB95_166
; %bb.161:
	s_add_i32 s58, s56, 1
	s_cmp_eq_u32 s54, 2
	s_cbranch_scc1 .LBB95_184
; %bb.162:
	s_and_b32 s57, s58, 28
	s_mov_b32 s59, 0
	v_mov_b32_e32 v0, 0
	v_mov_b32_e32 v2, 0
	s_mov_b64 s[50:51], s[34:35]
	s_mov_b64 s[52:53], s[44:45]
	v_mov_b32_e32 v4, v24
.LBB95_163:                             ; =>This Inner Loop Header: Depth=1
	s_load_dwordx8 s[8:15], s[50:51], 0x4
	s_load_dwordx4 s[28:31], s[50:51], 0x24
	s_load_dwordx8 s[0:7], s[52:53], 0x0
	s_add_u32 s50, s50, 48
	s_addc_u32 s51, s51, 0
	s_waitcnt lgkmcnt(0)
	v_mul_hi_u32 v1, s9, v4
	v_add_u32_e32 v1, v4, v1
	v_lshrrev_b32_e32 v1, s10, v1
	v_mul_lo_u32 v3, v1, s8
	v_mul_hi_u32 v5, s12, v1
	v_sub_u32_e32 v3, v4, v3
	v_add_u32_e32 v4, v1, v5
	v_lshrrev_b32_e32 v4, s13, v4
	v_mul_lo_u32 v6, v4, s11
	v_mul_hi_u32 v7, s15, v4
	v_sub_u32_e32 v1, v1, v6
	v_add_u32_e32 v6, v4, v7
	v_mul_lo_u32 v5, v3, s1
	v_mul_lo_u32 v3, v3, s0
	;; [unrolled: 1-line block ×4, first 2 shown]
	v_lshrrev_b32_e32 v6, s28, v6
	v_add3_u32 v0, v3, v0, v1
	v_mul_hi_u32 v3, s30, v6
	v_add3_u32 v1, v5, v2, v7
	v_mul_lo_u32 v2, v6, s14
	v_add_u32_e32 v3, v6, v3
	v_sub_u32_e32 v2, v4, v2
	v_lshrrev_b32_e32 v4, s31, v3
	s_add_i32 s59, s59, 4
	v_mul_lo_u32 v3, v4, s29
	s_add_u32 s52, s52, 32
	v_sub_u32_e32 v3, v6, v3
	s_addc_u32 s53, s53, 0
	v_mul_lo_u32 v5, v2, s4
	v_mul_lo_u32 v2, v2, s5
	;; [unrolled: 1-line block ×4, first 2 shown]
	s_cmp_eq_u32 s57, s59
	v_add3_u32 v2, v2, v1, v3
	v_add3_u32 v0, v5, v0, v6
	s_cbranch_scc0 .LBB95_163
; %bb.164:
	v_mov_b32_e32 v1, v2
	s_branch .LBB95_185
.LBB95_165:
                                        ; implicit-def: $vgpr2
                                        ; implicit-def: $vgpr0
	s_branch .LBB95_189
.LBB95_166:
	v_mov_b32_e32 v2, 0
	v_mov_b32_e32 v0, 0
	s_branch .LBB95_188
.LBB95_167:
	v_mov_b32_e32 v0, 0
	s_mov_b32 s57, 0
	v_mov_b32_e32 v1, v0
                                        ; implicit-def: $vgpr2
	v_mov_b32_e32 v4, v24
.LBB95_168:
	s_and_b32 s4, s58, 3
	s_cmp_eq_u32 s4, 0
	s_cbranch_scc1 .LBB95_171
; %bb.169:
	s_lshl_b32 s0, s57, 3
	s_add_u32 s0, s34, s0
	s_addc_u32 s1, s35, 0
	s_add_u32 s0, s0, 0xc4
	s_addc_u32 s1, s1, 0
	s_mul_i32 s2, s57, 12
	s_add_u32 s2, s34, s2
	s_addc_u32 s3, s35, 0
.LBB95_170:                             ; =>This Inner Loop Header: Depth=1
	s_load_dwordx2 s[6:7], s[2:3], 0x4
	s_load_dword s5, s[2:3], 0xc
	s_load_dwordx2 s[8:9], s[0:1], 0x0
	v_mov_b32_e32 v2, v1
	s_add_u32 s2, s2, 12
	s_waitcnt lgkmcnt(0)
	v_mul_hi_u32 v1, s7, v4
	v_add_u32_e32 v1, v4, v1
	v_lshrrev_b32_e32 v1, s5, v1
	s_addc_u32 s3, s3, 0
	v_mul_lo_u32 v3, v1, s6
	s_add_u32 s0, s0, 8
	v_sub_u32_e32 v5, v4, v3
	s_addc_u32 s1, s1, 0
	s_add_i32 s4, s4, -1
	v_mov_b32_e32 v4, v1
	v_mad_u64_u32 v[2:3], s[6:7], v5, s9, v[2:3]
	v_mad_u64_u32 v[0:1], s[6:7], v5, s8, v[0:1]
	s_cmp_lg_u32 s4, 0
	v_mov_b32_e32 v1, v2
	s_cbranch_scc1 .LBB95_170
.LBB95_171:
	s_cbranch_execnz .LBB95_174
.LBB95_172:
	s_waitcnt lgkmcnt(0)
	v_mul_hi_u32 v0, s25, v24
	v_add_u32_e32 v0, v24, v0
	v_lshrrev_b32_e32 v1, s26, v0
	v_mul_lo_u32 v0, v1, s24
	v_sub_u32_e32 v0, v24, v0
	v_mul_lo_u32 v2, v0, s21
	s_andn2_b64 vcc, exec, s[42:43]
	v_mul_lo_u32 v0, v0, s20
	s_cbranch_vccnz .LBB95_174
; %bb.173:
	v_mul_hi_u32 v3, s40, v1
	v_add_u32_e32 v3, v1, v3
	v_lshrrev_b32_e32 v3, s41, v3
	v_mul_lo_u32 v3, v3, s27
	v_sub_u32_e32 v3, v1, v3
	v_mad_u64_u32 v[0:1], s[0:1], v3, s22, v[0:1]
	v_mad_u64_u32 v[2:3], s[0:1], v3, s23, v[2:3]
.LBB95_174:
	s_waitcnt lgkmcnt(0)
	global_load_ushort v1, v2, s[18:19]
	s_mov_b32 s0, 0x3fb8aa3b
	s_mov_b32 s1, 0x32a5705f
	v_add_u32_e32 v24, 0x80, v24
	s_waitcnt vmcnt(0)
	v_cvt_f32_f16_e32 v2, v1
	v_mul_f32_e32 v3, 0x3fb8aa3b, v2
	v_fma_mix_f32 v4, v1, s0, -v3 op_sel_hi:[1,0,0]
	v_rndne_f32_e32 v5, v3
	v_fma_mix_f32 v1, v1, s1, v4 op_sel_hi:[1,0,0]
	v_sub_f32_e32 v3, v3, v5
	v_add_f32_e32 v1, v3, v1
	v_cvt_i32_f32_e32 v4, v5
	v_exp_f32_e32 v1, v1
	s_mov_b32 s0, 0xc2ce8ed0
	s_mov_b32 s1, 0x42b17218
	v_cmp_ngt_f32_e32 vcc, s0, v2
	v_ldexp_f32 v1, v1, v4
	v_mov_b32_e32 v3, 0x7f800000
	v_cndmask_b32_e32 v1, 0, v1, vcc
	v_cmp_nlt_f32_e32 vcc, s1, v2
	s_nop 1
	v_cndmask_b32_e32 v1, v3, v1, vcc
	v_cvt_f16_f32_e32 v1, v1
	global_store_short v0, v1, s[16:17]
	s_or_b64 exec, exec, s[48:49]
	v_cmp_gt_i32_e32 vcc, s55, v24
	s_and_saveexec_b64 s[48:49], vcc
	s_cbranch_execnz .LBB95_159
.LBB95_175:
	s_or_b64 exec, exec, s[48:49]
	v_cmp_gt_i32_e32 vcc, s55, v24
	s_and_saveexec_b64 s[48:49], vcc
	s_cbranch_execz .LBB95_192
.LBB95_176:
	s_andn2_b64 vcc, exec, s[36:37]
	s_cbranch_vccnz .LBB95_182
; %bb.177:
	s_andn2_b64 vcc, exec, s[46:47]
	s_cbranch_vccnz .LBB95_183
; %bb.178:
	s_add_i32 s58, s56, 1
	s_cmp_eq_u32 s54, 2
	s_cbranch_scc1 .LBB95_201
; %bb.179:
	s_and_b32 s57, s58, 28
	s_mov_b32 s59, 0
	v_mov_b32_e32 v0, 0
	v_mov_b32_e32 v2, 0
	s_mov_b64 s[50:51], s[34:35]
	s_mov_b64 s[52:53], s[44:45]
	v_mov_b32_e32 v4, v24
.LBB95_180:                             ; =>This Inner Loop Header: Depth=1
	s_load_dwordx8 s[8:15], s[50:51], 0x4
	s_load_dwordx4 s[28:31], s[50:51], 0x24
	s_load_dwordx8 s[0:7], s[52:53], 0x0
	s_add_u32 s50, s50, 48
	s_addc_u32 s51, s51, 0
	s_waitcnt lgkmcnt(0)
	v_mul_hi_u32 v1, s9, v4
	v_add_u32_e32 v1, v4, v1
	v_lshrrev_b32_e32 v1, s10, v1
	v_mul_lo_u32 v3, v1, s8
	v_mul_hi_u32 v5, s12, v1
	v_sub_u32_e32 v3, v4, v3
	v_add_u32_e32 v4, v1, v5
	v_lshrrev_b32_e32 v4, s13, v4
	v_mul_lo_u32 v6, v4, s11
	v_mul_hi_u32 v7, s15, v4
	v_sub_u32_e32 v1, v1, v6
	v_add_u32_e32 v6, v4, v7
	v_mul_lo_u32 v5, v3, s1
	v_mul_lo_u32 v3, v3, s0
	;; [unrolled: 1-line block ×4, first 2 shown]
	v_lshrrev_b32_e32 v6, s28, v6
	v_add3_u32 v0, v3, v0, v1
	v_mul_hi_u32 v3, s30, v6
	v_add3_u32 v1, v5, v2, v7
	v_mul_lo_u32 v2, v6, s14
	v_add_u32_e32 v3, v6, v3
	v_sub_u32_e32 v2, v4, v2
	v_lshrrev_b32_e32 v4, s31, v3
	s_add_i32 s59, s59, 4
	v_mul_lo_u32 v3, v4, s29
	s_add_u32 s52, s52, 32
	v_sub_u32_e32 v3, v6, v3
	s_addc_u32 s53, s53, 0
	v_mul_lo_u32 v5, v2, s4
	v_mul_lo_u32 v2, v2, s5
	;; [unrolled: 1-line block ×4, first 2 shown]
	s_cmp_eq_u32 s57, s59
	v_add3_u32 v2, v2, v1, v3
	v_add3_u32 v0, v5, v0, v6
	s_cbranch_scc0 .LBB95_180
; %bb.181:
	v_mov_b32_e32 v1, v2
	s_branch .LBB95_202
.LBB95_182:
                                        ; implicit-def: $vgpr2
                                        ; implicit-def: $vgpr0
	s_branch .LBB95_206
.LBB95_183:
	v_mov_b32_e32 v2, 0
	v_mov_b32_e32 v0, 0
	s_branch .LBB95_205
.LBB95_184:
	v_mov_b32_e32 v0, 0
	s_mov_b32 s57, 0
	v_mov_b32_e32 v1, v0
                                        ; implicit-def: $vgpr2
	v_mov_b32_e32 v4, v24
.LBB95_185:
	s_and_b32 s4, s58, 3
	s_cmp_eq_u32 s4, 0
	s_cbranch_scc1 .LBB95_188
; %bb.186:
	s_lshl_b32 s0, s57, 3
	s_add_u32 s0, s34, s0
	s_addc_u32 s1, s35, 0
	s_add_u32 s0, s0, 0xc4
	s_addc_u32 s1, s1, 0
	s_mul_i32 s2, s57, 12
	s_add_u32 s2, s34, s2
	s_addc_u32 s3, s35, 0
.LBB95_187:                             ; =>This Inner Loop Header: Depth=1
	s_load_dwordx2 s[6:7], s[2:3], 0x4
	s_load_dword s5, s[2:3], 0xc
	s_load_dwordx2 s[8:9], s[0:1], 0x0
	v_mov_b32_e32 v2, v1
	s_add_u32 s2, s2, 12
	s_waitcnt lgkmcnt(0)
	v_mul_hi_u32 v1, s7, v4
	v_add_u32_e32 v1, v4, v1
	v_lshrrev_b32_e32 v1, s5, v1
	s_addc_u32 s3, s3, 0
	v_mul_lo_u32 v3, v1, s6
	s_add_u32 s0, s0, 8
	v_sub_u32_e32 v5, v4, v3
	s_addc_u32 s1, s1, 0
	s_add_i32 s4, s4, -1
	v_mov_b32_e32 v4, v1
	v_mad_u64_u32 v[2:3], s[6:7], v5, s9, v[2:3]
	v_mad_u64_u32 v[0:1], s[6:7], v5, s8, v[0:1]
	s_cmp_lg_u32 s4, 0
	v_mov_b32_e32 v1, v2
	s_cbranch_scc1 .LBB95_187
.LBB95_188:
	s_cbranch_execnz .LBB95_191
.LBB95_189:
	s_waitcnt lgkmcnt(0)
	v_mul_hi_u32 v0, s25, v24
	v_add_u32_e32 v0, v24, v0
	v_lshrrev_b32_e32 v1, s26, v0
	v_mul_lo_u32 v0, v1, s24
	v_sub_u32_e32 v0, v24, v0
	v_mul_lo_u32 v2, v0, s21
	s_andn2_b64 vcc, exec, s[42:43]
	v_mul_lo_u32 v0, v0, s20
	s_cbranch_vccnz .LBB95_191
; %bb.190:
	v_mul_hi_u32 v3, s40, v1
	v_add_u32_e32 v3, v1, v3
	v_lshrrev_b32_e32 v3, s41, v3
	v_mul_lo_u32 v3, v3, s27
	v_sub_u32_e32 v3, v1, v3
	v_mad_u64_u32 v[0:1], s[0:1], v3, s22, v[0:1]
	v_mad_u64_u32 v[2:3], s[0:1], v3, s23, v[2:3]
.LBB95_191:
	s_waitcnt lgkmcnt(0)
	global_load_ushort v1, v2, s[18:19]
	s_mov_b32 s0, 0x3fb8aa3b
	s_mov_b32 s1, 0x32a5705f
	v_add_u32_e32 v24, 0x80, v24
	s_waitcnt vmcnt(0)
	v_cvt_f32_f16_e32 v2, v1
	v_mul_f32_e32 v3, 0x3fb8aa3b, v2
	v_fma_mix_f32 v4, v1, s0, -v3 op_sel_hi:[1,0,0]
	v_rndne_f32_e32 v5, v3
	v_fma_mix_f32 v1, v1, s1, v4 op_sel_hi:[1,0,0]
	v_sub_f32_e32 v3, v3, v5
	v_add_f32_e32 v1, v3, v1
	v_cvt_i32_f32_e32 v4, v5
	v_exp_f32_e32 v1, v1
	s_mov_b32 s0, 0xc2ce8ed0
	s_mov_b32 s1, 0x42b17218
	v_cmp_ngt_f32_e32 vcc, s0, v2
	v_ldexp_f32 v1, v1, v4
	v_mov_b32_e32 v3, 0x7f800000
	v_cndmask_b32_e32 v1, 0, v1, vcc
	v_cmp_nlt_f32_e32 vcc, s1, v2
	s_nop 1
	v_cndmask_b32_e32 v1, v3, v1, vcc
	v_cvt_f16_f32_e32 v1, v1
	global_store_short v0, v1, s[16:17]
	s_or_b64 exec, exec, s[48:49]
	v_cmp_gt_i32_e32 vcc, s55, v24
	s_and_saveexec_b64 s[48:49], vcc
	s_cbranch_execnz .LBB95_176
.LBB95_192:
	s_or_b64 exec, exec, s[48:49]
	v_cmp_gt_i32_e32 vcc, s55, v24
	s_and_saveexec_b64 s[48:49], vcc
	s_cbranch_execz .LBB95_209
.LBB95_193:
	s_andn2_b64 vcc, exec, s[36:37]
	s_cbranch_vccnz .LBB95_199
; %bb.194:
	s_andn2_b64 vcc, exec, s[46:47]
	s_cbranch_vccnz .LBB95_200
; %bb.195:
	s_add_i32 s58, s56, 1
	s_cmp_eq_u32 s54, 2
	s_cbranch_scc1 .LBB95_218
; %bb.196:
	s_and_b32 s57, s58, 28
	s_mov_b32 s59, 0
	v_mov_b32_e32 v0, 0
	v_mov_b32_e32 v2, 0
	s_mov_b64 s[50:51], s[34:35]
	s_mov_b64 s[52:53], s[44:45]
	v_mov_b32_e32 v4, v24
.LBB95_197:                             ; =>This Inner Loop Header: Depth=1
	s_load_dwordx8 s[8:15], s[50:51], 0x4
	s_load_dwordx4 s[28:31], s[50:51], 0x24
	s_load_dwordx8 s[0:7], s[52:53], 0x0
	s_add_u32 s50, s50, 48
	s_addc_u32 s51, s51, 0
	s_waitcnt lgkmcnt(0)
	v_mul_hi_u32 v1, s9, v4
	v_add_u32_e32 v1, v4, v1
	v_lshrrev_b32_e32 v1, s10, v1
	v_mul_lo_u32 v3, v1, s8
	v_mul_hi_u32 v5, s12, v1
	v_sub_u32_e32 v3, v4, v3
	v_add_u32_e32 v4, v1, v5
	v_lshrrev_b32_e32 v4, s13, v4
	v_mul_lo_u32 v6, v4, s11
	v_mul_hi_u32 v7, s15, v4
	v_sub_u32_e32 v1, v1, v6
	v_add_u32_e32 v6, v4, v7
	v_mul_lo_u32 v5, v3, s1
	v_mul_lo_u32 v3, v3, s0
	;; [unrolled: 1-line block ×4, first 2 shown]
	v_lshrrev_b32_e32 v6, s28, v6
	v_add3_u32 v0, v3, v0, v1
	v_mul_hi_u32 v3, s30, v6
	v_add3_u32 v1, v5, v2, v7
	v_mul_lo_u32 v2, v6, s14
	v_add_u32_e32 v3, v6, v3
	v_sub_u32_e32 v2, v4, v2
	v_lshrrev_b32_e32 v4, s31, v3
	s_add_i32 s59, s59, 4
	v_mul_lo_u32 v3, v4, s29
	s_add_u32 s52, s52, 32
	v_sub_u32_e32 v3, v6, v3
	s_addc_u32 s53, s53, 0
	v_mul_lo_u32 v5, v2, s4
	v_mul_lo_u32 v2, v2, s5
	;; [unrolled: 1-line block ×4, first 2 shown]
	s_cmp_eq_u32 s57, s59
	v_add3_u32 v2, v2, v1, v3
	v_add3_u32 v0, v5, v0, v6
	s_cbranch_scc0 .LBB95_197
; %bb.198:
	v_mov_b32_e32 v1, v2
	s_branch .LBB95_219
.LBB95_199:
                                        ; implicit-def: $vgpr2
                                        ; implicit-def: $vgpr0
	s_branch .LBB95_223
.LBB95_200:
	v_mov_b32_e32 v2, 0
	v_mov_b32_e32 v0, 0
	s_branch .LBB95_222
.LBB95_201:
	v_mov_b32_e32 v0, 0
	s_mov_b32 s57, 0
	v_mov_b32_e32 v1, v0
                                        ; implicit-def: $vgpr2
	v_mov_b32_e32 v4, v24
.LBB95_202:
	s_and_b32 s4, s58, 3
	s_cmp_eq_u32 s4, 0
	s_cbranch_scc1 .LBB95_205
; %bb.203:
	s_lshl_b32 s0, s57, 3
	s_add_u32 s0, s34, s0
	s_addc_u32 s1, s35, 0
	s_add_u32 s0, s0, 0xc4
	s_addc_u32 s1, s1, 0
	s_mul_i32 s2, s57, 12
	s_add_u32 s2, s34, s2
	s_addc_u32 s3, s35, 0
.LBB95_204:                             ; =>This Inner Loop Header: Depth=1
	s_load_dwordx2 s[6:7], s[2:3], 0x4
	s_load_dword s5, s[2:3], 0xc
	s_load_dwordx2 s[8:9], s[0:1], 0x0
	v_mov_b32_e32 v2, v1
	s_add_u32 s2, s2, 12
	s_waitcnt lgkmcnt(0)
	v_mul_hi_u32 v1, s7, v4
	v_add_u32_e32 v1, v4, v1
	v_lshrrev_b32_e32 v1, s5, v1
	s_addc_u32 s3, s3, 0
	v_mul_lo_u32 v3, v1, s6
	s_add_u32 s0, s0, 8
	v_sub_u32_e32 v5, v4, v3
	s_addc_u32 s1, s1, 0
	s_add_i32 s4, s4, -1
	v_mov_b32_e32 v4, v1
	v_mad_u64_u32 v[2:3], s[6:7], v5, s9, v[2:3]
	v_mad_u64_u32 v[0:1], s[6:7], v5, s8, v[0:1]
	s_cmp_lg_u32 s4, 0
	v_mov_b32_e32 v1, v2
	s_cbranch_scc1 .LBB95_204
.LBB95_205:
	s_cbranch_execnz .LBB95_208
.LBB95_206:
	s_waitcnt lgkmcnt(0)
	v_mul_hi_u32 v0, s25, v24
	v_add_u32_e32 v0, v24, v0
	v_lshrrev_b32_e32 v1, s26, v0
	v_mul_lo_u32 v0, v1, s24
	v_sub_u32_e32 v0, v24, v0
	v_mul_lo_u32 v2, v0, s21
	s_andn2_b64 vcc, exec, s[42:43]
	v_mul_lo_u32 v0, v0, s20
	s_cbranch_vccnz .LBB95_208
; %bb.207:
	v_mul_hi_u32 v3, s40, v1
	v_add_u32_e32 v3, v1, v3
	v_lshrrev_b32_e32 v3, s41, v3
	v_mul_lo_u32 v3, v3, s27
	v_sub_u32_e32 v3, v1, v3
	v_mad_u64_u32 v[0:1], s[0:1], v3, s22, v[0:1]
	v_mad_u64_u32 v[2:3], s[0:1], v3, s23, v[2:3]
.LBB95_208:
	s_waitcnt lgkmcnt(0)
	global_load_ushort v1, v2, s[18:19]
	s_mov_b32 s0, 0x3fb8aa3b
	s_mov_b32 s1, 0x32a5705f
	v_add_u32_e32 v24, 0x80, v24
	s_waitcnt vmcnt(0)
	v_cvt_f32_f16_e32 v2, v1
	v_mul_f32_e32 v3, 0x3fb8aa3b, v2
	v_fma_mix_f32 v4, v1, s0, -v3 op_sel_hi:[1,0,0]
	v_rndne_f32_e32 v5, v3
	v_fma_mix_f32 v1, v1, s1, v4 op_sel_hi:[1,0,0]
	v_sub_f32_e32 v3, v3, v5
	v_add_f32_e32 v1, v3, v1
	v_cvt_i32_f32_e32 v4, v5
	v_exp_f32_e32 v1, v1
	s_mov_b32 s0, 0xc2ce8ed0
	s_mov_b32 s1, 0x42b17218
	v_cmp_ngt_f32_e32 vcc, s0, v2
	v_ldexp_f32 v1, v1, v4
	v_mov_b32_e32 v3, 0x7f800000
	v_cndmask_b32_e32 v1, 0, v1, vcc
	v_cmp_nlt_f32_e32 vcc, s1, v2
	s_nop 1
	v_cndmask_b32_e32 v1, v3, v1, vcc
	v_cvt_f16_f32_e32 v1, v1
	global_store_short v0, v1, s[16:17]
	s_or_b64 exec, exec, s[48:49]
	v_cmp_gt_i32_e32 vcc, s55, v24
	s_and_saveexec_b64 s[48:49], vcc
	s_cbranch_execnz .LBB95_193
.LBB95_209:
	s_or_b64 exec, exec, s[48:49]
	v_cmp_gt_i32_e32 vcc, s55, v24
	s_and_saveexec_b64 s[48:49], vcc
	s_cbranch_execz .LBB95_226
.LBB95_210:
	s_andn2_b64 vcc, exec, s[36:37]
	s_cbranch_vccnz .LBB95_216
; %bb.211:
	s_andn2_b64 vcc, exec, s[46:47]
	s_cbranch_vccnz .LBB95_217
; %bb.212:
	s_add_i32 s58, s56, 1
	s_cmp_eq_u32 s54, 2
	s_cbranch_scc1 .LBB95_229
; %bb.213:
	s_and_b32 s57, s58, 28
	s_mov_b32 s59, 0
	v_mov_b32_e32 v0, 0
	v_mov_b32_e32 v2, 0
	s_mov_b64 s[50:51], s[34:35]
	s_mov_b64 s[52:53], s[44:45]
	v_mov_b32_e32 v4, v24
.LBB95_214:                             ; =>This Inner Loop Header: Depth=1
	s_load_dwordx8 s[8:15], s[50:51], 0x4
	s_load_dwordx4 s[28:31], s[50:51], 0x24
	s_load_dwordx8 s[0:7], s[52:53], 0x0
	s_add_u32 s50, s50, 48
	s_addc_u32 s51, s51, 0
	s_waitcnt lgkmcnt(0)
	v_mul_hi_u32 v1, s9, v4
	v_add_u32_e32 v1, v4, v1
	v_lshrrev_b32_e32 v1, s10, v1
	v_mul_lo_u32 v3, v1, s8
	v_mul_hi_u32 v5, s12, v1
	v_sub_u32_e32 v3, v4, v3
	v_add_u32_e32 v4, v1, v5
	v_lshrrev_b32_e32 v4, s13, v4
	v_mul_lo_u32 v6, v4, s11
	v_mul_hi_u32 v7, s15, v4
	v_sub_u32_e32 v1, v1, v6
	v_add_u32_e32 v6, v4, v7
	v_mul_lo_u32 v5, v3, s1
	v_mul_lo_u32 v3, v3, s0
	;; [unrolled: 1-line block ×4, first 2 shown]
	v_lshrrev_b32_e32 v6, s28, v6
	v_add3_u32 v0, v3, v0, v1
	v_mul_hi_u32 v3, s30, v6
	v_add3_u32 v1, v5, v2, v7
	v_mul_lo_u32 v2, v6, s14
	v_add_u32_e32 v3, v6, v3
	v_sub_u32_e32 v2, v4, v2
	v_lshrrev_b32_e32 v4, s31, v3
	s_add_i32 s59, s59, 4
	v_mul_lo_u32 v3, v4, s29
	s_add_u32 s52, s52, 32
	v_sub_u32_e32 v3, v6, v3
	s_addc_u32 s53, s53, 0
	v_mul_lo_u32 v5, v2, s4
	v_mul_lo_u32 v2, v2, s5
	v_mul_lo_u32 v6, v3, s6
	v_mul_lo_u32 v3, v3, s7
	s_cmp_eq_u32 s57, s59
	v_add3_u32 v2, v2, v1, v3
	v_add3_u32 v0, v5, v0, v6
	s_cbranch_scc0 .LBB95_214
; %bb.215:
	v_mov_b32_e32 v1, v2
	s_branch .LBB95_230
.LBB95_216:
                                        ; implicit-def: $vgpr2
                                        ; implicit-def: $vgpr0
	s_branch .LBB95_234
.LBB95_217:
	v_mov_b32_e32 v2, 0
	v_mov_b32_e32 v0, 0
	s_branch .LBB95_233
.LBB95_218:
	v_mov_b32_e32 v0, 0
	s_mov_b32 s57, 0
	v_mov_b32_e32 v1, v0
                                        ; implicit-def: $vgpr2
	v_mov_b32_e32 v4, v24
.LBB95_219:
	s_and_b32 s4, s58, 3
	s_cmp_eq_u32 s4, 0
	s_cbranch_scc1 .LBB95_222
; %bb.220:
	s_lshl_b32 s0, s57, 3
	s_add_u32 s0, s34, s0
	s_addc_u32 s1, s35, 0
	s_add_u32 s0, s0, 0xc4
	s_addc_u32 s1, s1, 0
	s_mul_i32 s2, s57, 12
	s_add_u32 s2, s34, s2
	s_addc_u32 s3, s35, 0
.LBB95_221:                             ; =>This Inner Loop Header: Depth=1
	s_load_dwordx2 s[6:7], s[2:3], 0x4
	s_load_dword s5, s[2:3], 0xc
	s_load_dwordx2 s[8:9], s[0:1], 0x0
	v_mov_b32_e32 v2, v1
	s_add_u32 s2, s2, 12
	s_waitcnt lgkmcnt(0)
	v_mul_hi_u32 v1, s7, v4
	v_add_u32_e32 v1, v4, v1
	v_lshrrev_b32_e32 v1, s5, v1
	s_addc_u32 s3, s3, 0
	v_mul_lo_u32 v3, v1, s6
	s_add_u32 s0, s0, 8
	v_sub_u32_e32 v5, v4, v3
	s_addc_u32 s1, s1, 0
	s_add_i32 s4, s4, -1
	v_mov_b32_e32 v4, v1
	v_mad_u64_u32 v[2:3], s[6:7], v5, s9, v[2:3]
	v_mad_u64_u32 v[0:1], s[6:7], v5, s8, v[0:1]
	s_cmp_lg_u32 s4, 0
	v_mov_b32_e32 v1, v2
	s_cbranch_scc1 .LBB95_221
.LBB95_222:
	s_cbranch_execnz .LBB95_225
.LBB95_223:
	s_waitcnt lgkmcnt(0)
	v_mul_hi_u32 v0, s25, v24
	v_add_u32_e32 v0, v24, v0
	v_lshrrev_b32_e32 v1, s26, v0
	v_mul_lo_u32 v0, v1, s24
	v_sub_u32_e32 v0, v24, v0
	v_mul_lo_u32 v2, v0, s21
	s_andn2_b64 vcc, exec, s[42:43]
	v_mul_lo_u32 v0, v0, s20
	s_cbranch_vccnz .LBB95_225
; %bb.224:
	v_mul_hi_u32 v3, s40, v1
	v_add_u32_e32 v3, v1, v3
	v_lshrrev_b32_e32 v3, s41, v3
	v_mul_lo_u32 v3, v3, s27
	v_sub_u32_e32 v3, v1, v3
	v_mad_u64_u32 v[0:1], s[0:1], v3, s22, v[0:1]
	v_mad_u64_u32 v[2:3], s[0:1], v3, s23, v[2:3]
.LBB95_225:
	s_waitcnt lgkmcnt(0)
	global_load_ushort v1, v2, s[18:19]
	s_mov_b32 s0, 0x3fb8aa3b
	s_mov_b32 s1, 0x32a5705f
	v_add_u32_e32 v24, 0x80, v24
	s_waitcnt vmcnt(0)
	v_cvt_f32_f16_e32 v2, v1
	v_mul_f32_e32 v3, 0x3fb8aa3b, v2
	v_fma_mix_f32 v4, v1, s0, -v3 op_sel_hi:[1,0,0]
	v_rndne_f32_e32 v5, v3
	v_fma_mix_f32 v1, v1, s1, v4 op_sel_hi:[1,0,0]
	v_sub_f32_e32 v3, v3, v5
	v_add_f32_e32 v1, v3, v1
	v_cvt_i32_f32_e32 v4, v5
	v_exp_f32_e32 v1, v1
	s_mov_b32 s0, 0xc2ce8ed0
	s_mov_b32 s1, 0x42b17218
	v_cmp_ngt_f32_e32 vcc, s0, v2
	v_ldexp_f32 v1, v1, v4
	v_mov_b32_e32 v3, 0x7f800000
	v_cndmask_b32_e32 v1, 0, v1, vcc
	v_cmp_nlt_f32_e32 vcc, s1, v2
	s_nop 1
	v_cndmask_b32_e32 v1, v3, v1, vcc
	v_cvt_f16_f32_e32 v1, v1
	global_store_short v0, v1, s[16:17]
	s_or_b64 exec, exec, s[48:49]
	v_cmp_gt_i32_e32 vcc, s55, v24
	s_and_saveexec_b64 s[48:49], vcc
	s_cbranch_execnz .LBB95_210
.LBB95_226:
	s_or_b64 exec, exec, s[48:49]
	v_cmp_gt_i32_e32 vcc, s55, v24
	s_and_saveexec_b64 s[48:49], vcc
	s_cbranch_execnz .LBB95_237
.LBB95_227:
	s_or_b64 exec, exec, s[48:49]
                                        ; implicit-def: $vgpr32
                                        ; implicit-def: $vgpr24
	s_andn2_saveexec_b64 s[0:1], s[38:39]
	s_cbranch_execnz .LBB95_9
.LBB95_228:
	s_endpgm
.LBB95_229:
	v_mov_b32_e32 v0, 0
	s_mov_b32 s57, 0
	v_mov_b32_e32 v1, v0
                                        ; implicit-def: $vgpr2
	v_mov_b32_e32 v4, v24
.LBB95_230:
	s_and_b32 s4, s58, 3
	s_cmp_eq_u32 s4, 0
	s_cbranch_scc1 .LBB95_233
; %bb.231:
	s_lshl_b32 s0, s57, 3
	s_add_u32 s0, s34, s0
	s_addc_u32 s1, s35, 0
	s_add_u32 s0, s0, 0xc4
	s_addc_u32 s1, s1, 0
	s_mul_i32 s2, s57, 12
	s_add_u32 s2, s34, s2
	s_addc_u32 s3, s35, 0
.LBB95_232:                             ; =>This Inner Loop Header: Depth=1
	s_load_dwordx2 s[6:7], s[2:3], 0x4
	s_load_dword s5, s[2:3], 0xc
	s_load_dwordx2 s[8:9], s[0:1], 0x0
	v_mov_b32_e32 v2, v1
	s_add_u32 s2, s2, 12
	s_waitcnt lgkmcnt(0)
	v_mul_hi_u32 v1, s7, v4
	v_add_u32_e32 v1, v4, v1
	v_lshrrev_b32_e32 v1, s5, v1
	s_addc_u32 s3, s3, 0
	v_mul_lo_u32 v3, v1, s6
	s_add_u32 s0, s0, 8
	v_sub_u32_e32 v5, v4, v3
	s_addc_u32 s1, s1, 0
	s_add_i32 s4, s4, -1
	v_mov_b32_e32 v4, v1
	v_mad_u64_u32 v[2:3], s[6:7], v5, s9, v[2:3]
	v_mad_u64_u32 v[0:1], s[6:7], v5, s8, v[0:1]
	s_cmp_lg_u32 s4, 0
	v_mov_b32_e32 v1, v2
	s_cbranch_scc1 .LBB95_232
.LBB95_233:
	s_cbranch_execnz .LBB95_236
.LBB95_234:
	s_waitcnt lgkmcnt(0)
	v_mul_hi_u32 v0, s25, v24
	v_add_u32_e32 v0, v24, v0
	v_lshrrev_b32_e32 v1, s26, v0
	v_mul_lo_u32 v0, v1, s24
	v_sub_u32_e32 v0, v24, v0
	v_mul_lo_u32 v2, v0, s21
	s_andn2_b64 vcc, exec, s[42:43]
	v_mul_lo_u32 v0, v0, s20
	s_cbranch_vccnz .LBB95_236
; %bb.235:
	v_mul_hi_u32 v3, s40, v1
	v_add_u32_e32 v3, v1, v3
	v_lshrrev_b32_e32 v3, s41, v3
	v_mul_lo_u32 v3, v3, s27
	v_sub_u32_e32 v3, v1, v3
	v_mad_u64_u32 v[0:1], s[0:1], v3, s22, v[0:1]
	v_mad_u64_u32 v[2:3], s[0:1], v3, s23, v[2:3]
.LBB95_236:
	s_waitcnt lgkmcnt(0)
	global_load_ushort v1, v2, s[18:19]
	s_mov_b32 s0, 0x3fb8aa3b
	s_mov_b32 s1, 0x32a5705f
	v_add_u32_e32 v24, 0x80, v24
	s_waitcnt vmcnt(0)
	v_cvt_f32_f16_e32 v2, v1
	v_mul_f32_e32 v3, 0x3fb8aa3b, v2
	v_fma_mix_f32 v4, v1, s0, -v3 op_sel_hi:[1,0,0]
	v_rndne_f32_e32 v5, v3
	v_fma_mix_f32 v1, v1, s1, v4 op_sel_hi:[1,0,0]
	v_sub_f32_e32 v3, v3, v5
	v_add_f32_e32 v1, v3, v1
	v_cvt_i32_f32_e32 v4, v5
	v_exp_f32_e32 v1, v1
	s_mov_b32 s0, 0xc2ce8ed0
	s_mov_b32 s1, 0x42b17218
	v_cmp_ngt_f32_e32 vcc, s0, v2
	v_ldexp_f32 v1, v1, v4
	v_mov_b32_e32 v3, 0x7f800000
	v_cndmask_b32_e32 v1, 0, v1, vcc
	v_cmp_nlt_f32_e32 vcc, s1, v2
	s_nop 1
	v_cndmask_b32_e32 v1, v3, v1, vcc
	v_cvt_f16_f32_e32 v1, v1
	global_store_short v0, v1, s[16:17]
	s_or_b64 exec, exec, s[48:49]
	v_cmp_gt_i32_e32 vcc, s55, v24
	s_and_saveexec_b64 s[48:49], vcc
	s_cbranch_execz .LBB95_227
.LBB95_237:
	s_andn2_b64 vcc, exec, s[36:37]
	s_cbranch_vccnz .LBB95_243
; %bb.238:
	s_andn2_b64 vcc, exec, s[46:47]
	s_cbranch_vccnz .LBB95_244
; %bb.239:
	s_add_i32 s56, s56, 1
	s_cmp_eq_u32 s54, 2
	s_cbranch_scc1 .LBB95_245
; %bb.240:
	s_and_b32 s50, s56, 28
	s_mov_b32 s51, 0
	v_mov_b32_e32 v0, 0
	v_mov_b32_e32 v2, 0
	s_mov_b64 s[46:47], s[34:35]
	v_mov_b32_e32 v4, v24
.LBB95_241:                             ; =>This Inner Loop Header: Depth=1
	s_load_dwordx8 s[8:15], s[46:47], 0x4
	s_load_dwordx4 s[28:31], s[46:47], 0x24
	s_load_dwordx8 s[0:7], s[44:45], 0x0
	s_add_u32 s46, s46, 48
	s_addc_u32 s47, s47, 0
	s_waitcnt lgkmcnt(0)
	v_mul_hi_u32 v1, s9, v4
	v_add_u32_e32 v1, v4, v1
	v_lshrrev_b32_e32 v1, s10, v1
	v_mul_lo_u32 v3, v1, s8
	v_mul_hi_u32 v5, s12, v1
	v_sub_u32_e32 v3, v4, v3
	v_add_u32_e32 v4, v1, v5
	v_lshrrev_b32_e32 v4, s13, v4
	v_mul_lo_u32 v6, v4, s11
	v_mul_hi_u32 v7, s15, v4
	v_sub_u32_e32 v1, v1, v6
	v_add_u32_e32 v6, v4, v7
	v_mul_lo_u32 v5, v3, s1
	v_mul_lo_u32 v3, v3, s0
	;; [unrolled: 1-line block ×4, first 2 shown]
	v_lshrrev_b32_e32 v6, s28, v6
	v_add3_u32 v0, v3, v0, v1
	v_mul_hi_u32 v3, s30, v6
	v_add3_u32 v1, v5, v2, v7
	v_mul_lo_u32 v2, v6, s14
	v_add_u32_e32 v3, v6, v3
	v_sub_u32_e32 v2, v4, v2
	v_lshrrev_b32_e32 v4, s31, v3
	s_add_i32 s51, s51, 4
	v_mul_lo_u32 v3, v4, s29
	s_add_u32 s44, s44, 32
	v_sub_u32_e32 v3, v6, v3
	s_addc_u32 s45, s45, 0
	v_mul_lo_u32 v5, v2, s4
	v_mul_lo_u32 v2, v2, s5
	;; [unrolled: 1-line block ×4, first 2 shown]
	s_cmp_eq_u32 s50, s51
	v_add3_u32 v2, v2, v1, v3
	v_add3_u32 v0, v5, v0, v6
	s_cbranch_scc0 .LBB95_241
; %bb.242:
	v_mov_b32_e32 v1, v2
	s_branch .LBB95_246
.LBB95_243:
                                        ; implicit-def: $vgpr2
                                        ; implicit-def: $vgpr0
	s_branch .LBB95_250
.LBB95_244:
	v_mov_b32_e32 v2, 0
	v_mov_b32_e32 v0, 0
	s_branch .LBB95_249
.LBB95_245:
	v_mov_b32_e32 v0, 0
	s_mov_b32 s50, 0
	v_mov_b32_e32 v1, v0
                                        ; implicit-def: $vgpr2
	v_mov_b32_e32 v4, v24
.LBB95_246:
	s_and_b32 s4, s56, 3
	s_cmp_eq_u32 s4, 0
	s_cbranch_scc1 .LBB95_249
; %bb.247:
	s_lshl_b32 s0, s50, 3
	s_add_u32 s0, s34, s0
	s_addc_u32 s1, s35, 0
	s_add_u32 s0, s0, 0xc4
	s_addc_u32 s1, s1, 0
	s_mul_i32 s2, s50, 12
	s_add_u32 s2, s34, s2
	s_addc_u32 s3, s35, 0
.LBB95_248:                             ; =>This Inner Loop Header: Depth=1
	s_load_dwordx2 s[6:7], s[2:3], 0x4
	s_load_dword s5, s[2:3], 0xc
	s_load_dwordx2 s[8:9], s[0:1], 0x0
	v_mov_b32_e32 v2, v1
	s_add_u32 s2, s2, 12
	s_waitcnt lgkmcnt(0)
	v_mul_hi_u32 v1, s7, v4
	v_add_u32_e32 v1, v4, v1
	v_lshrrev_b32_e32 v1, s5, v1
	s_addc_u32 s3, s3, 0
	v_mul_lo_u32 v3, v1, s6
	s_add_u32 s0, s0, 8
	v_sub_u32_e32 v5, v4, v3
	s_addc_u32 s1, s1, 0
	s_add_i32 s4, s4, -1
	v_mov_b32_e32 v4, v1
	v_mad_u64_u32 v[2:3], s[6:7], v5, s9, v[2:3]
	v_mad_u64_u32 v[0:1], s[6:7], v5, s8, v[0:1]
	s_cmp_lg_u32 s4, 0
	v_mov_b32_e32 v1, v2
	s_cbranch_scc1 .LBB95_248
.LBB95_249:
	s_cbranch_execnz .LBB95_252
.LBB95_250:
	s_waitcnt lgkmcnt(0)
	v_mul_hi_u32 v0, s25, v24
	v_add_u32_e32 v0, v24, v0
	v_lshrrev_b32_e32 v1, s26, v0
	v_mul_lo_u32 v0, v1, s24
	v_sub_u32_e32 v0, v24, v0
	v_mul_lo_u32 v2, v0, s21
	s_andn2_b64 vcc, exec, s[42:43]
	v_mul_lo_u32 v0, v0, s20
	s_cbranch_vccnz .LBB95_252
; %bb.251:
	v_mul_hi_u32 v3, s40, v1
	v_add_u32_e32 v3, v1, v3
	v_lshrrev_b32_e32 v3, s41, v3
	v_mul_lo_u32 v3, v3, s27
	v_sub_u32_e32 v3, v1, v3
	v_mad_u64_u32 v[0:1], s[0:1], v3, s22, v[0:1]
	v_mad_u64_u32 v[2:3], s[0:1], v3, s23, v[2:3]
.LBB95_252:
	s_waitcnt lgkmcnt(0)
	global_load_ushort v1, v2, s[18:19]
	s_mov_b32 s0, 0x3fb8aa3b
	s_mov_b32 s1, 0x32a5705f
	s_waitcnt vmcnt(0)
	v_cvt_f32_f16_e32 v2, v1
	v_mul_f32_e32 v3, 0x3fb8aa3b, v2
	v_fma_mix_f32 v4, v1, s0, -v3 op_sel_hi:[1,0,0]
	v_rndne_f32_e32 v5, v3
	v_fma_mix_f32 v1, v1, s1, v4 op_sel_hi:[1,0,0]
	v_sub_f32_e32 v3, v3, v5
	v_add_f32_e32 v1, v3, v1
	v_cvt_i32_f32_e32 v4, v5
	v_exp_f32_e32 v1, v1
	s_mov_b32 s0, 0xc2ce8ed0
	s_mov_b32 s1, 0x42b17218
	v_cmp_ngt_f32_e32 vcc, s0, v2
	v_ldexp_f32 v1, v1, v4
	v_mov_b32_e32 v3, 0x7f800000
	v_cndmask_b32_e32 v1, 0, v1, vcc
	v_cmp_nlt_f32_e32 vcc, s1, v2
	s_nop 1
	v_cndmask_b32_e32 v1, v3, v1, vcc
	v_cvt_f16_f32_e32 v1, v1
	global_store_short v0, v1, s[16:17]
	s_or_b64 exec, exec, s[48:49]
                                        ; implicit-def: $vgpr32
                                        ; implicit-def: $vgpr24
	s_andn2_saveexec_b64 s[0:1], s[38:39]
	s_cbranch_execz .LBB95_228
	s_branch .LBB95_9
	.section	.rodata,"a",@progbits
	.p2align	6, 0x0
	.amdhsa_kernel _ZN2at6native32elementwise_kernel_manual_unrollILi128ELi8EZNS0_22gpu_kernel_impl_nocastIZZZNS0_15exp_kernel_cudaERNS_18TensorIteratorBaseEENKUlvE0_clEvENKUlvE1_clEvEUlN3c104HalfEE_EEvS4_RKT_EUlibE_EEviT1_
		.amdhsa_group_segment_fixed_size 0
		.amdhsa_private_segment_fixed_size 0
		.amdhsa_kernarg_size 360
		.amdhsa_user_sgpr_count 2
		.amdhsa_user_sgpr_dispatch_ptr 0
		.amdhsa_user_sgpr_queue_ptr 0
		.amdhsa_user_sgpr_kernarg_segment_ptr 1
		.amdhsa_user_sgpr_dispatch_id 0
		.amdhsa_user_sgpr_kernarg_preload_length 0
		.amdhsa_user_sgpr_kernarg_preload_offset 0
		.amdhsa_user_sgpr_private_segment_size 0
		.amdhsa_uses_dynamic_stack 0
		.amdhsa_enable_private_segment 0
		.amdhsa_system_sgpr_workgroup_id_x 1
		.amdhsa_system_sgpr_workgroup_id_y 0
		.amdhsa_system_sgpr_workgroup_id_z 0
		.amdhsa_system_sgpr_workgroup_info 0
		.amdhsa_system_vgpr_workitem_id 0
		.amdhsa_next_free_vgpr 42
		.amdhsa_next_free_sgpr 60
		.amdhsa_accum_offset 44
		.amdhsa_reserve_vcc 1
		.amdhsa_float_round_mode_32 0
		.amdhsa_float_round_mode_16_64 0
		.amdhsa_float_denorm_mode_32 3
		.amdhsa_float_denorm_mode_16_64 3
		.amdhsa_dx10_clamp 1
		.amdhsa_ieee_mode 1
		.amdhsa_fp16_overflow 0
		.amdhsa_tg_split 0
		.amdhsa_exception_fp_ieee_invalid_op 0
		.amdhsa_exception_fp_denorm_src 0
		.amdhsa_exception_fp_ieee_div_zero 0
		.amdhsa_exception_fp_ieee_overflow 0
		.amdhsa_exception_fp_ieee_underflow 0
		.amdhsa_exception_fp_ieee_inexact 0
		.amdhsa_exception_int_div_zero 0
	.end_amdhsa_kernel
	.section	.text._ZN2at6native32elementwise_kernel_manual_unrollILi128ELi8EZNS0_22gpu_kernel_impl_nocastIZZZNS0_15exp_kernel_cudaERNS_18TensorIteratorBaseEENKUlvE0_clEvENKUlvE1_clEvEUlN3c104HalfEE_EEvS4_RKT_EUlibE_EEviT1_,"axG",@progbits,_ZN2at6native32elementwise_kernel_manual_unrollILi128ELi8EZNS0_22gpu_kernel_impl_nocastIZZZNS0_15exp_kernel_cudaERNS_18TensorIteratorBaseEENKUlvE0_clEvENKUlvE1_clEvEUlN3c104HalfEE_EEvS4_RKT_EUlibE_EEviT1_,comdat
.Lfunc_end95:
	.size	_ZN2at6native32elementwise_kernel_manual_unrollILi128ELi8EZNS0_22gpu_kernel_impl_nocastIZZZNS0_15exp_kernel_cudaERNS_18TensorIteratorBaseEENKUlvE0_clEvENKUlvE1_clEvEUlN3c104HalfEE_EEvS4_RKT_EUlibE_EEviT1_, .Lfunc_end95-_ZN2at6native32elementwise_kernel_manual_unrollILi128ELi8EZNS0_22gpu_kernel_impl_nocastIZZZNS0_15exp_kernel_cudaERNS_18TensorIteratorBaseEENKUlvE0_clEvENKUlvE1_clEvEUlN3c104HalfEE_EEvS4_RKT_EUlibE_EEviT1_
                                        ; -- End function
	.set _ZN2at6native32elementwise_kernel_manual_unrollILi128ELi8EZNS0_22gpu_kernel_impl_nocastIZZZNS0_15exp_kernel_cudaERNS_18TensorIteratorBaseEENKUlvE0_clEvENKUlvE1_clEvEUlN3c104HalfEE_EEvS4_RKT_EUlibE_EEviT1_.num_vgpr, 42
	.set _ZN2at6native32elementwise_kernel_manual_unrollILi128ELi8EZNS0_22gpu_kernel_impl_nocastIZZZNS0_15exp_kernel_cudaERNS_18TensorIteratorBaseEENKUlvE0_clEvENKUlvE1_clEvEUlN3c104HalfEE_EEvS4_RKT_EUlibE_EEviT1_.num_agpr, 0
	.set _ZN2at6native32elementwise_kernel_manual_unrollILi128ELi8EZNS0_22gpu_kernel_impl_nocastIZZZNS0_15exp_kernel_cudaERNS_18TensorIteratorBaseEENKUlvE0_clEvENKUlvE1_clEvEUlN3c104HalfEE_EEvS4_RKT_EUlibE_EEviT1_.numbered_sgpr, 60
	.set _ZN2at6native32elementwise_kernel_manual_unrollILi128ELi8EZNS0_22gpu_kernel_impl_nocastIZZZNS0_15exp_kernel_cudaERNS_18TensorIteratorBaseEENKUlvE0_clEvENKUlvE1_clEvEUlN3c104HalfEE_EEvS4_RKT_EUlibE_EEviT1_.num_named_barrier, 0
	.set _ZN2at6native32elementwise_kernel_manual_unrollILi128ELi8EZNS0_22gpu_kernel_impl_nocastIZZZNS0_15exp_kernel_cudaERNS_18TensorIteratorBaseEENKUlvE0_clEvENKUlvE1_clEvEUlN3c104HalfEE_EEvS4_RKT_EUlibE_EEviT1_.private_seg_size, 0
	.set _ZN2at6native32elementwise_kernel_manual_unrollILi128ELi8EZNS0_22gpu_kernel_impl_nocastIZZZNS0_15exp_kernel_cudaERNS_18TensorIteratorBaseEENKUlvE0_clEvENKUlvE1_clEvEUlN3c104HalfEE_EEvS4_RKT_EUlibE_EEviT1_.uses_vcc, 1
	.set _ZN2at6native32elementwise_kernel_manual_unrollILi128ELi8EZNS0_22gpu_kernel_impl_nocastIZZZNS0_15exp_kernel_cudaERNS_18TensorIteratorBaseEENKUlvE0_clEvENKUlvE1_clEvEUlN3c104HalfEE_EEvS4_RKT_EUlibE_EEviT1_.uses_flat_scratch, 0
	.set _ZN2at6native32elementwise_kernel_manual_unrollILi128ELi8EZNS0_22gpu_kernel_impl_nocastIZZZNS0_15exp_kernel_cudaERNS_18TensorIteratorBaseEENKUlvE0_clEvENKUlvE1_clEvEUlN3c104HalfEE_EEvS4_RKT_EUlibE_EEviT1_.has_dyn_sized_stack, 0
	.set _ZN2at6native32elementwise_kernel_manual_unrollILi128ELi8EZNS0_22gpu_kernel_impl_nocastIZZZNS0_15exp_kernel_cudaERNS_18TensorIteratorBaseEENKUlvE0_clEvENKUlvE1_clEvEUlN3c104HalfEE_EEvS4_RKT_EUlibE_EEviT1_.has_recursion, 0
	.set _ZN2at6native32elementwise_kernel_manual_unrollILi128ELi8EZNS0_22gpu_kernel_impl_nocastIZZZNS0_15exp_kernel_cudaERNS_18TensorIteratorBaseEENKUlvE0_clEvENKUlvE1_clEvEUlN3c104HalfEE_EEvS4_RKT_EUlibE_EEviT1_.has_indirect_call, 0
	.section	.AMDGPU.csdata,"",@progbits
; Kernel info:
; codeLenInByte = 13024
; TotalNumSgprs: 66
; NumVgprs: 42
; NumAgprs: 0
; TotalNumVgprs: 42
; ScratchSize: 0
; MemoryBound: 0
; FloatMode: 240
; IeeeMode: 1
; LDSByteSize: 0 bytes/workgroup (compile time only)
; SGPRBlocks: 8
; VGPRBlocks: 5
; NumSGPRsForWavesPerEU: 66
; NumVGPRsForWavesPerEU: 42
; AccumOffset: 44
; Occupancy: 8
; WaveLimiterHint : 1
; COMPUTE_PGM_RSRC2:SCRATCH_EN: 0
; COMPUTE_PGM_RSRC2:USER_SGPR: 2
; COMPUTE_PGM_RSRC2:TRAP_HANDLER: 0
; COMPUTE_PGM_RSRC2:TGID_X_EN: 1
; COMPUTE_PGM_RSRC2:TGID_Y_EN: 0
; COMPUTE_PGM_RSRC2:TGID_Z_EN: 0
; COMPUTE_PGM_RSRC2:TIDIG_COMP_CNT: 0
; COMPUTE_PGM_RSRC3_GFX90A:ACCUM_OFFSET: 10
; COMPUTE_PGM_RSRC3_GFX90A:TG_SPLIT: 0
	.section	.text._ZN2at6native32elementwise_kernel_manual_unrollILi128ELi4EZNS0_15gpu_kernel_implIZZZNS0_15exp_kernel_cudaERNS_18TensorIteratorBaseEENKUlvE0_clEvENKUlvE1_clEvEUlN3c104HalfEE_EEvS4_RKT_EUlibE_EEviT1_,"axG",@progbits,_ZN2at6native32elementwise_kernel_manual_unrollILi128ELi4EZNS0_15gpu_kernel_implIZZZNS0_15exp_kernel_cudaERNS_18TensorIteratorBaseEENKUlvE0_clEvENKUlvE1_clEvEUlN3c104HalfEE_EEvS4_RKT_EUlibE_EEviT1_,comdat
	.globl	_ZN2at6native32elementwise_kernel_manual_unrollILi128ELi4EZNS0_15gpu_kernel_implIZZZNS0_15exp_kernel_cudaERNS_18TensorIteratorBaseEENKUlvE0_clEvENKUlvE1_clEvEUlN3c104HalfEE_EEvS4_RKT_EUlibE_EEviT1_ ; -- Begin function _ZN2at6native32elementwise_kernel_manual_unrollILi128ELi4EZNS0_15gpu_kernel_implIZZZNS0_15exp_kernel_cudaERNS_18TensorIteratorBaseEENKUlvE0_clEvENKUlvE1_clEvEUlN3c104HalfEE_EEvS4_RKT_EUlibE_EEviT1_
	.p2align	8
	.type	_ZN2at6native32elementwise_kernel_manual_unrollILi128ELi4EZNS0_15gpu_kernel_implIZZZNS0_15exp_kernel_cudaERNS_18TensorIteratorBaseEENKUlvE0_clEvENKUlvE1_clEvEUlN3c104HalfEE_EEvS4_RKT_EUlibE_EEviT1_,@function
_ZN2at6native32elementwise_kernel_manual_unrollILi128ELi4EZNS0_15gpu_kernel_implIZZZNS0_15exp_kernel_cudaERNS_18TensorIteratorBaseEENKUlvE0_clEvENKUlvE1_clEvEUlN3c104HalfEE_EEvS4_RKT_EUlibE_EEviT1_: ; @_ZN2at6native32elementwise_kernel_manual_unrollILi128ELi4EZNS0_15gpu_kernel_implIZZZNS0_15exp_kernel_cudaERNS_18TensorIteratorBaseEENKUlvE0_clEvENKUlvE1_clEvEUlN3c104HalfEE_EEvS4_RKT_EUlibE_EEviT1_
; %bb.0:
	v_mov_b32_e32 v1, 0
	global_load_ushort v1, v1, s[0:1] offset:33
	s_load_dwordx4 s[4:7], s[0:1], 0x8
	s_load_dwordx2 s[8:9], s[0:1], 0x18
	s_load_dword s38, s[0:1], 0x0
	v_lshl_or_b32 v4, s2, 9, v0
	v_or_b32_e32 v0, 0x180, v4
	s_mov_b64 s[10:11], 0
	s_mov_b64 s[12:13], 0
	s_waitcnt lgkmcnt(0)
	v_cmp_le_i32_e32 vcc, s38, v0
	s_waitcnt vmcnt(0)
	v_readfirstlane_b32 s33, v1
	s_and_b32 s0, 0xffff, s33
	s_lshr_b32 s42, s0, 8
	s_and_saveexec_b64 s[0:1], vcc
	s_xor_b64 s[2:3], exec, s[0:1]
	s_cbranch_execz .LBB96_1027
; %bb.1:
	v_cmp_gt_i32_e32 vcc, s38, v4
	s_mov_b64 s[18:19], -1
	s_mov_b64 s[20:21], 0
	s_mov_b64 s[14:15], 0
	s_and_saveexec_b64 s[16:17], vcc
	s_cbranch_execz .LBB96_252
; %bb.2:
	v_mul_lo_u32 v0, v4, s9
	v_ashrrev_i32_e32 v1, 31, v0
	s_and_b32 s22, 0xffff, s42
	s_cmp_lt_i32 s22, 11
	v_lshl_add_u64 v[0:1], s[6:7], 0, v[0:1]
	s_cbranch_scc1 .LBB96_9
; %bb.3:
	s_cmp_gt_i32 s22, 25
	s_cbranch_scc0 .LBB96_18
; %bb.4:
	s_cmp_gt_i32 s22, 28
	s_cbranch_scc0 .LBB96_22
	;; [unrolled: 3-line block ×4, first 2 shown]
; %bb.7:
	s_cmp_eq_u32 s22, 46
	s_cbranch_scc0 .LBB96_28
; %bb.8:
	global_load_dword v2, v[0:1], off
	s_mov_b64 s[0:1], -1
	s_waitcnt vmcnt(0)
	v_lshlrev_b32_e32 v2, 16, v2
	v_cvt_f16_f32_e32 v2, v2
	s_branch .LBB96_30
.LBB96_9:
                                        ; implicit-def: $vgpr2
	s_mov_b64 s[0:1], 0
	s_cbranch_execnz .LBB96_203
.LBB96_10:
	s_andn2_b64 vcc, exec, s[0:1]
	s_cbranch_vccnz .LBB96_250
.LBB96_11:
	s_waitcnt vmcnt(0)
	v_cvt_f32_f16_e32 v0, v2
	s_mov_b32 s0, 0x3fb8aa3b
	s_mov_b32 s1, 0x32a5705f
	s_and_b32 s24, s33, 0xff
	v_mul_f32_e32 v1, 0x3fb8aa3b, v0
	v_rndne_f32_e32 v3, v1
	v_fma_mix_f32 v5, v2, s0, -v1 op_sel_hi:[1,0,0]
	v_sub_f32_e32 v1, v1, v3
	v_fma_mix_f32 v2, v2, s1, v5 op_sel_hi:[1,0,0]
	s_mov_b32 s0, 0xc2ce8ed0
	v_add_f32_e32 v1, v1, v2
	v_cvt_i32_f32_e32 v2, v3
	v_exp_f32_e32 v1, v1
	v_cmp_ngt_f32_e32 vcc, s0, v0
	s_mov_b32 s0, 0x42b17218
	s_cmp_lt_i32 s24, 11
	v_ldexp_f32 v1, v1, v2
	v_cndmask_b32_e32 v1, 0, v1, vcc
	v_mov_b32_e32 v2, 0x7f800000
	v_cmp_nlt_f32_e32 vcc, s0, v0
	s_nop 1
	v_cndmask_b32_e32 v0, v2, v1, vcc
	v_cvt_f16_f32_e32 v2, v0
	v_mul_lo_u32 v0, v4, s8
	v_ashrrev_i32_e32 v1, 31, v0
	v_lshl_add_u64 v[0:1], s[4:5], 0, v[0:1]
	s_cbranch_scc1 .LBB96_19
; %bb.12:
	s_and_b32 s25, 0xffff, s24
	s_cmp_gt_i32 s25, 25
	s_cbranch_scc0 .LBB96_23
; %bb.13:
	s_cmp_gt_i32 s25, 28
	s_cbranch_scc0 .LBB96_25
; %bb.14:
	;; [unrolled: 3-line block ×4, first 2 shown]
	s_mov_b64 s[18:19], 0
	s_mov_b64 s[0:1], -1
	s_cmp_eq_u32 s25, 46
	s_mov_b64 s[12:13], 0
	s_cbranch_scc0 .LBB96_34
; %bb.17:
	v_cvt_f32_f16_e32 v3, v2
	s_movk_i32 s0, 0x7fff
	v_cmp_o_f16_e32 vcc, v2, v2
	v_mov_b32_e32 v5, 0x7fc0
	v_bfe_u32 v6, v3, 16, 1
	v_add3_u32 v3, v3, v6, s0
	v_cndmask_b32_sdwa v3, v5, v3, vcc dst_sel:DWORD dst_unused:UNUSED_PAD src0_sel:DWORD src1_sel:WORD_1
	global_store_dword v[0:1], v3, off
	s_mov_b64 s[12:13], -1
	s_mov_b64 s[0:1], 0
	s_branch .LBB96_34
.LBB96_18:
	s_mov_b64 s[0:1], 0
                                        ; implicit-def: $vgpr2
	s_cbranch_execnz .LBB96_168
	s_branch .LBB96_202
.LBB96_19:
	s_mov_b64 s[0:1], 0
	s_mov_b64 s[12:13], 0
	s_cbranch_execnz .LBB96_103
.LBB96_20:
	s_andn2_b64 vcc, exec, s[12:13]
	s_cbranch_vccnz .LBB96_141
.LBB96_21:
	v_add_u32_e32 v4, 0x80, v4
	s_mov_b64 s[18:19], -1
	s_branch .LBB96_251
.LBB96_22:
	s_mov_b64 s[12:13], -1
	s_mov_b64 s[0:1], 0
                                        ; implicit-def: $vgpr2
	s_branch .LBB96_149
.LBB96_23:
	s_mov_b64 s[18:19], -1
	s_mov_b64 s[0:1], 0
	s_mov_b64 s[12:13], 0
	s_branch .LBB96_61
.LBB96_24:
	s_mov_b64 s[12:13], -1
	s_mov_b64 s[0:1], 0
                                        ; implicit-def: $vgpr2
	s_branch .LBB96_144
.LBB96_25:
	s_mov_b64 s[18:19], -1
	s_mov_b64 s[0:1], 0
	s_mov_b64 s[12:13], 0
	s_branch .LBB96_44
.LBB96_26:
	s_mov_b64 s[12:13], -1
	s_branch .LBB96_29
.LBB96_27:
	s_mov_b64 s[18:19], -1
	s_mov_b64 s[0:1], 0
	s_mov_b64 s[12:13], 0
	s_branch .LBB96_40
.LBB96_28:
	s_mov_b64 s[14:15], -1
.LBB96_29:
	s_mov_b64 s[0:1], 0
                                        ; implicit-def: $vgpr2
.LBB96_30:
	s_and_b64 vcc, exec, s[12:13]
	s_cbranch_vccz .LBB96_143
; %bb.31:
	s_cmp_eq_u32 s22, 44
	s_cbranch_scc0 .LBB96_142
; %bb.32:
	global_load_ubyte v2, v[0:1], off
	s_movk_i32 s12, 0xff
	v_mov_b32_e32 v5, 0x7e00
	s_mov_b64 s[0:1], -1
	s_mov_b64 s[14:15], 0
	s_waitcnt vmcnt(0)
	v_lshlrev_b32_e32 v3, 23, v2
	v_cvt_f16_f32_e32 v3, v3
	v_cmp_ne_u32_e32 vcc, s12, v2
	s_nop 1
	v_cndmask_b32_e32 v3, v5, v3, vcc
	v_cmp_ne_u32_e32 vcc, 0, v2
	s_nop 1
	v_cndmask_b32_e32 v2, 0, v3, vcc
	s_branch .LBB96_143
.LBB96_33:
	s_mov_b64 s[18:19], -1
	s_mov_b64 s[0:1], 0
	s_mov_b64 s[12:13], 0
.LBB96_34:
	s_and_b64 vcc, exec, s[18:19]
	s_cbranch_vccz .LBB96_39
; %bb.35:
	s_cmp_eq_u32 s25, 44
	s_mov_b64 s[0:1], -1
	s_cbranch_scc0 .LBB96_39
; %bb.36:
	v_cvt_f32_f16_e32 v3, v2
	s_movk_i32 s0, 0xff
	v_mov_b32_e32 v6, 0xff
	v_bfe_u32 v5, v3, 23, 8
	v_cmp_ne_u32_e32 vcc, s0, v5
	s_and_saveexec_b64 s[12:13], vcc
; %bb.37:
	s_mov_b32 s0, 0x3fffff
	v_lshrrev_b32_e32 v6, 23, v3
	v_and_b32_e32 v7, 0x400000, v3
	v_and_or_b32 v3, v3, s0, v5
	v_cmp_ne_u32_e32 vcc, 0, v7
	v_cmp_ne_u32_e64 s[0:1], 0, v3
	s_and_b64 s[0:1], vcc, s[0:1]
	s_nop 0
	v_cndmask_b32_e64 v3, 0, 1, s[0:1]
	v_add_u32_e32 v6, v6, v3
; %bb.38:
	s_or_b64 exec, exec, s[12:13]
	s_mov_b64 s[12:13], -1
	s_mov_b64 s[0:1], 0
	global_store_byte v[0:1], v6, off
.LBB96_39:
	s_mov_b64 s[18:19], 0
.LBB96_40:
	s_and_b64 vcc, exec, s[18:19]
	s_cbranch_vccz .LBB96_43
; %bb.41:
	s_cmp_eq_u32 s25, 29
	s_mov_b64 s[0:1], -1
	s_cbranch_scc0 .LBB96_43
; %bb.42:
	v_cvt_f32_f16_e32 v3, v2
	v_mov_b32_e32 v7, 0
	s_mov_b64 s[12:13], -1
	s_mov_b64 s[0:1], 0
	v_cvt_u32_f32_e32 v6, v3
	s_mov_b64 s[18:19], 0
	global_store_dwordx2 v[0:1], v[6:7], off
	s_branch .LBB96_44
.LBB96_43:
	s_mov_b64 s[18:19], 0
.LBB96_44:
	s_and_b64 vcc, exec, s[18:19]
	s_cbranch_vccz .LBB96_60
; %bb.45:
	s_cmp_lt_i32 s25, 27
	s_mov_b64 s[12:13], -1
	s_cbranch_scc1 .LBB96_51
; %bb.46:
	s_cmp_gt_i32 s25, 27
	s_cbranch_scc0 .LBB96_48
; %bb.47:
	v_cvt_f32_f16_e32 v3, v2
	s_mov_b64 s[12:13], 0
	v_cvt_u32_f32_e32 v3, v3
	global_store_dword v[0:1], v3, off
.LBB96_48:
	s_andn2_b64 vcc, exec, s[12:13]
	s_cbranch_vccnz .LBB96_50
; %bb.49:
	v_cvt_u16_f16_e32 v3, v2
	global_store_short v[0:1], v3, off
.LBB96_50:
	s_mov_b64 s[12:13], 0
.LBB96_51:
	s_andn2_b64 vcc, exec, s[12:13]
	s_cbranch_vccnz .LBB96_59
; %bb.52:
	v_cvt_f32_f16_e32 v3, v2
	s_mov_b32 s12, 0x43800000
	v_mov_b32_e32 v6, 0x80
	v_and_b32_e32 v5, 0x7fffffff, v3
	v_cmp_gt_u32_e32 vcc, s12, v5
	s_and_saveexec_b64 s[12:13], vcc
	s_cbranch_execz .LBB96_58
; %bb.53:
	s_mov_b32 s18, 0x3bffffff
	v_cmp_lt_u32_e32 vcc, s18, v5
	s_mov_b64 s[18:19], 0
                                        ; implicit-def: $vgpr5
	s_and_saveexec_b64 s[22:23], vcc
	s_xor_b64 s[22:23], exec, s[22:23]
	s_cbranch_execz .LBB96_279
; %bb.54:
	v_bfe_u32 v5, v3, 20, 1
	s_mov_b32 s26, 0x487ffff
	v_add3_u32 v5, v3, v5, s26
	s_mov_b64 s[18:19], exec
	v_lshrrev_b32_e32 v5, 20, v5
	s_andn2_saveexec_b64 s[22:23], s[22:23]
	s_cbranch_execnz .LBB96_280
.LBB96_55:
	s_or_b64 exec, exec, s[22:23]
	v_mov_b32_e32 v6, 0
	s_and_saveexec_b64 s[22:23], s[18:19]
.LBB96_56:
	v_lshrrev_b32_e32 v3, 24, v3
	s_movk_i32 s18, 0x80
	v_and_or_b32 v6, v3, s18, v5
.LBB96_57:
	s_or_b64 exec, exec, s[22:23]
.LBB96_58:
	s_or_b64 exec, exec, s[12:13]
	global_store_byte v[0:1], v6, off
.LBB96_59:
	s_mov_b64 s[12:13], -1
.LBB96_60:
	s_mov_b64 s[18:19], 0
.LBB96_61:
	s_and_b64 vcc, exec, s[18:19]
	s_cbranch_vccz .LBB96_102
; %bb.62:
	s_cmp_gt_i32 s25, 22
	s_mov_b64 s[18:19], -1
	s_cbranch_scc0 .LBB96_94
; %bb.63:
	s_cmp_lt_i32 s25, 24
	s_mov_b64 s[12:13], -1
	s_cbranch_scc1 .LBB96_83
; %bb.64:
	s_cmp_gt_i32 s25, 24
	s_cbranch_scc0 .LBB96_72
; %bb.65:
	v_cvt_f32_f16_e32 v3, v2
	s_mov_b32 s12, 0x47800000
	v_mov_b32_e32 v6, 0x80
	v_and_b32_e32 v5, 0x7fffffff, v3
	v_cmp_gt_u32_e32 vcc, s12, v5
	s_and_saveexec_b64 s[12:13], vcc
	s_cbranch_execz .LBB96_71
; %bb.66:
	s_mov_b32 s18, 0x37ffffff
	v_cmp_lt_u32_e32 vcc, s18, v5
	s_mov_b64 s[18:19], 0
                                        ; implicit-def: $vgpr5
	s_and_saveexec_b64 s[22:23], vcc
	s_xor_b64 s[22:23], exec, s[22:23]
	s_cbranch_execz .LBB96_283
; %bb.67:
	v_bfe_u32 v5, v3, 21, 1
	s_mov_b32 s26, 0x88fffff
	v_add3_u32 v5, v3, v5, s26
	s_mov_b64 s[18:19], exec
	v_lshrrev_b32_e32 v5, 21, v5
	s_andn2_saveexec_b64 s[22:23], s[22:23]
	s_cbranch_execnz .LBB96_284
.LBB96_68:
	s_or_b64 exec, exec, s[22:23]
	v_mov_b32_e32 v6, 0
	s_and_saveexec_b64 s[22:23], s[18:19]
.LBB96_69:
	v_lshrrev_b32_e32 v3, 24, v3
	s_movk_i32 s18, 0x80
	v_and_or_b32 v6, v3, s18, v5
.LBB96_70:
	s_or_b64 exec, exec, s[22:23]
.LBB96_71:
	s_or_b64 exec, exec, s[12:13]
	s_mov_b64 s[12:13], 0
	global_store_byte v[0:1], v6, off
.LBB96_72:
	s_and_b64 vcc, exec, s[12:13]
	s_cbranch_vccz .LBB96_82
; %bb.73:
	v_cvt_f32_f16_e32 v3, v2
	s_mov_b32 s12, 0x43f00000
                                        ; implicit-def: $vgpr5
	v_and_b32_e32 v6, 0x7fffffff, v3
	v_cmp_gt_u32_e32 vcc, s12, v6
	s_and_saveexec_b64 s[12:13], vcc
	s_xor_b64 s[12:13], exec, s[12:13]
	s_cbranch_execz .LBB96_79
; %bb.74:
	s_mov_b32 s18, 0x3c7fffff
	v_cmp_lt_u32_e32 vcc, s18, v6
                                        ; implicit-def: $vgpr5
	s_and_saveexec_b64 s[18:19], vcc
	s_xor_b64 s[18:19], exec, s[18:19]
; %bb.75:
	v_bfe_u32 v5, v3, 20, 1
	s_mov_b32 s22, 0x407ffff
	v_add3_u32 v5, v3, v5, s22
	v_lshrrev_b32_e32 v6, 20, v5
	v_and_b32_e32 v5, 0xff00000, v5
	s_mov_b32 s22, 0x7f00000
	v_mov_b32_e32 v7, 0x7e
	v_cmp_ne_u32_e32 vcc, s22, v5
	s_nop 1
	v_cndmask_b32_e32 v5, v7, v6, vcc
; %bb.76:
	s_andn2_saveexec_b64 s[18:19], s[18:19]
; %bb.77:
	s_mov_b32 s22, 0x46800000
	v_add_f32_e64 v5, |v3|, s22
; %bb.78:
	s_or_b64 exec, exec, s[18:19]
                                        ; implicit-def: $vgpr6
.LBB96_79:
	s_andn2_saveexec_b64 s[12:13], s[12:13]
; %bb.80:
	s_mov_b32 s18, 0x7f800000
	v_mov_b32_e32 v5, 0x7e
	v_mov_b32_e32 v7, 0x7f
	v_cmp_lt_u32_e32 vcc, s18, v6
	s_nop 1
	v_cndmask_b32_e32 v5, v5, v7, vcc
; %bb.81:
	s_or_b64 exec, exec, s[12:13]
	v_lshrrev_b32_e32 v3, 24, v3
	s_movk_i32 s12, 0x80
	v_and_or_b32 v3, v3, s12, v5
	global_store_byte v[0:1], v3, off
.LBB96_82:
	s_mov_b64 s[12:13], 0
.LBB96_83:
	s_andn2_b64 vcc, exec, s[12:13]
	s_cbranch_vccnz .LBB96_93
; %bb.84:
	v_cvt_f32_f16_e32 v3, v2
	s_mov_b32 s12, 0x47800000
                                        ; implicit-def: $vgpr5
	v_and_b32_e32 v6, 0x7fffffff, v3
	v_cmp_gt_u32_e32 vcc, s12, v6
	s_and_saveexec_b64 s[12:13], vcc
	s_xor_b64 s[12:13], exec, s[12:13]
	s_cbranch_execz .LBB96_90
; %bb.85:
	s_mov_b32 s18, 0x387fffff
	v_cmp_lt_u32_e32 vcc, s18, v6
                                        ; implicit-def: $vgpr5
	s_and_saveexec_b64 s[18:19], vcc
	s_xor_b64 s[18:19], exec, s[18:19]
; %bb.86:
	v_bfe_u32 v5, v3, 21, 1
	s_mov_b32 s22, 0x80fffff
	v_add3_u32 v5, v3, v5, s22
	v_lshrrev_b32_e32 v5, 21, v5
; %bb.87:
	s_andn2_saveexec_b64 s[18:19], s[18:19]
; %bb.88:
	s_mov_b32 s22, 0x43000000
	v_add_f32_e64 v5, |v3|, s22
; %bb.89:
	s_or_b64 exec, exec, s[18:19]
                                        ; implicit-def: $vgpr6
.LBB96_90:
	s_andn2_saveexec_b64 s[12:13], s[12:13]
; %bb.91:
	s_mov_b32 s18, 0x7f800000
	v_mov_b32_e32 v5, 0x7c
	v_mov_b32_e32 v7, 0x7f
	v_cmp_lt_u32_e32 vcc, s18, v6
	s_nop 1
	v_cndmask_b32_e32 v5, v5, v7, vcc
; %bb.92:
	s_or_b64 exec, exec, s[12:13]
	v_lshrrev_b32_e32 v3, 24, v3
	s_movk_i32 s12, 0x80
	v_and_or_b32 v3, v3, s12, v5
	global_store_byte v[0:1], v3, off
.LBB96_93:
	s_mov_b64 s[18:19], 0
	s_mov_b64 s[12:13], -1
.LBB96_94:
	s_andn2_b64 vcc, exec, s[18:19]
	s_cbranch_vccnz .LBB96_102
; %bb.95:
	s_cmp_gt_i32 s25, 14
	s_mov_b64 s[18:19], -1
	s_cbranch_scc0 .LBB96_99
; %bb.96:
	s_cmp_eq_u32 s25, 15
	s_mov_b64 s[0:1], -1
	s_cbranch_scc0 .LBB96_98
; %bb.97:
	v_cvt_f32_f16_e32 v3, v2
	s_movk_i32 s0, 0x7fff
	v_cmp_o_f16_e32 vcc, v2, v2
	v_mov_b32_e32 v5, 0x7fc0
	v_bfe_u32 v6, v3, 16, 1
	v_add3_u32 v3, v3, v6, s0
	v_cndmask_b32_sdwa v3, v5, v3, vcc dst_sel:DWORD dst_unused:UNUSED_PAD src0_sel:DWORD src1_sel:WORD_1
	global_store_short v[0:1], v3, off
	s_mov_b64 s[12:13], -1
	s_mov_b64 s[0:1], 0
.LBB96_98:
	s_mov_b64 s[18:19], 0
.LBB96_99:
	s_and_b64 vcc, exec, s[18:19]
	s_cbranch_vccz .LBB96_102
; %bb.100:
	s_cmp_eq_u32 s25, 11
	s_mov_b64 s[0:1], -1
	s_cbranch_scc0 .LBB96_102
; %bb.101:
	v_cmp_neq_f16_e32 vcc, 0, v2
	s_mov_b64 s[12:13], -1
	s_mov_b64 s[0:1], 0
	v_cndmask_b32_e64 v3, 0, 1, vcc
	global_store_byte v[0:1], v3, off
.LBB96_102:
	s_branch .LBB96_20
.LBB96_103:
	s_and_b32 s18, 0xffff, s24
	s_cmp_lt_i32 s18, 5
	s_mov_b64 s[12:13], -1
	s_cbranch_scc1 .LBB96_124
; %bb.104:
	s_cmp_lt_i32 s18, 8
	s_cbranch_scc1 .LBB96_114
; %bb.105:
	s_cmp_lt_i32 s18, 9
	s_cbranch_scc1 .LBB96_111
; %bb.106:
	s_cmp_gt_i32 s18, 9
	s_cbranch_scc0 .LBB96_108
; %bb.107:
	v_cvt_f32_f16_e32 v3, v2
	v_mov_b32_e32 v8, 0
	v_mov_b32_e32 v9, v8
	s_mov_b64 s[12:13], 0
	v_cvt_f64_f32_e32 v[6:7], v3
	global_store_dwordx4 v[0:1], v[6:9], off
.LBB96_108:
	s_andn2_b64 vcc, exec, s[12:13]
	s_cbranch_vccnz .LBB96_110
; %bb.109:
	v_cvt_f32_f16_e32 v6, v2
	v_mov_b32_e32 v7, 0
	global_store_dwordx2 v[0:1], v[6:7], off
.LBB96_110:
	s_mov_b64 s[12:13], 0
.LBB96_111:
	s_andn2_b64 vcc, exec, s[12:13]
	s_cbranch_vccnz .LBB96_113
; %bb.112:
	global_store_dword v[0:1], v2, off
.LBB96_113:
	s_mov_b64 s[12:13], 0
.LBB96_114:
	s_andn2_b64 vcc, exec, s[12:13]
	s_cbranch_vccnz .LBB96_123
; %bb.115:
	s_cmp_lt_i32 s18, 6
	s_mov_b64 s[12:13], -1
	s_cbranch_scc1 .LBB96_121
; %bb.116:
	s_cmp_gt_i32 s18, 6
	s_cbranch_scc0 .LBB96_118
; %bb.117:
	v_cvt_f32_f16_e32 v3, v2
	s_mov_b64 s[12:13], 0
	v_cvt_f64_f32_e32 v[6:7], v3
	global_store_dwordx2 v[0:1], v[6:7], off
.LBB96_118:
	s_andn2_b64 vcc, exec, s[12:13]
	s_cbranch_vccnz .LBB96_120
; %bb.119:
	v_cvt_f32_f16_e32 v3, v2
	global_store_dword v[0:1], v3, off
.LBB96_120:
	s_mov_b64 s[12:13], 0
.LBB96_121:
	s_andn2_b64 vcc, exec, s[12:13]
	s_cbranch_vccnz .LBB96_123
; %bb.122:
	global_store_short v[0:1], v2, off
.LBB96_123:
	s_mov_b64 s[12:13], 0
.LBB96_124:
	s_andn2_b64 vcc, exec, s[12:13]
	s_cbranch_vccnz .LBB96_140
; %bb.125:
	s_cmp_lt_i32 s18, 2
	s_mov_b64 s[12:13], -1
	s_cbranch_scc1 .LBB96_135
; %bb.126:
	s_cmp_lt_i32 s18, 3
	s_cbranch_scc1 .LBB96_132
; %bb.127:
	s_cmp_gt_i32 s18, 3
	s_cbranch_scc0 .LBB96_129
; %bb.128:
	v_cvt_f32_f16_e32 v3, v2
	s_mov_b64 s[12:13], 0
	v_cvt_i32_f32_e32 v6, v3
	v_ashrrev_i32_e32 v7, 31, v6
	global_store_dwordx2 v[0:1], v[6:7], off
.LBB96_129:
	s_andn2_b64 vcc, exec, s[12:13]
	s_cbranch_vccnz .LBB96_131
; %bb.130:
	v_cvt_f32_f16_e32 v3, v2
	v_cvt_i32_f32_e32 v3, v3
	global_store_dword v[0:1], v3, off
.LBB96_131:
	s_mov_b64 s[12:13], 0
.LBB96_132:
	s_andn2_b64 vcc, exec, s[12:13]
	s_cbranch_vccnz .LBB96_134
; %bb.133:
	v_cvt_i16_f16_e32 v3, v2
	global_store_short v[0:1], v3, off
.LBB96_134:
	s_mov_b64 s[12:13], 0
.LBB96_135:
	s_andn2_b64 vcc, exec, s[12:13]
	s_cbranch_vccnz .LBB96_140
; %bb.136:
	s_cmp_gt_i32 s18, 0
	s_mov_b64 s[12:13], -1
	s_cbranch_scc0 .LBB96_138
; %bb.137:
	v_cvt_i16_f16_e32 v3, v2
	global_store_byte v[0:1], v3, off
	s_mov_b64 s[12:13], 0
.LBB96_138:
	s_andn2_b64 vcc, exec, s[12:13]
	s_cbranch_vccnz .LBB96_140
; %bb.139:
	v_cvt_f32_f16_e32 v2, v2
	v_cvt_i32_f32_e32 v2, v2
	global_store_byte v[0:1], v2, off
.LBB96_140:
	s_branch .LBB96_21
.LBB96_141:
	s_mov_b64 s[18:19], 0
                                        ; implicit-def: $vgpr4
	s_branch .LBB96_251
.LBB96_142:
	s_mov_b64 s[14:15], -1
                                        ; implicit-def: $vgpr2
.LBB96_143:
	s_mov_b64 s[12:13], 0
.LBB96_144:
	s_and_b64 vcc, exec, s[12:13]
	s_cbranch_vccz .LBB96_148
; %bb.145:
	s_cmp_eq_u32 s22, 29
	s_cbranch_scc0 .LBB96_147
; %bb.146:
	global_load_dwordx2 v[2:3], v[0:1], off
	s_mov_b64 s[0:1], -1
	s_mov_b64 s[14:15], 0
	s_mov_b64 s[12:13], 0
	s_waitcnt vmcnt(0)
	v_ffbh_u32_e32 v5, v3
	v_min_u32_e32 v5, 32, v5
	v_lshlrev_b64 v[2:3], v5, v[2:3]
	v_min_u32_e32 v2, 1, v2
	v_or_b32_e32 v2, v3, v2
	v_cvt_f32_u32_e32 v2, v2
	v_sub_u32_e32 v3, 32, v5
	v_ldexp_f32 v2, v2, v3
	v_cvt_f16_f32_e32 v2, v2
	s_branch .LBB96_149
.LBB96_147:
	s_mov_b64 s[14:15], -1
                                        ; implicit-def: $vgpr2
.LBB96_148:
	s_mov_b64 s[12:13], 0
.LBB96_149:
	s_and_b64 vcc, exec, s[12:13]
	s_cbranch_vccz .LBB96_167
; %bb.150:
	s_cmp_lt_i32 s22, 27
	s_cbranch_scc1 .LBB96_153
; %bb.151:
	s_cmp_gt_i32 s22, 27
	s_cbranch_scc0 .LBB96_154
; %bb.152:
	global_load_dword v2, v[0:1], off
	s_mov_b64 s[0:1], 0
	s_waitcnt vmcnt(0)
	v_cvt_f32_u32_e32 v2, v2
	v_cvt_f16_f32_e32 v2, v2
	s_branch .LBB96_155
.LBB96_153:
	s_mov_b64 s[0:1], -1
                                        ; implicit-def: $vgpr2
	s_branch .LBB96_158
.LBB96_154:
	s_mov_b64 s[0:1], -1
                                        ; implicit-def: $vgpr2
.LBB96_155:
	s_andn2_b64 vcc, exec, s[0:1]
	s_cbranch_vccnz .LBB96_157
; %bb.156:
	global_load_ushort v2, v[0:1], off
	s_waitcnt vmcnt(0)
	v_cvt_f16_u16_e32 v2, v2
.LBB96_157:
	s_mov_b64 s[0:1], 0
.LBB96_158:
	s_andn2_b64 vcc, exec, s[0:1]
	s_cbranch_vccnz .LBB96_166
; %bb.159:
	global_load_ubyte v3, v[0:1], off
	s_movk_i32 s0, 0x7f
	s_waitcnt vmcnt(0)
	v_cmp_lt_i16_e32 vcc, s0, v3
	s_mov_b64 s[0:1], 0
	s_and_saveexec_b64 s[12:13], vcc
	s_xor_b64 s[12:13], exec, s[12:13]
	s_cbranch_execz .LBB96_179
; %bb.160:
	s_movk_i32 s0, 0x80
	v_cmp_eq_u16_e32 vcc, s0, v3
	s_mov_b64 s[0:1], -1
	s_and_saveexec_b64 s[18:19], vcc
; %bb.161:
	s_xor_b64 s[0:1], exec, -1
; %bb.162:
	s_or_b64 exec, exec, s[18:19]
	s_and_b64 s[0:1], s[0:1], exec
	s_or_saveexec_b64 s[12:13], s[12:13]
	v_mov_b32_e32 v2, 0x7e00
	s_xor_b64 exec, exec, s[12:13]
	s_cbranch_execnz .LBB96_180
.LBB96_163:
	s_or_b64 exec, exec, s[12:13]
	s_and_saveexec_b64 s[12:13], s[0:1]
	s_cbranch_execz .LBB96_165
.LBB96_164:
	v_lshlrev_b32_e32 v2, 24, v3
	v_and_b32_e32 v3, 0xffff, v3
	v_and_b32_e32 v5, 7, v3
	v_ffbh_u32_e32 v7, v5
	v_min_u32_e32 v7, 32, v7
	v_subrev_u32_e32 v8, 28, v7
	v_bfe_u32 v6, v3, 3, 4
	v_lshlrev_b32_e32 v3, v8, v3
	v_sub_u32_e32 v7, 29, v7
	v_and_b32_e32 v3, 7, v3
	v_cmp_eq_u32_e32 vcc, 0, v6
	v_and_b32_e32 v2, 0x80000000, v2
	s_nop 0
	v_cndmask_b32_e32 v6, v6, v7, vcc
	v_cndmask_b32_e32 v3, v5, v3, vcc
	v_mov_b32_e32 v5, 0x3b800000
	v_lshlrev_b32_e32 v3, 20, v3
	v_lshl_add_u32 v5, v6, 23, v5
	v_or3_b32 v2, v2, v5, v3
	v_cvt_f16_f32_e32 v2, v2
.LBB96_165:
	s_or_b64 exec, exec, s[12:13]
.LBB96_166:
	s_mov_b64 s[0:1], -1
.LBB96_167:
	s_branch .LBB96_202
.LBB96_168:
	s_cmp_gt_i32 s22, 22
	s_cbranch_scc0 .LBB96_178
; %bb.169:
	s_cmp_lt_i32 s22, 24
	s_cbranch_scc1 .LBB96_181
; %bb.170:
	s_cmp_gt_i32 s22, 24
	s_cbranch_scc0 .LBB96_182
; %bb.171:
	global_load_ubyte v3, v[0:1], off
	s_movk_i32 s0, 0x7f
	s_waitcnt vmcnt(0)
	v_cmp_lt_i16_e32 vcc, s0, v3
	s_mov_b64 s[0:1], 0
	s_and_saveexec_b64 s[12:13], vcc
	s_xor_b64 s[12:13], exec, s[12:13]
	s_cbranch_execz .LBB96_194
; %bb.172:
	s_movk_i32 s0, 0x80
	v_cmp_eq_u16_e32 vcc, s0, v3
	s_mov_b64 s[0:1], -1
	s_and_saveexec_b64 s[18:19], vcc
; %bb.173:
	s_xor_b64 s[0:1], exec, -1
; %bb.174:
	s_or_b64 exec, exec, s[18:19]
	s_and_b64 s[0:1], s[0:1], exec
	s_or_saveexec_b64 s[12:13], s[12:13]
	v_mov_b32_e32 v2, 0x7e00
	s_xor_b64 exec, exec, s[12:13]
	s_cbranch_execnz .LBB96_195
.LBB96_175:
	s_or_b64 exec, exec, s[12:13]
	s_and_saveexec_b64 s[12:13], s[0:1]
	s_cbranch_execz .LBB96_177
.LBB96_176:
	v_lshlrev_b32_e32 v2, 24, v3
	v_and_b32_e32 v3, 0xffff, v3
	v_and_b32_e32 v5, 3, v3
	v_ffbh_u32_e32 v7, v5
	v_min_u32_e32 v7, 32, v7
	v_subrev_u32_e32 v8, 29, v7
	v_bfe_u32 v6, v3, 2, 5
	v_lshlrev_b32_e32 v3, v8, v3
	v_sub_u32_e32 v7, 30, v7
	v_and_b32_e32 v3, 3, v3
	v_cmp_eq_u32_e32 vcc, 0, v6
	v_and_b32_e32 v2, 0x80000000, v2
	s_nop 0
	v_cndmask_b32_e32 v6, v6, v7, vcc
	v_cndmask_b32_e32 v3, v5, v3, vcc
	v_mov_b32_e32 v5, 0x37800000
	v_lshlrev_b32_e32 v3, 21, v3
	v_lshl_add_u32 v5, v6, 23, v5
	v_or3_b32 v2, v2, v5, v3
	v_cvt_f16_f32_e32 v2, v2
.LBB96_177:
	s_or_b64 exec, exec, s[12:13]
	s_mov_b64 s[0:1], 0
	s_branch .LBB96_183
.LBB96_178:
	s_mov_b64 s[12:13], -1
                                        ; implicit-def: $vgpr2
	s_branch .LBB96_189
.LBB96_179:
	s_or_saveexec_b64 s[12:13], s[12:13]
	v_mov_b32_e32 v2, 0x7e00
	s_xor_b64 exec, exec, s[12:13]
	s_cbranch_execz .LBB96_163
.LBB96_180:
	v_cmp_ne_u16_e32 vcc, 0, v3
	s_andn2_b64 s[0:1], s[0:1], exec
	s_and_b64 s[18:19], vcc, exec
	s_or_b64 s[0:1], s[0:1], s[18:19]
	v_mov_b32_e32 v2, v3
	s_or_b64 exec, exec, s[12:13]
	s_and_saveexec_b64 s[12:13], s[0:1]
	s_cbranch_execnz .LBB96_164
	s_branch .LBB96_165
.LBB96_181:
	s_mov_b64 s[0:1], -1
                                        ; implicit-def: $vgpr2
	s_branch .LBB96_186
.LBB96_182:
	s_mov_b64 s[0:1], -1
                                        ; implicit-def: $vgpr2
.LBB96_183:
	s_and_b64 vcc, exec, s[0:1]
	s_cbranch_vccz .LBB96_185
; %bb.184:
	global_load_ubyte v2, v[0:1], off
	s_mov_b32 s0, 0x7f800000
	s_waitcnt vmcnt(0)
	v_lshlrev_b32_e32 v2, 24, v2
	v_and_b32_e32 v3, 0x7f000000, v2
	v_ffbh_u32_e32 v5, v3
	v_min_u32_e32 v5, 32, v5
	v_sub_u32_e64 v5, v5, 4 clamp
	v_lshlrev_b32_e32 v7, v5, v3
	v_lshlrev_b32_e32 v5, 23, v5
	v_lshrrev_b32_e32 v7, 4, v7
	v_add_u32_e32 v6, 0x1000000, v3
	v_sub_u32_e32 v5, v7, v5
	v_ashrrev_i32_e32 v6, 8, v6
	v_add_u32_e32 v5, 0x3c000000, v5
	v_and_or_b32 v5, v6, s0, v5
	v_cmp_ne_u32_e32 vcc, 0, v3
	s_brev_b32 s0, 1
	s_nop 0
	v_cndmask_b32_e32 v3, 0, v5, vcc
	v_and_or_b32 v2, v2, s0, v3
	v_cvt_f16_f32_e32 v2, v2
.LBB96_185:
	s_mov_b64 s[0:1], 0
.LBB96_186:
	s_andn2_b64 vcc, exec, s[0:1]
	s_cbranch_vccnz .LBB96_188
; %bb.187:
	global_load_ubyte v2, v[0:1], off
	s_movk_i32 s0, 0x7f00
	s_brev_b32 s1, 16
	s_waitcnt vmcnt(0)
	v_lshlrev_b16_e32 v3, 8, v2
	v_lshlrev_b32_e32 v2, 25, v2
	v_lshrrev_b32_e32 v5, 4, v2
	v_and_or_b32 v6, v3, s0, 0.5
	v_or_b32_e32 v5, 0x70000000, v5
	v_add_f32_e32 v6, -0.5, v6
	v_mul_f32_e32 v5, 0x7800000, v5
	v_cmp_gt_u32_e32 vcc, s1, v2
	v_bfe_i32 v3, v3, 0, 16
	s_brev_b32 s0, 1
	v_cndmask_b32_e32 v2, v5, v6, vcc
	v_and_or_b32 v2, v3, s0, v2
	v_cvt_f16_f32_e32 v2, v2
.LBB96_188:
	s_mov_b64 s[12:13], 0
	s_mov_b64 s[0:1], -1
.LBB96_189:
	s_andn2_b64 vcc, exec, s[12:13]
	s_cbranch_vccnz .LBB96_202
; %bb.190:
	s_cmp_gt_i32 s22, 14
	s_cbranch_scc0 .LBB96_193
; %bb.191:
	s_cmp_eq_u32 s22, 15
	s_cbranch_scc0 .LBB96_196
; %bb.192:
	global_load_ushort v2, v[0:1], off
	s_mov_b64 s[0:1], -1
	s_mov_b64 s[14:15], 0
	s_waitcnt vmcnt(0)
	v_lshlrev_b32_e32 v2, 16, v2
	v_cvt_f16_f32_e32 v2, v2
	s_branch .LBB96_197
.LBB96_193:
	s_mov_b64 s[12:13], -1
                                        ; implicit-def: $vgpr2
	s_branch .LBB96_198
.LBB96_194:
	s_or_saveexec_b64 s[12:13], s[12:13]
	v_mov_b32_e32 v2, 0x7e00
	s_xor_b64 exec, exec, s[12:13]
	s_cbranch_execz .LBB96_175
.LBB96_195:
	v_cmp_ne_u16_e32 vcc, 0, v3
	s_andn2_b64 s[0:1], s[0:1], exec
	s_and_b64 s[18:19], vcc, exec
	s_or_b64 s[0:1], s[0:1], s[18:19]
	v_mov_b32_e32 v2, v3
	s_or_b64 exec, exec, s[12:13]
	s_and_saveexec_b64 s[12:13], s[0:1]
	s_cbranch_execnz .LBB96_176
	s_branch .LBB96_177
.LBB96_196:
	s_mov_b64 s[14:15], -1
                                        ; implicit-def: $vgpr2
.LBB96_197:
	s_mov_b64 s[12:13], 0
.LBB96_198:
	s_and_b64 vcc, exec, s[12:13]
	s_cbranch_vccz .LBB96_202
; %bb.199:
	s_cmp_eq_u32 s22, 11
	s_cbranch_scc0 .LBB96_201
; %bb.200:
	global_load_ubyte v2, v[0:1], off
	v_mov_b32_e32 v3, 0x3c00
	s_mov_b64 s[0:1], -1
	s_mov_b64 s[14:15], 0
	s_waitcnt vmcnt(0)
	v_cmp_ne_u16_e32 vcc, 0, v2
	s_nop 1
	v_cndmask_b32_e32 v2, 0, v3, vcc
	s_branch .LBB96_202
.LBB96_201:
	s_mov_b64 s[14:15], -1
                                        ; implicit-def: $vgpr2
.LBB96_202:
	s_branch .LBB96_10
.LBB96_203:
	s_cmp_lt_i32 s22, 5
	s_cbranch_scc1 .LBB96_208
; %bb.204:
	s_cmp_lt_i32 s22, 8
	s_cbranch_scc1 .LBB96_209
; %bb.205:
	;; [unrolled: 3-line block ×3, first 2 shown]
	s_cmp_gt_i32 s22, 9
	s_cbranch_scc0 .LBB96_211
; %bb.207:
	global_load_dwordx2 v[2:3], v[0:1], off
	s_movk_i32 s0, 0x1ff
	s_movk_i32 s1, 0xffe
	v_mov_b32_e32 v5, 0x7c00
	v_mov_b32_e32 v6, 0x7e00
	s_movk_i32 s12, 0x40f
	s_mov_b32 s13, 0x8000
	s_waitcnt vmcnt(0)
	v_and_or_b32 v2, v3, s0, v2
	v_cmp_ne_u32_e32 vcc, 0, v2
	v_lshrrev_b32_e32 v7, 8, v3
	v_bfe_u32 v8, v3, 20, 11
	v_cndmask_b32_e64 v2, 0, 1, vcc
	v_sub_u32_e32 v9, 0x3f1, v8
	v_and_or_b32 v2, v7, s1, v2
	v_add_u32_e32 v8, 0xfffffc10, v8
	v_med3_i32 v7, v9, 0, 13
	v_or_b32_e32 v9, 0x1000, v2
	v_cmp_ne_u32_e32 vcc, 0, v2
	v_lshl_or_b32 v10, v8, 12, v2
	v_lshrrev_b32_e32 v3, 16, v3
	v_cndmask_b32_e32 v2, v5, v6, vcc
	v_lshrrev_b32_e32 v6, v7, v9
	v_lshlrev_b32_e32 v7, v7, v6
	v_cmp_ne_u32_e32 vcc, v7, v9
	s_mov_b64 s[0:1], 0
	s_nop 0
	v_cndmask_b32_e64 v7, 0, 1, vcc
	v_or_b32_e32 v6, v6, v7
	v_cmp_gt_i32_e32 vcc, 1, v8
	s_nop 1
	v_cndmask_b32_e32 v6, v10, v6, vcc
	v_and_b32_e32 v7, 7, v6
	v_cmp_lt_i32_e32 vcc, 5, v7
	v_lshrrev_b32_e32 v6, 2, v6
	s_nop 0
	v_cndmask_b32_e64 v9, 0, 1, vcc
	v_cmp_eq_u32_e32 vcc, 3, v7
	s_nop 1
	v_cndmask_b32_e64 v7, 0, 1, vcc
	v_or_b32_e32 v7, v7, v9
	v_add_u32_e32 v6, v6, v7
	v_cmp_gt_i32_e32 vcc, 31, v8
	s_nop 1
	v_cndmask_b32_e32 v5, v5, v6, vcc
	v_cmp_eq_u32_e32 vcc, s12, v8
	s_nop 1
	v_cndmask_b32_e32 v2, v5, v2, vcc
	v_and_or_b32 v2, v3, s13, v2
	s_branch .LBB96_212
.LBB96_208:
                                        ; implicit-def: $vgpr2
	s_branch .LBB96_230
.LBB96_209:
	s_mov_b64 s[0:1], -1
                                        ; implicit-def: $vgpr2
	s_branch .LBB96_218
.LBB96_210:
	s_mov_b64 s[0:1], -1
                                        ; implicit-def: $vgpr2
	s_branch .LBB96_215
.LBB96_211:
	s_mov_b64 s[0:1], -1
                                        ; implicit-def: $vgpr2
.LBB96_212:
	s_andn2_b64 vcc, exec, s[0:1]
	s_cbranch_vccnz .LBB96_214
; %bb.213:
	global_load_dword v2, v[0:1], off
	s_waitcnt vmcnt(0)
	v_cvt_f16_f32_e32 v2, v2
.LBB96_214:
	s_mov_b64 s[0:1], 0
.LBB96_215:
	s_andn2_b64 vcc, exec, s[0:1]
	s_cbranch_vccnz .LBB96_217
; %bb.216:
	global_load_dword v2, v[0:1], off
.LBB96_217:
	s_mov_b64 s[0:1], 0
.LBB96_218:
	s_andn2_b64 vcc, exec, s[0:1]
	s_cbranch_vccnz .LBB96_229
; %bb.219:
	s_cmp_lt_i32 s22, 6
	s_cbranch_scc1 .LBB96_222
; %bb.220:
	s_cmp_gt_i32 s22, 6
	s_cbranch_scc0 .LBB96_223
; %bb.221:
	global_load_dwordx2 v[2:3], v[0:1], off
	s_movk_i32 s0, 0x1ff
	s_movk_i32 s1, 0xffe
	v_mov_b32_e32 v5, 0x7c00
	v_mov_b32_e32 v6, 0x7e00
	s_movk_i32 s12, 0x40f
	s_mov_b32 s13, 0x8000
	s_waitcnt vmcnt(0)
	v_and_or_b32 v2, v3, s0, v2
	v_cmp_ne_u32_e32 vcc, 0, v2
	v_lshrrev_b32_e32 v7, 8, v3
	v_bfe_u32 v8, v3, 20, 11
	v_cndmask_b32_e64 v2, 0, 1, vcc
	v_sub_u32_e32 v9, 0x3f1, v8
	v_and_or_b32 v2, v7, s1, v2
	v_add_u32_e32 v8, 0xfffffc10, v8
	v_med3_i32 v7, v9, 0, 13
	v_or_b32_e32 v9, 0x1000, v2
	v_cmp_ne_u32_e32 vcc, 0, v2
	v_lshl_or_b32 v10, v8, 12, v2
	v_lshrrev_b32_e32 v3, 16, v3
	v_cndmask_b32_e32 v2, v5, v6, vcc
	v_lshrrev_b32_e32 v6, v7, v9
	v_lshlrev_b32_e32 v7, v7, v6
	v_cmp_ne_u32_e32 vcc, v7, v9
	s_mov_b64 s[0:1], 0
	s_nop 0
	v_cndmask_b32_e64 v7, 0, 1, vcc
	v_or_b32_e32 v6, v6, v7
	v_cmp_gt_i32_e32 vcc, 1, v8
	s_nop 1
	v_cndmask_b32_e32 v6, v10, v6, vcc
	v_and_b32_e32 v7, 7, v6
	v_cmp_lt_i32_e32 vcc, 5, v7
	v_lshrrev_b32_e32 v6, 2, v6
	s_nop 0
	v_cndmask_b32_e64 v9, 0, 1, vcc
	v_cmp_eq_u32_e32 vcc, 3, v7
	s_nop 1
	v_cndmask_b32_e64 v7, 0, 1, vcc
	v_or_b32_e32 v7, v7, v9
	v_add_u32_e32 v6, v6, v7
	v_cmp_gt_i32_e32 vcc, 31, v8
	s_nop 1
	v_cndmask_b32_e32 v5, v5, v6, vcc
	v_cmp_eq_u32_e32 vcc, s12, v8
	s_nop 1
	v_cndmask_b32_e32 v2, v5, v2, vcc
	v_and_or_b32 v2, v3, s13, v2
	s_branch .LBB96_224
.LBB96_222:
	s_mov_b64 s[0:1], -1
                                        ; implicit-def: $vgpr2
	s_branch .LBB96_227
.LBB96_223:
	s_mov_b64 s[0:1], -1
                                        ; implicit-def: $vgpr2
.LBB96_224:
	s_andn2_b64 vcc, exec, s[0:1]
	s_cbranch_vccnz .LBB96_226
; %bb.225:
	global_load_dword v2, v[0:1], off
	s_waitcnt vmcnt(0)
	v_cvt_f16_f32_e32 v2, v2
.LBB96_226:
	s_mov_b64 s[0:1], 0
.LBB96_227:
	s_andn2_b64 vcc, exec, s[0:1]
	s_cbranch_vccnz .LBB96_229
; %bb.228:
	global_load_ushort v2, v[0:1], off
.LBB96_229:
	s_cbranch_execnz .LBB96_249
.LBB96_230:
	s_cmp_lt_i32 s22, 2
	s_cbranch_scc1 .LBB96_234
; %bb.231:
	s_cmp_lt_i32 s22, 3
	s_cbranch_scc1 .LBB96_235
; %bb.232:
	s_cmp_gt_i32 s22, 3
	s_cbranch_scc0 .LBB96_236
; %bb.233:
	global_load_dwordx2 v[2:3], v[0:1], off
	s_mov_b64 s[0:1], 0
	s_waitcnt vmcnt(0)
	v_xor_b32_e32 v6, v2, v3
	v_ffbh_i32_e32 v5, v3
	v_ashrrev_i32_e32 v6, 31, v6
	v_add_u32_e32 v5, -1, v5
	v_add_u32_e32 v6, 32, v6
	v_min_u32_e32 v5, v5, v6
	v_lshlrev_b64 v[2:3], v5, v[2:3]
	v_min_u32_e32 v2, 1, v2
	v_or_b32_e32 v2, v3, v2
	v_cvt_f32_i32_e32 v2, v2
	v_sub_u32_e32 v3, 32, v5
	v_ldexp_f32 v2, v2, v3
	v_cvt_f16_f32_e32 v2, v2
	s_branch .LBB96_237
.LBB96_234:
	s_mov_b64 s[0:1], -1
                                        ; implicit-def: $vgpr2
	s_branch .LBB96_243
.LBB96_235:
	s_mov_b64 s[0:1], -1
                                        ; implicit-def: $vgpr2
	s_branch .LBB96_240
.LBB96_236:
	s_mov_b64 s[0:1], -1
                                        ; implicit-def: $vgpr2
.LBB96_237:
	s_andn2_b64 vcc, exec, s[0:1]
	s_cbranch_vccnz .LBB96_239
; %bb.238:
	global_load_dword v2, v[0:1], off
	s_waitcnt vmcnt(0)
	v_cvt_f32_i32_e32 v2, v2
	v_cvt_f16_f32_e32 v2, v2
.LBB96_239:
	s_mov_b64 s[0:1], 0
.LBB96_240:
	s_andn2_b64 vcc, exec, s[0:1]
	s_cbranch_vccnz .LBB96_242
; %bb.241:
	global_load_ushort v2, v[0:1], off
	s_waitcnt vmcnt(0)
	v_cvt_f16_i16_e32 v2, v2
.LBB96_242:
	s_mov_b64 s[0:1], 0
.LBB96_243:
	s_andn2_b64 vcc, exec, s[0:1]
	s_cbranch_vccnz .LBB96_249
; %bb.244:
	s_cmp_gt_i32 s22, 0
	s_cbranch_scc0 .LBB96_246
; %bb.245:
	global_load_sbyte v2, v[0:1], off
	s_mov_b64 s[0:1], 0
	s_waitcnt vmcnt(0)
	v_cvt_f16_i16_e32 v2, v2
	s_branch .LBB96_247
.LBB96_246:
	s_mov_b64 s[0:1], -1
                                        ; implicit-def: $vgpr2
.LBB96_247:
	s_andn2_b64 vcc, exec, s[0:1]
	s_cbranch_vccnz .LBB96_249
; %bb.248:
	global_load_ubyte v0, v[0:1], off
	s_waitcnt vmcnt(0)
	v_cvt_f16_u16_e32 v2, v0
.LBB96_249:
	s_branch .LBB96_11
.LBB96_250:
	s_mov_b64 s[0:1], 0
                                        ; implicit-def: $vgpr4
	s_mov_b64 s[18:19], 0
.LBB96_251:
	s_and_b64 s[12:13], s[0:1], exec
	s_and_b64 s[14:15], s[14:15], exec
	s_orn2_b64 s[18:19], s[18:19], exec
.LBB96_252:
	s_or_b64 exec, exec, s[16:17]
	s_mov_b64 s[22:23], 0
	s_mov_b64 s[0:1], 0
                                        ; implicit-def: $vgpr0_vgpr1
                                        ; implicit-def: $vgpr3
	s_and_saveexec_b64 s[16:17], s[18:19]
	s_cbranch_execz .LBB96_261
; %bb.253:
	v_cmp_gt_i32_e32 vcc, s38, v4
	s_mov_b64 s[0:1], -1
	s_mov_b64 s[18:19], s[14:15]
	s_mov_b64 s[20:21], s[12:13]
	s_and_saveexec_b64 s[22:23], vcc
	s_cbranch_execz .LBB96_513
; %bb.254:
	v_mul_lo_u32 v0, v4, s9
	v_ashrrev_i32_e32 v1, 31, v0
	s_and_b32 s26, 0xffff, s42
	s_cmp_lt_i32 s26, 11
	v_lshl_add_u64 v[0:1], s[6:7], 0, v[0:1]
	s_cbranch_scc1 .LBB96_264
; %bb.255:
	s_cmp_gt_i32 s26, 25
	s_cbranch_scc0 .LBB96_273
; %bb.256:
	s_cmp_gt_i32 s26, 28
	s_cbranch_scc0 .LBB96_275
	;; [unrolled: 3-line block ×4, first 2 shown]
; %bb.259:
	s_cmp_eq_u32 s26, 46
	s_mov_b64 s[20:21], 0
	s_cbranch_scc0 .LBB96_285
; %bb.260:
	global_load_dword v2, v[0:1], off
	s_mov_b64 s[18:19], 0
	s_waitcnt vmcnt(0)
	v_lshlrev_b32_e32 v2, 16, v2
	v_cvt_f16_f32_e32 v2, v2
	s_branch .LBB96_286
.LBB96_261:
	s_or_b64 exec, exec, s[16:17]
	s_mov_b64 s[16:17], 0
	s_and_saveexec_b64 s[18:19], s[14:15]
	s_cbranch_execnz .LBB96_859
.LBB96_262:
	s_or_b64 exec, exec, s[18:19]
	s_and_saveexec_b64 s[14:15], s[20:21]
	s_xor_b64 s[14:15], exec, s[14:15]
	s_cbranch_execz .LBB96_860
.LBB96_263:
	global_load_ubyte v2, v[0:1], off
	v_mov_b32_e32 v3, 0x3c00
	s_or_b64 s[0:1], s[0:1], exec
	s_waitcnt vmcnt(0)
	v_cmp_ne_u16_e32 vcc, 0, v2
	s_nop 1
	v_cndmask_b32_e32 v3, 0, v3, vcc
	s_or_b64 exec, exec, s[14:15]
	s_and_saveexec_b64 s[14:15], s[22:23]
	s_cbranch_execz .LBB96_906
	s_branch .LBB96_861
.LBB96_264:
	s_mov_b64 s[0:1], 0
                                        ; implicit-def: $vgpr2
	s_mov_b64 s[18:19], s[14:15]
	s_cbranch_execnz .LBB96_463
.LBB96_265:
	s_andn2_b64 vcc, exec, s[0:1]
	s_cbranch_vccnz .LBB96_511
.LBB96_266:
	s_waitcnt vmcnt(0)
	v_cvt_f32_f16_e32 v0, v2
	s_mov_b32 s0, 0x3fb8aa3b
	s_mov_b32 s1, 0x32a5705f
	s_and_b32 s28, s33, 0xff
	v_mul_f32_e32 v1, 0x3fb8aa3b, v0
	v_rndne_f32_e32 v3, v1
	v_fma_mix_f32 v5, v2, s0, -v1 op_sel_hi:[1,0,0]
	v_sub_f32_e32 v1, v1, v3
	v_fma_mix_f32 v2, v2, s1, v5 op_sel_hi:[1,0,0]
	s_mov_b32 s0, 0xc2ce8ed0
	v_add_f32_e32 v1, v1, v2
	v_cvt_i32_f32_e32 v2, v3
	v_exp_f32_e32 v1, v1
	v_cmp_ngt_f32_e32 vcc, s0, v0
	s_mov_b32 s0, 0x42b17218
	s_cmp_lt_i32 s28, 11
	v_ldexp_f32 v1, v1, v2
	v_cndmask_b32_e32 v1, 0, v1, vcc
	v_mov_b32_e32 v2, 0x7f800000
	v_cmp_nlt_f32_e32 vcc, s0, v0
	s_nop 1
	v_cndmask_b32_e32 v0, v2, v1, vcc
	v_cvt_f16_f32_e32 v2, v0
	v_mul_lo_u32 v0, v4, s8
	v_ashrrev_i32_e32 v1, 31, v0
	v_lshl_add_u64 v[0:1], s[4:5], 0, v[0:1]
	s_cbranch_scc1 .LBB96_274
; %bb.267:
	s_and_b32 s29, 0xffff, s28
	s_cmp_gt_i32 s29, 25
	s_cbranch_scc0 .LBB96_276
; %bb.268:
	s_cmp_gt_i32 s29, 28
	s_cbranch_scc0 .LBB96_278
; %bb.269:
	;; [unrolled: 3-line block ×4, first 2 shown]
	s_mov_b64 s[24:25], 0
	s_mov_b64 s[0:1], -1
	s_cmp_eq_u32 s29, 46
	s_mov_b64 s[20:21], 0
	s_cbranch_scc0 .LBB96_290
; %bb.272:
	v_cvt_f32_f16_e32 v3, v2
	s_movk_i32 s0, 0x7fff
	v_cmp_o_f16_e32 vcc, v2, v2
	v_mov_b32_e32 v5, 0x7fc0
	v_bfe_u32 v6, v3, 16, 1
	v_add3_u32 v3, v3, v6, s0
	v_cndmask_b32_sdwa v3, v5, v3, vcc dst_sel:DWORD dst_unused:UNUSED_PAD src0_sel:DWORD src1_sel:WORD_1
	global_store_dword v[0:1], v3, off
	s_mov_b64 s[20:21], -1
	s_mov_b64 s[0:1], 0
	s_branch .LBB96_290
.LBB96_273:
	s_mov_b64 s[20:21], -1
	s_mov_b64 s[0:1], 0
	s_mov_b64 s[18:19], s[14:15]
                                        ; implicit-def: $vgpr2
	s_branch .LBB96_427
.LBB96_274:
	s_mov_b64 s[24:25], -1
	s_mov_b64 s[20:21], 0
	s_mov_b64 s[0:1], s[12:13]
	s_branch .LBB96_359
.LBB96_275:
	s_mov_b64 s[20:21], -1
	s_mov_b64 s[0:1], 0
	s_mov_b64 s[18:19], s[14:15]
                                        ; implicit-def: $vgpr2
	s_branch .LBB96_408
.LBB96_276:
	s_mov_b64 s[24:25], -1
	s_mov_b64 s[20:21], 0
	s_mov_b64 s[0:1], s[12:13]
	s_branch .LBB96_317
.LBB96_277:
	s_mov_b64 s[20:21], -1
	s_mov_b64 s[0:1], 0
	s_mov_b64 s[18:19], s[14:15]
                                        ; implicit-def: $vgpr2
	s_branch .LBB96_403
.LBB96_278:
	s_mov_b64 s[24:25], -1
	s_mov_b64 s[20:21], 0
	s_mov_b64 s[0:1], s[12:13]
	s_branch .LBB96_300
.LBB96_279:
	s_andn2_saveexec_b64 s[22:23], s[22:23]
	s_cbranch_execz .LBB96_55
.LBB96_280:
	s_mov_b32 s26, 0x46000000
	v_add_f32_e64 v5, |v3|, s26
	v_and_b32_e32 v5, 0xff, v5
	v_cmp_ne_u32_e32 vcc, 0, v5
	s_andn2_b64 s[18:19], s[18:19], exec
	s_and_b64 s[26:27], vcc, exec
	s_or_b64 s[18:19], s[18:19], s[26:27]
	s_or_b64 exec, exec, s[22:23]
	v_mov_b32_e32 v6, 0
	s_and_saveexec_b64 s[22:23], s[18:19]
	s_cbranch_execnz .LBB96_56
	s_branch .LBB96_57
.LBB96_281:
	s_mov_b64 s[20:21], -1
	s_mov_b64 s[0:1], 0
	s_mov_b64 s[18:19], s[14:15]
                                        ; implicit-def: $vgpr2
	s_branch .LBB96_286
.LBB96_282:
	s_mov_b64 s[24:25], -1
	s_mov_b64 s[20:21], 0
	s_mov_b64 s[0:1], s[12:13]
	s_branch .LBB96_296
.LBB96_283:
	s_andn2_saveexec_b64 s[22:23], s[22:23]
	s_cbranch_execz .LBB96_68
.LBB96_284:
	s_mov_b32 s26, 0x42800000
	v_add_f32_e64 v5, |v3|, s26
	v_and_b32_e32 v5, 0xff, v5
	v_cmp_ne_u32_e32 vcc, 0, v5
	s_andn2_b64 s[18:19], s[18:19], exec
	s_and_b64 s[26:27], vcc, exec
	s_or_b64 s[18:19], s[18:19], s[26:27]
	s_or_b64 exec, exec, s[22:23]
	v_mov_b32_e32 v6, 0
	s_and_saveexec_b64 s[22:23], s[18:19]
	s_cbranch_execnz .LBB96_69
	s_branch .LBB96_70
.LBB96_285:
	s_mov_b64 s[18:19], -1
                                        ; implicit-def: $vgpr2
	s_mov_b64 s[0:1], 0
.LBB96_286:
	s_and_b64 vcc, exec, s[20:21]
	s_cbranch_vccz .LBB96_402
; %bb.287:
	s_cmp_eq_u32 s26, 44
	s_cbranch_scc0 .LBB96_401
; %bb.288:
	global_load_ubyte v2, v[0:1], off
	s_movk_i32 s18, 0xff
	v_mov_b32_e32 v5, 0x7e00
	s_mov_b64 s[0:1], -1
	s_waitcnt vmcnt(0)
	v_lshlrev_b32_e32 v3, 23, v2
	v_cvt_f16_f32_e32 v3, v3
	v_cmp_ne_u32_e32 vcc, s18, v2
	s_mov_b64 s[18:19], 0
	s_nop 0
	v_cndmask_b32_e32 v3, v5, v3, vcc
	v_cmp_ne_u32_e32 vcc, 0, v2
	s_nop 1
	v_cndmask_b32_e32 v2, 0, v3, vcc
	s_branch .LBB96_402
.LBB96_289:
	s_mov_b64 s[24:25], -1
	s_mov_b64 s[20:21], 0
	s_mov_b64 s[0:1], s[12:13]
.LBB96_290:
	s_and_b64 vcc, exec, s[24:25]
	s_cbranch_vccz .LBB96_295
; %bb.291:
	s_cmp_eq_u32 s29, 44
	s_mov_b64 s[0:1], -1
	s_cbranch_scc0 .LBB96_295
; %bb.292:
	v_cvt_f32_f16_e32 v3, v2
	s_movk_i32 s0, 0xff
	v_mov_b32_e32 v6, 0xff
	v_bfe_u32 v5, v3, 23, 8
	v_cmp_ne_u32_e32 vcc, s0, v5
	s_and_saveexec_b64 s[20:21], vcc
; %bb.293:
	s_mov_b32 s0, 0x3fffff
	v_lshrrev_b32_e32 v6, 23, v3
	v_and_b32_e32 v7, 0x400000, v3
	v_and_or_b32 v3, v3, s0, v5
	v_cmp_ne_u32_e32 vcc, 0, v7
	v_cmp_ne_u32_e64 s[0:1], 0, v3
	s_and_b64 s[0:1], vcc, s[0:1]
	s_nop 0
	v_cndmask_b32_e64 v3, 0, 1, s[0:1]
	v_add_u32_e32 v6, v6, v3
; %bb.294:
	s_or_b64 exec, exec, s[20:21]
	s_mov_b64 s[20:21], -1
	s_mov_b64 s[0:1], 0
	global_store_byte v[0:1], v6, off
.LBB96_295:
	s_mov_b64 s[24:25], 0
.LBB96_296:
	s_and_b64 vcc, exec, s[24:25]
	s_cbranch_vccz .LBB96_299
; %bb.297:
	s_cmp_eq_u32 s29, 29
	s_mov_b64 s[0:1], -1
	s_cbranch_scc0 .LBB96_299
; %bb.298:
	v_cvt_f32_f16_e32 v3, v2
	v_mov_b32_e32 v7, 0
	s_mov_b64 s[20:21], -1
	s_mov_b64 s[0:1], 0
	v_cvt_u32_f32_e32 v6, v3
	s_mov_b64 s[24:25], 0
	global_store_dwordx2 v[0:1], v[6:7], off
	s_branch .LBB96_300
.LBB96_299:
	s_mov_b64 s[24:25], 0
.LBB96_300:
	s_and_b64 vcc, exec, s[24:25]
	s_cbranch_vccz .LBB96_316
; %bb.301:
	s_cmp_lt_i32 s29, 27
	s_mov_b64 s[20:21], -1
	s_cbranch_scc1 .LBB96_307
; %bb.302:
	s_cmp_gt_i32 s29, 27
	s_cbranch_scc0 .LBB96_304
; %bb.303:
	v_cvt_f32_f16_e32 v3, v2
	s_mov_b64 s[20:21], 0
	v_cvt_u32_f32_e32 v3, v3
	global_store_dword v[0:1], v3, off
.LBB96_304:
	s_andn2_b64 vcc, exec, s[20:21]
	s_cbranch_vccnz .LBB96_306
; %bb.305:
	v_cvt_u16_f16_e32 v3, v2
	global_store_short v[0:1], v3, off
.LBB96_306:
	s_mov_b64 s[20:21], 0
.LBB96_307:
	s_andn2_b64 vcc, exec, s[20:21]
	s_cbranch_vccnz .LBB96_315
; %bb.308:
	v_cvt_f32_f16_e32 v3, v2
	s_mov_b32 s20, 0x43800000
	v_mov_b32_e32 v6, 0x80
	v_and_b32_e32 v5, 0x7fffffff, v3
	v_cmp_gt_u32_e32 vcc, s20, v5
	s_and_saveexec_b64 s[20:21], vcc
	s_cbranch_execz .LBB96_314
; %bb.309:
	s_mov_b32 s24, 0x3bffffff
	v_cmp_lt_u32_e32 vcc, s24, v5
	s_mov_b64 s[24:25], 0
                                        ; implicit-def: $vgpr5
	s_and_saveexec_b64 s[26:27], vcc
	s_xor_b64 s[26:27], exec, s[26:27]
	s_cbranch_execz .LBB96_526
; %bb.310:
	v_bfe_u32 v5, v3, 20, 1
	s_mov_b32 s30, 0x487ffff
	v_add3_u32 v5, v3, v5, s30
	s_mov_b64 s[24:25], exec
	v_lshrrev_b32_e32 v5, 20, v5
	s_andn2_saveexec_b64 s[26:27], s[26:27]
	s_cbranch_execnz .LBB96_527
.LBB96_311:
	s_or_b64 exec, exec, s[26:27]
	v_mov_b32_e32 v6, 0
	s_and_saveexec_b64 s[26:27], s[24:25]
.LBB96_312:
	v_lshrrev_b32_e32 v3, 24, v3
	s_movk_i32 s24, 0x80
	v_and_or_b32 v6, v3, s24, v5
.LBB96_313:
	s_or_b64 exec, exec, s[26:27]
.LBB96_314:
	s_or_b64 exec, exec, s[20:21]
	global_store_byte v[0:1], v6, off
.LBB96_315:
	s_mov_b64 s[20:21], -1
.LBB96_316:
	s_mov_b64 s[24:25], 0
.LBB96_317:
	s_and_b64 vcc, exec, s[24:25]
	s_cbranch_vccz .LBB96_358
; %bb.318:
	s_cmp_gt_i32 s29, 22
	s_mov_b64 s[24:25], -1
	s_cbranch_scc0 .LBB96_350
; %bb.319:
	s_cmp_lt_i32 s29, 24
	s_mov_b64 s[20:21], -1
	s_cbranch_scc1 .LBB96_339
; %bb.320:
	s_cmp_gt_i32 s29, 24
	s_cbranch_scc0 .LBB96_328
; %bb.321:
	v_cvt_f32_f16_e32 v3, v2
	s_mov_b32 s20, 0x47800000
	v_mov_b32_e32 v6, 0x80
	v_and_b32_e32 v5, 0x7fffffff, v3
	v_cmp_gt_u32_e32 vcc, s20, v5
	s_and_saveexec_b64 s[20:21], vcc
	s_cbranch_execz .LBB96_327
; %bb.322:
	s_mov_b32 s24, 0x37ffffff
	v_cmp_lt_u32_e32 vcc, s24, v5
	s_mov_b64 s[24:25], 0
                                        ; implicit-def: $vgpr5
	s_and_saveexec_b64 s[26:27], vcc
	s_xor_b64 s[26:27], exec, s[26:27]
	s_cbranch_execz .LBB96_529
; %bb.323:
	v_bfe_u32 v5, v3, 21, 1
	s_mov_b32 s30, 0x88fffff
	v_add3_u32 v5, v3, v5, s30
	s_mov_b64 s[24:25], exec
	v_lshrrev_b32_e32 v5, 21, v5
	s_andn2_saveexec_b64 s[26:27], s[26:27]
	s_cbranch_execnz .LBB96_530
.LBB96_324:
	s_or_b64 exec, exec, s[26:27]
	v_mov_b32_e32 v6, 0
	s_and_saveexec_b64 s[26:27], s[24:25]
.LBB96_325:
	v_lshrrev_b32_e32 v3, 24, v3
	s_movk_i32 s24, 0x80
	v_and_or_b32 v6, v3, s24, v5
.LBB96_326:
	s_or_b64 exec, exec, s[26:27]
.LBB96_327:
	s_or_b64 exec, exec, s[20:21]
	s_mov_b64 s[20:21], 0
	global_store_byte v[0:1], v6, off
.LBB96_328:
	s_and_b64 vcc, exec, s[20:21]
	s_cbranch_vccz .LBB96_338
; %bb.329:
	v_cvt_f32_f16_e32 v3, v2
	s_mov_b32 s20, 0x43f00000
                                        ; implicit-def: $vgpr5
	v_and_b32_e32 v6, 0x7fffffff, v3
	v_cmp_gt_u32_e32 vcc, s20, v6
	s_and_saveexec_b64 s[20:21], vcc
	s_xor_b64 s[20:21], exec, s[20:21]
	s_cbranch_execz .LBB96_335
; %bb.330:
	s_mov_b32 s24, 0x3c7fffff
	v_cmp_lt_u32_e32 vcc, s24, v6
                                        ; implicit-def: $vgpr5
	s_and_saveexec_b64 s[24:25], vcc
	s_xor_b64 s[24:25], exec, s[24:25]
; %bb.331:
	v_bfe_u32 v5, v3, 20, 1
	s_mov_b32 s26, 0x407ffff
	v_add3_u32 v5, v3, v5, s26
	v_lshrrev_b32_e32 v6, 20, v5
	v_and_b32_e32 v5, 0xff00000, v5
	s_mov_b32 s26, 0x7f00000
	v_mov_b32_e32 v7, 0x7e
	v_cmp_ne_u32_e32 vcc, s26, v5
	s_nop 1
	v_cndmask_b32_e32 v5, v7, v6, vcc
; %bb.332:
	s_andn2_saveexec_b64 s[24:25], s[24:25]
; %bb.333:
	s_mov_b32 s26, 0x46800000
	v_add_f32_e64 v5, |v3|, s26
; %bb.334:
	s_or_b64 exec, exec, s[24:25]
                                        ; implicit-def: $vgpr6
.LBB96_335:
	s_andn2_saveexec_b64 s[20:21], s[20:21]
; %bb.336:
	s_mov_b32 s24, 0x7f800000
	v_mov_b32_e32 v5, 0x7e
	v_mov_b32_e32 v7, 0x7f
	v_cmp_lt_u32_e32 vcc, s24, v6
	s_nop 1
	v_cndmask_b32_e32 v5, v5, v7, vcc
; %bb.337:
	s_or_b64 exec, exec, s[20:21]
	v_lshrrev_b32_e32 v3, 24, v3
	s_movk_i32 s20, 0x80
	v_and_or_b32 v3, v3, s20, v5
	global_store_byte v[0:1], v3, off
.LBB96_338:
	s_mov_b64 s[20:21], 0
.LBB96_339:
	s_andn2_b64 vcc, exec, s[20:21]
	s_cbranch_vccnz .LBB96_349
; %bb.340:
	v_cvt_f32_f16_e32 v3, v2
	s_mov_b32 s20, 0x47800000
                                        ; implicit-def: $vgpr5
	v_and_b32_e32 v6, 0x7fffffff, v3
	v_cmp_gt_u32_e32 vcc, s20, v6
	s_and_saveexec_b64 s[20:21], vcc
	s_xor_b64 s[20:21], exec, s[20:21]
	s_cbranch_execz .LBB96_346
; %bb.341:
	s_mov_b32 s24, 0x387fffff
	v_cmp_lt_u32_e32 vcc, s24, v6
                                        ; implicit-def: $vgpr5
	s_and_saveexec_b64 s[24:25], vcc
	s_xor_b64 s[24:25], exec, s[24:25]
; %bb.342:
	v_bfe_u32 v5, v3, 21, 1
	s_mov_b32 s26, 0x80fffff
	v_add3_u32 v5, v3, v5, s26
	v_lshrrev_b32_e32 v5, 21, v5
; %bb.343:
	s_andn2_saveexec_b64 s[24:25], s[24:25]
; %bb.344:
	s_mov_b32 s26, 0x43000000
	v_add_f32_e64 v5, |v3|, s26
; %bb.345:
	s_or_b64 exec, exec, s[24:25]
                                        ; implicit-def: $vgpr6
.LBB96_346:
	s_andn2_saveexec_b64 s[20:21], s[20:21]
; %bb.347:
	s_mov_b32 s24, 0x7f800000
	v_mov_b32_e32 v5, 0x7c
	v_mov_b32_e32 v7, 0x7f
	v_cmp_lt_u32_e32 vcc, s24, v6
	s_nop 1
	v_cndmask_b32_e32 v5, v5, v7, vcc
; %bb.348:
	s_or_b64 exec, exec, s[20:21]
	v_lshrrev_b32_e32 v3, 24, v3
	s_movk_i32 s20, 0x80
	v_and_or_b32 v3, v3, s20, v5
	global_store_byte v[0:1], v3, off
.LBB96_349:
	s_mov_b64 s[24:25], 0
	s_mov_b64 s[20:21], -1
.LBB96_350:
	s_andn2_b64 vcc, exec, s[24:25]
	s_cbranch_vccnz .LBB96_358
; %bb.351:
	s_cmp_gt_i32 s29, 14
	s_mov_b64 s[24:25], -1
	s_cbranch_scc0 .LBB96_355
; %bb.352:
	s_cmp_eq_u32 s29, 15
	s_mov_b64 s[0:1], -1
	s_cbranch_scc0 .LBB96_354
; %bb.353:
	v_cvt_f32_f16_e32 v3, v2
	s_movk_i32 s0, 0x7fff
	v_cmp_o_f16_e32 vcc, v2, v2
	v_mov_b32_e32 v5, 0x7fc0
	v_bfe_u32 v6, v3, 16, 1
	v_add3_u32 v3, v3, v6, s0
	v_cndmask_b32_sdwa v3, v5, v3, vcc dst_sel:DWORD dst_unused:UNUSED_PAD src0_sel:DWORD src1_sel:WORD_1
	global_store_short v[0:1], v3, off
	s_mov_b64 s[20:21], -1
	s_mov_b64 s[0:1], 0
.LBB96_354:
	s_mov_b64 s[24:25], 0
.LBB96_355:
	s_and_b64 vcc, exec, s[24:25]
	s_cbranch_vccz .LBB96_358
; %bb.356:
	s_cmp_eq_u32 s29, 11
	s_mov_b64 s[0:1], -1
	s_cbranch_scc0 .LBB96_358
; %bb.357:
	v_cmp_neq_f16_e32 vcc, 0, v2
	s_mov_b64 s[20:21], -1
	s_mov_b64 s[0:1], 0
	v_cndmask_b32_e64 v3, 0, 1, vcc
	global_store_byte v[0:1], v3, off
.LBB96_358:
	s_mov_b64 s[24:25], 0
.LBB96_359:
	s_and_b64 vcc, exec, s[24:25]
	s_cbranch_vccz .LBB96_398
; %bb.360:
	s_and_b32 s24, 0xffff, s28
	s_cmp_lt_i32 s24, 5
	s_mov_b64 s[20:21], -1
	s_cbranch_scc1 .LBB96_381
; %bb.361:
	s_cmp_lt_i32 s24, 8
	s_cbranch_scc1 .LBB96_371
; %bb.362:
	s_cmp_lt_i32 s24, 9
	s_cbranch_scc1 .LBB96_368
; %bb.363:
	s_cmp_gt_i32 s24, 9
	s_cbranch_scc0 .LBB96_365
; %bb.364:
	v_cvt_f32_f16_e32 v3, v2
	v_mov_b32_e32 v8, 0
	v_mov_b32_e32 v9, v8
	s_mov_b64 s[20:21], 0
	v_cvt_f64_f32_e32 v[6:7], v3
	global_store_dwordx4 v[0:1], v[6:9], off
.LBB96_365:
	s_andn2_b64 vcc, exec, s[20:21]
	s_cbranch_vccnz .LBB96_367
; %bb.366:
	v_cvt_f32_f16_e32 v6, v2
	v_mov_b32_e32 v7, 0
	global_store_dwordx2 v[0:1], v[6:7], off
.LBB96_367:
	s_mov_b64 s[20:21], 0
.LBB96_368:
	s_andn2_b64 vcc, exec, s[20:21]
	s_cbranch_vccnz .LBB96_370
; %bb.369:
	global_store_dword v[0:1], v2, off
.LBB96_370:
	s_mov_b64 s[20:21], 0
.LBB96_371:
	s_andn2_b64 vcc, exec, s[20:21]
	s_cbranch_vccnz .LBB96_380
; %bb.372:
	s_cmp_lt_i32 s24, 6
	s_mov_b64 s[20:21], -1
	s_cbranch_scc1 .LBB96_378
; %bb.373:
	s_cmp_gt_i32 s24, 6
	s_cbranch_scc0 .LBB96_375
; %bb.374:
	v_cvt_f32_f16_e32 v3, v2
	s_mov_b64 s[20:21], 0
	v_cvt_f64_f32_e32 v[6:7], v3
	global_store_dwordx2 v[0:1], v[6:7], off
.LBB96_375:
	s_andn2_b64 vcc, exec, s[20:21]
	s_cbranch_vccnz .LBB96_377
; %bb.376:
	v_cvt_f32_f16_e32 v3, v2
	global_store_dword v[0:1], v3, off
.LBB96_377:
	s_mov_b64 s[20:21], 0
.LBB96_378:
	s_andn2_b64 vcc, exec, s[20:21]
	s_cbranch_vccnz .LBB96_380
; %bb.379:
	global_store_short v[0:1], v2, off
.LBB96_380:
	s_mov_b64 s[20:21], 0
.LBB96_381:
	s_andn2_b64 vcc, exec, s[20:21]
	s_cbranch_vccnz .LBB96_397
; %bb.382:
	s_cmp_lt_i32 s24, 2
	s_mov_b64 s[20:21], -1
	s_cbranch_scc1 .LBB96_392
; %bb.383:
	s_cmp_lt_i32 s24, 3
	s_cbranch_scc1 .LBB96_389
; %bb.384:
	s_cmp_gt_i32 s24, 3
	s_cbranch_scc0 .LBB96_386
; %bb.385:
	v_cvt_f32_f16_e32 v3, v2
	s_mov_b64 s[20:21], 0
	v_cvt_i32_f32_e32 v6, v3
	v_ashrrev_i32_e32 v7, 31, v6
	global_store_dwordx2 v[0:1], v[6:7], off
.LBB96_386:
	s_andn2_b64 vcc, exec, s[20:21]
	s_cbranch_vccnz .LBB96_388
; %bb.387:
	v_cvt_f32_f16_e32 v3, v2
	v_cvt_i32_f32_e32 v3, v3
	global_store_dword v[0:1], v3, off
.LBB96_388:
	s_mov_b64 s[20:21], 0
.LBB96_389:
	s_andn2_b64 vcc, exec, s[20:21]
	s_cbranch_vccnz .LBB96_391
; %bb.390:
	v_cvt_i16_f16_e32 v3, v2
	global_store_short v[0:1], v3, off
.LBB96_391:
	s_mov_b64 s[20:21], 0
.LBB96_392:
	s_andn2_b64 vcc, exec, s[20:21]
	s_cbranch_vccnz .LBB96_397
; %bb.393:
	s_cmp_gt_i32 s24, 0
	s_mov_b64 s[20:21], -1
	s_cbranch_scc0 .LBB96_395
; %bb.394:
	v_cvt_i16_f16_e32 v3, v2
	s_mov_b64 s[20:21], 0
	global_store_byte v[0:1], v3, off
.LBB96_395:
	s_andn2_b64 vcc, exec, s[20:21]
	s_cbranch_vccnz .LBB96_397
; %bb.396:
	v_cvt_f32_f16_e32 v2, v2
	v_cvt_i32_f32_e32 v2, v2
	global_store_byte v[0:1], v2, off
.LBB96_397:
	s_mov_b64 s[20:21], -1
.LBB96_398:
	s_andn2_b64 vcc, exec, s[20:21]
	s_cbranch_vccnz .LBB96_400
; %bb.399:
	v_add_u32_e32 v4, 0x80, v4
	s_mov_b64 s[24:25], -1
	s_branch .LBB96_512
.LBB96_400:
	s_mov_b64 s[24:25], 0
                                        ; implicit-def: $vgpr4
	s_branch .LBB96_512
.LBB96_401:
	s_mov_b64 s[18:19], -1
                                        ; implicit-def: $vgpr2
.LBB96_402:
	s_mov_b64 s[20:21], 0
.LBB96_403:
	s_and_b64 vcc, exec, s[20:21]
	s_cbranch_vccz .LBB96_407
; %bb.404:
	s_cmp_eq_u32 s26, 29
	s_cbranch_scc0 .LBB96_406
; %bb.405:
	global_load_dwordx2 v[2:3], v[0:1], off
	s_mov_b64 s[0:1], -1
	s_mov_b64 s[18:19], 0
	s_mov_b64 s[20:21], 0
	s_waitcnt vmcnt(0)
	v_ffbh_u32_e32 v5, v3
	v_min_u32_e32 v5, 32, v5
	v_lshlrev_b64 v[2:3], v5, v[2:3]
	v_min_u32_e32 v2, 1, v2
	v_or_b32_e32 v2, v3, v2
	v_cvt_f32_u32_e32 v2, v2
	v_sub_u32_e32 v3, 32, v5
	v_ldexp_f32 v2, v2, v3
	v_cvt_f16_f32_e32 v2, v2
	s_branch .LBB96_408
.LBB96_406:
	s_mov_b64 s[18:19], -1
                                        ; implicit-def: $vgpr2
.LBB96_407:
	s_mov_b64 s[20:21], 0
.LBB96_408:
	s_and_b64 vcc, exec, s[20:21]
	s_cbranch_vccz .LBB96_426
; %bb.409:
	s_cmp_lt_i32 s26, 27
	s_cbranch_scc1 .LBB96_412
; %bb.410:
	s_cmp_gt_i32 s26, 27
	s_cbranch_scc0 .LBB96_413
; %bb.411:
	global_load_dword v2, v[0:1], off
	s_mov_b64 s[0:1], 0
	s_waitcnt vmcnt(0)
	v_cvt_f32_u32_e32 v2, v2
	v_cvt_f16_f32_e32 v2, v2
	s_branch .LBB96_414
.LBB96_412:
	s_mov_b64 s[0:1], -1
                                        ; implicit-def: $vgpr2
	s_branch .LBB96_417
.LBB96_413:
	s_mov_b64 s[0:1], -1
                                        ; implicit-def: $vgpr2
.LBB96_414:
	s_andn2_b64 vcc, exec, s[0:1]
	s_cbranch_vccnz .LBB96_416
; %bb.415:
	global_load_ushort v2, v[0:1], off
	s_waitcnt vmcnt(0)
	v_cvt_f16_u16_e32 v2, v2
.LBB96_416:
	s_mov_b64 s[0:1], 0
.LBB96_417:
	s_andn2_b64 vcc, exec, s[0:1]
	s_cbranch_vccnz .LBB96_425
; %bb.418:
	global_load_ubyte v3, v[0:1], off
	s_movk_i32 s0, 0x7f
	s_waitcnt vmcnt(0)
	v_cmp_lt_i16_e32 vcc, s0, v3
	s_mov_b64 s[0:1], 0
	s_and_saveexec_b64 s[20:21], vcc
	s_xor_b64 s[20:21], exec, s[20:21]
	s_cbranch_execz .LBB96_439
; %bb.419:
	s_movk_i32 s0, 0x80
	v_cmp_eq_u16_e32 vcc, s0, v3
	s_mov_b64 s[0:1], -1
	s_and_saveexec_b64 s[24:25], vcc
; %bb.420:
	s_xor_b64 s[0:1], exec, -1
; %bb.421:
	s_or_b64 exec, exec, s[24:25]
	s_and_b64 s[0:1], s[0:1], exec
	s_or_saveexec_b64 s[20:21], s[20:21]
	v_mov_b32_e32 v2, 0x7e00
	s_xor_b64 exec, exec, s[20:21]
	s_cbranch_execnz .LBB96_440
.LBB96_422:
	s_or_b64 exec, exec, s[20:21]
	s_and_saveexec_b64 s[20:21], s[0:1]
	s_cbranch_execz .LBB96_424
.LBB96_423:
	v_lshlrev_b32_e32 v2, 24, v3
	v_and_b32_e32 v3, 0xffff, v3
	v_and_b32_e32 v5, 7, v3
	v_ffbh_u32_e32 v7, v5
	v_min_u32_e32 v7, 32, v7
	v_subrev_u32_e32 v8, 28, v7
	v_bfe_u32 v6, v3, 3, 4
	v_lshlrev_b32_e32 v3, v8, v3
	v_sub_u32_e32 v7, 29, v7
	v_and_b32_e32 v3, 7, v3
	v_cmp_eq_u32_e32 vcc, 0, v6
	v_and_b32_e32 v2, 0x80000000, v2
	s_nop 0
	v_cndmask_b32_e32 v6, v6, v7, vcc
	v_cndmask_b32_e32 v3, v5, v3, vcc
	v_mov_b32_e32 v5, 0x3b800000
	v_lshlrev_b32_e32 v3, 20, v3
	v_lshl_add_u32 v5, v6, 23, v5
	v_or3_b32 v2, v2, v5, v3
	v_cvt_f16_f32_e32 v2, v2
.LBB96_424:
	s_or_b64 exec, exec, s[20:21]
.LBB96_425:
	s_mov_b64 s[0:1], -1
.LBB96_426:
	s_mov_b64 s[20:21], 0
.LBB96_427:
	s_and_b64 vcc, exec, s[20:21]
	s_cbranch_vccz .LBB96_462
; %bb.428:
	s_cmp_gt_i32 s26, 22
	s_cbranch_scc0 .LBB96_438
; %bb.429:
	s_cmp_lt_i32 s26, 24
	s_cbranch_scc1 .LBB96_441
; %bb.430:
	s_cmp_gt_i32 s26, 24
	s_cbranch_scc0 .LBB96_442
; %bb.431:
	global_load_ubyte v3, v[0:1], off
	s_movk_i32 s0, 0x7f
	s_waitcnt vmcnt(0)
	v_cmp_lt_i16_e32 vcc, s0, v3
	s_mov_b64 s[0:1], 0
	s_and_saveexec_b64 s[20:21], vcc
	s_xor_b64 s[20:21], exec, s[20:21]
	s_cbranch_execz .LBB96_454
; %bb.432:
	s_movk_i32 s0, 0x80
	v_cmp_eq_u16_e32 vcc, s0, v3
	s_mov_b64 s[0:1], -1
	s_and_saveexec_b64 s[24:25], vcc
; %bb.433:
	s_xor_b64 s[0:1], exec, -1
; %bb.434:
	s_or_b64 exec, exec, s[24:25]
	s_and_b64 s[0:1], s[0:1], exec
	s_or_saveexec_b64 s[20:21], s[20:21]
	v_mov_b32_e32 v2, 0x7e00
	s_xor_b64 exec, exec, s[20:21]
	s_cbranch_execnz .LBB96_455
.LBB96_435:
	s_or_b64 exec, exec, s[20:21]
	s_and_saveexec_b64 s[20:21], s[0:1]
	s_cbranch_execz .LBB96_437
.LBB96_436:
	v_lshlrev_b32_e32 v2, 24, v3
	v_and_b32_e32 v3, 0xffff, v3
	v_and_b32_e32 v5, 3, v3
	v_ffbh_u32_e32 v7, v5
	v_min_u32_e32 v7, 32, v7
	v_subrev_u32_e32 v8, 29, v7
	v_bfe_u32 v6, v3, 2, 5
	v_lshlrev_b32_e32 v3, v8, v3
	v_sub_u32_e32 v7, 30, v7
	v_and_b32_e32 v3, 3, v3
	v_cmp_eq_u32_e32 vcc, 0, v6
	v_and_b32_e32 v2, 0x80000000, v2
	s_nop 0
	v_cndmask_b32_e32 v6, v6, v7, vcc
	v_cndmask_b32_e32 v3, v5, v3, vcc
	v_mov_b32_e32 v5, 0x37800000
	v_lshlrev_b32_e32 v3, 21, v3
	v_lshl_add_u32 v5, v6, 23, v5
	v_or3_b32 v2, v2, v5, v3
	v_cvt_f16_f32_e32 v2, v2
.LBB96_437:
	s_or_b64 exec, exec, s[20:21]
	s_mov_b64 s[0:1], 0
	s_branch .LBB96_443
.LBB96_438:
	s_mov_b64 s[20:21], -1
                                        ; implicit-def: $vgpr2
	s_branch .LBB96_449
.LBB96_439:
	s_or_saveexec_b64 s[20:21], s[20:21]
	v_mov_b32_e32 v2, 0x7e00
	s_xor_b64 exec, exec, s[20:21]
	s_cbranch_execz .LBB96_422
.LBB96_440:
	v_cmp_ne_u16_e32 vcc, 0, v3
	s_andn2_b64 s[0:1], s[0:1], exec
	s_and_b64 s[24:25], vcc, exec
	s_or_b64 s[0:1], s[0:1], s[24:25]
	v_mov_b32_e32 v2, v3
	s_or_b64 exec, exec, s[20:21]
	s_and_saveexec_b64 s[20:21], s[0:1]
	s_cbranch_execnz .LBB96_423
	s_branch .LBB96_424
.LBB96_441:
	s_mov_b64 s[0:1], -1
                                        ; implicit-def: $vgpr2
	s_branch .LBB96_446
.LBB96_442:
	s_mov_b64 s[0:1], -1
                                        ; implicit-def: $vgpr2
.LBB96_443:
	s_and_b64 vcc, exec, s[0:1]
	s_cbranch_vccz .LBB96_445
; %bb.444:
	global_load_ubyte v2, v[0:1], off
	s_mov_b32 s0, 0x7f800000
	s_waitcnt vmcnt(0)
	v_lshlrev_b32_e32 v2, 24, v2
	v_and_b32_e32 v3, 0x7f000000, v2
	v_ffbh_u32_e32 v5, v3
	v_min_u32_e32 v5, 32, v5
	v_sub_u32_e64 v5, v5, 4 clamp
	v_lshlrev_b32_e32 v7, v5, v3
	v_lshlrev_b32_e32 v5, 23, v5
	v_lshrrev_b32_e32 v7, 4, v7
	v_add_u32_e32 v6, 0x1000000, v3
	v_sub_u32_e32 v5, v7, v5
	v_ashrrev_i32_e32 v6, 8, v6
	v_add_u32_e32 v5, 0x3c000000, v5
	v_and_or_b32 v5, v6, s0, v5
	v_cmp_ne_u32_e32 vcc, 0, v3
	s_brev_b32 s0, 1
	s_nop 0
	v_cndmask_b32_e32 v3, 0, v5, vcc
	v_and_or_b32 v2, v2, s0, v3
	v_cvt_f16_f32_e32 v2, v2
.LBB96_445:
	s_mov_b64 s[0:1], 0
.LBB96_446:
	s_andn2_b64 vcc, exec, s[0:1]
	s_cbranch_vccnz .LBB96_448
; %bb.447:
	global_load_ubyte v2, v[0:1], off
	s_movk_i32 s0, 0x7f00
	s_brev_b32 s1, 16
	s_waitcnt vmcnt(0)
	v_lshlrev_b16_e32 v3, 8, v2
	v_lshlrev_b32_e32 v2, 25, v2
	v_lshrrev_b32_e32 v5, 4, v2
	v_and_or_b32 v6, v3, s0, 0.5
	v_or_b32_e32 v5, 0x70000000, v5
	v_add_f32_e32 v6, -0.5, v6
	v_mul_f32_e32 v5, 0x7800000, v5
	v_cmp_gt_u32_e32 vcc, s1, v2
	v_bfe_i32 v3, v3, 0, 16
	s_brev_b32 s0, 1
	v_cndmask_b32_e32 v2, v5, v6, vcc
	v_and_or_b32 v2, v3, s0, v2
	v_cvt_f16_f32_e32 v2, v2
.LBB96_448:
	s_mov_b64 s[20:21], 0
	s_mov_b64 s[0:1], -1
.LBB96_449:
	s_andn2_b64 vcc, exec, s[20:21]
	s_cbranch_vccnz .LBB96_462
; %bb.450:
	s_cmp_gt_i32 s26, 14
	s_cbranch_scc0 .LBB96_453
; %bb.451:
	s_cmp_eq_u32 s26, 15
	s_cbranch_scc0 .LBB96_456
; %bb.452:
	global_load_ushort v2, v[0:1], off
	s_mov_b64 s[0:1], -1
	s_mov_b64 s[18:19], 0
	s_waitcnt vmcnt(0)
	v_lshlrev_b32_e32 v2, 16, v2
	v_cvt_f16_f32_e32 v2, v2
	s_branch .LBB96_457
.LBB96_453:
	s_mov_b64 s[20:21], -1
                                        ; implicit-def: $vgpr2
	s_branch .LBB96_458
.LBB96_454:
	s_or_saveexec_b64 s[20:21], s[20:21]
	v_mov_b32_e32 v2, 0x7e00
	s_xor_b64 exec, exec, s[20:21]
	s_cbranch_execz .LBB96_435
.LBB96_455:
	v_cmp_ne_u16_e32 vcc, 0, v3
	s_andn2_b64 s[0:1], s[0:1], exec
	s_and_b64 s[24:25], vcc, exec
	s_or_b64 s[0:1], s[0:1], s[24:25]
	v_mov_b32_e32 v2, v3
	s_or_b64 exec, exec, s[20:21]
	s_and_saveexec_b64 s[20:21], s[0:1]
	s_cbranch_execnz .LBB96_436
	s_branch .LBB96_437
.LBB96_456:
	s_mov_b64 s[18:19], -1
                                        ; implicit-def: $vgpr2
.LBB96_457:
	s_mov_b64 s[20:21], 0
.LBB96_458:
	s_and_b64 vcc, exec, s[20:21]
	s_cbranch_vccz .LBB96_462
; %bb.459:
	s_cmp_eq_u32 s26, 11
	s_cbranch_scc0 .LBB96_461
; %bb.460:
	global_load_ubyte v2, v[0:1], off
	v_mov_b32_e32 v3, 0x3c00
	s_mov_b64 s[0:1], -1
	s_mov_b64 s[18:19], 0
	s_waitcnt vmcnt(0)
	v_cmp_ne_u16_e32 vcc, 0, v2
	s_nop 1
	v_cndmask_b32_e32 v2, 0, v3, vcc
	s_branch .LBB96_462
.LBB96_461:
	s_mov_b64 s[18:19], -1
                                        ; implicit-def: $vgpr2
.LBB96_462:
	s_branch .LBB96_265
.LBB96_463:
	s_cmp_lt_i32 s26, 5
	s_cbranch_scc1 .LBB96_468
; %bb.464:
	s_cmp_lt_i32 s26, 8
	s_cbranch_scc1 .LBB96_469
; %bb.465:
	;; [unrolled: 3-line block ×3, first 2 shown]
	s_cmp_gt_i32 s26, 9
	s_cbranch_scc0 .LBB96_471
; %bb.467:
	global_load_dwordx2 v[2:3], v[0:1], off
	s_movk_i32 s0, 0x1ff
	s_movk_i32 s1, 0xffe
	v_mov_b32_e32 v5, 0x7c00
	v_mov_b32_e32 v6, 0x7e00
	s_movk_i32 s20, 0x40f
	s_mov_b32 s21, 0x8000
	s_waitcnt vmcnt(0)
	v_and_or_b32 v2, v3, s0, v2
	v_cmp_ne_u32_e32 vcc, 0, v2
	v_lshrrev_b32_e32 v7, 8, v3
	v_bfe_u32 v8, v3, 20, 11
	v_cndmask_b32_e64 v2, 0, 1, vcc
	v_sub_u32_e32 v9, 0x3f1, v8
	v_and_or_b32 v2, v7, s1, v2
	v_add_u32_e32 v8, 0xfffffc10, v8
	v_med3_i32 v7, v9, 0, 13
	v_or_b32_e32 v9, 0x1000, v2
	v_cmp_ne_u32_e32 vcc, 0, v2
	v_lshl_or_b32 v10, v8, 12, v2
	v_lshrrev_b32_e32 v3, 16, v3
	v_cndmask_b32_e32 v2, v5, v6, vcc
	v_lshrrev_b32_e32 v6, v7, v9
	v_lshlrev_b32_e32 v7, v7, v6
	v_cmp_ne_u32_e32 vcc, v7, v9
	s_mov_b64 s[0:1], 0
	s_nop 0
	v_cndmask_b32_e64 v7, 0, 1, vcc
	v_or_b32_e32 v6, v6, v7
	v_cmp_gt_i32_e32 vcc, 1, v8
	s_nop 1
	v_cndmask_b32_e32 v6, v10, v6, vcc
	v_and_b32_e32 v7, 7, v6
	v_cmp_lt_i32_e32 vcc, 5, v7
	v_lshrrev_b32_e32 v6, 2, v6
	s_nop 0
	v_cndmask_b32_e64 v9, 0, 1, vcc
	v_cmp_eq_u32_e32 vcc, 3, v7
	s_nop 1
	v_cndmask_b32_e64 v7, 0, 1, vcc
	v_or_b32_e32 v7, v7, v9
	v_add_u32_e32 v6, v6, v7
	v_cmp_gt_i32_e32 vcc, 31, v8
	s_nop 1
	v_cndmask_b32_e32 v5, v5, v6, vcc
	v_cmp_eq_u32_e32 vcc, s20, v8
	s_nop 1
	v_cndmask_b32_e32 v2, v5, v2, vcc
	v_and_or_b32 v2, v3, s21, v2
	s_branch .LBB96_472
.LBB96_468:
	s_mov_b64 s[0:1], -1
                                        ; implicit-def: $vgpr2
	s_branch .LBB96_490
.LBB96_469:
	s_mov_b64 s[0:1], -1
                                        ; implicit-def: $vgpr2
	s_branch .LBB96_478
.LBB96_470:
	s_mov_b64 s[0:1], -1
                                        ; implicit-def: $vgpr2
	s_branch .LBB96_475
.LBB96_471:
	s_mov_b64 s[0:1], -1
                                        ; implicit-def: $vgpr2
.LBB96_472:
	s_andn2_b64 vcc, exec, s[0:1]
	s_cbranch_vccnz .LBB96_474
; %bb.473:
	global_load_dword v2, v[0:1], off
	s_waitcnt vmcnt(0)
	v_cvt_f16_f32_e32 v2, v2
.LBB96_474:
	s_mov_b64 s[0:1], 0
.LBB96_475:
	s_andn2_b64 vcc, exec, s[0:1]
	s_cbranch_vccnz .LBB96_477
; %bb.476:
	global_load_dword v2, v[0:1], off
.LBB96_477:
	s_mov_b64 s[0:1], 0
.LBB96_478:
	s_andn2_b64 vcc, exec, s[0:1]
	s_cbranch_vccnz .LBB96_489
; %bb.479:
	s_cmp_lt_i32 s26, 6
	s_cbranch_scc1 .LBB96_482
; %bb.480:
	s_cmp_gt_i32 s26, 6
	s_cbranch_scc0 .LBB96_483
; %bb.481:
	global_load_dwordx2 v[2:3], v[0:1], off
	s_movk_i32 s0, 0x1ff
	s_movk_i32 s1, 0xffe
	v_mov_b32_e32 v5, 0x7c00
	v_mov_b32_e32 v6, 0x7e00
	s_movk_i32 s20, 0x40f
	s_mov_b32 s21, 0x8000
	s_waitcnt vmcnt(0)
	v_and_or_b32 v2, v3, s0, v2
	v_cmp_ne_u32_e32 vcc, 0, v2
	v_lshrrev_b32_e32 v7, 8, v3
	v_bfe_u32 v8, v3, 20, 11
	v_cndmask_b32_e64 v2, 0, 1, vcc
	v_sub_u32_e32 v9, 0x3f1, v8
	v_and_or_b32 v2, v7, s1, v2
	v_add_u32_e32 v8, 0xfffffc10, v8
	v_med3_i32 v7, v9, 0, 13
	v_or_b32_e32 v9, 0x1000, v2
	v_cmp_ne_u32_e32 vcc, 0, v2
	v_lshl_or_b32 v10, v8, 12, v2
	v_lshrrev_b32_e32 v3, 16, v3
	v_cndmask_b32_e32 v2, v5, v6, vcc
	v_lshrrev_b32_e32 v6, v7, v9
	v_lshlrev_b32_e32 v7, v7, v6
	v_cmp_ne_u32_e32 vcc, v7, v9
	s_mov_b64 s[0:1], 0
	s_nop 0
	v_cndmask_b32_e64 v7, 0, 1, vcc
	v_or_b32_e32 v6, v6, v7
	v_cmp_gt_i32_e32 vcc, 1, v8
	s_nop 1
	v_cndmask_b32_e32 v6, v10, v6, vcc
	v_and_b32_e32 v7, 7, v6
	v_cmp_lt_i32_e32 vcc, 5, v7
	v_lshrrev_b32_e32 v6, 2, v6
	s_nop 0
	v_cndmask_b32_e64 v9, 0, 1, vcc
	v_cmp_eq_u32_e32 vcc, 3, v7
	s_nop 1
	v_cndmask_b32_e64 v7, 0, 1, vcc
	v_or_b32_e32 v7, v7, v9
	v_add_u32_e32 v6, v6, v7
	v_cmp_gt_i32_e32 vcc, 31, v8
	s_nop 1
	v_cndmask_b32_e32 v5, v5, v6, vcc
	v_cmp_eq_u32_e32 vcc, s20, v8
	s_nop 1
	v_cndmask_b32_e32 v2, v5, v2, vcc
	v_and_or_b32 v2, v3, s21, v2
	s_branch .LBB96_484
.LBB96_482:
	s_mov_b64 s[0:1], -1
                                        ; implicit-def: $vgpr2
	s_branch .LBB96_487
.LBB96_483:
	s_mov_b64 s[0:1], -1
                                        ; implicit-def: $vgpr2
.LBB96_484:
	s_andn2_b64 vcc, exec, s[0:1]
	s_cbranch_vccnz .LBB96_486
; %bb.485:
	global_load_dword v2, v[0:1], off
	s_waitcnt vmcnt(0)
	v_cvt_f16_f32_e32 v2, v2
.LBB96_486:
	s_mov_b64 s[0:1], 0
.LBB96_487:
	s_andn2_b64 vcc, exec, s[0:1]
	s_cbranch_vccnz .LBB96_489
; %bb.488:
	global_load_ushort v2, v[0:1], off
.LBB96_489:
	s_mov_b64 s[0:1], 0
.LBB96_490:
	s_andn2_b64 vcc, exec, s[0:1]
	s_cbranch_vccnz .LBB96_510
; %bb.491:
	s_cmp_lt_i32 s26, 2
	s_cbranch_scc1 .LBB96_495
; %bb.492:
	s_cmp_lt_i32 s26, 3
	s_cbranch_scc1 .LBB96_496
; %bb.493:
	s_cmp_gt_i32 s26, 3
	s_cbranch_scc0 .LBB96_497
; %bb.494:
	global_load_dwordx2 v[2:3], v[0:1], off
	s_mov_b64 s[0:1], 0
	s_waitcnt vmcnt(0)
	v_xor_b32_e32 v6, v2, v3
	v_ffbh_i32_e32 v5, v3
	v_ashrrev_i32_e32 v6, 31, v6
	v_add_u32_e32 v5, -1, v5
	v_add_u32_e32 v6, 32, v6
	v_min_u32_e32 v5, v5, v6
	v_lshlrev_b64 v[2:3], v5, v[2:3]
	v_min_u32_e32 v2, 1, v2
	v_or_b32_e32 v2, v3, v2
	v_cvt_f32_i32_e32 v2, v2
	v_sub_u32_e32 v3, 32, v5
	v_ldexp_f32 v2, v2, v3
	v_cvt_f16_f32_e32 v2, v2
	s_branch .LBB96_498
.LBB96_495:
	s_mov_b64 s[0:1], -1
                                        ; implicit-def: $vgpr2
	s_branch .LBB96_504
.LBB96_496:
	s_mov_b64 s[0:1], -1
                                        ; implicit-def: $vgpr2
	s_branch .LBB96_501
.LBB96_497:
	s_mov_b64 s[0:1], -1
                                        ; implicit-def: $vgpr2
.LBB96_498:
	s_andn2_b64 vcc, exec, s[0:1]
	s_cbranch_vccnz .LBB96_500
; %bb.499:
	global_load_dword v2, v[0:1], off
	s_waitcnt vmcnt(0)
	v_cvt_f32_i32_e32 v2, v2
	v_cvt_f16_f32_e32 v2, v2
.LBB96_500:
	s_mov_b64 s[0:1], 0
.LBB96_501:
	s_andn2_b64 vcc, exec, s[0:1]
	s_cbranch_vccnz .LBB96_503
; %bb.502:
	global_load_ushort v2, v[0:1], off
	s_waitcnt vmcnt(0)
	v_cvt_f16_i16_e32 v2, v2
.LBB96_503:
	s_mov_b64 s[0:1], 0
.LBB96_504:
	s_andn2_b64 vcc, exec, s[0:1]
	s_cbranch_vccnz .LBB96_510
; %bb.505:
	s_cmp_gt_i32 s26, 0
	s_cbranch_scc0 .LBB96_507
; %bb.506:
	global_load_sbyte v2, v[0:1], off
	s_mov_b64 s[0:1], 0
	s_waitcnt vmcnt(0)
	v_cvt_f16_i16_e32 v2, v2
	s_branch .LBB96_508
.LBB96_507:
	s_mov_b64 s[0:1], -1
                                        ; implicit-def: $vgpr2
.LBB96_508:
	s_andn2_b64 vcc, exec, s[0:1]
	s_cbranch_vccnz .LBB96_510
; %bb.509:
	global_load_ubyte v0, v[0:1], off
	s_waitcnt vmcnt(0)
	v_cvt_f16_u16_e32 v2, v0
.LBB96_510:
	s_branch .LBB96_266
.LBB96_511:
	s_mov_b64 s[24:25], 0
                                        ; implicit-def: $vgpr4
	s_mov_b64 s[0:1], s[12:13]
.LBB96_512:
	s_andn2_b64 s[20:21], s[12:13], exec
	s_and_b64 s[0:1], s[0:1], exec
	s_or_b64 s[20:21], s[20:21], s[0:1]
	s_andn2_b64 s[0:1], s[14:15], exec
	s_and_b64 s[18:19], s[18:19], exec
	s_or_b64 s[18:19], s[0:1], s[18:19]
	s_orn2_b64 s[0:1], s[24:25], exec
.LBB96_513:
	s_or_b64 exec, exec, s[22:23]
	s_mov_b64 s[24:25], 0
	s_mov_b64 s[26:27], 0
	;; [unrolled: 1-line block ×3, first 2 shown]
                                        ; implicit-def: $vgpr0_vgpr1
                                        ; implicit-def: $vgpr3
	s_and_saveexec_b64 s[22:23], s[0:1]
	s_cbranch_execz .LBB96_858
; %bb.514:
	v_cmp_gt_i32_e32 vcc, s38, v4
	s_mov_b64 s[34:35], -1
	s_mov_b64 s[0:1], s[18:19]
	s_mov_b64 s[28:29], s[20:21]
	s_and_saveexec_b64 s[24:25], vcc
	s_cbranch_execz .LBB96_772
; %bb.515:
	v_mul_lo_u32 v0, v4, s9
	v_ashrrev_i32_e32 v1, 31, v0
	s_and_b32 s34, 0xffff, s42
	s_cmp_lt_i32 s34, 11
	v_lshl_add_u64 v[0:1], s[6:7], 0, v[0:1]
	s_cbranch_scc1 .LBB96_522
; %bb.516:
	s_cmp_gt_i32 s34, 25
	s_cbranch_scc0 .LBB96_523
; %bb.517:
	s_cmp_gt_i32 s34, 28
	s_cbranch_scc0 .LBB96_524
	;; [unrolled: 3-line block ×4, first 2 shown]
; %bb.520:
	s_cmp_eq_u32 s34, 46
	s_mov_b64 s[28:29], 0
	s_cbranch_scc0 .LBB96_531
; %bb.521:
	global_load_dword v2, v[0:1], off
	s_mov_b64 s[0:1], -1
	s_waitcnt vmcnt(0)
	v_lshlrev_b32_e32 v2, 16, v2
	v_cvt_f16_f32_e32 v2, v2
	s_branch .LBB96_532
.LBB96_522:
	s_mov_b64 s[28:29], -1
	s_mov_b64 s[0:1], 0
                                        ; implicit-def: $vgpr2
	s_mov_b64 s[26:27], s[18:19]
	s_branch .LBB96_597
.LBB96_523:
	s_mov_b64 s[28:29], -1
	s_mov_b64 s[0:1], 0
	s_mov_b64 s[26:27], s[18:19]
                                        ; implicit-def: $vgpr2
	s_branch .LBB96_561
.LBB96_524:
	s_mov_b64 s[28:29], -1
	s_mov_b64 s[0:1], 0
	s_mov_b64 s[26:27], s[18:19]
                                        ; implicit-def: $vgpr2
	s_branch .LBB96_542
.LBB96_525:
	s_mov_b64 s[28:29], -1
	s_mov_b64 s[0:1], 0
	s_mov_b64 s[26:27], s[18:19]
                                        ; implicit-def: $vgpr2
	s_branch .LBB96_537
.LBB96_526:
	s_andn2_saveexec_b64 s[26:27], s[26:27]
	s_cbranch_execz .LBB96_311
.LBB96_527:
	s_mov_b32 s30, 0x46000000
	v_add_f32_e64 v5, |v3|, s30
	v_and_b32_e32 v5, 0xff, v5
	v_cmp_ne_u32_e32 vcc, 0, v5
	s_andn2_b64 s[24:25], s[24:25], exec
	s_and_b64 s[30:31], vcc, exec
	s_or_b64 s[24:25], s[24:25], s[30:31]
	s_or_b64 exec, exec, s[26:27]
	v_mov_b32_e32 v6, 0
	s_and_saveexec_b64 s[26:27], s[24:25]
	s_cbranch_execnz .LBB96_312
	s_branch .LBB96_313
.LBB96_528:
	s_mov_b64 s[28:29], -1
	s_mov_b64 s[0:1], 0
	s_mov_b64 s[26:27], s[18:19]
                                        ; implicit-def: $vgpr2
	s_branch .LBB96_532
.LBB96_529:
	s_andn2_saveexec_b64 s[26:27], s[26:27]
	s_cbranch_execz .LBB96_324
.LBB96_530:
	s_mov_b32 s30, 0x42800000
	v_add_f32_e64 v5, |v3|, s30
	v_and_b32_e32 v5, 0xff, v5
	v_cmp_ne_u32_e32 vcc, 0, v5
	s_andn2_b64 s[24:25], s[24:25], exec
	s_and_b64 s[30:31], vcc, exec
	s_or_b64 s[24:25], s[24:25], s[30:31]
	s_or_b64 exec, exec, s[26:27]
	v_mov_b32_e32 v6, 0
	s_and_saveexec_b64 s[26:27], s[24:25]
	s_cbranch_execnz .LBB96_325
	s_branch .LBB96_326
.LBB96_531:
	s_mov_b64 s[26:27], -1
                                        ; implicit-def: $vgpr2
	s_mov_b64 s[0:1], 0
.LBB96_532:
	s_and_b64 vcc, exec, s[28:29]
	s_cbranch_vccz .LBB96_536
; %bb.533:
	s_cmp_eq_u32 s34, 44
	s_cbranch_scc0 .LBB96_535
; %bb.534:
	global_load_ubyte v2, v[0:1], off
	s_movk_i32 s26, 0xff
	v_mov_b32_e32 v5, 0x7e00
	s_mov_b64 s[0:1], -1
	s_waitcnt vmcnt(0)
	v_lshlrev_b32_e32 v3, 23, v2
	v_cvt_f16_f32_e32 v3, v3
	v_cmp_ne_u32_e32 vcc, s26, v2
	s_mov_b64 s[26:27], 0
	s_nop 0
	v_cndmask_b32_e32 v3, v5, v3, vcc
	v_cmp_ne_u32_e32 vcc, 0, v2
	s_nop 1
	v_cndmask_b32_e32 v2, 0, v3, vcc
	s_branch .LBB96_536
.LBB96_535:
	s_mov_b64 s[26:27], -1
                                        ; implicit-def: $vgpr2
.LBB96_536:
	s_mov_b64 s[28:29], 0
.LBB96_537:
	s_and_b64 vcc, exec, s[28:29]
	s_cbranch_vccz .LBB96_541
; %bb.538:
	s_cmp_eq_u32 s34, 29
	s_cbranch_scc0 .LBB96_540
; %bb.539:
	global_load_dwordx2 v[2:3], v[0:1], off
	s_mov_b64 s[0:1], -1
	s_mov_b64 s[26:27], 0
	s_mov_b64 s[28:29], 0
	s_waitcnt vmcnt(0)
	v_ffbh_u32_e32 v5, v3
	v_min_u32_e32 v5, 32, v5
	v_lshlrev_b64 v[2:3], v5, v[2:3]
	v_min_u32_e32 v2, 1, v2
	v_or_b32_e32 v2, v3, v2
	v_cvt_f32_u32_e32 v2, v2
	v_sub_u32_e32 v3, 32, v5
	v_ldexp_f32 v2, v2, v3
	v_cvt_f16_f32_e32 v2, v2
	s_branch .LBB96_542
.LBB96_540:
	s_mov_b64 s[26:27], -1
                                        ; implicit-def: $vgpr2
.LBB96_541:
	s_mov_b64 s[28:29], 0
.LBB96_542:
	s_and_b64 vcc, exec, s[28:29]
	s_cbranch_vccz .LBB96_560
; %bb.543:
	s_cmp_lt_i32 s34, 27
	s_cbranch_scc1 .LBB96_546
; %bb.544:
	s_cmp_gt_i32 s34, 27
	s_cbranch_scc0 .LBB96_547
; %bb.545:
	global_load_dword v2, v[0:1], off
	s_mov_b64 s[0:1], 0
	s_waitcnt vmcnt(0)
	v_cvt_f32_u32_e32 v2, v2
	v_cvt_f16_f32_e32 v2, v2
	s_branch .LBB96_548
.LBB96_546:
	s_mov_b64 s[0:1], -1
                                        ; implicit-def: $vgpr2
	s_branch .LBB96_551
.LBB96_547:
	s_mov_b64 s[0:1], -1
                                        ; implicit-def: $vgpr2
.LBB96_548:
	s_andn2_b64 vcc, exec, s[0:1]
	s_cbranch_vccnz .LBB96_550
; %bb.549:
	global_load_ushort v2, v[0:1], off
	s_waitcnt vmcnt(0)
	v_cvt_f16_u16_e32 v2, v2
.LBB96_550:
	s_mov_b64 s[0:1], 0
.LBB96_551:
	s_andn2_b64 vcc, exec, s[0:1]
	s_cbranch_vccnz .LBB96_559
; %bb.552:
	global_load_ubyte v3, v[0:1], off
	s_movk_i32 s0, 0x7f
	s_waitcnt vmcnt(0)
	v_cmp_lt_i16_e32 vcc, s0, v3
	s_mov_b64 s[0:1], 0
	s_and_saveexec_b64 s[28:29], vcc
	s_xor_b64 s[28:29], exec, s[28:29]
	s_cbranch_execz .LBB96_573
; %bb.553:
	s_movk_i32 s0, 0x80
	v_cmp_eq_u16_e32 vcc, s0, v3
	s_mov_b64 s[0:1], -1
	s_and_saveexec_b64 s[30:31], vcc
; %bb.554:
	s_xor_b64 s[0:1], exec, -1
; %bb.555:
	s_or_b64 exec, exec, s[30:31]
	s_and_b64 s[0:1], s[0:1], exec
	s_or_saveexec_b64 s[28:29], s[28:29]
	v_mov_b32_e32 v2, 0x7e00
	s_xor_b64 exec, exec, s[28:29]
	s_cbranch_execnz .LBB96_574
.LBB96_556:
	s_or_b64 exec, exec, s[28:29]
	s_and_saveexec_b64 s[28:29], s[0:1]
	s_cbranch_execz .LBB96_558
.LBB96_557:
	v_lshlrev_b32_e32 v2, 24, v3
	v_and_b32_e32 v3, 0xffff, v3
	v_and_b32_e32 v5, 7, v3
	v_ffbh_u32_e32 v7, v5
	v_min_u32_e32 v7, 32, v7
	v_subrev_u32_e32 v8, 28, v7
	v_bfe_u32 v6, v3, 3, 4
	v_lshlrev_b32_e32 v3, v8, v3
	v_sub_u32_e32 v7, 29, v7
	v_and_b32_e32 v3, 7, v3
	v_cmp_eq_u32_e32 vcc, 0, v6
	v_and_b32_e32 v2, 0x80000000, v2
	s_nop 0
	v_cndmask_b32_e32 v6, v6, v7, vcc
	v_cndmask_b32_e32 v3, v5, v3, vcc
	v_mov_b32_e32 v5, 0x3b800000
	v_lshlrev_b32_e32 v3, 20, v3
	v_lshl_add_u32 v5, v6, 23, v5
	v_or3_b32 v2, v2, v5, v3
	v_cvt_f16_f32_e32 v2, v2
.LBB96_558:
	s_or_b64 exec, exec, s[28:29]
.LBB96_559:
	s_mov_b64 s[0:1], -1
.LBB96_560:
	s_mov_b64 s[28:29], 0
.LBB96_561:
	s_and_b64 vcc, exec, s[28:29]
	s_cbranch_vccz .LBB96_596
; %bb.562:
	s_cmp_gt_i32 s34, 22
	s_cbranch_scc0 .LBB96_572
; %bb.563:
	s_cmp_lt_i32 s34, 24
	s_cbranch_scc1 .LBB96_575
; %bb.564:
	s_cmp_gt_i32 s34, 24
	s_cbranch_scc0 .LBB96_576
; %bb.565:
	global_load_ubyte v3, v[0:1], off
	s_movk_i32 s0, 0x7f
	s_waitcnt vmcnt(0)
	v_cmp_lt_i16_e32 vcc, s0, v3
	s_mov_b64 s[0:1], 0
	s_and_saveexec_b64 s[28:29], vcc
	s_xor_b64 s[28:29], exec, s[28:29]
	s_cbranch_execz .LBB96_588
; %bb.566:
	s_movk_i32 s0, 0x80
	v_cmp_eq_u16_e32 vcc, s0, v3
	s_mov_b64 s[0:1], -1
	s_and_saveexec_b64 s[30:31], vcc
; %bb.567:
	s_xor_b64 s[0:1], exec, -1
; %bb.568:
	s_or_b64 exec, exec, s[30:31]
	s_and_b64 s[0:1], s[0:1], exec
	s_or_saveexec_b64 s[28:29], s[28:29]
	v_mov_b32_e32 v2, 0x7e00
	s_xor_b64 exec, exec, s[28:29]
	s_cbranch_execnz .LBB96_589
.LBB96_569:
	s_or_b64 exec, exec, s[28:29]
	s_and_saveexec_b64 s[28:29], s[0:1]
	s_cbranch_execz .LBB96_571
.LBB96_570:
	v_lshlrev_b32_e32 v2, 24, v3
	v_and_b32_e32 v3, 0xffff, v3
	v_and_b32_e32 v5, 3, v3
	v_ffbh_u32_e32 v7, v5
	v_min_u32_e32 v7, 32, v7
	v_subrev_u32_e32 v8, 29, v7
	v_bfe_u32 v6, v3, 2, 5
	v_lshlrev_b32_e32 v3, v8, v3
	v_sub_u32_e32 v7, 30, v7
	v_and_b32_e32 v3, 3, v3
	v_cmp_eq_u32_e32 vcc, 0, v6
	v_and_b32_e32 v2, 0x80000000, v2
	s_nop 0
	v_cndmask_b32_e32 v6, v6, v7, vcc
	v_cndmask_b32_e32 v3, v5, v3, vcc
	v_mov_b32_e32 v5, 0x37800000
	v_lshlrev_b32_e32 v3, 21, v3
	v_lshl_add_u32 v5, v6, 23, v5
	v_or3_b32 v2, v2, v5, v3
	v_cvt_f16_f32_e32 v2, v2
.LBB96_571:
	s_or_b64 exec, exec, s[28:29]
	s_mov_b64 s[0:1], 0
	s_branch .LBB96_577
.LBB96_572:
	s_mov_b64 s[28:29], -1
                                        ; implicit-def: $vgpr2
	s_branch .LBB96_583
.LBB96_573:
	s_or_saveexec_b64 s[28:29], s[28:29]
	v_mov_b32_e32 v2, 0x7e00
	s_xor_b64 exec, exec, s[28:29]
	s_cbranch_execz .LBB96_556
.LBB96_574:
	v_cmp_ne_u16_e32 vcc, 0, v3
	s_andn2_b64 s[0:1], s[0:1], exec
	s_and_b64 s[30:31], vcc, exec
	s_or_b64 s[0:1], s[0:1], s[30:31]
	v_mov_b32_e32 v2, v3
	s_or_b64 exec, exec, s[28:29]
	s_and_saveexec_b64 s[28:29], s[0:1]
	s_cbranch_execnz .LBB96_557
	s_branch .LBB96_558
.LBB96_575:
	s_mov_b64 s[0:1], -1
                                        ; implicit-def: $vgpr2
	s_branch .LBB96_580
.LBB96_576:
	s_mov_b64 s[0:1], -1
                                        ; implicit-def: $vgpr2
.LBB96_577:
	s_and_b64 vcc, exec, s[0:1]
	s_cbranch_vccz .LBB96_579
; %bb.578:
	global_load_ubyte v2, v[0:1], off
	s_mov_b32 s0, 0x7f800000
	s_waitcnt vmcnt(0)
	v_lshlrev_b32_e32 v2, 24, v2
	v_and_b32_e32 v3, 0x7f000000, v2
	v_ffbh_u32_e32 v5, v3
	v_min_u32_e32 v5, 32, v5
	v_sub_u32_e64 v5, v5, 4 clamp
	v_lshlrev_b32_e32 v7, v5, v3
	v_lshlrev_b32_e32 v5, 23, v5
	v_lshrrev_b32_e32 v7, 4, v7
	v_add_u32_e32 v6, 0x1000000, v3
	v_sub_u32_e32 v5, v7, v5
	v_ashrrev_i32_e32 v6, 8, v6
	v_add_u32_e32 v5, 0x3c000000, v5
	v_and_or_b32 v5, v6, s0, v5
	v_cmp_ne_u32_e32 vcc, 0, v3
	s_brev_b32 s0, 1
	s_nop 0
	v_cndmask_b32_e32 v3, 0, v5, vcc
	v_and_or_b32 v2, v2, s0, v3
	v_cvt_f16_f32_e32 v2, v2
.LBB96_579:
	s_mov_b64 s[0:1], 0
.LBB96_580:
	s_andn2_b64 vcc, exec, s[0:1]
	s_cbranch_vccnz .LBB96_582
; %bb.581:
	global_load_ubyte v2, v[0:1], off
	s_movk_i32 s0, 0x7f00
	s_brev_b32 s1, 16
	s_waitcnt vmcnt(0)
	v_lshlrev_b16_e32 v3, 8, v2
	v_lshlrev_b32_e32 v2, 25, v2
	v_lshrrev_b32_e32 v5, 4, v2
	v_and_or_b32 v6, v3, s0, 0.5
	v_or_b32_e32 v5, 0x70000000, v5
	v_add_f32_e32 v6, -0.5, v6
	v_mul_f32_e32 v5, 0x7800000, v5
	v_cmp_gt_u32_e32 vcc, s1, v2
	v_bfe_i32 v3, v3, 0, 16
	s_brev_b32 s0, 1
	v_cndmask_b32_e32 v2, v5, v6, vcc
	v_and_or_b32 v2, v3, s0, v2
	v_cvt_f16_f32_e32 v2, v2
.LBB96_582:
	s_mov_b64 s[28:29], 0
	s_mov_b64 s[0:1], -1
.LBB96_583:
	s_andn2_b64 vcc, exec, s[28:29]
	s_cbranch_vccnz .LBB96_596
; %bb.584:
	s_cmp_gt_i32 s34, 14
	s_cbranch_scc0 .LBB96_587
; %bb.585:
	s_cmp_eq_u32 s34, 15
	s_cbranch_scc0 .LBB96_590
; %bb.586:
	global_load_ushort v2, v[0:1], off
	s_mov_b64 s[0:1], -1
	s_mov_b64 s[26:27], 0
	s_waitcnt vmcnt(0)
	v_lshlrev_b32_e32 v2, 16, v2
	v_cvt_f16_f32_e32 v2, v2
	s_branch .LBB96_591
.LBB96_587:
	s_mov_b64 s[28:29], -1
                                        ; implicit-def: $vgpr2
	s_branch .LBB96_592
.LBB96_588:
	s_or_saveexec_b64 s[28:29], s[28:29]
	v_mov_b32_e32 v2, 0x7e00
	s_xor_b64 exec, exec, s[28:29]
	s_cbranch_execz .LBB96_569
.LBB96_589:
	v_cmp_ne_u16_e32 vcc, 0, v3
	s_andn2_b64 s[0:1], s[0:1], exec
	s_and_b64 s[30:31], vcc, exec
	s_or_b64 s[0:1], s[0:1], s[30:31]
	v_mov_b32_e32 v2, v3
	s_or_b64 exec, exec, s[28:29]
	s_and_saveexec_b64 s[28:29], s[0:1]
	s_cbranch_execnz .LBB96_570
	s_branch .LBB96_571
.LBB96_590:
	s_mov_b64 s[26:27], -1
                                        ; implicit-def: $vgpr2
.LBB96_591:
	s_mov_b64 s[28:29], 0
.LBB96_592:
	s_and_b64 vcc, exec, s[28:29]
	s_cbranch_vccz .LBB96_596
; %bb.593:
	s_cmp_eq_u32 s34, 11
	s_cbranch_scc0 .LBB96_595
; %bb.594:
	global_load_ubyte v2, v[0:1], off
	v_mov_b32_e32 v3, 0x3c00
	s_mov_b64 s[0:1], -1
	s_mov_b64 s[26:27], 0
	s_waitcnt vmcnt(0)
	v_cmp_ne_u16_e32 vcc, 0, v2
	s_nop 1
	v_cndmask_b32_e32 v2, 0, v3, vcc
	s_branch .LBB96_596
.LBB96_595:
	s_mov_b64 s[26:27], -1
                                        ; implicit-def: $vgpr2
.LBB96_596:
	s_mov_b64 s[28:29], 0
.LBB96_597:
	s_and_b64 vcc, exec, s[28:29]
	s_cbranch_vccz .LBB96_646
; %bb.598:
	s_cmp_lt_i32 s34, 5
	s_cbranch_scc1 .LBB96_603
; %bb.599:
	s_cmp_lt_i32 s34, 8
	s_cbranch_scc1 .LBB96_604
	;; [unrolled: 3-line block ×3, first 2 shown]
; %bb.601:
	s_cmp_gt_i32 s34, 9
	s_cbranch_scc0 .LBB96_606
; %bb.602:
	global_load_dwordx2 v[2:3], v[0:1], off
	s_movk_i32 s0, 0x1ff
	s_movk_i32 s1, 0xffe
	v_mov_b32_e32 v5, 0x7c00
	v_mov_b32_e32 v6, 0x7e00
	s_movk_i32 s28, 0x40f
	s_mov_b32 s29, 0x8000
	s_waitcnt vmcnt(0)
	v_and_or_b32 v2, v3, s0, v2
	v_cmp_ne_u32_e32 vcc, 0, v2
	v_lshrrev_b32_e32 v7, 8, v3
	v_bfe_u32 v8, v3, 20, 11
	v_cndmask_b32_e64 v2, 0, 1, vcc
	v_sub_u32_e32 v9, 0x3f1, v8
	v_and_or_b32 v2, v7, s1, v2
	v_add_u32_e32 v8, 0xfffffc10, v8
	v_med3_i32 v7, v9, 0, 13
	v_or_b32_e32 v9, 0x1000, v2
	v_cmp_ne_u32_e32 vcc, 0, v2
	v_lshl_or_b32 v10, v8, 12, v2
	v_lshrrev_b32_e32 v3, 16, v3
	v_cndmask_b32_e32 v2, v5, v6, vcc
	v_lshrrev_b32_e32 v6, v7, v9
	v_lshlrev_b32_e32 v7, v7, v6
	v_cmp_ne_u32_e32 vcc, v7, v9
	s_mov_b64 s[0:1], 0
	s_nop 0
	v_cndmask_b32_e64 v7, 0, 1, vcc
	v_or_b32_e32 v6, v6, v7
	v_cmp_gt_i32_e32 vcc, 1, v8
	s_nop 1
	v_cndmask_b32_e32 v6, v10, v6, vcc
	v_and_b32_e32 v7, 7, v6
	v_cmp_lt_i32_e32 vcc, 5, v7
	v_lshrrev_b32_e32 v6, 2, v6
	s_nop 0
	v_cndmask_b32_e64 v9, 0, 1, vcc
	v_cmp_eq_u32_e32 vcc, 3, v7
	s_nop 1
	v_cndmask_b32_e64 v7, 0, 1, vcc
	v_or_b32_e32 v7, v7, v9
	v_add_u32_e32 v6, v6, v7
	v_cmp_gt_i32_e32 vcc, 31, v8
	s_nop 1
	v_cndmask_b32_e32 v5, v5, v6, vcc
	v_cmp_eq_u32_e32 vcc, s28, v8
	s_nop 1
	v_cndmask_b32_e32 v2, v5, v2, vcc
	v_and_or_b32 v2, v3, s29, v2
	s_branch .LBB96_607
.LBB96_603:
	s_mov_b64 s[0:1], -1
                                        ; implicit-def: $vgpr2
	s_branch .LBB96_625
.LBB96_604:
	s_mov_b64 s[0:1], -1
                                        ; implicit-def: $vgpr2
	s_branch .LBB96_613
.LBB96_605:
	s_mov_b64 s[0:1], -1
                                        ; implicit-def: $vgpr2
	s_branch .LBB96_610
.LBB96_606:
	s_mov_b64 s[0:1], -1
                                        ; implicit-def: $vgpr2
.LBB96_607:
	s_andn2_b64 vcc, exec, s[0:1]
	s_cbranch_vccnz .LBB96_609
; %bb.608:
	global_load_dword v2, v[0:1], off
	s_waitcnt vmcnt(0)
	v_cvt_f16_f32_e32 v2, v2
.LBB96_609:
	s_mov_b64 s[0:1], 0
.LBB96_610:
	s_andn2_b64 vcc, exec, s[0:1]
	s_cbranch_vccnz .LBB96_612
; %bb.611:
	global_load_dword v2, v[0:1], off
.LBB96_612:
	s_mov_b64 s[0:1], 0
.LBB96_613:
	s_andn2_b64 vcc, exec, s[0:1]
	s_cbranch_vccnz .LBB96_624
; %bb.614:
	s_cmp_lt_i32 s34, 6
	s_cbranch_scc1 .LBB96_617
; %bb.615:
	s_cmp_gt_i32 s34, 6
	s_cbranch_scc0 .LBB96_618
; %bb.616:
	global_load_dwordx2 v[2:3], v[0:1], off
	s_movk_i32 s0, 0x1ff
	s_movk_i32 s1, 0xffe
	v_mov_b32_e32 v5, 0x7c00
	v_mov_b32_e32 v6, 0x7e00
	s_movk_i32 s28, 0x40f
	s_mov_b32 s29, 0x8000
	s_waitcnt vmcnt(0)
	v_and_or_b32 v2, v3, s0, v2
	v_cmp_ne_u32_e32 vcc, 0, v2
	v_lshrrev_b32_e32 v7, 8, v3
	v_bfe_u32 v8, v3, 20, 11
	v_cndmask_b32_e64 v2, 0, 1, vcc
	v_sub_u32_e32 v9, 0x3f1, v8
	v_and_or_b32 v2, v7, s1, v2
	v_add_u32_e32 v8, 0xfffffc10, v8
	v_med3_i32 v7, v9, 0, 13
	v_or_b32_e32 v9, 0x1000, v2
	v_cmp_ne_u32_e32 vcc, 0, v2
	v_lshl_or_b32 v10, v8, 12, v2
	v_lshrrev_b32_e32 v3, 16, v3
	v_cndmask_b32_e32 v2, v5, v6, vcc
	v_lshrrev_b32_e32 v6, v7, v9
	v_lshlrev_b32_e32 v7, v7, v6
	v_cmp_ne_u32_e32 vcc, v7, v9
	s_mov_b64 s[0:1], 0
	s_nop 0
	v_cndmask_b32_e64 v7, 0, 1, vcc
	v_or_b32_e32 v6, v6, v7
	v_cmp_gt_i32_e32 vcc, 1, v8
	s_nop 1
	v_cndmask_b32_e32 v6, v10, v6, vcc
	v_and_b32_e32 v7, 7, v6
	v_cmp_lt_i32_e32 vcc, 5, v7
	v_lshrrev_b32_e32 v6, 2, v6
	s_nop 0
	v_cndmask_b32_e64 v9, 0, 1, vcc
	v_cmp_eq_u32_e32 vcc, 3, v7
	s_nop 1
	v_cndmask_b32_e64 v7, 0, 1, vcc
	v_or_b32_e32 v7, v7, v9
	v_add_u32_e32 v6, v6, v7
	v_cmp_gt_i32_e32 vcc, 31, v8
	s_nop 1
	v_cndmask_b32_e32 v5, v5, v6, vcc
	v_cmp_eq_u32_e32 vcc, s28, v8
	s_nop 1
	v_cndmask_b32_e32 v2, v5, v2, vcc
	v_and_or_b32 v2, v3, s29, v2
	s_branch .LBB96_619
.LBB96_617:
	s_mov_b64 s[0:1], -1
                                        ; implicit-def: $vgpr2
	s_branch .LBB96_622
.LBB96_618:
	s_mov_b64 s[0:1], -1
                                        ; implicit-def: $vgpr2
.LBB96_619:
	s_andn2_b64 vcc, exec, s[0:1]
	s_cbranch_vccnz .LBB96_621
; %bb.620:
	global_load_dword v2, v[0:1], off
	s_waitcnt vmcnt(0)
	v_cvt_f16_f32_e32 v2, v2
.LBB96_621:
	s_mov_b64 s[0:1], 0
.LBB96_622:
	s_andn2_b64 vcc, exec, s[0:1]
	s_cbranch_vccnz .LBB96_624
; %bb.623:
	global_load_ushort v2, v[0:1], off
.LBB96_624:
	s_mov_b64 s[0:1], 0
.LBB96_625:
	s_andn2_b64 vcc, exec, s[0:1]
	s_cbranch_vccnz .LBB96_645
; %bb.626:
	s_cmp_lt_i32 s34, 2
	s_cbranch_scc1 .LBB96_630
; %bb.627:
	s_cmp_lt_i32 s34, 3
	s_cbranch_scc1 .LBB96_631
; %bb.628:
	s_cmp_gt_i32 s34, 3
	s_cbranch_scc0 .LBB96_632
; %bb.629:
	global_load_dwordx2 v[2:3], v[0:1], off
	s_mov_b64 s[0:1], 0
	s_waitcnt vmcnt(0)
	v_xor_b32_e32 v6, v2, v3
	v_ffbh_i32_e32 v5, v3
	v_ashrrev_i32_e32 v6, 31, v6
	v_add_u32_e32 v5, -1, v5
	v_add_u32_e32 v6, 32, v6
	v_min_u32_e32 v5, v5, v6
	v_lshlrev_b64 v[2:3], v5, v[2:3]
	v_min_u32_e32 v2, 1, v2
	v_or_b32_e32 v2, v3, v2
	v_cvt_f32_i32_e32 v2, v2
	v_sub_u32_e32 v3, 32, v5
	v_ldexp_f32 v2, v2, v3
	v_cvt_f16_f32_e32 v2, v2
	s_branch .LBB96_633
.LBB96_630:
	s_mov_b64 s[0:1], -1
                                        ; implicit-def: $vgpr2
	s_branch .LBB96_639
.LBB96_631:
	s_mov_b64 s[0:1], -1
                                        ; implicit-def: $vgpr2
	s_branch .LBB96_636
.LBB96_632:
	s_mov_b64 s[0:1], -1
                                        ; implicit-def: $vgpr2
.LBB96_633:
	s_andn2_b64 vcc, exec, s[0:1]
	s_cbranch_vccnz .LBB96_635
; %bb.634:
	global_load_dword v2, v[0:1], off
	s_waitcnt vmcnt(0)
	v_cvt_f32_i32_e32 v2, v2
	v_cvt_f16_f32_e32 v2, v2
.LBB96_635:
	s_mov_b64 s[0:1], 0
.LBB96_636:
	s_andn2_b64 vcc, exec, s[0:1]
	s_cbranch_vccnz .LBB96_638
; %bb.637:
	global_load_ushort v2, v[0:1], off
	s_waitcnt vmcnt(0)
	v_cvt_f16_i16_e32 v2, v2
.LBB96_638:
	s_mov_b64 s[0:1], 0
.LBB96_639:
	s_andn2_b64 vcc, exec, s[0:1]
	s_cbranch_vccnz .LBB96_645
; %bb.640:
	s_cmp_gt_i32 s34, 0
	s_cbranch_scc0 .LBB96_642
; %bb.641:
	global_load_sbyte v2, v[0:1], off
	s_mov_b64 s[0:1], 0
	s_waitcnt vmcnt(0)
	v_cvt_f16_i16_e32 v2, v2
	s_branch .LBB96_643
.LBB96_642:
	s_mov_b64 s[0:1], -1
                                        ; implicit-def: $vgpr2
.LBB96_643:
	s_andn2_b64 vcc, exec, s[0:1]
	s_cbranch_vccnz .LBB96_645
; %bb.644:
	global_load_ubyte v0, v[0:1], off
	s_waitcnt vmcnt(0)
	v_cvt_f16_u16_e32 v2, v0
.LBB96_645:
	s_mov_b64 s[0:1], -1
.LBB96_646:
	s_andn2_b64 vcc, exec, s[0:1]
	s_cbranch_vccnz .LBB96_654
; %bb.647:
	s_waitcnt vmcnt(0)
	v_cvt_f32_f16_e32 v0, v2
	s_mov_b32 s0, 0x3fb8aa3b
	s_mov_b32 s1, 0x32a5705f
	s_and_b32 s36, s33, 0xff
	v_mul_f32_e32 v1, 0x3fb8aa3b, v0
	v_rndne_f32_e32 v3, v1
	v_fma_mix_f32 v5, v2, s0, -v1 op_sel_hi:[1,0,0]
	v_sub_f32_e32 v1, v1, v3
	v_fma_mix_f32 v2, v2, s1, v5 op_sel_hi:[1,0,0]
	s_mov_b32 s0, 0xc2ce8ed0
	v_add_f32_e32 v1, v1, v2
	v_cvt_i32_f32_e32 v2, v3
	v_exp_f32_e32 v1, v1
	v_cmp_ngt_f32_e32 vcc, s0, v0
	s_mov_b32 s0, 0x42b17218
	s_cmp_lt_i32 s36, 11
	v_ldexp_f32 v1, v1, v2
	v_cndmask_b32_e32 v1, 0, v1, vcc
	v_mov_b32_e32 v2, 0x7f800000
	v_cmp_nlt_f32_e32 vcc, s0, v0
	s_nop 1
	v_cndmask_b32_e32 v0, v2, v1, vcc
	v_cvt_f16_f32_e32 v2, v0
	v_mul_lo_u32 v0, v4, s8
	v_ashrrev_i32_e32 v1, 31, v0
	v_lshl_add_u64 v[0:1], s[4:5], 0, v[0:1]
	s_cbranch_scc1 .LBB96_655
; %bb.648:
	s_and_b32 s37, 0xffff, s36
	s_cmp_gt_i32 s37, 25
	s_cbranch_scc0 .LBB96_656
; %bb.649:
	s_cmp_gt_i32 s37, 28
	s_cbranch_scc0 .LBB96_657
; %bb.650:
	;; [unrolled: 3-line block ×4, first 2 shown]
	s_mov_b64 s[30:31], 0
	s_mov_b64 s[0:1], -1
	s_cmp_eq_u32 s37, 46
	s_mov_b64 s[28:29], 0
	s_cbranch_scc0 .LBB96_660
; %bb.653:
	v_cvt_f32_f16_e32 v3, v2
	s_movk_i32 s0, 0x7fff
	v_cmp_o_f16_e32 vcc, v2, v2
	v_mov_b32_e32 v5, 0x7fc0
	v_bfe_u32 v6, v3, 16, 1
	v_add3_u32 v3, v3, v6, s0
	v_cndmask_b32_sdwa v3, v5, v3, vcc dst_sel:DWORD dst_unused:UNUSED_PAD src0_sel:DWORD src1_sel:WORD_1
	global_store_dword v[0:1], v3, off
	s_mov_b64 s[28:29], -1
	s_mov_b64 s[0:1], 0
	s_branch .LBB96_660
.LBB96_654:
	s_mov_b64 s[30:31], 0
                                        ; implicit-def: $vgpr4
	s_mov_b64 s[0:1], s[20:21]
	s_branch .LBB96_771
.LBB96_655:
	s_mov_b64 s[30:31], -1
	s_mov_b64 s[28:29], 0
	s_mov_b64 s[0:1], s[20:21]
	s_branch .LBB96_729
.LBB96_656:
	s_mov_b64 s[30:31], -1
	s_mov_b64 s[28:29], 0
	s_mov_b64 s[0:1], s[20:21]
	s_branch .LBB96_687
.LBB96_657:
	s_mov_b64 s[30:31], -1
	s_mov_b64 s[28:29], 0
	s_mov_b64 s[0:1], s[20:21]
	s_branch .LBB96_670
.LBB96_658:
	s_mov_b64 s[30:31], -1
	s_mov_b64 s[28:29], 0
	s_mov_b64 s[0:1], s[20:21]
	s_branch .LBB96_666
.LBB96_659:
	s_mov_b64 s[30:31], -1
	s_mov_b64 s[28:29], 0
	s_mov_b64 s[0:1], s[20:21]
.LBB96_660:
	s_and_b64 vcc, exec, s[30:31]
	s_cbranch_vccz .LBB96_665
; %bb.661:
	s_cmp_eq_u32 s37, 44
	s_mov_b64 s[0:1], -1
	s_cbranch_scc0 .LBB96_665
; %bb.662:
	v_cvt_f32_f16_e32 v3, v2
	s_movk_i32 s0, 0xff
	v_mov_b32_e32 v6, 0xff
	v_bfe_u32 v5, v3, 23, 8
	v_cmp_ne_u32_e32 vcc, s0, v5
	s_and_saveexec_b64 s[28:29], vcc
; %bb.663:
	s_mov_b32 s0, 0x3fffff
	v_lshrrev_b32_e32 v6, 23, v3
	v_and_b32_e32 v7, 0x400000, v3
	v_and_or_b32 v3, v3, s0, v5
	v_cmp_ne_u32_e32 vcc, 0, v7
	v_cmp_ne_u32_e64 s[0:1], 0, v3
	s_and_b64 s[0:1], vcc, s[0:1]
	s_nop 0
	v_cndmask_b32_e64 v3, 0, 1, s[0:1]
	v_add_u32_e32 v6, v6, v3
; %bb.664:
	s_or_b64 exec, exec, s[28:29]
	s_mov_b64 s[28:29], -1
	s_mov_b64 s[0:1], 0
	global_store_byte v[0:1], v6, off
.LBB96_665:
	s_mov_b64 s[30:31], 0
.LBB96_666:
	s_and_b64 vcc, exec, s[30:31]
	s_cbranch_vccz .LBB96_669
; %bb.667:
	s_cmp_eq_u32 s37, 29
	s_mov_b64 s[0:1], -1
	s_cbranch_scc0 .LBB96_669
; %bb.668:
	v_cvt_f32_f16_e32 v3, v2
	v_mov_b32_e32 v7, 0
	s_mov_b64 s[28:29], -1
	s_mov_b64 s[0:1], 0
	v_cvt_u32_f32_e32 v6, v3
	s_mov_b64 s[30:31], 0
	global_store_dwordx2 v[0:1], v[6:7], off
	s_branch .LBB96_670
.LBB96_669:
	s_mov_b64 s[30:31], 0
.LBB96_670:
	s_and_b64 vcc, exec, s[30:31]
	s_cbranch_vccz .LBB96_686
; %bb.671:
	s_cmp_lt_i32 s37, 27
	s_mov_b64 s[28:29], -1
	s_cbranch_scc1 .LBB96_677
; %bb.672:
	s_cmp_gt_i32 s37, 27
	s_cbranch_scc0 .LBB96_674
; %bb.673:
	v_cvt_f32_f16_e32 v3, v2
	s_mov_b64 s[28:29], 0
	v_cvt_u32_f32_e32 v3, v3
	global_store_dword v[0:1], v3, off
.LBB96_674:
	s_andn2_b64 vcc, exec, s[28:29]
	s_cbranch_vccnz .LBB96_676
; %bb.675:
	v_cvt_u16_f16_e32 v3, v2
	global_store_short v[0:1], v3, off
.LBB96_676:
	s_mov_b64 s[28:29], 0
.LBB96_677:
	s_andn2_b64 vcc, exec, s[28:29]
	s_cbranch_vccnz .LBB96_685
; %bb.678:
	v_cvt_f32_f16_e32 v3, v2
	s_mov_b32 s28, 0x43800000
	v_mov_b32_e32 v6, 0x80
	v_and_b32_e32 v5, 0x7fffffff, v3
	v_cmp_gt_u32_e32 vcc, s28, v5
	s_and_saveexec_b64 s[28:29], vcc
	s_cbranch_execz .LBB96_684
; %bb.679:
	s_mov_b32 s30, 0x3bffffff
	v_cmp_lt_u32_e32 vcc, s30, v5
	s_mov_b64 s[30:31], 0
                                        ; implicit-def: $vgpr5
	s_and_saveexec_b64 s[34:35], vcc
	s_xor_b64 s[34:35], exec, s[34:35]
	s_cbranch_execz .LBB96_785
; %bb.680:
	v_bfe_u32 v5, v3, 20, 1
	s_mov_b32 s39, 0x487ffff
	v_add3_u32 v5, v3, v5, s39
	s_mov_b64 s[30:31], exec
	v_lshrrev_b32_e32 v5, 20, v5
	s_andn2_saveexec_b64 s[34:35], s[34:35]
	s_cbranch_execnz .LBB96_786
.LBB96_681:
	s_or_b64 exec, exec, s[34:35]
	v_mov_b32_e32 v6, 0
	s_and_saveexec_b64 s[34:35], s[30:31]
.LBB96_682:
	v_lshrrev_b32_e32 v3, 24, v3
	s_movk_i32 s30, 0x80
	v_and_or_b32 v6, v3, s30, v5
.LBB96_683:
	s_or_b64 exec, exec, s[34:35]
.LBB96_684:
	s_or_b64 exec, exec, s[28:29]
	global_store_byte v[0:1], v6, off
.LBB96_685:
	s_mov_b64 s[28:29], -1
.LBB96_686:
	s_mov_b64 s[30:31], 0
.LBB96_687:
	s_and_b64 vcc, exec, s[30:31]
	s_cbranch_vccz .LBB96_728
; %bb.688:
	s_cmp_gt_i32 s37, 22
	s_mov_b64 s[30:31], -1
	s_cbranch_scc0 .LBB96_720
; %bb.689:
	s_cmp_lt_i32 s37, 24
	s_mov_b64 s[28:29], -1
	s_cbranch_scc1 .LBB96_709
; %bb.690:
	s_cmp_gt_i32 s37, 24
	s_cbranch_scc0 .LBB96_698
; %bb.691:
	v_cvt_f32_f16_e32 v3, v2
	s_mov_b32 s28, 0x47800000
	v_mov_b32_e32 v6, 0x80
	v_and_b32_e32 v5, 0x7fffffff, v3
	v_cmp_gt_u32_e32 vcc, s28, v5
	s_and_saveexec_b64 s[28:29], vcc
	s_cbranch_execz .LBB96_697
; %bb.692:
	s_mov_b32 s30, 0x37ffffff
	v_cmp_lt_u32_e32 vcc, s30, v5
	s_mov_b64 s[30:31], 0
                                        ; implicit-def: $vgpr5
	s_and_saveexec_b64 s[34:35], vcc
	s_xor_b64 s[34:35], exec, s[34:35]
	s_cbranch_execz .LBB96_788
; %bb.693:
	v_bfe_u32 v5, v3, 21, 1
	s_mov_b32 s39, 0x88fffff
	v_add3_u32 v5, v3, v5, s39
	s_mov_b64 s[30:31], exec
	v_lshrrev_b32_e32 v5, 21, v5
	s_andn2_saveexec_b64 s[34:35], s[34:35]
	s_cbranch_execnz .LBB96_789
.LBB96_694:
	s_or_b64 exec, exec, s[34:35]
	v_mov_b32_e32 v6, 0
	s_and_saveexec_b64 s[34:35], s[30:31]
.LBB96_695:
	v_lshrrev_b32_e32 v3, 24, v3
	s_movk_i32 s30, 0x80
	v_and_or_b32 v6, v3, s30, v5
.LBB96_696:
	s_or_b64 exec, exec, s[34:35]
.LBB96_697:
	s_or_b64 exec, exec, s[28:29]
	s_mov_b64 s[28:29], 0
	global_store_byte v[0:1], v6, off
.LBB96_698:
	s_and_b64 vcc, exec, s[28:29]
	s_cbranch_vccz .LBB96_708
; %bb.699:
	v_cvt_f32_f16_e32 v3, v2
	s_mov_b32 s28, 0x43f00000
                                        ; implicit-def: $vgpr5
	v_and_b32_e32 v6, 0x7fffffff, v3
	v_cmp_gt_u32_e32 vcc, s28, v6
	s_and_saveexec_b64 s[28:29], vcc
	s_xor_b64 s[28:29], exec, s[28:29]
	s_cbranch_execz .LBB96_705
; %bb.700:
	s_mov_b32 s30, 0x3c7fffff
	v_cmp_lt_u32_e32 vcc, s30, v6
                                        ; implicit-def: $vgpr5
	s_and_saveexec_b64 s[30:31], vcc
	s_xor_b64 s[30:31], exec, s[30:31]
; %bb.701:
	v_bfe_u32 v5, v3, 20, 1
	s_mov_b32 s34, 0x407ffff
	v_add3_u32 v5, v3, v5, s34
	v_lshrrev_b32_e32 v6, 20, v5
	v_and_b32_e32 v5, 0xff00000, v5
	s_mov_b32 s34, 0x7f00000
	v_mov_b32_e32 v7, 0x7e
	v_cmp_ne_u32_e32 vcc, s34, v5
	s_nop 1
	v_cndmask_b32_e32 v5, v7, v6, vcc
; %bb.702:
	s_andn2_saveexec_b64 s[30:31], s[30:31]
; %bb.703:
	s_mov_b32 s34, 0x46800000
	v_add_f32_e64 v5, |v3|, s34
; %bb.704:
	s_or_b64 exec, exec, s[30:31]
                                        ; implicit-def: $vgpr6
.LBB96_705:
	s_andn2_saveexec_b64 s[28:29], s[28:29]
; %bb.706:
	s_mov_b32 s30, 0x7f800000
	v_mov_b32_e32 v5, 0x7e
	v_mov_b32_e32 v7, 0x7f
	v_cmp_lt_u32_e32 vcc, s30, v6
	s_nop 1
	v_cndmask_b32_e32 v5, v5, v7, vcc
; %bb.707:
	s_or_b64 exec, exec, s[28:29]
	v_lshrrev_b32_e32 v3, 24, v3
	s_movk_i32 s28, 0x80
	v_and_or_b32 v3, v3, s28, v5
	global_store_byte v[0:1], v3, off
.LBB96_708:
	s_mov_b64 s[28:29], 0
.LBB96_709:
	s_andn2_b64 vcc, exec, s[28:29]
	s_cbranch_vccnz .LBB96_719
; %bb.710:
	v_cvt_f32_f16_e32 v3, v2
	s_mov_b32 s28, 0x47800000
                                        ; implicit-def: $vgpr5
	v_and_b32_e32 v6, 0x7fffffff, v3
	v_cmp_gt_u32_e32 vcc, s28, v6
	s_and_saveexec_b64 s[28:29], vcc
	s_xor_b64 s[28:29], exec, s[28:29]
	s_cbranch_execz .LBB96_716
; %bb.711:
	s_mov_b32 s30, 0x387fffff
	v_cmp_lt_u32_e32 vcc, s30, v6
                                        ; implicit-def: $vgpr5
	s_and_saveexec_b64 s[30:31], vcc
	s_xor_b64 s[30:31], exec, s[30:31]
; %bb.712:
	v_bfe_u32 v5, v3, 21, 1
	s_mov_b32 s34, 0x80fffff
	v_add3_u32 v5, v3, v5, s34
	v_lshrrev_b32_e32 v5, 21, v5
; %bb.713:
	s_andn2_saveexec_b64 s[30:31], s[30:31]
; %bb.714:
	s_mov_b32 s34, 0x43000000
	v_add_f32_e64 v5, |v3|, s34
; %bb.715:
	s_or_b64 exec, exec, s[30:31]
                                        ; implicit-def: $vgpr6
.LBB96_716:
	s_andn2_saveexec_b64 s[28:29], s[28:29]
; %bb.717:
	s_mov_b32 s30, 0x7f800000
	v_mov_b32_e32 v5, 0x7c
	v_mov_b32_e32 v7, 0x7f
	v_cmp_lt_u32_e32 vcc, s30, v6
	s_nop 1
	v_cndmask_b32_e32 v5, v5, v7, vcc
; %bb.718:
	s_or_b64 exec, exec, s[28:29]
	v_lshrrev_b32_e32 v3, 24, v3
	s_movk_i32 s28, 0x80
	v_and_or_b32 v3, v3, s28, v5
	global_store_byte v[0:1], v3, off
.LBB96_719:
	s_mov_b64 s[30:31], 0
	s_mov_b64 s[28:29], -1
.LBB96_720:
	s_andn2_b64 vcc, exec, s[30:31]
	s_cbranch_vccnz .LBB96_728
; %bb.721:
	s_cmp_gt_i32 s37, 14
	s_mov_b64 s[30:31], -1
	s_cbranch_scc0 .LBB96_725
; %bb.722:
	s_cmp_eq_u32 s37, 15
	s_mov_b64 s[0:1], -1
	s_cbranch_scc0 .LBB96_724
; %bb.723:
	v_cvt_f32_f16_e32 v3, v2
	s_movk_i32 s0, 0x7fff
	v_cmp_o_f16_e32 vcc, v2, v2
	v_mov_b32_e32 v5, 0x7fc0
	v_bfe_u32 v6, v3, 16, 1
	v_add3_u32 v3, v3, v6, s0
	v_cndmask_b32_sdwa v3, v5, v3, vcc dst_sel:DWORD dst_unused:UNUSED_PAD src0_sel:DWORD src1_sel:WORD_1
	global_store_short v[0:1], v3, off
	s_mov_b64 s[28:29], -1
	s_mov_b64 s[0:1], 0
.LBB96_724:
	s_mov_b64 s[30:31], 0
.LBB96_725:
	s_and_b64 vcc, exec, s[30:31]
	s_cbranch_vccz .LBB96_728
; %bb.726:
	s_cmp_eq_u32 s37, 11
	s_mov_b64 s[0:1], -1
	s_cbranch_scc0 .LBB96_728
; %bb.727:
	v_cmp_neq_f16_e32 vcc, 0, v2
	s_mov_b64 s[28:29], -1
	s_mov_b64 s[0:1], 0
	v_cndmask_b32_e64 v3, 0, 1, vcc
	global_store_byte v[0:1], v3, off
.LBB96_728:
	s_mov_b64 s[30:31], 0
.LBB96_729:
	s_and_b64 vcc, exec, s[30:31]
	s_cbranch_vccz .LBB96_768
; %bb.730:
	s_and_b32 s30, 0xffff, s36
	s_cmp_lt_i32 s30, 5
	s_mov_b64 s[28:29], -1
	s_cbranch_scc1 .LBB96_751
; %bb.731:
	s_cmp_lt_i32 s30, 8
	s_cbranch_scc1 .LBB96_741
; %bb.732:
	s_cmp_lt_i32 s30, 9
	s_cbranch_scc1 .LBB96_738
; %bb.733:
	s_cmp_gt_i32 s30, 9
	s_cbranch_scc0 .LBB96_735
; %bb.734:
	v_cvt_f32_f16_e32 v3, v2
	v_mov_b32_e32 v8, 0
	v_mov_b32_e32 v9, v8
	s_mov_b64 s[28:29], 0
	v_cvt_f64_f32_e32 v[6:7], v3
	global_store_dwordx4 v[0:1], v[6:9], off
.LBB96_735:
	s_andn2_b64 vcc, exec, s[28:29]
	s_cbranch_vccnz .LBB96_737
; %bb.736:
	v_cvt_f32_f16_e32 v6, v2
	v_mov_b32_e32 v7, 0
	global_store_dwordx2 v[0:1], v[6:7], off
.LBB96_737:
	s_mov_b64 s[28:29], 0
.LBB96_738:
	s_andn2_b64 vcc, exec, s[28:29]
	s_cbranch_vccnz .LBB96_740
; %bb.739:
	global_store_dword v[0:1], v2, off
.LBB96_740:
	s_mov_b64 s[28:29], 0
.LBB96_741:
	s_andn2_b64 vcc, exec, s[28:29]
	s_cbranch_vccnz .LBB96_750
; %bb.742:
	s_cmp_lt_i32 s30, 6
	s_mov_b64 s[28:29], -1
	s_cbranch_scc1 .LBB96_748
; %bb.743:
	s_cmp_gt_i32 s30, 6
	s_cbranch_scc0 .LBB96_745
; %bb.744:
	v_cvt_f32_f16_e32 v3, v2
	s_mov_b64 s[28:29], 0
	v_cvt_f64_f32_e32 v[6:7], v3
	global_store_dwordx2 v[0:1], v[6:7], off
.LBB96_745:
	s_andn2_b64 vcc, exec, s[28:29]
	s_cbranch_vccnz .LBB96_747
; %bb.746:
	v_cvt_f32_f16_e32 v3, v2
	global_store_dword v[0:1], v3, off
.LBB96_747:
	s_mov_b64 s[28:29], 0
.LBB96_748:
	s_andn2_b64 vcc, exec, s[28:29]
	s_cbranch_vccnz .LBB96_750
; %bb.749:
	global_store_short v[0:1], v2, off
.LBB96_750:
	s_mov_b64 s[28:29], 0
.LBB96_751:
	s_andn2_b64 vcc, exec, s[28:29]
	s_cbranch_vccnz .LBB96_767
; %bb.752:
	s_cmp_lt_i32 s30, 2
	s_mov_b64 s[28:29], -1
	s_cbranch_scc1 .LBB96_762
; %bb.753:
	s_cmp_lt_i32 s30, 3
	s_cbranch_scc1 .LBB96_759
; %bb.754:
	s_cmp_gt_i32 s30, 3
	s_cbranch_scc0 .LBB96_756
; %bb.755:
	v_cvt_f32_f16_e32 v3, v2
	s_mov_b64 s[28:29], 0
	v_cvt_i32_f32_e32 v6, v3
	v_ashrrev_i32_e32 v7, 31, v6
	global_store_dwordx2 v[0:1], v[6:7], off
.LBB96_756:
	s_andn2_b64 vcc, exec, s[28:29]
	s_cbranch_vccnz .LBB96_758
; %bb.757:
	v_cvt_f32_f16_e32 v3, v2
	v_cvt_i32_f32_e32 v3, v3
	global_store_dword v[0:1], v3, off
.LBB96_758:
	s_mov_b64 s[28:29], 0
.LBB96_759:
	s_andn2_b64 vcc, exec, s[28:29]
	s_cbranch_vccnz .LBB96_761
; %bb.760:
	v_cvt_i16_f16_e32 v3, v2
	global_store_short v[0:1], v3, off
.LBB96_761:
	s_mov_b64 s[28:29], 0
.LBB96_762:
	s_andn2_b64 vcc, exec, s[28:29]
	s_cbranch_vccnz .LBB96_767
; %bb.763:
	s_cmp_gt_i32 s30, 0
	s_mov_b64 s[28:29], -1
	s_cbranch_scc0 .LBB96_765
; %bb.764:
	v_cvt_i16_f16_e32 v3, v2
	s_mov_b64 s[28:29], 0
	global_store_byte v[0:1], v3, off
.LBB96_765:
	s_andn2_b64 vcc, exec, s[28:29]
	s_cbranch_vccnz .LBB96_767
; %bb.766:
	v_cvt_f32_f16_e32 v2, v2
	v_cvt_i32_f32_e32 v2, v2
	global_store_byte v[0:1], v2, off
.LBB96_767:
	s_mov_b64 s[28:29], -1
.LBB96_768:
	s_andn2_b64 vcc, exec, s[28:29]
	s_cbranch_vccnz .LBB96_770
; %bb.769:
	v_add_u32_e32 v4, 0x80, v4
	s_mov_b64 s[30:31], -1
	s_branch .LBB96_771
.LBB96_770:
	s_mov_b64 s[30:31], 0
                                        ; implicit-def: $vgpr4
.LBB96_771:
	s_andn2_b64 s[28:29], s[20:21], exec
	s_and_b64 s[0:1], s[0:1], exec
	s_or_b64 s[28:29], s[28:29], s[0:1]
	s_andn2_b64 s[0:1], s[18:19], exec
	s_and_b64 s[26:27], s[26:27], exec
	s_or_b64 s[0:1], s[0:1], s[26:27]
	s_orn2_b64 s[34:35], s[30:31], exec
.LBB96_772:
	s_or_b64 exec, exec, s[24:25]
	s_mov_b64 s[30:31], 0
	s_mov_b64 s[26:27], 0
	;; [unrolled: 1-line block ×3, first 2 shown]
                                        ; implicit-def: $vgpr0_vgpr1
                                        ; implicit-def: $vgpr3
	s_and_saveexec_b64 s[24:25], s[34:35]
	s_cbranch_execz .LBB96_857
; %bb.773:
	v_cmp_gt_i32_e32 vcc, s38, v4
	s_mov_b64 s[34:35], 0
	s_mov_b64 s[38:39], s[0:1]
	;; [unrolled: 1-line block ×3, first 2 shown]
                                        ; implicit-def: $vgpr0_vgpr1
                                        ; implicit-def: $vgpr3
	s_and_saveexec_b64 s[26:27], vcc
	s_cbranch_execz .LBB96_856
; %bb.774:
	v_mul_lo_u32 v0, v4, s9
	v_ashrrev_i32_e32 v1, 31, v0
	s_and_b32 s43, 0xffff, s42
	s_cmp_lt_i32 s43, 11
	v_lshl_add_u64 v[0:1], s[6:7], 0, v[0:1]
	s_cbranch_scc1 .LBB96_781
; %bb.775:
	s_cmp_gt_i32 s43, 25
	s_cbranch_scc0 .LBB96_782
; %bb.776:
	s_cmp_gt_i32 s43, 28
	s_cbranch_scc0 .LBB96_783
	;; [unrolled: 3-line block ×4, first 2 shown]
; %bb.779:
	s_cmp_eq_u32 s43, 46
	s_mov_b64 s[38:39], 0
	s_cbranch_scc0 .LBB96_790
; %bb.780:
	global_load_dword v2, v[0:1], off
	s_mov_b64 s[36:37], -1
	s_waitcnt vmcnt(0)
	v_lshlrev_b32_e32 v2, 16, v2
	v_cvt_f16_f32_e32 v3, v2
	s_branch .LBB96_792
.LBB96_781:
	s_mov_b64 s[38:39], -1
                                        ; implicit-def: $vgpr3
	s_mov_b64 s[30:31], s[0:1]
	s_branch .LBB96_855
.LBB96_782:
	s_mov_b64 s[38:39], -1
	s_mov_b64 s[30:31], s[0:1]
                                        ; implicit-def: $vgpr3
	s_branch .LBB96_821
.LBB96_783:
	s_mov_b64 s[38:39], -1
	s_mov_b64 s[30:31], s[0:1]
                                        ; implicit-def: $vgpr3
	s_branch .LBB96_802
.LBB96_784:
	s_mov_b64 s[38:39], -1
	s_mov_b64 s[30:31], s[0:1]
                                        ; implicit-def: $vgpr3
	s_branch .LBB96_797
.LBB96_785:
	s_andn2_saveexec_b64 s[34:35], s[34:35]
	s_cbranch_execz .LBB96_681
.LBB96_786:
	s_mov_b32 s39, 0x46000000
	v_add_f32_e64 v5, |v3|, s39
	v_and_b32_e32 v5, 0xff, v5
	v_cmp_ne_u32_e32 vcc, 0, v5
	s_andn2_b64 s[30:31], s[30:31], exec
	s_and_b64 s[40:41], vcc, exec
	s_or_b64 s[30:31], s[30:31], s[40:41]
	s_or_b64 exec, exec, s[34:35]
	v_mov_b32_e32 v6, 0
	s_and_saveexec_b64 s[34:35], s[30:31]
	s_cbranch_execnz .LBB96_682
	s_branch .LBB96_683
.LBB96_787:
	s_mov_b64 s[38:39], -1
	s_mov_b64 s[30:31], s[0:1]
	s_branch .LBB96_791
.LBB96_788:
	s_andn2_saveexec_b64 s[34:35], s[34:35]
	s_cbranch_execz .LBB96_694
.LBB96_789:
	s_mov_b32 s39, 0x42800000
	v_add_f32_e64 v5, |v3|, s39
	v_and_b32_e32 v5, 0xff, v5
	v_cmp_ne_u32_e32 vcc, 0, v5
	s_andn2_b64 s[30:31], s[30:31], exec
	s_and_b64 s[40:41], vcc, exec
	s_or_b64 s[30:31], s[30:31], s[40:41]
	s_or_b64 exec, exec, s[34:35]
	v_mov_b32_e32 v6, 0
	s_and_saveexec_b64 s[34:35], s[30:31]
	s_cbranch_execnz .LBB96_695
	s_branch .LBB96_696
.LBB96_790:
	s_mov_b64 s[30:31], -1
.LBB96_791:
                                        ; implicit-def: $vgpr3
.LBB96_792:
	s_and_b64 vcc, exec, s[38:39]
	s_cbranch_vccz .LBB96_796
; %bb.793:
	s_cmp_eq_u32 s43, 44
	s_cbranch_scc0 .LBB96_795
; %bb.794:
	global_load_ubyte v2, v[0:1], off
	s_movk_i32 s36, 0xff
	v_mov_b32_e32 v5, 0x7e00
	s_mov_b64 s[30:31], 0
	s_waitcnt vmcnt(0)
	v_lshlrev_b32_e32 v3, 23, v2
	v_cvt_f16_f32_e32 v3, v3
	v_cmp_ne_u32_e32 vcc, s36, v2
	s_mov_b64 s[36:37], -1
	s_nop 0
	v_cndmask_b32_e32 v3, v5, v3, vcc
	v_cmp_ne_u32_e32 vcc, 0, v2
	s_nop 1
	v_cndmask_b32_e32 v3, 0, v3, vcc
	s_branch .LBB96_796
.LBB96_795:
	s_mov_b64 s[30:31], -1
                                        ; implicit-def: $vgpr3
.LBB96_796:
	s_mov_b64 s[38:39], 0
.LBB96_797:
	s_and_b64 vcc, exec, s[38:39]
	s_cbranch_vccz .LBB96_801
; %bb.798:
	s_cmp_eq_u32 s43, 29
	s_cbranch_scc0 .LBB96_800
; %bb.799:
	global_load_dwordx2 v[2:3], v[0:1], off
	s_mov_b64 s[30:31], 0
	s_mov_b64 s[36:37], -1
	s_mov_b64 s[38:39], 0
	s_waitcnt vmcnt(0)
	v_ffbh_u32_e32 v5, v3
	v_min_u32_e32 v5, 32, v5
	v_lshlrev_b64 v[2:3], v5, v[2:3]
	v_min_u32_e32 v2, 1, v2
	v_or_b32_e32 v2, v3, v2
	v_cvt_f32_u32_e32 v2, v2
	v_sub_u32_e32 v3, 32, v5
	v_ldexp_f32 v2, v2, v3
	v_cvt_f16_f32_e32 v3, v2
	s_branch .LBB96_802
.LBB96_800:
	s_mov_b64 s[30:31], -1
                                        ; implicit-def: $vgpr3
.LBB96_801:
	s_mov_b64 s[38:39], 0
.LBB96_802:
	s_and_b64 vcc, exec, s[38:39]
	s_cbranch_vccz .LBB96_820
; %bb.803:
	s_cmp_lt_i32 s43, 27
	s_cbranch_scc1 .LBB96_806
; %bb.804:
	s_cmp_gt_i32 s43, 27
	s_cbranch_scc0 .LBB96_807
; %bb.805:
	global_load_dword v2, v[0:1], off
	s_mov_b64 s[36:37], 0
	s_waitcnt vmcnt(0)
	v_cvt_f32_u32_e32 v2, v2
	v_cvt_f16_f32_e32 v3, v2
	s_branch .LBB96_808
.LBB96_806:
	s_mov_b64 s[36:37], -1
                                        ; implicit-def: $vgpr3
	s_branch .LBB96_811
.LBB96_807:
	s_mov_b64 s[36:37], -1
                                        ; implicit-def: $vgpr3
.LBB96_808:
	s_andn2_b64 vcc, exec, s[36:37]
	s_cbranch_vccnz .LBB96_810
; %bb.809:
	global_load_ushort v2, v[0:1], off
	s_waitcnt vmcnt(0)
	v_cvt_f16_u16_e32 v3, v2
.LBB96_810:
	s_mov_b64 s[36:37], 0
.LBB96_811:
	s_andn2_b64 vcc, exec, s[36:37]
	s_cbranch_vccnz .LBB96_819
; %bb.812:
	global_load_ubyte v2, v[0:1], off
	s_movk_i32 s36, 0x7f
	s_waitcnt vmcnt(0)
	v_cmp_lt_i16_e32 vcc, s36, v2
	s_mov_b64 s[36:37], 0
	s_and_saveexec_b64 s[38:39], vcc
	s_xor_b64 s[38:39], exec, s[38:39]
	s_cbranch_execz .LBB96_833
; %bb.813:
	s_movk_i32 s36, 0x80
	v_cmp_eq_u16_e32 vcc, s36, v2
	s_mov_b64 s[36:37], -1
	s_and_saveexec_b64 s[40:41], vcc
; %bb.814:
	s_xor_b64 s[36:37], exec, -1
; %bb.815:
	s_or_b64 exec, exec, s[40:41]
	s_and_b64 s[36:37], s[36:37], exec
	s_or_saveexec_b64 s[38:39], s[38:39]
	v_mov_b32_e32 v3, 0x7e00
	s_xor_b64 exec, exec, s[38:39]
	s_cbranch_execnz .LBB96_834
.LBB96_816:
	s_or_b64 exec, exec, s[38:39]
	s_and_saveexec_b64 s[38:39], s[36:37]
	s_cbranch_execz .LBB96_818
.LBB96_817:
	v_lshlrev_b32_e32 v3, 24, v2
	v_and_b32_e32 v2, 0xffff, v2
	v_and_b32_e32 v5, 7, v2
	v_ffbh_u32_e32 v7, v5
	v_min_u32_e32 v7, 32, v7
	v_subrev_u32_e32 v8, 28, v7
	v_bfe_u32 v6, v2, 3, 4
	v_lshlrev_b32_e32 v2, v8, v2
	v_sub_u32_e32 v7, 29, v7
	v_and_b32_e32 v2, 7, v2
	v_cmp_eq_u32_e32 vcc, 0, v6
	v_and_b32_e32 v3, 0x80000000, v3
	s_nop 0
	v_cndmask_b32_e32 v6, v6, v7, vcc
	v_cndmask_b32_e32 v2, v5, v2, vcc
	v_mov_b32_e32 v5, 0x3b800000
	v_lshlrev_b32_e32 v2, 20, v2
	v_lshl_add_u32 v5, v6, 23, v5
	v_or3_b32 v2, v3, v5, v2
	v_cvt_f16_f32_e32 v3, v2
.LBB96_818:
	s_or_b64 exec, exec, s[38:39]
.LBB96_819:
	s_mov_b64 s[36:37], -1
.LBB96_820:
	s_mov_b64 s[38:39], 0
.LBB96_821:
	s_and_b64 vcc, exec, s[38:39]
	s_cbranch_vccz .LBB96_854
; %bb.822:
	s_cmp_gt_i32 s43, 22
	s_cbranch_scc0 .LBB96_832
; %bb.823:
	s_cmp_lt_i32 s43, 24
	s_cbranch_scc1 .LBB96_835
; %bb.824:
	s_cmp_gt_i32 s43, 24
	s_cbranch_scc0 .LBB96_836
; %bb.825:
	global_load_ubyte v2, v[0:1], off
	s_movk_i32 s34, 0x7f
	s_waitcnt vmcnt(0)
	v_cmp_lt_i16_e32 vcc, s34, v2
	s_mov_b64 s[34:35], 0
	s_and_saveexec_b64 s[36:37], vcc
	s_xor_b64 s[36:37], exec, s[36:37]
	s_cbranch_execz .LBB96_848
; %bb.826:
	s_movk_i32 s34, 0x80
	v_cmp_eq_u16_e32 vcc, s34, v2
	s_mov_b64 s[34:35], -1
	s_and_saveexec_b64 s[38:39], vcc
; %bb.827:
	s_xor_b64 s[34:35], exec, -1
; %bb.828:
	s_or_b64 exec, exec, s[38:39]
	s_and_b64 s[34:35], s[34:35], exec
	s_or_saveexec_b64 s[36:37], s[36:37]
	v_mov_b32_e32 v3, 0x7e00
	s_xor_b64 exec, exec, s[36:37]
	s_cbranch_execnz .LBB96_849
.LBB96_829:
	s_or_b64 exec, exec, s[36:37]
	s_and_saveexec_b64 s[36:37], s[34:35]
	s_cbranch_execz .LBB96_831
.LBB96_830:
	v_lshlrev_b32_e32 v3, 24, v2
	v_and_b32_e32 v2, 0xffff, v2
	v_and_b32_e32 v5, 3, v2
	v_ffbh_u32_e32 v7, v5
	v_min_u32_e32 v7, 32, v7
	v_subrev_u32_e32 v8, 29, v7
	v_bfe_u32 v6, v2, 2, 5
	v_lshlrev_b32_e32 v2, v8, v2
	v_sub_u32_e32 v7, 30, v7
	v_and_b32_e32 v2, 3, v2
	v_cmp_eq_u32_e32 vcc, 0, v6
	v_and_b32_e32 v3, 0x80000000, v3
	s_nop 0
	v_cndmask_b32_e32 v6, v6, v7, vcc
	v_cndmask_b32_e32 v2, v5, v2, vcc
	v_mov_b32_e32 v5, 0x37800000
	v_lshlrev_b32_e32 v2, 21, v2
	v_lshl_add_u32 v5, v6, 23, v5
	v_or3_b32 v2, v3, v5, v2
	v_cvt_f16_f32_e32 v3, v2
.LBB96_831:
	s_or_b64 exec, exec, s[36:37]
	s_mov_b64 s[34:35], 0
	s_branch .LBB96_837
.LBB96_832:
	s_mov_b64 s[34:35], -1
                                        ; implicit-def: $vgpr3
	s_branch .LBB96_843
.LBB96_833:
	s_or_saveexec_b64 s[38:39], s[38:39]
	v_mov_b32_e32 v3, 0x7e00
	s_xor_b64 exec, exec, s[38:39]
	s_cbranch_execz .LBB96_816
.LBB96_834:
	v_cmp_ne_u16_e32 vcc, 0, v2
	s_andn2_b64 s[36:37], s[36:37], exec
	s_and_b64 s[40:41], vcc, exec
	s_or_b64 s[36:37], s[36:37], s[40:41]
	v_mov_b32_e32 v3, v2
	s_or_b64 exec, exec, s[38:39]
	s_and_saveexec_b64 s[38:39], s[36:37]
	s_cbranch_execnz .LBB96_817
	s_branch .LBB96_818
.LBB96_835:
	s_mov_b64 s[34:35], -1
                                        ; implicit-def: $vgpr3
	s_branch .LBB96_840
.LBB96_836:
	s_mov_b64 s[34:35], -1
                                        ; implicit-def: $vgpr3
.LBB96_837:
	s_and_b64 vcc, exec, s[34:35]
	s_cbranch_vccz .LBB96_839
; %bb.838:
	global_load_ubyte v2, v[0:1], off
	s_mov_b32 s34, 0x7f800000
	s_waitcnt vmcnt(0)
	v_lshlrev_b32_e32 v2, 24, v2
	v_and_b32_e32 v3, 0x7f000000, v2
	v_ffbh_u32_e32 v5, v3
	v_min_u32_e32 v5, 32, v5
	v_sub_u32_e64 v5, v5, 4 clamp
	v_lshlrev_b32_e32 v7, v5, v3
	v_lshlrev_b32_e32 v5, 23, v5
	v_lshrrev_b32_e32 v7, 4, v7
	v_add_u32_e32 v6, 0x1000000, v3
	v_sub_u32_e32 v5, v7, v5
	v_ashrrev_i32_e32 v6, 8, v6
	v_add_u32_e32 v5, 0x3c000000, v5
	v_and_or_b32 v5, v6, s34, v5
	v_cmp_ne_u32_e32 vcc, 0, v3
	s_brev_b32 s34, 1
	s_nop 0
	v_cndmask_b32_e32 v3, 0, v5, vcc
	v_and_or_b32 v2, v2, s34, v3
	v_cvt_f16_f32_e32 v3, v2
.LBB96_839:
	s_mov_b64 s[34:35], 0
.LBB96_840:
	s_andn2_b64 vcc, exec, s[34:35]
	s_cbranch_vccnz .LBB96_842
; %bb.841:
	global_load_ubyte v2, v[0:1], off
	s_movk_i32 s34, 0x7f00
	s_brev_b32 s35, 16
	s_waitcnt vmcnt(0)
	v_lshlrev_b16_e32 v3, 8, v2
	v_lshlrev_b32_e32 v2, 25, v2
	v_lshrrev_b32_e32 v5, 4, v2
	v_and_or_b32 v6, v3, s34, 0.5
	v_or_b32_e32 v5, 0x70000000, v5
	v_add_f32_e32 v6, -0.5, v6
	v_mul_f32_e32 v5, 0x7800000, v5
	v_cmp_gt_u32_e32 vcc, s35, v2
	v_bfe_i32 v3, v3, 0, 16
	s_brev_b32 s34, 1
	v_cndmask_b32_e32 v2, v5, v6, vcc
	v_and_or_b32 v2, v3, s34, v2
	v_cvt_f16_f32_e32 v3, v2
.LBB96_842:
	s_mov_b64 s[34:35], 0
	s_mov_b64 s[36:37], -1
.LBB96_843:
	s_andn2_b64 vcc, exec, s[34:35]
	s_mov_b64 s[34:35], 0
	s_cbranch_vccnz .LBB96_854
; %bb.844:
	s_cmp_gt_i32 s43, 14
	s_cbranch_scc0 .LBB96_847
; %bb.845:
	s_cmp_eq_u32 s43, 15
	s_cbranch_scc0 .LBB96_850
; %bb.846:
	global_load_ushort v2, v[0:1], off
	s_mov_b64 s[30:31], 0
	s_mov_b64 s[36:37], -1
	s_waitcnt vmcnt(0)
	v_lshlrev_b32_e32 v2, 16, v2
	v_cvt_f16_f32_e32 v3, v2
	s_branch .LBB96_851
.LBB96_847:
	s_mov_b64 s[38:39], -1
                                        ; implicit-def: $vgpr3
	s_branch .LBB96_852
.LBB96_848:
	s_or_saveexec_b64 s[36:37], s[36:37]
	v_mov_b32_e32 v3, 0x7e00
	s_xor_b64 exec, exec, s[36:37]
	s_cbranch_execz .LBB96_829
.LBB96_849:
	v_cmp_ne_u16_e32 vcc, 0, v2
	s_andn2_b64 s[34:35], s[34:35], exec
	s_and_b64 s[38:39], vcc, exec
	s_or_b64 s[34:35], s[34:35], s[38:39]
	v_mov_b32_e32 v3, v2
	s_or_b64 exec, exec, s[36:37]
	s_and_saveexec_b64 s[36:37], s[34:35]
	s_cbranch_execnz .LBB96_830
	s_branch .LBB96_831
.LBB96_850:
	s_mov_b64 s[30:31], -1
                                        ; implicit-def: $vgpr3
.LBB96_851:
	s_mov_b64 s[38:39], 0
.LBB96_852:
	s_and_b64 vcc, exec, s[38:39]
	s_cbranch_vccz .LBB96_854
; %bb.853:
	s_cmp_lg_u32 s43, 11
	s_cselect_b64 s[38:39], -1, 0
	s_andn2_b64 s[30:31], s[30:31], exec
	s_and_b64 s[38:39], s[38:39], exec
	s_mov_b64 s[34:35], -1
	s_or_b64 s[30:31], s[30:31], s[38:39]
.LBB96_854:
	s_mov_b64 s[38:39], 0
.LBB96_855:
	s_and_b64 s[40:41], s[38:39], exec
	s_andn2_b64 s[38:39], s[0:1], exec
	s_and_b64 s[30:31], s[30:31], exec
	s_and_b64 s[36:37], s[36:37], exec
	;; [unrolled: 1-line block ×3, first 2 shown]
	s_or_b64 s[38:39], s[38:39], s[30:31]
.LBB96_856:
	s_or_b64 exec, exec, s[26:27]
	s_and_b64 s[30:31], s[34:35], exec
	s_andn2_b64 s[0:1], s[0:1], exec
	s_and_b64 s[34:35], s[38:39], exec
	s_and_b64 s[36:37], s[36:37], exec
	;; [unrolled: 1-line block ×3, first 2 shown]
	s_or_b64 s[0:1], s[0:1], s[34:35]
.LBB96_857:
	s_or_b64 exec, exec, s[24:25]
	s_andn2_b64 s[20:21], s[20:21], exec
	s_and_b64 s[24:25], s[28:29], exec
	s_andn2_b64 s[18:19], s[18:19], exec
	s_and_b64 s[0:1], s[0:1], exec
	s_or_b64 s[20:21], s[20:21], s[24:25]
	s_and_b64 s[28:29], s[36:37], exec
	s_and_b64 s[26:27], s[26:27], exec
	;; [unrolled: 1-line block ×3, first 2 shown]
	s_or_b64 s[18:19], s[18:19], s[0:1]
.LBB96_858:
	s_or_b64 exec, exec, s[22:23]
	s_andn2_b64 s[0:1], s[12:13], exec
	s_and_b64 s[12:13], s[20:21], exec
	s_andn2_b64 s[14:15], s[14:15], exec
	s_and_b64 s[18:19], s[18:19], exec
	s_or_b64 s[12:13], s[0:1], s[12:13]
	s_and_b64 s[0:1], s[28:29], exec
	s_and_b64 s[22:23], s[26:27], exec
	;; [unrolled: 1-line block ×3, first 2 shown]
	s_or_b64 s[14:15], s[14:15], s[18:19]
	s_or_b64 exec, exec, s[16:17]
	s_mov_b64 s[16:17], 0
	s_and_saveexec_b64 s[18:19], s[14:15]
	s_cbranch_execz .LBB96_262
.LBB96_859:
	s_mov_b64 s[16:17], exec
	s_andn2_b64 s[20:21], s[20:21], exec
	s_trap 2
	s_or_b64 exec, exec, s[18:19]
	s_and_saveexec_b64 s[14:15], s[20:21]
	s_xor_b64 s[14:15], exec, s[14:15]
	s_cbranch_execnz .LBB96_263
.LBB96_860:
	s_or_b64 exec, exec, s[14:15]
	s_and_saveexec_b64 s[14:15], s[22:23]
	s_cbranch_execz .LBB96_906
.LBB96_861:
	s_sext_i32_i16 s18, s42
	s_cmp_lt_i32 s18, 5
	s_cbranch_scc1 .LBB96_866
; %bb.862:
	s_cmp_lt_i32 s18, 8
	s_cbranch_scc1 .LBB96_867
; %bb.863:
	;; [unrolled: 3-line block ×3, first 2 shown]
	s_cmp_gt_i32 s18, 9
	s_cbranch_scc0 .LBB96_869
; %bb.865:
	global_load_dwordx2 v[2:3], v[0:1], off
	s_movk_i32 s18, 0x1ff
	s_movk_i32 s19, 0xffe
	v_mov_b32_e32 v5, 0x7c00
	v_mov_b32_e32 v6, 0x7e00
	s_movk_i32 s20, 0x40f
	s_mov_b32 s21, 0x8000
	s_waitcnt vmcnt(0)
	v_and_or_b32 v2, v3, s18, v2
	v_cmp_ne_u32_e32 vcc, 0, v2
	v_lshrrev_b32_e32 v7, 8, v3
	v_bfe_u32 v8, v3, 20, 11
	v_cndmask_b32_e64 v2, 0, 1, vcc
	v_sub_u32_e32 v9, 0x3f1, v8
	v_and_or_b32 v2, v7, s19, v2
	v_add_u32_e32 v8, 0xfffffc10, v8
	v_med3_i32 v7, v9, 0, 13
	v_or_b32_e32 v9, 0x1000, v2
	v_cmp_ne_u32_e32 vcc, 0, v2
	v_lshl_or_b32 v10, v8, 12, v2
	v_lshrrev_b32_e32 v3, 16, v3
	v_cndmask_b32_e32 v2, v5, v6, vcc
	v_lshrrev_b32_e32 v6, v7, v9
	v_lshlrev_b32_e32 v7, v7, v6
	v_cmp_ne_u32_e32 vcc, v7, v9
	s_mov_b64 s[18:19], 0
	s_nop 0
	v_cndmask_b32_e64 v7, 0, 1, vcc
	v_or_b32_e32 v6, v6, v7
	v_cmp_gt_i32_e32 vcc, 1, v8
	s_nop 1
	v_cndmask_b32_e32 v6, v10, v6, vcc
	v_and_b32_e32 v7, 7, v6
	v_cmp_lt_i32_e32 vcc, 5, v7
	v_lshrrev_b32_e32 v6, 2, v6
	s_nop 0
	v_cndmask_b32_e64 v9, 0, 1, vcc
	v_cmp_eq_u32_e32 vcc, 3, v7
	s_nop 1
	v_cndmask_b32_e64 v7, 0, 1, vcc
	v_or_b32_e32 v7, v7, v9
	v_add_u32_e32 v6, v6, v7
	v_cmp_gt_i32_e32 vcc, 31, v8
	s_nop 1
	v_cndmask_b32_e32 v5, v5, v6, vcc
	v_cmp_eq_u32_e32 vcc, s20, v8
	s_nop 1
	v_cndmask_b32_e32 v2, v5, v2, vcc
	v_and_or_b32 v3, v3, s21, v2
	s_branch .LBB96_870
.LBB96_866:
                                        ; implicit-def: $vgpr3
	s_branch .LBB96_887
.LBB96_867:
                                        ; implicit-def: $vgpr3
	s_branch .LBB96_876
.LBB96_868:
	s_mov_b64 s[18:19], -1
                                        ; implicit-def: $vgpr3
	s_branch .LBB96_873
.LBB96_869:
	s_mov_b64 s[18:19], -1
                                        ; implicit-def: $vgpr3
.LBB96_870:
	s_andn2_b64 vcc, exec, s[18:19]
	s_cbranch_vccnz .LBB96_872
; %bb.871:
	global_load_dword v2, v[0:1], off
	s_waitcnt vmcnt(0)
	v_cvt_f16_f32_e32 v3, v2
.LBB96_872:
	s_mov_b64 s[18:19], 0
.LBB96_873:
	s_andn2_b64 vcc, exec, s[18:19]
	s_cbranch_vccnz .LBB96_875
; %bb.874:
	global_load_dword v3, v[0:1], off
.LBB96_875:
	s_cbranch_execnz .LBB96_886
.LBB96_876:
	s_sext_i32_i16 s18, s42
	s_cmp_lt_i32 s18, 6
	s_cbranch_scc1 .LBB96_879
; %bb.877:
	s_cmp_gt_i32 s18, 6
	s_cbranch_scc0 .LBB96_880
; %bb.878:
	global_load_dwordx2 v[2:3], v[0:1], off
	s_movk_i32 s18, 0x1ff
	s_movk_i32 s19, 0xffe
	v_mov_b32_e32 v5, 0x7c00
	v_mov_b32_e32 v6, 0x7e00
	s_movk_i32 s20, 0x40f
	s_mov_b32 s21, 0x8000
	s_waitcnt vmcnt(0)
	v_and_or_b32 v2, v3, s18, v2
	v_cmp_ne_u32_e32 vcc, 0, v2
	v_lshrrev_b32_e32 v7, 8, v3
	v_bfe_u32 v8, v3, 20, 11
	v_cndmask_b32_e64 v2, 0, 1, vcc
	v_sub_u32_e32 v9, 0x3f1, v8
	v_and_or_b32 v2, v7, s19, v2
	v_add_u32_e32 v8, 0xfffffc10, v8
	v_med3_i32 v7, v9, 0, 13
	v_or_b32_e32 v9, 0x1000, v2
	v_cmp_ne_u32_e32 vcc, 0, v2
	v_lshl_or_b32 v10, v8, 12, v2
	v_lshrrev_b32_e32 v3, 16, v3
	v_cndmask_b32_e32 v2, v5, v6, vcc
	v_lshrrev_b32_e32 v6, v7, v9
	v_lshlrev_b32_e32 v7, v7, v6
	v_cmp_ne_u32_e32 vcc, v7, v9
	s_mov_b64 s[18:19], 0
	s_nop 0
	v_cndmask_b32_e64 v7, 0, 1, vcc
	v_or_b32_e32 v6, v6, v7
	v_cmp_gt_i32_e32 vcc, 1, v8
	s_nop 1
	v_cndmask_b32_e32 v6, v10, v6, vcc
	v_and_b32_e32 v7, 7, v6
	v_cmp_lt_i32_e32 vcc, 5, v7
	v_lshrrev_b32_e32 v6, 2, v6
	s_nop 0
	v_cndmask_b32_e64 v9, 0, 1, vcc
	v_cmp_eq_u32_e32 vcc, 3, v7
	s_nop 1
	v_cndmask_b32_e64 v7, 0, 1, vcc
	v_or_b32_e32 v7, v7, v9
	v_add_u32_e32 v6, v6, v7
	v_cmp_gt_i32_e32 vcc, 31, v8
	s_nop 1
	v_cndmask_b32_e32 v5, v5, v6, vcc
	v_cmp_eq_u32_e32 vcc, s20, v8
	s_nop 1
	v_cndmask_b32_e32 v2, v5, v2, vcc
	v_and_or_b32 v3, v3, s21, v2
	s_branch .LBB96_881
.LBB96_879:
	s_mov_b64 s[18:19], -1
                                        ; implicit-def: $vgpr3
	s_branch .LBB96_884
.LBB96_880:
	s_mov_b64 s[18:19], -1
                                        ; implicit-def: $vgpr3
.LBB96_881:
	s_andn2_b64 vcc, exec, s[18:19]
	s_cbranch_vccnz .LBB96_883
; %bb.882:
	global_load_dword v2, v[0:1], off
	s_waitcnt vmcnt(0)
	v_cvt_f16_f32_e32 v3, v2
.LBB96_883:
	s_mov_b64 s[18:19], 0
.LBB96_884:
	s_andn2_b64 vcc, exec, s[18:19]
	s_cbranch_vccnz .LBB96_886
; %bb.885:
	global_load_ushort v3, v[0:1], off
.LBB96_886:
	s_cbranch_execnz .LBB96_905
.LBB96_887:
	s_sext_i32_i16 s18, s42
	s_cmp_lt_i32 s18, 2
	s_cbranch_scc1 .LBB96_891
; %bb.888:
	s_cmp_lt_i32 s18, 3
	s_cbranch_scc1 .LBB96_892
; %bb.889:
	s_cmp_gt_i32 s18, 3
	s_cbranch_scc0 .LBB96_893
; %bb.890:
	global_load_dwordx2 v[2:3], v[0:1], off
	s_mov_b64 s[18:19], 0
	s_waitcnt vmcnt(0)
	v_xor_b32_e32 v6, v2, v3
	v_ffbh_i32_e32 v5, v3
	v_ashrrev_i32_e32 v6, 31, v6
	v_add_u32_e32 v5, -1, v5
	v_add_u32_e32 v6, 32, v6
	v_min_u32_e32 v5, v5, v6
	v_lshlrev_b64 v[2:3], v5, v[2:3]
	v_min_u32_e32 v2, 1, v2
	v_or_b32_e32 v2, v3, v2
	v_cvt_f32_i32_e32 v2, v2
	v_sub_u32_e32 v3, 32, v5
	v_ldexp_f32 v2, v2, v3
	v_cvt_f16_f32_e32 v3, v2
	s_branch .LBB96_894
.LBB96_891:
                                        ; implicit-def: $vgpr3
	s_branch .LBB96_900
.LBB96_892:
	s_mov_b64 s[18:19], -1
                                        ; implicit-def: $vgpr3
	s_branch .LBB96_897
.LBB96_893:
	s_mov_b64 s[18:19], -1
                                        ; implicit-def: $vgpr3
.LBB96_894:
	s_andn2_b64 vcc, exec, s[18:19]
	s_cbranch_vccnz .LBB96_896
; %bb.895:
	global_load_dword v2, v[0:1], off
	s_waitcnt vmcnt(0)
	v_cvt_f32_i32_e32 v2, v2
	v_cvt_f16_f32_e32 v3, v2
.LBB96_896:
	s_mov_b64 s[18:19], 0
.LBB96_897:
	s_andn2_b64 vcc, exec, s[18:19]
	s_cbranch_vccnz .LBB96_899
; %bb.898:
	global_load_ushort v2, v[0:1], off
	s_waitcnt vmcnt(0)
	v_cvt_f16_i16_e32 v3, v2
.LBB96_899:
	s_cbranch_execnz .LBB96_905
.LBB96_900:
	s_sext_i32_i16 s18, s42
	s_cmp_gt_i32 s18, 0
	s_cbranch_scc0 .LBB96_902
; %bb.901:
	global_load_sbyte v2, v[0:1], off
	s_mov_b64 s[18:19], 0
	s_waitcnt vmcnt(0)
	v_cvt_f16_i16_e32 v3, v2
	s_branch .LBB96_903
.LBB96_902:
	s_mov_b64 s[18:19], -1
                                        ; implicit-def: $vgpr3
.LBB96_903:
	s_andn2_b64 vcc, exec, s[18:19]
	s_cbranch_vccnz .LBB96_905
; %bb.904:
	global_load_ubyte v0, v[0:1], off
	s_waitcnt vmcnt(0)
	v_cvt_f16_u16_e32 v3, v0
.LBB96_905:
	s_or_b64 s[0:1], s[0:1], exec
.LBB96_906:
	s_or_b64 exec, exec, s[14:15]
	s_mov_b64 s[20:21], 0
	s_mov_b64 s[18:19], 0
                                        ; implicit-def: $sgpr26
                                        ; implicit-def: $vgpr0_vgpr1
                                        ; implicit-def: $vgpr2
	s_and_saveexec_b64 s[14:15], s[0:1]
	s_cbranch_execz .LBB96_924
; %bb.907:
	s_waitcnt vmcnt(0)
	v_cvt_f32_f16_e32 v0, v3
	s_mov_b32 s0, 0x3fb8aa3b
	s_mov_b32 s1, 0x32a5705f
	s_and_b32 s26, s33, 0xff
	v_mul_f32_e32 v1, 0x3fb8aa3b, v0
	v_rndne_f32_e32 v2, v1
	v_fma_mix_f32 v5, v3, s0, -v1 op_sel_hi:[1,0,0]
	v_sub_f32_e32 v1, v1, v2
	v_fma_mix_f32 v3, v3, s1, v5 op_sel_hi:[1,0,0]
	v_cvt_i32_f32_e32 v2, v2
	v_add_f32_e32 v1, v1, v3
	v_exp_f32_e32 v1, v1
	s_mov_b32 s0, 0xc2ce8ed0
	v_cmp_ngt_f32_e32 vcc, s0, v0
	s_mov_b32 s0, 0x42b17218
	v_ldexp_f32 v1, v1, v2
	v_cndmask_b32_e32 v1, 0, v1, vcc
	v_mov_b32_e32 v2, 0x7f800000
	v_cmp_nlt_f32_e32 vcc, s0, v0
	s_cmp_lt_i32 s26, 11
	s_nop 0
	v_cndmask_b32_e32 v0, v2, v1, vcc
	v_cvt_f16_f32_e32 v2, v0
	v_mul_lo_u32 v0, v4, s8
	v_ashrrev_i32_e32 v1, 31, v0
	v_lshl_add_u64 v[0:1], s[4:5], 0, v[0:1]
	s_cbranch_scc1 .LBB96_927
; %bb.908:
	s_and_b32 s27, 0xffff, s26
	s_mov_b64 s[20:21], -1
	s_cmp_gt_i32 s27, 25
	s_mov_b64 s[0:1], s[12:13]
	s_cbranch_scc0 .LBB96_945
; %bb.909:
	s_mov_b64 s[18:19], -1
	s_cmp_gt_i32 s27, 28
	s_mov_b64 s[0:1], s[12:13]
	s_cbranch_scc0 .LBB96_929
; %bb.910:
	s_cmp_gt_i32 s27, 43
	s_mov_b64 s[0:1], s[12:13]
	s_cbranch_scc0 .LBB96_921
; %bb.911:
	;; [unrolled: 4-line block ×3, first 2 shown]
	s_cmp_eq_u32 s27, 46
	s_mov_b64 s[0:1], -1
	s_cbranch_scc0 .LBB96_914
; %bb.913:
	v_cvt_f32_f16_e32 v3, v2
	s_movk_i32 s0, 0x7fff
	v_cmp_o_f16_e32 vcc, v2, v2
	v_mov_b32_e32 v4, 0x7fc0
	v_bfe_u32 v5, v3, 16, 1
	v_add3_u32 v3, v3, v5, s0
	v_cndmask_b32_sdwa v3, v4, v3, vcc dst_sel:DWORD dst_unused:UNUSED_PAD src0_sel:DWORD src1_sel:WORD_1
	global_store_dword v[0:1], v3, off
	s_mov_b64 s[0:1], 0
.LBB96_914:
	s_mov_b64 s[18:19], 0
.LBB96_915:
	s_and_b64 vcc, exec, s[18:19]
	s_cbranch_vccz .LBB96_920
; %bb.916:
	s_cmp_eq_u32 s27, 44
	s_mov_b64 s[0:1], -1
	s_cbranch_scc0 .LBB96_920
; %bb.917:
	v_cvt_f32_f16_e32 v3, v2
	s_movk_i32 s0, 0xff
	v_mov_b32_e32 v5, 0xff
	v_bfe_u32 v4, v3, 23, 8
	v_cmp_ne_u32_e32 vcc, s0, v4
	s_and_saveexec_b64 s[18:19], vcc
; %bb.918:
	s_mov_b32 s0, 0x3fffff
	v_lshrrev_b32_e32 v5, 23, v3
	v_and_b32_e32 v6, 0x400000, v3
	v_and_or_b32 v3, v3, s0, v4
	v_cmp_ne_u32_e32 vcc, 0, v6
	v_cmp_ne_u32_e64 s[0:1], 0, v3
	s_and_b64 s[0:1], vcc, s[0:1]
	s_nop 0
	v_cndmask_b32_e64 v3, 0, 1, s[0:1]
	v_add_u32_e32 v5, v5, v3
; %bb.919:
	s_or_b64 exec, exec, s[18:19]
	s_mov_b64 s[0:1], 0
	global_store_byte v[0:1], v5, off
.LBB96_920:
	s_mov_b64 s[18:19], 0
.LBB96_921:
	s_and_b64 vcc, exec, s[18:19]
	s_cbranch_vccz .LBB96_928
; %bb.922:
	s_cmp_eq_u32 s27, 29
	s_mov_b64 s[0:1], -1
	s_cbranch_scc0 .LBB96_928
; %bb.923:
	v_cvt_f32_f16_e32 v3, v2
	v_mov_b32_e32 v5, 0
	s_mov_b64 s[0:1], 0
	s_mov_b64 s[18:19], 0
	v_cvt_u32_f32_e32 v4, v3
	global_store_dwordx2 v[0:1], v[4:5], off
	s_branch .LBB96_929
.LBB96_924:
	s_or_b64 exec, exec, s[14:15]
	s_and_saveexec_b64 s[0:1], s[12:13]
	s_cbranch_execnz .LBB96_987
.LBB96_925:
	s_or_b64 exec, exec, s[0:1]
	s_and_saveexec_b64 s[0:1], s[20:21]
	s_xor_b64 s[0:1], exec, s[0:1]
	s_cbranch_execz .LBB96_988
.LBB96_926:
	s_waitcnt vmcnt(0)
	v_cmp_neq_f16_e32 vcc, 0, v2
	s_nop 1
	v_cndmask_b32_e64 v3, 0, 1, vcc
	global_store_byte v[0:1], v3, off
	s_or_b64 exec, exec, s[0:1]
	s_and_saveexec_b64 s[0:1], s[18:19]
	s_xor_b64 s[0:1], exec, s[0:1]
	s_cbranch_execz .LBB96_1026
	s_branch .LBB96_989
.LBB96_927:
	s_mov_b64 s[18:19], -1
	s_mov_b64 s[0:1], s[12:13]
	s_branch .LBB96_986
.LBB96_928:
	s_mov_b64 s[18:19], 0
.LBB96_929:
	s_and_b64 vcc, exec, s[18:19]
	s_cbranch_vccz .LBB96_944
; %bb.930:
	s_cmp_lt_i32 s27, 27
	s_mov_b64 s[18:19], -1
	s_cbranch_scc1 .LBB96_936
; %bb.931:
	s_cmp_gt_i32 s27, 27
	s_cbranch_scc0 .LBB96_933
; %bb.932:
	v_cvt_f32_f16_e32 v3, v2
	s_mov_b64 s[18:19], 0
	v_cvt_u32_f32_e32 v3, v3
	global_store_dword v[0:1], v3, off
.LBB96_933:
	s_andn2_b64 vcc, exec, s[18:19]
	s_cbranch_vccnz .LBB96_935
; %bb.934:
	v_cvt_u16_f16_e32 v3, v2
	global_store_short v[0:1], v3, off
.LBB96_935:
	s_mov_b64 s[18:19], 0
.LBB96_936:
	s_andn2_b64 vcc, exec, s[18:19]
	s_cbranch_vccnz .LBB96_944
; %bb.937:
	v_cvt_f32_f16_e32 v3, v2
	s_mov_b32 s18, 0x43800000
	v_mov_b32_e32 v5, 0x80
	v_and_b32_e32 v4, 0x7fffffff, v3
	v_cmp_gt_u32_e32 vcc, s18, v4
	s_and_saveexec_b64 s[18:19], vcc
	s_cbranch_execz .LBB96_943
; %bb.938:
	s_mov_b32 s20, 0x3bffffff
	v_cmp_lt_u32_e32 vcc, s20, v4
	s_mov_b64 s[20:21], 0
                                        ; implicit-def: $vgpr4
	s_and_saveexec_b64 s[22:23], vcc
	s_xor_b64 s[22:23], exec, s[22:23]
	s_cbranch_execz .LBB96_1041
; %bb.939:
	v_bfe_u32 v4, v3, 20, 1
	s_mov_b32 s24, 0x487ffff
	v_add3_u32 v4, v3, v4, s24
	s_mov_b64 s[20:21], exec
	v_lshrrev_b32_e32 v4, 20, v4
	s_andn2_saveexec_b64 s[22:23], s[22:23]
	s_cbranch_execnz .LBB96_1042
.LBB96_940:
	s_or_b64 exec, exec, s[22:23]
	v_mov_b32_e32 v5, 0
	s_and_saveexec_b64 s[22:23], s[20:21]
.LBB96_941:
	v_lshrrev_b32_e32 v3, 24, v3
	s_movk_i32 s20, 0x80
	v_and_or_b32 v5, v3, s20, v4
.LBB96_942:
	s_or_b64 exec, exec, s[22:23]
.LBB96_943:
	s_or_b64 exec, exec, s[18:19]
	global_store_byte v[0:1], v5, off
.LBB96_944:
	s_mov_b64 s[20:21], 0
.LBB96_945:
	s_mov_b64 s[18:19], 0
	s_and_b64 vcc, exec, s[20:21]
	s_cbranch_vccz .LBB96_985
; %bb.946:
	s_cmp_gt_i32 s27, 22
	s_mov_b64 s[20:21], -1
	s_cbranch_scc0 .LBB96_978
; %bb.947:
	s_cmp_lt_i32 s27, 24
	s_cbranch_scc1 .LBB96_967
; %bb.948:
	s_cmp_gt_i32 s27, 24
	s_cbranch_scc0 .LBB96_956
; %bb.949:
	v_cvt_f32_f16_e32 v3, v2
	s_mov_b32 s20, 0x47800000
	v_mov_b32_e32 v5, 0x80
	v_and_b32_e32 v4, 0x7fffffff, v3
	v_cmp_gt_u32_e32 vcc, s20, v4
	s_and_saveexec_b64 s[20:21], vcc
	s_cbranch_execz .LBB96_955
; %bb.950:
	s_mov_b32 s22, 0x37ffffff
	v_cmp_lt_u32_e32 vcc, s22, v4
	s_mov_b64 s[22:23], 0
                                        ; implicit-def: $vgpr4
	s_and_saveexec_b64 s[24:25], vcc
	s_xor_b64 s[24:25], exec, s[24:25]
	s_cbranch_execz .LBB96_1166
; %bb.951:
	v_bfe_u32 v4, v3, 21, 1
	s_mov_b32 s28, 0x88fffff
	v_add3_u32 v4, v3, v4, s28
	s_mov_b64 s[22:23], exec
	v_lshrrev_b32_e32 v4, 21, v4
	s_andn2_saveexec_b64 s[24:25], s[24:25]
	s_cbranch_execnz .LBB96_1167
.LBB96_952:
	s_or_b64 exec, exec, s[24:25]
	v_mov_b32_e32 v5, 0
	s_and_saveexec_b64 s[24:25], s[22:23]
.LBB96_953:
	v_lshrrev_b32_e32 v3, 24, v3
	s_movk_i32 s22, 0x80
	v_and_or_b32 v5, v3, s22, v4
.LBB96_954:
	s_or_b64 exec, exec, s[24:25]
.LBB96_955:
	s_or_b64 exec, exec, s[20:21]
	s_mov_b64 s[20:21], 0
	global_store_byte v[0:1], v5, off
.LBB96_956:
	s_and_b64 vcc, exec, s[20:21]
	s_cbranch_vccz .LBB96_966
; %bb.957:
	v_cvt_f32_f16_e32 v3, v2
	s_mov_b32 s20, 0x43f00000
                                        ; implicit-def: $vgpr4
	v_and_b32_e32 v5, 0x7fffffff, v3
	v_cmp_gt_u32_e32 vcc, s20, v5
	s_and_saveexec_b64 s[20:21], vcc
	s_xor_b64 s[20:21], exec, s[20:21]
	s_cbranch_execz .LBB96_963
; %bb.958:
	s_mov_b32 s22, 0x3c7fffff
	v_cmp_lt_u32_e32 vcc, s22, v5
                                        ; implicit-def: $vgpr4
	s_and_saveexec_b64 s[22:23], vcc
	s_xor_b64 s[22:23], exec, s[22:23]
; %bb.959:
	v_bfe_u32 v4, v3, 20, 1
	s_mov_b32 s24, 0x407ffff
	v_add3_u32 v4, v3, v4, s24
	v_lshrrev_b32_e32 v5, 20, v4
	v_and_b32_e32 v4, 0xff00000, v4
	s_mov_b32 s24, 0x7f00000
	v_mov_b32_e32 v6, 0x7e
	v_cmp_ne_u32_e32 vcc, s24, v4
	s_nop 1
	v_cndmask_b32_e32 v4, v6, v5, vcc
; %bb.960:
	s_andn2_saveexec_b64 s[22:23], s[22:23]
; %bb.961:
	s_mov_b32 s24, 0x46800000
	v_add_f32_e64 v4, |v3|, s24
; %bb.962:
	s_or_b64 exec, exec, s[22:23]
                                        ; implicit-def: $vgpr5
.LBB96_963:
	s_andn2_saveexec_b64 s[20:21], s[20:21]
; %bb.964:
	s_mov_b32 s22, 0x7f800000
	v_mov_b32_e32 v4, 0x7e
	v_mov_b32_e32 v6, 0x7f
	v_cmp_lt_u32_e32 vcc, s22, v5
	s_nop 1
	v_cndmask_b32_e32 v4, v4, v6, vcc
; %bb.965:
	s_or_b64 exec, exec, s[20:21]
	v_lshrrev_b32_e32 v3, 24, v3
	s_movk_i32 s20, 0x80
	v_and_or_b32 v3, v3, s20, v4
	global_store_byte v[0:1], v3, off
.LBB96_966:
	s_mov_b64 s[20:21], 0
.LBB96_967:
	s_andn2_b64 vcc, exec, s[20:21]
	s_cbranch_vccnz .LBB96_977
; %bb.968:
	v_cvt_f32_f16_e32 v3, v2
	s_mov_b32 s20, 0x47800000
                                        ; implicit-def: $vgpr4
	v_and_b32_e32 v5, 0x7fffffff, v3
	v_cmp_gt_u32_e32 vcc, s20, v5
	s_and_saveexec_b64 s[20:21], vcc
	s_xor_b64 s[20:21], exec, s[20:21]
	s_cbranch_execz .LBB96_974
; %bb.969:
	s_mov_b32 s22, 0x387fffff
	v_cmp_lt_u32_e32 vcc, s22, v5
                                        ; implicit-def: $vgpr4
	s_and_saveexec_b64 s[22:23], vcc
	s_xor_b64 s[22:23], exec, s[22:23]
; %bb.970:
	v_bfe_u32 v4, v3, 21, 1
	s_mov_b32 s24, 0x80fffff
	v_add3_u32 v4, v3, v4, s24
	v_lshrrev_b32_e32 v4, 21, v4
; %bb.971:
	s_andn2_saveexec_b64 s[22:23], s[22:23]
; %bb.972:
	s_mov_b32 s24, 0x43000000
	v_add_f32_e64 v4, |v3|, s24
; %bb.973:
	s_or_b64 exec, exec, s[22:23]
                                        ; implicit-def: $vgpr5
.LBB96_974:
	s_andn2_saveexec_b64 s[20:21], s[20:21]
; %bb.975:
	s_mov_b32 s22, 0x7f800000
	v_mov_b32_e32 v4, 0x7c
	v_mov_b32_e32 v6, 0x7f
	v_cmp_lt_u32_e32 vcc, s22, v5
	s_nop 1
	v_cndmask_b32_e32 v4, v4, v6, vcc
; %bb.976:
	s_or_b64 exec, exec, s[20:21]
	v_lshrrev_b32_e32 v3, 24, v3
	s_movk_i32 s20, 0x80
	v_and_or_b32 v3, v3, s20, v4
	global_store_byte v[0:1], v3, off
.LBB96_977:
	s_mov_b64 s[20:21], 0
.LBB96_978:
	s_andn2_b64 vcc, exec, s[20:21]
	s_mov_b64 s[20:21], 0
	s_cbranch_vccnz .LBB96_986
; %bb.979:
	s_cmp_gt_i32 s27, 14
	s_mov_b64 s[22:23], -1
	s_cbranch_scc0 .LBB96_983
; %bb.980:
	s_cmp_eq_u32 s27, 15
	s_mov_b64 s[0:1], -1
	s_cbranch_scc0 .LBB96_982
; %bb.981:
	v_cvt_f32_f16_e32 v3, v2
	s_movk_i32 s0, 0x7fff
	v_cmp_o_f16_e32 vcc, v2, v2
	v_mov_b32_e32 v4, 0x7fc0
	v_bfe_u32 v5, v3, 16, 1
	v_add3_u32 v3, v3, v5, s0
	v_cndmask_b32_sdwa v3, v4, v3, vcc dst_sel:DWORD dst_unused:UNUSED_PAD src0_sel:DWORD src1_sel:WORD_1
	global_store_short v[0:1], v3, off
	s_mov_b64 s[0:1], 0
.LBB96_982:
	s_mov_b64 s[22:23], 0
.LBB96_983:
	s_and_b64 vcc, exec, s[22:23]
	s_cbranch_vccz .LBB96_986
; %bb.984:
	s_cmp_lg_u32 s27, 11
	s_cselect_b64 s[22:23], -1, 0
	s_andn2_b64 s[0:1], s[0:1], exec
	s_and_b64 s[22:23], s[22:23], exec
	s_mov_b64 s[20:21], -1
	s_or_b64 s[0:1], s[0:1], s[22:23]
	s_branch .LBB96_986
.LBB96_985:
	s_mov_b64 s[20:21], 0
.LBB96_986:
	s_andn2_b64 s[12:13], s[12:13], exec
	s_and_b64 s[0:1], s[0:1], exec
	s_and_b64 s[18:19], s[18:19], exec
	s_and_b64 s[20:21], s[20:21], exec
	s_or_b64 s[12:13], s[12:13], s[0:1]
	s_or_b64 exec, exec, s[14:15]
	s_and_saveexec_b64 s[0:1], s[12:13]
	s_cbranch_execz .LBB96_925
.LBB96_987:
	s_or_b64 s[16:17], s[16:17], exec
	s_andn2_b64 s[20:21], s[20:21], exec
	s_trap 2
	s_or_b64 exec, exec, s[0:1]
	s_and_saveexec_b64 s[0:1], s[20:21]
	s_xor_b64 s[0:1], exec, s[0:1]
	s_cbranch_execnz .LBB96_926
.LBB96_988:
	s_or_b64 exec, exec, s[0:1]
	s_and_saveexec_b64 s[0:1], s[18:19]
	s_xor_b64 s[0:1], exec, s[0:1]
	s_cbranch_execz .LBB96_1026
.LBB96_989:
	s_sext_i32_i16 s14, s26
	s_cmp_lt_i32 s14, 5
	s_mov_b64 s[12:13], -1
	s_cbranch_scc1 .LBB96_1010
; %bb.990:
	s_cmp_lt_i32 s14, 8
	s_cbranch_scc1 .LBB96_1000
; %bb.991:
	s_cmp_lt_i32 s14, 9
	s_cbranch_scc1 .LBB96_997
; %bb.992:
	s_cmp_gt_i32 s14, 9
	s_cbranch_scc0 .LBB96_994
; %bb.993:
	s_waitcnt vmcnt(0)
	v_cvt_f32_f16_e32 v3, v2
	v_mov_b32_e32 v6, 0
	v_mov_b32_e32 v7, v6
	s_mov_b64 s[12:13], 0
	v_cvt_f64_f32_e32 v[4:5], v3
	global_store_dwordx4 v[0:1], v[4:7], off
.LBB96_994:
	s_andn2_b64 vcc, exec, s[12:13]
	s_cbranch_vccnz .LBB96_996
; %bb.995:
	s_waitcnt vmcnt(0)
	v_cvt_f32_f16_e32 v4, v2
	v_mov_b32_e32 v5, 0
	global_store_dwordx2 v[0:1], v[4:5], off
.LBB96_996:
	s_mov_b64 s[12:13], 0
.LBB96_997:
	s_andn2_b64 vcc, exec, s[12:13]
	s_cbranch_vccnz .LBB96_999
; %bb.998:
	s_waitcnt vmcnt(0)
	v_and_b32_e32 v3, 0xffff, v2
	global_store_dword v[0:1], v3, off
.LBB96_999:
	s_mov_b64 s[12:13], 0
.LBB96_1000:
	s_andn2_b64 vcc, exec, s[12:13]
	s_cbranch_vccnz .LBB96_1009
; %bb.1001:
	s_sext_i32_i16 s14, s26
	s_cmp_lt_i32 s14, 6
	s_mov_b64 s[12:13], -1
	s_cbranch_scc1 .LBB96_1007
; %bb.1002:
	s_cmp_gt_i32 s14, 6
	s_cbranch_scc0 .LBB96_1004
; %bb.1003:
	s_waitcnt vmcnt(0)
	v_cvt_f32_f16_e32 v3, v2
	s_mov_b64 s[12:13], 0
	v_cvt_f64_f32_e32 v[4:5], v3
	global_store_dwordx2 v[0:1], v[4:5], off
.LBB96_1004:
	s_andn2_b64 vcc, exec, s[12:13]
	s_cbranch_vccnz .LBB96_1006
; %bb.1005:
	s_waitcnt vmcnt(0)
	v_cvt_f32_f16_e32 v3, v2
	global_store_dword v[0:1], v3, off
.LBB96_1006:
	s_mov_b64 s[12:13], 0
.LBB96_1007:
	s_andn2_b64 vcc, exec, s[12:13]
	s_cbranch_vccnz .LBB96_1009
; %bb.1008:
	s_waitcnt vmcnt(0)
	global_store_short v[0:1], v2, off
.LBB96_1009:
	s_mov_b64 s[12:13], 0
.LBB96_1010:
	s_andn2_b64 vcc, exec, s[12:13]
	s_cbranch_vccnz .LBB96_1026
; %bb.1011:
	s_sext_i32_i16 s14, s26
	s_cmp_lt_i32 s14, 2
	s_mov_b64 s[12:13], -1
	s_cbranch_scc1 .LBB96_1021
; %bb.1012:
	s_cmp_lt_i32 s14, 3
	s_cbranch_scc1 .LBB96_1018
; %bb.1013:
	s_cmp_gt_i32 s14, 3
	s_cbranch_scc0 .LBB96_1015
; %bb.1014:
	s_waitcnt vmcnt(0)
	v_cvt_f32_f16_e32 v3, v2
	s_mov_b64 s[12:13], 0
	v_cvt_i32_f32_e32 v4, v3
	v_ashrrev_i32_e32 v5, 31, v4
	global_store_dwordx2 v[0:1], v[4:5], off
.LBB96_1015:
	s_andn2_b64 vcc, exec, s[12:13]
	s_cbranch_vccnz .LBB96_1017
; %bb.1016:
	s_waitcnt vmcnt(0)
	v_cvt_f32_f16_e32 v3, v2
	v_cvt_i32_f32_e32 v3, v3
	global_store_dword v[0:1], v3, off
.LBB96_1017:
	s_mov_b64 s[12:13], 0
.LBB96_1018:
	s_andn2_b64 vcc, exec, s[12:13]
	s_cbranch_vccnz .LBB96_1020
; %bb.1019:
	s_waitcnt vmcnt(0)
	v_cvt_i16_f16_e32 v3, v2
	global_store_short v[0:1], v3, off
.LBB96_1020:
	s_mov_b64 s[12:13], 0
.LBB96_1021:
	s_andn2_b64 vcc, exec, s[12:13]
	s_cbranch_vccnz .LBB96_1026
; %bb.1022:
	s_sext_i32_i16 s12, s26
	s_cmp_gt_i32 s12, 0
	s_mov_b64 s[12:13], -1
	s_cbranch_scc0 .LBB96_1024
; %bb.1023:
	s_waitcnt vmcnt(0)
	v_cvt_i16_f16_e32 v3, v2
	s_mov_b64 s[12:13], 0
	global_store_byte v[0:1], v3, off
.LBB96_1024:
	s_andn2_b64 vcc, exec, s[12:13]
	s_cbranch_vccnz .LBB96_1026
; %bb.1025:
	s_waitcnt vmcnt(0)
	v_cvt_f32_f16_e32 v2, v2
	v_cvt_i32_f32_e32 v2, v2
	global_store_byte v[0:1], v2, off
.LBB96_1026:
	s_or_b64 exec, exec, s[0:1]
	s_and_b64 s[12:13], s[16:17], exec
                                        ; implicit-def: $vgpr4
.LBB96_1027:
	s_or_saveexec_b64 s[2:3], s[2:3]
	s_mov_b64 s[0:1], 0
                                        ; implicit-def: $sgpr20
                                        ; implicit-def: $vgpr0_vgpr1
                                        ; implicit-def: $vgpr2
	s_xor_b64 exec, exec, s[2:3]
	s_cbranch_execz .LBB96_1975
; %bb.1028:
	v_mul_lo_u32 v0, s9, v4
	v_ashrrev_i32_e32 v1, 31, v0
	s_and_b32 s22, 0xffff, s42
	s_cmp_lt_i32 s22, 11
	s_waitcnt vmcnt(0)
	v_lshl_add_u64 v[2:3], s[6:7], 0, v[0:1]
	s_cbranch_scc1 .LBB96_1035
; %bb.1029:
	s_cmp_gt_i32 s22, 25
	s_cbranch_scc0 .LBB96_1037
; %bb.1030:
	s_cmp_gt_i32 s22, 28
	s_cbranch_scc0 .LBB96_1038
	;; [unrolled: 3-line block ×4, first 2 shown]
; %bb.1033:
	s_cmp_eq_u32 s22, 46
	s_mov_b64 s[14:15], 0
	s_cbranch_scc0 .LBB96_1043
; %bb.1034:
	global_load_dword v1, v[2:3], off
	s_mov_b64 s[16:17], -1
	s_waitcnt vmcnt(0)
	v_lshlrev_b32_e32 v1, 16, v1
	v_cvt_f16_f32_e32 v5, v1
	s_branch .LBB96_1044
.LBB96_1035:
	s_mov_b64 s[16:17], 0
                                        ; implicit-def: $vgpr5
	s_mov_b64 s[14:15], s[12:13]
	s_cbranch_execnz .LBB96_1107
.LBB96_1036:
	s_andn2_b64 vcc, exec, s[16:17]
	s_cbranch_vccz .LBB96_1152
	s_branch .LBB96_1973
.LBB96_1037:
	s_mov_b64 s[16:17], 0
                                        ; implicit-def: $vgpr5
	s_cbranch_execnz .LBB96_1072
	s_branch .LBB96_1103
.LBB96_1038:
	s_mov_b64 s[14:15], -1
	s_mov_b64 s[16:17], 0
                                        ; implicit-def: $vgpr5
	s_branch .LBB96_1053
.LBB96_1039:
	s_mov_b64 s[16:17], 0
                                        ; implicit-def: $vgpr5
	s_cbranch_execnz .LBB96_1049
	s_branch .LBB96_1052
.LBB96_1040:
	s_mov_b64 s[14:15], -1
	s_mov_b64 s[16:17], 0
                                        ; implicit-def: $vgpr5
	s_branch .LBB96_1044
.LBB96_1041:
	s_andn2_saveexec_b64 s[22:23], s[22:23]
	s_cbranch_execz .LBB96_940
.LBB96_1042:
	s_mov_b32 s24, 0x46000000
	v_add_f32_e64 v4, |v3|, s24
	v_and_b32_e32 v4, 0xff, v4
	v_cmp_ne_u32_e32 vcc, 0, v4
	s_andn2_b64 s[20:21], s[20:21], exec
	s_and_b64 s[24:25], vcc, exec
	s_or_b64 s[20:21], s[20:21], s[24:25]
	s_or_b64 exec, exec, s[22:23]
	v_mov_b32_e32 v5, 0
	s_and_saveexec_b64 s[22:23], s[20:21]
	s_cbranch_execnz .LBB96_941
	s_branch .LBB96_942
.LBB96_1043:
	s_mov_b64 s[0:1], -1
                                        ; implicit-def: $vgpr5
	s_mov_b64 s[16:17], 0
.LBB96_1044:
	s_and_b64 vcc, exec, s[14:15]
	s_cbranch_vccz .LBB96_1047
; %bb.1045:
	s_cmp_eq_u32 s22, 44
	s_cbranch_scc0 .LBB96_1048
; %bb.1046:
	global_load_ubyte v1, v[2:3], off
	s_movk_i32 s14, 0xff
	v_mov_b32_e32 v6, 0x7e00
	s_mov_b64 s[0:1], 0
	s_mov_b64 s[16:17], -1
	s_waitcnt vmcnt(0)
	v_lshlrev_b32_e32 v5, 23, v1
	v_cvt_f16_f32_e32 v5, v5
	v_cmp_ne_u32_e32 vcc, s14, v1
	s_nop 1
	v_cndmask_b32_e32 v5, v6, v5, vcc
	v_cmp_ne_u32_e32 vcc, 0, v1
	s_nop 1
	v_cndmask_b32_e32 v5, 0, v5, vcc
.LBB96_1047:
	s_branch .LBB96_1052
.LBB96_1048:
	s_mov_b64 s[0:1], -1
                                        ; implicit-def: $vgpr5
	s_branch .LBB96_1052
.LBB96_1049:
	s_cmp_eq_u32 s22, 29
	s_cbranch_scc0 .LBB96_1051
; %bb.1050:
	global_load_dwordx2 v[6:7], v[2:3], off
	s_mov_b64 s[0:1], 0
	s_mov_b64 s[16:17], -1
	s_mov_b64 s[14:15], 0
	s_waitcnt vmcnt(0)
	v_ffbh_u32_e32 v1, v7
	v_min_u32_e32 v1, 32, v1
	v_lshlrev_b64 v[6:7], v1, v[6:7]
	v_min_u32_e32 v5, 1, v6
	v_or_b32_e32 v5, v7, v5
	v_cvt_f32_u32_e32 v5, v5
	v_sub_u32_e32 v1, 32, v1
	v_ldexp_f32 v1, v5, v1
	v_cvt_f16_f32_e32 v5, v1
	s_branch .LBB96_1053
.LBB96_1051:
	s_mov_b64 s[0:1], -1
                                        ; implicit-def: $vgpr5
.LBB96_1052:
	s_mov_b64 s[14:15], 0
.LBB96_1053:
	s_and_b64 vcc, exec, s[14:15]
	s_cbranch_vccz .LBB96_1071
; %bb.1054:
	s_cmp_lt_i32 s22, 27
	s_cbranch_scc1 .LBB96_1057
; %bb.1055:
	s_cmp_gt_i32 s22, 27
	s_cbranch_scc0 .LBB96_1058
; %bb.1056:
	global_load_dword v1, v[2:3], off
	s_mov_b64 s[14:15], 0
	s_waitcnt vmcnt(0)
	v_cvt_f32_u32_e32 v1, v1
	v_cvt_f16_f32_e32 v5, v1
	s_branch .LBB96_1059
.LBB96_1057:
	s_mov_b64 s[14:15], -1
                                        ; implicit-def: $vgpr5
	s_branch .LBB96_1062
.LBB96_1058:
	s_mov_b64 s[14:15], -1
                                        ; implicit-def: $vgpr5
.LBB96_1059:
	s_andn2_b64 vcc, exec, s[14:15]
	s_cbranch_vccnz .LBB96_1061
; %bb.1060:
	global_load_ushort v1, v[2:3], off
	s_waitcnt vmcnt(0)
	v_cvt_f16_u16_e32 v5, v1
.LBB96_1061:
	s_mov_b64 s[14:15], 0
.LBB96_1062:
	s_andn2_b64 vcc, exec, s[14:15]
	s_cbranch_vccnz .LBB96_1070
; %bb.1063:
	global_load_ubyte v1, v[2:3], off
	s_movk_i32 s14, 0x7f
	s_waitcnt vmcnt(0)
	v_cmp_lt_i16_e32 vcc, s14, v1
	s_mov_b64 s[14:15], 0
	s_and_saveexec_b64 s[16:17], vcc
	s_xor_b64 s[16:17], exec, s[16:17]
	s_cbranch_execz .LBB96_1083
; %bb.1064:
	s_movk_i32 s14, 0x80
	v_cmp_eq_u16_e32 vcc, s14, v1
	s_mov_b64 s[14:15], -1
	s_and_saveexec_b64 s[18:19], vcc
; %bb.1065:
	s_xor_b64 s[14:15], exec, -1
; %bb.1066:
	s_or_b64 exec, exec, s[18:19]
	s_and_b64 s[14:15], s[14:15], exec
	s_or_saveexec_b64 s[16:17], s[16:17]
	v_mov_b32_e32 v5, 0x7e00
	s_xor_b64 exec, exec, s[16:17]
	s_cbranch_execnz .LBB96_1084
.LBB96_1067:
	s_or_b64 exec, exec, s[16:17]
	s_and_saveexec_b64 s[16:17], s[14:15]
	s_cbranch_execz .LBB96_1069
.LBB96_1068:
	v_lshlrev_b32_e32 v5, 24, v1
	v_and_b32_e32 v1, 0xffff, v1
	v_and_b32_e32 v6, 7, v1
	v_ffbh_u32_e32 v8, v6
	v_min_u32_e32 v8, 32, v8
	v_subrev_u32_e32 v9, 28, v8
	v_bfe_u32 v7, v1, 3, 4
	v_lshlrev_b32_e32 v1, v9, v1
	v_sub_u32_e32 v8, 29, v8
	v_and_b32_e32 v1, 7, v1
	v_cmp_eq_u32_e32 vcc, 0, v7
	v_and_b32_e32 v5, 0x80000000, v5
	s_nop 0
	v_cndmask_b32_e32 v7, v7, v8, vcc
	v_cndmask_b32_e32 v1, v6, v1, vcc
	v_mov_b32_e32 v6, 0x3b800000
	v_lshlrev_b32_e32 v1, 20, v1
	v_lshl_add_u32 v6, v7, 23, v6
	v_or3_b32 v1, v5, v6, v1
	v_cvt_f16_f32_e32 v5, v1
.LBB96_1069:
	s_or_b64 exec, exec, s[16:17]
.LBB96_1070:
	s_mov_b64 s[16:17], -1
.LBB96_1071:
	s_branch .LBB96_1103
.LBB96_1072:
	s_cmp_gt_i32 s22, 22
	s_cbranch_scc0 .LBB96_1082
; %bb.1073:
	s_cmp_lt_i32 s22, 24
	s_cbranch_scc1 .LBB96_1085
; %bb.1074:
	s_cmp_gt_i32 s22, 24
	s_cbranch_scc0 .LBB96_1086
; %bb.1075:
	global_load_ubyte v1, v[2:3], off
	s_movk_i32 s10, 0x7f
	s_waitcnt vmcnt(0)
	v_cmp_lt_i16_e32 vcc, s10, v1
	s_mov_b64 s[10:11], 0
	s_and_saveexec_b64 s[14:15], vcc
	s_xor_b64 s[14:15], exec, s[14:15]
	s_cbranch_execz .LBB96_1097
; %bb.1076:
	s_movk_i32 s10, 0x80
	v_cmp_eq_u16_e32 vcc, s10, v1
	s_mov_b64 s[10:11], -1
	s_and_saveexec_b64 s[16:17], vcc
; %bb.1077:
	s_xor_b64 s[10:11], exec, -1
; %bb.1078:
	s_or_b64 exec, exec, s[16:17]
	s_and_b64 s[10:11], s[10:11], exec
	s_or_saveexec_b64 s[14:15], s[14:15]
	v_mov_b32_e32 v5, 0x7e00
	s_xor_b64 exec, exec, s[14:15]
	s_cbranch_execnz .LBB96_1098
.LBB96_1079:
	s_or_b64 exec, exec, s[14:15]
	s_and_saveexec_b64 s[14:15], s[10:11]
	s_cbranch_execz .LBB96_1081
.LBB96_1080:
	v_lshlrev_b32_e32 v5, 24, v1
	v_and_b32_e32 v1, 0xffff, v1
	v_and_b32_e32 v6, 3, v1
	v_ffbh_u32_e32 v8, v6
	v_min_u32_e32 v8, 32, v8
	v_subrev_u32_e32 v9, 29, v8
	v_bfe_u32 v7, v1, 2, 5
	v_lshlrev_b32_e32 v1, v9, v1
	v_sub_u32_e32 v8, 30, v8
	v_and_b32_e32 v1, 3, v1
	v_cmp_eq_u32_e32 vcc, 0, v7
	v_and_b32_e32 v5, 0x80000000, v5
	s_nop 0
	v_cndmask_b32_e32 v7, v7, v8, vcc
	v_cndmask_b32_e32 v1, v6, v1, vcc
	v_mov_b32_e32 v6, 0x37800000
	v_lshlrev_b32_e32 v1, 21, v1
	v_lshl_add_u32 v6, v7, 23, v6
	v_or3_b32 v1, v5, v6, v1
	v_cvt_f16_f32_e32 v5, v1
.LBB96_1081:
	s_or_b64 exec, exec, s[14:15]
	s_mov_b64 s[10:11], 0
	s_branch .LBB96_1087
.LBB96_1082:
                                        ; implicit-def: $vgpr5
	s_mov_b64 s[10:11], 0
	s_branch .LBB96_1093
.LBB96_1083:
	s_or_saveexec_b64 s[16:17], s[16:17]
	v_mov_b32_e32 v5, 0x7e00
	s_xor_b64 exec, exec, s[16:17]
	s_cbranch_execz .LBB96_1067
.LBB96_1084:
	v_cmp_ne_u16_e32 vcc, 0, v1
	s_andn2_b64 s[14:15], s[14:15], exec
	s_and_b64 s[18:19], vcc, exec
	s_or_b64 s[14:15], s[14:15], s[18:19]
	v_mov_b32_e32 v5, v1
	s_or_b64 exec, exec, s[16:17]
	s_and_saveexec_b64 s[16:17], s[14:15]
	s_cbranch_execnz .LBB96_1068
	s_branch .LBB96_1069
.LBB96_1085:
	s_mov_b64 s[10:11], -1
                                        ; implicit-def: $vgpr5
	s_branch .LBB96_1090
.LBB96_1086:
	s_mov_b64 s[10:11], -1
                                        ; implicit-def: $vgpr5
.LBB96_1087:
	s_and_b64 vcc, exec, s[10:11]
	s_cbranch_vccz .LBB96_1089
; %bb.1088:
	global_load_ubyte v1, v[2:3], off
	s_mov_b32 s10, 0x7f800000
	s_waitcnt vmcnt(0)
	v_lshlrev_b32_e32 v1, 24, v1
	v_and_b32_e32 v5, 0x7f000000, v1
	v_ffbh_u32_e32 v6, v5
	v_min_u32_e32 v6, 32, v6
	v_sub_u32_e64 v6, v6, 4 clamp
	v_lshlrev_b32_e32 v8, v6, v5
	v_lshlrev_b32_e32 v6, 23, v6
	v_lshrrev_b32_e32 v8, 4, v8
	v_add_u32_e32 v7, 0x1000000, v5
	v_sub_u32_e32 v6, v8, v6
	v_ashrrev_i32_e32 v7, 8, v7
	v_add_u32_e32 v6, 0x3c000000, v6
	v_and_or_b32 v6, v7, s10, v6
	v_cmp_ne_u32_e32 vcc, 0, v5
	s_brev_b32 s10, 1
	s_nop 0
	v_cndmask_b32_e32 v5, 0, v6, vcc
	v_and_or_b32 v1, v1, s10, v5
	v_cvt_f16_f32_e32 v5, v1
.LBB96_1089:
	s_mov_b64 s[10:11], 0
.LBB96_1090:
	s_andn2_b64 vcc, exec, s[10:11]
	s_cbranch_vccnz .LBB96_1092
; %bb.1091:
	global_load_ubyte v1, v[2:3], off
	s_movk_i32 s10, 0x7f00
	s_brev_b32 s11, 16
	s_waitcnt vmcnt(0)
	v_lshlrev_b16_e32 v5, 8, v1
	v_lshlrev_b32_e32 v1, 25, v1
	v_lshrrev_b32_e32 v6, 4, v1
	v_and_or_b32 v7, v5, s10, 0.5
	v_or_b32_e32 v6, 0x70000000, v6
	v_add_f32_e32 v7, -0.5, v7
	v_mul_f32_e32 v6, 0x7800000, v6
	v_cmp_gt_u32_e32 vcc, s11, v1
	v_bfe_i32 v5, v5, 0, 16
	s_brev_b32 s10, 1
	v_cndmask_b32_e32 v1, v6, v7, vcc
	v_and_or_b32 v1, v5, s10, v1
	v_cvt_f16_f32_e32 v5, v1
.LBB96_1092:
	s_mov_b64 s[16:17], -1
	s_mov_b64 s[10:11], 0
	s_cbranch_execnz .LBB96_1103
.LBB96_1093:
	s_cmp_gt_i32 s22, 14
	s_cbranch_scc0 .LBB96_1096
; %bb.1094:
	s_cmp_eq_u32 s22, 15
	s_cbranch_scc0 .LBB96_1099
; %bb.1095:
	global_load_ushort v1, v[2:3], off
	s_mov_b64 s[0:1], 0
	s_mov_b64 s[16:17], -1
	s_waitcnt vmcnt(0)
	v_lshlrev_b32_e32 v1, 16, v1
	v_cvt_f16_f32_e32 v5, v1
	s_branch .LBB96_1100
.LBB96_1096:
	s_mov_b64 s[14:15], -1
                                        ; implicit-def: $vgpr5
	s_branch .LBB96_1101
.LBB96_1097:
	s_or_saveexec_b64 s[14:15], s[14:15]
	v_mov_b32_e32 v5, 0x7e00
	s_xor_b64 exec, exec, s[14:15]
	s_cbranch_execz .LBB96_1079
.LBB96_1098:
	v_cmp_ne_u16_e32 vcc, 0, v1
	s_andn2_b64 s[10:11], s[10:11], exec
	s_and_b64 s[16:17], vcc, exec
	s_or_b64 s[10:11], s[10:11], s[16:17]
	v_mov_b32_e32 v5, v1
	s_or_b64 exec, exec, s[14:15]
	s_and_saveexec_b64 s[14:15], s[10:11]
	s_cbranch_execnz .LBB96_1080
	s_branch .LBB96_1081
.LBB96_1099:
	s_mov_b64 s[0:1], -1
                                        ; implicit-def: $vgpr5
.LBB96_1100:
	s_mov_b64 s[14:15], 0
.LBB96_1101:
	s_and_b64 vcc, exec, s[14:15]
	s_cbranch_vccz .LBB96_1103
; %bb.1102:
	s_cmp_lg_u32 s22, 11
	s_mov_b64 s[10:11], -1
	s_cselect_b64 s[0:1], -1, 0
.LBB96_1103:
	s_and_b64 vcc, exec, s[0:1]
	s_mov_b64 s[14:15], s[12:13]
	s_cbranch_vccnz .LBB96_1164
; %bb.1104:
	s_andn2_b64 vcc, exec, s[10:11]
	s_cbranch_vccnz .LBB96_1106
.LBB96_1105:
	global_load_ubyte v1, v[2:3], off
	v_mov_b32_e32 v5, 0x3c00
	s_mov_b64 s[16:17], -1
	s_waitcnt vmcnt(0)
	v_cmp_ne_u16_e32 vcc, 0, v1
	s_nop 1
	v_cndmask_b32_e32 v5, 0, v5, vcc
.LBB96_1106:
	s_branch .LBB96_1036
.LBB96_1107:
	s_cmp_lt_i32 s22, 5
	s_cbranch_scc1 .LBB96_1112
; %bb.1108:
	s_cmp_lt_i32 s22, 8
	s_cbranch_scc1 .LBB96_1113
; %bb.1109:
	;; [unrolled: 3-line block ×3, first 2 shown]
	s_cmp_gt_i32 s22, 9
	s_cbranch_scc0 .LBB96_1115
; %bb.1111:
	global_load_dwordx2 v[6:7], v[2:3], off
	s_movk_i32 s0, 0x1ff
	s_movk_i32 s1, 0xffe
	v_mov_b32_e32 v1, 0x7c00
	v_mov_b32_e32 v5, 0x7e00
	s_movk_i32 s10, 0x40f
	s_mov_b32 s11, 0x8000
	s_waitcnt vmcnt(0)
	v_and_or_b32 v6, v7, s0, v6
	v_cmp_ne_u32_e32 vcc, 0, v6
	v_lshrrev_b32_e32 v8, 8, v7
	v_bfe_u32 v9, v7, 20, 11
	v_cndmask_b32_e64 v6, 0, 1, vcc
	v_sub_u32_e32 v10, 0x3f1, v9
	v_and_or_b32 v6, v8, s1, v6
	v_add_u32_e32 v9, 0xfffffc10, v9
	v_med3_i32 v8, v10, 0, 13
	v_or_b32_e32 v10, 0x1000, v6
	v_lshl_or_b32 v11, v9, 12, v6
	v_cmp_ne_u32_e32 vcc, 0, v6
	v_lshrrev_b32_e32 v6, v8, v10
	v_lshlrev_b32_e32 v8, v8, v6
	v_cndmask_b32_e32 v5, v1, v5, vcc
	v_cmp_ne_u32_e32 vcc, v8, v10
	v_lshrrev_b32_e32 v7, 16, v7
	s_mov_b64 s[0:1], 0
	v_cndmask_b32_e64 v8, 0, 1, vcc
	v_or_b32_e32 v6, v6, v8
	v_cmp_gt_i32_e32 vcc, 1, v9
	s_nop 1
	v_cndmask_b32_e32 v6, v11, v6, vcc
	v_and_b32_e32 v8, 7, v6
	v_cmp_lt_i32_e32 vcc, 5, v8
	v_lshrrev_b32_e32 v6, 2, v6
	s_nop 0
	v_cndmask_b32_e64 v10, 0, 1, vcc
	v_cmp_eq_u32_e32 vcc, 3, v8
	s_nop 1
	v_cndmask_b32_e64 v8, 0, 1, vcc
	v_or_b32_e32 v8, v8, v10
	v_add_u32_e32 v6, v6, v8
	v_cmp_gt_i32_e32 vcc, 31, v9
	s_nop 1
	v_cndmask_b32_e32 v1, v1, v6, vcc
	v_cmp_eq_u32_e32 vcc, s10, v9
	s_nop 1
	v_cndmask_b32_e32 v1, v1, v5, vcc
	v_and_or_b32 v5, v7, s11, v1
	s_branch .LBB96_1116
.LBB96_1112:
                                        ; implicit-def: $vgpr5
	s_branch .LBB96_1133
.LBB96_1113:
                                        ; implicit-def: $vgpr5
	s_branch .LBB96_1122
.LBB96_1114:
	s_mov_b64 s[0:1], -1
                                        ; implicit-def: $vgpr5
	s_branch .LBB96_1119
.LBB96_1115:
	s_mov_b64 s[0:1], -1
                                        ; implicit-def: $vgpr5
.LBB96_1116:
	s_andn2_b64 vcc, exec, s[0:1]
	s_cbranch_vccnz .LBB96_1118
; %bb.1117:
	global_load_dword v1, v[2:3], off
	s_waitcnt vmcnt(0)
	v_cvt_f16_f32_e32 v5, v1
.LBB96_1118:
	s_mov_b64 s[0:1], 0
.LBB96_1119:
	s_andn2_b64 vcc, exec, s[0:1]
	s_cbranch_vccnz .LBB96_1121
; %bb.1120:
	global_load_dword v5, v[2:3], off
.LBB96_1121:
	s_cbranch_execnz .LBB96_1132
.LBB96_1122:
	s_cmp_lt_i32 s22, 6
	s_cbranch_scc1 .LBB96_1125
; %bb.1123:
	s_cmp_gt_i32 s22, 6
	s_cbranch_scc0 .LBB96_1126
; %bb.1124:
	global_load_dwordx2 v[6:7], v[2:3], off
	s_movk_i32 s0, 0x1ff
	s_movk_i32 s1, 0xffe
	v_mov_b32_e32 v1, 0x7c00
	s_waitcnt vmcnt(1)
	v_mov_b32_e32 v5, 0x7e00
	s_movk_i32 s10, 0x40f
	s_mov_b32 s11, 0x8000
	s_waitcnt vmcnt(0)
	v_and_or_b32 v6, v7, s0, v6
	v_cmp_ne_u32_e32 vcc, 0, v6
	v_lshrrev_b32_e32 v8, 8, v7
	v_bfe_u32 v9, v7, 20, 11
	v_cndmask_b32_e64 v6, 0, 1, vcc
	v_sub_u32_e32 v10, 0x3f1, v9
	v_and_or_b32 v6, v8, s1, v6
	v_add_u32_e32 v9, 0xfffffc10, v9
	v_med3_i32 v8, v10, 0, 13
	v_or_b32_e32 v10, 0x1000, v6
	v_lshl_or_b32 v11, v9, 12, v6
	v_cmp_ne_u32_e32 vcc, 0, v6
	v_lshrrev_b32_e32 v6, v8, v10
	v_lshlrev_b32_e32 v8, v8, v6
	v_cndmask_b32_e32 v5, v1, v5, vcc
	v_cmp_ne_u32_e32 vcc, v8, v10
	v_lshrrev_b32_e32 v7, 16, v7
	s_mov_b64 s[0:1], 0
	v_cndmask_b32_e64 v8, 0, 1, vcc
	v_or_b32_e32 v6, v6, v8
	v_cmp_gt_i32_e32 vcc, 1, v9
	s_nop 1
	v_cndmask_b32_e32 v6, v11, v6, vcc
	v_and_b32_e32 v8, 7, v6
	v_cmp_lt_i32_e32 vcc, 5, v8
	v_lshrrev_b32_e32 v6, 2, v6
	s_nop 0
	v_cndmask_b32_e64 v10, 0, 1, vcc
	v_cmp_eq_u32_e32 vcc, 3, v8
	s_nop 1
	v_cndmask_b32_e64 v8, 0, 1, vcc
	v_or_b32_e32 v8, v8, v10
	v_add_u32_e32 v6, v6, v8
	v_cmp_gt_i32_e32 vcc, 31, v9
	s_nop 1
	v_cndmask_b32_e32 v1, v1, v6, vcc
	v_cmp_eq_u32_e32 vcc, s10, v9
	s_nop 1
	v_cndmask_b32_e32 v1, v1, v5, vcc
	v_and_or_b32 v5, v7, s11, v1
	s_branch .LBB96_1127
.LBB96_1125:
	s_mov_b64 s[0:1], -1
                                        ; implicit-def: $vgpr5
	s_branch .LBB96_1130
.LBB96_1126:
	s_mov_b64 s[0:1], -1
                                        ; implicit-def: $vgpr5
.LBB96_1127:
	s_andn2_b64 vcc, exec, s[0:1]
	s_cbranch_vccnz .LBB96_1129
; %bb.1128:
	global_load_dword v1, v[2:3], off
	s_waitcnt vmcnt(0)
	v_cvt_f16_f32_e32 v5, v1
.LBB96_1129:
	s_mov_b64 s[0:1], 0
.LBB96_1130:
	s_andn2_b64 vcc, exec, s[0:1]
	s_cbranch_vccnz .LBB96_1132
; %bb.1131:
	global_load_ushort v5, v[2:3], off
.LBB96_1132:
	s_cbranch_execnz .LBB96_1151
.LBB96_1133:
	s_cmp_lt_i32 s22, 2
	s_cbranch_scc1 .LBB96_1137
; %bb.1134:
	s_cmp_lt_i32 s22, 3
	s_cbranch_scc1 .LBB96_1138
; %bb.1135:
	s_cmp_gt_i32 s22, 3
	s_cbranch_scc0 .LBB96_1139
; %bb.1136:
	global_load_dwordx2 v[6:7], v[2:3], off
	s_mov_b64 s[0:1], 0
	s_waitcnt vmcnt(0)
	v_xor_b32_e32 v5, v6, v7
	v_ffbh_i32_e32 v1, v7
	v_ashrrev_i32_e32 v5, 31, v5
	v_add_u32_e32 v1, -1, v1
	v_add_u32_e32 v5, 32, v5
	v_min_u32_e32 v1, v1, v5
	v_lshlrev_b64 v[6:7], v1, v[6:7]
	v_min_u32_e32 v5, 1, v6
	v_or_b32_e32 v5, v7, v5
	v_cvt_f32_i32_e32 v5, v5
	v_sub_u32_e32 v1, 32, v1
	v_ldexp_f32 v1, v5, v1
	v_cvt_f16_f32_e32 v5, v1
	s_branch .LBB96_1140
.LBB96_1137:
                                        ; implicit-def: $vgpr5
	s_branch .LBB96_1146
.LBB96_1138:
	s_mov_b64 s[0:1], -1
                                        ; implicit-def: $vgpr5
	s_branch .LBB96_1143
.LBB96_1139:
	s_mov_b64 s[0:1], -1
                                        ; implicit-def: $vgpr5
.LBB96_1140:
	s_andn2_b64 vcc, exec, s[0:1]
	s_cbranch_vccnz .LBB96_1142
; %bb.1141:
	global_load_dword v1, v[2:3], off
	s_waitcnt vmcnt(0)
	v_cvt_f32_i32_e32 v1, v1
	v_cvt_f16_f32_e32 v5, v1
.LBB96_1142:
	s_mov_b64 s[0:1], 0
.LBB96_1143:
	s_andn2_b64 vcc, exec, s[0:1]
	s_cbranch_vccnz .LBB96_1145
; %bb.1144:
	global_load_ushort v1, v[2:3], off
	s_waitcnt vmcnt(0)
	v_cvt_f16_i16_e32 v5, v1
.LBB96_1145:
	s_cbranch_execnz .LBB96_1151
.LBB96_1146:
	s_cmp_gt_i32 s22, 0
	s_cbranch_scc0 .LBB96_1148
; %bb.1147:
	global_load_sbyte v1, v[2:3], off
	s_mov_b64 s[0:1], 0
	s_waitcnt vmcnt(0)
	v_cvt_f16_i16_e32 v5, v1
	s_branch .LBB96_1149
.LBB96_1148:
	s_mov_b64 s[0:1], -1
                                        ; implicit-def: $vgpr5
.LBB96_1149:
	s_andn2_b64 vcc, exec, s[0:1]
	s_cbranch_vccnz .LBB96_1151
; %bb.1150:
	global_load_ubyte v1, v[2:3], off
	s_waitcnt vmcnt(0)
	v_cvt_f16_u16_e32 v5, v1
.LBB96_1151:
.LBB96_1152:
	s_lshl_b32 s9, s9, 7
	v_add_u32_e32 v0, s9, v0
	v_ashrrev_i32_e32 v1, 31, v0
	s_cmp_lt_i32 s22, 11
	v_lshl_add_u64 v[2:3], s[6:7], 0, v[0:1]
	s_cbranch_scc1 .LBB96_1159
; %bb.1153:
	s_cmp_gt_i32 s22, 25
	s_mov_b64 s[10:11], 0
	s_cbranch_scc0 .LBB96_1161
; %bb.1154:
	s_cmp_gt_i32 s22, 28
	s_cbranch_scc0 .LBB96_1162
; %bb.1155:
	s_cmp_gt_i32 s22, 43
	;; [unrolled: 3-line block ×3, first 2 shown]
	s_cbranch_scc0 .LBB96_1165
; %bb.1157:
	s_cmp_eq_u32 s22, 46
	s_mov_b64 s[18:19], 0
	s_cbranch_scc0 .LBB96_1168
; %bb.1158:
	global_load_dword v1, v[2:3], off
	s_mov_b64 s[0:1], 0
	s_mov_b64 s[16:17], -1
	s_waitcnt vmcnt(0)
	v_lshlrev_b32_e32 v1, 16, v1
	v_cvt_f16_f32_e32 v6, v1
	s_branch .LBB96_1169
.LBB96_1159:
	s_mov_b64 s[16:17], 0
                                        ; implicit-def: $vgpr6
	s_cbranch_execnz .LBB96_1234
.LBB96_1160:
	s_andn2_b64 vcc, exec, s[16:17]
	s_cbranch_vccnz .LBB96_1973
	s_branch .LBB96_1281
.LBB96_1161:
	s_mov_b64 s[16:17], 0
	s_mov_b64 s[0:1], 0
                                        ; implicit-def: $vgpr6
	s_cbranch_execnz .LBB96_1198
	s_branch .LBB96_1230
.LBB96_1162:
	s_mov_b64 s[18:19], -1
	s_mov_b64 s[16:17], 0
	s_mov_b64 s[0:1], 0
                                        ; implicit-def: $vgpr6
	s_branch .LBB96_1179
.LBB96_1163:
	s_mov_b64 s[18:19], -1
	s_mov_b64 s[16:17], 0
	s_mov_b64 s[0:1], 0
                                        ; implicit-def: $vgpr6
	s_branch .LBB96_1174
.LBB96_1164:
	s_or_b64 s[14:15], s[12:13], exec
	s_trap 2
	s_cbranch_execz .LBB96_1105
	s_branch .LBB96_1106
.LBB96_1165:
	s_mov_b64 s[18:19], -1
	s_mov_b64 s[16:17], 0
	s_mov_b64 s[0:1], 0
                                        ; implicit-def: $vgpr6
	s_branch .LBB96_1169
.LBB96_1166:
	s_andn2_saveexec_b64 s[24:25], s[24:25]
	s_cbranch_execz .LBB96_952
.LBB96_1167:
	s_mov_b32 s28, 0x42800000
	v_add_f32_e64 v4, |v3|, s28
	v_and_b32_e32 v4, 0xff, v4
	v_cmp_ne_u32_e32 vcc, 0, v4
	s_andn2_b64 s[22:23], s[22:23], exec
	s_and_b64 s[28:29], vcc, exec
	s_or_b64 s[22:23], s[22:23], s[28:29]
	s_or_b64 exec, exec, s[24:25]
	v_mov_b32_e32 v5, 0
	s_and_saveexec_b64 s[24:25], s[22:23]
	s_cbranch_execnz .LBB96_953
	s_branch .LBB96_954
.LBB96_1168:
	s_mov_b64 s[0:1], -1
                                        ; implicit-def: $vgpr6
	s_mov_b64 s[16:17], 0
.LBB96_1169:
	s_and_b64 vcc, exec, s[18:19]
	s_cbranch_vccz .LBB96_1173
; %bb.1170:
	s_cmp_eq_u32 s22, 44
	s_cbranch_scc0 .LBB96_1172
; %bb.1171:
	global_load_ubyte v1, v[2:3], off
	s_movk_i32 s16, 0xff
	v_mov_b32_e32 v7, 0x7e00
	s_mov_b64 s[0:1], 0
	s_waitcnt vmcnt(0)
	v_lshlrev_b32_e32 v6, 23, v1
	v_cvt_f16_f32_e32 v6, v6
	v_cmp_ne_u32_e32 vcc, s16, v1
	s_mov_b64 s[16:17], -1
	s_nop 0
	v_cndmask_b32_e32 v6, v7, v6, vcc
	v_cmp_ne_u32_e32 vcc, 0, v1
	s_nop 1
	v_cndmask_b32_e32 v6, 0, v6, vcc
	s_branch .LBB96_1173
.LBB96_1172:
	s_mov_b64 s[0:1], -1
                                        ; implicit-def: $vgpr6
.LBB96_1173:
	s_mov_b64 s[18:19], 0
.LBB96_1174:
	s_and_b64 vcc, exec, s[18:19]
	s_cbranch_vccz .LBB96_1178
; %bb.1175:
	s_cmp_eq_u32 s22, 29
	s_cbranch_scc0 .LBB96_1177
; %bb.1176:
	global_load_dwordx2 v[6:7], v[2:3], off
	s_mov_b64 s[0:1], 0
	s_mov_b64 s[16:17], -1
	s_mov_b64 s[18:19], 0
	s_waitcnt vmcnt(0)
	v_ffbh_u32_e32 v1, v7
	v_min_u32_e32 v1, 32, v1
	v_lshlrev_b64 v[6:7], v1, v[6:7]
	v_min_u32_e32 v6, 1, v6
	v_or_b32_e32 v6, v7, v6
	v_cvt_f32_u32_e32 v6, v6
	v_sub_u32_e32 v1, 32, v1
	v_ldexp_f32 v1, v6, v1
	v_cvt_f16_f32_e32 v6, v1
	s_branch .LBB96_1179
.LBB96_1177:
	s_mov_b64 s[0:1], -1
                                        ; implicit-def: $vgpr6
.LBB96_1178:
	s_mov_b64 s[18:19], 0
.LBB96_1179:
	s_and_b64 vcc, exec, s[18:19]
	s_cbranch_vccz .LBB96_1197
; %bb.1180:
	s_cmp_lt_i32 s22, 27
	s_cbranch_scc1 .LBB96_1183
; %bb.1181:
	s_cmp_gt_i32 s22, 27
	s_cbranch_scc0 .LBB96_1184
; %bb.1182:
	global_load_dword v1, v[2:3], off
	s_mov_b64 s[16:17], 0
	s_waitcnt vmcnt(0)
	v_cvt_f32_u32_e32 v1, v1
	v_cvt_f16_f32_e32 v6, v1
	s_branch .LBB96_1185
.LBB96_1183:
	s_mov_b64 s[16:17], -1
                                        ; implicit-def: $vgpr6
	s_branch .LBB96_1188
.LBB96_1184:
	s_mov_b64 s[16:17], -1
                                        ; implicit-def: $vgpr6
.LBB96_1185:
	s_andn2_b64 vcc, exec, s[16:17]
	s_cbranch_vccnz .LBB96_1187
; %bb.1186:
	global_load_ushort v1, v[2:3], off
	s_waitcnt vmcnt(0)
	v_cvt_f16_u16_e32 v6, v1
.LBB96_1187:
	s_mov_b64 s[16:17], 0
.LBB96_1188:
	s_andn2_b64 vcc, exec, s[16:17]
	s_cbranch_vccnz .LBB96_1196
; %bb.1189:
	global_load_ubyte v1, v[2:3], off
	s_movk_i32 s16, 0x7f
	s_waitcnt vmcnt(0)
	v_cmp_lt_i16_e32 vcc, s16, v1
	s_mov_b64 s[16:17], 0
	s_and_saveexec_b64 s[18:19], vcc
	s_xor_b64 s[18:19], exec, s[18:19]
	s_cbranch_execz .LBB96_1209
; %bb.1190:
	s_movk_i32 s16, 0x80
	v_cmp_eq_u16_e32 vcc, s16, v1
	s_mov_b64 s[16:17], -1
	s_and_saveexec_b64 s[20:21], vcc
; %bb.1191:
	s_xor_b64 s[16:17], exec, -1
; %bb.1192:
	s_or_b64 exec, exec, s[20:21]
	s_and_b64 s[16:17], s[16:17], exec
	s_or_saveexec_b64 s[18:19], s[18:19]
	v_mov_b32_e32 v6, 0x7e00
	s_xor_b64 exec, exec, s[18:19]
	s_cbranch_execnz .LBB96_1210
.LBB96_1193:
	s_or_b64 exec, exec, s[18:19]
	s_and_saveexec_b64 s[18:19], s[16:17]
	s_cbranch_execz .LBB96_1195
.LBB96_1194:
	v_lshlrev_b32_e32 v6, 24, v1
	v_and_b32_e32 v1, 0xffff, v1
	v_and_b32_e32 v7, 7, v1
	v_ffbh_u32_e32 v9, v7
	v_min_u32_e32 v9, 32, v9
	v_subrev_u32_e32 v10, 28, v9
	v_bfe_u32 v8, v1, 3, 4
	v_lshlrev_b32_e32 v1, v10, v1
	v_sub_u32_e32 v9, 29, v9
	v_and_b32_e32 v1, 7, v1
	v_cmp_eq_u32_e32 vcc, 0, v8
	v_and_b32_e32 v6, 0x80000000, v6
	s_nop 0
	v_cndmask_b32_e32 v8, v8, v9, vcc
	v_cndmask_b32_e32 v1, v7, v1, vcc
	v_mov_b32_e32 v7, 0x3b800000
	v_lshlrev_b32_e32 v1, 20, v1
	v_lshl_add_u32 v7, v8, 23, v7
	v_or3_b32 v1, v6, v7, v1
	v_cvt_f16_f32_e32 v6, v1
.LBB96_1195:
	s_or_b64 exec, exec, s[18:19]
.LBB96_1196:
	s_mov_b64 s[16:17], -1
.LBB96_1197:
	s_branch .LBB96_1230
.LBB96_1198:
	s_cmp_gt_i32 s22, 22
	s_cbranch_scc0 .LBB96_1208
; %bb.1199:
	s_cmp_lt_i32 s22, 24
	s_cbranch_scc1 .LBB96_1211
; %bb.1200:
	s_cmp_gt_i32 s22, 24
	s_cbranch_scc0 .LBB96_1212
; %bb.1201:
	global_load_ubyte v1, v[2:3], off
	s_movk_i32 s10, 0x7f
	s_waitcnt vmcnt(0)
	v_cmp_lt_i16_e32 vcc, s10, v1
	s_mov_b64 s[10:11], 0
	s_and_saveexec_b64 s[16:17], vcc
	s_xor_b64 s[16:17], exec, s[16:17]
	s_cbranch_execz .LBB96_1224
; %bb.1202:
	s_movk_i32 s10, 0x80
	v_cmp_eq_u16_e32 vcc, s10, v1
	s_mov_b64 s[10:11], -1
	s_and_saveexec_b64 s[18:19], vcc
; %bb.1203:
	s_xor_b64 s[10:11], exec, -1
; %bb.1204:
	s_or_b64 exec, exec, s[18:19]
	s_and_b64 s[10:11], s[10:11], exec
	s_or_saveexec_b64 s[16:17], s[16:17]
	v_mov_b32_e32 v6, 0x7e00
	s_xor_b64 exec, exec, s[16:17]
	s_cbranch_execnz .LBB96_1225
.LBB96_1205:
	s_or_b64 exec, exec, s[16:17]
	s_and_saveexec_b64 s[16:17], s[10:11]
	s_cbranch_execz .LBB96_1207
.LBB96_1206:
	v_lshlrev_b32_e32 v6, 24, v1
	v_and_b32_e32 v1, 0xffff, v1
	v_and_b32_e32 v7, 3, v1
	v_ffbh_u32_e32 v9, v7
	v_min_u32_e32 v9, 32, v9
	v_subrev_u32_e32 v10, 29, v9
	v_bfe_u32 v8, v1, 2, 5
	v_lshlrev_b32_e32 v1, v10, v1
	v_sub_u32_e32 v9, 30, v9
	v_and_b32_e32 v1, 3, v1
	v_cmp_eq_u32_e32 vcc, 0, v8
	v_and_b32_e32 v6, 0x80000000, v6
	s_nop 0
	v_cndmask_b32_e32 v8, v8, v9, vcc
	v_cndmask_b32_e32 v1, v7, v1, vcc
	v_mov_b32_e32 v7, 0x37800000
	v_lshlrev_b32_e32 v1, 21, v1
	v_lshl_add_u32 v7, v8, 23, v7
	v_or3_b32 v1, v6, v7, v1
	v_cvt_f16_f32_e32 v6, v1
.LBB96_1207:
	s_or_b64 exec, exec, s[16:17]
	s_mov_b64 s[10:11], 0
	s_branch .LBB96_1213
.LBB96_1208:
	s_mov_b64 s[10:11], -1
                                        ; implicit-def: $vgpr6
	s_branch .LBB96_1219
.LBB96_1209:
	s_or_saveexec_b64 s[18:19], s[18:19]
	v_mov_b32_e32 v6, 0x7e00
	s_xor_b64 exec, exec, s[18:19]
	s_cbranch_execz .LBB96_1193
.LBB96_1210:
	v_cmp_ne_u16_e32 vcc, 0, v1
	s_andn2_b64 s[16:17], s[16:17], exec
	s_and_b64 s[20:21], vcc, exec
	s_or_b64 s[16:17], s[16:17], s[20:21]
	v_mov_b32_e32 v6, v1
	s_or_b64 exec, exec, s[18:19]
	s_and_saveexec_b64 s[18:19], s[16:17]
	s_cbranch_execnz .LBB96_1194
	s_branch .LBB96_1195
.LBB96_1211:
	s_mov_b64 s[10:11], -1
                                        ; implicit-def: $vgpr6
	s_branch .LBB96_1216
.LBB96_1212:
	s_mov_b64 s[10:11], -1
                                        ; implicit-def: $vgpr6
.LBB96_1213:
	s_and_b64 vcc, exec, s[10:11]
	s_cbranch_vccz .LBB96_1215
; %bb.1214:
	global_load_ubyte v1, v[2:3], off
	s_mov_b32 s10, 0x7f800000
	s_waitcnt vmcnt(0)
	v_lshlrev_b32_e32 v1, 24, v1
	v_and_b32_e32 v6, 0x7f000000, v1
	v_ffbh_u32_e32 v7, v6
	v_min_u32_e32 v7, 32, v7
	v_sub_u32_e64 v7, v7, 4 clamp
	v_lshlrev_b32_e32 v9, v7, v6
	v_lshlrev_b32_e32 v7, 23, v7
	v_lshrrev_b32_e32 v9, 4, v9
	v_add_u32_e32 v8, 0x1000000, v6
	v_sub_u32_e32 v7, v9, v7
	v_ashrrev_i32_e32 v8, 8, v8
	v_add_u32_e32 v7, 0x3c000000, v7
	v_and_or_b32 v7, v8, s10, v7
	v_cmp_ne_u32_e32 vcc, 0, v6
	s_brev_b32 s10, 1
	s_nop 0
	v_cndmask_b32_e32 v6, 0, v7, vcc
	v_and_or_b32 v1, v1, s10, v6
	v_cvt_f16_f32_e32 v6, v1
.LBB96_1215:
	s_mov_b64 s[10:11], 0
.LBB96_1216:
	s_andn2_b64 vcc, exec, s[10:11]
	s_cbranch_vccnz .LBB96_1218
; %bb.1217:
	global_load_ubyte v1, v[2:3], off
	s_movk_i32 s10, 0x7f00
	s_brev_b32 s11, 16
	s_waitcnt vmcnt(0)
	v_lshlrev_b16_e32 v6, 8, v1
	v_lshlrev_b32_e32 v1, 25, v1
	v_lshrrev_b32_e32 v7, 4, v1
	v_and_or_b32 v8, v6, s10, 0.5
	v_or_b32_e32 v7, 0x70000000, v7
	v_add_f32_e32 v8, -0.5, v8
	v_mul_f32_e32 v7, 0x7800000, v7
	v_cmp_gt_u32_e32 vcc, s11, v1
	v_bfe_i32 v6, v6, 0, 16
	s_brev_b32 s10, 1
	v_cndmask_b32_e32 v1, v7, v8, vcc
	v_and_or_b32 v1, v6, s10, v1
	v_cvt_f16_f32_e32 v6, v1
.LBB96_1218:
	s_mov_b64 s[10:11], 0
	s_mov_b64 s[16:17], -1
.LBB96_1219:
	s_andn2_b64 vcc, exec, s[10:11]
	s_mov_b64 s[10:11], 0
	s_cbranch_vccnz .LBB96_1230
; %bb.1220:
	s_cmp_gt_i32 s22, 14
	s_cbranch_scc0 .LBB96_1223
; %bb.1221:
	s_cmp_eq_u32 s22, 15
	s_cbranch_scc0 .LBB96_1226
; %bb.1222:
	global_load_ushort v1, v[2:3], off
	s_mov_b64 s[0:1], 0
	s_mov_b64 s[16:17], -1
	s_waitcnt vmcnt(0)
	v_lshlrev_b32_e32 v1, 16, v1
	v_cvt_f16_f32_e32 v6, v1
	s_branch .LBB96_1227
.LBB96_1223:
	s_mov_b64 s[18:19], -1
                                        ; implicit-def: $vgpr6
	s_branch .LBB96_1228
.LBB96_1224:
	s_or_saveexec_b64 s[16:17], s[16:17]
	v_mov_b32_e32 v6, 0x7e00
	s_xor_b64 exec, exec, s[16:17]
	s_cbranch_execz .LBB96_1205
.LBB96_1225:
	v_cmp_ne_u16_e32 vcc, 0, v1
	s_andn2_b64 s[10:11], s[10:11], exec
	s_and_b64 s[18:19], vcc, exec
	s_or_b64 s[10:11], s[10:11], s[18:19]
	v_mov_b32_e32 v6, v1
	s_or_b64 exec, exec, s[16:17]
	s_and_saveexec_b64 s[16:17], s[10:11]
	s_cbranch_execnz .LBB96_1206
	s_branch .LBB96_1207
.LBB96_1226:
	s_mov_b64 s[0:1], -1
                                        ; implicit-def: $vgpr6
.LBB96_1227:
	s_mov_b64 s[18:19], 0
.LBB96_1228:
	s_and_b64 vcc, exec, s[18:19]
	s_cbranch_vccz .LBB96_1230
; %bb.1229:
	s_cmp_lg_u32 s22, 11
	s_mov_b64 s[10:11], -1
	s_cselect_b64 s[0:1], -1, 0
.LBB96_1230:
	s_and_b64 vcc, exec, s[0:1]
	s_cbranch_vccnz .LBB96_1293
; %bb.1231:
	s_andn2_b64 vcc, exec, s[10:11]
	s_cbranch_vccnz .LBB96_1233
.LBB96_1232:
	global_load_ubyte v1, v[2:3], off
	v_mov_b32_e32 v6, 0x3c00
	s_mov_b64 s[16:17], -1
	s_waitcnt vmcnt(0)
	v_cmp_ne_u16_e32 vcc, 0, v1
	s_nop 1
	v_cndmask_b32_e32 v6, 0, v6, vcc
.LBB96_1233:
	s_branch .LBB96_1160
.LBB96_1234:
	s_cmp_lt_i32 s22, 5
	s_cbranch_scc1 .LBB96_1239
; %bb.1235:
	s_cmp_lt_i32 s22, 8
	s_cbranch_scc1 .LBB96_1240
; %bb.1236:
	;; [unrolled: 3-line block ×3, first 2 shown]
	s_cmp_gt_i32 s22, 9
	s_cbranch_scc0 .LBB96_1242
; %bb.1238:
	global_load_dwordx2 v[6:7], v[2:3], off
	s_movk_i32 s0, 0x1ff
	s_movk_i32 s1, 0xffe
	v_mov_b32_e32 v1, 0x7c00
	v_mov_b32_e32 v8, 0x7e00
	s_movk_i32 s10, 0x40f
	s_mov_b32 s11, 0x8000
	s_waitcnt vmcnt(0)
	v_and_or_b32 v6, v7, s0, v6
	v_cmp_ne_u32_e32 vcc, 0, v6
	v_lshrrev_b32_e32 v9, 8, v7
	v_bfe_u32 v10, v7, 20, 11
	v_cndmask_b32_e64 v6, 0, 1, vcc
	v_sub_u32_e32 v11, 0x3f1, v10
	v_and_or_b32 v6, v9, s1, v6
	v_add_u32_e32 v10, 0xfffffc10, v10
	v_med3_i32 v9, v11, 0, 13
	v_or_b32_e32 v11, 0x1000, v6
	v_cmp_ne_u32_e32 vcc, 0, v6
	v_lshl_or_b32 v12, v10, 12, v6
	v_lshrrev_b32_e32 v7, 16, v7
	v_cndmask_b32_e32 v6, v1, v8, vcc
	v_lshrrev_b32_e32 v8, v9, v11
	v_lshlrev_b32_e32 v9, v9, v8
	v_cmp_ne_u32_e32 vcc, v9, v11
	s_mov_b64 s[0:1], 0
	s_nop 0
	v_cndmask_b32_e64 v9, 0, 1, vcc
	v_or_b32_e32 v8, v8, v9
	v_cmp_gt_i32_e32 vcc, 1, v10
	s_nop 1
	v_cndmask_b32_e32 v8, v12, v8, vcc
	v_and_b32_e32 v9, 7, v8
	v_cmp_lt_i32_e32 vcc, 5, v9
	v_lshrrev_b32_e32 v8, 2, v8
	s_nop 0
	v_cndmask_b32_e64 v11, 0, 1, vcc
	v_cmp_eq_u32_e32 vcc, 3, v9
	s_nop 1
	v_cndmask_b32_e64 v9, 0, 1, vcc
	v_or_b32_e32 v9, v9, v11
	v_add_u32_e32 v8, v8, v9
	v_cmp_gt_i32_e32 vcc, 31, v10
	s_nop 1
	v_cndmask_b32_e32 v1, v1, v8, vcc
	v_cmp_eq_u32_e32 vcc, s10, v10
	s_nop 1
	v_cndmask_b32_e32 v1, v1, v6, vcc
	v_and_or_b32 v6, v7, s11, v1
	s_branch .LBB96_1243
.LBB96_1239:
                                        ; implicit-def: $vgpr6
	s_branch .LBB96_1261
.LBB96_1240:
	s_mov_b64 s[0:1], -1
                                        ; implicit-def: $vgpr6
	s_branch .LBB96_1249
.LBB96_1241:
	s_mov_b64 s[0:1], -1
                                        ; implicit-def: $vgpr6
	s_branch .LBB96_1246
.LBB96_1242:
	s_mov_b64 s[0:1], -1
                                        ; implicit-def: $vgpr6
.LBB96_1243:
	s_andn2_b64 vcc, exec, s[0:1]
	s_cbranch_vccnz .LBB96_1245
; %bb.1244:
	global_load_dword v1, v[2:3], off
	s_waitcnt vmcnt(0)
	v_cvt_f16_f32_e32 v6, v1
.LBB96_1245:
	s_mov_b64 s[0:1], 0
.LBB96_1246:
	s_andn2_b64 vcc, exec, s[0:1]
	s_cbranch_vccnz .LBB96_1248
; %bb.1247:
	global_load_dword v6, v[2:3], off
.LBB96_1248:
	s_mov_b64 s[0:1], 0
.LBB96_1249:
	s_andn2_b64 vcc, exec, s[0:1]
	s_cbranch_vccnz .LBB96_1260
; %bb.1250:
	s_cmp_lt_i32 s22, 6
	s_cbranch_scc1 .LBB96_1253
; %bb.1251:
	s_cmp_gt_i32 s22, 6
	s_cbranch_scc0 .LBB96_1254
; %bb.1252:
	global_load_dwordx2 v[6:7], v[2:3], off
	s_movk_i32 s0, 0x1ff
	s_movk_i32 s1, 0xffe
	v_mov_b32_e32 v1, 0x7c00
	v_mov_b32_e32 v8, 0x7e00
	s_movk_i32 s10, 0x40f
	s_mov_b32 s11, 0x8000
	s_waitcnt vmcnt(0)
	v_and_or_b32 v6, v7, s0, v6
	v_cmp_ne_u32_e32 vcc, 0, v6
	v_lshrrev_b32_e32 v9, 8, v7
	v_bfe_u32 v10, v7, 20, 11
	v_cndmask_b32_e64 v6, 0, 1, vcc
	v_sub_u32_e32 v11, 0x3f1, v10
	v_and_or_b32 v6, v9, s1, v6
	v_add_u32_e32 v10, 0xfffffc10, v10
	v_med3_i32 v9, v11, 0, 13
	v_or_b32_e32 v11, 0x1000, v6
	v_cmp_ne_u32_e32 vcc, 0, v6
	v_lshl_or_b32 v12, v10, 12, v6
	v_lshrrev_b32_e32 v7, 16, v7
	v_cndmask_b32_e32 v6, v1, v8, vcc
	v_lshrrev_b32_e32 v8, v9, v11
	v_lshlrev_b32_e32 v9, v9, v8
	v_cmp_ne_u32_e32 vcc, v9, v11
	s_mov_b64 s[0:1], 0
	s_nop 0
	v_cndmask_b32_e64 v9, 0, 1, vcc
	v_or_b32_e32 v8, v8, v9
	v_cmp_gt_i32_e32 vcc, 1, v10
	s_nop 1
	v_cndmask_b32_e32 v8, v12, v8, vcc
	v_and_b32_e32 v9, 7, v8
	v_cmp_lt_i32_e32 vcc, 5, v9
	v_lshrrev_b32_e32 v8, 2, v8
	s_nop 0
	v_cndmask_b32_e64 v11, 0, 1, vcc
	v_cmp_eq_u32_e32 vcc, 3, v9
	s_nop 1
	v_cndmask_b32_e64 v9, 0, 1, vcc
	v_or_b32_e32 v9, v9, v11
	v_add_u32_e32 v8, v8, v9
	v_cmp_gt_i32_e32 vcc, 31, v10
	s_nop 1
	v_cndmask_b32_e32 v1, v1, v8, vcc
	v_cmp_eq_u32_e32 vcc, s10, v10
	s_nop 1
	v_cndmask_b32_e32 v1, v1, v6, vcc
	v_and_or_b32 v6, v7, s11, v1
	s_branch .LBB96_1255
.LBB96_1253:
	s_mov_b64 s[0:1], -1
                                        ; implicit-def: $vgpr6
	s_branch .LBB96_1258
.LBB96_1254:
	s_mov_b64 s[0:1], -1
                                        ; implicit-def: $vgpr6
.LBB96_1255:
	s_andn2_b64 vcc, exec, s[0:1]
	s_cbranch_vccnz .LBB96_1257
; %bb.1256:
	global_load_dword v1, v[2:3], off
	s_waitcnt vmcnt(0)
	v_cvt_f16_f32_e32 v6, v1
.LBB96_1257:
	s_mov_b64 s[0:1], 0
.LBB96_1258:
	s_andn2_b64 vcc, exec, s[0:1]
	s_cbranch_vccnz .LBB96_1260
; %bb.1259:
	global_load_ushort v6, v[2:3], off
.LBB96_1260:
	s_cbranch_execnz .LBB96_1280
.LBB96_1261:
	s_cmp_lt_i32 s22, 2
	s_cbranch_scc1 .LBB96_1265
; %bb.1262:
	s_cmp_lt_i32 s22, 3
	s_cbranch_scc1 .LBB96_1266
; %bb.1263:
	s_cmp_gt_i32 s22, 3
	s_cbranch_scc0 .LBB96_1267
; %bb.1264:
	global_load_dwordx2 v[6:7], v[2:3], off
	s_mov_b64 s[0:1], 0
	s_waitcnt vmcnt(0)
	v_xor_b32_e32 v8, v6, v7
	v_ffbh_i32_e32 v1, v7
	v_ashrrev_i32_e32 v8, 31, v8
	v_add_u32_e32 v1, -1, v1
	v_add_u32_e32 v8, 32, v8
	v_min_u32_e32 v1, v1, v8
	v_lshlrev_b64 v[6:7], v1, v[6:7]
	v_min_u32_e32 v6, 1, v6
	v_or_b32_e32 v6, v7, v6
	v_cvt_f32_i32_e32 v6, v6
	v_sub_u32_e32 v1, 32, v1
	v_ldexp_f32 v1, v6, v1
	v_cvt_f16_f32_e32 v6, v1
	s_branch .LBB96_1268
.LBB96_1265:
	s_mov_b64 s[0:1], -1
                                        ; implicit-def: $vgpr6
	s_branch .LBB96_1274
.LBB96_1266:
	s_mov_b64 s[0:1], -1
                                        ; implicit-def: $vgpr6
	s_branch .LBB96_1271
.LBB96_1267:
	s_mov_b64 s[0:1], -1
                                        ; implicit-def: $vgpr6
.LBB96_1268:
	s_andn2_b64 vcc, exec, s[0:1]
	s_cbranch_vccnz .LBB96_1270
; %bb.1269:
	global_load_dword v1, v[2:3], off
	s_waitcnt vmcnt(0)
	v_cvt_f32_i32_e32 v1, v1
	v_cvt_f16_f32_e32 v6, v1
.LBB96_1270:
	s_mov_b64 s[0:1], 0
.LBB96_1271:
	s_andn2_b64 vcc, exec, s[0:1]
	s_cbranch_vccnz .LBB96_1273
; %bb.1272:
	global_load_ushort v1, v[2:3], off
	s_waitcnt vmcnt(0)
	v_cvt_f16_i16_e32 v6, v1
.LBB96_1273:
	s_mov_b64 s[0:1], 0
.LBB96_1274:
	s_andn2_b64 vcc, exec, s[0:1]
	s_cbranch_vccnz .LBB96_1280
; %bb.1275:
	s_cmp_gt_i32 s22, 0
	s_cbranch_scc0 .LBB96_1277
; %bb.1276:
	global_load_sbyte v1, v[2:3], off
	s_mov_b64 s[0:1], 0
	s_waitcnt vmcnt(0)
	v_cvt_f16_i16_e32 v6, v1
	s_branch .LBB96_1278
.LBB96_1277:
	s_mov_b64 s[0:1], -1
                                        ; implicit-def: $vgpr6
.LBB96_1278:
	s_andn2_b64 vcc, exec, s[0:1]
	s_cbranch_vccnz .LBB96_1280
; %bb.1279:
	global_load_ubyte v1, v[2:3], off
	s_waitcnt vmcnt(0)
	v_cvt_f16_u16_e32 v6, v1
.LBB96_1280:
.LBB96_1281:
	v_add_u32_e32 v0, s9, v0
	v_ashrrev_i32_e32 v1, 31, v0
	s_cmp_lt_i32 s22, 11
	v_lshl_add_u64 v[2:3], s[6:7], 0, v[0:1]
	s_cbranch_scc1 .LBB96_1288
; %bb.1282:
	s_cmp_gt_i32 s22, 25
	s_mov_b64 s[10:11], 0
	s_cbranch_scc0 .LBB96_1290
; %bb.1283:
	s_cmp_gt_i32 s22, 28
	s_cbranch_scc0 .LBB96_1291
; %bb.1284:
	s_cmp_gt_i32 s22, 43
	;; [unrolled: 3-line block ×3, first 2 shown]
	s_cbranch_scc0 .LBB96_1294
; %bb.1286:
	s_cmp_eq_u32 s22, 46
	s_mov_b64 s[18:19], 0
	s_cbranch_scc0 .LBB96_1295
; %bb.1287:
	global_load_dword v1, v[2:3], off
	s_mov_b64 s[0:1], 0
	s_mov_b64 s[16:17], -1
	s_waitcnt vmcnt(0)
	v_lshlrev_b32_e32 v1, 16, v1
	v_cvt_f16_f32_e32 v7, v1
	s_branch .LBB96_1296
.LBB96_1288:
	s_mov_b64 s[16:17], 0
                                        ; implicit-def: $vgpr7
	s_cbranch_execnz .LBB96_1362
.LBB96_1289:
	s_andn2_b64 vcc, exec, s[16:17]
	s_cbranch_vccnz .LBB96_1973
	s_branch .LBB96_1410
.LBB96_1290:
	s_mov_b64 s[18:19], -1
	s_mov_b64 s[16:17], 0
	s_mov_b64 s[0:1], 0
                                        ; implicit-def: $vgpr7
	s_branch .LBB96_1325
.LBB96_1291:
	s_mov_b64 s[18:19], -1
	s_mov_b64 s[16:17], 0
	s_mov_b64 s[0:1], 0
                                        ; implicit-def: $vgpr7
	s_branch .LBB96_1306
.LBB96_1292:
	s_mov_b64 s[18:19], -1
	s_mov_b64 s[16:17], 0
	s_mov_b64 s[0:1], 0
                                        ; implicit-def: $vgpr7
	s_branch .LBB96_1301
.LBB96_1293:
	s_trap 2
	s_or_b64 s[14:15], s[14:15], exec
	s_cbranch_execz .LBB96_1232
	s_branch .LBB96_1233
.LBB96_1294:
	s_mov_b64 s[18:19], -1
	s_mov_b64 s[16:17], 0
	s_mov_b64 s[0:1], 0
                                        ; implicit-def: $vgpr7
	s_branch .LBB96_1296
.LBB96_1295:
	s_mov_b64 s[0:1], -1
                                        ; implicit-def: $vgpr7
	s_mov_b64 s[16:17], 0
.LBB96_1296:
	s_and_b64 vcc, exec, s[18:19]
	s_cbranch_vccz .LBB96_1300
; %bb.1297:
	s_cmp_eq_u32 s22, 44
	s_cbranch_scc0 .LBB96_1299
; %bb.1298:
	global_load_ubyte v1, v[2:3], off
	s_movk_i32 s16, 0xff
	v_mov_b32_e32 v8, 0x7e00
	s_mov_b64 s[0:1], 0
	s_waitcnt vmcnt(0)
	v_lshlrev_b32_e32 v7, 23, v1
	v_cvt_f16_f32_e32 v7, v7
	v_cmp_ne_u32_e32 vcc, s16, v1
	s_mov_b64 s[16:17], -1
	s_nop 0
	v_cndmask_b32_e32 v7, v8, v7, vcc
	v_cmp_ne_u32_e32 vcc, 0, v1
	s_nop 1
	v_cndmask_b32_e32 v7, 0, v7, vcc
	s_branch .LBB96_1300
.LBB96_1299:
	s_mov_b64 s[0:1], -1
                                        ; implicit-def: $vgpr7
.LBB96_1300:
	s_mov_b64 s[18:19], 0
.LBB96_1301:
	s_and_b64 vcc, exec, s[18:19]
	s_cbranch_vccz .LBB96_1305
; %bb.1302:
	s_cmp_eq_u32 s22, 29
	s_cbranch_scc0 .LBB96_1304
; %bb.1303:
	global_load_dwordx2 v[8:9], v[2:3], off
	s_mov_b64 s[0:1], 0
	s_mov_b64 s[16:17], -1
	s_mov_b64 s[18:19], 0
	s_waitcnt vmcnt(0)
	v_ffbh_u32_e32 v1, v9
	v_min_u32_e32 v1, 32, v1
	v_lshlrev_b64 v[8:9], v1, v[8:9]
	v_min_u32_e32 v7, 1, v8
	v_or_b32_e32 v7, v9, v7
	v_cvt_f32_u32_e32 v7, v7
	v_sub_u32_e32 v1, 32, v1
	v_ldexp_f32 v1, v7, v1
	v_cvt_f16_f32_e32 v7, v1
	s_branch .LBB96_1306
.LBB96_1304:
	s_mov_b64 s[0:1], -1
                                        ; implicit-def: $vgpr7
.LBB96_1305:
	s_mov_b64 s[18:19], 0
.LBB96_1306:
	s_and_b64 vcc, exec, s[18:19]
	s_cbranch_vccz .LBB96_1324
; %bb.1307:
	s_cmp_lt_i32 s22, 27
	s_cbranch_scc1 .LBB96_1310
; %bb.1308:
	s_cmp_gt_i32 s22, 27
	s_cbranch_scc0 .LBB96_1311
; %bb.1309:
	global_load_dword v1, v[2:3], off
	s_mov_b64 s[16:17], 0
	s_waitcnt vmcnt(0)
	v_cvt_f32_u32_e32 v1, v1
	v_cvt_f16_f32_e32 v7, v1
	s_branch .LBB96_1312
.LBB96_1310:
	s_mov_b64 s[16:17], -1
                                        ; implicit-def: $vgpr7
	s_branch .LBB96_1315
.LBB96_1311:
	s_mov_b64 s[16:17], -1
                                        ; implicit-def: $vgpr7
.LBB96_1312:
	s_andn2_b64 vcc, exec, s[16:17]
	s_cbranch_vccnz .LBB96_1314
; %bb.1313:
	global_load_ushort v1, v[2:3], off
	s_waitcnt vmcnt(0)
	v_cvt_f16_u16_e32 v7, v1
.LBB96_1314:
	s_mov_b64 s[16:17], 0
.LBB96_1315:
	s_andn2_b64 vcc, exec, s[16:17]
	s_cbranch_vccnz .LBB96_1323
; %bb.1316:
	global_load_ubyte v1, v[2:3], off
	s_movk_i32 s16, 0x7f
	s_waitcnt vmcnt(0)
	v_cmp_lt_i16_e32 vcc, s16, v1
	s_mov_b64 s[16:17], 0
	s_and_saveexec_b64 s[18:19], vcc
	s_xor_b64 s[18:19], exec, s[18:19]
	s_cbranch_execz .LBB96_1337
; %bb.1317:
	s_movk_i32 s16, 0x80
	v_cmp_eq_u16_e32 vcc, s16, v1
	s_mov_b64 s[16:17], -1
	s_and_saveexec_b64 s[20:21], vcc
; %bb.1318:
	s_xor_b64 s[16:17], exec, -1
; %bb.1319:
	s_or_b64 exec, exec, s[20:21]
	s_and_b64 s[16:17], s[16:17], exec
	s_or_saveexec_b64 s[18:19], s[18:19]
	v_mov_b32_e32 v7, 0x7e00
	s_xor_b64 exec, exec, s[18:19]
	s_cbranch_execnz .LBB96_1338
.LBB96_1320:
	s_or_b64 exec, exec, s[18:19]
	s_and_saveexec_b64 s[18:19], s[16:17]
	s_cbranch_execz .LBB96_1322
.LBB96_1321:
	v_lshlrev_b32_e32 v7, 24, v1
	v_and_b32_e32 v1, 0xffff, v1
	v_and_b32_e32 v8, 7, v1
	v_ffbh_u32_e32 v10, v8
	v_min_u32_e32 v10, 32, v10
	v_subrev_u32_e32 v11, 28, v10
	v_bfe_u32 v9, v1, 3, 4
	v_lshlrev_b32_e32 v1, v11, v1
	v_sub_u32_e32 v10, 29, v10
	v_and_b32_e32 v1, 7, v1
	v_cmp_eq_u32_e32 vcc, 0, v9
	v_and_b32_e32 v7, 0x80000000, v7
	s_nop 0
	v_cndmask_b32_e32 v9, v9, v10, vcc
	v_cndmask_b32_e32 v1, v8, v1, vcc
	v_mov_b32_e32 v8, 0x3b800000
	v_lshlrev_b32_e32 v1, 20, v1
	v_lshl_add_u32 v8, v9, 23, v8
	v_or3_b32 v1, v7, v8, v1
	v_cvt_f16_f32_e32 v7, v1
.LBB96_1322:
	s_or_b64 exec, exec, s[18:19]
.LBB96_1323:
	s_mov_b64 s[16:17], -1
.LBB96_1324:
	s_mov_b64 s[18:19], 0
.LBB96_1325:
	s_and_b64 vcc, exec, s[18:19]
	s_cbranch_vccz .LBB96_1358
; %bb.1326:
	s_cmp_gt_i32 s22, 22
	s_cbranch_scc0 .LBB96_1336
; %bb.1327:
	s_cmp_lt_i32 s22, 24
	s_cbranch_scc1 .LBB96_1339
; %bb.1328:
	s_cmp_gt_i32 s22, 24
	s_cbranch_scc0 .LBB96_1340
; %bb.1329:
	global_load_ubyte v1, v[2:3], off
	s_movk_i32 s10, 0x7f
	s_waitcnt vmcnt(0)
	v_cmp_lt_i16_e32 vcc, s10, v1
	s_mov_b64 s[10:11], 0
	s_and_saveexec_b64 s[16:17], vcc
	s_xor_b64 s[16:17], exec, s[16:17]
	s_cbranch_execz .LBB96_1352
; %bb.1330:
	s_movk_i32 s10, 0x80
	v_cmp_eq_u16_e32 vcc, s10, v1
	s_mov_b64 s[10:11], -1
	s_and_saveexec_b64 s[18:19], vcc
; %bb.1331:
	s_xor_b64 s[10:11], exec, -1
; %bb.1332:
	s_or_b64 exec, exec, s[18:19]
	s_and_b64 s[10:11], s[10:11], exec
	s_or_saveexec_b64 s[16:17], s[16:17]
	v_mov_b32_e32 v7, 0x7e00
	s_xor_b64 exec, exec, s[16:17]
	s_cbranch_execnz .LBB96_1353
.LBB96_1333:
	s_or_b64 exec, exec, s[16:17]
	s_and_saveexec_b64 s[16:17], s[10:11]
	s_cbranch_execz .LBB96_1335
.LBB96_1334:
	v_lshlrev_b32_e32 v7, 24, v1
	v_and_b32_e32 v1, 0xffff, v1
	v_and_b32_e32 v8, 3, v1
	v_ffbh_u32_e32 v10, v8
	v_min_u32_e32 v10, 32, v10
	v_subrev_u32_e32 v11, 29, v10
	v_bfe_u32 v9, v1, 2, 5
	v_lshlrev_b32_e32 v1, v11, v1
	v_sub_u32_e32 v10, 30, v10
	v_and_b32_e32 v1, 3, v1
	v_cmp_eq_u32_e32 vcc, 0, v9
	v_and_b32_e32 v7, 0x80000000, v7
	s_nop 0
	v_cndmask_b32_e32 v9, v9, v10, vcc
	v_cndmask_b32_e32 v1, v8, v1, vcc
	v_mov_b32_e32 v8, 0x37800000
	v_lshlrev_b32_e32 v1, 21, v1
	v_lshl_add_u32 v8, v9, 23, v8
	v_or3_b32 v1, v7, v8, v1
	v_cvt_f16_f32_e32 v7, v1
.LBB96_1335:
	s_or_b64 exec, exec, s[16:17]
	s_mov_b64 s[10:11], 0
	s_branch .LBB96_1341
.LBB96_1336:
	s_mov_b64 s[10:11], -1
                                        ; implicit-def: $vgpr7
	s_branch .LBB96_1347
.LBB96_1337:
	s_or_saveexec_b64 s[18:19], s[18:19]
	v_mov_b32_e32 v7, 0x7e00
	s_xor_b64 exec, exec, s[18:19]
	s_cbranch_execz .LBB96_1320
.LBB96_1338:
	v_cmp_ne_u16_e32 vcc, 0, v1
	s_andn2_b64 s[16:17], s[16:17], exec
	s_and_b64 s[20:21], vcc, exec
	s_or_b64 s[16:17], s[16:17], s[20:21]
	v_mov_b32_e32 v7, v1
	s_or_b64 exec, exec, s[18:19]
	s_and_saveexec_b64 s[18:19], s[16:17]
	s_cbranch_execnz .LBB96_1321
	s_branch .LBB96_1322
.LBB96_1339:
	s_mov_b64 s[10:11], -1
                                        ; implicit-def: $vgpr7
	s_branch .LBB96_1344
.LBB96_1340:
	s_mov_b64 s[10:11], -1
                                        ; implicit-def: $vgpr7
.LBB96_1341:
	s_and_b64 vcc, exec, s[10:11]
	s_cbranch_vccz .LBB96_1343
; %bb.1342:
	global_load_ubyte v1, v[2:3], off
	s_mov_b32 s10, 0x7f800000
	s_waitcnt vmcnt(0)
	v_lshlrev_b32_e32 v1, 24, v1
	v_and_b32_e32 v7, 0x7f000000, v1
	v_ffbh_u32_e32 v8, v7
	v_min_u32_e32 v8, 32, v8
	v_sub_u32_e64 v8, v8, 4 clamp
	v_lshlrev_b32_e32 v10, v8, v7
	v_lshlrev_b32_e32 v8, 23, v8
	v_lshrrev_b32_e32 v10, 4, v10
	v_add_u32_e32 v9, 0x1000000, v7
	v_sub_u32_e32 v8, v10, v8
	v_ashrrev_i32_e32 v9, 8, v9
	v_add_u32_e32 v8, 0x3c000000, v8
	v_and_or_b32 v8, v9, s10, v8
	v_cmp_ne_u32_e32 vcc, 0, v7
	s_brev_b32 s10, 1
	s_nop 0
	v_cndmask_b32_e32 v7, 0, v8, vcc
	v_and_or_b32 v1, v1, s10, v7
	v_cvt_f16_f32_e32 v7, v1
.LBB96_1343:
	s_mov_b64 s[10:11], 0
.LBB96_1344:
	s_andn2_b64 vcc, exec, s[10:11]
	s_cbranch_vccnz .LBB96_1346
; %bb.1345:
	global_load_ubyte v1, v[2:3], off
	s_movk_i32 s10, 0x7f00
	s_brev_b32 s11, 16
	s_waitcnt vmcnt(0)
	v_lshlrev_b16_e32 v7, 8, v1
	v_lshlrev_b32_e32 v1, 25, v1
	v_lshrrev_b32_e32 v8, 4, v1
	v_and_or_b32 v9, v7, s10, 0.5
	v_or_b32_e32 v8, 0x70000000, v8
	v_add_f32_e32 v9, -0.5, v9
	v_mul_f32_e32 v8, 0x7800000, v8
	v_cmp_gt_u32_e32 vcc, s11, v1
	v_bfe_i32 v7, v7, 0, 16
	s_brev_b32 s10, 1
	v_cndmask_b32_e32 v1, v8, v9, vcc
	v_and_or_b32 v1, v7, s10, v1
	v_cvt_f16_f32_e32 v7, v1
.LBB96_1346:
	s_mov_b64 s[10:11], 0
	s_mov_b64 s[16:17], -1
.LBB96_1347:
	s_andn2_b64 vcc, exec, s[10:11]
	s_mov_b64 s[10:11], 0
	s_cbranch_vccnz .LBB96_1358
; %bb.1348:
	s_cmp_gt_i32 s22, 14
	s_cbranch_scc0 .LBB96_1351
; %bb.1349:
	s_cmp_eq_u32 s22, 15
	s_cbranch_scc0 .LBB96_1354
; %bb.1350:
	global_load_ushort v1, v[2:3], off
	s_mov_b64 s[0:1], 0
	s_mov_b64 s[16:17], -1
	s_waitcnt vmcnt(0)
	v_lshlrev_b32_e32 v1, 16, v1
	v_cvt_f16_f32_e32 v7, v1
	s_branch .LBB96_1355
.LBB96_1351:
	s_mov_b64 s[18:19], -1
                                        ; implicit-def: $vgpr7
	s_branch .LBB96_1356
.LBB96_1352:
	s_or_saveexec_b64 s[16:17], s[16:17]
	v_mov_b32_e32 v7, 0x7e00
	s_xor_b64 exec, exec, s[16:17]
	s_cbranch_execz .LBB96_1333
.LBB96_1353:
	v_cmp_ne_u16_e32 vcc, 0, v1
	s_andn2_b64 s[10:11], s[10:11], exec
	s_and_b64 s[18:19], vcc, exec
	s_or_b64 s[10:11], s[10:11], s[18:19]
	v_mov_b32_e32 v7, v1
	s_or_b64 exec, exec, s[16:17]
	s_and_saveexec_b64 s[16:17], s[10:11]
	s_cbranch_execnz .LBB96_1334
	s_branch .LBB96_1335
.LBB96_1354:
	s_mov_b64 s[0:1], -1
                                        ; implicit-def: $vgpr7
.LBB96_1355:
	s_mov_b64 s[18:19], 0
.LBB96_1356:
	s_and_b64 vcc, exec, s[18:19]
	s_cbranch_vccz .LBB96_1358
; %bb.1357:
	s_cmp_lg_u32 s22, 11
	s_mov_b64 s[10:11], -1
	s_cselect_b64 s[0:1], -1, 0
.LBB96_1358:
	s_and_b64 vcc, exec, s[0:1]
	s_cbranch_vccnz .LBB96_1421
; %bb.1359:
	s_andn2_b64 vcc, exec, s[10:11]
	s_cbranch_vccnz .LBB96_1361
.LBB96_1360:
	global_load_ubyte v1, v[2:3], off
	v_mov_b32_e32 v7, 0x3c00
	s_mov_b64 s[16:17], -1
	s_waitcnt vmcnt(0)
	v_cmp_ne_u16_e32 vcc, 0, v1
	s_nop 1
	v_cndmask_b32_e32 v7, 0, v7, vcc
.LBB96_1361:
	s_branch .LBB96_1289
.LBB96_1362:
	s_cmp_lt_i32 s22, 5
	s_cbranch_scc1 .LBB96_1367
; %bb.1363:
	s_cmp_lt_i32 s22, 8
	s_cbranch_scc1 .LBB96_1368
; %bb.1364:
	;; [unrolled: 3-line block ×3, first 2 shown]
	s_cmp_gt_i32 s22, 9
	s_cbranch_scc0 .LBB96_1370
; %bb.1366:
	global_load_dwordx2 v[8:9], v[2:3], off
	s_movk_i32 s0, 0x1ff
	s_movk_i32 s1, 0xffe
	v_mov_b32_e32 v1, 0x7c00
	v_mov_b32_e32 v7, 0x7e00
	s_movk_i32 s10, 0x40f
	s_mov_b32 s11, 0x8000
	s_waitcnt vmcnt(0)
	v_and_or_b32 v8, v9, s0, v8
	v_cmp_ne_u32_e32 vcc, 0, v8
	v_lshrrev_b32_e32 v10, 8, v9
	v_bfe_u32 v11, v9, 20, 11
	v_cndmask_b32_e64 v8, 0, 1, vcc
	v_sub_u32_e32 v12, 0x3f1, v11
	v_and_or_b32 v8, v10, s1, v8
	v_add_u32_e32 v11, 0xfffffc10, v11
	v_med3_i32 v10, v12, 0, 13
	v_or_b32_e32 v12, 0x1000, v8
	v_lshl_or_b32 v13, v11, 12, v8
	v_cmp_ne_u32_e32 vcc, 0, v8
	v_lshrrev_b32_e32 v8, v10, v12
	v_lshlrev_b32_e32 v10, v10, v8
	v_cndmask_b32_e32 v7, v1, v7, vcc
	v_cmp_ne_u32_e32 vcc, v10, v12
	v_lshrrev_b32_e32 v9, 16, v9
	s_mov_b64 s[0:1], 0
	v_cndmask_b32_e64 v10, 0, 1, vcc
	v_or_b32_e32 v8, v8, v10
	v_cmp_gt_i32_e32 vcc, 1, v11
	s_nop 1
	v_cndmask_b32_e32 v8, v13, v8, vcc
	v_and_b32_e32 v10, 7, v8
	v_cmp_lt_i32_e32 vcc, 5, v10
	v_lshrrev_b32_e32 v8, 2, v8
	s_nop 0
	v_cndmask_b32_e64 v12, 0, 1, vcc
	v_cmp_eq_u32_e32 vcc, 3, v10
	s_nop 1
	v_cndmask_b32_e64 v10, 0, 1, vcc
	v_or_b32_e32 v10, v10, v12
	v_add_u32_e32 v8, v8, v10
	v_cmp_gt_i32_e32 vcc, 31, v11
	s_nop 1
	v_cndmask_b32_e32 v1, v1, v8, vcc
	v_cmp_eq_u32_e32 vcc, s10, v11
	s_nop 1
	v_cndmask_b32_e32 v1, v1, v7, vcc
	v_and_or_b32 v7, v9, s11, v1
	s_branch .LBB96_1371
.LBB96_1367:
	s_mov_b64 s[0:1], -1
                                        ; implicit-def: $vgpr7
	s_branch .LBB96_1389
.LBB96_1368:
	s_mov_b64 s[0:1], -1
                                        ; implicit-def: $vgpr7
	s_branch .LBB96_1377
.LBB96_1369:
	s_mov_b64 s[0:1], -1
                                        ; implicit-def: $vgpr7
	s_branch .LBB96_1374
.LBB96_1370:
	s_mov_b64 s[0:1], -1
                                        ; implicit-def: $vgpr7
.LBB96_1371:
	s_andn2_b64 vcc, exec, s[0:1]
	s_cbranch_vccnz .LBB96_1373
; %bb.1372:
	global_load_dword v1, v[2:3], off
	s_waitcnt vmcnt(0)
	v_cvt_f16_f32_e32 v7, v1
.LBB96_1373:
	s_mov_b64 s[0:1], 0
.LBB96_1374:
	s_andn2_b64 vcc, exec, s[0:1]
	s_cbranch_vccnz .LBB96_1376
; %bb.1375:
	global_load_dword v7, v[2:3], off
.LBB96_1376:
	s_mov_b64 s[0:1], 0
.LBB96_1377:
	s_andn2_b64 vcc, exec, s[0:1]
	s_cbranch_vccnz .LBB96_1388
; %bb.1378:
	s_cmp_lt_i32 s22, 6
	s_cbranch_scc1 .LBB96_1381
; %bb.1379:
	s_cmp_gt_i32 s22, 6
	s_cbranch_scc0 .LBB96_1382
; %bb.1380:
	global_load_dwordx2 v[8:9], v[2:3], off
	s_movk_i32 s0, 0x1ff
	s_movk_i32 s1, 0xffe
	v_mov_b32_e32 v1, 0x7c00
	s_waitcnt vmcnt(1)
	v_mov_b32_e32 v7, 0x7e00
	s_movk_i32 s10, 0x40f
	s_mov_b32 s11, 0x8000
	s_waitcnt vmcnt(0)
	v_and_or_b32 v8, v9, s0, v8
	v_cmp_ne_u32_e32 vcc, 0, v8
	v_lshrrev_b32_e32 v10, 8, v9
	v_bfe_u32 v11, v9, 20, 11
	v_cndmask_b32_e64 v8, 0, 1, vcc
	v_sub_u32_e32 v12, 0x3f1, v11
	v_and_or_b32 v8, v10, s1, v8
	v_add_u32_e32 v11, 0xfffffc10, v11
	v_med3_i32 v10, v12, 0, 13
	v_or_b32_e32 v12, 0x1000, v8
	v_lshl_or_b32 v13, v11, 12, v8
	v_cmp_ne_u32_e32 vcc, 0, v8
	v_lshrrev_b32_e32 v8, v10, v12
	v_lshlrev_b32_e32 v10, v10, v8
	v_cndmask_b32_e32 v7, v1, v7, vcc
	v_cmp_ne_u32_e32 vcc, v10, v12
	v_lshrrev_b32_e32 v9, 16, v9
	s_mov_b64 s[0:1], 0
	v_cndmask_b32_e64 v10, 0, 1, vcc
	v_or_b32_e32 v8, v8, v10
	v_cmp_gt_i32_e32 vcc, 1, v11
	s_nop 1
	v_cndmask_b32_e32 v8, v13, v8, vcc
	v_and_b32_e32 v10, 7, v8
	v_cmp_lt_i32_e32 vcc, 5, v10
	v_lshrrev_b32_e32 v8, 2, v8
	s_nop 0
	v_cndmask_b32_e64 v12, 0, 1, vcc
	v_cmp_eq_u32_e32 vcc, 3, v10
	s_nop 1
	v_cndmask_b32_e64 v10, 0, 1, vcc
	v_or_b32_e32 v10, v10, v12
	v_add_u32_e32 v8, v8, v10
	v_cmp_gt_i32_e32 vcc, 31, v11
	s_nop 1
	v_cndmask_b32_e32 v1, v1, v8, vcc
	v_cmp_eq_u32_e32 vcc, s10, v11
	s_nop 1
	v_cndmask_b32_e32 v1, v1, v7, vcc
	v_and_or_b32 v7, v9, s11, v1
	s_branch .LBB96_1383
.LBB96_1381:
	s_mov_b64 s[0:1], -1
                                        ; implicit-def: $vgpr7
	s_branch .LBB96_1386
.LBB96_1382:
	s_mov_b64 s[0:1], -1
                                        ; implicit-def: $vgpr7
.LBB96_1383:
	s_andn2_b64 vcc, exec, s[0:1]
	s_cbranch_vccnz .LBB96_1385
; %bb.1384:
	global_load_dword v1, v[2:3], off
	s_waitcnt vmcnt(0)
	v_cvt_f16_f32_e32 v7, v1
.LBB96_1385:
	s_mov_b64 s[0:1], 0
.LBB96_1386:
	s_andn2_b64 vcc, exec, s[0:1]
	s_cbranch_vccnz .LBB96_1388
; %bb.1387:
	global_load_ushort v7, v[2:3], off
.LBB96_1388:
	s_mov_b64 s[0:1], 0
.LBB96_1389:
	s_andn2_b64 vcc, exec, s[0:1]
	s_cbranch_vccnz .LBB96_1409
; %bb.1390:
	s_cmp_lt_i32 s22, 2
	s_cbranch_scc1 .LBB96_1394
; %bb.1391:
	s_cmp_lt_i32 s22, 3
	s_cbranch_scc1 .LBB96_1395
; %bb.1392:
	s_cmp_gt_i32 s22, 3
	s_cbranch_scc0 .LBB96_1396
; %bb.1393:
	global_load_dwordx2 v[8:9], v[2:3], off
	s_mov_b64 s[0:1], 0
	s_waitcnt vmcnt(0)
	v_xor_b32_e32 v7, v8, v9
	v_ffbh_i32_e32 v1, v9
	v_ashrrev_i32_e32 v7, 31, v7
	v_add_u32_e32 v1, -1, v1
	v_add_u32_e32 v7, 32, v7
	v_min_u32_e32 v1, v1, v7
	v_lshlrev_b64 v[8:9], v1, v[8:9]
	v_min_u32_e32 v7, 1, v8
	v_or_b32_e32 v7, v9, v7
	v_cvt_f32_i32_e32 v7, v7
	v_sub_u32_e32 v1, 32, v1
	v_ldexp_f32 v1, v7, v1
	v_cvt_f16_f32_e32 v7, v1
	s_branch .LBB96_1397
.LBB96_1394:
	s_mov_b64 s[0:1], -1
                                        ; implicit-def: $vgpr7
	s_branch .LBB96_1403
.LBB96_1395:
	s_mov_b64 s[0:1], -1
                                        ; implicit-def: $vgpr7
	s_branch .LBB96_1400
.LBB96_1396:
	s_mov_b64 s[0:1], -1
                                        ; implicit-def: $vgpr7
.LBB96_1397:
	s_andn2_b64 vcc, exec, s[0:1]
	s_cbranch_vccnz .LBB96_1399
; %bb.1398:
	global_load_dword v1, v[2:3], off
	s_waitcnt vmcnt(0)
	v_cvt_f32_i32_e32 v1, v1
	v_cvt_f16_f32_e32 v7, v1
.LBB96_1399:
	s_mov_b64 s[0:1], 0
.LBB96_1400:
	s_andn2_b64 vcc, exec, s[0:1]
	s_cbranch_vccnz .LBB96_1402
; %bb.1401:
	global_load_ushort v1, v[2:3], off
	s_waitcnt vmcnt(0)
	v_cvt_f16_i16_e32 v7, v1
.LBB96_1402:
	s_mov_b64 s[0:1], 0
.LBB96_1403:
	s_andn2_b64 vcc, exec, s[0:1]
	s_cbranch_vccnz .LBB96_1409
; %bb.1404:
	s_cmp_gt_i32 s22, 0
	s_cbranch_scc0 .LBB96_1406
; %bb.1405:
	global_load_sbyte v1, v[2:3], off
	s_mov_b64 s[0:1], 0
	s_waitcnt vmcnt(0)
	v_cvt_f16_i16_e32 v7, v1
	s_branch .LBB96_1407
.LBB96_1406:
	s_mov_b64 s[0:1], -1
                                        ; implicit-def: $vgpr7
.LBB96_1407:
	s_andn2_b64 vcc, exec, s[0:1]
	s_cbranch_vccnz .LBB96_1409
; %bb.1408:
	global_load_ubyte v1, v[2:3], off
	s_waitcnt vmcnt(0)
	v_cvt_f16_u16_e32 v7, v1
.LBB96_1409:
.LBB96_1410:
	v_add_u32_e32 v0, s9, v0
	v_ashrrev_i32_e32 v1, 31, v0
	s_cmp_lt_i32 s22, 11
	v_lshl_add_u64 v[0:1], s[6:7], 0, v[0:1]
	s_cbranch_scc1 .LBB96_1417
; %bb.1411:
	s_cmp_gt_i32 s22, 25
	s_mov_b64 s[6:7], 0
	s_cbranch_scc0 .LBB96_1418
; %bb.1412:
	s_cmp_gt_i32 s22, 28
	s_cbranch_scc0 .LBB96_1419
; %bb.1413:
	s_cmp_gt_i32 s22, 43
	;; [unrolled: 3-line block ×3, first 2 shown]
	s_cbranch_scc0 .LBB96_1422
; %bb.1415:
	s_cmp_eq_u32 s22, 46
	s_mov_b64 s[16:17], 0
	s_cbranch_scc0 .LBB96_1423
; %bb.1416:
	global_load_dword v2, v[0:1], off
	s_mov_b64 s[0:1], 0
	s_mov_b64 s[10:11], -1
	s_waitcnt vmcnt(0)
	v_lshlrev_b32_e32 v2, 16, v2
	v_cvt_f16_f32_e32 v8, v2
	s_branch .LBB96_1424
.LBB96_1417:
	s_mov_b64 s[0:1], -1
	s_mov_b64 s[10:11], 0
                                        ; implicit-def: $vgpr8
	s_branch .LBB96_1490
.LBB96_1418:
	s_mov_b64 s[16:17], -1
	s_mov_b64 s[10:11], 0
	s_mov_b64 s[0:1], 0
                                        ; implicit-def: $vgpr8
	s_branch .LBB96_1453
.LBB96_1419:
	s_mov_b64 s[16:17], -1
	s_mov_b64 s[10:11], 0
	s_mov_b64 s[0:1], 0
                                        ; implicit-def: $vgpr8
	s_branch .LBB96_1434
.LBB96_1420:
	s_mov_b64 s[16:17], -1
	s_mov_b64 s[10:11], 0
	s_mov_b64 s[0:1], 0
                                        ; implicit-def: $vgpr8
	s_branch .LBB96_1429
.LBB96_1421:
	s_trap 2
	s_or_b64 s[14:15], s[14:15], exec
	s_cbranch_execz .LBB96_1360
	s_branch .LBB96_1361
.LBB96_1422:
	s_mov_b64 s[16:17], -1
	s_mov_b64 s[10:11], 0
	s_mov_b64 s[0:1], 0
                                        ; implicit-def: $vgpr8
	s_branch .LBB96_1424
.LBB96_1423:
	s_mov_b64 s[0:1], -1
                                        ; implicit-def: $vgpr8
	s_mov_b64 s[10:11], 0
.LBB96_1424:
	s_and_b64 vcc, exec, s[16:17]
	s_cbranch_vccz .LBB96_1428
; %bb.1425:
	s_cmp_eq_u32 s22, 44
	s_cbranch_scc0 .LBB96_1427
; %bb.1426:
	global_load_ubyte v2, v[0:1], off
	s_movk_i32 s9, 0xff
	v_mov_b32_e32 v8, 0x7e00
	s_mov_b64 s[0:1], 0
	s_mov_b64 s[10:11], -1
	s_waitcnt vmcnt(0)
	v_lshlrev_b32_e32 v3, 23, v2
	v_cvt_f16_f32_e32 v3, v3
	v_cmp_ne_u32_e32 vcc, s9, v2
	s_nop 1
	v_cndmask_b32_e32 v3, v8, v3, vcc
	v_cmp_ne_u32_e32 vcc, 0, v2
	s_nop 1
	v_cndmask_b32_e32 v8, 0, v3, vcc
	s_branch .LBB96_1428
.LBB96_1427:
	s_mov_b64 s[0:1], -1
                                        ; implicit-def: $vgpr8
.LBB96_1428:
	s_mov_b64 s[16:17], 0
.LBB96_1429:
	s_and_b64 vcc, exec, s[16:17]
	s_cbranch_vccz .LBB96_1433
; %bb.1430:
	s_cmp_eq_u32 s22, 29
	s_cbranch_scc0 .LBB96_1432
; %bb.1431:
	global_load_dwordx2 v[2:3], v[0:1], off
	s_mov_b64 s[0:1], 0
	s_mov_b64 s[10:11], -1
	s_mov_b64 s[16:17], 0
	s_waitcnt vmcnt(0)
	v_ffbh_u32_e32 v8, v3
	v_min_u32_e32 v8, 32, v8
	v_lshlrev_b64 v[2:3], v8, v[2:3]
	v_min_u32_e32 v2, 1, v2
	v_or_b32_e32 v2, v3, v2
	v_cvt_f32_u32_e32 v2, v2
	v_sub_u32_e32 v3, 32, v8
	v_ldexp_f32 v2, v2, v3
	v_cvt_f16_f32_e32 v8, v2
	s_branch .LBB96_1434
.LBB96_1432:
	s_mov_b64 s[0:1], -1
                                        ; implicit-def: $vgpr8
.LBB96_1433:
	s_mov_b64 s[16:17], 0
.LBB96_1434:
	s_and_b64 vcc, exec, s[16:17]
	s_cbranch_vccz .LBB96_1452
; %bb.1435:
	s_cmp_lt_i32 s22, 27
	s_cbranch_scc1 .LBB96_1438
; %bb.1436:
	s_cmp_gt_i32 s22, 27
	s_cbranch_scc0 .LBB96_1439
; %bb.1437:
	global_load_dword v2, v[0:1], off
	s_mov_b64 s[10:11], 0
	s_waitcnt vmcnt(0)
	v_cvt_f32_u32_e32 v2, v2
	v_cvt_f16_f32_e32 v8, v2
	s_branch .LBB96_1440
.LBB96_1438:
	s_mov_b64 s[10:11], -1
                                        ; implicit-def: $vgpr8
	s_branch .LBB96_1443
.LBB96_1439:
	s_mov_b64 s[10:11], -1
                                        ; implicit-def: $vgpr8
.LBB96_1440:
	s_andn2_b64 vcc, exec, s[10:11]
	s_cbranch_vccnz .LBB96_1442
; %bb.1441:
	global_load_ushort v2, v[0:1], off
	s_waitcnt vmcnt(0)
	v_cvt_f16_u16_e32 v8, v2
.LBB96_1442:
	s_mov_b64 s[10:11], 0
.LBB96_1443:
	s_andn2_b64 vcc, exec, s[10:11]
	s_cbranch_vccnz .LBB96_1451
; %bb.1444:
	global_load_ubyte v2, v[0:1], off
	s_movk_i32 s9, 0x7f
	s_mov_b64 s[10:11], 0
	s_waitcnt vmcnt(0)
	v_cmp_lt_i16_e32 vcc, s9, v2
	s_and_saveexec_b64 s[16:17], vcc
	s_xor_b64 s[16:17], exec, s[16:17]
	s_cbranch_execz .LBB96_1465
; %bb.1445:
	s_movk_i32 s9, 0x80
	v_cmp_eq_u16_e32 vcc, s9, v2
	s_mov_b64 s[10:11], -1
	s_and_saveexec_b64 s[18:19], vcc
; %bb.1446:
	s_xor_b64 s[10:11], exec, -1
; %bb.1447:
	s_or_b64 exec, exec, s[18:19]
	s_and_b64 s[10:11], s[10:11], exec
	s_or_saveexec_b64 s[16:17], s[16:17]
	v_mov_b32_e32 v8, 0x7e00
	s_xor_b64 exec, exec, s[16:17]
	s_cbranch_execnz .LBB96_1466
.LBB96_1448:
	s_or_b64 exec, exec, s[16:17]
	s_and_saveexec_b64 s[16:17], s[10:11]
	s_cbranch_execz .LBB96_1450
.LBB96_1449:
	v_lshlrev_b32_e32 v3, 24, v2
	v_and_b32_e32 v2, 0xffff, v2
	v_and_b32_e32 v8, 7, v2
	v_ffbh_u32_e32 v10, v8
	v_min_u32_e32 v10, 32, v10
	v_subrev_u32_e32 v11, 28, v10
	v_bfe_u32 v9, v2, 3, 4
	v_lshlrev_b32_e32 v2, v11, v2
	v_sub_u32_e32 v10, 29, v10
	v_and_b32_e32 v2, 7, v2
	v_cmp_eq_u32_e32 vcc, 0, v9
	v_and_b32_e32 v3, 0x80000000, v3
	s_nop 0
	v_cndmask_b32_e32 v9, v9, v10, vcc
	v_cndmask_b32_e32 v2, v8, v2, vcc
	v_mov_b32_e32 v8, 0x3b800000
	v_lshlrev_b32_e32 v2, 20, v2
	v_lshl_add_u32 v8, v9, 23, v8
	v_or3_b32 v2, v3, v8, v2
	v_cvt_f16_f32_e32 v8, v2
.LBB96_1450:
	s_or_b64 exec, exec, s[16:17]
.LBB96_1451:
	s_mov_b64 s[10:11], -1
.LBB96_1452:
	s_mov_b64 s[16:17], 0
.LBB96_1453:
	s_and_b64 vcc, exec, s[16:17]
	s_cbranch_vccz .LBB96_1486
; %bb.1454:
	s_cmp_gt_i32 s22, 22
	s_cbranch_scc0 .LBB96_1464
; %bb.1455:
	s_cmp_lt_i32 s22, 24
	s_cbranch_scc1 .LBB96_1467
; %bb.1456:
	s_cmp_gt_i32 s22, 24
	s_cbranch_scc0 .LBB96_1468
; %bb.1457:
	global_load_ubyte v2, v[0:1], off
	s_movk_i32 s6, 0x7f
	s_waitcnt vmcnt(0)
	v_cmp_lt_i16_e32 vcc, s6, v2
	s_mov_b64 s[6:7], 0
	s_and_saveexec_b64 s[10:11], vcc
	s_xor_b64 s[10:11], exec, s[10:11]
	s_cbranch_execz .LBB96_1480
; %bb.1458:
	s_movk_i32 s6, 0x80
	v_cmp_eq_u16_e32 vcc, s6, v2
	s_mov_b64 s[6:7], -1
	s_and_saveexec_b64 s[16:17], vcc
; %bb.1459:
	s_xor_b64 s[6:7], exec, -1
; %bb.1460:
	s_or_b64 exec, exec, s[16:17]
	s_and_b64 s[6:7], s[6:7], exec
	s_or_saveexec_b64 s[10:11], s[10:11]
	v_mov_b32_e32 v8, 0x7e00
	s_xor_b64 exec, exec, s[10:11]
	s_cbranch_execnz .LBB96_1481
.LBB96_1461:
	s_or_b64 exec, exec, s[10:11]
	s_and_saveexec_b64 s[10:11], s[6:7]
	s_cbranch_execz .LBB96_1463
.LBB96_1462:
	v_lshlrev_b32_e32 v3, 24, v2
	v_and_b32_e32 v2, 0xffff, v2
	v_and_b32_e32 v8, 3, v2
	v_ffbh_u32_e32 v10, v8
	v_min_u32_e32 v10, 32, v10
	v_subrev_u32_e32 v11, 29, v10
	v_bfe_u32 v9, v2, 2, 5
	v_lshlrev_b32_e32 v2, v11, v2
	v_sub_u32_e32 v10, 30, v10
	v_and_b32_e32 v2, 3, v2
	v_cmp_eq_u32_e32 vcc, 0, v9
	v_and_b32_e32 v3, 0x80000000, v3
	s_nop 0
	v_cndmask_b32_e32 v9, v9, v10, vcc
	v_cndmask_b32_e32 v2, v8, v2, vcc
	v_mov_b32_e32 v8, 0x37800000
	v_lshlrev_b32_e32 v2, 21, v2
	v_lshl_add_u32 v8, v9, 23, v8
	v_or3_b32 v2, v3, v8, v2
	v_cvt_f16_f32_e32 v8, v2
.LBB96_1463:
	s_or_b64 exec, exec, s[10:11]
	s_mov_b64 s[6:7], 0
	s_branch .LBB96_1469
.LBB96_1464:
	s_mov_b64 s[6:7], -1
                                        ; implicit-def: $vgpr8
	s_branch .LBB96_1475
.LBB96_1465:
	s_or_saveexec_b64 s[16:17], s[16:17]
	v_mov_b32_e32 v8, 0x7e00
	s_xor_b64 exec, exec, s[16:17]
	s_cbranch_execz .LBB96_1448
.LBB96_1466:
	v_cmp_ne_u16_e32 vcc, 0, v2
	s_andn2_b64 s[10:11], s[10:11], exec
	s_and_b64 s[18:19], vcc, exec
	s_or_b64 s[10:11], s[10:11], s[18:19]
	v_mov_b32_e32 v8, v2
	s_or_b64 exec, exec, s[16:17]
	s_and_saveexec_b64 s[16:17], s[10:11]
	s_cbranch_execnz .LBB96_1449
	s_branch .LBB96_1450
.LBB96_1467:
	s_mov_b64 s[6:7], -1
                                        ; implicit-def: $vgpr8
	s_branch .LBB96_1472
.LBB96_1468:
	s_mov_b64 s[6:7], -1
                                        ; implicit-def: $vgpr8
.LBB96_1469:
	s_and_b64 vcc, exec, s[6:7]
	s_cbranch_vccz .LBB96_1471
; %bb.1470:
	global_load_ubyte v2, v[0:1], off
	s_mov_b32 s6, 0x7f800000
	s_waitcnt vmcnt(0)
	v_lshlrev_b32_e32 v2, 24, v2
	v_and_b32_e32 v3, 0x7f000000, v2
	v_ffbh_u32_e32 v8, v3
	v_min_u32_e32 v8, 32, v8
	v_sub_u32_e64 v8, v8, 4 clamp
	v_lshlrev_b32_e32 v10, v8, v3
	v_lshlrev_b32_e32 v8, 23, v8
	v_lshrrev_b32_e32 v10, 4, v10
	v_add_u32_e32 v9, 0x1000000, v3
	v_sub_u32_e32 v8, v10, v8
	v_ashrrev_i32_e32 v9, 8, v9
	v_add_u32_e32 v8, 0x3c000000, v8
	v_and_or_b32 v8, v9, s6, v8
	v_cmp_ne_u32_e32 vcc, 0, v3
	s_brev_b32 s6, 1
	s_nop 0
	v_cndmask_b32_e32 v3, 0, v8, vcc
	v_and_or_b32 v2, v2, s6, v3
	v_cvt_f16_f32_e32 v8, v2
.LBB96_1471:
	s_mov_b64 s[6:7], 0
.LBB96_1472:
	s_andn2_b64 vcc, exec, s[6:7]
	s_cbranch_vccnz .LBB96_1474
; %bb.1473:
	global_load_ubyte v2, v[0:1], off
	s_movk_i32 s6, 0x7f00
	s_brev_b32 s7, 16
	s_waitcnt vmcnt(0)
	v_lshlrev_b16_e32 v3, 8, v2
	v_lshlrev_b32_e32 v2, 25, v2
	v_lshrrev_b32_e32 v8, 4, v2
	v_and_or_b32 v9, v3, s6, 0.5
	v_or_b32_e32 v8, 0x70000000, v8
	v_add_f32_e32 v9, -0.5, v9
	v_mul_f32_e32 v8, 0x7800000, v8
	v_cmp_gt_u32_e32 vcc, s7, v2
	v_bfe_i32 v3, v3, 0, 16
	s_brev_b32 s6, 1
	v_cndmask_b32_e32 v2, v8, v9, vcc
	v_and_or_b32 v2, v3, s6, v2
	v_cvt_f16_f32_e32 v8, v2
.LBB96_1474:
	s_mov_b64 s[6:7], 0
	s_mov_b64 s[10:11], -1
.LBB96_1475:
	s_andn2_b64 vcc, exec, s[6:7]
	s_mov_b64 s[6:7], 0
	s_cbranch_vccnz .LBB96_1486
; %bb.1476:
	s_cmp_gt_i32 s22, 14
	s_cbranch_scc0 .LBB96_1479
; %bb.1477:
	s_cmp_eq_u32 s22, 15
	s_cbranch_scc0 .LBB96_1482
; %bb.1478:
	global_load_ushort v2, v[0:1], off
	s_mov_b64 s[0:1], 0
	s_mov_b64 s[10:11], -1
	s_waitcnt vmcnt(0)
	v_lshlrev_b32_e32 v2, 16, v2
	v_cvt_f16_f32_e32 v8, v2
	s_branch .LBB96_1483
.LBB96_1479:
	s_mov_b64 s[16:17], -1
                                        ; implicit-def: $vgpr8
	s_branch .LBB96_1484
.LBB96_1480:
	s_or_saveexec_b64 s[10:11], s[10:11]
	v_mov_b32_e32 v8, 0x7e00
	s_xor_b64 exec, exec, s[10:11]
	s_cbranch_execz .LBB96_1461
.LBB96_1481:
	v_cmp_ne_u16_e32 vcc, 0, v2
	s_andn2_b64 s[6:7], s[6:7], exec
	s_and_b64 s[16:17], vcc, exec
	s_or_b64 s[6:7], s[6:7], s[16:17]
	v_mov_b32_e32 v8, v2
	s_or_b64 exec, exec, s[10:11]
	s_and_saveexec_b64 s[10:11], s[6:7]
	s_cbranch_execnz .LBB96_1462
	s_branch .LBB96_1463
.LBB96_1482:
	s_mov_b64 s[0:1], -1
                                        ; implicit-def: $vgpr8
.LBB96_1483:
	s_mov_b64 s[16:17], 0
.LBB96_1484:
	s_and_b64 vcc, exec, s[16:17]
	s_cbranch_vccz .LBB96_1486
; %bb.1485:
	s_cmp_lg_u32 s22, 11
	s_mov_b64 s[6:7], -1
	s_cselect_b64 s[0:1], -1, 0
.LBB96_1486:
	s_and_b64 vcc, exec, s[0:1]
	s_cbranch_vccnz .LBB96_2019
; %bb.1487:
	s_andn2_b64 vcc, exec, s[6:7]
	s_cbranch_vccnz .LBB96_1489
.LBB96_1488:
	global_load_ubyte v2, v[0:1], off
	v_mov_b32_e32 v3, 0x3c00
	s_mov_b64 s[10:11], -1
	s_waitcnt vmcnt(0)
	v_cmp_ne_u16_e32 vcc, 0, v2
	s_nop 1
	v_cndmask_b32_e32 v8, 0, v3, vcc
.LBB96_1489:
	s_mov_b64 s[0:1], 0
.LBB96_1490:
	s_and_b64 vcc, exec, s[0:1]
	s_cbranch_vccz .LBB96_1539
; %bb.1491:
	s_cmp_lt_i32 s22, 5
	s_cbranch_scc1 .LBB96_1496
; %bb.1492:
	s_cmp_lt_i32 s22, 8
	s_cbranch_scc1 .LBB96_1497
	;; [unrolled: 3-line block ×3, first 2 shown]
; %bb.1494:
	s_cmp_gt_i32 s22, 9
	s_cbranch_scc0 .LBB96_1499
; %bb.1495:
	global_load_dwordx2 v[2:3], v[0:1], off
	s_movk_i32 s0, 0x1ff
	s_movk_i32 s1, 0xffe
	v_mov_b32_e32 v8, 0x7c00
	v_mov_b32_e32 v9, 0x7e00
	s_movk_i32 s6, 0x40f
	s_mov_b32 s7, 0x8000
	s_waitcnt vmcnt(0)
	v_and_or_b32 v2, v3, s0, v2
	v_cmp_ne_u32_e32 vcc, 0, v2
	v_lshrrev_b32_e32 v10, 8, v3
	v_bfe_u32 v11, v3, 20, 11
	v_cndmask_b32_e64 v2, 0, 1, vcc
	v_sub_u32_e32 v12, 0x3f1, v11
	v_and_or_b32 v2, v10, s1, v2
	v_add_u32_e32 v11, 0xfffffc10, v11
	v_med3_i32 v10, v12, 0, 13
	v_or_b32_e32 v12, 0x1000, v2
	v_cmp_ne_u32_e32 vcc, 0, v2
	v_lshl_or_b32 v13, v11, 12, v2
	v_lshrrev_b32_e32 v3, 16, v3
	v_cndmask_b32_e32 v2, v8, v9, vcc
	v_lshrrev_b32_e32 v9, v10, v12
	v_lshlrev_b32_e32 v10, v10, v9
	v_cmp_ne_u32_e32 vcc, v10, v12
	s_mov_b64 s[0:1], 0
	s_nop 0
	v_cndmask_b32_e64 v10, 0, 1, vcc
	v_or_b32_e32 v9, v9, v10
	v_cmp_gt_i32_e32 vcc, 1, v11
	s_nop 1
	v_cndmask_b32_e32 v9, v13, v9, vcc
	v_and_b32_e32 v10, 7, v9
	v_cmp_lt_i32_e32 vcc, 5, v10
	v_lshrrev_b32_e32 v9, 2, v9
	s_nop 0
	v_cndmask_b32_e64 v12, 0, 1, vcc
	v_cmp_eq_u32_e32 vcc, 3, v10
	s_nop 1
	v_cndmask_b32_e64 v10, 0, 1, vcc
	v_or_b32_e32 v10, v10, v12
	v_add_u32_e32 v9, v9, v10
	v_cmp_gt_i32_e32 vcc, 31, v11
	s_nop 1
	v_cndmask_b32_e32 v8, v8, v9, vcc
	v_cmp_eq_u32_e32 vcc, s6, v11
	s_nop 1
	v_cndmask_b32_e32 v2, v8, v2, vcc
	v_and_or_b32 v8, v3, s7, v2
	s_branch .LBB96_1500
.LBB96_1496:
	s_mov_b64 s[0:1], -1
                                        ; implicit-def: $vgpr8
	s_branch .LBB96_1518
.LBB96_1497:
	s_mov_b64 s[0:1], -1
                                        ; implicit-def: $vgpr8
	s_branch .LBB96_1506
.LBB96_1498:
	s_mov_b64 s[0:1], -1
                                        ; implicit-def: $vgpr8
	s_branch .LBB96_1503
.LBB96_1499:
	s_mov_b64 s[0:1], -1
                                        ; implicit-def: $vgpr8
.LBB96_1500:
	s_andn2_b64 vcc, exec, s[0:1]
	s_cbranch_vccnz .LBB96_1502
; %bb.1501:
	global_load_dword v2, v[0:1], off
	s_waitcnt vmcnt(0)
	v_cvt_f16_f32_e32 v8, v2
.LBB96_1502:
	s_mov_b64 s[0:1], 0
.LBB96_1503:
	s_andn2_b64 vcc, exec, s[0:1]
	s_cbranch_vccnz .LBB96_1505
; %bb.1504:
	global_load_dword v8, v[0:1], off
.LBB96_1505:
	s_mov_b64 s[0:1], 0
.LBB96_1506:
	s_andn2_b64 vcc, exec, s[0:1]
	s_cbranch_vccnz .LBB96_1517
; %bb.1507:
	s_cmp_lt_i32 s22, 6
	s_cbranch_scc1 .LBB96_1510
; %bb.1508:
	s_cmp_gt_i32 s22, 6
	s_cbranch_scc0 .LBB96_1511
; %bb.1509:
	global_load_dwordx2 v[2:3], v[0:1], off
	s_movk_i32 s0, 0x1ff
	s_movk_i32 s1, 0xffe
	s_waitcnt vmcnt(1)
	v_mov_b32_e32 v8, 0x7c00
	v_mov_b32_e32 v9, 0x7e00
	s_movk_i32 s6, 0x40f
	s_mov_b32 s7, 0x8000
	s_waitcnt vmcnt(0)
	v_and_or_b32 v2, v3, s0, v2
	v_cmp_ne_u32_e32 vcc, 0, v2
	v_lshrrev_b32_e32 v10, 8, v3
	v_bfe_u32 v11, v3, 20, 11
	v_cndmask_b32_e64 v2, 0, 1, vcc
	v_sub_u32_e32 v12, 0x3f1, v11
	v_and_or_b32 v2, v10, s1, v2
	v_add_u32_e32 v11, 0xfffffc10, v11
	v_med3_i32 v10, v12, 0, 13
	v_or_b32_e32 v12, 0x1000, v2
	v_cmp_ne_u32_e32 vcc, 0, v2
	v_lshl_or_b32 v13, v11, 12, v2
	v_lshrrev_b32_e32 v3, 16, v3
	v_cndmask_b32_e32 v2, v8, v9, vcc
	v_lshrrev_b32_e32 v9, v10, v12
	v_lshlrev_b32_e32 v10, v10, v9
	v_cmp_ne_u32_e32 vcc, v10, v12
	s_mov_b64 s[0:1], 0
	s_nop 0
	v_cndmask_b32_e64 v10, 0, 1, vcc
	v_or_b32_e32 v9, v9, v10
	v_cmp_gt_i32_e32 vcc, 1, v11
	s_nop 1
	v_cndmask_b32_e32 v9, v13, v9, vcc
	v_and_b32_e32 v10, 7, v9
	v_cmp_lt_i32_e32 vcc, 5, v10
	v_lshrrev_b32_e32 v9, 2, v9
	s_nop 0
	v_cndmask_b32_e64 v12, 0, 1, vcc
	v_cmp_eq_u32_e32 vcc, 3, v10
	s_nop 1
	v_cndmask_b32_e64 v10, 0, 1, vcc
	v_or_b32_e32 v10, v10, v12
	v_add_u32_e32 v9, v9, v10
	v_cmp_gt_i32_e32 vcc, 31, v11
	s_nop 1
	v_cndmask_b32_e32 v8, v8, v9, vcc
	v_cmp_eq_u32_e32 vcc, s6, v11
	s_nop 1
	v_cndmask_b32_e32 v2, v8, v2, vcc
	v_and_or_b32 v8, v3, s7, v2
	s_branch .LBB96_1512
.LBB96_1510:
	s_mov_b64 s[0:1], -1
                                        ; implicit-def: $vgpr8
	s_branch .LBB96_1515
.LBB96_1511:
	s_mov_b64 s[0:1], -1
                                        ; implicit-def: $vgpr8
.LBB96_1512:
	s_andn2_b64 vcc, exec, s[0:1]
	s_cbranch_vccnz .LBB96_1514
; %bb.1513:
	global_load_dword v2, v[0:1], off
	s_waitcnt vmcnt(0)
	v_cvt_f16_f32_e32 v8, v2
.LBB96_1514:
	s_mov_b64 s[0:1], 0
.LBB96_1515:
	s_andn2_b64 vcc, exec, s[0:1]
	s_cbranch_vccnz .LBB96_1517
; %bb.1516:
	global_load_ushort v8, v[0:1], off
.LBB96_1517:
	s_mov_b64 s[0:1], 0
.LBB96_1518:
	s_andn2_b64 vcc, exec, s[0:1]
	s_cbranch_vccnz .LBB96_1538
; %bb.1519:
	s_cmp_lt_i32 s22, 2
	s_cbranch_scc1 .LBB96_1523
; %bb.1520:
	s_cmp_lt_i32 s22, 3
	s_cbranch_scc1 .LBB96_1524
; %bb.1521:
	s_cmp_gt_i32 s22, 3
	s_cbranch_scc0 .LBB96_1525
; %bb.1522:
	global_load_dwordx2 v[2:3], v[0:1], off
	s_mov_b64 s[0:1], 0
	s_waitcnt vmcnt(0)
	v_xor_b32_e32 v9, v2, v3
	v_ffbh_i32_e32 v8, v3
	v_ashrrev_i32_e32 v9, 31, v9
	v_add_u32_e32 v8, -1, v8
	v_add_u32_e32 v9, 32, v9
	v_min_u32_e32 v8, v8, v9
	v_lshlrev_b64 v[2:3], v8, v[2:3]
	v_min_u32_e32 v2, 1, v2
	v_or_b32_e32 v2, v3, v2
	v_cvt_f32_i32_e32 v2, v2
	v_sub_u32_e32 v3, 32, v8
	v_ldexp_f32 v2, v2, v3
	v_cvt_f16_f32_e32 v8, v2
	s_branch .LBB96_1526
.LBB96_1523:
	s_mov_b64 s[0:1], -1
                                        ; implicit-def: $vgpr8
	s_branch .LBB96_1532
.LBB96_1524:
	s_mov_b64 s[0:1], -1
                                        ; implicit-def: $vgpr8
	s_branch .LBB96_1529
.LBB96_1525:
	s_mov_b64 s[0:1], -1
                                        ; implicit-def: $vgpr8
.LBB96_1526:
	s_andn2_b64 vcc, exec, s[0:1]
	s_cbranch_vccnz .LBB96_1528
; %bb.1527:
	global_load_dword v2, v[0:1], off
	s_waitcnt vmcnt(0)
	v_cvt_f32_i32_e32 v2, v2
	v_cvt_f16_f32_e32 v8, v2
.LBB96_1528:
	s_mov_b64 s[0:1], 0
.LBB96_1529:
	s_andn2_b64 vcc, exec, s[0:1]
	s_cbranch_vccnz .LBB96_1531
; %bb.1530:
	global_load_ushort v2, v[0:1], off
	s_waitcnt vmcnt(0)
	v_cvt_f16_i16_e32 v8, v2
.LBB96_1531:
	s_mov_b64 s[0:1], 0
.LBB96_1532:
	s_andn2_b64 vcc, exec, s[0:1]
	s_cbranch_vccnz .LBB96_1538
; %bb.1533:
	s_cmp_gt_i32 s22, 0
	s_cbranch_scc0 .LBB96_1535
; %bb.1534:
	global_load_sbyte v2, v[0:1], off
	s_mov_b64 s[0:1], 0
	s_waitcnt vmcnt(0)
	v_cvt_f16_i16_e32 v8, v2
	s_branch .LBB96_1536
.LBB96_1535:
	s_mov_b64 s[0:1], -1
                                        ; implicit-def: $vgpr8
.LBB96_1536:
	s_andn2_b64 vcc, exec, s[0:1]
	s_cbranch_vccnz .LBB96_1538
; %bb.1537:
	global_load_ubyte v0, v[0:1], off
	s_waitcnt vmcnt(0)
	v_cvt_f16_u16_e32 v8, v0
.LBB96_1538:
	s_mov_b64 s[10:11], -1
.LBB96_1539:
	s_andn2_b64 vcc, exec, s[10:11]
	s_cbranch_vccnz .LBB96_1973
; %bb.1540:
	s_waitcnt vmcnt(0)
	v_cvt_f32_f16_e32 v0, v5
	s_mov_b32 s0, 0x3fb8aa3b
	s_mov_b32 s1, 0x32a5705f
	s_and_b32 s20, s33, 0xff
	v_mul_f32_e32 v1, 0x3fb8aa3b, v0
	v_rndne_f32_e32 v2, v1
	v_fma_mix_f32 v3, v5, s0, -v1 op_sel_hi:[1,0,0]
	v_sub_f32_e32 v1, v1, v2
	v_fma_mix_f32 v3, v5, s1, v3 op_sel_hi:[1,0,0]
	v_cvt_i32_f32_e32 v2, v2
	v_add_f32_e32 v1, v1, v3
	v_exp_f32_e32 v1, v1
	s_mov_b32 s0, 0xc2ce8ed0
	v_cmp_ngt_f32_e32 vcc, s0, v0
	s_mov_b32 s0, 0x42b17218
	v_ldexp_f32 v1, v1, v2
	v_cndmask_b32_e32 v1, 0, v1, vcc
	v_mov_b32_e32 v2, 0x7f800000
	v_cmp_nlt_f32_e32 vcc, s0, v0
	s_cmp_lt_i32 s20, 11
	s_nop 0
	v_cndmask_b32_e32 v0, v2, v1, vcc
	v_cvt_f16_f32_e32 v5, v0
	v_mul_lo_u32 v0, s8, v4
	v_ashrrev_i32_e32 v1, 31, v0
	v_lshl_add_u64 v[2:3], s[4:5], 0, v[0:1]
	s_cbranch_scc1 .LBB96_1618
; %bb.1541:
	s_and_b32 s9, 0xffff, s20
	s_mov_b64 s[16:17], -1
	s_mov_b64 s[6:7], 0
	s_cmp_gt_i32 s9, 25
	s_mov_b64 s[10:11], 0
	s_mov_b64 s[0:1], 0
	s_cbranch_scc0 .LBB96_1574
; %bb.1542:
	s_cmp_gt_i32 s9, 28
	s_cbranch_scc0 .LBB96_1557
; %bb.1543:
	s_cmp_gt_i32 s9, 43
	;; [unrolled: 3-line block ×3, first 2 shown]
	s_cbranch_scc0 .LBB96_1547
; %bb.1545:
	s_mov_b64 s[0:1], -1
	s_mov_b64 s[16:17], 0
	s_cmp_eq_u32 s9, 46
	s_cbranch_scc0 .LBB96_1547
; %bb.1546:
	v_cvt_f32_f16_e32 v1, v5
	s_movk_i32 s0, 0x7fff
	v_cmp_o_f16_e32 vcc, v5, v5
	v_mov_b32_e32 v4, 0x7fc0
	v_bfe_u32 v9, v1, 16, 1
	v_add3_u32 v1, v1, v9, s0
	v_cndmask_b32_sdwa v1, v4, v1, vcc dst_sel:DWORD dst_unused:UNUSED_PAD src0_sel:DWORD src1_sel:WORD_1
	global_store_dword v[2:3], v1, off
	s_mov_b64 s[0:1], 0
	s_mov_b64 s[10:11], -1
.LBB96_1547:
	s_and_b64 vcc, exec, s[16:17]
	s_cbranch_vccz .LBB96_1552
; %bb.1548:
	s_cmp_eq_u32 s9, 44
	s_mov_b64 s[0:1], -1
	s_cbranch_scc0 .LBB96_1552
; %bb.1549:
	v_cvt_f32_f16_e32 v1, v5
	s_movk_i32 s0, 0xff
	v_mov_b32_e32 v9, 0xff
	v_bfe_u32 v4, v1, 23, 8
	v_cmp_ne_u32_e32 vcc, s0, v4
	s_and_saveexec_b64 s[10:11], vcc
; %bb.1550:
	s_mov_b32 s0, 0x3fffff
	v_lshrrev_b32_e32 v9, 23, v1
	v_and_b32_e32 v10, 0x400000, v1
	v_and_or_b32 v1, v1, s0, v4
	v_cmp_ne_u32_e32 vcc, 0, v10
	v_cmp_ne_u32_e64 s[0:1], 0, v1
	s_and_b64 s[0:1], vcc, s[0:1]
	s_nop 0
	v_cndmask_b32_e64 v1, 0, 1, s[0:1]
	v_add_u32_e32 v9, v9, v1
; %bb.1551:
	s_or_b64 exec, exec, s[10:11]
	s_mov_b64 s[0:1], 0
	s_mov_b64 s[10:11], -1
	global_store_byte v[2:3], v9, off
.LBB96_1552:
	s_mov_b64 s[16:17], 0
.LBB96_1553:
	s_and_b64 vcc, exec, s[16:17]
	s_cbranch_vccz .LBB96_1556
; %bb.1554:
	s_cmp_eq_u32 s9, 29
	s_mov_b64 s[0:1], -1
	s_cbranch_scc0 .LBB96_1556
; %bb.1555:
	v_cvt_f32_f16_e32 v1, v5
	v_mov_b32_e32 v11, 0
	s_mov_b64 s[0:1], 0
	s_mov_b64 s[10:11], -1
	v_cvt_u32_f32_e32 v10, v1
	global_store_dwordx2 v[2:3], v[10:11], off
.LBB96_1556:
	s_mov_b64 s[16:17], 0
.LBB96_1557:
	s_and_b64 vcc, exec, s[16:17]
	s_cbranch_vccz .LBB96_1573
; %bb.1558:
	s_cmp_lt_i32 s9, 27
	s_mov_b64 s[10:11], -1
	s_cbranch_scc1 .LBB96_1564
; %bb.1559:
	s_cmp_gt_i32 s9, 27
	s_cbranch_scc0 .LBB96_1561
; %bb.1560:
	v_cvt_f32_f16_e32 v1, v5
	s_mov_b64 s[10:11], 0
	v_cvt_u32_f32_e32 v1, v1
	global_store_dword v[2:3], v1, off
.LBB96_1561:
	s_andn2_b64 vcc, exec, s[10:11]
	s_cbranch_vccnz .LBB96_1563
; %bb.1562:
	v_cvt_u16_f16_e32 v1, v5
	global_store_short v[2:3], v1, off
.LBB96_1563:
	s_mov_b64 s[10:11], 0
.LBB96_1564:
	s_andn2_b64 vcc, exec, s[10:11]
	s_cbranch_vccnz .LBB96_1572
; %bb.1565:
	v_cvt_f32_f16_e32 v1, v5
	s_mov_b32 s10, 0x43800000
	v_mov_b32_e32 v9, 0x80
	v_and_b32_e32 v4, 0x7fffffff, v1
	v_cmp_gt_u32_e32 vcc, s10, v4
	s_and_saveexec_b64 s[10:11], vcc
	s_cbranch_execz .LBB96_1571
; %bb.1566:
	s_mov_b32 s16, 0x3bffffff
	v_cmp_lt_u32_e32 vcc, s16, v4
	s_mov_b64 s[16:17], 0
                                        ; implicit-def: $vgpr4
	s_and_saveexec_b64 s[18:19], vcc
	s_xor_b64 s[18:19], exec, s[18:19]
	s_cbranch_execz .LBB96_2020
; %bb.1567:
	v_bfe_u32 v4, v1, 20, 1
	s_mov_b32 s21, 0x487ffff
	v_add3_u32 v4, v1, v4, s21
	s_mov_b64 s[16:17], exec
	v_lshrrev_b32_e32 v4, 20, v4
	s_andn2_saveexec_b64 s[18:19], s[18:19]
	s_cbranch_execnz .LBB96_2021
.LBB96_1568:
	s_or_b64 exec, exec, s[18:19]
	v_mov_b32_e32 v9, 0
	s_and_saveexec_b64 s[18:19], s[16:17]
.LBB96_1569:
	v_lshrrev_b32_e32 v1, 24, v1
	s_movk_i32 s16, 0x80
	v_and_or_b32 v9, v1, s16, v4
.LBB96_1570:
	s_or_b64 exec, exec, s[18:19]
.LBB96_1571:
	s_or_b64 exec, exec, s[10:11]
	global_store_byte v[2:3], v9, off
.LBB96_1572:
	s_mov_b64 s[10:11], -1
.LBB96_1573:
	s_mov_b64 s[16:17], 0
.LBB96_1574:
	s_and_b64 vcc, exec, s[16:17]
	s_cbranch_vccz .LBB96_1614
; %bb.1575:
	s_cmp_gt_i32 s9, 22
	s_mov_b64 s[6:7], -1
	s_cbranch_scc0 .LBB96_1607
; %bb.1576:
	s_cmp_lt_i32 s9, 24
	s_cbranch_scc1 .LBB96_1596
; %bb.1577:
	s_cmp_gt_i32 s9, 24
	s_cbranch_scc0 .LBB96_1585
; %bb.1578:
	v_cvt_f32_f16_e32 v1, v5
	s_mov_b32 s6, 0x47800000
	v_mov_b32_e32 v9, 0x80
	v_and_b32_e32 v4, 0x7fffffff, v1
	v_cmp_gt_u32_e32 vcc, s6, v4
	s_and_saveexec_b64 s[6:7], vcc
	s_cbranch_execz .LBB96_1584
; %bb.1579:
	s_mov_b32 s10, 0x37ffffff
	v_cmp_lt_u32_e32 vcc, s10, v4
	s_mov_b64 s[10:11], 0
                                        ; implicit-def: $vgpr4
	s_and_saveexec_b64 s[16:17], vcc
	s_xor_b64 s[16:17], exec, s[16:17]
	s_cbranch_execz .LBB96_2023
; %bb.1580:
	v_bfe_u32 v4, v1, 21, 1
	s_mov_b32 s18, 0x88fffff
	v_add3_u32 v4, v1, v4, s18
	s_mov_b64 s[10:11], exec
	v_lshrrev_b32_e32 v4, 21, v4
	s_andn2_saveexec_b64 s[16:17], s[16:17]
	s_cbranch_execnz .LBB96_2024
.LBB96_1581:
	s_or_b64 exec, exec, s[16:17]
	v_mov_b32_e32 v9, 0
	s_and_saveexec_b64 s[16:17], s[10:11]
.LBB96_1582:
	v_lshrrev_b32_e32 v1, 24, v1
	s_movk_i32 s10, 0x80
	v_and_or_b32 v9, v1, s10, v4
.LBB96_1583:
	s_or_b64 exec, exec, s[16:17]
.LBB96_1584:
	s_or_b64 exec, exec, s[6:7]
	s_mov_b64 s[6:7], 0
	global_store_byte v[2:3], v9, off
.LBB96_1585:
	s_and_b64 vcc, exec, s[6:7]
	s_cbranch_vccz .LBB96_1595
; %bb.1586:
	v_cvt_f32_f16_e32 v1, v5
	s_mov_b32 s6, 0x43f00000
                                        ; implicit-def: $vgpr4
	v_and_b32_e32 v9, 0x7fffffff, v1
	v_cmp_gt_u32_e32 vcc, s6, v9
	s_and_saveexec_b64 s[6:7], vcc
	s_xor_b64 s[6:7], exec, s[6:7]
	s_cbranch_execz .LBB96_1592
; %bb.1587:
	s_mov_b32 s10, 0x3c7fffff
	v_cmp_lt_u32_e32 vcc, s10, v9
                                        ; implicit-def: $vgpr4
	s_and_saveexec_b64 s[10:11], vcc
	s_xor_b64 s[10:11], exec, s[10:11]
; %bb.1588:
	v_bfe_u32 v4, v1, 20, 1
	s_mov_b32 s16, 0x407ffff
	v_add3_u32 v4, v1, v4, s16
	v_lshrrev_b32_e32 v9, 20, v4
	v_and_b32_e32 v4, 0xff00000, v4
	s_mov_b32 s16, 0x7f00000
	v_mov_b32_e32 v10, 0x7e
	v_cmp_ne_u32_e32 vcc, s16, v4
	s_nop 1
	v_cndmask_b32_e32 v4, v10, v9, vcc
; %bb.1589:
	s_andn2_saveexec_b64 s[10:11], s[10:11]
; %bb.1590:
	s_mov_b32 s16, 0x46800000
	v_add_f32_e64 v4, |v1|, s16
; %bb.1591:
	s_or_b64 exec, exec, s[10:11]
                                        ; implicit-def: $vgpr9
.LBB96_1592:
	s_andn2_saveexec_b64 s[6:7], s[6:7]
; %bb.1593:
	s_mov_b32 s10, 0x7f800000
	v_mov_b32_e32 v4, 0x7e
	v_mov_b32_e32 v10, 0x7f
	v_cmp_lt_u32_e32 vcc, s10, v9
	s_nop 1
	v_cndmask_b32_e32 v4, v4, v10, vcc
; %bb.1594:
	s_or_b64 exec, exec, s[6:7]
	v_lshrrev_b32_e32 v1, 24, v1
	s_movk_i32 s6, 0x80
	v_and_or_b32 v1, v1, s6, v4
	global_store_byte v[2:3], v1, off
.LBB96_1595:
	s_mov_b64 s[6:7], 0
.LBB96_1596:
	s_andn2_b64 vcc, exec, s[6:7]
	s_cbranch_vccnz .LBB96_1606
; %bb.1597:
	v_cvt_f32_f16_e32 v1, v5
	s_mov_b32 s6, 0x47800000
                                        ; implicit-def: $vgpr4
	v_and_b32_e32 v9, 0x7fffffff, v1
	v_cmp_gt_u32_e32 vcc, s6, v9
	s_and_saveexec_b64 s[6:7], vcc
	s_xor_b64 s[6:7], exec, s[6:7]
	s_cbranch_execz .LBB96_1603
; %bb.1598:
	s_mov_b32 s10, 0x387fffff
	v_cmp_lt_u32_e32 vcc, s10, v9
                                        ; implicit-def: $vgpr4
	s_and_saveexec_b64 s[10:11], vcc
	s_xor_b64 s[10:11], exec, s[10:11]
; %bb.1599:
	v_bfe_u32 v4, v1, 21, 1
	s_mov_b32 s16, 0x80fffff
	v_add3_u32 v4, v1, v4, s16
	v_lshrrev_b32_e32 v4, 21, v4
; %bb.1600:
	s_andn2_saveexec_b64 s[10:11], s[10:11]
; %bb.1601:
	s_mov_b32 s16, 0x43000000
	v_add_f32_e64 v4, |v1|, s16
; %bb.1602:
	s_or_b64 exec, exec, s[10:11]
                                        ; implicit-def: $vgpr9
.LBB96_1603:
	s_andn2_saveexec_b64 s[6:7], s[6:7]
; %bb.1604:
	s_mov_b32 s10, 0x7f800000
	v_mov_b32_e32 v4, 0x7c
	v_mov_b32_e32 v10, 0x7f
	v_cmp_lt_u32_e32 vcc, s10, v9
	s_nop 1
	v_cndmask_b32_e32 v4, v4, v10, vcc
; %bb.1605:
	s_or_b64 exec, exec, s[6:7]
	v_lshrrev_b32_e32 v1, 24, v1
	s_movk_i32 s6, 0x80
	v_and_or_b32 v1, v1, s6, v4
	global_store_byte v[2:3], v1, off
.LBB96_1606:
	s_mov_b64 s[6:7], 0
	s_mov_b64 s[10:11], -1
.LBB96_1607:
	s_andn2_b64 vcc, exec, s[6:7]
	s_mov_b64 s[6:7], 0
	s_cbranch_vccnz .LBB96_1614
; %bb.1608:
	s_cmp_gt_i32 s9, 14
	s_mov_b64 s[16:17], -1
	s_cbranch_scc0 .LBB96_1612
; %bb.1609:
	s_cmp_eq_u32 s9, 15
	s_mov_b64 s[0:1], -1
	s_cbranch_scc0 .LBB96_1611
; %bb.1610:
	v_cvt_f32_f16_e32 v1, v5
	s_movk_i32 s0, 0x7fff
	v_cmp_o_f16_e32 vcc, v5, v5
	v_mov_b32_e32 v4, 0x7fc0
	v_bfe_u32 v9, v1, 16, 1
	v_add3_u32 v1, v1, v9, s0
	v_cndmask_b32_sdwa v1, v4, v1, vcc dst_sel:DWORD dst_unused:UNUSED_PAD src0_sel:DWORD src1_sel:WORD_1
	global_store_short v[2:3], v1, off
	s_mov_b64 s[0:1], 0
	s_mov_b64 s[10:11], -1
.LBB96_1611:
	s_mov_b64 s[16:17], 0
.LBB96_1612:
	s_and_b64 vcc, exec, s[16:17]
	s_cbranch_vccz .LBB96_1614
; %bb.1613:
	s_cmp_lg_u32 s9, 11
	s_mov_b64 s[6:7], -1
	s_cselect_b64 s[0:1], -1, 0
.LBB96_1614:
	s_and_b64 vcc, exec, s[0:1]
	s_cbranch_vccnz .LBB96_2022
; %bb.1615:
	s_andn2_b64 vcc, exec, s[6:7]
	s_cbranch_vccnz .LBB96_1617
.LBB96_1616:
	v_cmp_neq_f16_e32 vcc, 0, v5
	s_mov_b64 s[10:11], -1
	s_nop 0
	v_cndmask_b32_e64 v1, 0, 1, vcc
	global_store_byte v[2:3], v1, off
.LBB96_1617:
	s_mov_b64 s[0:1], 0
	s_branch .LBB96_1619
.LBB96_1618:
	s_mov_b64 s[0:1], -1
	s_mov_b64 s[10:11], 0
.LBB96_1619:
	s_and_b64 vcc, exec, s[0:1]
	s_cbranch_vccz .LBB96_1658
; %bb.1620:
	s_and_b32 s6, 0xffff, s20
	s_cmp_lt_i32 s6, 5
	s_mov_b64 s[0:1], -1
	s_cbranch_scc1 .LBB96_1641
; %bb.1621:
	s_cmp_lt_i32 s6, 8
	s_cbranch_scc1 .LBB96_1631
; %bb.1622:
	s_cmp_lt_i32 s6, 9
	s_cbranch_scc1 .LBB96_1628
; %bb.1623:
	s_cmp_gt_i32 s6, 9
	s_cbranch_scc0 .LBB96_1625
; %bb.1624:
	v_cvt_f32_f16_e32 v1, v5
	v_mov_b32_e32 v12, 0
	v_mov_b32_e32 v13, v12
	s_mov_b64 s[0:1], 0
	v_cvt_f64_f32_e32 v[10:11], v1
	global_store_dwordx4 v[2:3], v[10:13], off
.LBB96_1625:
	s_andn2_b64 vcc, exec, s[0:1]
	s_cbranch_vccnz .LBB96_1627
; %bb.1626:
	v_cvt_f32_f16_e32 v10, v5
	v_mov_b32_e32 v11, 0
	global_store_dwordx2 v[2:3], v[10:11], off
.LBB96_1627:
	s_mov_b64 s[0:1], 0
.LBB96_1628:
	s_andn2_b64 vcc, exec, s[0:1]
	s_cbranch_vccnz .LBB96_1630
; %bb.1629:
	global_store_dword v[2:3], v5, off
.LBB96_1630:
	s_mov_b64 s[0:1], 0
.LBB96_1631:
	s_andn2_b64 vcc, exec, s[0:1]
	s_cbranch_vccnz .LBB96_1640
; %bb.1632:
	s_cmp_lt_i32 s6, 6
	s_mov_b64 s[0:1], -1
	s_cbranch_scc1 .LBB96_1638
; %bb.1633:
	s_cmp_gt_i32 s6, 6
	s_cbranch_scc0 .LBB96_1635
; %bb.1634:
	v_cvt_f32_f16_e32 v1, v5
	s_mov_b64 s[0:1], 0
	v_cvt_f64_f32_e32 v[10:11], v1
	global_store_dwordx2 v[2:3], v[10:11], off
.LBB96_1635:
	s_andn2_b64 vcc, exec, s[0:1]
	s_cbranch_vccnz .LBB96_1637
; %bb.1636:
	v_cvt_f32_f16_e32 v1, v5
	global_store_dword v[2:3], v1, off
.LBB96_1637:
	s_mov_b64 s[0:1], 0
.LBB96_1638:
	s_andn2_b64 vcc, exec, s[0:1]
	s_cbranch_vccnz .LBB96_1640
; %bb.1639:
	global_store_short v[2:3], v5, off
.LBB96_1640:
	s_mov_b64 s[0:1], 0
.LBB96_1641:
	s_andn2_b64 vcc, exec, s[0:1]
	s_cbranch_vccnz .LBB96_1657
; %bb.1642:
	s_cmp_lt_i32 s6, 2
	s_mov_b64 s[0:1], -1
	s_cbranch_scc1 .LBB96_1652
; %bb.1643:
	s_cmp_lt_i32 s6, 3
	s_cbranch_scc1 .LBB96_1649
; %bb.1644:
	s_cmp_gt_i32 s6, 3
	s_cbranch_scc0 .LBB96_1646
; %bb.1645:
	v_cvt_f32_f16_e32 v1, v5
	s_mov_b64 s[0:1], 0
	v_cvt_i32_f32_e32 v10, v1
	v_ashrrev_i32_e32 v11, 31, v10
	global_store_dwordx2 v[2:3], v[10:11], off
.LBB96_1646:
	s_andn2_b64 vcc, exec, s[0:1]
	s_cbranch_vccnz .LBB96_1648
; %bb.1647:
	v_cvt_f32_f16_e32 v1, v5
	v_cvt_i32_f32_e32 v1, v1
	global_store_dword v[2:3], v1, off
.LBB96_1648:
	s_mov_b64 s[0:1], 0
.LBB96_1649:
	s_andn2_b64 vcc, exec, s[0:1]
	s_cbranch_vccnz .LBB96_1651
; %bb.1650:
	v_cvt_i16_f16_e32 v1, v5
	global_store_short v[2:3], v1, off
.LBB96_1651:
	s_mov_b64 s[0:1], 0
.LBB96_1652:
	s_andn2_b64 vcc, exec, s[0:1]
	s_cbranch_vccnz .LBB96_1657
; %bb.1653:
	s_cmp_gt_i32 s6, 0
	s_mov_b64 s[0:1], -1
	s_cbranch_scc0 .LBB96_1655
; %bb.1654:
	v_cvt_i16_f16_e32 v1, v5
	global_store_byte v[2:3], v1, off
	s_mov_b64 s[0:1], 0
.LBB96_1655:
	s_andn2_b64 vcc, exec, s[0:1]
	s_cbranch_vccnz .LBB96_1657
; %bb.1656:
	v_cvt_f32_f16_e32 v1, v5
	v_cvt_i32_f32_e32 v1, v1
	global_store_byte v[2:3], v1, off
.LBB96_1657:
	s_mov_b64 s[10:11], -1
.LBB96_1658:
	s_andn2_b64 vcc, exec, s[10:11]
	s_cbranch_vccnz .LBB96_1973
; %bb.1659:
	v_cvt_f32_f16_e32 v1, v6
	s_mov_b32 s0, 0x3fb8aa3b
	s_mov_b32 s1, 0x32a5705f
	s_lshl_b32 s18, s8, 7
	v_mul_f32_e32 v2, 0x3fb8aa3b, v1
	v_rndne_f32_e32 v3, v2
	v_fma_mix_f32 v4, v6, s0, -v2 op_sel_hi:[1,0,0]
	v_sub_f32_e32 v2, v2, v3
	v_fma_mix_f32 v4, v6, s1, v4 op_sel_hi:[1,0,0]
	v_cvt_i32_f32_e32 v3, v3
	v_add_f32_e32 v2, v2, v4
	v_exp_f32_e32 v2, v2
	s_mov_b32 s0, 0xc2ce8ed0
	v_cmp_ngt_f32_e32 vcc, s0, v1
	s_mov_b32 s0, 0x42b17218
	v_ldexp_f32 v2, v2, v3
	v_cndmask_b32_e32 v2, 0, v2, vcc
	v_mov_b32_e32 v3, 0x7f800000
	v_cmp_nlt_f32_e32 vcc, s0, v1
	v_add_u32_e32 v0, s18, v0
	s_cmp_lt_i32 s20, 11
	v_cndmask_b32_e32 v1, v3, v2, vcc
	v_cvt_f16_f32_e32 v4, v1
	v_ashrrev_i32_e32 v1, 31, v0
	v_lshl_add_u64 v[2:3], s[4:5], 0, v[0:1]
	s_cbranch_scc1 .LBB96_1737
; %bb.1660:
	s_and_b32 s19, 0xffff, s20
	s_mov_b64 s[10:11], -1
	s_mov_b64 s[6:7], 0
	s_cmp_gt_i32 s19, 25
	s_mov_b64 s[8:9], 0
	s_mov_b64 s[0:1], 0
	s_cbranch_scc0 .LBB96_1693
; %bb.1661:
	s_cmp_gt_i32 s19, 28
	s_cbranch_scc0 .LBB96_1676
; %bb.1662:
	s_cmp_gt_i32 s19, 43
	;; [unrolled: 3-line block ×3, first 2 shown]
	s_cbranch_scc0 .LBB96_1666
; %bb.1664:
	s_mov_b64 s[0:1], -1
	s_mov_b64 s[10:11], 0
	s_cmp_eq_u32 s19, 46
	s_cbranch_scc0 .LBB96_1666
; %bb.1665:
	v_cvt_f32_f16_e32 v1, v4
	s_movk_i32 s0, 0x7fff
	v_cmp_o_f16_e32 vcc, v4, v4
	v_mov_b32_e32 v5, 0x7fc0
	v_bfe_u32 v6, v1, 16, 1
	v_add3_u32 v1, v1, v6, s0
	v_cndmask_b32_sdwa v1, v5, v1, vcc dst_sel:DWORD dst_unused:UNUSED_PAD src0_sel:DWORD src1_sel:WORD_1
	global_store_dword v[2:3], v1, off
	s_mov_b64 s[0:1], 0
	s_mov_b64 s[8:9], -1
.LBB96_1666:
	s_and_b64 vcc, exec, s[10:11]
	s_cbranch_vccz .LBB96_1671
; %bb.1667:
	s_cmp_eq_u32 s19, 44
	s_mov_b64 s[0:1], -1
	s_cbranch_scc0 .LBB96_1671
; %bb.1668:
	v_cvt_f32_f16_e32 v1, v4
	s_movk_i32 s0, 0xff
	v_mov_b32_e32 v6, 0xff
	v_bfe_u32 v5, v1, 23, 8
	v_cmp_ne_u32_e32 vcc, s0, v5
	s_and_saveexec_b64 s[8:9], vcc
; %bb.1669:
	s_mov_b32 s0, 0x3fffff
	v_lshrrev_b32_e32 v6, 23, v1
	v_and_b32_e32 v9, 0x400000, v1
	v_and_or_b32 v1, v1, s0, v5
	v_cmp_ne_u32_e32 vcc, 0, v9
	v_cmp_ne_u32_e64 s[0:1], 0, v1
	s_and_b64 s[0:1], vcc, s[0:1]
	s_nop 0
	v_cndmask_b32_e64 v1, 0, 1, s[0:1]
	v_add_u32_e32 v6, v6, v1
; %bb.1670:
	s_or_b64 exec, exec, s[8:9]
	s_mov_b64 s[0:1], 0
	s_mov_b64 s[8:9], -1
	global_store_byte v[2:3], v6, off
.LBB96_1671:
	s_mov_b64 s[10:11], 0
.LBB96_1672:
	s_and_b64 vcc, exec, s[10:11]
	s_cbranch_vccz .LBB96_1675
; %bb.1673:
	s_cmp_eq_u32 s19, 29
	s_mov_b64 s[0:1], -1
	s_cbranch_scc0 .LBB96_1675
; %bb.1674:
	v_cvt_f32_f16_e32 v1, v4
	v_mov_b32_e32 v11, 0
	s_mov_b64 s[0:1], 0
	s_mov_b64 s[8:9], -1
	v_cvt_u32_f32_e32 v10, v1
	global_store_dwordx2 v[2:3], v[10:11], off
.LBB96_1675:
	s_mov_b64 s[10:11], 0
.LBB96_1676:
	s_and_b64 vcc, exec, s[10:11]
	s_cbranch_vccz .LBB96_1692
; %bb.1677:
	s_cmp_lt_i32 s19, 27
	s_mov_b64 s[8:9], -1
	s_cbranch_scc1 .LBB96_1683
; %bb.1678:
	s_cmp_gt_i32 s19, 27
	s_cbranch_scc0 .LBB96_1680
; %bb.1679:
	v_cvt_f32_f16_e32 v1, v4
	s_mov_b64 s[8:9], 0
	v_cvt_u32_f32_e32 v1, v1
	global_store_dword v[2:3], v1, off
.LBB96_1680:
	s_andn2_b64 vcc, exec, s[8:9]
	s_cbranch_vccnz .LBB96_1682
; %bb.1681:
	v_cvt_u16_f16_e32 v1, v4
	global_store_short v[2:3], v1, off
.LBB96_1682:
	s_mov_b64 s[8:9], 0
.LBB96_1683:
	s_andn2_b64 vcc, exec, s[8:9]
	s_cbranch_vccnz .LBB96_1691
; %bb.1684:
	v_cvt_f32_f16_e32 v1, v4
	s_mov_b32 s8, 0x43800000
	v_mov_b32_e32 v6, 0x80
	v_and_b32_e32 v5, 0x7fffffff, v1
	v_cmp_gt_u32_e32 vcc, s8, v5
	s_and_saveexec_b64 s[8:9], vcc
	s_cbranch_execz .LBB96_1690
; %bb.1685:
	s_mov_b32 s10, 0x3bffffff
	v_cmp_lt_u32_e32 vcc, s10, v5
	s_mov_b64 s[10:11], 0
                                        ; implicit-def: $vgpr5
	s_and_saveexec_b64 s[16:17], vcc
	s_xor_b64 s[16:17], exec, s[16:17]
	s_cbranch_execz .LBB96_2025
; %bb.1686:
	v_bfe_u32 v5, v1, 20, 1
	s_mov_b32 s21, 0x487ffff
	v_add3_u32 v5, v1, v5, s21
	s_mov_b64 s[10:11], exec
	v_lshrrev_b32_e32 v5, 20, v5
	s_andn2_saveexec_b64 s[16:17], s[16:17]
	s_cbranch_execnz .LBB96_2026
.LBB96_1687:
	s_or_b64 exec, exec, s[16:17]
	v_mov_b32_e32 v6, 0
	s_and_saveexec_b64 s[16:17], s[10:11]
.LBB96_1688:
	v_lshrrev_b32_e32 v1, 24, v1
	s_movk_i32 s10, 0x80
	v_and_or_b32 v6, v1, s10, v5
.LBB96_1689:
	s_or_b64 exec, exec, s[16:17]
.LBB96_1690:
	s_or_b64 exec, exec, s[8:9]
	global_store_byte v[2:3], v6, off
.LBB96_1691:
	s_mov_b64 s[8:9], -1
.LBB96_1692:
	s_mov_b64 s[10:11], 0
.LBB96_1693:
	s_and_b64 vcc, exec, s[10:11]
	s_cbranch_vccz .LBB96_1733
; %bb.1694:
	s_cmp_gt_i32 s19, 22
	s_mov_b64 s[6:7], -1
	s_cbranch_scc0 .LBB96_1726
; %bb.1695:
	s_cmp_lt_i32 s19, 24
	s_cbranch_scc1 .LBB96_1715
; %bb.1696:
	s_cmp_gt_i32 s19, 24
	s_cbranch_scc0 .LBB96_1704
; %bb.1697:
	v_cvt_f32_f16_e32 v1, v4
	s_mov_b32 s6, 0x47800000
	v_mov_b32_e32 v6, 0x80
	v_and_b32_e32 v5, 0x7fffffff, v1
	v_cmp_gt_u32_e32 vcc, s6, v5
	s_and_saveexec_b64 s[6:7], vcc
	s_cbranch_execz .LBB96_1703
; %bb.1698:
	s_mov_b32 s8, 0x37ffffff
	v_cmp_lt_u32_e32 vcc, s8, v5
	s_mov_b64 s[8:9], 0
                                        ; implicit-def: $vgpr5
	s_and_saveexec_b64 s[10:11], vcc
	s_xor_b64 s[10:11], exec, s[10:11]
	s_cbranch_execz .LBB96_2028
; %bb.1699:
	v_bfe_u32 v5, v1, 21, 1
	s_mov_b32 s16, 0x88fffff
	v_add3_u32 v5, v1, v5, s16
	s_mov_b64 s[8:9], exec
	v_lshrrev_b32_e32 v5, 21, v5
	s_andn2_saveexec_b64 s[10:11], s[10:11]
	s_cbranch_execnz .LBB96_2029
.LBB96_1700:
	s_or_b64 exec, exec, s[10:11]
	v_mov_b32_e32 v6, 0
	s_and_saveexec_b64 s[10:11], s[8:9]
.LBB96_1701:
	v_lshrrev_b32_e32 v1, 24, v1
	s_movk_i32 s8, 0x80
	v_and_or_b32 v6, v1, s8, v5
.LBB96_1702:
	s_or_b64 exec, exec, s[10:11]
.LBB96_1703:
	s_or_b64 exec, exec, s[6:7]
	s_mov_b64 s[6:7], 0
	global_store_byte v[2:3], v6, off
.LBB96_1704:
	s_and_b64 vcc, exec, s[6:7]
	s_cbranch_vccz .LBB96_1714
; %bb.1705:
	v_cvt_f32_f16_e32 v1, v4
	s_mov_b32 s6, 0x43f00000
                                        ; implicit-def: $vgpr5
	v_and_b32_e32 v6, 0x7fffffff, v1
	v_cmp_gt_u32_e32 vcc, s6, v6
	s_and_saveexec_b64 s[6:7], vcc
	s_xor_b64 s[6:7], exec, s[6:7]
	s_cbranch_execz .LBB96_1711
; %bb.1706:
	s_mov_b32 s8, 0x3c7fffff
	v_cmp_lt_u32_e32 vcc, s8, v6
                                        ; implicit-def: $vgpr5
	s_and_saveexec_b64 s[8:9], vcc
	s_xor_b64 s[8:9], exec, s[8:9]
; %bb.1707:
	v_bfe_u32 v5, v1, 20, 1
	s_mov_b32 s10, 0x407ffff
	v_add3_u32 v5, v1, v5, s10
	v_lshrrev_b32_e32 v6, 20, v5
	v_and_b32_e32 v5, 0xff00000, v5
	s_mov_b32 s10, 0x7f00000
	v_mov_b32_e32 v9, 0x7e
	v_cmp_ne_u32_e32 vcc, s10, v5
	s_nop 1
	v_cndmask_b32_e32 v5, v9, v6, vcc
; %bb.1708:
	s_andn2_saveexec_b64 s[8:9], s[8:9]
; %bb.1709:
	s_mov_b32 s10, 0x46800000
	v_add_f32_e64 v5, |v1|, s10
; %bb.1710:
	s_or_b64 exec, exec, s[8:9]
                                        ; implicit-def: $vgpr6
.LBB96_1711:
	s_andn2_saveexec_b64 s[6:7], s[6:7]
; %bb.1712:
	s_mov_b32 s8, 0x7f800000
	v_mov_b32_e32 v5, 0x7e
	v_mov_b32_e32 v9, 0x7f
	v_cmp_lt_u32_e32 vcc, s8, v6
	s_nop 1
	v_cndmask_b32_e32 v5, v5, v9, vcc
; %bb.1713:
	s_or_b64 exec, exec, s[6:7]
	v_lshrrev_b32_e32 v1, 24, v1
	s_movk_i32 s6, 0x80
	v_and_or_b32 v1, v1, s6, v5
	global_store_byte v[2:3], v1, off
.LBB96_1714:
	s_mov_b64 s[6:7], 0
.LBB96_1715:
	s_andn2_b64 vcc, exec, s[6:7]
	s_cbranch_vccnz .LBB96_1725
; %bb.1716:
	v_cvt_f32_f16_e32 v1, v4
	s_mov_b32 s6, 0x47800000
                                        ; implicit-def: $vgpr5
	v_and_b32_e32 v6, 0x7fffffff, v1
	v_cmp_gt_u32_e32 vcc, s6, v6
	s_and_saveexec_b64 s[6:7], vcc
	s_xor_b64 s[6:7], exec, s[6:7]
	s_cbranch_execz .LBB96_1722
; %bb.1717:
	s_mov_b32 s8, 0x387fffff
	v_cmp_lt_u32_e32 vcc, s8, v6
                                        ; implicit-def: $vgpr5
	s_and_saveexec_b64 s[8:9], vcc
	s_xor_b64 s[8:9], exec, s[8:9]
; %bb.1718:
	v_bfe_u32 v5, v1, 21, 1
	s_mov_b32 s10, 0x80fffff
	v_add3_u32 v5, v1, v5, s10
	v_lshrrev_b32_e32 v5, 21, v5
; %bb.1719:
	s_andn2_saveexec_b64 s[8:9], s[8:9]
; %bb.1720:
	s_mov_b32 s10, 0x43000000
	v_add_f32_e64 v5, |v1|, s10
; %bb.1721:
	s_or_b64 exec, exec, s[8:9]
                                        ; implicit-def: $vgpr6
.LBB96_1722:
	s_andn2_saveexec_b64 s[6:7], s[6:7]
; %bb.1723:
	s_mov_b32 s8, 0x7f800000
	v_mov_b32_e32 v5, 0x7c
	v_mov_b32_e32 v9, 0x7f
	v_cmp_lt_u32_e32 vcc, s8, v6
	s_nop 1
	v_cndmask_b32_e32 v5, v5, v9, vcc
; %bb.1724:
	s_or_b64 exec, exec, s[6:7]
	v_lshrrev_b32_e32 v1, 24, v1
	s_movk_i32 s6, 0x80
	v_and_or_b32 v1, v1, s6, v5
	global_store_byte v[2:3], v1, off
.LBB96_1725:
	s_mov_b64 s[6:7], 0
	s_mov_b64 s[8:9], -1
.LBB96_1726:
	s_andn2_b64 vcc, exec, s[6:7]
	s_mov_b64 s[6:7], 0
	s_cbranch_vccnz .LBB96_1733
; %bb.1727:
	s_cmp_gt_i32 s19, 14
	s_mov_b64 s[10:11], -1
	s_cbranch_scc0 .LBB96_1731
; %bb.1728:
	s_cmp_eq_u32 s19, 15
	s_mov_b64 s[0:1], -1
	s_cbranch_scc0 .LBB96_1730
; %bb.1729:
	v_cvt_f32_f16_e32 v1, v4
	s_movk_i32 s0, 0x7fff
	v_cmp_o_f16_e32 vcc, v4, v4
	v_mov_b32_e32 v5, 0x7fc0
	v_bfe_u32 v6, v1, 16, 1
	v_add3_u32 v1, v1, v6, s0
	v_cndmask_b32_sdwa v1, v5, v1, vcc dst_sel:DWORD dst_unused:UNUSED_PAD src0_sel:DWORD src1_sel:WORD_1
	global_store_short v[2:3], v1, off
	s_mov_b64 s[0:1], 0
	s_mov_b64 s[8:9], -1
.LBB96_1730:
	s_mov_b64 s[10:11], 0
.LBB96_1731:
	s_and_b64 vcc, exec, s[10:11]
	s_cbranch_vccz .LBB96_1733
; %bb.1732:
	s_cmp_lg_u32 s19, 11
	s_mov_b64 s[6:7], -1
	s_cselect_b64 s[0:1], -1, 0
.LBB96_1733:
	s_and_b64 vcc, exec, s[0:1]
	s_cbranch_vccnz .LBB96_2027
; %bb.1734:
	s_andn2_b64 vcc, exec, s[6:7]
	s_cbranch_vccnz .LBB96_1736
.LBB96_1735:
	v_cmp_neq_f16_e32 vcc, 0, v4
	s_mov_b64 s[8:9], -1
	s_nop 0
	v_cndmask_b32_e64 v1, 0, 1, vcc
	global_store_byte v[2:3], v1, off
.LBB96_1736:
	s_mov_b64 s[0:1], 0
	s_branch .LBB96_1738
.LBB96_1737:
	s_mov_b64 s[0:1], -1
	s_mov_b64 s[8:9], 0
.LBB96_1738:
	s_and_b64 vcc, exec, s[0:1]
	s_cbranch_vccz .LBB96_1777
; %bb.1739:
	s_and_b32 s6, 0xffff, s20
	s_cmp_lt_i32 s6, 5
	s_mov_b64 s[0:1], -1
	s_cbranch_scc1 .LBB96_1760
; %bb.1740:
	s_cmp_lt_i32 s6, 8
	s_cbranch_scc1 .LBB96_1750
; %bb.1741:
	s_cmp_lt_i32 s6, 9
	s_cbranch_scc1 .LBB96_1747
; %bb.1742:
	s_cmp_gt_i32 s6, 9
	s_cbranch_scc0 .LBB96_1744
; %bb.1743:
	v_cvt_f32_f16_e32 v1, v4
	v_mov_b32_e32 v12, 0
	v_mov_b32_e32 v13, v12
	s_mov_b64 s[0:1], 0
	v_cvt_f64_f32_e32 v[10:11], v1
	global_store_dwordx4 v[2:3], v[10:13], off
.LBB96_1744:
	s_andn2_b64 vcc, exec, s[0:1]
	s_cbranch_vccnz .LBB96_1746
; %bb.1745:
	v_cvt_f32_f16_e32 v10, v4
	v_mov_b32_e32 v11, 0
	global_store_dwordx2 v[2:3], v[10:11], off
.LBB96_1746:
	s_mov_b64 s[0:1], 0
.LBB96_1747:
	s_andn2_b64 vcc, exec, s[0:1]
	s_cbranch_vccnz .LBB96_1749
; %bb.1748:
	global_store_dword v[2:3], v4, off
.LBB96_1749:
	s_mov_b64 s[0:1], 0
.LBB96_1750:
	s_andn2_b64 vcc, exec, s[0:1]
	s_cbranch_vccnz .LBB96_1759
; %bb.1751:
	s_cmp_lt_i32 s6, 6
	s_mov_b64 s[0:1], -1
	s_cbranch_scc1 .LBB96_1757
; %bb.1752:
	s_cmp_gt_i32 s6, 6
	s_cbranch_scc0 .LBB96_1754
; %bb.1753:
	v_cvt_f32_f16_e32 v1, v4
	s_mov_b64 s[0:1], 0
	v_cvt_f64_f32_e32 v[10:11], v1
	global_store_dwordx2 v[2:3], v[10:11], off
.LBB96_1754:
	s_andn2_b64 vcc, exec, s[0:1]
	s_cbranch_vccnz .LBB96_1756
; %bb.1755:
	v_cvt_f32_f16_e32 v1, v4
	global_store_dword v[2:3], v1, off
.LBB96_1756:
	s_mov_b64 s[0:1], 0
.LBB96_1757:
	s_andn2_b64 vcc, exec, s[0:1]
	s_cbranch_vccnz .LBB96_1759
; %bb.1758:
	global_store_short v[2:3], v4, off
.LBB96_1759:
	s_mov_b64 s[0:1], 0
.LBB96_1760:
	s_andn2_b64 vcc, exec, s[0:1]
	s_cbranch_vccnz .LBB96_1776
; %bb.1761:
	s_cmp_lt_i32 s6, 2
	s_mov_b64 s[0:1], -1
	s_cbranch_scc1 .LBB96_1771
; %bb.1762:
	s_cmp_lt_i32 s6, 3
	s_cbranch_scc1 .LBB96_1768
; %bb.1763:
	s_cmp_gt_i32 s6, 3
	s_cbranch_scc0 .LBB96_1765
; %bb.1764:
	v_cvt_f32_f16_e32 v1, v4
	s_mov_b64 s[0:1], 0
	v_cvt_i32_f32_e32 v10, v1
	v_ashrrev_i32_e32 v11, 31, v10
	global_store_dwordx2 v[2:3], v[10:11], off
.LBB96_1765:
	s_andn2_b64 vcc, exec, s[0:1]
	s_cbranch_vccnz .LBB96_1767
; %bb.1766:
	v_cvt_f32_f16_e32 v1, v4
	v_cvt_i32_f32_e32 v1, v1
	global_store_dword v[2:3], v1, off
.LBB96_1767:
	s_mov_b64 s[0:1], 0
.LBB96_1768:
	s_andn2_b64 vcc, exec, s[0:1]
	s_cbranch_vccnz .LBB96_1770
; %bb.1769:
	v_cvt_i16_f16_e32 v1, v4
	global_store_short v[2:3], v1, off
.LBB96_1770:
	s_mov_b64 s[0:1], 0
.LBB96_1771:
	s_andn2_b64 vcc, exec, s[0:1]
	s_cbranch_vccnz .LBB96_1776
; %bb.1772:
	s_cmp_gt_i32 s6, 0
	s_mov_b64 s[0:1], -1
	s_cbranch_scc0 .LBB96_1774
; %bb.1773:
	v_cvt_i16_f16_e32 v1, v4
	global_store_byte v[2:3], v1, off
	s_mov_b64 s[0:1], 0
.LBB96_1774:
	s_andn2_b64 vcc, exec, s[0:1]
	s_cbranch_vccnz .LBB96_1776
; %bb.1775:
	v_cvt_f32_f16_e32 v1, v4
	v_cvt_i32_f32_e32 v1, v1
	global_store_byte v[2:3], v1, off
.LBB96_1776:
	s_mov_b64 s[8:9], -1
.LBB96_1777:
	s_andn2_b64 vcc, exec, s[8:9]
	s_cbranch_vccnz .LBB96_1973
; %bb.1778:
	v_cvt_f32_f16_e32 v1, v7
	s_mov_b32 s0, 0x3fb8aa3b
	s_mov_b32 s1, 0x32a5705f
	v_add_u32_e32 v0, s18, v0
	v_mul_f32_e32 v2, 0x3fb8aa3b, v1
	v_rndne_f32_e32 v3, v2
	v_fma_mix_f32 v4, v7, s0, -v2 op_sel_hi:[1,0,0]
	v_sub_f32_e32 v2, v2, v3
	v_fma_mix_f32 v4, v7, s1, v4 op_sel_hi:[1,0,0]
	v_cvt_i32_f32_e32 v3, v3
	v_add_f32_e32 v2, v2, v4
	v_exp_f32_e32 v2, v2
	s_mov_b32 s0, 0xc2ce8ed0
	v_cmp_ngt_f32_e32 vcc, s0, v1
	s_mov_b32 s0, 0x42b17218
	v_ldexp_f32 v2, v2, v3
	v_cndmask_b32_e32 v2, 0, v2, vcc
	v_mov_b32_e32 v3, 0x7f800000
	v_cmp_nlt_f32_e32 vcc, s0, v1
	s_cmp_lt_i32 s20, 11
	s_nop 0
	v_cndmask_b32_e32 v1, v3, v2, vcc
	v_cvt_f16_f32_e32 v4, v1
	v_ashrrev_i32_e32 v1, 31, v0
	v_lshl_add_u64 v[2:3], s[4:5], 0, v[0:1]
	s_cbranch_scc1 .LBB96_1856
; %bb.1779:
	s_and_b32 s19, 0xffff, s20
	s_mov_b64 s[10:11], -1
	s_mov_b64 s[6:7], 0
	s_cmp_gt_i32 s19, 25
	s_mov_b64 s[8:9], 0
	s_mov_b64 s[0:1], 0
	s_cbranch_scc0 .LBB96_1812
; %bb.1780:
	s_cmp_gt_i32 s19, 28
	s_cbranch_scc0 .LBB96_1795
; %bb.1781:
	s_cmp_gt_i32 s19, 43
	;; [unrolled: 3-line block ×3, first 2 shown]
	s_cbranch_scc0 .LBB96_1785
; %bb.1783:
	s_mov_b64 s[0:1], -1
	s_mov_b64 s[10:11], 0
	s_cmp_eq_u32 s19, 46
	s_cbranch_scc0 .LBB96_1785
; %bb.1784:
	v_cvt_f32_f16_e32 v1, v4
	s_movk_i32 s0, 0x7fff
	v_cmp_o_f16_e32 vcc, v4, v4
	v_mov_b32_e32 v5, 0x7fc0
	v_bfe_u32 v6, v1, 16, 1
	v_add3_u32 v1, v1, v6, s0
	v_cndmask_b32_sdwa v1, v5, v1, vcc dst_sel:DWORD dst_unused:UNUSED_PAD src0_sel:DWORD src1_sel:WORD_1
	global_store_dword v[2:3], v1, off
	s_mov_b64 s[0:1], 0
	s_mov_b64 s[8:9], -1
.LBB96_1785:
	s_and_b64 vcc, exec, s[10:11]
	s_cbranch_vccz .LBB96_1790
; %bb.1786:
	s_cmp_eq_u32 s19, 44
	s_mov_b64 s[0:1], -1
	s_cbranch_scc0 .LBB96_1790
; %bb.1787:
	v_cvt_f32_f16_e32 v1, v4
	s_movk_i32 s0, 0xff
	v_mov_b32_e32 v6, 0xff
	v_bfe_u32 v5, v1, 23, 8
	v_cmp_ne_u32_e32 vcc, s0, v5
	s_and_saveexec_b64 s[8:9], vcc
; %bb.1788:
	s_mov_b32 s0, 0x3fffff
	v_lshrrev_b32_e32 v6, 23, v1
	v_and_b32_e32 v7, 0x400000, v1
	v_and_or_b32 v1, v1, s0, v5
	v_cmp_ne_u32_e32 vcc, 0, v7
	v_cmp_ne_u32_e64 s[0:1], 0, v1
	s_and_b64 s[0:1], vcc, s[0:1]
	s_nop 0
	v_cndmask_b32_e64 v1, 0, 1, s[0:1]
	v_add_u32_e32 v6, v6, v1
; %bb.1789:
	s_or_b64 exec, exec, s[8:9]
	s_mov_b64 s[0:1], 0
	s_mov_b64 s[8:9], -1
	global_store_byte v[2:3], v6, off
.LBB96_1790:
	s_mov_b64 s[10:11], 0
.LBB96_1791:
	s_and_b64 vcc, exec, s[10:11]
	s_cbranch_vccz .LBB96_1794
; %bb.1792:
	s_cmp_eq_u32 s19, 29
	s_mov_b64 s[0:1], -1
	s_cbranch_scc0 .LBB96_1794
; %bb.1793:
	v_cvt_f32_f16_e32 v1, v4
	v_mov_b32_e32 v7, 0
	s_mov_b64 s[0:1], 0
	s_mov_b64 s[8:9], -1
	v_cvt_u32_f32_e32 v6, v1
	global_store_dwordx2 v[2:3], v[6:7], off
.LBB96_1794:
	s_mov_b64 s[10:11], 0
.LBB96_1795:
	s_and_b64 vcc, exec, s[10:11]
	s_cbranch_vccz .LBB96_1811
; %bb.1796:
	s_cmp_lt_i32 s19, 27
	s_mov_b64 s[8:9], -1
	s_cbranch_scc1 .LBB96_1802
; %bb.1797:
	s_cmp_gt_i32 s19, 27
	s_cbranch_scc0 .LBB96_1799
; %bb.1798:
	v_cvt_f32_f16_e32 v1, v4
	s_mov_b64 s[8:9], 0
	v_cvt_u32_f32_e32 v1, v1
	global_store_dword v[2:3], v1, off
.LBB96_1799:
	s_andn2_b64 vcc, exec, s[8:9]
	s_cbranch_vccnz .LBB96_1801
; %bb.1800:
	v_cvt_u16_f16_e32 v1, v4
	global_store_short v[2:3], v1, off
.LBB96_1801:
	s_mov_b64 s[8:9], 0
.LBB96_1802:
	s_andn2_b64 vcc, exec, s[8:9]
	s_cbranch_vccnz .LBB96_1810
; %bb.1803:
	v_cvt_f32_f16_e32 v1, v4
	s_mov_b32 s8, 0x43800000
	v_mov_b32_e32 v6, 0x80
	v_and_b32_e32 v5, 0x7fffffff, v1
	v_cmp_gt_u32_e32 vcc, s8, v5
	s_and_saveexec_b64 s[8:9], vcc
	s_cbranch_execz .LBB96_1809
; %bb.1804:
	s_mov_b32 s10, 0x3bffffff
	v_cmp_lt_u32_e32 vcc, s10, v5
	s_mov_b64 s[10:11], 0
                                        ; implicit-def: $vgpr5
	s_and_saveexec_b64 s[16:17], vcc
	s_xor_b64 s[16:17], exec, s[16:17]
	s_cbranch_execz .LBB96_2030
; %bb.1805:
	v_bfe_u32 v5, v1, 20, 1
	s_mov_b32 s21, 0x487ffff
	v_add3_u32 v5, v1, v5, s21
	s_mov_b64 s[10:11], exec
	v_lshrrev_b32_e32 v5, 20, v5
	s_andn2_saveexec_b64 s[16:17], s[16:17]
	s_cbranch_execnz .LBB96_2031
.LBB96_1806:
	s_or_b64 exec, exec, s[16:17]
	v_mov_b32_e32 v6, 0
	s_and_saveexec_b64 s[16:17], s[10:11]
.LBB96_1807:
	v_lshrrev_b32_e32 v1, 24, v1
	s_movk_i32 s10, 0x80
	v_and_or_b32 v6, v1, s10, v5
.LBB96_1808:
	s_or_b64 exec, exec, s[16:17]
.LBB96_1809:
	s_or_b64 exec, exec, s[8:9]
	global_store_byte v[2:3], v6, off
.LBB96_1810:
	s_mov_b64 s[8:9], -1
.LBB96_1811:
	s_mov_b64 s[10:11], 0
.LBB96_1812:
	s_and_b64 vcc, exec, s[10:11]
	s_cbranch_vccz .LBB96_1852
; %bb.1813:
	s_cmp_gt_i32 s19, 22
	s_mov_b64 s[6:7], -1
	s_cbranch_scc0 .LBB96_1845
; %bb.1814:
	s_cmp_lt_i32 s19, 24
	s_cbranch_scc1 .LBB96_1834
; %bb.1815:
	s_cmp_gt_i32 s19, 24
	s_cbranch_scc0 .LBB96_1823
; %bb.1816:
	v_cvt_f32_f16_e32 v1, v4
	s_mov_b32 s6, 0x47800000
	v_mov_b32_e32 v6, 0x80
	v_and_b32_e32 v5, 0x7fffffff, v1
	v_cmp_gt_u32_e32 vcc, s6, v5
	s_and_saveexec_b64 s[6:7], vcc
	s_cbranch_execz .LBB96_1822
; %bb.1817:
	s_mov_b32 s8, 0x37ffffff
	v_cmp_lt_u32_e32 vcc, s8, v5
	s_mov_b64 s[8:9], 0
                                        ; implicit-def: $vgpr5
	s_and_saveexec_b64 s[10:11], vcc
	s_xor_b64 s[10:11], exec, s[10:11]
	s_cbranch_execz .LBB96_2033
; %bb.1818:
	v_bfe_u32 v5, v1, 21, 1
	s_mov_b32 s16, 0x88fffff
	v_add3_u32 v5, v1, v5, s16
	s_mov_b64 s[8:9], exec
	v_lshrrev_b32_e32 v5, 21, v5
	s_andn2_saveexec_b64 s[10:11], s[10:11]
	s_cbranch_execnz .LBB96_2034
.LBB96_1819:
	s_or_b64 exec, exec, s[10:11]
	v_mov_b32_e32 v6, 0
	s_and_saveexec_b64 s[10:11], s[8:9]
.LBB96_1820:
	v_lshrrev_b32_e32 v1, 24, v1
	s_movk_i32 s8, 0x80
	v_and_or_b32 v6, v1, s8, v5
.LBB96_1821:
	s_or_b64 exec, exec, s[10:11]
.LBB96_1822:
	s_or_b64 exec, exec, s[6:7]
	s_mov_b64 s[6:7], 0
	global_store_byte v[2:3], v6, off
.LBB96_1823:
	s_and_b64 vcc, exec, s[6:7]
	s_cbranch_vccz .LBB96_1833
; %bb.1824:
	v_cvt_f32_f16_e32 v1, v4
	s_mov_b32 s6, 0x43f00000
                                        ; implicit-def: $vgpr5
	v_and_b32_e32 v6, 0x7fffffff, v1
	v_cmp_gt_u32_e32 vcc, s6, v6
	s_and_saveexec_b64 s[6:7], vcc
	s_xor_b64 s[6:7], exec, s[6:7]
	s_cbranch_execz .LBB96_1830
; %bb.1825:
	s_mov_b32 s8, 0x3c7fffff
	v_cmp_lt_u32_e32 vcc, s8, v6
                                        ; implicit-def: $vgpr5
	s_and_saveexec_b64 s[8:9], vcc
	s_xor_b64 s[8:9], exec, s[8:9]
; %bb.1826:
	v_bfe_u32 v5, v1, 20, 1
	s_mov_b32 s10, 0x407ffff
	v_add3_u32 v5, v1, v5, s10
	v_lshrrev_b32_e32 v6, 20, v5
	v_and_b32_e32 v5, 0xff00000, v5
	s_mov_b32 s10, 0x7f00000
	v_mov_b32_e32 v7, 0x7e
	v_cmp_ne_u32_e32 vcc, s10, v5
	s_nop 1
	v_cndmask_b32_e32 v5, v7, v6, vcc
; %bb.1827:
	s_andn2_saveexec_b64 s[8:9], s[8:9]
; %bb.1828:
	s_mov_b32 s10, 0x46800000
	v_add_f32_e64 v5, |v1|, s10
; %bb.1829:
	s_or_b64 exec, exec, s[8:9]
                                        ; implicit-def: $vgpr6
.LBB96_1830:
	s_andn2_saveexec_b64 s[6:7], s[6:7]
; %bb.1831:
	s_mov_b32 s8, 0x7f800000
	v_mov_b32_e32 v5, 0x7e
	v_mov_b32_e32 v7, 0x7f
	v_cmp_lt_u32_e32 vcc, s8, v6
	s_nop 1
	v_cndmask_b32_e32 v5, v5, v7, vcc
; %bb.1832:
	s_or_b64 exec, exec, s[6:7]
	v_lshrrev_b32_e32 v1, 24, v1
	s_movk_i32 s6, 0x80
	v_and_or_b32 v1, v1, s6, v5
	global_store_byte v[2:3], v1, off
.LBB96_1833:
	s_mov_b64 s[6:7], 0
.LBB96_1834:
	s_andn2_b64 vcc, exec, s[6:7]
	s_cbranch_vccnz .LBB96_1844
; %bb.1835:
	v_cvt_f32_f16_e32 v1, v4
	s_mov_b32 s6, 0x47800000
                                        ; implicit-def: $vgpr5
	v_and_b32_e32 v6, 0x7fffffff, v1
	v_cmp_gt_u32_e32 vcc, s6, v6
	s_and_saveexec_b64 s[6:7], vcc
	s_xor_b64 s[6:7], exec, s[6:7]
	s_cbranch_execz .LBB96_1841
; %bb.1836:
	s_mov_b32 s8, 0x387fffff
	v_cmp_lt_u32_e32 vcc, s8, v6
                                        ; implicit-def: $vgpr5
	s_and_saveexec_b64 s[8:9], vcc
	s_xor_b64 s[8:9], exec, s[8:9]
; %bb.1837:
	v_bfe_u32 v5, v1, 21, 1
	s_mov_b32 s10, 0x80fffff
	v_add3_u32 v5, v1, v5, s10
	v_lshrrev_b32_e32 v5, 21, v5
; %bb.1838:
	s_andn2_saveexec_b64 s[8:9], s[8:9]
; %bb.1839:
	s_mov_b32 s10, 0x43000000
	v_add_f32_e64 v5, |v1|, s10
; %bb.1840:
	s_or_b64 exec, exec, s[8:9]
                                        ; implicit-def: $vgpr6
.LBB96_1841:
	s_andn2_saveexec_b64 s[6:7], s[6:7]
; %bb.1842:
	s_mov_b32 s8, 0x7f800000
	v_mov_b32_e32 v5, 0x7c
	v_mov_b32_e32 v7, 0x7f
	v_cmp_lt_u32_e32 vcc, s8, v6
	s_nop 1
	v_cndmask_b32_e32 v5, v5, v7, vcc
; %bb.1843:
	s_or_b64 exec, exec, s[6:7]
	v_lshrrev_b32_e32 v1, 24, v1
	s_movk_i32 s6, 0x80
	v_and_or_b32 v1, v1, s6, v5
	global_store_byte v[2:3], v1, off
.LBB96_1844:
	s_mov_b64 s[6:7], 0
	s_mov_b64 s[8:9], -1
.LBB96_1845:
	s_andn2_b64 vcc, exec, s[6:7]
	s_mov_b64 s[6:7], 0
	s_cbranch_vccnz .LBB96_1852
; %bb.1846:
	s_cmp_gt_i32 s19, 14
	s_mov_b64 s[10:11], -1
	s_cbranch_scc0 .LBB96_1850
; %bb.1847:
	s_cmp_eq_u32 s19, 15
	s_mov_b64 s[0:1], -1
	s_cbranch_scc0 .LBB96_1849
; %bb.1848:
	v_cvt_f32_f16_e32 v1, v4
	s_movk_i32 s0, 0x7fff
	v_cmp_o_f16_e32 vcc, v4, v4
	v_mov_b32_e32 v5, 0x7fc0
	v_bfe_u32 v6, v1, 16, 1
	v_add3_u32 v1, v1, v6, s0
	v_cndmask_b32_sdwa v1, v5, v1, vcc dst_sel:DWORD dst_unused:UNUSED_PAD src0_sel:DWORD src1_sel:WORD_1
	global_store_short v[2:3], v1, off
	s_mov_b64 s[0:1], 0
	s_mov_b64 s[8:9], -1
.LBB96_1849:
	s_mov_b64 s[10:11], 0
.LBB96_1850:
	s_and_b64 vcc, exec, s[10:11]
	s_cbranch_vccz .LBB96_1852
; %bb.1851:
	s_cmp_lg_u32 s19, 11
	s_mov_b64 s[6:7], -1
	s_cselect_b64 s[0:1], -1, 0
.LBB96_1852:
	s_and_b64 vcc, exec, s[0:1]
	s_cbranch_vccnz .LBB96_2032
; %bb.1853:
	s_andn2_b64 vcc, exec, s[6:7]
	s_cbranch_vccnz .LBB96_1855
.LBB96_1854:
	v_cmp_neq_f16_e32 vcc, 0, v4
	s_mov_b64 s[8:9], -1
	s_nop 0
	v_cndmask_b32_e64 v1, 0, 1, vcc
	global_store_byte v[2:3], v1, off
.LBB96_1855:
	s_mov_b64 s[0:1], 0
	s_branch .LBB96_1857
.LBB96_1856:
	s_mov_b64 s[0:1], -1
	s_mov_b64 s[8:9], 0
.LBB96_1857:
	s_and_b64 vcc, exec, s[0:1]
	s_cbranch_vccz .LBB96_1896
; %bb.1858:
	s_and_b32 s6, 0xffff, s20
	s_cmp_lt_i32 s6, 5
	s_mov_b64 s[0:1], -1
	s_cbranch_scc1 .LBB96_1879
; %bb.1859:
	s_cmp_lt_i32 s6, 8
	s_cbranch_scc1 .LBB96_1869
; %bb.1860:
	s_cmp_lt_i32 s6, 9
	s_cbranch_scc1 .LBB96_1866
; %bb.1861:
	s_cmp_gt_i32 s6, 9
	s_cbranch_scc0 .LBB96_1863
; %bb.1862:
	v_cvt_f32_f16_e32 v1, v4
	v_mov_b32_e32 v12, 0
	v_mov_b32_e32 v13, v12
	s_mov_b64 s[0:1], 0
	v_cvt_f64_f32_e32 v[10:11], v1
	global_store_dwordx4 v[2:3], v[10:13], off
.LBB96_1863:
	s_andn2_b64 vcc, exec, s[0:1]
	s_cbranch_vccnz .LBB96_1865
; %bb.1864:
	v_cvt_f32_f16_e32 v6, v4
	v_mov_b32_e32 v7, 0
	global_store_dwordx2 v[2:3], v[6:7], off
.LBB96_1865:
	s_mov_b64 s[0:1], 0
.LBB96_1866:
	s_andn2_b64 vcc, exec, s[0:1]
	s_cbranch_vccnz .LBB96_1868
; %bb.1867:
	global_store_dword v[2:3], v4, off
.LBB96_1868:
	s_mov_b64 s[0:1], 0
.LBB96_1869:
	s_andn2_b64 vcc, exec, s[0:1]
	s_cbranch_vccnz .LBB96_1878
; %bb.1870:
	s_cmp_lt_i32 s6, 6
	s_mov_b64 s[0:1], -1
	s_cbranch_scc1 .LBB96_1876
; %bb.1871:
	s_cmp_gt_i32 s6, 6
	s_cbranch_scc0 .LBB96_1873
; %bb.1872:
	v_cvt_f32_f16_e32 v1, v4
	s_mov_b64 s[0:1], 0
	v_cvt_f64_f32_e32 v[6:7], v1
	global_store_dwordx2 v[2:3], v[6:7], off
.LBB96_1873:
	s_andn2_b64 vcc, exec, s[0:1]
	s_cbranch_vccnz .LBB96_1875
; %bb.1874:
	v_cvt_f32_f16_e32 v1, v4
	global_store_dword v[2:3], v1, off
.LBB96_1875:
	s_mov_b64 s[0:1], 0
.LBB96_1876:
	s_andn2_b64 vcc, exec, s[0:1]
	s_cbranch_vccnz .LBB96_1878
; %bb.1877:
	global_store_short v[2:3], v4, off
.LBB96_1878:
	s_mov_b64 s[0:1], 0
.LBB96_1879:
	s_andn2_b64 vcc, exec, s[0:1]
	s_cbranch_vccnz .LBB96_1895
; %bb.1880:
	s_cmp_lt_i32 s6, 2
	s_mov_b64 s[0:1], -1
	s_cbranch_scc1 .LBB96_1890
; %bb.1881:
	s_cmp_lt_i32 s6, 3
	s_cbranch_scc1 .LBB96_1887
; %bb.1882:
	s_cmp_gt_i32 s6, 3
	s_cbranch_scc0 .LBB96_1884
; %bb.1883:
	v_cvt_f32_f16_e32 v1, v4
	s_mov_b64 s[0:1], 0
	v_cvt_i32_f32_e32 v6, v1
	v_ashrrev_i32_e32 v7, 31, v6
	global_store_dwordx2 v[2:3], v[6:7], off
.LBB96_1884:
	s_andn2_b64 vcc, exec, s[0:1]
	s_cbranch_vccnz .LBB96_1886
; %bb.1885:
	v_cvt_f32_f16_e32 v1, v4
	v_cvt_i32_f32_e32 v1, v1
	global_store_dword v[2:3], v1, off
.LBB96_1886:
	s_mov_b64 s[0:1], 0
.LBB96_1887:
	s_andn2_b64 vcc, exec, s[0:1]
	s_cbranch_vccnz .LBB96_1889
; %bb.1888:
	v_cvt_i16_f16_e32 v1, v4
	global_store_short v[2:3], v1, off
.LBB96_1889:
	s_mov_b64 s[0:1], 0
.LBB96_1890:
	s_andn2_b64 vcc, exec, s[0:1]
	s_cbranch_vccnz .LBB96_1895
; %bb.1891:
	s_cmp_gt_i32 s6, 0
	s_mov_b64 s[0:1], -1
	s_cbranch_scc0 .LBB96_1893
; %bb.1892:
	v_cvt_i16_f16_e32 v1, v4
	global_store_byte v[2:3], v1, off
	s_mov_b64 s[0:1], 0
.LBB96_1893:
	s_andn2_b64 vcc, exec, s[0:1]
	s_cbranch_vccnz .LBB96_1895
; %bb.1894:
	v_cvt_f32_f16_e32 v1, v4
	v_cvt_i32_f32_e32 v1, v1
	global_store_byte v[2:3], v1, off
.LBB96_1895:
	s_mov_b64 s[8:9], -1
.LBB96_1896:
	s_andn2_b64 vcc, exec, s[8:9]
	s_cbranch_vccnz .LBB96_1973
; %bb.1897:
	v_cvt_f32_f16_e32 v1, v8
	s_mov_b32 s0, 0x3fb8aa3b
	s_mov_b32 s1, 0x32a5705f
	v_add_u32_e32 v0, s18, v0
	v_mul_f32_e32 v2, 0x3fb8aa3b, v1
	v_rndne_f32_e32 v3, v2
	v_fma_mix_f32 v4, v8, s0, -v2 op_sel_hi:[1,0,0]
	v_sub_f32_e32 v2, v2, v3
	v_fma_mix_f32 v4, v8, s1, v4 op_sel_hi:[1,0,0]
	v_cvt_i32_f32_e32 v3, v3
	v_add_f32_e32 v2, v2, v4
	v_exp_f32_e32 v2, v2
	s_mov_b32 s0, 0xc2ce8ed0
	v_cmp_ngt_f32_e32 vcc, s0, v1
	s_mov_b32 s0, 0x42b17218
	v_ldexp_f32 v2, v2, v3
	v_cndmask_b32_e32 v2, 0, v2, vcc
	v_mov_b32_e32 v3, 0x7f800000
	v_cmp_nlt_f32_e32 vcc, s0, v1
	s_cmp_lt_i32 s20, 11
	s_nop 0
	v_cndmask_b32_e32 v1, v3, v2, vcc
	v_cvt_f16_f32_e32 v2, v1
	v_ashrrev_i32_e32 v1, 31, v0
	v_lshl_add_u64 v[0:1], s[4:5], 0, v[0:1]
	s_cbranch_scc1 .LBB96_2018
; %bb.1898:
	s_and_b32 s16, 0xffff, s20
	s_mov_b64 s[6:7], -1
	s_mov_b64 s[4:5], 0
	s_cmp_gt_i32 s16, 25
	s_mov_b64 s[0:1], 0
	s_cbranch_scc0 .LBB96_1931
; %bb.1899:
	s_cmp_gt_i32 s16, 28
	s_cbranch_scc0 .LBB96_1915
; %bb.1900:
	s_cmp_gt_i32 s16, 43
	;; [unrolled: 3-line block ×3, first 2 shown]
	s_cbranch_scc0 .LBB96_1905
; %bb.1902:
	s_cmp_eq_u32 s16, 46
	s_mov_b64 s[0:1], -1
	s_cbranch_scc0 .LBB96_1904
; %bb.1903:
	v_cvt_f32_f16_e32 v3, v2
	s_movk_i32 s0, 0x7fff
	v_cmp_o_f16_e32 vcc, v2, v2
	v_mov_b32_e32 v4, 0x7fc0
	v_bfe_u32 v5, v3, 16, 1
	v_add3_u32 v3, v3, v5, s0
	v_cndmask_b32_sdwa v3, v4, v3, vcc dst_sel:DWORD dst_unused:UNUSED_PAD src0_sel:DWORD src1_sel:WORD_1
	global_store_dword v[0:1], v3, off
	s_mov_b64 s[0:1], 0
.LBB96_1904:
	s_mov_b64 s[6:7], 0
.LBB96_1905:
	s_and_b64 vcc, exec, s[6:7]
	s_cbranch_vccz .LBB96_1910
; %bb.1906:
	s_cmp_eq_u32 s16, 44
	s_mov_b64 s[0:1], -1
	s_cbranch_scc0 .LBB96_1910
; %bb.1907:
	v_cvt_f32_f16_e32 v3, v2
	s_movk_i32 s0, 0xff
	v_mov_b32_e32 v5, 0xff
	v_bfe_u32 v4, v3, 23, 8
	v_cmp_ne_u32_e32 vcc, s0, v4
	s_and_saveexec_b64 s[6:7], vcc
; %bb.1908:
	s_mov_b32 s0, 0x3fffff
	v_lshrrev_b32_e32 v5, 23, v3
	v_and_b32_e32 v6, 0x400000, v3
	v_and_or_b32 v3, v3, s0, v4
	v_cmp_ne_u32_e32 vcc, 0, v6
	v_cmp_ne_u32_e64 s[0:1], 0, v3
	s_and_b64 s[0:1], vcc, s[0:1]
	s_nop 0
	v_cndmask_b32_e64 v3, 0, 1, s[0:1]
	v_add_u32_e32 v5, v5, v3
; %bb.1909:
	s_or_b64 exec, exec, s[6:7]
	s_mov_b64 s[0:1], 0
	global_store_byte v[0:1], v5, off
.LBB96_1910:
	s_mov_b64 s[6:7], 0
.LBB96_1911:
	s_and_b64 vcc, exec, s[6:7]
	s_cbranch_vccz .LBB96_1914
; %bb.1912:
	s_cmp_eq_u32 s16, 29
	s_mov_b64 s[0:1], -1
	s_cbranch_scc0 .LBB96_1914
; %bb.1913:
	v_cvt_f32_f16_e32 v3, v2
	v_mov_b32_e32 v5, 0
	s_mov_b64 s[0:1], 0
	v_cvt_u32_f32_e32 v4, v3
	global_store_dwordx2 v[0:1], v[4:5], off
.LBB96_1914:
	s_mov_b64 s[6:7], 0
.LBB96_1915:
	s_and_b64 vcc, exec, s[6:7]
	s_cbranch_vccz .LBB96_1930
; %bb.1916:
	s_cmp_lt_i32 s16, 27
	s_mov_b64 s[6:7], -1
	s_cbranch_scc1 .LBB96_1922
; %bb.1917:
	s_cmp_gt_i32 s16, 27
	s_cbranch_scc0 .LBB96_1919
; %bb.1918:
	v_cvt_f32_f16_e32 v3, v2
	s_mov_b64 s[6:7], 0
	v_cvt_u32_f32_e32 v3, v3
	global_store_dword v[0:1], v3, off
.LBB96_1919:
	s_andn2_b64 vcc, exec, s[6:7]
	s_cbranch_vccnz .LBB96_1921
; %bb.1920:
	v_cvt_u16_f16_e32 v3, v2
	global_store_short v[0:1], v3, off
.LBB96_1921:
	s_mov_b64 s[6:7], 0
.LBB96_1922:
	s_andn2_b64 vcc, exec, s[6:7]
	s_cbranch_vccnz .LBB96_1930
; %bb.1923:
	v_cvt_f32_f16_e32 v3, v2
	s_mov_b32 s6, 0x43800000
	v_mov_b32_e32 v5, 0x80
	v_and_b32_e32 v4, 0x7fffffff, v3
	v_cmp_gt_u32_e32 vcc, s6, v4
	s_and_saveexec_b64 s[6:7], vcc
	s_cbranch_execz .LBB96_1929
; %bb.1924:
	s_mov_b32 s8, 0x3bffffff
	v_cmp_lt_u32_e32 vcc, s8, v4
	s_mov_b64 s[8:9], 0
                                        ; implicit-def: $vgpr4
	s_and_saveexec_b64 s[10:11], vcc
	s_xor_b64 s[10:11], exec, s[10:11]
	s_cbranch_execz .LBB96_2035
; %bb.1925:
	v_bfe_u32 v4, v3, 20, 1
	s_mov_b32 s17, 0x487ffff
	v_add3_u32 v4, v3, v4, s17
	s_mov_b64 s[8:9], exec
	v_lshrrev_b32_e32 v4, 20, v4
	s_andn2_saveexec_b64 s[10:11], s[10:11]
	s_cbranch_execnz .LBB96_2036
.LBB96_1926:
	s_or_b64 exec, exec, s[10:11]
	v_mov_b32_e32 v5, 0
	s_and_saveexec_b64 s[10:11], s[8:9]
.LBB96_1927:
	v_lshrrev_b32_e32 v3, 24, v3
	s_movk_i32 s8, 0x80
	v_and_or_b32 v5, v3, s8, v4
.LBB96_1928:
	s_or_b64 exec, exec, s[10:11]
.LBB96_1929:
	s_or_b64 exec, exec, s[6:7]
	global_store_byte v[0:1], v5, off
.LBB96_1930:
	s_mov_b64 s[6:7], 0
.LBB96_1931:
	s_and_b64 vcc, exec, s[6:7]
	s_cbranch_vccz .LBB96_1971
; %bb.1932:
	s_cmp_gt_i32 s16, 22
	s_mov_b64 s[4:5], -1
	s_cbranch_scc0 .LBB96_1964
; %bb.1933:
	s_cmp_lt_i32 s16, 24
	s_cbranch_scc1 .LBB96_1953
; %bb.1934:
	s_cmp_gt_i32 s16, 24
	s_cbranch_scc0 .LBB96_1942
; %bb.1935:
	v_cvt_f32_f16_e32 v3, v2
	s_mov_b32 s4, 0x47800000
	v_mov_b32_e32 v5, 0x80
	v_and_b32_e32 v4, 0x7fffffff, v3
	v_cmp_gt_u32_e32 vcc, s4, v4
	s_and_saveexec_b64 s[4:5], vcc
	s_cbranch_execz .LBB96_1941
; %bb.1936:
	s_mov_b32 s6, 0x37ffffff
	v_cmp_lt_u32_e32 vcc, s6, v4
	s_mov_b64 s[6:7], 0
                                        ; implicit-def: $vgpr4
	s_and_saveexec_b64 s[8:9], vcc
	s_xor_b64 s[8:9], exec, s[8:9]
	s_cbranch_execz .LBB96_2038
; %bb.1937:
	v_bfe_u32 v4, v3, 21, 1
	s_mov_b32 s10, 0x88fffff
	v_add3_u32 v4, v3, v4, s10
	s_mov_b64 s[6:7], exec
	v_lshrrev_b32_e32 v4, 21, v4
	s_andn2_saveexec_b64 s[8:9], s[8:9]
	s_cbranch_execnz .LBB96_2039
.LBB96_1938:
	s_or_b64 exec, exec, s[8:9]
	v_mov_b32_e32 v5, 0
	s_and_saveexec_b64 s[8:9], s[6:7]
.LBB96_1939:
	v_lshrrev_b32_e32 v3, 24, v3
	s_movk_i32 s6, 0x80
	v_and_or_b32 v5, v3, s6, v4
.LBB96_1940:
	s_or_b64 exec, exec, s[8:9]
.LBB96_1941:
	s_or_b64 exec, exec, s[4:5]
	s_mov_b64 s[4:5], 0
	global_store_byte v[0:1], v5, off
.LBB96_1942:
	s_and_b64 vcc, exec, s[4:5]
	s_cbranch_vccz .LBB96_1952
; %bb.1943:
	v_cvt_f32_f16_e32 v3, v2
	s_mov_b32 s4, 0x43f00000
                                        ; implicit-def: $vgpr4
	v_and_b32_e32 v5, 0x7fffffff, v3
	v_cmp_gt_u32_e32 vcc, s4, v5
	s_and_saveexec_b64 s[4:5], vcc
	s_xor_b64 s[4:5], exec, s[4:5]
	s_cbranch_execz .LBB96_1949
; %bb.1944:
	s_mov_b32 s6, 0x3c7fffff
	v_cmp_lt_u32_e32 vcc, s6, v5
                                        ; implicit-def: $vgpr4
	s_and_saveexec_b64 s[6:7], vcc
	s_xor_b64 s[6:7], exec, s[6:7]
; %bb.1945:
	v_bfe_u32 v4, v3, 20, 1
	s_mov_b32 s8, 0x407ffff
	v_add3_u32 v4, v3, v4, s8
	v_lshrrev_b32_e32 v5, 20, v4
	v_and_b32_e32 v4, 0xff00000, v4
	s_mov_b32 s8, 0x7f00000
	v_mov_b32_e32 v6, 0x7e
	v_cmp_ne_u32_e32 vcc, s8, v4
	s_nop 1
	v_cndmask_b32_e32 v4, v6, v5, vcc
; %bb.1946:
	s_andn2_saveexec_b64 s[6:7], s[6:7]
; %bb.1947:
	s_mov_b32 s8, 0x46800000
	v_add_f32_e64 v4, |v3|, s8
; %bb.1948:
	s_or_b64 exec, exec, s[6:7]
                                        ; implicit-def: $vgpr5
.LBB96_1949:
	s_andn2_saveexec_b64 s[4:5], s[4:5]
; %bb.1950:
	s_mov_b32 s6, 0x7f800000
	v_mov_b32_e32 v4, 0x7e
	v_mov_b32_e32 v6, 0x7f
	v_cmp_lt_u32_e32 vcc, s6, v5
	s_nop 1
	v_cndmask_b32_e32 v4, v4, v6, vcc
; %bb.1951:
	s_or_b64 exec, exec, s[4:5]
	v_lshrrev_b32_e32 v3, 24, v3
	s_movk_i32 s4, 0x80
	v_and_or_b32 v3, v3, s4, v4
	global_store_byte v[0:1], v3, off
.LBB96_1952:
	s_mov_b64 s[4:5], 0
.LBB96_1953:
	s_andn2_b64 vcc, exec, s[4:5]
	s_cbranch_vccnz .LBB96_1963
; %bb.1954:
	v_cvt_f32_f16_e32 v3, v2
	s_mov_b32 s4, 0x47800000
                                        ; implicit-def: $vgpr4
	v_and_b32_e32 v5, 0x7fffffff, v3
	v_cmp_gt_u32_e32 vcc, s4, v5
	s_and_saveexec_b64 s[4:5], vcc
	s_xor_b64 s[4:5], exec, s[4:5]
	s_cbranch_execz .LBB96_1960
; %bb.1955:
	s_mov_b32 s6, 0x387fffff
	v_cmp_lt_u32_e32 vcc, s6, v5
                                        ; implicit-def: $vgpr4
	s_and_saveexec_b64 s[6:7], vcc
	s_xor_b64 s[6:7], exec, s[6:7]
; %bb.1956:
	v_bfe_u32 v4, v3, 21, 1
	s_mov_b32 s8, 0x80fffff
	v_add3_u32 v4, v3, v4, s8
	v_lshrrev_b32_e32 v4, 21, v4
; %bb.1957:
	s_andn2_saveexec_b64 s[6:7], s[6:7]
; %bb.1958:
	s_mov_b32 s8, 0x43000000
	v_add_f32_e64 v4, |v3|, s8
; %bb.1959:
	s_or_b64 exec, exec, s[6:7]
                                        ; implicit-def: $vgpr5
.LBB96_1960:
	s_andn2_saveexec_b64 s[4:5], s[4:5]
; %bb.1961:
	s_mov_b32 s6, 0x7f800000
	v_mov_b32_e32 v4, 0x7c
	v_mov_b32_e32 v6, 0x7f
	v_cmp_lt_u32_e32 vcc, s6, v5
	s_nop 1
	v_cndmask_b32_e32 v4, v4, v6, vcc
; %bb.1962:
	s_or_b64 exec, exec, s[4:5]
	v_lshrrev_b32_e32 v3, 24, v3
	s_movk_i32 s4, 0x80
	v_and_or_b32 v3, v3, s4, v4
	global_store_byte v[0:1], v3, off
.LBB96_1963:
	s_mov_b64 s[4:5], 0
.LBB96_1964:
	s_andn2_b64 vcc, exec, s[4:5]
	s_mov_b64 s[4:5], 0
	s_cbranch_vccnz .LBB96_1971
; %bb.1965:
	s_cmp_gt_i32 s16, 14
	s_mov_b64 s[6:7], -1
	s_cbranch_scc0 .LBB96_1969
; %bb.1966:
	s_cmp_eq_u32 s16, 15
	s_mov_b64 s[0:1], -1
	s_cbranch_scc0 .LBB96_1968
; %bb.1967:
	v_cvt_f32_f16_e32 v3, v2
	s_movk_i32 s0, 0x7fff
	v_cmp_o_f16_e32 vcc, v2, v2
	v_mov_b32_e32 v4, 0x7fc0
	v_bfe_u32 v5, v3, 16, 1
	v_add3_u32 v3, v3, v5, s0
	v_cndmask_b32_sdwa v3, v4, v3, vcc dst_sel:DWORD dst_unused:UNUSED_PAD src0_sel:DWORD src1_sel:WORD_1
	global_store_short v[0:1], v3, off
	s_mov_b64 s[0:1], 0
.LBB96_1968:
	s_mov_b64 s[6:7], 0
.LBB96_1969:
	s_and_b64 vcc, exec, s[6:7]
	s_cbranch_vccz .LBB96_1971
; %bb.1970:
	s_cmp_lg_u32 s16, 11
	s_mov_b64 s[4:5], -1
	s_cselect_b64 s[0:1], -1, 0
.LBB96_1971:
	s_and_b64 vcc, exec, s[0:1]
	s_cbranch_vccnz .LBB96_2037
.LBB96_1972:
	s_mov_b64 s[0:1], 0
	s_branch .LBB96_1974
.LBB96_1973:
	s_mov_b64 s[0:1], 0
	s_mov_b64 s[4:5], 0
                                        ; implicit-def: $sgpr20
                                        ; implicit-def: $vgpr0_vgpr1
                                        ; implicit-def: $vgpr2
.LBB96_1974:
	s_and_b64 s[10:11], s[4:5], exec
	s_andn2_b64 s[4:5], s[12:13], exec
	s_and_b64 s[6:7], s[14:15], exec
	s_and_b64 s[0:1], s[0:1], exec
	s_or_b64 s[12:13], s[4:5], s[6:7]
.LBB96_1975:
	s_or_b64 exec, exec, s[2:3]
	s_and_saveexec_b64 s[2:3], s[12:13]
	s_cbranch_execz .LBB96_1978
; %bb.1976:
	; divergent unreachable
	s_or_b64 exec, exec, s[2:3]
	s_and_saveexec_b64 s[2:3], s[10:11]
	s_xor_b64 s[2:3], exec, s[2:3]
	s_cbranch_execnz .LBB96_1979
.LBB96_1977:
	s_or_b64 exec, exec, s[2:3]
	s_and_saveexec_b64 s[2:3], s[0:1]
	s_cbranch_execnz .LBB96_1980
	s_branch .LBB96_2017
.LBB96_1978:
	s_or_b64 exec, exec, s[2:3]
	s_and_saveexec_b64 s[2:3], s[10:11]
	s_xor_b64 s[2:3], exec, s[2:3]
	s_cbranch_execz .LBB96_1977
.LBB96_1979:
	s_waitcnt vmcnt(0)
	v_cmp_neq_f16_e32 vcc, 0, v2
	s_nop 1
	v_cndmask_b32_e64 v3, 0, 1, vcc
	global_store_byte v[0:1], v3, off
	s_or_b64 exec, exec, s[2:3]
	s_and_saveexec_b64 s[2:3], s[0:1]
	s_cbranch_execz .LBB96_2017
.LBB96_1980:
	s_sext_i32_i16 s2, s20
	s_cmp_lt_i32 s2, 5
	s_mov_b64 s[0:1], -1
	s_cbranch_scc1 .LBB96_2001
; %bb.1981:
	s_cmp_lt_i32 s2, 8
	s_cbranch_scc1 .LBB96_1991
; %bb.1982:
	s_cmp_lt_i32 s2, 9
	s_cbranch_scc1 .LBB96_1988
; %bb.1983:
	s_cmp_gt_i32 s2, 9
	s_cbranch_scc0 .LBB96_1985
; %bb.1984:
	s_waitcnt vmcnt(0)
	v_cvt_f32_f16_e32 v3, v2
	v_mov_b32_e32 v6, 0
	v_mov_b32_e32 v7, v6
	s_mov_b64 s[0:1], 0
	v_cvt_f64_f32_e32 v[4:5], v3
	global_store_dwordx4 v[0:1], v[4:7], off
.LBB96_1985:
	s_andn2_b64 vcc, exec, s[0:1]
	s_cbranch_vccnz .LBB96_1987
; %bb.1986:
	s_waitcnt vmcnt(0)
	v_cvt_f32_f16_e32 v4, v2
	v_mov_b32_e32 v5, 0
	global_store_dwordx2 v[0:1], v[4:5], off
.LBB96_1987:
	s_mov_b64 s[0:1], 0
.LBB96_1988:
	s_andn2_b64 vcc, exec, s[0:1]
	s_cbranch_vccnz .LBB96_1990
; %bb.1989:
	s_waitcnt vmcnt(0)
	v_and_b32_e32 v3, 0xffff, v2
	global_store_dword v[0:1], v3, off
.LBB96_1990:
	s_mov_b64 s[0:1], 0
.LBB96_1991:
	s_andn2_b64 vcc, exec, s[0:1]
	s_cbranch_vccnz .LBB96_2000
; %bb.1992:
	s_sext_i32_i16 s2, s20
	s_cmp_lt_i32 s2, 6
	s_mov_b64 s[0:1], -1
	s_cbranch_scc1 .LBB96_1998
; %bb.1993:
	s_cmp_gt_i32 s2, 6
	s_cbranch_scc0 .LBB96_1995
; %bb.1994:
	s_waitcnt vmcnt(0)
	v_cvt_f32_f16_e32 v3, v2
	s_mov_b64 s[0:1], 0
	v_cvt_f64_f32_e32 v[4:5], v3
	global_store_dwordx2 v[0:1], v[4:5], off
.LBB96_1995:
	s_andn2_b64 vcc, exec, s[0:1]
	s_cbranch_vccnz .LBB96_1997
; %bb.1996:
	s_waitcnt vmcnt(0)
	v_cvt_f32_f16_e32 v3, v2
	global_store_dword v[0:1], v3, off
.LBB96_1997:
	s_mov_b64 s[0:1], 0
.LBB96_1998:
	s_andn2_b64 vcc, exec, s[0:1]
	s_cbranch_vccnz .LBB96_2000
; %bb.1999:
	s_waitcnt vmcnt(0)
	global_store_short v[0:1], v2, off
.LBB96_2000:
	s_mov_b64 s[0:1], 0
.LBB96_2001:
	s_andn2_b64 vcc, exec, s[0:1]
	s_cbranch_vccnz .LBB96_2017
; %bb.2002:
	s_sext_i32_i16 s2, s20
	s_cmp_lt_i32 s2, 2
	s_mov_b64 s[0:1], -1
	s_cbranch_scc1 .LBB96_2012
; %bb.2003:
	s_cmp_lt_i32 s2, 3
	s_cbranch_scc1 .LBB96_2009
; %bb.2004:
	s_cmp_gt_i32 s2, 3
	s_cbranch_scc0 .LBB96_2006
; %bb.2005:
	s_waitcnt vmcnt(0)
	v_cvt_f32_f16_e32 v3, v2
	s_mov_b64 s[0:1], 0
	v_cvt_i32_f32_e32 v4, v3
	v_ashrrev_i32_e32 v5, 31, v4
	global_store_dwordx2 v[0:1], v[4:5], off
.LBB96_2006:
	s_andn2_b64 vcc, exec, s[0:1]
	s_cbranch_vccnz .LBB96_2008
; %bb.2007:
	s_waitcnt vmcnt(0)
	v_cvt_f32_f16_e32 v3, v2
	v_cvt_i32_f32_e32 v3, v3
	global_store_dword v[0:1], v3, off
.LBB96_2008:
	s_mov_b64 s[0:1], 0
.LBB96_2009:
	s_andn2_b64 vcc, exec, s[0:1]
	s_cbranch_vccnz .LBB96_2011
; %bb.2010:
	s_waitcnt vmcnt(0)
	v_cvt_i16_f16_e32 v3, v2
	global_store_short v[0:1], v3, off
.LBB96_2011:
	s_mov_b64 s[0:1], 0
.LBB96_2012:
	s_andn2_b64 vcc, exec, s[0:1]
	s_cbranch_vccnz .LBB96_2017
; %bb.2013:
	s_sext_i32_i16 s0, s20
	s_cmp_gt_i32 s0, 0
	s_mov_b64 s[0:1], -1
	s_cbranch_scc0 .LBB96_2015
; %bb.2014:
	s_waitcnt vmcnt(0)
	v_cvt_i16_f16_e32 v3, v2
	global_store_byte v[0:1], v3, off
	s_mov_b64 s[0:1], 0
.LBB96_2015:
	s_andn2_b64 vcc, exec, s[0:1]
	s_cbranch_vccnz .LBB96_2017
; %bb.2016:
	s_waitcnt vmcnt(0)
	v_cvt_f32_f16_e32 v2, v2
	v_cvt_i32_f32_e32 v2, v2
	global_store_byte v[0:1], v2, off
	s_endpgm
.LBB96_2017:
	s_endpgm
.LBB96_2018:
	s_mov_b64 s[4:5], 0
	s_mov_b64 s[0:1], -1
	s_branch .LBB96_1974
.LBB96_2019:
	s_trap 2
	s_or_b64 s[14:15], s[14:15], exec
	s_cbranch_execz .LBB96_1488
	s_branch .LBB96_1489
.LBB96_2020:
	s_andn2_saveexec_b64 s[18:19], s[18:19]
	s_cbranch_execz .LBB96_1568
.LBB96_2021:
	s_mov_b32 s21, 0x46000000
	v_add_f32_e64 v4, |v1|, s21
	v_and_b32_e32 v4, 0xff, v4
	v_cmp_ne_u32_e32 vcc, 0, v4
	s_andn2_b64 s[16:17], s[16:17], exec
	s_and_b64 s[22:23], vcc, exec
	s_or_b64 s[16:17], s[16:17], s[22:23]
	s_or_b64 exec, exec, s[18:19]
	v_mov_b32_e32 v9, 0
	s_and_saveexec_b64 s[18:19], s[16:17]
	s_cbranch_execnz .LBB96_1569
	s_branch .LBB96_1570
.LBB96_2022:
	s_trap 2
	s_or_b64 s[14:15], s[14:15], exec
	s_cbranch_execz .LBB96_1616
	s_branch .LBB96_1617
.LBB96_2023:
	s_andn2_saveexec_b64 s[16:17], s[16:17]
	s_cbranch_execz .LBB96_1581
.LBB96_2024:
	s_mov_b32 s18, 0x42800000
	v_add_f32_e64 v4, |v1|, s18
	v_and_b32_e32 v4, 0xff, v4
	v_cmp_ne_u32_e32 vcc, 0, v4
	s_andn2_b64 s[10:11], s[10:11], exec
	s_and_b64 s[18:19], vcc, exec
	s_or_b64 s[10:11], s[10:11], s[18:19]
	s_or_b64 exec, exec, s[16:17]
	v_mov_b32_e32 v9, 0
	s_and_saveexec_b64 s[16:17], s[10:11]
	s_cbranch_execnz .LBB96_1582
	s_branch .LBB96_1583
.LBB96_2025:
	s_andn2_saveexec_b64 s[16:17], s[16:17]
	s_cbranch_execz .LBB96_1687
.LBB96_2026:
	s_mov_b32 s21, 0x46000000
	v_add_f32_e64 v5, |v1|, s21
	v_and_b32_e32 v5, 0xff, v5
	v_cmp_ne_u32_e32 vcc, 0, v5
	s_andn2_b64 s[10:11], s[10:11], exec
	s_and_b64 s[22:23], vcc, exec
	s_or_b64 s[10:11], s[10:11], s[22:23]
	s_or_b64 exec, exec, s[16:17]
	v_mov_b32_e32 v6, 0
	s_and_saveexec_b64 s[16:17], s[10:11]
	s_cbranch_execnz .LBB96_1688
	s_branch .LBB96_1689
.LBB96_2027:
	s_trap 2
	s_or_b64 s[14:15], s[14:15], exec
	s_cbranch_execz .LBB96_1735
	s_branch .LBB96_1736
.LBB96_2028:
	s_andn2_saveexec_b64 s[10:11], s[10:11]
	s_cbranch_execz .LBB96_1700
.LBB96_2029:
	s_mov_b32 s16, 0x42800000
	v_add_f32_e64 v5, |v1|, s16
	v_and_b32_e32 v5, 0xff, v5
	v_cmp_ne_u32_e32 vcc, 0, v5
	s_andn2_b64 s[8:9], s[8:9], exec
	s_and_b64 s[16:17], vcc, exec
	s_or_b64 s[8:9], s[8:9], s[16:17]
	s_or_b64 exec, exec, s[10:11]
	v_mov_b32_e32 v6, 0
	s_and_saveexec_b64 s[10:11], s[8:9]
	s_cbranch_execnz .LBB96_1701
	s_branch .LBB96_1702
.LBB96_2030:
	s_andn2_saveexec_b64 s[16:17], s[16:17]
	s_cbranch_execz .LBB96_1806
.LBB96_2031:
	s_mov_b32 s21, 0x46000000
	v_add_f32_e64 v5, |v1|, s21
	v_and_b32_e32 v5, 0xff, v5
	v_cmp_ne_u32_e32 vcc, 0, v5
	s_andn2_b64 s[10:11], s[10:11], exec
	s_and_b64 s[22:23], vcc, exec
	s_or_b64 s[10:11], s[10:11], s[22:23]
	s_or_b64 exec, exec, s[16:17]
	v_mov_b32_e32 v6, 0
	s_and_saveexec_b64 s[16:17], s[10:11]
	s_cbranch_execnz .LBB96_1807
	s_branch .LBB96_1808
.LBB96_2032:
	s_trap 2
	s_or_b64 s[14:15], s[14:15], exec
	s_cbranch_execz .LBB96_1854
	s_branch .LBB96_1855
.LBB96_2033:
	s_andn2_saveexec_b64 s[10:11], s[10:11]
	s_cbranch_execz .LBB96_1819
.LBB96_2034:
	s_mov_b32 s16, 0x42800000
	v_add_f32_e64 v5, |v1|, s16
	v_and_b32_e32 v5, 0xff, v5
	v_cmp_ne_u32_e32 vcc, 0, v5
	s_andn2_b64 s[8:9], s[8:9], exec
	s_and_b64 s[16:17], vcc, exec
	s_or_b64 s[8:9], s[8:9], s[16:17]
	s_or_b64 exec, exec, s[10:11]
	v_mov_b32_e32 v6, 0
	s_and_saveexec_b64 s[10:11], s[8:9]
	s_cbranch_execnz .LBB96_1820
	s_branch .LBB96_1821
.LBB96_2035:
	s_andn2_saveexec_b64 s[10:11], s[10:11]
	s_cbranch_execz .LBB96_1926
.LBB96_2036:
	s_mov_b32 s17, 0x46000000
	v_add_f32_e64 v4, |v3|, s17
	v_and_b32_e32 v4, 0xff, v4
	v_cmp_ne_u32_e32 vcc, 0, v4
	s_andn2_b64 s[8:9], s[8:9], exec
	s_and_b64 s[18:19], vcc, exec
	s_or_b64 s[8:9], s[8:9], s[18:19]
	s_or_b64 exec, exec, s[10:11]
	v_mov_b32_e32 v5, 0
	s_and_saveexec_b64 s[10:11], s[8:9]
	s_cbranch_execnz .LBB96_1927
	s_branch .LBB96_1928
.LBB96_2037:
	s_mov_b64 s[4:5], 0
	s_or_b64 s[14:15], s[14:15], exec
	s_trap 2
	s_branch .LBB96_1972
.LBB96_2038:
	s_andn2_saveexec_b64 s[8:9], s[8:9]
	s_cbranch_execz .LBB96_1938
.LBB96_2039:
	s_mov_b32 s10, 0x42800000
	v_add_f32_e64 v4, |v3|, s10
	v_and_b32_e32 v4, 0xff, v4
	v_cmp_ne_u32_e32 vcc, 0, v4
	s_andn2_b64 s[6:7], s[6:7], exec
	s_and_b64 s[10:11], vcc, exec
	s_or_b64 s[6:7], s[6:7], s[10:11]
	s_or_b64 exec, exec, s[8:9]
	v_mov_b32_e32 v5, 0
	s_and_saveexec_b64 s[8:9], s[6:7]
	s_cbranch_execnz .LBB96_1939
	s_branch .LBB96_1940
	.section	.rodata,"a",@progbits
	.p2align	6, 0x0
	.amdhsa_kernel _ZN2at6native32elementwise_kernel_manual_unrollILi128ELi4EZNS0_15gpu_kernel_implIZZZNS0_15exp_kernel_cudaERNS_18TensorIteratorBaseEENKUlvE0_clEvENKUlvE1_clEvEUlN3c104HalfEE_EEvS4_RKT_EUlibE_EEviT1_
		.amdhsa_group_segment_fixed_size 0
		.amdhsa_private_segment_fixed_size 0
		.amdhsa_kernarg_size 40
		.amdhsa_user_sgpr_count 2
		.amdhsa_user_sgpr_dispatch_ptr 0
		.amdhsa_user_sgpr_queue_ptr 0
		.amdhsa_user_sgpr_kernarg_segment_ptr 1
		.amdhsa_user_sgpr_dispatch_id 0
		.amdhsa_user_sgpr_kernarg_preload_length 0
		.amdhsa_user_sgpr_kernarg_preload_offset 0
		.amdhsa_user_sgpr_private_segment_size 0
		.amdhsa_uses_dynamic_stack 0
		.amdhsa_enable_private_segment 0
		.amdhsa_system_sgpr_workgroup_id_x 1
		.amdhsa_system_sgpr_workgroup_id_y 0
		.amdhsa_system_sgpr_workgroup_id_z 0
		.amdhsa_system_sgpr_workgroup_info 0
		.amdhsa_system_vgpr_workitem_id 0
		.amdhsa_next_free_vgpr 14
		.amdhsa_next_free_sgpr 44
		.amdhsa_accum_offset 16
		.amdhsa_reserve_vcc 1
		.amdhsa_float_round_mode_32 0
		.amdhsa_float_round_mode_16_64 0
		.amdhsa_float_denorm_mode_32 3
		.amdhsa_float_denorm_mode_16_64 3
		.amdhsa_dx10_clamp 1
		.amdhsa_ieee_mode 1
		.amdhsa_fp16_overflow 0
		.amdhsa_tg_split 0
		.amdhsa_exception_fp_ieee_invalid_op 0
		.amdhsa_exception_fp_denorm_src 0
		.amdhsa_exception_fp_ieee_div_zero 0
		.amdhsa_exception_fp_ieee_overflow 0
		.amdhsa_exception_fp_ieee_underflow 0
		.amdhsa_exception_fp_ieee_inexact 0
		.amdhsa_exception_int_div_zero 0
	.end_amdhsa_kernel
	.section	.text._ZN2at6native32elementwise_kernel_manual_unrollILi128ELi4EZNS0_15gpu_kernel_implIZZZNS0_15exp_kernel_cudaERNS_18TensorIteratorBaseEENKUlvE0_clEvENKUlvE1_clEvEUlN3c104HalfEE_EEvS4_RKT_EUlibE_EEviT1_,"axG",@progbits,_ZN2at6native32elementwise_kernel_manual_unrollILi128ELi4EZNS0_15gpu_kernel_implIZZZNS0_15exp_kernel_cudaERNS_18TensorIteratorBaseEENKUlvE0_clEvENKUlvE1_clEvEUlN3c104HalfEE_EEvS4_RKT_EUlibE_EEviT1_,comdat
.Lfunc_end96:
	.size	_ZN2at6native32elementwise_kernel_manual_unrollILi128ELi4EZNS0_15gpu_kernel_implIZZZNS0_15exp_kernel_cudaERNS_18TensorIteratorBaseEENKUlvE0_clEvENKUlvE1_clEvEUlN3c104HalfEE_EEvS4_RKT_EUlibE_EEviT1_, .Lfunc_end96-_ZN2at6native32elementwise_kernel_manual_unrollILi128ELi4EZNS0_15gpu_kernel_implIZZZNS0_15exp_kernel_cudaERNS_18TensorIteratorBaseEENKUlvE0_clEvENKUlvE1_clEvEUlN3c104HalfEE_EEvS4_RKT_EUlibE_EEviT1_
                                        ; -- End function
	.set _ZN2at6native32elementwise_kernel_manual_unrollILi128ELi4EZNS0_15gpu_kernel_implIZZZNS0_15exp_kernel_cudaERNS_18TensorIteratorBaseEENKUlvE0_clEvENKUlvE1_clEvEUlN3c104HalfEE_EEvS4_RKT_EUlibE_EEviT1_.num_vgpr, 14
	.set _ZN2at6native32elementwise_kernel_manual_unrollILi128ELi4EZNS0_15gpu_kernel_implIZZZNS0_15exp_kernel_cudaERNS_18TensorIteratorBaseEENKUlvE0_clEvENKUlvE1_clEvEUlN3c104HalfEE_EEvS4_RKT_EUlibE_EEviT1_.num_agpr, 0
	.set _ZN2at6native32elementwise_kernel_manual_unrollILi128ELi4EZNS0_15gpu_kernel_implIZZZNS0_15exp_kernel_cudaERNS_18TensorIteratorBaseEENKUlvE0_clEvENKUlvE1_clEvEUlN3c104HalfEE_EEvS4_RKT_EUlibE_EEviT1_.numbered_sgpr, 44
	.set _ZN2at6native32elementwise_kernel_manual_unrollILi128ELi4EZNS0_15gpu_kernel_implIZZZNS0_15exp_kernel_cudaERNS_18TensorIteratorBaseEENKUlvE0_clEvENKUlvE1_clEvEUlN3c104HalfEE_EEvS4_RKT_EUlibE_EEviT1_.num_named_barrier, 0
	.set _ZN2at6native32elementwise_kernel_manual_unrollILi128ELi4EZNS0_15gpu_kernel_implIZZZNS0_15exp_kernel_cudaERNS_18TensorIteratorBaseEENKUlvE0_clEvENKUlvE1_clEvEUlN3c104HalfEE_EEvS4_RKT_EUlibE_EEviT1_.private_seg_size, 0
	.set _ZN2at6native32elementwise_kernel_manual_unrollILi128ELi4EZNS0_15gpu_kernel_implIZZZNS0_15exp_kernel_cudaERNS_18TensorIteratorBaseEENKUlvE0_clEvENKUlvE1_clEvEUlN3c104HalfEE_EEvS4_RKT_EUlibE_EEviT1_.uses_vcc, 1
	.set _ZN2at6native32elementwise_kernel_manual_unrollILi128ELi4EZNS0_15gpu_kernel_implIZZZNS0_15exp_kernel_cudaERNS_18TensorIteratorBaseEENKUlvE0_clEvENKUlvE1_clEvEUlN3c104HalfEE_EEvS4_RKT_EUlibE_EEviT1_.uses_flat_scratch, 0
	.set _ZN2at6native32elementwise_kernel_manual_unrollILi128ELi4EZNS0_15gpu_kernel_implIZZZNS0_15exp_kernel_cudaERNS_18TensorIteratorBaseEENKUlvE0_clEvENKUlvE1_clEvEUlN3c104HalfEE_EEvS4_RKT_EUlibE_EEviT1_.has_dyn_sized_stack, 0
	.set _ZN2at6native32elementwise_kernel_manual_unrollILi128ELi4EZNS0_15gpu_kernel_implIZZZNS0_15exp_kernel_cudaERNS_18TensorIteratorBaseEENKUlvE0_clEvENKUlvE1_clEvEUlN3c104HalfEE_EEvS4_RKT_EUlibE_EEviT1_.has_recursion, 0
	.set _ZN2at6native32elementwise_kernel_manual_unrollILi128ELi4EZNS0_15gpu_kernel_implIZZZNS0_15exp_kernel_cudaERNS_18TensorIteratorBaseEENKUlvE0_clEvENKUlvE1_clEvEUlN3c104HalfEE_EEvS4_RKT_EUlibE_EEviT1_.has_indirect_call, 0
	.section	.AMDGPU.csdata,"",@progbits
; Kernel info:
; codeLenInByte = 37036
; TotalNumSgprs: 50
; NumVgprs: 14
; NumAgprs: 0
; TotalNumVgprs: 14
; ScratchSize: 0
; MemoryBound: 0
; FloatMode: 240
; IeeeMode: 1
; LDSByteSize: 0 bytes/workgroup (compile time only)
; SGPRBlocks: 6
; VGPRBlocks: 1
; NumSGPRsForWavesPerEU: 50
; NumVGPRsForWavesPerEU: 14
; AccumOffset: 16
; Occupancy: 8
; WaveLimiterHint : 0
; COMPUTE_PGM_RSRC2:SCRATCH_EN: 0
; COMPUTE_PGM_RSRC2:USER_SGPR: 2
; COMPUTE_PGM_RSRC2:TRAP_HANDLER: 0
; COMPUTE_PGM_RSRC2:TGID_X_EN: 1
; COMPUTE_PGM_RSRC2:TGID_Y_EN: 0
; COMPUTE_PGM_RSRC2:TGID_Z_EN: 0
; COMPUTE_PGM_RSRC2:TIDIG_COMP_CNT: 0
; COMPUTE_PGM_RSRC3_GFX90A:ACCUM_OFFSET: 3
; COMPUTE_PGM_RSRC3_GFX90A:TG_SPLIT: 0
	.section	.text._ZN2at6native32elementwise_kernel_manual_unrollILi128ELi4EZNS0_15gpu_kernel_implIZZZNS0_15exp_kernel_cudaERNS_18TensorIteratorBaseEENKUlvE0_clEvENKUlvE1_clEvEUlN3c104HalfEE_EEvS4_RKT_EUlibE0_EEviT1_,"axG",@progbits,_ZN2at6native32elementwise_kernel_manual_unrollILi128ELi4EZNS0_15gpu_kernel_implIZZZNS0_15exp_kernel_cudaERNS_18TensorIteratorBaseEENKUlvE0_clEvENKUlvE1_clEvEUlN3c104HalfEE_EEvS4_RKT_EUlibE0_EEviT1_,comdat
	.globl	_ZN2at6native32elementwise_kernel_manual_unrollILi128ELi4EZNS0_15gpu_kernel_implIZZZNS0_15exp_kernel_cudaERNS_18TensorIteratorBaseEENKUlvE0_clEvENKUlvE1_clEvEUlN3c104HalfEE_EEvS4_RKT_EUlibE0_EEviT1_ ; -- Begin function _ZN2at6native32elementwise_kernel_manual_unrollILi128ELi4EZNS0_15gpu_kernel_implIZZZNS0_15exp_kernel_cudaERNS_18TensorIteratorBaseEENKUlvE0_clEvENKUlvE1_clEvEUlN3c104HalfEE_EEvS4_RKT_EUlibE0_EEviT1_
	.p2align	8
	.type	_ZN2at6native32elementwise_kernel_manual_unrollILi128ELi4EZNS0_15gpu_kernel_implIZZZNS0_15exp_kernel_cudaERNS_18TensorIteratorBaseEENKUlvE0_clEvENKUlvE1_clEvEUlN3c104HalfEE_EEvS4_RKT_EUlibE0_EEviT1_,@function
_ZN2at6native32elementwise_kernel_manual_unrollILi128ELi4EZNS0_15gpu_kernel_implIZZZNS0_15exp_kernel_cudaERNS_18TensorIteratorBaseEENKUlvE0_clEvENKUlvE1_clEvEUlN3c104HalfEE_EEvS4_RKT_EUlibE0_EEviT1_: ; @_ZN2at6native32elementwise_kernel_manual_unrollILi128ELi4EZNS0_15gpu_kernel_implIZZZNS0_15exp_kernel_cudaERNS_18TensorIteratorBaseEENKUlvE0_clEvENKUlvE1_clEvEUlN3c104HalfEE_EEvS4_RKT_EUlibE0_EEviT1_
; %bb.0:
	s_load_dword s70, s[0:1], 0x0
	s_load_dword s33, s[0:1], 0x8
	s_add_u32 s34, s0, 8
	s_addc_u32 s35, s1, 0
	v_lshl_or_b32 v8, s2, 9, v0
	v_or_b32_e32 v16, 0x180, v8
	s_waitcnt lgkmcnt(0)
	s_add_i32 s72, s33, -1
	s_cmp_gt_u32 s72, 1
	v_cmp_le_i32_e32 vcc, s70, v16
	s_cselect_b64 s[42:43], -1, 0
	s_mov_b64 s[40:41], 0
	s_mov_b64 s[24:25], 0
	s_and_saveexec_b64 s[2:3], vcc
	s_xor_b64 s[44:45], exec, s[2:3]
	s_cbranch_execz .LBB97_1090
; %bb.1:
	v_mov_b32_e32 v0, 0
	global_load_ushort v0, v0, s[34:35] offset:345
	s_load_dwordx4 s[28:31], s[34:35], 0x4
	s_load_dwordx2 s[46:47], s[34:35], 0x14
	s_load_dwordx4 s[24:27], s[34:35], 0xc4
	s_load_dwordx4 s[20:23], s[34:35], 0x148
	s_cmp_lg_u32 s33, 0
	s_cselect_b64 s[52:53], -1, 0
	s_add_u32 s50, s34, 0xc4
	s_addc_u32 s51, s35, 0
	s_min_u32 s75, s72, 15
	s_cmp_gt_u32 s33, 1
	s_cselect_b64 s[48:49], -1, 0
	v_cmp_gt_i32_e32 vcc, s70, v8
	s_mov_b64 s[4:5], -1
	s_mov_b64 s[62:63], 0
	s_mov_b64 s[56:57], 0
	;; [unrolled: 1-line block ×3, first 2 shown]
	s_waitcnt vmcnt(0)
	v_readfirstlane_b32 s73, v0
	s_and_b32 s2, 0xffff, s73
	s_lshr_b32 s74, s2, 8
	s_and_saveexec_b64 s[58:59], vcc
	s_cbranch_execz .LBB97_267
; %bb.2:
	s_andn2_b64 vcc, exec, s[42:43]
	s_cbranch_vccnz .LBB97_8
; %bb.3:
	s_andn2_b64 vcc, exec, s[52:53]
	s_cbranch_vccnz .LBB97_9
; %bb.4:
	s_add_i32 s57, s75, 1
	s_cmp_eq_u32 s72, 2
	s_cbranch_scc1 .LBB97_10
; %bb.5:
	s_and_b32 s56, s57, 28
	s_mov_b32 s60, 0
	v_mov_b32_e32 v0, 0
	v_mov_b32_e32 v2, 0
	s_mov_b64 s[2:3], s[34:35]
	s_mov_b64 s[54:55], s[50:51]
	v_mov_b32_e32 v4, v8
.LBB97_6:                               ; =>This Inner Loop Header: Depth=1
	s_load_dwordx8 s[12:19], s[2:3], 0x4
	s_load_dwordx4 s[36:39], s[2:3], 0x24
	s_load_dwordx8 s[4:11], s[54:55], 0x0
	s_add_u32 s2, s2, 48
	s_addc_u32 s3, s3, 0
	s_waitcnt lgkmcnt(0)
	v_mul_hi_u32 v1, s13, v4
	v_add_u32_e32 v1, v4, v1
	v_lshrrev_b32_e32 v1, s14, v1
	v_mul_lo_u32 v3, v1, s12
	v_mul_hi_u32 v5, s16, v1
	v_sub_u32_e32 v3, v4, v3
	v_add_u32_e32 v4, v1, v5
	v_lshrrev_b32_e32 v4, s17, v4
	v_mul_lo_u32 v6, v4, s15
	v_mul_hi_u32 v7, s19, v4
	v_sub_u32_e32 v1, v1, v6
	v_add_u32_e32 v6, v4, v7
	v_mul_lo_u32 v5, v3, s5
	v_mul_lo_u32 v3, v3, s4
	;; [unrolled: 1-line block ×4, first 2 shown]
	v_lshrrev_b32_e32 v6, s36, v6
	v_add3_u32 v0, v3, v0, v1
	v_mul_hi_u32 v3, s38, v6
	v_add3_u32 v1, v5, v2, v7
	v_mul_lo_u32 v2, v6, s18
	v_add_u32_e32 v3, v6, v3
	v_sub_u32_e32 v2, v4, v2
	v_lshrrev_b32_e32 v4, s39, v3
	s_add_i32 s60, s60, 4
	v_mul_lo_u32 v3, v4, s37
	s_add_u32 s54, s54, 32
	v_sub_u32_e32 v3, v6, v3
	s_addc_u32 s55, s55, 0
	v_mul_lo_u32 v5, v2, s8
	v_mul_lo_u32 v2, v2, s9
	;; [unrolled: 1-line block ×4, first 2 shown]
	s_cmp_lg_u32 s56, s60
	v_add3_u32 v2, v2, v1, v3
	v_add3_u32 v0, v5, v0, v6
	s_cbranch_scc1 .LBB97_6
; %bb.7:
	v_mov_b32_e32 v1, v2
	s_branch .LBB97_11
.LBB97_8:
                                        ; implicit-def: $vgpr2
                                        ; implicit-def: $vgpr0
	s_branch .LBB97_15
.LBB97_9:
	v_mov_b32_e32 v2, 0
	v_mov_b32_e32 v0, 0
	s_branch .LBB97_14
.LBB97_10:
	v_mov_b32_e32 v0, 0
	s_mov_b32 s56, 0
	v_mov_b32_e32 v1, v0
                                        ; implicit-def: $vgpr2
	v_mov_b32_e32 v4, v8
.LBB97_11:
	s_and_b32 s6, s57, 3
	s_cmp_eq_u32 s6, 0
	s_cbranch_scc1 .LBB97_14
; %bb.12:
	s_lshl_b32 s2, s56, 3
	s_add_u32 s2, s34, s2
	s_addc_u32 s3, s35, 0
	s_add_u32 s2, s2, 0xc4
	s_addc_u32 s3, s3, 0
	s_mul_i32 s4, s56, 12
	s_add_u32 s4, s34, s4
	s_addc_u32 s5, s35, 0
.LBB97_13:                              ; =>This Inner Loop Header: Depth=1
	s_load_dwordx2 s[8:9], s[4:5], 0x4
	s_load_dword s7, s[4:5], 0xc
	s_load_dwordx2 s[10:11], s[2:3], 0x0
	v_mov_b32_e32 v2, v1
	s_add_u32 s4, s4, 12
	s_waitcnt lgkmcnt(0)
	v_mul_hi_u32 v1, s9, v4
	v_add_u32_e32 v1, v4, v1
	v_lshrrev_b32_e32 v1, s7, v1
	s_addc_u32 s5, s5, 0
	v_mul_lo_u32 v3, v1, s8
	s_add_u32 s2, s2, 8
	v_sub_u32_e32 v5, v4, v3
	s_addc_u32 s3, s3, 0
	s_add_i32 s6, s6, -1
	v_mov_b32_e32 v4, v1
	v_mad_u64_u32 v[2:3], s[8:9], v5, s11, v[2:3]
	v_mad_u64_u32 v[0:1], s[8:9], v5, s10, v[0:1]
	s_cmp_lg_u32 s6, 0
	v_mov_b32_e32 v1, v2
	s_cbranch_scc1 .LBB97_13
.LBB97_14:
	s_cbranch_execnz .LBB97_17
.LBB97_15:
	s_waitcnt lgkmcnt(0)
	v_mul_hi_u32 v0, s29, v8
	v_add_u32_e32 v0, v8, v0
	v_lshrrev_b32_e32 v1, s30, v0
	v_mul_lo_u32 v0, v1, s28
	v_sub_u32_e32 v0, v8, v0
	v_mul_lo_u32 v2, v0, s25
	s_andn2_b64 vcc, exec, s[48:49]
	v_mul_lo_u32 v0, v0, s24
	s_cbranch_vccnz .LBB97_17
; %bb.16:
	v_mul_hi_u32 v3, s46, v1
	v_add_u32_e32 v3, v1, v3
	v_lshrrev_b32_e32 v3, s47, v3
	v_mul_lo_u32 v3, v3, s31
	v_sub_u32_e32 v3, v1, v3
	v_mad_u64_u32 v[0:1], s[2:3], v3, s26, v[0:1]
	v_mad_u64_u32 v[2:3], s[2:3], v3, s27, v[2:3]
.LBB97_17:
	v_mov_b32_e32 v3, 0
	s_and_b32 s10, 0xffff, s74
	s_cmp_lt_i32 s10, 11
	s_waitcnt lgkmcnt(0)
	v_lshl_add_u64 v[2:3], s[22:23], 0, v[2:3]
	s_cbranch_scc1 .LBB97_24
; %bb.18:
	s_cmp_gt_i32 s10, 25
	s_cbranch_scc0 .LBB97_33
; %bb.19:
	s_cmp_gt_i32 s10, 28
	s_cbranch_scc0 .LBB97_36
; %bb.20:
	s_cmp_gt_i32 s10, 43
	s_cbranch_scc0 .LBB97_38
; %bb.21:
	s_cmp_gt_i32 s10, 45
	s_cbranch_scc0 .LBB97_40
; %bb.22:
	s_cmp_eq_u32 s10, 46
	s_mov_b64 s[6:7], 0
	s_cbranch_scc0 .LBB97_42
; %bb.23:
	global_load_dword v1, v[2:3], off
	s_mov_b64 s[2:3], -1
	s_mov_b64 s[4:5], 0
	s_waitcnt vmcnt(0)
	v_lshlrev_b32_e32 v1, 16, v1
	v_cvt_f16_f32_e32 v1, v1
	s_branch .LBB97_44
.LBB97_24:
	s_mov_b64 s[4:5], 0
                                        ; implicit-def: $vgpr1
	s_mov_b64 s[2:3], 0
	s_cbranch_execnz .LBB97_217
.LBB97_25:
	s_andn2_b64 vcc, exec, s[2:3]
	s_cbranch_vccnz .LBB97_264
.LBB97_26:
	s_waitcnt vmcnt(0)
	v_cvt_f32_f16_e32 v2, v1
	s_mov_b32 s2, 0x3fb8aa3b
	s_mov_b32 s3, 0x32a5705f
	s_and_b32 s12, s73, 0xff
	v_mul_f32_e32 v3, 0x3fb8aa3b, v2
	v_rndne_f32_e32 v4, v3
	v_fma_mix_f32 v5, v1, s2, -v3 op_sel_hi:[1,0,0]
	v_sub_f32_e32 v3, v3, v4
	v_fma_mix_f32 v1, v1, s3, v5 op_sel_hi:[1,0,0]
	s_mov_b32 s2, 0xc2ce8ed0
	v_add_f32_e32 v1, v3, v1
	v_cvt_i32_f32_e32 v3, v4
	v_exp_f32_e32 v1, v1
	v_cmp_ngt_f32_e32 vcc, s2, v2
	s_mov_b32 s2, 0x42b17218
	s_cmp_lt_i32 s12, 11
	v_ldexp_f32 v1, v1, v3
	v_cndmask_b32_e32 v1, 0, v1, vcc
	v_mov_b32_e32 v3, 0x7f800000
	v_cmp_nlt_f32_e32 vcc, s2, v2
	s_nop 1
	v_cndmask_b32_e32 v1, v3, v1, vcc
	v_cvt_f16_f32_e32 v2, v1
	v_mov_b32_e32 v1, 0
	v_lshl_add_u64 v[0:1], s[20:21], 0, v[0:1]
	s_cbranch_scc1 .LBB97_34
; %bb.27:
	s_and_b32 s13, 0xffff, s12
	s_cmp_gt_i32 s13, 25
	s_cbranch_scc0 .LBB97_37
; %bb.28:
	s_cmp_gt_i32 s13, 28
	s_cbranch_scc0 .LBB97_39
; %bb.29:
	;; [unrolled: 3-line block ×4, first 2 shown]
	s_mov_b64 s[8:9], 0
	s_mov_b64 s[2:3], -1
	s_cmp_eq_u32 s13, 46
	s_mov_b64 s[6:7], 0
	s_cbranch_scc0 .LBB97_48
; %bb.32:
	v_cvt_f32_f16_e32 v3, v2
	s_movk_i32 s2, 0x7fff
	v_cmp_o_f16_e32 vcc, v2, v2
	v_mov_b32_e32 v4, 0x7fc0
	v_bfe_u32 v5, v3, 16, 1
	v_add3_u32 v3, v3, v5, s2
	v_cndmask_b32_sdwa v3, v4, v3, vcc dst_sel:DWORD dst_unused:UNUSED_PAD src0_sel:DWORD src1_sel:WORD_1
	global_store_dword v[0:1], v3, off
	s_mov_b64 s[6:7], -1
	s_mov_b64 s[2:3], 0
	s_branch .LBB97_48
.LBB97_33:
	s_mov_b64 s[4:5], 0
	s_mov_b64 s[2:3], 0
                                        ; implicit-def: $vgpr1
	s_cbranch_execnz .LBB97_182
	s_branch .LBB97_216
.LBB97_34:
	s_mov_b64 s[2:3], 0
	s_mov_b64 s[6:7], 0
	s_cbranch_execnz .LBB97_117
.LBB97_35:
	s_andn2_b64 vcc, exec, s[6:7]
	s_cbranch_vccnz .LBB97_265
	s_branch .LBB97_155
.LBB97_36:
	s_mov_b64 s[6:7], -1
	s_mov_b64 s[4:5], 0
	s_mov_b64 s[2:3], 0
                                        ; implicit-def: $vgpr1
	s_branch .LBB97_163
.LBB97_37:
	s_mov_b64 s[8:9], -1
	s_mov_b64 s[2:3], 0
	s_mov_b64 s[6:7], 0
	s_branch .LBB97_75
.LBB97_38:
	s_mov_b64 s[6:7], -1
	s_mov_b64 s[4:5], 0
	s_mov_b64 s[2:3], 0
                                        ; implicit-def: $vgpr1
	s_branch .LBB97_158
.LBB97_39:
	s_mov_b64 s[8:9], -1
	s_mov_b64 s[2:3], 0
	s_mov_b64 s[6:7], 0
	s_branch .LBB97_58
.LBB97_40:
	s_mov_b64 s[6:7], -1
	s_mov_b64 s[4:5], 0
	s_branch .LBB97_43
.LBB97_41:
	s_mov_b64 s[8:9], -1
	s_mov_b64 s[2:3], 0
	s_mov_b64 s[6:7], 0
	s_branch .LBB97_54
.LBB97_42:
	s_mov_b64 s[4:5], -1
.LBB97_43:
	s_mov_b64 s[2:3], 0
                                        ; implicit-def: $vgpr1
.LBB97_44:
	s_and_b64 vcc, exec, s[6:7]
	s_cbranch_vccz .LBB97_157
; %bb.45:
	s_cmp_eq_u32 s10, 44
	s_cbranch_scc0 .LBB97_156
; %bb.46:
	global_load_ubyte v1, v[2:3], off
	s_movk_i32 s4, 0xff
	v_mov_b32_e32 v5, 0x7e00
	s_mov_b64 s[2:3], -1
	s_waitcnt vmcnt(0)
	v_lshlrev_b32_e32 v4, 23, v1
	v_cvt_f16_f32_e32 v4, v4
	v_cmp_ne_u32_e32 vcc, s4, v1
	s_mov_b64 s[4:5], 0
	s_nop 0
	v_cndmask_b32_e32 v4, v5, v4, vcc
	v_cmp_ne_u32_e32 vcc, 0, v1
	s_nop 1
	v_cndmask_b32_e32 v1, 0, v4, vcc
	s_branch .LBB97_157
.LBB97_47:
	s_mov_b64 s[8:9], -1
	s_mov_b64 s[2:3], 0
	s_mov_b64 s[6:7], 0
.LBB97_48:
	s_and_b64 vcc, exec, s[8:9]
	s_cbranch_vccz .LBB97_53
; %bb.49:
	s_cmp_eq_u32 s13, 44
	s_mov_b64 s[2:3], -1
	s_cbranch_scc0 .LBB97_53
; %bb.50:
	v_cvt_f32_f16_e32 v3, v2
	s_movk_i32 s2, 0xff
	v_mov_b32_e32 v5, 0xff
	v_bfe_u32 v4, v3, 23, 8
	v_cmp_ne_u32_e32 vcc, s2, v4
	s_and_saveexec_b64 s[6:7], vcc
; %bb.51:
	s_mov_b32 s2, 0x3fffff
	v_lshrrev_b32_e32 v5, 23, v3
	v_and_b32_e32 v6, 0x400000, v3
	v_and_or_b32 v3, v3, s2, v4
	v_cmp_ne_u32_e32 vcc, 0, v6
	v_cmp_ne_u32_e64 s[2:3], 0, v3
	s_and_b64 s[2:3], vcc, s[2:3]
	s_nop 0
	v_cndmask_b32_e64 v3, 0, 1, s[2:3]
	v_add_u32_e32 v5, v5, v3
; %bb.52:
	s_or_b64 exec, exec, s[6:7]
	s_mov_b64 s[6:7], -1
	s_mov_b64 s[2:3], 0
	global_store_byte v[0:1], v5, off
.LBB97_53:
	s_mov_b64 s[8:9], 0
.LBB97_54:
	s_and_b64 vcc, exec, s[8:9]
	s_cbranch_vccz .LBB97_57
; %bb.55:
	s_cmp_eq_u32 s13, 29
	s_mov_b64 s[2:3], -1
	s_cbranch_scc0 .LBB97_57
; %bb.56:
	v_cvt_f32_f16_e32 v3, v2
	v_mov_b32_e32 v5, 0
	s_mov_b64 s[6:7], -1
	s_mov_b64 s[2:3], 0
	v_cvt_u32_f32_e32 v4, v3
	s_mov_b64 s[8:9], 0
	global_store_dwordx2 v[0:1], v[4:5], off
	s_branch .LBB97_58
.LBB97_57:
	s_mov_b64 s[8:9], 0
.LBB97_58:
	s_and_b64 vcc, exec, s[8:9]
	s_cbranch_vccz .LBB97_74
; %bb.59:
	s_cmp_lt_i32 s13, 27
	s_mov_b64 s[6:7], -1
	s_cbranch_scc1 .LBB97_65
; %bb.60:
	s_cmp_gt_i32 s13, 27
	s_cbranch_scc0 .LBB97_62
; %bb.61:
	v_cvt_f32_f16_e32 v3, v2
	s_mov_b64 s[6:7], 0
	v_cvt_u32_f32_e32 v3, v3
	global_store_dword v[0:1], v3, off
.LBB97_62:
	s_andn2_b64 vcc, exec, s[6:7]
	s_cbranch_vccnz .LBB97_64
; %bb.63:
	v_cvt_u16_f16_e32 v3, v2
	global_store_short v[0:1], v3, off
.LBB97_64:
	s_mov_b64 s[6:7], 0
.LBB97_65:
	s_andn2_b64 vcc, exec, s[6:7]
	s_cbranch_vccnz .LBB97_73
; %bb.66:
	v_cvt_f32_f16_e32 v3, v2
	s_mov_b32 s6, 0x43800000
	v_mov_b32_e32 v5, 0x80
	v_and_b32_e32 v4, 0x7fffffff, v3
	v_cmp_gt_u32_e32 vcc, s6, v4
	s_and_saveexec_b64 s[6:7], vcc
	s_cbranch_execz .LBB97_72
; %bb.67:
	s_mov_b32 s8, 0x3bffffff
	v_cmp_lt_u32_e32 vcc, s8, v4
	s_mov_b64 s[8:9], 0
                                        ; implicit-def: $vgpr4
	s_and_saveexec_b64 s[10:11], vcc
	s_xor_b64 s[10:11], exec, s[10:11]
	s_cbranch_execz .LBB97_309
; %bb.68:
	v_bfe_u32 v4, v3, 20, 1
	s_mov_b32 s14, 0x487ffff
	v_add3_u32 v4, v3, v4, s14
	s_mov_b64 s[8:9], exec
	v_lshrrev_b32_e32 v4, 20, v4
	s_andn2_saveexec_b64 s[10:11], s[10:11]
	s_cbranch_execnz .LBB97_310
.LBB97_69:
	s_or_b64 exec, exec, s[10:11]
	v_mov_b32_e32 v5, 0
	s_and_saveexec_b64 s[10:11], s[8:9]
.LBB97_70:
	v_lshrrev_b32_e32 v3, 24, v3
	s_movk_i32 s8, 0x80
	v_and_or_b32 v5, v3, s8, v4
.LBB97_71:
	s_or_b64 exec, exec, s[10:11]
.LBB97_72:
	s_or_b64 exec, exec, s[6:7]
	global_store_byte v[0:1], v5, off
.LBB97_73:
	s_mov_b64 s[6:7], -1
.LBB97_74:
	s_mov_b64 s[8:9], 0
.LBB97_75:
	s_and_b64 vcc, exec, s[8:9]
	s_cbranch_vccz .LBB97_116
; %bb.76:
	s_cmp_gt_i32 s13, 22
	s_mov_b64 s[8:9], -1
	s_cbranch_scc0 .LBB97_108
; %bb.77:
	s_cmp_lt_i32 s13, 24
	s_mov_b64 s[6:7], -1
	s_cbranch_scc1 .LBB97_97
; %bb.78:
	s_cmp_gt_i32 s13, 24
	s_cbranch_scc0 .LBB97_86
; %bb.79:
	v_cvt_f32_f16_e32 v3, v2
	s_mov_b32 s6, 0x47800000
	v_mov_b32_e32 v5, 0x80
	v_and_b32_e32 v4, 0x7fffffff, v3
	v_cmp_gt_u32_e32 vcc, s6, v4
	s_and_saveexec_b64 s[6:7], vcc
	s_cbranch_execz .LBB97_85
; %bb.80:
	s_mov_b32 s8, 0x37ffffff
	v_cmp_lt_u32_e32 vcc, s8, v4
	s_mov_b64 s[8:9], 0
                                        ; implicit-def: $vgpr4
	s_and_saveexec_b64 s[10:11], vcc
	s_xor_b64 s[10:11], exec, s[10:11]
	s_cbranch_execz .LBB97_313
; %bb.81:
	v_bfe_u32 v4, v3, 21, 1
	s_mov_b32 s14, 0x88fffff
	v_add3_u32 v4, v3, v4, s14
	s_mov_b64 s[8:9], exec
	v_lshrrev_b32_e32 v4, 21, v4
	s_andn2_saveexec_b64 s[10:11], s[10:11]
	s_cbranch_execnz .LBB97_314
.LBB97_82:
	s_or_b64 exec, exec, s[10:11]
	v_mov_b32_e32 v5, 0
	s_and_saveexec_b64 s[10:11], s[8:9]
.LBB97_83:
	v_lshrrev_b32_e32 v3, 24, v3
	s_movk_i32 s8, 0x80
	v_and_or_b32 v5, v3, s8, v4
.LBB97_84:
	s_or_b64 exec, exec, s[10:11]
.LBB97_85:
	s_or_b64 exec, exec, s[6:7]
	s_mov_b64 s[6:7], 0
	global_store_byte v[0:1], v5, off
.LBB97_86:
	s_and_b64 vcc, exec, s[6:7]
	s_cbranch_vccz .LBB97_96
; %bb.87:
	v_cvt_f32_f16_e32 v3, v2
	s_mov_b32 s6, 0x43f00000
                                        ; implicit-def: $vgpr4
	v_and_b32_e32 v5, 0x7fffffff, v3
	v_cmp_gt_u32_e32 vcc, s6, v5
	s_and_saveexec_b64 s[6:7], vcc
	s_xor_b64 s[6:7], exec, s[6:7]
	s_cbranch_execz .LBB97_93
; %bb.88:
	s_mov_b32 s8, 0x3c7fffff
	v_cmp_lt_u32_e32 vcc, s8, v5
                                        ; implicit-def: $vgpr4
	s_and_saveexec_b64 s[8:9], vcc
	s_xor_b64 s[8:9], exec, s[8:9]
; %bb.89:
	v_bfe_u32 v4, v3, 20, 1
	s_mov_b32 s10, 0x407ffff
	v_add3_u32 v4, v3, v4, s10
	v_lshrrev_b32_e32 v5, 20, v4
	v_and_b32_e32 v4, 0xff00000, v4
	s_mov_b32 s10, 0x7f00000
	v_mov_b32_e32 v6, 0x7e
	v_cmp_ne_u32_e32 vcc, s10, v4
	s_nop 1
	v_cndmask_b32_e32 v4, v6, v5, vcc
; %bb.90:
	s_andn2_saveexec_b64 s[8:9], s[8:9]
; %bb.91:
	s_mov_b32 s10, 0x46800000
	v_add_f32_e64 v4, |v3|, s10
; %bb.92:
	s_or_b64 exec, exec, s[8:9]
                                        ; implicit-def: $vgpr5
.LBB97_93:
	s_andn2_saveexec_b64 s[6:7], s[6:7]
; %bb.94:
	s_mov_b32 s8, 0x7f800000
	v_mov_b32_e32 v4, 0x7e
	v_mov_b32_e32 v6, 0x7f
	v_cmp_lt_u32_e32 vcc, s8, v5
	s_nop 1
	v_cndmask_b32_e32 v4, v4, v6, vcc
; %bb.95:
	s_or_b64 exec, exec, s[6:7]
	v_lshrrev_b32_e32 v3, 24, v3
	s_movk_i32 s6, 0x80
	v_and_or_b32 v3, v3, s6, v4
	global_store_byte v[0:1], v3, off
.LBB97_96:
	s_mov_b64 s[6:7], 0
.LBB97_97:
	s_andn2_b64 vcc, exec, s[6:7]
	s_cbranch_vccnz .LBB97_107
; %bb.98:
	v_cvt_f32_f16_e32 v3, v2
	s_mov_b32 s6, 0x47800000
                                        ; implicit-def: $vgpr4
	v_and_b32_e32 v5, 0x7fffffff, v3
	v_cmp_gt_u32_e32 vcc, s6, v5
	s_and_saveexec_b64 s[6:7], vcc
	s_xor_b64 s[6:7], exec, s[6:7]
	s_cbranch_execz .LBB97_104
; %bb.99:
	s_mov_b32 s8, 0x387fffff
	v_cmp_lt_u32_e32 vcc, s8, v5
                                        ; implicit-def: $vgpr4
	s_and_saveexec_b64 s[8:9], vcc
	s_xor_b64 s[8:9], exec, s[8:9]
; %bb.100:
	v_bfe_u32 v4, v3, 21, 1
	s_mov_b32 s10, 0x80fffff
	v_add3_u32 v4, v3, v4, s10
	v_lshrrev_b32_e32 v4, 21, v4
; %bb.101:
	s_andn2_saveexec_b64 s[8:9], s[8:9]
; %bb.102:
	s_mov_b32 s10, 0x43000000
	v_add_f32_e64 v4, |v3|, s10
; %bb.103:
	s_or_b64 exec, exec, s[8:9]
                                        ; implicit-def: $vgpr5
.LBB97_104:
	s_andn2_saveexec_b64 s[6:7], s[6:7]
; %bb.105:
	s_mov_b32 s8, 0x7f800000
	v_mov_b32_e32 v4, 0x7c
	v_mov_b32_e32 v6, 0x7f
	v_cmp_lt_u32_e32 vcc, s8, v5
	s_nop 1
	v_cndmask_b32_e32 v4, v4, v6, vcc
; %bb.106:
	s_or_b64 exec, exec, s[6:7]
	v_lshrrev_b32_e32 v3, 24, v3
	s_movk_i32 s6, 0x80
	v_and_or_b32 v3, v3, s6, v4
	global_store_byte v[0:1], v3, off
.LBB97_107:
	s_mov_b64 s[8:9], 0
	s_mov_b64 s[6:7], -1
.LBB97_108:
	s_andn2_b64 vcc, exec, s[8:9]
	s_cbranch_vccnz .LBB97_116
; %bb.109:
	s_cmp_gt_i32 s13, 14
	s_mov_b64 s[8:9], -1
	s_cbranch_scc0 .LBB97_113
; %bb.110:
	s_cmp_eq_u32 s13, 15
	s_mov_b64 s[2:3], -1
	s_cbranch_scc0 .LBB97_112
; %bb.111:
	v_cvt_f32_f16_e32 v3, v2
	s_movk_i32 s2, 0x7fff
	v_cmp_o_f16_e32 vcc, v2, v2
	v_mov_b32_e32 v4, 0x7fc0
	v_bfe_u32 v5, v3, 16, 1
	v_add3_u32 v3, v3, v5, s2
	v_cndmask_b32_sdwa v3, v4, v3, vcc dst_sel:DWORD dst_unused:UNUSED_PAD src0_sel:DWORD src1_sel:WORD_1
	global_store_short v[0:1], v3, off
	s_mov_b64 s[6:7], -1
	s_mov_b64 s[2:3], 0
.LBB97_112:
	s_mov_b64 s[8:9], 0
.LBB97_113:
	s_and_b64 vcc, exec, s[8:9]
	s_cbranch_vccz .LBB97_116
; %bb.114:
	s_cmp_eq_u32 s13, 11
	s_mov_b64 s[2:3], -1
	s_cbranch_scc0 .LBB97_116
; %bb.115:
	v_cmp_neq_f16_e32 vcc, 0, v2
	s_mov_b64 s[6:7], -1
	s_mov_b64 s[2:3], 0
	v_cndmask_b32_e64 v3, 0, 1, vcc
	global_store_byte v[0:1], v3, off
.LBB97_116:
	s_branch .LBB97_35
.LBB97_117:
	s_and_b32 s8, 0xffff, s12
	s_cmp_lt_i32 s8, 5
	s_mov_b64 s[6:7], -1
	s_cbranch_scc1 .LBB97_138
; %bb.118:
	s_cmp_lt_i32 s8, 8
	s_cbranch_scc1 .LBB97_128
; %bb.119:
	s_cmp_lt_i32 s8, 9
	s_cbranch_scc1 .LBB97_125
; %bb.120:
	s_cmp_gt_i32 s8, 9
	s_cbranch_scc0 .LBB97_122
; %bb.121:
	v_cvt_f32_f16_e32 v3, v2
	v_mov_b32_e32 v6, 0
	v_mov_b32_e32 v7, v6
	s_mov_b64 s[6:7], 0
	v_cvt_f64_f32_e32 v[4:5], v3
	global_store_dwordx4 v[0:1], v[4:7], off
.LBB97_122:
	s_andn2_b64 vcc, exec, s[6:7]
	s_cbranch_vccnz .LBB97_124
; %bb.123:
	v_cvt_f32_f16_e32 v4, v2
	v_mov_b32_e32 v5, 0
	global_store_dwordx2 v[0:1], v[4:5], off
.LBB97_124:
	s_mov_b64 s[6:7], 0
.LBB97_125:
	s_andn2_b64 vcc, exec, s[6:7]
	s_cbranch_vccnz .LBB97_127
; %bb.126:
	global_store_dword v[0:1], v2, off
.LBB97_127:
	s_mov_b64 s[6:7], 0
.LBB97_128:
	s_andn2_b64 vcc, exec, s[6:7]
	s_cbranch_vccnz .LBB97_137
; %bb.129:
	s_cmp_lt_i32 s8, 6
	s_mov_b64 s[6:7], -1
	s_cbranch_scc1 .LBB97_135
; %bb.130:
	s_cmp_gt_i32 s8, 6
	s_cbranch_scc0 .LBB97_132
; %bb.131:
	v_cvt_f32_f16_e32 v3, v2
	s_mov_b64 s[6:7], 0
	v_cvt_f64_f32_e32 v[4:5], v3
	global_store_dwordx2 v[0:1], v[4:5], off
.LBB97_132:
	s_andn2_b64 vcc, exec, s[6:7]
	s_cbranch_vccnz .LBB97_134
; %bb.133:
	v_cvt_f32_f16_e32 v3, v2
	global_store_dword v[0:1], v3, off
.LBB97_134:
	s_mov_b64 s[6:7], 0
.LBB97_135:
	s_andn2_b64 vcc, exec, s[6:7]
	s_cbranch_vccnz .LBB97_137
; %bb.136:
	global_store_short v[0:1], v2, off
.LBB97_137:
	s_mov_b64 s[6:7], 0
.LBB97_138:
	s_andn2_b64 vcc, exec, s[6:7]
	s_cbranch_vccnz .LBB97_154
; %bb.139:
	s_cmp_lt_i32 s8, 2
	s_mov_b64 s[6:7], -1
	s_cbranch_scc1 .LBB97_149
; %bb.140:
	s_cmp_lt_i32 s8, 3
	s_cbranch_scc1 .LBB97_146
; %bb.141:
	s_cmp_gt_i32 s8, 3
	s_cbranch_scc0 .LBB97_143
; %bb.142:
	v_cvt_f32_f16_e32 v3, v2
	s_mov_b64 s[6:7], 0
	v_cvt_i32_f32_e32 v4, v3
	v_ashrrev_i32_e32 v5, 31, v4
	global_store_dwordx2 v[0:1], v[4:5], off
.LBB97_143:
	s_andn2_b64 vcc, exec, s[6:7]
	s_cbranch_vccnz .LBB97_145
; %bb.144:
	v_cvt_f32_f16_e32 v3, v2
	v_cvt_i32_f32_e32 v3, v3
	global_store_dword v[0:1], v3, off
.LBB97_145:
	s_mov_b64 s[6:7], 0
.LBB97_146:
	s_andn2_b64 vcc, exec, s[6:7]
	s_cbranch_vccnz .LBB97_148
; %bb.147:
	v_cvt_i16_f16_e32 v3, v2
	global_store_short v[0:1], v3, off
.LBB97_148:
	s_mov_b64 s[6:7], 0
.LBB97_149:
	s_andn2_b64 vcc, exec, s[6:7]
	s_cbranch_vccnz .LBB97_154
; %bb.150:
	s_cmp_gt_i32 s8, 0
	s_mov_b64 s[6:7], -1
	s_cbranch_scc0 .LBB97_152
; %bb.151:
	v_cvt_i16_f16_e32 v3, v2
	global_store_byte v[0:1], v3, off
	s_mov_b64 s[6:7], 0
.LBB97_152:
	s_andn2_b64 vcc, exec, s[6:7]
	s_cbranch_vccnz .LBB97_154
; %bb.153:
	v_cvt_f32_f16_e32 v2, v2
	v_cvt_i32_f32_e32 v2, v2
	global_store_byte v[0:1], v2, off
.LBB97_154:
.LBB97_155:
	v_add_u32_e32 v8, 0x80, v8
	s_mov_b64 s[6:7], -1
	s_branch .LBB97_266
.LBB97_156:
	s_mov_b64 s[4:5], -1
                                        ; implicit-def: $vgpr1
.LBB97_157:
	s_mov_b64 s[6:7], 0
.LBB97_158:
	s_and_b64 vcc, exec, s[6:7]
	s_cbranch_vccz .LBB97_162
; %bb.159:
	s_cmp_eq_u32 s10, 29
	s_cbranch_scc0 .LBB97_161
; %bb.160:
	global_load_dwordx2 v[4:5], v[2:3], off
	s_mov_b64 s[2:3], -1
	s_mov_b64 s[4:5], 0
	s_mov_b64 s[6:7], 0
	s_waitcnt vmcnt(0)
	v_ffbh_u32_e32 v1, v5
	v_min_u32_e32 v1, 32, v1
	v_lshlrev_b64 v[4:5], v1, v[4:5]
	v_min_u32_e32 v4, 1, v4
	v_or_b32_e32 v4, v5, v4
	v_cvt_f32_u32_e32 v4, v4
	v_sub_u32_e32 v1, 32, v1
	v_ldexp_f32 v1, v4, v1
	v_cvt_f16_f32_e32 v1, v1
	s_branch .LBB97_163
.LBB97_161:
	s_mov_b64 s[4:5], -1
                                        ; implicit-def: $vgpr1
.LBB97_162:
	s_mov_b64 s[6:7], 0
.LBB97_163:
	s_and_b64 vcc, exec, s[6:7]
	s_cbranch_vccz .LBB97_181
; %bb.164:
	s_cmp_lt_i32 s10, 27
	s_cbranch_scc1 .LBB97_167
; %bb.165:
	s_cmp_gt_i32 s10, 27
	s_cbranch_scc0 .LBB97_168
; %bb.166:
	global_load_dword v1, v[2:3], off
	s_mov_b64 s[2:3], 0
	s_waitcnt vmcnt(0)
	v_cvt_f32_u32_e32 v1, v1
	v_cvt_f16_f32_e32 v1, v1
	s_branch .LBB97_169
.LBB97_167:
	s_mov_b64 s[2:3], -1
                                        ; implicit-def: $vgpr1
	s_branch .LBB97_172
.LBB97_168:
	s_mov_b64 s[2:3], -1
                                        ; implicit-def: $vgpr1
.LBB97_169:
	s_andn2_b64 vcc, exec, s[2:3]
	s_cbranch_vccnz .LBB97_171
; %bb.170:
	global_load_ushort v1, v[2:3], off
	s_waitcnt vmcnt(0)
	v_cvt_f16_u16_e32 v1, v1
.LBB97_171:
	s_mov_b64 s[2:3], 0
.LBB97_172:
	s_andn2_b64 vcc, exec, s[2:3]
	s_cbranch_vccnz .LBB97_180
; %bb.173:
	global_load_ubyte v4, v[2:3], off
	s_movk_i32 s2, 0x7f
	s_waitcnt vmcnt(0)
	v_cmp_lt_i16_e32 vcc, s2, v4
	s_mov_b64 s[2:3], 0
	s_and_saveexec_b64 s[6:7], vcc
	s_xor_b64 s[6:7], exec, s[6:7]
	s_cbranch_execz .LBB97_193
; %bb.174:
	s_movk_i32 s2, 0x80
	v_cmp_eq_u16_e32 vcc, s2, v4
	s_mov_b64 s[2:3], -1
	s_and_saveexec_b64 s[8:9], vcc
; %bb.175:
	s_xor_b64 s[2:3], exec, -1
; %bb.176:
	s_or_b64 exec, exec, s[8:9]
	s_and_b64 s[2:3], s[2:3], exec
	s_or_saveexec_b64 s[6:7], s[6:7]
	v_mov_b32_e32 v1, 0x7e00
	s_xor_b64 exec, exec, s[6:7]
	s_cbranch_execnz .LBB97_194
.LBB97_177:
	s_or_b64 exec, exec, s[6:7]
	s_and_saveexec_b64 s[6:7], s[2:3]
	s_cbranch_execz .LBB97_179
.LBB97_178:
	v_lshlrev_b32_e32 v1, 24, v4
	v_and_b32_e32 v4, 0xffff, v4
	v_and_b32_e32 v5, 7, v4
	v_ffbh_u32_e32 v7, v5
	v_min_u32_e32 v7, 32, v7
	v_subrev_u32_e32 v9, 28, v7
	v_bfe_u32 v6, v4, 3, 4
	v_lshlrev_b32_e32 v4, v9, v4
	v_sub_u32_e32 v7, 29, v7
	v_and_b32_e32 v4, 7, v4
	v_cmp_eq_u32_e32 vcc, 0, v6
	v_and_b32_e32 v1, 0x80000000, v1
	s_nop 0
	v_cndmask_b32_e32 v6, v6, v7, vcc
	v_cndmask_b32_e32 v4, v5, v4, vcc
	v_mov_b32_e32 v5, 0x3b800000
	v_lshlrev_b32_e32 v4, 20, v4
	v_lshl_add_u32 v5, v6, 23, v5
	v_or3_b32 v1, v1, v5, v4
	v_cvt_f16_f32_e32 v1, v1
.LBB97_179:
	s_or_b64 exec, exec, s[6:7]
.LBB97_180:
	s_mov_b64 s[2:3], -1
.LBB97_181:
	s_branch .LBB97_216
.LBB97_182:
	s_cmp_gt_i32 s10, 22
	s_cbranch_scc0 .LBB97_192
; %bb.183:
	s_cmp_lt_i32 s10, 24
	s_cbranch_scc1 .LBB97_195
; %bb.184:
	s_cmp_gt_i32 s10, 24
	s_cbranch_scc0 .LBB97_196
; %bb.185:
	global_load_ubyte v4, v[2:3], off
	s_movk_i32 s2, 0x7f
	s_waitcnt vmcnt(0)
	v_cmp_lt_i16_e32 vcc, s2, v4
	s_mov_b64 s[2:3], 0
	s_and_saveexec_b64 s[6:7], vcc
	s_xor_b64 s[6:7], exec, s[6:7]
	s_cbranch_execz .LBB97_208
; %bb.186:
	s_movk_i32 s2, 0x80
	v_cmp_eq_u16_e32 vcc, s2, v4
	s_mov_b64 s[2:3], -1
	s_and_saveexec_b64 s[8:9], vcc
; %bb.187:
	s_xor_b64 s[2:3], exec, -1
; %bb.188:
	s_or_b64 exec, exec, s[8:9]
	s_and_b64 s[2:3], s[2:3], exec
	s_or_saveexec_b64 s[6:7], s[6:7]
	v_mov_b32_e32 v1, 0x7e00
	s_xor_b64 exec, exec, s[6:7]
	s_cbranch_execnz .LBB97_209
.LBB97_189:
	s_or_b64 exec, exec, s[6:7]
	s_and_saveexec_b64 s[6:7], s[2:3]
	s_cbranch_execz .LBB97_191
.LBB97_190:
	v_lshlrev_b32_e32 v1, 24, v4
	v_and_b32_e32 v4, 0xffff, v4
	v_and_b32_e32 v5, 3, v4
	v_ffbh_u32_e32 v7, v5
	v_min_u32_e32 v7, 32, v7
	v_subrev_u32_e32 v9, 29, v7
	v_bfe_u32 v6, v4, 2, 5
	v_lshlrev_b32_e32 v4, v9, v4
	v_sub_u32_e32 v7, 30, v7
	v_and_b32_e32 v4, 3, v4
	v_cmp_eq_u32_e32 vcc, 0, v6
	v_and_b32_e32 v1, 0x80000000, v1
	s_nop 0
	v_cndmask_b32_e32 v6, v6, v7, vcc
	v_cndmask_b32_e32 v4, v5, v4, vcc
	v_mov_b32_e32 v5, 0x37800000
	v_lshlrev_b32_e32 v4, 21, v4
	v_lshl_add_u32 v5, v6, 23, v5
	v_or3_b32 v1, v1, v5, v4
	v_cvt_f16_f32_e32 v1, v1
.LBB97_191:
	s_or_b64 exec, exec, s[6:7]
	s_mov_b64 s[2:3], 0
	s_branch .LBB97_197
.LBB97_192:
	s_mov_b64 s[6:7], -1
                                        ; implicit-def: $vgpr1
	s_branch .LBB97_203
.LBB97_193:
	s_or_saveexec_b64 s[6:7], s[6:7]
	v_mov_b32_e32 v1, 0x7e00
	s_xor_b64 exec, exec, s[6:7]
	s_cbranch_execz .LBB97_177
.LBB97_194:
	v_cmp_ne_u16_e32 vcc, 0, v4
	s_andn2_b64 s[2:3], s[2:3], exec
	s_and_b64 s[8:9], vcc, exec
	s_or_b64 s[2:3], s[2:3], s[8:9]
	v_mov_b32_e32 v1, v4
	s_or_b64 exec, exec, s[6:7]
	s_and_saveexec_b64 s[6:7], s[2:3]
	s_cbranch_execnz .LBB97_178
	s_branch .LBB97_179
.LBB97_195:
	s_mov_b64 s[2:3], -1
                                        ; implicit-def: $vgpr1
	s_branch .LBB97_200
.LBB97_196:
	s_mov_b64 s[2:3], -1
                                        ; implicit-def: $vgpr1
.LBB97_197:
	s_and_b64 vcc, exec, s[2:3]
	s_cbranch_vccz .LBB97_199
; %bb.198:
	global_load_ubyte v1, v[2:3], off
	s_mov_b32 s2, 0x7f800000
	s_waitcnt vmcnt(0)
	v_lshlrev_b32_e32 v1, 24, v1
	v_and_b32_e32 v4, 0x7f000000, v1
	v_ffbh_u32_e32 v5, v4
	v_min_u32_e32 v5, 32, v5
	v_sub_u32_e64 v5, v5, 4 clamp
	v_lshlrev_b32_e32 v7, v5, v4
	v_lshlrev_b32_e32 v5, 23, v5
	v_lshrrev_b32_e32 v7, 4, v7
	v_add_u32_e32 v6, 0x1000000, v4
	v_sub_u32_e32 v5, v7, v5
	v_ashrrev_i32_e32 v6, 8, v6
	v_add_u32_e32 v5, 0x3c000000, v5
	v_and_or_b32 v5, v6, s2, v5
	v_cmp_ne_u32_e32 vcc, 0, v4
	s_brev_b32 s2, 1
	s_nop 0
	v_cndmask_b32_e32 v4, 0, v5, vcc
	v_and_or_b32 v1, v1, s2, v4
	v_cvt_f16_f32_e32 v1, v1
.LBB97_199:
	s_mov_b64 s[2:3], 0
.LBB97_200:
	s_andn2_b64 vcc, exec, s[2:3]
	s_cbranch_vccnz .LBB97_202
; %bb.201:
	global_load_ubyte v1, v[2:3], off
	s_movk_i32 s2, 0x7f00
	s_brev_b32 s3, 16
	s_waitcnt vmcnt(0)
	v_lshlrev_b16_e32 v4, 8, v1
	v_lshlrev_b32_e32 v1, 25, v1
	v_lshrrev_b32_e32 v5, 4, v1
	v_and_or_b32 v6, v4, s2, 0.5
	v_or_b32_e32 v5, 0x70000000, v5
	v_add_f32_e32 v6, -0.5, v6
	v_mul_f32_e32 v5, 0x7800000, v5
	v_cmp_gt_u32_e32 vcc, s3, v1
	v_bfe_i32 v4, v4, 0, 16
	s_brev_b32 s2, 1
	v_cndmask_b32_e32 v1, v5, v6, vcc
	v_and_or_b32 v1, v4, s2, v1
	v_cvt_f16_f32_e32 v1, v1
.LBB97_202:
	s_mov_b64 s[6:7], 0
	s_mov_b64 s[2:3], -1
.LBB97_203:
	s_andn2_b64 vcc, exec, s[6:7]
	s_cbranch_vccnz .LBB97_216
; %bb.204:
	s_cmp_gt_i32 s10, 14
	s_cbranch_scc0 .LBB97_207
; %bb.205:
	s_cmp_eq_u32 s10, 15
	s_cbranch_scc0 .LBB97_210
; %bb.206:
	global_load_ushort v1, v[2:3], off
	s_mov_b64 s[2:3], -1
	s_mov_b64 s[4:5], 0
	s_waitcnt vmcnt(0)
	v_lshlrev_b32_e32 v1, 16, v1
	v_cvt_f16_f32_e32 v1, v1
	s_branch .LBB97_211
.LBB97_207:
	s_mov_b64 s[6:7], -1
                                        ; implicit-def: $vgpr1
	s_branch .LBB97_212
.LBB97_208:
	s_or_saveexec_b64 s[6:7], s[6:7]
	v_mov_b32_e32 v1, 0x7e00
	s_xor_b64 exec, exec, s[6:7]
	s_cbranch_execz .LBB97_189
.LBB97_209:
	v_cmp_ne_u16_e32 vcc, 0, v4
	s_andn2_b64 s[2:3], s[2:3], exec
	s_and_b64 s[8:9], vcc, exec
	s_or_b64 s[2:3], s[2:3], s[8:9]
	v_mov_b32_e32 v1, v4
	s_or_b64 exec, exec, s[6:7]
	s_and_saveexec_b64 s[6:7], s[2:3]
	s_cbranch_execnz .LBB97_190
	s_branch .LBB97_191
.LBB97_210:
	s_mov_b64 s[4:5], -1
                                        ; implicit-def: $vgpr1
.LBB97_211:
	s_mov_b64 s[6:7], 0
.LBB97_212:
	s_and_b64 vcc, exec, s[6:7]
	s_cbranch_vccz .LBB97_216
; %bb.213:
	s_cmp_eq_u32 s10, 11
	s_cbranch_scc0 .LBB97_215
; %bb.214:
	global_load_ubyte v1, v[2:3], off
	v_mov_b32_e32 v4, 0x3c00
	s_mov_b64 s[2:3], -1
	s_mov_b64 s[4:5], 0
	s_waitcnt vmcnt(0)
	v_cmp_ne_u16_e32 vcc, 0, v1
	s_nop 1
	v_cndmask_b32_e32 v1, 0, v4, vcc
	s_branch .LBB97_216
.LBB97_215:
	s_mov_b64 s[4:5], -1
                                        ; implicit-def: $vgpr1
.LBB97_216:
	s_branch .LBB97_25
.LBB97_217:
	s_cmp_lt_i32 s10, 5
	s_cbranch_scc1 .LBB97_222
; %bb.218:
	s_cmp_lt_i32 s10, 8
	s_cbranch_scc1 .LBB97_223
; %bb.219:
	s_cmp_lt_i32 s10, 9
	s_cbranch_scc1 .LBB97_224
; %bb.220:
	s_cmp_gt_i32 s10, 9
	s_cbranch_scc0 .LBB97_225
; %bb.221:
	global_load_dwordx2 v[4:5], v[2:3], off
	s_movk_i32 s2, 0x1ff
	s_movk_i32 s3, 0xffe
	v_mov_b32_e32 v1, 0x7c00
	v_mov_b32_e32 v6, 0x7e00
	s_movk_i32 s6, 0x40f
	s_mov_b32 s7, 0x8000
	s_waitcnt vmcnt(0)
	v_and_or_b32 v4, v5, s2, v4
	v_cmp_ne_u32_e32 vcc, 0, v4
	v_lshrrev_b32_e32 v7, 8, v5
	v_bfe_u32 v9, v5, 20, 11
	v_cndmask_b32_e64 v4, 0, 1, vcc
	v_sub_u32_e32 v10, 0x3f1, v9
	v_and_or_b32 v4, v7, s3, v4
	v_add_u32_e32 v9, 0xfffffc10, v9
	v_med3_i32 v7, v10, 0, 13
	v_or_b32_e32 v10, 0x1000, v4
	v_cmp_ne_u32_e32 vcc, 0, v4
	v_lshl_or_b32 v11, v9, 12, v4
	v_lshrrev_b32_e32 v5, 16, v5
	v_cndmask_b32_e32 v4, v1, v6, vcc
	v_lshrrev_b32_e32 v6, v7, v10
	v_lshlrev_b32_e32 v7, v7, v6
	v_cmp_ne_u32_e32 vcc, v7, v10
	s_mov_b64 s[2:3], 0
	s_nop 0
	v_cndmask_b32_e64 v7, 0, 1, vcc
	v_or_b32_e32 v6, v6, v7
	v_cmp_gt_i32_e32 vcc, 1, v9
	s_nop 1
	v_cndmask_b32_e32 v6, v11, v6, vcc
	v_and_b32_e32 v7, 7, v6
	v_cmp_lt_i32_e32 vcc, 5, v7
	v_lshrrev_b32_e32 v6, 2, v6
	s_nop 0
	v_cndmask_b32_e64 v10, 0, 1, vcc
	v_cmp_eq_u32_e32 vcc, 3, v7
	s_nop 1
	v_cndmask_b32_e64 v7, 0, 1, vcc
	v_or_b32_e32 v7, v7, v10
	v_add_u32_e32 v6, v6, v7
	v_cmp_gt_i32_e32 vcc, 31, v9
	s_nop 1
	v_cndmask_b32_e32 v1, v1, v6, vcc
	v_cmp_eq_u32_e32 vcc, s6, v9
	s_nop 1
	v_cndmask_b32_e32 v1, v1, v4, vcc
	v_and_or_b32 v1, v5, s7, v1
	s_branch .LBB97_226
.LBB97_222:
                                        ; implicit-def: $vgpr1
	s_branch .LBB97_244
.LBB97_223:
	s_mov_b64 s[2:3], -1
                                        ; implicit-def: $vgpr1
	s_branch .LBB97_232
.LBB97_224:
	s_mov_b64 s[2:3], -1
                                        ; implicit-def: $vgpr1
	s_branch .LBB97_229
.LBB97_225:
	s_mov_b64 s[2:3], -1
                                        ; implicit-def: $vgpr1
.LBB97_226:
	s_andn2_b64 vcc, exec, s[2:3]
	s_cbranch_vccnz .LBB97_228
; %bb.227:
	global_load_dword v1, v[2:3], off
	s_waitcnt vmcnt(0)
	v_cvt_f16_f32_e32 v1, v1
.LBB97_228:
	s_mov_b64 s[2:3], 0
.LBB97_229:
	s_andn2_b64 vcc, exec, s[2:3]
	s_cbranch_vccnz .LBB97_231
; %bb.230:
	global_load_dword v1, v[2:3], off
.LBB97_231:
	s_mov_b64 s[2:3], 0
.LBB97_232:
	s_andn2_b64 vcc, exec, s[2:3]
	s_cbranch_vccnz .LBB97_243
; %bb.233:
	s_cmp_lt_i32 s10, 6
	s_cbranch_scc1 .LBB97_236
; %bb.234:
	s_cmp_gt_i32 s10, 6
	s_cbranch_scc0 .LBB97_237
; %bb.235:
	global_load_dwordx2 v[4:5], v[2:3], off
	s_movk_i32 s2, 0x1ff
	s_movk_i32 s3, 0xffe
	s_waitcnt vmcnt(1)
	v_mov_b32_e32 v1, 0x7c00
	v_mov_b32_e32 v6, 0x7e00
	s_movk_i32 s6, 0x40f
	s_mov_b32 s7, 0x8000
	s_waitcnt vmcnt(0)
	v_and_or_b32 v4, v5, s2, v4
	v_cmp_ne_u32_e32 vcc, 0, v4
	v_lshrrev_b32_e32 v7, 8, v5
	v_bfe_u32 v9, v5, 20, 11
	v_cndmask_b32_e64 v4, 0, 1, vcc
	v_sub_u32_e32 v10, 0x3f1, v9
	v_and_or_b32 v4, v7, s3, v4
	v_add_u32_e32 v9, 0xfffffc10, v9
	v_med3_i32 v7, v10, 0, 13
	v_or_b32_e32 v10, 0x1000, v4
	v_cmp_ne_u32_e32 vcc, 0, v4
	v_lshl_or_b32 v11, v9, 12, v4
	v_lshrrev_b32_e32 v5, 16, v5
	v_cndmask_b32_e32 v4, v1, v6, vcc
	v_lshrrev_b32_e32 v6, v7, v10
	v_lshlrev_b32_e32 v7, v7, v6
	v_cmp_ne_u32_e32 vcc, v7, v10
	s_mov_b64 s[2:3], 0
	s_nop 0
	v_cndmask_b32_e64 v7, 0, 1, vcc
	v_or_b32_e32 v6, v6, v7
	v_cmp_gt_i32_e32 vcc, 1, v9
	s_nop 1
	v_cndmask_b32_e32 v6, v11, v6, vcc
	v_and_b32_e32 v7, 7, v6
	v_cmp_lt_i32_e32 vcc, 5, v7
	v_lshrrev_b32_e32 v6, 2, v6
	s_nop 0
	v_cndmask_b32_e64 v10, 0, 1, vcc
	v_cmp_eq_u32_e32 vcc, 3, v7
	s_nop 1
	v_cndmask_b32_e64 v7, 0, 1, vcc
	v_or_b32_e32 v7, v7, v10
	v_add_u32_e32 v6, v6, v7
	v_cmp_gt_i32_e32 vcc, 31, v9
	s_nop 1
	v_cndmask_b32_e32 v1, v1, v6, vcc
	v_cmp_eq_u32_e32 vcc, s6, v9
	s_nop 1
	v_cndmask_b32_e32 v1, v1, v4, vcc
	v_and_or_b32 v1, v5, s7, v1
	s_branch .LBB97_238
.LBB97_236:
	s_mov_b64 s[2:3], -1
                                        ; implicit-def: $vgpr1
	s_branch .LBB97_241
.LBB97_237:
	s_mov_b64 s[2:3], -1
                                        ; implicit-def: $vgpr1
.LBB97_238:
	s_andn2_b64 vcc, exec, s[2:3]
	s_cbranch_vccnz .LBB97_240
; %bb.239:
	global_load_dword v1, v[2:3], off
	s_waitcnt vmcnt(0)
	v_cvt_f16_f32_e32 v1, v1
.LBB97_240:
	s_mov_b64 s[2:3], 0
.LBB97_241:
	s_andn2_b64 vcc, exec, s[2:3]
	s_cbranch_vccnz .LBB97_243
; %bb.242:
	global_load_ushort v1, v[2:3], off
.LBB97_243:
	s_cbranch_execnz .LBB97_263
.LBB97_244:
	s_cmp_lt_i32 s10, 2
	s_cbranch_scc1 .LBB97_248
; %bb.245:
	s_cmp_lt_i32 s10, 3
	s_cbranch_scc1 .LBB97_249
; %bb.246:
	s_cmp_gt_i32 s10, 3
	s_cbranch_scc0 .LBB97_250
; %bb.247:
	global_load_dwordx2 v[4:5], v[2:3], off
	s_mov_b64 s[2:3], 0
	s_waitcnt vmcnt(0)
	v_xor_b32_e32 v6, v4, v5
	v_ffbh_i32_e32 v1, v5
	v_ashrrev_i32_e32 v6, 31, v6
	v_add_u32_e32 v1, -1, v1
	v_add_u32_e32 v6, 32, v6
	v_min_u32_e32 v1, v1, v6
	v_lshlrev_b64 v[4:5], v1, v[4:5]
	v_min_u32_e32 v4, 1, v4
	v_or_b32_e32 v4, v5, v4
	v_cvt_f32_i32_e32 v4, v4
	v_sub_u32_e32 v1, 32, v1
	v_ldexp_f32 v1, v4, v1
	v_cvt_f16_f32_e32 v1, v1
	s_branch .LBB97_251
.LBB97_248:
	s_mov_b64 s[2:3], -1
                                        ; implicit-def: $vgpr1
	s_branch .LBB97_257
.LBB97_249:
	s_mov_b64 s[2:3], -1
                                        ; implicit-def: $vgpr1
	s_branch .LBB97_254
.LBB97_250:
	s_mov_b64 s[2:3], -1
                                        ; implicit-def: $vgpr1
.LBB97_251:
	s_andn2_b64 vcc, exec, s[2:3]
	s_cbranch_vccnz .LBB97_253
; %bb.252:
	global_load_dword v1, v[2:3], off
	s_waitcnt vmcnt(0)
	v_cvt_f32_i32_e32 v1, v1
	v_cvt_f16_f32_e32 v1, v1
.LBB97_253:
	s_mov_b64 s[2:3], 0
.LBB97_254:
	s_andn2_b64 vcc, exec, s[2:3]
	s_cbranch_vccnz .LBB97_256
; %bb.255:
	global_load_ushort v1, v[2:3], off
	s_waitcnt vmcnt(0)
	v_cvt_f16_i16_e32 v1, v1
.LBB97_256:
	s_mov_b64 s[2:3], 0
.LBB97_257:
	s_andn2_b64 vcc, exec, s[2:3]
	s_cbranch_vccnz .LBB97_263
; %bb.258:
	s_cmp_gt_i32 s10, 0
	s_cbranch_scc0 .LBB97_260
; %bb.259:
	global_load_sbyte v1, v[2:3], off
	s_mov_b64 s[2:3], 0
	s_waitcnt vmcnt(0)
	v_cvt_f16_i16_e32 v1, v1
	s_branch .LBB97_261
.LBB97_260:
	s_mov_b64 s[2:3], -1
                                        ; implicit-def: $vgpr1
.LBB97_261:
	s_andn2_b64 vcc, exec, s[2:3]
	s_cbranch_vccnz .LBB97_263
; %bb.262:
	global_load_ubyte v1, v[2:3], off
	s_waitcnt vmcnt(0)
	v_cvt_f16_u16_e32 v1, v1
.LBB97_263:
	s_branch .LBB97_26
.LBB97_264:
	s_mov_b64 s[2:3], 0
.LBB97_265:
	s_mov_b64 s[6:7], 0
                                        ; implicit-def: $vgpr8
.LBB97_266:
	s_and_b64 s[54:55], s[2:3], exec
	s_and_b64 s[56:57], s[4:5], exec
	s_orn2_b64 s[4:5], s[6:7], exec
.LBB97_267:
	s_or_b64 exec, exec, s[58:59]
	s_mov_b64 s[8:9], 0
	s_mov_b64 s[2:3], 0
                                        ; implicit-def: $vgpr2_vgpr3
                                        ; implicit-def: $vgpr0
                                        ; implicit-def: $vgpr1
	s_and_saveexec_b64 s[58:59], s[4:5]
	s_cbranch_execz .LBB97_275
; %bb.268:
	v_cmp_gt_i32_e32 vcc, s70, v8
	s_mov_b64 s[2:3], -1
	s_mov_b64 s[60:61], s[56:57]
	s_mov_b64 s[62:63], s[54:55]
	s_and_saveexec_b64 s[64:65], vcc
	s_cbranch_execz .LBB97_544
; %bb.269:
	s_andn2_b64 vcc, exec, s[42:43]
	s_cbranch_vccnz .LBB97_278
; %bb.270:
	s_andn2_b64 vcc, exec, s[52:53]
	s_cbranch_vccnz .LBB97_279
; %bb.271:
	s_add_i32 s63, s75, 1
	s_cmp_eq_u32 s72, 2
	s_cbranch_scc1 .LBB97_280
; %bb.272:
	s_and_b32 s62, s63, 28
	s_mov_b32 s66, 0
	v_mov_b32_e32 v0, 0
	v_mov_b32_e32 v2, 0
	s_mov_b64 s[2:3], s[34:35]
	s_mov_b64 s[60:61], s[50:51]
	v_mov_b32_e32 v4, v8
.LBB97_273:                             ; =>This Inner Loop Header: Depth=1
	s_load_dwordx8 s[12:19], s[2:3], 0x4
	s_load_dwordx4 s[36:39], s[2:3], 0x24
	s_load_dwordx8 s[4:11], s[60:61], 0x0
	s_add_u32 s2, s2, 48
	s_addc_u32 s3, s3, 0
	s_waitcnt vmcnt(0) lgkmcnt(0)
	v_mul_hi_u32 v1, s13, v4
	v_add_u32_e32 v1, v4, v1
	v_lshrrev_b32_e32 v1, s14, v1
	v_mul_lo_u32 v3, v1, s12
	v_mul_hi_u32 v5, s16, v1
	v_sub_u32_e32 v3, v4, v3
	v_add_u32_e32 v4, v1, v5
	v_lshrrev_b32_e32 v4, s17, v4
	v_mul_lo_u32 v6, v4, s15
	v_mul_hi_u32 v7, s19, v4
	v_sub_u32_e32 v1, v1, v6
	v_add_u32_e32 v6, v4, v7
	v_mul_lo_u32 v5, v3, s5
	v_mul_lo_u32 v3, v3, s4
	v_mul_lo_u32 v7, v1, s7
	v_mul_lo_u32 v1, v1, s6
	v_lshrrev_b32_e32 v6, s36, v6
	v_add3_u32 v0, v3, v0, v1
	v_mul_hi_u32 v3, s38, v6
	v_add3_u32 v1, v5, v2, v7
	v_mul_lo_u32 v2, v6, s18
	v_add_u32_e32 v3, v6, v3
	v_sub_u32_e32 v2, v4, v2
	v_lshrrev_b32_e32 v4, s39, v3
	s_add_i32 s66, s66, 4
	v_mul_lo_u32 v3, v4, s37
	s_add_u32 s60, s60, 32
	v_sub_u32_e32 v3, v6, v3
	s_addc_u32 s61, s61, 0
	v_mul_lo_u32 v5, v2, s8
	v_mul_lo_u32 v2, v2, s9
	;; [unrolled: 1-line block ×4, first 2 shown]
	s_cmp_eq_u32 s62, s66
	v_add3_u32 v2, v2, v1, v3
	v_add3_u32 v0, v5, v0, v6
	s_cbranch_scc0 .LBB97_273
; %bb.274:
	v_mov_b32_e32 v1, v2
	s_branch .LBB97_281
.LBB97_275:
	s_or_b64 exec, exec, s[58:59]
	s_mov_b64 s[4:5], 0
	s_and_saveexec_b64 s[6:7], s[56:57]
	s_cbranch_execnz .LBB97_922
.LBB97_276:
	s_or_b64 exec, exec, s[6:7]
	s_and_saveexec_b64 s[6:7], s[62:63]
	s_xor_b64 s[6:7], exec, s[6:7]
	s_cbranch_execz .LBB97_923
.LBB97_277:
	global_load_ubyte v1, v[2:3], off
	v_mov_b32_e32 v4, 0x3c00
	s_or_b64 s[2:3], s[2:3], exec
	s_waitcnt vmcnt(0)
	v_cmp_ne_u16_e32 vcc, 0, v1
	s_nop 1
	v_cndmask_b32_e32 v1, 0, v4, vcc
	s_or_b64 exec, exec, s[6:7]
	s_and_saveexec_b64 s[6:7], s[8:9]
	s_cbranch_execz .LBB97_969
	s_branch .LBB97_924
.LBB97_278:
                                        ; implicit-def: $vgpr2
                                        ; implicit-def: $vgpr0
	s_andn2_b64 vcc, exec, s[2:3]
	s_cbranch_vccz .LBB97_285
	s_branch .LBB97_287
.LBB97_279:
	v_mov_b32_e32 v2, 0
	v_mov_b32_e32 v0, 0
	s_branch .LBB97_284
.LBB97_280:
	v_mov_b32_e32 v0, 0
	s_mov_b32 s62, 0
	s_waitcnt vmcnt(0)
	v_mov_b32_e32 v1, v0
                                        ; implicit-def: $vgpr2
	v_mov_b32_e32 v4, v8
.LBB97_281:
	s_and_b32 s6, s63, 3
	s_cmp_eq_u32 s6, 0
	s_cbranch_scc1 .LBB97_284
; %bb.282:
	s_lshl_b32 s2, s62, 3
	s_add_u32 s2, s34, s2
	s_addc_u32 s3, s35, 0
	s_add_u32 s2, s2, 0xc4
	s_addc_u32 s3, s3, 0
	s_mul_i32 s4, s62, 12
	s_add_u32 s4, s34, s4
	s_addc_u32 s5, s35, 0
.LBB97_283:                             ; =>This Inner Loop Header: Depth=1
	s_load_dwordx2 s[8:9], s[4:5], 0x4
	s_load_dword s7, s[4:5], 0xc
	s_load_dwordx2 s[10:11], s[2:3], 0x0
	v_mov_b32_e32 v2, v1
	s_add_u32 s4, s4, 12
	s_waitcnt lgkmcnt(0)
	v_mul_hi_u32 v1, s9, v4
	v_add_u32_e32 v1, v4, v1
	v_lshrrev_b32_e32 v1, s7, v1
	s_addc_u32 s5, s5, 0
	v_mul_lo_u32 v3, v1, s8
	s_add_u32 s2, s2, 8
	v_sub_u32_e32 v5, v4, v3
	s_addc_u32 s3, s3, 0
	s_add_i32 s6, s6, -1
	v_mov_b32_e32 v4, v1
	v_mad_u64_u32 v[2:3], s[8:9], v5, s11, v[2:3]
	v_mad_u64_u32 v[0:1], s[8:9], v5, s10, v[0:1]
	s_cmp_lg_u32 s6, 0
	v_mov_b32_e32 v1, v2
	s_cbranch_scc1 .LBB97_283
.LBB97_284:
	s_cbranch_execnz .LBB97_287
.LBB97_285:
	s_waitcnt lgkmcnt(0)
	v_mul_hi_u32 v0, s29, v8
	v_add_u32_e32 v0, v8, v0
	s_waitcnt vmcnt(0)
	v_lshrrev_b32_e32 v1, s30, v0
	v_mul_lo_u32 v0, v1, s28
	v_sub_u32_e32 v0, v8, v0
	v_mul_lo_u32 v2, v0, s25
	s_andn2_b64 vcc, exec, s[48:49]
	v_mul_lo_u32 v0, v0, s24
	s_cbranch_vccnz .LBB97_287
; %bb.286:
	v_mul_hi_u32 v3, s46, v1
	v_add_u32_e32 v3, v1, v3
	v_lshrrev_b32_e32 v3, s47, v3
	v_mul_lo_u32 v3, v3, s31
	v_sub_u32_e32 v3, v1, v3
	v_mad_u64_u32 v[0:1], s[2:3], v3, s26, v[0:1]
	v_mad_u64_u32 v[2:3], s[2:3], v3, s27, v[2:3]
.LBB97_287:
	v_mov_b32_e32 v3, 0
	s_and_b32 s10, 0xffff, s74
	s_cmp_lt_i32 s10, 11
	s_waitcnt lgkmcnt(0)
	v_lshl_add_u64 v[2:3], s[22:23], 0, v[2:3]
	s_cbranch_scc1 .LBB97_294
; %bb.288:
	s_cmp_gt_i32 s10, 25
	s_cbranch_scc0 .LBB97_303
; %bb.289:
	s_cmp_gt_i32 s10, 28
	s_cbranch_scc0 .LBB97_305
	;; [unrolled: 3-line block ×4, first 2 shown]
; %bb.292:
	s_cmp_eq_u32 s10, 46
	s_mov_b64 s[6:7], 0
	s_cbranch_scc0 .LBB97_315
; %bb.293:
	global_load_dword v1, v[2:3], off
	s_mov_b64 s[2:3], -1
	s_mov_b64 s[4:5], 0
	s_waitcnt vmcnt(0)
	v_lshlrev_b32_e32 v1, 16, v1
	v_cvt_f16_f32_e32 v1, v1
	s_branch .LBB97_316
.LBB97_294:
	s_mov_b64 s[2:3], 0
                                        ; implicit-def: $vgpr1
	s_mov_b64 s[4:5], s[56:57]
	s_cbranch_execnz .LBB97_493
.LBB97_295:
	s_andn2_b64 vcc, exec, s[2:3]
	s_cbranch_vccnz .LBB97_541
.LBB97_296:
	s_waitcnt vmcnt(0)
	v_cvt_f32_f16_e32 v2, v1
	s_mov_b32 s2, 0x3fb8aa3b
	s_mov_b32 s3, 0x32a5705f
	s_and_b32 s12, s73, 0xff
	v_mul_f32_e32 v3, 0x3fb8aa3b, v2
	v_rndne_f32_e32 v4, v3
	v_fma_mix_f32 v5, v1, s2, -v3 op_sel_hi:[1,0,0]
	v_sub_f32_e32 v3, v3, v4
	v_fma_mix_f32 v1, v1, s3, v5 op_sel_hi:[1,0,0]
	s_mov_b32 s2, 0xc2ce8ed0
	v_add_f32_e32 v1, v3, v1
	v_cvt_i32_f32_e32 v3, v4
	v_exp_f32_e32 v1, v1
	v_cmp_ngt_f32_e32 vcc, s2, v2
	s_mov_b32 s2, 0x42b17218
	s_cmp_lt_i32 s12, 11
	v_ldexp_f32 v1, v1, v3
	v_cndmask_b32_e32 v1, 0, v1, vcc
	v_mov_b32_e32 v3, 0x7f800000
	v_cmp_nlt_f32_e32 vcc, s2, v2
	s_nop 1
	v_cndmask_b32_e32 v1, v3, v1, vcc
	v_cvt_f16_f32_e32 v2, v1
	v_mov_b32_e32 v1, 0
	v_lshl_add_u64 v[0:1], s[20:21], 0, v[0:1]
	s_cbranch_scc1 .LBB97_304
; %bb.297:
	s_and_b32 s13, 0xffff, s12
	s_cmp_gt_i32 s13, 25
	s_cbranch_scc0 .LBB97_306
; %bb.298:
	s_cmp_gt_i32 s13, 28
	s_cbranch_scc0 .LBB97_308
; %bb.299:
	;; [unrolled: 3-line block ×4, first 2 shown]
	s_mov_b64 s[8:9], 0
	s_mov_b64 s[2:3], -1
	s_cmp_eq_u32 s13, 46
	s_mov_b64 s[6:7], 0
	s_cbranch_scc0 .LBB97_320
; %bb.302:
	v_cvt_f32_f16_e32 v3, v2
	s_movk_i32 s2, 0x7fff
	v_cmp_o_f16_e32 vcc, v2, v2
	v_mov_b32_e32 v4, 0x7fc0
	v_bfe_u32 v5, v3, 16, 1
	v_add3_u32 v3, v3, v5, s2
	v_cndmask_b32_sdwa v3, v4, v3, vcc dst_sel:DWORD dst_unused:UNUSED_PAD src0_sel:DWORD src1_sel:WORD_1
	global_store_dword v[0:1], v3, off
	s_mov_b64 s[6:7], -1
	s_mov_b64 s[2:3], 0
	s_branch .LBB97_320
.LBB97_303:
	s_mov_b64 s[6:7], -1
	s_mov_b64 s[2:3], 0
	s_mov_b64 s[4:5], s[56:57]
                                        ; implicit-def: $vgpr1
	s_branch .LBB97_457
.LBB97_304:
	s_mov_b64 s[8:9], -1
	s_mov_b64 s[6:7], 0
	s_mov_b64 s[2:3], s[54:55]
	s_branch .LBB97_389
.LBB97_305:
	s_mov_b64 s[6:7], -1
	s_mov_b64 s[2:3], 0
	s_mov_b64 s[4:5], s[56:57]
                                        ; implicit-def: $vgpr1
	s_branch .LBB97_438
.LBB97_306:
	s_mov_b64 s[8:9], -1
	s_mov_b64 s[6:7], 0
	s_mov_b64 s[2:3], s[54:55]
	s_branch .LBB97_347
.LBB97_307:
	s_mov_b64 s[6:7], -1
	s_mov_b64 s[2:3], 0
	s_mov_b64 s[4:5], s[56:57]
                                        ; implicit-def: $vgpr1
	s_branch .LBB97_433
.LBB97_308:
	s_mov_b64 s[8:9], -1
	s_mov_b64 s[6:7], 0
	s_mov_b64 s[2:3], s[54:55]
	s_branch .LBB97_330
.LBB97_309:
	s_andn2_saveexec_b64 s[10:11], s[10:11]
	s_cbranch_execz .LBB97_69
.LBB97_310:
	s_mov_b32 s14, 0x46000000
	v_add_f32_e64 v4, |v3|, s14
	v_and_b32_e32 v4, 0xff, v4
	v_cmp_ne_u32_e32 vcc, 0, v4
	s_andn2_b64 s[8:9], s[8:9], exec
	s_and_b64 s[14:15], vcc, exec
	s_or_b64 s[8:9], s[8:9], s[14:15]
	s_or_b64 exec, exec, s[10:11]
	v_mov_b32_e32 v5, 0
	s_and_saveexec_b64 s[10:11], s[8:9]
	s_cbranch_execnz .LBB97_70
	s_branch .LBB97_71
.LBB97_311:
	s_mov_b64 s[6:7], -1
	s_mov_b64 s[2:3], 0
	s_mov_b64 s[4:5], s[56:57]
                                        ; implicit-def: $vgpr1
	s_branch .LBB97_316
.LBB97_312:
	s_mov_b64 s[8:9], -1
	s_mov_b64 s[6:7], 0
	s_mov_b64 s[2:3], s[54:55]
	s_branch .LBB97_326
.LBB97_313:
	s_andn2_saveexec_b64 s[10:11], s[10:11]
	s_cbranch_execz .LBB97_82
.LBB97_314:
	s_mov_b32 s14, 0x42800000
	v_add_f32_e64 v4, |v3|, s14
	v_and_b32_e32 v4, 0xff, v4
	v_cmp_ne_u32_e32 vcc, 0, v4
	s_andn2_b64 s[8:9], s[8:9], exec
	s_and_b64 s[14:15], vcc, exec
	s_or_b64 s[8:9], s[8:9], s[14:15]
	s_or_b64 exec, exec, s[10:11]
	v_mov_b32_e32 v5, 0
	s_and_saveexec_b64 s[10:11], s[8:9]
	s_cbranch_execnz .LBB97_83
	s_branch .LBB97_84
.LBB97_315:
	s_mov_b64 s[4:5], -1
                                        ; implicit-def: $vgpr1
	s_mov_b64 s[2:3], 0
.LBB97_316:
	s_and_b64 vcc, exec, s[6:7]
	s_cbranch_vccz .LBB97_432
; %bb.317:
	s_cmp_eq_u32 s10, 44
	s_cbranch_scc0 .LBB97_431
; %bb.318:
	global_load_ubyte v1, v[2:3], off
	s_movk_i32 s4, 0xff
	v_mov_b32_e32 v5, 0x7e00
	s_mov_b64 s[2:3], -1
	s_waitcnt vmcnt(0)
	v_lshlrev_b32_e32 v4, 23, v1
	v_cvt_f16_f32_e32 v4, v4
	v_cmp_ne_u32_e32 vcc, s4, v1
	s_mov_b64 s[4:5], 0
	s_nop 0
	v_cndmask_b32_e32 v4, v5, v4, vcc
	v_cmp_ne_u32_e32 vcc, 0, v1
	s_nop 1
	v_cndmask_b32_e32 v1, 0, v4, vcc
	s_branch .LBB97_432
.LBB97_319:
	s_mov_b64 s[8:9], -1
	s_mov_b64 s[6:7], 0
	s_mov_b64 s[2:3], s[54:55]
.LBB97_320:
	s_and_b64 vcc, exec, s[8:9]
	s_cbranch_vccz .LBB97_325
; %bb.321:
	s_cmp_eq_u32 s13, 44
	s_mov_b64 s[2:3], -1
	s_cbranch_scc0 .LBB97_325
; %bb.322:
	v_cvt_f32_f16_e32 v3, v2
	s_movk_i32 s2, 0xff
	v_mov_b32_e32 v5, 0xff
	v_bfe_u32 v4, v3, 23, 8
	v_cmp_ne_u32_e32 vcc, s2, v4
	s_and_saveexec_b64 s[6:7], vcc
; %bb.323:
	s_mov_b32 s2, 0x3fffff
	v_lshrrev_b32_e32 v5, 23, v3
	v_and_b32_e32 v6, 0x400000, v3
	v_and_or_b32 v3, v3, s2, v4
	v_cmp_ne_u32_e32 vcc, 0, v6
	v_cmp_ne_u32_e64 s[2:3], 0, v3
	s_and_b64 s[2:3], vcc, s[2:3]
	s_nop 0
	v_cndmask_b32_e64 v3, 0, 1, s[2:3]
	v_add_u32_e32 v5, v5, v3
; %bb.324:
	s_or_b64 exec, exec, s[6:7]
	s_mov_b64 s[6:7], -1
	s_mov_b64 s[2:3], 0
	global_store_byte v[0:1], v5, off
.LBB97_325:
	s_mov_b64 s[8:9], 0
.LBB97_326:
	s_and_b64 vcc, exec, s[8:9]
	s_cbranch_vccz .LBB97_329
; %bb.327:
	s_cmp_eq_u32 s13, 29
	s_mov_b64 s[2:3], -1
	s_cbranch_scc0 .LBB97_329
; %bb.328:
	v_cvt_f32_f16_e32 v3, v2
	v_mov_b32_e32 v5, 0
	s_mov_b64 s[6:7], -1
	s_mov_b64 s[2:3], 0
	v_cvt_u32_f32_e32 v4, v3
	s_mov_b64 s[8:9], 0
	global_store_dwordx2 v[0:1], v[4:5], off
	s_branch .LBB97_330
.LBB97_329:
	s_mov_b64 s[8:9], 0
.LBB97_330:
	s_and_b64 vcc, exec, s[8:9]
	s_cbranch_vccz .LBB97_346
; %bb.331:
	s_cmp_lt_i32 s13, 27
	s_mov_b64 s[6:7], -1
	s_cbranch_scc1 .LBB97_337
; %bb.332:
	s_cmp_gt_i32 s13, 27
	s_cbranch_scc0 .LBB97_334
; %bb.333:
	v_cvt_f32_f16_e32 v3, v2
	s_mov_b64 s[6:7], 0
	v_cvt_u32_f32_e32 v3, v3
	global_store_dword v[0:1], v3, off
.LBB97_334:
	s_andn2_b64 vcc, exec, s[6:7]
	s_cbranch_vccnz .LBB97_336
; %bb.335:
	v_cvt_u16_f16_e32 v3, v2
	global_store_short v[0:1], v3, off
.LBB97_336:
	s_mov_b64 s[6:7], 0
.LBB97_337:
	s_andn2_b64 vcc, exec, s[6:7]
	s_cbranch_vccnz .LBB97_345
; %bb.338:
	v_cvt_f32_f16_e32 v3, v2
	s_mov_b32 s6, 0x43800000
	v_mov_b32_e32 v5, 0x80
	v_and_b32_e32 v4, 0x7fffffff, v3
	v_cmp_gt_u32_e32 vcc, s6, v4
	s_and_saveexec_b64 s[6:7], vcc
	s_cbranch_execz .LBB97_344
; %bb.339:
	s_mov_b32 s8, 0x3bffffff
	v_cmp_lt_u32_e32 vcc, s8, v4
	s_mov_b64 s[8:9], 0
                                        ; implicit-def: $vgpr4
	s_and_saveexec_b64 s[10:11], vcc
	s_xor_b64 s[10:11], exec, s[10:11]
	s_cbranch_execz .LBB97_573
; %bb.340:
	v_bfe_u32 v4, v3, 20, 1
	s_mov_b32 s14, 0x487ffff
	v_add3_u32 v4, v3, v4, s14
	s_mov_b64 s[8:9], exec
	v_lshrrev_b32_e32 v4, 20, v4
	s_andn2_saveexec_b64 s[10:11], s[10:11]
	s_cbranch_execnz .LBB97_574
.LBB97_341:
	s_or_b64 exec, exec, s[10:11]
	v_mov_b32_e32 v5, 0
	s_and_saveexec_b64 s[10:11], s[8:9]
.LBB97_342:
	v_lshrrev_b32_e32 v3, 24, v3
	s_movk_i32 s8, 0x80
	v_and_or_b32 v5, v3, s8, v4
.LBB97_343:
	s_or_b64 exec, exec, s[10:11]
.LBB97_344:
	s_or_b64 exec, exec, s[6:7]
	global_store_byte v[0:1], v5, off
.LBB97_345:
	s_mov_b64 s[6:7], -1
.LBB97_346:
	s_mov_b64 s[8:9], 0
.LBB97_347:
	s_and_b64 vcc, exec, s[8:9]
	s_cbranch_vccz .LBB97_388
; %bb.348:
	s_cmp_gt_i32 s13, 22
	s_mov_b64 s[8:9], -1
	s_cbranch_scc0 .LBB97_380
; %bb.349:
	s_cmp_lt_i32 s13, 24
	s_mov_b64 s[6:7], -1
	s_cbranch_scc1 .LBB97_369
; %bb.350:
	s_cmp_gt_i32 s13, 24
	s_cbranch_scc0 .LBB97_358
; %bb.351:
	v_cvt_f32_f16_e32 v3, v2
	s_mov_b32 s6, 0x47800000
	v_mov_b32_e32 v5, 0x80
	v_and_b32_e32 v4, 0x7fffffff, v3
	v_cmp_gt_u32_e32 vcc, s6, v4
	s_and_saveexec_b64 s[6:7], vcc
	s_cbranch_execz .LBB97_357
; %bb.352:
	s_mov_b32 s8, 0x37ffffff
	v_cmp_lt_u32_e32 vcc, s8, v4
	s_mov_b64 s[8:9], 0
                                        ; implicit-def: $vgpr4
	s_and_saveexec_b64 s[10:11], vcc
	s_xor_b64 s[10:11], exec, s[10:11]
	s_cbranch_execz .LBB97_576
; %bb.353:
	v_bfe_u32 v4, v3, 21, 1
	s_mov_b32 s14, 0x88fffff
	v_add3_u32 v4, v3, v4, s14
	s_mov_b64 s[8:9], exec
	v_lshrrev_b32_e32 v4, 21, v4
	s_andn2_saveexec_b64 s[10:11], s[10:11]
	s_cbranch_execnz .LBB97_577
.LBB97_354:
	s_or_b64 exec, exec, s[10:11]
	v_mov_b32_e32 v5, 0
	s_and_saveexec_b64 s[10:11], s[8:9]
.LBB97_355:
	v_lshrrev_b32_e32 v3, 24, v3
	s_movk_i32 s8, 0x80
	v_and_or_b32 v5, v3, s8, v4
.LBB97_356:
	s_or_b64 exec, exec, s[10:11]
.LBB97_357:
	s_or_b64 exec, exec, s[6:7]
	s_mov_b64 s[6:7], 0
	global_store_byte v[0:1], v5, off
.LBB97_358:
	s_and_b64 vcc, exec, s[6:7]
	s_cbranch_vccz .LBB97_368
; %bb.359:
	v_cvt_f32_f16_e32 v3, v2
	s_mov_b32 s6, 0x43f00000
                                        ; implicit-def: $vgpr4
	v_and_b32_e32 v5, 0x7fffffff, v3
	v_cmp_gt_u32_e32 vcc, s6, v5
	s_and_saveexec_b64 s[6:7], vcc
	s_xor_b64 s[6:7], exec, s[6:7]
	s_cbranch_execz .LBB97_365
; %bb.360:
	s_mov_b32 s8, 0x3c7fffff
	v_cmp_lt_u32_e32 vcc, s8, v5
                                        ; implicit-def: $vgpr4
	s_and_saveexec_b64 s[8:9], vcc
	s_xor_b64 s[8:9], exec, s[8:9]
; %bb.361:
	v_bfe_u32 v4, v3, 20, 1
	s_mov_b32 s10, 0x407ffff
	v_add3_u32 v4, v3, v4, s10
	v_lshrrev_b32_e32 v5, 20, v4
	v_and_b32_e32 v4, 0xff00000, v4
	s_mov_b32 s10, 0x7f00000
	v_mov_b32_e32 v6, 0x7e
	v_cmp_ne_u32_e32 vcc, s10, v4
	s_nop 1
	v_cndmask_b32_e32 v4, v6, v5, vcc
; %bb.362:
	s_andn2_saveexec_b64 s[8:9], s[8:9]
; %bb.363:
	s_mov_b32 s10, 0x46800000
	v_add_f32_e64 v4, |v3|, s10
; %bb.364:
	s_or_b64 exec, exec, s[8:9]
                                        ; implicit-def: $vgpr5
.LBB97_365:
	s_andn2_saveexec_b64 s[6:7], s[6:7]
; %bb.366:
	s_mov_b32 s8, 0x7f800000
	v_mov_b32_e32 v4, 0x7e
	v_mov_b32_e32 v6, 0x7f
	v_cmp_lt_u32_e32 vcc, s8, v5
	s_nop 1
	v_cndmask_b32_e32 v4, v4, v6, vcc
; %bb.367:
	s_or_b64 exec, exec, s[6:7]
	v_lshrrev_b32_e32 v3, 24, v3
	s_movk_i32 s6, 0x80
	v_and_or_b32 v3, v3, s6, v4
	global_store_byte v[0:1], v3, off
.LBB97_368:
	s_mov_b64 s[6:7], 0
.LBB97_369:
	s_andn2_b64 vcc, exec, s[6:7]
	s_cbranch_vccnz .LBB97_379
; %bb.370:
	v_cvt_f32_f16_e32 v3, v2
	s_mov_b32 s6, 0x47800000
                                        ; implicit-def: $vgpr4
	v_and_b32_e32 v5, 0x7fffffff, v3
	v_cmp_gt_u32_e32 vcc, s6, v5
	s_and_saveexec_b64 s[6:7], vcc
	s_xor_b64 s[6:7], exec, s[6:7]
	s_cbranch_execz .LBB97_376
; %bb.371:
	s_mov_b32 s8, 0x387fffff
	v_cmp_lt_u32_e32 vcc, s8, v5
                                        ; implicit-def: $vgpr4
	s_and_saveexec_b64 s[8:9], vcc
	s_xor_b64 s[8:9], exec, s[8:9]
; %bb.372:
	v_bfe_u32 v4, v3, 21, 1
	s_mov_b32 s10, 0x80fffff
	v_add3_u32 v4, v3, v4, s10
	v_lshrrev_b32_e32 v4, 21, v4
; %bb.373:
	s_andn2_saveexec_b64 s[8:9], s[8:9]
; %bb.374:
	s_mov_b32 s10, 0x43000000
	v_add_f32_e64 v4, |v3|, s10
; %bb.375:
	s_or_b64 exec, exec, s[8:9]
                                        ; implicit-def: $vgpr5
.LBB97_376:
	s_andn2_saveexec_b64 s[6:7], s[6:7]
; %bb.377:
	s_mov_b32 s8, 0x7f800000
	v_mov_b32_e32 v4, 0x7c
	v_mov_b32_e32 v6, 0x7f
	v_cmp_lt_u32_e32 vcc, s8, v5
	s_nop 1
	v_cndmask_b32_e32 v4, v4, v6, vcc
; %bb.378:
	s_or_b64 exec, exec, s[6:7]
	v_lshrrev_b32_e32 v3, 24, v3
	s_movk_i32 s6, 0x80
	v_and_or_b32 v3, v3, s6, v4
	global_store_byte v[0:1], v3, off
.LBB97_379:
	s_mov_b64 s[8:9], 0
	s_mov_b64 s[6:7], -1
.LBB97_380:
	s_andn2_b64 vcc, exec, s[8:9]
	s_cbranch_vccnz .LBB97_388
; %bb.381:
	s_cmp_gt_i32 s13, 14
	s_mov_b64 s[8:9], -1
	s_cbranch_scc0 .LBB97_385
; %bb.382:
	s_cmp_eq_u32 s13, 15
	s_mov_b64 s[2:3], -1
	s_cbranch_scc0 .LBB97_384
; %bb.383:
	v_cvt_f32_f16_e32 v3, v2
	s_movk_i32 s2, 0x7fff
	v_cmp_o_f16_e32 vcc, v2, v2
	v_mov_b32_e32 v4, 0x7fc0
	v_bfe_u32 v5, v3, 16, 1
	v_add3_u32 v3, v3, v5, s2
	v_cndmask_b32_sdwa v3, v4, v3, vcc dst_sel:DWORD dst_unused:UNUSED_PAD src0_sel:DWORD src1_sel:WORD_1
	global_store_short v[0:1], v3, off
	s_mov_b64 s[6:7], -1
	s_mov_b64 s[2:3], 0
.LBB97_384:
	s_mov_b64 s[8:9], 0
.LBB97_385:
	s_and_b64 vcc, exec, s[8:9]
	s_cbranch_vccz .LBB97_388
; %bb.386:
	s_cmp_eq_u32 s13, 11
	s_mov_b64 s[2:3], -1
	s_cbranch_scc0 .LBB97_388
; %bb.387:
	v_cmp_neq_f16_e32 vcc, 0, v2
	s_mov_b64 s[6:7], -1
	s_mov_b64 s[2:3], 0
	v_cndmask_b32_e64 v3, 0, 1, vcc
	global_store_byte v[0:1], v3, off
.LBB97_388:
	s_mov_b64 s[8:9], 0
.LBB97_389:
	s_and_b64 vcc, exec, s[8:9]
	s_cbranch_vccz .LBB97_428
; %bb.390:
	s_and_b32 s8, 0xffff, s12
	s_cmp_lt_i32 s8, 5
	s_mov_b64 s[6:7], -1
	s_cbranch_scc1 .LBB97_411
; %bb.391:
	s_cmp_lt_i32 s8, 8
	s_cbranch_scc1 .LBB97_401
; %bb.392:
	s_cmp_lt_i32 s8, 9
	s_cbranch_scc1 .LBB97_398
; %bb.393:
	s_cmp_gt_i32 s8, 9
	s_cbranch_scc0 .LBB97_395
; %bb.394:
	v_cvt_f32_f16_e32 v3, v2
	v_mov_b32_e32 v6, 0
	v_mov_b32_e32 v7, v6
	s_mov_b64 s[6:7], 0
	v_cvt_f64_f32_e32 v[4:5], v3
	global_store_dwordx4 v[0:1], v[4:7], off
.LBB97_395:
	s_andn2_b64 vcc, exec, s[6:7]
	s_cbranch_vccnz .LBB97_397
; %bb.396:
	v_cvt_f32_f16_e32 v4, v2
	v_mov_b32_e32 v5, 0
	global_store_dwordx2 v[0:1], v[4:5], off
.LBB97_397:
	s_mov_b64 s[6:7], 0
.LBB97_398:
	s_andn2_b64 vcc, exec, s[6:7]
	s_cbranch_vccnz .LBB97_400
; %bb.399:
	global_store_dword v[0:1], v2, off
.LBB97_400:
	s_mov_b64 s[6:7], 0
.LBB97_401:
	s_andn2_b64 vcc, exec, s[6:7]
	s_cbranch_vccnz .LBB97_410
; %bb.402:
	s_cmp_lt_i32 s8, 6
	s_mov_b64 s[6:7], -1
	s_cbranch_scc1 .LBB97_408
; %bb.403:
	s_cmp_gt_i32 s8, 6
	s_cbranch_scc0 .LBB97_405
; %bb.404:
	v_cvt_f32_f16_e32 v3, v2
	s_mov_b64 s[6:7], 0
	v_cvt_f64_f32_e32 v[4:5], v3
	global_store_dwordx2 v[0:1], v[4:5], off
.LBB97_405:
	s_andn2_b64 vcc, exec, s[6:7]
	s_cbranch_vccnz .LBB97_407
; %bb.406:
	v_cvt_f32_f16_e32 v3, v2
	global_store_dword v[0:1], v3, off
.LBB97_407:
	s_mov_b64 s[6:7], 0
.LBB97_408:
	s_andn2_b64 vcc, exec, s[6:7]
	s_cbranch_vccnz .LBB97_410
; %bb.409:
	global_store_short v[0:1], v2, off
.LBB97_410:
	s_mov_b64 s[6:7], 0
.LBB97_411:
	s_andn2_b64 vcc, exec, s[6:7]
	s_cbranch_vccnz .LBB97_427
; %bb.412:
	s_cmp_lt_i32 s8, 2
	s_mov_b64 s[6:7], -1
	s_cbranch_scc1 .LBB97_422
; %bb.413:
	s_cmp_lt_i32 s8, 3
	s_cbranch_scc1 .LBB97_419
; %bb.414:
	s_cmp_gt_i32 s8, 3
	s_cbranch_scc0 .LBB97_416
; %bb.415:
	v_cvt_f32_f16_e32 v3, v2
	s_mov_b64 s[6:7], 0
	v_cvt_i32_f32_e32 v4, v3
	v_ashrrev_i32_e32 v5, 31, v4
	global_store_dwordx2 v[0:1], v[4:5], off
.LBB97_416:
	s_andn2_b64 vcc, exec, s[6:7]
	s_cbranch_vccnz .LBB97_418
; %bb.417:
	v_cvt_f32_f16_e32 v3, v2
	v_cvt_i32_f32_e32 v3, v3
	global_store_dword v[0:1], v3, off
.LBB97_418:
	s_mov_b64 s[6:7], 0
.LBB97_419:
	s_andn2_b64 vcc, exec, s[6:7]
	s_cbranch_vccnz .LBB97_421
; %bb.420:
	v_cvt_i16_f16_e32 v3, v2
	global_store_short v[0:1], v3, off
.LBB97_421:
	s_mov_b64 s[6:7], 0
.LBB97_422:
	s_andn2_b64 vcc, exec, s[6:7]
	s_cbranch_vccnz .LBB97_427
; %bb.423:
	s_cmp_gt_i32 s8, 0
	s_mov_b64 s[6:7], -1
	s_cbranch_scc0 .LBB97_425
; %bb.424:
	v_cvt_i16_f16_e32 v3, v2
	s_mov_b64 s[6:7], 0
	global_store_byte v[0:1], v3, off
.LBB97_425:
	s_andn2_b64 vcc, exec, s[6:7]
	s_cbranch_vccnz .LBB97_427
; %bb.426:
	v_cvt_f32_f16_e32 v2, v2
	v_cvt_i32_f32_e32 v2, v2
	global_store_byte v[0:1], v2, off
.LBB97_427:
	s_mov_b64 s[6:7], -1
.LBB97_428:
	s_andn2_b64 vcc, exec, s[6:7]
	s_cbranch_vccnz .LBB97_430
; %bb.429:
	v_add_u32_e32 v8, 0x80, v8
	s_mov_b64 s[6:7], -1
	s_branch .LBB97_543
.LBB97_430:
	s_mov_b64 s[6:7], 0
	s_branch .LBB97_542
.LBB97_431:
	s_mov_b64 s[4:5], -1
                                        ; implicit-def: $vgpr1
.LBB97_432:
	s_mov_b64 s[6:7], 0
.LBB97_433:
	s_and_b64 vcc, exec, s[6:7]
	s_cbranch_vccz .LBB97_437
; %bb.434:
	s_cmp_eq_u32 s10, 29
	s_cbranch_scc0 .LBB97_436
; %bb.435:
	global_load_dwordx2 v[4:5], v[2:3], off
	s_mov_b64 s[2:3], -1
	s_mov_b64 s[4:5], 0
	s_mov_b64 s[6:7], 0
	s_waitcnt vmcnt(0)
	v_ffbh_u32_e32 v1, v5
	v_min_u32_e32 v1, 32, v1
	v_lshlrev_b64 v[4:5], v1, v[4:5]
	v_min_u32_e32 v4, 1, v4
	v_or_b32_e32 v4, v5, v4
	v_cvt_f32_u32_e32 v4, v4
	v_sub_u32_e32 v1, 32, v1
	v_ldexp_f32 v1, v4, v1
	v_cvt_f16_f32_e32 v1, v1
	s_branch .LBB97_438
.LBB97_436:
	s_mov_b64 s[4:5], -1
                                        ; implicit-def: $vgpr1
.LBB97_437:
	s_mov_b64 s[6:7], 0
.LBB97_438:
	s_and_b64 vcc, exec, s[6:7]
	s_cbranch_vccz .LBB97_456
; %bb.439:
	s_cmp_lt_i32 s10, 27
	s_cbranch_scc1 .LBB97_442
; %bb.440:
	s_cmp_gt_i32 s10, 27
	s_cbranch_scc0 .LBB97_443
; %bb.441:
	global_load_dword v1, v[2:3], off
	s_mov_b64 s[2:3], 0
	s_waitcnt vmcnt(0)
	v_cvt_f32_u32_e32 v1, v1
	v_cvt_f16_f32_e32 v1, v1
	s_branch .LBB97_444
.LBB97_442:
	s_mov_b64 s[2:3], -1
                                        ; implicit-def: $vgpr1
	s_branch .LBB97_447
.LBB97_443:
	s_mov_b64 s[2:3], -1
                                        ; implicit-def: $vgpr1
.LBB97_444:
	s_andn2_b64 vcc, exec, s[2:3]
	s_cbranch_vccnz .LBB97_446
; %bb.445:
	global_load_ushort v1, v[2:3], off
	s_waitcnt vmcnt(0)
	v_cvt_f16_u16_e32 v1, v1
.LBB97_446:
	s_mov_b64 s[2:3], 0
.LBB97_447:
	s_andn2_b64 vcc, exec, s[2:3]
	s_cbranch_vccnz .LBB97_455
; %bb.448:
	global_load_ubyte v4, v[2:3], off
	s_movk_i32 s2, 0x7f
	s_waitcnt vmcnt(0)
	v_cmp_lt_i16_e32 vcc, s2, v4
	s_mov_b64 s[2:3], 0
	s_and_saveexec_b64 s[6:7], vcc
	s_xor_b64 s[6:7], exec, s[6:7]
	s_cbranch_execz .LBB97_469
; %bb.449:
	s_movk_i32 s2, 0x80
	v_cmp_eq_u16_e32 vcc, s2, v4
	s_mov_b64 s[2:3], -1
	s_and_saveexec_b64 s[8:9], vcc
; %bb.450:
	s_xor_b64 s[2:3], exec, -1
; %bb.451:
	s_or_b64 exec, exec, s[8:9]
	s_and_b64 s[2:3], s[2:3], exec
	s_or_saveexec_b64 s[6:7], s[6:7]
	v_mov_b32_e32 v1, 0x7e00
	s_xor_b64 exec, exec, s[6:7]
	s_cbranch_execnz .LBB97_470
.LBB97_452:
	s_or_b64 exec, exec, s[6:7]
	s_and_saveexec_b64 s[6:7], s[2:3]
	s_cbranch_execz .LBB97_454
.LBB97_453:
	v_lshlrev_b32_e32 v1, 24, v4
	v_and_b32_e32 v4, 0xffff, v4
	v_and_b32_e32 v5, 7, v4
	v_ffbh_u32_e32 v7, v5
	v_min_u32_e32 v7, 32, v7
	v_subrev_u32_e32 v9, 28, v7
	v_bfe_u32 v6, v4, 3, 4
	v_lshlrev_b32_e32 v4, v9, v4
	v_sub_u32_e32 v7, 29, v7
	v_and_b32_e32 v4, 7, v4
	v_cmp_eq_u32_e32 vcc, 0, v6
	v_and_b32_e32 v1, 0x80000000, v1
	s_nop 0
	v_cndmask_b32_e32 v6, v6, v7, vcc
	v_cndmask_b32_e32 v4, v5, v4, vcc
	v_mov_b32_e32 v5, 0x3b800000
	v_lshlrev_b32_e32 v4, 20, v4
	v_lshl_add_u32 v5, v6, 23, v5
	v_or3_b32 v1, v1, v5, v4
	v_cvt_f16_f32_e32 v1, v1
.LBB97_454:
	s_or_b64 exec, exec, s[6:7]
.LBB97_455:
	s_mov_b64 s[2:3], -1
.LBB97_456:
	s_mov_b64 s[6:7], 0
.LBB97_457:
	s_and_b64 vcc, exec, s[6:7]
	s_cbranch_vccz .LBB97_492
; %bb.458:
	s_cmp_gt_i32 s10, 22
	s_cbranch_scc0 .LBB97_468
; %bb.459:
	s_cmp_lt_i32 s10, 24
	s_cbranch_scc1 .LBB97_471
; %bb.460:
	s_cmp_gt_i32 s10, 24
	s_cbranch_scc0 .LBB97_472
; %bb.461:
	global_load_ubyte v4, v[2:3], off
	s_movk_i32 s2, 0x7f
	s_waitcnt vmcnt(0)
	v_cmp_lt_i16_e32 vcc, s2, v4
	s_mov_b64 s[2:3], 0
	s_and_saveexec_b64 s[6:7], vcc
	s_xor_b64 s[6:7], exec, s[6:7]
	s_cbranch_execz .LBB97_484
; %bb.462:
	s_movk_i32 s2, 0x80
	v_cmp_eq_u16_e32 vcc, s2, v4
	s_mov_b64 s[2:3], -1
	s_and_saveexec_b64 s[8:9], vcc
; %bb.463:
	s_xor_b64 s[2:3], exec, -1
; %bb.464:
	s_or_b64 exec, exec, s[8:9]
	s_and_b64 s[2:3], s[2:3], exec
	s_or_saveexec_b64 s[6:7], s[6:7]
	v_mov_b32_e32 v1, 0x7e00
	s_xor_b64 exec, exec, s[6:7]
	s_cbranch_execnz .LBB97_485
.LBB97_465:
	s_or_b64 exec, exec, s[6:7]
	s_and_saveexec_b64 s[6:7], s[2:3]
	s_cbranch_execz .LBB97_467
.LBB97_466:
	v_lshlrev_b32_e32 v1, 24, v4
	v_and_b32_e32 v4, 0xffff, v4
	v_and_b32_e32 v5, 3, v4
	v_ffbh_u32_e32 v7, v5
	v_min_u32_e32 v7, 32, v7
	v_subrev_u32_e32 v9, 29, v7
	v_bfe_u32 v6, v4, 2, 5
	v_lshlrev_b32_e32 v4, v9, v4
	v_sub_u32_e32 v7, 30, v7
	v_and_b32_e32 v4, 3, v4
	v_cmp_eq_u32_e32 vcc, 0, v6
	v_and_b32_e32 v1, 0x80000000, v1
	s_nop 0
	v_cndmask_b32_e32 v6, v6, v7, vcc
	v_cndmask_b32_e32 v4, v5, v4, vcc
	v_mov_b32_e32 v5, 0x37800000
	v_lshlrev_b32_e32 v4, 21, v4
	v_lshl_add_u32 v5, v6, 23, v5
	v_or3_b32 v1, v1, v5, v4
	v_cvt_f16_f32_e32 v1, v1
.LBB97_467:
	s_or_b64 exec, exec, s[6:7]
	s_mov_b64 s[2:3], 0
	s_branch .LBB97_473
.LBB97_468:
	s_mov_b64 s[6:7], -1
                                        ; implicit-def: $vgpr1
	s_branch .LBB97_479
.LBB97_469:
	s_or_saveexec_b64 s[6:7], s[6:7]
	v_mov_b32_e32 v1, 0x7e00
	s_xor_b64 exec, exec, s[6:7]
	s_cbranch_execz .LBB97_452
.LBB97_470:
	v_cmp_ne_u16_e32 vcc, 0, v4
	s_andn2_b64 s[2:3], s[2:3], exec
	s_and_b64 s[8:9], vcc, exec
	s_or_b64 s[2:3], s[2:3], s[8:9]
	v_mov_b32_e32 v1, v4
	s_or_b64 exec, exec, s[6:7]
	s_and_saveexec_b64 s[6:7], s[2:3]
	s_cbranch_execnz .LBB97_453
	s_branch .LBB97_454
.LBB97_471:
	s_mov_b64 s[2:3], -1
                                        ; implicit-def: $vgpr1
	s_branch .LBB97_476
.LBB97_472:
	s_mov_b64 s[2:3], -1
                                        ; implicit-def: $vgpr1
.LBB97_473:
	s_and_b64 vcc, exec, s[2:3]
	s_cbranch_vccz .LBB97_475
; %bb.474:
	global_load_ubyte v1, v[2:3], off
	s_mov_b32 s2, 0x7f800000
	s_waitcnt vmcnt(0)
	v_lshlrev_b32_e32 v1, 24, v1
	v_and_b32_e32 v4, 0x7f000000, v1
	v_ffbh_u32_e32 v5, v4
	v_min_u32_e32 v5, 32, v5
	v_sub_u32_e64 v5, v5, 4 clamp
	v_lshlrev_b32_e32 v7, v5, v4
	v_lshlrev_b32_e32 v5, 23, v5
	v_lshrrev_b32_e32 v7, 4, v7
	v_add_u32_e32 v6, 0x1000000, v4
	v_sub_u32_e32 v5, v7, v5
	v_ashrrev_i32_e32 v6, 8, v6
	v_add_u32_e32 v5, 0x3c000000, v5
	v_and_or_b32 v5, v6, s2, v5
	v_cmp_ne_u32_e32 vcc, 0, v4
	s_brev_b32 s2, 1
	s_nop 0
	v_cndmask_b32_e32 v4, 0, v5, vcc
	v_and_or_b32 v1, v1, s2, v4
	v_cvt_f16_f32_e32 v1, v1
.LBB97_475:
	s_mov_b64 s[2:3], 0
.LBB97_476:
	s_andn2_b64 vcc, exec, s[2:3]
	s_cbranch_vccnz .LBB97_478
; %bb.477:
	global_load_ubyte v1, v[2:3], off
	s_movk_i32 s2, 0x7f00
	s_brev_b32 s3, 16
	s_waitcnt vmcnt(0)
	v_lshlrev_b16_e32 v4, 8, v1
	v_lshlrev_b32_e32 v1, 25, v1
	v_lshrrev_b32_e32 v5, 4, v1
	v_and_or_b32 v6, v4, s2, 0.5
	v_or_b32_e32 v5, 0x70000000, v5
	v_add_f32_e32 v6, -0.5, v6
	v_mul_f32_e32 v5, 0x7800000, v5
	v_cmp_gt_u32_e32 vcc, s3, v1
	v_bfe_i32 v4, v4, 0, 16
	s_brev_b32 s2, 1
	v_cndmask_b32_e32 v1, v5, v6, vcc
	v_and_or_b32 v1, v4, s2, v1
	v_cvt_f16_f32_e32 v1, v1
.LBB97_478:
	s_mov_b64 s[6:7], 0
	s_mov_b64 s[2:3], -1
.LBB97_479:
	s_andn2_b64 vcc, exec, s[6:7]
	s_cbranch_vccnz .LBB97_492
; %bb.480:
	s_cmp_gt_i32 s10, 14
	s_cbranch_scc0 .LBB97_483
; %bb.481:
	s_cmp_eq_u32 s10, 15
	s_cbranch_scc0 .LBB97_486
; %bb.482:
	global_load_ushort v1, v[2:3], off
	s_mov_b64 s[2:3], -1
	s_mov_b64 s[4:5], 0
	s_waitcnt vmcnt(0)
	v_lshlrev_b32_e32 v1, 16, v1
	v_cvt_f16_f32_e32 v1, v1
	s_branch .LBB97_487
.LBB97_483:
	s_mov_b64 s[6:7], -1
                                        ; implicit-def: $vgpr1
	s_branch .LBB97_488
.LBB97_484:
	s_or_saveexec_b64 s[6:7], s[6:7]
	v_mov_b32_e32 v1, 0x7e00
	s_xor_b64 exec, exec, s[6:7]
	s_cbranch_execz .LBB97_465
.LBB97_485:
	v_cmp_ne_u16_e32 vcc, 0, v4
	s_andn2_b64 s[2:3], s[2:3], exec
	s_and_b64 s[8:9], vcc, exec
	s_or_b64 s[2:3], s[2:3], s[8:9]
	v_mov_b32_e32 v1, v4
	s_or_b64 exec, exec, s[6:7]
	s_and_saveexec_b64 s[6:7], s[2:3]
	s_cbranch_execnz .LBB97_466
	s_branch .LBB97_467
.LBB97_486:
	s_mov_b64 s[4:5], -1
                                        ; implicit-def: $vgpr1
.LBB97_487:
	s_mov_b64 s[6:7], 0
.LBB97_488:
	s_and_b64 vcc, exec, s[6:7]
	s_cbranch_vccz .LBB97_492
; %bb.489:
	s_cmp_eq_u32 s10, 11
	s_cbranch_scc0 .LBB97_491
; %bb.490:
	global_load_ubyte v1, v[2:3], off
	v_mov_b32_e32 v4, 0x3c00
	s_mov_b64 s[2:3], -1
	s_mov_b64 s[4:5], 0
	s_waitcnt vmcnt(0)
	v_cmp_ne_u16_e32 vcc, 0, v1
	s_nop 1
	v_cndmask_b32_e32 v1, 0, v4, vcc
	s_branch .LBB97_492
.LBB97_491:
	s_mov_b64 s[4:5], -1
                                        ; implicit-def: $vgpr1
.LBB97_492:
	s_branch .LBB97_295
.LBB97_493:
	s_cmp_lt_i32 s10, 5
	s_cbranch_scc1 .LBB97_498
; %bb.494:
	s_cmp_lt_i32 s10, 8
	s_cbranch_scc1 .LBB97_499
; %bb.495:
	;; [unrolled: 3-line block ×3, first 2 shown]
	s_cmp_gt_i32 s10, 9
	s_cbranch_scc0 .LBB97_501
; %bb.497:
	global_load_dwordx2 v[4:5], v[2:3], off
	s_movk_i32 s2, 0x1ff
	s_movk_i32 s3, 0xffe
	s_waitcnt vmcnt(1)
	v_mov_b32_e32 v1, 0x7c00
	v_mov_b32_e32 v6, 0x7e00
	s_movk_i32 s6, 0x40f
	s_mov_b32 s7, 0x8000
	s_waitcnt vmcnt(0)
	v_and_or_b32 v4, v5, s2, v4
	v_cmp_ne_u32_e32 vcc, 0, v4
	v_lshrrev_b32_e32 v7, 8, v5
	v_bfe_u32 v9, v5, 20, 11
	v_cndmask_b32_e64 v4, 0, 1, vcc
	v_sub_u32_e32 v10, 0x3f1, v9
	v_and_or_b32 v4, v7, s3, v4
	v_add_u32_e32 v9, 0xfffffc10, v9
	v_med3_i32 v7, v10, 0, 13
	v_or_b32_e32 v10, 0x1000, v4
	v_cmp_ne_u32_e32 vcc, 0, v4
	v_lshl_or_b32 v11, v9, 12, v4
	v_lshrrev_b32_e32 v5, 16, v5
	v_cndmask_b32_e32 v4, v1, v6, vcc
	v_lshrrev_b32_e32 v6, v7, v10
	v_lshlrev_b32_e32 v7, v7, v6
	v_cmp_ne_u32_e32 vcc, v7, v10
	s_mov_b64 s[2:3], 0
	s_nop 0
	v_cndmask_b32_e64 v7, 0, 1, vcc
	v_or_b32_e32 v6, v6, v7
	v_cmp_gt_i32_e32 vcc, 1, v9
	s_nop 1
	v_cndmask_b32_e32 v6, v11, v6, vcc
	v_and_b32_e32 v7, 7, v6
	v_cmp_lt_i32_e32 vcc, 5, v7
	v_lshrrev_b32_e32 v6, 2, v6
	s_nop 0
	v_cndmask_b32_e64 v10, 0, 1, vcc
	v_cmp_eq_u32_e32 vcc, 3, v7
	s_nop 1
	v_cndmask_b32_e64 v7, 0, 1, vcc
	v_or_b32_e32 v7, v7, v10
	v_add_u32_e32 v6, v6, v7
	v_cmp_gt_i32_e32 vcc, 31, v9
	s_nop 1
	v_cndmask_b32_e32 v1, v1, v6, vcc
	v_cmp_eq_u32_e32 vcc, s6, v9
	s_nop 1
	v_cndmask_b32_e32 v1, v1, v4, vcc
	v_and_or_b32 v1, v5, s7, v1
	s_branch .LBB97_502
.LBB97_498:
	s_mov_b64 s[2:3], -1
                                        ; implicit-def: $vgpr1
	s_branch .LBB97_520
.LBB97_499:
	s_mov_b64 s[2:3], -1
                                        ; implicit-def: $vgpr1
	s_branch .LBB97_508
.LBB97_500:
	s_mov_b64 s[2:3], -1
                                        ; implicit-def: $vgpr1
	s_branch .LBB97_505
.LBB97_501:
	s_mov_b64 s[2:3], -1
                                        ; implicit-def: $vgpr1
.LBB97_502:
	s_andn2_b64 vcc, exec, s[2:3]
	s_cbranch_vccnz .LBB97_504
; %bb.503:
	global_load_dword v1, v[2:3], off
	s_waitcnt vmcnt(0)
	v_cvt_f16_f32_e32 v1, v1
.LBB97_504:
	s_mov_b64 s[2:3], 0
.LBB97_505:
	s_andn2_b64 vcc, exec, s[2:3]
	s_cbranch_vccnz .LBB97_507
; %bb.506:
	global_load_dword v1, v[2:3], off
.LBB97_507:
	s_mov_b64 s[2:3], 0
.LBB97_508:
	s_andn2_b64 vcc, exec, s[2:3]
	s_cbranch_vccnz .LBB97_519
; %bb.509:
	s_cmp_lt_i32 s10, 6
	s_cbranch_scc1 .LBB97_512
; %bb.510:
	s_cmp_gt_i32 s10, 6
	s_cbranch_scc0 .LBB97_513
; %bb.511:
	global_load_dwordx2 v[4:5], v[2:3], off
	s_movk_i32 s2, 0x1ff
	s_movk_i32 s3, 0xffe
	s_waitcnt vmcnt(1)
	v_mov_b32_e32 v1, 0x7c00
	v_mov_b32_e32 v6, 0x7e00
	s_movk_i32 s6, 0x40f
	s_mov_b32 s7, 0x8000
	s_waitcnt vmcnt(0)
	v_and_or_b32 v4, v5, s2, v4
	v_cmp_ne_u32_e32 vcc, 0, v4
	v_lshrrev_b32_e32 v7, 8, v5
	v_bfe_u32 v9, v5, 20, 11
	v_cndmask_b32_e64 v4, 0, 1, vcc
	v_sub_u32_e32 v10, 0x3f1, v9
	v_and_or_b32 v4, v7, s3, v4
	v_add_u32_e32 v9, 0xfffffc10, v9
	v_med3_i32 v7, v10, 0, 13
	v_or_b32_e32 v10, 0x1000, v4
	v_cmp_ne_u32_e32 vcc, 0, v4
	v_lshl_or_b32 v11, v9, 12, v4
	v_lshrrev_b32_e32 v5, 16, v5
	v_cndmask_b32_e32 v4, v1, v6, vcc
	v_lshrrev_b32_e32 v6, v7, v10
	v_lshlrev_b32_e32 v7, v7, v6
	v_cmp_ne_u32_e32 vcc, v7, v10
	s_mov_b64 s[2:3], 0
	s_nop 0
	v_cndmask_b32_e64 v7, 0, 1, vcc
	v_or_b32_e32 v6, v6, v7
	v_cmp_gt_i32_e32 vcc, 1, v9
	s_nop 1
	v_cndmask_b32_e32 v6, v11, v6, vcc
	v_and_b32_e32 v7, 7, v6
	v_cmp_lt_i32_e32 vcc, 5, v7
	v_lshrrev_b32_e32 v6, 2, v6
	s_nop 0
	v_cndmask_b32_e64 v10, 0, 1, vcc
	v_cmp_eq_u32_e32 vcc, 3, v7
	s_nop 1
	v_cndmask_b32_e64 v7, 0, 1, vcc
	v_or_b32_e32 v7, v7, v10
	v_add_u32_e32 v6, v6, v7
	v_cmp_gt_i32_e32 vcc, 31, v9
	s_nop 1
	v_cndmask_b32_e32 v1, v1, v6, vcc
	v_cmp_eq_u32_e32 vcc, s6, v9
	s_nop 1
	v_cndmask_b32_e32 v1, v1, v4, vcc
	v_and_or_b32 v1, v5, s7, v1
	s_branch .LBB97_514
.LBB97_512:
	s_mov_b64 s[2:3], -1
                                        ; implicit-def: $vgpr1
	s_branch .LBB97_517
.LBB97_513:
	s_mov_b64 s[2:3], -1
                                        ; implicit-def: $vgpr1
.LBB97_514:
	s_andn2_b64 vcc, exec, s[2:3]
	s_cbranch_vccnz .LBB97_516
; %bb.515:
	global_load_dword v1, v[2:3], off
	s_waitcnt vmcnt(0)
	v_cvt_f16_f32_e32 v1, v1
.LBB97_516:
	s_mov_b64 s[2:3], 0
.LBB97_517:
	s_andn2_b64 vcc, exec, s[2:3]
	s_cbranch_vccnz .LBB97_519
; %bb.518:
	global_load_ushort v1, v[2:3], off
.LBB97_519:
	s_mov_b64 s[2:3], 0
.LBB97_520:
	s_andn2_b64 vcc, exec, s[2:3]
	s_cbranch_vccnz .LBB97_540
; %bb.521:
	s_cmp_lt_i32 s10, 2
	s_cbranch_scc1 .LBB97_525
; %bb.522:
	s_cmp_lt_i32 s10, 3
	s_cbranch_scc1 .LBB97_526
; %bb.523:
	s_cmp_gt_i32 s10, 3
	s_cbranch_scc0 .LBB97_527
; %bb.524:
	global_load_dwordx2 v[4:5], v[2:3], off
	s_mov_b64 s[2:3], 0
	s_waitcnt vmcnt(0)
	v_xor_b32_e32 v6, v4, v5
	v_ffbh_i32_e32 v1, v5
	v_ashrrev_i32_e32 v6, 31, v6
	v_add_u32_e32 v1, -1, v1
	v_add_u32_e32 v6, 32, v6
	v_min_u32_e32 v1, v1, v6
	v_lshlrev_b64 v[4:5], v1, v[4:5]
	v_min_u32_e32 v4, 1, v4
	v_or_b32_e32 v4, v5, v4
	v_cvt_f32_i32_e32 v4, v4
	v_sub_u32_e32 v1, 32, v1
	v_ldexp_f32 v1, v4, v1
	v_cvt_f16_f32_e32 v1, v1
	s_branch .LBB97_528
.LBB97_525:
	s_mov_b64 s[2:3], -1
                                        ; implicit-def: $vgpr1
	s_branch .LBB97_534
.LBB97_526:
	s_mov_b64 s[2:3], -1
                                        ; implicit-def: $vgpr1
	s_branch .LBB97_531
.LBB97_527:
	s_mov_b64 s[2:3], -1
                                        ; implicit-def: $vgpr1
.LBB97_528:
	s_andn2_b64 vcc, exec, s[2:3]
	s_cbranch_vccnz .LBB97_530
; %bb.529:
	global_load_dword v1, v[2:3], off
	s_waitcnt vmcnt(0)
	v_cvt_f32_i32_e32 v1, v1
	v_cvt_f16_f32_e32 v1, v1
.LBB97_530:
	s_mov_b64 s[2:3], 0
.LBB97_531:
	s_andn2_b64 vcc, exec, s[2:3]
	s_cbranch_vccnz .LBB97_533
; %bb.532:
	global_load_ushort v1, v[2:3], off
	s_waitcnt vmcnt(0)
	v_cvt_f16_i16_e32 v1, v1
.LBB97_533:
	s_mov_b64 s[2:3], 0
.LBB97_534:
	s_andn2_b64 vcc, exec, s[2:3]
	s_cbranch_vccnz .LBB97_540
; %bb.535:
	s_cmp_gt_i32 s10, 0
	s_cbranch_scc0 .LBB97_537
; %bb.536:
	global_load_sbyte v1, v[2:3], off
	s_mov_b64 s[2:3], 0
	s_waitcnt vmcnt(0)
	v_cvt_f16_i16_e32 v1, v1
	s_branch .LBB97_538
.LBB97_537:
	s_mov_b64 s[2:3], -1
                                        ; implicit-def: $vgpr1
.LBB97_538:
	s_andn2_b64 vcc, exec, s[2:3]
	s_cbranch_vccnz .LBB97_540
; %bb.539:
	global_load_ubyte v1, v[2:3], off
	s_waitcnt vmcnt(0)
	v_cvt_f16_u16_e32 v1, v1
.LBB97_540:
	s_branch .LBB97_296
.LBB97_541:
	s_mov_b64 s[6:7], 0
	s_mov_b64 s[2:3], s[54:55]
.LBB97_542:
                                        ; implicit-def: $vgpr8
.LBB97_543:
	s_andn2_b64 s[8:9], s[54:55], exec
	s_and_b64 s[2:3], s[2:3], exec
	s_or_b64 s[62:63], s[8:9], s[2:3]
	s_andn2_b64 s[2:3], s[56:57], exec
	s_and_b64 s[4:5], s[4:5], exec
	s_or_b64 s[60:61], s[2:3], s[4:5]
	s_orn2_b64 s[2:3], s[6:7], exec
.LBB97_544:
	s_or_b64 exec, exec, s[64:65]
	s_mov_b64 s[4:5], 0
	s_mov_b64 s[6:7], 0
	;; [unrolled: 1-line block ×3, first 2 shown]
                                        ; implicit-def: $vgpr2_vgpr3
                                        ; implicit-def: $vgpr0
                                        ; implicit-def: $vgpr1
	s_and_saveexec_b64 s[64:65], s[2:3]
	s_cbranch_execz .LBB97_921
; %bb.545:
	v_cmp_gt_i32_e32 vcc, s70, v8
	s_mov_b64 s[6:7], -1
	s_mov_b64 s[2:3], s[60:61]
	s_mov_b64 s[68:69], s[62:63]
	s_and_saveexec_b64 s[66:67], vcc
	s_cbranch_execz .LBB97_820
; %bb.546:
	s_andn2_b64 vcc, exec, s[42:43]
	s_cbranch_vccnz .LBB97_552
; %bb.547:
	s_andn2_b64 vcc, exec, s[52:53]
	s_cbranch_vccnz .LBB97_553
; %bb.548:
	s_add_i32 s76, s75, 1
	s_cmp_eq_u32 s72, 2
	s_cbranch_scc1 .LBB97_554
; %bb.549:
	s_and_b32 s71, s76, 28
	s_mov_b32 s77, 0
	v_mov_b32_e32 v0, 0
	v_mov_b32_e32 v2, 0
	s_mov_b64 s[2:3], s[34:35]
	s_mov_b64 s[68:69], s[50:51]
	v_mov_b32_e32 v4, v8
.LBB97_550:                             ; =>This Inner Loop Header: Depth=1
	s_load_dwordx8 s[12:19], s[2:3], 0x4
	s_load_dwordx4 s[36:39], s[2:3], 0x24
	s_load_dwordx8 s[4:11], s[68:69], 0x0
	s_add_u32 s2, s2, 48
	s_addc_u32 s3, s3, 0
	s_waitcnt vmcnt(0) lgkmcnt(0)
	v_mul_hi_u32 v1, s13, v4
	v_add_u32_e32 v1, v4, v1
	v_lshrrev_b32_e32 v1, s14, v1
	v_mul_lo_u32 v3, v1, s12
	v_mul_hi_u32 v5, s16, v1
	v_sub_u32_e32 v3, v4, v3
	v_add_u32_e32 v4, v1, v5
	v_lshrrev_b32_e32 v4, s17, v4
	v_mul_lo_u32 v6, v4, s15
	v_mul_hi_u32 v7, s19, v4
	v_sub_u32_e32 v1, v1, v6
	v_add_u32_e32 v6, v4, v7
	v_mul_lo_u32 v5, v3, s5
	v_mul_lo_u32 v3, v3, s4
	;; [unrolled: 1-line block ×4, first 2 shown]
	v_lshrrev_b32_e32 v6, s36, v6
	v_add3_u32 v0, v3, v0, v1
	v_mul_hi_u32 v3, s38, v6
	v_add3_u32 v1, v5, v2, v7
	v_mul_lo_u32 v2, v6, s18
	v_add_u32_e32 v3, v6, v3
	v_sub_u32_e32 v2, v4, v2
	v_lshrrev_b32_e32 v4, s39, v3
	s_add_i32 s77, s77, 4
	v_mul_lo_u32 v3, v4, s37
	s_add_u32 s68, s68, 32
	v_sub_u32_e32 v3, v6, v3
	s_addc_u32 s69, s69, 0
	v_mul_lo_u32 v5, v2, s8
	v_mul_lo_u32 v2, v2, s9
	;; [unrolled: 1-line block ×4, first 2 shown]
	s_cmp_eq_u32 s71, s77
	v_add3_u32 v2, v2, v1, v3
	v_add3_u32 v0, v5, v0, v6
	s_cbranch_scc0 .LBB97_550
; %bb.551:
	v_mov_b32_e32 v1, v2
	s_branch .LBB97_555
.LBB97_552:
	s_mov_b64 s[2:3], -1
                                        ; implicit-def: $vgpr2
                                        ; implicit-def: $vgpr0
	s_branch .LBB97_559
.LBB97_553:
	v_mov_b32_e32 v2, 0
	v_mov_b32_e32 v0, 0
	s_branch .LBB97_558
.LBB97_554:
	v_mov_b32_e32 v0, 0
	s_mov_b32 s71, 0
	s_waitcnt vmcnt(0)
	v_mov_b32_e32 v1, v0
                                        ; implicit-def: $vgpr2
	v_mov_b32_e32 v4, v8
.LBB97_555:
	s_and_b32 s6, s76, 3
	s_cmp_eq_u32 s6, 0
	s_cbranch_scc1 .LBB97_558
; %bb.556:
	s_lshl_b32 s2, s71, 3
	s_add_u32 s2, s34, s2
	s_addc_u32 s3, s35, 0
	s_add_u32 s2, s2, 0xc4
	s_addc_u32 s3, s3, 0
	s_mul_i32 s4, s71, 12
	s_add_u32 s4, s34, s4
	s_addc_u32 s5, s35, 0
.LBB97_557:                             ; =>This Inner Loop Header: Depth=1
	s_load_dwordx2 s[8:9], s[4:5], 0x4
	s_load_dword s7, s[4:5], 0xc
	s_load_dwordx2 s[10:11], s[2:3], 0x0
	v_mov_b32_e32 v2, v1
	s_add_u32 s4, s4, 12
	s_waitcnt lgkmcnt(0)
	v_mul_hi_u32 v1, s9, v4
	v_add_u32_e32 v1, v4, v1
	v_lshrrev_b32_e32 v1, s7, v1
	s_addc_u32 s5, s5, 0
	v_mul_lo_u32 v3, v1, s8
	s_add_u32 s2, s2, 8
	v_sub_u32_e32 v5, v4, v3
	s_addc_u32 s3, s3, 0
	s_add_i32 s6, s6, -1
	v_mov_b32_e32 v4, v1
	v_mad_u64_u32 v[2:3], s[8:9], v5, s11, v[2:3]
	v_mad_u64_u32 v[0:1], s[8:9], v5, s10, v[0:1]
	s_cmp_lg_u32 s6, 0
	v_mov_b32_e32 v1, v2
	s_cbranch_scc1 .LBB97_557
.LBB97_558:
	s_mov_b64 s[2:3], 0
.LBB97_559:
	s_andn2_b64 vcc, exec, s[2:3]
	s_cbranch_vccnz .LBB97_562
; %bb.560:
	s_waitcnt lgkmcnt(0)
	v_mul_hi_u32 v0, s29, v8
	v_add_u32_e32 v0, v8, v0
	s_waitcnt vmcnt(0)
	v_lshrrev_b32_e32 v1, s30, v0
	v_mul_lo_u32 v0, v1, s28
	v_sub_u32_e32 v0, v8, v0
	v_mul_lo_u32 v2, v0, s25
	s_andn2_b64 vcc, exec, s[48:49]
	v_mul_lo_u32 v0, v0, s24
	s_cbranch_vccnz .LBB97_562
; %bb.561:
	v_mul_hi_u32 v3, s46, v1
	v_add_u32_e32 v3, v1, v3
	v_lshrrev_b32_e32 v3, s47, v3
	v_mul_lo_u32 v3, v3, s31
	v_sub_u32_e32 v3, v1, v3
	v_mad_u64_u32 v[0:1], s[2:3], v3, s26, v[0:1]
	v_mad_u64_u32 v[2:3], s[2:3], v3, s27, v[2:3]
.LBB97_562:
	v_mov_b32_e32 v3, 0
	s_and_b32 s10, 0xffff, s74
	s_cmp_lt_i32 s10, 11
	s_waitcnt lgkmcnt(0)
	v_lshl_add_u64 v[2:3], s[22:23], 0, v[2:3]
	s_cbranch_scc1 .LBB97_569
; %bb.563:
	s_cmp_gt_i32 s10, 25
	s_cbranch_scc0 .LBB97_570
; %bb.564:
	s_cmp_gt_i32 s10, 28
	s_cbranch_scc0 .LBB97_571
	;; [unrolled: 3-line block ×4, first 2 shown]
; %bb.567:
	s_cmp_eq_u32 s10, 46
	s_mov_b64 s[6:7], 0
	s_cbranch_scc0 .LBB97_578
; %bb.568:
	global_load_dword v1, v[2:3], off
	s_mov_b64 s[2:3], -1
	s_mov_b64 s[4:5], 0
	s_waitcnt vmcnt(0)
	v_lshlrev_b32_e32 v1, 16, v1
	v_cvt_f16_f32_e32 v1, v1
	s_branch .LBB97_579
.LBB97_569:
	s_mov_b64 s[6:7], -1
	s_mov_b64 s[2:3], 0
                                        ; implicit-def: $vgpr1
	s_mov_b64 s[4:5], s[60:61]
	s_branch .LBB97_644
.LBB97_570:
	s_mov_b64 s[6:7], -1
	s_mov_b64 s[2:3], 0
	s_mov_b64 s[4:5], s[60:61]
                                        ; implicit-def: $vgpr1
	s_branch .LBB97_608
.LBB97_571:
	s_mov_b64 s[6:7], -1
	s_mov_b64 s[2:3], 0
	s_mov_b64 s[4:5], s[60:61]
                                        ; implicit-def: $vgpr1
	s_branch .LBB97_589
.LBB97_572:
	s_mov_b64 s[6:7], -1
	s_mov_b64 s[2:3], 0
	s_mov_b64 s[4:5], s[60:61]
                                        ; implicit-def: $vgpr1
	s_branch .LBB97_584
.LBB97_573:
	s_andn2_saveexec_b64 s[10:11], s[10:11]
	s_cbranch_execz .LBB97_341
.LBB97_574:
	s_mov_b32 s14, 0x46000000
	v_add_f32_e64 v4, |v3|, s14
	v_and_b32_e32 v4, 0xff, v4
	v_cmp_ne_u32_e32 vcc, 0, v4
	s_andn2_b64 s[8:9], s[8:9], exec
	s_and_b64 s[14:15], vcc, exec
	s_or_b64 s[8:9], s[8:9], s[14:15]
	s_or_b64 exec, exec, s[10:11]
	v_mov_b32_e32 v5, 0
	s_and_saveexec_b64 s[10:11], s[8:9]
	s_cbranch_execnz .LBB97_342
	s_branch .LBB97_343
.LBB97_575:
	s_mov_b64 s[6:7], -1
	s_mov_b64 s[2:3], 0
	s_mov_b64 s[4:5], s[60:61]
                                        ; implicit-def: $vgpr1
	s_branch .LBB97_579
.LBB97_576:
	s_andn2_saveexec_b64 s[10:11], s[10:11]
	s_cbranch_execz .LBB97_354
.LBB97_577:
	s_mov_b32 s14, 0x42800000
	v_add_f32_e64 v4, |v3|, s14
	v_and_b32_e32 v4, 0xff, v4
	v_cmp_ne_u32_e32 vcc, 0, v4
	s_andn2_b64 s[8:9], s[8:9], exec
	s_and_b64 s[14:15], vcc, exec
	s_or_b64 s[8:9], s[8:9], s[14:15]
	s_or_b64 exec, exec, s[10:11]
	v_mov_b32_e32 v5, 0
	s_and_saveexec_b64 s[10:11], s[8:9]
	s_cbranch_execnz .LBB97_355
	s_branch .LBB97_356
.LBB97_578:
	s_mov_b64 s[4:5], -1
                                        ; implicit-def: $vgpr1
	s_mov_b64 s[2:3], 0
.LBB97_579:
	s_and_b64 vcc, exec, s[6:7]
	s_cbranch_vccz .LBB97_583
; %bb.580:
	s_cmp_eq_u32 s10, 44
	s_cbranch_scc0 .LBB97_582
; %bb.581:
	global_load_ubyte v1, v[2:3], off
	s_movk_i32 s4, 0xff
	v_mov_b32_e32 v5, 0x7e00
	s_mov_b64 s[2:3], -1
	s_waitcnt vmcnt(0)
	v_lshlrev_b32_e32 v4, 23, v1
	v_cvt_f16_f32_e32 v4, v4
	v_cmp_ne_u32_e32 vcc, s4, v1
	s_mov_b64 s[4:5], 0
	s_nop 0
	v_cndmask_b32_e32 v4, v5, v4, vcc
	v_cmp_ne_u32_e32 vcc, 0, v1
	s_nop 1
	v_cndmask_b32_e32 v1, 0, v4, vcc
	s_branch .LBB97_583
.LBB97_582:
	s_mov_b64 s[4:5], -1
                                        ; implicit-def: $vgpr1
.LBB97_583:
	s_mov_b64 s[6:7], 0
.LBB97_584:
	s_and_b64 vcc, exec, s[6:7]
	s_cbranch_vccz .LBB97_588
; %bb.585:
	s_cmp_eq_u32 s10, 29
	s_cbranch_scc0 .LBB97_587
; %bb.586:
	global_load_dwordx2 v[4:5], v[2:3], off
	s_mov_b64 s[2:3], -1
	s_mov_b64 s[4:5], 0
	s_mov_b64 s[6:7], 0
	s_waitcnt vmcnt(0)
	v_ffbh_u32_e32 v1, v5
	v_min_u32_e32 v1, 32, v1
	v_lshlrev_b64 v[4:5], v1, v[4:5]
	v_min_u32_e32 v4, 1, v4
	v_or_b32_e32 v4, v5, v4
	v_cvt_f32_u32_e32 v4, v4
	v_sub_u32_e32 v1, 32, v1
	v_ldexp_f32 v1, v4, v1
	v_cvt_f16_f32_e32 v1, v1
	s_branch .LBB97_589
.LBB97_587:
	s_mov_b64 s[4:5], -1
                                        ; implicit-def: $vgpr1
.LBB97_588:
	s_mov_b64 s[6:7], 0
.LBB97_589:
	s_and_b64 vcc, exec, s[6:7]
	s_cbranch_vccz .LBB97_607
; %bb.590:
	s_cmp_lt_i32 s10, 27
	s_cbranch_scc1 .LBB97_593
; %bb.591:
	s_cmp_gt_i32 s10, 27
	s_cbranch_scc0 .LBB97_594
; %bb.592:
	global_load_dword v1, v[2:3], off
	s_mov_b64 s[2:3], 0
	s_waitcnt vmcnt(0)
	v_cvt_f32_u32_e32 v1, v1
	v_cvt_f16_f32_e32 v1, v1
	s_branch .LBB97_595
.LBB97_593:
	s_mov_b64 s[2:3], -1
                                        ; implicit-def: $vgpr1
	s_branch .LBB97_598
.LBB97_594:
	s_mov_b64 s[2:3], -1
                                        ; implicit-def: $vgpr1
.LBB97_595:
	s_andn2_b64 vcc, exec, s[2:3]
	s_cbranch_vccnz .LBB97_597
; %bb.596:
	global_load_ushort v1, v[2:3], off
	s_waitcnt vmcnt(0)
	v_cvt_f16_u16_e32 v1, v1
.LBB97_597:
	s_mov_b64 s[2:3], 0
.LBB97_598:
	s_andn2_b64 vcc, exec, s[2:3]
	s_cbranch_vccnz .LBB97_606
; %bb.599:
	global_load_ubyte v4, v[2:3], off
	s_movk_i32 s2, 0x7f
	s_waitcnt vmcnt(0)
	v_cmp_lt_i16_e32 vcc, s2, v4
	s_mov_b64 s[2:3], 0
	s_and_saveexec_b64 s[6:7], vcc
	s_xor_b64 s[6:7], exec, s[6:7]
	s_cbranch_execz .LBB97_620
; %bb.600:
	s_movk_i32 s2, 0x80
	v_cmp_eq_u16_e32 vcc, s2, v4
	s_mov_b64 s[2:3], -1
	s_and_saveexec_b64 s[8:9], vcc
; %bb.601:
	s_xor_b64 s[2:3], exec, -1
; %bb.602:
	s_or_b64 exec, exec, s[8:9]
	s_and_b64 s[2:3], s[2:3], exec
	s_or_saveexec_b64 s[6:7], s[6:7]
	v_mov_b32_e32 v1, 0x7e00
	s_xor_b64 exec, exec, s[6:7]
	s_cbranch_execnz .LBB97_621
.LBB97_603:
	s_or_b64 exec, exec, s[6:7]
	s_and_saveexec_b64 s[6:7], s[2:3]
	s_cbranch_execz .LBB97_605
.LBB97_604:
	v_lshlrev_b32_e32 v1, 24, v4
	v_and_b32_e32 v4, 0xffff, v4
	v_and_b32_e32 v5, 7, v4
	v_ffbh_u32_e32 v7, v5
	v_min_u32_e32 v7, 32, v7
	v_subrev_u32_e32 v9, 28, v7
	v_bfe_u32 v6, v4, 3, 4
	v_lshlrev_b32_e32 v4, v9, v4
	v_sub_u32_e32 v7, 29, v7
	v_and_b32_e32 v4, 7, v4
	v_cmp_eq_u32_e32 vcc, 0, v6
	v_and_b32_e32 v1, 0x80000000, v1
	s_nop 0
	v_cndmask_b32_e32 v6, v6, v7, vcc
	v_cndmask_b32_e32 v4, v5, v4, vcc
	v_mov_b32_e32 v5, 0x3b800000
	v_lshlrev_b32_e32 v4, 20, v4
	v_lshl_add_u32 v5, v6, 23, v5
	v_or3_b32 v1, v1, v5, v4
	v_cvt_f16_f32_e32 v1, v1
.LBB97_605:
	s_or_b64 exec, exec, s[6:7]
.LBB97_606:
	s_mov_b64 s[2:3], -1
.LBB97_607:
	s_mov_b64 s[6:7], 0
.LBB97_608:
	s_and_b64 vcc, exec, s[6:7]
	s_cbranch_vccz .LBB97_643
; %bb.609:
	s_cmp_gt_i32 s10, 22
	s_cbranch_scc0 .LBB97_619
; %bb.610:
	s_cmp_lt_i32 s10, 24
	s_cbranch_scc1 .LBB97_622
; %bb.611:
	s_cmp_gt_i32 s10, 24
	s_cbranch_scc0 .LBB97_623
; %bb.612:
	global_load_ubyte v4, v[2:3], off
	s_movk_i32 s2, 0x7f
	s_waitcnt vmcnt(0)
	v_cmp_lt_i16_e32 vcc, s2, v4
	s_mov_b64 s[2:3], 0
	s_and_saveexec_b64 s[6:7], vcc
	s_xor_b64 s[6:7], exec, s[6:7]
	s_cbranch_execz .LBB97_635
; %bb.613:
	s_movk_i32 s2, 0x80
	v_cmp_eq_u16_e32 vcc, s2, v4
	s_mov_b64 s[2:3], -1
	s_and_saveexec_b64 s[8:9], vcc
; %bb.614:
	s_xor_b64 s[2:3], exec, -1
; %bb.615:
	s_or_b64 exec, exec, s[8:9]
	s_and_b64 s[2:3], s[2:3], exec
	s_or_saveexec_b64 s[6:7], s[6:7]
	v_mov_b32_e32 v1, 0x7e00
	s_xor_b64 exec, exec, s[6:7]
	s_cbranch_execnz .LBB97_636
.LBB97_616:
	s_or_b64 exec, exec, s[6:7]
	s_and_saveexec_b64 s[6:7], s[2:3]
	s_cbranch_execz .LBB97_618
.LBB97_617:
	v_lshlrev_b32_e32 v1, 24, v4
	v_and_b32_e32 v4, 0xffff, v4
	v_and_b32_e32 v5, 3, v4
	v_ffbh_u32_e32 v7, v5
	v_min_u32_e32 v7, 32, v7
	v_subrev_u32_e32 v9, 29, v7
	v_bfe_u32 v6, v4, 2, 5
	v_lshlrev_b32_e32 v4, v9, v4
	v_sub_u32_e32 v7, 30, v7
	v_and_b32_e32 v4, 3, v4
	v_cmp_eq_u32_e32 vcc, 0, v6
	v_and_b32_e32 v1, 0x80000000, v1
	s_nop 0
	v_cndmask_b32_e32 v6, v6, v7, vcc
	v_cndmask_b32_e32 v4, v5, v4, vcc
	v_mov_b32_e32 v5, 0x37800000
	v_lshlrev_b32_e32 v4, 21, v4
	v_lshl_add_u32 v5, v6, 23, v5
	v_or3_b32 v1, v1, v5, v4
	v_cvt_f16_f32_e32 v1, v1
.LBB97_618:
	s_or_b64 exec, exec, s[6:7]
	s_mov_b64 s[2:3], 0
	s_branch .LBB97_624
.LBB97_619:
	s_mov_b64 s[6:7], -1
                                        ; implicit-def: $vgpr1
	s_branch .LBB97_630
.LBB97_620:
	s_or_saveexec_b64 s[6:7], s[6:7]
	v_mov_b32_e32 v1, 0x7e00
	s_xor_b64 exec, exec, s[6:7]
	s_cbranch_execz .LBB97_603
.LBB97_621:
	v_cmp_ne_u16_e32 vcc, 0, v4
	s_andn2_b64 s[2:3], s[2:3], exec
	s_and_b64 s[8:9], vcc, exec
	s_or_b64 s[2:3], s[2:3], s[8:9]
	v_mov_b32_e32 v1, v4
	s_or_b64 exec, exec, s[6:7]
	s_and_saveexec_b64 s[6:7], s[2:3]
	s_cbranch_execnz .LBB97_604
	s_branch .LBB97_605
.LBB97_622:
	s_mov_b64 s[2:3], -1
                                        ; implicit-def: $vgpr1
	s_branch .LBB97_627
.LBB97_623:
	s_mov_b64 s[2:3], -1
                                        ; implicit-def: $vgpr1
.LBB97_624:
	s_and_b64 vcc, exec, s[2:3]
	s_cbranch_vccz .LBB97_626
; %bb.625:
	global_load_ubyte v1, v[2:3], off
	s_mov_b32 s2, 0x7f800000
	s_waitcnt vmcnt(0)
	v_lshlrev_b32_e32 v1, 24, v1
	v_and_b32_e32 v4, 0x7f000000, v1
	v_ffbh_u32_e32 v5, v4
	v_min_u32_e32 v5, 32, v5
	v_sub_u32_e64 v5, v5, 4 clamp
	v_lshlrev_b32_e32 v7, v5, v4
	v_lshlrev_b32_e32 v5, 23, v5
	v_lshrrev_b32_e32 v7, 4, v7
	v_add_u32_e32 v6, 0x1000000, v4
	v_sub_u32_e32 v5, v7, v5
	v_ashrrev_i32_e32 v6, 8, v6
	v_add_u32_e32 v5, 0x3c000000, v5
	v_and_or_b32 v5, v6, s2, v5
	v_cmp_ne_u32_e32 vcc, 0, v4
	s_brev_b32 s2, 1
	s_nop 0
	v_cndmask_b32_e32 v4, 0, v5, vcc
	v_and_or_b32 v1, v1, s2, v4
	v_cvt_f16_f32_e32 v1, v1
.LBB97_626:
	s_mov_b64 s[2:3], 0
.LBB97_627:
	s_andn2_b64 vcc, exec, s[2:3]
	s_cbranch_vccnz .LBB97_629
; %bb.628:
	global_load_ubyte v1, v[2:3], off
	s_movk_i32 s2, 0x7f00
	s_brev_b32 s3, 16
	s_waitcnt vmcnt(0)
	v_lshlrev_b16_e32 v4, 8, v1
	v_lshlrev_b32_e32 v1, 25, v1
	v_lshrrev_b32_e32 v5, 4, v1
	v_and_or_b32 v6, v4, s2, 0.5
	v_or_b32_e32 v5, 0x70000000, v5
	v_add_f32_e32 v6, -0.5, v6
	v_mul_f32_e32 v5, 0x7800000, v5
	v_cmp_gt_u32_e32 vcc, s3, v1
	v_bfe_i32 v4, v4, 0, 16
	s_brev_b32 s2, 1
	v_cndmask_b32_e32 v1, v5, v6, vcc
	v_and_or_b32 v1, v4, s2, v1
	v_cvt_f16_f32_e32 v1, v1
.LBB97_629:
	s_mov_b64 s[6:7], 0
	s_mov_b64 s[2:3], -1
.LBB97_630:
	s_andn2_b64 vcc, exec, s[6:7]
	s_cbranch_vccnz .LBB97_643
; %bb.631:
	s_cmp_gt_i32 s10, 14
	s_cbranch_scc0 .LBB97_634
; %bb.632:
	s_cmp_eq_u32 s10, 15
	s_cbranch_scc0 .LBB97_637
; %bb.633:
	global_load_ushort v1, v[2:3], off
	s_mov_b64 s[2:3], -1
	s_mov_b64 s[4:5], 0
	s_waitcnt vmcnt(0)
	v_lshlrev_b32_e32 v1, 16, v1
	v_cvt_f16_f32_e32 v1, v1
	s_branch .LBB97_638
.LBB97_634:
	s_mov_b64 s[6:7], -1
                                        ; implicit-def: $vgpr1
	s_branch .LBB97_639
.LBB97_635:
	s_or_saveexec_b64 s[6:7], s[6:7]
	v_mov_b32_e32 v1, 0x7e00
	s_xor_b64 exec, exec, s[6:7]
	s_cbranch_execz .LBB97_616
.LBB97_636:
	v_cmp_ne_u16_e32 vcc, 0, v4
	s_andn2_b64 s[2:3], s[2:3], exec
	s_and_b64 s[8:9], vcc, exec
	s_or_b64 s[2:3], s[2:3], s[8:9]
	v_mov_b32_e32 v1, v4
	s_or_b64 exec, exec, s[6:7]
	s_and_saveexec_b64 s[6:7], s[2:3]
	s_cbranch_execnz .LBB97_617
	s_branch .LBB97_618
.LBB97_637:
	s_mov_b64 s[4:5], -1
                                        ; implicit-def: $vgpr1
.LBB97_638:
	s_mov_b64 s[6:7], 0
.LBB97_639:
	s_and_b64 vcc, exec, s[6:7]
	s_cbranch_vccz .LBB97_643
; %bb.640:
	s_cmp_eq_u32 s10, 11
	s_cbranch_scc0 .LBB97_642
; %bb.641:
	global_load_ubyte v1, v[2:3], off
	v_mov_b32_e32 v4, 0x3c00
	s_mov_b64 s[2:3], -1
	s_mov_b64 s[4:5], 0
	s_waitcnt vmcnt(0)
	v_cmp_ne_u16_e32 vcc, 0, v1
	s_nop 1
	v_cndmask_b32_e32 v1, 0, v4, vcc
	s_branch .LBB97_643
.LBB97_642:
	s_mov_b64 s[4:5], -1
                                        ; implicit-def: $vgpr1
.LBB97_643:
	s_mov_b64 s[6:7], 0
.LBB97_644:
	s_and_b64 vcc, exec, s[6:7]
	s_cbranch_vccz .LBB97_693
; %bb.645:
	s_cmp_lt_i32 s10, 5
	s_cbranch_scc1 .LBB97_650
; %bb.646:
	s_cmp_lt_i32 s10, 8
	s_cbranch_scc1 .LBB97_651
	;; [unrolled: 3-line block ×3, first 2 shown]
; %bb.648:
	s_cmp_gt_i32 s10, 9
	s_cbranch_scc0 .LBB97_653
; %bb.649:
	global_load_dwordx2 v[4:5], v[2:3], off
	s_movk_i32 s2, 0x1ff
	s_movk_i32 s3, 0xffe
	s_waitcnt vmcnt(1)
	v_mov_b32_e32 v1, 0x7c00
	v_mov_b32_e32 v6, 0x7e00
	s_movk_i32 s6, 0x40f
	s_mov_b32 s7, 0x8000
	s_waitcnt vmcnt(0)
	v_and_or_b32 v4, v5, s2, v4
	v_cmp_ne_u32_e32 vcc, 0, v4
	v_lshrrev_b32_e32 v7, 8, v5
	v_bfe_u32 v9, v5, 20, 11
	v_cndmask_b32_e64 v4, 0, 1, vcc
	v_sub_u32_e32 v10, 0x3f1, v9
	v_and_or_b32 v4, v7, s3, v4
	v_add_u32_e32 v9, 0xfffffc10, v9
	v_med3_i32 v7, v10, 0, 13
	v_or_b32_e32 v10, 0x1000, v4
	v_cmp_ne_u32_e32 vcc, 0, v4
	v_lshl_or_b32 v11, v9, 12, v4
	v_lshrrev_b32_e32 v5, 16, v5
	v_cndmask_b32_e32 v4, v1, v6, vcc
	v_lshrrev_b32_e32 v6, v7, v10
	v_lshlrev_b32_e32 v7, v7, v6
	v_cmp_ne_u32_e32 vcc, v7, v10
	s_mov_b64 s[2:3], 0
	s_nop 0
	v_cndmask_b32_e64 v7, 0, 1, vcc
	v_or_b32_e32 v6, v6, v7
	v_cmp_gt_i32_e32 vcc, 1, v9
	s_nop 1
	v_cndmask_b32_e32 v6, v11, v6, vcc
	v_and_b32_e32 v7, 7, v6
	v_cmp_lt_i32_e32 vcc, 5, v7
	v_lshrrev_b32_e32 v6, 2, v6
	s_nop 0
	v_cndmask_b32_e64 v10, 0, 1, vcc
	v_cmp_eq_u32_e32 vcc, 3, v7
	s_nop 1
	v_cndmask_b32_e64 v7, 0, 1, vcc
	v_or_b32_e32 v7, v7, v10
	v_add_u32_e32 v6, v6, v7
	v_cmp_gt_i32_e32 vcc, 31, v9
	s_nop 1
	v_cndmask_b32_e32 v1, v1, v6, vcc
	v_cmp_eq_u32_e32 vcc, s6, v9
	s_nop 1
	v_cndmask_b32_e32 v1, v1, v4, vcc
	v_and_or_b32 v1, v5, s7, v1
	s_branch .LBB97_654
.LBB97_650:
	s_mov_b64 s[2:3], -1
                                        ; implicit-def: $vgpr1
	s_branch .LBB97_672
.LBB97_651:
	s_mov_b64 s[2:3], -1
                                        ; implicit-def: $vgpr1
	s_branch .LBB97_660
.LBB97_652:
	s_mov_b64 s[2:3], -1
                                        ; implicit-def: $vgpr1
	s_branch .LBB97_657
.LBB97_653:
	s_mov_b64 s[2:3], -1
                                        ; implicit-def: $vgpr1
.LBB97_654:
	s_andn2_b64 vcc, exec, s[2:3]
	s_cbranch_vccnz .LBB97_656
; %bb.655:
	global_load_dword v1, v[2:3], off
	s_waitcnt vmcnt(0)
	v_cvt_f16_f32_e32 v1, v1
.LBB97_656:
	s_mov_b64 s[2:3], 0
.LBB97_657:
	s_andn2_b64 vcc, exec, s[2:3]
	s_cbranch_vccnz .LBB97_659
; %bb.658:
	global_load_dword v1, v[2:3], off
.LBB97_659:
	s_mov_b64 s[2:3], 0
.LBB97_660:
	s_andn2_b64 vcc, exec, s[2:3]
	s_cbranch_vccnz .LBB97_671
; %bb.661:
	s_cmp_lt_i32 s10, 6
	s_cbranch_scc1 .LBB97_664
; %bb.662:
	s_cmp_gt_i32 s10, 6
	s_cbranch_scc0 .LBB97_665
; %bb.663:
	global_load_dwordx2 v[4:5], v[2:3], off
	s_movk_i32 s2, 0x1ff
	s_movk_i32 s3, 0xffe
	s_waitcnt vmcnt(1)
	v_mov_b32_e32 v1, 0x7c00
	v_mov_b32_e32 v6, 0x7e00
	s_movk_i32 s6, 0x40f
	s_mov_b32 s7, 0x8000
	s_waitcnt vmcnt(0)
	v_and_or_b32 v4, v5, s2, v4
	v_cmp_ne_u32_e32 vcc, 0, v4
	v_lshrrev_b32_e32 v7, 8, v5
	v_bfe_u32 v9, v5, 20, 11
	v_cndmask_b32_e64 v4, 0, 1, vcc
	v_sub_u32_e32 v10, 0x3f1, v9
	v_and_or_b32 v4, v7, s3, v4
	v_add_u32_e32 v9, 0xfffffc10, v9
	v_med3_i32 v7, v10, 0, 13
	v_or_b32_e32 v10, 0x1000, v4
	v_cmp_ne_u32_e32 vcc, 0, v4
	v_lshl_or_b32 v11, v9, 12, v4
	v_lshrrev_b32_e32 v5, 16, v5
	v_cndmask_b32_e32 v4, v1, v6, vcc
	v_lshrrev_b32_e32 v6, v7, v10
	v_lshlrev_b32_e32 v7, v7, v6
	v_cmp_ne_u32_e32 vcc, v7, v10
	s_mov_b64 s[2:3], 0
	s_nop 0
	v_cndmask_b32_e64 v7, 0, 1, vcc
	v_or_b32_e32 v6, v6, v7
	v_cmp_gt_i32_e32 vcc, 1, v9
	s_nop 1
	v_cndmask_b32_e32 v6, v11, v6, vcc
	v_and_b32_e32 v7, 7, v6
	v_cmp_lt_i32_e32 vcc, 5, v7
	v_lshrrev_b32_e32 v6, 2, v6
	s_nop 0
	v_cndmask_b32_e64 v10, 0, 1, vcc
	v_cmp_eq_u32_e32 vcc, 3, v7
	s_nop 1
	v_cndmask_b32_e64 v7, 0, 1, vcc
	v_or_b32_e32 v7, v7, v10
	v_add_u32_e32 v6, v6, v7
	v_cmp_gt_i32_e32 vcc, 31, v9
	s_nop 1
	v_cndmask_b32_e32 v1, v1, v6, vcc
	v_cmp_eq_u32_e32 vcc, s6, v9
	s_nop 1
	v_cndmask_b32_e32 v1, v1, v4, vcc
	v_and_or_b32 v1, v5, s7, v1
	s_branch .LBB97_666
.LBB97_664:
	s_mov_b64 s[2:3], -1
                                        ; implicit-def: $vgpr1
	s_branch .LBB97_669
.LBB97_665:
	s_mov_b64 s[2:3], -1
                                        ; implicit-def: $vgpr1
.LBB97_666:
	s_andn2_b64 vcc, exec, s[2:3]
	s_cbranch_vccnz .LBB97_668
; %bb.667:
	global_load_dword v1, v[2:3], off
	s_waitcnt vmcnt(0)
	v_cvt_f16_f32_e32 v1, v1
.LBB97_668:
	s_mov_b64 s[2:3], 0
.LBB97_669:
	s_andn2_b64 vcc, exec, s[2:3]
	s_cbranch_vccnz .LBB97_671
; %bb.670:
	global_load_ushort v1, v[2:3], off
.LBB97_671:
	s_mov_b64 s[2:3], 0
.LBB97_672:
	s_andn2_b64 vcc, exec, s[2:3]
	s_cbranch_vccnz .LBB97_692
; %bb.673:
	s_cmp_lt_i32 s10, 2
	s_cbranch_scc1 .LBB97_677
; %bb.674:
	s_cmp_lt_i32 s10, 3
	s_cbranch_scc1 .LBB97_678
; %bb.675:
	s_cmp_gt_i32 s10, 3
	s_cbranch_scc0 .LBB97_679
; %bb.676:
	global_load_dwordx2 v[4:5], v[2:3], off
	s_mov_b64 s[2:3], 0
	s_waitcnt vmcnt(0)
	v_xor_b32_e32 v6, v4, v5
	v_ffbh_i32_e32 v1, v5
	v_ashrrev_i32_e32 v6, 31, v6
	v_add_u32_e32 v1, -1, v1
	v_add_u32_e32 v6, 32, v6
	v_min_u32_e32 v1, v1, v6
	v_lshlrev_b64 v[4:5], v1, v[4:5]
	v_min_u32_e32 v4, 1, v4
	v_or_b32_e32 v4, v5, v4
	v_cvt_f32_i32_e32 v4, v4
	v_sub_u32_e32 v1, 32, v1
	v_ldexp_f32 v1, v4, v1
	v_cvt_f16_f32_e32 v1, v1
	s_branch .LBB97_680
.LBB97_677:
	s_mov_b64 s[2:3], -1
                                        ; implicit-def: $vgpr1
	s_branch .LBB97_686
.LBB97_678:
	s_mov_b64 s[2:3], -1
                                        ; implicit-def: $vgpr1
	s_branch .LBB97_683
.LBB97_679:
	s_mov_b64 s[2:3], -1
                                        ; implicit-def: $vgpr1
.LBB97_680:
	s_andn2_b64 vcc, exec, s[2:3]
	s_cbranch_vccnz .LBB97_682
; %bb.681:
	global_load_dword v1, v[2:3], off
	s_waitcnt vmcnt(0)
	v_cvt_f32_i32_e32 v1, v1
	v_cvt_f16_f32_e32 v1, v1
.LBB97_682:
	s_mov_b64 s[2:3], 0
.LBB97_683:
	s_andn2_b64 vcc, exec, s[2:3]
	s_cbranch_vccnz .LBB97_685
; %bb.684:
	global_load_ushort v1, v[2:3], off
	s_waitcnt vmcnt(0)
	v_cvt_f16_i16_e32 v1, v1
.LBB97_685:
	s_mov_b64 s[2:3], 0
.LBB97_686:
	s_andn2_b64 vcc, exec, s[2:3]
	s_cbranch_vccnz .LBB97_692
; %bb.687:
	s_cmp_gt_i32 s10, 0
	s_cbranch_scc0 .LBB97_689
; %bb.688:
	global_load_sbyte v1, v[2:3], off
	s_mov_b64 s[2:3], 0
	s_waitcnt vmcnt(0)
	v_cvt_f16_i16_e32 v1, v1
	s_branch .LBB97_690
.LBB97_689:
	s_mov_b64 s[2:3], -1
                                        ; implicit-def: $vgpr1
.LBB97_690:
	s_andn2_b64 vcc, exec, s[2:3]
	s_cbranch_vccnz .LBB97_692
; %bb.691:
	global_load_ubyte v1, v[2:3], off
	s_waitcnt vmcnt(0)
	v_cvt_f16_u16_e32 v1, v1
.LBB97_692:
	s_mov_b64 s[2:3], -1
.LBB97_693:
	s_andn2_b64 vcc, exec, s[2:3]
	s_cbranch_vccnz .LBB97_701
; %bb.694:
	s_waitcnt vmcnt(0)
	v_cvt_f32_f16_e32 v2, v1
	s_mov_b32 s2, 0x3fb8aa3b
	s_mov_b32 s3, 0x32a5705f
	s_and_b32 s12, s73, 0xff
	v_mul_f32_e32 v3, 0x3fb8aa3b, v2
	v_rndne_f32_e32 v4, v3
	v_fma_mix_f32 v5, v1, s2, -v3 op_sel_hi:[1,0,0]
	v_sub_f32_e32 v3, v3, v4
	v_fma_mix_f32 v1, v1, s3, v5 op_sel_hi:[1,0,0]
	s_mov_b32 s2, 0xc2ce8ed0
	v_add_f32_e32 v1, v3, v1
	v_cvt_i32_f32_e32 v3, v4
	v_exp_f32_e32 v1, v1
	v_cmp_ngt_f32_e32 vcc, s2, v2
	s_mov_b32 s2, 0x42b17218
	s_cmp_lt_i32 s12, 11
	v_ldexp_f32 v1, v1, v3
	v_cndmask_b32_e32 v1, 0, v1, vcc
	v_mov_b32_e32 v3, 0x7f800000
	v_cmp_nlt_f32_e32 vcc, s2, v2
	s_nop 1
	v_cndmask_b32_e32 v1, v3, v1, vcc
	v_cvt_f16_f32_e32 v2, v1
	v_mov_b32_e32 v1, 0
	v_lshl_add_u64 v[0:1], s[20:21], 0, v[0:1]
	s_cbranch_scc1 .LBB97_702
; %bb.695:
	s_and_b32 s13, 0xffff, s12
	s_cmp_gt_i32 s13, 25
	s_cbranch_scc0 .LBB97_703
; %bb.696:
	s_cmp_gt_i32 s13, 28
	s_cbranch_scc0 .LBB97_704
; %bb.697:
	s_cmp_gt_i32 s13, 43
	s_cbranch_scc0 .LBB97_705
; %bb.698:
	s_cmp_gt_i32 s13, 45
	s_cbranch_scc0 .LBB97_706
; %bb.699:
	s_mov_b64 s[8:9], 0
	s_mov_b64 s[2:3], -1
	s_cmp_eq_u32 s13, 46
	s_mov_b64 s[6:7], 0
	s_cbranch_scc0 .LBB97_707
; %bb.700:
	v_cvt_f32_f16_e32 v3, v2
	s_movk_i32 s2, 0x7fff
	v_cmp_o_f16_e32 vcc, v2, v2
	v_mov_b32_e32 v4, 0x7fc0
	v_bfe_u32 v5, v3, 16, 1
	v_add3_u32 v3, v3, v5, s2
	v_cndmask_b32_sdwa v3, v4, v3, vcc dst_sel:DWORD dst_unused:UNUSED_PAD src0_sel:DWORD src1_sel:WORD_1
	global_store_dword v[0:1], v3, off
	s_mov_b64 s[6:7], -1
	s_mov_b64 s[2:3], 0
	s_branch .LBB97_707
.LBB97_701:
	s_mov_b64 s[6:7], 0
	s_mov_b64 s[2:3], s[62:63]
	s_branch .LBB97_818
.LBB97_702:
	s_mov_b64 s[8:9], -1
	s_mov_b64 s[6:7], 0
	s_mov_b64 s[2:3], s[62:63]
	s_branch .LBB97_776
.LBB97_703:
	s_mov_b64 s[8:9], -1
	s_mov_b64 s[6:7], 0
	s_mov_b64 s[2:3], s[62:63]
	s_branch .LBB97_734
.LBB97_704:
	s_mov_b64 s[8:9], -1
	s_mov_b64 s[6:7], 0
	s_mov_b64 s[2:3], s[62:63]
	s_branch .LBB97_717
.LBB97_705:
	s_mov_b64 s[8:9], -1
	s_mov_b64 s[6:7], 0
	s_mov_b64 s[2:3], s[62:63]
	s_branch .LBB97_713
.LBB97_706:
	s_mov_b64 s[8:9], -1
	s_mov_b64 s[6:7], 0
	s_mov_b64 s[2:3], s[62:63]
.LBB97_707:
	s_and_b64 vcc, exec, s[8:9]
	s_cbranch_vccz .LBB97_712
; %bb.708:
	s_cmp_eq_u32 s13, 44
	s_mov_b64 s[2:3], -1
	s_cbranch_scc0 .LBB97_712
; %bb.709:
	v_cvt_f32_f16_e32 v3, v2
	s_movk_i32 s2, 0xff
	v_mov_b32_e32 v5, 0xff
	v_bfe_u32 v4, v3, 23, 8
	v_cmp_ne_u32_e32 vcc, s2, v4
	s_and_saveexec_b64 s[6:7], vcc
; %bb.710:
	s_mov_b32 s2, 0x3fffff
	v_lshrrev_b32_e32 v5, 23, v3
	v_and_b32_e32 v6, 0x400000, v3
	v_and_or_b32 v3, v3, s2, v4
	v_cmp_ne_u32_e32 vcc, 0, v6
	v_cmp_ne_u32_e64 s[2:3], 0, v3
	s_and_b64 s[2:3], vcc, s[2:3]
	s_nop 0
	v_cndmask_b32_e64 v3, 0, 1, s[2:3]
	v_add_u32_e32 v5, v5, v3
; %bb.711:
	s_or_b64 exec, exec, s[6:7]
	s_mov_b64 s[6:7], -1
	s_mov_b64 s[2:3], 0
	global_store_byte v[0:1], v5, off
.LBB97_712:
	s_mov_b64 s[8:9], 0
.LBB97_713:
	s_and_b64 vcc, exec, s[8:9]
	s_cbranch_vccz .LBB97_716
; %bb.714:
	s_cmp_eq_u32 s13, 29
	s_mov_b64 s[2:3], -1
	s_cbranch_scc0 .LBB97_716
; %bb.715:
	v_cvt_f32_f16_e32 v3, v2
	v_mov_b32_e32 v5, 0
	s_mov_b64 s[6:7], -1
	s_mov_b64 s[2:3], 0
	v_cvt_u32_f32_e32 v4, v3
	s_mov_b64 s[8:9], 0
	global_store_dwordx2 v[0:1], v[4:5], off
	s_branch .LBB97_717
.LBB97_716:
	s_mov_b64 s[8:9], 0
.LBB97_717:
	s_and_b64 vcc, exec, s[8:9]
	s_cbranch_vccz .LBB97_733
; %bb.718:
	s_cmp_lt_i32 s13, 27
	s_mov_b64 s[6:7], -1
	s_cbranch_scc1 .LBB97_724
; %bb.719:
	s_cmp_gt_i32 s13, 27
	s_cbranch_scc0 .LBB97_721
; %bb.720:
	v_cvt_f32_f16_e32 v3, v2
	s_mov_b64 s[6:7], 0
	v_cvt_u32_f32_e32 v3, v3
	global_store_dword v[0:1], v3, off
.LBB97_721:
	s_andn2_b64 vcc, exec, s[6:7]
	s_cbranch_vccnz .LBB97_723
; %bb.722:
	v_cvt_u16_f16_e32 v3, v2
	global_store_short v[0:1], v3, off
.LBB97_723:
	s_mov_b64 s[6:7], 0
.LBB97_724:
	s_andn2_b64 vcc, exec, s[6:7]
	s_cbranch_vccnz .LBB97_732
; %bb.725:
	v_cvt_f32_f16_e32 v3, v2
	s_mov_b32 s6, 0x43800000
	v_mov_b32_e32 v5, 0x80
	v_and_b32_e32 v4, 0x7fffffff, v3
	v_cmp_gt_u32_e32 vcc, s6, v4
	s_and_saveexec_b64 s[6:7], vcc
	s_cbranch_execz .LBB97_731
; %bb.726:
	s_mov_b32 s8, 0x3bffffff
	v_cmp_lt_u32_e32 vcc, s8, v4
	s_mov_b64 s[8:9], 0
                                        ; implicit-def: $vgpr4
	s_and_saveexec_b64 s[10:11], vcc
	s_xor_b64 s[10:11], exec, s[10:11]
	s_cbranch_execz .LBB97_849
; %bb.727:
	v_bfe_u32 v4, v3, 20, 1
	s_mov_b32 s14, 0x487ffff
	v_add3_u32 v4, v3, v4, s14
	s_mov_b64 s[8:9], exec
	v_lshrrev_b32_e32 v4, 20, v4
	s_andn2_saveexec_b64 s[10:11], s[10:11]
	s_cbranch_execnz .LBB97_850
.LBB97_728:
	s_or_b64 exec, exec, s[10:11]
	v_mov_b32_e32 v5, 0
	s_and_saveexec_b64 s[10:11], s[8:9]
.LBB97_729:
	v_lshrrev_b32_e32 v3, 24, v3
	s_movk_i32 s8, 0x80
	v_and_or_b32 v5, v3, s8, v4
.LBB97_730:
	s_or_b64 exec, exec, s[10:11]
.LBB97_731:
	s_or_b64 exec, exec, s[6:7]
	global_store_byte v[0:1], v5, off
.LBB97_732:
	s_mov_b64 s[6:7], -1
.LBB97_733:
	s_mov_b64 s[8:9], 0
.LBB97_734:
	s_and_b64 vcc, exec, s[8:9]
	s_cbranch_vccz .LBB97_775
; %bb.735:
	s_cmp_gt_i32 s13, 22
	s_mov_b64 s[8:9], -1
	s_cbranch_scc0 .LBB97_767
; %bb.736:
	s_cmp_lt_i32 s13, 24
	s_mov_b64 s[6:7], -1
	s_cbranch_scc1 .LBB97_756
; %bb.737:
	s_cmp_gt_i32 s13, 24
	s_cbranch_scc0 .LBB97_745
; %bb.738:
	v_cvt_f32_f16_e32 v3, v2
	s_mov_b32 s6, 0x47800000
	v_mov_b32_e32 v5, 0x80
	v_and_b32_e32 v4, 0x7fffffff, v3
	v_cmp_gt_u32_e32 vcc, s6, v4
	s_and_saveexec_b64 s[6:7], vcc
	s_cbranch_execz .LBB97_744
; %bb.739:
	s_mov_b32 s8, 0x37ffffff
	v_cmp_lt_u32_e32 vcc, s8, v4
	s_mov_b64 s[8:9], 0
                                        ; implicit-def: $vgpr4
	s_and_saveexec_b64 s[10:11], vcc
	s_xor_b64 s[10:11], exec, s[10:11]
	s_cbranch_execz .LBB97_852
; %bb.740:
	v_bfe_u32 v4, v3, 21, 1
	s_mov_b32 s14, 0x88fffff
	v_add3_u32 v4, v3, v4, s14
	s_mov_b64 s[8:9], exec
	v_lshrrev_b32_e32 v4, 21, v4
	s_andn2_saveexec_b64 s[10:11], s[10:11]
	s_cbranch_execnz .LBB97_853
.LBB97_741:
	s_or_b64 exec, exec, s[10:11]
	v_mov_b32_e32 v5, 0
	s_and_saveexec_b64 s[10:11], s[8:9]
.LBB97_742:
	v_lshrrev_b32_e32 v3, 24, v3
	s_movk_i32 s8, 0x80
	v_and_or_b32 v5, v3, s8, v4
.LBB97_743:
	s_or_b64 exec, exec, s[10:11]
.LBB97_744:
	s_or_b64 exec, exec, s[6:7]
	s_mov_b64 s[6:7], 0
	global_store_byte v[0:1], v5, off
.LBB97_745:
	s_and_b64 vcc, exec, s[6:7]
	s_cbranch_vccz .LBB97_755
; %bb.746:
	v_cvt_f32_f16_e32 v3, v2
	s_mov_b32 s6, 0x43f00000
                                        ; implicit-def: $vgpr4
	v_and_b32_e32 v5, 0x7fffffff, v3
	v_cmp_gt_u32_e32 vcc, s6, v5
	s_and_saveexec_b64 s[6:7], vcc
	s_xor_b64 s[6:7], exec, s[6:7]
	s_cbranch_execz .LBB97_752
; %bb.747:
	s_mov_b32 s8, 0x3c7fffff
	v_cmp_lt_u32_e32 vcc, s8, v5
                                        ; implicit-def: $vgpr4
	s_and_saveexec_b64 s[8:9], vcc
	s_xor_b64 s[8:9], exec, s[8:9]
; %bb.748:
	v_bfe_u32 v4, v3, 20, 1
	s_mov_b32 s10, 0x407ffff
	v_add3_u32 v4, v3, v4, s10
	v_lshrrev_b32_e32 v5, 20, v4
	v_and_b32_e32 v4, 0xff00000, v4
	s_mov_b32 s10, 0x7f00000
	v_mov_b32_e32 v6, 0x7e
	v_cmp_ne_u32_e32 vcc, s10, v4
	s_nop 1
	v_cndmask_b32_e32 v4, v6, v5, vcc
; %bb.749:
	s_andn2_saveexec_b64 s[8:9], s[8:9]
; %bb.750:
	s_mov_b32 s10, 0x46800000
	v_add_f32_e64 v4, |v3|, s10
; %bb.751:
	s_or_b64 exec, exec, s[8:9]
                                        ; implicit-def: $vgpr5
.LBB97_752:
	s_andn2_saveexec_b64 s[6:7], s[6:7]
; %bb.753:
	s_mov_b32 s8, 0x7f800000
	v_mov_b32_e32 v4, 0x7e
	v_mov_b32_e32 v6, 0x7f
	v_cmp_lt_u32_e32 vcc, s8, v5
	s_nop 1
	v_cndmask_b32_e32 v4, v4, v6, vcc
; %bb.754:
	s_or_b64 exec, exec, s[6:7]
	v_lshrrev_b32_e32 v3, 24, v3
	s_movk_i32 s6, 0x80
	v_and_or_b32 v3, v3, s6, v4
	global_store_byte v[0:1], v3, off
.LBB97_755:
	s_mov_b64 s[6:7], 0
.LBB97_756:
	s_andn2_b64 vcc, exec, s[6:7]
	s_cbranch_vccnz .LBB97_766
; %bb.757:
	v_cvt_f32_f16_e32 v3, v2
	s_mov_b32 s6, 0x47800000
                                        ; implicit-def: $vgpr4
	v_and_b32_e32 v5, 0x7fffffff, v3
	v_cmp_gt_u32_e32 vcc, s6, v5
	s_and_saveexec_b64 s[6:7], vcc
	s_xor_b64 s[6:7], exec, s[6:7]
	s_cbranch_execz .LBB97_763
; %bb.758:
	s_mov_b32 s8, 0x387fffff
	v_cmp_lt_u32_e32 vcc, s8, v5
                                        ; implicit-def: $vgpr4
	s_and_saveexec_b64 s[8:9], vcc
	s_xor_b64 s[8:9], exec, s[8:9]
; %bb.759:
	v_bfe_u32 v4, v3, 21, 1
	s_mov_b32 s10, 0x80fffff
	v_add3_u32 v4, v3, v4, s10
	v_lshrrev_b32_e32 v4, 21, v4
; %bb.760:
	s_andn2_saveexec_b64 s[8:9], s[8:9]
; %bb.761:
	s_mov_b32 s10, 0x43000000
	v_add_f32_e64 v4, |v3|, s10
; %bb.762:
	s_or_b64 exec, exec, s[8:9]
                                        ; implicit-def: $vgpr5
.LBB97_763:
	s_andn2_saveexec_b64 s[6:7], s[6:7]
; %bb.764:
	s_mov_b32 s8, 0x7f800000
	v_mov_b32_e32 v4, 0x7c
	v_mov_b32_e32 v6, 0x7f
	v_cmp_lt_u32_e32 vcc, s8, v5
	s_nop 1
	v_cndmask_b32_e32 v4, v4, v6, vcc
; %bb.765:
	s_or_b64 exec, exec, s[6:7]
	v_lshrrev_b32_e32 v3, 24, v3
	s_movk_i32 s6, 0x80
	v_and_or_b32 v3, v3, s6, v4
	global_store_byte v[0:1], v3, off
.LBB97_766:
	s_mov_b64 s[8:9], 0
	s_mov_b64 s[6:7], -1
.LBB97_767:
	s_andn2_b64 vcc, exec, s[8:9]
	s_cbranch_vccnz .LBB97_775
; %bb.768:
	s_cmp_gt_i32 s13, 14
	s_mov_b64 s[8:9], -1
	s_cbranch_scc0 .LBB97_772
; %bb.769:
	s_cmp_eq_u32 s13, 15
	s_mov_b64 s[2:3], -1
	s_cbranch_scc0 .LBB97_771
; %bb.770:
	v_cvt_f32_f16_e32 v3, v2
	s_movk_i32 s2, 0x7fff
	v_cmp_o_f16_e32 vcc, v2, v2
	v_mov_b32_e32 v4, 0x7fc0
	v_bfe_u32 v5, v3, 16, 1
	v_add3_u32 v3, v3, v5, s2
	v_cndmask_b32_sdwa v3, v4, v3, vcc dst_sel:DWORD dst_unused:UNUSED_PAD src0_sel:DWORD src1_sel:WORD_1
	global_store_short v[0:1], v3, off
	s_mov_b64 s[6:7], -1
	s_mov_b64 s[2:3], 0
.LBB97_771:
	s_mov_b64 s[8:9], 0
.LBB97_772:
	s_and_b64 vcc, exec, s[8:9]
	s_cbranch_vccz .LBB97_775
; %bb.773:
	s_cmp_eq_u32 s13, 11
	s_mov_b64 s[2:3], -1
	s_cbranch_scc0 .LBB97_775
; %bb.774:
	v_cmp_neq_f16_e32 vcc, 0, v2
	s_mov_b64 s[6:7], -1
	s_mov_b64 s[2:3], 0
	v_cndmask_b32_e64 v3, 0, 1, vcc
	global_store_byte v[0:1], v3, off
.LBB97_775:
	s_mov_b64 s[8:9], 0
.LBB97_776:
	s_and_b64 vcc, exec, s[8:9]
	s_cbranch_vccz .LBB97_815
; %bb.777:
	s_and_b32 s8, 0xffff, s12
	s_cmp_lt_i32 s8, 5
	s_mov_b64 s[6:7], -1
	s_cbranch_scc1 .LBB97_798
; %bb.778:
	s_cmp_lt_i32 s8, 8
	s_cbranch_scc1 .LBB97_788
; %bb.779:
	s_cmp_lt_i32 s8, 9
	s_cbranch_scc1 .LBB97_785
; %bb.780:
	s_cmp_gt_i32 s8, 9
	s_cbranch_scc0 .LBB97_782
; %bb.781:
	v_cvt_f32_f16_e32 v3, v2
	v_mov_b32_e32 v6, 0
	v_mov_b32_e32 v7, v6
	s_mov_b64 s[6:7], 0
	v_cvt_f64_f32_e32 v[4:5], v3
	global_store_dwordx4 v[0:1], v[4:7], off
.LBB97_782:
	s_andn2_b64 vcc, exec, s[6:7]
	s_cbranch_vccnz .LBB97_784
; %bb.783:
	v_cvt_f32_f16_e32 v4, v2
	v_mov_b32_e32 v5, 0
	global_store_dwordx2 v[0:1], v[4:5], off
.LBB97_784:
	s_mov_b64 s[6:7], 0
.LBB97_785:
	s_andn2_b64 vcc, exec, s[6:7]
	s_cbranch_vccnz .LBB97_787
; %bb.786:
	global_store_dword v[0:1], v2, off
.LBB97_787:
	s_mov_b64 s[6:7], 0
.LBB97_788:
	s_andn2_b64 vcc, exec, s[6:7]
	s_cbranch_vccnz .LBB97_797
; %bb.789:
	s_cmp_lt_i32 s8, 6
	s_mov_b64 s[6:7], -1
	s_cbranch_scc1 .LBB97_795
; %bb.790:
	s_cmp_gt_i32 s8, 6
	s_cbranch_scc0 .LBB97_792
; %bb.791:
	v_cvt_f32_f16_e32 v3, v2
	s_mov_b64 s[6:7], 0
	v_cvt_f64_f32_e32 v[4:5], v3
	global_store_dwordx2 v[0:1], v[4:5], off
.LBB97_792:
	s_andn2_b64 vcc, exec, s[6:7]
	s_cbranch_vccnz .LBB97_794
; %bb.793:
	v_cvt_f32_f16_e32 v3, v2
	global_store_dword v[0:1], v3, off
.LBB97_794:
	s_mov_b64 s[6:7], 0
.LBB97_795:
	s_andn2_b64 vcc, exec, s[6:7]
	s_cbranch_vccnz .LBB97_797
; %bb.796:
	global_store_short v[0:1], v2, off
.LBB97_797:
	s_mov_b64 s[6:7], 0
.LBB97_798:
	s_andn2_b64 vcc, exec, s[6:7]
	s_cbranch_vccnz .LBB97_814
; %bb.799:
	s_cmp_lt_i32 s8, 2
	s_mov_b64 s[6:7], -1
	s_cbranch_scc1 .LBB97_809
; %bb.800:
	s_cmp_lt_i32 s8, 3
	s_cbranch_scc1 .LBB97_806
; %bb.801:
	s_cmp_gt_i32 s8, 3
	s_cbranch_scc0 .LBB97_803
; %bb.802:
	v_cvt_f32_f16_e32 v3, v2
	s_mov_b64 s[6:7], 0
	v_cvt_i32_f32_e32 v4, v3
	v_ashrrev_i32_e32 v5, 31, v4
	global_store_dwordx2 v[0:1], v[4:5], off
.LBB97_803:
	s_andn2_b64 vcc, exec, s[6:7]
	s_cbranch_vccnz .LBB97_805
; %bb.804:
	v_cvt_f32_f16_e32 v3, v2
	v_cvt_i32_f32_e32 v3, v3
	global_store_dword v[0:1], v3, off
.LBB97_805:
	s_mov_b64 s[6:7], 0
.LBB97_806:
	s_andn2_b64 vcc, exec, s[6:7]
	s_cbranch_vccnz .LBB97_808
; %bb.807:
	v_cvt_i16_f16_e32 v3, v2
	global_store_short v[0:1], v3, off
.LBB97_808:
	s_mov_b64 s[6:7], 0
.LBB97_809:
	s_andn2_b64 vcc, exec, s[6:7]
	s_cbranch_vccnz .LBB97_814
; %bb.810:
	s_cmp_gt_i32 s8, 0
	s_mov_b64 s[6:7], -1
	s_cbranch_scc0 .LBB97_812
; %bb.811:
	v_cvt_i16_f16_e32 v3, v2
	s_mov_b64 s[6:7], 0
	global_store_byte v[0:1], v3, off
.LBB97_812:
	s_andn2_b64 vcc, exec, s[6:7]
	s_cbranch_vccnz .LBB97_814
; %bb.813:
	v_cvt_f32_f16_e32 v2, v2
	v_cvt_i32_f32_e32 v2, v2
	global_store_byte v[0:1], v2, off
.LBB97_814:
	s_mov_b64 s[6:7], -1
.LBB97_815:
	s_andn2_b64 vcc, exec, s[6:7]
	s_cbranch_vccnz .LBB97_817
; %bb.816:
	v_add_u32_e32 v8, 0x80, v8
	s_mov_b64 s[6:7], -1
	s_branch .LBB97_819
.LBB97_817:
	s_mov_b64 s[6:7], 0
.LBB97_818:
                                        ; implicit-def: $vgpr8
.LBB97_819:
	s_andn2_b64 s[8:9], s[62:63], exec
	s_and_b64 s[2:3], s[2:3], exec
	s_or_b64 s[68:69], s[8:9], s[2:3]
	s_andn2_b64 s[2:3], s[60:61], exec
	s_and_b64 s[4:5], s[4:5], exec
	s_or_b64 s[2:3], s[2:3], s[4:5]
	s_orn2_b64 s[6:7], s[6:7], exec
.LBB97_820:
	s_or_b64 exec, exec, s[66:67]
	s_mov_b64 s[4:5], 0
	s_mov_b64 s[10:11], 0
	;; [unrolled: 1-line block ×3, first 2 shown]
                                        ; implicit-def: $vgpr2_vgpr3
                                        ; implicit-def: $vgpr0
                                        ; implicit-def: $vgpr1
	s_and_saveexec_b64 s[66:67], s[6:7]
	s_cbranch_execz .LBB97_920
; %bb.821:
	v_cmp_gt_i32_e32 vcc, s70, v8
	s_mov_b64 s[6:7], 0
	s_mov_b64 s[12:13], s[2:3]
                                        ; implicit-def: $vgpr2_vgpr3
                                        ; implicit-def: $vgpr0
                                        ; implicit-def: $vgpr1
	s_and_saveexec_b64 s[70:71], vcc
	s_cbranch_execz .LBB97_919
; %bb.822:
	s_andn2_b64 vcc, exec, s[42:43]
	s_cbranch_vccnz .LBB97_828
; %bb.823:
	s_andn2_b64 vcc, exec, s[52:53]
	s_cbranch_vccnz .LBB97_829
; %bb.824:
	s_add_i32 s76, s75, 1
	s_cmp_eq_u32 s72, 2
	s_cbranch_scc1 .LBB97_830
; %bb.825:
	s_and_b32 s75, s76, 28
	s_mov_b32 s77, 0
	v_mov_b32_e32 v0, 0
	v_mov_b32_e32 v2, 0
	s_mov_b64 s[52:53], s[34:35]
	v_mov_b32_e32 v4, v8
.LBB97_826:                             ; =>This Inner Loop Header: Depth=1
	s_load_dwordx8 s[12:19], s[52:53], 0x4
	s_load_dwordx4 s[36:39], s[52:53], 0x24
	s_load_dwordx8 s[4:11], s[50:51], 0x0
	s_add_u32 s52, s52, 48
	s_addc_u32 s53, s53, 0
	s_waitcnt vmcnt(0) lgkmcnt(0)
	v_mul_hi_u32 v1, s13, v4
	v_add_u32_e32 v1, v4, v1
	v_lshrrev_b32_e32 v1, s14, v1
	v_mul_lo_u32 v3, v1, s12
	v_mul_hi_u32 v5, s16, v1
	v_sub_u32_e32 v3, v4, v3
	v_add_u32_e32 v4, v1, v5
	v_lshrrev_b32_e32 v4, s17, v4
	v_mul_lo_u32 v6, v4, s15
	v_mul_hi_u32 v7, s19, v4
	v_sub_u32_e32 v1, v1, v6
	v_add_u32_e32 v6, v4, v7
	v_mul_lo_u32 v5, v3, s5
	v_mul_lo_u32 v3, v3, s4
	;; [unrolled: 1-line block ×4, first 2 shown]
	v_lshrrev_b32_e32 v6, s36, v6
	v_add3_u32 v0, v3, v0, v1
	v_mul_hi_u32 v3, s38, v6
	v_add3_u32 v1, v5, v2, v7
	v_mul_lo_u32 v2, v6, s18
	v_add_u32_e32 v3, v6, v3
	v_sub_u32_e32 v2, v4, v2
	v_lshrrev_b32_e32 v4, s39, v3
	s_add_i32 s77, s77, 4
	v_mul_lo_u32 v3, v4, s37
	s_add_u32 s50, s50, 32
	v_sub_u32_e32 v3, v6, v3
	s_addc_u32 s51, s51, 0
	v_mul_lo_u32 v5, v2, s8
	v_mul_lo_u32 v2, v2, s9
	;; [unrolled: 1-line block ×4, first 2 shown]
	s_cmp_eq_u32 s75, s77
	v_add3_u32 v2, v2, v1, v3
	v_add3_u32 v0, v5, v0, v6
	s_cbranch_scc0 .LBB97_826
; %bb.827:
	v_mov_b32_e32 v1, v2
	s_branch .LBB97_831
.LBB97_828:
	s_mov_b64 s[4:5], -1
                                        ; implicit-def: $vgpr2
                                        ; implicit-def: $vgpr0
	s_branch .LBB97_835
.LBB97_829:
	v_mov_b32_e32 v2, 0
	v_mov_b32_e32 v0, 0
	s_branch .LBB97_834
.LBB97_830:
	v_mov_b32_e32 v0, 0
	s_mov_b32 s75, 0
	s_waitcnt vmcnt(0)
	v_mov_b32_e32 v1, v0
                                        ; implicit-def: $vgpr2
	v_mov_b32_e32 v4, v8
.LBB97_831:
	s_and_b32 s8, s76, 3
	s_cmp_eq_u32 s8, 0
	s_cbranch_scc1 .LBB97_834
; %bb.832:
	s_lshl_b32 s4, s75, 3
	s_add_u32 s4, s34, s4
	s_addc_u32 s5, s35, 0
	s_add_u32 s4, s4, 0xc4
	s_addc_u32 s5, s5, 0
	s_mul_i32 s6, s75, 12
	s_add_u32 s6, s34, s6
	s_addc_u32 s7, s35, 0
.LBB97_833:                             ; =>This Inner Loop Header: Depth=1
	s_load_dwordx2 s[10:11], s[6:7], 0x4
	s_load_dword s9, s[6:7], 0xc
	s_load_dwordx2 s[12:13], s[4:5], 0x0
	v_mov_b32_e32 v2, v1
	s_add_u32 s6, s6, 12
	s_waitcnt lgkmcnt(0)
	v_mul_hi_u32 v1, s11, v4
	v_add_u32_e32 v1, v4, v1
	v_lshrrev_b32_e32 v1, s9, v1
	s_addc_u32 s7, s7, 0
	v_mul_lo_u32 v3, v1, s10
	s_add_u32 s4, s4, 8
	v_sub_u32_e32 v5, v4, v3
	s_addc_u32 s5, s5, 0
	s_add_i32 s8, s8, -1
	v_mov_b32_e32 v4, v1
	v_mad_u64_u32 v[2:3], s[10:11], v5, s13, v[2:3]
	v_mad_u64_u32 v[0:1], s[10:11], v5, s12, v[0:1]
	s_cmp_lg_u32 s8, 0
	v_mov_b32_e32 v1, v2
	s_cbranch_scc1 .LBB97_833
.LBB97_834:
	s_mov_b64 s[4:5], 0
.LBB97_835:
	s_andn2_b64 vcc, exec, s[4:5]
	s_cbranch_vccnz .LBB97_838
; %bb.836:
	s_waitcnt lgkmcnt(0)
	v_mul_hi_u32 v0, s29, v8
	v_add_u32_e32 v0, v8, v0
	s_waitcnt vmcnt(0)
	v_lshrrev_b32_e32 v1, s30, v0
	v_mul_lo_u32 v0, v1, s28
	v_sub_u32_e32 v0, v8, v0
	v_mul_lo_u32 v2, v0, s25
	s_andn2_b64 vcc, exec, s[48:49]
	v_mul_lo_u32 v0, v0, s24
	s_cbranch_vccnz .LBB97_838
; %bb.837:
	v_mul_hi_u32 v3, s46, v1
	v_add_u32_e32 v3, v1, v3
	v_lshrrev_b32_e32 v3, s47, v3
	v_mul_lo_u32 v3, v3, s31
	v_sub_u32_e32 v3, v1, v3
	v_mad_u64_u32 v[0:1], s[4:5], v3, s26, v[0:1]
	v_mad_u64_u32 v[2:3], s[4:5], v3, s27, v[2:3]
.LBB97_838:
	v_mov_b32_e32 v3, 0
	s_and_b32 s14, 0xffff, s74
	s_cmp_lt_i32 s14, 11
	s_waitcnt lgkmcnt(0)
	v_lshl_add_u64 v[2:3], s[22:23], 0, v[2:3]
	s_cbranch_scc1 .LBB97_845
; %bb.839:
	s_cmp_gt_i32 s14, 25
	s_mov_b64 s[6:7], 0
	s_cbranch_scc0 .LBB97_846
; %bb.840:
	s_cmp_gt_i32 s14, 28
	s_cbranch_scc0 .LBB97_847
; %bb.841:
	s_cmp_gt_i32 s14, 43
	;; [unrolled: 3-line block ×3, first 2 shown]
	s_cbranch_scc0 .LBB97_851
; %bb.843:
	s_cmp_eq_u32 s14, 46
	s_mov_b64 s[10:11], 0
	s_cbranch_scc0 .LBB97_854
; %bb.844:
	global_load_dword v1, v[2:3], off
	s_mov_b64 s[4:5], 0
	s_mov_b64 s[8:9], -1
	s_waitcnt vmcnt(0)
	v_lshlrev_b32_e32 v1, 16, v1
	v_cvt_f16_f32_e32 v1, v1
	s_branch .LBB97_855
.LBB97_845:
	s_mov_b64 s[10:11], -1
	s_mov_b64 s[8:9], 0
	s_mov_b64 s[6:7], 0
	;; [unrolled: 1-line block ×3, first 2 shown]
                                        ; implicit-def: $vgpr1
	s_branch .LBB97_918
.LBB97_846:
	s_mov_b64 s[10:11], -1
	s_mov_b64 s[8:9], 0
	s_mov_b64 s[4:5], s[2:3]
                                        ; implicit-def: $vgpr1
	s_branch .LBB97_884
.LBB97_847:
	s_mov_b64 s[10:11], -1
	s_mov_b64 s[8:9], 0
	s_mov_b64 s[4:5], s[2:3]
                                        ; implicit-def: $vgpr1
	s_branch .LBB97_865
.LBB97_848:
	s_mov_b64 s[10:11], -1
	s_mov_b64 s[8:9], 0
	s_mov_b64 s[4:5], s[2:3]
                                        ; implicit-def: $vgpr1
	s_branch .LBB97_860
.LBB97_849:
	s_andn2_saveexec_b64 s[10:11], s[10:11]
	s_cbranch_execz .LBB97_728
.LBB97_850:
	s_mov_b32 s14, 0x46000000
	v_add_f32_e64 v4, |v3|, s14
	v_and_b32_e32 v4, 0xff, v4
	v_cmp_ne_u32_e32 vcc, 0, v4
	s_andn2_b64 s[8:9], s[8:9], exec
	s_and_b64 s[14:15], vcc, exec
	s_or_b64 s[8:9], s[8:9], s[14:15]
	s_or_b64 exec, exec, s[10:11]
	v_mov_b32_e32 v5, 0
	s_and_saveexec_b64 s[10:11], s[8:9]
	s_cbranch_execnz .LBB97_729
	s_branch .LBB97_730
.LBB97_851:
	s_mov_b64 s[10:11], -1
	s_mov_b64 s[8:9], 0
	s_mov_b64 s[4:5], s[2:3]
                                        ; implicit-def: $vgpr1
	s_branch .LBB97_855
.LBB97_852:
	s_andn2_saveexec_b64 s[10:11], s[10:11]
	s_cbranch_execz .LBB97_741
.LBB97_853:
	s_mov_b32 s14, 0x42800000
	v_add_f32_e64 v4, |v3|, s14
	v_and_b32_e32 v4, 0xff, v4
	v_cmp_ne_u32_e32 vcc, 0, v4
	s_andn2_b64 s[8:9], s[8:9], exec
	s_and_b64 s[14:15], vcc, exec
	s_or_b64 s[8:9], s[8:9], s[14:15]
	s_or_b64 exec, exec, s[10:11]
	v_mov_b32_e32 v5, 0
	s_and_saveexec_b64 s[10:11], s[8:9]
	s_cbranch_execnz .LBB97_742
	s_branch .LBB97_743
.LBB97_854:
	s_mov_b64 s[4:5], -1
                                        ; implicit-def: $vgpr1
	s_mov_b64 s[8:9], 0
.LBB97_855:
	s_and_b64 vcc, exec, s[10:11]
	s_cbranch_vccz .LBB97_859
; %bb.856:
	s_cmp_eq_u32 s14, 44
	s_cbranch_scc0 .LBB97_858
; %bb.857:
	global_load_ubyte v1, v[2:3], off
	s_movk_i32 s8, 0xff
	v_mov_b32_e32 v5, 0x7e00
	s_mov_b64 s[4:5], 0
	s_waitcnt vmcnt(0)
	v_lshlrev_b32_e32 v4, 23, v1
	v_cvt_f16_f32_e32 v4, v4
	v_cmp_ne_u32_e32 vcc, s8, v1
	s_mov_b64 s[8:9], -1
	s_nop 0
	v_cndmask_b32_e32 v4, v5, v4, vcc
	v_cmp_ne_u32_e32 vcc, 0, v1
	s_nop 1
	v_cndmask_b32_e32 v1, 0, v4, vcc
	s_branch .LBB97_859
.LBB97_858:
	s_mov_b64 s[4:5], -1
                                        ; implicit-def: $vgpr1
.LBB97_859:
	s_mov_b64 s[10:11], 0
.LBB97_860:
	s_and_b64 vcc, exec, s[10:11]
	s_cbranch_vccz .LBB97_864
; %bb.861:
	s_cmp_eq_u32 s14, 29
	s_cbranch_scc0 .LBB97_863
; %bb.862:
	global_load_dwordx2 v[4:5], v[2:3], off
	s_mov_b64 s[4:5], 0
	s_mov_b64 s[8:9], -1
	s_mov_b64 s[10:11], 0
	s_waitcnt vmcnt(0)
	v_ffbh_u32_e32 v1, v5
	v_min_u32_e32 v1, 32, v1
	v_lshlrev_b64 v[4:5], v1, v[4:5]
	v_min_u32_e32 v4, 1, v4
	v_or_b32_e32 v4, v5, v4
	v_cvt_f32_u32_e32 v4, v4
	v_sub_u32_e32 v1, 32, v1
	v_ldexp_f32 v1, v4, v1
	v_cvt_f16_f32_e32 v1, v1
	s_branch .LBB97_865
.LBB97_863:
	s_mov_b64 s[4:5], -1
                                        ; implicit-def: $vgpr1
.LBB97_864:
	s_mov_b64 s[10:11], 0
.LBB97_865:
	s_and_b64 vcc, exec, s[10:11]
	s_cbranch_vccz .LBB97_883
; %bb.866:
	s_cmp_lt_i32 s14, 27
	s_cbranch_scc1 .LBB97_869
; %bb.867:
	s_cmp_gt_i32 s14, 27
	s_cbranch_scc0 .LBB97_870
; %bb.868:
	global_load_dword v1, v[2:3], off
	s_mov_b64 s[8:9], 0
	s_waitcnt vmcnt(0)
	v_cvt_f32_u32_e32 v1, v1
	v_cvt_f16_f32_e32 v1, v1
	s_branch .LBB97_871
.LBB97_869:
	s_mov_b64 s[8:9], -1
                                        ; implicit-def: $vgpr1
	s_branch .LBB97_874
.LBB97_870:
	s_mov_b64 s[8:9], -1
                                        ; implicit-def: $vgpr1
.LBB97_871:
	s_andn2_b64 vcc, exec, s[8:9]
	s_cbranch_vccnz .LBB97_873
; %bb.872:
	global_load_ushort v1, v[2:3], off
	s_waitcnt vmcnt(0)
	v_cvt_f16_u16_e32 v1, v1
.LBB97_873:
	s_mov_b64 s[8:9], 0
.LBB97_874:
	s_andn2_b64 vcc, exec, s[8:9]
	s_cbranch_vccnz .LBB97_882
; %bb.875:
	global_load_ubyte v4, v[2:3], off
	s_movk_i32 s8, 0x7f
	s_waitcnt vmcnt(0)
	v_cmp_lt_i16_e32 vcc, s8, v4
	s_mov_b64 s[8:9], 0
	s_and_saveexec_b64 s[10:11], vcc
	s_xor_b64 s[10:11], exec, s[10:11]
	s_cbranch_execz .LBB97_896
; %bb.876:
	s_movk_i32 s8, 0x80
	v_cmp_eq_u16_e32 vcc, s8, v4
	s_mov_b64 s[8:9], -1
	s_and_saveexec_b64 s[12:13], vcc
; %bb.877:
	s_xor_b64 s[8:9], exec, -1
; %bb.878:
	s_or_b64 exec, exec, s[12:13]
	s_and_b64 s[8:9], s[8:9], exec
	s_or_saveexec_b64 s[10:11], s[10:11]
	v_mov_b32_e32 v1, 0x7e00
	s_xor_b64 exec, exec, s[10:11]
	s_cbranch_execnz .LBB97_897
.LBB97_879:
	s_or_b64 exec, exec, s[10:11]
	s_and_saveexec_b64 s[10:11], s[8:9]
	s_cbranch_execz .LBB97_881
.LBB97_880:
	v_lshlrev_b32_e32 v1, 24, v4
	v_and_b32_e32 v4, 0xffff, v4
	v_and_b32_e32 v5, 7, v4
	v_ffbh_u32_e32 v7, v5
	v_min_u32_e32 v7, 32, v7
	v_subrev_u32_e32 v8, 28, v7
	v_bfe_u32 v6, v4, 3, 4
	v_lshlrev_b32_e32 v4, v8, v4
	v_sub_u32_e32 v7, 29, v7
	v_and_b32_e32 v4, 7, v4
	v_cmp_eq_u32_e32 vcc, 0, v6
	v_and_b32_e32 v1, 0x80000000, v1
	s_nop 0
	v_cndmask_b32_e32 v6, v6, v7, vcc
	v_cndmask_b32_e32 v4, v5, v4, vcc
	v_mov_b32_e32 v5, 0x3b800000
	v_lshlrev_b32_e32 v4, 20, v4
	v_lshl_add_u32 v5, v6, 23, v5
	v_or3_b32 v1, v1, v5, v4
	v_cvt_f16_f32_e32 v1, v1
.LBB97_881:
	s_or_b64 exec, exec, s[10:11]
.LBB97_882:
	s_mov_b64 s[8:9], -1
.LBB97_883:
	s_mov_b64 s[10:11], 0
.LBB97_884:
	s_and_b64 vcc, exec, s[10:11]
	s_cbranch_vccz .LBB97_917
; %bb.885:
	s_cmp_gt_i32 s14, 22
	s_cbranch_scc0 .LBB97_895
; %bb.886:
	s_cmp_lt_i32 s14, 24
	s_cbranch_scc1 .LBB97_898
; %bb.887:
	s_cmp_gt_i32 s14, 24
	s_cbranch_scc0 .LBB97_899
; %bb.888:
	global_load_ubyte v4, v[2:3], off
	s_movk_i32 s6, 0x7f
	s_waitcnt vmcnt(0)
	v_cmp_lt_i16_e32 vcc, s6, v4
	s_mov_b64 s[6:7], 0
	s_and_saveexec_b64 s[8:9], vcc
	s_xor_b64 s[8:9], exec, s[8:9]
	s_cbranch_execz .LBB97_911
; %bb.889:
	s_movk_i32 s6, 0x80
	v_cmp_eq_u16_e32 vcc, s6, v4
	s_mov_b64 s[6:7], -1
	s_and_saveexec_b64 s[10:11], vcc
; %bb.890:
	s_xor_b64 s[6:7], exec, -1
; %bb.891:
	s_or_b64 exec, exec, s[10:11]
	s_and_b64 s[6:7], s[6:7], exec
	s_or_saveexec_b64 s[8:9], s[8:9]
	v_mov_b32_e32 v1, 0x7e00
	s_xor_b64 exec, exec, s[8:9]
	s_cbranch_execnz .LBB97_912
.LBB97_892:
	s_or_b64 exec, exec, s[8:9]
	s_and_saveexec_b64 s[8:9], s[6:7]
	s_cbranch_execz .LBB97_894
.LBB97_893:
	v_lshlrev_b32_e32 v1, 24, v4
	v_and_b32_e32 v4, 0xffff, v4
	v_and_b32_e32 v5, 3, v4
	v_ffbh_u32_e32 v7, v5
	v_min_u32_e32 v7, 32, v7
	v_subrev_u32_e32 v8, 29, v7
	v_bfe_u32 v6, v4, 2, 5
	v_lshlrev_b32_e32 v4, v8, v4
	v_sub_u32_e32 v7, 30, v7
	v_and_b32_e32 v4, 3, v4
	v_cmp_eq_u32_e32 vcc, 0, v6
	v_and_b32_e32 v1, 0x80000000, v1
	s_nop 0
	v_cndmask_b32_e32 v6, v6, v7, vcc
	v_cndmask_b32_e32 v4, v5, v4, vcc
	v_mov_b32_e32 v5, 0x37800000
	v_lshlrev_b32_e32 v4, 21, v4
	v_lshl_add_u32 v5, v6, 23, v5
	v_or3_b32 v1, v1, v5, v4
	v_cvt_f16_f32_e32 v1, v1
.LBB97_894:
	s_or_b64 exec, exec, s[8:9]
	s_mov_b64 s[6:7], 0
	s_branch .LBB97_900
.LBB97_895:
	s_mov_b64 s[6:7], -1
                                        ; implicit-def: $vgpr1
	s_branch .LBB97_906
.LBB97_896:
	s_or_saveexec_b64 s[10:11], s[10:11]
	v_mov_b32_e32 v1, 0x7e00
	s_xor_b64 exec, exec, s[10:11]
	s_cbranch_execz .LBB97_879
.LBB97_897:
	v_cmp_ne_u16_e32 vcc, 0, v4
	s_andn2_b64 s[8:9], s[8:9], exec
	s_and_b64 s[12:13], vcc, exec
	s_or_b64 s[8:9], s[8:9], s[12:13]
	v_mov_b32_e32 v1, v4
	s_or_b64 exec, exec, s[10:11]
	s_and_saveexec_b64 s[10:11], s[8:9]
	s_cbranch_execnz .LBB97_880
	s_branch .LBB97_881
.LBB97_898:
	s_mov_b64 s[6:7], -1
                                        ; implicit-def: $vgpr1
	s_branch .LBB97_903
.LBB97_899:
	s_mov_b64 s[6:7], -1
                                        ; implicit-def: $vgpr1
.LBB97_900:
	s_and_b64 vcc, exec, s[6:7]
	s_cbranch_vccz .LBB97_902
; %bb.901:
	global_load_ubyte v1, v[2:3], off
	s_mov_b32 s6, 0x7f800000
	s_waitcnt vmcnt(0)
	v_lshlrev_b32_e32 v1, 24, v1
	v_and_b32_e32 v4, 0x7f000000, v1
	v_ffbh_u32_e32 v5, v4
	v_min_u32_e32 v5, 32, v5
	v_sub_u32_e64 v5, v5, 4 clamp
	v_lshlrev_b32_e32 v7, v5, v4
	v_lshlrev_b32_e32 v5, 23, v5
	v_lshrrev_b32_e32 v7, 4, v7
	v_add_u32_e32 v6, 0x1000000, v4
	v_sub_u32_e32 v5, v7, v5
	v_ashrrev_i32_e32 v6, 8, v6
	v_add_u32_e32 v5, 0x3c000000, v5
	v_and_or_b32 v5, v6, s6, v5
	v_cmp_ne_u32_e32 vcc, 0, v4
	s_brev_b32 s6, 1
	s_nop 0
	v_cndmask_b32_e32 v4, 0, v5, vcc
	v_and_or_b32 v1, v1, s6, v4
	v_cvt_f16_f32_e32 v1, v1
.LBB97_902:
	s_mov_b64 s[6:7], 0
.LBB97_903:
	s_andn2_b64 vcc, exec, s[6:7]
	s_cbranch_vccnz .LBB97_905
; %bb.904:
	global_load_ubyte v1, v[2:3], off
	s_movk_i32 s6, 0x7f00
	s_brev_b32 s7, 16
	s_waitcnt vmcnt(0)
	v_lshlrev_b16_e32 v4, 8, v1
	v_lshlrev_b32_e32 v1, 25, v1
	v_lshrrev_b32_e32 v5, 4, v1
	v_and_or_b32 v6, v4, s6, 0.5
	v_or_b32_e32 v5, 0x70000000, v5
	v_add_f32_e32 v6, -0.5, v6
	v_mul_f32_e32 v5, 0x7800000, v5
	v_cmp_gt_u32_e32 vcc, s7, v1
	v_bfe_i32 v4, v4, 0, 16
	s_brev_b32 s6, 1
	v_cndmask_b32_e32 v1, v5, v6, vcc
	v_and_or_b32 v1, v4, s6, v1
	v_cvt_f16_f32_e32 v1, v1
.LBB97_905:
	s_mov_b64 s[6:7], 0
	s_mov_b64 s[8:9], -1
.LBB97_906:
	s_andn2_b64 vcc, exec, s[6:7]
	s_mov_b64 s[6:7], 0
	s_cbranch_vccnz .LBB97_917
; %bb.907:
	s_cmp_gt_i32 s14, 14
	s_cbranch_scc0 .LBB97_910
; %bb.908:
	s_cmp_eq_u32 s14, 15
	s_cbranch_scc0 .LBB97_913
; %bb.909:
	global_load_ushort v1, v[2:3], off
	s_mov_b64 s[4:5], 0
	s_mov_b64 s[8:9], -1
	s_waitcnt vmcnt(0)
	v_lshlrev_b32_e32 v1, 16, v1
	v_cvt_f16_f32_e32 v1, v1
	s_branch .LBB97_914
.LBB97_910:
	s_mov_b64 s[10:11], -1
                                        ; implicit-def: $vgpr1
	s_branch .LBB97_915
.LBB97_911:
	s_or_saveexec_b64 s[8:9], s[8:9]
	v_mov_b32_e32 v1, 0x7e00
	s_xor_b64 exec, exec, s[8:9]
	s_cbranch_execz .LBB97_892
.LBB97_912:
	v_cmp_ne_u16_e32 vcc, 0, v4
	s_andn2_b64 s[6:7], s[6:7], exec
	s_and_b64 s[10:11], vcc, exec
	s_or_b64 s[6:7], s[6:7], s[10:11]
	v_mov_b32_e32 v1, v4
	s_or_b64 exec, exec, s[8:9]
	s_and_saveexec_b64 s[8:9], s[6:7]
	s_cbranch_execnz .LBB97_893
	s_branch .LBB97_894
.LBB97_913:
	s_mov_b64 s[4:5], -1
                                        ; implicit-def: $vgpr1
.LBB97_914:
	s_mov_b64 s[10:11], 0
.LBB97_915:
	s_and_b64 vcc, exec, s[10:11]
	s_cbranch_vccz .LBB97_917
; %bb.916:
	s_cmp_lg_u32 s14, 11
	s_cselect_b64 s[10:11], -1, 0
	s_andn2_b64 s[4:5], s[4:5], exec
	s_and_b64 s[10:11], s[10:11], exec
	s_mov_b64 s[6:7], -1
	s_or_b64 s[4:5], s[4:5], s[10:11]
.LBB97_917:
	s_mov_b64 s[10:11], 0
.LBB97_918:
	s_andn2_b64 s[12:13], s[2:3], exec
	s_and_b64 s[4:5], s[4:5], exec
	s_and_b64 s[8:9], s[8:9], exec
	;; [unrolled: 1-line block ×4, first 2 shown]
	s_or_b64 s[12:13], s[12:13], s[4:5]
.LBB97_919:
	s_or_b64 exec, exec, s[70:71]
	s_and_b64 s[4:5], s[6:7], exec
	s_andn2_b64 s[2:3], s[2:3], exec
	s_and_b64 s[6:7], s[12:13], exec
	s_and_b64 s[8:9], s[8:9], exec
	;; [unrolled: 1-line block ×3, first 2 shown]
	s_or_b64 s[2:3], s[2:3], s[6:7]
.LBB97_920:
	s_or_b64 exec, exec, s[66:67]
	s_andn2_b64 s[6:7], s[62:63], exec
	s_and_b64 s[12:13], s[68:69], exec
	s_or_b64 s[62:63], s[6:7], s[12:13]
	s_and_b64 s[6:7], s[10:11], exec
	s_andn2_b64 s[10:11], s[60:61], exec
	s_and_b64 s[2:3], s[2:3], exec
	s_and_b64 s[8:9], s[8:9], exec
	;; [unrolled: 1-line block ×3, first 2 shown]
	s_or_b64 s[60:61], s[10:11], s[2:3]
.LBB97_921:
	s_or_b64 exec, exec, s[64:65]
	s_andn2_b64 s[2:3], s[54:55], exec
	s_and_b64 s[10:11], s[62:63], exec
	s_or_b64 s[54:55], s[2:3], s[10:11]
	s_and_b64 s[2:3], s[8:9], exec
	s_and_b64 s[8:9], s[6:7], exec
	;; [unrolled: 1-line block ×3, first 2 shown]
	s_andn2_b64 s[4:5], s[56:57], exec
	s_and_b64 s[6:7], s[60:61], exec
	s_or_b64 s[56:57], s[4:5], s[6:7]
	s_or_b64 exec, exec, s[58:59]
	s_mov_b64 s[4:5], 0
	s_and_saveexec_b64 s[6:7], s[56:57]
	s_cbranch_execz .LBB97_276
.LBB97_922:
	s_mov_b64 s[4:5], exec
	s_andn2_b64 s[62:63], s[62:63], exec
	s_trap 2
	s_or_b64 exec, exec, s[6:7]
	s_and_saveexec_b64 s[6:7], s[62:63]
	s_xor_b64 s[6:7], exec, s[6:7]
	s_cbranch_execnz .LBB97_277
.LBB97_923:
	s_or_b64 exec, exec, s[6:7]
	s_and_saveexec_b64 s[6:7], s[8:9]
	s_cbranch_execz .LBB97_969
.LBB97_924:
	s_sext_i32_i16 s8, s74
	s_cmp_lt_i32 s8, 5
	s_cbranch_scc1 .LBB97_929
; %bb.925:
	s_cmp_lt_i32 s8, 8
	s_cbranch_scc1 .LBB97_930
; %bb.926:
	;; [unrolled: 3-line block ×3, first 2 shown]
	s_cmp_gt_i32 s8, 9
	s_cbranch_scc0 .LBB97_932
; %bb.928:
	global_load_dwordx2 v[4:5], v[2:3], off
	s_movk_i32 s8, 0x1ff
	s_movk_i32 s9, 0xffe
	s_waitcnt vmcnt(1)
	v_mov_b32_e32 v1, 0x7c00
	v_mov_b32_e32 v6, 0x7e00
	s_movk_i32 s10, 0x40f
	s_mov_b32 s11, 0x8000
	s_waitcnt vmcnt(0)
	v_and_or_b32 v4, v5, s8, v4
	v_cmp_ne_u32_e32 vcc, 0, v4
	v_lshrrev_b32_e32 v7, 8, v5
	v_bfe_u32 v8, v5, 20, 11
	v_cndmask_b32_e64 v4, 0, 1, vcc
	v_sub_u32_e32 v9, 0x3f1, v8
	v_and_or_b32 v4, v7, s9, v4
	v_add_u32_e32 v8, 0xfffffc10, v8
	v_med3_i32 v7, v9, 0, 13
	v_or_b32_e32 v9, 0x1000, v4
	v_cmp_ne_u32_e32 vcc, 0, v4
	v_lshl_or_b32 v10, v8, 12, v4
	v_lshrrev_b32_e32 v5, 16, v5
	v_cndmask_b32_e32 v4, v1, v6, vcc
	v_lshrrev_b32_e32 v6, v7, v9
	v_lshlrev_b32_e32 v7, v7, v6
	v_cmp_ne_u32_e32 vcc, v7, v9
	s_mov_b64 s[8:9], 0
	s_nop 0
	v_cndmask_b32_e64 v7, 0, 1, vcc
	v_or_b32_e32 v6, v6, v7
	v_cmp_gt_i32_e32 vcc, 1, v8
	s_nop 1
	v_cndmask_b32_e32 v6, v10, v6, vcc
	v_and_b32_e32 v7, 7, v6
	v_cmp_lt_i32_e32 vcc, 5, v7
	v_lshrrev_b32_e32 v6, 2, v6
	s_nop 0
	v_cndmask_b32_e64 v9, 0, 1, vcc
	v_cmp_eq_u32_e32 vcc, 3, v7
	s_nop 1
	v_cndmask_b32_e64 v7, 0, 1, vcc
	v_or_b32_e32 v7, v7, v9
	v_add_u32_e32 v6, v6, v7
	v_cmp_gt_i32_e32 vcc, 31, v8
	s_nop 1
	v_cndmask_b32_e32 v1, v1, v6, vcc
	v_cmp_eq_u32_e32 vcc, s10, v8
	s_nop 1
	v_cndmask_b32_e32 v1, v1, v4, vcc
	v_and_or_b32 v1, v5, s11, v1
	s_branch .LBB97_933
.LBB97_929:
                                        ; implicit-def: $vgpr1
	s_branch .LBB97_950
.LBB97_930:
                                        ; implicit-def: $vgpr1
	s_branch .LBB97_939
.LBB97_931:
	s_mov_b64 s[8:9], -1
                                        ; implicit-def: $vgpr1
	s_branch .LBB97_936
.LBB97_932:
	s_mov_b64 s[8:9], -1
                                        ; implicit-def: $vgpr1
.LBB97_933:
	s_andn2_b64 vcc, exec, s[8:9]
	s_cbranch_vccnz .LBB97_935
; %bb.934:
	global_load_dword v1, v[2:3], off
	s_waitcnt vmcnt(0)
	v_cvt_f16_f32_e32 v1, v1
.LBB97_935:
	s_mov_b64 s[8:9], 0
.LBB97_936:
	s_andn2_b64 vcc, exec, s[8:9]
	s_cbranch_vccnz .LBB97_938
; %bb.937:
	global_load_dword v1, v[2:3], off
.LBB97_938:
	s_cbranch_execnz .LBB97_949
.LBB97_939:
	s_sext_i32_i16 s8, s74
	s_cmp_lt_i32 s8, 6
	s_cbranch_scc1 .LBB97_942
; %bb.940:
	s_cmp_gt_i32 s8, 6
	s_cbranch_scc0 .LBB97_943
; %bb.941:
	global_load_dwordx2 v[4:5], v[2:3], off
	s_movk_i32 s8, 0x1ff
	s_movk_i32 s9, 0xffe
	s_waitcnt vmcnt(1)
	v_mov_b32_e32 v1, 0x7c00
	v_mov_b32_e32 v6, 0x7e00
	s_movk_i32 s10, 0x40f
	s_mov_b32 s11, 0x8000
	s_waitcnt vmcnt(0)
	v_and_or_b32 v4, v5, s8, v4
	v_cmp_ne_u32_e32 vcc, 0, v4
	v_lshrrev_b32_e32 v7, 8, v5
	v_bfe_u32 v8, v5, 20, 11
	v_cndmask_b32_e64 v4, 0, 1, vcc
	v_sub_u32_e32 v9, 0x3f1, v8
	v_and_or_b32 v4, v7, s9, v4
	v_add_u32_e32 v8, 0xfffffc10, v8
	v_med3_i32 v7, v9, 0, 13
	v_or_b32_e32 v9, 0x1000, v4
	v_cmp_ne_u32_e32 vcc, 0, v4
	v_lshl_or_b32 v10, v8, 12, v4
	v_lshrrev_b32_e32 v5, 16, v5
	v_cndmask_b32_e32 v4, v1, v6, vcc
	v_lshrrev_b32_e32 v6, v7, v9
	v_lshlrev_b32_e32 v7, v7, v6
	v_cmp_ne_u32_e32 vcc, v7, v9
	s_mov_b64 s[8:9], 0
	s_nop 0
	v_cndmask_b32_e64 v7, 0, 1, vcc
	v_or_b32_e32 v6, v6, v7
	v_cmp_gt_i32_e32 vcc, 1, v8
	s_nop 1
	v_cndmask_b32_e32 v6, v10, v6, vcc
	v_and_b32_e32 v7, 7, v6
	v_cmp_lt_i32_e32 vcc, 5, v7
	v_lshrrev_b32_e32 v6, 2, v6
	s_nop 0
	v_cndmask_b32_e64 v9, 0, 1, vcc
	v_cmp_eq_u32_e32 vcc, 3, v7
	s_nop 1
	v_cndmask_b32_e64 v7, 0, 1, vcc
	v_or_b32_e32 v7, v7, v9
	v_add_u32_e32 v6, v6, v7
	v_cmp_gt_i32_e32 vcc, 31, v8
	s_nop 1
	v_cndmask_b32_e32 v1, v1, v6, vcc
	v_cmp_eq_u32_e32 vcc, s10, v8
	s_nop 1
	v_cndmask_b32_e32 v1, v1, v4, vcc
	v_and_or_b32 v1, v5, s11, v1
	s_branch .LBB97_944
.LBB97_942:
	s_mov_b64 s[8:9], -1
                                        ; implicit-def: $vgpr1
	s_branch .LBB97_947
.LBB97_943:
	s_mov_b64 s[8:9], -1
                                        ; implicit-def: $vgpr1
.LBB97_944:
	s_andn2_b64 vcc, exec, s[8:9]
	s_cbranch_vccnz .LBB97_946
; %bb.945:
	global_load_dword v1, v[2:3], off
	s_waitcnt vmcnt(0)
	v_cvt_f16_f32_e32 v1, v1
.LBB97_946:
	s_mov_b64 s[8:9], 0
.LBB97_947:
	s_andn2_b64 vcc, exec, s[8:9]
	s_cbranch_vccnz .LBB97_949
; %bb.948:
	global_load_ushort v1, v[2:3], off
.LBB97_949:
	s_cbranch_execnz .LBB97_968
.LBB97_950:
	s_sext_i32_i16 s8, s74
	s_cmp_lt_i32 s8, 2
	s_cbranch_scc1 .LBB97_954
; %bb.951:
	s_cmp_lt_i32 s8, 3
	s_cbranch_scc1 .LBB97_955
; %bb.952:
	s_cmp_gt_i32 s8, 3
	s_cbranch_scc0 .LBB97_956
; %bb.953:
	global_load_dwordx2 v[4:5], v[2:3], off
	s_mov_b64 s[8:9], 0
	s_waitcnt vmcnt(0)
	v_xor_b32_e32 v6, v4, v5
	v_ffbh_i32_e32 v1, v5
	v_ashrrev_i32_e32 v6, 31, v6
	v_add_u32_e32 v1, -1, v1
	v_add_u32_e32 v6, 32, v6
	v_min_u32_e32 v1, v1, v6
	v_lshlrev_b64 v[4:5], v1, v[4:5]
	v_min_u32_e32 v4, 1, v4
	v_or_b32_e32 v4, v5, v4
	v_cvt_f32_i32_e32 v4, v4
	v_sub_u32_e32 v1, 32, v1
	v_ldexp_f32 v1, v4, v1
	v_cvt_f16_f32_e32 v1, v1
	s_branch .LBB97_957
.LBB97_954:
                                        ; implicit-def: $vgpr1
	s_branch .LBB97_963
.LBB97_955:
	s_mov_b64 s[8:9], -1
                                        ; implicit-def: $vgpr1
	s_branch .LBB97_960
.LBB97_956:
	s_mov_b64 s[8:9], -1
                                        ; implicit-def: $vgpr1
.LBB97_957:
	s_andn2_b64 vcc, exec, s[8:9]
	s_cbranch_vccnz .LBB97_959
; %bb.958:
	global_load_dword v1, v[2:3], off
	s_waitcnt vmcnt(0)
	v_cvt_f32_i32_e32 v1, v1
	v_cvt_f16_f32_e32 v1, v1
.LBB97_959:
	s_mov_b64 s[8:9], 0
.LBB97_960:
	s_andn2_b64 vcc, exec, s[8:9]
	s_cbranch_vccnz .LBB97_962
; %bb.961:
	global_load_ushort v1, v[2:3], off
	s_waitcnt vmcnt(0)
	v_cvt_f16_i16_e32 v1, v1
.LBB97_962:
	s_cbranch_execnz .LBB97_968
.LBB97_963:
	s_sext_i32_i16 s8, s74
	s_cmp_gt_i32 s8, 0
	s_cbranch_scc0 .LBB97_965
; %bb.964:
	global_load_sbyte v1, v[2:3], off
	s_mov_b64 s[8:9], 0
	s_waitcnt vmcnt(0)
	v_cvt_f16_i16_e32 v1, v1
	s_branch .LBB97_966
.LBB97_965:
	s_mov_b64 s[8:9], -1
                                        ; implicit-def: $vgpr1
.LBB97_966:
	s_andn2_b64 vcc, exec, s[8:9]
	s_cbranch_vccnz .LBB97_968
; %bb.967:
	global_load_ubyte v1, v[2:3], off
	s_waitcnt vmcnt(0)
	v_cvt_f16_u16_e32 v1, v1
.LBB97_968:
	s_or_b64 s[2:3], s[2:3], exec
.LBB97_969:
	s_or_b64 exec, exec, s[6:7]
	s_mov_b64 s[10:11], 0
	s_mov_b64 s[8:9], 0
                                        ; implicit-def: $sgpr16
                                        ; implicit-def: $vgpr2_vgpr3
                                        ; implicit-def: $vgpr4
	s_and_saveexec_b64 s[6:7], s[2:3]
	s_cbranch_execz .LBB97_987
; %bb.970:
	s_waitcnt vmcnt(0)
	v_cvt_f32_f16_e32 v2, v1
	s_mov_b32 s2, 0x3fb8aa3b
	s_mov_b32 s3, 0x32a5705f
	s_and_b32 s16, s73, 0xff
	v_mul_f32_e32 v3, 0x3fb8aa3b, v2
	v_rndne_f32_e32 v4, v3
	v_fma_mix_f32 v5, v1, s2, -v3 op_sel_hi:[1,0,0]
	v_sub_f32_e32 v3, v3, v4
	v_fma_mix_f32 v1, v1, s3, v5 op_sel_hi:[1,0,0]
	s_mov_b32 s2, 0xc2ce8ed0
	v_add_f32_e32 v1, v3, v1
	v_cvt_i32_f32_e32 v3, v4
	v_exp_f32_e32 v1, v1
	v_cmp_ngt_f32_e32 vcc, s2, v2
	s_mov_b32 s2, 0x42b17218
	s_cmp_lt_i32 s16, 11
	v_ldexp_f32 v1, v1, v3
	v_cndmask_b32_e32 v1, 0, v1, vcc
	v_mov_b32_e32 v3, 0x7f800000
	v_cmp_nlt_f32_e32 vcc, s2, v2
	s_nop 1
	v_cndmask_b32_e32 v1, v3, v1, vcc
	v_cvt_f16_f32_e32 v4, v1
	v_mov_b32_e32 v1, 0
	s_waitcnt lgkmcnt(0)
	v_lshl_add_u64 v[2:3], s[20:21], 0, v[0:1]
	s_cbranch_scc1 .LBB97_990
; %bb.971:
	s_and_b32 s17, 0xffff, s16
	s_mov_b64 s[10:11], -1
	s_cmp_gt_i32 s17, 25
	s_mov_b64 s[2:3], s[54:55]
	s_cbranch_scc0 .LBB97_1008
; %bb.972:
	s_mov_b64 s[8:9], -1
	s_cmp_gt_i32 s17, 28
	s_mov_b64 s[2:3], s[54:55]
	s_cbranch_scc0 .LBB97_992
; %bb.973:
	s_cmp_gt_i32 s17, 43
	s_mov_b64 s[2:3], s[54:55]
	s_cbranch_scc0 .LBB97_984
; %bb.974:
	;; [unrolled: 4-line block ×3, first 2 shown]
	s_cmp_eq_u32 s17, 46
	s_mov_b64 s[2:3], -1
	s_cbranch_scc0 .LBB97_977
; %bb.976:
	v_cvt_f32_f16_e32 v0, v4
	s_movk_i32 s2, 0x7fff
	v_cmp_o_f16_e32 vcc, v4, v4
	v_mov_b32_e32 v1, 0x7fc0
	v_bfe_u32 v5, v0, 16, 1
	v_add3_u32 v0, v0, v5, s2
	v_cndmask_b32_sdwa v0, v1, v0, vcc dst_sel:DWORD dst_unused:UNUSED_PAD src0_sel:DWORD src1_sel:WORD_1
	global_store_dword v[2:3], v0, off
	s_mov_b64 s[2:3], 0
.LBB97_977:
	s_mov_b64 s[8:9], 0
.LBB97_978:
	s_and_b64 vcc, exec, s[8:9]
	s_cbranch_vccz .LBB97_983
; %bb.979:
	s_cmp_eq_u32 s17, 44
	s_mov_b64 s[2:3], -1
	s_cbranch_scc0 .LBB97_983
; %bb.980:
	v_cvt_f32_f16_e32 v0, v4
	s_movk_i32 s2, 0xff
	v_mov_b32_e32 v5, 0xff
	v_bfe_u32 v1, v0, 23, 8
	v_cmp_ne_u32_e32 vcc, s2, v1
	s_and_saveexec_b64 s[8:9], vcc
; %bb.981:
	s_mov_b32 s2, 0x3fffff
	v_lshrrev_b32_e32 v5, 23, v0
	v_and_b32_e32 v6, 0x400000, v0
	v_and_or_b32 v0, v0, s2, v1
	v_cmp_ne_u32_e32 vcc, 0, v6
	v_cmp_ne_u32_e64 s[2:3], 0, v0
	s_and_b64 s[2:3], vcc, s[2:3]
	s_nop 0
	v_cndmask_b32_e64 v0, 0, 1, s[2:3]
	v_add_u32_e32 v5, v5, v0
; %bb.982:
	s_or_b64 exec, exec, s[8:9]
	s_mov_b64 s[2:3], 0
	global_store_byte v[2:3], v5, off
.LBB97_983:
	s_mov_b64 s[8:9], 0
.LBB97_984:
	s_and_b64 vcc, exec, s[8:9]
	s_cbranch_vccz .LBB97_991
; %bb.985:
	s_cmp_eq_u32 s17, 29
	s_mov_b64 s[2:3], -1
	s_cbranch_scc0 .LBB97_991
; %bb.986:
	v_cvt_f32_f16_e32 v0, v4
	v_mov_b32_e32 v1, 0
	s_mov_b64 s[2:3], 0
	s_mov_b64 s[8:9], 0
	v_cvt_u32_f32_e32 v0, v0
	global_store_dwordx2 v[2:3], v[0:1], off
	s_branch .LBB97_992
.LBB97_987:
	s_or_b64 exec, exec, s[6:7]
	s_and_saveexec_b64 s[2:3], s[54:55]
	s_cbranch_execnz .LBB97_1050
.LBB97_988:
	s_or_b64 exec, exec, s[2:3]
	s_and_saveexec_b64 s[2:3], s[10:11]
	s_xor_b64 s[2:3], exec, s[2:3]
	s_cbranch_execz .LBB97_1051
.LBB97_989:
	v_cmp_neq_f16_e32 vcc, 0, v4
	s_nop 1
	v_cndmask_b32_e64 v0, 0, 1, vcc
	global_store_byte v[2:3], v0, off
	s_or_b64 exec, exec, s[2:3]
	s_and_saveexec_b64 s[2:3], s[8:9]
	s_xor_b64 s[2:3], exec, s[2:3]
	s_cbranch_execz .LBB97_1089
	s_branch .LBB97_1052
.LBB97_990:
	s_mov_b64 s[8:9], -1
	s_mov_b64 s[2:3], s[54:55]
	s_branch .LBB97_1049
.LBB97_991:
	s_mov_b64 s[8:9], 0
.LBB97_992:
	s_and_b64 vcc, exec, s[8:9]
	s_cbranch_vccz .LBB97_1007
; %bb.993:
	s_cmp_lt_i32 s17, 27
	s_mov_b64 s[8:9], -1
	s_cbranch_scc1 .LBB97_999
; %bb.994:
	s_cmp_gt_i32 s17, 27
	s_cbranch_scc0 .LBB97_996
; %bb.995:
	v_cvt_f32_f16_e32 v0, v4
	s_mov_b64 s[8:9], 0
	v_cvt_u32_f32_e32 v0, v0
	global_store_dword v[2:3], v0, off
.LBB97_996:
	s_andn2_b64 vcc, exec, s[8:9]
	s_cbranch_vccnz .LBB97_998
; %bb.997:
	v_cvt_u16_f16_e32 v0, v4
	global_store_short v[2:3], v0, off
.LBB97_998:
	s_mov_b64 s[8:9], 0
.LBB97_999:
	s_andn2_b64 vcc, exec, s[8:9]
	s_cbranch_vccnz .LBB97_1007
; %bb.1000:
	v_cvt_f32_f16_e32 v0, v4
	s_mov_b32 s8, 0x43800000
	v_mov_b32_e32 v5, 0x80
	v_and_b32_e32 v1, 0x7fffffff, v0
	v_cmp_gt_u32_e32 vcc, s8, v1
	s_and_saveexec_b64 s[8:9], vcc
	s_cbranch_execz .LBB97_1006
; %bb.1001:
	s_mov_b32 s10, 0x3bffffff
	v_cmp_lt_u32_e32 vcc, s10, v1
	s_mov_b64 s[10:11], 0
                                        ; implicit-def: $vgpr1
	s_and_saveexec_b64 s[12:13], vcc
	s_xor_b64 s[12:13], exec, s[12:13]
	s_cbranch_execz .LBB97_1160
; %bb.1002:
	v_bfe_u32 v1, v0, 20, 1
	s_mov_b32 s14, 0x487ffff
	v_add3_u32 v1, v0, v1, s14
	s_mov_b64 s[10:11], exec
	v_lshrrev_b32_e32 v1, 20, v1
	s_andn2_saveexec_b64 s[12:13], s[12:13]
	s_cbranch_execnz .LBB97_1161
.LBB97_1003:
	s_or_b64 exec, exec, s[12:13]
	v_mov_b32_e32 v5, 0
	s_and_saveexec_b64 s[12:13], s[10:11]
.LBB97_1004:
	v_lshrrev_b32_e32 v0, 24, v0
	s_movk_i32 s10, 0x80
	v_and_or_b32 v5, v0, s10, v1
.LBB97_1005:
	s_or_b64 exec, exec, s[12:13]
.LBB97_1006:
	s_or_b64 exec, exec, s[8:9]
	global_store_byte v[2:3], v5, off
.LBB97_1007:
	s_mov_b64 s[10:11], 0
.LBB97_1008:
	s_mov_b64 s[8:9], 0
	s_and_b64 vcc, exec, s[10:11]
	s_cbranch_vccz .LBB97_1048
; %bb.1009:
	s_cmp_gt_i32 s17, 22
	s_mov_b64 s[10:11], -1
	s_cbranch_scc0 .LBB97_1041
; %bb.1010:
	s_cmp_lt_i32 s17, 24
	s_cbranch_scc1 .LBB97_1030
; %bb.1011:
	s_cmp_gt_i32 s17, 24
	s_cbranch_scc0 .LBB97_1019
; %bb.1012:
	v_cvt_f32_f16_e32 v0, v4
	s_mov_b32 s10, 0x47800000
	v_mov_b32_e32 v5, 0x80
	v_and_b32_e32 v1, 0x7fffffff, v0
	v_cmp_gt_u32_e32 vcc, s10, v1
	s_and_saveexec_b64 s[10:11], vcc
	s_cbranch_execz .LBB97_1018
; %bb.1013:
	s_mov_b32 s12, 0x37ffffff
	v_cmp_lt_u32_e32 vcc, s12, v1
	s_mov_b64 s[12:13], 0
                                        ; implicit-def: $vgpr1
	s_and_saveexec_b64 s[14:15], vcc
	s_xor_b64 s[14:15], exec, s[14:15]
	s_cbranch_execz .LBB97_1285
; %bb.1014:
	v_bfe_u32 v1, v0, 21, 1
	s_mov_b32 s18, 0x88fffff
	v_add3_u32 v1, v0, v1, s18
	s_mov_b64 s[12:13], exec
	v_lshrrev_b32_e32 v1, 21, v1
	s_andn2_saveexec_b64 s[14:15], s[14:15]
	s_cbranch_execnz .LBB97_1286
.LBB97_1015:
	s_or_b64 exec, exec, s[14:15]
	v_mov_b32_e32 v5, 0
	s_and_saveexec_b64 s[14:15], s[12:13]
.LBB97_1016:
	v_lshrrev_b32_e32 v0, 24, v0
	s_movk_i32 s12, 0x80
	v_and_or_b32 v5, v0, s12, v1
.LBB97_1017:
	s_or_b64 exec, exec, s[14:15]
.LBB97_1018:
	s_or_b64 exec, exec, s[10:11]
	s_mov_b64 s[10:11], 0
	global_store_byte v[2:3], v5, off
.LBB97_1019:
	s_and_b64 vcc, exec, s[10:11]
	s_cbranch_vccz .LBB97_1029
; %bb.1020:
	v_cvt_f32_f16_e32 v0, v4
	s_mov_b32 s10, 0x43f00000
                                        ; implicit-def: $vgpr1
	v_and_b32_e32 v5, 0x7fffffff, v0
	v_cmp_gt_u32_e32 vcc, s10, v5
	s_and_saveexec_b64 s[10:11], vcc
	s_xor_b64 s[10:11], exec, s[10:11]
	s_cbranch_execz .LBB97_1026
; %bb.1021:
	s_mov_b32 s12, 0x3c7fffff
	v_cmp_lt_u32_e32 vcc, s12, v5
                                        ; implicit-def: $vgpr1
	s_and_saveexec_b64 s[12:13], vcc
	s_xor_b64 s[12:13], exec, s[12:13]
; %bb.1022:
	v_bfe_u32 v1, v0, 20, 1
	s_mov_b32 s14, 0x407ffff
	v_add3_u32 v1, v0, v1, s14
	v_lshrrev_b32_e32 v5, 20, v1
	v_and_b32_e32 v1, 0xff00000, v1
	s_mov_b32 s14, 0x7f00000
	v_mov_b32_e32 v6, 0x7e
	v_cmp_ne_u32_e32 vcc, s14, v1
	s_nop 1
	v_cndmask_b32_e32 v1, v6, v5, vcc
; %bb.1023:
	s_andn2_saveexec_b64 s[12:13], s[12:13]
; %bb.1024:
	s_mov_b32 s14, 0x46800000
	v_add_f32_e64 v1, |v0|, s14
; %bb.1025:
	s_or_b64 exec, exec, s[12:13]
                                        ; implicit-def: $vgpr5
.LBB97_1026:
	s_andn2_saveexec_b64 s[10:11], s[10:11]
; %bb.1027:
	s_mov_b32 s12, 0x7f800000
	v_mov_b32_e32 v1, 0x7e
	v_mov_b32_e32 v6, 0x7f
	v_cmp_lt_u32_e32 vcc, s12, v5
	s_nop 1
	v_cndmask_b32_e32 v1, v1, v6, vcc
; %bb.1028:
	s_or_b64 exec, exec, s[10:11]
	v_lshrrev_b32_e32 v0, 24, v0
	s_movk_i32 s10, 0x80
	v_and_or_b32 v0, v0, s10, v1
	global_store_byte v[2:3], v0, off
.LBB97_1029:
	s_mov_b64 s[10:11], 0
.LBB97_1030:
	s_andn2_b64 vcc, exec, s[10:11]
	s_cbranch_vccnz .LBB97_1040
; %bb.1031:
	v_cvt_f32_f16_e32 v0, v4
	s_mov_b32 s10, 0x47800000
                                        ; implicit-def: $vgpr1
	v_and_b32_e32 v5, 0x7fffffff, v0
	v_cmp_gt_u32_e32 vcc, s10, v5
	s_and_saveexec_b64 s[10:11], vcc
	s_xor_b64 s[10:11], exec, s[10:11]
	s_cbranch_execz .LBB97_1037
; %bb.1032:
	s_mov_b32 s12, 0x387fffff
	v_cmp_lt_u32_e32 vcc, s12, v5
                                        ; implicit-def: $vgpr1
	s_and_saveexec_b64 s[12:13], vcc
	s_xor_b64 s[12:13], exec, s[12:13]
; %bb.1033:
	v_bfe_u32 v1, v0, 21, 1
	s_mov_b32 s14, 0x80fffff
	v_add3_u32 v1, v0, v1, s14
	v_lshrrev_b32_e32 v1, 21, v1
; %bb.1034:
	s_andn2_saveexec_b64 s[12:13], s[12:13]
; %bb.1035:
	s_mov_b32 s14, 0x43000000
	v_add_f32_e64 v1, |v0|, s14
; %bb.1036:
	s_or_b64 exec, exec, s[12:13]
                                        ; implicit-def: $vgpr5
.LBB97_1037:
	s_andn2_saveexec_b64 s[10:11], s[10:11]
; %bb.1038:
	s_mov_b32 s12, 0x7f800000
	v_mov_b32_e32 v1, 0x7c
	v_mov_b32_e32 v6, 0x7f
	v_cmp_lt_u32_e32 vcc, s12, v5
	s_nop 1
	v_cndmask_b32_e32 v1, v1, v6, vcc
; %bb.1039:
	s_or_b64 exec, exec, s[10:11]
	v_lshrrev_b32_e32 v0, 24, v0
	s_movk_i32 s10, 0x80
	v_and_or_b32 v0, v0, s10, v1
	global_store_byte v[2:3], v0, off
.LBB97_1040:
	s_mov_b64 s[10:11], 0
.LBB97_1041:
	s_andn2_b64 vcc, exec, s[10:11]
	s_mov_b64 s[10:11], 0
	s_cbranch_vccnz .LBB97_1049
; %bb.1042:
	s_cmp_gt_i32 s17, 14
	s_mov_b64 s[12:13], -1
	s_cbranch_scc0 .LBB97_1046
; %bb.1043:
	s_cmp_eq_u32 s17, 15
	s_mov_b64 s[2:3], -1
	s_cbranch_scc0 .LBB97_1045
; %bb.1044:
	v_cvt_f32_f16_e32 v0, v4
	s_movk_i32 s2, 0x7fff
	v_cmp_o_f16_e32 vcc, v4, v4
	v_mov_b32_e32 v1, 0x7fc0
	v_bfe_u32 v5, v0, 16, 1
	v_add3_u32 v0, v0, v5, s2
	v_cndmask_b32_sdwa v0, v1, v0, vcc dst_sel:DWORD dst_unused:UNUSED_PAD src0_sel:DWORD src1_sel:WORD_1
	global_store_short v[2:3], v0, off
	s_mov_b64 s[2:3], 0
.LBB97_1045:
	s_mov_b64 s[12:13], 0
.LBB97_1046:
	s_and_b64 vcc, exec, s[12:13]
	s_cbranch_vccz .LBB97_1049
; %bb.1047:
	s_cmp_lg_u32 s17, 11
	s_cselect_b64 s[12:13], -1, 0
	s_andn2_b64 s[2:3], s[2:3], exec
	s_and_b64 s[12:13], s[12:13], exec
	s_mov_b64 s[10:11], -1
	s_or_b64 s[2:3], s[2:3], s[12:13]
	s_branch .LBB97_1049
.LBB97_1048:
	s_mov_b64 s[10:11], 0
.LBB97_1049:
	s_andn2_b64 s[12:13], s[54:55], exec
	s_and_b64 s[2:3], s[2:3], exec
	s_and_b64 s[8:9], s[8:9], exec
	;; [unrolled: 1-line block ×3, first 2 shown]
	s_or_b64 s[54:55], s[12:13], s[2:3]
	s_or_b64 exec, exec, s[6:7]
	s_and_saveexec_b64 s[2:3], s[54:55]
	s_cbranch_execz .LBB97_988
.LBB97_1050:
	s_or_b64 s[4:5], s[4:5], exec
	s_andn2_b64 s[10:11], s[10:11], exec
	s_trap 2
	s_or_b64 exec, exec, s[2:3]
	s_and_saveexec_b64 s[2:3], s[10:11]
	s_xor_b64 s[2:3], exec, s[2:3]
	s_cbranch_execnz .LBB97_989
.LBB97_1051:
	s_or_b64 exec, exec, s[2:3]
	s_and_saveexec_b64 s[2:3], s[8:9]
	s_xor_b64 s[2:3], exec, s[2:3]
	s_cbranch_execz .LBB97_1089
.LBB97_1052:
	s_sext_i32_i16 s8, s16
	s_cmp_lt_i32 s8, 5
	s_mov_b64 s[6:7], -1
	s_cbranch_scc1 .LBB97_1073
; %bb.1053:
	s_cmp_lt_i32 s8, 8
	s_cbranch_scc1 .LBB97_1063
; %bb.1054:
	s_cmp_lt_i32 s8, 9
	s_cbranch_scc1 .LBB97_1060
; %bb.1055:
	s_cmp_gt_i32 s8, 9
	s_cbranch_scc0 .LBB97_1057
; %bb.1056:
	v_cvt_f32_f16_e32 v0, v4
	v_mov_b32_e32 v8, 0
	v_mov_b32_e32 v9, v8
	s_mov_b64 s[6:7], 0
	v_cvt_f64_f32_e32 v[6:7], v0
	global_store_dwordx4 v[2:3], v[6:9], off
.LBB97_1057:
	s_andn2_b64 vcc, exec, s[6:7]
	s_cbranch_vccnz .LBB97_1059
; %bb.1058:
	v_cvt_f32_f16_e32 v0, v4
	s_waitcnt vmcnt(0)
	v_mov_b32_e32 v1, 0
	global_store_dwordx2 v[2:3], v[0:1], off
.LBB97_1059:
	s_mov_b64 s[6:7], 0
.LBB97_1060:
	s_andn2_b64 vcc, exec, s[6:7]
	s_cbranch_vccnz .LBB97_1062
; %bb.1061:
	v_and_b32_e32 v0, 0xffff, v4
	global_store_dword v[2:3], v0, off
.LBB97_1062:
	s_mov_b64 s[6:7], 0
.LBB97_1063:
	s_andn2_b64 vcc, exec, s[6:7]
	s_cbranch_vccnz .LBB97_1072
; %bb.1064:
	s_sext_i32_i16 s8, s16
	s_cmp_lt_i32 s8, 6
	s_mov_b64 s[6:7], -1
	s_cbranch_scc1 .LBB97_1070
; %bb.1065:
	s_cmp_gt_i32 s8, 6
	s_cbranch_scc0 .LBB97_1067
; %bb.1066:
	v_cvt_f32_f16_e32 v0, v4
	s_mov_b64 s[6:7], 0
	s_waitcnt vmcnt(0)
	v_cvt_f64_f32_e32 v[0:1], v0
	global_store_dwordx2 v[2:3], v[0:1], off
.LBB97_1067:
	s_andn2_b64 vcc, exec, s[6:7]
	s_cbranch_vccnz .LBB97_1069
; %bb.1068:
	v_cvt_f32_f16_e32 v0, v4
	global_store_dword v[2:3], v0, off
.LBB97_1069:
	s_mov_b64 s[6:7], 0
.LBB97_1070:
	s_andn2_b64 vcc, exec, s[6:7]
	s_cbranch_vccnz .LBB97_1072
; %bb.1071:
	global_store_short v[2:3], v4, off
.LBB97_1072:
	s_mov_b64 s[6:7], 0
.LBB97_1073:
	s_andn2_b64 vcc, exec, s[6:7]
	s_cbranch_vccnz .LBB97_1089
; %bb.1074:
	s_sext_i32_i16 s8, s16
	s_cmp_lt_i32 s8, 2
	s_mov_b64 s[6:7], -1
	s_cbranch_scc1 .LBB97_1084
; %bb.1075:
	s_cmp_lt_i32 s8, 3
	s_cbranch_scc1 .LBB97_1081
; %bb.1076:
	s_cmp_gt_i32 s8, 3
	s_cbranch_scc0 .LBB97_1078
; %bb.1077:
	v_cvt_f32_f16_e32 v0, v4
	s_mov_b64 s[6:7], 0
	v_cvt_i32_f32_e32 v0, v0
	s_waitcnt vmcnt(0)
	v_ashrrev_i32_e32 v1, 31, v0
	global_store_dwordx2 v[2:3], v[0:1], off
.LBB97_1078:
	s_andn2_b64 vcc, exec, s[6:7]
	s_cbranch_vccnz .LBB97_1080
; %bb.1079:
	v_cvt_f32_f16_e32 v0, v4
	v_cvt_i32_f32_e32 v0, v0
	global_store_dword v[2:3], v0, off
.LBB97_1080:
	s_mov_b64 s[6:7], 0
.LBB97_1081:
	s_andn2_b64 vcc, exec, s[6:7]
	s_cbranch_vccnz .LBB97_1083
; %bb.1082:
	v_cvt_i16_f16_e32 v0, v4
	global_store_short v[2:3], v0, off
.LBB97_1083:
	s_mov_b64 s[6:7], 0
.LBB97_1084:
	s_andn2_b64 vcc, exec, s[6:7]
	s_cbranch_vccnz .LBB97_1089
; %bb.1085:
	s_sext_i32_i16 s6, s16
	s_cmp_gt_i32 s6, 0
	s_mov_b64 s[6:7], -1
	s_cbranch_scc0 .LBB97_1087
; %bb.1086:
	v_cvt_i16_f16_e32 v0, v4
	s_mov_b64 s[6:7], 0
	global_store_byte v[2:3], v0, off
.LBB97_1087:
	s_andn2_b64 vcc, exec, s[6:7]
	s_cbranch_vccnz .LBB97_1089
; %bb.1088:
	v_cvt_f32_f16_e32 v0, v4
	v_cvt_i32_f32_e32 v0, v0
	global_store_byte v[2:3], v0, off
.LBB97_1089:
	s_or_b64 exec, exec, s[2:3]
	s_waitcnt lgkmcnt(0)
	s_and_b64 s[24:25], s[4:5], exec
                                        ; implicit-def: $vgpr16
                                        ; implicit-def: $vgpr8
.LBB97_1090:
	s_or_saveexec_b64 s[26:27], s[44:45]
	s_mov_b64 s[6:7], 0
                                        ; implicit-def: $vgpr0_vgpr1
                                        ; implicit-def: $sgpr14
                                        ; implicit-def: $vgpr2
	s_xor_b64 exec, exec, s[26:27]
	s_cbranch_execz .LBB97_2094
; %bb.1091:
	v_cndmask_b32_e64 v0, 0, 1, s[42:43]
	v_cmp_ne_u32_e64 s[2:3], 1, v0
	s_andn2_b64 vcc, exec, s[42:43]
	s_cbranch_vccnz .LBB97_1097
; %bb.1092:
	s_cmp_lg_u32 s33, 0
	s_mov_b32 s36, 0
	s_cbranch_scc0 .LBB97_1098
; %bb.1093:
	s_min_u32 s37, s72, 15
	s_add_i32 s37, s37, 1
	s_cmp_eq_u32 s72, 2
	s_cbranch_scc1 .LBB97_1099
; %bb.1094:
	s_and_b32 s36, s37, 28
	s_add_u32 s28, s34, 0xc4
	s_addc_u32 s29, s35, 0
	s_mov_b32 s38, 0
	v_mov_b32_e32 v6, 0
	v_mov_b32_e32 v14, 0
	s_mov_b64 s[30:31], s[34:35]
	v_mov_b32_e32 v0, v8
.LBB97_1095:                            ; =>This Inner Loop Header: Depth=1
	s_load_dwordx8 s[12:19], s[30:31], 0x4
	s_load_dwordx4 s[20:23], s[30:31], 0x24
	s_load_dwordx8 s[4:11], s[28:29], 0x0
	s_add_u32 s30, s30, 48
	s_addc_u32 s31, s31, 0
	s_waitcnt vmcnt(0) lgkmcnt(0)
	v_mul_hi_u32 v1, s13, v0
	v_add_u32_e32 v1, v0, v1
	v_lshrrev_b32_e32 v1, s14, v1
	v_mul_lo_u32 v2, v1, s12
	v_mul_hi_u32 v3, s16, v1
	v_sub_u32_e32 v0, v0, v2
	v_add_u32_e32 v2, v1, v3
	v_lshrrev_b32_e32 v2, s17, v2
	v_mul_lo_u32 v4, v2, s15
	v_mul_hi_u32 v5, s19, v2
	v_sub_u32_e32 v1, v1, v4
	v_add_u32_e32 v4, v2, v5
	v_mul_lo_u32 v3, v0, s5
	v_mul_lo_u32 v0, v0, s4
	;; [unrolled: 1-line block ×4, first 2 shown]
	v_lshrrev_b32_e32 v4, s20, v4
	v_add3_u32 v1, v0, v6, v1
	v_add3_u32 v3, v3, v14, v5
	v_mul_lo_u32 v0, v4, s18
	v_mul_hi_u32 v5, s22, v4
	v_sub_u32_e32 v0, v2, v0
	v_add_u32_e32 v2, v4, v5
	v_mul_lo_u32 v5, v0, s8
	v_mul_lo_u32 v6, v0, s9
	v_lshrrev_b32_e32 v0, s23, v2
	s_add_i32 s38, s38, 4
	v_mul_lo_u32 v2, v0, s21
	s_add_u32 s28, s28, 32
	v_sub_u32_e32 v2, v4, v2
	s_addc_u32 s29, s29, 0
	v_mul_lo_u32 v4, v2, s10
	v_mul_lo_u32 v2, v2, s11
	s_cmp_lg_u32 s36, s38
	v_add3_u32 v14, v6, v3, v2
	v_add3_u32 v6, v5, v1, v4
	s_cbranch_scc1 .LBB97_1095
; %bb.1096:
	v_mov_b32_e32 v1, v14
	s_and_b32 s8, s37, 3
	s_cmp_eq_u32 s8, 0
	s_cbranch_scc0 .LBB97_1100
	s_branch .LBB97_1102
.LBB97_1097:
                                        ; implicit-def: $vgpr14
                                        ; implicit-def: $vgpr6
	s_branch .LBB97_1103
.LBB97_1098:
	v_mov_b32_e32 v14, 0
	v_mov_b32_e32 v6, 0
	s_branch .LBB97_1102
.LBB97_1099:
	v_mov_b32_e32 v6, 0
                                        ; implicit-def: $vgpr14
	s_waitcnt vmcnt(0)
	v_mov_b32_e32 v1, v6
	v_mov_b32_e32 v0, v8
	s_and_b32 s8, s37, 3
	s_cmp_eq_u32 s8, 0
	s_cbranch_scc1 .LBB97_1102
.LBB97_1100:
	s_lshl_b32 s4, s36, 3
	s_add_u32 s4, s34, s4
	s_addc_u32 s5, s35, 0
	s_add_u32 s4, s4, 0xc4
	s_addc_u32 s5, s5, 0
	s_mul_i32 s6, s36, 12
	s_add_u32 s6, s34, s6
	s_addc_u32 s7, s35, 0
.LBB97_1101:                            ; =>This Inner Loop Header: Depth=1
	s_load_dwordx2 s[10:11], s[6:7], 0x4
	s_load_dword s9, s[6:7], 0xc
	s_load_dwordx2 s[12:13], s[4:5], 0x0
	v_mov_b32_e32 v2, v1
	s_add_u32 s6, s6, 12
	s_waitcnt lgkmcnt(0)
	v_mul_hi_u32 v1, s11, v0
	v_add_u32_e32 v1, v0, v1
	v_lshrrev_b32_e32 v1, s9, v1
	s_addc_u32 s7, s7, 0
	v_mul_lo_u32 v3, v1, s10
	s_add_u32 s4, s4, 8
	v_sub_u32_e32 v3, v0, v3
	s_addc_u32 s5, s5, 0
	s_add_i32 s8, s8, -1
	v_mad_u64_u32 v[14:15], s[10:11], v3, s13, v[2:3]
	s_cmp_lg_u32 s8, 0
	v_mov_b32_e32 v0, v1
	v_mad_u64_u32 v[6:7], s[10:11], v3, s12, v[6:7]
	v_mov_b32_e32 v1, v14
	s_cbranch_scc1 .LBB97_1101
.LBB97_1102:
	s_cbranch_execnz .LBB97_1105
.LBB97_1103:
	s_load_dwordx4 s[4:7], s[34:35], 0x4
	s_load_dwordx2 s[8:9], s[34:35], 0xc4
	s_cmp_lt_u32 s33, 2
	s_waitcnt lgkmcnt(0)
	v_mul_hi_u32 v0, s5, v8
	v_add_u32_e32 v0, v8, v0
	v_lshrrev_b32_e32 v0, s6, v0
	s_waitcnt vmcnt(0)
	v_mul_lo_u32 v1, v0, s4
	v_sub_u32_e32 v1, v8, v1
	v_mul_lo_u32 v14, v1, s9
	v_mul_lo_u32 v6, v1, s8
	s_cbranch_scc1 .LBB97_1105
; %bb.1104:
	s_load_dwordx4 s[4:7], s[34:35], 0x10
	s_load_dwordx2 s[8:9], s[34:35], 0xcc
	s_waitcnt lgkmcnt(0)
	v_mul_hi_u32 v1, s5, v0
	v_add_u32_e32 v1, v0, v1
	v_lshrrev_b32_e32 v1, s6, v1
	v_mul_lo_u32 v1, v1, s4
	v_sub_u32_e32 v0, v0, v1
	v_mad_u64_u32 v[6:7], s[4:5], v0, s8, v[6:7]
	v_mad_u64_u32 v[14:15], s[4:5], v0, s9, v[14:15]
.LBB97_1105:
	s_and_b64 vcc, exec, s[2:3]
	v_add_u32_e32 v0, 0x80, v8
	s_cbranch_vccnz .LBB97_1111
; %bb.1106:
	s_cmp_lg_u32 s33, 0
	s_mov_b32 s36, 0
	s_cbranch_scc0 .LBB97_1112
; %bb.1107:
	s_min_u32 s37, s72, 15
	s_add_i32 s37, s37, 1
	s_cmp_eq_u32 s72, 2
	s_cbranch_scc1 .LBB97_1113
; %bb.1108:
	s_and_b32 s36, s37, 28
	s_add_u32 s28, s34, 0xc4
	s_addc_u32 s29, s35, 0
	s_mov_b32 s38, 0
	v_mov_b32_e32 v4, 0
	v_mov_b32_e32 v12, 0
	s_mov_b64 s[30:31], s[34:35]
	v_mov_b32_e32 v2, v0
.LBB97_1109:                            ; =>This Inner Loop Header: Depth=1
	s_load_dwordx8 s[12:19], s[30:31], 0x4
	s_load_dwordx4 s[20:23], s[30:31], 0x24
	s_load_dwordx8 s[4:11], s[28:29], 0x0
	s_add_u32 s30, s30, 48
	s_addc_u32 s31, s31, 0
	s_waitcnt vmcnt(0) lgkmcnt(0)
	v_mul_hi_u32 v1, s13, v2
	v_add_u32_e32 v1, v2, v1
	v_lshrrev_b32_e32 v1, s14, v1
	v_mul_lo_u32 v3, v1, s12
	v_mul_hi_u32 v5, s16, v1
	v_sub_u32_e32 v2, v2, v3
	v_add_u32_e32 v3, v1, v5
	v_lshrrev_b32_e32 v3, s17, v3
	v_mul_lo_u32 v7, v3, s15
	v_mul_hi_u32 v9, s19, v3
	v_sub_u32_e32 v1, v1, v7
	v_add_u32_e32 v7, v3, v9
	v_mul_lo_u32 v5, v2, s5
	v_mul_lo_u32 v2, v2, s4
	;; [unrolled: 1-line block ×4, first 2 shown]
	v_lshrrev_b32_e32 v7, s20, v7
	v_add3_u32 v1, v2, v4, v1
	v_add3_u32 v4, v5, v12, v9
	v_mul_lo_u32 v2, v7, s18
	v_mul_hi_u32 v5, s22, v7
	v_sub_u32_e32 v2, v3, v2
	v_add_u32_e32 v3, v7, v5
	v_mul_lo_u32 v5, v2, s8
	v_mul_lo_u32 v9, v2, s9
	v_lshrrev_b32_e32 v2, s23, v3
	s_add_i32 s38, s38, 4
	v_mul_lo_u32 v3, v2, s21
	s_add_u32 s28, s28, 32
	v_sub_u32_e32 v3, v7, v3
	s_addc_u32 s29, s29, 0
	v_mul_lo_u32 v7, v3, s10
	v_mul_lo_u32 v3, v3, s11
	s_cmp_lg_u32 s36, s38
	v_add3_u32 v12, v9, v4, v3
	v_add3_u32 v4, v5, v1, v7
	s_cbranch_scc1 .LBB97_1109
; %bb.1110:
	v_mov_b32_e32 v1, v12
	s_and_b32 s8, s37, 3
	s_cmp_eq_u32 s8, 0
	s_cbranch_scc0 .LBB97_1114
	s_branch .LBB97_1116
.LBB97_1111:
                                        ; implicit-def: $vgpr12
                                        ; implicit-def: $vgpr4
	s_branch .LBB97_1117
.LBB97_1112:
	v_mov_b32_e32 v12, 0
	v_mov_b32_e32 v4, 0
	s_branch .LBB97_1116
.LBB97_1113:
	v_mov_b32_e32 v4, 0
                                        ; implicit-def: $vgpr12
	s_waitcnt vmcnt(0)
	v_mov_b32_e32 v1, v4
	v_mov_b32_e32 v2, v0
	s_and_b32 s8, s37, 3
	s_cmp_eq_u32 s8, 0
	s_cbranch_scc1 .LBB97_1116
.LBB97_1114:
	s_lshl_b32 s4, s36, 3
	s_add_u32 s4, s34, s4
	s_addc_u32 s5, s35, 0
	s_add_u32 s4, s4, 0xc4
	s_addc_u32 s5, s5, 0
	s_mul_i32 s6, s36, 12
	s_add_u32 s6, s34, s6
	s_addc_u32 s7, s35, 0
.LBB97_1115:                            ; =>This Inner Loop Header: Depth=1
	s_load_dwordx2 s[10:11], s[6:7], 0x4
	s_load_dword s9, s[6:7], 0xc
	s_load_dwordx2 s[12:13], s[4:5], 0x0
	v_mov_b32_e32 v10, v1
	s_add_u32 s6, s6, 12
	s_waitcnt lgkmcnt(0)
	v_mul_hi_u32 v1, s11, v2
	v_add_u32_e32 v1, v2, v1
	v_lshrrev_b32_e32 v1, s9, v1
	s_addc_u32 s7, s7, 0
	v_mul_lo_u32 v3, v1, s10
	s_add_u32 s4, s4, 8
	v_sub_u32_e32 v3, v2, v3
	s_addc_u32 s5, s5, 0
	s_add_i32 s8, s8, -1
	v_mad_u64_u32 v[12:13], s[10:11], v3, s13, v[10:11]
	s_cmp_lg_u32 s8, 0
	v_mov_b32_e32 v2, v1
	v_mad_u64_u32 v[4:5], s[10:11], v3, s12, v[4:5]
	v_mov_b32_e32 v1, v12
	s_cbranch_scc1 .LBB97_1115
.LBB97_1116:
	s_cbranch_execnz .LBB97_1119
.LBB97_1117:
	s_load_dwordx4 s[4:7], s[34:35], 0x4
	s_load_dwordx2 s[8:9], s[34:35], 0xc4
	s_cmp_lt_u32 s33, 2
	s_waitcnt vmcnt(0) lgkmcnt(0)
	v_mul_hi_u32 v1, s5, v0
	v_add_u32_e32 v1, v0, v1
	v_lshrrev_b32_e32 v1, s6, v1
	v_mul_lo_u32 v2, v1, s4
	v_sub_u32_e32 v0, v0, v2
	v_mul_lo_u32 v12, v0, s9
	v_mul_lo_u32 v4, v0, s8
	s_cbranch_scc1 .LBB97_1119
; %bb.1118:
	s_load_dwordx4 s[4:7], s[34:35], 0x10
	s_load_dwordx2 s[8:9], s[34:35], 0xcc
	s_waitcnt lgkmcnt(0)
	v_mul_hi_u32 v0, s5, v1
	v_add_u32_e32 v0, v1, v0
	v_lshrrev_b32_e32 v0, s6, v0
	v_mul_lo_u32 v0, v0, s4
	v_sub_u32_e32 v0, v1, v0
	v_mad_u64_u32 v[4:5], s[4:5], v0, s8, v[4:5]
	v_mad_u64_u32 v[12:13], s[4:5], v0, s9, v[12:13]
.LBB97_1119:
	s_and_b64 vcc, exec, s[2:3]
	v_add_u32_e32 v0, 0x100, v8
	s_cbranch_vccnz .LBB97_1125
; %bb.1120:
	s_cmp_lg_u32 s33, 0
	s_mov_b32 s36, 0
	s_cbranch_scc0 .LBB97_1126
; %bb.1121:
	s_min_u32 s37, s72, 15
	s_add_i32 s37, s37, 1
	s_cmp_eq_u32 s72, 2
	s_cbranch_scc1 .LBB97_1127
; %bb.1122:
	s_and_b32 s36, s37, 28
	s_add_u32 s28, s34, 0xc4
	s_addc_u32 s29, s35, 0
	s_mov_b32 s38, 0
	v_mov_b32_e32 v2, 0
	v_mov_b32_e32 v10, 0
	s_mov_b64 s[30:31], s[34:35]
	v_mov_b32_e32 v5, v0
.LBB97_1123:                            ; =>This Inner Loop Header: Depth=1
	s_load_dwordx8 s[12:19], s[30:31], 0x4
	s_load_dwordx4 s[20:23], s[30:31], 0x24
	s_load_dwordx8 s[4:11], s[28:29], 0x0
	s_add_u32 s30, s30, 48
	s_addc_u32 s31, s31, 0
	s_waitcnt vmcnt(0) lgkmcnt(0)
	v_mul_hi_u32 v1, s13, v5
	v_add_u32_e32 v1, v5, v1
	v_lshrrev_b32_e32 v1, s14, v1
	v_mul_lo_u32 v3, v1, s12
	v_mul_hi_u32 v7, s16, v1
	v_sub_u32_e32 v3, v5, v3
	v_add_u32_e32 v5, v1, v7
	v_lshrrev_b32_e32 v5, s17, v5
	v_mul_lo_u32 v8, v5, s15
	v_mul_hi_u32 v9, s19, v5
	v_sub_u32_e32 v1, v1, v8
	v_add_u32_e32 v8, v5, v9
	v_mul_lo_u32 v7, v3, s5
	v_mul_lo_u32 v3, v3, s4
	;; [unrolled: 1-line block ×4, first 2 shown]
	v_lshrrev_b32_e32 v8, s20, v8
	v_add3_u32 v1, v3, v2, v1
	v_add3_u32 v2, v7, v10, v9
	v_mul_lo_u32 v3, v8, s18
	v_mul_hi_u32 v7, s22, v8
	v_sub_u32_e32 v3, v5, v3
	v_add_u32_e32 v5, v8, v7
	v_lshrrev_b32_e32 v5, s23, v5
	s_add_i32 s38, s38, 4
	v_mul_lo_u32 v9, v5, s21
	s_add_u32 s28, s28, 32
	v_sub_u32_e32 v8, v8, v9
	s_addc_u32 s29, s29, 0
	v_mul_lo_u32 v7, v3, s8
	v_mul_lo_u32 v3, v3, s9
	;; [unrolled: 1-line block ×4, first 2 shown]
	s_cmp_lg_u32 s36, s38
	v_add3_u32 v10, v3, v2, v8
	v_add3_u32 v2, v7, v1, v9
	s_cbranch_scc1 .LBB97_1123
; %bb.1124:
	v_mov_b32_e32 v1, v10
	s_and_b32 s8, s37, 3
	s_cmp_eq_u32 s8, 0
	s_cbranch_scc0 .LBB97_1128
	s_branch .LBB97_1130
.LBB97_1125:
                                        ; implicit-def: $vgpr10
                                        ; implicit-def: $vgpr2
	s_branch .LBB97_1131
.LBB97_1126:
	v_mov_b32_e32 v10, 0
	v_mov_b32_e32 v2, 0
	s_branch .LBB97_1130
.LBB97_1127:
	v_mov_b32_e32 v2, 0
                                        ; implicit-def: $vgpr10
	s_waitcnt vmcnt(0)
	v_mov_b32_e32 v1, v2
	v_mov_b32_e32 v5, v0
	s_and_b32 s8, s37, 3
	s_cmp_eq_u32 s8, 0
	s_cbranch_scc1 .LBB97_1130
.LBB97_1128:
	s_lshl_b32 s4, s36, 3
	s_add_u32 s4, s34, s4
	s_addc_u32 s5, s35, 0
	s_add_u32 s4, s4, 0xc4
	s_addc_u32 s5, s5, 0
	s_mul_i32 s6, s36, 12
	s_add_u32 s6, s34, s6
	s_addc_u32 s7, s35, 0
.LBB97_1129:                            ; =>This Inner Loop Header: Depth=1
	s_load_dwordx2 s[10:11], s[6:7], 0x4
	s_load_dword s9, s[6:7], 0xc
	s_load_dwordx2 s[12:13], s[4:5], 0x0
	v_mov_b32_e32 v8, v1
	s_add_u32 s6, s6, 12
	s_waitcnt lgkmcnt(0)
	v_mul_hi_u32 v1, s11, v5
	v_add_u32_e32 v1, v5, v1
	v_lshrrev_b32_e32 v1, s9, v1
	s_addc_u32 s7, s7, 0
	v_mul_lo_u32 v3, v1, s10
	s_add_u32 s4, s4, 8
	v_sub_u32_e32 v3, v5, v3
	s_addc_u32 s5, s5, 0
	s_add_i32 s8, s8, -1
	v_mad_u64_u32 v[10:11], s[10:11], v3, s13, v[8:9]
	s_cmp_lg_u32 s8, 0
	v_mov_b32_e32 v5, v1
	v_mad_u64_u32 v[2:3], s[10:11], v3, s12, v[2:3]
	v_mov_b32_e32 v1, v10
	s_cbranch_scc1 .LBB97_1129
.LBB97_1130:
	s_cbranch_execnz .LBB97_1133
.LBB97_1131:
	s_load_dwordx4 s[4:7], s[34:35], 0x4
	s_load_dwordx2 s[8:9], s[34:35], 0xc4
	s_cmp_lt_u32 s33, 2
	s_waitcnt vmcnt(0) lgkmcnt(0)
	v_mul_hi_u32 v1, s5, v0
	v_add_u32_e32 v1, v0, v1
	v_lshrrev_b32_e32 v1, s6, v1
	v_mul_lo_u32 v2, v1, s4
	v_sub_u32_e32 v0, v0, v2
	v_mul_lo_u32 v10, v0, s9
	v_mul_lo_u32 v2, v0, s8
	s_cbranch_scc1 .LBB97_1133
; %bb.1132:
	s_load_dwordx4 s[4:7], s[34:35], 0x10
	s_load_dwordx2 s[8:9], s[34:35], 0xcc
	s_waitcnt lgkmcnt(0)
	v_mul_hi_u32 v0, s5, v1
	v_add_u32_e32 v0, v1, v0
	v_lshrrev_b32_e32 v0, s6, v0
	v_mul_lo_u32 v0, v0, s4
	v_sub_u32_e32 v0, v1, v0
	v_mad_u64_u32 v[2:3], s[4:5], v0, s8, v[2:3]
	v_mad_u64_u32 v[10:11], s[4:5], v0, s9, v[10:11]
.LBB97_1133:
	s_and_b64 vcc, exec, s[2:3]
	s_cbranch_vccnz .LBB97_1139
; %bb.1134:
	s_cmp_lg_u32 s33, 0
	s_mov_b32 s30, 0
	s_cbranch_scc0 .LBB97_1140
; %bb.1135:
	s_min_u32 s31, s72, 15
	s_add_i32 s31, s31, 1
	s_cmp_eq_u32 s72, 2
	s_cbranch_scc1 .LBB97_1141
; %bb.1136:
	s_and_b32 s30, s31, 28
	s_add_u32 s2, s34, 0xc4
	s_addc_u32 s3, s35, 0
	s_mov_b32 s36, 0
	v_mov_b32_e32 v0, 0
	v_mov_b32_e32 v8, 0
	s_mov_b64 s[28:29], s[34:35]
	v_mov_b32_e32 v3, v16
.LBB97_1137:                            ; =>This Inner Loop Header: Depth=1
	s_load_dwordx8 s[12:19], s[28:29], 0x4
	s_load_dwordx4 s[20:23], s[28:29], 0x24
	s_load_dwordx8 s[4:11], s[2:3], 0x0
	s_add_u32 s28, s28, 48
	s_addc_u32 s29, s29, 0
	s_waitcnt vmcnt(0) lgkmcnt(0)
	v_mul_hi_u32 v1, s13, v3
	v_add_u32_e32 v1, v3, v1
	v_lshrrev_b32_e32 v1, s14, v1
	v_mul_lo_u32 v5, v1, s12
	v_mul_hi_u32 v7, s16, v1
	v_sub_u32_e32 v3, v3, v5
	v_add_u32_e32 v5, v1, v7
	v_lshrrev_b32_e32 v5, s17, v5
	v_mul_lo_u32 v9, v5, s15
	v_mul_hi_u32 v11, s19, v5
	v_sub_u32_e32 v1, v1, v9
	v_add_u32_e32 v9, v5, v11
	v_mul_lo_u32 v7, v3, s5
	v_mul_lo_u32 v3, v3, s4
	;; [unrolled: 1-line block ×4, first 2 shown]
	v_lshrrev_b32_e32 v9, s20, v9
	v_add3_u32 v0, v3, v0, v1
	v_add3_u32 v1, v7, v8, v11
	v_mul_lo_u32 v3, v9, s18
	v_mul_hi_u32 v7, s22, v9
	v_sub_u32_e32 v3, v5, v3
	v_add_u32_e32 v5, v9, v7
	v_mul_lo_u32 v7, v3, s8
	v_mul_lo_u32 v8, v3, s9
	v_lshrrev_b32_e32 v3, s23, v5
	s_add_i32 s36, s36, 4
	v_mul_lo_u32 v5, v3, s21
	s_add_u32 s2, s2, 32
	v_sub_u32_e32 v5, v9, v5
	s_addc_u32 s3, s3, 0
	v_mul_lo_u32 v9, v5, s10
	v_mul_lo_u32 v5, v5, s11
	s_cmp_lg_u32 s30, s36
	v_add3_u32 v8, v8, v1, v5
	v_add3_u32 v0, v7, v0, v9
	s_cbranch_scc1 .LBB97_1137
; %bb.1138:
	v_mov_b32_e32 v1, v8
	s_and_b32 s6, s31, 3
	s_cmp_eq_u32 s6, 0
	s_cbranch_scc0 .LBB97_1142
	s_branch .LBB97_1144
.LBB97_1139:
                                        ; implicit-def: $vgpr8
                                        ; implicit-def: $vgpr0
	s_branch .LBB97_1145
.LBB97_1140:
	v_mov_b32_e32 v8, 0
	v_mov_b32_e32 v0, 0
	s_branch .LBB97_1144
.LBB97_1141:
	v_mov_b32_e32 v0, 0
                                        ; implicit-def: $vgpr8
	s_waitcnt vmcnt(0)
	v_mov_b32_e32 v1, v0
	v_mov_b32_e32 v3, v16
	s_and_b32 s6, s31, 3
	s_cmp_eq_u32 s6, 0
	s_cbranch_scc1 .LBB97_1144
.LBB97_1142:
	s_lshl_b32 s2, s30, 3
	s_add_u32 s2, s34, s2
	s_addc_u32 s3, s35, 0
	s_add_u32 s2, s2, 0xc4
	s_addc_u32 s3, s3, 0
	s_mul_i32 s4, s30, 12
	s_add_u32 s4, s34, s4
	s_addc_u32 s5, s35, 0
.LBB97_1143:                            ; =>This Inner Loop Header: Depth=1
	s_load_dwordx2 s[8:9], s[4:5], 0x4
	s_load_dword s7, s[4:5], 0xc
	s_load_dwordx2 s[10:11], s[2:3], 0x0
	v_mov_b32_e32 v8, v1
	s_add_u32 s4, s4, 12
	s_waitcnt lgkmcnt(0)
	v_mul_hi_u32 v1, s9, v3
	v_add_u32_e32 v1, v3, v1
	v_lshrrev_b32_e32 v1, s7, v1
	s_addc_u32 s5, s5, 0
	v_mul_lo_u32 v5, v1, s8
	s_add_u32 s2, s2, 8
	v_sub_u32_e32 v5, v3, v5
	s_addc_u32 s3, s3, 0
	s_add_i32 s6, s6, -1
	v_mov_b32_e32 v3, v1
	v_mad_u64_u32 v[8:9], s[8:9], v5, s11, v[8:9]
	v_mad_u64_u32 v[0:1], s[8:9], v5, s10, v[0:1]
	s_cmp_lg_u32 s6, 0
	v_mov_b32_e32 v1, v8
	s_cbranch_scc1 .LBB97_1143
.LBB97_1144:
	s_cbranch_execnz .LBB97_1147
.LBB97_1145:
	s_load_dwordx4 s[4:7], s[34:35], 0x4
	s_load_dwordx2 s[2:3], s[34:35], 0xc4
	s_cmp_lt_u32 s33, 2
	s_waitcnt lgkmcnt(0)
	v_mul_hi_u32 v0, s5, v16
	v_add_u32_e32 v0, v16, v0
	s_waitcnt vmcnt(0)
	v_lshrrev_b32_e32 v1, s6, v0
	v_mul_lo_u32 v0, v1, s4
	v_sub_u32_e32 v0, v16, v0
	v_mul_lo_u32 v8, v0, s3
	v_mul_lo_u32 v0, v0, s2
	s_cbranch_scc1 .LBB97_1147
; %bb.1146:
	s_load_dwordx4 s[4:7], s[34:35], 0x10
	s_load_dwordx2 s[2:3], s[34:35], 0xcc
	s_waitcnt lgkmcnt(0)
	v_mul_hi_u32 v3, s5, v1
	v_add_u32_e32 v3, v1, v3
	v_lshrrev_b32_e32 v3, s6, v3
	v_mul_lo_u32 v3, v3, s4
	v_sub_u32_e32 v3, v1, v3
	v_mad_u64_u32 v[0:1], s[4:5], v3, s2, v[0:1]
	v_mad_u64_u32 v[8:9], s[2:3], v3, s3, v[8:9]
.LBB97_1147:
	s_load_dword s16, s[0:1], 0x160
	s_load_dwordx4 s[4:7], s[34:35], 0x148
	v_mov_b32_e32 v15, 0
	s_waitcnt lgkmcnt(0)
	s_bfe_u32 s14, s16, 0x80010
	s_cmp_lt_i32 s14, 11
	v_lshl_add_u64 v[14:15], s[6:7], 0, v[14:15]
	s_cbranch_scc1 .LBB97_1154
; %bb.1148:
	s_and_b32 s15, 0xffff, s14
	s_cmp_gt_i32 s15, 25
	s_mov_b64 s[8:9], 0
	s_cbranch_scc0 .LBB97_1156
; %bb.1149:
	s_cmp_gt_i32 s15, 28
	s_cbranch_scc0 .LBB97_1157
; %bb.1150:
	s_cmp_gt_i32 s15, 43
	;; [unrolled: 3-line block ×3, first 2 shown]
	s_cbranch_scc0 .LBB97_1159
; %bb.1152:
	s_cmp_eq_u32 s15, 46
	s_mov_b64 s[2:3], 0
	s_cbranch_scc0 .LBB97_1162
; %bb.1153:
	global_load_dword v1, v[14:15], off
	s_mov_b64 s[0:1], 0
	s_mov_b64 s[10:11], -1
	s_waitcnt vmcnt(0)
	v_lshlrev_b32_e32 v1, 16, v1
	v_cvt_f16_f32_e32 v1, v1
	s_branch .LBB97_1163
.LBB97_1154:
	s_mov_b64 s[10:11], 0
                                        ; implicit-def: $vgpr1
	s_mov_b64 s[2:3], s[24:25]
	s_cbranch_execnz .LBB97_1226
.LBB97_1155:
	s_andn2_b64 vcc, exec, s[10:11]
	s_cbranch_vccz .LBB97_1271
	s_branch .LBB97_2092
.LBB97_1156:
	s_mov_b64 s[10:11], 0
	s_mov_b64 s[0:1], 0
                                        ; implicit-def: $vgpr1
	s_cbranch_execnz .LBB97_1191
	s_branch .LBB97_1222
.LBB97_1157:
	s_mov_b64 s[2:3], -1
	s_mov_b64 s[10:11], 0
	s_mov_b64 s[0:1], 0
                                        ; implicit-def: $vgpr1
	s_branch .LBB97_1172
.LBB97_1158:
	s_mov_b64 s[10:11], 0
	s_mov_b64 s[0:1], 0
                                        ; implicit-def: $vgpr1
	s_cbranch_execnz .LBB97_1168
	s_branch .LBB97_1171
.LBB97_1159:
	s_mov_b64 s[2:3], -1
	s_mov_b64 s[10:11], 0
	s_mov_b64 s[0:1], 0
                                        ; implicit-def: $vgpr1
	s_branch .LBB97_1163
.LBB97_1160:
	s_andn2_saveexec_b64 s[12:13], s[12:13]
	s_cbranch_execz .LBB97_1003
.LBB97_1161:
	s_mov_b32 s14, 0x46000000
	v_add_f32_e64 v1, |v0|, s14
	v_and_b32_e32 v1, 0xff, v1
	v_cmp_ne_u32_e32 vcc, 0, v1
	s_andn2_b64 s[10:11], s[10:11], exec
	s_and_b64 s[14:15], vcc, exec
	s_or_b64 s[10:11], s[10:11], s[14:15]
	s_or_b64 exec, exec, s[12:13]
	v_mov_b32_e32 v5, 0
	s_and_saveexec_b64 s[12:13], s[10:11]
	s_cbranch_execnz .LBB97_1004
	s_branch .LBB97_1005
.LBB97_1162:
	s_mov_b64 s[0:1], -1
                                        ; implicit-def: $vgpr1
	s_mov_b64 s[10:11], 0
.LBB97_1163:
	s_and_b64 vcc, exec, s[2:3]
	s_cbranch_vccz .LBB97_1166
; %bb.1164:
	s_cmp_eq_u32 s15, 44
	s_cbranch_scc0 .LBB97_1167
; %bb.1165:
	global_load_ubyte v1, v[14:15], off
	s_movk_i32 s2, 0xff
	v_mov_b32_e32 v5, 0x7e00
	s_mov_b64 s[0:1], 0
	s_mov_b64 s[10:11], -1
	s_waitcnt vmcnt(0)
	v_lshlrev_b32_e32 v3, 23, v1
	v_cvt_f16_f32_e32 v3, v3
	v_cmp_ne_u32_e32 vcc, s2, v1
	s_nop 1
	v_cndmask_b32_e32 v3, v5, v3, vcc
	v_cmp_ne_u32_e32 vcc, 0, v1
	s_nop 1
	v_cndmask_b32_e32 v1, 0, v3, vcc
.LBB97_1166:
	s_branch .LBB97_1171
.LBB97_1167:
	s_mov_b64 s[0:1], -1
                                        ; implicit-def: $vgpr1
	s_branch .LBB97_1171
.LBB97_1168:
	s_cmp_eq_u32 s15, 29
	s_cbranch_scc0 .LBB97_1170
; %bb.1169:
	global_load_dwordx2 v[16:17], v[14:15], off
	s_mov_b64 s[0:1], 0
	s_mov_b64 s[10:11], -1
	s_mov_b64 s[2:3], 0
	s_waitcnt vmcnt(0)
	v_ffbh_u32_e32 v1, v17
	v_min_u32_e32 v1, 32, v1
	v_lshlrev_b64 v[16:17], v1, v[16:17]
	v_min_u32_e32 v3, 1, v16
	v_or_b32_e32 v3, v17, v3
	v_cvt_f32_u32_e32 v3, v3
	v_sub_u32_e32 v1, 32, v1
	v_ldexp_f32 v1, v3, v1
	v_cvt_f16_f32_e32 v1, v1
	s_branch .LBB97_1172
.LBB97_1170:
	s_mov_b64 s[0:1], -1
                                        ; implicit-def: $vgpr1
.LBB97_1171:
	s_mov_b64 s[2:3], 0
.LBB97_1172:
	s_and_b64 vcc, exec, s[2:3]
	s_cbranch_vccz .LBB97_1190
; %bb.1173:
	s_cmp_lt_i32 s15, 27
	s_cbranch_scc1 .LBB97_1176
; %bb.1174:
	s_cmp_gt_i32 s15, 27
	s_cbranch_scc0 .LBB97_1177
; %bb.1175:
	global_load_dword v1, v[14:15], off
	s_mov_b64 s[2:3], 0
	s_waitcnt vmcnt(0)
	v_cvt_f32_u32_e32 v1, v1
	v_cvt_f16_f32_e32 v1, v1
	s_branch .LBB97_1178
.LBB97_1176:
	s_mov_b64 s[2:3], -1
                                        ; implicit-def: $vgpr1
	s_branch .LBB97_1181
.LBB97_1177:
	s_mov_b64 s[2:3], -1
                                        ; implicit-def: $vgpr1
.LBB97_1178:
	s_andn2_b64 vcc, exec, s[2:3]
	s_cbranch_vccnz .LBB97_1180
; %bb.1179:
	global_load_ushort v1, v[14:15], off
	s_waitcnt vmcnt(0)
	v_cvt_f16_u16_e32 v1, v1
.LBB97_1180:
	s_mov_b64 s[2:3], 0
.LBB97_1181:
	s_andn2_b64 vcc, exec, s[2:3]
	s_cbranch_vccnz .LBB97_1189
; %bb.1182:
	global_load_ubyte v3, v[14:15], off
	s_movk_i32 s2, 0x7f
	s_waitcnt vmcnt(0)
	v_cmp_lt_i16_e32 vcc, s2, v3
	s_mov_b64 s[2:3], 0
	s_and_saveexec_b64 s[10:11], vcc
	s_xor_b64 s[10:11], exec, s[10:11]
	s_cbranch_execz .LBB97_1202
; %bb.1183:
	s_movk_i32 s2, 0x80
	v_cmp_eq_u16_e32 vcc, s2, v3
	s_mov_b64 s[2:3], -1
	s_and_saveexec_b64 s[12:13], vcc
; %bb.1184:
	s_xor_b64 s[2:3], exec, -1
; %bb.1185:
	s_or_b64 exec, exec, s[12:13]
	s_and_b64 s[2:3], s[2:3], exec
	s_or_saveexec_b64 s[10:11], s[10:11]
	v_mov_b32_e32 v1, 0x7e00
	s_xor_b64 exec, exec, s[10:11]
	s_cbranch_execnz .LBB97_1203
.LBB97_1186:
	s_or_b64 exec, exec, s[10:11]
	s_and_saveexec_b64 s[10:11], s[2:3]
	s_cbranch_execz .LBB97_1188
.LBB97_1187:
	v_lshlrev_b32_e32 v1, 24, v3
	v_and_b32_e32 v3, 0xffff, v3
	v_and_b32_e32 v5, 7, v3
	v_ffbh_u32_e32 v9, v5
	v_min_u32_e32 v9, 32, v9
	v_subrev_u32_e32 v11, 28, v9
	v_bfe_u32 v7, v3, 3, 4
	v_lshlrev_b32_e32 v3, v11, v3
	v_sub_u32_e32 v9, 29, v9
	v_and_b32_e32 v3, 7, v3
	v_cmp_eq_u32_e32 vcc, 0, v7
	v_and_b32_e32 v1, 0x80000000, v1
	s_nop 0
	v_cndmask_b32_e32 v7, v7, v9, vcc
	v_cndmask_b32_e32 v3, v5, v3, vcc
	v_mov_b32_e32 v5, 0x3b800000
	v_lshlrev_b32_e32 v3, 20, v3
	v_lshl_add_u32 v5, v7, 23, v5
	v_or3_b32 v1, v1, v5, v3
	v_cvt_f16_f32_e32 v1, v1
.LBB97_1188:
	s_or_b64 exec, exec, s[10:11]
.LBB97_1189:
	s_mov_b64 s[10:11], -1
.LBB97_1190:
	s_branch .LBB97_1222
.LBB97_1191:
	s_cmp_gt_i32 s15, 22
	s_cbranch_scc0 .LBB97_1201
; %bb.1192:
	s_cmp_lt_i32 s15, 24
	s_cbranch_scc1 .LBB97_1204
; %bb.1193:
	s_cmp_gt_i32 s15, 24
	s_cbranch_scc0 .LBB97_1205
; %bb.1194:
	global_load_ubyte v3, v[14:15], off
	s_movk_i32 s2, 0x7f
	s_waitcnt vmcnt(0)
	v_cmp_lt_i16_e32 vcc, s2, v3
	s_mov_b64 s[2:3], 0
	s_and_saveexec_b64 s[8:9], vcc
	s_xor_b64 s[8:9], exec, s[8:9]
	s_cbranch_execz .LBB97_1216
; %bb.1195:
	s_movk_i32 s2, 0x80
	v_cmp_eq_u16_e32 vcc, s2, v3
	s_mov_b64 s[2:3], -1
	s_and_saveexec_b64 s[10:11], vcc
; %bb.1196:
	s_xor_b64 s[2:3], exec, -1
; %bb.1197:
	s_or_b64 exec, exec, s[10:11]
	s_and_b64 s[2:3], s[2:3], exec
	s_or_saveexec_b64 s[8:9], s[8:9]
	v_mov_b32_e32 v1, 0x7e00
	s_xor_b64 exec, exec, s[8:9]
	s_cbranch_execnz .LBB97_1217
.LBB97_1198:
	s_or_b64 exec, exec, s[8:9]
	s_and_saveexec_b64 s[8:9], s[2:3]
	s_cbranch_execz .LBB97_1200
.LBB97_1199:
	v_lshlrev_b32_e32 v1, 24, v3
	v_and_b32_e32 v3, 0xffff, v3
	v_and_b32_e32 v5, 3, v3
	v_ffbh_u32_e32 v9, v5
	v_min_u32_e32 v9, 32, v9
	v_subrev_u32_e32 v11, 29, v9
	v_bfe_u32 v7, v3, 2, 5
	v_lshlrev_b32_e32 v3, v11, v3
	v_sub_u32_e32 v9, 30, v9
	v_and_b32_e32 v3, 3, v3
	v_cmp_eq_u32_e32 vcc, 0, v7
	v_and_b32_e32 v1, 0x80000000, v1
	s_nop 0
	v_cndmask_b32_e32 v7, v7, v9, vcc
	v_cndmask_b32_e32 v3, v5, v3, vcc
	v_mov_b32_e32 v5, 0x37800000
	v_lshlrev_b32_e32 v3, 21, v3
	v_lshl_add_u32 v5, v7, 23, v5
	v_or3_b32 v1, v1, v5, v3
	v_cvt_f16_f32_e32 v1, v1
.LBB97_1200:
	s_or_b64 exec, exec, s[8:9]
	s_mov_b64 s[2:3], 0
	s_branch .LBB97_1206
.LBB97_1201:
                                        ; implicit-def: $vgpr1
	s_mov_b64 s[8:9], 0
	s_branch .LBB97_1212
.LBB97_1202:
	s_or_saveexec_b64 s[10:11], s[10:11]
	v_mov_b32_e32 v1, 0x7e00
	s_xor_b64 exec, exec, s[10:11]
	s_cbranch_execz .LBB97_1186
.LBB97_1203:
	v_cmp_ne_u16_e32 vcc, 0, v3
	s_andn2_b64 s[2:3], s[2:3], exec
	s_and_b64 s[12:13], vcc, exec
	s_or_b64 s[2:3], s[2:3], s[12:13]
	v_mov_b32_e32 v1, v3
	s_or_b64 exec, exec, s[10:11]
	s_and_saveexec_b64 s[10:11], s[2:3]
	s_cbranch_execnz .LBB97_1187
	s_branch .LBB97_1188
.LBB97_1204:
	s_mov_b64 s[2:3], -1
                                        ; implicit-def: $vgpr1
	s_branch .LBB97_1209
.LBB97_1205:
	s_mov_b64 s[2:3], -1
                                        ; implicit-def: $vgpr1
.LBB97_1206:
	s_and_b64 vcc, exec, s[2:3]
	s_cbranch_vccz .LBB97_1208
; %bb.1207:
	global_load_ubyte v1, v[14:15], off
	s_mov_b32 s2, 0x7f800000
	s_waitcnt vmcnt(0)
	v_lshlrev_b32_e32 v1, 24, v1
	v_and_b32_e32 v3, 0x7f000000, v1
	v_ffbh_u32_e32 v5, v3
	v_min_u32_e32 v5, 32, v5
	v_sub_u32_e64 v5, v5, 4 clamp
	v_lshlrev_b32_e32 v9, v5, v3
	v_lshlrev_b32_e32 v5, 23, v5
	v_lshrrev_b32_e32 v9, 4, v9
	v_add_u32_e32 v7, 0x1000000, v3
	v_sub_u32_e32 v5, v9, v5
	v_ashrrev_i32_e32 v7, 8, v7
	v_add_u32_e32 v5, 0x3c000000, v5
	v_and_or_b32 v5, v7, s2, v5
	v_cmp_ne_u32_e32 vcc, 0, v3
	s_brev_b32 s2, 1
	s_nop 0
	v_cndmask_b32_e32 v3, 0, v5, vcc
	v_and_or_b32 v1, v1, s2, v3
	v_cvt_f16_f32_e32 v1, v1
.LBB97_1208:
	s_mov_b64 s[2:3], 0
.LBB97_1209:
	s_andn2_b64 vcc, exec, s[2:3]
	s_cbranch_vccnz .LBB97_1211
; %bb.1210:
	global_load_ubyte v1, v[14:15], off
	s_movk_i32 s2, 0x7f00
	s_brev_b32 s3, 16
	s_waitcnt vmcnt(0)
	v_lshlrev_b16_e32 v3, 8, v1
	v_lshlrev_b32_e32 v1, 25, v1
	v_lshrrev_b32_e32 v5, 4, v1
	v_and_or_b32 v7, v3, s2, 0.5
	v_or_b32_e32 v5, 0x70000000, v5
	v_add_f32_e32 v7, -0.5, v7
	v_mul_f32_e32 v5, 0x7800000, v5
	v_cmp_gt_u32_e32 vcc, s3, v1
	v_bfe_i32 v3, v3, 0, 16
	s_brev_b32 s2, 1
	v_cndmask_b32_e32 v1, v5, v7, vcc
	v_and_or_b32 v1, v3, s2, v1
	v_cvt_f16_f32_e32 v1, v1
.LBB97_1211:
	s_mov_b64 s[10:11], -1
	s_mov_b64 s[8:9], 0
	s_cbranch_execnz .LBB97_1222
.LBB97_1212:
	s_cmp_gt_i32 s15, 14
	s_cbranch_scc0 .LBB97_1215
; %bb.1213:
	s_cmp_eq_u32 s15, 15
	s_cbranch_scc0 .LBB97_1218
; %bb.1214:
	global_load_ushort v1, v[14:15], off
	s_mov_b64 s[0:1], 0
	s_mov_b64 s[10:11], -1
	s_waitcnt vmcnt(0)
	v_lshlrev_b32_e32 v1, 16, v1
	v_cvt_f16_f32_e32 v1, v1
	s_branch .LBB97_1219
.LBB97_1215:
	s_mov_b64 s[2:3], -1
                                        ; implicit-def: $vgpr1
	s_branch .LBB97_1220
.LBB97_1216:
	s_or_saveexec_b64 s[8:9], s[8:9]
	v_mov_b32_e32 v1, 0x7e00
	s_xor_b64 exec, exec, s[8:9]
	s_cbranch_execz .LBB97_1198
.LBB97_1217:
	v_cmp_ne_u16_e32 vcc, 0, v3
	s_andn2_b64 s[2:3], s[2:3], exec
	s_and_b64 s[10:11], vcc, exec
	s_or_b64 s[2:3], s[2:3], s[10:11]
	v_mov_b32_e32 v1, v3
	s_or_b64 exec, exec, s[8:9]
	s_and_saveexec_b64 s[8:9], s[2:3]
	s_cbranch_execnz .LBB97_1199
	s_branch .LBB97_1200
.LBB97_1218:
	s_mov_b64 s[0:1], -1
                                        ; implicit-def: $vgpr1
.LBB97_1219:
	s_mov_b64 s[2:3], 0
.LBB97_1220:
	s_and_b64 vcc, exec, s[2:3]
	s_cbranch_vccz .LBB97_1222
; %bb.1221:
	s_cmp_lg_u32 s15, 11
	s_mov_b64 s[8:9], -1
	s_cselect_b64 s[0:1], -1, 0
.LBB97_1222:
	s_and_b64 vcc, exec, s[0:1]
	s_mov_b64 s[2:3], s[24:25]
	s_cbranch_vccnz .LBB97_1283
; %bb.1223:
	s_andn2_b64 vcc, exec, s[8:9]
	s_cbranch_vccnz .LBB97_1225
.LBB97_1224:
	global_load_ubyte v1, v[14:15], off
	v_mov_b32_e32 v3, 0x3c00
	s_mov_b64 s[10:11], -1
	s_waitcnt vmcnt(0)
	v_cmp_ne_u16_e32 vcc, 0, v1
	s_nop 1
	v_cndmask_b32_e32 v1, 0, v3, vcc
.LBB97_1225:
	s_branch .LBB97_1155
.LBB97_1226:
	s_and_b32 s8, 0xffff, s14
	s_cmp_lt_i32 s8, 5
	s_cbranch_scc1 .LBB97_1231
; %bb.1227:
	s_cmp_lt_i32 s8, 8
	s_cbranch_scc1 .LBB97_1232
; %bb.1228:
	;; [unrolled: 3-line block ×3, first 2 shown]
	s_cmp_gt_i32 s8, 9
	s_cbranch_scc0 .LBB97_1234
; %bb.1230:
	global_load_dwordx2 v[16:17], v[14:15], off
	s_movk_i32 s0, 0x1ff
	s_movk_i32 s1, 0xffe
	s_waitcnt vmcnt(1)
	v_mov_b32_e32 v1, 0x7c00
	v_mov_b32_e32 v3, 0x7e00
	s_movk_i32 s9, 0x40f
	s_mov_b32 s10, 0x8000
	s_waitcnt vmcnt(0)
	v_and_or_b32 v5, v17, s0, v16
	v_cmp_ne_u32_e32 vcc, 0, v5
	v_lshrrev_b32_e32 v7, 8, v17
	v_bfe_u32 v9, v17, 20, 11
	v_cndmask_b32_e64 v5, 0, 1, vcc
	v_sub_u32_e32 v13, 0x3f1, v9
	v_and_or_b32 v5, v7, s1, v5
	v_add_u32_e32 v9, 0xfffffc10, v9
	v_med3_i32 v7, v13, 0, 13
	v_or_b32_e32 v13, 0x1000, v5
	v_lshl_or_b32 v16, v9, 12, v5
	v_cmp_ne_u32_e32 vcc, 0, v5
	v_lshrrev_b32_e32 v5, v7, v13
	v_lshlrev_b32_e32 v7, v7, v5
	v_cndmask_b32_e32 v3, v1, v3, vcc
	v_cmp_ne_u32_e32 vcc, v7, v13
	v_lshrrev_b32_e32 v11, 16, v17
	s_mov_b64 s[0:1], 0
	v_cndmask_b32_e64 v7, 0, 1, vcc
	v_or_b32_e32 v5, v5, v7
	v_cmp_gt_i32_e32 vcc, 1, v9
	s_nop 1
	v_cndmask_b32_e32 v5, v16, v5, vcc
	v_and_b32_e32 v7, 7, v5
	v_cmp_lt_i32_e32 vcc, 5, v7
	v_lshrrev_b32_e32 v5, 2, v5
	s_nop 0
	v_cndmask_b32_e64 v13, 0, 1, vcc
	v_cmp_eq_u32_e32 vcc, 3, v7
	s_nop 1
	v_cndmask_b32_e64 v7, 0, 1, vcc
	v_or_b32_e32 v7, v7, v13
	v_add_u32_e32 v5, v5, v7
	v_cmp_gt_i32_e32 vcc, 31, v9
	s_nop 1
	v_cndmask_b32_e32 v1, v1, v5, vcc
	v_cmp_eq_u32_e32 vcc, s9, v9
	s_nop 1
	v_cndmask_b32_e32 v1, v1, v3, vcc
	v_and_or_b32 v1, v11, s10, v1
	s_branch .LBB97_1235
.LBB97_1231:
                                        ; implicit-def: $vgpr1
	s_branch .LBB97_1252
.LBB97_1232:
                                        ; implicit-def: $vgpr1
	s_branch .LBB97_1241
.LBB97_1233:
	s_mov_b64 s[0:1], -1
                                        ; implicit-def: $vgpr1
	s_branch .LBB97_1238
.LBB97_1234:
	s_mov_b64 s[0:1], -1
                                        ; implicit-def: $vgpr1
.LBB97_1235:
	s_andn2_b64 vcc, exec, s[0:1]
	s_cbranch_vccnz .LBB97_1237
; %bb.1236:
	global_load_dword v1, v[14:15], off
	s_waitcnt vmcnt(0)
	v_cvt_f16_f32_e32 v1, v1
.LBB97_1237:
	s_mov_b64 s[0:1], 0
.LBB97_1238:
	s_andn2_b64 vcc, exec, s[0:1]
	s_cbranch_vccnz .LBB97_1240
; %bb.1239:
	global_load_dword v1, v[14:15], off
.LBB97_1240:
	s_cbranch_execnz .LBB97_1251
.LBB97_1241:
	s_cmp_lt_i32 s8, 6
	s_cbranch_scc1 .LBB97_1244
; %bb.1242:
	s_cmp_gt_i32 s8, 6
	s_cbranch_scc0 .LBB97_1245
; %bb.1243:
	global_load_dwordx2 v[16:17], v[14:15], off
	s_movk_i32 s0, 0x1ff
	s_movk_i32 s1, 0xffe
	s_waitcnt vmcnt(1)
	v_mov_b32_e32 v1, 0x7c00
	v_mov_b32_e32 v3, 0x7e00
	s_movk_i32 s9, 0x40f
	s_mov_b32 s10, 0x8000
	s_waitcnt vmcnt(0)
	v_and_or_b32 v5, v17, s0, v16
	v_cmp_ne_u32_e32 vcc, 0, v5
	v_lshrrev_b32_e32 v7, 8, v17
	v_bfe_u32 v9, v17, 20, 11
	v_cndmask_b32_e64 v5, 0, 1, vcc
	v_sub_u32_e32 v13, 0x3f1, v9
	v_and_or_b32 v5, v7, s1, v5
	v_add_u32_e32 v9, 0xfffffc10, v9
	v_med3_i32 v7, v13, 0, 13
	v_or_b32_e32 v13, 0x1000, v5
	v_lshl_or_b32 v16, v9, 12, v5
	v_cmp_ne_u32_e32 vcc, 0, v5
	v_lshrrev_b32_e32 v5, v7, v13
	v_lshlrev_b32_e32 v7, v7, v5
	v_cndmask_b32_e32 v3, v1, v3, vcc
	v_cmp_ne_u32_e32 vcc, v7, v13
	v_lshrrev_b32_e32 v11, 16, v17
	s_mov_b64 s[0:1], 0
	v_cndmask_b32_e64 v7, 0, 1, vcc
	v_or_b32_e32 v5, v5, v7
	v_cmp_gt_i32_e32 vcc, 1, v9
	s_nop 1
	v_cndmask_b32_e32 v5, v16, v5, vcc
	v_and_b32_e32 v7, 7, v5
	v_cmp_lt_i32_e32 vcc, 5, v7
	v_lshrrev_b32_e32 v5, 2, v5
	s_nop 0
	v_cndmask_b32_e64 v13, 0, 1, vcc
	v_cmp_eq_u32_e32 vcc, 3, v7
	s_nop 1
	v_cndmask_b32_e64 v7, 0, 1, vcc
	v_or_b32_e32 v7, v7, v13
	v_add_u32_e32 v5, v5, v7
	v_cmp_gt_i32_e32 vcc, 31, v9
	s_nop 1
	v_cndmask_b32_e32 v1, v1, v5, vcc
	v_cmp_eq_u32_e32 vcc, s9, v9
	s_nop 1
	v_cndmask_b32_e32 v1, v1, v3, vcc
	v_and_or_b32 v1, v11, s10, v1
	s_branch .LBB97_1246
.LBB97_1244:
	s_mov_b64 s[0:1], -1
                                        ; implicit-def: $vgpr1
	s_branch .LBB97_1249
.LBB97_1245:
	s_mov_b64 s[0:1], -1
                                        ; implicit-def: $vgpr1
.LBB97_1246:
	s_andn2_b64 vcc, exec, s[0:1]
	s_cbranch_vccnz .LBB97_1248
; %bb.1247:
	global_load_dword v1, v[14:15], off
	s_waitcnt vmcnt(0)
	v_cvt_f16_f32_e32 v1, v1
.LBB97_1248:
	s_mov_b64 s[0:1], 0
.LBB97_1249:
	s_andn2_b64 vcc, exec, s[0:1]
	s_cbranch_vccnz .LBB97_1251
; %bb.1250:
	global_load_ushort v1, v[14:15], off
.LBB97_1251:
	s_cbranch_execnz .LBB97_1270
.LBB97_1252:
	s_cmp_lt_i32 s8, 2
	s_cbranch_scc1 .LBB97_1256
; %bb.1253:
	s_cmp_lt_i32 s8, 3
	s_cbranch_scc1 .LBB97_1257
; %bb.1254:
	s_cmp_gt_i32 s8, 3
	s_cbranch_scc0 .LBB97_1258
; %bb.1255:
	global_load_dwordx2 v[16:17], v[14:15], off
	s_mov_b64 s[0:1], 0
	s_waitcnt vmcnt(0)
	v_xor_b32_e32 v3, v16, v17
	v_ffbh_i32_e32 v1, v17
	v_ashrrev_i32_e32 v3, 31, v3
	v_add_u32_e32 v1, -1, v1
	v_add_u32_e32 v3, 32, v3
	v_min_u32_e32 v1, v1, v3
	v_lshlrev_b64 v[16:17], v1, v[16:17]
	v_min_u32_e32 v3, 1, v16
	v_or_b32_e32 v3, v17, v3
	v_cvt_f32_i32_e32 v3, v3
	v_sub_u32_e32 v1, 32, v1
	v_ldexp_f32 v1, v3, v1
	v_cvt_f16_f32_e32 v1, v1
	s_branch .LBB97_1259
.LBB97_1256:
                                        ; implicit-def: $vgpr1
	s_branch .LBB97_1265
.LBB97_1257:
	s_mov_b64 s[0:1], -1
                                        ; implicit-def: $vgpr1
	s_branch .LBB97_1262
.LBB97_1258:
	s_mov_b64 s[0:1], -1
                                        ; implicit-def: $vgpr1
.LBB97_1259:
	s_andn2_b64 vcc, exec, s[0:1]
	s_cbranch_vccnz .LBB97_1261
; %bb.1260:
	global_load_dword v1, v[14:15], off
	s_waitcnt vmcnt(0)
	v_cvt_f32_i32_e32 v1, v1
	v_cvt_f16_f32_e32 v1, v1
.LBB97_1261:
	s_mov_b64 s[0:1], 0
.LBB97_1262:
	s_andn2_b64 vcc, exec, s[0:1]
	s_cbranch_vccnz .LBB97_1264
; %bb.1263:
	global_load_ushort v1, v[14:15], off
	s_waitcnt vmcnt(0)
	v_cvt_f16_i16_e32 v1, v1
.LBB97_1264:
	s_cbranch_execnz .LBB97_1270
.LBB97_1265:
	s_cmp_gt_i32 s8, 0
	s_cbranch_scc0 .LBB97_1267
; %bb.1266:
	global_load_sbyte v1, v[14:15], off
	s_mov_b64 s[0:1], 0
	s_waitcnt vmcnt(0)
	v_cvt_f16_i16_e32 v1, v1
	s_branch .LBB97_1268
.LBB97_1267:
	s_mov_b64 s[0:1], -1
                                        ; implicit-def: $vgpr1
.LBB97_1268:
	s_andn2_b64 vcc, exec, s[0:1]
	s_cbranch_vccnz .LBB97_1270
; %bb.1269:
	global_load_ubyte v1, v[14:15], off
	s_waitcnt vmcnt(0)
	v_cvt_f16_u16_e32 v1, v1
.LBB97_1270:
.LBB97_1271:
	s_lshr_b32 s0, s16, 16
	v_mov_b32_e32 v13, 0
	s_and_b32 s17, s0, 0xff
	s_cmp_lt_i32 s17, 11
	v_lshl_add_u64 v[12:13], s[6:7], 0, v[12:13]
	s_cbranch_scc1 .LBB97_1278
; %bb.1272:
	s_and_b32 s18, 0xffff, s17
	s_cmp_gt_i32 s18, 25
	s_mov_b64 s[8:9], 0
	s_cbranch_scc0 .LBB97_1280
; %bb.1273:
	s_cmp_gt_i32 s18, 28
	s_cbranch_scc0 .LBB97_1281
; %bb.1274:
	s_cmp_gt_i32 s18, 43
	;; [unrolled: 3-line block ×3, first 2 shown]
	s_cbranch_scc0 .LBB97_1284
; %bb.1276:
	s_cmp_eq_u32 s18, 46
	s_mov_b64 s[12:13], 0
	s_cbranch_scc0 .LBB97_1287
; %bb.1277:
	global_load_dword v3, v[12:13], off
	s_mov_b64 s[0:1], 0
	s_mov_b64 s[10:11], -1
	s_waitcnt vmcnt(0)
	v_lshlrev_b32_e32 v3, 16, v3
	v_cvt_f16_f32_e32 v3, v3
	s_branch .LBB97_1288
.LBB97_1278:
	s_mov_b64 s[10:11], 0
                                        ; implicit-def: $vgpr3
	s_cbranch_execnz .LBB97_1353
.LBB97_1279:
	s_andn2_b64 vcc, exec, s[10:11]
	s_cbranch_vccnz .LBB97_2092
	s_branch .LBB97_1400
.LBB97_1280:
	s_mov_b64 s[10:11], 0
	s_mov_b64 s[0:1], 0
                                        ; implicit-def: $vgpr3
	s_cbranch_execnz .LBB97_1317
	s_branch .LBB97_1349
.LBB97_1281:
	s_mov_b64 s[12:13], -1
	s_mov_b64 s[10:11], 0
	s_mov_b64 s[0:1], 0
                                        ; implicit-def: $vgpr3
	s_branch .LBB97_1298
.LBB97_1282:
	s_mov_b64 s[12:13], -1
	s_mov_b64 s[10:11], 0
	s_mov_b64 s[0:1], 0
                                        ; implicit-def: $vgpr3
	s_branch .LBB97_1293
.LBB97_1283:
	s_or_b64 s[2:3], s[24:25], exec
	s_trap 2
	s_cbranch_execz .LBB97_1224
	s_branch .LBB97_1225
.LBB97_1284:
	s_mov_b64 s[12:13], -1
	s_mov_b64 s[10:11], 0
	s_mov_b64 s[0:1], 0
                                        ; implicit-def: $vgpr3
	s_branch .LBB97_1288
.LBB97_1285:
	s_andn2_saveexec_b64 s[14:15], s[14:15]
	s_cbranch_execz .LBB97_1015
.LBB97_1286:
	s_mov_b32 s18, 0x42800000
	v_add_f32_e64 v1, |v0|, s18
	v_and_b32_e32 v1, 0xff, v1
	v_cmp_ne_u32_e32 vcc, 0, v1
	s_andn2_b64 s[12:13], s[12:13], exec
	s_and_b64 s[18:19], vcc, exec
	s_or_b64 s[12:13], s[12:13], s[18:19]
	s_or_b64 exec, exec, s[14:15]
	v_mov_b32_e32 v5, 0
	s_and_saveexec_b64 s[14:15], s[12:13]
	s_cbranch_execnz .LBB97_1016
	s_branch .LBB97_1017
.LBB97_1287:
	s_mov_b64 s[0:1], -1
                                        ; implicit-def: $vgpr3
	s_mov_b64 s[10:11], 0
.LBB97_1288:
	s_and_b64 vcc, exec, s[12:13]
	s_cbranch_vccz .LBB97_1292
; %bb.1289:
	s_cmp_eq_u32 s18, 44
	s_cbranch_scc0 .LBB97_1291
; %bb.1290:
	global_load_ubyte v3, v[12:13], off
	s_movk_i32 s10, 0xff
	v_mov_b32_e32 v7, 0x7e00
	s_mov_b64 s[0:1], 0
	s_waitcnt vmcnt(0)
	v_lshlrev_b32_e32 v5, 23, v3
	v_cvt_f16_f32_e32 v5, v5
	v_cmp_ne_u32_e32 vcc, s10, v3
	s_mov_b64 s[10:11], -1
	s_nop 0
	v_cndmask_b32_e32 v5, v7, v5, vcc
	v_cmp_ne_u32_e32 vcc, 0, v3
	s_nop 1
	v_cndmask_b32_e32 v3, 0, v5, vcc
	s_branch .LBB97_1292
.LBB97_1291:
	s_mov_b64 s[0:1], -1
                                        ; implicit-def: $vgpr3
.LBB97_1292:
	s_mov_b64 s[12:13], 0
.LBB97_1293:
	s_and_b64 vcc, exec, s[12:13]
	s_cbranch_vccz .LBB97_1297
; %bb.1294:
	s_cmp_eq_u32 s18, 29
	s_cbranch_scc0 .LBB97_1296
; %bb.1295:
	global_load_dwordx2 v[14:15], v[12:13], off
	s_mov_b64 s[0:1], 0
	s_mov_b64 s[10:11], -1
	s_mov_b64 s[12:13], 0
	s_waitcnt vmcnt(0)
	v_ffbh_u32_e32 v3, v15
	v_min_u32_e32 v3, 32, v3
	v_lshlrev_b64 v[14:15], v3, v[14:15]
	v_min_u32_e32 v5, 1, v14
	v_or_b32_e32 v5, v15, v5
	v_cvt_f32_u32_e32 v5, v5
	v_sub_u32_e32 v3, 32, v3
	v_ldexp_f32 v3, v5, v3
	v_cvt_f16_f32_e32 v3, v3
	s_branch .LBB97_1298
.LBB97_1296:
	s_mov_b64 s[0:1], -1
                                        ; implicit-def: $vgpr3
.LBB97_1297:
	s_mov_b64 s[12:13], 0
.LBB97_1298:
	s_and_b64 vcc, exec, s[12:13]
	s_cbranch_vccz .LBB97_1316
; %bb.1299:
	s_cmp_lt_i32 s18, 27
	s_cbranch_scc1 .LBB97_1302
; %bb.1300:
	s_cmp_gt_i32 s18, 27
	s_cbranch_scc0 .LBB97_1303
; %bb.1301:
	global_load_dword v3, v[12:13], off
	s_mov_b64 s[10:11], 0
	s_waitcnt vmcnt(0)
	v_cvt_f32_u32_e32 v3, v3
	v_cvt_f16_f32_e32 v3, v3
	s_branch .LBB97_1304
.LBB97_1302:
	s_mov_b64 s[10:11], -1
                                        ; implicit-def: $vgpr3
	s_branch .LBB97_1307
.LBB97_1303:
	s_mov_b64 s[10:11], -1
                                        ; implicit-def: $vgpr3
.LBB97_1304:
	s_andn2_b64 vcc, exec, s[10:11]
	s_cbranch_vccnz .LBB97_1306
; %bb.1305:
	global_load_ushort v3, v[12:13], off
	s_waitcnt vmcnt(0)
	v_cvt_f16_u16_e32 v3, v3
.LBB97_1306:
	s_mov_b64 s[10:11], 0
.LBB97_1307:
	s_andn2_b64 vcc, exec, s[10:11]
	s_cbranch_vccnz .LBB97_1315
; %bb.1308:
	global_load_ubyte v5, v[12:13], off
	s_movk_i32 s10, 0x7f
	s_waitcnt vmcnt(0)
	v_cmp_lt_i16_e32 vcc, s10, v5
	s_mov_b64 s[10:11], 0
	s_and_saveexec_b64 s[12:13], vcc
	s_xor_b64 s[12:13], exec, s[12:13]
	s_cbranch_execz .LBB97_1328
; %bb.1309:
	s_movk_i32 s10, 0x80
	v_cmp_eq_u16_e32 vcc, s10, v5
	s_mov_b64 s[10:11], -1
	s_and_saveexec_b64 s[14:15], vcc
; %bb.1310:
	s_xor_b64 s[10:11], exec, -1
; %bb.1311:
	s_or_b64 exec, exec, s[14:15]
	s_and_b64 s[10:11], s[10:11], exec
	s_or_saveexec_b64 s[12:13], s[12:13]
	v_mov_b32_e32 v3, 0x7e00
	s_xor_b64 exec, exec, s[12:13]
	s_cbranch_execnz .LBB97_1329
.LBB97_1312:
	s_or_b64 exec, exec, s[12:13]
	s_and_saveexec_b64 s[12:13], s[10:11]
	s_cbranch_execz .LBB97_1314
.LBB97_1313:
	v_lshlrev_b32_e32 v3, 24, v5
	v_and_b32_e32 v5, 0xffff, v5
	v_and_b32_e32 v7, 7, v5
	v_ffbh_u32_e32 v11, v7
	v_min_u32_e32 v11, 32, v11
	v_subrev_u32_e32 v14, 28, v11
	v_bfe_u32 v9, v5, 3, 4
	v_lshlrev_b32_e32 v5, v14, v5
	v_sub_u32_e32 v11, 29, v11
	v_and_b32_e32 v5, 7, v5
	v_cmp_eq_u32_e32 vcc, 0, v9
	v_and_b32_e32 v3, 0x80000000, v3
	s_nop 0
	v_cndmask_b32_e32 v9, v9, v11, vcc
	v_cndmask_b32_e32 v5, v7, v5, vcc
	v_mov_b32_e32 v7, 0x3b800000
	v_lshlrev_b32_e32 v5, 20, v5
	v_lshl_add_u32 v7, v9, 23, v7
	v_or3_b32 v3, v3, v7, v5
	v_cvt_f16_f32_e32 v3, v3
.LBB97_1314:
	s_or_b64 exec, exec, s[12:13]
.LBB97_1315:
	s_mov_b64 s[10:11], -1
.LBB97_1316:
	s_branch .LBB97_1349
.LBB97_1317:
	s_cmp_gt_i32 s18, 22
	s_cbranch_scc0 .LBB97_1327
; %bb.1318:
	s_cmp_lt_i32 s18, 24
	s_cbranch_scc1 .LBB97_1330
; %bb.1319:
	s_cmp_gt_i32 s18, 24
	s_cbranch_scc0 .LBB97_1331
; %bb.1320:
	global_load_ubyte v5, v[12:13], off
	s_movk_i32 s8, 0x7f
	s_waitcnt vmcnt(0)
	v_cmp_lt_i16_e32 vcc, s8, v5
	s_mov_b64 s[8:9], 0
	s_and_saveexec_b64 s[10:11], vcc
	s_xor_b64 s[10:11], exec, s[10:11]
	s_cbranch_execz .LBB97_1343
; %bb.1321:
	s_movk_i32 s8, 0x80
	v_cmp_eq_u16_e32 vcc, s8, v5
	s_mov_b64 s[8:9], -1
	s_and_saveexec_b64 s[12:13], vcc
; %bb.1322:
	s_xor_b64 s[8:9], exec, -1
; %bb.1323:
	s_or_b64 exec, exec, s[12:13]
	s_and_b64 s[8:9], s[8:9], exec
	s_or_saveexec_b64 s[10:11], s[10:11]
	v_mov_b32_e32 v3, 0x7e00
	s_xor_b64 exec, exec, s[10:11]
	s_cbranch_execnz .LBB97_1344
.LBB97_1324:
	s_or_b64 exec, exec, s[10:11]
	s_and_saveexec_b64 s[10:11], s[8:9]
	s_cbranch_execz .LBB97_1326
.LBB97_1325:
	v_lshlrev_b32_e32 v3, 24, v5
	v_and_b32_e32 v5, 0xffff, v5
	v_and_b32_e32 v7, 3, v5
	v_ffbh_u32_e32 v11, v7
	v_min_u32_e32 v11, 32, v11
	v_subrev_u32_e32 v14, 29, v11
	v_bfe_u32 v9, v5, 2, 5
	v_lshlrev_b32_e32 v5, v14, v5
	v_sub_u32_e32 v11, 30, v11
	v_and_b32_e32 v5, 3, v5
	v_cmp_eq_u32_e32 vcc, 0, v9
	v_and_b32_e32 v3, 0x80000000, v3
	s_nop 0
	v_cndmask_b32_e32 v9, v9, v11, vcc
	v_cndmask_b32_e32 v5, v7, v5, vcc
	v_mov_b32_e32 v7, 0x37800000
	v_lshlrev_b32_e32 v5, 21, v5
	v_lshl_add_u32 v7, v9, 23, v7
	v_or3_b32 v3, v3, v7, v5
	v_cvt_f16_f32_e32 v3, v3
.LBB97_1326:
	s_or_b64 exec, exec, s[10:11]
	s_mov_b64 s[8:9], 0
	s_branch .LBB97_1332
.LBB97_1327:
	s_mov_b64 s[8:9], -1
                                        ; implicit-def: $vgpr3
	s_branch .LBB97_1338
.LBB97_1328:
	s_or_saveexec_b64 s[12:13], s[12:13]
	v_mov_b32_e32 v3, 0x7e00
	s_xor_b64 exec, exec, s[12:13]
	s_cbranch_execz .LBB97_1312
.LBB97_1329:
	v_cmp_ne_u16_e32 vcc, 0, v5
	s_andn2_b64 s[10:11], s[10:11], exec
	s_and_b64 s[14:15], vcc, exec
	s_or_b64 s[10:11], s[10:11], s[14:15]
	v_mov_b32_e32 v3, v5
	s_or_b64 exec, exec, s[12:13]
	s_and_saveexec_b64 s[12:13], s[10:11]
	s_cbranch_execnz .LBB97_1313
	s_branch .LBB97_1314
.LBB97_1330:
	s_mov_b64 s[8:9], -1
                                        ; implicit-def: $vgpr3
	s_branch .LBB97_1335
.LBB97_1331:
	s_mov_b64 s[8:9], -1
                                        ; implicit-def: $vgpr3
.LBB97_1332:
	s_and_b64 vcc, exec, s[8:9]
	s_cbranch_vccz .LBB97_1334
; %bb.1333:
	global_load_ubyte v3, v[12:13], off
	s_mov_b32 s8, 0x7f800000
	s_waitcnt vmcnt(0)
	v_lshlrev_b32_e32 v3, 24, v3
	v_and_b32_e32 v5, 0x7f000000, v3
	v_ffbh_u32_e32 v7, v5
	v_min_u32_e32 v7, 32, v7
	v_sub_u32_e64 v7, v7, 4 clamp
	v_lshlrev_b32_e32 v11, v7, v5
	v_lshlrev_b32_e32 v7, 23, v7
	v_lshrrev_b32_e32 v11, 4, v11
	v_add_u32_e32 v9, 0x1000000, v5
	v_sub_u32_e32 v7, v11, v7
	v_ashrrev_i32_e32 v9, 8, v9
	v_add_u32_e32 v7, 0x3c000000, v7
	v_and_or_b32 v7, v9, s8, v7
	v_cmp_ne_u32_e32 vcc, 0, v5
	s_brev_b32 s8, 1
	s_nop 0
	v_cndmask_b32_e32 v5, 0, v7, vcc
	v_and_or_b32 v3, v3, s8, v5
	v_cvt_f16_f32_e32 v3, v3
.LBB97_1334:
	s_mov_b64 s[8:9], 0
.LBB97_1335:
	s_andn2_b64 vcc, exec, s[8:9]
	s_cbranch_vccnz .LBB97_1337
; %bb.1336:
	global_load_ubyte v3, v[12:13], off
	s_movk_i32 s8, 0x7f00
	s_brev_b32 s9, 16
	s_waitcnt vmcnt(0)
	v_lshlrev_b16_e32 v5, 8, v3
	v_lshlrev_b32_e32 v3, 25, v3
	v_lshrrev_b32_e32 v7, 4, v3
	v_and_or_b32 v9, v5, s8, 0.5
	v_or_b32_e32 v7, 0x70000000, v7
	v_add_f32_e32 v9, -0.5, v9
	v_mul_f32_e32 v7, 0x7800000, v7
	v_cmp_gt_u32_e32 vcc, s9, v3
	v_bfe_i32 v5, v5, 0, 16
	s_brev_b32 s8, 1
	v_cndmask_b32_e32 v3, v7, v9, vcc
	v_and_or_b32 v3, v5, s8, v3
	v_cvt_f16_f32_e32 v3, v3
.LBB97_1337:
	s_mov_b64 s[8:9], 0
	s_mov_b64 s[10:11], -1
.LBB97_1338:
	s_andn2_b64 vcc, exec, s[8:9]
	s_mov_b64 s[8:9], 0
	s_cbranch_vccnz .LBB97_1349
; %bb.1339:
	s_cmp_gt_i32 s18, 14
	s_cbranch_scc0 .LBB97_1342
; %bb.1340:
	s_cmp_eq_u32 s18, 15
	s_cbranch_scc0 .LBB97_1345
; %bb.1341:
	global_load_ushort v3, v[12:13], off
	s_mov_b64 s[0:1], 0
	s_mov_b64 s[10:11], -1
	s_waitcnt vmcnt(0)
	v_lshlrev_b32_e32 v3, 16, v3
	v_cvt_f16_f32_e32 v3, v3
	s_branch .LBB97_1346
.LBB97_1342:
	s_mov_b64 s[12:13], -1
                                        ; implicit-def: $vgpr3
	s_branch .LBB97_1347
.LBB97_1343:
	s_or_saveexec_b64 s[10:11], s[10:11]
	v_mov_b32_e32 v3, 0x7e00
	s_xor_b64 exec, exec, s[10:11]
	s_cbranch_execz .LBB97_1324
.LBB97_1344:
	v_cmp_ne_u16_e32 vcc, 0, v5
	s_andn2_b64 s[8:9], s[8:9], exec
	s_and_b64 s[12:13], vcc, exec
	s_or_b64 s[8:9], s[8:9], s[12:13]
	v_mov_b32_e32 v3, v5
	s_or_b64 exec, exec, s[10:11]
	s_and_saveexec_b64 s[10:11], s[8:9]
	s_cbranch_execnz .LBB97_1325
	s_branch .LBB97_1326
.LBB97_1345:
	s_mov_b64 s[0:1], -1
                                        ; implicit-def: $vgpr3
.LBB97_1346:
	s_mov_b64 s[12:13], 0
.LBB97_1347:
	s_and_b64 vcc, exec, s[12:13]
	s_cbranch_vccz .LBB97_1349
; %bb.1348:
	s_cmp_lg_u32 s18, 11
	s_mov_b64 s[8:9], -1
	s_cselect_b64 s[0:1], -1, 0
.LBB97_1349:
	s_and_b64 vcc, exec, s[0:1]
	s_cbranch_vccnz .LBB97_1412
; %bb.1350:
	s_andn2_b64 vcc, exec, s[8:9]
	s_cbranch_vccnz .LBB97_1352
.LBB97_1351:
	global_load_ubyte v3, v[12:13], off
	v_mov_b32_e32 v5, 0x3c00
	s_mov_b64 s[10:11], -1
	s_waitcnt vmcnt(0)
	v_cmp_ne_u16_e32 vcc, 0, v3
	s_nop 1
	v_cndmask_b32_e32 v3, 0, v5, vcc
.LBB97_1352:
	s_branch .LBB97_1279
.LBB97_1353:
	s_and_b32 s8, 0xffff, s17
	s_cmp_lt_i32 s8, 5
	s_cbranch_scc1 .LBB97_1358
; %bb.1354:
	s_cmp_lt_i32 s8, 8
	s_cbranch_scc1 .LBB97_1359
; %bb.1355:
	;; [unrolled: 3-line block ×3, first 2 shown]
	s_cmp_gt_i32 s8, 9
	s_cbranch_scc0 .LBB97_1361
; %bb.1357:
	global_load_dwordx2 v[14:15], v[12:13], off
	s_movk_i32 s0, 0x1ff
	s_movk_i32 s1, 0xffe
	v_mov_b32_e32 v3, 0x7c00
	v_mov_b32_e32 v5, 0x7e00
	s_movk_i32 s9, 0x40f
	s_mov_b32 s10, 0x8000
	s_waitcnt vmcnt(0)
	v_and_or_b32 v7, v15, s0, v14
	v_cmp_ne_u32_e32 vcc, 0, v7
	v_lshrrev_b32_e32 v9, 8, v15
	v_bfe_u32 v11, v15, 20, 11
	v_cndmask_b32_e64 v7, 0, 1, vcc
	v_lshrrev_b32_e32 v14, 16, v15
	v_sub_u32_e32 v15, 0x3f1, v11
	v_and_or_b32 v7, v9, s1, v7
	v_add_u32_e32 v11, 0xfffffc10, v11
	v_med3_i32 v9, v15, 0, 13
	v_or_b32_e32 v15, 0x1000, v7
	v_lshl_or_b32 v16, v11, 12, v7
	v_cmp_ne_u32_e32 vcc, 0, v7
	v_lshrrev_b32_e32 v7, v9, v15
	v_lshlrev_b32_e32 v9, v9, v7
	v_cndmask_b32_e32 v5, v3, v5, vcc
	v_cmp_ne_u32_e32 vcc, v9, v15
	s_mov_b64 s[0:1], 0
	s_nop 0
	v_cndmask_b32_e64 v9, 0, 1, vcc
	v_or_b32_e32 v7, v7, v9
	v_cmp_gt_i32_e32 vcc, 1, v11
	s_nop 1
	v_cndmask_b32_e32 v7, v16, v7, vcc
	v_and_b32_e32 v9, 7, v7
	v_cmp_lt_i32_e32 vcc, 5, v9
	v_lshrrev_b32_e32 v7, 2, v7
	s_nop 0
	v_cndmask_b32_e64 v15, 0, 1, vcc
	v_cmp_eq_u32_e32 vcc, 3, v9
	s_nop 1
	v_cndmask_b32_e64 v9, 0, 1, vcc
	v_or_b32_e32 v9, v9, v15
	v_add_u32_e32 v7, v7, v9
	v_cmp_gt_i32_e32 vcc, 31, v11
	s_nop 1
	v_cndmask_b32_e32 v3, v3, v7, vcc
	v_cmp_eq_u32_e32 vcc, s9, v11
	s_nop 1
	v_cndmask_b32_e32 v3, v3, v5, vcc
	v_and_or_b32 v3, v14, s10, v3
	s_branch .LBB97_1362
.LBB97_1358:
                                        ; implicit-def: $vgpr3
	s_branch .LBB97_1380
.LBB97_1359:
	s_mov_b64 s[0:1], -1
                                        ; implicit-def: $vgpr3
	s_branch .LBB97_1368
.LBB97_1360:
	s_mov_b64 s[0:1], -1
                                        ; implicit-def: $vgpr3
	s_branch .LBB97_1365
.LBB97_1361:
	s_mov_b64 s[0:1], -1
                                        ; implicit-def: $vgpr3
.LBB97_1362:
	s_andn2_b64 vcc, exec, s[0:1]
	s_cbranch_vccnz .LBB97_1364
; %bb.1363:
	global_load_dword v3, v[12:13], off
	s_waitcnt vmcnt(0)
	v_cvt_f16_f32_e32 v3, v3
.LBB97_1364:
	s_mov_b64 s[0:1], 0
.LBB97_1365:
	s_andn2_b64 vcc, exec, s[0:1]
	s_cbranch_vccnz .LBB97_1367
; %bb.1366:
	global_load_dword v3, v[12:13], off
.LBB97_1367:
	s_mov_b64 s[0:1], 0
.LBB97_1368:
	s_andn2_b64 vcc, exec, s[0:1]
	s_cbranch_vccnz .LBB97_1379
; %bb.1369:
	s_cmp_lt_i32 s8, 6
	s_cbranch_scc1 .LBB97_1372
; %bb.1370:
	s_cmp_gt_i32 s8, 6
	s_cbranch_scc0 .LBB97_1373
; %bb.1371:
	global_load_dwordx2 v[14:15], v[12:13], off
	s_movk_i32 s0, 0x1ff
	s_movk_i32 s1, 0xffe
	s_waitcnt vmcnt(1)
	v_mov_b32_e32 v3, 0x7c00
	v_mov_b32_e32 v5, 0x7e00
	s_movk_i32 s9, 0x40f
	s_mov_b32 s10, 0x8000
	s_waitcnt vmcnt(0)
	v_and_or_b32 v7, v15, s0, v14
	v_cmp_ne_u32_e32 vcc, 0, v7
	v_lshrrev_b32_e32 v9, 8, v15
	v_bfe_u32 v11, v15, 20, 11
	v_cndmask_b32_e64 v7, 0, 1, vcc
	v_lshrrev_b32_e32 v14, 16, v15
	v_sub_u32_e32 v15, 0x3f1, v11
	v_and_or_b32 v7, v9, s1, v7
	v_add_u32_e32 v11, 0xfffffc10, v11
	v_med3_i32 v9, v15, 0, 13
	v_or_b32_e32 v15, 0x1000, v7
	v_lshl_or_b32 v16, v11, 12, v7
	v_cmp_ne_u32_e32 vcc, 0, v7
	v_lshrrev_b32_e32 v7, v9, v15
	v_lshlrev_b32_e32 v9, v9, v7
	v_cndmask_b32_e32 v5, v3, v5, vcc
	v_cmp_ne_u32_e32 vcc, v9, v15
	s_mov_b64 s[0:1], 0
	s_nop 0
	v_cndmask_b32_e64 v9, 0, 1, vcc
	v_or_b32_e32 v7, v7, v9
	v_cmp_gt_i32_e32 vcc, 1, v11
	s_nop 1
	v_cndmask_b32_e32 v7, v16, v7, vcc
	v_and_b32_e32 v9, 7, v7
	v_cmp_lt_i32_e32 vcc, 5, v9
	v_lshrrev_b32_e32 v7, 2, v7
	s_nop 0
	v_cndmask_b32_e64 v15, 0, 1, vcc
	v_cmp_eq_u32_e32 vcc, 3, v9
	s_nop 1
	v_cndmask_b32_e64 v9, 0, 1, vcc
	v_or_b32_e32 v9, v9, v15
	v_add_u32_e32 v7, v7, v9
	v_cmp_gt_i32_e32 vcc, 31, v11
	s_nop 1
	v_cndmask_b32_e32 v3, v3, v7, vcc
	v_cmp_eq_u32_e32 vcc, s9, v11
	s_nop 1
	v_cndmask_b32_e32 v3, v3, v5, vcc
	v_and_or_b32 v3, v14, s10, v3
	s_branch .LBB97_1374
.LBB97_1372:
	s_mov_b64 s[0:1], -1
                                        ; implicit-def: $vgpr3
	s_branch .LBB97_1377
.LBB97_1373:
	s_mov_b64 s[0:1], -1
                                        ; implicit-def: $vgpr3
.LBB97_1374:
	s_andn2_b64 vcc, exec, s[0:1]
	s_cbranch_vccnz .LBB97_1376
; %bb.1375:
	global_load_dword v3, v[12:13], off
	s_waitcnt vmcnt(0)
	v_cvt_f16_f32_e32 v3, v3
.LBB97_1376:
	s_mov_b64 s[0:1], 0
.LBB97_1377:
	s_andn2_b64 vcc, exec, s[0:1]
	s_cbranch_vccnz .LBB97_1379
; %bb.1378:
	global_load_ushort v3, v[12:13], off
.LBB97_1379:
	s_cbranch_execnz .LBB97_1399
.LBB97_1380:
	s_cmp_lt_i32 s8, 2
	s_cbranch_scc1 .LBB97_1384
; %bb.1381:
	s_cmp_lt_i32 s8, 3
	s_cbranch_scc1 .LBB97_1385
; %bb.1382:
	s_cmp_gt_i32 s8, 3
	s_cbranch_scc0 .LBB97_1386
; %bb.1383:
	global_load_dwordx2 v[14:15], v[12:13], off
	s_mov_b64 s[0:1], 0
	s_waitcnt vmcnt(0)
	v_xor_b32_e32 v5, v14, v15
	v_ffbh_i32_e32 v3, v15
	v_ashrrev_i32_e32 v5, 31, v5
	v_add_u32_e32 v3, -1, v3
	v_add_u32_e32 v5, 32, v5
	v_min_u32_e32 v3, v3, v5
	v_lshlrev_b64 v[14:15], v3, v[14:15]
	v_min_u32_e32 v5, 1, v14
	v_or_b32_e32 v5, v15, v5
	v_cvt_f32_i32_e32 v5, v5
	v_sub_u32_e32 v3, 32, v3
	v_ldexp_f32 v3, v5, v3
	v_cvt_f16_f32_e32 v3, v3
	s_branch .LBB97_1387
.LBB97_1384:
	s_mov_b64 s[0:1], -1
                                        ; implicit-def: $vgpr3
	s_branch .LBB97_1393
.LBB97_1385:
	s_mov_b64 s[0:1], -1
                                        ; implicit-def: $vgpr3
	s_branch .LBB97_1390
.LBB97_1386:
	s_mov_b64 s[0:1], -1
                                        ; implicit-def: $vgpr3
.LBB97_1387:
	s_andn2_b64 vcc, exec, s[0:1]
	s_cbranch_vccnz .LBB97_1389
; %bb.1388:
	global_load_dword v3, v[12:13], off
	s_waitcnt vmcnt(0)
	v_cvt_f32_i32_e32 v3, v3
	v_cvt_f16_f32_e32 v3, v3
.LBB97_1389:
	s_mov_b64 s[0:1], 0
.LBB97_1390:
	s_andn2_b64 vcc, exec, s[0:1]
	s_cbranch_vccnz .LBB97_1392
; %bb.1391:
	global_load_ushort v3, v[12:13], off
	s_waitcnt vmcnt(0)
	v_cvt_f16_i16_e32 v3, v3
.LBB97_1392:
	s_mov_b64 s[0:1], 0
.LBB97_1393:
	s_andn2_b64 vcc, exec, s[0:1]
	s_cbranch_vccnz .LBB97_1399
; %bb.1394:
	s_cmp_gt_i32 s8, 0
	s_cbranch_scc0 .LBB97_1396
; %bb.1395:
	global_load_sbyte v3, v[12:13], off
	s_mov_b64 s[0:1], 0
	s_waitcnt vmcnt(0)
	v_cvt_f16_i16_e32 v3, v3
	s_branch .LBB97_1397
.LBB97_1396:
	s_mov_b64 s[0:1], -1
                                        ; implicit-def: $vgpr3
.LBB97_1397:
	s_andn2_b64 vcc, exec, s[0:1]
	s_cbranch_vccnz .LBB97_1399
; %bb.1398:
	global_load_ubyte v3, v[12:13], off
	s_waitcnt vmcnt(0)
	v_cvt_f16_u16_e32 v3, v3
.LBB97_1399:
.LBB97_1400:
	v_mov_b32_e32 v11, 0
	s_cmp_lt_i32 s17, 11
	v_lshl_add_u64 v[10:11], s[6:7], 0, v[10:11]
	s_cbranch_scc1 .LBB97_1407
; %bb.1401:
	s_and_b32 s18, 0xffff, s17
	s_cmp_gt_i32 s18, 25
	s_mov_b64 s[8:9], 0
	s_cbranch_scc0 .LBB97_1409
; %bb.1402:
	s_cmp_gt_i32 s18, 28
	s_cbranch_scc0 .LBB97_1410
; %bb.1403:
	s_cmp_gt_i32 s18, 43
	;; [unrolled: 3-line block ×3, first 2 shown]
	s_cbranch_scc0 .LBB97_1413
; %bb.1405:
	s_cmp_eq_u32 s18, 46
	s_mov_b64 s[12:13], 0
	s_cbranch_scc0 .LBB97_1414
; %bb.1406:
	global_load_dword v5, v[10:11], off
	s_mov_b64 s[0:1], 0
	s_mov_b64 s[10:11], -1
	s_waitcnt vmcnt(0)
	v_lshlrev_b32_e32 v5, 16, v5
	v_cvt_f16_f32_e32 v12, v5
	s_branch .LBB97_1415
.LBB97_1407:
	s_mov_b64 s[10:11], 0
                                        ; implicit-def: $vgpr12
	s_cbranch_execnz .LBB97_1481
.LBB97_1408:
	s_andn2_b64 vcc, exec, s[10:11]
	s_cbranch_vccnz .LBB97_2092
	s_branch .LBB97_1529
.LBB97_1409:
	s_mov_b64 s[12:13], -1
	s_mov_b64 s[10:11], 0
	s_mov_b64 s[0:1], 0
                                        ; implicit-def: $vgpr12
	s_branch .LBB97_1444
.LBB97_1410:
	s_mov_b64 s[12:13], -1
	s_mov_b64 s[10:11], 0
	s_mov_b64 s[0:1], 0
                                        ; implicit-def: $vgpr12
	s_branch .LBB97_1425
.LBB97_1411:
	s_mov_b64 s[12:13], -1
	s_mov_b64 s[10:11], 0
	s_mov_b64 s[0:1], 0
                                        ; implicit-def: $vgpr12
	s_branch .LBB97_1420
.LBB97_1412:
	s_trap 2
	s_or_b64 s[2:3], s[2:3], exec
	s_cbranch_execz .LBB97_1351
	s_branch .LBB97_1352
.LBB97_1413:
	s_mov_b64 s[12:13], -1
	s_mov_b64 s[10:11], 0
	s_mov_b64 s[0:1], 0
                                        ; implicit-def: $vgpr12
	s_branch .LBB97_1415
.LBB97_1414:
	s_mov_b64 s[0:1], -1
                                        ; implicit-def: $vgpr12
	s_mov_b64 s[10:11], 0
.LBB97_1415:
	s_and_b64 vcc, exec, s[12:13]
	s_cbranch_vccz .LBB97_1419
; %bb.1416:
	s_cmp_eq_u32 s18, 44
	s_cbranch_scc0 .LBB97_1418
; %bb.1417:
	global_load_ubyte v5, v[10:11], off
	s_movk_i32 s10, 0xff
	v_mov_b32_e32 v9, 0x7e00
	s_mov_b64 s[0:1], 0
	s_waitcnt vmcnt(0)
	v_lshlrev_b32_e32 v7, 23, v5
	v_cvt_f16_f32_e32 v7, v7
	v_cmp_ne_u32_e32 vcc, s10, v5
	s_mov_b64 s[10:11], -1
	s_nop 0
	v_cndmask_b32_e32 v7, v9, v7, vcc
	v_cmp_ne_u32_e32 vcc, 0, v5
	s_nop 1
	v_cndmask_b32_e32 v12, 0, v7, vcc
	s_branch .LBB97_1419
.LBB97_1418:
	s_mov_b64 s[0:1], -1
                                        ; implicit-def: $vgpr12
.LBB97_1419:
	s_mov_b64 s[12:13], 0
.LBB97_1420:
	s_and_b64 vcc, exec, s[12:13]
	s_cbranch_vccz .LBB97_1424
; %bb.1421:
	s_cmp_eq_u32 s18, 29
	s_cbranch_scc0 .LBB97_1423
; %bb.1422:
	global_load_dwordx2 v[12:13], v[10:11], off
	s_mov_b64 s[0:1], 0
	s_mov_b64 s[10:11], -1
	s_mov_b64 s[12:13], 0
	s_waitcnt vmcnt(0)
	v_ffbh_u32_e32 v5, v13
	v_min_u32_e32 v5, 32, v5
	v_lshlrev_b64 v[12:13], v5, v[12:13]
	v_min_u32_e32 v7, 1, v12
	v_or_b32_e32 v7, v13, v7
	v_cvt_f32_u32_e32 v7, v7
	v_sub_u32_e32 v5, 32, v5
	v_ldexp_f32 v5, v7, v5
	v_cvt_f16_f32_e32 v12, v5
	s_branch .LBB97_1425
.LBB97_1423:
	s_mov_b64 s[0:1], -1
                                        ; implicit-def: $vgpr12
.LBB97_1424:
	s_mov_b64 s[12:13], 0
.LBB97_1425:
	s_and_b64 vcc, exec, s[12:13]
	s_cbranch_vccz .LBB97_1443
; %bb.1426:
	s_cmp_lt_i32 s18, 27
	s_cbranch_scc1 .LBB97_1429
; %bb.1427:
	s_cmp_gt_i32 s18, 27
	s_cbranch_scc0 .LBB97_1430
; %bb.1428:
	global_load_dword v5, v[10:11], off
	s_mov_b64 s[10:11], 0
	s_waitcnt vmcnt(0)
	v_cvt_f32_u32_e32 v5, v5
	v_cvt_f16_f32_e32 v12, v5
	s_branch .LBB97_1431
.LBB97_1429:
	s_mov_b64 s[10:11], -1
                                        ; implicit-def: $vgpr12
	s_branch .LBB97_1434
.LBB97_1430:
	s_mov_b64 s[10:11], -1
                                        ; implicit-def: $vgpr12
.LBB97_1431:
	s_andn2_b64 vcc, exec, s[10:11]
	s_cbranch_vccnz .LBB97_1433
; %bb.1432:
	global_load_ushort v5, v[10:11], off
	s_waitcnt vmcnt(0)
	v_cvt_f16_u16_e32 v12, v5
.LBB97_1433:
	s_mov_b64 s[10:11], 0
.LBB97_1434:
	s_andn2_b64 vcc, exec, s[10:11]
	s_cbranch_vccnz .LBB97_1442
; %bb.1435:
	global_load_ubyte v5, v[10:11], off
	s_movk_i32 s10, 0x7f
	s_waitcnt vmcnt(0)
	v_cmp_lt_i16_e32 vcc, s10, v5
	s_mov_b64 s[10:11], 0
	s_and_saveexec_b64 s[12:13], vcc
	s_xor_b64 s[12:13], exec, s[12:13]
	s_cbranch_execz .LBB97_1456
; %bb.1436:
	s_movk_i32 s10, 0x80
	v_cmp_eq_u16_e32 vcc, s10, v5
	s_mov_b64 s[10:11], -1
	s_and_saveexec_b64 s[14:15], vcc
; %bb.1437:
	s_xor_b64 s[10:11], exec, -1
; %bb.1438:
	s_or_b64 exec, exec, s[14:15]
	s_and_b64 s[10:11], s[10:11], exec
	s_or_saveexec_b64 s[12:13], s[12:13]
	v_mov_b32_e32 v12, 0x7e00
	s_xor_b64 exec, exec, s[12:13]
	s_cbranch_execnz .LBB97_1457
.LBB97_1439:
	s_or_b64 exec, exec, s[12:13]
	s_and_saveexec_b64 s[12:13], s[10:11]
	s_cbranch_execz .LBB97_1441
.LBB97_1440:
	v_lshlrev_b32_e32 v7, 24, v5
	v_and_b32_e32 v5, 0xffff, v5
	v_and_b32_e32 v9, 7, v5
	v_ffbh_u32_e32 v13, v9
	v_min_u32_e32 v13, 32, v13
	v_subrev_u32_e32 v14, 28, v13
	v_bfe_u32 v12, v5, 3, 4
	v_lshlrev_b32_e32 v5, v14, v5
	v_sub_u32_e32 v13, 29, v13
	v_and_b32_e32 v5, 7, v5
	v_cmp_eq_u32_e32 vcc, 0, v12
	v_and_b32_e32 v7, 0x80000000, v7
	s_nop 0
	v_cndmask_b32_e32 v12, v12, v13, vcc
	v_cndmask_b32_e32 v5, v9, v5, vcc
	v_mov_b32_e32 v9, 0x3b800000
	v_lshlrev_b32_e32 v5, 20, v5
	v_lshl_add_u32 v9, v12, 23, v9
	v_or3_b32 v5, v7, v9, v5
	v_cvt_f16_f32_e32 v12, v5
.LBB97_1441:
	s_or_b64 exec, exec, s[12:13]
.LBB97_1442:
	s_mov_b64 s[10:11], -1
.LBB97_1443:
	s_mov_b64 s[12:13], 0
.LBB97_1444:
	s_and_b64 vcc, exec, s[12:13]
	s_cbranch_vccz .LBB97_1477
; %bb.1445:
	s_cmp_gt_i32 s18, 22
	s_cbranch_scc0 .LBB97_1455
; %bb.1446:
	s_cmp_lt_i32 s18, 24
	s_cbranch_scc1 .LBB97_1458
; %bb.1447:
	s_cmp_gt_i32 s18, 24
	s_cbranch_scc0 .LBB97_1459
; %bb.1448:
	global_load_ubyte v5, v[10:11], off
	s_movk_i32 s8, 0x7f
	s_waitcnt vmcnt(0)
	v_cmp_lt_i16_e32 vcc, s8, v5
	s_mov_b64 s[8:9], 0
	s_and_saveexec_b64 s[10:11], vcc
	s_xor_b64 s[10:11], exec, s[10:11]
	s_cbranch_execz .LBB97_1471
; %bb.1449:
	s_movk_i32 s8, 0x80
	v_cmp_eq_u16_e32 vcc, s8, v5
	s_mov_b64 s[8:9], -1
	s_and_saveexec_b64 s[12:13], vcc
; %bb.1450:
	s_xor_b64 s[8:9], exec, -1
; %bb.1451:
	s_or_b64 exec, exec, s[12:13]
	s_and_b64 s[8:9], s[8:9], exec
	s_or_saveexec_b64 s[10:11], s[10:11]
	v_mov_b32_e32 v12, 0x7e00
	s_xor_b64 exec, exec, s[10:11]
	s_cbranch_execnz .LBB97_1472
.LBB97_1452:
	s_or_b64 exec, exec, s[10:11]
	s_and_saveexec_b64 s[10:11], s[8:9]
	s_cbranch_execz .LBB97_1454
.LBB97_1453:
	v_lshlrev_b32_e32 v7, 24, v5
	v_and_b32_e32 v5, 0xffff, v5
	v_and_b32_e32 v9, 3, v5
	v_ffbh_u32_e32 v13, v9
	v_min_u32_e32 v13, 32, v13
	v_subrev_u32_e32 v14, 29, v13
	v_bfe_u32 v12, v5, 2, 5
	v_lshlrev_b32_e32 v5, v14, v5
	v_sub_u32_e32 v13, 30, v13
	v_and_b32_e32 v5, 3, v5
	v_cmp_eq_u32_e32 vcc, 0, v12
	v_and_b32_e32 v7, 0x80000000, v7
	s_nop 0
	v_cndmask_b32_e32 v12, v12, v13, vcc
	v_cndmask_b32_e32 v5, v9, v5, vcc
	v_mov_b32_e32 v9, 0x37800000
	v_lshlrev_b32_e32 v5, 21, v5
	v_lshl_add_u32 v9, v12, 23, v9
	v_or3_b32 v5, v7, v9, v5
	v_cvt_f16_f32_e32 v12, v5
.LBB97_1454:
	s_or_b64 exec, exec, s[10:11]
	s_mov_b64 s[8:9], 0
	s_branch .LBB97_1460
.LBB97_1455:
	s_mov_b64 s[8:9], -1
                                        ; implicit-def: $vgpr12
	s_branch .LBB97_1466
.LBB97_1456:
	s_or_saveexec_b64 s[12:13], s[12:13]
	v_mov_b32_e32 v12, 0x7e00
	s_xor_b64 exec, exec, s[12:13]
	s_cbranch_execz .LBB97_1439
.LBB97_1457:
	v_cmp_ne_u16_e32 vcc, 0, v5
	s_andn2_b64 s[10:11], s[10:11], exec
	s_and_b64 s[14:15], vcc, exec
	s_or_b64 s[10:11], s[10:11], s[14:15]
	v_mov_b32_e32 v12, v5
	s_or_b64 exec, exec, s[12:13]
	s_and_saveexec_b64 s[12:13], s[10:11]
	s_cbranch_execnz .LBB97_1440
	s_branch .LBB97_1441
.LBB97_1458:
	s_mov_b64 s[8:9], -1
                                        ; implicit-def: $vgpr12
	s_branch .LBB97_1463
.LBB97_1459:
	s_mov_b64 s[8:9], -1
                                        ; implicit-def: $vgpr12
.LBB97_1460:
	s_and_b64 vcc, exec, s[8:9]
	s_cbranch_vccz .LBB97_1462
; %bb.1461:
	global_load_ubyte v5, v[10:11], off
	s_mov_b32 s8, 0x7f800000
	s_waitcnt vmcnt(0)
	v_lshlrev_b32_e32 v5, 24, v5
	v_and_b32_e32 v7, 0x7f000000, v5
	v_ffbh_u32_e32 v9, v7
	v_min_u32_e32 v9, 32, v9
	v_sub_u32_e64 v9, v9, 4 clamp
	v_lshlrev_b32_e32 v13, v9, v7
	v_lshlrev_b32_e32 v9, 23, v9
	v_lshrrev_b32_e32 v13, 4, v13
	v_add_u32_e32 v12, 0x1000000, v7
	v_sub_u32_e32 v9, v13, v9
	v_ashrrev_i32_e32 v12, 8, v12
	v_add_u32_e32 v9, 0x3c000000, v9
	v_and_or_b32 v9, v12, s8, v9
	v_cmp_ne_u32_e32 vcc, 0, v7
	s_brev_b32 s8, 1
	s_nop 0
	v_cndmask_b32_e32 v7, 0, v9, vcc
	v_and_or_b32 v5, v5, s8, v7
	v_cvt_f16_f32_e32 v12, v5
.LBB97_1462:
	s_mov_b64 s[8:9], 0
.LBB97_1463:
	s_andn2_b64 vcc, exec, s[8:9]
	s_cbranch_vccnz .LBB97_1465
; %bb.1464:
	global_load_ubyte v5, v[10:11], off
	s_movk_i32 s8, 0x7f00
	s_brev_b32 s9, 16
	s_waitcnt vmcnt(0)
	v_lshlrev_b16_e32 v7, 8, v5
	v_lshlrev_b32_e32 v5, 25, v5
	v_lshrrev_b32_e32 v9, 4, v5
	v_and_or_b32 v12, v7, s8, 0.5
	v_or_b32_e32 v9, 0x70000000, v9
	v_add_f32_e32 v12, -0.5, v12
	v_mul_f32_e32 v9, 0x7800000, v9
	v_cmp_gt_u32_e32 vcc, s9, v5
	v_bfe_i32 v7, v7, 0, 16
	s_brev_b32 s8, 1
	v_cndmask_b32_e32 v5, v9, v12, vcc
	v_and_or_b32 v5, v7, s8, v5
	v_cvt_f16_f32_e32 v12, v5
.LBB97_1465:
	s_mov_b64 s[8:9], 0
	s_mov_b64 s[10:11], -1
.LBB97_1466:
	s_andn2_b64 vcc, exec, s[8:9]
	s_mov_b64 s[8:9], 0
	s_cbranch_vccnz .LBB97_1477
; %bb.1467:
	s_cmp_gt_i32 s18, 14
	s_cbranch_scc0 .LBB97_1470
; %bb.1468:
	s_cmp_eq_u32 s18, 15
	s_cbranch_scc0 .LBB97_1473
; %bb.1469:
	global_load_ushort v5, v[10:11], off
	s_mov_b64 s[0:1], 0
	s_mov_b64 s[10:11], -1
	s_waitcnt vmcnt(0)
	v_lshlrev_b32_e32 v5, 16, v5
	v_cvt_f16_f32_e32 v12, v5
	s_branch .LBB97_1474
.LBB97_1470:
	s_mov_b64 s[12:13], -1
                                        ; implicit-def: $vgpr12
	s_branch .LBB97_1475
.LBB97_1471:
	s_or_saveexec_b64 s[10:11], s[10:11]
	v_mov_b32_e32 v12, 0x7e00
	s_xor_b64 exec, exec, s[10:11]
	s_cbranch_execz .LBB97_1452
.LBB97_1472:
	v_cmp_ne_u16_e32 vcc, 0, v5
	s_andn2_b64 s[8:9], s[8:9], exec
	s_and_b64 s[12:13], vcc, exec
	s_or_b64 s[8:9], s[8:9], s[12:13]
	v_mov_b32_e32 v12, v5
	s_or_b64 exec, exec, s[10:11]
	s_and_saveexec_b64 s[10:11], s[8:9]
	s_cbranch_execnz .LBB97_1453
	s_branch .LBB97_1454
.LBB97_1473:
	s_mov_b64 s[0:1], -1
                                        ; implicit-def: $vgpr12
.LBB97_1474:
	s_mov_b64 s[12:13], 0
.LBB97_1475:
	s_and_b64 vcc, exec, s[12:13]
	s_cbranch_vccz .LBB97_1477
; %bb.1476:
	s_cmp_lg_u32 s18, 11
	s_mov_b64 s[8:9], -1
	s_cselect_b64 s[0:1], -1, 0
.LBB97_1477:
	s_and_b64 vcc, exec, s[0:1]
	s_cbranch_vccnz .LBB97_1540
; %bb.1478:
	s_andn2_b64 vcc, exec, s[8:9]
	s_cbranch_vccnz .LBB97_1480
.LBB97_1479:
	global_load_ubyte v5, v[10:11], off
	v_mov_b32_e32 v7, 0x3c00
	s_mov_b64 s[10:11], -1
	s_waitcnt vmcnt(0)
	v_cmp_ne_u16_e32 vcc, 0, v5
	s_nop 1
	v_cndmask_b32_e32 v12, 0, v7, vcc
.LBB97_1480:
	s_branch .LBB97_1408
.LBB97_1481:
	s_and_b32 s8, 0xffff, s17
	s_cmp_lt_i32 s8, 5
	s_cbranch_scc1 .LBB97_1486
; %bb.1482:
	s_cmp_lt_i32 s8, 8
	s_cbranch_scc1 .LBB97_1487
; %bb.1483:
	;; [unrolled: 3-line block ×3, first 2 shown]
	s_cmp_gt_i32 s8, 9
	s_cbranch_scc0 .LBB97_1489
; %bb.1485:
	global_load_dwordx2 v[12:13], v[10:11], off
	s_movk_i32 s0, 0x1ff
	s_movk_i32 s1, 0xffe
	v_mov_b32_e32 v5, 0x7c00
	v_mov_b32_e32 v7, 0x7e00
	s_movk_i32 s9, 0x40f
	s_mov_b32 s10, 0x8000
	s_waitcnt vmcnt(0)
	v_and_or_b32 v9, v13, s0, v12
	v_cmp_ne_u32_e32 vcc, 0, v9
	v_lshrrev_b32_e32 v12, 8, v13
	v_bfe_u32 v14, v13, 20, 11
	v_cndmask_b32_e64 v9, 0, 1, vcc
	v_sub_u32_e32 v15, 0x3f1, v14
	v_and_or_b32 v9, v12, s1, v9
	v_add_u32_e32 v14, 0xfffffc10, v14
	v_med3_i32 v12, v15, 0, 13
	v_or_b32_e32 v15, 0x1000, v9
	v_lshl_or_b32 v16, v14, 12, v9
	v_cmp_ne_u32_e32 vcc, 0, v9
	v_lshrrev_b32_e32 v9, v12, v15
	v_lshlrev_b32_e32 v12, v12, v9
	v_cndmask_b32_e32 v7, v5, v7, vcc
	v_cmp_ne_u32_e32 vcc, v12, v15
	v_lshrrev_b32_e32 v13, 16, v13
	s_mov_b64 s[0:1], 0
	v_cndmask_b32_e64 v12, 0, 1, vcc
	v_or_b32_e32 v9, v9, v12
	v_cmp_gt_i32_e32 vcc, 1, v14
	s_nop 1
	v_cndmask_b32_e32 v9, v16, v9, vcc
	v_and_b32_e32 v12, 7, v9
	v_cmp_lt_i32_e32 vcc, 5, v12
	v_lshrrev_b32_e32 v9, 2, v9
	s_nop 0
	v_cndmask_b32_e64 v15, 0, 1, vcc
	v_cmp_eq_u32_e32 vcc, 3, v12
	s_nop 1
	v_cndmask_b32_e64 v12, 0, 1, vcc
	v_or_b32_e32 v12, v12, v15
	v_add_u32_e32 v9, v9, v12
	v_cmp_gt_i32_e32 vcc, 31, v14
	s_nop 1
	v_cndmask_b32_e32 v5, v5, v9, vcc
	v_cmp_eq_u32_e32 vcc, s9, v14
	s_nop 1
	v_cndmask_b32_e32 v5, v5, v7, vcc
	v_and_or_b32 v12, v13, s10, v5
	s_branch .LBB97_1490
.LBB97_1486:
	s_mov_b64 s[0:1], -1
                                        ; implicit-def: $vgpr12
	s_branch .LBB97_1508
.LBB97_1487:
	s_mov_b64 s[0:1], -1
                                        ; implicit-def: $vgpr12
	s_branch .LBB97_1496
.LBB97_1488:
	s_mov_b64 s[0:1], -1
                                        ; implicit-def: $vgpr12
	s_branch .LBB97_1493
.LBB97_1489:
	s_mov_b64 s[0:1], -1
                                        ; implicit-def: $vgpr12
.LBB97_1490:
	s_andn2_b64 vcc, exec, s[0:1]
	s_cbranch_vccnz .LBB97_1492
; %bb.1491:
	global_load_dword v5, v[10:11], off
	s_waitcnt vmcnt(0)
	v_cvt_f16_f32_e32 v12, v5
.LBB97_1492:
	s_mov_b64 s[0:1], 0
.LBB97_1493:
	s_andn2_b64 vcc, exec, s[0:1]
	s_cbranch_vccnz .LBB97_1495
; %bb.1494:
	global_load_dword v12, v[10:11], off
.LBB97_1495:
	s_mov_b64 s[0:1], 0
.LBB97_1496:
	s_andn2_b64 vcc, exec, s[0:1]
	s_cbranch_vccnz .LBB97_1507
; %bb.1497:
	s_cmp_lt_i32 s8, 6
	s_cbranch_scc1 .LBB97_1500
; %bb.1498:
	s_cmp_gt_i32 s8, 6
	s_cbranch_scc0 .LBB97_1501
; %bb.1499:
	global_load_dwordx2 v[12:13], v[10:11], off
	s_movk_i32 s0, 0x1ff
	s_movk_i32 s1, 0xffe
	v_mov_b32_e32 v5, 0x7c00
	v_mov_b32_e32 v7, 0x7e00
	s_movk_i32 s9, 0x40f
	s_mov_b32 s10, 0x8000
	s_waitcnt vmcnt(0)
	v_and_or_b32 v9, v13, s0, v12
	v_cmp_ne_u32_e32 vcc, 0, v9
	v_lshrrev_b32_e32 v12, 8, v13
	v_bfe_u32 v14, v13, 20, 11
	v_cndmask_b32_e64 v9, 0, 1, vcc
	v_sub_u32_e32 v15, 0x3f1, v14
	v_and_or_b32 v9, v12, s1, v9
	v_add_u32_e32 v14, 0xfffffc10, v14
	v_med3_i32 v12, v15, 0, 13
	v_or_b32_e32 v15, 0x1000, v9
	v_lshl_or_b32 v16, v14, 12, v9
	v_cmp_ne_u32_e32 vcc, 0, v9
	v_lshrrev_b32_e32 v9, v12, v15
	v_lshlrev_b32_e32 v12, v12, v9
	v_cndmask_b32_e32 v7, v5, v7, vcc
	v_cmp_ne_u32_e32 vcc, v12, v15
	v_lshrrev_b32_e32 v13, 16, v13
	s_mov_b64 s[0:1], 0
	v_cndmask_b32_e64 v12, 0, 1, vcc
	v_or_b32_e32 v9, v9, v12
	v_cmp_gt_i32_e32 vcc, 1, v14
	s_nop 1
	v_cndmask_b32_e32 v9, v16, v9, vcc
	v_and_b32_e32 v12, 7, v9
	v_cmp_lt_i32_e32 vcc, 5, v12
	v_lshrrev_b32_e32 v9, 2, v9
	s_nop 0
	v_cndmask_b32_e64 v15, 0, 1, vcc
	v_cmp_eq_u32_e32 vcc, 3, v12
	s_nop 1
	v_cndmask_b32_e64 v12, 0, 1, vcc
	v_or_b32_e32 v12, v12, v15
	v_add_u32_e32 v9, v9, v12
	v_cmp_gt_i32_e32 vcc, 31, v14
	s_nop 1
	v_cndmask_b32_e32 v5, v5, v9, vcc
	v_cmp_eq_u32_e32 vcc, s9, v14
	s_nop 1
	v_cndmask_b32_e32 v5, v5, v7, vcc
	v_and_or_b32 v12, v13, s10, v5
	s_branch .LBB97_1502
.LBB97_1500:
	s_mov_b64 s[0:1], -1
                                        ; implicit-def: $vgpr12
	s_branch .LBB97_1505
.LBB97_1501:
	s_mov_b64 s[0:1], -1
                                        ; implicit-def: $vgpr12
.LBB97_1502:
	s_andn2_b64 vcc, exec, s[0:1]
	s_cbranch_vccnz .LBB97_1504
; %bb.1503:
	global_load_dword v5, v[10:11], off
	s_waitcnt vmcnt(0)
	v_cvt_f16_f32_e32 v12, v5
.LBB97_1504:
	s_mov_b64 s[0:1], 0
.LBB97_1505:
	s_andn2_b64 vcc, exec, s[0:1]
	s_cbranch_vccnz .LBB97_1507
; %bb.1506:
	global_load_ushort v12, v[10:11], off
.LBB97_1507:
	s_mov_b64 s[0:1], 0
.LBB97_1508:
	s_andn2_b64 vcc, exec, s[0:1]
	s_cbranch_vccnz .LBB97_1528
; %bb.1509:
	s_cmp_lt_i32 s8, 2
	s_cbranch_scc1 .LBB97_1513
; %bb.1510:
	s_cmp_lt_i32 s8, 3
	s_cbranch_scc1 .LBB97_1514
; %bb.1511:
	s_cmp_gt_i32 s8, 3
	s_cbranch_scc0 .LBB97_1515
; %bb.1512:
	global_load_dwordx2 v[12:13], v[10:11], off
	s_mov_b64 s[0:1], 0
	s_waitcnt vmcnt(0)
	v_xor_b32_e32 v7, v12, v13
	v_ffbh_i32_e32 v5, v13
	v_ashrrev_i32_e32 v7, 31, v7
	v_add_u32_e32 v5, -1, v5
	v_add_u32_e32 v7, 32, v7
	v_min_u32_e32 v5, v5, v7
	v_lshlrev_b64 v[12:13], v5, v[12:13]
	v_min_u32_e32 v7, 1, v12
	v_or_b32_e32 v7, v13, v7
	v_cvt_f32_i32_e32 v7, v7
	v_sub_u32_e32 v5, 32, v5
	v_ldexp_f32 v5, v7, v5
	v_cvt_f16_f32_e32 v12, v5
	s_branch .LBB97_1516
.LBB97_1513:
	s_mov_b64 s[0:1], -1
                                        ; implicit-def: $vgpr12
	s_branch .LBB97_1522
.LBB97_1514:
	s_mov_b64 s[0:1], -1
                                        ; implicit-def: $vgpr12
	s_branch .LBB97_1519
.LBB97_1515:
	s_mov_b64 s[0:1], -1
                                        ; implicit-def: $vgpr12
.LBB97_1516:
	s_andn2_b64 vcc, exec, s[0:1]
	s_cbranch_vccnz .LBB97_1518
; %bb.1517:
	global_load_dword v5, v[10:11], off
	s_waitcnt vmcnt(0)
	v_cvt_f32_i32_e32 v5, v5
	v_cvt_f16_f32_e32 v12, v5
.LBB97_1518:
	s_mov_b64 s[0:1], 0
.LBB97_1519:
	s_andn2_b64 vcc, exec, s[0:1]
	s_cbranch_vccnz .LBB97_1521
; %bb.1520:
	global_load_ushort v5, v[10:11], off
	s_waitcnt vmcnt(0)
	v_cvt_f16_i16_e32 v12, v5
.LBB97_1521:
	s_mov_b64 s[0:1], 0
.LBB97_1522:
	s_andn2_b64 vcc, exec, s[0:1]
	s_cbranch_vccnz .LBB97_1528
; %bb.1523:
	s_cmp_gt_i32 s8, 0
	s_cbranch_scc0 .LBB97_1525
; %bb.1524:
	global_load_sbyte v5, v[10:11], off
	s_mov_b64 s[0:1], 0
	s_waitcnt vmcnt(0)
	v_cvt_f16_i16_e32 v12, v5
	s_branch .LBB97_1526
.LBB97_1525:
	s_mov_b64 s[0:1], -1
                                        ; implicit-def: $vgpr12
.LBB97_1526:
	s_andn2_b64 vcc, exec, s[0:1]
	s_cbranch_vccnz .LBB97_1528
; %bb.1527:
	global_load_ubyte v5, v[10:11], off
	s_waitcnt vmcnt(0)
	v_cvt_f16_u16_e32 v12, v5
.LBB97_1528:
.LBB97_1529:
	v_mov_b32_e32 v9, 0
	s_cmp_lt_i32 s17, 11
	v_lshl_add_u64 v[8:9], s[6:7], 0, v[8:9]
	s_cbranch_scc1 .LBB97_1536
; %bb.1530:
	s_and_b32 s14, 0xffff, s17
	s_cmp_gt_i32 s14, 25
	s_mov_b64 s[6:7], 0
	s_cbranch_scc0 .LBB97_1537
; %bb.1531:
	s_cmp_gt_i32 s14, 28
	s_cbranch_scc0 .LBB97_1538
; %bb.1532:
	s_cmp_gt_i32 s14, 43
	;; [unrolled: 3-line block ×3, first 2 shown]
	s_cbranch_scc0 .LBB97_1541
; %bb.1534:
	s_cmp_eq_u32 s14, 46
	s_mov_b64 s[10:11], 0
	s_cbranch_scc0 .LBB97_1542
; %bb.1535:
	global_load_dword v5, v[8:9], off
	s_mov_b64 s[0:1], 0
	s_mov_b64 s[8:9], -1
	s_waitcnt vmcnt(0)
	v_lshlrev_b32_e32 v5, 16, v5
	v_cvt_f16_f32_e32 v10, v5
	s_branch .LBB97_1543
.LBB97_1536:
	s_mov_b64 s[0:1], -1
	s_mov_b64 s[8:9], 0
                                        ; implicit-def: $vgpr10
	s_branch .LBB97_1609
.LBB97_1537:
	s_mov_b64 s[10:11], -1
	s_mov_b64 s[8:9], 0
	s_mov_b64 s[0:1], 0
                                        ; implicit-def: $vgpr10
	s_branch .LBB97_1572
.LBB97_1538:
	s_mov_b64 s[10:11], -1
	s_mov_b64 s[8:9], 0
	s_mov_b64 s[0:1], 0
                                        ; implicit-def: $vgpr10
	s_branch .LBB97_1553
.LBB97_1539:
	s_mov_b64 s[10:11], -1
	s_mov_b64 s[8:9], 0
	s_mov_b64 s[0:1], 0
                                        ; implicit-def: $vgpr10
	s_branch .LBB97_1548
.LBB97_1540:
	s_trap 2
	s_or_b64 s[2:3], s[2:3], exec
	s_cbranch_execz .LBB97_1479
	s_branch .LBB97_1480
.LBB97_1541:
	s_mov_b64 s[10:11], -1
	s_mov_b64 s[8:9], 0
	s_mov_b64 s[0:1], 0
                                        ; implicit-def: $vgpr10
	s_branch .LBB97_1543
.LBB97_1542:
	s_mov_b64 s[0:1], -1
                                        ; implicit-def: $vgpr10
	s_mov_b64 s[8:9], 0
.LBB97_1543:
	s_and_b64 vcc, exec, s[10:11]
	s_cbranch_vccz .LBB97_1547
; %bb.1544:
	s_cmp_eq_u32 s14, 44
	s_cbranch_scc0 .LBB97_1546
; %bb.1545:
	global_load_ubyte v5, v[8:9], off
	s_movk_i32 s8, 0xff
	v_mov_b32_e32 v10, 0x7e00
	s_mov_b64 s[0:1], 0
	s_waitcnt vmcnt(0)
	v_lshlrev_b32_e32 v7, 23, v5
	v_cvt_f16_f32_e32 v7, v7
	v_cmp_ne_u32_e32 vcc, s8, v5
	s_mov_b64 s[8:9], -1
	s_nop 0
	v_cndmask_b32_e32 v7, v10, v7, vcc
	v_cmp_ne_u32_e32 vcc, 0, v5
	s_nop 1
	v_cndmask_b32_e32 v10, 0, v7, vcc
	s_branch .LBB97_1547
.LBB97_1546:
	s_mov_b64 s[0:1], -1
                                        ; implicit-def: $vgpr10
.LBB97_1547:
	s_mov_b64 s[10:11], 0
.LBB97_1548:
	s_and_b64 vcc, exec, s[10:11]
	s_cbranch_vccz .LBB97_1552
; %bb.1549:
	s_cmp_eq_u32 s14, 29
	s_cbranch_scc0 .LBB97_1551
; %bb.1550:
	global_load_dwordx2 v[10:11], v[8:9], off
	s_mov_b64 s[0:1], 0
	s_mov_b64 s[8:9], -1
	s_mov_b64 s[10:11], 0
	s_waitcnt vmcnt(0)
	v_ffbh_u32_e32 v5, v11
	v_min_u32_e32 v5, 32, v5
	v_lshlrev_b64 v[10:11], v5, v[10:11]
	v_min_u32_e32 v7, 1, v10
	v_or_b32_e32 v7, v11, v7
	v_cvt_f32_u32_e32 v7, v7
	v_sub_u32_e32 v5, 32, v5
	v_ldexp_f32 v5, v7, v5
	v_cvt_f16_f32_e32 v10, v5
	s_branch .LBB97_1553
.LBB97_1551:
	s_mov_b64 s[0:1], -1
                                        ; implicit-def: $vgpr10
.LBB97_1552:
	s_mov_b64 s[10:11], 0
.LBB97_1553:
	s_and_b64 vcc, exec, s[10:11]
	s_cbranch_vccz .LBB97_1571
; %bb.1554:
	s_cmp_lt_i32 s14, 27
	s_cbranch_scc1 .LBB97_1557
; %bb.1555:
	s_cmp_gt_i32 s14, 27
	s_cbranch_scc0 .LBB97_1558
; %bb.1556:
	global_load_dword v5, v[8:9], off
	s_mov_b64 s[8:9], 0
	s_waitcnt vmcnt(0)
	v_cvt_f32_u32_e32 v5, v5
	v_cvt_f16_f32_e32 v10, v5
	s_branch .LBB97_1559
.LBB97_1557:
	s_mov_b64 s[8:9], -1
                                        ; implicit-def: $vgpr10
	s_branch .LBB97_1562
.LBB97_1558:
	s_mov_b64 s[8:9], -1
                                        ; implicit-def: $vgpr10
.LBB97_1559:
	s_andn2_b64 vcc, exec, s[8:9]
	s_cbranch_vccnz .LBB97_1561
; %bb.1560:
	global_load_ushort v5, v[8:9], off
	s_waitcnt vmcnt(0)
	v_cvt_f16_u16_e32 v10, v5
.LBB97_1561:
	s_mov_b64 s[8:9], 0
.LBB97_1562:
	s_andn2_b64 vcc, exec, s[8:9]
	s_cbranch_vccnz .LBB97_1570
; %bb.1563:
	global_load_ubyte v5, v[8:9], off
	s_movk_i32 s8, 0x7f
	s_waitcnt vmcnt(0)
	v_cmp_lt_i16_e32 vcc, s8, v5
	s_mov_b64 s[8:9], 0
	s_and_saveexec_b64 s[10:11], vcc
	s_xor_b64 s[10:11], exec, s[10:11]
	s_cbranch_execz .LBB97_1584
; %bb.1564:
	s_movk_i32 s8, 0x80
	v_cmp_eq_u16_e32 vcc, s8, v5
	s_mov_b64 s[8:9], -1
	s_and_saveexec_b64 s[12:13], vcc
; %bb.1565:
	s_xor_b64 s[8:9], exec, -1
; %bb.1566:
	s_or_b64 exec, exec, s[12:13]
	s_and_b64 s[8:9], s[8:9], exec
	s_or_saveexec_b64 s[10:11], s[10:11]
	v_mov_b32_e32 v10, 0x7e00
	s_xor_b64 exec, exec, s[10:11]
	s_cbranch_execnz .LBB97_1585
.LBB97_1567:
	s_or_b64 exec, exec, s[10:11]
	s_and_saveexec_b64 s[10:11], s[8:9]
	s_cbranch_execz .LBB97_1569
.LBB97_1568:
	v_lshlrev_b32_e32 v7, 24, v5
	v_and_b32_e32 v5, 0xffff, v5
	v_and_b32_e32 v10, 7, v5
	v_ffbh_u32_e32 v13, v10
	v_min_u32_e32 v13, 32, v13
	v_subrev_u32_e32 v14, 28, v13
	v_bfe_u32 v11, v5, 3, 4
	v_lshlrev_b32_e32 v5, v14, v5
	v_sub_u32_e32 v13, 29, v13
	v_and_b32_e32 v5, 7, v5
	v_cmp_eq_u32_e32 vcc, 0, v11
	v_and_b32_e32 v7, 0x80000000, v7
	s_nop 0
	v_cndmask_b32_e32 v11, v11, v13, vcc
	v_cndmask_b32_e32 v5, v10, v5, vcc
	v_mov_b32_e32 v10, 0x3b800000
	v_lshlrev_b32_e32 v5, 20, v5
	v_lshl_add_u32 v10, v11, 23, v10
	v_or3_b32 v5, v7, v10, v5
	v_cvt_f16_f32_e32 v10, v5
.LBB97_1569:
	s_or_b64 exec, exec, s[10:11]
.LBB97_1570:
	s_mov_b64 s[8:9], -1
.LBB97_1571:
	s_mov_b64 s[10:11], 0
.LBB97_1572:
	s_and_b64 vcc, exec, s[10:11]
	s_cbranch_vccz .LBB97_1605
; %bb.1573:
	s_cmp_gt_i32 s14, 22
	s_cbranch_scc0 .LBB97_1583
; %bb.1574:
	s_cmp_lt_i32 s14, 24
	s_cbranch_scc1 .LBB97_1586
; %bb.1575:
	s_cmp_gt_i32 s14, 24
	s_cbranch_scc0 .LBB97_1587
; %bb.1576:
	global_load_ubyte v5, v[8:9], off
	s_movk_i32 s6, 0x7f
	s_waitcnt vmcnt(0)
	v_cmp_lt_i16_e32 vcc, s6, v5
	s_mov_b64 s[6:7], 0
	s_and_saveexec_b64 s[8:9], vcc
	s_xor_b64 s[8:9], exec, s[8:9]
	s_cbranch_execz .LBB97_1599
; %bb.1577:
	s_movk_i32 s6, 0x80
	v_cmp_eq_u16_e32 vcc, s6, v5
	s_mov_b64 s[6:7], -1
	s_and_saveexec_b64 s[10:11], vcc
; %bb.1578:
	s_xor_b64 s[6:7], exec, -1
; %bb.1579:
	s_or_b64 exec, exec, s[10:11]
	s_and_b64 s[6:7], s[6:7], exec
	s_or_saveexec_b64 s[8:9], s[8:9]
	v_mov_b32_e32 v10, 0x7e00
	s_xor_b64 exec, exec, s[8:9]
	s_cbranch_execnz .LBB97_1600
.LBB97_1580:
	s_or_b64 exec, exec, s[8:9]
	s_and_saveexec_b64 s[8:9], s[6:7]
	s_cbranch_execz .LBB97_1582
.LBB97_1581:
	v_lshlrev_b32_e32 v7, 24, v5
	v_and_b32_e32 v5, 0xffff, v5
	v_and_b32_e32 v10, 3, v5
	v_ffbh_u32_e32 v13, v10
	v_min_u32_e32 v13, 32, v13
	v_subrev_u32_e32 v14, 29, v13
	v_bfe_u32 v11, v5, 2, 5
	v_lshlrev_b32_e32 v5, v14, v5
	v_sub_u32_e32 v13, 30, v13
	v_and_b32_e32 v5, 3, v5
	v_cmp_eq_u32_e32 vcc, 0, v11
	v_and_b32_e32 v7, 0x80000000, v7
	s_nop 0
	v_cndmask_b32_e32 v11, v11, v13, vcc
	v_cndmask_b32_e32 v5, v10, v5, vcc
	v_mov_b32_e32 v10, 0x37800000
	v_lshlrev_b32_e32 v5, 21, v5
	v_lshl_add_u32 v10, v11, 23, v10
	v_or3_b32 v5, v7, v10, v5
	v_cvt_f16_f32_e32 v10, v5
.LBB97_1582:
	s_or_b64 exec, exec, s[8:9]
	s_mov_b64 s[6:7], 0
	s_branch .LBB97_1588
.LBB97_1583:
	s_mov_b64 s[6:7], -1
                                        ; implicit-def: $vgpr10
	s_branch .LBB97_1594
.LBB97_1584:
	s_or_saveexec_b64 s[10:11], s[10:11]
	v_mov_b32_e32 v10, 0x7e00
	s_xor_b64 exec, exec, s[10:11]
	s_cbranch_execz .LBB97_1567
.LBB97_1585:
	v_cmp_ne_u16_e32 vcc, 0, v5
	s_andn2_b64 s[8:9], s[8:9], exec
	s_and_b64 s[12:13], vcc, exec
	s_or_b64 s[8:9], s[8:9], s[12:13]
	v_mov_b32_e32 v10, v5
	s_or_b64 exec, exec, s[10:11]
	s_and_saveexec_b64 s[10:11], s[8:9]
	s_cbranch_execnz .LBB97_1568
	s_branch .LBB97_1569
.LBB97_1586:
	s_mov_b64 s[6:7], -1
                                        ; implicit-def: $vgpr10
	s_branch .LBB97_1591
.LBB97_1587:
	s_mov_b64 s[6:7], -1
                                        ; implicit-def: $vgpr10
.LBB97_1588:
	s_and_b64 vcc, exec, s[6:7]
	s_cbranch_vccz .LBB97_1590
; %bb.1589:
	global_load_ubyte v5, v[8:9], off
	s_mov_b32 s6, 0x7f800000
	s_waitcnt vmcnt(0)
	v_lshlrev_b32_e32 v5, 24, v5
	v_and_b32_e32 v7, 0x7f000000, v5
	v_ffbh_u32_e32 v10, v7
	v_min_u32_e32 v10, 32, v10
	v_sub_u32_e64 v10, v10, 4 clamp
	v_lshlrev_b32_e32 v13, v10, v7
	v_lshlrev_b32_e32 v10, 23, v10
	v_lshrrev_b32_e32 v13, 4, v13
	v_add_u32_e32 v11, 0x1000000, v7
	v_sub_u32_e32 v10, v13, v10
	v_ashrrev_i32_e32 v11, 8, v11
	v_add_u32_e32 v10, 0x3c000000, v10
	v_and_or_b32 v10, v11, s6, v10
	v_cmp_ne_u32_e32 vcc, 0, v7
	s_brev_b32 s6, 1
	s_nop 0
	v_cndmask_b32_e32 v7, 0, v10, vcc
	v_and_or_b32 v5, v5, s6, v7
	v_cvt_f16_f32_e32 v10, v5
.LBB97_1590:
	s_mov_b64 s[6:7], 0
.LBB97_1591:
	s_andn2_b64 vcc, exec, s[6:7]
	s_cbranch_vccnz .LBB97_1593
; %bb.1592:
	global_load_ubyte v5, v[8:9], off
	s_movk_i32 s6, 0x7f00
	s_brev_b32 s7, 16
	s_waitcnt vmcnt(0)
	v_lshlrev_b16_e32 v7, 8, v5
	v_lshlrev_b32_e32 v5, 25, v5
	v_lshrrev_b32_e32 v10, 4, v5
	v_and_or_b32 v11, v7, s6, 0.5
	v_or_b32_e32 v10, 0x70000000, v10
	v_add_f32_e32 v11, -0.5, v11
	v_mul_f32_e32 v10, 0x7800000, v10
	v_cmp_gt_u32_e32 vcc, s7, v5
	v_bfe_i32 v7, v7, 0, 16
	s_brev_b32 s6, 1
	v_cndmask_b32_e32 v5, v10, v11, vcc
	v_and_or_b32 v5, v7, s6, v5
	v_cvt_f16_f32_e32 v10, v5
.LBB97_1593:
	s_mov_b64 s[6:7], 0
	s_mov_b64 s[8:9], -1
.LBB97_1594:
	s_andn2_b64 vcc, exec, s[6:7]
	s_mov_b64 s[6:7], 0
	s_cbranch_vccnz .LBB97_1605
; %bb.1595:
	s_cmp_gt_i32 s14, 14
	s_cbranch_scc0 .LBB97_1598
; %bb.1596:
	s_cmp_eq_u32 s14, 15
	s_cbranch_scc0 .LBB97_1601
; %bb.1597:
	global_load_ushort v5, v[8:9], off
	s_mov_b64 s[0:1], 0
	s_mov_b64 s[8:9], -1
	s_waitcnt vmcnt(0)
	v_lshlrev_b32_e32 v5, 16, v5
	v_cvt_f16_f32_e32 v10, v5
	s_branch .LBB97_1602
.LBB97_1598:
	s_mov_b64 s[10:11], -1
                                        ; implicit-def: $vgpr10
	s_branch .LBB97_1603
.LBB97_1599:
	s_or_saveexec_b64 s[8:9], s[8:9]
	v_mov_b32_e32 v10, 0x7e00
	s_xor_b64 exec, exec, s[8:9]
	s_cbranch_execz .LBB97_1580
.LBB97_1600:
	v_cmp_ne_u16_e32 vcc, 0, v5
	s_andn2_b64 s[6:7], s[6:7], exec
	s_and_b64 s[10:11], vcc, exec
	s_or_b64 s[6:7], s[6:7], s[10:11]
	v_mov_b32_e32 v10, v5
	s_or_b64 exec, exec, s[8:9]
	s_and_saveexec_b64 s[8:9], s[6:7]
	s_cbranch_execnz .LBB97_1581
	s_branch .LBB97_1582
.LBB97_1601:
	s_mov_b64 s[0:1], -1
                                        ; implicit-def: $vgpr10
.LBB97_1602:
	s_mov_b64 s[10:11], 0
.LBB97_1603:
	s_and_b64 vcc, exec, s[10:11]
	s_cbranch_vccz .LBB97_1605
; %bb.1604:
	s_cmp_lg_u32 s14, 11
	s_mov_b64 s[6:7], -1
	s_cselect_b64 s[0:1], -1, 0
.LBB97_1605:
	s_and_b64 vcc, exec, s[0:1]
	s_cbranch_vccnz .LBB97_2138
; %bb.1606:
	s_andn2_b64 vcc, exec, s[6:7]
	s_cbranch_vccnz .LBB97_1608
.LBB97_1607:
	global_load_ubyte v5, v[8:9], off
	v_mov_b32_e32 v7, 0x3c00
	s_mov_b64 s[8:9], -1
	s_waitcnt vmcnt(0)
	v_cmp_ne_u16_e32 vcc, 0, v5
	s_nop 1
	v_cndmask_b32_e32 v10, 0, v7, vcc
.LBB97_1608:
	s_mov_b64 s[0:1], 0
.LBB97_1609:
	s_and_b64 vcc, exec, s[0:1]
	s_cbranch_vccz .LBB97_1658
; %bb.1610:
	s_and_b32 s6, 0xffff, s17
	s_cmp_lt_i32 s6, 5
	s_cbranch_scc1 .LBB97_1615
; %bb.1611:
	s_cmp_lt_i32 s6, 8
	s_cbranch_scc1 .LBB97_1616
; %bb.1612:
	;; [unrolled: 3-line block ×3, first 2 shown]
	s_cmp_gt_i32 s6, 9
	s_cbranch_scc0 .LBB97_1618
; %bb.1614:
	global_load_dwordx2 v[10:11], v[8:9], off
	s_movk_i32 s0, 0x1ff
	s_movk_i32 s1, 0xffe
	v_mov_b32_e32 v5, 0x7c00
	v_mov_b32_e32 v7, 0x7e00
	s_movk_i32 s7, 0x40f
	s_mov_b32 s8, 0x8000
	s_waitcnt vmcnt(0)
	v_and_or_b32 v10, v11, s0, v10
	v_cmp_ne_u32_e32 vcc, 0, v10
	v_lshrrev_b32_e32 v13, 8, v11
	v_bfe_u32 v14, v11, 20, 11
	v_cndmask_b32_e64 v10, 0, 1, vcc
	v_sub_u32_e32 v15, 0x3f1, v14
	v_and_or_b32 v10, v13, s1, v10
	v_add_u32_e32 v14, 0xfffffc10, v14
	v_med3_i32 v13, v15, 0, 13
	v_or_b32_e32 v15, 0x1000, v10
	v_lshl_or_b32 v16, v14, 12, v10
	v_cmp_ne_u32_e32 vcc, 0, v10
	v_lshrrev_b32_e32 v10, v13, v15
	v_lshlrev_b32_e32 v13, v13, v10
	v_cndmask_b32_e32 v7, v5, v7, vcc
	v_cmp_ne_u32_e32 vcc, v13, v15
	v_lshrrev_b32_e32 v11, 16, v11
	s_mov_b64 s[0:1], 0
	v_cndmask_b32_e64 v13, 0, 1, vcc
	v_or_b32_e32 v10, v10, v13
	v_cmp_gt_i32_e32 vcc, 1, v14
	s_nop 1
	v_cndmask_b32_e32 v10, v16, v10, vcc
	v_and_b32_e32 v13, 7, v10
	v_cmp_lt_i32_e32 vcc, 5, v13
	v_lshrrev_b32_e32 v10, 2, v10
	s_nop 0
	v_cndmask_b32_e64 v15, 0, 1, vcc
	v_cmp_eq_u32_e32 vcc, 3, v13
	s_nop 1
	v_cndmask_b32_e64 v13, 0, 1, vcc
	v_or_b32_e32 v13, v13, v15
	v_add_u32_e32 v10, v10, v13
	v_cmp_gt_i32_e32 vcc, 31, v14
	s_nop 1
	v_cndmask_b32_e32 v5, v5, v10, vcc
	v_cmp_eq_u32_e32 vcc, s7, v14
	s_nop 1
	v_cndmask_b32_e32 v5, v5, v7, vcc
	v_and_or_b32 v10, v11, s8, v5
	s_branch .LBB97_1619
.LBB97_1615:
	s_mov_b64 s[0:1], -1
                                        ; implicit-def: $vgpr10
	s_branch .LBB97_1637
.LBB97_1616:
	s_mov_b64 s[0:1], -1
                                        ; implicit-def: $vgpr10
	s_branch .LBB97_1625
.LBB97_1617:
	s_mov_b64 s[0:1], -1
                                        ; implicit-def: $vgpr10
	s_branch .LBB97_1622
.LBB97_1618:
	s_mov_b64 s[0:1], -1
                                        ; implicit-def: $vgpr10
.LBB97_1619:
	s_andn2_b64 vcc, exec, s[0:1]
	s_cbranch_vccnz .LBB97_1621
; %bb.1620:
	global_load_dword v5, v[8:9], off
	s_waitcnt vmcnt(0)
	v_cvt_f16_f32_e32 v10, v5
.LBB97_1621:
	s_mov_b64 s[0:1], 0
.LBB97_1622:
	s_andn2_b64 vcc, exec, s[0:1]
	s_cbranch_vccnz .LBB97_1624
; %bb.1623:
	global_load_dword v10, v[8:9], off
.LBB97_1624:
	s_mov_b64 s[0:1], 0
.LBB97_1625:
	s_andn2_b64 vcc, exec, s[0:1]
	s_cbranch_vccnz .LBB97_1636
; %bb.1626:
	s_cmp_lt_i32 s6, 6
	s_cbranch_scc1 .LBB97_1629
; %bb.1627:
	s_cmp_gt_i32 s6, 6
	s_cbranch_scc0 .LBB97_1630
; %bb.1628:
	global_load_dwordx2 v[10:11], v[8:9], off
	s_movk_i32 s0, 0x1ff
	s_movk_i32 s1, 0xffe
	v_mov_b32_e32 v5, 0x7c00
	v_mov_b32_e32 v7, 0x7e00
	s_movk_i32 s7, 0x40f
	s_mov_b32 s8, 0x8000
	s_waitcnt vmcnt(0)
	v_and_or_b32 v10, v11, s0, v10
	v_cmp_ne_u32_e32 vcc, 0, v10
	v_lshrrev_b32_e32 v13, 8, v11
	v_bfe_u32 v14, v11, 20, 11
	v_cndmask_b32_e64 v10, 0, 1, vcc
	v_sub_u32_e32 v15, 0x3f1, v14
	v_and_or_b32 v10, v13, s1, v10
	v_add_u32_e32 v14, 0xfffffc10, v14
	v_med3_i32 v13, v15, 0, 13
	v_or_b32_e32 v15, 0x1000, v10
	v_lshl_or_b32 v16, v14, 12, v10
	v_cmp_ne_u32_e32 vcc, 0, v10
	v_lshrrev_b32_e32 v10, v13, v15
	v_lshlrev_b32_e32 v13, v13, v10
	v_cndmask_b32_e32 v7, v5, v7, vcc
	v_cmp_ne_u32_e32 vcc, v13, v15
	v_lshrrev_b32_e32 v11, 16, v11
	s_mov_b64 s[0:1], 0
	v_cndmask_b32_e64 v13, 0, 1, vcc
	v_or_b32_e32 v10, v10, v13
	v_cmp_gt_i32_e32 vcc, 1, v14
	s_nop 1
	v_cndmask_b32_e32 v10, v16, v10, vcc
	v_and_b32_e32 v13, 7, v10
	v_cmp_lt_i32_e32 vcc, 5, v13
	v_lshrrev_b32_e32 v10, 2, v10
	s_nop 0
	v_cndmask_b32_e64 v15, 0, 1, vcc
	v_cmp_eq_u32_e32 vcc, 3, v13
	s_nop 1
	v_cndmask_b32_e64 v13, 0, 1, vcc
	v_or_b32_e32 v13, v13, v15
	v_add_u32_e32 v10, v10, v13
	v_cmp_gt_i32_e32 vcc, 31, v14
	s_nop 1
	v_cndmask_b32_e32 v5, v5, v10, vcc
	v_cmp_eq_u32_e32 vcc, s7, v14
	s_nop 1
	v_cndmask_b32_e32 v5, v5, v7, vcc
	v_and_or_b32 v10, v11, s8, v5
	s_branch .LBB97_1631
.LBB97_1629:
	s_mov_b64 s[0:1], -1
                                        ; implicit-def: $vgpr10
	s_branch .LBB97_1634
.LBB97_1630:
	s_mov_b64 s[0:1], -1
                                        ; implicit-def: $vgpr10
.LBB97_1631:
	s_andn2_b64 vcc, exec, s[0:1]
	s_cbranch_vccnz .LBB97_1633
; %bb.1632:
	global_load_dword v5, v[8:9], off
	s_waitcnt vmcnt(0)
	v_cvt_f16_f32_e32 v10, v5
.LBB97_1633:
	s_mov_b64 s[0:1], 0
.LBB97_1634:
	s_andn2_b64 vcc, exec, s[0:1]
	s_cbranch_vccnz .LBB97_1636
; %bb.1635:
	global_load_ushort v10, v[8:9], off
.LBB97_1636:
	s_mov_b64 s[0:1], 0
.LBB97_1637:
	s_andn2_b64 vcc, exec, s[0:1]
	s_cbranch_vccnz .LBB97_1657
; %bb.1638:
	s_cmp_lt_i32 s6, 2
	s_cbranch_scc1 .LBB97_1642
; %bb.1639:
	s_cmp_lt_i32 s6, 3
	s_cbranch_scc1 .LBB97_1643
; %bb.1640:
	s_cmp_gt_i32 s6, 3
	s_cbranch_scc0 .LBB97_1644
; %bb.1641:
	global_load_dwordx2 v[10:11], v[8:9], off
	s_mov_b64 s[0:1], 0
	s_waitcnt vmcnt(0)
	v_xor_b32_e32 v7, v10, v11
	v_ffbh_i32_e32 v5, v11
	v_ashrrev_i32_e32 v7, 31, v7
	v_add_u32_e32 v5, -1, v5
	v_add_u32_e32 v7, 32, v7
	v_min_u32_e32 v5, v5, v7
	v_lshlrev_b64 v[10:11], v5, v[10:11]
	v_min_u32_e32 v7, 1, v10
	v_or_b32_e32 v7, v11, v7
	v_cvt_f32_i32_e32 v7, v7
	v_sub_u32_e32 v5, 32, v5
	v_ldexp_f32 v5, v7, v5
	v_cvt_f16_f32_e32 v10, v5
	s_branch .LBB97_1645
.LBB97_1642:
	s_mov_b64 s[0:1], -1
                                        ; implicit-def: $vgpr10
	s_branch .LBB97_1651
.LBB97_1643:
	s_mov_b64 s[0:1], -1
                                        ; implicit-def: $vgpr10
	s_branch .LBB97_1648
.LBB97_1644:
	s_mov_b64 s[0:1], -1
                                        ; implicit-def: $vgpr10
.LBB97_1645:
	s_andn2_b64 vcc, exec, s[0:1]
	s_cbranch_vccnz .LBB97_1647
; %bb.1646:
	global_load_dword v5, v[8:9], off
	s_waitcnt vmcnt(0)
	v_cvt_f32_i32_e32 v5, v5
	v_cvt_f16_f32_e32 v10, v5
.LBB97_1647:
	s_mov_b64 s[0:1], 0
.LBB97_1648:
	s_andn2_b64 vcc, exec, s[0:1]
	s_cbranch_vccnz .LBB97_1650
; %bb.1649:
	global_load_ushort v5, v[8:9], off
	s_waitcnt vmcnt(0)
	v_cvt_f16_i16_e32 v10, v5
.LBB97_1650:
	s_mov_b64 s[0:1], 0
.LBB97_1651:
	s_andn2_b64 vcc, exec, s[0:1]
	s_cbranch_vccnz .LBB97_1657
; %bb.1652:
	s_cmp_gt_i32 s6, 0
	s_cbranch_scc0 .LBB97_1654
; %bb.1653:
	global_load_sbyte v5, v[8:9], off
	s_mov_b64 s[0:1], 0
	s_waitcnt vmcnt(0)
	v_cvt_f16_i16_e32 v10, v5
	s_branch .LBB97_1655
.LBB97_1654:
	s_mov_b64 s[0:1], -1
                                        ; implicit-def: $vgpr10
.LBB97_1655:
	s_andn2_b64 vcc, exec, s[0:1]
	s_cbranch_vccnz .LBB97_1657
; %bb.1656:
	global_load_ubyte v5, v[8:9], off
	s_waitcnt vmcnt(0)
	v_cvt_f16_u16_e32 v10, v5
.LBB97_1657:
	s_mov_b64 s[8:9], -1
.LBB97_1658:
	s_andn2_b64 vcc, exec, s[8:9]
	s_cbranch_vccnz .LBB97_2092
; %bb.1659:
	s_waitcnt vmcnt(0)
	v_cvt_f32_f16_e32 v5, v1
	s_mov_b32 s0, 0x3fb8aa3b
	s_mov_b32 s1, 0x32a5705f
	s_bfe_u32 s14, s16, 0x80008
	v_mul_f32_e32 v7, 0x3fb8aa3b, v5
	v_rndne_f32_e32 v8, v7
	v_fma_mix_f32 v9, v1, s0, -v7 op_sel_hi:[1,0,0]
	v_sub_f32_e32 v7, v7, v8
	v_fma_mix_f32 v1, v1, s1, v9 op_sel_hi:[1,0,0]
	s_mov_b32 s0, 0xc2ce8ed0
	v_add_f32_e32 v1, v7, v1
	v_cvt_i32_f32_e32 v7, v8
	v_exp_f32_e32 v1, v1
	v_cmp_ngt_f32_e32 vcc, s0, v5
	s_mov_b32 s0, 0x42b17218
	s_cmp_lt_i32 s14, 11
	v_ldexp_f32 v1, v1, v7
	v_cndmask_b32_e32 v1, 0, v1, vcc
	v_mov_b32_e32 v7, 0x7f800000
	v_cmp_nlt_f32_e32 vcc, s0, v5
	s_nop 1
	v_cndmask_b32_e32 v1, v7, v1, vcc
	v_cvt_f16_f32_e32 v1, v1
	v_mov_b32_e32 v7, 0
	v_lshl_add_u64 v[6:7], s[4:5], 0, v[6:7]
	s_cbranch_scc1 .LBB97_1737
; %bb.1660:
	s_and_b32 s15, 0xffff, s14
	s_mov_b64 s[10:11], -1
	s_mov_b64 s[6:7], 0
	s_cmp_gt_i32 s15, 25
	s_mov_b64 s[8:9], 0
	s_mov_b64 s[0:1], 0
	s_cbranch_scc0 .LBB97_1693
; %bb.1661:
	s_cmp_gt_i32 s15, 28
	s_cbranch_scc0 .LBB97_1676
; %bb.1662:
	s_cmp_gt_i32 s15, 43
	;; [unrolled: 3-line block ×3, first 2 shown]
	s_cbranch_scc0 .LBB97_1666
; %bb.1664:
	s_mov_b64 s[0:1], -1
	s_mov_b64 s[10:11], 0
	s_cmp_eq_u32 s15, 46
	s_cbranch_scc0 .LBB97_1666
; %bb.1665:
	v_cvt_f32_f16_e32 v5, v1
	s_movk_i32 s0, 0x7fff
	v_cmp_o_f16_e32 vcc, v1, v1
	v_mov_b32_e32 v8, 0x7fc0
	v_bfe_u32 v9, v5, 16, 1
	v_add3_u32 v5, v5, v9, s0
	v_cndmask_b32_sdwa v5, v8, v5, vcc dst_sel:DWORD dst_unused:UNUSED_PAD src0_sel:DWORD src1_sel:WORD_1
	global_store_dword v[6:7], v5, off
	s_mov_b64 s[0:1], 0
	s_mov_b64 s[8:9], -1
.LBB97_1666:
	s_and_b64 vcc, exec, s[10:11]
	s_cbranch_vccz .LBB97_1671
; %bb.1667:
	s_cmp_eq_u32 s15, 44
	s_mov_b64 s[0:1], -1
	s_cbranch_scc0 .LBB97_1671
; %bb.1668:
	v_cvt_f32_f16_e32 v5, v1
	s_movk_i32 s0, 0xff
	v_mov_b32_e32 v9, 0xff
	v_bfe_u32 v8, v5, 23, 8
	v_cmp_ne_u32_e32 vcc, s0, v8
	s_and_saveexec_b64 s[8:9], vcc
; %bb.1669:
	s_mov_b32 s0, 0x3fffff
	v_lshrrev_b32_e32 v9, 23, v5
	v_and_b32_e32 v11, 0x400000, v5
	v_and_or_b32 v5, v5, s0, v8
	v_cmp_ne_u32_e32 vcc, 0, v11
	v_cmp_ne_u32_e64 s[0:1], 0, v5
	s_and_b64 s[0:1], vcc, s[0:1]
	s_nop 0
	v_cndmask_b32_e64 v5, 0, 1, s[0:1]
	v_add_u32_e32 v9, v9, v5
; %bb.1670:
	s_or_b64 exec, exec, s[8:9]
	s_mov_b64 s[0:1], 0
	s_mov_b64 s[8:9], -1
	global_store_byte v[6:7], v9, off
.LBB97_1671:
	s_mov_b64 s[10:11], 0
.LBB97_1672:
	s_and_b64 vcc, exec, s[10:11]
	s_cbranch_vccz .LBB97_1675
; %bb.1673:
	s_cmp_eq_u32 s15, 29
	s_mov_b64 s[0:1], -1
	s_cbranch_scc0 .LBB97_1675
; %bb.1674:
	v_cvt_f32_f16_e32 v5, v1
	v_mov_b32_e32 v9, 0
	s_mov_b64 s[0:1], 0
	s_mov_b64 s[8:9], -1
	v_cvt_u32_f32_e32 v8, v5
	global_store_dwordx2 v[6:7], v[8:9], off
.LBB97_1675:
	s_mov_b64 s[10:11], 0
.LBB97_1676:
	s_and_b64 vcc, exec, s[10:11]
	s_cbranch_vccz .LBB97_1692
; %bb.1677:
	s_cmp_lt_i32 s15, 27
	s_mov_b64 s[8:9], -1
	s_cbranch_scc1 .LBB97_1683
; %bb.1678:
	s_cmp_gt_i32 s15, 27
	s_cbranch_scc0 .LBB97_1680
; %bb.1679:
	v_cvt_f32_f16_e32 v5, v1
	s_mov_b64 s[8:9], 0
	v_cvt_u32_f32_e32 v5, v5
	global_store_dword v[6:7], v5, off
.LBB97_1680:
	s_andn2_b64 vcc, exec, s[8:9]
	s_cbranch_vccnz .LBB97_1682
; %bb.1681:
	v_cvt_u16_f16_e32 v5, v1
	global_store_short v[6:7], v5, off
.LBB97_1682:
	s_mov_b64 s[8:9], 0
.LBB97_1683:
	s_andn2_b64 vcc, exec, s[8:9]
	s_cbranch_vccnz .LBB97_1691
; %bb.1684:
	v_cvt_f32_f16_e32 v5, v1
	s_mov_b32 s8, 0x43800000
	v_mov_b32_e32 v9, 0x80
	v_and_b32_e32 v8, 0x7fffffff, v5
	v_cmp_gt_u32_e32 vcc, s8, v8
	s_and_saveexec_b64 s[8:9], vcc
	s_cbranch_execz .LBB97_1690
; %bb.1685:
	s_mov_b32 s10, 0x3bffffff
	v_cmp_lt_u32_e32 vcc, s10, v8
	s_mov_b64 s[10:11], 0
                                        ; implicit-def: $vgpr8
	s_and_saveexec_b64 s[12:13], vcc
	s_xor_b64 s[12:13], exec, s[12:13]
	s_cbranch_execz .LBB97_2139
; %bb.1686:
	v_bfe_u32 v8, v5, 20, 1
	s_mov_b32 s17, 0x487ffff
	v_add3_u32 v8, v5, v8, s17
	s_mov_b64 s[10:11], exec
	v_lshrrev_b32_e32 v8, 20, v8
	s_andn2_saveexec_b64 s[12:13], s[12:13]
	s_cbranch_execnz .LBB97_2140
.LBB97_1687:
	s_or_b64 exec, exec, s[12:13]
	v_mov_b32_e32 v9, 0
	s_and_saveexec_b64 s[12:13], s[10:11]
.LBB97_1688:
	v_lshrrev_b32_e32 v5, 24, v5
	s_movk_i32 s10, 0x80
	v_and_or_b32 v9, v5, s10, v8
.LBB97_1689:
	s_or_b64 exec, exec, s[12:13]
.LBB97_1690:
	s_or_b64 exec, exec, s[8:9]
	global_store_byte v[6:7], v9, off
.LBB97_1691:
	s_mov_b64 s[8:9], -1
.LBB97_1692:
	s_mov_b64 s[10:11], 0
.LBB97_1693:
	s_and_b64 vcc, exec, s[10:11]
	s_cbranch_vccz .LBB97_1733
; %bb.1694:
	s_cmp_gt_i32 s15, 22
	s_mov_b64 s[6:7], -1
	s_cbranch_scc0 .LBB97_1726
; %bb.1695:
	s_cmp_lt_i32 s15, 24
	s_cbranch_scc1 .LBB97_1715
; %bb.1696:
	s_cmp_gt_i32 s15, 24
	s_cbranch_scc0 .LBB97_1704
; %bb.1697:
	v_cvt_f32_f16_e32 v5, v1
	s_mov_b32 s6, 0x47800000
	v_mov_b32_e32 v9, 0x80
	v_and_b32_e32 v8, 0x7fffffff, v5
	v_cmp_gt_u32_e32 vcc, s6, v8
	s_and_saveexec_b64 s[6:7], vcc
	s_cbranch_execz .LBB97_1703
; %bb.1698:
	s_mov_b32 s8, 0x37ffffff
	v_cmp_lt_u32_e32 vcc, s8, v8
	s_mov_b64 s[8:9], 0
                                        ; implicit-def: $vgpr8
	s_and_saveexec_b64 s[10:11], vcc
	s_xor_b64 s[10:11], exec, s[10:11]
	s_cbranch_execz .LBB97_2142
; %bb.1699:
	v_bfe_u32 v8, v5, 21, 1
	s_mov_b32 s12, 0x88fffff
	v_add3_u32 v8, v5, v8, s12
	s_mov_b64 s[8:9], exec
	v_lshrrev_b32_e32 v8, 21, v8
	s_andn2_saveexec_b64 s[10:11], s[10:11]
	s_cbranch_execnz .LBB97_2143
.LBB97_1700:
	s_or_b64 exec, exec, s[10:11]
	v_mov_b32_e32 v9, 0
	s_and_saveexec_b64 s[10:11], s[8:9]
.LBB97_1701:
	v_lshrrev_b32_e32 v5, 24, v5
	s_movk_i32 s8, 0x80
	v_and_or_b32 v9, v5, s8, v8
.LBB97_1702:
	s_or_b64 exec, exec, s[10:11]
.LBB97_1703:
	s_or_b64 exec, exec, s[6:7]
	s_mov_b64 s[6:7], 0
	global_store_byte v[6:7], v9, off
.LBB97_1704:
	s_and_b64 vcc, exec, s[6:7]
	s_cbranch_vccz .LBB97_1714
; %bb.1705:
	v_cvt_f32_f16_e32 v5, v1
	s_mov_b32 s6, 0x43f00000
                                        ; implicit-def: $vgpr8
	v_and_b32_e32 v9, 0x7fffffff, v5
	v_cmp_gt_u32_e32 vcc, s6, v9
	s_and_saveexec_b64 s[6:7], vcc
	s_xor_b64 s[6:7], exec, s[6:7]
	s_cbranch_execz .LBB97_1711
; %bb.1706:
	s_mov_b32 s8, 0x3c7fffff
	v_cmp_lt_u32_e32 vcc, s8, v9
                                        ; implicit-def: $vgpr8
	s_and_saveexec_b64 s[8:9], vcc
	s_xor_b64 s[8:9], exec, s[8:9]
; %bb.1707:
	v_bfe_u32 v8, v5, 20, 1
	s_mov_b32 s10, 0x407ffff
	v_add3_u32 v8, v5, v8, s10
	v_lshrrev_b32_e32 v9, 20, v8
	v_and_b32_e32 v8, 0xff00000, v8
	s_mov_b32 s10, 0x7f00000
	v_mov_b32_e32 v11, 0x7e
	v_cmp_ne_u32_e32 vcc, s10, v8
	s_nop 1
	v_cndmask_b32_e32 v8, v11, v9, vcc
; %bb.1708:
	s_andn2_saveexec_b64 s[8:9], s[8:9]
; %bb.1709:
	s_mov_b32 s10, 0x46800000
	v_add_f32_e64 v8, |v5|, s10
; %bb.1710:
	s_or_b64 exec, exec, s[8:9]
                                        ; implicit-def: $vgpr9
.LBB97_1711:
	s_andn2_saveexec_b64 s[6:7], s[6:7]
; %bb.1712:
	s_mov_b32 s8, 0x7f800000
	v_mov_b32_e32 v8, 0x7e
	v_mov_b32_e32 v11, 0x7f
	v_cmp_lt_u32_e32 vcc, s8, v9
	s_nop 1
	v_cndmask_b32_e32 v8, v8, v11, vcc
; %bb.1713:
	s_or_b64 exec, exec, s[6:7]
	v_lshrrev_b32_e32 v5, 24, v5
	s_movk_i32 s6, 0x80
	v_and_or_b32 v5, v5, s6, v8
	global_store_byte v[6:7], v5, off
.LBB97_1714:
	s_mov_b64 s[6:7], 0
.LBB97_1715:
	s_andn2_b64 vcc, exec, s[6:7]
	s_cbranch_vccnz .LBB97_1725
; %bb.1716:
	v_cvt_f32_f16_e32 v5, v1
	s_mov_b32 s6, 0x47800000
                                        ; implicit-def: $vgpr8
	v_and_b32_e32 v9, 0x7fffffff, v5
	v_cmp_gt_u32_e32 vcc, s6, v9
	s_and_saveexec_b64 s[6:7], vcc
	s_xor_b64 s[6:7], exec, s[6:7]
	s_cbranch_execz .LBB97_1722
; %bb.1717:
	s_mov_b32 s8, 0x387fffff
	v_cmp_lt_u32_e32 vcc, s8, v9
                                        ; implicit-def: $vgpr8
	s_and_saveexec_b64 s[8:9], vcc
	s_xor_b64 s[8:9], exec, s[8:9]
; %bb.1718:
	v_bfe_u32 v8, v5, 21, 1
	s_mov_b32 s10, 0x80fffff
	v_add3_u32 v8, v5, v8, s10
	v_lshrrev_b32_e32 v8, 21, v8
; %bb.1719:
	s_andn2_saveexec_b64 s[8:9], s[8:9]
; %bb.1720:
	s_mov_b32 s10, 0x43000000
	v_add_f32_e64 v8, |v5|, s10
; %bb.1721:
	s_or_b64 exec, exec, s[8:9]
                                        ; implicit-def: $vgpr9
.LBB97_1722:
	s_andn2_saveexec_b64 s[6:7], s[6:7]
; %bb.1723:
	s_mov_b32 s8, 0x7f800000
	v_mov_b32_e32 v8, 0x7c
	v_mov_b32_e32 v11, 0x7f
	v_cmp_lt_u32_e32 vcc, s8, v9
	s_nop 1
	v_cndmask_b32_e32 v8, v8, v11, vcc
; %bb.1724:
	s_or_b64 exec, exec, s[6:7]
	v_lshrrev_b32_e32 v5, 24, v5
	s_movk_i32 s6, 0x80
	v_and_or_b32 v5, v5, s6, v8
	global_store_byte v[6:7], v5, off
.LBB97_1725:
	s_mov_b64 s[6:7], 0
	s_mov_b64 s[8:9], -1
.LBB97_1726:
	s_andn2_b64 vcc, exec, s[6:7]
	s_mov_b64 s[6:7], 0
	s_cbranch_vccnz .LBB97_1733
; %bb.1727:
	s_cmp_gt_i32 s15, 14
	s_mov_b64 s[10:11], -1
	s_cbranch_scc0 .LBB97_1731
; %bb.1728:
	s_cmp_eq_u32 s15, 15
	s_mov_b64 s[0:1], -1
	s_cbranch_scc0 .LBB97_1730
; %bb.1729:
	v_cvt_f32_f16_e32 v5, v1
	s_movk_i32 s0, 0x7fff
	v_cmp_o_f16_e32 vcc, v1, v1
	v_mov_b32_e32 v8, 0x7fc0
	v_bfe_u32 v9, v5, 16, 1
	v_add3_u32 v5, v5, v9, s0
	v_cndmask_b32_sdwa v5, v8, v5, vcc dst_sel:DWORD dst_unused:UNUSED_PAD src0_sel:DWORD src1_sel:WORD_1
	global_store_short v[6:7], v5, off
	s_mov_b64 s[0:1], 0
	s_mov_b64 s[8:9], -1
.LBB97_1730:
	s_mov_b64 s[10:11], 0
.LBB97_1731:
	s_and_b64 vcc, exec, s[10:11]
	s_cbranch_vccz .LBB97_1733
; %bb.1732:
	s_cmp_lg_u32 s15, 11
	s_mov_b64 s[6:7], -1
	s_cselect_b64 s[0:1], -1, 0
.LBB97_1733:
	s_and_b64 vcc, exec, s[0:1]
	s_cbranch_vccnz .LBB97_2141
; %bb.1734:
	s_andn2_b64 vcc, exec, s[6:7]
	s_cbranch_vccnz .LBB97_1736
.LBB97_1735:
	v_cmp_neq_f16_e32 vcc, 0, v1
	s_mov_b64 s[8:9], -1
	s_nop 0
	v_cndmask_b32_e64 v5, 0, 1, vcc
	global_store_byte v[6:7], v5, off
.LBB97_1736:
	s_mov_b64 s[0:1], 0
	s_branch .LBB97_1738
.LBB97_1737:
	s_mov_b64 s[0:1], -1
	s_mov_b64 s[8:9], 0
.LBB97_1738:
	s_and_b64 vcc, exec, s[0:1]
	s_cbranch_vccz .LBB97_1777
; %bb.1739:
	s_and_b32 s6, 0xffff, s14
	s_cmp_lt_i32 s6, 5
	s_mov_b64 s[0:1], -1
	s_cbranch_scc1 .LBB97_1760
; %bb.1740:
	s_cmp_lt_i32 s6, 8
	s_cbranch_scc1 .LBB97_1750
; %bb.1741:
	s_cmp_lt_i32 s6, 9
	s_cbranch_scc1 .LBB97_1747
; %bb.1742:
	s_cmp_gt_i32 s6, 9
	s_cbranch_scc0 .LBB97_1744
; %bb.1743:
	v_cvt_f32_f16_e32 v5, v1
	v_mov_b32_e32 v16, 0
	v_mov_b32_e32 v17, v16
	s_mov_b64 s[0:1], 0
	v_cvt_f64_f32_e32 v[14:15], v5
	global_store_dwordx4 v[6:7], v[14:17], off
.LBB97_1744:
	s_andn2_b64 vcc, exec, s[0:1]
	s_cbranch_vccnz .LBB97_1746
; %bb.1745:
	v_cvt_f32_f16_e32 v8, v1
	v_mov_b32_e32 v9, 0
	global_store_dwordx2 v[6:7], v[8:9], off
.LBB97_1746:
	s_mov_b64 s[0:1], 0
.LBB97_1747:
	s_andn2_b64 vcc, exec, s[0:1]
	s_cbranch_vccnz .LBB97_1749
; %bb.1748:
	global_store_dword v[6:7], v1, off
.LBB97_1749:
	s_mov_b64 s[0:1], 0
.LBB97_1750:
	s_andn2_b64 vcc, exec, s[0:1]
	s_cbranch_vccnz .LBB97_1759
; %bb.1751:
	s_cmp_lt_i32 s6, 6
	s_mov_b64 s[0:1], -1
	s_cbranch_scc1 .LBB97_1757
; %bb.1752:
	s_cmp_gt_i32 s6, 6
	s_cbranch_scc0 .LBB97_1754
; %bb.1753:
	v_cvt_f32_f16_e32 v5, v1
	s_mov_b64 s[0:1], 0
	v_cvt_f64_f32_e32 v[8:9], v5
	global_store_dwordx2 v[6:7], v[8:9], off
.LBB97_1754:
	s_andn2_b64 vcc, exec, s[0:1]
	s_cbranch_vccnz .LBB97_1756
; %bb.1755:
	v_cvt_f32_f16_e32 v5, v1
	global_store_dword v[6:7], v5, off
.LBB97_1756:
	s_mov_b64 s[0:1], 0
.LBB97_1757:
	s_andn2_b64 vcc, exec, s[0:1]
	s_cbranch_vccnz .LBB97_1759
; %bb.1758:
	global_store_short v[6:7], v1, off
.LBB97_1759:
	s_mov_b64 s[0:1], 0
.LBB97_1760:
	s_andn2_b64 vcc, exec, s[0:1]
	s_cbranch_vccnz .LBB97_1776
; %bb.1761:
	s_cmp_lt_i32 s6, 2
	s_mov_b64 s[0:1], -1
	s_cbranch_scc1 .LBB97_1771
; %bb.1762:
	s_cmp_lt_i32 s6, 3
	s_cbranch_scc1 .LBB97_1768
; %bb.1763:
	s_cmp_gt_i32 s6, 3
	s_cbranch_scc0 .LBB97_1765
; %bb.1764:
	v_cvt_f32_f16_e32 v5, v1
	s_mov_b64 s[0:1], 0
	v_cvt_i32_f32_e32 v8, v5
	v_ashrrev_i32_e32 v9, 31, v8
	global_store_dwordx2 v[6:7], v[8:9], off
.LBB97_1765:
	s_andn2_b64 vcc, exec, s[0:1]
	s_cbranch_vccnz .LBB97_1767
; %bb.1766:
	v_cvt_f32_f16_e32 v5, v1
	v_cvt_i32_f32_e32 v5, v5
	global_store_dword v[6:7], v5, off
.LBB97_1767:
	s_mov_b64 s[0:1], 0
.LBB97_1768:
	s_andn2_b64 vcc, exec, s[0:1]
	s_cbranch_vccnz .LBB97_1770
; %bb.1769:
	v_cvt_i16_f16_e32 v5, v1
	global_store_short v[6:7], v5, off
.LBB97_1770:
	s_mov_b64 s[0:1], 0
.LBB97_1771:
	s_andn2_b64 vcc, exec, s[0:1]
	s_cbranch_vccnz .LBB97_1776
; %bb.1772:
	s_cmp_gt_i32 s6, 0
	s_mov_b64 s[0:1], -1
	s_cbranch_scc0 .LBB97_1774
; %bb.1773:
	v_cvt_i16_f16_e32 v5, v1
	global_store_byte v[6:7], v5, off
	s_mov_b64 s[0:1], 0
.LBB97_1774:
	s_andn2_b64 vcc, exec, s[0:1]
	s_cbranch_vccnz .LBB97_1776
; %bb.1775:
	v_cvt_f32_f16_e32 v1, v1
	v_cvt_i32_f32_e32 v1, v1
	global_store_byte v[6:7], v1, off
.LBB97_1776:
	s_mov_b64 s[8:9], -1
.LBB97_1777:
	s_andn2_b64 vcc, exec, s[8:9]
	s_cbranch_vccnz .LBB97_2092
; %bb.1778:
	v_cvt_f32_f16_e32 v1, v3
	s_mov_b32 s0, 0x3fb8aa3b
	s_mov_b32 s1, 0x32a5705f
	v_mul_f32_e32 v5, 0x3fb8aa3b, v1
	v_rndne_f32_e32 v6, v5
	v_fma_mix_f32 v7, v3, s0, -v5 op_sel_hi:[1,0,0]
	v_sub_f32_e32 v5, v5, v6
	v_fma_mix_f32 v3, v3, s1, v7 op_sel_hi:[1,0,0]
	s_lshr_b32 s0, s16, 8
	v_add_f32_e32 v3, v5, v3
	v_exp_f32_e32 v3, v3
	v_cvt_i32_f32_e32 v5, v6
	s_and_b32 s14, s0, 0xff
	s_mov_b32 s0, 0xc2ce8ed0
	v_cmp_ngt_f32_e32 vcc, s0, v1
	v_ldexp_f32 v3, v3, v5
	s_mov_b32 s0, 0x42b17218
	v_cndmask_b32_e32 v3, 0, v3, vcc
	v_mov_b32_e32 v5, 0x7f800000
	v_cmp_nlt_f32_e32 vcc, s0, v1
	s_cmp_lt_i32 s14, 11
	s_nop 0
	v_cndmask_b32_e32 v1, v5, v3, vcc
	v_cvt_f16_f32_e32 v1, v1
	v_mov_b32_e32 v5, 0
	v_lshl_add_u64 v[4:5], s[4:5], 0, v[4:5]
	s_cbranch_scc1 .LBB97_1856
; %bb.1779:
	s_and_b32 s15, 0xffff, s14
	s_mov_b64 s[10:11], -1
	s_mov_b64 s[6:7], 0
	s_cmp_gt_i32 s15, 25
	s_mov_b64 s[8:9], 0
	s_mov_b64 s[0:1], 0
	s_cbranch_scc0 .LBB97_1812
; %bb.1780:
	s_cmp_gt_i32 s15, 28
	s_cbranch_scc0 .LBB97_1795
; %bb.1781:
	s_cmp_gt_i32 s15, 43
	;; [unrolled: 3-line block ×3, first 2 shown]
	s_cbranch_scc0 .LBB97_1785
; %bb.1783:
	s_mov_b64 s[0:1], -1
	s_mov_b64 s[10:11], 0
	s_cmp_eq_u32 s15, 46
	s_cbranch_scc0 .LBB97_1785
; %bb.1784:
	v_cvt_f32_f16_e32 v3, v1
	s_movk_i32 s0, 0x7fff
	v_cmp_o_f16_e32 vcc, v1, v1
	v_mov_b32_e32 v6, 0x7fc0
	v_bfe_u32 v7, v3, 16, 1
	v_add3_u32 v3, v3, v7, s0
	v_cndmask_b32_sdwa v3, v6, v3, vcc dst_sel:DWORD dst_unused:UNUSED_PAD src0_sel:DWORD src1_sel:WORD_1
	global_store_dword v[4:5], v3, off
	s_mov_b64 s[0:1], 0
	s_mov_b64 s[8:9], -1
.LBB97_1785:
	s_and_b64 vcc, exec, s[10:11]
	s_cbranch_vccz .LBB97_1790
; %bb.1786:
	s_cmp_eq_u32 s15, 44
	s_mov_b64 s[0:1], -1
	s_cbranch_scc0 .LBB97_1790
; %bb.1787:
	v_cvt_f32_f16_e32 v3, v1
	s_movk_i32 s0, 0xff
	v_mov_b32_e32 v7, 0xff
	v_bfe_u32 v6, v3, 23, 8
	v_cmp_ne_u32_e32 vcc, s0, v6
	s_and_saveexec_b64 s[8:9], vcc
; %bb.1788:
	s_mov_b32 s0, 0x3fffff
	v_lshrrev_b32_e32 v7, 23, v3
	v_and_b32_e32 v8, 0x400000, v3
	v_and_or_b32 v3, v3, s0, v6
	v_cmp_ne_u32_e32 vcc, 0, v8
	v_cmp_ne_u32_e64 s[0:1], 0, v3
	s_and_b64 s[0:1], vcc, s[0:1]
	s_nop 0
	v_cndmask_b32_e64 v3, 0, 1, s[0:1]
	v_add_u32_e32 v7, v7, v3
; %bb.1789:
	s_or_b64 exec, exec, s[8:9]
	s_mov_b64 s[0:1], 0
	s_mov_b64 s[8:9], -1
	global_store_byte v[4:5], v7, off
.LBB97_1790:
	s_mov_b64 s[10:11], 0
.LBB97_1791:
	s_and_b64 vcc, exec, s[10:11]
	s_cbranch_vccz .LBB97_1794
; %bb.1792:
	s_cmp_eq_u32 s15, 29
	s_mov_b64 s[0:1], -1
	s_cbranch_scc0 .LBB97_1794
; %bb.1793:
	v_cvt_f32_f16_e32 v3, v1
	v_mov_b32_e32 v7, 0
	s_mov_b64 s[0:1], 0
	s_mov_b64 s[8:9], -1
	v_cvt_u32_f32_e32 v6, v3
	global_store_dwordx2 v[4:5], v[6:7], off
.LBB97_1794:
	s_mov_b64 s[10:11], 0
.LBB97_1795:
	s_and_b64 vcc, exec, s[10:11]
	s_cbranch_vccz .LBB97_1811
; %bb.1796:
	s_cmp_lt_i32 s15, 27
	s_mov_b64 s[8:9], -1
	s_cbranch_scc1 .LBB97_1802
; %bb.1797:
	s_cmp_gt_i32 s15, 27
	s_cbranch_scc0 .LBB97_1799
; %bb.1798:
	v_cvt_f32_f16_e32 v3, v1
	s_mov_b64 s[8:9], 0
	v_cvt_u32_f32_e32 v3, v3
	global_store_dword v[4:5], v3, off
.LBB97_1799:
	s_andn2_b64 vcc, exec, s[8:9]
	s_cbranch_vccnz .LBB97_1801
; %bb.1800:
	v_cvt_u16_f16_e32 v3, v1
	global_store_short v[4:5], v3, off
.LBB97_1801:
	s_mov_b64 s[8:9], 0
.LBB97_1802:
	s_andn2_b64 vcc, exec, s[8:9]
	s_cbranch_vccnz .LBB97_1810
; %bb.1803:
	v_cvt_f32_f16_e32 v3, v1
	s_mov_b32 s8, 0x43800000
	v_mov_b32_e32 v7, 0x80
	v_and_b32_e32 v6, 0x7fffffff, v3
	v_cmp_gt_u32_e32 vcc, s8, v6
	s_and_saveexec_b64 s[8:9], vcc
	s_cbranch_execz .LBB97_1809
; %bb.1804:
	s_mov_b32 s10, 0x3bffffff
	v_cmp_lt_u32_e32 vcc, s10, v6
	s_mov_b64 s[10:11], 0
                                        ; implicit-def: $vgpr6
	s_and_saveexec_b64 s[12:13], vcc
	s_xor_b64 s[12:13], exec, s[12:13]
	s_cbranch_execz .LBB97_2144
; %bb.1805:
	v_bfe_u32 v6, v3, 20, 1
	s_mov_b32 s16, 0x487ffff
	v_add3_u32 v6, v3, v6, s16
	s_mov_b64 s[10:11], exec
	v_lshrrev_b32_e32 v6, 20, v6
	s_andn2_saveexec_b64 s[12:13], s[12:13]
	s_cbranch_execnz .LBB97_2145
.LBB97_1806:
	s_or_b64 exec, exec, s[12:13]
	v_mov_b32_e32 v7, 0
	s_and_saveexec_b64 s[12:13], s[10:11]
.LBB97_1807:
	v_lshrrev_b32_e32 v3, 24, v3
	s_movk_i32 s10, 0x80
	v_and_or_b32 v7, v3, s10, v6
.LBB97_1808:
	s_or_b64 exec, exec, s[12:13]
.LBB97_1809:
	s_or_b64 exec, exec, s[8:9]
	global_store_byte v[4:5], v7, off
.LBB97_1810:
	s_mov_b64 s[8:9], -1
.LBB97_1811:
	s_mov_b64 s[10:11], 0
.LBB97_1812:
	s_and_b64 vcc, exec, s[10:11]
	s_cbranch_vccz .LBB97_1852
; %bb.1813:
	s_cmp_gt_i32 s15, 22
	s_mov_b64 s[6:7], -1
	s_cbranch_scc0 .LBB97_1845
; %bb.1814:
	s_cmp_lt_i32 s15, 24
	s_cbranch_scc1 .LBB97_1834
; %bb.1815:
	s_cmp_gt_i32 s15, 24
	s_cbranch_scc0 .LBB97_1823
; %bb.1816:
	v_cvt_f32_f16_e32 v3, v1
	s_mov_b32 s6, 0x47800000
	v_mov_b32_e32 v7, 0x80
	v_and_b32_e32 v6, 0x7fffffff, v3
	v_cmp_gt_u32_e32 vcc, s6, v6
	s_and_saveexec_b64 s[6:7], vcc
	s_cbranch_execz .LBB97_1822
; %bb.1817:
	s_mov_b32 s8, 0x37ffffff
	v_cmp_lt_u32_e32 vcc, s8, v6
	s_mov_b64 s[8:9], 0
                                        ; implicit-def: $vgpr6
	s_and_saveexec_b64 s[10:11], vcc
	s_xor_b64 s[10:11], exec, s[10:11]
	s_cbranch_execz .LBB97_2147
; %bb.1818:
	v_bfe_u32 v6, v3, 21, 1
	s_mov_b32 s12, 0x88fffff
	v_add3_u32 v6, v3, v6, s12
	s_mov_b64 s[8:9], exec
	v_lshrrev_b32_e32 v6, 21, v6
	s_andn2_saveexec_b64 s[10:11], s[10:11]
	s_cbranch_execnz .LBB97_2148
.LBB97_1819:
	s_or_b64 exec, exec, s[10:11]
	v_mov_b32_e32 v7, 0
	s_and_saveexec_b64 s[10:11], s[8:9]
.LBB97_1820:
	v_lshrrev_b32_e32 v3, 24, v3
	s_movk_i32 s8, 0x80
	v_and_or_b32 v7, v3, s8, v6
.LBB97_1821:
	s_or_b64 exec, exec, s[10:11]
.LBB97_1822:
	s_or_b64 exec, exec, s[6:7]
	s_mov_b64 s[6:7], 0
	global_store_byte v[4:5], v7, off
.LBB97_1823:
	s_and_b64 vcc, exec, s[6:7]
	s_cbranch_vccz .LBB97_1833
; %bb.1824:
	v_cvt_f32_f16_e32 v3, v1
	s_mov_b32 s6, 0x43f00000
                                        ; implicit-def: $vgpr6
	v_and_b32_e32 v7, 0x7fffffff, v3
	v_cmp_gt_u32_e32 vcc, s6, v7
	s_and_saveexec_b64 s[6:7], vcc
	s_xor_b64 s[6:7], exec, s[6:7]
	s_cbranch_execz .LBB97_1830
; %bb.1825:
	s_mov_b32 s8, 0x3c7fffff
	v_cmp_lt_u32_e32 vcc, s8, v7
                                        ; implicit-def: $vgpr6
	s_and_saveexec_b64 s[8:9], vcc
	s_xor_b64 s[8:9], exec, s[8:9]
; %bb.1826:
	v_bfe_u32 v6, v3, 20, 1
	s_mov_b32 s10, 0x407ffff
	v_add3_u32 v6, v3, v6, s10
	v_lshrrev_b32_e32 v7, 20, v6
	v_and_b32_e32 v6, 0xff00000, v6
	s_mov_b32 s10, 0x7f00000
	v_mov_b32_e32 v8, 0x7e
	v_cmp_ne_u32_e32 vcc, s10, v6
	s_nop 1
	v_cndmask_b32_e32 v6, v8, v7, vcc
; %bb.1827:
	s_andn2_saveexec_b64 s[8:9], s[8:9]
; %bb.1828:
	s_mov_b32 s10, 0x46800000
	v_add_f32_e64 v6, |v3|, s10
; %bb.1829:
	s_or_b64 exec, exec, s[8:9]
                                        ; implicit-def: $vgpr7
.LBB97_1830:
	s_andn2_saveexec_b64 s[6:7], s[6:7]
; %bb.1831:
	s_mov_b32 s8, 0x7f800000
	v_mov_b32_e32 v6, 0x7e
	v_mov_b32_e32 v8, 0x7f
	v_cmp_lt_u32_e32 vcc, s8, v7
	s_nop 1
	v_cndmask_b32_e32 v6, v6, v8, vcc
; %bb.1832:
	s_or_b64 exec, exec, s[6:7]
	v_lshrrev_b32_e32 v3, 24, v3
	s_movk_i32 s6, 0x80
	v_and_or_b32 v3, v3, s6, v6
	global_store_byte v[4:5], v3, off
.LBB97_1833:
	s_mov_b64 s[6:7], 0
.LBB97_1834:
	s_andn2_b64 vcc, exec, s[6:7]
	s_cbranch_vccnz .LBB97_1844
; %bb.1835:
	v_cvt_f32_f16_e32 v3, v1
	s_mov_b32 s6, 0x47800000
                                        ; implicit-def: $vgpr6
	v_and_b32_e32 v7, 0x7fffffff, v3
	v_cmp_gt_u32_e32 vcc, s6, v7
	s_and_saveexec_b64 s[6:7], vcc
	s_xor_b64 s[6:7], exec, s[6:7]
	s_cbranch_execz .LBB97_1841
; %bb.1836:
	s_mov_b32 s8, 0x387fffff
	v_cmp_lt_u32_e32 vcc, s8, v7
                                        ; implicit-def: $vgpr6
	s_and_saveexec_b64 s[8:9], vcc
	s_xor_b64 s[8:9], exec, s[8:9]
; %bb.1837:
	v_bfe_u32 v6, v3, 21, 1
	s_mov_b32 s10, 0x80fffff
	v_add3_u32 v6, v3, v6, s10
	v_lshrrev_b32_e32 v6, 21, v6
; %bb.1838:
	s_andn2_saveexec_b64 s[8:9], s[8:9]
; %bb.1839:
	s_mov_b32 s10, 0x43000000
	v_add_f32_e64 v6, |v3|, s10
; %bb.1840:
	s_or_b64 exec, exec, s[8:9]
                                        ; implicit-def: $vgpr7
.LBB97_1841:
	s_andn2_saveexec_b64 s[6:7], s[6:7]
; %bb.1842:
	s_mov_b32 s8, 0x7f800000
	v_mov_b32_e32 v6, 0x7c
	v_mov_b32_e32 v8, 0x7f
	v_cmp_lt_u32_e32 vcc, s8, v7
	s_nop 1
	v_cndmask_b32_e32 v6, v6, v8, vcc
; %bb.1843:
	s_or_b64 exec, exec, s[6:7]
	v_lshrrev_b32_e32 v3, 24, v3
	s_movk_i32 s6, 0x80
	v_and_or_b32 v3, v3, s6, v6
	global_store_byte v[4:5], v3, off
.LBB97_1844:
	s_mov_b64 s[6:7], 0
	s_mov_b64 s[8:9], -1
.LBB97_1845:
	s_andn2_b64 vcc, exec, s[6:7]
	s_mov_b64 s[6:7], 0
	s_cbranch_vccnz .LBB97_1852
; %bb.1846:
	s_cmp_gt_i32 s15, 14
	s_mov_b64 s[10:11], -1
	s_cbranch_scc0 .LBB97_1850
; %bb.1847:
	s_cmp_eq_u32 s15, 15
	s_mov_b64 s[0:1], -1
	s_cbranch_scc0 .LBB97_1849
; %bb.1848:
	v_cvt_f32_f16_e32 v3, v1
	s_movk_i32 s0, 0x7fff
	v_cmp_o_f16_e32 vcc, v1, v1
	v_mov_b32_e32 v6, 0x7fc0
	v_bfe_u32 v7, v3, 16, 1
	v_add3_u32 v3, v3, v7, s0
	v_cndmask_b32_sdwa v3, v6, v3, vcc dst_sel:DWORD dst_unused:UNUSED_PAD src0_sel:DWORD src1_sel:WORD_1
	global_store_short v[4:5], v3, off
	s_mov_b64 s[0:1], 0
	s_mov_b64 s[8:9], -1
.LBB97_1849:
	s_mov_b64 s[10:11], 0
.LBB97_1850:
	s_and_b64 vcc, exec, s[10:11]
	s_cbranch_vccz .LBB97_1852
; %bb.1851:
	s_cmp_lg_u32 s15, 11
	s_mov_b64 s[6:7], -1
	s_cselect_b64 s[0:1], -1, 0
.LBB97_1852:
	s_and_b64 vcc, exec, s[0:1]
	s_cbranch_vccnz .LBB97_2146
; %bb.1853:
	s_andn2_b64 vcc, exec, s[6:7]
	s_cbranch_vccnz .LBB97_1855
.LBB97_1854:
	v_cmp_neq_f16_e32 vcc, 0, v1
	s_mov_b64 s[8:9], -1
	s_nop 0
	v_cndmask_b32_e64 v3, 0, 1, vcc
	global_store_byte v[4:5], v3, off
.LBB97_1855:
	s_mov_b64 s[0:1], 0
	s_branch .LBB97_1857
.LBB97_1856:
	s_mov_b64 s[0:1], -1
	s_mov_b64 s[8:9], 0
.LBB97_1857:
	s_and_b64 vcc, exec, s[0:1]
	s_cbranch_vccz .LBB97_1896
; %bb.1858:
	s_and_b32 s6, 0xffff, s14
	s_cmp_lt_i32 s6, 5
	s_mov_b64 s[0:1], -1
	s_cbranch_scc1 .LBB97_1879
; %bb.1859:
	s_cmp_lt_i32 s6, 8
	s_cbranch_scc1 .LBB97_1869
; %bb.1860:
	s_cmp_lt_i32 s6, 9
	s_cbranch_scc1 .LBB97_1866
; %bb.1861:
	s_cmp_gt_i32 s6, 9
	s_cbranch_scc0 .LBB97_1863
; %bb.1862:
	v_cvt_f32_f16_e32 v3, v1
	v_mov_b32_e32 v8, 0
	v_mov_b32_e32 v9, v8
	s_mov_b64 s[0:1], 0
	v_cvt_f64_f32_e32 v[6:7], v3
	global_store_dwordx4 v[4:5], v[6:9], off
.LBB97_1863:
	s_andn2_b64 vcc, exec, s[0:1]
	s_cbranch_vccnz .LBB97_1865
; %bb.1864:
	v_cvt_f32_f16_e32 v6, v1
	v_mov_b32_e32 v7, 0
	global_store_dwordx2 v[4:5], v[6:7], off
.LBB97_1865:
	s_mov_b64 s[0:1], 0
.LBB97_1866:
	s_andn2_b64 vcc, exec, s[0:1]
	s_cbranch_vccnz .LBB97_1868
; %bb.1867:
	global_store_dword v[4:5], v1, off
.LBB97_1868:
	s_mov_b64 s[0:1], 0
.LBB97_1869:
	s_andn2_b64 vcc, exec, s[0:1]
	s_cbranch_vccnz .LBB97_1878
; %bb.1870:
	s_cmp_lt_i32 s6, 6
	s_mov_b64 s[0:1], -1
	s_cbranch_scc1 .LBB97_1876
; %bb.1871:
	s_cmp_gt_i32 s6, 6
	s_cbranch_scc0 .LBB97_1873
; %bb.1872:
	v_cvt_f32_f16_e32 v3, v1
	s_mov_b64 s[0:1], 0
	v_cvt_f64_f32_e32 v[6:7], v3
	global_store_dwordx2 v[4:5], v[6:7], off
.LBB97_1873:
	s_andn2_b64 vcc, exec, s[0:1]
	s_cbranch_vccnz .LBB97_1875
; %bb.1874:
	v_cvt_f32_f16_e32 v3, v1
	global_store_dword v[4:5], v3, off
.LBB97_1875:
	s_mov_b64 s[0:1], 0
.LBB97_1876:
	s_andn2_b64 vcc, exec, s[0:1]
	s_cbranch_vccnz .LBB97_1878
; %bb.1877:
	global_store_short v[4:5], v1, off
.LBB97_1878:
	s_mov_b64 s[0:1], 0
.LBB97_1879:
	s_andn2_b64 vcc, exec, s[0:1]
	s_cbranch_vccnz .LBB97_1895
; %bb.1880:
	s_cmp_lt_i32 s6, 2
	s_mov_b64 s[0:1], -1
	s_cbranch_scc1 .LBB97_1890
; %bb.1881:
	s_cmp_lt_i32 s6, 3
	s_cbranch_scc1 .LBB97_1887
; %bb.1882:
	s_cmp_gt_i32 s6, 3
	s_cbranch_scc0 .LBB97_1884
; %bb.1883:
	v_cvt_f32_f16_e32 v3, v1
	s_mov_b64 s[0:1], 0
	v_cvt_i32_f32_e32 v6, v3
	v_ashrrev_i32_e32 v7, 31, v6
	global_store_dwordx2 v[4:5], v[6:7], off
.LBB97_1884:
	s_andn2_b64 vcc, exec, s[0:1]
	s_cbranch_vccnz .LBB97_1886
; %bb.1885:
	v_cvt_f32_f16_e32 v3, v1
	v_cvt_i32_f32_e32 v3, v3
	global_store_dword v[4:5], v3, off
.LBB97_1886:
	s_mov_b64 s[0:1], 0
.LBB97_1887:
	s_andn2_b64 vcc, exec, s[0:1]
	s_cbranch_vccnz .LBB97_1889
; %bb.1888:
	v_cvt_i16_f16_e32 v3, v1
	global_store_short v[4:5], v3, off
.LBB97_1889:
	s_mov_b64 s[0:1], 0
.LBB97_1890:
	s_andn2_b64 vcc, exec, s[0:1]
	s_cbranch_vccnz .LBB97_1895
; %bb.1891:
	s_cmp_gt_i32 s6, 0
	s_mov_b64 s[0:1], -1
	s_cbranch_scc0 .LBB97_1893
; %bb.1892:
	v_cvt_i16_f16_e32 v3, v1
	global_store_byte v[4:5], v3, off
	s_mov_b64 s[0:1], 0
.LBB97_1893:
	s_andn2_b64 vcc, exec, s[0:1]
	s_cbranch_vccnz .LBB97_1895
; %bb.1894:
	v_cvt_f32_f16_e32 v1, v1
	v_cvt_i32_f32_e32 v1, v1
	global_store_byte v[4:5], v1, off
.LBB97_1895:
	s_mov_b64 s[8:9], -1
.LBB97_1896:
	s_andn2_b64 vcc, exec, s[8:9]
	s_cbranch_vccnz .LBB97_2092
; %bb.1897:
	v_cvt_f32_f16_e32 v1, v12
	s_mov_b32 s0, 0x3fb8aa3b
	s_mov_b32 s1, 0x32a5705f
	s_cmp_lt_i32 s14, 11
	v_mul_f32_e32 v3, 0x3fb8aa3b, v1
	v_rndne_f32_e32 v4, v3
	v_fma_mix_f32 v5, v12, s0, -v3 op_sel_hi:[1,0,0]
	v_sub_f32_e32 v3, v3, v4
	v_fma_mix_f32 v5, v12, s1, v5 op_sel_hi:[1,0,0]
	v_cvt_i32_f32_e32 v4, v4
	v_add_f32_e32 v3, v3, v5
	v_exp_f32_e32 v3, v3
	s_mov_b32 s0, 0xc2ce8ed0
	v_cmp_ngt_f32_e32 vcc, s0, v1
	s_mov_b32 s0, 0x42b17218
	v_ldexp_f32 v3, v3, v4
	v_cndmask_b32_e32 v3, 0, v3, vcc
	v_mov_b32_e32 v4, 0x7f800000
	v_cmp_nlt_f32_e32 vcc, s0, v1
	s_nop 1
	v_cndmask_b32_e32 v1, v4, v3, vcc
	v_cvt_f16_f32_e32 v1, v1
	v_mov_b32_e32 v3, 0
	v_lshl_add_u64 v[2:3], s[4:5], 0, v[2:3]
	s_cbranch_scc1 .LBB97_1975
; %bb.1898:
	s_and_b32 s15, 0xffff, s14
	s_mov_b64 s[10:11], -1
	s_mov_b64 s[6:7], 0
	s_cmp_gt_i32 s15, 25
	s_mov_b64 s[8:9], 0
	s_mov_b64 s[0:1], 0
	s_cbranch_scc0 .LBB97_1931
; %bb.1899:
	s_cmp_gt_i32 s15, 28
	s_cbranch_scc0 .LBB97_1914
; %bb.1900:
	s_cmp_gt_i32 s15, 43
	;; [unrolled: 3-line block ×3, first 2 shown]
	s_cbranch_scc0 .LBB97_1904
; %bb.1902:
	s_mov_b64 s[0:1], -1
	s_mov_b64 s[10:11], 0
	s_cmp_eq_u32 s15, 46
	s_cbranch_scc0 .LBB97_1904
; %bb.1903:
	v_cvt_f32_f16_e32 v4, v1
	s_movk_i32 s0, 0x7fff
	v_cmp_o_f16_e32 vcc, v1, v1
	v_mov_b32_e32 v5, 0x7fc0
	v_bfe_u32 v6, v4, 16, 1
	v_add3_u32 v4, v4, v6, s0
	v_cndmask_b32_sdwa v4, v5, v4, vcc dst_sel:DWORD dst_unused:UNUSED_PAD src0_sel:DWORD src1_sel:WORD_1
	global_store_dword v[2:3], v4, off
	s_mov_b64 s[0:1], 0
	s_mov_b64 s[8:9], -1
.LBB97_1904:
	s_and_b64 vcc, exec, s[10:11]
	s_cbranch_vccz .LBB97_1909
; %bb.1905:
	s_cmp_eq_u32 s15, 44
	s_mov_b64 s[0:1], -1
	s_cbranch_scc0 .LBB97_1909
; %bb.1906:
	v_cvt_f32_f16_e32 v4, v1
	s_movk_i32 s0, 0xff
	v_mov_b32_e32 v6, 0xff
	v_bfe_u32 v5, v4, 23, 8
	v_cmp_ne_u32_e32 vcc, s0, v5
	s_and_saveexec_b64 s[8:9], vcc
; %bb.1907:
	s_mov_b32 s0, 0x3fffff
	v_lshrrev_b32_e32 v6, 23, v4
	v_and_b32_e32 v7, 0x400000, v4
	v_and_or_b32 v4, v4, s0, v5
	v_cmp_ne_u32_e32 vcc, 0, v7
	v_cmp_ne_u32_e64 s[0:1], 0, v4
	s_and_b64 s[0:1], vcc, s[0:1]
	s_nop 0
	v_cndmask_b32_e64 v4, 0, 1, s[0:1]
	v_add_u32_e32 v6, v6, v4
; %bb.1908:
	s_or_b64 exec, exec, s[8:9]
	s_mov_b64 s[0:1], 0
	s_mov_b64 s[8:9], -1
	global_store_byte v[2:3], v6, off
.LBB97_1909:
	s_mov_b64 s[10:11], 0
.LBB97_1910:
	s_and_b64 vcc, exec, s[10:11]
	s_cbranch_vccz .LBB97_1913
; %bb.1911:
	s_cmp_eq_u32 s15, 29
	s_mov_b64 s[0:1], -1
	s_cbranch_scc0 .LBB97_1913
; %bb.1912:
	v_cvt_f32_f16_e32 v4, v1
	v_mov_b32_e32 v5, 0
	s_mov_b64 s[0:1], 0
	s_mov_b64 s[8:9], -1
	v_cvt_u32_f32_e32 v4, v4
	global_store_dwordx2 v[2:3], v[4:5], off
.LBB97_1913:
	s_mov_b64 s[10:11], 0
.LBB97_1914:
	s_and_b64 vcc, exec, s[10:11]
	s_cbranch_vccz .LBB97_1930
; %bb.1915:
	s_cmp_lt_i32 s15, 27
	s_mov_b64 s[8:9], -1
	s_cbranch_scc1 .LBB97_1921
; %bb.1916:
	s_cmp_gt_i32 s15, 27
	s_cbranch_scc0 .LBB97_1918
; %bb.1917:
	v_cvt_f32_f16_e32 v4, v1
	s_mov_b64 s[8:9], 0
	v_cvt_u32_f32_e32 v4, v4
	global_store_dword v[2:3], v4, off
.LBB97_1918:
	s_andn2_b64 vcc, exec, s[8:9]
	s_cbranch_vccnz .LBB97_1920
; %bb.1919:
	v_cvt_u16_f16_e32 v4, v1
	global_store_short v[2:3], v4, off
.LBB97_1920:
	s_mov_b64 s[8:9], 0
.LBB97_1921:
	s_andn2_b64 vcc, exec, s[8:9]
	s_cbranch_vccnz .LBB97_1929
; %bb.1922:
	v_cvt_f32_f16_e32 v4, v1
	s_mov_b32 s8, 0x43800000
	v_mov_b32_e32 v6, 0x80
	v_and_b32_e32 v5, 0x7fffffff, v4
	v_cmp_gt_u32_e32 vcc, s8, v5
	s_and_saveexec_b64 s[8:9], vcc
	s_cbranch_execz .LBB97_1928
; %bb.1923:
	s_mov_b32 s10, 0x3bffffff
	v_cmp_lt_u32_e32 vcc, s10, v5
	s_mov_b64 s[10:11], 0
                                        ; implicit-def: $vgpr5
	s_and_saveexec_b64 s[12:13], vcc
	s_xor_b64 s[12:13], exec, s[12:13]
	s_cbranch_execz .LBB97_2149
; %bb.1924:
	v_bfe_u32 v5, v4, 20, 1
	s_mov_b32 s16, 0x487ffff
	v_add3_u32 v5, v4, v5, s16
	s_mov_b64 s[10:11], exec
	v_lshrrev_b32_e32 v5, 20, v5
	s_andn2_saveexec_b64 s[12:13], s[12:13]
	s_cbranch_execnz .LBB97_2150
.LBB97_1925:
	s_or_b64 exec, exec, s[12:13]
	v_mov_b32_e32 v6, 0
	s_and_saveexec_b64 s[12:13], s[10:11]
.LBB97_1926:
	v_lshrrev_b32_e32 v4, 24, v4
	s_movk_i32 s10, 0x80
	v_and_or_b32 v6, v4, s10, v5
.LBB97_1927:
	s_or_b64 exec, exec, s[12:13]
.LBB97_1928:
	s_or_b64 exec, exec, s[8:9]
	global_store_byte v[2:3], v6, off
.LBB97_1929:
	s_mov_b64 s[8:9], -1
.LBB97_1930:
	s_mov_b64 s[10:11], 0
.LBB97_1931:
	s_and_b64 vcc, exec, s[10:11]
	s_cbranch_vccz .LBB97_1971
; %bb.1932:
	s_cmp_gt_i32 s15, 22
	s_mov_b64 s[6:7], -1
	s_cbranch_scc0 .LBB97_1964
; %bb.1933:
	s_cmp_lt_i32 s15, 24
	s_cbranch_scc1 .LBB97_1953
; %bb.1934:
	s_cmp_gt_i32 s15, 24
	s_cbranch_scc0 .LBB97_1942
; %bb.1935:
	v_cvt_f32_f16_e32 v4, v1
	s_mov_b32 s6, 0x47800000
	v_mov_b32_e32 v6, 0x80
	v_and_b32_e32 v5, 0x7fffffff, v4
	v_cmp_gt_u32_e32 vcc, s6, v5
	s_and_saveexec_b64 s[6:7], vcc
	s_cbranch_execz .LBB97_1941
; %bb.1936:
	s_mov_b32 s8, 0x37ffffff
	v_cmp_lt_u32_e32 vcc, s8, v5
	s_mov_b64 s[8:9], 0
                                        ; implicit-def: $vgpr5
	s_and_saveexec_b64 s[10:11], vcc
	s_xor_b64 s[10:11], exec, s[10:11]
	s_cbranch_execz .LBB97_2152
; %bb.1937:
	v_bfe_u32 v5, v4, 21, 1
	s_mov_b32 s12, 0x88fffff
	v_add3_u32 v5, v4, v5, s12
	s_mov_b64 s[8:9], exec
	v_lshrrev_b32_e32 v5, 21, v5
	s_andn2_saveexec_b64 s[10:11], s[10:11]
	s_cbranch_execnz .LBB97_2153
.LBB97_1938:
	s_or_b64 exec, exec, s[10:11]
	v_mov_b32_e32 v6, 0
	s_and_saveexec_b64 s[10:11], s[8:9]
.LBB97_1939:
	v_lshrrev_b32_e32 v4, 24, v4
	s_movk_i32 s8, 0x80
	v_and_or_b32 v6, v4, s8, v5
.LBB97_1940:
	s_or_b64 exec, exec, s[10:11]
.LBB97_1941:
	s_or_b64 exec, exec, s[6:7]
	s_mov_b64 s[6:7], 0
	global_store_byte v[2:3], v6, off
.LBB97_1942:
	s_and_b64 vcc, exec, s[6:7]
	s_cbranch_vccz .LBB97_1952
; %bb.1943:
	v_cvt_f32_f16_e32 v4, v1
	s_mov_b32 s6, 0x43f00000
                                        ; implicit-def: $vgpr5
	v_and_b32_e32 v6, 0x7fffffff, v4
	v_cmp_gt_u32_e32 vcc, s6, v6
	s_and_saveexec_b64 s[6:7], vcc
	s_xor_b64 s[6:7], exec, s[6:7]
	s_cbranch_execz .LBB97_1949
; %bb.1944:
	s_mov_b32 s8, 0x3c7fffff
	v_cmp_lt_u32_e32 vcc, s8, v6
                                        ; implicit-def: $vgpr5
	s_and_saveexec_b64 s[8:9], vcc
	s_xor_b64 s[8:9], exec, s[8:9]
; %bb.1945:
	v_bfe_u32 v5, v4, 20, 1
	s_mov_b32 s10, 0x407ffff
	v_add3_u32 v5, v4, v5, s10
	v_lshrrev_b32_e32 v6, 20, v5
	v_and_b32_e32 v5, 0xff00000, v5
	s_mov_b32 s10, 0x7f00000
	v_mov_b32_e32 v7, 0x7e
	v_cmp_ne_u32_e32 vcc, s10, v5
	s_nop 1
	v_cndmask_b32_e32 v5, v7, v6, vcc
; %bb.1946:
	s_andn2_saveexec_b64 s[8:9], s[8:9]
; %bb.1947:
	s_mov_b32 s10, 0x46800000
	v_add_f32_e64 v5, |v4|, s10
; %bb.1948:
	s_or_b64 exec, exec, s[8:9]
                                        ; implicit-def: $vgpr6
.LBB97_1949:
	s_andn2_saveexec_b64 s[6:7], s[6:7]
; %bb.1950:
	s_mov_b32 s8, 0x7f800000
	v_mov_b32_e32 v5, 0x7e
	v_mov_b32_e32 v7, 0x7f
	v_cmp_lt_u32_e32 vcc, s8, v6
	s_nop 1
	v_cndmask_b32_e32 v5, v5, v7, vcc
; %bb.1951:
	s_or_b64 exec, exec, s[6:7]
	v_lshrrev_b32_e32 v4, 24, v4
	s_movk_i32 s6, 0x80
	v_and_or_b32 v4, v4, s6, v5
	global_store_byte v[2:3], v4, off
.LBB97_1952:
	s_mov_b64 s[6:7], 0
.LBB97_1953:
	s_andn2_b64 vcc, exec, s[6:7]
	s_cbranch_vccnz .LBB97_1963
; %bb.1954:
	v_cvt_f32_f16_e32 v4, v1
	s_mov_b32 s6, 0x47800000
                                        ; implicit-def: $vgpr5
	v_and_b32_e32 v6, 0x7fffffff, v4
	v_cmp_gt_u32_e32 vcc, s6, v6
	s_and_saveexec_b64 s[6:7], vcc
	s_xor_b64 s[6:7], exec, s[6:7]
	s_cbranch_execz .LBB97_1960
; %bb.1955:
	s_mov_b32 s8, 0x387fffff
	v_cmp_lt_u32_e32 vcc, s8, v6
                                        ; implicit-def: $vgpr5
	s_and_saveexec_b64 s[8:9], vcc
	s_xor_b64 s[8:9], exec, s[8:9]
; %bb.1956:
	v_bfe_u32 v5, v4, 21, 1
	s_mov_b32 s10, 0x80fffff
	v_add3_u32 v5, v4, v5, s10
	v_lshrrev_b32_e32 v5, 21, v5
; %bb.1957:
	s_andn2_saveexec_b64 s[8:9], s[8:9]
; %bb.1958:
	s_mov_b32 s10, 0x43000000
	v_add_f32_e64 v5, |v4|, s10
; %bb.1959:
	s_or_b64 exec, exec, s[8:9]
                                        ; implicit-def: $vgpr6
.LBB97_1960:
	s_andn2_saveexec_b64 s[6:7], s[6:7]
; %bb.1961:
	s_mov_b32 s8, 0x7f800000
	v_mov_b32_e32 v5, 0x7c
	v_mov_b32_e32 v7, 0x7f
	v_cmp_lt_u32_e32 vcc, s8, v6
	s_nop 1
	v_cndmask_b32_e32 v5, v5, v7, vcc
; %bb.1962:
	s_or_b64 exec, exec, s[6:7]
	v_lshrrev_b32_e32 v4, 24, v4
	s_movk_i32 s6, 0x80
	v_and_or_b32 v4, v4, s6, v5
	global_store_byte v[2:3], v4, off
.LBB97_1963:
	s_mov_b64 s[6:7], 0
	s_mov_b64 s[8:9], -1
.LBB97_1964:
	s_andn2_b64 vcc, exec, s[6:7]
	s_mov_b64 s[6:7], 0
	s_cbranch_vccnz .LBB97_1971
; %bb.1965:
	s_cmp_gt_i32 s15, 14
	s_mov_b64 s[10:11], -1
	s_cbranch_scc0 .LBB97_1969
; %bb.1966:
	s_cmp_eq_u32 s15, 15
	s_mov_b64 s[0:1], -1
	s_cbranch_scc0 .LBB97_1968
; %bb.1967:
	v_cvt_f32_f16_e32 v4, v1
	s_movk_i32 s0, 0x7fff
	v_cmp_o_f16_e32 vcc, v1, v1
	v_mov_b32_e32 v5, 0x7fc0
	v_bfe_u32 v6, v4, 16, 1
	v_add3_u32 v4, v4, v6, s0
	v_cndmask_b32_sdwa v4, v5, v4, vcc dst_sel:DWORD dst_unused:UNUSED_PAD src0_sel:DWORD src1_sel:WORD_1
	global_store_short v[2:3], v4, off
	s_mov_b64 s[0:1], 0
	s_mov_b64 s[8:9], -1
.LBB97_1968:
	s_mov_b64 s[10:11], 0
.LBB97_1969:
	s_and_b64 vcc, exec, s[10:11]
	s_cbranch_vccz .LBB97_1971
; %bb.1970:
	s_cmp_lg_u32 s15, 11
	s_mov_b64 s[6:7], -1
	s_cselect_b64 s[0:1], -1, 0
.LBB97_1971:
	s_and_b64 vcc, exec, s[0:1]
	s_cbranch_vccnz .LBB97_2151
; %bb.1972:
	s_andn2_b64 vcc, exec, s[6:7]
	s_cbranch_vccnz .LBB97_1974
.LBB97_1973:
	v_cmp_neq_f16_e32 vcc, 0, v1
	s_mov_b64 s[8:9], -1
	s_nop 0
	v_cndmask_b32_e64 v4, 0, 1, vcc
	global_store_byte v[2:3], v4, off
.LBB97_1974:
	s_mov_b64 s[0:1], 0
	s_branch .LBB97_1976
.LBB97_1975:
	s_mov_b64 s[0:1], -1
	s_mov_b64 s[8:9], 0
.LBB97_1976:
	s_and_b64 vcc, exec, s[0:1]
	s_cbranch_vccz .LBB97_2015
; %bb.1977:
	s_and_b32 s6, 0xffff, s14
	s_cmp_lt_i32 s6, 5
	s_mov_b64 s[0:1], -1
	s_cbranch_scc1 .LBB97_1998
; %bb.1978:
	s_cmp_lt_i32 s6, 8
	s_cbranch_scc1 .LBB97_1988
; %bb.1979:
	s_cmp_lt_i32 s6, 9
	s_cbranch_scc1 .LBB97_1985
; %bb.1980:
	s_cmp_gt_i32 s6, 9
	s_cbranch_scc0 .LBB97_1982
; %bb.1981:
	v_cvt_f32_f16_e32 v4, v1
	v_mov_b32_e32 v6, 0
	v_mov_b32_e32 v7, v6
	s_mov_b64 s[0:1], 0
	v_cvt_f64_f32_e32 v[4:5], v4
	global_store_dwordx4 v[2:3], v[4:7], off
.LBB97_1982:
	s_andn2_b64 vcc, exec, s[0:1]
	s_cbranch_vccnz .LBB97_1984
; %bb.1983:
	v_cvt_f32_f16_e32 v4, v1
	v_mov_b32_e32 v5, 0
	global_store_dwordx2 v[2:3], v[4:5], off
.LBB97_1984:
	s_mov_b64 s[0:1], 0
.LBB97_1985:
	s_andn2_b64 vcc, exec, s[0:1]
	s_cbranch_vccnz .LBB97_1987
; %bb.1986:
	global_store_dword v[2:3], v1, off
.LBB97_1987:
	s_mov_b64 s[0:1], 0
.LBB97_1988:
	s_andn2_b64 vcc, exec, s[0:1]
	s_cbranch_vccnz .LBB97_1997
; %bb.1989:
	s_cmp_lt_i32 s6, 6
	s_mov_b64 s[0:1], -1
	s_cbranch_scc1 .LBB97_1995
; %bb.1990:
	s_cmp_gt_i32 s6, 6
	s_cbranch_scc0 .LBB97_1992
; %bb.1991:
	v_cvt_f32_f16_e32 v4, v1
	s_mov_b64 s[0:1], 0
	v_cvt_f64_f32_e32 v[4:5], v4
	global_store_dwordx2 v[2:3], v[4:5], off
.LBB97_1992:
	s_andn2_b64 vcc, exec, s[0:1]
	s_cbranch_vccnz .LBB97_1994
; %bb.1993:
	v_cvt_f32_f16_e32 v4, v1
	global_store_dword v[2:3], v4, off
.LBB97_1994:
	s_mov_b64 s[0:1], 0
.LBB97_1995:
	s_andn2_b64 vcc, exec, s[0:1]
	s_cbranch_vccnz .LBB97_1997
; %bb.1996:
	global_store_short v[2:3], v1, off
.LBB97_1997:
	s_mov_b64 s[0:1], 0
.LBB97_1998:
	s_andn2_b64 vcc, exec, s[0:1]
	s_cbranch_vccnz .LBB97_2014
; %bb.1999:
	s_cmp_lt_i32 s6, 2
	s_mov_b64 s[0:1], -1
	s_cbranch_scc1 .LBB97_2009
; %bb.2000:
	s_cmp_lt_i32 s6, 3
	s_cbranch_scc1 .LBB97_2006
; %bb.2001:
	s_cmp_gt_i32 s6, 3
	s_cbranch_scc0 .LBB97_2003
; %bb.2002:
	v_cvt_f32_f16_e32 v4, v1
	s_mov_b64 s[0:1], 0
	v_cvt_i32_f32_e32 v4, v4
	v_ashrrev_i32_e32 v5, 31, v4
	global_store_dwordx2 v[2:3], v[4:5], off
.LBB97_2003:
	s_andn2_b64 vcc, exec, s[0:1]
	s_cbranch_vccnz .LBB97_2005
; %bb.2004:
	v_cvt_f32_f16_e32 v4, v1
	v_cvt_i32_f32_e32 v4, v4
	global_store_dword v[2:3], v4, off
.LBB97_2005:
	s_mov_b64 s[0:1], 0
.LBB97_2006:
	s_andn2_b64 vcc, exec, s[0:1]
	s_cbranch_vccnz .LBB97_2008
; %bb.2007:
	v_cvt_i16_f16_e32 v4, v1
	global_store_short v[2:3], v4, off
.LBB97_2008:
	s_mov_b64 s[0:1], 0
.LBB97_2009:
	s_andn2_b64 vcc, exec, s[0:1]
	s_cbranch_vccnz .LBB97_2014
; %bb.2010:
	s_cmp_gt_i32 s6, 0
	s_mov_b64 s[0:1], -1
	s_cbranch_scc0 .LBB97_2012
; %bb.2011:
	v_cvt_i16_f16_e32 v4, v1
	global_store_byte v[2:3], v4, off
	s_mov_b64 s[0:1], 0
.LBB97_2012:
	s_andn2_b64 vcc, exec, s[0:1]
	s_cbranch_vccnz .LBB97_2014
; %bb.2013:
	v_cvt_f32_f16_e32 v1, v1
	v_cvt_i32_f32_e32 v1, v1
	global_store_byte v[2:3], v1, off
.LBB97_2014:
	s_mov_b64 s[8:9], -1
.LBB97_2015:
	s_andn2_b64 vcc, exec, s[8:9]
	s_cbranch_vccnz .LBB97_2092
; %bb.2016:
	v_cvt_f32_f16_e32 v1, v10
	s_mov_b32 s0, 0x3fb8aa3b
	s_mov_b32 s1, 0x32a5705f
	s_cmp_lt_i32 s14, 11
	v_mul_f32_e32 v2, 0x3fb8aa3b, v1
	v_rndne_f32_e32 v3, v2
	v_fma_mix_f32 v4, v10, s0, -v2 op_sel_hi:[1,0,0]
	v_sub_f32_e32 v2, v2, v3
	v_fma_mix_f32 v4, v10, s1, v4 op_sel_hi:[1,0,0]
	v_cvt_i32_f32_e32 v3, v3
	v_add_f32_e32 v2, v2, v4
	v_exp_f32_e32 v2, v2
	s_mov_b32 s0, 0xc2ce8ed0
	v_cmp_ngt_f32_e32 vcc, s0, v1
	s_mov_b32 s0, 0x42b17218
	v_ldexp_f32 v2, v2, v3
	v_cndmask_b32_e32 v2, 0, v2, vcc
	v_mov_b32_e32 v3, 0x7f800000
	v_cmp_nlt_f32_e32 vcc, s0, v1
	s_nop 1
	v_cndmask_b32_e32 v1, v3, v2, vcc
	v_cvt_f16_f32_e32 v2, v1
	v_mov_b32_e32 v1, 0
	v_lshl_add_u64 v[0:1], s[4:5], 0, v[0:1]
	s_cbranch_scc1 .LBB97_2137
; %bb.2017:
	s_and_b32 s12, 0xffff, s14
	s_mov_b64 s[6:7], -1
	s_mov_b64 s[4:5], 0
	s_cmp_gt_i32 s12, 25
	s_mov_b64 s[0:1], 0
	s_cbranch_scc0 .LBB97_2050
; %bb.2018:
	s_cmp_gt_i32 s12, 28
	s_cbranch_scc0 .LBB97_2034
; %bb.2019:
	s_cmp_gt_i32 s12, 43
	;; [unrolled: 3-line block ×3, first 2 shown]
	s_cbranch_scc0 .LBB97_2024
; %bb.2021:
	s_cmp_eq_u32 s12, 46
	s_mov_b64 s[0:1], -1
	s_cbranch_scc0 .LBB97_2023
; %bb.2022:
	v_cvt_f32_f16_e32 v3, v2
	s_movk_i32 s0, 0x7fff
	v_cmp_o_f16_e32 vcc, v2, v2
	v_mov_b32_e32 v4, 0x7fc0
	v_bfe_u32 v5, v3, 16, 1
	v_add3_u32 v3, v3, v5, s0
	v_cndmask_b32_sdwa v3, v4, v3, vcc dst_sel:DWORD dst_unused:UNUSED_PAD src0_sel:DWORD src1_sel:WORD_1
	global_store_dword v[0:1], v3, off
	s_mov_b64 s[0:1], 0
.LBB97_2023:
	s_mov_b64 s[6:7], 0
.LBB97_2024:
	s_and_b64 vcc, exec, s[6:7]
	s_cbranch_vccz .LBB97_2029
; %bb.2025:
	s_cmp_eq_u32 s12, 44
	s_mov_b64 s[0:1], -1
	s_cbranch_scc0 .LBB97_2029
; %bb.2026:
	v_cvt_f32_f16_e32 v3, v2
	s_movk_i32 s0, 0xff
	v_mov_b32_e32 v5, 0xff
	v_bfe_u32 v4, v3, 23, 8
	v_cmp_ne_u32_e32 vcc, s0, v4
	s_and_saveexec_b64 s[6:7], vcc
; %bb.2027:
	s_mov_b32 s0, 0x3fffff
	v_lshrrev_b32_e32 v5, 23, v3
	v_and_b32_e32 v6, 0x400000, v3
	v_and_or_b32 v3, v3, s0, v4
	v_cmp_ne_u32_e32 vcc, 0, v6
	v_cmp_ne_u32_e64 s[0:1], 0, v3
	s_and_b64 s[0:1], vcc, s[0:1]
	s_nop 0
	v_cndmask_b32_e64 v3, 0, 1, s[0:1]
	v_add_u32_e32 v5, v5, v3
; %bb.2028:
	s_or_b64 exec, exec, s[6:7]
	s_mov_b64 s[0:1], 0
	global_store_byte v[0:1], v5, off
.LBB97_2029:
	s_mov_b64 s[6:7], 0
.LBB97_2030:
	s_and_b64 vcc, exec, s[6:7]
	s_cbranch_vccz .LBB97_2033
; %bb.2031:
	s_cmp_eq_u32 s12, 29
	s_mov_b64 s[0:1], -1
	s_cbranch_scc0 .LBB97_2033
; %bb.2032:
	v_cvt_f32_f16_e32 v3, v2
	v_mov_b32_e32 v5, 0
	s_mov_b64 s[0:1], 0
	v_cvt_u32_f32_e32 v4, v3
	global_store_dwordx2 v[0:1], v[4:5], off
.LBB97_2033:
	s_mov_b64 s[6:7], 0
.LBB97_2034:
	s_and_b64 vcc, exec, s[6:7]
	s_cbranch_vccz .LBB97_2049
; %bb.2035:
	s_cmp_lt_i32 s12, 27
	s_mov_b64 s[6:7], -1
	s_cbranch_scc1 .LBB97_2041
; %bb.2036:
	s_cmp_gt_i32 s12, 27
	s_cbranch_scc0 .LBB97_2038
; %bb.2037:
	v_cvt_f32_f16_e32 v3, v2
	s_mov_b64 s[6:7], 0
	v_cvt_u32_f32_e32 v3, v3
	global_store_dword v[0:1], v3, off
.LBB97_2038:
	s_andn2_b64 vcc, exec, s[6:7]
	s_cbranch_vccnz .LBB97_2040
; %bb.2039:
	v_cvt_u16_f16_e32 v3, v2
	global_store_short v[0:1], v3, off
.LBB97_2040:
	s_mov_b64 s[6:7], 0
.LBB97_2041:
	s_andn2_b64 vcc, exec, s[6:7]
	s_cbranch_vccnz .LBB97_2049
; %bb.2042:
	v_cvt_f32_f16_e32 v3, v2
	s_mov_b32 s6, 0x43800000
	v_mov_b32_e32 v5, 0x80
	v_and_b32_e32 v4, 0x7fffffff, v3
	v_cmp_gt_u32_e32 vcc, s6, v4
	s_and_saveexec_b64 s[6:7], vcc
	s_cbranch_execz .LBB97_2048
; %bb.2043:
	s_mov_b32 s8, 0x3bffffff
	v_cmp_lt_u32_e32 vcc, s8, v4
	s_mov_b64 s[8:9], 0
                                        ; implicit-def: $vgpr4
	s_and_saveexec_b64 s[10:11], vcc
	s_xor_b64 s[10:11], exec, s[10:11]
	s_cbranch_execz .LBB97_2154
; %bb.2044:
	v_bfe_u32 v4, v3, 20, 1
	s_mov_b32 s13, 0x487ffff
	v_add3_u32 v4, v3, v4, s13
	s_mov_b64 s[8:9], exec
	v_lshrrev_b32_e32 v4, 20, v4
	s_andn2_saveexec_b64 s[10:11], s[10:11]
	s_cbranch_execnz .LBB97_2155
.LBB97_2045:
	s_or_b64 exec, exec, s[10:11]
	v_mov_b32_e32 v5, 0
	s_and_saveexec_b64 s[10:11], s[8:9]
.LBB97_2046:
	v_lshrrev_b32_e32 v3, 24, v3
	s_movk_i32 s8, 0x80
	v_and_or_b32 v5, v3, s8, v4
.LBB97_2047:
	s_or_b64 exec, exec, s[10:11]
.LBB97_2048:
	s_or_b64 exec, exec, s[6:7]
	global_store_byte v[0:1], v5, off
.LBB97_2049:
	s_mov_b64 s[6:7], 0
.LBB97_2050:
	s_and_b64 vcc, exec, s[6:7]
	s_cbranch_vccz .LBB97_2090
; %bb.2051:
	s_cmp_gt_i32 s12, 22
	s_mov_b64 s[4:5], -1
	s_cbranch_scc0 .LBB97_2083
; %bb.2052:
	s_cmp_lt_i32 s12, 24
	s_cbranch_scc1 .LBB97_2072
; %bb.2053:
	s_cmp_gt_i32 s12, 24
	s_cbranch_scc0 .LBB97_2061
; %bb.2054:
	v_cvt_f32_f16_e32 v3, v2
	s_mov_b32 s4, 0x47800000
	v_mov_b32_e32 v5, 0x80
	v_and_b32_e32 v4, 0x7fffffff, v3
	v_cmp_gt_u32_e32 vcc, s4, v4
	s_and_saveexec_b64 s[4:5], vcc
	s_cbranch_execz .LBB97_2060
; %bb.2055:
	s_mov_b32 s6, 0x37ffffff
	v_cmp_lt_u32_e32 vcc, s6, v4
	s_mov_b64 s[6:7], 0
                                        ; implicit-def: $vgpr4
	s_and_saveexec_b64 s[8:9], vcc
	s_xor_b64 s[8:9], exec, s[8:9]
	s_cbranch_execz .LBB97_2157
; %bb.2056:
	v_bfe_u32 v4, v3, 21, 1
	s_mov_b32 s10, 0x88fffff
	v_add3_u32 v4, v3, v4, s10
	s_mov_b64 s[6:7], exec
	v_lshrrev_b32_e32 v4, 21, v4
	s_andn2_saveexec_b64 s[8:9], s[8:9]
	s_cbranch_execnz .LBB97_2158
.LBB97_2057:
	s_or_b64 exec, exec, s[8:9]
	v_mov_b32_e32 v5, 0
	s_and_saveexec_b64 s[8:9], s[6:7]
.LBB97_2058:
	v_lshrrev_b32_e32 v3, 24, v3
	s_movk_i32 s6, 0x80
	v_and_or_b32 v5, v3, s6, v4
.LBB97_2059:
	s_or_b64 exec, exec, s[8:9]
.LBB97_2060:
	s_or_b64 exec, exec, s[4:5]
	s_mov_b64 s[4:5], 0
	global_store_byte v[0:1], v5, off
.LBB97_2061:
	s_and_b64 vcc, exec, s[4:5]
	s_cbranch_vccz .LBB97_2071
; %bb.2062:
	v_cvt_f32_f16_e32 v3, v2
	s_mov_b32 s4, 0x43f00000
                                        ; implicit-def: $vgpr4
	v_and_b32_e32 v5, 0x7fffffff, v3
	v_cmp_gt_u32_e32 vcc, s4, v5
	s_and_saveexec_b64 s[4:5], vcc
	s_xor_b64 s[4:5], exec, s[4:5]
	s_cbranch_execz .LBB97_2068
; %bb.2063:
	s_mov_b32 s6, 0x3c7fffff
	v_cmp_lt_u32_e32 vcc, s6, v5
                                        ; implicit-def: $vgpr4
	s_and_saveexec_b64 s[6:7], vcc
	s_xor_b64 s[6:7], exec, s[6:7]
; %bb.2064:
	v_bfe_u32 v4, v3, 20, 1
	s_mov_b32 s8, 0x407ffff
	v_add3_u32 v4, v3, v4, s8
	v_lshrrev_b32_e32 v5, 20, v4
	v_and_b32_e32 v4, 0xff00000, v4
	s_mov_b32 s8, 0x7f00000
	v_mov_b32_e32 v6, 0x7e
	v_cmp_ne_u32_e32 vcc, s8, v4
	s_nop 1
	v_cndmask_b32_e32 v4, v6, v5, vcc
; %bb.2065:
	s_andn2_saveexec_b64 s[6:7], s[6:7]
; %bb.2066:
	s_mov_b32 s8, 0x46800000
	v_add_f32_e64 v4, |v3|, s8
; %bb.2067:
	s_or_b64 exec, exec, s[6:7]
                                        ; implicit-def: $vgpr5
.LBB97_2068:
	s_andn2_saveexec_b64 s[4:5], s[4:5]
; %bb.2069:
	s_mov_b32 s6, 0x7f800000
	v_mov_b32_e32 v4, 0x7e
	v_mov_b32_e32 v6, 0x7f
	v_cmp_lt_u32_e32 vcc, s6, v5
	s_nop 1
	v_cndmask_b32_e32 v4, v4, v6, vcc
; %bb.2070:
	s_or_b64 exec, exec, s[4:5]
	v_lshrrev_b32_e32 v3, 24, v3
	s_movk_i32 s4, 0x80
	v_and_or_b32 v3, v3, s4, v4
	global_store_byte v[0:1], v3, off
.LBB97_2071:
	s_mov_b64 s[4:5], 0
.LBB97_2072:
	s_andn2_b64 vcc, exec, s[4:5]
	s_cbranch_vccnz .LBB97_2082
; %bb.2073:
	v_cvt_f32_f16_e32 v3, v2
	s_mov_b32 s4, 0x47800000
                                        ; implicit-def: $vgpr4
	v_and_b32_e32 v5, 0x7fffffff, v3
	v_cmp_gt_u32_e32 vcc, s4, v5
	s_and_saveexec_b64 s[4:5], vcc
	s_xor_b64 s[4:5], exec, s[4:5]
	s_cbranch_execz .LBB97_2079
; %bb.2074:
	s_mov_b32 s6, 0x387fffff
	v_cmp_lt_u32_e32 vcc, s6, v5
                                        ; implicit-def: $vgpr4
	s_and_saveexec_b64 s[6:7], vcc
	s_xor_b64 s[6:7], exec, s[6:7]
; %bb.2075:
	v_bfe_u32 v4, v3, 21, 1
	s_mov_b32 s8, 0x80fffff
	v_add3_u32 v4, v3, v4, s8
	v_lshrrev_b32_e32 v4, 21, v4
; %bb.2076:
	s_andn2_saveexec_b64 s[6:7], s[6:7]
; %bb.2077:
	s_mov_b32 s8, 0x43000000
	v_add_f32_e64 v4, |v3|, s8
; %bb.2078:
	s_or_b64 exec, exec, s[6:7]
                                        ; implicit-def: $vgpr5
.LBB97_2079:
	s_andn2_saveexec_b64 s[4:5], s[4:5]
; %bb.2080:
	s_mov_b32 s6, 0x7f800000
	v_mov_b32_e32 v4, 0x7c
	v_mov_b32_e32 v6, 0x7f
	v_cmp_lt_u32_e32 vcc, s6, v5
	s_nop 1
	v_cndmask_b32_e32 v4, v4, v6, vcc
; %bb.2081:
	s_or_b64 exec, exec, s[4:5]
	v_lshrrev_b32_e32 v3, 24, v3
	s_movk_i32 s4, 0x80
	v_and_or_b32 v3, v3, s4, v4
	global_store_byte v[0:1], v3, off
.LBB97_2082:
	s_mov_b64 s[4:5], 0
.LBB97_2083:
	s_andn2_b64 vcc, exec, s[4:5]
	s_mov_b64 s[4:5], 0
	s_cbranch_vccnz .LBB97_2090
; %bb.2084:
	s_cmp_gt_i32 s12, 14
	s_mov_b64 s[6:7], -1
	s_cbranch_scc0 .LBB97_2088
; %bb.2085:
	s_cmp_eq_u32 s12, 15
	s_mov_b64 s[0:1], -1
	s_cbranch_scc0 .LBB97_2087
; %bb.2086:
	v_cvt_f32_f16_e32 v3, v2
	s_movk_i32 s0, 0x7fff
	v_cmp_o_f16_e32 vcc, v2, v2
	v_mov_b32_e32 v4, 0x7fc0
	v_bfe_u32 v5, v3, 16, 1
	v_add3_u32 v3, v3, v5, s0
	v_cndmask_b32_sdwa v3, v4, v3, vcc dst_sel:DWORD dst_unused:UNUSED_PAD src0_sel:DWORD src1_sel:WORD_1
	global_store_short v[0:1], v3, off
	s_mov_b64 s[0:1], 0
.LBB97_2087:
	s_mov_b64 s[6:7], 0
.LBB97_2088:
	s_and_b64 vcc, exec, s[6:7]
	s_cbranch_vccz .LBB97_2090
; %bb.2089:
	s_cmp_lg_u32 s12, 11
	s_mov_b64 s[4:5], -1
	s_cselect_b64 s[0:1], -1, 0
.LBB97_2090:
	s_and_b64 vcc, exec, s[0:1]
	s_cbranch_vccnz .LBB97_2156
.LBB97_2091:
	s_mov_b64 s[0:1], 0
	s_branch .LBB97_2093
.LBB97_2092:
	s_mov_b64 s[0:1], 0
	s_mov_b64 s[4:5], 0
                                        ; implicit-def: $vgpr0_vgpr1
                                        ; implicit-def: $sgpr14
                                        ; implicit-def: $vgpr2
.LBB97_2093:
	s_and_b64 s[6:7], s[0:1], exec
	s_andn2_b64 s[0:1], s[24:25], exec
	s_and_b64 s[2:3], s[2:3], exec
	s_and_b64 s[40:41], s[4:5], exec
	s_or_b64 s[24:25], s[0:1], s[2:3]
.LBB97_2094:
	s_or_b64 exec, exec, s[26:27]
	s_and_saveexec_b64 s[0:1], s[24:25]
	s_cbranch_execz .LBB97_2097
; %bb.2095:
	; divergent unreachable
	s_or_b64 exec, exec, s[0:1]
	s_and_saveexec_b64 s[0:1], s[40:41]
	s_xor_b64 s[0:1], exec, s[0:1]
	s_cbranch_execnz .LBB97_2098
.LBB97_2096:
	s_or_b64 exec, exec, s[0:1]
	s_and_saveexec_b64 s[0:1], s[6:7]
	s_cbranch_execnz .LBB97_2099
	s_branch .LBB97_2136
.LBB97_2097:
	s_or_b64 exec, exec, s[0:1]
	s_and_saveexec_b64 s[0:1], s[40:41]
	s_xor_b64 s[0:1], exec, s[0:1]
	s_cbranch_execz .LBB97_2096
.LBB97_2098:
	v_cmp_neq_f16_e32 vcc, 0, v2
	s_waitcnt vmcnt(0)
	s_nop 0
	v_cndmask_b32_e64 v3, 0, 1, vcc
	global_store_byte v[0:1], v3, off
	s_or_b64 exec, exec, s[0:1]
	s_and_saveexec_b64 s[0:1], s[6:7]
	s_cbranch_execz .LBB97_2136
.LBB97_2099:
	s_sext_i32_i16 s2, s14
	s_cmp_lt_i32 s2, 5
	s_mov_b64 s[0:1], -1
	s_cbranch_scc1 .LBB97_2120
; %bb.2100:
	s_cmp_lt_i32 s2, 8
	s_cbranch_scc1 .LBB97_2110
; %bb.2101:
	s_cmp_lt_i32 s2, 9
	s_cbranch_scc1 .LBB97_2107
; %bb.2102:
	s_cmp_gt_i32 s2, 9
	s_cbranch_scc0 .LBB97_2104
; %bb.2103:
	s_waitcnt vmcnt(0)
	v_cvt_f32_f16_e32 v3, v2
	v_mov_b32_e32 v6, 0
	v_mov_b32_e32 v7, v6
	s_mov_b64 s[0:1], 0
	v_cvt_f64_f32_e32 v[4:5], v3
	global_store_dwordx4 v[0:1], v[4:7], off
.LBB97_2104:
	s_andn2_b64 vcc, exec, s[0:1]
	s_cbranch_vccnz .LBB97_2106
; %bb.2105:
	v_cvt_f32_f16_e32 v4, v2
	v_mov_b32_e32 v5, 0
	s_waitcnt vmcnt(0)
	global_store_dwordx2 v[0:1], v[4:5], off
.LBB97_2106:
	s_mov_b64 s[0:1], 0
.LBB97_2107:
	s_andn2_b64 vcc, exec, s[0:1]
	s_cbranch_vccnz .LBB97_2109
; %bb.2108:
	s_waitcnt vmcnt(0)
	v_and_b32_e32 v3, 0xffff, v2
	global_store_dword v[0:1], v3, off
.LBB97_2109:
	s_mov_b64 s[0:1], 0
.LBB97_2110:
	s_andn2_b64 vcc, exec, s[0:1]
	s_cbranch_vccnz .LBB97_2119
; %bb.2111:
	s_sext_i32_i16 s2, s14
	s_cmp_lt_i32 s2, 6
	s_mov_b64 s[0:1], -1
	s_cbranch_scc1 .LBB97_2117
; %bb.2112:
	s_cmp_gt_i32 s2, 6
	s_cbranch_scc0 .LBB97_2114
; %bb.2113:
	s_waitcnt vmcnt(0)
	v_cvt_f32_f16_e32 v3, v2
	s_mov_b64 s[0:1], 0
	v_cvt_f64_f32_e32 v[4:5], v3
	global_store_dwordx2 v[0:1], v[4:5], off
.LBB97_2114:
	s_andn2_b64 vcc, exec, s[0:1]
	s_cbranch_vccnz .LBB97_2116
; %bb.2115:
	s_waitcnt vmcnt(0)
	v_cvt_f32_f16_e32 v3, v2
	global_store_dword v[0:1], v3, off
.LBB97_2116:
	s_mov_b64 s[0:1], 0
.LBB97_2117:
	s_andn2_b64 vcc, exec, s[0:1]
	s_cbranch_vccnz .LBB97_2119
; %bb.2118:
	s_waitcnt vmcnt(0)
	global_store_short v[0:1], v2, off
.LBB97_2119:
	s_mov_b64 s[0:1], 0
.LBB97_2120:
	s_andn2_b64 vcc, exec, s[0:1]
	s_cbranch_vccnz .LBB97_2136
; %bb.2121:
	s_sext_i32_i16 s2, s14
	s_cmp_lt_i32 s2, 2
	s_mov_b64 s[0:1], -1
	s_cbranch_scc1 .LBB97_2131
; %bb.2122:
	s_cmp_lt_i32 s2, 3
	s_cbranch_scc1 .LBB97_2128
; %bb.2123:
	s_cmp_gt_i32 s2, 3
	s_cbranch_scc0 .LBB97_2125
; %bb.2124:
	s_waitcnt vmcnt(0)
	v_cvt_f32_f16_e32 v3, v2
	s_mov_b64 s[0:1], 0
	v_cvt_i32_f32_e32 v4, v3
	v_ashrrev_i32_e32 v5, 31, v4
	global_store_dwordx2 v[0:1], v[4:5], off
.LBB97_2125:
	s_andn2_b64 vcc, exec, s[0:1]
	s_cbranch_vccnz .LBB97_2127
; %bb.2126:
	s_waitcnt vmcnt(0)
	v_cvt_f32_f16_e32 v3, v2
	v_cvt_i32_f32_e32 v3, v3
	global_store_dword v[0:1], v3, off
.LBB97_2127:
	s_mov_b64 s[0:1], 0
.LBB97_2128:
	s_andn2_b64 vcc, exec, s[0:1]
	s_cbranch_vccnz .LBB97_2130
; %bb.2129:
	s_waitcnt vmcnt(0)
	v_cvt_i16_f16_e32 v3, v2
	global_store_short v[0:1], v3, off
.LBB97_2130:
	s_mov_b64 s[0:1], 0
.LBB97_2131:
	s_andn2_b64 vcc, exec, s[0:1]
	s_cbranch_vccnz .LBB97_2136
; %bb.2132:
	s_sext_i32_i16 s0, s14
	s_cmp_gt_i32 s0, 0
	s_mov_b64 s[0:1], -1
	s_cbranch_scc0 .LBB97_2134
; %bb.2133:
	s_waitcnt vmcnt(0)
	v_cvt_i16_f16_e32 v3, v2
	global_store_byte v[0:1], v3, off
	s_mov_b64 s[0:1], 0
.LBB97_2134:
	s_andn2_b64 vcc, exec, s[0:1]
	s_cbranch_vccnz .LBB97_2136
; %bb.2135:
	v_cvt_f32_f16_e32 v2, v2
	v_cvt_i32_f32_e32 v2, v2
	s_waitcnt vmcnt(0)
	global_store_byte v[0:1], v2, off
	s_endpgm
.LBB97_2136:
	s_endpgm
.LBB97_2137:
	s_mov_b64 s[4:5], 0
	s_mov_b64 s[0:1], -1
	s_branch .LBB97_2093
.LBB97_2138:
	s_trap 2
	s_or_b64 s[2:3], s[2:3], exec
	s_cbranch_execz .LBB97_1607
	s_branch .LBB97_1608
.LBB97_2139:
	s_andn2_saveexec_b64 s[12:13], s[12:13]
	s_cbranch_execz .LBB97_1687
.LBB97_2140:
	s_mov_b32 s17, 0x46000000
	v_add_f32_e64 v8, |v5|, s17
	v_and_b32_e32 v8, 0xff, v8
	v_cmp_ne_u32_e32 vcc, 0, v8
	s_andn2_b64 s[10:11], s[10:11], exec
	s_and_b64 s[18:19], vcc, exec
	s_or_b64 s[10:11], s[10:11], s[18:19]
	s_or_b64 exec, exec, s[12:13]
	v_mov_b32_e32 v9, 0
	s_and_saveexec_b64 s[12:13], s[10:11]
	s_cbranch_execnz .LBB97_1688
	s_branch .LBB97_1689
.LBB97_2141:
	s_trap 2
	s_or_b64 s[2:3], s[2:3], exec
	s_cbranch_execz .LBB97_1735
	s_branch .LBB97_1736
.LBB97_2142:
	s_andn2_saveexec_b64 s[10:11], s[10:11]
	s_cbranch_execz .LBB97_1700
.LBB97_2143:
	s_mov_b32 s12, 0x42800000
	v_add_f32_e64 v8, |v5|, s12
	v_and_b32_e32 v8, 0xff, v8
	v_cmp_ne_u32_e32 vcc, 0, v8
	s_andn2_b64 s[8:9], s[8:9], exec
	s_and_b64 s[12:13], vcc, exec
	s_or_b64 s[8:9], s[8:9], s[12:13]
	s_or_b64 exec, exec, s[10:11]
	v_mov_b32_e32 v9, 0
	s_and_saveexec_b64 s[10:11], s[8:9]
	s_cbranch_execnz .LBB97_1701
	s_branch .LBB97_1702
.LBB97_2144:
	s_andn2_saveexec_b64 s[12:13], s[12:13]
	s_cbranch_execz .LBB97_1806
.LBB97_2145:
	s_mov_b32 s16, 0x46000000
	v_add_f32_e64 v6, |v3|, s16
	v_and_b32_e32 v6, 0xff, v6
	v_cmp_ne_u32_e32 vcc, 0, v6
	s_andn2_b64 s[10:11], s[10:11], exec
	s_and_b64 s[16:17], vcc, exec
	s_or_b64 s[10:11], s[10:11], s[16:17]
	s_or_b64 exec, exec, s[12:13]
	v_mov_b32_e32 v7, 0
	s_and_saveexec_b64 s[12:13], s[10:11]
	s_cbranch_execnz .LBB97_1807
	s_branch .LBB97_1808
.LBB97_2146:
	s_trap 2
	s_or_b64 s[2:3], s[2:3], exec
	s_cbranch_execz .LBB97_1854
	s_branch .LBB97_1855
.LBB97_2147:
	s_andn2_saveexec_b64 s[10:11], s[10:11]
	s_cbranch_execz .LBB97_1819
.LBB97_2148:
	s_mov_b32 s12, 0x42800000
	v_add_f32_e64 v6, |v3|, s12
	v_and_b32_e32 v6, 0xff, v6
	v_cmp_ne_u32_e32 vcc, 0, v6
	s_andn2_b64 s[8:9], s[8:9], exec
	s_and_b64 s[12:13], vcc, exec
	s_or_b64 s[8:9], s[8:9], s[12:13]
	s_or_b64 exec, exec, s[10:11]
	v_mov_b32_e32 v7, 0
	s_and_saveexec_b64 s[10:11], s[8:9]
	s_cbranch_execnz .LBB97_1820
	s_branch .LBB97_1821
.LBB97_2149:
	s_andn2_saveexec_b64 s[12:13], s[12:13]
	s_cbranch_execz .LBB97_1925
.LBB97_2150:
	s_mov_b32 s16, 0x46000000
	v_add_f32_e64 v5, |v4|, s16
	v_and_b32_e32 v5, 0xff, v5
	v_cmp_ne_u32_e32 vcc, 0, v5
	s_andn2_b64 s[10:11], s[10:11], exec
	s_and_b64 s[16:17], vcc, exec
	s_or_b64 s[10:11], s[10:11], s[16:17]
	s_or_b64 exec, exec, s[12:13]
	v_mov_b32_e32 v6, 0
	s_and_saveexec_b64 s[12:13], s[10:11]
	s_cbranch_execnz .LBB97_1926
	s_branch .LBB97_1927
.LBB97_2151:
	s_trap 2
	s_or_b64 s[2:3], s[2:3], exec
	s_cbranch_execz .LBB97_1973
	s_branch .LBB97_1974
.LBB97_2152:
	s_andn2_saveexec_b64 s[10:11], s[10:11]
	s_cbranch_execz .LBB97_1938
.LBB97_2153:
	s_mov_b32 s12, 0x42800000
	v_add_f32_e64 v5, |v4|, s12
	v_and_b32_e32 v5, 0xff, v5
	v_cmp_ne_u32_e32 vcc, 0, v5
	s_andn2_b64 s[8:9], s[8:9], exec
	s_and_b64 s[12:13], vcc, exec
	s_or_b64 s[8:9], s[8:9], s[12:13]
	s_or_b64 exec, exec, s[10:11]
	v_mov_b32_e32 v6, 0
	s_and_saveexec_b64 s[10:11], s[8:9]
	s_cbranch_execnz .LBB97_1939
	s_branch .LBB97_1940
.LBB97_2154:
	s_andn2_saveexec_b64 s[10:11], s[10:11]
	s_cbranch_execz .LBB97_2045
.LBB97_2155:
	s_mov_b32 s13, 0x46000000
	v_add_f32_e64 v4, |v3|, s13
	v_and_b32_e32 v4, 0xff, v4
	v_cmp_ne_u32_e32 vcc, 0, v4
	s_andn2_b64 s[8:9], s[8:9], exec
	s_and_b64 s[16:17], vcc, exec
	s_or_b64 s[8:9], s[8:9], s[16:17]
	s_or_b64 exec, exec, s[10:11]
	v_mov_b32_e32 v5, 0
	s_and_saveexec_b64 s[10:11], s[8:9]
	s_cbranch_execnz .LBB97_2046
	s_branch .LBB97_2047
.LBB97_2156:
	s_mov_b64 s[4:5], 0
	s_or_b64 s[2:3], s[2:3], exec
	s_trap 2
	s_branch .LBB97_2091
.LBB97_2157:
	s_andn2_saveexec_b64 s[8:9], s[8:9]
	s_cbranch_execz .LBB97_2057
.LBB97_2158:
	s_mov_b32 s10, 0x42800000
	v_add_f32_e64 v4, |v3|, s10
	v_and_b32_e32 v4, 0xff, v4
	v_cmp_ne_u32_e32 vcc, 0, v4
	s_andn2_b64 s[6:7], s[6:7], exec
	s_and_b64 s[10:11], vcc, exec
	s_or_b64 s[6:7], s[6:7], s[10:11]
	s_or_b64 exec, exec, s[8:9]
	v_mov_b32_e32 v5, 0
	s_and_saveexec_b64 s[8:9], s[6:7]
	s_cbranch_execnz .LBB97_2058
	s_branch .LBB97_2059
	.section	.rodata,"a",@progbits
	.p2align	6, 0x0
	.amdhsa_kernel _ZN2at6native32elementwise_kernel_manual_unrollILi128ELi4EZNS0_15gpu_kernel_implIZZZNS0_15exp_kernel_cudaERNS_18TensorIteratorBaseEENKUlvE0_clEvENKUlvE1_clEvEUlN3c104HalfEE_EEvS4_RKT_EUlibE0_EEviT1_
		.amdhsa_group_segment_fixed_size 0
		.amdhsa_private_segment_fixed_size 0
		.amdhsa_kernarg_size 360
		.amdhsa_user_sgpr_count 2
		.amdhsa_user_sgpr_dispatch_ptr 0
		.amdhsa_user_sgpr_queue_ptr 0
		.amdhsa_user_sgpr_kernarg_segment_ptr 1
		.amdhsa_user_sgpr_dispatch_id 0
		.amdhsa_user_sgpr_kernarg_preload_length 0
		.amdhsa_user_sgpr_kernarg_preload_offset 0
		.amdhsa_user_sgpr_private_segment_size 0
		.amdhsa_uses_dynamic_stack 0
		.amdhsa_enable_private_segment 0
		.amdhsa_system_sgpr_workgroup_id_x 1
		.amdhsa_system_sgpr_workgroup_id_y 0
		.amdhsa_system_sgpr_workgroup_id_z 0
		.amdhsa_system_sgpr_workgroup_info 0
		.amdhsa_system_vgpr_workitem_id 0
		.amdhsa_next_free_vgpr 18
		.amdhsa_next_free_sgpr 78
		.amdhsa_accum_offset 20
		.amdhsa_reserve_vcc 1
		.amdhsa_float_round_mode_32 0
		.amdhsa_float_round_mode_16_64 0
		.amdhsa_float_denorm_mode_32 3
		.amdhsa_float_denorm_mode_16_64 3
		.amdhsa_dx10_clamp 1
		.amdhsa_ieee_mode 1
		.amdhsa_fp16_overflow 0
		.amdhsa_tg_split 0
		.amdhsa_exception_fp_ieee_invalid_op 0
		.amdhsa_exception_fp_denorm_src 0
		.amdhsa_exception_fp_ieee_div_zero 0
		.amdhsa_exception_fp_ieee_overflow 0
		.amdhsa_exception_fp_ieee_underflow 0
		.amdhsa_exception_fp_ieee_inexact 0
		.amdhsa_exception_int_div_zero 0
	.end_amdhsa_kernel
	.section	.text._ZN2at6native32elementwise_kernel_manual_unrollILi128ELi4EZNS0_15gpu_kernel_implIZZZNS0_15exp_kernel_cudaERNS_18TensorIteratorBaseEENKUlvE0_clEvENKUlvE1_clEvEUlN3c104HalfEE_EEvS4_RKT_EUlibE0_EEviT1_,"axG",@progbits,_ZN2at6native32elementwise_kernel_manual_unrollILi128ELi4EZNS0_15gpu_kernel_implIZZZNS0_15exp_kernel_cudaERNS_18TensorIteratorBaseEENKUlvE0_clEvENKUlvE1_clEvEUlN3c104HalfEE_EEvS4_RKT_EUlibE0_EEviT1_,comdat
.Lfunc_end97:
	.size	_ZN2at6native32elementwise_kernel_manual_unrollILi128ELi4EZNS0_15gpu_kernel_implIZZZNS0_15exp_kernel_cudaERNS_18TensorIteratorBaseEENKUlvE0_clEvENKUlvE1_clEvEUlN3c104HalfEE_EEvS4_RKT_EUlibE0_EEviT1_, .Lfunc_end97-_ZN2at6native32elementwise_kernel_manual_unrollILi128ELi4EZNS0_15gpu_kernel_implIZZZNS0_15exp_kernel_cudaERNS_18TensorIteratorBaseEENKUlvE0_clEvENKUlvE1_clEvEUlN3c104HalfEE_EEvS4_RKT_EUlibE0_EEviT1_
                                        ; -- End function
	.set _ZN2at6native32elementwise_kernel_manual_unrollILi128ELi4EZNS0_15gpu_kernel_implIZZZNS0_15exp_kernel_cudaERNS_18TensorIteratorBaseEENKUlvE0_clEvENKUlvE1_clEvEUlN3c104HalfEE_EEvS4_RKT_EUlibE0_EEviT1_.num_vgpr, 18
	.set _ZN2at6native32elementwise_kernel_manual_unrollILi128ELi4EZNS0_15gpu_kernel_implIZZZNS0_15exp_kernel_cudaERNS_18TensorIteratorBaseEENKUlvE0_clEvENKUlvE1_clEvEUlN3c104HalfEE_EEvS4_RKT_EUlibE0_EEviT1_.num_agpr, 0
	.set _ZN2at6native32elementwise_kernel_manual_unrollILi128ELi4EZNS0_15gpu_kernel_implIZZZNS0_15exp_kernel_cudaERNS_18TensorIteratorBaseEENKUlvE0_clEvENKUlvE1_clEvEUlN3c104HalfEE_EEvS4_RKT_EUlibE0_EEviT1_.numbered_sgpr, 78
	.set _ZN2at6native32elementwise_kernel_manual_unrollILi128ELi4EZNS0_15gpu_kernel_implIZZZNS0_15exp_kernel_cudaERNS_18TensorIteratorBaseEENKUlvE0_clEvENKUlvE1_clEvEUlN3c104HalfEE_EEvS4_RKT_EUlibE0_EEviT1_.num_named_barrier, 0
	.set _ZN2at6native32elementwise_kernel_manual_unrollILi128ELi4EZNS0_15gpu_kernel_implIZZZNS0_15exp_kernel_cudaERNS_18TensorIteratorBaseEENKUlvE0_clEvENKUlvE1_clEvEUlN3c104HalfEE_EEvS4_RKT_EUlibE0_EEviT1_.private_seg_size, 0
	.set _ZN2at6native32elementwise_kernel_manual_unrollILi128ELi4EZNS0_15gpu_kernel_implIZZZNS0_15exp_kernel_cudaERNS_18TensorIteratorBaseEENKUlvE0_clEvENKUlvE1_clEvEUlN3c104HalfEE_EEvS4_RKT_EUlibE0_EEviT1_.uses_vcc, 1
	.set _ZN2at6native32elementwise_kernel_manual_unrollILi128ELi4EZNS0_15gpu_kernel_implIZZZNS0_15exp_kernel_cudaERNS_18TensorIteratorBaseEENKUlvE0_clEvENKUlvE1_clEvEUlN3c104HalfEE_EEvS4_RKT_EUlibE0_EEviT1_.uses_flat_scratch, 0
	.set _ZN2at6native32elementwise_kernel_manual_unrollILi128ELi4EZNS0_15gpu_kernel_implIZZZNS0_15exp_kernel_cudaERNS_18TensorIteratorBaseEENKUlvE0_clEvENKUlvE1_clEvEUlN3c104HalfEE_EEvS4_RKT_EUlibE0_EEviT1_.has_dyn_sized_stack, 0
	.set _ZN2at6native32elementwise_kernel_manual_unrollILi128ELi4EZNS0_15gpu_kernel_implIZZZNS0_15exp_kernel_cudaERNS_18TensorIteratorBaseEENKUlvE0_clEvENKUlvE1_clEvEUlN3c104HalfEE_EEvS4_RKT_EUlibE0_EEviT1_.has_recursion, 0
	.set _ZN2at6native32elementwise_kernel_manual_unrollILi128ELi4EZNS0_15gpu_kernel_implIZZZNS0_15exp_kernel_cudaERNS_18TensorIteratorBaseEENKUlvE0_clEvENKUlvE1_clEvEUlN3c104HalfEE_EEvS4_RKT_EUlibE0_EEviT1_.has_indirect_call, 0
	.section	.AMDGPU.csdata,"",@progbits
; Kernel info:
; codeLenInByte = 42544
; TotalNumSgprs: 84
; NumVgprs: 18
; NumAgprs: 0
; TotalNumVgprs: 18
; ScratchSize: 0
; MemoryBound: 0
; FloatMode: 240
; IeeeMode: 1
; LDSByteSize: 0 bytes/workgroup (compile time only)
; SGPRBlocks: 10
; VGPRBlocks: 2
; NumSGPRsForWavesPerEU: 84
; NumVGPRsForWavesPerEU: 18
; AccumOffset: 20
; Occupancy: 8
; WaveLimiterHint : 1
; COMPUTE_PGM_RSRC2:SCRATCH_EN: 0
; COMPUTE_PGM_RSRC2:USER_SGPR: 2
; COMPUTE_PGM_RSRC2:TRAP_HANDLER: 0
; COMPUTE_PGM_RSRC2:TGID_X_EN: 1
; COMPUTE_PGM_RSRC2:TGID_Y_EN: 0
; COMPUTE_PGM_RSRC2:TGID_Z_EN: 0
; COMPUTE_PGM_RSRC2:TIDIG_COMP_CNT: 0
; COMPUTE_PGM_RSRC3_GFX90A:ACCUM_OFFSET: 4
; COMPUTE_PGM_RSRC3_GFX90A:TG_SPLIT: 0
	.section	.text._ZN2at6native29vectorized_elementwise_kernelILi16EZZZNS0_15exp_kernel_cudaERNS_18TensorIteratorBaseEENKUlvE0_clEvENKUlvE2_clEvEUlN3c108BFloat16EE_St5arrayIPcLm2EEEEviT0_T1_,"axG",@progbits,_ZN2at6native29vectorized_elementwise_kernelILi16EZZZNS0_15exp_kernel_cudaERNS_18TensorIteratorBaseEENKUlvE0_clEvENKUlvE2_clEvEUlN3c108BFloat16EE_St5arrayIPcLm2EEEEviT0_T1_,comdat
	.globl	_ZN2at6native29vectorized_elementwise_kernelILi16EZZZNS0_15exp_kernel_cudaERNS_18TensorIteratorBaseEENKUlvE0_clEvENKUlvE2_clEvEUlN3c108BFloat16EE_St5arrayIPcLm2EEEEviT0_T1_ ; -- Begin function _ZN2at6native29vectorized_elementwise_kernelILi16EZZZNS0_15exp_kernel_cudaERNS_18TensorIteratorBaseEENKUlvE0_clEvENKUlvE2_clEvEUlN3c108BFloat16EE_St5arrayIPcLm2EEEEviT0_T1_
	.p2align	8
	.type	_ZN2at6native29vectorized_elementwise_kernelILi16EZZZNS0_15exp_kernel_cudaERNS_18TensorIteratorBaseEENKUlvE0_clEvENKUlvE2_clEvEUlN3c108BFloat16EE_St5arrayIPcLm2EEEEviT0_T1_,@function
_ZN2at6native29vectorized_elementwise_kernelILi16EZZZNS0_15exp_kernel_cudaERNS_18TensorIteratorBaseEENKUlvE0_clEvENKUlvE2_clEvEUlN3c108BFloat16EE_St5arrayIPcLm2EEEEviT0_T1_: ; @_ZN2at6native29vectorized_elementwise_kernelILi16EZZZNS0_15exp_kernel_cudaERNS_18TensorIteratorBaseEENKUlvE0_clEvENKUlvE2_clEvEUlN3c108BFloat16EE_St5arrayIPcLm2EEEEviT0_T1_
; %bb.0:
	s_load_dword s3, s[0:1], 0x0
	s_load_dwordx4 s[4:7], s[0:1], 0x8
	s_lshl_b32 s2, s2, 11
	s_mov_b64 s[0:1], -1
	s_waitcnt lgkmcnt(0)
	s_sub_i32 s10, s3, s2
	s_cmpk_gt_i32 s10, 0x7ff
	s_cbranch_scc0 .LBB98_2
; %bb.1:
	s_ashr_i32 s3, s2, 31
	s_lshl_b64 s[0:1], s[2:3], 1
	s_add_u32 s8, s6, s0
	s_addc_u32 s9, s7, s1
	v_lshlrev_b32_e32 v1, 4, v0
	global_load_dwordx4 v[2:5], v1, s[8:9]
	s_mov_b32 s3, 0x3fb8aa3b
	s_mov_b32 s8, 0xc2ce8ed0
	;; [unrolled: 1-line block ×3, first 2 shown]
	v_mov_b32_e32 v6, 0x7f800000
	s_add_u32 s0, s4, s0
	s_addc_u32 s1, s5, s1
	s_waitcnt vmcnt(0)
	v_lshlrev_b32_e32 v7, 16, v2
	v_and_b32_e32 v2, 0xffff0000, v2
	v_mul_f32_e32 v11, 0x3fb8aa3b, v7
	v_lshlrev_b32_e32 v8, 16, v3
	v_mul_f32_e32 v12, 0x3fb8aa3b, v2
	v_fma_f32 v18, v7, s3, -v11
	v_rndne_f32_e32 v19, v11
	v_and_b32_e32 v3, 0xffff0000, v3
	v_mul_f32_e32 v13, 0x3fb8aa3b, v8
	v_fma_f32 v20, v2, s3, -v12
	v_rndne_f32_e32 v21, v12
	v_fmac_f32_e32 v18, 0x32a5705f, v7
	v_sub_f32_e32 v11, v11, v19
	v_lshlrev_b32_e32 v9, 16, v4
	v_mul_f32_e32 v14, 0x3fb8aa3b, v3
	v_fma_f32 v22, v8, s3, -v13
	v_rndne_f32_e32 v23, v13
	v_fmac_f32_e32 v20, 0x32a5705f, v2
	v_sub_f32_e32 v12, v12, v21
	v_add_f32_e32 v11, v11, v18
	v_mul_f32_e32 v15, 0x3fb8aa3b, v9
	v_fma_f32 v24, v3, s3, -v14
	v_rndne_f32_e32 v25, v14
	v_cvt_i32_f32_e32 v19, v19
	v_fmac_f32_e32 v22, 0x32a5705f, v8
	v_sub_f32_e32 v13, v13, v23
	v_add_f32_e32 v12, v12, v20
	v_exp_f32_e32 v11, v11
	v_fma_f32 v26, v9, s3, -v15
	v_rndne_f32_e32 v27, v15
	v_cvt_i32_f32_e32 v21, v21
	v_fmac_f32_e32 v24, 0x32a5705f, v3
	v_sub_f32_e32 v14, v14, v25
	v_add_f32_e32 v13, v13, v22
	v_exp_f32_e32 v12, v12
	v_cvt_i32_f32_e32 v23, v23
	v_fmac_f32_e32 v26, 0x32a5705f, v9
	v_sub_f32_e32 v15, v15, v27
	v_add_f32_e32 v14, v14, v24
	v_exp_f32_e32 v13, v13
	v_cvt_i32_f32_e32 v25, v25
	v_add_f32_e32 v15, v15, v26
	v_exp_f32_e32 v14, v14
	v_cvt_i32_f32_e32 v27, v27
	v_exp_f32_e32 v15, v15
	v_ldexp_f32 v11, v11, v19
	v_cmp_ngt_f32_e32 vcc, s8, v7
	v_and_b32_e32 v4, 0xffff0000, v4
	v_ldexp_f32 v12, v12, v21
	v_cndmask_b32_e32 v11, 0, v11, vcc
	v_cmp_ngt_f32_e32 vcc, s8, v2
	v_lshlrev_b32_e32 v10, 16, v5
	v_mul_f32_e32 v16, 0x3fb8aa3b, v4
	v_ldexp_f32 v13, v13, v23
	v_cndmask_b32_e32 v12, 0, v12, vcc
	v_cmp_ngt_f32_e32 vcc, s8, v8
	v_mul_f32_e32 v17, 0x3fb8aa3b, v10
	v_fma_f32 v28, v4, s3, -v16
	v_rndne_f32_e32 v29, v16
	v_ldexp_f32 v14, v14, v25
	v_cndmask_b32_e32 v13, 0, v13, vcc
	v_cmp_ngt_f32_e32 vcc, s8, v3
	v_fma_f32 v30, v10, s3, -v17
	v_rndne_f32_e32 v31, v17
	v_fmac_f32_e32 v28, 0x32a5705f, v4
	v_sub_f32_e32 v16, v16, v29
	v_ldexp_f32 v15, v15, v27
	v_cndmask_b32_e32 v14, 0, v14, vcc
	v_cmp_ngt_f32_e32 vcc, s8, v9
	v_fmac_f32_e32 v30, 0x32a5705f, v10
	v_sub_f32_e32 v17, v17, v31
	v_add_f32_e32 v16, v16, v28
	v_cndmask_b32_e32 v15, 0, v15, vcc
	v_cmp_nlt_f32_e32 vcc, s9, v7
	v_cvt_i32_f32_e32 v29, v29
	v_exp_f32_e32 v16, v16
	v_cndmask_b32_e32 v7, v6, v11, vcc
	v_cmp_nlt_f32_e32 vcc, s9, v2
	v_add_f32_e32 v11, v17, v30
	v_exp_f32_e32 v11, v11
	v_cndmask_b32_e32 v2, v6, v12, vcc
	v_cmp_nlt_f32_e32 vcc, s9, v8
	v_cvt_i32_f32_e32 v12, v31
	v_ldexp_f32 v16, v16, v29
	v_cndmask_b32_e32 v8, v6, v13, vcc
	v_cmp_nlt_f32_e32 vcc, s9, v3
	v_and_b32_e32 v5, 0xffff0000, v5
	v_ldexp_f32 v11, v11, v12
	v_cndmask_b32_e32 v3, v6, v14, vcc
	v_cmp_nlt_f32_e32 vcc, s9, v9
	v_mul_f32_e32 v12, 0x3fb8aa3b, v5
	v_rndne_f32_e32 v14, v12
	v_cndmask_b32_e32 v9, v6, v15, vcc
	v_cmp_ngt_f32_e32 vcc, s8, v4
	s_nop 1
	v_cndmask_b32_e32 v13, 0, v16, vcc
	v_cmp_nlt_f32_e32 vcc, s9, v4
	s_nop 1
	v_cndmask_b32_e32 v4, v6, v13, vcc
	v_fma_f32 v13, v5, s3, -v12
	v_fmac_f32_e32 v13, 0x32a5705f, v5
	v_sub_f32_e32 v12, v12, v14
	v_add_f32_e32 v12, v12, v13
	v_exp_f32_e32 v12, v12
	v_cvt_i32_f32_e32 v13, v14
	v_cmp_ngt_f32_e32 vcc, s8, v10
	s_movk_i32 s3, 0x7fff
	v_mov_b32_e32 v14, 0x7fc0
	v_cndmask_b32_e32 v11, 0, v11, vcc
	v_cmp_nlt_f32_e32 vcc, s9, v10
	s_nop 1
	v_cndmask_b32_e32 v10, v6, v11, vcc
	v_ldexp_f32 v11, v12, v13
	v_cmp_ngt_f32_e32 vcc, s8, v5
	v_bfe_u32 v12, v8, 16, 1
	v_bfe_u32 v13, v3, 16, 1
	v_cndmask_b32_e32 v11, 0, v11, vcc
	v_cmp_nlt_f32_e32 vcc, s9, v5
	v_add3_u32 v12, v8, v12, s3
	v_add3_u32 v13, v3, v13, s3
	v_cndmask_b32_e32 v5, v6, v11, vcc
	v_bfe_u32 v6, v7, 16, 1
	v_bfe_u32 v11, v2, 16, 1
	v_add3_u32 v6, v7, v6, s3
	v_add3_u32 v11, v2, v11, s3
	v_lshrrev_b32_e32 v6, 16, v6
	v_cmp_o_f32_e32 vcc, v7, v7
	v_lshrrev_b32_e32 v11, 16, v11
	v_lshrrev_b32_e32 v12, 16, v12
	v_cndmask_b32_e32 v6, v14, v6, vcc
	v_cmp_o_f32_e32 vcc, v2, v2
	v_lshrrev_b32_e32 v13, 16, v13
	s_nop 0
	v_cndmask_b32_e32 v2, v14, v11, vcc
	v_cmp_o_f32_e32 vcc, v8, v8
	v_bfe_u32 v8, v9, 16, 1
	v_bfe_u32 v11, v4, 16, 1
	v_cndmask_b32_e32 v7, v14, v12, vcc
	v_cmp_o_f32_e32 vcc, v3, v3
	v_add3_u32 v8, v9, v8, s3
	v_bfe_u32 v12, v10, 16, 1
	v_cndmask_b32_e32 v3, v14, v13, vcc
	v_cmp_o_f32_e32 vcc, v9, v9
	v_add3_u32 v11, v4, v11, s3
	v_bfe_u32 v13, v5, 16, 1
	v_cndmask_b32_sdwa v8, v14, v8, vcc dst_sel:DWORD dst_unused:UNUSED_PAD src0_sel:DWORD src1_sel:WORD_1
	v_cmp_o_f32_e32 vcc, v4, v4
	v_add3_u32 v12, v10, v12, s3
	v_add3_u32 v13, v5, v13, s3
	v_cndmask_b32_sdwa v4, v14, v11, vcc dst_sel:DWORD dst_unused:UNUSED_PAD src0_sel:DWORD src1_sel:WORD_1
	v_cmp_o_f32_e32 vcc, v10, v10
	s_mov_b32 s3, 0x5040100
	v_perm_b32 v4, v4, v8, s3
	v_cndmask_b32_sdwa v9, v14, v12, vcc dst_sel:DWORD dst_unused:UNUSED_PAD src0_sel:DWORD src1_sel:WORD_1
	v_cmp_o_f32_e32 vcc, v5, v5
	v_perm_b32 v3, v3, v7, s3
	v_perm_b32 v2, v2, v6, s3
	v_cndmask_b32_sdwa v5, v14, v13, vcc dst_sel:DWORD dst_unused:UNUSED_PAD src0_sel:DWORD src1_sel:WORD_1
	v_perm_b32 v5, v5, v9, s3
	global_store_dwordx4 v1, v[2:5], s[0:1]
	s_mov_b64 s[0:1], 0
.LBB98_2:
	s_andn2_b64 vcc, exec, s[0:1]
	s_cbranch_vccnz .LBB98_41
; %bb.3:
	v_cmp_gt_i32_e64 s[0:1], s10, v0
	v_mov_b32_e32 v1, 1.0
	v_or_b32_e32 v2, s2, v0
	v_mov_b32_e32 v3, 1.0
	v_mov_b32_e32 v4, v0
	s_and_saveexec_b64 s[8:9], s[0:1]
	s_cbranch_execz .LBB98_5
; %bb.4:
	v_mov_b32_e32 v3, 0
	v_lshl_add_u64 v[4:5], v[2:3], 1, s[6:7]
	global_load_ushort v3, v[4:5], off
	s_mov_b32 s3, 0x3fb8aa3b
	s_mov_b32 s11, 0x42b17218
	v_or_b32_e32 v4, 0x100, v0
	s_waitcnt vmcnt(0)
	v_lshlrev_b32_e32 v3, 16, v3
	v_mul_f32_e32 v5, 0x3fb8aa3b, v3
	v_fma_f32 v6, v3, s3, -v5
	v_rndne_f32_e32 v7, v5
	v_fmamk_f32 v6, v3, 0x32a5705f, v6
	v_sub_f32_e32 v5, v5, v7
	v_add_f32_e32 v5, v5, v6
	v_cvt_i32_f32_e32 v7, v7
	v_exp_f32_e32 v5, v5
	s_mov_b32 s3, 0xc2ce8ed0
	v_cmp_ngt_f32_e32 vcc, s3, v3
	v_mov_b32_e32 v6, 0x7f800000
	v_ldexp_f32 v5, v5, v7
	v_cndmask_b32_e32 v5, 0, v5, vcc
	v_cmp_nlt_f32_e32 vcc, s11, v3
	s_nop 1
	v_cndmask_b32_e32 v3, v6, v5, vcc
.LBB98_5:
	s_or_b64 exec, exec, s[8:9]
	v_cmp_gt_i32_e32 vcc, s10, v4
	s_and_saveexec_b64 s[8:9], vcc
	s_cbranch_execz .LBB98_7
; %bb.6:
	v_add_u32_e32 v6, s2, v4
	v_mov_b32_e32 v7, 0
	v_lshl_add_u64 v[6:7], v[6:7], 1, s[6:7]
	global_load_ushort v1, v[6:7], off
	s_mov_b32 s3, 0x3fb8aa3b
	s_mov_b32 s11, 0x42b17218
	v_add_u32_e32 v4, 0x100, v4
	s_waitcnt vmcnt(0)
	v_lshlrev_b32_e32 v1, 16, v1
	v_mul_f32_e32 v5, 0x3fb8aa3b, v1
	v_fma_f32 v6, v1, s3, -v5
	v_rndne_f32_e32 v7, v5
	v_fmamk_f32 v6, v1, 0x32a5705f, v6
	v_sub_f32_e32 v5, v5, v7
	v_add_f32_e32 v5, v5, v6
	v_cvt_i32_f32_e32 v7, v7
	v_exp_f32_e32 v5, v5
	s_mov_b32 s3, 0xc2ce8ed0
	v_cmp_ngt_f32_e32 vcc, s3, v1
	v_mov_b32_e32 v6, 0x7f800000
	v_ldexp_f32 v5, v5, v7
	v_cndmask_b32_e32 v5, 0, v5, vcc
	v_cmp_nlt_f32_e32 vcc, s11, v1
	s_nop 1
	v_cndmask_b32_e32 v1, v6, v5, vcc
.LBB98_7:
	s_or_b64 exec, exec, s[8:9]
	v_cmp_gt_i32_e32 vcc, s10, v4
	v_mov_b32_e32 v5, 1.0
	v_mov_b32_e32 v6, 1.0
	s_and_saveexec_b64 s[8:9], vcc
	s_cbranch_execz .LBB98_9
; %bb.8:
	v_add_u32_e32 v6, s2, v4
	v_mov_b32_e32 v7, 0
	v_lshl_add_u64 v[6:7], v[6:7], 1, s[6:7]
	global_load_ushort v6, v[6:7], off
	s_mov_b32 s3, 0x3fb8aa3b
	s_mov_b32 s11, 0x42b17218
	v_add_u32_e32 v4, 0x100, v4
	s_waitcnt vmcnt(0)
	v_lshlrev_b32_e32 v6, 16, v6
	v_mul_f32_e32 v7, 0x3fb8aa3b, v6
	v_fma_f32 v8, v6, s3, -v7
	v_rndne_f32_e32 v9, v7
	v_fmamk_f32 v8, v6, 0x32a5705f, v8
	v_sub_f32_e32 v7, v7, v9
	v_add_f32_e32 v7, v7, v8
	v_cvt_i32_f32_e32 v9, v9
	v_exp_f32_e32 v7, v7
	s_mov_b32 s3, 0xc2ce8ed0
	v_cmp_ngt_f32_e32 vcc, s3, v6
	v_mov_b32_e32 v8, 0x7f800000
	v_ldexp_f32 v7, v7, v9
	v_cndmask_b32_e32 v7, 0, v7, vcc
	v_cmp_nlt_f32_e32 vcc, s11, v6
	s_nop 1
	v_cndmask_b32_e32 v6, v8, v7, vcc
.LBB98_9:
	s_or_b64 exec, exec, s[8:9]
	v_cmp_gt_i32_e32 vcc, s10, v4
	s_and_saveexec_b64 s[8:9], vcc
	s_cbranch_execz .LBB98_11
; %bb.10:
	v_add_u32_e32 v8, s2, v4
	v_mov_b32_e32 v9, 0
	v_lshl_add_u64 v[8:9], v[8:9], 1, s[6:7]
	global_load_ushort v5, v[8:9], off
	s_mov_b32 s3, 0x3fb8aa3b
	s_mov_b32 s11, 0x42b17218
	v_add_u32_e32 v4, 0x100, v4
	s_waitcnt vmcnt(0)
	v_lshlrev_b32_e32 v5, 16, v5
	v_mul_f32_e32 v7, 0x3fb8aa3b, v5
	v_fma_f32 v8, v5, s3, -v7
	v_rndne_f32_e32 v9, v7
	v_fmamk_f32 v8, v5, 0x32a5705f, v8
	v_sub_f32_e32 v7, v7, v9
	v_add_f32_e32 v7, v7, v8
	v_cvt_i32_f32_e32 v9, v9
	v_exp_f32_e32 v7, v7
	s_mov_b32 s3, 0xc2ce8ed0
	v_cmp_ngt_f32_e32 vcc, s3, v5
	v_mov_b32_e32 v8, 0x7f800000
	v_ldexp_f32 v7, v7, v9
	v_cndmask_b32_e32 v7, 0, v7, vcc
	v_cmp_nlt_f32_e32 vcc, s11, v5
	s_nop 1
	v_cndmask_b32_e32 v5, v8, v7, vcc
.LBB98_11:
	s_or_b64 exec, exec, s[8:9]
	v_cmp_gt_i32_e32 vcc, s10, v4
	v_mov_b32_e32 v7, 1.0
	v_mov_b32_e32 v8, 1.0
	s_and_saveexec_b64 s[8:9], vcc
	s_cbranch_execz .LBB98_13
; %bb.12:
	v_add_u32_e32 v8, s2, v4
	v_mov_b32_e32 v9, 0
	v_lshl_add_u64 v[8:9], v[8:9], 1, s[6:7]
	global_load_ushort v8, v[8:9], off
	s_mov_b32 s3, 0x3fb8aa3b
	s_mov_b32 s11, 0x42b17218
	v_add_u32_e32 v4, 0x100, v4
	s_waitcnt vmcnt(0)
	v_lshlrev_b32_e32 v8, 16, v8
	v_mul_f32_e32 v9, 0x3fb8aa3b, v8
	v_fma_f32 v10, v8, s3, -v9
	v_rndne_f32_e32 v11, v9
	v_fmamk_f32 v10, v8, 0x32a5705f, v10
	v_sub_f32_e32 v9, v9, v11
	v_add_f32_e32 v9, v9, v10
	v_cvt_i32_f32_e32 v11, v11
	v_exp_f32_e32 v9, v9
	s_mov_b32 s3, 0xc2ce8ed0
	v_cmp_ngt_f32_e32 vcc, s3, v8
	v_mov_b32_e32 v10, 0x7f800000
	v_ldexp_f32 v9, v9, v11
	v_cndmask_b32_e32 v9, 0, v9, vcc
	v_cmp_nlt_f32_e32 vcc, s11, v8
	s_nop 1
	v_cndmask_b32_e32 v8, v10, v9, vcc
.LBB98_13:
	s_or_b64 exec, exec, s[8:9]
	v_cmp_gt_i32_e32 vcc, s10, v4
	s_and_saveexec_b64 s[8:9], vcc
	s_cbranch_execz .LBB98_15
; %bb.14:
	v_add_u32_e32 v10, s2, v4
	v_mov_b32_e32 v11, 0
	v_lshl_add_u64 v[10:11], v[10:11], 1, s[6:7]
	global_load_ushort v7, v[10:11], off
	s_mov_b32 s3, 0x3fb8aa3b
	s_mov_b32 s11, 0x42b17218
	v_add_u32_e32 v4, 0x100, v4
	s_waitcnt vmcnt(0)
	v_lshlrev_b32_e32 v7, 16, v7
	v_mul_f32_e32 v9, 0x3fb8aa3b, v7
	v_fma_f32 v10, v7, s3, -v9
	v_rndne_f32_e32 v11, v9
	v_fmamk_f32 v10, v7, 0x32a5705f, v10
	v_sub_f32_e32 v9, v9, v11
	v_add_f32_e32 v9, v9, v10
	v_cvt_i32_f32_e32 v11, v11
	v_exp_f32_e32 v9, v9
	s_mov_b32 s3, 0xc2ce8ed0
	v_cmp_ngt_f32_e32 vcc, s3, v7
	v_mov_b32_e32 v10, 0x7f800000
	v_ldexp_f32 v9, v9, v11
	v_cndmask_b32_e32 v9, 0, v9, vcc
	v_cmp_nlt_f32_e32 vcc, s11, v7
	s_nop 1
	v_cndmask_b32_e32 v7, v10, v9, vcc
.LBB98_15:
	s_or_b64 exec, exec, s[8:9]
	v_cmp_gt_i32_e32 vcc, s10, v4
	v_mov_b32_e32 v9, 1.0
	v_mov_b32_e32 v10, 1.0
	s_and_saveexec_b64 s[8:9], vcc
	s_cbranch_execnz .LBB98_42
; %bb.16:
	s_or_b64 exec, exec, s[8:9]
	v_cmp_gt_i32_e32 vcc, s10, v4
	s_and_saveexec_b64 s[8:9], vcc
	s_cbranch_execnz .LBB98_43
.LBB98_17:
	s_or_b64 exec, exec, s[8:9]
                                        ; implicit-def: $vgpr4
	s_and_saveexec_b64 s[6:7], s[0:1]
.LBB98_18:
	v_bfe_u32 v4, v3, 16, 1
	s_movk_i32 s3, 0x7fff
	v_add3_u32 v4, v3, v4, s3
	v_cmp_o_f32_e32 vcc, v3, v3
	v_mov_b32_e32 v3, 0x7fc0
	s_nop 0
	v_cndmask_b32_sdwa v4, v3, v4, vcc dst_sel:DWORD dst_unused:UNUSED_PAD src0_sel:DWORD src1_sel:WORD_1
.LBB98_19:
	s_or_b64 exec, exec, s[6:7]
	v_or_b32_e32 v12, 0x100, v0
	v_cmp_gt_i32_e32 vcc, s10, v12
                                        ; implicit-def: $vgpr11
	s_and_saveexec_b64 s[6:7], vcc
; %bb.20:
	v_bfe_u32 v3, v1, 16, 1
	s_movk_i32 s3, 0x7fff
	v_add3_u32 v3, v1, v3, s3
	v_cmp_o_f32_e32 vcc, v1, v1
	v_mov_b32_e32 v1, 0x7fc0
	s_nop 0
	v_cndmask_b32_sdwa v11, v1, v3, vcc dst_sel:DWORD dst_unused:UNUSED_PAD src0_sel:DWORD src1_sel:WORD_1
; %bb.21:
	s_or_b64 exec, exec, s[6:7]
	v_or_b32_e32 v1, 0x200, v0
	v_cmp_gt_i32_e32 vcc, s10, v1
                                        ; implicit-def: $vgpr1
	s_and_saveexec_b64 s[6:7], vcc
; %bb.22:
	v_bfe_u32 v1, v6, 16, 1
	s_movk_i32 s3, 0x7fff
	v_add3_u32 v1, v6, v1, s3
	v_cmp_o_f32_e32 vcc, v6, v6
	v_mov_b32_e32 v3, 0x7fc0
	s_nop 0
	v_cndmask_b32_sdwa v1, v3, v1, vcc dst_sel:DWORD dst_unused:UNUSED_PAD src0_sel:DWORD src1_sel:WORD_1
; %bb.23:
	s_or_b64 exec, exec, s[6:7]
	v_or_b32_e32 v3, 0x300, v0
	v_cmp_gt_i32_e32 vcc, s10, v3
                                        ; implicit-def: $vgpr6
	s_and_saveexec_b64 s[6:7], vcc
; %bb.24:
	v_bfe_u32 v3, v5, 16, 1
	s_movk_i32 s3, 0x7fff
	v_add3_u32 v3, v5, v3, s3
	v_cmp_o_f32_e32 vcc, v5, v5
	v_mov_b32_e32 v5, 0x7fc0
	s_nop 0
	v_cndmask_b32_sdwa v6, v5, v3, vcc dst_sel:DWORD dst_unused:UNUSED_PAD src0_sel:DWORD src1_sel:WORD_1
; %bb.25:
	s_or_b64 exec, exec, s[6:7]
	v_or_b32_e32 v3, 0x400, v0
	v_cmp_gt_i32_e32 vcc, s10, v3
                                        ; implicit-def: $vgpr5
	s_and_saveexec_b64 s[6:7], vcc
; %bb.26:
	v_bfe_u32 v3, v8, 16, 1
	s_movk_i32 s3, 0x7fff
	v_add3_u32 v3, v8, v3, s3
	v_cmp_o_f32_e32 vcc, v8, v8
	v_mov_b32_e32 v5, 0x7fc0
	s_nop 0
	v_cndmask_b32_sdwa v5, v5, v3, vcc dst_sel:DWORD dst_unused:UNUSED_PAD src0_sel:DWORD src1_sel:WORD_1
; %bb.27:
	s_or_b64 exec, exec, s[6:7]
	v_or_b32_e32 v3, 0x500, v0
	v_cmp_gt_i32_e32 vcc, s10, v3
                                        ; implicit-def: $vgpr8
	s_and_saveexec_b64 s[6:7], vcc
; %bb.28:
	v_bfe_u32 v3, v7, 16, 1
	s_movk_i32 s3, 0x7fff
	v_add3_u32 v3, v7, v3, s3
	v_cmp_o_f32_e32 vcc, v7, v7
	v_mov_b32_e32 v7, 0x7fc0
	s_nop 0
	v_cndmask_b32_sdwa v8, v7, v3, vcc dst_sel:DWORD dst_unused:UNUSED_PAD src0_sel:DWORD src1_sel:WORD_1
; %bb.29:
	s_or_b64 exec, exec, s[6:7]
	v_or_b32_e32 v3, 0x600, v0
	v_cmp_gt_i32_e32 vcc, s10, v3
                                        ; implicit-def: $vgpr7
	s_and_saveexec_b64 s[6:7], vcc
; %bb.30:
	v_bfe_u32 v3, v10, 16, 1
	s_movk_i32 s3, 0x7fff
	v_add3_u32 v3, v10, v3, s3
	v_cmp_o_f32_e32 vcc, v10, v10
	v_mov_b32_e32 v7, 0x7fc0
	s_nop 0
	v_cndmask_b32_sdwa v7, v7, v3, vcc dst_sel:DWORD dst_unused:UNUSED_PAD src0_sel:DWORD src1_sel:WORD_1
; %bb.31:
	s_or_b64 exec, exec, s[6:7]
	v_or_b32_e32 v3, 0x700, v0
	v_cmp_gt_i32_e32 vcc, s10, v3
                                        ; implicit-def: $vgpr10
	s_and_saveexec_b64 s[6:7], vcc
	s_cbranch_execnz .LBB98_44
; %bb.32:
	s_or_b64 exec, exec, s[6:7]
	s_and_saveexec_b64 s[6:7], s[0:1]
	s_xor_b64 s[0:1], exec, s[6:7]
	s_cbranch_execnz .LBB98_45
.LBB98_33:
	s_or_b64 exec, exec, s[0:1]
	v_cmp_gt_i32_e32 vcc, s10, v0
	s_and_saveexec_b64 s[0:1], vcc
	s_cbranch_execnz .LBB98_46
.LBB98_34:
	s_or_b64 exec, exec, s[0:1]
	v_cmp_gt_i32_e32 vcc, s10, v0
	s_and_saveexec_b64 s[0:1], vcc
	s_cbranch_execnz .LBB98_47
.LBB98_35:
	s_or_b64 exec, exec, s[0:1]
	v_cmp_gt_i32_e32 vcc, s10, v0
	s_and_saveexec_b64 s[0:1], vcc
	s_cbranch_execnz .LBB98_48
.LBB98_36:
	s_or_b64 exec, exec, s[0:1]
	v_cmp_gt_i32_e32 vcc, s10, v0
	s_and_saveexec_b64 s[0:1], vcc
	s_cbranch_execnz .LBB98_49
.LBB98_37:
	s_or_b64 exec, exec, s[0:1]
	v_cmp_gt_i32_e32 vcc, s10, v0
	s_and_saveexec_b64 s[0:1], vcc
	s_cbranch_execnz .LBB98_50
.LBB98_38:
	s_or_b64 exec, exec, s[0:1]
	v_cmp_gt_i32_e32 vcc, s10, v0
	s_and_saveexec_b64 s[0:1], vcc
	s_cbranch_execnz .LBB98_51
.LBB98_39:
	s_or_b64 exec, exec, s[0:1]
	v_cmp_gt_i32_e32 vcc, s10, v0
	s_and_saveexec_b64 s[0:1], vcc
	s_cbranch_execz .LBB98_41
.LBB98_40:
	v_add_u32_e32 v0, s2, v0
	v_mov_b32_e32 v1, 0
	v_lshl_add_u64 v[0:1], v[0:1], 1, s[4:5]
	global_store_short v[0:1], v10, off
.LBB98_41:
	s_endpgm
.LBB98_42:
	v_add_u32_e32 v10, s2, v4
	v_mov_b32_e32 v11, 0
	v_lshl_add_u64 v[10:11], v[10:11], 1, s[6:7]
	global_load_ushort v10, v[10:11], off
	s_mov_b32 s3, 0x3fb8aa3b
	s_mov_b32 s11, 0x42b17218
	v_add_u32_e32 v4, 0x100, v4
	s_waitcnt vmcnt(0)
	v_lshlrev_b32_e32 v10, 16, v10
	v_mul_f32_e32 v11, 0x3fb8aa3b, v10
	v_fma_f32 v12, v10, s3, -v11
	v_rndne_f32_e32 v13, v11
	v_fmamk_f32 v12, v10, 0x32a5705f, v12
	v_sub_f32_e32 v11, v11, v13
	v_add_f32_e32 v11, v11, v12
	v_cvt_i32_f32_e32 v13, v13
	v_exp_f32_e32 v11, v11
	s_mov_b32 s3, 0xc2ce8ed0
	v_cmp_ngt_f32_e32 vcc, s3, v10
	v_mov_b32_e32 v12, 0x7f800000
	v_ldexp_f32 v11, v11, v13
	v_cndmask_b32_e32 v11, 0, v11, vcc
	v_cmp_nlt_f32_e32 vcc, s11, v10
	s_nop 1
	v_cndmask_b32_e32 v10, v12, v11, vcc
	s_or_b64 exec, exec, s[8:9]
	v_cmp_gt_i32_e32 vcc, s10, v4
	s_and_saveexec_b64 s[8:9], vcc
	s_cbranch_execz .LBB98_17
.LBB98_43:
	v_add_u32_e32 v12, s2, v4
	v_mov_b32_e32 v13, 0
	v_lshl_add_u64 v[12:13], v[12:13], 1, s[6:7]
	global_load_ushort v4, v[12:13], off
	s_mov_b32 s3, 0x3fb8aa3b
	s_mov_b32 s6, 0x42b17218
	s_waitcnt vmcnt(0)
	v_lshlrev_b32_e32 v4, 16, v4
	v_mul_f32_e32 v9, 0x3fb8aa3b, v4
	v_fma_f32 v11, v4, s3, -v9
	v_rndne_f32_e32 v12, v9
	v_fmamk_f32 v11, v4, 0x32a5705f, v11
	v_sub_f32_e32 v9, v9, v12
	v_add_f32_e32 v9, v9, v11
	v_cvt_i32_f32_e32 v12, v12
	v_exp_f32_e32 v9, v9
	s_mov_b32 s3, 0xc2ce8ed0
	v_cmp_ngt_f32_e32 vcc, s3, v4
	v_mov_b32_e32 v11, 0x7f800000
	v_ldexp_f32 v9, v9, v12
	v_cndmask_b32_e32 v9, 0, v9, vcc
	v_cmp_nlt_f32_e32 vcc, s6, v4
	s_nop 1
	v_cndmask_b32_e32 v9, v11, v9, vcc
	s_or_b64 exec, exec, s[8:9]
                                        ; implicit-def: $vgpr4
	s_and_saveexec_b64 s[6:7], s[0:1]
	s_cbranch_execnz .LBB98_18
	s_branch .LBB98_19
.LBB98_44:
	v_bfe_u32 v3, v9, 16, 1
	s_movk_i32 s3, 0x7fff
	v_add3_u32 v3, v9, v3, s3
	v_cmp_o_f32_e32 vcc, v9, v9
	v_mov_b32_e32 v9, 0x7fc0
	s_nop 0
	v_cndmask_b32_sdwa v10, v9, v3, vcc dst_sel:DWORD dst_unused:UNUSED_PAD src0_sel:DWORD src1_sel:WORD_1
	s_or_b64 exec, exec, s[6:7]
	s_and_saveexec_b64 s[6:7], s[0:1]
	s_xor_b64 s[0:1], exec, s[6:7]
	s_cbranch_execz .LBB98_33
.LBB98_45:
	v_mov_b32_e32 v3, 0
	v_lshl_add_u64 v[2:3], v[2:3], 1, s[4:5]
	v_mov_b32_e32 v0, v12
	global_store_short v[2:3], v4, off
	s_or_b64 exec, exec, s[0:1]
	v_cmp_gt_i32_e32 vcc, s10, v0
	s_and_saveexec_b64 s[0:1], vcc
	s_cbranch_execz .LBB98_34
.LBB98_46:
	v_add_u32_e32 v2, s2, v0
	v_mov_b32_e32 v3, 0
	v_lshl_add_u64 v[2:3], v[2:3], 1, s[4:5]
	v_add_u32_e32 v0, 0x100, v0
	global_store_short v[2:3], v11, off
	s_or_b64 exec, exec, s[0:1]
	v_cmp_gt_i32_e32 vcc, s10, v0
	s_and_saveexec_b64 s[0:1], vcc
	s_cbranch_execz .LBB98_35
.LBB98_47:
	v_add_u32_e32 v2, s2, v0
	v_mov_b32_e32 v3, 0
	v_lshl_add_u64 v[2:3], v[2:3], 1, s[4:5]
	v_add_u32_e32 v0, 0x100, v0
	global_store_short v[2:3], v1, off
	s_or_b64 exec, exec, s[0:1]
	v_cmp_gt_i32_e32 vcc, s10, v0
	s_and_saveexec_b64 s[0:1], vcc
	s_cbranch_execz .LBB98_36
.LBB98_48:
	v_add_u32_e32 v2, s2, v0
	v_mov_b32_e32 v3, 0
	v_lshl_add_u64 v[2:3], v[2:3], 1, s[4:5]
	v_add_u32_e32 v0, 0x100, v0
	global_store_short v[2:3], v6, off
	s_or_b64 exec, exec, s[0:1]
	v_cmp_gt_i32_e32 vcc, s10, v0
	s_and_saveexec_b64 s[0:1], vcc
	s_cbranch_execz .LBB98_37
.LBB98_49:
	v_add_u32_e32 v2, s2, v0
	v_mov_b32_e32 v3, 0
	v_lshl_add_u64 v[2:3], v[2:3], 1, s[4:5]
	v_add_u32_e32 v0, 0x100, v0
	global_store_short v[2:3], v5, off
	s_or_b64 exec, exec, s[0:1]
	v_cmp_gt_i32_e32 vcc, s10, v0
	s_and_saveexec_b64 s[0:1], vcc
	s_cbranch_execz .LBB98_38
.LBB98_50:
	v_add_u32_e32 v2, s2, v0
	v_mov_b32_e32 v3, 0
	v_lshl_add_u64 v[2:3], v[2:3], 1, s[4:5]
	v_add_u32_e32 v0, 0x100, v0
	global_store_short v[2:3], v8, off
	s_or_b64 exec, exec, s[0:1]
	v_cmp_gt_i32_e32 vcc, s10, v0
	s_and_saveexec_b64 s[0:1], vcc
	s_cbranch_execz .LBB98_39
.LBB98_51:
	v_add_u32_e32 v2, s2, v0
	v_mov_b32_e32 v3, 0
	v_lshl_add_u64 v[2:3], v[2:3], 1, s[4:5]
	v_add_u32_e32 v0, 0x100, v0
	global_store_short v[2:3], v7, off
	s_or_b64 exec, exec, s[0:1]
	v_cmp_gt_i32_e32 vcc, s10, v0
	s_and_saveexec_b64 s[0:1], vcc
	s_cbranch_execnz .LBB98_40
	s_branch .LBB98_41
	.section	.rodata,"a",@progbits
	.p2align	6, 0x0
	.amdhsa_kernel _ZN2at6native29vectorized_elementwise_kernelILi16EZZZNS0_15exp_kernel_cudaERNS_18TensorIteratorBaseEENKUlvE0_clEvENKUlvE2_clEvEUlN3c108BFloat16EE_St5arrayIPcLm2EEEEviT0_T1_
		.amdhsa_group_segment_fixed_size 0
		.amdhsa_private_segment_fixed_size 0
		.amdhsa_kernarg_size 24
		.amdhsa_user_sgpr_count 2
		.amdhsa_user_sgpr_dispatch_ptr 0
		.amdhsa_user_sgpr_queue_ptr 0
		.amdhsa_user_sgpr_kernarg_segment_ptr 1
		.amdhsa_user_sgpr_dispatch_id 0
		.amdhsa_user_sgpr_kernarg_preload_length 0
		.amdhsa_user_sgpr_kernarg_preload_offset 0
		.amdhsa_user_sgpr_private_segment_size 0
		.amdhsa_uses_dynamic_stack 0
		.amdhsa_enable_private_segment 0
		.amdhsa_system_sgpr_workgroup_id_x 1
		.amdhsa_system_sgpr_workgroup_id_y 0
		.amdhsa_system_sgpr_workgroup_id_z 0
		.amdhsa_system_sgpr_workgroup_info 0
		.amdhsa_system_vgpr_workitem_id 0
		.amdhsa_next_free_vgpr 32
		.amdhsa_next_free_sgpr 12
		.amdhsa_accum_offset 32
		.amdhsa_reserve_vcc 1
		.amdhsa_float_round_mode_32 0
		.amdhsa_float_round_mode_16_64 0
		.amdhsa_float_denorm_mode_32 3
		.amdhsa_float_denorm_mode_16_64 3
		.amdhsa_dx10_clamp 1
		.amdhsa_ieee_mode 1
		.amdhsa_fp16_overflow 0
		.amdhsa_tg_split 0
		.amdhsa_exception_fp_ieee_invalid_op 0
		.amdhsa_exception_fp_denorm_src 0
		.amdhsa_exception_fp_ieee_div_zero 0
		.amdhsa_exception_fp_ieee_overflow 0
		.amdhsa_exception_fp_ieee_underflow 0
		.amdhsa_exception_fp_ieee_inexact 0
		.amdhsa_exception_int_div_zero 0
	.end_amdhsa_kernel
	.section	.text._ZN2at6native29vectorized_elementwise_kernelILi16EZZZNS0_15exp_kernel_cudaERNS_18TensorIteratorBaseEENKUlvE0_clEvENKUlvE2_clEvEUlN3c108BFloat16EE_St5arrayIPcLm2EEEEviT0_T1_,"axG",@progbits,_ZN2at6native29vectorized_elementwise_kernelILi16EZZZNS0_15exp_kernel_cudaERNS_18TensorIteratorBaseEENKUlvE0_clEvENKUlvE2_clEvEUlN3c108BFloat16EE_St5arrayIPcLm2EEEEviT0_T1_,comdat
.Lfunc_end98:
	.size	_ZN2at6native29vectorized_elementwise_kernelILi16EZZZNS0_15exp_kernel_cudaERNS_18TensorIteratorBaseEENKUlvE0_clEvENKUlvE2_clEvEUlN3c108BFloat16EE_St5arrayIPcLm2EEEEviT0_T1_, .Lfunc_end98-_ZN2at6native29vectorized_elementwise_kernelILi16EZZZNS0_15exp_kernel_cudaERNS_18TensorIteratorBaseEENKUlvE0_clEvENKUlvE2_clEvEUlN3c108BFloat16EE_St5arrayIPcLm2EEEEviT0_T1_
                                        ; -- End function
	.set _ZN2at6native29vectorized_elementwise_kernelILi16EZZZNS0_15exp_kernel_cudaERNS_18TensorIteratorBaseEENKUlvE0_clEvENKUlvE2_clEvEUlN3c108BFloat16EE_St5arrayIPcLm2EEEEviT0_T1_.num_vgpr, 32
	.set _ZN2at6native29vectorized_elementwise_kernelILi16EZZZNS0_15exp_kernel_cudaERNS_18TensorIteratorBaseEENKUlvE0_clEvENKUlvE2_clEvEUlN3c108BFloat16EE_St5arrayIPcLm2EEEEviT0_T1_.num_agpr, 0
	.set _ZN2at6native29vectorized_elementwise_kernelILi16EZZZNS0_15exp_kernel_cudaERNS_18TensorIteratorBaseEENKUlvE0_clEvENKUlvE2_clEvEUlN3c108BFloat16EE_St5arrayIPcLm2EEEEviT0_T1_.numbered_sgpr, 12
	.set _ZN2at6native29vectorized_elementwise_kernelILi16EZZZNS0_15exp_kernel_cudaERNS_18TensorIteratorBaseEENKUlvE0_clEvENKUlvE2_clEvEUlN3c108BFloat16EE_St5arrayIPcLm2EEEEviT0_T1_.num_named_barrier, 0
	.set _ZN2at6native29vectorized_elementwise_kernelILi16EZZZNS0_15exp_kernel_cudaERNS_18TensorIteratorBaseEENKUlvE0_clEvENKUlvE2_clEvEUlN3c108BFloat16EE_St5arrayIPcLm2EEEEviT0_T1_.private_seg_size, 0
	.set _ZN2at6native29vectorized_elementwise_kernelILi16EZZZNS0_15exp_kernel_cudaERNS_18TensorIteratorBaseEENKUlvE0_clEvENKUlvE2_clEvEUlN3c108BFloat16EE_St5arrayIPcLm2EEEEviT0_T1_.uses_vcc, 1
	.set _ZN2at6native29vectorized_elementwise_kernelILi16EZZZNS0_15exp_kernel_cudaERNS_18TensorIteratorBaseEENKUlvE0_clEvENKUlvE2_clEvEUlN3c108BFloat16EE_St5arrayIPcLm2EEEEviT0_T1_.uses_flat_scratch, 0
	.set _ZN2at6native29vectorized_elementwise_kernelILi16EZZZNS0_15exp_kernel_cudaERNS_18TensorIteratorBaseEENKUlvE0_clEvENKUlvE2_clEvEUlN3c108BFloat16EE_St5arrayIPcLm2EEEEviT0_T1_.has_dyn_sized_stack, 0
	.set _ZN2at6native29vectorized_elementwise_kernelILi16EZZZNS0_15exp_kernel_cudaERNS_18TensorIteratorBaseEENKUlvE0_clEvENKUlvE2_clEvEUlN3c108BFloat16EE_St5arrayIPcLm2EEEEviT0_T1_.has_recursion, 0
	.set _ZN2at6native29vectorized_elementwise_kernelILi16EZZZNS0_15exp_kernel_cudaERNS_18TensorIteratorBaseEENKUlvE0_clEvENKUlvE2_clEvEUlN3c108BFloat16EE_St5arrayIPcLm2EEEEviT0_T1_.has_indirect_call, 0
	.section	.AMDGPU.csdata,"",@progbits
; Kernel info:
; codeLenInByte = 3364
; TotalNumSgprs: 18
; NumVgprs: 32
; NumAgprs: 0
; TotalNumVgprs: 32
; ScratchSize: 0
; MemoryBound: 0
; FloatMode: 240
; IeeeMode: 1
; LDSByteSize: 0 bytes/workgroup (compile time only)
; SGPRBlocks: 2
; VGPRBlocks: 3
; NumSGPRsForWavesPerEU: 18
; NumVGPRsForWavesPerEU: 32
; AccumOffset: 32
; Occupancy: 8
; WaveLimiterHint : 0
; COMPUTE_PGM_RSRC2:SCRATCH_EN: 0
; COMPUTE_PGM_RSRC2:USER_SGPR: 2
; COMPUTE_PGM_RSRC2:TRAP_HANDLER: 0
; COMPUTE_PGM_RSRC2:TGID_X_EN: 1
; COMPUTE_PGM_RSRC2:TGID_Y_EN: 0
; COMPUTE_PGM_RSRC2:TGID_Z_EN: 0
; COMPUTE_PGM_RSRC2:TIDIG_COMP_CNT: 0
; COMPUTE_PGM_RSRC3_GFX90A:ACCUM_OFFSET: 7
; COMPUTE_PGM_RSRC3_GFX90A:TG_SPLIT: 0
	.section	.text._ZN2at6native29vectorized_elementwise_kernelILi8EZZZNS0_15exp_kernel_cudaERNS_18TensorIteratorBaseEENKUlvE0_clEvENKUlvE2_clEvEUlN3c108BFloat16EE_St5arrayIPcLm2EEEEviT0_T1_,"axG",@progbits,_ZN2at6native29vectorized_elementwise_kernelILi8EZZZNS0_15exp_kernel_cudaERNS_18TensorIteratorBaseEENKUlvE0_clEvENKUlvE2_clEvEUlN3c108BFloat16EE_St5arrayIPcLm2EEEEviT0_T1_,comdat
	.globl	_ZN2at6native29vectorized_elementwise_kernelILi8EZZZNS0_15exp_kernel_cudaERNS_18TensorIteratorBaseEENKUlvE0_clEvENKUlvE2_clEvEUlN3c108BFloat16EE_St5arrayIPcLm2EEEEviT0_T1_ ; -- Begin function _ZN2at6native29vectorized_elementwise_kernelILi8EZZZNS0_15exp_kernel_cudaERNS_18TensorIteratorBaseEENKUlvE0_clEvENKUlvE2_clEvEUlN3c108BFloat16EE_St5arrayIPcLm2EEEEviT0_T1_
	.p2align	8
	.type	_ZN2at6native29vectorized_elementwise_kernelILi8EZZZNS0_15exp_kernel_cudaERNS_18TensorIteratorBaseEENKUlvE0_clEvENKUlvE2_clEvEUlN3c108BFloat16EE_St5arrayIPcLm2EEEEviT0_T1_,@function
_ZN2at6native29vectorized_elementwise_kernelILi8EZZZNS0_15exp_kernel_cudaERNS_18TensorIteratorBaseEENKUlvE0_clEvENKUlvE2_clEvEUlN3c108BFloat16EE_St5arrayIPcLm2EEEEviT0_T1_: ; @_ZN2at6native29vectorized_elementwise_kernelILi8EZZZNS0_15exp_kernel_cudaERNS_18TensorIteratorBaseEENKUlvE0_clEvENKUlvE2_clEvEUlN3c108BFloat16EE_St5arrayIPcLm2EEEEviT0_T1_
; %bb.0:
	s_load_dword s3, s[0:1], 0x0
	s_load_dwordx4 s[4:7], s[0:1], 0x8
	s_lshl_b32 s2, s2, 11
	s_mov_b64 s[0:1], -1
	s_waitcnt lgkmcnt(0)
	s_sub_i32 s10, s3, s2
	s_cmpk_gt_i32 s10, 0x7ff
	s_cbranch_scc0 .LBB99_2
; %bb.1:
	s_ashr_i32 s3, s2, 31
	s_lshl_b64 s[0:1], s[2:3], 1
	s_add_u32 s8, s6, s0
	s_addc_u32 s9, s7, s1
	v_lshlrev_b32_e32 v1, 4, v0
	global_load_dwordx4 v[2:5], v1, s[8:9]
	s_mov_b32 s3, 0x3fb8aa3b
	s_mov_b32 s8, 0xc2ce8ed0
	;; [unrolled: 1-line block ×3, first 2 shown]
	v_mov_b32_e32 v6, 0x7f800000
	s_add_u32 s0, s4, s0
	s_addc_u32 s1, s5, s1
	s_waitcnt vmcnt(0)
	v_lshlrev_b32_e32 v7, 16, v2
	v_and_b32_e32 v2, 0xffff0000, v2
	v_mul_f32_e32 v11, 0x3fb8aa3b, v7
	v_lshlrev_b32_e32 v8, 16, v3
	v_mul_f32_e32 v12, 0x3fb8aa3b, v2
	v_fma_f32 v18, v7, s3, -v11
	v_rndne_f32_e32 v19, v11
	v_and_b32_e32 v3, 0xffff0000, v3
	v_mul_f32_e32 v13, 0x3fb8aa3b, v8
	v_fma_f32 v20, v2, s3, -v12
	v_rndne_f32_e32 v21, v12
	v_fmac_f32_e32 v18, 0x32a5705f, v7
	v_sub_f32_e32 v11, v11, v19
	v_lshlrev_b32_e32 v9, 16, v4
	v_mul_f32_e32 v14, 0x3fb8aa3b, v3
	v_fma_f32 v22, v8, s3, -v13
	v_rndne_f32_e32 v23, v13
	v_fmac_f32_e32 v20, 0x32a5705f, v2
	v_sub_f32_e32 v12, v12, v21
	v_add_f32_e32 v11, v11, v18
	v_mul_f32_e32 v15, 0x3fb8aa3b, v9
	v_fma_f32 v24, v3, s3, -v14
	v_rndne_f32_e32 v25, v14
	v_cvt_i32_f32_e32 v19, v19
	v_fmac_f32_e32 v22, 0x32a5705f, v8
	v_sub_f32_e32 v13, v13, v23
	v_add_f32_e32 v12, v12, v20
	v_exp_f32_e32 v11, v11
	v_fma_f32 v26, v9, s3, -v15
	v_rndne_f32_e32 v27, v15
	v_cvt_i32_f32_e32 v21, v21
	v_fmac_f32_e32 v24, 0x32a5705f, v3
	v_sub_f32_e32 v14, v14, v25
	v_add_f32_e32 v13, v13, v22
	v_exp_f32_e32 v12, v12
	v_cvt_i32_f32_e32 v23, v23
	v_fmac_f32_e32 v26, 0x32a5705f, v9
	v_sub_f32_e32 v15, v15, v27
	v_add_f32_e32 v14, v14, v24
	v_exp_f32_e32 v13, v13
	v_cvt_i32_f32_e32 v25, v25
	v_add_f32_e32 v15, v15, v26
	v_exp_f32_e32 v14, v14
	v_cvt_i32_f32_e32 v27, v27
	v_exp_f32_e32 v15, v15
	v_ldexp_f32 v11, v11, v19
	v_cmp_ngt_f32_e32 vcc, s8, v7
	v_and_b32_e32 v4, 0xffff0000, v4
	v_ldexp_f32 v12, v12, v21
	v_cndmask_b32_e32 v11, 0, v11, vcc
	v_cmp_ngt_f32_e32 vcc, s8, v2
	v_lshlrev_b32_e32 v10, 16, v5
	v_mul_f32_e32 v16, 0x3fb8aa3b, v4
	v_ldexp_f32 v13, v13, v23
	v_cndmask_b32_e32 v12, 0, v12, vcc
	v_cmp_ngt_f32_e32 vcc, s8, v8
	v_mul_f32_e32 v17, 0x3fb8aa3b, v10
	v_fma_f32 v28, v4, s3, -v16
	v_rndne_f32_e32 v29, v16
	v_ldexp_f32 v14, v14, v25
	v_cndmask_b32_e32 v13, 0, v13, vcc
	v_cmp_ngt_f32_e32 vcc, s8, v3
	v_fma_f32 v30, v10, s3, -v17
	v_rndne_f32_e32 v31, v17
	v_fmac_f32_e32 v28, 0x32a5705f, v4
	v_sub_f32_e32 v16, v16, v29
	v_ldexp_f32 v15, v15, v27
	v_cndmask_b32_e32 v14, 0, v14, vcc
	v_cmp_ngt_f32_e32 vcc, s8, v9
	v_fmac_f32_e32 v30, 0x32a5705f, v10
	v_sub_f32_e32 v17, v17, v31
	v_add_f32_e32 v16, v16, v28
	v_cndmask_b32_e32 v15, 0, v15, vcc
	v_cmp_nlt_f32_e32 vcc, s9, v7
	v_cvt_i32_f32_e32 v29, v29
	v_exp_f32_e32 v16, v16
	v_cndmask_b32_e32 v7, v6, v11, vcc
	v_cmp_nlt_f32_e32 vcc, s9, v2
	v_add_f32_e32 v11, v17, v30
	v_exp_f32_e32 v11, v11
	v_cndmask_b32_e32 v2, v6, v12, vcc
	v_cmp_nlt_f32_e32 vcc, s9, v8
	v_cvt_i32_f32_e32 v12, v31
	v_ldexp_f32 v16, v16, v29
	v_cndmask_b32_e32 v8, v6, v13, vcc
	v_cmp_nlt_f32_e32 vcc, s9, v3
	v_and_b32_e32 v5, 0xffff0000, v5
	v_ldexp_f32 v11, v11, v12
	v_cndmask_b32_e32 v3, v6, v14, vcc
	v_cmp_nlt_f32_e32 vcc, s9, v9
	v_mul_f32_e32 v12, 0x3fb8aa3b, v5
	v_rndne_f32_e32 v14, v12
	v_cndmask_b32_e32 v9, v6, v15, vcc
	v_cmp_ngt_f32_e32 vcc, s8, v4
	s_nop 1
	v_cndmask_b32_e32 v13, 0, v16, vcc
	v_cmp_nlt_f32_e32 vcc, s9, v4
	s_nop 1
	v_cndmask_b32_e32 v4, v6, v13, vcc
	v_fma_f32 v13, v5, s3, -v12
	v_fmac_f32_e32 v13, 0x32a5705f, v5
	v_sub_f32_e32 v12, v12, v14
	v_add_f32_e32 v12, v12, v13
	v_exp_f32_e32 v12, v12
	v_cvt_i32_f32_e32 v13, v14
	v_cmp_ngt_f32_e32 vcc, s8, v10
	s_movk_i32 s3, 0x7fff
	v_mov_b32_e32 v14, 0x7fc0
	v_cndmask_b32_e32 v11, 0, v11, vcc
	v_cmp_nlt_f32_e32 vcc, s9, v10
	s_nop 1
	v_cndmask_b32_e32 v10, v6, v11, vcc
	v_ldexp_f32 v11, v12, v13
	v_cmp_ngt_f32_e32 vcc, s8, v5
	v_bfe_u32 v12, v8, 16, 1
	v_bfe_u32 v13, v3, 16, 1
	v_cndmask_b32_e32 v11, 0, v11, vcc
	v_cmp_nlt_f32_e32 vcc, s9, v5
	v_add3_u32 v12, v8, v12, s3
	v_add3_u32 v13, v3, v13, s3
	v_cndmask_b32_e32 v5, v6, v11, vcc
	v_bfe_u32 v6, v7, 16, 1
	v_bfe_u32 v11, v2, 16, 1
	v_add3_u32 v6, v7, v6, s3
	v_add3_u32 v11, v2, v11, s3
	v_lshrrev_b32_e32 v6, 16, v6
	v_cmp_o_f32_e32 vcc, v7, v7
	v_lshrrev_b32_e32 v11, 16, v11
	v_lshrrev_b32_e32 v12, 16, v12
	v_cndmask_b32_e32 v6, v14, v6, vcc
	v_cmp_o_f32_e32 vcc, v2, v2
	v_lshrrev_b32_e32 v13, 16, v13
	s_nop 0
	v_cndmask_b32_e32 v2, v14, v11, vcc
	v_cmp_o_f32_e32 vcc, v8, v8
	v_bfe_u32 v8, v9, 16, 1
	v_bfe_u32 v11, v4, 16, 1
	v_cndmask_b32_e32 v7, v14, v12, vcc
	v_cmp_o_f32_e32 vcc, v3, v3
	v_add3_u32 v8, v9, v8, s3
	v_bfe_u32 v12, v10, 16, 1
	v_cndmask_b32_e32 v3, v14, v13, vcc
	v_cmp_o_f32_e32 vcc, v9, v9
	v_add3_u32 v11, v4, v11, s3
	v_bfe_u32 v13, v5, 16, 1
	v_cndmask_b32_sdwa v8, v14, v8, vcc dst_sel:DWORD dst_unused:UNUSED_PAD src0_sel:DWORD src1_sel:WORD_1
	v_cmp_o_f32_e32 vcc, v4, v4
	v_add3_u32 v12, v10, v12, s3
	v_add3_u32 v13, v5, v13, s3
	v_cndmask_b32_sdwa v4, v14, v11, vcc dst_sel:DWORD dst_unused:UNUSED_PAD src0_sel:DWORD src1_sel:WORD_1
	v_cmp_o_f32_e32 vcc, v10, v10
	s_mov_b32 s3, 0x5040100
	v_perm_b32 v4, v4, v8, s3
	v_cndmask_b32_sdwa v9, v14, v12, vcc dst_sel:DWORD dst_unused:UNUSED_PAD src0_sel:DWORD src1_sel:WORD_1
	v_cmp_o_f32_e32 vcc, v5, v5
	v_perm_b32 v3, v3, v7, s3
	v_perm_b32 v2, v2, v6, s3
	v_cndmask_b32_sdwa v5, v14, v13, vcc dst_sel:DWORD dst_unused:UNUSED_PAD src0_sel:DWORD src1_sel:WORD_1
	v_perm_b32 v5, v5, v9, s3
	global_store_dwordx4 v1, v[2:5], s[0:1]
	s_mov_b64 s[0:1], 0
.LBB99_2:
	s_andn2_b64 vcc, exec, s[0:1]
	s_cbranch_vccnz .LBB99_41
; %bb.3:
	v_cmp_gt_i32_e64 s[0:1], s10, v0
	v_mov_b32_e32 v1, 1.0
	v_or_b32_e32 v2, s2, v0
	v_mov_b32_e32 v3, 1.0
	v_mov_b32_e32 v4, v0
	s_and_saveexec_b64 s[8:9], s[0:1]
	s_cbranch_execz .LBB99_5
; %bb.4:
	v_mov_b32_e32 v3, 0
	v_lshl_add_u64 v[4:5], v[2:3], 1, s[6:7]
	global_load_ushort v3, v[4:5], off
	s_mov_b32 s3, 0x3fb8aa3b
	s_mov_b32 s11, 0x42b17218
	v_or_b32_e32 v4, 0x100, v0
	s_waitcnt vmcnt(0)
	v_lshlrev_b32_e32 v3, 16, v3
	v_mul_f32_e32 v5, 0x3fb8aa3b, v3
	v_fma_f32 v6, v3, s3, -v5
	v_rndne_f32_e32 v7, v5
	v_fmamk_f32 v6, v3, 0x32a5705f, v6
	v_sub_f32_e32 v5, v5, v7
	v_add_f32_e32 v5, v5, v6
	v_cvt_i32_f32_e32 v7, v7
	v_exp_f32_e32 v5, v5
	s_mov_b32 s3, 0xc2ce8ed0
	v_cmp_ngt_f32_e32 vcc, s3, v3
	v_mov_b32_e32 v6, 0x7f800000
	v_ldexp_f32 v5, v5, v7
	v_cndmask_b32_e32 v5, 0, v5, vcc
	v_cmp_nlt_f32_e32 vcc, s11, v3
	s_nop 1
	v_cndmask_b32_e32 v3, v6, v5, vcc
.LBB99_5:
	s_or_b64 exec, exec, s[8:9]
	v_cmp_gt_i32_e32 vcc, s10, v4
	s_and_saveexec_b64 s[8:9], vcc
	s_cbranch_execz .LBB99_7
; %bb.6:
	v_add_u32_e32 v6, s2, v4
	v_mov_b32_e32 v7, 0
	v_lshl_add_u64 v[6:7], v[6:7], 1, s[6:7]
	global_load_ushort v1, v[6:7], off
	s_mov_b32 s3, 0x3fb8aa3b
	s_mov_b32 s11, 0x42b17218
	v_add_u32_e32 v4, 0x100, v4
	s_waitcnt vmcnt(0)
	v_lshlrev_b32_e32 v1, 16, v1
	v_mul_f32_e32 v5, 0x3fb8aa3b, v1
	v_fma_f32 v6, v1, s3, -v5
	v_rndne_f32_e32 v7, v5
	v_fmamk_f32 v6, v1, 0x32a5705f, v6
	v_sub_f32_e32 v5, v5, v7
	v_add_f32_e32 v5, v5, v6
	v_cvt_i32_f32_e32 v7, v7
	v_exp_f32_e32 v5, v5
	s_mov_b32 s3, 0xc2ce8ed0
	v_cmp_ngt_f32_e32 vcc, s3, v1
	v_mov_b32_e32 v6, 0x7f800000
	v_ldexp_f32 v5, v5, v7
	v_cndmask_b32_e32 v5, 0, v5, vcc
	v_cmp_nlt_f32_e32 vcc, s11, v1
	s_nop 1
	v_cndmask_b32_e32 v1, v6, v5, vcc
.LBB99_7:
	s_or_b64 exec, exec, s[8:9]
	v_cmp_gt_i32_e32 vcc, s10, v4
	v_mov_b32_e32 v5, 1.0
	v_mov_b32_e32 v6, 1.0
	s_and_saveexec_b64 s[8:9], vcc
	s_cbranch_execz .LBB99_9
; %bb.8:
	v_add_u32_e32 v6, s2, v4
	v_mov_b32_e32 v7, 0
	v_lshl_add_u64 v[6:7], v[6:7], 1, s[6:7]
	global_load_ushort v6, v[6:7], off
	s_mov_b32 s3, 0x3fb8aa3b
	s_mov_b32 s11, 0x42b17218
	v_add_u32_e32 v4, 0x100, v4
	s_waitcnt vmcnt(0)
	v_lshlrev_b32_e32 v6, 16, v6
	v_mul_f32_e32 v7, 0x3fb8aa3b, v6
	v_fma_f32 v8, v6, s3, -v7
	v_rndne_f32_e32 v9, v7
	v_fmamk_f32 v8, v6, 0x32a5705f, v8
	v_sub_f32_e32 v7, v7, v9
	v_add_f32_e32 v7, v7, v8
	v_cvt_i32_f32_e32 v9, v9
	v_exp_f32_e32 v7, v7
	s_mov_b32 s3, 0xc2ce8ed0
	v_cmp_ngt_f32_e32 vcc, s3, v6
	v_mov_b32_e32 v8, 0x7f800000
	v_ldexp_f32 v7, v7, v9
	v_cndmask_b32_e32 v7, 0, v7, vcc
	v_cmp_nlt_f32_e32 vcc, s11, v6
	s_nop 1
	v_cndmask_b32_e32 v6, v8, v7, vcc
.LBB99_9:
	s_or_b64 exec, exec, s[8:9]
	v_cmp_gt_i32_e32 vcc, s10, v4
	s_and_saveexec_b64 s[8:9], vcc
	s_cbranch_execz .LBB99_11
; %bb.10:
	v_add_u32_e32 v8, s2, v4
	v_mov_b32_e32 v9, 0
	v_lshl_add_u64 v[8:9], v[8:9], 1, s[6:7]
	global_load_ushort v5, v[8:9], off
	s_mov_b32 s3, 0x3fb8aa3b
	s_mov_b32 s11, 0x42b17218
	v_add_u32_e32 v4, 0x100, v4
	s_waitcnt vmcnt(0)
	v_lshlrev_b32_e32 v5, 16, v5
	v_mul_f32_e32 v7, 0x3fb8aa3b, v5
	v_fma_f32 v8, v5, s3, -v7
	v_rndne_f32_e32 v9, v7
	v_fmamk_f32 v8, v5, 0x32a5705f, v8
	v_sub_f32_e32 v7, v7, v9
	v_add_f32_e32 v7, v7, v8
	v_cvt_i32_f32_e32 v9, v9
	v_exp_f32_e32 v7, v7
	s_mov_b32 s3, 0xc2ce8ed0
	v_cmp_ngt_f32_e32 vcc, s3, v5
	v_mov_b32_e32 v8, 0x7f800000
	v_ldexp_f32 v7, v7, v9
	v_cndmask_b32_e32 v7, 0, v7, vcc
	v_cmp_nlt_f32_e32 vcc, s11, v5
	s_nop 1
	v_cndmask_b32_e32 v5, v8, v7, vcc
.LBB99_11:
	s_or_b64 exec, exec, s[8:9]
	v_cmp_gt_i32_e32 vcc, s10, v4
	v_mov_b32_e32 v7, 1.0
	v_mov_b32_e32 v8, 1.0
	s_and_saveexec_b64 s[8:9], vcc
	s_cbranch_execz .LBB99_13
; %bb.12:
	v_add_u32_e32 v8, s2, v4
	v_mov_b32_e32 v9, 0
	v_lshl_add_u64 v[8:9], v[8:9], 1, s[6:7]
	global_load_ushort v8, v[8:9], off
	s_mov_b32 s3, 0x3fb8aa3b
	s_mov_b32 s11, 0x42b17218
	v_add_u32_e32 v4, 0x100, v4
	s_waitcnt vmcnt(0)
	v_lshlrev_b32_e32 v8, 16, v8
	v_mul_f32_e32 v9, 0x3fb8aa3b, v8
	v_fma_f32 v10, v8, s3, -v9
	v_rndne_f32_e32 v11, v9
	v_fmamk_f32 v10, v8, 0x32a5705f, v10
	v_sub_f32_e32 v9, v9, v11
	v_add_f32_e32 v9, v9, v10
	v_cvt_i32_f32_e32 v11, v11
	v_exp_f32_e32 v9, v9
	s_mov_b32 s3, 0xc2ce8ed0
	v_cmp_ngt_f32_e32 vcc, s3, v8
	v_mov_b32_e32 v10, 0x7f800000
	v_ldexp_f32 v9, v9, v11
	v_cndmask_b32_e32 v9, 0, v9, vcc
	v_cmp_nlt_f32_e32 vcc, s11, v8
	s_nop 1
	v_cndmask_b32_e32 v8, v10, v9, vcc
.LBB99_13:
	s_or_b64 exec, exec, s[8:9]
	v_cmp_gt_i32_e32 vcc, s10, v4
	s_and_saveexec_b64 s[8:9], vcc
	s_cbranch_execz .LBB99_15
; %bb.14:
	v_add_u32_e32 v10, s2, v4
	v_mov_b32_e32 v11, 0
	v_lshl_add_u64 v[10:11], v[10:11], 1, s[6:7]
	global_load_ushort v7, v[10:11], off
	s_mov_b32 s3, 0x3fb8aa3b
	s_mov_b32 s11, 0x42b17218
	v_add_u32_e32 v4, 0x100, v4
	s_waitcnt vmcnt(0)
	v_lshlrev_b32_e32 v7, 16, v7
	v_mul_f32_e32 v9, 0x3fb8aa3b, v7
	v_fma_f32 v10, v7, s3, -v9
	v_rndne_f32_e32 v11, v9
	v_fmamk_f32 v10, v7, 0x32a5705f, v10
	v_sub_f32_e32 v9, v9, v11
	v_add_f32_e32 v9, v9, v10
	v_cvt_i32_f32_e32 v11, v11
	v_exp_f32_e32 v9, v9
	s_mov_b32 s3, 0xc2ce8ed0
	v_cmp_ngt_f32_e32 vcc, s3, v7
	v_mov_b32_e32 v10, 0x7f800000
	v_ldexp_f32 v9, v9, v11
	v_cndmask_b32_e32 v9, 0, v9, vcc
	v_cmp_nlt_f32_e32 vcc, s11, v7
	s_nop 1
	v_cndmask_b32_e32 v7, v10, v9, vcc
.LBB99_15:
	s_or_b64 exec, exec, s[8:9]
	v_cmp_gt_i32_e32 vcc, s10, v4
	v_mov_b32_e32 v9, 1.0
	v_mov_b32_e32 v10, 1.0
	s_and_saveexec_b64 s[8:9], vcc
	s_cbranch_execnz .LBB99_42
; %bb.16:
	s_or_b64 exec, exec, s[8:9]
	v_cmp_gt_i32_e32 vcc, s10, v4
	s_and_saveexec_b64 s[8:9], vcc
	s_cbranch_execnz .LBB99_43
.LBB99_17:
	s_or_b64 exec, exec, s[8:9]
                                        ; implicit-def: $vgpr4
	s_and_saveexec_b64 s[6:7], s[0:1]
.LBB99_18:
	v_bfe_u32 v4, v3, 16, 1
	s_movk_i32 s3, 0x7fff
	v_add3_u32 v4, v3, v4, s3
	v_cmp_o_f32_e32 vcc, v3, v3
	v_mov_b32_e32 v3, 0x7fc0
	s_nop 0
	v_cndmask_b32_sdwa v4, v3, v4, vcc dst_sel:DWORD dst_unused:UNUSED_PAD src0_sel:DWORD src1_sel:WORD_1
.LBB99_19:
	s_or_b64 exec, exec, s[6:7]
	v_or_b32_e32 v12, 0x100, v0
	v_cmp_gt_i32_e32 vcc, s10, v12
                                        ; implicit-def: $vgpr11
	s_and_saveexec_b64 s[6:7], vcc
; %bb.20:
	v_bfe_u32 v3, v1, 16, 1
	s_movk_i32 s3, 0x7fff
	v_add3_u32 v3, v1, v3, s3
	v_cmp_o_f32_e32 vcc, v1, v1
	v_mov_b32_e32 v1, 0x7fc0
	s_nop 0
	v_cndmask_b32_sdwa v11, v1, v3, vcc dst_sel:DWORD dst_unused:UNUSED_PAD src0_sel:DWORD src1_sel:WORD_1
; %bb.21:
	s_or_b64 exec, exec, s[6:7]
	v_or_b32_e32 v1, 0x200, v0
	v_cmp_gt_i32_e32 vcc, s10, v1
                                        ; implicit-def: $vgpr1
	s_and_saveexec_b64 s[6:7], vcc
; %bb.22:
	v_bfe_u32 v1, v6, 16, 1
	s_movk_i32 s3, 0x7fff
	v_add3_u32 v1, v6, v1, s3
	v_cmp_o_f32_e32 vcc, v6, v6
	v_mov_b32_e32 v3, 0x7fc0
	s_nop 0
	v_cndmask_b32_sdwa v1, v3, v1, vcc dst_sel:DWORD dst_unused:UNUSED_PAD src0_sel:DWORD src1_sel:WORD_1
; %bb.23:
	s_or_b64 exec, exec, s[6:7]
	v_or_b32_e32 v3, 0x300, v0
	v_cmp_gt_i32_e32 vcc, s10, v3
                                        ; implicit-def: $vgpr6
	s_and_saveexec_b64 s[6:7], vcc
; %bb.24:
	v_bfe_u32 v3, v5, 16, 1
	s_movk_i32 s3, 0x7fff
	v_add3_u32 v3, v5, v3, s3
	v_cmp_o_f32_e32 vcc, v5, v5
	v_mov_b32_e32 v5, 0x7fc0
	s_nop 0
	v_cndmask_b32_sdwa v6, v5, v3, vcc dst_sel:DWORD dst_unused:UNUSED_PAD src0_sel:DWORD src1_sel:WORD_1
; %bb.25:
	s_or_b64 exec, exec, s[6:7]
	v_or_b32_e32 v3, 0x400, v0
	v_cmp_gt_i32_e32 vcc, s10, v3
                                        ; implicit-def: $vgpr5
	s_and_saveexec_b64 s[6:7], vcc
; %bb.26:
	v_bfe_u32 v3, v8, 16, 1
	s_movk_i32 s3, 0x7fff
	v_add3_u32 v3, v8, v3, s3
	v_cmp_o_f32_e32 vcc, v8, v8
	v_mov_b32_e32 v5, 0x7fc0
	s_nop 0
	v_cndmask_b32_sdwa v5, v5, v3, vcc dst_sel:DWORD dst_unused:UNUSED_PAD src0_sel:DWORD src1_sel:WORD_1
; %bb.27:
	s_or_b64 exec, exec, s[6:7]
	v_or_b32_e32 v3, 0x500, v0
	v_cmp_gt_i32_e32 vcc, s10, v3
                                        ; implicit-def: $vgpr8
	s_and_saveexec_b64 s[6:7], vcc
; %bb.28:
	v_bfe_u32 v3, v7, 16, 1
	s_movk_i32 s3, 0x7fff
	v_add3_u32 v3, v7, v3, s3
	v_cmp_o_f32_e32 vcc, v7, v7
	v_mov_b32_e32 v7, 0x7fc0
	s_nop 0
	v_cndmask_b32_sdwa v8, v7, v3, vcc dst_sel:DWORD dst_unused:UNUSED_PAD src0_sel:DWORD src1_sel:WORD_1
; %bb.29:
	s_or_b64 exec, exec, s[6:7]
	v_or_b32_e32 v3, 0x600, v0
	v_cmp_gt_i32_e32 vcc, s10, v3
                                        ; implicit-def: $vgpr7
	s_and_saveexec_b64 s[6:7], vcc
; %bb.30:
	v_bfe_u32 v3, v10, 16, 1
	s_movk_i32 s3, 0x7fff
	v_add3_u32 v3, v10, v3, s3
	v_cmp_o_f32_e32 vcc, v10, v10
	v_mov_b32_e32 v7, 0x7fc0
	s_nop 0
	v_cndmask_b32_sdwa v7, v7, v3, vcc dst_sel:DWORD dst_unused:UNUSED_PAD src0_sel:DWORD src1_sel:WORD_1
; %bb.31:
	s_or_b64 exec, exec, s[6:7]
	v_or_b32_e32 v3, 0x700, v0
	v_cmp_gt_i32_e32 vcc, s10, v3
                                        ; implicit-def: $vgpr10
	s_and_saveexec_b64 s[6:7], vcc
	s_cbranch_execnz .LBB99_44
; %bb.32:
	s_or_b64 exec, exec, s[6:7]
	s_and_saveexec_b64 s[6:7], s[0:1]
	s_xor_b64 s[0:1], exec, s[6:7]
	s_cbranch_execnz .LBB99_45
.LBB99_33:
	s_or_b64 exec, exec, s[0:1]
	v_cmp_gt_i32_e32 vcc, s10, v0
	s_and_saveexec_b64 s[0:1], vcc
	s_cbranch_execnz .LBB99_46
.LBB99_34:
	s_or_b64 exec, exec, s[0:1]
	v_cmp_gt_i32_e32 vcc, s10, v0
	s_and_saveexec_b64 s[0:1], vcc
	s_cbranch_execnz .LBB99_47
.LBB99_35:
	s_or_b64 exec, exec, s[0:1]
	v_cmp_gt_i32_e32 vcc, s10, v0
	s_and_saveexec_b64 s[0:1], vcc
	s_cbranch_execnz .LBB99_48
.LBB99_36:
	s_or_b64 exec, exec, s[0:1]
	v_cmp_gt_i32_e32 vcc, s10, v0
	s_and_saveexec_b64 s[0:1], vcc
	s_cbranch_execnz .LBB99_49
.LBB99_37:
	s_or_b64 exec, exec, s[0:1]
	v_cmp_gt_i32_e32 vcc, s10, v0
	s_and_saveexec_b64 s[0:1], vcc
	s_cbranch_execnz .LBB99_50
.LBB99_38:
	s_or_b64 exec, exec, s[0:1]
	v_cmp_gt_i32_e32 vcc, s10, v0
	s_and_saveexec_b64 s[0:1], vcc
	s_cbranch_execnz .LBB99_51
.LBB99_39:
	s_or_b64 exec, exec, s[0:1]
	v_cmp_gt_i32_e32 vcc, s10, v0
	s_and_saveexec_b64 s[0:1], vcc
	s_cbranch_execz .LBB99_41
.LBB99_40:
	v_add_u32_e32 v0, s2, v0
	v_mov_b32_e32 v1, 0
	v_lshl_add_u64 v[0:1], v[0:1], 1, s[4:5]
	global_store_short v[0:1], v10, off
.LBB99_41:
	s_endpgm
.LBB99_42:
	v_add_u32_e32 v10, s2, v4
	v_mov_b32_e32 v11, 0
	v_lshl_add_u64 v[10:11], v[10:11], 1, s[6:7]
	global_load_ushort v10, v[10:11], off
	s_mov_b32 s3, 0x3fb8aa3b
	s_mov_b32 s11, 0x42b17218
	v_add_u32_e32 v4, 0x100, v4
	s_waitcnt vmcnt(0)
	v_lshlrev_b32_e32 v10, 16, v10
	v_mul_f32_e32 v11, 0x3fb8aa3b, v10
	v_fma_f32 v12, v10, s3, -v11
	v_rndne_f32_e32 v13, v11
	v_fmamk_f32 v12, v10, 0x32a5705f, v12
	v_sub_f32_e32 v11, v11, v13
	v_add_f32_e32 v11, v11, v12
	v_cvt_i32_f32_e32 v13, v13
	v_exp_f32_e32 v11, v11
	s_mov_b32 s3, 0xc2ce8ed0
	v_cmp_ngt_f32_e32 vcc, s3, v10
	v_mov_b32_e32 v12, 0x7f800000
	v_ldexp_f32 v11, v11, v13
	v_cndmask_b32_e32 v11, 0, v11, vcc
	v_cmp_nlt_f32_e32 vcc, s11, v10
	s_nop 1
	v_cndmask_b32_e32 v10, v12, v11, vcc
	s_or_b64 exec, exec, s[8:9]
	v_cmp_gt_i32_e32 vcc, s10, v4
	s_and_saveexec_b64 s[8:9], vcc
	s_cbranch_execz .LBB99_17
.LBB99_43:
	v_add_u32_e32 v12, s2, v4
	v_mov_b32_e32 v13, 0
	v_lshl_add_u64 v[12:13], v[12:13], 1, s[6:7]
	global_load_ushort v4, v[12:13], off
	s_mov_b32 s3, 0x3fb8aa3b
	s_mov_b32 s6, 0x42b17218
	s_waitcnt vmcnt(0)
	v_lshlrev_b32_e32 v4, 16, v4
	v_mul_f32_e32 v9, 0x3fb8aa3b, v4
	v_fma_f32 v11, v4, s3, -v9
	v_rndne_f32_e32 v12, v9
	v_fmamk_f32 v11, v4, 0x32a5705f, v11
	v_sub_f32_e32 v9, v9, v12
	v_add_f32_e32 v9, v9, v11
	v_cvt_i32_f32_e32 v12, v12
	v_exp_f32_e32 v9, v9
	s_mov_b32 s3, 0xc2ce8ed0
	v_cmp_ngt_f32_e32 vcc, s3, v4
	v_mov_b32_e32 v11, 0x7f800000
	v_ldexp_f32 v9, v9, v12
	v_cndmask_b32_e32 v9, 0, v9, vcc
	v_cmp_nlt_f32_e32 vcc, s6, v4
	s_nop 1
	v_cndmask_b32_e32 v9, v11, v9, vcc
	s_or_b64 exec, exec, s[8:9]
                                        ; implicit-def: $vgpr4
	s_and_saveexec_b64 s[6:7], s[0:1]
	s_cbranch_execnz .LBB99_18
	s_branch .LBB99_19
.LBB99_44:
	v_bfe_u32 v3, v9, 16, 1
	s_movk_i32 s3, 0x7fff
	v_add3_u32 v3, v9, v3, s3
	v_cmp_o_f32_e32 vcc, v9, v9
	v_mov_b32_e32 v9, 0x7fc0
	s_nop 0
	v_cndmask_b32_sdwa v10, v9, v3, vcc dst_sel:DWORD dst_unused:UNUSED_PAD src0_sel:DWORD src1_sel:WORD_1
	s_or_b64 exec, exec, s[6:7]
	s_and_saveexec_b64 s[6:7], s[0:1]
	s_xor_b64 s[0:1], exec, s[6:7]
	s_cbranch_execz .LBB99_33
.LBB99_45:
	v_mov_b32_e32 v3, 0
	v_lshl_add_u64 v[2:3], v[2:3], 1, s[4:5]
	v_mov_b32_e32 v0, v12
	global_store_short v[2:3], v4, off
	s_or_b64 exec, exec, s[0:1]
	v_cmp_gt_i32_e32 vcc, s10, v0
	s_and_saveexec_b64 s[0:1], vcc
	s_cbranch_execz .LBB99_34
.LBB99_46:
	v_add_u32_e32 v2, s2, v0
	v_mov_b32_e32 v3, 0
	v_lshl_add_u64 v[2:3], v[2:3], 1, s[4:5]
	v_add_u32_e32 v0, 0x100, v0
	global_store_short v[2:3], v11, off
	s_or_b64 exec, exec, s[0:1]
	v_cmp_gt_i32_e32 vcc, s10, v0
	s_and_saveexec_b64 s[0:1], vcc
	s_cbranch_execz .LBB99_35
.LBB99_47:
	v_add_u32_e32 v2, s2, v0
	v_mov_b32_e32 v3, 0
	v_lshl_add_u64 v[2:3], v[2:3], 1, s[4:5]
	v_add_u32_e32 v0, 0x100, v0
	global_store_short v[2:3], v1, off
	s_or_b64 exec, exec, s[0:1]
	v_cmp_gt_i32_e32 vcc, s10, v0
	s_and_saveexec_b64 s[0:1], vcc
	s_cbranch_execz .LBB99_36
.LBB99_48:
	v_add_u32_e32 v2, s2, v0
	v_mov_b32_e32 v3, 0
	v_lshl_add_u64 v[2:3], v[2:3], 1, s[4:5]
	v_add_u32_e32 v0, 0x100, v0
	global_store_short v[2:3], v6, off
	s_or_b64 exec, exec, s[0:1]
	v_cmp_gt_i32_e32 vcc, s10, v0
	s_and_saveexec_b64 s[0:1], vcc
	s_cbranch_execz .LBB99_37
.LBB99_49:
	v_add_u32_e32 v2, s2, v0
	v_mov_b32_e32 v3, 0
	v_lshl_add_u64 v[2:3], v[2:3], 1, s[4:5]
	v_add_u32_e32 v0, 0x100, v0
	global_store_short v[2:3], v5, off
	s_or_b64 exec, exec, s[0:1]
	v_cmp_gt_i32_e32 vcc, s10, v0
	s_and_saveexec_b64 s[0:1], vcc
	s_cbranch_execz .LBB99_38
.LBB99_50:
	v_add_u32_e32 v2, s2, v0
	v_mov_b32_e32 v3, 0
	v_lshl_add_u64 v[2:3], v[2:3], 1, s[4:5]
	v_add_u32_e32 v0, 0x100, v0
	global_store_short v[2:3], v8, off
	s_or_b64 exec, exec, s[0:1]
	v_cmp_gt_i32_e32 vcc, s10, v0
	s_and_saveexec_b64 s[0:1], vcc
	s_cbranch_execz .LBB99_39
.LBB99_51:
	v_add_u32_e32 v2, s2, v0
	v_mov_b32_e32 v3, 0
	v_lshl_add_u64 v[2:3], v[2:3], 1, s[4:5]
	v_add_u32_e32 v0, 0x100, v0
	global_store_short v[2:3], v7, off
	s_or_b64 exec, exec, s[0:1]
	v_cmp_gt_i32_e32 vcc, s10, v0
	s_and_saveexec_b64 s[0:1], vcc
	s_cbranch_execnz .LBB99_40
	s_branch .LBB99_41
	.section	.rodata,"a",@progbits
	.p2align	6, 0x0
	.amdhsa_kernel _ZN2at6native29vectorized_elementwise_kernelILi8EZZZNS0_15exp_kernel_cudaERNS_18TensorIteratorBaseEENKUlvE0_clEvENKUlvE2_clEvEUlN3c108BFloat16EE_St5arrayIPcLm2EEEEviT0_T1_
		.amdhsa_group_segment_fixed_size 0
		.amdhsa_private_segment_fixed_size 0
		.amdhsa_kernarg_size 24
		.amdhsa_user_sgpr_count 2
		.amdhsa_user_sgpr_dispatch_ptr 0
		.amdhsa_user_sgpr_queue_ptr 0
		.amdhsa_user_sgpr_kernarg_segment_ptr 1
		.amdhsa_user_sgpr_dispatch_id 0
		.amdhsa_user_sgpr_kernarg_preload_length 0
		.amdhsa_user_sgpr_kernarg_preload_offset 0
		.amdhsa_user_sgpr_private_segment_size 0
		.amdhsa_uses_dynamic_stack 0
		.amdhsa_enable_private_segment 0
		.amdhsa_system_sgpr_workgroup_id_x 1
		.amdhsa_system_sgpr_workgroup_id_y 0
		.amdhsa_system_sgpr_workgroup_id_z 0
		.amdhsa_system_sgpr_workgroup_info 0
		.amdhsa_system_vgpr_workitem_id 0
		.amdhsa_next_free_vgpr 32
		.amdhsa_next_free_sgpr 12
		.amdhsa_accum_offset 32
		.amdhsa_reserve_vcc 1
		.amdhsa_float_round_mode_32 0
		.amdhsa_float_round_mode_16_64 0
		.amdhsa_float_denorm_mode_32 3
		.amdhsa_float_denorm_mode_16_64 3
		.amdhsa_dx10_clamp 1
		.amdhsa_ieee_mode 1
		.amdhsa_fp16_overflow 0
		.amdhsa_tg_split 0
		.amdhsa_exception_fp_ieee_invalid_op 0
		.amdhsa_exception_fp_denorm_src 0
		.amdhsa_exception_fp_ieee_div_zero 0
		.amdhsa_exception_fp_ieee_overflow 0
		.amdhsa_exception_fp_ieee_underflow 0
		.amdhsa_exception_fp_ieee_inexact 0
		.amdhsa_exception_int_div_zero 0
	.end_amdhsa_kernel
	.section	.text._ZN2at6native29vectorized_elementwise_kernelILi8EZZZNS0_15exp_kernel_cudaERNS_18TensorIteratorBaseEENKUlvE0_clEvENKUlvE2_clEvEUlN3c108BFloat16EE_St5arrayIPcLm2EEEEviT0_T1_,"axG",@progbits,_ZN2at6native29vectorized_elementwise_kernelILi8EZZZNS0_15exp_kernel_cudaERNS_18TensorIteratorBaseEENKUlvE0_clEvENKUlvE2_clEvEUlN3c108BFloat16EE_St5arrayIPcLm2EEEEviT0_T1_,comdat
.Lfunc_end99:
	.size	_ZN2at6native29vectorized_elementwise_kernelILi8EZZZNS0_15exp_kernel_cudaERNS_18TensorIteratorBaseEENKUlvE0_clEvENKUlvE2_clEvEUlN3c108BFloat16EE_St5arrayIPcLm2EEEEviT0_T1_, .Lfunc_end99-_ZN2at6native29vectorized_elementwise_kernelILi8EZZZNS0_15exp_kernel_cudaERNS_18TensorIteratorBaseEENKUlvE0_clEvENKUlvE2_clEvEUlN3c108BFloat16EE_St5arrayIPcLm2EEEEviT0_T1_
                                        ; -- End function
	.set _ZN2at6native29vectorized_elementwise_kernelILi8EZZZNS0_15exp_kernel_cudaERNS_18TensorIteratorBaseEENKUlvE0_clEvENKUlvE2_clEvEUlN3c108BFloat16EE_St5arrayIPcLm2EEEEviT0_T1_.num_vgpr, 32
	.set _ZN2at6native29vectorized_elementwise_kernelILi8EZZZNS0_15exp_kernel_cudaERNS_18TensorIteratorBaseEENKUlvE0_clEvENKUlvE2_clEvEUlN3c108BFloat16EE_St5arrayIPcLm2EEEEviT0_T1_.num_agpr, 0
	.set _ZN2at6native29vectorized_elementwise_kernelILi8EZZZNS0_15exp_kernel_cudaERNS_18TensorIteratorBaseEENKUlvE0_clEvENKUlvE2_clEvEUlN3c108BFloat16EE_St5arrayIPcLm2EEEEviT0_T1_.numbered_sgpr, 12
	.set _ZN2at6native29vectorized_elementwise_kernelILi8EZZZNS0_15exp_kernel_cudaERNS_18TensorIteratorBaseEENKUlvE0_clEvENKUlvE2_clEvEUlN3c108BFloat16EE_St5arrayIPcLm2EEEEviT0_T1_.num_named_barrier, 0
	.set _ZN2at6native29vectorized_elementwise_kernelILi8EZZZNS0_15exp_kernel_cudaERNS_18TensorIteratorBaseEENKUlvE0_clEvENKUlvE2_clEvEUlN3c108BFloat16EE_St5arrayIPcLm2EEEEviT0_T1_.private_seg_size, 0
	.set _ZN2at6native29vectorized_elementwise_kernelILi8EZZZNS0_15exp_kernel_cudaERNS_18TensorIteratorBaseEENKUlvE0_clEvENKUlvE2_clEvEUlN3c108BFloat16EE_St5arrayIPcLm2EEEEviT0_T1_.uses_vcc, 1
	.set _ZN2at6native29vectorized_elementwise_kernelILi8EZZZNS0_15exp_kernel_cudaERNS_18TensorIteratorBaseEENKUlvE0_clEvENKUlvE2_clEvEUlN3c108BFloat16EE_St5arrayIPcLm2EEEEviT0_T1_.uses_flat_scratch, 0
	.set _ZN2at6native29vectorized_elementwise_kernelILi8EZZZNS0_15exp_kernel_cudaERNS_18TensorIteratorBaseEENKUlvE0_clEvENKUlvE2_clEvEUlN3c108BFloat16EE_St5arrayIPcLm2EEEEviT0_T1_.has_dyn_sized_stack, 0
	.set _ZN2at6native29vectorized_elementwise_kernelILi8EZZZNS0_15exp_kernel_cudaERNS_18TensorIteratorBaseEENKUlvE0_clEvENKUlvE2_clEvEUlN3c108BFloat16EE_St5arrayIPcLm2EEEEviT0_T1_.has_recursion, 0
	.set _ZN2at6native29vectorized_elementwise_kernelILi8EZZZNS0_15exp_kernel_cudaERNS_18TensorIteratorBaseEENKUlvE0_clEvENKUlvE2_clEvEUlN3c108BFloat16EE_St5arrayIPcLm2EEEEviT0_T1_.has_indirect_call, 0
	.section	.AMDGPU.csdata,"",@progbits
; Kernel info:
; codeLenInByte = 3364
; TotalNumSgprs: 18
; NumVgprs: 32
; NumAgprs: 0
; TotalNumVgprs: 32
; ScratchSize: 0
; MemoryBound: 0
; FloatMode: 240
; IeeeMode: 1
; LDSByteSize: 0 bytes/workgroup (compile time only)
; SGPRBlocks: 2
; VGPRBlocks: 3
; NumSGPRsForWavesPerEU: 18
; NumVGPRsForWavesPerEU: 32
; AccumOffset: 32
; Occupancy: 8
; WaveLimiterHint : 0
; COMPUTE_PGM_RSRC2:SCRATCH_EN: 0
; COMPUTE_PGM_RSRC2:USER_SGPR: 2
; COMPUTE_PGM_RSRC2:TRAP_HANDLER: 0
; COMPUTE_PGM_RSRC2:TGID_X_EN: 1
; COMPUTE_PGM_RSRC2:TGID_Y_EN: 0
; COMPUTE_PGM_RSRC2:TGID_Z_EN: 0
; COMPUTE_PGM_RSRC2:TIDIG_COMP_CNT: 0
; COMPUTE_PGM_RSRC3_GFX90A:ACCUM_OFFSET: 7
; COMPUTE_PGM_RSRC3_GFX90A:TG_SPLIT: 0
	.section	.text._ZN2at6native29vectorized_elementwise_kernelILi4EZZZNS0_15exp_kernel_cudaERNS_18TensorIteratorBaseEENKUlvE0_clEvENKUlvE2_clEvEUlN3c108BFloat16EE_St5arrayIPcLm2EEEEviT0_T1_,"axG",@progbits,_ZN2at6native29vectorized_elementwise_kernelILi4EZZZNS0_15exp_kernel_cudaERNS_18TensorIteratorBaseEENKUlvE0_clEvENKUlvE2_clEvEUlN3c108BFloat16EE_St5arrayIPcLm2EEEEviT0_T1_,comdat
	.globl	_ZN2at6native29vectorized_elementwise_kernelILi4EZZZNS0_15exp_kernel_cudaERNS_18TensorIteratorBaseEENKUlvE0_clEvENKUlvE2_clEvEUlN3c108BFloat16EE_St5arrayIPcLm2EEEEviT0_T1_ ; -- Begin function _ZN2at6native29vectorized_elementwise_kernelILi4EZZZNS0_15exp_kernel_cudaERNS_18TensorIteratorBaseEENKUlvE0_clEvENKUlvE2_clEvEUlN3c108BFloat16EE_St5arrayIPcLm2EEEEviT0_T1_
	.p2align	8
	.type	_ZN2at6native29vectorized_elementwise_kernelILi4EZZZNS0_15exp_kernel_cudaERNS_18TensorIteratorBaseEENKUlvE0_clEvENKUlvE2_clEvEUlN3c108BFloat16EE_St5arrayIPcLm2EEEEviT0_T1_,@function
_ZN2at6native29vectorized_elementwise_kernelILi4EZZZNS0_15exp_kernel_cudaERNS_18TensorIteratorBaseEENKUlvE0_clEvENKUlvE2_clEvEUlN3c108BFloat16EE_St5arrayIPcLm2EEEEviT0_T1_: ; @_ZN2at6native29vectorized_elementwise_kernelILi4EZZZNS0_15exp_kernel_cudaERNS_18TensorIteratorBaseEENKUlvE0_clEvENKUlvE2_clEvEUlN3c108BFloat16EE_St5arrayIPcLm2EEEEviT0_T1_
; %bb.0:
	s_load_dword s3, s[0:1], 0x0
	s_load_dwordx4 s[4:7], s[0:1], 0x8
	s_lshl_b32 s2, s2, 11
	s_mov_b64 s[0:1], -1
	s_waitcnt lgkmcnt(0)
	s_sub_i32 s10, s3, s2
	s_cmpk_gt_i32 s10, 0x7ff
	s_cbranch_scc0 .LBB100_2
; %bb.1:
	s_ashr_i32 s3, s2, 31
	s_lshl_b64 s[0:1], s[2:3], 1
	s_add_u32 s8, s6, s0
	s_addc_u32 s9, s7, s1
	v_lshlrev_b32_e32 v1, 3, v0
	global_load_dwordx2 v[2:3], v1, s[8:9]
	global_load_dwordx2 v[4:5], v1, s[8:9] offset:2048
	s_mov_b32 s8, 0x3fb8aa3b
	s_mov_b32 s3, 0xc2ce8ed0
	;; [unrolled: 1-line block ×3, first 2 shown]
	v_mov_b32_e32 v6, 0x7f800000
	s_movk_i32 s11, 0x7fff
	v_mov_b32_e32 v7, 0x7fc0
	v_mov_b32_e32 v8, 0x7fc00000
	s_add_u32 s0, s4, s0
	s_addc_u32 s1, s5, s1
	s_waitcnt vmcnt(1)
	v_lshlrev_b32_e32 v9, 16, v2
	v_and_b32_e32 v2, 0xffff0000, v2
	v_mul_f32_e32 v12, 0x3fb8aa3b, v9
	v_lshlrev_b32_e32 v10, 16, v3
	v_mul_f32_e32 v13, 0x3fb8aa3b, v2
	v_fma_f32 v17, v9, s8, -v12
	v_rndne_f32_e32 v18, v12
	v_and_b32_e32 v3, 0xffff0000, v3
	v_mul_f32_e32 v14, 0x3fb8aa3b, v10
	v_fma_f32 v19, v2, s8, -v13
	v_rndne_f32_e32 v20, v13
	v_fmac_f32_e32 v17, 0x32a5705f, v9
	v_sub_f32_e32 v12, v12, v18
	v_mul_f32_e32 v15, 0x3fb8aa3b, v3
	v_fma_f32 v21, v10, s8, -v14
	v_rndne_f32_e32 v22, v14
	v_fmac_f32_e32 v19, 0x32a5705f, v2
	v_sub_f32_e32 v13, v13, v20
	v_add_f32_e32 v12, v12, v17
	v_fma_f32 v23, v3, s8, -v15
	v_rndne_f32_e32 v24, v15
	v_cvt_i32_f32_e32 v18, v18
	v_fmac_f32_e32 v21, 0x32a5705f, v10
	v_sub_f32_e32 v14, v14, v22
	v_add_f32_e32 v13, v13, v19
	v_exp_f32_e32 v12, v12
	v_cvt_i32_f32_e32 v20, v20
	v_fmac_f32_e32 v23, 0x32a5705f, v3
	v_sub_f32_e32 v15, v15, v24
	v_add_f32_e32 v14, v14, v21
	v_exp_f32_e32 v13, v13
	v_cvt_i32_f32_e32 v22, v22
	v_add_f32_e32 v15, v15, v23
	v_exp_f32_e32 v14, v14
	v_cvt_i32_f32_e32 v24, v24
	v_exp_f32_e32 v15, v15
	v_ldexp_f32 v12, v12, v18
	v_cmp_ngt_f32_e32 vcc, s3, v9
	v_ldexp_f32 v13, v13, v20
	v_ldexp_f32 v14, v14, v22
	v_cndmask_b32_e32 v12, 0, v12, vcc
	v_cmp_ngt_f32_e32 vcc, s3, v2
	s_waitcnt vmcnt(0)
	v_lshlrev_b32_e32 v11, 16, v4
	v_ldexp_f32 v15, v15, v24
	v_cndmask_b32_e32 v13, 0, v13, vcc
	v_cmp_ngt_f32_e32 vcc, s3, v10
	v_mul_f32_e32 v16, 0x3fb8aa3b, v11
	v_fma_f32 v25, v11, s8, -v16
	v_cndmask_b32_e32 v14, 0, v14, vcc
	v_cmp_ngt_f32_e32 vcc, s3, v3
	v_rndne_f32_e32 v26, v16
	v_fmac_f32_e32 v25, 0x32a5705f, v11
	v_cndmask_b32_e32 v15, 0, v15, vcc
	v_cmp_nlt_f32_e32 vcc, s9, v9
	v_sub_f32_e32 v16, v16, v26
	v_add_f32_e32 v16, v16, v25
	v_cndmask_b32_e32 v9, v6, v12, vcc
	v_cmp_nlt_f32_e32 vcc, s9, v2
	v_bfe_u32 v12, v9, 16, 1
	v_add3_u32 v12, v9, v12, s11
	v_cndmask_b32_e32 v2, v6, v13, vcc
	v_cmp_nlt_f32_e32 vcc, s9, v10
	v_bfe_u32 v13, v2, 16, 1
	v_cvt_i32_f32_e32 v26, v26
	v_cndmask_b32_e32 v10, v6, v14, vcc
	v_cmp_nlt_f32_e32 vcc, s9, v3
	v_exp_f32_e32 v16, v16
	v_bfe_u32 v14, v10, 16, 1
	v_cndmask_b32_e32 v3, v6, v15, vcc
	v_add3_u32 v13, v2, v13, s11
	v_lshrrev_b32_e32 v12, 16, v12
	v_cmp_o_f32_e32 vcc, v9, v9
	v_bfe_u32 v15, v3, 16, 1
	v_add3_u32 v14, v10, v14, s11
	v_and_b32_e32 v13, 0xffff0000, v13
	v_cndmask_b32_e32 v9, v7, v12, vcc
	v_cmp_o_f32_e32 vcc, v2, v2
	v_add3_u32 v15, v3, v15, s11
	v_lshrrev_b32_e32 v14, 16, v14
	v_cndmask_b32_e32 v2, v8, v13, vcc
	v_cmp_o_f32_e32 vcc, v10, v10
	v_and_b32_e32 v15, 0xffff0000, v15
	v_or_b32_e32 v2, v9, v2
	v_cndmask_b32_e32 v10, v7, v14, vcc
	v_cmp_o_f32_e32 vcc, v3, v3
	v_ldexp_f32 v9, v16, v26
	v_and_b32_e32 v4, 0xffff0000, v4
	v_cndmask_b32_e32 v3, v8, v15, vcc
	v_cmp_ngt_f32_e32 vcc, s3, v11
	v_or3_b32 v3, 0, v10, v3
	v_or3_b32 v2, v2, 0, 0
	v_cndmask_b32_e32 v9, 0, v9, vcc
	v_cmp_nlt_f32_e32 vcc, s9, v11
	v_mul_f32_e32 v11, 0x3fb8aa3b, v4
	v_fma_f32 v12, v4, s8, -v11
	v_rndne_f32_e32 v13, v11
	v_fmac_f32_e32 v12, 0x32a5705f, v4
	v_sub_f32_e32 v11, v11, v13
	v_add_f32_e32 v11, v11, v12
	v_cndmask_b32_e32 v9, v6, v9, vcc
	v_exp_f32_e32 v11, v11
	v_cvt_i32_f32_e32 v12, v13
	v_bfe_u32 v10, v9, 16, 1
	v_add3_u32 v10, v9, v10, s11
	v_lshrrev_b32_e32 v10, 16, v10
	v_cmp_o_f32_e32 vcc, v9, v9
	s_nop 1
	v_cndmask_b32_e32 v9, v7, v10, vcc
	v_ldexp_f32 v10, v11, v12
	v_lshlrev_b32_e32 v11, 16, v5
	v_mul_f32_e32 v12, 0x3fb8aa3b, v11
	v_cmp_ngt_f32_e32 vcc, s3, v4
	v_fma_f32 v13, v11, s8, -v12
	v_rndne_f32_e32 v14, v12
	v_cndmask_b32_e32 v10, 0, v10, vcc
	v_cmp_nlt_f32_e32 vcc, s9, v4
	v_fmac_f32_e32 v13, 0x32a5705f, v11
	v_sub_f32_e32 v12, v12, v14
	v_cndmask_b32_e32 v4, v6, v10, vcc
	v_add_f32_e32 v12, v12, v13
	v_bfe_u32 v10, v4, 16, 1
	v_exp_f32_e32 v12, v12
	v_cvt_i32_f32_e32 v13, v14
	v_add3_u32 v10, v4, v10, s11
	v_and_b32_e32 v10, 0xffff0000, v10
	v_cmp_o_f32_e32 vcc, v4, v4
	v_and_b32_e32 v5, 0xffff0000, v5
	s_nop 0
	v_cndmask_b32_e32 v4, v8, v10, vcc
	v_or_b32_e32 v4, v9, v4
	v_ldexp_f32 v9, v12, v13
	v_cmp_ngt_f32_e32 vcc, s3, v11
	v_or3_b32 v4, v4, 0, 0
	s_nop 0
	v_cndmask_b32_e32 v9, 0, v9, vcc
	v_cmp_nlt_f32_e32 vcc, s9, v11
	v_mul_f32_e32 v11, 0x3fb8aa3b, v5
	v_fma_f32 v12, v5, s8, -v11
	v_rndne_f32_e32 v13, v11
	v_fmac_f32_e32 v12, 0x32a5705f, v5
	v_sub_f32_e32 v11, v11, v13
	v_add_f32_e32 v11, v11, v12
	v_cndmask_b32_e32 v9, v6, v9, vcc
	v_exp_f32_e32 v11, v11
	v_cvt_i32_f32_e32 v12, v13
	v_bfe_u32 v10, v9, 16, 1
	v_add3_u32 v10, v9, v10, s11
	v_lshrrev_b32_e32 v10, 16, v10
	v_cmp_o_f32_e32 vcc, v9, v9
	v_ldexp_f32 v9, v11, v12
	s_nop 0
	v_cndmask_b32_e32 v7, v7, v10, vcc
	v_cmp_ngt_f32_e32 vcc, s3, v5
	s_nop 1
	v_cndmask_b32_e32 v9, 0, v9, vcc
	v_cmp_nlt_f32_e32 vcc, s9, v5
	s_nop 1
	v_cndmask_b32_e32 v5, v6, v9, vcc
	v_bfe_u32 v6, v5, 16, 1
	v_add3_u32 v6, v5, v6, s11
	v_and_b32_e32 v6, 0xffff0000, v6
	v_cmp_o_f32_e32 vcc, v5, v5
	s_nop 1
	v_cndmask_b32_e32 v5, v8, v6, vcc
	v_or3_b32 v5, 0, v7, v5
	global_store_dwordx2 v1, v[2:3], s[0:1]
	global_store_dwordx2 v1, v[4:5], s[0:1] offset:2048
	s_mov_b64 s[0:1], 0
.LBB100_2:
	s_andn2_b64 vcc, exec, s[0:1]
	s_cbranch_vccnz .LBB100_41
; %bb.3:
	v_cmp_gt_i32_e64 s[0:1], s10, v0
	v_mov_b32_e32 v1, 1.0
	v_or_b32_e32 v2, s2, v0
	v_mov_b32_e32 v3, 1.0
	v_mov_b32_e32 v4, v0
	s_and_saveexec_b64 s[8:9], s[0:1]
	s_cbranch_execz .LBB100_5
; %bb.4:
	v_mov_b32_e32 v3, 0
	v_lshl_add_u64 v[4:5], v[2:3], 1, s[6:7]
	global_load_ushort v3, v[4:5], off
	s_mov_b32 s3, 0x3fb8aa3b
	s_mov_b32 s11, 0x42b17218
	v_or_b32_e32 v4, 0x100, v0
	s_waitcnt vmcnt(0)
	v_lshlrev_b32_e32 v3, 16, v3
	v_mul_f32_e32 v5, 0x3fb8aa3b, v3
	v_fma_f32 v6, v3, s3, -v5
	v_rndne_f32_e32 v7, v5
	v_fmamk_f32 v6, v3, 0x32a5705f, v6
	v_sub_f32_e32 v5, v5, v7
	v_add_f32_e32 v5, v5, v6
	v_cvt_i32_f32_e32 v7, v7
	v_exp_f32_e32 v5, v5
	s_mov_b32 s3, 0xc2ce8ed0
	v_cmp_ngt_f32_e32 vcc, s3, v3
	v_mov_b32_e32 v6, 0x7f800000
	v_ldexp_f32 v5, v5, v7
	v_cndmask_b32_e32 v5, 0, v5, vcc
	v_cmp_nlt_f32_e32 vcc, s11, v3
	s_nop 1
	v_cndmask_b32_e32 v3, v6, v5, vcc
.LBB100_5:
	s_or_b64 exec, exec, s[8:9]
	v_cmp_gt_i32_e32 vcc, s10, v4
	s_and_saveexec_b64 s[8:9], vcc
	s_cbranch_execz .LBB100_7
; %bb.6:
	v_add_u32_e32 v6, s2, v4
	v_mov_b32_e32 v7, 0
	v_lshl_add_u64 v[6:7], v[6:7], 1, s[6:7]
	global_load_ushort v1, v[6:7], off
	s_mov_b32 s3, 0x3fb8aa3b
	s_mov_b32 s11, 0x42b17218
	v_add_u32_e32 v4, 0x100, v4
	s_waitcnt vmcnt(0)
	v_lshlrev_b32_e32 v1, 16, v1
	v_mul_f32_e32 v5, 0x3fb8aa3b, v1
	v_fma_f32 v6, v1, s3, -v5
	v_rndne_f32_e32 v7, v5
	v_fmamk_f32 v6, v1, 0x32a5705f, v6
	v_sub_f32_e32 v5, v5, v7
	v_add_f32_e32 v5, v5, v6
	v_cvt_i32_f32_e32 v7, v7
	v_exp_f32_e32 v5, v5
	s_mov_b32 s3, 0xc2ce8ed0
	v_cmp_ngt_f32_e32 vcc, s3, v1
	v_mov_b32_e32 v6, 0x7f800000
	v_ldexp_f32 v5, v5, v7
	v_cndmask_b32_e32 v5, 0, v5, vcc
	v_cmp_nlt_f32_e32 vcc, s11, v1
	s_nop 1
	v_cndmask_b32_e32 v1, v6, v5, vcc
.LBB100_7:
	s_or_b64 exec, exec, s[8:9]
	v_cmp_gt_i32_e32 vcc, s10, v4
	v_mov_b32_e32 v5, 1.0
	v_mov_b32_e32 v6, 1.0
	s_and_saveexec_b64 s[8:9], vcc
	s_cbranch_execz .LBB100_9
; %bb.8:
	v_add_u32_e32 v6, s2, v4
	v_mov_b32_e32 v7, 0
	v_lshl_add_u64 v[6:7], v[6:7], 1, s[6:7]
	global_load_ushort v6, v[6:7], off
	s_mov_b32 s3, 0x3fb8aa3b
	s_mov_b32 s11, 0x42b17218
	v_add_u32_e32 v4, 0x100, v4
	s_waitcnt vmcnt(0)
	v_lshlrev_b32_e32 v6, 16, v6
	v_mul_f32_e32 v7, 0x3fb8aa3b, v6
	v_fma_f32 v8, v6, s3, -v7
	v_rndne_f32_e32 v9, v7
	v_fmamk_f32 v8, v6, 0x32a5705f, v8
	v_sub_f32_e32 v7, v7, v9
	v_add_f32_e32 v7, v7, v8
	v_cvt_i32_f32_e32 v9, v9
	v_exp_f32_e32 v7, v7
	s_mov_b32 s3, 0xc2ce8ed0
	v_cmp_ngt_f32_e32 vcc, s3, v6
	v_mov_b32_e32 v8, 0x7f800000
	v_ldexp_f32 v7, v7, v9
	v_cndmask_b32_e32 v7, 0, v7, vcc
	v_cmp_nlt_f32_e32 vcc, s11, v6
	s_nop 1
	v_cndmask_b32_e32 v6, v8, v7, vcc
.LBB100_9:
	s_or_b64 exec, exec, s[8:9]
	v_cmp_gt_i32_e32 vcc, s10, v4
	s_and_saveexec_b64 s[8:9], vcc
	s_cbranch_execz .LBB100_11
; %bb.10:
	v_add_u32_e32 v8, s2, v4
	v_mov_b32_e32 v9, 0
	v_lshl_add_u64 v[8:9], v[8:9], 1, s[6:7]
	global_load_ushort v5, v[8:9], off
	s_mov_b32 s3, 0x3fb8aa3b
	s_mov_b32 s11, 0x42b17218
	v_add_u32_e32 v4, 0x100, v4
	s_waitcnt vmcnt(0)
	v_lshlrev_b32_e32 v5, 16, v5
	v_mul_f32_e32 v7, 0x3fb8aa3b, v5
	v_fma_f32 v8, v5, s3, -v7
	v_rndne_f32_e32 v9, v7
	v_fmamk_f32 v8, v5, 0x32a5705f, v8
	v_sub_f32_e32 v7, v7, v9
	v_add_f32_e32 v7, v7, v8
	v_cvt_i32_f32_e32 v9, v9
	v_exp_f32_e32 v7, v7
	s_mov_b32 s3, 0xc2ce8ed0
	v_cmp_ngt_f32_e32 vcc, s3, v5
	v_mov_b32_e32 v8, 0x7f800000
	v_ldexp_f32 v7, v7, v9
	v_cndmask_b32_e32 v7, 0, v7, vcc
	v_cmp_nlt_f32_e32 vcc, s11, v5
	s_nop 1
	v_cndmask_b32_e32 v5, v8, v7, vcc
.LBB100_11:
	s_or_b64 exec, exec, s[8:9]
	v_cmp_gt_i32_e32 vcc, s10, v4
	v_mov_b32_e32 v7, 1.0
	v_mov_b32_e32 v8, 1.0
	s_and_saveexec_b64 s[8:9], vcc
	s_cbranch_execz .LBB100_13
; %bb.12:
	v_add_u32_e32 v8, s2, v4
	v_mov_b32_e32 v9, 0
	v_lshl_add_u64 v[8:9], v[8:9], 1, s[6:7]
	global_load_ushort v8, v[8:9], off
	s_mov_b32 s3, 0x3fb8aa3b
	s_mov_b32 s11, 0x42b17218
	v_add_u32_e32 v4, 0x100, v4
	s_waitcnt vmcnt(0)
	v_lshlrev_b32_e32 v8, 16, v8
	v_mul_f32_e32 v9, 0x3fb8aa3b, v8
	v_fma_f32 v10, v8, s3, -v9
	v_rndne_f32_e32 v11, v9
	v_fmamk_f32 v10, v8, 0x32a5705f, v10
	v_sub_f32_e32 v9, v9, v11
	v_add_f32_e32 v9, v9, v10
	v_cvt_i32_f32_e32 v11, v11
	v_exp_f32_e32 v9, v9
	s_mov_b32 s3, 0xc2ce8ed0
	v_cmp_ngt_f32_e32 vcc, s3, v8
	v_mov_b32_e32 v10, 0x7f800000
	v_ldexp_f32 v9, v9, v11
	v_cndmask_b32_e32 v9, 0, v9, vcc
	v_cmp_nlt_f32_e32 vcc, s11, v8
	s_nop 1
	v_cndmask_b32_e32 v8, v10, v9, vcc
.LBB100_13:
	s_or_b64 exec, exec, s[8:9]
	v_cmp_gt_i32_e32 vcc, s10, v4
	s_and_saveexec_b64 s[8:9], vcc
	s_cbranch_execz .LBB100_15
; %bb.14:
	v_add_u32_e32 v10, s2, v4
	v_mov_b32_e32 v11, 0
	v_lshl_add_u64 v[10:11], v[10:11], 1, s[6:7]
	global_load_ushort v7, v[10:11], off
	s_mov_b32 s3, 0x3fb8aa3b
	s_mov_b32 s11, 0x42b17218
	v_add_u32_e32 v4, 0x100, v4
	s_waitcnt vmcnt(0)
	v_lshlrev_b32_e32 v7, 16, v7
	v_mul_f32_e32 v9, 0x3fb8aa3b, v7
	v_fma_f32 v10, v7, s3, -v9
	v_rndne_f32_e32 v11, v9
	v_fmamk_f32 v10, v7, 0x32a5705f, v10
	v_sub_f32_e32 v9, v9, v11
	v_add_f32_e32 v9, v9, v10
	v_cvt_i32_f32_e32 v11, v11
	v_exp_f32_e32 v9, v9
	s_mov_b32 s3, 0xc2ce8ed0
	v_cmp_ngt_f32_e32 vcc, s3, v7
	v_mov_b32_e32 v10, 0x7f800000
	v_ldexp_f32 v9, v9, v11
	v_cndmask_b32_e32 v9, 0, v9, vcc
	v_cmp_nlt_f32_e32 vcc, s11, v7
	s_nop 1
	v_cndmask_b32_e32 v7, v10, v9, vcc
.LBB100_15:
	s_or_b64 exec, exec, s[8:9]
	v_cmp_gt_i32_e32 vcc, s10, v4
	v_mov_b32_e32 v9, 1.0
	v_mov_b32_e32 v10, 1.0
	s_and_saveexec_b64 s[8:9], vcc
	s_cbranch_execnz .LBB100_42
; %bb.16:
	s_or_b64 exec, exec, s[8:9]
	v_cmp_gt_i32_e32 vcc, s10, v4
	s_and_saveexec_b64 s[8:9], vcc
	s_cbranch_execnz .LBB100_43
.LBB100_17:
	s_or_b64 exec, exec, s[8:9]
                                        ; implicit-def: $vgpr4
	s_and_saveexec_b64 s[6:7], s[0:1]
.LBB100_18:
	v_bfe_u32 v4, v3, 16, 1
	s_movk_i32 s3, 0x7fff
	v_add3_u32 v4, v3, v4, s3
	v_cmp_o_f32_e32 vcc, v3, v3
	v_mov_b32_e32 v3, 0x7fc0
	s_nop 0
	v_cndmask_b32_sdwa v4, v3, v4, vcc dst_sel:DWORD dst_unused:UNUSED_PAD src0_sel:DWORD src1_sel:WORD_1
.LBB100_19:
	s_or_b64 exec, exec, s[6:7]
	v_or_b32_e32 v12, 0x100, v0
	v_cmp_gt_i32_e32 vcc, s10, v12
                                        ; implicit-def: $vgpr11
	s_and_saveexec_b64 s[6:7], vcc
; %bb.20:
	v_bfe_u32 v3, v1, 16, 1
	s_movk_i32 s3, 0x7fff
	v_add3_u32 v3, v1, v3, s3
	v_cmp_o_f32_e32 vcc, v1, v1
	v_mov_b32_e32 v1, 0x7fc0
	s_nop 0
	v_cndmask_b32_sdwa v11, v1, v3, vcc dst_sel:DWORD dst_unused:UNUSED_PAD src0_sel:DWORD src1_sel:WORD_1
; %bb.21:
	s_or_b64 exec, exec, s[6:7]
	v_or_b32_e32 v1, 0x200, v0
	v_cmp_gt_i32_e32 vcc, s10, v1
                                        ; implicit-def: $vgpr1
	s_and_saveexec_b64 s[6:7], vcc
; %bb.22:
	v_bfe_u32 v1, v6, 16, 1
	s_movk_i32 s3, 0x7fff
	v_add3_u32 v1, v6, v1, s3
	v_cmp_o_f32_e32 vcc, v6, v6
	v_mov_b32_e32 v3, 0x7fc0
	s_nop 0
	v_cndmask_b32_sdwa v1, v3, v1, vcc dst_sel:DWORD dst_unused:UNUSED_PAD src0_sel:DWORD src1_sel:WORD_1
; %bb.23:
	s_or_b64 exec, exec, s[6:7]
	v_or_b32_e32 v3, 0x300, v0
	v_cmp_gt_i32_e32 vcc, s10, v3
                                        ; implicit-def: $vgpr6
	s_and_saveexec_b64 s[6:7], vcc
; %bb.24:
	v_bfe_u32 v3, v5, 16, 1
	s_movk_i32 s3, 0x7fff
	v_add3_u32 v3, v5, v3, s3
	v_cmp_o_f32_e32 vcc, v5, v5
	v_mov_b32_e32 v5, 0x7fc0
	s_nop 0
	v_cndmask_b32_sdwa v6, v5, v3, vcc dst_sel:DWORD dst_unused:UNUSED_PAD src0_sel:DWORD src1_sel:WORD_1
; %bb.25:
	s_or_b64 exec, exec, s[6:7]
	v_or_b32_e32 v3, 0x400, v0
	v_cmp_gt_i32_e32 vcc, s10, v3
                                        ; implicit-def: $vgpr5
	s_and_saveexec_b64 s[6:7], vcc
; %bb.26:
	v_bfe_u32 v3, v8, 16, 1
	s_movk_i32 s3, 0x7fff
	v_add3_u32 v3, v8, v3, s3
	v_cmp_o_f32_e32 vcc, v8, v8
	v_mov_b32_e32 v5, 0x7fc0
	s_nop 0
	v_cndmask_b32_sdwa v5, v5, v3, vcc dst_sel:DWORD dst_unused:UNUSED_PAD src0_sel:DWORD src1_sel:WORD_1
; %bb.27:
	s_or_b64 exec, exec, s[6:7]
	v_or_b32_e32 v3, 0x500, v0
	v_cmp_gt_i32_e32 vcc, s10, v3
                                        ; implicit-def: $vgpr8
	s_and_saveexec_b64 s[6:7], vcc
; %bb.28:
	v_bfe_u32 v3, v7, 16, 1
	s_movk_i32 s3, 0x7fff
	v_add3_u32 v3, v7, v3, s3
	v_cmp_o_f32_e32 vcc, v7, v7
	v_mov_b32_e32 v7, 0x7fc0
	s_nop 0
	v_cndmask_b32_sdwa v8, v7, v3, vcc dst_sel:DWORD dst_unused:UNUSED_PAD src0_sel:DWORD src1_sel:WORD_1
; %bb.29:
	s_or_b64 exec, exec, s[6:7]
	v_or_b32_e32 v3, 0x600, v0
	v_cmp_gt_i32_e32 vcc, s10, v3
                                        ; implicit-def: $vgpr7
	s_and_saveexec_b64 s[6:7], vcc
; %bb.30:
	v_bfe_u32 v3, v10, 16, 1
	s_movk_i32 s3, 0x7fff
	v_add3_u32 v3, v10, v3, s3
	v_cmp_o_f32_e32 vcc, v10, v10
	v_mov_b32_e32 v7, 0x7fc0
	s_nop 0
	v_cndmask_b32_sdwa v7, v7, v3, vcc dst_sel:DWORD dst_unused:UNUSED_PAD src0_sel:DWORD src1_sel:WORD_1
; %bb.31:
	s_or_b64 exec, exec, s[6:7]
	v_or_b32_e32 v3, 0x700, v0
	v_cmp_gt_i32_e32 vcc, s10, v3
                                        ; implicit-def: $vgpr10
	s_and_saveexec_b64 s[6:7], vcc
	s_cbranch_execnz .LBB100_44
; %bb.32:
	s_or_b64 exec, exec, s[6:7]
	s_and_saveexec_b64 s[6:7], s[0:1]
	s_xor_b64 s[0:1], exec, s[6:7]
	s_cbranch_execnz .LBB100_45
.LBB100_33:
	s_or_b64 exec, exec, s[0:1]
	v_cmp_gt_i32_e32 vcc, s10, v0
	s_and_saveexec_b64 s[0:1], vcc
	s_cbranch_execnz .LBB100_46
.LBB100_34:
	s_or_b64 exec, exec, s[0:1]
	v_cmp_gt_i32_e32 vcc, s10, v0
	s_and_saveexec_b64 s[0:1], vcc
	s_cbranch_execnz .LBB100_47
.LBB100_35:
	s_or_b64 exec, exec, s[0:1]
	v_cmp_gt_i32_e32 vcc, s10, v0
	s_and_saveexec_b64 s[0:1], vcc
	s_cbranch_execnz .LBB100_48
.LBB100_36:
	s_or_b64 exec, exec, s[0:1]
	v_cmp_gt_i32_e32 vcc, s10, v0
	s_and_saveexec_b64 s[0:1], vcc
	s_cbranch_execnz .LBB100_49
.LBB100_37:
	s_or_b64 exec, exec, s[0:1]
	v_cmp_gt_i32_e32 vcc, s10, v0
	s_and_saveexec_b64 s[0:1], vcc
	s_cbranch_execnz .LBB100_50
.LBB100_38:
	s_or_b64 exec, exec, s[0:1]
	v_cmp_gt_i32_e32 vcc, s10, v0
	s_and_saveexec_b64 s[0:1], vcc
	s_cbranch_execnz .LBB100_51
.LBB100_39:
	s_or_b64 exec, exec, s[0:1]
	v_cmp_gt_i32_e32 vcc, s10, v0
	s_and_saveexec_b64 s[0:1], vcc
	s_cbranch_execz .LBB100_41
.LBB100_40:
	v_add_u32_e32 v0, s2, v0
	v_mov_b32_e32 v1, 0
	v_lshl_add_u64 v[0:1], v[0:1], 1, s[4:5]
	global_store_short v[0:1], v10, off
.LBB100_41:
	s_endpgm
.LBB100_42:
	v_add_u32_e32 v10, s2, v4
	v_mov_b32_e32 v11, 0
	v_lshl_add_u64 v[10:11], v[10:11], 1, s[6:7]
	global_load_ushort v10, v[10:11], off
	s_mov_b32 s3, 0x3fb8aa3b
	s_mov_b32 s11, 0x42b17218
	v_add_u32_e32 v4, 0x100, v4
	s_waitcnt vmcnt(0)
	v_lshlrev_b32_e32 v10, 16, v10
	v_mul_f32_e32 v11, 0x3fb8aa3b, v10
	v_fma_f32 v12, v10, s3, -v11
	v_rndne_f32_e32 v13, v11
	v_fmamk_f32 v12, v10, 0x32a5705f, v12
	v_sub_f32_e32 v11, v11, v13
	v_add_f32_e32 v11, v11, v12
	v_cvt_i32_f32_e32 v13, v13
	v_exp_f32_e32 v11, v11
	s_mov_b32 s3, 0xc2ce8ed0
	v_cmp_ngt_f32_e32 vcc, s3, v10
	v_mov_b32_e32 v12, 0x7f800000
	v_ldexp_f32 v11, v11, v13
	v_cndmask_b32_e32 v11, 0, v11, vcc
	v_cmp_nlt_f32_e32 vcc, s11, v10
	s_nop 1
	v_cndmask_b32_e32 v10, v12, v11, vcc
	s_or_b64 exec, exec, s[8:9]
	v_cmp_gt_i32_e32 vcc, s10, v4
	s_and_saveexec_b64 s[8:9], vcc
	s_cbranch_execz .LBB100_17
.LBB100_43:
	v_add_u32_e32 v12, s2, v4
	v_mov_b32_e32 v13, 0
	v_lshl_add_u64 v[12:13], v[12:13], 1, s[6:7]
	global_load_ushort v4, v[12:13], off
	s_mov_b32 s3, 0x3fb8aa3b
	s_mov_b32 s6, 0x42b17218
	s_waitcnt vmcnt(0)
	v_lshlrev_b32_e32 v4, 16, v4
	v_mul_f32_e32 v9, 0x3fb8aa3b, v4
	v_fma_f32 v11, v4, s3, -v9
	v_rndne_f32_e32 v12, v9
	v_fmamk_f32 v11, v4, 0x32a5705f, v11
	v_sub_f32_e32 v9, v9, v12
	v_add_f32_e32 v9, v9, v11
	v_cvt_i32_f32_e32 v12, v12
	v_exp_f32_e32 v9, v9
	s_mov_b32 s3, 0xc2ce8ed0
	v_cmp_ngt_f32_e32 vcc, s3, v4
	v_mov_b32_e32 v11, 0x7f800000
	v_ldexp_f32 v9, v9, v12
	v_cndmask_b32_e32 v9, 0, v9, vcc
	v_cmp_nlt_f32_e32 vcc, s6, v4
	s_nop 1
	v_cndmask_b32_e32 v9, v11, v9, vcc
	s_or_b64 exec, exec, s[8:9]
                                        ; implicit-def: $vgpr4
	s_and_saveexec_b64 s[6:7], s[0:1]
	s_cbranch_execnz .LBB100_18
	s_branch .LBB100_19
.LBB100_44:
	v_bfe_u32 v3, v9, 16, 1
	s_movk_i32 s3, 0x7fff
	v_add3_u32 v3, v9, v3, s3
	v_cmp_o_f32_e32 vcc, v9, v9
	v_mov_b32_e32 v9, 0x7fc0
	s_nop 0
	v_cndmask_b32_sdwa v10, v9, v3, vcc dst_sel:DWORD dst_unused:UNUSED_PAD src0_sel:DWORD src1_sel:WORD_1
	s_or_b64 exec, exec, s[6:7]
	s_and_saveexec_b64 s[6:7], s[0:1]
	s_xor_b64 s[0:1], exec, s[6:7]
	s_cbranch_execz .LBB100_33
.LBB100_45:
	v_mov_b32_e32 v3, 0
	v_lshl_add_u64 v[2:3], v[2:3], 1, s[4:5]
	v_mov_b32_e32 v0, v12
	global_store_short v[2:3], v4, off
	s_or_b64 exec, exec, s[0:1]
	v_cmp_gt_i32_e32 vcc, s10, v0
	s_and_saveexec_b64 s[0:1], vcc
	s_cbranch_execz .LBB100_34
.LBB100_46:
	v_add_u32_e32 v2, s2, v0
	v_mov_b32_e32 v3, 0
	v_lshl_add_u64 v[2:3], v[2:3], 1, s[4:5]
	v_add_u32_e32 v0, 0x100, v0
	global_store_short v[2:3], v11, off
	s_or_b64 exec, exec, s[0:1]
	v_cmp_gt_i32_e32 vcc, s10, v0
	s_and_saveexec_b64 s[0:1], vcc
	s_cbranch_execz .LBB100_35
.LBB100_47:
	v_add_u32_e32 v2, s2, v0
	v_mov_b32_e32 v3, 0
	v_lshl_add_u64 v[2:3], v[2:3], 1, s[4:5]
	v_add_u32_e32 v0, 0x100, v0
	global_store_short v[2:3], v1, off
	s_or_b64 exec, exec, s[0:1]
	v_cmp_gt_i32_e32 vcc, s10, v0
	s_and_saveexec_b64 s[0:1], vcc
	s_cbranch_execz .LBB100_36
.LBB100_48:
	v_add_u32_e32 v2, s2, v0
	v_mov_b32_e32 v3, 0
	v_lshl_add_u64 v[2:3], v[2:3], 1, s[4:5]
	v_add_u32_e32 v0, 0x100, v0
	global_store_short v[2:3], v6, off
	s_or_b64 exec, exec, s[0:1]
	v_cmp_gt_i32_e32 vcc, s10, v0
	s_and_saveexec_b64 s[0:1], vcc
	s_cbranch_execz .LBB100_37
.LBB100_49:
	v_add_u32_e32 v2, s2, v0
	v_mov_b32_e32 v3, 0
	v_lshl_add_u64 v[2:3], v[2:3], 1, s[4:5]
	v_add_u32_e32 v0, 0x100, v0
	global_store_short v[2:3], v5, off
	s_or_b64 exec, exec, s[0:1]
	v_cmp_gt_i32_e32 vcc, s10, v0
	s_and_saveexec_b64 s[0:1], vcc
	s_cbranch_execz .LBB100_38
.LBB100_50:
	v_add_u32_e32 v2, s2, v0
	v_mov_b32_e32 v3, 0
	v_lshl_add_u64 v[2:3], v[2:3], 1, s[4:5]
	v_add_u32_e32 v0, 0x100, v0
	global_store_short v[2:3], v8, off
	s_or_b64 exec, exec, s[0:1]
	v_cmp_gt_i32_e32 vcc, s10, v0
	s_and_saveexec_b64 s[0:1], vcc
	s_cbranch_execz .LBB100_39
.LBB100_51:
	v_add_u32_e32 v2, s2, v0
	v_mov_b32_e32 v3, 0
	v_lshl_add_u64 v[2:3], v[2:3], 1, s[4:5]
	v_add_u32_e32 v0, 0x100, v0
	global_store_short v[2:3], v7, off
	s_or_b64 exec, exec, s[0:1]
	v_cmp_gt_i32_e32 vcc, s10, v0
	s_and_saveexec_b64 s[0:1], vcc
	s_cbranch_execnz .LBB100_40
	s_branch .LBB100_41
	.section	.rodata,"a",@progbits
	.p2align	6, 0x0
	.amdhsa_kernel _ZN2at6native29vectorized_elementwise_kernelILi4EZZZNS0_15exp_kernel_cudaERNS_18TensorIteratorBaseEENKUlvE0_clEvENKUlvE2_clEvEUlN3c108BFloat16EE_St5arrayIPcLm2EEEEviT0_T1_
		.amdhsa_group_segment_fixed_size 0
		.amdhsa_private_segment_fixed_size 0
		.amdhsa_kernarg_size 24
		.amdhsa_user_sgpr_count 2
		.amdhsa_user_sgpr_dispatch_ptr 0
		.amdhsa_user_sgpr_queue_ptr 0
		.amdhsa_user_sgpr_kernarg_segment_ptr 1
		.amdhsa_user_sgpr_dispatch_id 0
		.amdhsa_user_sgpr_kernarg_preload_length 0
		.amdhsa_user_sgpr_kernarg_preload_offset 0
		.amdhsa_user_sgpr_private_segment_size 0
		.amdhsa_uses_dynamic_stack 0
		.amdhsa_enable_private_segment 0
		.amdhsa_system_sgpr_workgroup_id_x 1
		.amdhsa_system_sgpr_workgroup_id_y 0
		.amdhsa_system_sgpr_workgroup_id_z 0
		.amdhsa_system_sgpr_workgroup_info 0
		.amdhsa_system_vgpr_workitem_id 0
		.amdhsa_next_free_vgpr 27
		.amdhsa_next_free_sgpr 12
		.amdhsa_accum_offset 28
		.amdhsa_reserve_vcc 1
		.amdhsa_float_round_mode_32 0
		.amdhsa_float_round_mode_16_64 0
		.amdhsa_float_denorm_mode_32 3
		.amdhsa_float_denorm_mode_16_64 3
		.amdhsa_dx10_clamp 1
		.amdhsa_ieee_mode 1
		.amdhsa_fp16_overflow 0
		.amdhsa_tg_split 0
		.amdhsa_exception_fp_ieee_invalid_op 0
		.amdhsa_exception_fp_denorm_src 0
		.amdhsa_exception_fp_ieee_div_zero 0
		.amdhsa_exception_fp_ieee_overflow 0
		.amdhsa_exception_fp_ieee_underflow 0
		.amdhsa_exception_fp_ieee_inexact 0
		.amdhsa_exception_int_div_zero 0
	.end_amdhsa_kernel
	.section	.text._ZN2at6native29vectorized_elementwise_kernelILi4EZZZNS0_15exp_kernel_cudaERNS_18TensorIteratorBaseEENKUlvE0_clEvENKUlvE2_clEvEUlN3c108BFloat16EE_St5arrayIPcLm2EEEEviT0_T1_,"axG",@progbits,_ZN2at6native29vectorized_elementwise_kernelILi4EZZZNS0_15exp_kernel_cudaERNS_18TensorIteratorBaseEENKUlvE0_clEvENKUlvE2_clEvEUlN3c108BFloat16EE_St5arrayIPcLm2EEEEviT0_T1_,comdat
.Lfunc_end100:
	.size	_ZN2at6native29vectorized_elementwise_kernelILi4EZZZNS0_15exp_kernel_cudaERNS_18TensorIteratorBaseEENKUlvE0_clEvENKUlvE2_clEvEUlN3c108BFloat16EE_St5arrayIPcLm2EEEEviT0_T1_, .Lfunc_end100-_ZN2at6native29vectorized_elementwise_kernelILi4EZZZNS0_15exp_kernel_cudaERNS_18TensorIteratorBaseEENKUlvE0_clEvENKUlvE2_clEvEUlN3c108BFloat16EE_St5arrayIPcLm2EEEEviT0_T1_
                                        ; -- End function
	.set _ZN2at6native29vectorized_elementwise_kernelILi4EZZZNS0_15exp_kernel_cudaERNS_18TensorIteratorBaseEENKUlvE0_clEvENKUlvE2_clEvEUlN3c108BFloat16EE_St5arrayIPcLm2EEEEviT0_T1_.num_vgpr, 27
	.set _ZN2at6native29vectorized_elementwise_kernelILi4EZZZNS0_15exp_kernel_cudaERNS_18TensorIteratorBaseEENKUlvE0_clEvENKUlvE2_clEvEUlN3c108BFloat16EE_St5arrayIPcLm2EEEEviT0_T1_.num_agpr, 0
	.set _ZN2at6native29vectorized_elementwise_kernelILi4EZZZNS0_15exp_kernel_cudaERNS_18TensorIteratorBaseEENKUlvE0_clEvENKUlvE2_clEvEUlN3c108BFloat16EE_St5arrayIPcLm2EEEEviT0_T1_.numbered_sgpr, 12
	.set _ZN2at6native29vectorized_elementwise_kernelILi4EZZZNS0_15exp_kernel_cudaERNS_18TensorIteratorBaseEENKUlvE0_clEvENKUlvE2_clEvEUlN3c108BFloat16EE_St5arrayIPcLm2EEEEviT0_T1_.num_named_barrier, 0
	.set _ZN2at6native29vectorized_elementwise_kernelILi4EZZZNS0_15exp_kernel_cudaERNS_18TensorIteratorBaseEENKUlvE0_clEvENKUlvE2_clEvEUlN3c108BFloat16EE_St5arrayIPcLm2EEEEviT0_T1_.private_seg_size, 0
	.set _ZN2at6native29vectorized_elementwise_kernelILi4EZZZNS0_15exp_kernel_cudaERNS_18TensorIteratorBaseEENKUlvE0_clEvENKUlvE2_clEvEUlN3c108BFloat16EE_St5arrayIPcLm2EEEEviT0_T1_.uses_vcc, 1
	.set _ZN2at6native29vectorized_elementwise_kernelILi4EZZZNS0_15exp_kernel_cudaERNS_18TensorIteratorBaseEENKUlvE0_clEvENKUlvE2_clEvEUlN3c108BFloat16EE_St5arrayIPcLm2EEEEviT0_T1_.uses_flat_scratch, 0
	.set _ZN2at6native29vectorized_elementwise_kernelILi4EZZZNS0_15exp_kernel_cudaERNS_18TensorIteratorBaseEENKUlvE0_clEvENKUlvE2_clEvEUlN3c108BFloat16EE_St5arrayIPcLm2EEEEviT0_T1_.has_dyn_sized_stack, 0
	.set _ZN2at6native29vectorized_elementwise_kernelILi4EZZZNS0_15exp_kernel_cudaERNS_18TensorIteratorBaseEENKUlvE0_clEvENKUlvE2_clEvEUlN3c108BFloat16EE_St5arrayIPcLm2EEEEviT0_T1_.has_recursion, 0
	.set _ZN2at6native29vectorized_elementwise_kernelILi4EZZZNS0_15exp_kernel_cudaERNS_18TensorIteratorBaseEENKUlvE0_clEvENKUlvE2_clEvEUlN3c108BFloat16EE_St5arrayIPcLm2EEEEviT0_T1_.has_indirect_call, 0
	.section	.AMDGPU.csdata,"",@progbits
; Kernel info:
; codeLenInByte = 3420
; TotalNumSgprs: 18
; NumVgprs: 27
; NumAgprs: 0
; TotalNumVgprs: 27
; ScratchSize: 0
; MemoryBound: 0
; FloatMode: 240
; IeeeMode: 1
; LDSByteSize: 0 bytes/workgroup (compile time only)
; SGPRBlocks: 2
; VGPRBlocks: 3
; NumSGPRsForWavesPerEU: 18
; NumVGPRsForWavesPerEU: 27
; AccumOffset: 28
; Occupancy: 8
; WaveLimiterHint : 1
; COMPUTE_PGM_RSRC2:SCRATCH_EN: 0
; COMPUTE_PGM_RSRC2:USER_SGPR: 2
; COMPUTE_PGM_RSRC2:TRAP_HANDLER: 0
; COMPUTE_PGM_RSRC2:TGID_X_EN: 1
; COMPUTE_PGM_RSRC2:TGID_Y_EN: 0
; COMPUTE_PGM_RSRC2:TGID_Z_EN: 0
; COMPUTE_PGM_RSRC2:TIDIG_COMP_CNT: 0
; COMPUTE_PGM_RSRC3_GFX90A:ACCUM_OFFSET: 6
; COMPUTE_PGM_RSRC3_GFX90A:TG_SPLIT: 0
	.section	.text._ZN2at6native29vectorized_elementwise_kernelILi2EZZZNS0_15exp_kernel_cudaERNS_18TensorIteratorBaseEENKUlvE0_clEvENKUlvE2_clEvEUlN3c108BFloat16EE_St5arrayIPcLm2EEEEviT0_T1_,"axG",@progbits,_ZN2at6native29vectorized_elementwise_kernelILi2EZZZNS0_15exp_kernel_cudaERNS_18TensorIteratorBaseEENKUlvE0_clEvENKUlvE2_clEvEUlN3c108BFloat16EE_St5arrayIPcLm2EEEEviT0_T1_,comdat
	.globl	_ZN2at6native29vectorized_elementwise_kernelILi2EZZZNS0_15exp_kernel_cudaERNS_18TensorIteratorBaseEENKUlvE0_clEvENKUlvE2_clEvEUlN3c108BFloat16EE_St5arrayIPcLm2EEEEviT0_T1_ ; -- Begin function _ZN2at6native29vectorized_elementwise_kernelILi2EZZZNS0_15exp_kernel_cudaERNS_18TensorIteratorBaseEENKUlvE0_clEvENKUlvE2_clEvEUlN3c108BFloat16EE_St5arrayIPcLm2EEEEviT0_T1_
	.p2align	8
	.type	_ZN2at6native29vectorized_elementwise_kernelILi2EZZZNS0_15exp_kernel_cudaERNS_18TensorIteratorBaseEENKUlvE0_clEvENKUlvE2_clEvEUlN3c108BFloat16EE_St5arrayIPcLm2EEEEviT0_T1_,@function
_ZN2at6native29vectorized_elementwise_kernelILi2EZZZNS0_15exp_kernel_cudaERNS_18TensorIteratorBaseEENKUlvE0_clEvENKUlvE2_clEvEUlN3c108BFloat16EE_St5arrayIPcLm2EEEEviT0_T1_: ; @_ZN2at6native29vectorized_elementwise_kernelILi2EZZZNS0_15exp_kernel_cudaERNS_18TensorIteratorBaseEENKUlvE0_clEvENKUlvE2_clEvEUlN3c108BFloat16EE_St5arrayIPcLm2EEEEviT0_T1_
; %bb.0:
	s_load_dword s3, s[0:1], 0x0
	s_load_dwordx4 s[4:7], s[0:1], 0x8
	s_lshl_b32 s2, s2, 11
	s_mov_b64 s[0:1], -1
	s_waitcnt lgkmcnt(0)
	s_sub_i32 s10, s3, s2
	s_cmpk_gt_i32 s10, 0x7ff
	s_cbranch_scc0 .LBB101_2
; %bb.1:
	s_ashr_i32 s3, s2, 31
	s_lshl_b64 s[0:1], s[2:3], 1
	s_add_u32 s12, s6, s0
	s_addc_u32 s13, s7, s1
	v_lshlrev_b32_e32 v1, 2, v0
	global_load_dword v2, v1, s[12:13]
	global_load_dword v3, v1, s[12:13] offset:1024
	global_load_dword v4, v1, s[12:13] offset:2048
	global_load_dword v8, v1, s[12:13] offset:3072
	s_mov_b32 s8, 0x3fb8aa3b
	s_mov_b32 s3, 0xc2ce8ed0
	;; [unrolled: 1-line block ×3, first 2 shown]
	v_mov_b32_e32 v5, 0x7f800000
	s_movk_i32 s11, 0x7fff
	v_mov_b32_e32 v6, 0x7fc0
	v_mov_b32_e32 v7, 0x7fc00000
	s_add_u32 s0, s4, s0
	s_addc_u32 s1, s5, s1
	s_waitcnt vmcnt(3)
	v_lshlrev_b32_e32 v9, 16, v2
	v_and_b32_e32 v2, 0xffff0000, v2
	v_mul_f32_e32 v12, 0x3fb8aa3b, v9
	s_waitcnt vmcnt(2)
	v_lshlrev_b32_e32 v10, 16, v3
	v_mul_f32_e32 v13, 0x3fb8aa3b, v2
	v_fma_f32 v17, v9, s8, -v12
	v_rndne_f32_e32 v18, v12
	v_and_b32_e32 v3, 0xffff0000, v3
	v_mul_f32_e32 v14, 0x3fb8aa3b, v10
	v_fma_f32 v19, v2, s8, -v13
	v_rndne_f32_e32 v20, v13
	v_fmac_f32_e32 v17, 0x32a5705f, v9
	v_sub_f32_e32 v12, v12, v18
	v_mul_f32_e32 v15, 0x3fb8aa3b, v3
	v_fma_f32 v21, v10, s8, -v14
	v_rndne_f32_e32 v22, v14
	v_fmac_f32_e32 v19, 0x32a5705f, v2
	v_sub_f32_e32 v13, v13, v20
	v_add_f32_e32 v12, v12, v17
	v_fma_f32 v23, v3, s8, -v15
	v_rndne_f32_e32 v24, v15
	v_cvt_i32_f32_e32 v18, v18
	v_fmac_f32_e32 v21, 0x32a5705f, v10
	v_sub_f32_e32 v14, v14, v22
	v_add_f32_e32 v13, v13, v19
	v_exp_f32_e32 v12, v12
	v_cvt_i32_f32_e32 v20, v20
	v_fmac_f32_e32 v23, 0x32a5705f, v3
	v_sub_f32_e32 v15, v15, v24
	v_add_f32_e32 v14, v14, v21
	v_exp_f32_e32 v13, v13
	v_cvt_i32_f32_e32 v22, v22
	v_add_f32_e32 v15, v15, v23
	v_exp_f32_e32 v14, v14
	v_cvt_i32_f32_e32 v24, v24
	v_exp_f32_e32 v15, v15
	v_ldexp_f32 v12, v12, v18
	v_cmp_ngt_f32_e32 vcc, s3, v9
	v_ldexp_f32 v13, v13, v20
	v_ldexp_f32 v14, v14, v22
	v_cndmask_b32_e32 v12, 0, v12, vcc
	v_cmp_ngt_f32_e32 vcc, s3, v2
	s_waitcnt vmcnt(1)
	v_lshlrev_b32_e32 v11, 16, v4
	v_ldexp_f32 v15, v15, v24
	v_cndmask_b32_e32 v13, 0, v13, vcc
	v_cmp_ngt_f32_e32 vcc, s3, v10
	v_mul_f32_e32 v16, 0x3fb8aa3b, v11
	v_fma_f32 v25, v11, s8, -v16
	v_cndmask_b32_e32 v14, 0, v14, vcc
	v_cmp_ngt_f32_e32 vcc, s3, v3
	v_rndne_f32_e32 v26, v16
	v_fmac_f32_e32 v25, 0x32a5705f, v11
	v_cndmask_b32_e32 v15, 0, v15, vcc
	v_cmp_nlt_f32_e32 vcc, s9, v9
	v_sub_f32_e32 v16, v16, v26
	v_add_f32_e32 v16, v16, v25
	v_cndmask_b32_e32 v9, v5, v12, vcc
	v_cmp_nlt_f32_e32 vcc, s9, v2
	v_bfe_u32 v12, v9, 16, 1
	v_add3_u32 v12, v9, v12, s11
	v_cndmask_b32_e32 v2, v5, v13, vcc
	v_cmp_nlt_f32_e32 vcc, s9, v10
	v_bfe_u32 v13, v2, 16, 1
	v_cvt_i32_f32_e32 v26, v26
	v_cndmask_b32_e32 v10, v5, v14, vcc
	v_cmp_nlt_f32_e32 vcc, s9, v3
	v_exp_f32_e32 v16, v16
	v_bfe_u32 v14, v10, 16, 1
	v_cndmask_b32_e32 v3, v5, v15, vcc
	v_add3_u32 v13, v2, v13, s11
	v_lshrrev_b32_e32 v12, 16, v12
	v_cmp_o_f32_e32 vcc, v9, v9
	v_bfe_u32 v15, v3, 16, 1
	v_add3_u32 v14, v10, v14, s11
	v_and_b32_e32 v13, 0xffff0000, v13
	v_cndmask_b32_e32 v9, v6, v12, vcc
	v_cmp_o_f32_e32 vcc, v2, v2
	v_add3_u32 v15, v3, v15, s11
	v_lshrrev_b32_e32 v14, 16, v14
	v_cndmask_b32_e32 v2, v7, v13, vcc
	v_cmp_o_f32_e32 vcc, v10, v10
	v_and_b32_e32 v15, 0xffff0000, v15
	v_or_b32_e32 v2, v9, v2
	v_cndmask_b32_e32 v10, v6, v14, vcc
	v_cmp_o_f32_e32 vcc, v3, v3
	v_ldexp_f32 v9, v16, v26
	v_and_b32_e32 v4, 0xffff0000, v4
	v_cndmask_b32_e32 v3, v7, v15, vcc
	v_cmp_ngt_f32_e32 vcc, s3, v11
	v_or_b32_e32 v3, v10, v3
	s_nop 0
	v_cndmask_b32_e32 v9, 0, v9, vcc
	v_cmp_nlt_f32_e32 vcc, s9, v11
	v_mul_f32_e32 v11, 0x3fb8aa3b, v4
	v_fma_f32 v12, v4, s8, -v11
	v_rndne_f32_e32 v13, v11
	v_fmac_f32_e32 v12, 0x32a5705f, v4
	v_sub_f32_e32 v11, v11, v13
	v_add_f32_e32 v11, v11, v12
	v_cndmask_b32_e32 v9, v5, v9, vcc
	v_exp_f32_e32 v11, v11
	v_cvt_i32_f32_e32 v12, v13
	v_bfe_u32 v10, v9, 16, 1
	v_add3_u32 v10, v9, v10, s11
	v_lshrrev_b32_e32 v10, 16, v10
	v_cmp_o_f32_e32 vcc, v9, v9
	s_nop 1
	v_cndmask_b32_e32 v9, v6, v10, vcc
	v_ldexp_f32 v10, v11, v12
	s_waitcnt vmcnt(0)
	v_lshlrev_b32_e32 v11, 16, v8
	v_mul_f32_e32 v12, 0x3fb8aa3b, v11
	v_cmp_ngt_f32_e32 vcc, s3, v4
	v_fma_f32 v13, v11, s8, -v12
	v_rndne_f32_e32 v14, v12
	v_cndmask_b32_e32 v10, 0, v10, vcc
	v_cmp_nlt_f32_e32 vcc, s9, v4
	v_fmac_f32_e32 v13, 0x32a5705f, v11
	v_sub_f32_e32 v12, v12, v14
	v_cndmask_b32_e32 v4, v5, v10, vcc
	v_add_f32_e32 v12, v12, v13
	v_bfe_u32 v10, v4, 16, 1
	v_exp_f32_e32 v12, v12
	v_cvt_i32_f32_e32 v13, v14
	v_add3_u32 v10, v4, v10, s11
	v_and_b32_e32 v10, 0xffff0000, v10
	v_cmp_o_f32_e32 vcc, v4, v4
	v_and_b32_e32 v8, 0xffff0000, v8
	s_nop 0
	v_cndmask_b32_e32 v4, v7, v10, vcc
	v_or_b32_e32 v4, v9, v4
	v_ldexp_f32 v9, v12, v13
	v_cmp_ngt_f32_e32 vcc, s3, v11
	s_nop 1
	v_cndmask_b32_e32 v9, 0, v9, vcc
	v_cmp_nlt_f32_e32 vcc, s9, v11
	v_mul_f32_e32 v11, 0x3fb8aa3b, v8
	v_fma_f32 v12, v8, s8, -v11
	v_rndne_f32_e32 v13, v11
	v_fmac_f32_e32 v12, 0x32a5705f, v8
	v_sub_f32_e32 v11, v11, v13
	v_add_f32_e32 v11, v11, v12
	v_cndmask_b32_e32 v9, v5, v9, vcc
	v_exp_f32_e32 v11, v11
	v_cvt_i32_f32_e32 v12, v13
	v_bfe_u32 v10, v9, 16, 1
	v_add3_u32 v10, v9, v10, s11
	v_lshrrev_b32_e32 v10, 16, v10
	v_cmp_o_f32_e32 vcc, v9, v9
	v_ldexp_f32 v9, v11, v12
	s_nop 0
	v_cndmask_b32_e32 v6, v6, v10, vcc
	v_cmp_ngt_f32_e32 vcc, s3, v8
	s_nop 1
	v_cndmask_b32_e32 v9, 0, v9, vcc
	v_cmp_nlt_f32_e32 vcc, s9, v8
	s_nop 1
	v_cndmask_b32_e32 v5, v5, v9, vcc
	v_bfe_u32 v8, v5, 16, 1
	v_add3_u32 v8, v5, v8, s11
	v_and_b32_e32 v8, 0xffff0000, v8
	v_cmp_o_f32_e32 vcc, v5, v5
	s_nop 1
	v_cndmask_b32_e32 v5, v7, v8, vcc
	v_or_b32_e32 v5, v6, v5
	global_store_dword v1, v2, s[0:1]
	global_store_dword v1, v3, s[0:1] offset:1024
	global_store_dword v1, v4, s[0:1] offset:2048
	;; [unrolled: 1-line block ×3, first 2 shown]
	s_mov_b64 s[0:1], 0
.LBB101_2:
	s_andn2_b64 vcc, exec, s[0:1]
	s_cbranch_vccnz .LBB101_41
; %bb.3:
	v_cmp_gt_i32_e64 s[0:1], s10, v0
	v_mov_b32_e32 v1, 1.0
	v_or_b32_e32 v2, s2, v0
	v_mov_b32_e32 v3, 1.0
	v_mov_b32_e32 v4, v0
	s_and_saveexec_b64 s[8:9], s[0:1]
	s_cbranch_execz .LBB101_5
; %bb.4:
	v_mov_b32_e32 v3, 0
	v_lshl_add_u64 v[4:5], v[2:3], 1, s[6:7]
	global_load_ushort v3, v[4:5], off
	s_mov_b32 s3, 0x3fb8aa3b
	s_mov_b32 s11, 0x42b17218
	v_or_b32_e32 v4, 0x100, v0
	s_waitcnt vmcnt(0)
	v_lshlrev_b32_e32 v3, 16, v3
	v_mul_f32_e32 v5, 0x3fb8aa3b, v3
	v_fma_f32 v6, v3, s3, -v5
	v_rndne_f32_e32 v7, v5
	v_fmamk_f32 v6, v3, 0x32a5705f, v6
	v_sub_f32_e32 v5, v5, v7
	v_add_f32_e32 v5, v5, v6
	v_cvt_i32_f32_e32 v7, v7
	v_exp_f32_e32 v5, v5
	s_mov_b32 s3, 0xc2ce8ed0
	v_cmp_ngt_f32_e32 vcc, s3, v3
	v_mov_b32_e32 v6, 0x7f800000
	v_ldexp_f32 v5, v5, v7
	v_cndmask_b32_e32 v5, 0, v5, vcc
	v_cmp_nlt_f32_e32 vcc, s11, v3
	s_nop 1
	v_cndmask_b32_e32 v3, v6, v5, vcc
.LBB101_5:
	s_or_b64 exec, exec, s[8:9]
	v_cmp_gt_i32_e32 vcc, s10, v4
	s_and_saveexec_b64 s[8:9], vcc
	s_cbranch_execz .LBB101_7
; %bb.6:
	v_add_u32_e32 v6, s2, v4
	v_mov_b32_e32 v7, 0
	v_lshl_add_u64 v[6:7], v[6:7], 1, s[6:7]
	global_load_ushort v1, v[6:7], off
	s_mov_b32 s3, 0x3fb8aa3b
	s_mov_b32 s11, 0x42b17218
	v_add_u32_e32 v4, 0x100, v4
	s_waitcnt vmcnt(0)
	v_lshlrev_b32_e32 v1, 16, v1
	v_mul_f32_e32 v5, 0x3fb8aa3b, v1
	v_fma_f32 v6, v1, s3, -v5
	v_rndne_f32_e32 v7, v5
	v_fmamk_f32 v6, v1, 0x32a5705f, v6
	v_sub_f32_e32 v5, v5, v7
	v_add_f32_e32 v5, v5, v6
	v_cvt_i32_f32_e32 v7, v7
	v_exp_f32_e32 v5, v5
	s_mov_b32 s3, 0xc2ce8ed0
	v_cmp_ngt_f32_e32 vcc, s3, v1
	v_mov_b32_e32 v6, 0x7f800000
	v_ldexp_f32 v5, v5, v7
	v_cndmask_b32_e32 v5, 0, v5, vcc
	v_cmp_nlt_f32_e32 vcc, s11, v1
	s_nop 1
	v_cndmask_b32_e32 v1, v6, v5, vcc
.LBB101_7:
	s_or_b64 exec, exec, s[8:9]
	v_cmp_gt_i32_e32 vcc, s10, v4
	v_mov_b32_e32 v5, 1.0
	v_mov_b32_e32 v6, 1.0
	s_and_saveexec_b64 s[8:9], vcc
	s_cbranch_execz .LBB101_9
; %bb.8:
	v_add_u32_e32 v6, s2, v4
	v_mov_b32_e32 v7, 0
	v_lshl_add_u64 v[6:7], v[6:7], 1, s[6:7]
	global_load_ushort v6, v[6:7], off
	s_mov_b32 s3, 0x3fb8aa3b
	s_mov_b32 s11, 0x42b17218
	v_add_u32_e32 v4, 0x100, v4
	s_waitcnt vmcnt(0)
	v_lshlrev_b32_e32 v6, 16, v6
	v_mul_f32_e32 v7, 0x3fb8aa3b, v6
	v_fma_f32 v8, v6, s3, -v7
	v_rndne_f32_e32 v9, v7
	v_fmamk_f32 v8, v6, 0x32a5705f, v8
	v_sub_f32_e32 v7, v7, v9
	v_add_f32_e32 v7, v7, v8
	v_cvt_i32_f32_e32 v9, v9
	v_exp_f32_e32 v7, v7
	s_mov_b32 s3, 0xc2ce8ed0
	v_cmp_ngt_f32_e32 vcc, s3, v6
	v_mov_b32_e32 v8, 0x7f800000
	v_ldexp_f32 v7, v7, v9
	v_cndmask_b32_e32 v7, 0, v7, vcc
	v_cmp_nlt_f32_e32 vcc, s11, v6
	s_nop 1
	v_cndmask_b32_e32 v6, v8, v7, vcc
.LBB101_9:
	s_or_b64 exec, exec, s[8:9]
	v_cmp_gt_i32_e32 vcc, s10, v4
	s_and_saveexec_b64 s[8:9], vcc
	s_cbranch_execz .LBB101_11
; %bb.10:
	v_add_u32_e32 v8, s2, v4
	v_mov_b32_e32 v9, 0
	v_lshl_add_u64 v[8:9], v[8:9], 1, s[6:7]
	global_load_ushort v5, v[8:9], off
	s_mov_b32 s3, 0x3fb8aa3b
	s_mov_b32 s11, 0x42b17218
	v_add_u32_e32 v4, 0x100, v4
	s_waitcnt vmcnt(0)
	v_lshlrev_b32_e32 v5, 16, v5
	v_mul_f32_e32 v7, 0x3fb8aa3b, v5
	v_fma_f32 v8, v5, s3, -v7
	v_rndne_f32_e32 v9, v7
	v_fmamk_f32 v8, v5, 0x32a5705f, v8
	v_sub_f32_e32 v7, v7, v9
	v_add_f32_e32 v7, v7, v8
	v_cvt_i32_f32_e32 v9, v9
	v_exp_f32_e32 v7, v7
	s_mov_b32 s3, 0xc2ce8ed0
	v_cmp_ngt_f32_e32 vcc, s3, v5
	v_mov_b32_e32 v8, 0x7f800000
	v_ldexp_f32 v7, v7, v9
	v_cndmask_b32_e32 v7, 0, v7, vcc
	v_cmp_nlt_f32_e32 vcc, s11, v5
	s_nop 1
	v_cndmask_b32_e32 v5, v8, v7, vcc
.LBB101_11:
	s_or_b64 exec, exec, s[8:9]
	v_cmp_gt_i32_e32 vcc, s10, v4
	v_mov_b32_e32 v7, 1.0
	v_mov_b32_e32 v8, 1.0
	s_and_saveexec_b64 s[8:9], vcc
	s_cbranch_execz .LBB101_13
; %bb.12:
	v_add_u32_e32 v8, s2, v4
	v_mov_b32_e32 v9, 0
	v_lshl_add_u64 v[8:9], v[8:9], 1, s[6:7]
	global_load_ushort v8, v[8:9], off
	s_mov_b32 s3, 0x3fb8aa3b
	s_mov_b32 s11, 0x42b17218
	v_add_u32_e32 v4, 0x100, v4
	s_waitcnt vmcnt(0)
	v_lshlrev_b32_e32 v8, 16, v8
	v_mul_f32_e32 v9, 0x3fb8aa3b, v8
	v_fma_f32 v10, v8, s3, -v9
	v_rndne_f32_e32 v11, v9
	v_fmamk_f32 v10, v8, 0x32a5705f, v10
	v_sub_f32_e32 v9, v9, v11
	v_add_f32_e32 v9, v9, v10
	v_cvt_i32_f32_e32 v11, v11
	v_exp_f32_e32 v9, v9
	s_mov_b32 s3, 0xc2ce8ed0
	v_cmp_ngt_f32_e32 vcc, s3, v8
	v_mov_b32_e32 v10, 0x7f800000
	v_ldexp_f32 v9, v9, v11
	v_cndmask_b32_e32 v9, 0, v9, vcc
	v_cmp_nlt_f32_e32 vcc, s11, v8
	s_nop 1
	v_cndmask_b32_e32 v8, v10, v9, vcc
.LBB101_13:
	s_or_b64 exec, exec, s[8:9]
	v_cmp_gt_i32_e32 vcc, s10, v4
	s_and_saveexec_b64 s[8:9], vcc
	s_cbranch_execz .LBB101_15
; %bb.14:
	v_add_u32_e32 v10, s2, v4
	v_mov_b32_e32 v11, 0
	v_lshl_add_u64 v[10:11], v[10:11], 1, s[6:7]
	global_load_ushort v7, v[10:11], off
	s_mov_b32 s3, 0x3fb8aa3b
	s_mov_b32 s11, 0x42b17218
	v_add_u32_e32 v4, 0x100, v4
	s_waitcnt vmcnt(0)
	v_lshlrev_b32_e32 v7, 16, v7
	v_mul_f32_e32 v9, 0x3fb8aa3b, v7
	v_fma_f32 v10, v7, s3, -v9
	v_rndne_f32_e32 v11, v9
	v_fmamk_f32 v10, v7, 0x32a5705f, v10
	v_sub_f32_e32 v9, v9, v11
	v_add_f32_e32 v9, v9, v10
	v_cvt_i32_f32_e32 v11, v11
	v_exp_f32_e32 v9, v9
	s_mov_b32 s3, 0xc2ce8ed0
	v_cmp_ngt_f32_e32 vcc, s3, v7
	v_mov_b32_e32 v10, 0x7f800000
	v_ldexp_f32 v9, v9, v11
	v_cndmask_b32_e32 v9, 0, v9, vcc
	v_cmp_nlt_f32_e32 vcc, s11, v7
	s_nop 1
	v_cndmask_b32_e32 v7, v10, v9, vcc
.LBB101_15:
	s_or_b64 exec, exec, s[8:9]
	v_cmp_gt_i32_e32 vcc, s10, v4
	v_mov_b32_e32 v9, 1.0
	v_mov_b32_e32 v10, 1.0
	s_and_saveexec_b64 s[8:9], vcc
	s_cbranch_execnz .LBB101_42
; %bb.16:
	s_or_b64 exec, exec, s[8:9]
	v_cmp_gt_i32_e32 vcc, s10, v4
	s_and_saveexec_b64 s[8:9], vcc
	s_cbranch_execnz .LBB101_43
.LBB101_17:
	s_or_b64 exec, exec, s[8:9]
                                        ; implicit-def: $vgpr4
	s_and_saveexec_b64 s[6:7], s[0:1]
.LBB101_18:
	v_bfe_u32 v4, v3, 16, 1
	s_movk_i32 s3, 0x7fff
	v_add3_u32 v4, v3, v4, s3
	v_cmp_o_f32_e32 vcc, v3, v3
	v_mov_b32_e32 v3, 0x7fc0
	s_nop 0
	v_cndmask_b32_sdwa v4, v3, v4, vcc dst_sel:DWORD dst_unused:UNUSED_PAD src0_sel:DWORD src1_sel:WORD_1
.LBB101_19:
	s_or_b64 exec, exec, s[6:7]
	v_or_b32_e32 v12, 0x100, v0
	v_cmp_gt_i32_e32 vcc, s10, v12
                                        ; implicit-def: $vgpr11
	s_and_saveexec_b64 s[6:7], vcc
; %bb.20:
	v_bfe_u32 v3, v1, 16, 1
	s_movk_i32 s3, 0x7fff
	v_add3_u32 v3, v1, v3, s3
	v_cmp_o_f32_e32 vcc, v1, v1
	v_mov_b32_e32 v1, 0x7fc0
	s_nop 0
	v_cndmask_b32_sdwa v11, v1, v3, vcc dst_sel:DWORD dst_unused:UNUSED_PAD src0_sel:DWORD src1_sel:WORD_1
; %bb.21:
	s_or_b64 exec, exec, s[6:7]
	v_or_b32_e32 v1, 0x200, v0
	v_cmp_gt_i32_e32 vcc, s10, v1
                                        ; implicit-def: $vgpr1
	s_and_saveexec_b64 s[6:7], vcc
; %bb.22:
	v_bfe_u32 v1, v6, 16, 1
	s_movk_i32 s3, 0x7fff
	v_add3_u32 v1, v6, v1, s3
	v_cmp_o_f32_e32 vcc, v6, v6
	v_mov_b32_e32 v3, 0x7fc0
	s_nop 0
	v_cndmask_b32_sdwa v1, v3, v1, vcc dst_sel:DWORD dst_unused:UNUSED_PAD src0_sel:DWORD src1_sel:WORD_1
; %bb.23:
	s_or_b64 exec, exec, s[6:7]
	v_or_b32_e32 v3, 0x300, v0
	v_cmp_gt_i32_e32 vcc, s10, v3
                                        ; implicit-def: $vgpr6
	s_and_saveexec_b64 s[6:7], vcc
; %bb.24:
	v_bfe_u32 v3, v5, 16, 1
	s_movk_i32 s3, 0x7fff
	v_add3_u32 v3, v5, v3, s3
	v_cmp_o_f32_e32 vcc, v5, v5
	v_mov_b32_e32 v5, 0x7fc0
	s_nop 0
	v_cndmask_b32_sdwa v6, v5, v3, vcc dst_sel:DWORD dst_unused:UNUSED_PAD src0_sel:DWORD src1_sel:WORD_1
; %bb.25:
	s_or_b64 exec, exec, s[6:7]
	v_or_b32_e32 v3, 0x400, v0
	v_cmp_gt_i32_e32 vcc, s10, v3
                                        ; implicit-def: $vgpr5
	s_and_saveexec_b64 s[6:7], vcc
; %bb.26:
	v_bfe_u32 v3, v8, 16, 1
	s_movk_i32 s3, 0x7fff
	v_add3_u32 v3, v8, v3, s3
	v_cmp_o_f32_e32 vcc, v8, v8
	v_mov_b32_e32 v5, 0x7fc0
	s_nop 0
	v_cndmask_b32_sdwa v5, v5, v3, vcc dst_sel:DWORD dst_unused:UNUSED_PAD src0_sel:DWORD src1_sel:WORD_1
; %bb.27:
	s_or_b64 exec, exec, s[6:7]
	v_or_b32_e32 v3, 0x500, v0
	v_cmp_gt_i32_e32 vcc, s10, v3
                                        ; implicit-def: $vgpr8
	s_and_saveexec_b64 s[6:7], vcc
; %bb.28:
	v_bfe_u32 v3, v7, 16, 1
	s_movk_i32 s3, 0x7fff
	v_add3_u32 v3, v7, v3, s3
	v_cmp_o_f32_e32 vcc, v7, v7
	v_mov_b32_e32 v7, 0x7fc0
	s_nop 0
	v_cndmask_b32_sdwa v8, v7, v3, vcc dst_sel:DWORD dst_unused:UNUSED_PAD src0_sel:DWORD src1_sel:WORD_1
; %bb.29:
	s_or_b64 exec, exec, s[6:7]
	v_or_b32_e32 v3, 0x600, v0
	v_cmp_gt_i32_e32 vcc, s10, v3
                                        ; implicit-def: $vgpr7
	s_and_saveexec_b64 s[6:7], vcc
; %bb.30:
	v_bfe_u32 v3, v10, 16, 1
	s_movk_i32 s3, 0x7fff
	v_add3_u32 v3, v10, v3, s3
	v_cmp_o_f32_e32 vcc, v10, v10
	v_mov_b32_e32 v7, 0x7fc0
	s_nop 0
	v_cndmask_b32_sdwa v7, v7, v3, vcc dst_sel:DWORD dst_unused:UNUSED_PAD src0_sel:DWORD src1_sel:WORD_1
; %bb.31:
	s_or_b64 exec, exec, s[6:7]
	v_or_b32_e32 v3, 0x700, v0
	v_cmp_gt_i32_e32 vcc, s10, v3
                                        ; implicit-def: $vgpr10
	s_and_saveexec_b64 s[6:7], vcc
	s_cbranch_execnz .LBB101_44
; %bb.32:
	s_or_b64 exec, exec, s[6:7]
	s_and_saveexec_b64 s[6:7], s[0:1]
	s_xor_b64 s[0:1], exec, s[6:7]
	s_cbranch_execnz .LBB101_45
.LBB101_33:
	s_or_b64 exec, exec, s[0:1]
	v_cmp_gt_i32_e32 vcc, s10, v0
	s_and_saveexec_b64 s[0:1], vcc
	s_cbranch_execnz .LBB101_46
.LBB101_34:
	s_or_b64 exec, exec, s[0:1]
	v_cmp_gt_i32_e32 vcc, s10, v0
	s_and_saveexec_b64 s[0:1], vcc
	s_cbranch_execnz .LBB101_47
.LBB101_35:
	s_or_b64 exec, exec, s[0:1]
	v_cmp_gt_i32_e32 vcc, s10, v0
	s_and_saveexec_b64 s[0:1], vcc
	s_cbranch_execnz .LBB101_48
.LBB101_36:
	s_or_b64 exec, exec, s[0:1]
	v_cmp_gt_i32_e32 vcc, s10, v0
	s_and_saveexec_b64 s[0:1], vcc
	s_cbranch_execnz .LBB101_49
.LBB101_37:
	s_or_b64 exec, exec, s[0:1]
	v_cmp_gt_i32_e32 vcc, s10, v0
	s_and_saveexec_b64 s[0:1], vcc
	s_cbranch_execnz .LBB101_50
.LBB101_38:
	s_or_b64 exec, exec, s[0:1]
	v_cmp_gt_i32_e32 vcc, s10, v0
	s_and_saveexec_b64 s[0:1], vcc
	s_cbranch_execnz .LBB101_51
.LBB101_39:
	s_or_b64 exec, exec, s[0:1]
	v_cmp_gt_i32_e32 vcc, s10, v0
	s_and_saveexec_b64 s[0:1], vcc
	s_cbranch_execz .LBB101_41
.LBB101_40:
	v_add_u32_e32 v0, s2, v0
	v_mov_b32_e32 v1, 0
	v_lshl_add_u64 v[0:1], v[0:1], 1, s[4:5]
	global_store_short v[0:1], v10, off
.LBB101_41:
	s_endpgm
.LBB101_42:
	v_add_u32_e32 v10, s2, v4
	v_mov_b32_e32 v11, 0
	v_lshl_add_u64 v[10:11], v[10:11], 1, s[6:7]
	global_load_ushort v10, v[10:11], off
	s_mov_b32 s3, 0x3fb8aa3b
	s_mov_b32 s11, 0x42b17218
	v_add_u32_e32 v4, 0x100, v4
	s_waitcnt vmcnt(0)
	v_lshlrev_b32_e32 v10, 16, v10
	v_mul_f32_e32 v11, 0x3fb8aa3b, v10
	v_fma_f32 v12, v10, s3, -v11
	v_rndne_f32_e32 v13, v11
	v_fmamk_f32 v12, v10, 0x32a5705f, v12
	v_sub_f32_e32 v11, v11, v13
	v_add_f32_e32 v11, v11, v12
	v_cvt_i32_f32_e32 v13, v13
	v_exp_f32_e32 v11, v11
	s_mov_b32 s3, 0xc2ce8ed0
	v_cmp_ngt_f32_e32 vcc, s3, v10
	v_mov_b32_e32 v12, 0x7f800000
	v_ldexp_f32 v11, v11, v13
	v_cndmask_b32_e32 v11, 0, v11, vcc
	v_cmp_nlt_f32_e32 vcc, s11, v10
	s_nop 1
	v_cndmask_b32_e32 v10, v12, v11, vcc
	s_or_b64 exec, exec, s[8:9]
	v_cmp_gt_i32_e32 vcc, s10, v4
	s_and_saveexec_b64 s[8:9], vcc
	s_cbranch_execz .LBB101_17
.LBB101_43:
	v_add_u32_e32 v12, s2, v4
	v_mov_b32_e32 v13, 0
	v_lshl_add_u64 v[12:13], v[12:13], 1, s[6:7]
	global_load_ushort v4, v[12:13], off
	s_mov_b32 s3, 0x3fb8aa3b
	s_mov_b32 s6, 0x42b17218
	s_waitcnt vmcnt(0)
	v_lshlrev_b32_e32 v4, 16, v4
	v_mul_f32_e32 v9, 0x3fb8aa3b, v4
	v_fma_f32 v11, v4, s3, -v9
	v_rndne_f32_e32 v12, v9
	v_fmamk_f32 v11, v4, 0x32a5705f, v11
	v_sub_f32_e32 v9, v9, v12
	v_add_f32_e32 v9, v9, v11
	v_cvt_i32_f32_e32 v12, v12
	v_exp_f32_e32 v9, v9
	s_mov_b32 s3, 0xc2ce8ed0
	v_cmp_ngt_f32_e32 vcc, s3, v4
	v_mov_b32_e32 v11, 0x7f800000
	v_ldexp_f32 v9, v9, v12
	v_cndmask_b32_e32 v9, 0, v9, vcc
	v_cmp_nlt_f32_e32 vcc, s6, v4
	s_nop 1
	v_cndmask_b32_e32 v9, v11, v9, vcc
	s_or_b64 exec, exec, s[8:9]
                                        ; implicit-def: $vgpr4
	s_and_saveexec_b64 s[6:7], s[0:1]
	s_cbranch_execnz .LBB101_18
	s_branch .LBB101_19
.LBB101_44:
	v_bfe_u32 v3, v9, 16, 1
	s_movk_i32 s3, 0x7fff
	v_add3_u32 v3, v9, v3, s3
	v_cmp_o_f32_e32 vcc, v9, v9
	v_mov_b32_e32 v9, 0x7fc0
	s_nop 0
	v_cndmask_b32_sdwa v10, v9, v3, vcc dst_sel:DWORD dst_unused:UNUSED_PAD src0_sel:DWORD src1_sel:WORD_1
	s_or_b64 exec, exec, s[6:7]
	s_and_saveexec_b64 s[6:7], s[0:1]
	s_xor_b64 s[0:1], exec, s[6:7]
	s_cbranch_execz .LBB101_33
.LBB101_45:
	v_mov_b32_e32 v3, 0
	v_lshl_add_u64 v[2:3], v[2:3], 1, s[4:5]
	v_mov_b32_e32 v0, v12
	global_store_short v[2:3], v4, off
	s_or_b64 exec, exec, s[0:1]
	v_cmp_gt_i32_e32 vcc, s10, v0
	s_and_saveexec_b64 s[0:1], vcc
	s_cbranch_execz .LBB101_34
.LBB101_46:
	v_add_u32_e32 v2, s2, v0
	v_mov_b32_e32 v3, 0
	v_lshl_add_u64 v[2:3], v[2:3], 1, s[4:5]
	v_add_u32_e32 v0, 0x100, v0
	global_store_short v[2:3], v11, off
	s_or_b64 exec, exec, s[0:1]
	v_cmp_gt_i32_e32 vcc, s10, v0
	s_and_saveexec_b64 s[0:1], vcc
	s_cbranch_execz .LBB101_35
.LBB101_47:
	v_add_u32_e32 v2, s2, v0
	v_mov_b32_e32 v3, 0
	v_lshl_add_u64 v[2:3], v[2:3], 1, s[4:5]
	v_add_u32_e32 v0, 0x100, v0
	global_store_short v[2:3], v1, off
	s_or_b64 exec, exec, s[0:1]
	v_cmp_gt_i32_e32 vcc, s10, v0
	s_and_saveexec_b64 s[0:1], vcc
	s_cbranch_execz .LBB101_36
.LBB101_48:
	v_add_u32_e32 v2, s2, v0
	v_mov_b32_e32 v3, 0
	v_lshl_add_u64 v[2:3], v[2:3], 1, s[4:5]
	v_add_u32_e32 v0, 0x100, v0
	global_store_short v[2:3], v6, off
	s_or_b64 exec, exec, s[0:1]
	v_cmp_gt_i32_e32 vcc, s10, v0
	s_and_saveexec_b64 s[0:1], vcc
	s_cbranch_execz .LBB101_37
.LBB101_49:
	v_add_u32_e32 v2, s2, v0
	v_mov_b32_e32 v3, 0
	v_lshl_add_u64 v[2:3], v[2:3], 1, s[4:5]
	v_add_u32_e32 v0, 0x100, v0
	global_store_short v[2:3], v5, off
	s_or_b64 exec, exec, s[0:1]
	v_cmp_gt_i32_e32 vcc, s10, v0
	s_and_saveexec_b64 s[0:1], vcc
	s_cbranch_execz .LBB101_38
.LBB101_50:
	v_add_u32_e32 v2, s2, v0
	v_mov_b32_e32 v3, 0
	v_lshl_add_u64 v[2:3], v[2:3], 1, s[4:5]
	v_add_u32_e32 v0, 0x100, v0
	global_store_short v[2:3], v8, off
	s_or_b64 exec, exec, s[0:1]
	v_cmp_gt_i32_e32 vcc, s10, v0
	s_and_saveexec_b64 s[0:1], vcc
	s_cbranch_execz .LBB101_39
.LBB101_51:
	v_add_u32_e32 v2, s2, v0
	v_mov_b32_e32 v3, 0
	v_lshl_add_u64 v[2:3], v[2:3], 1, s[4:5]
	v_add_u32_e32 v0, 0x100, v0
	global_store_short v[2:3], v7, off
	s_or_b64 exec, exec, s[0:1]
	v_cmp_gt_i32_e32 vcc, s10, v0
	s_and_saveexec_b64 s[0:1], vcc
	s_cbranch_execnz .LBB101_40
	s_branch .LBB101_41
	.section	.rodata,"a",@progbits
	.p2align	6, 0x0
	.amdhsa_kernel _ZN2at6native29vectorized_elementwise_kernelILi2EZZZNS0_15exp_kernel_cudaERNS_18TensorIteratorBaseEENKUlvE0_clEvENKUlvE2_clEvEUlN3c108BFloat16EE_St5arrayIPcLm2EEEEviT0_T1_
		.amdhsa_group_segment_fixed_size 0
		.amdhsa_private_segment_fixed_size 0
		.amdhsa_kernarg_size 24
		.amdhsa_user_sgpr_count 2
		.amdhsa_user_sgpr_dispatch_ptr 0
		.amdhsa_user_sgpr_queue_ptr 0
		.amdhsa_user_sgpr_kernarg_segment_ptr 1
		.amdhsa_user_sgpr_dispatch_id 0
		.amdhsa_user_sgpr_kernarg_preload_length 0
		.amdhsa_user_sgpr_kernarg_preload_offset 0
		.amdhsa_user_sgpr_private_segment_size 0
		.amdhsa_uses_dynamic_stack 0
		.amdhsa_enable_private_segment 0
		.amdhsa_system_sgpr_workgroup_id_x 1
		.amdhsa_system_sgpr_workgroup_id_y 0
		.amdhsa_system_sgpr_workgroup_id_z 0
		.amdhsa_system_sgpr_workgroup_info 0
		.amdhsa_system_vgpr_workitem_id 0
		.amdhsa_next_free_vgpr 27
		.amdhsa_next_free_sgpr 14
		.amdhsa_accum_offset 28
		.amdhsa_reserve_vcc 1
		.amdhsa_float_round_mode_32 0
		.amdhsa_float_round_mode_16_64 0
		.amdhsa_float_denorm_mode_32 3
		.amdhsa_float_denorm_mode_16_64 3
		.amdhsa_dx10_clamp 1
		.amdhsa_ieee_mode 1
		.amdhsa_fp16_overflow 0
		.amdhsa_tg_split 0
		.amdhsa_exception_fp_ieee_invalid_op 0
		.amdhsa_exception_fp_denorm_src 0
		.amdhsa_exception_fp_ieee_div_zero 0
		.amdhsa_exception_fp_ieee_overflow 0
		.amdhsa_exception_fp_ieee_underflow 0
		.amdhsa_exception_fp_ieee_inexact 0
		.amdhsa_exception_int_div_zero 0
	.end_amdhsa_kernel
	.section	.text._ZN2at6native29vectorized_elementwise_kernelILi2EZZZNS0_15exp_kernel_cudaERNS_18TensorIteratorBaseEENKUlvE0_clEvENKUlvE2_clEvEUlN3c108BFloat16EE_St5arrayIPcLm2EEEEviT0_T1_,"axG",@progbits,_ZN2at6native29vectorized_elementwise_kernelILi2EZZZNS0_15exp_kernel_cudaERNS_18TensorIteratorBaseEENKUlvE0_clEvENKUlvE2_clEvEUlN3c108BFloat16EE_St5arrayIPcLm2EEEEviT0_T1_,comdat
.Lfunc_end101:
	.size	_ZN2at6native29vectorized_elementwise_kernelILi2EZZZNS0_15exp_kernel_cudaERNS_18TensorIteratorBaseEENKUlvE0_clEvENKUlvE2_clEvEUlN3c108BFloat16EE_St5arrayIPcLm2EEEEviT0_T1_, .Lfunc_end101-_ZN2at6native29vectorized_elementwise_kernelILi2EZZZNS0_15exp_kernel_cudaERNS_18TensorIteratorBaseEENKUlvE0_clEvENKUlvE2_clEvEUlN3c108BFloat16EE_St5arrayIPcLm2EEEEviT0_T1_
                                        ; -- End function
	.set _ZN2at6native29vectorized_elementwise_kernelILi2EZZZNS0_15exp_kernel_cudaERNS_18TensorIteratorBaseEENKUlvE0_clEvENKUlvE2_clEvEUlN3c108BFloat16EE_St5arrayIPcLm2EEEEviT0_T1_.num_vgpr, 27
	.set _ZN2at6native29vectorized_elementwise_kernelILi2EZZZNS0_15exp_kernel_cudaERNS_18TensorIteratorBaseEENKUlvE0_clEvENKUlvE2_clEvEUlN3c108BFloat16EE_St5arrayIPcLm2EEEEviT0_T1_.num_agpr, 0
	.set _ZN2at6native29vectorized_elementwise_kernelILi2EZZZNS0_15exp_kernel_cudaERNS_18TensorIteratorBaseEENKUlvE0_clEvENKUlvE2_clEvEUlN3c108BFloat16EE_St5arrayIPcLm2EEEEviT0_T1_.numbered_sgpr, 14
	.set _ZN2at6native29vectorized_elementwise_kernelILi2EZZZNS0_15exp_kernel_cudaERNS_18TensorIteratorBaseEENKUlvE0_clEvENKUlvE2_clEvEUlN3c108BFloat16EE_St5arrayIPcLm2EEEEviT0_T1_.num_named_barrier, 0
	.set _ZN2at6native29vectorized_elementwise_kernelILi2EZZZNS0_15exp_kernel_cudaERNS_18TensorIteratorBaseEENKUlvE0_clEvENKUlvE2_clEvEUlN3c108BFloat16EE_St5arrayIPcLm2EEEEviT0_T1_.private_seg_size, 0
	.set _ZN2at6native29vectorized_elementwise_kernelILi2EZZZNS0_15exp_kernel_cudaERNS_18TensorIteratorBaseEENKUlvE0_clEvENKUlvE2_clEvEUlN3c108BFloat16EE_St5arrayIPcLm2EEEEviT0_T1_.uses_vcc, 1
	.set _ZN2at6native29vectorized_elementwise_kernelILi2EZZZNS0_15exp_kernel_cudaERNS_18TensorIteratorBaseEENKUlvE0_clEvENKUlvE2_clEvEUlN3c108BFloat16EE_St5arrayIPcLm2EEEEviT0_T1_.uses_flat_scratch, 0
	.set _ZN2at6native29vectorized_elementwise_kernelILi2EZZZNS0_15exp_kernel_cudaERNS_18TensorIteratorBaseEENKUlvE0_clEvENKUlvE2_clEvEUlN3c108BFloat16EE_St5arrayIPcLm2EEEEviT0_T1_.has_dyn_sized_stack, 0
	.set _ZN2at6native29vectorized_elementwise_kernelILi2EZZZNS0_15exp_kernel_cudaERNS_18TensorIteratorBaseEENKUlvE0_clEvENKUlvE2_clEvEUlN3c108BFloat16EE_St5arrayIPcLm2EEEEviT0_T1_.has_recursion, 0
	.set _ZN2at6native29vectorized_elementwise_kernelILi2EZZZNS0_15exp_kernel_cudaERNS_18TensorIteratorBaseEENKUlvE0_clEvENKUlvE2_clEvEUlN3c108BFloat16EE_St5arrayIPcLm2EEEEviT0_T1_.has_indirect_call, 0
	.section	.AMDGPU.csdata,"",@progbits
; Kernel info:
; codeLenInByte = 3440
; TotalNumSgprs: 20
; NumVgprs: 27
; NumAgprs: 0
; TotalNumVgprs: 27
; ScratchSize: 0
; MemoryBound: 0
; FloatMode: 240
; IeeeMode: 1
; LDSByteSize: 0 bytes/workgroup (compile time only)
; SGPRBlocks: 2
; VGPRBlocks: 3
; NumSGPRsForWavesPerEU: 20
; NumVGPRsForWavesPerEU: 27
; AccumOffset: 28
; Occupancy: 8
; WaveLimiterHint : 1
; COMPUTE_PGM_RSRC2:SCRATCH_EN: 0
; COMPUTE_PGM_RSRC2:USER_SGPR: 2
; COMPUTE_PGM_RSRC2:TRAP_HANDLER: 0
; COMPUTE_PGM_RSRC2:TGID_X_EN: 1
; COMPUTE_PGM_RSRC2:TGID_Y_EN: 0
; COMPUTE_PGM_RSRC2:TGID_Z_EN: 0
; COMPUTE_PGM_RSRC2:TIDIG_COMP_CNT: 0
; COMPUTE_PGM_RSRC3_GFX90A:ACCUM_OFFSET: 6
; COMPUTE_PGM_RSRC3_GFX90A:TG_SPLIT: 0
	.section	.text._ZN2at6native27unrolled_elementwise_kernelIZZZNS0_15exp_kernel_cudaERNS_18TensorIteratorBaseEENKUlvE0_clEvENKUlvE2_clEvEUlN3c108BFloat16EE_St5arrayIPcLm2EELi4E23TrivialOffsetCalculatorILi1EjESD_NS0_6memory15LoadWithoutCastENSE_16StoreWithoutCastEEEviT_T0_T2_T3_T4_T5_,"axG",@progbits,_ZN2at6native27unrolled_elementwise_kernelIZZZNS0_15exp_kernel_cudaERNS_18TensorIteratorBaseEENKUlvE0_clEvENKUlvE2_clEvEUlN3c108BFloat16EE_St5arrayIPcLm2EELi4E23TrivialOffsetCalculatorILi1EjESD_NS0_6memory15LoadWithoutCastENSE_16StoreWithoutCastEEEviT_T0_T2_T3_T4_T5_,comdat
	.globl	_ZN2at6native27unrolled_elementwise_kernelIZZZNS0_15exp_kernel_cudaERNS_18TensorIteratorBaseEENKUlvE0_clEvENKUlvE2_clEvEUlN3c108BFloat16EE_St5arrayIPcLm2EELi4E23TrivialOffsetCalculatorILi1EjESD_NS0_6memory15LoadWithoutCastENSE_16StoreWithoutCastEEEviT_T0_T2_T3_T4_T5_ ; -- Begin function _ZN2at6native27unrolled_elementwise_kernelIZZZNS0_15exp_kernel_cudaERNS_18TensorIteratorBaseEENKUlvE0_clEvENKUlvE2_clEvEUlN3c108BFloat16EE_St5arrayIPcLm2EELi4E23TrivialOffsetCalculatorILi1EjESD_NS0_6memory15LoadWithoutCastENSE_16StoreWithoutCastEEEviT_T0_T2_T3_T4_T5_
	.p2align	8
	.type	_ZN2at6native27unrolled_elementwise_kernelIZZZNS0_15exp_kernel_cudaERNS_18TensorIteratorBaseEENKUlvE0_clEvENKUlvE2_clEvEUlN3c108BFloat16EE_St5arrayIPcLm2EELi4E23TrivialOffsetCalculatorILi1EjESD_NS0_6memory15LoadWithoutCastENSE_16StoreWithoutCastEEEviT_T0_T2_T3_T4_T5_,@function
_ZN2at6native27unrolled_elementwise_kernelIZZZNS0_15exp_kernel_cudaERNS_18TensorIteratorBaseEENKUlvE0_clEvENKUlvE2_clEvEUlN3c108BFloat16EE_St5arrayIPcLm2EELi4E23TrivialOffsetCalculatorILi1EjESD_NS0_6memory15LoadWithoutCastENSE_16StoreWithoutCastEEEviT_T0_T2_T3_T4_T5_: ; @_ZN2at6native27unrolled_elementwise_kernelIZZZNS0_15exp_kernel_cudaERNS_18TensorIteratorBaseEENKUlvE0_clEvENKUlvE2_clEvEUlN3c108BFloat16EE_St5arrayIPcLm2EELi4E23TrivialOffsetCalculatorILi1EjESD_NS0_6memory15LoadWithoutCastENSE_16StoreWithoutCastEEEviT_T0_T2_T3_T4_T5_
; %bb.0:
	s_load_dword s3, s[0:1], 0x0
	s_load_dwordx4 s[4:7], s[0:1], 0x8
	s_lshl_b32 s8, s2, 10
	v_mov_b32_e32 v1, 1.0
	v_or_b32_e32 v2, s8, v0
	s_waitcnt lgkmcnt(0)
	s_sub_i32 s9, s3, s8
	v_cmp_gt_i32_e64 s[0:1], s9, v0
	v_mov_b32_e32 v3, 1.0
	v_mov_b32_e32 v4, v0
	s_and_saveexec_b64 s[2:3], s[0:1]
	s_cbranch_execz .LBB102_2
; %bb.1:
	v_mov_b32_e32 v3, 0
	v_lshl_add_u64 v[4:5], v[2:3], 1, s[6:7]
	global_load_ushort v3, v[4:5], off
	s_mov_b32 s10, 0x3fb8aa3b
	s_mov_b32 s11, 0x42b17218
	v_or_b32_e32 v4, 0x100, v0
	s_waitcnt vmcnt(0)
	v_lshlrev_b32_e32 v3, 16, v3
	v_mul_f32_e32 v5, 0x3fb8aa3b, v3
	v_fma_f32 v6, v3, s10, -v5
	v_rndne_f32_e32 v7, v5
	v_fmamk_f32 v6, v3, 0x32a5705f, v6
	v_sub_f32_e32 v5, v5, v7
	v_add_f32_e32 v5, v5, v6
	v_cvt_i32_f32_e32 v7, v7
	v_exp_f32_e32 v5, v5
	s_mov_b32 s10, 0xc2ce8ed0
	v_cmp_ngt_f32_e32 vcc, s10, v3
	v_mov_b32_e32 v6, 0x7f800000
	v_ldexp_f32 v5, v5, v7
	v_cndmask_b32_e32 v5, 0, v5, vcc
	v_cmp_nlt_f32_e32 vcc, s11, v3
	s_nop 1
	v_cndmask_b32_e32 v3, v6, v5, vcc
.LBB102_2:
	s_or_b64 exec, exec, s[2:3]
	v_cmp_gt_i32_e32 vcc, s9, v4
	s_and_saveexec_b64 s[2:3], vcc
	s_cbranch_execz .LBB102_4
; %bb.3:
	v_add_u32_e32 v6, s8, v4
	v_mov_b32_e32 v7, 0
	v_lshl_add_u64 v[6:7], v[6:7], 1, s[6:7]
	global_load_ushort v1, v[6:7], off
	s_mov_b32 s10, 0x3fb8aa3b
	s_mov_b32 s11, 0x42b17218
	v_add_u32_e32 v4, 0x100, v4
	s_waitcnt vmcnt(0)
	v_lshlrev_b32_e32 v1, 16, v1
	v_mul_f32_e32 v5, 0x3fb8aa3b, v1
	v_fma_f32 v6, v1, s10, -v5
	v_rndne_f32_e32 v7, v5
	v_fmamk_f32 v6, v1, 0x32a5705f, v6
	v_sub_f32_e32 v5, v5, v7
	v_add_f32_e32 v5, v5, v6
	v_cvt_i32_f32_e32 v7, v7
	v_exp_f32_e32 v5, v5
	s_mov_b32 s10, 0xc2ce8ed0
	v_cmp_ngt_f32_e32 vcc, s10, v1
	v_mov_b32_e32 v6, 0x7f800000
	v_ldexp_f32 v5, v5, v7
	v_cndmask_b32_e32 v5, 0, v5, vcc
	v_cmp_nlt_f32_e32 vcc, s11, v1
	s_nop 1
	v_cndmask_b32_e32 v1, v6, v5, vcc
.LBB102_4:
	s_or_b64 exec, exec, s[2:3]
	v_cmp_gt_i32_e32 vcc, s9, v4
	v_mov_b32_e32 v5, 1.0
	v_mov_b32_e32 v6, 1.0
	s_and_saveexec_b64 s[2:3], vcc
	s_cbranch_execnz .LBB102_18
; %bb.5:
	s_or_b64 exec, exec, s[2:3]
	v_cmp_gt_i32_e32 vcc, s9, v4
	s_and_saveexec_b64 s[2:3], vcc
	s_cbranch_execnz .LBB102_19
.LBB102_6:
	s_or_b64 exec, exec, s[2:3]
                                        ; implicit-def: $vgpr4
	s_and_saveexec_b64 s[2:3], s[0:1]
.LBB102_7:
	v_bfe_u32 v4, v3, 16, 1
	s_movk_i32 s6, 0x7fff
	v_add3_u32 v4, v3, v4, s6
	v_cmp_o_f32_e32 vcc, v3, v3
	v_mov_b32_e32 v3, 0x7fc0
	s_nop 0
	v_cndmask_b32_sdwa v4, v3, v4, vcc dst_sel:DWORD dst_unused:UNUSED_PAD src0_sel:DWORD src1_sel:WORD_1
.LBB102_8:
	s_or_b64 exec, exec, s[2:3]
	v_or_b32_e32 v8, 0x100, v0
	v_cmp_gt_i32_e32 vcc, s9, v8
                                        ; implicit-def: $vgpr7
	s_and_saveexec_b64 s[2:3], vcc
; %bb.9:
	v_bfe_u32 v3, v1, 16, 1
	s_movk_i32 s6, 0x7fff
	v_add3_u32 v3, v1, v3, s6
	v_cmp_o_f32_e32 vcc, v1, v1
	v_mov_b32_e32 v1, 0x7fc0
	s_nop 0
	v_cndmask_b32_sdwa v7, v1, v3, vcc dst_sel:DWORD dst_unused:UNUSED_PAD src0_sel:DWORD src1_sel:WORD_1
; %bb.10:
	s_or_b64 exec, exec, s[2:3]
	v_or_b32_e32 v1, 0x200, v0
	v_cmp_gt_i32_e32 vcc, s9, v1
                                        ; implicit-def: $vgpr1
	s_and_saveexec_b64 s[2:3], vcc
; %bb.11:
	v_bfe_u32 v1, v6, 16, 1
	s_movk_i32 s6, 0x7fff
	v_add3_u32 v1, v6, v1, s6
	v_cmp_o_f32_e32 vcc, v6, v6
	v_mov_b32_e32 v3, 0x7fc0
	s_nop 0
	v_cndmask_b32_sdwa v1, v3, v1, vcc dst_sel:DWORD dst_unused:UNUSED_PAD src0_sel:DWORD src1_sel:WORD_1
; %bb.12:
	s_or_b64 exec, exec, s[2:3]
	v_or_b32_e32 v3, 0x300, v0
	v_cmp_gt_i32_e32 vcc, s9, v3
                                        ; implicit-def: $vgpr6
	s_and_saveexec_b64 s[2:3], vcc
	s_cbranch_execnz .LBB102_20
; %bb.13:
	s_or_b64 exec, exec, s[2:3]
	s_and_saveexec_b64 s[2:3], s[0:1]
	s_xor_b64 s[0:1], exec, s[2:3]
	s_cbranch_execnz .LBB102_21
.LBB102_14:
	s_or_b64 exec, exec, s[0:1]
	v_cmp_gt_i32_e32 vcc, s9, v0
	s_and_saveexec_b64 s[0:1], vcc
	s_cbranch_execnz .LBB102_22
.LBB102_15:
	s_or_b64 exec, exec, s[0:1]
	v_cmp_gt_i32_e32 vcc, s9, v0
	s_and_saveexec_b64 s[0:1], vcc
	s_cbranch_execnz .LBB102_23
.LBB102_16:
	s_or_b64 exec, exec, s[0:1]
	v_cmp_gt_i32_e32 vcc, s9, v0
	s_and_saveexec_b64 s[0:1], vcc
	s_cbranch_execnz .LBB102_24
.LBB102_17:
	s_endpgm
.LBB102_18:
	v_add_u32_e32 v6, s8, v4
	v_mov_b32_e32 v7, 0
	v_lshl_add_u64 v[6:7], v[6:7], 1, s[6:7]
	global_load_ushort v6, v[6:7], off
	s_mov_b32 s10, 0x3fb8aa3b
	s_mov_b32 s11, 0x42b17218
	v_add_u32_e32 v4, 0x100, v4
	s_waitcnt vmcnt(0)
	v_lshlrev_b32_e32 v6, 16, v6
	v_mul_f32_e32 v7, 0x3fb8aa3b, v6
	v_fma_f32 v8, v6, s10, -v7
	v_rndne_f32_e32 v9, v7
	v_fmamk_f32 v8, v6, 0x32a5705f, v8
	v_sub_f32_e32 v7, v7, v9
	v_add_f32_e32 v7, v7, v8
	v_cvt_i32_f32_e32 v9, v9
	v_exp_f32_e32 v7, v7
	s_mov_b32 s10, 0xc2ce8ed0
	v_cmp_ngt_f32_e32 vcc, s10, v6
	v_mov_b32_e32 v8, 0x7f800000
	v_ldexp_f32 v7, v7, v9
	v_cndmask_b32_e32 v7, 0, v7, vcc
	v_cmp_nlt_f32_e32 vcc, s11, v6
	s_nop 1
	v_cndmask_b32_e32 v6, v8, v7, vcc
	s_or_b64 exec, exec, s[2:3]
	v_cmp_gt_i32_e32 vcc, s9, v4
	s_and_saveexec_b64 s[2:3], vcc
	s_cbranch_execz .LBB102_6
.LBB102_19:
	v_add_u32_e32 v4, s8, v4
	v_mov_b32_e32 v5, 0
	v_lshl_add_u64 v[4:5], v[4:5], 1, s[6:7]
	global_load_ushort v4, v[4:5], off
	s_mov_b32 s6, 0x3fb8aa3b
	s_mov_b32 s7, 0x42b17218
	s_waitcnt vmcnt(0)
	v_lshlrev_b32_e32 v4, 16, v4
	v_mul_f32_e32 v5, 0x3fb8aa3b, v4
	v_fma_f32 v7, v4, s6, -v5
	v_rndne_f32_e32 v8, v5
	v_fmamk_f32 v7, v4, 0x32a5705f, v7
	v_sub_f32_e32 v5, v5, v8
	v_add_f32_e32 v5, v5, v7
	v_cvt_i32_f32_e32 v8, v8
	v_exp_f32_e32 v5, v5
	s_mov_b32 s6, 0xc2ce8ed0
	v_cmp_ngt_f32_e32 vcc, s6, v4
	v_mov_b32_e32 v7, 0x7f800000
	v_ldexp_f32 v5, v5, v8
	v_cndmask_b32_e32 v5, 0, v5, vcc
	v_cmp_nlt_f32_e32 vcc, s7, v4
	s_nop 1
	v_cndmask_b32_e32 v5, v7, v5, vcc
	s_or_b64 exec, exec, s[2:3]
                                        ; implicit-def: $vgpr4
	s_and_saveexec_b64 s[2:3], s[0:1]
	s_cbranch_execnz .LBB102_7
	s_branch .LBB102_8
.LBB102_20:
	v_bfe_u32 v3, v5, 16, 1
	s_movk_i32 s6, 0x7fff
	v_add3_u32 v3, v5, v3, s6
	v_cmp_o_f32_e32 vcc, v5, v5
	v_mov_b32_e32 v5, 0x7fc0
	s_nop 0
	v_cndmask_b32_sdwa v6, v5, v3, vcc dst_sel:DWORD dst_unused:UNUSED_PAD src0_sel:DWORD src1_sel:WORD_1
	s_or_b64 exec, exec, s[2:3]
	s_and_saveexec_b64 s[2:3], s[0:1]
	s_xor_b64 s[0:1], exec, s[2:3]
	s_cbranch_execz .LBB102_14
.LBB102_21:
	v_mov_b32_e32 v3, 0
	v_lshl_add_u64 v[2:3], v[2:3], 1, s[4:5]
	v_mov_b32_e32 v0, v8
	global_store_short v[2:3], v4, off
	s_or_b64 exec, exec, s[0:1]
	v_cmp_gt_i32_e32 vcc, s9, v0
	s_and_saveexec_b64 s[0:1], vcc
	s_cbranch_execz .LBB102_15
.LBB102_22:
	v_add_u32_e32 v4, 0x100, v0
	v_add_u32_e32 v2, s8, v0
	v_mov_b32_e32 v3, 0
	v_lshl_add_u64 v[2:3], v[2:3], 1, s[4:5]
	v_mov_b32_e32 v0, v4
	global_store_short v[2:3], v7, off
	s_or_b64 exec, exec, s[0:1]
	v_cmp_gt_i32_e32 vcc, s9, v0
	s_and_saveexec_b64 s[0:1], vcc
	s_cbranch_execz .LBB102_16
.LBB102_23:
	v_add_u32_e32 v4, 0x100, v0
	v_add_u32_e32 v2, s8, v0
	v_mov_b32_e32 v3, 0
	v_lshl_add_u64 v[2:3], v[2:3], 1, s[4:5]
	v_mov_b32_e32 v0, v4
	global_store_short v[2:3], v1, off
	s_or_b64 exec, exec, s[0:1]
	v_cmp_gt_i32_e32 vcc, s9, v0
	s_and_saveexec_b64 s[0:1], vcc
	s_cbranch_execz .LBB102_17
.LBB102_24:
	v_add_u32_e32 v0, s8, v0
	v_mov_b32_e32 v1, 0
	v_lshl_add_u64 v[0:1], v[0:1], 1, s[4:5]
	global_store_short v[0:1], v6, off
	s_endpgm
	.section	.rodata,"a",@progbits
	.p2align	6, 0x0
	.amdhsa_kernel _ZN2at6native27unrolled_elementwise_kernelIZZZNS0_15exp_kernel_cudaERNS_18TensorIteratorBaseEENKUlvE0_clEvENKUlvE2_clEvEUlN3c108BFloat16EE_St5arrayIPcLm2EELi4E23TrivialOffsetCalculatorILi1EjESD_NS0_6memory15LoadWithoutCastENSE_16StoreWithoutCastEEEviT_T0_T2_T3_T4_T5_
		.amdhsa_group_segment_fixed_size 0
		.amdhsa_private_segment_fixed_size 0
		.amdhsa_kernarg_size 28
		.amdhsa_user_sgpr_count 2
		.amdhsa_user_sgpr_dispatch_ptr 0
		.amdhsa_user_sgpr_queue_ptr 0
		.amdhsa_user_sgpr_kernarg_segment_ptr 1
		.amdhsa_user_sgpr_dispatch_id 0
		.amdhsa_user_sgpr_kernarg_preload_length 0
		.amdhsa_user_sgpr_kernarg_preload_offset 0
		.amdhsa_user_sgpr_private_segment_size 0
		.amdhsa_uses_dynamic_stack 0
		.amdhsa_enable_private_segment 0
		.amdhsa_system_sgpr_workgroup_id_x 1
		.amdhsa_system_sgpr_workgroup_id_y 0
		.amdhsa_system_sgpr_workgroup_id_z 0
		.amdhsa_system_sgpr_workgroup_info 0
		.amdhsa_system_vgpr_workitem_id 0
		.amdhsa_next_free_vgpr 10
		.amdhsa_next_free_sgpr 12
		.amdhsa_accum_offset 12
		.amdhsa_reserve_vcc 1
		.amdhsa_float_round_mode_32 0
		.amdhsa_float_round_mode_16_64 0
		.amdhsa_float_denorm_mode_32 3
		.amdhsa_float_denorm_mode_16_64 3
		.amdhsa_dx10_clamp 1
		.amdhsa_ieee_mode 1
		.amdhsa_fp16_overflow 0
		.amdhsa_tg_split 0
		.amdhsa_exception_fp_ieee_invalid_op 0
		.amdhsa_exception_fp_denorm_src 0
		.amdhsa_exception_fp_ieee_div_zero 0
		.amdhsa_exception_fp_ieee_overflow 0
		.amdhsa_exception_fp_ieee_underflow 0
		.amdhsa_exception_fp_ieee_inexact 0
		.amdhsa_exception_int_div_zero 0
	.end_amdhsa_kernel
	.section	.text._ZN2at6native27unrolled_elementwise_kernelIZZZNS0_15exp_kernel_cudaERNS_18TensorIteratorBaseEENKUlvE0_clEvENKUlvE2_clEvEUlN3c108BFloat16EE_St5arrayIPcLm2EELi4E23TrivialOffsetCalculatorILi1EjESD_NS0_6memory15LoadWithoutCastENSE_16StoreWithoutCastEEEviT_T0_T2_T3_T4_T5_,"axG",@progbits,_ZN2at6native27unrolled_elementwise_kernelIZZZNS0_15exp_kernel_cudaERNS_18TensorIteratorBaseEENKUlvE0_clEvENKUlvE2_clEvEUlN3c108BFloat16EE_St5arrayIPcLm2EELi4E23TrivialOffsetCalculatorILi1EjESD_NS0_6memory15LoadWithoutCastENSE_16StoreWithoutCastEEEviT_T0_T2_T3_T4_T5_,comdat
.Lfunc_end102:
	.size	_ZN2at6native27unrolled_elementwise_kernelIZZZNS0_15exp_kernel_cudaERNS_18TensorIteratorBaseEENKUlvE0_clEvENKUlvE2_clEvEUlN3c108BFloat16EE_St5arrayIPcLm2EELi4E23TrivialOffsetCalculatorILi1EjESD_NS0_6memory15LoadWithoutCastENSE_16StoreWithoutCastEEEviT_T0_T2_T3_T4_T5_, .Lfunc_end102-_ZN2at6native27unrolled_elementwise_kernelIZZZNS0_15exp_kernel_cudaERNS_18TensorIteratorBaseEENKUlvE0_clEvENKUlvE2_clEvEUlN3c108BFloat16EE_St5arrayIPcLm2EELi4E23TrivialOffsetCalculatorILi1EjESD_NS0_6memory15LoadWithoutCastENSE_16StoreWithoutCastEEEviT_T0_T2_T3_T4_T5_
                                        ; -- End function
	.set _ZN2at6native27unrolled_elementwise_kernelIZZZNS0_15exp_kernel_cudaERNS_18TensorIteratorBaseEENKUlvE0_clEvENKUlvE2_clEvEUlN3c108BFloat16EE_St5arrayIPcLm2EELi4E23TrivialOffsetCalculatorILi1EjESD_NS0_6memory15LoadWithoutCastENSE_16StoreWithoutCastEEEviT_T0_T2_T3_T4_T5_.num_vgpr, 10
	.set _ZN2at6native27unrolled_elementwise_kernelIZZZNS0_15exp_kernel_cudaERNS_18TensorIteratorBaseEENKUlvE0_clEvENKUlvE2_clEvEUlN3c108BFloat16EE_St5arrayIPcLm2EELi4E23TrivialOffsetCalculatorILi1EjESD_NS0_6memory15LoadWithoutCastENSE_16StoreWithoutCastEEEviT_T0_T2_T3_T4_T5_.num_agpr, 0
	.set _ZN2at6native27unrolled_elementwise_kernelIZZZNS0_15exp_kernel_cudaERNS_18TensorIteratorBaseEENKUlvE0_clEvENKUlvE2_clEvEUlN3c108BFloat16EE_St5arrayIPcLm2EELi4E23TrivialOffsetCalculatorILi1EjESD_NS0_6memory15LoadWithoutCastENSE_16StoreWithoutCastEEEviT_T0_T2_T3_T4_T5_.numbered_sgpr, 12
	.set _ZN2at6native27unrolled_elementwise_kernelIZZZNS0_15exp_kernel_cudaERNS_18TensorIteratorBaseEENKUlvE0_clEvENKUlvE2_clEvEUlN3c108BFloat16EE_St5arrayIPcLm2EELi4E23TrivialOffsetCalculatorILi1EjESD_NS0_6memory15LoadWithoutCastENSE_16StoreWithoutCastEEEviT_T0_T2_T3_T4_T5_.num_named_barrier, 0
	.set _ZN2at6native27unrolled_elementwise_kernelIZZZNS0_15exp_kernel_cudaERNS_18TensorIteratorBaseEENKUlvE0_clEvENKUlvE2_clEvEUlN3c108BFloat16EE_St5arrayIPcLm2EELi4E23TrivialOffsetCalculatorILi1EjESD_NS0_6memory15LoadWithoutCastENSE_16StoreWithoutCastEEEviT_T0_T2_T3_T4_T5_.private_seg_size, 0
	.set _ZN2at6native27unrolled_elementwise_kernelIZZZNS0_15exp_kernel_cudaERNS_18TensorIteratorBaseEENKUlvE0_clEvENKUlvE2_clEvEUlN3c108BFloat16EE_St5arrayIPcLm2EELi4E23TrivialOffsetCalculatorILi1EjESD_NS0_6memory15LoadWithoutCastENSE_16StoreWithoutCastEEEviT_T0_T2_T3_T4_T5_.uses_vcc, 1
	.set _ZN2at6native27unrolled_elementwise_kernelIZZZNS0_15exp_kernel_cudaERNS_18TensorIteratorBaseEENKUlvE0_clEvENKUlvE2_clEvEUlN3c108BFloat16EE_St5arrayIPcLm2EELi4E23TrivialOffsetCalculatorILi1EjESD_NS0_6memory15LoadWithoutCastENSE_16StoreWithoutCastEEEviT_T0_T2_T3_T4_T5_.uses_flat_scratch, 0
	.set _ZN2at6native27unrolled_elementwise_kernelIZZZNS0_15exp_kernel_cudaERNS_18TensorIteratorBaseEENKUlvE0_clEvENKUlvE2_clEvEUlN3c108BFloat16EE_St5arrayIPcLm2EELi4E23TrivialOffsetCalculatorILi1EjESD_NS0_6memory15LoadWithoutCastENSE_16StoreWithoutCastEEEviT_T0_T2_T3_T4_T5_.has_dyn_sized_stack, 0
	.set _ZN2at6native27unrolled_elementwise_kernelIZZZNS0_15exp_kernel_cudaERNS_18TensorIteratorBaseEENKUlvE0_clEvENKUlvE2_clEvEUlN3c108BFloat16EE_St5arrayIPcLm2EELi4E23TrivialOffsetCalculatorILi1EjESD_NS0_6memory15LoadWithoutCastENSE_16StoreWithoutCastEEEviT_T0_T2_T3_T4_T5_.has_recursion, 0
	.set _ZN2at6native27unrolled_elementwise_kernelIZZZNS0_15exp_kernel_cudaERNS_18TensorIteratorBaseEENKUlvE0_clEvENKUlvE2_clEvEUlN3c108BFloat16EE_St5arrayIPcLm2EELi4E23TrivialOffsetCalculatorILi1EjESD_NS0_6memory15LoadWithoutCastENSE_16StoreWithoutCastEEEviT_T0_T2_T3_T4_T5_.has_indirect_call, 0
	.section	.AMDGPU.csdata,"",@progbits
; Kernel info:
; codeLenInByte = 1216
; TotalNumSgprs: 18
; NumVgprs: 10
; NumAgprs: 0
; TotalNumVgprs: 10
; ScratchSize: 0
; MemoryBound: 0
; FloatMode: 240
; IeeeMode: 1
; LDSByteSize: 0 bytes/workgroup (compile time only)
; SGPRBlocks: 2
; VGPRBlocks: 1
; NumSGPRsForWavesPerEU: 18
; NumVGPRsForWavesPerEU: 10
; AccumOffset: 12
; Occupancy: 8
; WaveLimiterHint : 0
; COMPUTE_PGM_RSRC2:SCRATCH_EN: 0
; COMPUTE_PGM_RSRC2:USER_SGPR: 2
; COMPUTE_PGM_RSRC2:TRAP_HANDLER: 0
; COMPUTE_PGM_RSRC2:TGID_X_EN: 1
; COMPUTE_PGM_RSRC2:TGID_Y_EN: 0
; COMPUTE_PGM_RSRC2:TGID_Z_EN: 0
; COMPUTE_PGM_RSRC2:TIDIG_COMP_CNT: 0
; COMPUTE_PGM_RSRC3_GFX90A:ACCUM_OFFSET: 2
; COMPUTE_PGM_RSRC3_GFX90A:TG_SPLIT: 0
	.section	.text._ZN2at6native32elementwise_kernel_manual_unrollILi128ELi8EZNS0_22gpu_kernel_impl_nocastIZZZNS0_15exp_kernel_cudaERNS_18TensorIteratorBaseEENKUlvE0_clEvENKUlvE2_clEvEUlN3c108BFloat16EE_EEvS4_RKT_EUlibE_EEviT1_,"axG",@progbits,_ZN2at6native32elementwise_kernel_manual_unrollILi128ELi8EZNS0_22gpu_kernel_impl_nocastIZZZNS0_15exp_kernel_cudaERNS_18TensorIteratorBaseEENKUlvE0_clEvENKUlvE2_clEvEUlN3c108BFloat16EE_EEvS4_RKT_EUlibE_EEviT1_,comdat
	.globl	_ZN2at6native32elementwise_kernel_manual_unrollILi128ELi8EZNS0_22gpu_kernel_impl_nocastIZZZNS0_15exp_kernel_cudaERNS_18TensorIteratorBaseEENKUlvE0_clEvENKUlvE2_clEvEUlN3c108BFloat16EE_EEvS4_RKT_EUlibE_EEviT1_ ; -- Begin function _ZN2at6native32elementwise_kernel_manual_unrollILi128ELi8EZNS0_22gpu_kernel_impl_nocastIZZZNS0_15exp_kernel_cudaERNS_18TensorIteratorBaseEENKUlvE0_clEvENKUlvE2_clEvEUlN3c108BFloat16EE_EEvS4_RKT_EUlibE_EEviT1_
	.p2align	8
	.type	_ZN2at6native32elementwise_kernel_manual_unrollILi128ELi8EZNS0_22gpu_kernel_impl_nocastIZZZNS0_15exp_kernel_cudaERNS_18TensorIteratorBaseEENKUlvE0_clEvENKUlvE2_clEvEUlN3c108BFloat16EE_EEvS4_RKT_EUlibE_EEviT1_,@function
_ZN2at6native32elementwise_kernel_manual_unrollILi128ELi8EZNS0_22gpu_kernel_impl_nocastIZZZNS0_15exp_kernel_cudaERNS_18TensorIteratorBaseEENKUlvE0_clEvENKUlvE2_clEvEUlN3c108BFloat16EE_EEvS4_RKT_EUlibE_EEviT1_: ; @_ZN2at6native32elementwise_kernel_manual_unrollILi128ELi8EZNS0_22gpu_kernel_impl_nocastIZZZNS0_15exp_kernel_cudaERNS_18TensorIteratorBaseEENKUlvE0_clEvENKUlvE2_clEvEUlN3c108BFloat16EE_EEvS4_RKT_EUlibE_EEviT1_
; %bb.0:
	s_load_dword s55, s[0:1], 0x0
	s_load_dword s33, s[0:1], 0x8
	s_add_u32 s34, s0, 8
	s_addc_u32 s35, s1, 0
	v_lshl_or_b32 v24, s2, 10, v0
	v_or_b32_e32 v32, 0x380, v24
	s_waitcnt lgkmcnt(0)
	s_add_i32 s54, s33, -1
	s_cmp_gt_u32 s54, 1
	v_cmp_le_i32_e32 vcc, s55, v32
	s_cselect_b64 s[36:37], -1, 0
	s_and_saveexec_b64 s[0:1], vcc
	s_xor_b64 s[38:39], exec, s[0:1]
	s_cbranch_execz .LBB103_8
; %bb.1:
	s_load_dwordx4 s[24:27], s[34:35], 0x4
	s_load_dwordx2 s[40:41], s[34:35], 0x14
	s_load_dwordx4 s[20:23], s[34:35], 0xc4
	s_load_dwordx4 s[16:19], s[34:35], 0x148
	s_cmp_lg_u32 s33, 0
	s_cselect_b64 s[46:47], -1, 0
	s_add_u32 s44, s34, 0xc4
	s_addc_u32 s45, s35, 0
	s_min_u32 s56, s54, 15
	s_cmp_gt_u32 s33, 1
	s_cselect_b64 s[42:43], -1, 0
	v_cmp_gt_i32_e32 vcc, s55, v24
	s_and_saveexec_b64 s[48:49], vcc
	s_cbranch_execz .LBB103_15
; %bb.2:
	s_andn2_b64 vcc, exec, s[36:37]
	s_cbranch_vccnz .LBB103_23
; %bb.3:
	s_andn2_b64 vcc, exec, s[46:47]
	s_cbranch_vccnz .LBB103_131
; %bb.4:
	s_add_i32 s58, s56, 1
	s_cmp_eq_u32 s54, 2
	s_cbranch_scc1 .LBB103_133
; %bb.5:
	s_and_b32 s57, s58, 28
	s_mov_b32 s59, 0
	v_mov_b32_e32 v0, 0
	v_mov_b32_e32 v2, 0
	s_mov_b64 s[50:51], s[34:35]
	s_mov_b64 s[52:53], s[44:45]
	v_mov_b32_e32 v4, v24
.LBB103_6:                              ; =>This Inner Loop Header: Depth=1
	s_load_dwordx8 s[8:15], s[50:51], 0x4
	s_load_dwordx4 s[28:31], s[50:51], 0x24
	s_load_dwordx8 s[0:7], s[52:53], 0x0
	s_add_u32 s50, s50, 48
	s_addc_u32 s51, s51, 0
	s_waitcnt lgkmcnt(0)
	v_mul_hi_u32 v1, s9, v4
	v_add_u32_e32 v1, v4, v1
	v_lshrrev_b32_e32 v1, s10, v1
	v_mul_lo_u32 v3, v1, s8
	v_mul_hi_u32 v5, s12, v1
	v_sub_u32_e32 v3, v4, v3
	v_add_u32_e32 v4, v1, v5
	v_lshrrev_b32_e32 v4, s13, v4
	v_mul_lo_u32 v6, v4, s11
	v_mul_hi_u32 v7, s15, v4
	v_sub_u32_e32 v1, v1, v6
	v_add_u32_e32 v6, v4, v7
	v_mul_lo_u32 v5, v3, s1
	v_mul_lo_u32 v3, v3, s0
	;; [unrolled: 1-line block ×4, first 2 shown]
	v_lshrrev_b32_e32 v6, s28, v6
	v_add3_u32 v0, v3, v0, v1
	v_mul_hi_u32 v3, s30, v6
	v_add3_u32 v1, v5, v2, v7
	v_mul_lo_u32 v2, v6, s14
	v_add_u32_e32 v3, v6, v3
	v_sub_u32_e32 v2, v4, v2
	v_lshrrev_b32_e32 v4, s31, v3
	s_add_i32 s59, s59, 4
	v_mul_lo_u32 v3, v4, s29
	s_add_u32 s52, s52, 32
	v_sub_u32_e32 v3, v6, v3
	s_addc_u32 s53, s53, 0
	v_mul_lo_u32 v5, v2, s4
	v_mul_lo_u32 v2, v2, s5
	v_mul_lo_u32 v6, v3, s6
	v_mul_lo_u32 v3, v3, s7
	s_cmp_lg_u32 s57, s59
	v_add3_u32 v2, v2, v1, v3
	v_add3_u32 v0, v5, v0, v6
	s_cbranch_scc1 .LBB103_6
; %bb.7:
	v_mov_b32_e32 v1, v2
	s_branch .LBB103_134
.LBB103_8:
	s_andn2_saveexec_b64 s[0:1], s[38:39]
	s_cbranch_execz .LBB103_228
.LBB103_9:
	v_cndmask_b32_e64 v0, 0, 1, s[36:37]
	v_cmp_ne_u32_e64 s[0:1], 1, v0
	s_andn2_b64 vcc, exec, s[36:37]
	s_cbranch_vccnz .LBB103_22
; %bb.10:
	s_cmp_lg_u32 s33, 0
	s_waitcnt lgkmcnt(0)
	s_mov_b32 s26, 0
	s_cbranch_scc0 .LBB103_25
; %bb.11:
	s_min_u32 s27, s54, 15
	s_add_i32 s27, s27, 1
	s_cmp_eq_u32 s54, 2
	s_cbranch_scc1 .LBB103_26
; %bb.12:
	s_and_b32 s26, s27, 28
	s_add_u32 s2, s34, 0xc4
	s_addc_u32 s3, s35, 0
	s_mov_b32 s28, 0
	v_mov_b32_e32 v0, 0
	v_mov_b32_e32 v2, 0
	s_mov_b64 s[24:25], s[34:35]
	v_mov_b32_e32 v4, v24
.LBB103_13:                             ; =>This Inner Loop Header: Depth=1
	s_load_dwordx8 s[12:19], s[24:25], 0x4
	s_load_dwordx4 s[20:23], s[24:25], 0x24
	s_load_dwordx8 s[4:11], s[2:3], 0x0
	s_add_u32 s24, s24, 48
	s_addc_u32 s25, s25, 0
	s_waitcnt lgkmcnt(0)
	v_mul_hi_u32 v1, s13, v4
	v_add_u32_e32 v1, v4, v1
	v_lshrrev_b32_e32 v1, s14, v1
	v_mul_lo_u32 v3, v1, s12
	v_mul_hi_u32 v5, s16, v1
	v_sub_u32_e32 v3, v4, v3
	v_add_u32_e32 v4, v1, v5
	v_lshrrev_b32_e32 v4, s17, v4
	v_mul_lo_u32 v6, v4, s15
	v_mul_hi_u32 v7, s19, v4
	v_sub_u32_e32 v1, v1, v6
	v_add_u32_e32 v6, v4, v7
	v_mul_lo_u32 v5, v3, s5
	v_mul_lo_u32 v3, v3, s4
	;; [unrolled: 1-line block ×4, first 2 shown]
	v_lshrrev_b32_e32 v6, s20, v6
	v_add3_u32 v0, v3, v0, v1
	v_mul_hi_u32 v3, s22, v6
	v_add3_u32 v1, v5, v2, v7
	v_mul_lo_u32 v2, v6, s18
	v_add_u32_e32 v3, v6, v3
	v_sub_u32_e32 v2, v4, v2
	v_lshrrev_b32_e32 v4, s23, v3
	s_add_i32 s28, s28, 4
	v_mul_lo_u32 v3, v4, s21
	s_add_u32 s2, s2, 32
	v_sub_u32_e32 v3, v6, v3
	s_addc_u32 s3, s3, 0
	v_mul_lo_u32 v5, v2, s8
	v_mul_lo_u32 v2, v2, s9
	;; [unrolled: 1-line block ×4, first 2 shown]
	s_cmp_lg_u32 s26, s28
	v_add3_u32 v2, v2, v1, v3
	v_add3_u32 v0, v5, v0, v6
	s_cbranch_scc1 .LBB103_13
; %bb.14:
	v_mov_b32_e32 v1, v2
	s_and_b32 s6, s27, 3
	s_cmp_eq_u32 s6, 0
	s_cbranch_scc0 .LBB103_27
	s_branch .LBB103_29
.LBB103_15:
	s_or_b64 exec, exec, s[48:49]
	v_cmp_gt_i32_e32 vcc, s55, v24
	s_and_saveexec_b64 s[48:49], vcc
	s_cbranch_execz .LBB103_141
.LBB103_16:
	s_andn2_b64 vcc, exec, s[36:37]
	s_cbranch_vccnz .LBB103_24
; %bb.17:
	s_andn2_b64 vcc, exec, s[46:47]
	s_cbranch_vccnz .LBB103_132
; %bb.18:
	s_add_i32 s58, s56, 1
	s_cmp_eq_u32 s54, 2
	s_cbranch_scc1 .LBB103_150
; %bb.19:
	s_and_b32 s57, s58, 28
	s_mov_b32 s59, 0
	v_mov_b32_e32 v0, 0
	v_mov_b32_e32 v2, 0
	s_mov_b64 s[50:51], s[34:35]
	s_mov_b64 s[52:53], s[44:45]
	v_mov_b32_e32 v4, v24
.LBB103_20:                             ; =>This Inner Loop Header: Depth=1
	s_load_dwordx8 s[8:15], s[50:51], 0x4
	s_load_dwordx4 s[28:31], s[50:51], 0x24
	s_load_dwordx8 s[0:7], s[52:53], 0x0
	s_add_u32 s50, s50, 48
	s_addc_u32 s51, s51, 0
	s_waitcnt lgkmcnt(0)
	v_mul_hi_u32 v1, s9, v4
	v_add_u32_e32 v1, v4, v1
	v_lshrrev_b32_e32 v1, s10, v1
	v_mul_lo_u32 v3, v1, s8
	v_mul_hi_u32 v5, s12, v1
	v_sub_u32_e32 v3, v4, v3
	v_add_u32_e32 v4, v1, v5
	v_lshrrev_b32_e32 v4, s13, v4
	v_mul_lo_u32 v6, v4, s11
	v_mul_hi_u32 v7, s15, v4
	v_sub_u32_e32 v1, v1, v6
	v_add_u32_e32 v6, v4, v7
	v_mul_lo_u32 v5, v3, s1
	v_mul_lo_u32 v3, v3, s0
	;; [unrolled: 1-line block ×4, first 2 shown]
	v_lshrrev_b32_e32 v6, s28, v6
	v_add3_u32 v0, v3, v0, v1
	v_mul_hi_u32 v3, s30, v6
	v_add3_u32 v1, v5, v2, v7
	v_mul_lo_u32 v2, v6, s14
	v_add_u32_e32 v3, v6, v3
	v_sub_u32_e32 v2, v4, v2
	v_lshrrev_b32_e32 v4, s31, v3
	s_add_i32 s59, s59, 4
	v_mul_lo_u32 v3, v4, s29
	s_add_u32 s52, s52, 32
	v_sub_u32_e32 v3, v6, v3
	s_addc_u32 s53, s53, 0
	v_mul_lo_u32 v5, v2, s4
	v_mul_lo_u32 v2, v2, s5
	;; [unrolled: 1-line block ×4, first 2 shown]
	s_cmp_eq_u32 s57, s59
	v_add3_u32 v2, v2, v1, v3
	v_add3_u32 v0, v5, v0, v6
	s_cbranch_scc0 .LBB103_20
; %bb.21:
	v_mov_b32_e32 v1, v2
	s_branch .LBB103_151
.LBB103_22:
                                        ; implicit-def: $vgpr2
                                        ; implicit-def: $vgpr0
	s_branch .LBB103_30
.LBB103_23:
                                        ; implicit-def: $vgpr2
                                        ; implicit-def: $vgpr0
	s_branch .LBB103_138
.LBB103_24:
                                        ; implicit-def: $vgpr2
                                        ; implicit-def: $vgpr0
	s_branch .LBB103_155
.LBB103_25:
	v_mov_b32_e32 v2, 0
	v_mov_b32_e32 v0, 0
	s_branch .LBB103_29
.LBB103_26:
	v_mov_b32_e32 v0, 0
                                        ; implicit-def: $vgpr2
	v_mov_b32_e32 v1, v0
	v_mov_b32_e32 v4, v24
	s_and_b32 s6, s27, 3
	s_cmp_eq_u32 s6, 0
	s_cbranch_scc1 .LBB103_29
.LBB103_27:
	s_lshl_b32 s2, s26, 3
	s_add_u32 s2, s34, s2
	s_addc_u32 s3, s35, 0
	s_add_u32 s2, s2, 0xc4
	s_addc_u32 s3, s3, 0
	s_mul_i32 s4, s26, 12
	s_add_u32 s4, s34, s4
	s_addc_u32 s5, s35, 0
.LBB103_28:                             ; =>This Inner Loop Header: Depth=1
	s_load_dwordx2 s[8:9], s[4:5], 0x4
	s_load_dword s7, s[4:5], 0xc
	s_load_dwordx2 s[10:11], s[2:3], 0x0
	v_mov_b32_e32 v2, v1
	s_add_u32 s4, s4, 12
	s_waitcnt lgkmcnt(0)
	v_mul_hi_u32 v1, s9, v4
	v_add_u32_e32 v1, v4, v1
	v_lshrrev_b32_e32 v1, s7, v1
	s_addc_u32 s5, s5, 0
	v_mul_lo_u32 v3, v1, s8
	s_add_u32 s2, s2, 8
	v_sub_u32_e32 v5, v4, v3
	s_addc_u32 s3, s3, 0
	s_add_i32 s6, s6, -1
	v_mov_b32_e32 v4, v1
	v_mad_u64_u32 v[2:3], s[8:9], v5, s11, v[2:3]
	v_mad_u64_u32 v[0:1], s[8:9], v5, s10, v[0:1]
	s_cmp_lg_u32 s6, 0
	v_mov_b32_e32 v1, v2
	s_cbranch_scc1 .LBB103_28
.LBB103_29:
	s_cbranch_execnz .LBB103_32
.LBB103_30:
	s_load_dwordx4 s[4:7], s[34:35], 0x4
	s_load_dwordx2 s[2:3], s[34:35], 0xc4
	s_cmp_lt_u32 s33, 2
	s_waitcnt lgkmcnt(0)
	v_mul_hi_u32 v0, s5, v24
	v_add_u32_e32 v0, v24, v0
	v_lshrrev_b32_e32 v1, s6, v0
	v_mul_lo_u32 v0, v1, s4
	v_sub_u32_e32 v0, v24, v0
	v_mul_lo_u32 v2, v0, s3
	v_mul_lo_u32 v0, v0, s2
	s_cbranch_scc1 .LBB103_32
; %bb.31:
	s_load_dwordx4 s[4:7], s[34:35], 0x10
	s_load_dwordx2 s[2:3], s[34:35], 0xcc
	s_waitcnt lgkmcnt(0)
	v_mul_hi_u32 v3, s5, v1
	v_add_u32_e32 v3, v1, v3
	v_lshrrev_b32_e32 v3, s6, v3
	v_mul_lo_u32 v3, v3, s4
	v_sub_u32_e32 v3, v1, v3
	v_mad_u64_u32 v[0:1], s[4:5], v3, s2, v[0:1]
	v_mad_u64_u32 v[2:3], s[2:3], v3, s3, v[2:3]
.LBB103_32:
	s_and_b64 vcc, exec, s[0:1]
	v_add_u32_e32 v3, 0x80, v24
	s_cbranch_vccnz .LBB103_38
; %bb.33:
	s_cmp_lg_u32 s33, 0
	s_waitcnt lgkmcnt(0)
	s_mov_b32 s26, 0
	s_cbranch_scc0 .LBB103_39
; %bb.34:
	s_min_u32 s27, s54, 15
	s_add_i32 s27, s27, 1
	s_cmp_eq_u32 s54, 2
	s_cbranch_scc1 .LBB103_40
; %bb.35:
	s_and_b32 s26, s27, 28
	s_add_u32 s2, s34, 0xc4
	s_addc_u32 s3, s35, 0
	s_mov_b32 s28, 0
	v_mov_b32_e32 v4, 0
	v_mov_b32_e32 v6, 0
	s_mov_b64 s[24:25], s[34:35]
	v_mov_b32_e32 v8, v3
.LBB103_36:                             ; =>This Inner Loop Header: Depth=1
	s_load_dwordx8 s[12:19], s[24:25], 0x4
	s_load_dwordx4 s[20:23], s[24:25], 0x24
	s_load_dwordx8 s[4:11], s[2:3], 0x0
	s_add_u32 s24, s24, 48
	s_addc_u32 s25, s25, 0
	s_waitcnt lgkmcnt(0)
	v_mul_hi_u32 v1, s13, v8
	v_add_u32_e32 v1, v8, v1
	v_lshrrev_b32_e32 v1, s14, v1
	v_mul_hi_u32 v7, s16, v1
	v_add_u32_e32 v7, v1, v7
	v_lshrrev_b32_e32 v7, s17, v7
	v_mul_lo_u32 v5, v1, s12
	v_mul_lo_u32 v9, v7, s15
	v_mul_hi_u32 v10, s19, v7
	v_sub_u32_e32 v5, v8, v5
	v_sub_u32_e32 v1, v1, v9
	v_add_u32_e32 v9, v7, v10
	v_mul_lo_u32 v8, v5, s5
	v_mul_lo_u32 v5, v5, s4
	;; [unrolled: 1-line block ×4, first 2 shown]
	v_lshrrev_b32_e32 v9, s20, v9
	v_add3_u32 v1, v5, v4, v1
	v_add3_u32 v4, v8, v6, v10
	v_mul_hi_u32 v6, s22, v9
	v_add_u32_e32 v6, v9, v6
	v_lshrrev_b32_e32 v8, s23, v6
	s_add_i32 s28, s28, 4
	v_mul_lo_u32 v5, v9, s18
	v_mul_lo_u32 v6, v8, s21
	s_add_u32 s2, s2, 32
	v_sub_u32_e32 v5, v7, v5
	v_sub_u32_e32 v6, v9, v6
	s_addc_u32 s3, s3, 0
	v_mul_lo_u32 v7, v5, s8
	v_mul_lo_u32 v5, v5, s9
	;; [unrolled: 1-line block ×4, first 2 shown]
	s_cmp_lg_u32 s26, s28
	v_add3_u32 v6, v5, v4, v6
	v_add3_u32 v4, v7, v1, v9
	s_cbranch_scc1 .LBB103_36
; %bb.37:
	v_mov_b32_e32 v1, v6
	s_and_b32 s6, s27, 3
	s_cmp_eq_u32 s6, 0
	s_cbranch_scc0 .LBB103_41
	s_branch .LBB103_43
.LBB103_38:
                                        ; implicit-def: $vgpr6
                                        ; implicit-def: $vgpr4
	s_branch .LBB103_44
.LBB103_39:
	v_mov_b32_e32 v6, 0
	v_mov_b32_e32 v4, 0
	s_branch .LBB103_43
.LBB103_40:
	v_mov_b32_e32 v4, 0
                                        ; implicit-def: $vgpr6
	v_mov_b32_e32 v1, v4
	v_mov_b32_e32 v8, v3
	s_and_b32 s6, s27, 3
	s_cmp_eq_u32 s6, 0
	s_cbranch_scc1 .LBB103_43
.LBB103_41:
	s_lshl_b32 s2, s26, 3
	s_add_u32 s2, s34, s2
	s_addc_u32 s3, s35, 0
	s_add_u32 s2, s2, 0xc4
	s_addc_u32 s3, s3, 0
	s_mul_i32 s4, s26, 12
	s_add_u32 s4, s34, s4
	s_addc_u32 s5, s35, 0
.LBB103_42:                             ; =>This Inner Loop Header: Depth=1
	s_load_dwordx2 s[8:9], s[4:5], 0x4
	s_load_dword s7, s[4:5], 0xc
	s_load_dwordx2 s[10:11], s[2:3], 0x0
	v_mov_b32_e32 v6, v1
	s_add_u32 s4, s4, 12
	s_waitcnt lgkmcnt(0)
	v_mul_hi_u32 v1, s9, v8
	v_add_u32_e32 v1, v8, v1
	v_lshrrev_b32_e32 v1, s7, v1
	s_addc_u32 s5, s5, 0
	v_mul_lo_u32 v5, v1, s8
	s_add_u32 s2, s2, 8
	v_sub_u32_e32 v5, v8, v5
	s_addc_u32 s3, s3, 0
	s_add_i32 s6, s6, -1
	v_mad_u64_u32 v[6:7], s[8:9], v5, s11, v[6:7]
	s_cmp_lg_u32 s6, 0
	v_mov_b32_e32 v8, v1
	v_mad_u64_u32 v[4:5], s[8:9], v5, s10, v[4:5]
	v_mov_b32_e32 v1, v6
	s_cbranch_scc1 .LBB103_42
.LBB103_43:
	s_cbranch_execnz .LBB103_46
.LBB103_44:
	s_load_dwordx4 s[4:7], s[34:35], 0x4
	s_load_dwordx2 s[2:3], s[34:35], 0xc4
	s_cmp_lt_u32 s33, 2
	s_waitcnt lgkmcnt(0)
	v_mul_hi_u32 v1, s5, v3
	v_add_u32_e32 v1, v3, v1
	v_lshrrev_b32_e32 v1, s6, v1
	v_mul_lo_u32 v4, v1, s4
	v_sub_u32_e32 v3, v3, v4
	v_mul_lo_u32 v6, v3, s3
	v_mul_lo_u32 v4, v3, s2
	s_cbranch_scc1 .LBB103_46
; %bb.45:
	s_load_dwordx4 s[4:7], s[34:35], 0x10
	s_load_dwordx2 s[2:3], s[34:35], 0xcc
	s_waitcnt lgkmcnt(0)
	v_mul_hi_u32 v3, s5, v1
	v_add_u32_e32 v3, v1, v3
	v_lshrrev_b32_e32 v3, s6, v3
	v_mul_lo_u32 v3, v3, s4
	v_sub_u32_e32 v1, v1, v3
	v_mad_u64_u32 v[4:5], s[4:5], v1, s2, v[4:5]
	v_mad_u64_u32 v[6:7], s[2:3], v1, s3, v[6:7]
.LBB103_46:
	s_and_b64 vcc, exec, s[0:1]
	v_add_u32_e32 v3, 0x100, v24
	s_cbranch_vccnz .LBB103_52
; %bb.47:
	s_cmp_lg_u32 s33, 0
	s_waitcnt lgkmcnt(0)
	s_mov_b32 s26, 0
	s_cbranch_scc0 .LBB103_53
; %bb.48:
	s_min_u32 s27, s54, 15
	s_add_i32 s27, s27, 1
	s_cmp_eq_u32 s54, 2
	s_cbranch_scc1 .LBB103_54
; %bb.49:
	s_and_b32 s26, s27, 28
	s_add_u32 s2, s34, 0xc4
	s_addc_u32 s3, s35, 0
	s_mov_b32 s28, 0
	v_mov_b32_e32 v8, 0
	v_mov_b32_e32 v10, 0
	s_mov_b64 s[24:25], s[34:35]
	v_mov_b32_e32 v5, v3
.LBB103_50:                             ; =>This Inner Loop Header: Depth=1
	s_load_dwordx8 s[12:19], s[24:25], 0x4
	s_load_dwordx4 s[20:23], s[24:25], 0x24
	s_load_dwordx8 s[4:11], s[2:3], 0x0
	s_add_u32 s24, s24, 48
	s_addc_u32 s25, s25, 0
	s_waitcnt lgkmcnt(0)
	v_mul_hi_u32 v1, s13, v5
	v_add_u32_e32 v1, v5, v1
	v_lshrrev_b32_e32 v1, s14, v1
	v_mul_lo_u32 v7, v1, s12
	v_mul_hi_u32 v9, s16, v1
	v_sub_u32_e32 v5, v5, v7
	v_add_u32_e32 v7, v1, v9
	v_lshrrev_b32_e32 v7, s17, v7
	v_mul_lo_u32 v11, v7, s15
	v_mul_hi_u32 v12, s19, v7
	v_sub_u32_e32 v1, v1, v11
	v_add_u32_e32 v11, v7, v12
	v_mul_lo_u32 v9, v5, s5
	v_mul_lo_u32 v5, v5, s4
	;; [unrolled: 1-line block ×4, first 2 shown]
	v_lshrrev_b32_e32 v11, s20, v11
	v_add3_u32 v1, v5, v8, v1
	v_add3_u32 v8, v9, v10, v12
	v_mul_lo_u32 v5, v11, s18
	v_mul_hi_u32 v9, s22, v11
	v_sub_u32_e32 v5, v7, v5
	v_add_u32_e32 v7, v11, v9
	v_mul_lo_u32 v9, v5, s8
	v_mul_lo_u32 v10, v5, s9
	v_lshrrev_b32_e32 v5, s23, v7
	s_add_i32 s28, s28, 4
	v_mul_lo_u32 v7, v5, s21
	s_add_u32 s2, s2, 32
	v_sub_u32_e32 v7, v11, v7
	s_addc_u32 s3, s3, 0
	v_mul_lo_u32 v11, v7, s10
	v_mul_lo_u32 v7, v7, s11
	s_cmp_lg_u32 s26, s28
	v_add3_u32 v10, v10, v8, v7
	v_add3_u32 v8, v9, v1, v11
	s_cbranch_scc1 .LBB103_50
; %bb.51:
	v_mov_b32_e32 v1, v10
	s_and_b32 s6, s27, 3
	s_cmp_eq_u32 s6, 0
	s_cbranch_scc0 .LBB103_55
	s_branch .LBB103_57
.LBB103_52:
                                        ; implicit-def: $vgpr10
                                        ; implicit-def: $vgpr8
	s_branch .LBB103_58
.LBB103_53:
	v_mov_b32_e32 v10, 0
	v_mov_b32_e32 v8, 0
	s_branch .LBB103_57
.LBB103_54:
	v_mov_b32_e32 v8, 0
                                        ; implicit-def: $vgpr10
	v_mov_b32_e32 v1, v8
	v_mov_b32_e32 v5, v3
	s_and_b32 s6, s27, 3
	s_cmp_eq_u32 s6, 0
	s_cbranch_scc1 .LBB103_57
.LBB103_55:
	s_lshl_b32 s2, s26, 3
	s_add_u32 s2, s34, s2
	s_addc_u32 s3, s35, 0
	s_add_u32 s2, s2, 0xc4
	s_addc_u32 s3, s3, 0
	s_mul_i32 s4, s26, 12
	s_add_u32 s4, s34, s4
	s_addc_u32 s5, s35, 0
.LBB103_56:                             ; =>This Inner Loop Header: Depth=1
	s_load_dwordx2 s[8:9], s[4:5], 0x4
	s_load_dword s7, s[4:5], 0xc
	s_load_dwordx2 s[10:11], s[2:3], 0x0
	v_mov_b32_e32 v10, v1
	s_add_u32 s4, s4, 12
	s_waitcnt lgkmcnt(0)
	v_mul_hi_u32 v1, s9, v5
	v_add_u32_e32 v1, v5, v1
	v_lshrrev_b32_e32 v1, s7, v1
	s_addc_u32 s5, s5, 0
	v_mul_lo_u32 v7, v1, s8
	s_add_u32 s2, s2, 8
	v_sub_u32_e32 v7, v5, v7
	s_addc_u32 s3, s3, 0
	s_add_i32 s6, s6, -1
	v_mad_u64_u32 v[10:11], s[8:9], v7, s11, v[10:11]
	s_cmp_lg_u32 s6, 0
	v_mov_b32_e32 v5, v1
	v_mad_u64_u32 v[8:9], s[8:9], v7, s10, v[8:9]
	v_mov_b32_e32 v1, v10
	s_cbranch_scc1 .LBB103_56
.LBB103_57:
	s_cbranch_execnz .LBB103_60
.LBB103_58:
	s_load_dwordx4 s[4:7], s[34:35], 0x4
	s_load_dwordx2 s[2:3], s[34:35], 0xc4
	s_cmp_lt_u32 s33, 2
	s_waitcnt lgkmcnt(0)
	v_mul_hi_u32 v1, s5, v3
	v_add_u32_e32 v1, v3, v1
	v_lshrrev_b32_e32 v1, s6, v1
	v_mul_lo_u32 v5, v1, s4
	v_sub_u32_e32 v3, v3, v5
	v_mul_lo_u32 v10, v3, s3
	v_mul_lo_u32 v8, v3, s2
	s_cbranch_scc1 .LBB103_60
; %bb.59:
	s_load_dwordx4 s[4:7], s[34:35], 0x10
	s_load_dwordx2 s[2:3], s[34:35], 0xcc
	s_waitcnt lgkmcnt(0)
	v_mul_hi_u32 v3, s5, v1
	v_add_u32_e32 v3, v1, v3
	v_lshrrev_b32_e32 v3, s6, v3
	v_mul_lo_u32 v3, v3, s4
	v_sub_u32_e32 v1, v1, v3
	v_mad_u64_u32 v[8:9], s[4:5], v1, s2, v[8:9]
	v_mad_u64_u32 v[10:11], s[2:3], v1, s3, v[10:11]
.LBB103_60:
	s_and_b64 vcc, exec, s[0:1]
	v_add_u32_e32 v3, 0x180, v24
	s_cbranch_vccnz .LBB103_66
; %bb.61:
	s_cmp_lg_u32 s33, 0
	s_waitcnt lgkmcnt(0)
	s_mov_b32 s26, 0
	s_cbranch_scc0 .LBB103_67
; %bb.62:
	s_min_u32 s27, s54, 15
	s_add_i32 s27, s27, 1
	s_cmp_eq_u32 s54, 2
	s_cbranch_scc1 .LBB103_68
; %bb.63:
	s_and_b32 s26, s27, 28
	s_add_u32 s2, s34, 0xc4
	s_addc_u32 s3, s35, 0
	s_mov_b32 s28, 0
	v_mov_b32_e32 v12, 0
	v_mov_b32_e32 v14, 0
	s_mov_b64 s[24:25], s[34:35]
	v_mov_b32_e32 v5, v3
.LBB103_64:                             ; =>This Inner Loop Header: Depth=1
	s_load_dwordx8 s[12:19], s[24:25], 0x4
	s_load_dwordx4 s[20:23], s[24:25], 0x24
	s_load_dwordx8 s[4:11], s[2:3], 0x0
	s_add_u32 s24, s24, 48
	s_addc_u32 s25, s25, 0
	s_waitcnt lgkmcnt(0)
	v_mul_hi_u32 v1, s13, v5
	v_add_u32_e32 v1, v5, v1
	v_lshrrev_b32_e32 v1, s14, v1
	v_mul_lo_u32 v7, v1, s12
	v_mul_hi_u32 v9, s16, v1
	v_sub_u32_e32 v5, v5, v7
	v_add_u32_e32 v7, v1, v9
	v_lshrrev_b32_e32 v7, s17, v7
	v_mul_lo_u32 v11, v7, s15
	v_mul_hi_u32 v13, s19, v7
	v_sub_u32_e32 v1, v1, v11
	v_add_u32_e32 v11, v7, v13
	v_mul_lo_u32 v9, v5, s5
	v_mul_lo_u32 v5, v5, s4
	;; [unrolled: 1-line block ×4, first 2 shown]
	v_lshrrev_b32_e32 v11, s20, v11
	v_add3_u32 v1, v5, v12, v1
	v_mul_lo_u32 v5, v11, s18
	v_mul_hi_u32 v12, s22, v11
	v_sub_u32_e32 v5, v7, v5
	v_add_u32_e32 v7, v11, v12
	v_add3_u32 v9, v9, v14, v13
	v_mul_lo_u32 v12, v5, s8
	v_mul_lo_u32 v13, v5, s9
	v_lshrrev_b32_e32 v5, s23, v7
	s_add_i32 s28, s28, 4
	v_mul_lo_u32 v7, v5, s21
	s_add_u32 s2, s2, 32
	v_sub_u32_e32 v7, v11, v7
	s_addc_u32 s3, s3, 0
	v_mul_lo_u32 v11, v7, s10
	v_mul_lo_u32 v7, v7, s11
	s_cmp_lg_u32 s26, s28
	v_add3_u32 v14, v13, v9, v7
	v_add3_u32 v12, v12, v1, v11
	s_cbranch_scc1 .LBB103_64
; %bb.65:
	v_mov_b32_e32 v1, v14
	s_and_b32 s6, s27, 3
	s_cmp_eq_u32 s6, 0
	s_cbranch_scc0 .LBB103_69
	s_branch .LBB103_71
.LBB103_66:
                                        ; implicit-def: $vgpr14
                                        ; implicit-def: $vgpr12
	s_branch .LBB103_72
.LBB103_67:
	v_mov_b32_e32 v14, 0
	v_mov_b32_e32 v12, 0
	s_branch .LBB103_71
.LBB103_68:
	v_mov_b32_e32 v12, 0
                                        ; implicit-def: $vgpr14
	v_mov_b32_e32 v1, v12
	v_mov_b32_e32 v5, v3
	s_and_b32 s6, s27, 3
	s_cmp_eq_u32 s6, 0
	s_cbranch_scc1 .LBB103_71
.LBB103_69:
	s_lshl_b32 s2, s26, 3
	s_add_u32 s2, s34, s2
	s_addc_u32 s3, s35, 0
	s_add_u32 s2, s2, 0xc4
	s_addc_u32 s3, s3, 0
	s_mul_i32 s4, s26, 12
	s_add_u32 s4, s34, s4
	s_addc_u32 s5, s35, 0
.LBB103_70:                             ; =>This Inner Loop Header: Depth=1
	s_load_dwordx2 s[8:9], s[4:5], 0x4
	s_load_dword s7, s[4:5], 0xc
	s_load_dwordx2 s[10:11], s[2:3], 0x0
	v_mov_b32_e32 v14, v1
	s_add_u32 s4, s4, 12
	s_waitcnt lgkmcnt(0)
	v_mul_hi_u32 v1, s9, v5
	v_add_u32_e32 v1, v5, v1
	v_lshrrev_b32_e32 v1, s7, v1
	s_addc_u32 s5, s5, 0
	v_mul_lo_u32 v7, v1, s8
	s_add_u32 s2, s2, 8
	v_sub_u32_e32 v7, v5, v7
	s_addc_u32 s3, s3, 0
	s_add_i32 s6, s6, -1
	v_mad_u64_u32 v[14:15], s[8:9], v7, s11, v[14:15]
	s_cmp_lg_u32 s6, 0
	v_mov_b32_e32 v5, v1
	v_mad_u64_u32 v[12:13], s[8:9], v7, s10, v[12:13]
	v_mov_b32_e32 v1, v14
	s_cbranch_scc1 .LBB103_70
.LBB103_71:
	s_cbranch_execnz .LBB103_74
.LBB103_72:
	s_load_dwordx4 s[4:7], s[34:35], 0x4
	s_load_dwordx2 s[2:3], s[34:35], 0xc4
	s_cmp_lt_u32 s33, 2
	s_waitcnt lgkmcnt(0)
	v_mul_hi_u32 v1, s5, v3
	v_add_u32_e32 v1, v3, v1
	v_lshrrev_b32_e32 v1, s6, v1
	v_mul_lo_u32 v5, v1, s4
	v_sub_u32_e32 v3, v3, v5
	v_mul_lo_u32 v14, v3, s3
	v_mul_lo_u32 v12, v3, s2
	s_cbranch_scc1 .LBB103_74
; %bb.73:
	s_load_dwordx4 s[4:7], s[34:35], 0x10
	s_load_dwordx2 s[2:3], s[34:35], 0xcc
	s_waitcnt lgkmcnt(0)
	v_mul_hi_u32 v3, s5, v1
	v_add_u32_e32 v3, v1, v3
	v_lshrrev_b32_e32 v3, s6, v3
	v_mul_lo_u32 v3, v3, s4
	v_sub_u32_e32 v1, v1, v3
	v_mad_u64_u32 v[12:13], s[4:5], v1, s2, v[12:13]
	v_mad_u64_u32 v[14:15], s[2:3], v1, s3, v[14:15]
.LBB103_74:
	s_and_b64 vcc, exec, s[0:1]
	v_add_u32_e32 v3, 0x200, v24
	s_cbranch_vccnz .LBB103_80
; %bb.75:
	s_cmp_lg_u32 s33, 0
	s_waitcnt lgkmcnt(0)
	s_mov_b32 s26, 0
	s_cbranch_scc0 .LBB103_81
; %bb.76:
	s_min_u32 s27, s54, 15
	s_add_i32 s27, s27, 1
	s_cmp_eq_u32 s54, 2
	s_cbranch_scc1 .LBB103_82
; %bb.77:
	s_and_b32 s26, s27, 28
	s_add_u32 s2, s34, 0xc4
	s_addc_u32 s3, s35, 0
	s_mov_b32 s28, 0
	v_mov_b32_e32 v16, 0
	v_mov_b32_e32 v18, 0
	s_mov_b64 s[24:25], s[34:35]
	v_mov_b32_e32 v5, v3
.LBB103_78:                             ; =>This Inner Loop Header: Depth=1
	s_load_dwordx8 s[12:19], s[24:25], 0x4
	s_load_dwordx4 s[20:23], s[24:25], 0x24
	s_load_dwordx8 s[4:11], s[2:3], 0x0
	s_add_u32 s24, s24, 48
	s_addc_u32 s25, s25, 0
	s_waitcnt lgkmcnt(0)
	v_mul_hi_u32 v1, s13, v5
	v_add_u32_e32 v1, v5, v1
	v_lshrrev_b32_e32 v1, s14, v1
	v_mul_lo_u32 v7, v1, s12
	v_mul_hi_u32 v9, s16, v1
	v_sub_u32_e32 v5, v5, v7
	v_add_u32_e32 v7, v1, v9
	v_lshrrev_b32_e32 v7, s17, v7
	v_mul_lo_u32 v11, v7, s15
	v_mul_hi_u32 v13, s19, v7
	v_sub_u32_e32 v1, v1, v11
	v_add_u32_e32 v11, v7, v13
	v_mul_lo_u32 v9, v5, s5
	v_mul_lo_u32 v5, v5, s4
	;; [unrolled: 1-line block ×4, first 2 shown]
	v_lshrrev_b32_e32 v11, s20, v11
	v_add3_u32 v1, v5, v16, v1
	v_add3_u32 v9, v9, v18, v13
	v_mul_lo_u32 v5, v11, s18
	v_mul_hi_u32 v13, s22, v11
	v_sub_u32_e32 v5, v7, v5
	v_add_u32_e32 v7, v11, v13
	v_mul_lo_u32 v13, v5, s8
	v_mul_lo_u32 v15, v5, s9
	v_lshrrev_b32_e32 v5, s23, v7
	s_add_i32 s28, s28, 4
	v_mul_lo_u32 v7, v5, s21
	s_add_u32 s2, s2, 32
	v_sub_u32_e32 v7, v11, v7
	s_addc_u32 s3, s3, 0
	v_mul_lo_u32 v11, v7, s10
	v_mul_lo_u32 v7, v7, s11
	s_cmp_lg_u32 s26, s28
	v_add3_u32 v18, v15, v9, v7
	v_add3_u32 v16, v13, v1, v11
	s_cbranch_scc1 .LBB103_78
; %bb.79:
	v_mov_b32_e32 v1, v18
	s_and_b32 s6, s27, 3
	s_cmp_eq_u32 s6, 0
	s_cbranch_scc0 .LBB103_83
	s_branch .LBB103_85
.LBB103_80:
                                        ; implicit-def: $vgpr18
                                        ; implicit-def: $vgpr16
	s_branch .LBB103_86
.LBB103_81:
	v_mov_b32_e32 v18, 0
	v_mov_b32_e32 v16, 0
	s_branch .LBB103_85
.LBB103_82:
	v_mov_b32_e32 v16, 0
                                        ; implicit-def: $vgpr18
	v_mov_b32_e32 v1, v16
	v_mov_b32_e32 v5, v3
	s_and_b32 s6, s27, 3
	s_cmp_eq_u32 s6, 0
	s_cbranch_scc1 .LBB103_85
.LBB103_83:
	s_lshl_b32 s2, s26, 3
	s_add_u32 s2, s34, s2
	s_addc_u32 s3, s35, 0
	s_add_u32 s2, s2, 0xc4
	s_addc_u32 s3, s3, 0
	s_mul_i32 s4, s26, 12
	s_add_u32 s4, s34, s4
	s_addc_u32 s5, s35, 0
.LBB103_84:                             ; =>This Inner Loop Header: Depth=1
	s_load_dwordx2 s[8:9], s[4:5], 0x4
	s_load_dword s7, s[4:5], 0xc
	s_load_dwordx2 s[10:11], s[2:3], 0x0
	v_mov_b32_e32 v18, v1
	s_add_u32 s4, s4, 12
	s_waitcnt lgkmcnt(0)
	v_mul_hi_u32 v1, s9, v5
	v_add_u32_e32 v1, v5, v1
	v_lshrrev_b32_e32 v1, s7, v1
	s_addc_u32 s5, s5, 0
	v_mul_lo_u32 v7, v1, s8
	s_add_u32 s2, s2, 8
	v_sub_u32_e32 v7, v5, v7
	s_addc_u32 s3, s3, 0
	s_add_i32 s6, s6, -1
	v_mad_u64_u32 v[18:19], s[8:9], v7, s11, v[18:19]
	s_cmp_lg_u32 s6, 0
	v_mov_b32_e32 v5, v1
	v_mad_u64_u32 v[16:17], s[8:9], v7, s10, v[16:17]
	v_mov_b32_e32 v1, v18
	s_cbranch_scc1 .LBB103_84
.LBB103_85:
	s_cbranch_execnz .LBB103_88
.LBB103_86:
	s_load_dwordx4 s[4:7], s[34:35], 0x4
	s_load_dwordx2 s[2:3], s[34:35], 0xc4
	s_cmp_lt_u32 s33, 2
	s_waitcnt lgkmcnt(0)
	v_mul_hi_u32 v1, s5, v3
	v_add_u32_e32 v1, v3, v1
	v_lshrrev_b32_e32 v1, s6, v1
	v_mul_lo_u32 v5, v1, s4
	v_sub_u32_e32 v3, v3, v5
	v_mul_lo_u32 v18, v3, s3
	v_mul_lo_u32 v16, v3, s2
	s_cbranch_scc1 .LBB103_88
; %bb.87:
	s_load_dwordx4 s[4:7], s[34:35], 0x10
	s_load_dwordx2 s[2:3], s[34:35], 0xcc
	s_waitcnt lgkmcnt(0)
	v_mul_hi_u32 v3, s5, v1
	v_add_u32_e32 v3, v1, v3
	v_lshrrev_b32_e32 v3, s6, v3
	v_mul_lo_u32 v3, v3, s4
	v_sub_u32_e32 v1, v1, v3
	v_mad_u64_u32 v[16:17], s[4:5], v1, s2, v[16:17]
	v_mad_u64_u32 v[18:19], s[2:3], v1, s3, v[18:19]
.LBB103_88:
	s_and_b64 vcc, exec, s[0:1]
	v_add_u32_e32 v3, 0x280, v24
	s_cbranch_vccnz .LBB103_94
; %bb.89:
	s_cmp_lg_u32 s33, 0
	s_waitcnt lgkmcnt(0)
	s_mov_b32 s26, 0
	s_cbranch_scc0 .LBB103_95
; %bb.90:
	s_min_u32 s27, s54, 15
	s_add_i32 s27, s27, 1
	s_cmp_eq_u32 s54, 2
	s_cbranch_scc1 .LBB103_96
; %bb.91:
	s_and_b32 s26, s27, 28
	s_add_u32 s2, s34, 0xc4
	s_addc_u32 s3, s35, 0
	s_mov_b32 s28, 0
	v_mov_b32_e32 v20, 0
	v_mov_b32_e32 v22, 0
	s_mov_b64 s[24:25], s[34:35]
	v_mov_b32_e32 v5, v3
.LBB103_92:                             ; =>This Inner Loop Header: Depth=1
	s_load_dwordx8 s[12:19], s[24:25], 0x4
	s_load_dwordx4 s[20:23], s[24:25], 0x24
	s_load_dwordx8 s[4:11], s[2:3], 0x0
	s_add_u32 s24, s24, 48
	s_addc_u32 s25, s25, 0
	s_waitcnt lgkmcnt(0)
	v_mul_hi_u32 v1, s13, v5
	v_add_u32_e32 v1, v5, v1
	v_lshrrev_b32_e32 v1, s14, v1
	v_mul_lo_u32 v7, v1, s12
	v_mul_hi_u32 v9, s16, v1
	v_sub_u32_e32 v5, v5, v7
	v_add_u32_e32 v7, v1, v9
	v_lshrrev_b32_e32 v7, s17, v7
	v_mul_lo_u32 v11, v7, s15
	v_mul_hi_u32 v13, s19, v7
	v_sub_u32_e32 v1, v1, v11
	v_add_u32_e32 v11, v7, v13
	v_mul_lo_u32 v9, v5, s5
	v_mul_lo_u32 v5, v5, s4
	;; [unrolled: 1-line block ×4, first 2 shown]
	v_lshrrev_b32_e32 v11, s20, v11
	v_add3_u32 v1, v5, v20, v1
	v_add3_u32 v9, v9, v22, v13
	v_mul_lo_u32 v5, v11, s18
	v_mul_hi_u32 v13, s22, v11
	v_sub_u32_e32 v5, v7, v5
	v_add_u32_e32 v7, v11, v13
	v_mul_lo_u32 v13, v5, s8
	v_mul_lo_u32 v15, v5, s9
	v_lshrrev_b32_e32 v5, s23, v7
	s_add_i32 s28, s28, 4
	v_mul_lo_u32 v7, v5, s21
	s_add_u32 s2, s2, 32
	v_sub_u32_e32 v7, v11, v7
	s_addc_u32 s3, s3, 0
	v_mul_lo_u32 v11, v7, s10
	v_mul_lo_u32 v7, v7, s11
	s_cmp_lg_u32 s26, s28
	v_add3_u32 v22, v15, v9, v7
	v_add3_u32 v20, v13, v1, v11
	s_cbranch_scc1 .LBB103_92
; %bb.93:
	v_mov_b32_e32 v1, v22
	s_and_b32 s6, s27, 3
	s_cmp_eq_u32 s6, 0
	s_cbranch_scc0 .LBB103_97
	s_branch .LBB103_99
.LBB103_94:
                                        ; implicit-def: $vgpr22
                                        ; implicit-def: $vgpr20
	s_branch .LBB103_100
.LBB103_95:
	v_mov_b32_e32 v22, 0
	v_mov_b32_e32 v20, 0
	s_branch .LBB103_99
.LBB103_96:
	v_mov_b32_e32 v20, 0
                                        ; implicit-def: $vgpr22
	v_mov_b32_e32 v1, v20
	v_mov_b32_e32 v5, v3
	s_and_b32 s6, s27, 3
	s_cmp_eq_u32 s6, 0
	s_cbranch_scc1 .LBB103_99
.LBB103_97:
	s_lshl_b32 s2, s26, 3
	s_add_u32 s2, s34, s2
	s_addc_u32 s3, s35, 0
	s_add_u32 s2, s2, 0xc4
	s_addc_u32 s3, s3, 0
	s_mul_i32 s4, s26, 12
	s_add_u32 s4, s34, s4
	s_addc_u32 s5, s35, 0
.LBB103_98:                             ; =>This Inner Loop Header: Depth=1
	s_load_dwordx2 s[8:9], s[4:5], 0x4
	s_load_dword s7, s[4:5], 0xc
	s_load_dwordx2 s[10:11], s[2:3], 0x0
	v_mov_b32_e32 v22, v1
	s_add_u32 s4, s4, 12
	s_waitcnt lgkmcnt(0)
	v_mul_hi_u32 v1, s9, v5
	v_add_u32_e32 v1, v5, v1
	v_lshrrev_b32_e32 v1, s7, v1
	s_addc_u32 s5, s5, 0
	v_mul_lo_u32 v7, v1, s8
	s_add_u32 s2, s2, 8
	v_sub_u32_e32 v7, v5, v7
	s_addc_u32 s3, s3, 0
	s_add_i32 s6, s6, -1
	v_mad_u64_u32 v[22:23], s[8:9], v7, s11, v[22:23]
	s_cmp_lg_u32 s6, 0
	v_mov_b32_e32 v5, v1
	v_mad_u64_u32 v[20:21], s[8:9], v7, s10, v[20:21]
	v_mov_b32_e32 v1, v22
	s_cbranch_scc1 .LBB103_98
.LBB103_99:
	s_cbranch_execnz .LBB103_102
.LBB103_100:
	s_load_dwordx4 s[4:7], s[34:35], 0x4
	s_load_dwordx2 s[2:3], s[34:35], 0xc4
	s_cmp_lt_u32 s33, 2
	s_waitcnt lgkmcnt(0)
	v_mul_hi_u32 v1, s5, v3
	v_add_u32_e32 v1, v3, v1
	v_lshrrev_b32_e32 v1, s6, v1
	v_mul_lo_u32 v5, v1, s4
	v_sub_u32_e32 v3, v3, v5
	v_mul_lo_u32 v22, v3, s3
	v_mul_lo_u32 v20, v3, s2
	s_cbranch_scc1 .LBB103_102
; %bb.101:
	s_load_dwordx4 s[4:7], s[34:35], 0x10
	s_load_dwordx2 s[2:3], s[34:35], 0xcc
	s_waitcnt lgkmcnt(0)
	v_mul_hi_u32 v3, s5, v1
	v_add_u32_e32 v3, v1, v3
	v_lshrrev_b32_e32 v3, s6, v3
	v_mul_lo_u32 v3, v3, s4
	v_sub_u32_e32 v1, v1, v3
	v_mad_u64_u32 v[20:21], s[4:5], v1, s2, v[20:21]
	v_mad_u64_u32 v[22:23], s[2:3], v1, s3, v[22:23]
.LBB103_102:
	s_and_b64 vcc, exec, s[0:1]
	v_add_u32_e32 v3, 0x300, v24
	s_cbranch_vccnz .LBB103_108
; %bb.103:
	s_cmp_lg_u32 s33, 0
	s_waitcnt lgkmcnt(0)
	s_mov_b32 s26, 0
	s_cbranch_scc0 .LBB103_109
; %bb.104:
	s_min_u32 s27, s54, 15
	s_add_i32 s27, s27, 1
	s_cmp_eq_u32 s54, 2
	s_cbranch_scc1 .LBB103_110
; %bb.105:
	s_and_b32 s26, s27, 28
	s_add_u32 s2, s34, 0xc4
	s_addc_u32 s3, s35, 0
	s_mov_b32 s28, 0
	v_mov_b32_e32 v24, 0
	v_mov_b32_e32 v26, 0
	s_mov_b64 s[24:25], s[34:35]
	v_mov_b32_e32 v5, v3
.LBB103_106:                            ; =>This Inner Loop Header: Depth=1
	s_load_dwordx8 s[12:19], s[24:25], 0x4
	s_load_dwordx4 s[20:23], s[24:25], 0x24
	s_load_dwordx8 s[4:11], s[2:3], 0x0
	s_add_u32 s24, s24, 48
	s_addc_u32 s25, s25, 0
	s_waitcnt lgkmcnt(0)
	v_mul_hi_u32 v1, s13, v5
	v_add_u32_e32 v1, v5, v1
	v_lshrrev_b32_e32 v1, s14, v1
	v_mul_lo_u32 v7, v1, s12
	v_mul_hi_u32 v9, s16, v1
	v_sub_u32_e32 v5, v5, v7
	v_add_u32_e32 v7, v1, v9
	v_lshrrev_b32_e32 v7, s17, v7
	v_mul_lo_u32 v11, v7, s15
	v_mul_hi_u32 v13, s19, v7
	v_sub_u32_e32 v1, v1, v11
	v_add_u32_e32 v11, v7, v13
	v_mul_lo_u32 v9, v5, s5
	v_mul_lo_u32 v5, v5, s4
	;; [unrolled: 1-line block ×4, first 2 shown]
	v_lshrrev_b32_e32 v11, s20, v11
	v_add3_u32 v1, v5, v24, v1
	v_add3_u32 v9, v9, v26, v13
	v_mul_lo_u32 v5, v11, s18
	v_mul_hi_u32 v13, s22, v11
	v_sub_u32_e32 v5, v7, v5
	v_add_u32_e32 v7, v11, v13
	v_mul_lo_u32 v13, v5, s8
	v_mul_lo_u32 v15, v5, s9
	v_lshrrev_b32_e32 v5, s23, v7
	s_add_i32 s28, s28, 4
	v_mul_lo_u32 v7, v5, s21
	s_add_u32 s2, s2, 32
	v_sub_u32_e32 v7, v11, v7
	s_addc_u32 s3, s3, 0
	v_mul_lo_u32 v11, v7, s10
	v_mul_lo_u32 v7, v7, s11
	s_cmp_lg_u32 s26, s28
	v_add3_u32 v26, v15, v9, v7
	v_add3_u32 v24, v13, v1, v11
	s_cbranch_scc1 .LBB103_106
; %bb.107:
	v_mov_b32_e32 v1, v26
	s_and_b32 s6, s27, 3
	s_cmp_eq_u32 s6, 0
	s_cbranch_scc0 .LBB103_111
	s_branch .LBB103_113
.LBB103_108:
                                        ; implicit-def: $vgpr26
                                        ; implicit-def: $vgpr24
	s_branch .LBB103_114
.LBB103_109:
	v_mov_b32_e32 v26, 0
	v_mov_b32_e32 v24, 0
	s_branch .LBB103_113
.LBB103_110:
	v_mov_b32_e32 v24, 0
                                        ; implicit-def: $vgpr26
	v_mov_b32_e32 v1, v24
	v_mov_b32_e32 v5, v3
	s_and_b32 s6, s27, 3
	s_cmp_eq_u32 s6, 0
	s_cbranch_scc1 .LBB103_113
.LBB103_111:
	s_lshl_b32 s2, s26, 3
	s_add_u32 s2, s34, s2
	s_addc_u32 s3, s35, 0
	s_add_u32 s2, s2, 0xc4
	s_addc_u32 s3, s3, 0
	s_mul_i32 s4, s26, 12
	s_add_u32 s4, s34, s4
	s_addc_u32 s5, s35, 0
.LBB103_112:                            ; =>This Inner Loop Header: Depth=1
	s_load_dwordx2 s[8:9], s[4:5], 0x4
	s_load_dword s7, s[4:5], 0xc
	s_load_dwordx2 s[10:11], s[2:3], 0x0
	v_mov_b32_e32 v26, v1
	s_add_u32 s4, s4, 12
	s_waitcnt lgkmcnt(0)
	v_mul_hi_u32 v1, s9, v5
	v_add_u32_e32 v1, v5, v1
	v_lshrrev_b32_e32 v1, s7, v1
	s_addc_u32 s5, s5, 0
	v_mul_lo_u32 v7, v1, s8
	s_add_u32 s2, s2, 8
	v_sub_u32_e32 v7, v5, v7
	s_addc_u32 s3, s3, 0
	s_add_i32 s6, s6, -1
	v_mad_u64_u32 v[26:27], s[8:9], v7, s11, v[26:27]
	s_cmp_lg_u32 s6, 0
	v_mov_b32_e32 v5, v1
	v_mad_u64_u32 v[24:25], s[8:9], v7, s10, v[24:25]
	v_mov_b32_e32 v1, v26
	s_cbranch_scc1 .LBB103_112
.LBB103_113:
	s_cbranch_execnz .LBB103_116
.LBB103_114:
	s_load_dwordx4 s[4:7], s[34:35], 0x4
	s_load_dwordx2 s[2:3], s[34:35], 0xc4
	s_cmp_lt_u32 s33, 2
	s_waitcnt lgkmcnt(0)
	v_mul_hi_u32 v1, s5, v3
	v_add_u32_e32 v1, v3, v1
	v_lshrrev_b32_e32 v1, s6, v1
	v_mul_lo_u32 v5, v1, s4
	v_sub_u32_e32 v3, v3, v5
	v_mul_lo_u32 v26, v3, s3
	v_mul_lo_u32 v24, v3, s2
	s_cbranch_scc1 .LBB103_116
; %bb.115:
	s_load_dwordx4 s[4:7], s[34:35], 0x10
	s_load_dwordx2 s[2:3], s[34:35], 0xcc
	s_waitcnt lgkmcnt(0)
	v_mul_hi_u32 v3, s5, v1
	v_add_u32_e32 v3, v1, v3
	v_lshrrev_b32_e32 v3, s6, v3
	v_mul_lo_u32 v3, v3, s4
	v_sub_u32_e32 v1, v1, v3
	v_mad_u64_u32 v[24:25], s[4:5], v1, s2, v[24:25]
	v_mad_u64_u32 v[26:27], s[2:3], v1, s3, v[26:27]
.LBB103_116:
	s_and_b64 vcc, exec, s[0:1]
	s_cbranch_vccnz .LBB103_122
; %bb.117:
	s_cmp_lg_u32 s33, 0
	s_waitcnt lgkmcnt(0)
	s_mov_b32 s24, 0
	s_cbranch_scc0 .LBB103_123
; %bb.118:
	s_min_u32 s25, s54, 15
	s_add_i32 s25, s25, 1
	s_cmp_eq_u32 s54, 2
	s_cbranch_scc1 .LBB103_124
; %bb.119:
	s_and_b32 s24, s25, 28
	s_add_u32 s20, s34, 0xc4
	s_addc_u32 s21, s35, 0
	s_mov_b32 s26, 0
	v_mov_b32_e32 v28, 0
	v_mov_b32_e32 v30, 0
	s_mov_b64 s[22:23], s[34:35]
	v_mov_b32_e32 v3, v32
.LBB103_120:                            ; =>This Inner Loop Header: Depth=1
	s_load_dwordx8 s[8:15], s[22:23], 0x4
	s_load_dwordx4 s[16:19], s[22:23], 0x24
	s_load_dwordx8 s[0:7], s[20:21], 0x0
	s_add_u32 s22, s22, 48
	s_addc_u32 s23, s23, 0
	s_waitcnt lgkmcnt(0)
	v_mul_hi_u32 v1, s9, v3
	v_add_u32_e32 v1, v3, v1
	v_lshrrev_b32_e32 v1, s10, v1
	v_mul_lo_u32 v5, v1, s8
	v_mul_hi_u32 v7, s12, v1
	v_sub_u32_e32 v3, v3, v5
	v_add_u32_e32 v5, v1, v7
	v_lshrrev_b32_e32 v5, s13, v5
	v_mul_lo_u32 v9, v5, s11
	v_mul_hi_u32 v11, s15, v5
	v_sub_u32_e32 v1, v1, v9
	v_add_u32_e32 v9, v5, v11
	v_mul_lo_u32 v7, v3, s1
	v_mul_lo_u32 v3, v3, s0
	;; [unrolled: 1-line block ×4, first 2 shown]
	v_lshrrev_b32_e32 v9, s16, v9
	v_add3_u32 v1, v3, v28, v1
	v_add3_u32 v7, v7, v30, v11
	v_mul_lo_u32 v3, v9, s14
	v_mul_hi_u32 v11, s18, v9
	v_sub_u32_e32 v3, v5, v3
	v_add_u32_e32 v5, v9, v11
	v_mul_lo_u32 v11, v3, s4
	v_mul_lo_u32 v13, v3, s5
	v_lshrrev_b32_e32 v3, s19, v5
	s_add_i32 s26, s26, 4
	v_mul_lo_u32 v5, v3, s17
	s_add_u32 s20, s20, 32
	v_sub_u32_e32 v5, v9, v5
	s_addc_u32 s21, s21, 0
	v_mul_lo_u32 v9, v5, s6
	v_mul_lo_u32 v5, v5, s7
	s_cmp_lg_u32 s24, s26
	v_add3_u32 v30, v13, v7, v5
	v_add3_u32 v28, v11, v1, v9
	s_cbranch_scc1 .LBB103_120
; %bb.121:
	v_mov_b32_e32 v1, v30
	s_and_b32 s4, s25, 3
	s_cmp_eq_u32 s4, 0
	s_cbranch_scc0 .LBB103_125
	s_branch .LBB103_127
.LBB103_122:
                                        ; implicit-def: $vgpr30
                                        ; implicit-def: $vgpr28
	s_branch .LBB103_128
.LBB103_123:
	v_mov_b32_e32 v30, 0
	v_mov_b32_e32 v28, 0
	s_branch .LBB103_127
.LBB103_124:
	v_mov_b32_e32 v28, 0
                                        ; implicit-def: $vgpr30
	v_mov_b32_e32 v1, v28
	v_mov_b32_e32 v3, v32
	s_and_b32 s4, s25, 3
	s_cmp_eq_u32 s4, 0
	s_cbranch_scc1 .LBB103_127
.LBB103_125:
	s_lshl_b32 s0, s24, 3
	s_add_u32 s0, s34, s0
	s_addc_u32 s1, s35, 0
	s_add_u32 s0, s0, 0xc4
	s_addc_u32 s1, s1, 0
	s_mul_i32 s2, s24, 12
	s_add_u32 s2, s34, s2
	s_addc_u32 s3, s35, 0
.LBB103_126:                            ; =>This Inner Loop Header: Depth=1
	s_load_dwordx2 s[6:7], s[2:3], 0x4
	s_load_dword s5, s[2:3], 0xc
	s_load_dwordx2 s[8:9], s[0:1], 0x0
	v_mov_b32_e32 v30, v1
	s_add_u32 s2, s2, 12
	s_waitcnt lgkmcnt(0)
	v_mul_hi_u32 v1, s7, v3
	v_add_u32_e32 v1, v3, v1
	v_lshrrev_b32_e32 v1, s5, v1
	s_addc_u32 s3, s3, 0
	v_mul_lo_u32 v5, v1, s6
	s_add_u32 s0, s0, 8
	v_sub_u32_e32 v5, v3, v5
	s_addc_u32 s1, s1, 0
	s_add_i32 s4, s4, -1
	v_mad_u64_u32 v[30:31], s[6:7], v5, s9, v[30:31]
	s_cmp_lg_u32 s4, 0
	v_mov_b32_e32 v3, v1
	v_mad_u64_u32 v[28:29], s[6:7], v5, s8, v[28:29]
	v_mov_b32_e32 v1, v30
	s_cbranch_scc1 .LBB103_126
.LBB103_127:
	s_cbranch_execnz .LBB103_130
.LBB103_128:
	s_load_dwordx4 s[0:3], s[34:35], 0x4
	s_load_dwordx2 s[4:5], s[34:35], 0xc4
	s_cmp_lt_u32 s33, 2
	s_waitcnt lgkmcnt(0)
	v_mul_hi_u32 v1, s1, v32
	v_add_u32_e32 v1, v32, v1
	v_lshrrev_b32_e32 v1, s2, v1
	v_mul_lo_u32 v3, v1, s0
	v_sub_u32_e32 v3, v32, v3
	v_mul_lo_u32 v30, v3, s5
	v_mul_lo_u32 v28, v3, s4
	s_cbranch_scc1 .LBB103_130
; %bb.129:
	s_load_dwordx4 s[0:3], s[34:35], 0x10
	s_load_dwordx2 s[4:5], s[34:35], 0xcc
	s_waitcnt lgkmcnt(0)
	v_mul_hi_u32 v3, s1, v1
	v_add_u32_e32 v3, v1, v3
	v_lshrrev_b32_e32 v3, s2, v3
	v_mul_lo_u32 v3, v3, s0
	v_sub_u32_e32 v1, v1, v3
	v_mad_u64_u32 v[28:29], s[0:1], v1, s4, v[28:29]
	v_mad_u64_u32 v[30:31], s[0:1], v1, s5, v[30:31]
.LBB103_130:
	s_load_dwordx4 s[0:3], s[34:35], 0x148
	s_mov_b32 s7, 0x3fb8aa3b
	s_mov_b32 s6, 0xc2ce8ed0
	;; [unrolled: 1-line block ×3, first 2 shown]
	s_movk_i32 s4, 0x7fff
	s_waitcnt lgkmcnt(0)
	global_load_ushort v1, v2, s[2:3]
	global_load_ushort v3, v6, s[2:3]
	;; [unrolled: 1-line block ×5, first 2 shown]
	s_nop 0
	global_load_ushort v10, v22, s[2:3]
	global_load_ushort v11, v26, s[2:3]
	;; [unrolled: 1-line block ×3, first 2 shown]
	v_mov_b32_e32 v2, 0x7f800000
	v_mov_b32_e32 v6, 0x7fc0
	s_waitcnt vmcnt(7)
	v_lshlrev_b32_e32 v1, 16, v1
	s_waitcnt vmcnt(6)
	v_lshlrev_b32_e32 v3, 16, v3
	v_mul_f32_e32 v14, 0x3fb8aa3b, v1
	s_waitcnt vmcnt(5)
	v_lshlrev_b32_e32 v5, 16, v5
	v_mul_f32_e32 v15, 0x3fb8aa3b, v3
	v_fma_f32 v21, v1, s7, -v14
	v_rndne_f32_e32 v22, v14
	s_waitcnt vmcnt(4)
	v_lshlrev_b32_e32 v7, 16, v7
	v_mul_f32_e32 v17, 0x3fb8aa3b, v5
	v_fma_f32 v23, v3, s7, -v15
	v_rndne_f32_e32 v25, v15
	v_fmac_f32_e32 v21, 0x32a5705f, v1
	v_sub_f32_e32 v14, v14, v22
	v_mul_f32_e32 v18, 0x3fb8aa3b, v7
	v_fma_f32 v26, v5, s7, -v17
	v_rndne_f32_e32 v27, v17
	v_fmac_f32_e32 v23, 0x32a5705f, v3
	v_sub_f32_e32 v15, v15, v25
	v_add_f32_e32 v14, v14, v21
	v_fma_f32 v29, v7, s7, -v18
	v_rndne_f32_e32 v30, v18
	v_cvt_i32_f32_e32 v22, v22
	v_fmac_f32_e32 v26, 0x32a5705f, v5
	v_sub_f32_e32 v17, v17, v27
	v_add_f32_e32 v15, v15, v23
	v_exp_f32_e32 v14, v14
	v_cvt_i32_f32_e32 v25, v25
	v_fmac_f32_e32 v29, 0x32a5705f, v7
	v_sub_f32_e32 v18, v18, v30
	v_add_f32_e32 v17, v17, v26
	v_exp_f32_e32 v15, v15
	v_cvt_i32_f32_e32 v27, v27
	v_add_f32_e32 v18, v18, v29
	v_exp_f32_e32 v17, v17
	v_cvt_i32_f32_e32 v30, v30
	v_exp_f32_e32 v18, v18
	v_ldexp_f32 v14, v14, v22
	v_cmp_ngt_f32_e32 vcc, s6, v1
	v_ldexp_f32 v15, v15, v25
	v_ldexp_f32 v17, v17, v27
	v_cndmask_b32_e32 v14, 0, v14, vcc
	v_cmp_ngt_f32_e32 vcc, s6, v3
	v_ldexp_f32 v18, v18, v30
	s_waitcnt vmcnt(3)
	v_lshlrev_b32_e32 v9, 16, v9
	v_cndmask_b32_e32 v15, 0, v15, vcc
	v_cmp_ngt_f32_e32 vcc, s6, v5
	v_mul_f32_e32 v19, 0x3fb8aa3b, v9
	v_fma_f32 v31, v9, s7, -v19
	v_cndmask_b32_e32 v17, 0, v17, vcc
	v_cmp_ngt_f32_e32 vcc, s6, v7
	v_rndne_f32_e32 v32, v19
	v_fmac_f32_e32 v31, 0x32a5705f, v9
	v_cndmask_b32_e32 v18, 0, v18, vcc
	v_cmp_nlt_f32_e32 vcc, s5, v1
	v_sub_f32_e32 v19, v19, v32
	v_add_f32_e32 v19, v19, v31
	v_cndmask_b32_e32 v1, v2, v14, vcc
	v_cmp_nlt_f32_e32 vcc, s5, v3
	v_bfe_u32 v14, v1, 16, 1
	v_add3_u32 v14, v1, v14, s4
	v_cndmask_b32_e32 v3, v2, v15, vcc
	v_cmp_nlt_f32_e32 vcc, s5, v5
	v_bfe_u32 v15, v3, 16, 1
	v_add3_u32 v15, v3, v15, s4
	v_cndmask_b32_e32 v5, v2, v17, vcc
	v_cmp_nlt_f32_e32 vcc, s5, v7
	v_bfe_u32 v17, v5, 16, 1
	v_lshrrev_b32_e32 v14, 16, v14
	v_cndmask_b32_e32 v7, v2, v18, vcc
	v_cmp_o_f32_e32 vcc, v1, v1
	v_cvt_i32_f32_e32 v32, v32
	v_exp_f32_e32 v19, v19
	v_bfe_u32 v18, v7, 16, 1
	v_add3_u32 v17, v5, v17, s4
	v_lshrrev_b32_e32 v15, 16, v15
	v_cndmask_b32_e32 v1, v6, v14, vcc
	v_cmp_o_f32_e32 vcc, v3, v3
	v_add3_u32 v18, v7, v18, s4
	v_lshrrev_b32_e32 v17, 16, v17
	v_cndmask_b32_e32 v3, v6, v15, vcc
	v_cmp_o_f32_e32 vcc, v5, v5
	s_waitcnt vmcnt(2)
	v_lshlrev_b32_e32 v10, 16, v10
	v_lshrrev_b32_e32 v18, 16, v18
	v_cndmask_b32_e32 v5, v6, v17, vcc
	v_cmp_o_f32_e32 vcc, v7, v7
	v_mul_f32_e32 v15, 0x3fb8aa3b, v10
	v_fma_f32 v17, v10, s7, -v15
	v_cndmask_b32_e32 v7, v6, v18, vcc
	v_rndne_f32_e32 v18, v15
	v_ldexp_f32 v19, v19, v32
	v_cmp_ngt_f32_e32 vcc, s6, v9
	v_fmac_f32_e32 v17, 0x32a5705f, v10
	v_sub_f32_e32 v15, v15, v18
	v_cndmask_b32_e32 v14, 0, v19, vcc
	v_cmp_nlt_f32_e32 vcc, s5, v9
	v_add_f32_e32 v15, v15, v17
	v_exp_f32_e32 v15, v15
	v_cndmask_b32_e32 v9, v2, v14, vcc
	v_cvt_i32_f32_e32 v17, v18
	v_bfe_u32 v14, v9, 16, 1
	v_add3_u32 v14, v9, v14, s4
	v_lshrrev_b32_e32 v14, 16, v14
	v_cmp_o_f32_e32 vcc, v9, v9
	s_waitcnt vmcnt(1)
	v_lshlrev_b32_e32 v11, 16, v11
	s_waitcnt vmcnt(0)
	v_lshlrev_b32_e32 v13, 16, v13
	v_cndmask_b32_e32 v9, v6, v14, vcc
	v_ldexp_f32 v14, v15, v17
	v_mul_f32_e32 v15, 0x3fb8aa3b, v11
	v_fma_f32 v17, v11, s7, -v15
	v_rndne_f32_e32 v18, v15
	v_cmp_ngt_f32_e32 vcc, s6, v10
	v_fmac_f32_e32 v17, 0x32a5705f, v11
	v_sub_f32_e32 v15, v15, v18
	v_cndmask_b32_e32 v14, 0, v14, vcc
	v_cmp_nlt_f32_e32 vcc, s5, v10
	v_add_f32_e32 v15, v15, v17
	v_exp_f32_e32 v15, v15
	v_cndmask_b32_e32 v10, v2, v14, vcc
	v_cvt_i32_f32_e32 v17, v18
	v_bfe_u32 v14, v10, 16, 1
	v_add3_u32 v14, v10, v14, s4
	v_lshrrev_b32_e32 v14, 16, v14
	v_cmp_o_f32_e32 vcc, v10, v10
	s_nop 1
	v_cndmask_b32_e32 v10, v6, v14, vcc
	v_ldexp_f32 v14, v15, v17
	v_mul_f32_e32 v15, 0x3fb8aa3b, v13
	v_fma_f32 v17, v13, s7, -v15
	v_rndne_f32_e32 v18, v15
	v_cmp_ngt_f32_e32 vcc, s6, v11
	v_fmac_f32_e32 v17, 0x32a5705f, v13
	v_sub_f32_e32 v15, v15, v18
	v_cndmask_b32_e32 v14, 0, v14, vcc
	v_cmp_nlt_f32_e32 vcc, s5, v11
	v_add_f32_e32 v15, v15, v17
	v_exp_f32_e32 v15, v15
	v_cndmask_b32_e32 v11, v2, v14, vcc
	v_cvt_i32_f32_e32 v17, v18
	v_bfe_u32 v14, v11, 16, 1
	v_add3_u32 v14, v11, v14, s4
	v_lshrrev_b32_e32 v14, 16, v14
	v_cmp_o_f32_e32 vcc, v11, v11
	s_nop 1
	v_cndmask_b32_e32 v11, v6, v14, vcc
	v_ldexp_f32 v14, v15, v17
	v_cmp_ngt_f32_e32 vcc, s6, v13
	s_nop 1
	v_cndmask_b32_e32 v14, 0, v14, vcc
	v_cmp_nlt_f32_e32 vcc, s5, v13
	s_nop 1
	v_cndmask_b32_e32 v2, v2, v14, vcc
	v_bfe_u32 v13, v2, 16, 1
	v_add3_u32 v13, v2, v13, s4
	v_cmp_o_f32_e32 vcc, v2, v2
	s_nop 1
	v_cndmask_b32_sdwa v2, v6, v13, vcc dst_sel:DWORD dst_unused:UNUSED_PAD src0_sel:DWORD src1_sel:WORD_1
	global_store_short v0, v1, s[0:1]
	global_store_short v4, v3, s[0:1]
	;; [unrolled: 1-line block ×8, first 2 shown]
	s_endpgm
.LBB103_131:
	v_mov_b32_e32 v2, 0
	v_mov_b32_e32 v0, 0
	s_branch .LBB103_137
.LBB103_132:
	v_mov_b32_e32 v2, 0
	v_mov_b32_e32 v0, 0
	s_branch .LBB103_154
.LBB103_133:
	v_mov_b32_e32 v0, 0
	s_mov_b32 s57, 0
	v_mov_b32_e32 v1, v0
                                        ; implicit-def: $vgpr2
	v_mov_b32_e32 v4, v24
.LBB103_134:
	s_and_b32 s4, s58, 3
	s_cmp_eq_u32 s4, 0
	s_cbranch_scc1 .LBB103_137
; %bb.135:
	s_lshl_b32 s0, s57, 3
	s_add_u32 s0, s34, s0
	s_addc_u32 s1, s35, 0
	s_add_u32 s0, s0, 0xc4
	s_addc_u32 s1, s1, 0
	s_mul_i32 s2, s57, 12
	s_add_u32 s2, s34, s2
	s_addc_u32 s3, s35, 0
.LBB103_136:                            ; =>This Inner Loop Header: Depth=1
	s_load_dwordx2 s[6:7], s[2:3], 0x4
	s_load_dword s5, s[2:3], 0xc
	s_load_dwordx2 s[8:9], s[0:1], 0x0
	v_mov_b32_e32 v2, v1
	s_add_u32 s2, s2, 12
	s_waitcnt lgkmcnt(0)
	v_mul_hi_u32 v1, s7, v4
	v_add_u32_e32 v1, v4, v1
	v_lshrrev_b32_e32 v1, s5, v1
	s_addc_u32 s3, s3, 0
	v_mul_lo_u32 v3, v1, s6
	s_add_u32 s0, s0, 8
	v_sub_u32_e32 v5, v4, v3
	s_addc_u32 s1, s1, 0
	s_add_i32 s4, s4, -1
	v_mov_b32_e32 v4, v1
	v_mad_u64_u32 v[2:3], s[6:7], v5, s9, v[2:3]
	v_mad_u64_u32 v[0:1], s[6:7], v5, s8, v[0:1]
	s_cmp_lg_u32 s4, 0
	v_mov_b32_e32 v1, v2
	s_cbranch_scc1 .LBB103_136
.LBB103_137:
	s_cbranch_execnz .LBB103_140
.LBB103_138:
	s_waitcnt lgkmcnt(0)
	v_mul_hi_u32 v0, s25, v24
	v_add_u32_e32 v0, v24, v0
	v_lshrrev_b32_e32 v1, s26, v0
	v_mul_lo_u32 v0, v1, s24
	v_sub_u32_e32 v0, v24, v0
	v_mul_lo_u32 v2, v0, s21
	s_andn2_b64 vcc, exec, s[42:43]
	v_mul_lo_u32 v0, v0, s20
	s_cbranch_vccnz .LBB103_140
; %bb.139:
	v_mul_hi_u32 v3, s40, v1
	v_add_u32_e32 v3, v1, v3
	v_lshrrev_b32_e32 v3, s41, v3
	v_mul_lo_u32 v3, v3, s27
	v_sub_u32_e32 v3, v1, v3
	v_mad_u64_u32 v[0:1], s[0:1], v3, s22, v[0:1]
	v_mad_u64_u32 v[2:3], s[0:1], v3, s23, v[2:3]
.LBB103_140:
	s_waitcnt lgkmcnt(0)
	global_load_ushort v1, v2, s[18:19]
	s_mov_b32 s0, 0x3fb8aa3b
	s_mov_b32 s1, 0xc2ce8ed0
	;; [unrolled: 1-line block ×3, first 2 shown]
	v_mov_b32_e32 v5, 0x7fc0
	v_add_u32_e32 v24, 0x80, v24
	s_waitcnt vmcnt(0)
	v_lshlrev_b32_e32 v1, 16, v1
	v_mul_f32_e32 v2, 0x3fb8aa3b, v1
	v_fma_f32 v3, v1, s0, -v2
	v_rndne_f32_e32 v4, v2
	v_fmamk_f32 v3, v1, 0x32a5705f, v3
	v_sub_f32_e32 v2, v2, v4
	v_add_f32_e32 v2, v2, v3
	v_cvt_i32_f32_e32 v4, v4
	v_exp_f32_e32 v2, v2
	v_cmp_ngt_f32_e32 vcc, s1, v1
	v_mov_b32_e32 v3, 0x7f800000
	s_movk_i32 s0, 0x7fff
	v_ldexp_f32 v2, v2, v4
	v_cndmask_b32_e32 v2, 0, v2, vcc
	v_cmp_nlt_f32_e32 vcc, s2, v1
	s_nop 1
	v_cndmask_b32_e32 v1, v3, v2, vcc
	v_bfe_u32 v2, v1, 16, 1
	v_cmp_o_f32_e32 vcc, v1, v1
	v_add3_u32 v1, v1, v2, s0
	s_nop 0
	v_cndmask_b32_sdwa v1, v5, v1, vcc dst_sel:DWORD dst_unused:UNUSED_PAD src0_sel:DWORD src1_sel:WORD_1
	global_store_short v0, v1, s[16:17]
	s_or_b64 exec, exec, s[48:49]
	v_cmp_gt_i32_e32 vcc, s55, v24
	s_and_saveexec_b64 s[48:49], vcc
	s_cbranch_execnz .LBB103_16
.LBB103_141:
	s_or_b64 exec, exec, s[48:49]
	v_cmp_gt_i32_e32 vcc, s55, v24
	s_and_saveexec_b64 s[48:49], vcc
	s_cbranch_execz .LBB103_158
.LBB103_142:
	s_andn2_b64 vcc, exec, s[36:37]
	s_cbranch_vccnz .LBB103_148
; %bb.143:
	s_andn2_b64 vcc, exec, s[46:47]
	s_cbranch_vccnz .LBB103_149
; %bb.144:
	s_add_i32 s58, s56, 1
	s_cmp_eq_u32 s54, 2
	s_cbranch_scc1 .LBB103_167
; %bb.145:
	s_and_b32 s57, s58, 28
	s_mov_b32 s59, 0
	v_mov_b32_e32 v0, 0
	v_mov_b32_e32 v2, 0
	s_mov_b64 s[50:51], s[34:35]
	s_mov_b64 s[52:53], s[44:45]
	v_mov_b32_e32 v4, v24
.LBB103_146:                            ; =>This Inner Loop Header: Depth=1
	s_load_dwordx8 s[8:15], s[50:51], 0x4
	s_load_dwordx4 s[28:31], s[50:51], 0x24
	s_load_dwordx8 s[0:7], s[52:53], 0x0
	s_add_u32 s50, s50, 48
	s_addc_u32 s51, s51, 0
	s_waitcnt lgkmcnt(0)
	v_mul_hi_u32 v1, s9, v4
	v_add_u32_e32 v1, v4, v1
	v_lshrrev_b32_e32 v1, s10, v1
	v_mul_lo_u32 v3, v1, s8
	v_mul_hi_u32 v5, s12, v1
	v_sub_u32_e32 v3, v4, v3
	v_add_u32_e32 v4, v1, v5
	v_lshrrev_b32_e32 v4, s13, v4
	v_mul_lo_u32 v6, v4, s11
	v_mul_hi_u32 v7, s15, v4
	v_sub_u32_e32 v1, v1, v6
	v_add_u32_e32 v6, v4, v7
	v_mul_lo_u32 v5, v3, s1
	v_mul_lo_u32 v3, v3, s0
	;; [unrolled: 1-line block ×4, first 2 shown]
	v_lshrrev_b32_e32 v6, s28, v6
	v_add3_u32 v0, v3, v0, v1
	v_mul_hi_u32 v3, s30, v6
	v_add3_u32 v1, v5, v2, v7
	v_mul_lo_u32 v2, v6, s14
	v_add_u32_e32 v3, v6, v3
	v_sub_u32_e32 v2, v4, v2
	v_lshrrev_b32_e32 v4, s31, v3
	s_add_i32 s59, s59, 4
	v_mul_lo_u32 v3, v4, s29
	s_add_u32 s52, s52, 32
	v_sub_u32_e32 v3, v6, v3
	s_addc_u32 s53, s53, 0
	v_mul_lo_u32 v5, v2, s4
	v_mul_lo_u32 v2, v2, s5
	;; [unrolled: 1-line block ×4, first 2 shown]
	s_cmp_eq_u32 s57, s59
	v_add3_u32 v2, v2, v1, v3
	v_add3_u32 v0, v5, v0, v6
	s_cbranch_scc0 .LBB103_146
; %bb.147:
	v_mov_b32_e32 v1, v2
	s_branch .LBB103_168
.LBB103_148:
                                        ; implicit-def: $vgpr2
                                        ; implicit-def: $vgpr0
	s_branch .LBB103_172
.LBB103_149:
	v_mov_b32_e32 v2, 0
	v_mov_b32_e32 v0, 0
	s_branch .LBB103_171
.LBB103_150:
	v_mov_b32_e32 v0, 0
	s_mov_b32 s57, 0
	v_mov_b32_e32 v1, v0
                                        ; implicit-def: $vgpr2
	v_mov_b32_e32 v4, v24
.LBB103_151:
	s_and_b32 s4, s58, 3
	s_cmp_eq_u32 s4, 0
	s_cbranch_scc1 .LBB103_154
; %bb.152:
	s_lshl_b32 s0, s57, 3
	s_add_u32 s0, s34, s0
	s_addc_u32 s1, s35, 0
	s_add_u32 s0, s0, 0xc4
	s_addc_u32 s1, s1, 0
	s_mul_i32 s2, s57, 12
	s_add_u32 s2, s34, s2
	s_addc_u32 s3, s35, 0
.LBB103_153:                            ; =>This Inner Loop Header: Depth=1
	s_load_dwordx2 s[6:7], s[2:3], 0x4
	s_load_dword s5, s[2:3], 0xc
	s_load_dwordx2 s[8:9], s[0:1], 0x0
	v_mov_b32_e32 v2, v1
	s_add_u32 s2, s2, 12
	s_waitcnt lgkmcnt(0)
	v_mul_hi_u32 v1, s7, v4
	v_add_u32_e32 v1, v4, v1
	v_lshrrev_b32_e32 v1, s5, v1
	s_addc_u32 s3, s3, 0
	v_mul_lo_u32 v3, v1, s6
	s_add_u32 s0, s0, 8
	v_sub_u32_e32 v5, v4, v3
	s_addc_u32 s1, s1, 0
	s_add_i32 s4, s4, -1
	v_mov_b32_e32 v4, v1
	v_mad_u64_u32 v[2:3], s[6:7], v5, s9, v[2:3]
	v_mad_u64_u32 v[0:1], s[6:7], v5, s8, v[0:1]
	s_cmp_lg_u32 s4, 0
	v_mov_b32_e32 v1, v2
	s_cbranch_scc1 .LBB103_153
.LBB103_154:
	s_cbranch_execnz .LBB103_157
.LBB103_155:
	s_waitcnt lgkmcnt(0)
	v_mul_hi_u32 v0, s25, v24
	v_add_u32_e32 v0, v24, v0
	v_lshrrev_b32_e32 v1, s26, v0
	v_mul_lo_u32 v0, v1, s24
	v_sub_u32_e32 v0, v24, v0
	v_mul_lo_u32 v2, v0, s21
	s_andn2_b64 vcc, exec, s[42:43]
	v_mul_lo_u32 v0, v0, s20
	s_cbranch_vccnz .LBB103_157
; %bb.156:
	v_mul_hi_u32 v3, s40, v1
	v_add_u32_e32 v3, v1, v3
	v_lshrrev_b32_e32 v3, s41, v3
	v_mul_lo_u32 v3, v3, s27
	v_sub_u32_e32 v3, v1, v3
	v_mad_u64_u32 v[0:1], s[0:1], v3, s22, v[0:1]
	v_mad_u64_u32 v[2:3], s[0:1], v3, s23, v[2:3]
.LBB103_157:
	s_waitcnt lgkmcnt(0)
	global_load_ushort v1, v2, s[18:19]
	s_mov_b32 s0, 0x3fb8aa3b
	s_mov_b32 s1, 0xc2ce8ed0
	;; [unrolled: 1-line block ×3, first 2 shown]
	v_mov_b32_e32 v5, 0x7fc0
	v_add_u32_e32 v24, 0x80, v24
	s_waitcnt vmcnt(0)
	v_lshlrev_b32_e32 v1, 16, v1
	v_mul_f32_e32 v2, 0x3fb8aa3b, v1
	v_fma_f32 v3, v1, s0, -v2
	v_rndne_f32_e32 v4, v2
	v_fmamk_f32 v3, v1, 0x32a5705f, v3
	v_sub_f32_e32 v2, v2, v4
	v_add_f32_e32 v2, v2, v3
	v_cvt_i32_f32_e32 v4, v4
	v_exp_f32_e32 v2, v2
	v_cmp_ngt_f32_e32 vcc, s1, v1
	v_mov_b32_e32 v3, 0x7f800000
	s_movk_i32 s0, 0x7fff
	v_ldexp_f32 v2, v2, v4
	v_cndmask_b32_e32 v2, 0, v2, vcc
	v_cmp_nlt_f32_e32 vcc, s2, v1
	s_nop 1
	v_cndmask_b32_e32 v1, v3, v2, vcc
	v_bfe_u32 v2, v1, 16, 1
	v_cmp_o_f32_e32 vcc, v1, v1
	v_add3_u32 v1, v1, v2, s0
	s_nop 0
	v_cndmask_b32_sdwa v1, v5, v1, vcc dst_sel:DWORD dst_unused:UNUSED_PAD src0_sel:DWORD src1_sel:WORD_1
	global_store_short v0, v1, s[16:17]
	s_or_b64 exec, exec, s[48:49]
	v_cmp_gt_i32_e32 vcc, s55, v24
	s_and_saveexec_b64 s[48:49], vcc
	s_cbranch_execnz .LBB103_142
.LBB103_158:
	s_or_b64 exec, exec, s[48:49]
	v_cmp_gt_i32_e32 vcc, s55, v24
	s_and_saveexec_b64 s[48:49], vcc
	s_cbranch_execz .LBB103_175
.LBB103_159:
	s_andn2_b64 vcc, exec, s[36:37]
	s_cbranch_vccnz .LBB103_165
; %bb.160:
	s_andn2_b64 vcc, exec, s[46:47]
	s_cbranch_vccnz .LBB103_166
; %bb.161:
	s_add_i32 s58, s56, 1
	s_cmp_eq_u32 s54, 2
	s_cbranch_scc1 .LBB103_184
; %bb.162:
	s_and_b32 s57, s58, 28
	s_mov_b32 s59, 0
	v_mov_b32_e32 v0, 0
	v_mov_b32_e32 v2, 0
	s_mov_b64 s[50:51], s[34:35]
	s_mov_b64 s[52:53], s[44:45]
	v_mov_b32_e32 v4, v24
.LBB103_163:                            ; =>This Inner Loop Header: Depth=1
	s_load_dwordx8 s[8:15], s[50:51], 0x4
	s_load_dwordx4 s[28:31], s[50:51], 0x24
	s_load_dwordx8 s[0:7], s[52:53], 0x0
	s_add_u32 s50, s50, 48
	s_addc_u32 s51, s51, 0
	s_waitcnt lgkmcnt(0)
	v_mul_hi_u32 v1, s9, v4
	v_add_u32_e32 v1, v4, v1
	v_lshrrev_b32_e32 v1, s10, v1
	v_mul_lo_u32 v3, v1, s8
	v_mul_hi_u32 v5, s12, v1
	v_sub_u32_e32 v3, v4, v3
	v_add_u32_e32 v4, v1, v5
	v_lshrrev_b32_e32 v4, s13, v4
	v_mul_lo_u32 v6, v4, s11
	v_mul_hi_u32 v7, s15, v4
	v_sub_u32_e32 v1, v1, v6
	v_add_u32_e32 v6, v4, v7
	v_mul_lo_u32 v5, v3, s1
	v_mul_lo_u32 v3, v3, s0
	v_mul_lo_u32 v7, v1, s3
	v_mul_lo_u32 v1, v1, s2
	v_lshrrev_b32_e32 v6, s28, v6
	v_add3_u32 v0, v3, v0, v1
	v_mul_hi_u32 v3, s30, v6
	v_add3_u32 v1, v5, v2, v7
	v_mul_lo_u32 v2, v6, s14
	v_add_u32_e32 v3, v6, v3
	v_sub_u32_e32 v2, v4, v2
	v_lshrrev_b32_e32 v4, s31, v3
	s_add_i32 s59, s59, 4
	v_mul_lo_u32 v3, v4, s29
	s_add_u32 s52, s52, 32
	v_sub_u32_e32 v3, v6, v3
	s_addc_u32 s53, s53, 0
	v_mul_lo_u32 v5, v2, s4
	v_mul_lo_u32 v2, v2, s5
	;; [unrolled: 1-line block ×4, first 2 shown]
	s_cmp_eq_u32 s57, s59
	v_add3_u32 v2, v2, v1, v3
	v_add3_u32 v0, v5, v0, v6
	s_cbranch_scc0 .LBB103_163
; %bb.164:
	v_mov_b32_e32 v1, v2
	s_branch .LBB103_185
.LBB103_165:
                                        ; implicit-def: $vgpr2
                                        ; implicit-def: $vgpr0
	s_branch .LBB103_189
.LBB103_166:
	v_mov_b32_e32 v2, 0
	v_mov_b32_e32 v0, 0
	s_branch .LBB103_188
.LBB103_167:
	v_mov_b32_e32 v0, 0
	s_mov_b32 s57, 0
	v_mov_b32_e32 v1, v0
                                        ; implicit-def: $vgpr2
	v_mov_b32_e32 v4, v24
.LBB103_168:
	s_and_b32 s4, s58, 3
	s_cmp_eq_u32 s4, 0
	s_cbranch_scc1 .LBB103_171
; %bb.169:
	s_lshl_b32 s0, s57, 3
	s_add_u32 s0, s34, s0
	s_addc_u32 s1, s35, 0
	s_add_u32 s0, s0, 0xc4
	s_addc_u32 s1, s1, 0
	s_mul_i32 s2, s57, 12
	s_add_u32 s2, s34, s2
	s_addc_u32 s3, s35, 0
.LBB103_170:                            ; =>This Inner Loop Header: Depth=1
	s_load_dwordx2 s[6:7], s[2:3], 0x4
	s_load_dword s5, s[2:3], 0xc
	s_load_dwordx2 s[8:9], s[0:1], 0x0
	v_mov_b32_e32 v2, v1
	s_add_u32 s2, s2, 12
	s_waitcnt lgkmcnt(0)
	v_mul_hi_u32 v1, s7, v4
	v_add_u32_e32 v1, v4, v1
	v_lshrrev_b32_e32 v1, s5, v1
	s_addc_u32 s3, s3, 0
	v_mul_lo_u32 v3, v1, s6
	s_add_u32 s0, s0, 8
	v_sub_u32_e32 v5, v4, v3
	s_addc_u32 s1, s1, 0
	s_add_i32 s4, s4, -1
	v_mov_b32_e32 v4, v1
	v_mad_u64_u32 v[2:3], s[6:7], v5, s9, v[2:3]
	v_mad_u64_u32 v[0:1], s[6:7], v5, s8, v[0:1]
	s_cmp_lg_u32 s4, 0
	v_mov_b32_e32 v1, v2
	s_cbranch_scc1 .LBB103_170
.LBB103_171:
	s_cbranch_execnz .LBB103_174
.LBB103_172:
	s_waitcnt lgkmcnt(0)
	v_mul_hi_u32 v0, s25, v24
	v_add_u32_e32 v0, v24, v0
	v_lshrrev_b32_e32 v1, s26, v0
	v_mul_lo_u32 v0, v1, s24
	v_sub_u32_e32 v0, v24, v0
	v_mul_lo_u32 v2, v0, s21
	s_andn2_b64 vcc, exec, s[42:43]
	v_mul_lo_u32 v0, v0, s20
	s_cbranch_vccnz .LBB103_174
; %bb.173:
	v_mul_hi_u32 v3, s40, v1
	v_add_u32_e32 v3, v1, v3
	v_lshrrev_b32_e32 v3, s41, v3
	v_mul_lo_u32 v3, v3, s27
	v_sub_u32_e32 v3, v1, v3
	v_mad_u64_u32 v[0:1], s[0:1], v3, s22, v[0:1]
	v_mad_u64_u32 v[2:3], s[0:1], v3, s23, v[2:3]
.LBB103_174:
	s_waitcnt lgkmcnt(0)
	global_load_ushort v1, v2, s[18:19]
	s_mov_b32 s0, 0x3fb8aa3b
	s_mov_b32 s1, 0xc2ce8ed0
	;; [unrolled: 1-line block ×3, first 2 shown]
	v_mov_b32_e32 v5, 0x7fc0
	v_add_u32_e32 v24, 0x80, v24
	s_waitcnt vmcnt(0)
	v_lshlrev_b32_e32 v1, 16, v1
	v_mul_f32_e32 v2, 0x3fb8aa3b, v1
	v_fma_f32 v3, v1, s0, -v2
	v_rndne_f32_e32 v4, v2
	v_fmamk_f32 v3, v1, 0x32a5705f, v3
	v_sub_f32_e32 v2, v2, v4
	v_add_f32_e32 v2, v2, v3
	v_cvt_i32_f32_e32 v4, v4
	v_exp_f32_e32 v2, v2
	v_cmp_ngt_f32_e32 vcc, s1, v1
	v_mov_b32_e32 v3, 0x7f800000
	s_movk_i32 s0, 0x7fff
	v_ldexp_f32 v2, v2, v4
	v_cndmask_b32_e32 v2, 0, v2, vcc
	v_cmp_nlt_f32_e32 vcc, s2, v1
	s_nop 1
	v_cndmask_b32_e32 v1, v3, v2, vcc
	v_bfe_u32 v2, v1, 16, 1
	v_cmp_o_f32_e32 vcc, v1, v1
	v_add3_u32 v1, v1, v2, s0
	s_nop 0
	v_cndmask_b32_sdwa v1, v5, v1, vcc dst_sel:DWORD dst_unused:UNUSED_PAD src0_sel:DWORD src1_sel:WORD_1
	global_store_short v0, v1, s[16:17]
	s_or_b64 exec, exec, s[48:49]
	v_cmp_gt_i32_e32 vcc, s55, v24
	s_and_saveexec_b64 s[48:49], vcc
	s_cbranch_execnz .LBB103_159
.LBB103_175:
	s_or_b64 exec, exec, s[48:49]
	v_cmp_gt_i32_e32 vcc, s55, v24
	s_and_saveexec_b64 s[48:49], vcc
	s_cbranch_execz .LBB103_192
.LBB103_176:
	s_andn2_b64 vcc, exec, s[36:37]
	s_cbranch_vccnz .LBB103_182
; %bb.177:
	s_andn2_b64 vcc, exec, s[46:47]
	s_cbranch_vccnz .LBB103_183
; %bb.178:
	s_add_i32 s58, s56, 1
	s_cmp_eq_u32 s54, 2
	s_cbranch_scc1 .LBB103_201
; %bb.179:
	s_and_b32 s57, s58, 28
	s_mov_b32 s59, 0
	v_mov_b32_e32 v0, 0
	v_mov_b32_e32 v2, 0
	s_mov_b64 s[50:51], s[34:35]
	s_mov_b64 s[52:53], s[44:45]
	v_mov_b32_e32 v4, v24
.LBB103_180:                            ; =>This Inner Loop Header: Depth=1
	s_load_dwordx8 s[8:15], s[50:51], 0x4
	s_load_dwordx4 s[28:31], s[50:51], 0x24
	s_load_dwordx8 s[0:7], s[52:53], 0x0
	s_add_u32 s50, s50, 48
	s_addc_u32 s51, s51, 0
	s_waitcnt lgkmcnt(0)
	v_mul_hi_u32 v1, s9, v4
	v_add_u32_e32 v1, v4, v1
	v_lshrrev_b32_e32 v1, s10, v1
	v_mul_lo_u32 v3, v1, s8
	v_mul_hi_u32 v5, s12, v1
	v_sub_u32_e32 v3, v4, v3
	v_add_u32_e32 v4, v1, v5
	v_lshrrev_b32_e32 v4, s13, v4
	v_mul_lo_u32 v6, v4, s11
	v_mul_hi_u32 v7, s15, v4
	v_sub_u32_e32 v1, v1, v6
	v_add_u32_e32 v6, v4, v7
	v_mul_lo_u32 v5, v3, s1
	v_mul_lo_u32 v3, v3, s0
	v_mul_lo_u32 v7, v1, s3
	v_mul_lo_u32 v1, v1, s2
	v_lshrrev_b32_e32 v6, s28, v6
	v_add3_u32 v0, v3, v0, v1
	v_mul_hi_u32 v3, s30, v6
	v_add3_u32 v1, v5, v2, v7
	v_mul_lo_u32 v2, v6, s14
	v_add_u32_e32 v3, v6, v3
	v_sub_u32_e32 v2, v4, v2
	v_lshrrev_b32_e32 v4, s31, v3
	s_add_i32 s59, s59, 4
	v_mul_lo_u32 v3, v4, s29
	s_add_u32 s52, s52, 32
	v_sub_u32_e32 v3, v6, v3
	s_addc_u32 s53, s53, 0
	v_mul_lo_u32 v5, v2, s4
	v_mul_lo_u32 v2, v2, s5
	;; [unrolled: 1-line block ×4, first 2 shown]
	s_cmp_eq_u32 s57, s59
	v_add3_u32 v2, v2, v1, v3
	v_add3_u32 v0, v5, v0, v6
	s_cbranch_scc0 .LBB103_180
; %bb.181:
	v_mov_b32_e32 v1, v2
	s_branch .LBB103_202
.LBB103_182:
                                        ; implicit-def: $vgpr2
                                        ; implicit-def: $vgpr0
	s_branch .LBB103_206
.LBB103_183:
	v_mov_b32_e32 v2, 0
	v_mov_b32_e32 v0, 0
	s_branch .LBB103_205
.LBB103_184:
	v_mov_b32_e32 v0, 0
	s_mov_b32 s57, 0
	v_mov_b32_e32 v1, v0
                                        ; implicit-def: $vgpr2
	v_mov_b32_e32 v4, v24
.LBB103_185:
	s_and_b32 s4, s58, 3
	s_cmp_eq_u32 s4, 0
	s_cbranch_scc1 .LBB103_188
; %bb.186:
	s_lshl_b32 s0, s57, 3
	s_add_u32 s0, s34, s0
	s_addc_u32 s1, s35, 0
	s_add_u32 s0, s0, 0xc4
	s_addc_u32 s1, s1, 0
	s_mul_i32 s2, s57, 12
	s_add_u32 s2, s34, s2
	s_addc_u32 s3, s35, 0
.LBB103_187:                            ; =>This Inner Loop Header: Depth=1
	s_load_dwordx2 s[6:7], s[2:3], 0x4
	s_load_dword s5, s[2:3], 0xc
	s_load_dwordx2 s[8:9], s[0:1], 0x0
	v_mov_b32_e32 v2, v1
	s_add_u32 s2, s2, 12
	s_waitcnt lgkmcnt(0)
	v_mul_hi_u32 v1, s7, v4
	v_add_u32_e32 v1, v4, v1
	v_lshrrev_b32_e32 v1, s5, v1
	s_addc_u32 s3, s3, 0
	v_mul_lo_u32 v3, v1, s6
	s_add_u32 s0, s0, 8
	v_sub_u32_e32 v5, v4, v3
	s_addc_u32 s1, s1, 0
	s_add_i32 s4, s4, -1
	v_mov_b32_e32 v4, v1
	v_mad_u64_u32 v[2:3], s[6:7], v5, s9, v[2:3]
	v_mad_u64_u32 v[0:1], s[6:7], v5, s8, v[0:1]
	s_cmp_lg_u32 s4, 0
	v_mov_b32_e32 v1, v2
	s_cbranch_scc1 .LBB103_187
.LBB103_188:
	s_cbranch_execnz .LBB103_191
.LBB103_189:
	s_waitcnt lgkmcnt(0)
	v_mul_hi_u32 v0, s25, v24
	v_add_u32_e32 v0, v24, v0
	v_lshrrev_b32_e32 v1, s26, v0
	v_mul_lo_u32 v0, v1, s24
	v_sub_u32_e32 v0, v24, v0
	v_mul_lo_u32 v2, v0, s21
	s_andn2_b64 vcc, exec, s[42:43]
	v_mul_lo_u32 v0, v0, s20
	s_cbranch_vccnz .LBB103_191
; %bb.190:
	v_mul_hi_u32 v3, s40, v1
	v_add_u32_e32 v3, v1, v3
	v_lshrrev_b32_e32 v3, s41, v3
	v_mul_lo_u32 v3, v3, s27
	v_sub_u32_e32 v3, v1, v3
	v_mad_u64_u32 v[0:1], s[0:1], v3, s22, v[0:1]
	v_mad_u64_u32 v[2:3], s[0:1], v3, s23, v[2:3]
.LBB103_191:
	s_waitcnt lgkmcnt(0)
	global_load_ushort v1, v2, s[18:19]
	s_mov_b32 s0, 0x3fb8aa3b
	s_mov_b32 s1, 0xc2ce8ed0
	;; [unrolled: 1-line block ×3, first 2 shown]
	v_mov_b32_e32 v5, 0x7fc0
	v_add_u32_e32 v24, 0x80, v24
	s_waitcnt vmcnt(0)
	v_lshlrev_b32_e32 v1, 16, v1
	v_mul_f32_e32 v2, 0x3fb8aa3b, v1
	v_fma_f32 v3, v1, s0, -v2
	v_rndne_f32_e32 v4, v2
	v_fmamk_f32 v3, v1, 0x32a5705f, v3
	v_sub_f32_e32 v2, v2, v4
	v_add_f32_e32 v2, v2, v3
	v_cvt_i32_f32_e32 v4, v4
	v_exp_f32_e32 v2, v2
	v_cmp_ngt_f32_e32 vcc, s1, v1
	v_mov_b32_e32 v3, 0x7f800000
	s_movk_i32 s0, 0x7fff
	v_ldexp_f32 v2, v2, v4
	v_cndmask_b32_e32 v2, 0, v2, vcc
	v_cmp_nlt_f32_e32 vcc, s2, v1
	s_nop 1
	v_cndmask_b32_e32 v1, v3, v2, vcc
	v_bfe_u32 v2, v1, 16, 1
	v_cmp_o_f32_e32 vcc, v1, v1
	v_add3_u32 v1, v1, v2, s0
	s_nop 0
	v_cndmask_b32_sdwa v1, v5, v1, vcc dst_sel:DWORD dst_unused:UNUSED_PAD src0_sel:DWORD src1_sel:WORD_1
	global_store_short v0, v1, s[16:17]
	s_or_b64 exec, exec, s[48:49]
	v_cmp_gt_i32_e32 vcc, s55, v24
	s_and_saveexec_b64 s[48:49], vcc
	s_cbranch_execnz .LBB103_176
.LBB103_192:
	s_or_b64 exec, exec, s[48:49]
	v_cmp_gt_i32_e32 vcc, s55, v24
	s_and_saveexec_b64 s[48:49], vcc
	s_cbranch_execz .LBB103_209
.LBB103_193:
	s_andn2_b64 vcc, exec, s[36:37]
	s_cbranch_vccnz .LBB103_199
; %bb.194:
	s_andn2_b64 vcc, exec, s[46:47]
	s_cbranch_vccnz .LBB103_200
; %bb.195:
	s_add_i32 s58, s56, 1
	s_cmp_eq_u32 s54, 2
	s_cbranch_scc1 .LBB103_218
; %bb.196:
	s_and_b32 s57, s58, 28
	s_mov_b32 s59, 0
	v_mov_b32_e32 v0, 0
	v_mov_b32_e32 v2, 0
	s_mov_b64 s[50:51], s[34:35]
	s_mov_b64 s[52:53], s[44:45]
	v_mov_b32_e32 v4, v24
.LBB103_197:                            ; =>This Inner Loop Header: Depth=1
	s_load_dwordx8 s[8:15], s[50:51], 0x4
	s_load_dwordx4 s[28:31], s[50:51], 0x24
	s_load_dwordx8 s[0:7], s[52:53], 0x0
	s_add_u32 s50, s50, 48
	s_addc_u32 s51, s51, 0
	s_waitcnt lgkmcnt(0)
	v_mul_hi_u32 v1, s9, v4
	v_add_u32_e32 v1, v4, v1
	v_lshrrev_b32_e32 v1, s10, v1
	v_mul_lo_u32 v3, v1, s8
	v_mul_hi_u32 v5, s12, v1
	v_sub_u32_e32 v3, v4, v3
	v_add_u32_e32 v4, v1, v5
	v_lshrrev_b32_e32 v4, s13, v4
	v_mul_lo_u32 v6, v4, s11
	v_mul_hi_u32 v7, s15, v4
	v_sub_u32_e32 v1, v1, v6
	v_add_u32_e32 v6, v4, v7
	v_mul_lo_u32 v5, v3, s1
	v_mul_lo_u32 v3, v3, s0
	;; [unrolled: 1-line block ×4, first 2 shown]
	v_lshrrev_b32_e32 v6, s28, v6
	v_add3_u32 v0, v3, v0, v1
	v_mul_hi_u32 v3, s30, v6
	v_add3_u32 v1, v5, v2, v7
	v_mul_lo_u32 v2, v6, s14
	v_add_u32_e32 v3, v6, v3
	v_sub_u32_e32 v2, v4, v2
	v_lshrrev_b32_e32 v4, s31, v3
	s_add_i32 s59, s59, 4
	v_mul_lo_u32 v3, v4, s29
	s_add_u32 s52, s52, 32
	v_sub_u32_e32 v3, v6, v3
	s_addc_u32 s53, s53, 0
	v_mul_lo_u32 v5, v2, s4
	v_mul_lo_u32 v2, v2, s5
	;; [unrolled: 1-line block ×4, first 2 shown]
	s_cmp_eq_u32 s57, s59
	v_add3_u32 v2, v2, v1, v3
	v_add3_u32 v0, v5, v0, v6
	s_cbranch_scc0 .LBB103_197
; %bb.198:
	v_mov_b32_e32 v1, v2
	s_branch .LBB103_219
.LBB103_199:
                                        ; implicit-def: $vgpr2
                                        ; implicit-def: $vgpr0
	s_branch .LBB103_223
.LBB103_200:
	v_mov_b32_e32 v2, 0
	v_mov_b32_e32 v0, 0
	s_branch .LBB103_222
.LBB103_201:
	v_mov_b32_e32 v0, 0
	s_mov_b32 s57, 0
	v_mov_b32_e32 v1, v0
                                        ; implicit-def: $vgpr2
	v_mov_b32_e32 v4, v24
.LBB103_202:
	s_and_b32 s4, s58, 3
	s_cmp_eq_u32 s4, 0
	s_cbranch_scc1 .LBB103_205
; %bb.203:
	s_lshl_b32 s0, s57, 3
	s_add_u32 s0, s34, s0
	s_addc_u32 s1, s35, 0
	s_add_u32 s0, s0, 0xc4
	s_addc_u32 s1, s1, 0
	s_mul_i32 s2, s57, 12
	s_add_u32 s2, s34, s2
	s_addc_u32 s3, s35, 0
.LBB103_204:                            ; =>This Inner Loop Header: Depth=1
	s_load_dwordx2 s[6:7], s[2:3], 0x4
	s_load_dword s5, s[2:3], 0xc
	s_load_dwordx2 s[8:9], s[0:1], 0x0
	v_mov_b32_e32 v2, v1
	s_add_u32 s2, s2, 12
	s_waitcnt lgkmcnt(0)
	v_mul_hi_u32 v1, s7, v4
	v_add_u32_e32 v1, v4, v1
	v_lshrrev_b32_e32 v1, s5, v1
	s_addc_u32 s3, s3, 0
	v_mul_lo_u32 v3, v1, s6
	s_add_u32 s0, s0, 8
	v_sub_u32_e32 v5, v4, v3
	s_addc_u32 s1, s1, 0
	s_add_i32 s4, s4, -1
	v_mov_b32_e32 v4, v1
	v_mad_u64_u32 v[2:3], s[6:7], v5, s9, v[2:3]
	v_mad_u64_u32 v[0:1], s[6:7], v5, s8, v[0:1]
	s_cmp_lg_u32 s4, 0
	v_mov_b32_e32 v1, v2
	s_cbranch_scc1 .LBB103_204
.LBB103_205:
	s_cbranch_execnz .LBB103_208
.LBB103_206:
	s_waitcnt lgkmcnt(0)
	v_mul_hi_u32 v0, s25, v24
	v_add_u32_e32 v0, v24, v0
	v_lshrrev_b32_e32 v1, s26, v0
	v_mul_lo_u32 v0, v1, s24
	v_sub_u32_e32 v0, v24, v0
	v_mul_lo_u32 v2, v0, s21
	s_andn2_b64 vcc, exec, s[42:43]
	v_mul_lo_u32 v0, v0, s20
	s_cbranch_vccnz .LBB103_208
; %bb.207:
	v_mul_hi_u32 v3, s40, v1
	v_add_u32_e32 v3, v1, v3
	v_lshrrev_b32_e32 v3, s41, v3
	v_mul_lo_u32 v3, v3, s27
	v_sub_u32_e32 v3, v1, v3
	v_mad_u64_u32 v[0:1], s[0:1], v3, s22, v[0:1]
	v_mad_u64_u32 v[2:3], s[0:1], v3, s23, v[2:3]
.LBB103_208:
	s_waitcnt lgkmcnt(0)
	global_load_ushort v1, v2, s[18:19]
	s_mov_b32 s0, 0x3fb8aa3b
	s_mov_b32 s1, 0xc2ce8ed0
	;; [unrolled: 1-line block ×3, first 2 shown]
	v_mov_b32_e32 v5, 0x7fc0
	v_add_u32_e32 v24, 0x80, v24
	s_waitcnt vmcnt(0)
	v_lshlrev_b32_e32 v1, 16, v1
	v_mul_f32_e32 v2, 0x3fb8aa3b, v1
	v_fma_f32 v3, v1, s0, -v2
	v_rndne_f32_e32 v4, v2
	v_fmamk_f32 v3, v1, 0x32a5705f, v3
	v_sub_f32_e32 v2, v2, v4
	v_add_f32_e32 v2, v2, v3
	v_cvt_i32_f32_e32 v4, v4
	v_exp_f32_e32 v2, v2
	v_cmp_ngt_f32_e32 vcc, s1, v1
	v_mov_b32_e32 v3, 0x7f800000
	s_movk_i32 s0, 0x7fff
	v_ldexp_f32 v2, v2, v4
	v_cndmask_b32_e32 v2, 0, v2, vcc
	v_cmp_nlt_f32_e32 vcc, s2, v1
	s_nop 1
	v_cndmask_b32_e32 v1, v3, v2, vcc
	v_bfe_u32 v2, v1, 16, 1
	v_cmp_o_f32_e32 vcc, v1, v1
	v_add3_u32 v1, v1, v2, s0
	s_nop 0
	v_cndmask_b32_sdwa v1, v5, v1, vcc dst_sel:DWORD dst_unused:UNUSED_PAD src0_sel:DWORD src1_sel:WORD_1
	global_store_short v0, v1, s[16:17]
	s_or_b64 exec, exec, s[48:49]
	v_cmp_gt_i32_e32 vcc, s55, v24
	s_and_saveexec_b64 s[48:49], vcc
	s_cbranch_execnz .LBB103_193
.LBB103_209:
	s_or_b64 exec, exec, s[48:49]
	v_cmp_gt_i32_e32 vcc, s55, v24
	s_and_saveexec_b64 s[48:49], vcc
	s_cbranch_execz .LBB103_226
.LBB103_210:
	s_andn2_b64 vcc, exec, s[36:37]
	s_cbranch_vccnz .LBB103_216
; %bb.211:
	s_andn2_b64 vcc, exec, s[46:47]
	s_cbranch_vccnz .LBB103_217
; %bb.212:
	s_add_i32 s58, s56, 1
	s_cmp_eq_u32 s54, 2
	s_cbranch_scc1 .LBB103_229
; %bb.213:
	s_and_b32 s57, s58, 28
	s_mov_b32 s59, 0
	v_mov_b32_e32 v0, 0
	v_mov_b32_e32 v2, 0
	s_mov_b64 s[50:51], s[34:35]
	s_mov_b64 s[52:53], s[44:45]
	v_mov_b32_e32 v4, v24
.LBB103_214:                            ; =>This Inner Loop Header: Depth=1
	s_load_dwordx8 s[8:15], s[50:51], 0x4
	s_load_dwordx4 s[28:31], s[50:51], 0x24
	s_load_dwordx8 s[0:7], s[52:53], 0x0
	s_add_u32 s50, s50, 48
	s_addc_u32 s51, s51, 0
	s_waitcnt lgkmcnt(0)
	v_mul_hi_u32 v1, s9, v4
	v_add_u32_e32 v1, v4, v1
	v_lshrrev_b32_e32 v1, s10, v1
	v_mul_lo_u32 v3, v1, s8
	v_mul_hi_u32 v5, s12, v1
	v_sub_u32_e32 v3, v4, v3
	v_add_u32_e32 v4, v1, v5
	v_lshrrev_b32_e32 v4, s13, v4
	v_mul_lo_u32 v6, v4, s11
	v_mul_hi_u32 v7, s15, v4
	v_sub_u32_e32 v1, v1, v6
	v_add_u32_e32 v6, v4, v7
	v_mul_lo_u32 v5, v3, s1
	v_mul_lo_u32 v3, v3, s0
	;; [unrolled: 1-line block ×4, first 2 shown]
	v_lshrrev_b32_e32 v6, s28, v6
	v_add3_u32 v0, v3, v0, v1
	v_mul_hi_u32 v3, s30, v6
	v_add3_u32 v1, v5, v2, v7
	v_mul_lo_u32 v2, v6, s14
	v_add_u32_e32 v3, v6, v3
	v_sub_u32_e32 v2, v4, v2
	v_lshrrev_b32_e32 v4, s31, v3
	s_add_i32 s59, s59, 4
	v_mul_lo_u32 v3, v4, s29
	s_add_u32 s52, s52, 32
	v_sub_u32_e32 v3, v6, v3
	s_addc_u32 s53, s53, 0
	v_mul_lo_u32 v5, v2, s4
	v_mul_lo_u32 v2, v2, s5
	;; [unrolled: 1-line block ×4, first 2 shown]
	s_cmp_eq_u32 s57, s59
	v_add3_u32 v2, v2, v1, v3
	v_add3_u32 v0, v5, v0, v6
	s_cbranch_scc0 .LBB103_214
; %bb.215:
	v_mov_b32_e32 v1, v2
	s_branch .LBB103_230
.LBB103_216:
                                        ; implicit-def: $vgpr2
                                        ; implicit-def: $vgpr0
	s_branch .LBB103_234
.LBB103_217:
	v_mov_b32_e32 v2, 0
	v_mov_b32_e32 v0, 0
	s_branch .LBB103_233
.LBB103_218:
	v_mov_b32_e32 v0, 0
	s_mov_b32 s57, 0
	v_mov_b32_e32 v1, v0
                                        ; implicit-def: $vgpr2
	v_mov_b32_e32 v4, v24
.LBB103_219:
	s_and_b32 s4, s58, 3
	s_cmp_eq_u32 s4, 0
	s_cbranch_scc1 .LBB103_222
; %bb.220:
	s_lshl_b32 s0, s57, 3
	s_add_u32 s0, s34, s0
	s_addc_u32 s1, s35, 0
	s_add_u32 s0, s0, 0xc4
	s_addc_u32 s1, s1, 0
	s_mul_i32 s2, s57, 12
	s_add_u32 s2, s34, s2
	s_addc_u32 s3, s35, 0
.LBB103_221:                            ; =>This Inner Loop Header: Depth=1
	s_load_dwordx2 s[6:7], s[2:3], 0x4
	s_load_dword s5, s[2:3], 0xc
	s_load_dwordx2 s[8:9], s[0:1], 0x0
	v_mov_b32_e32 v2, v1
	s_add_u32 s2, s2, 12
	s_waitcnt lgkmcnt(0)
	v_mul_hi_u32 v1, s7, v4
	v_add_u32_e32 v1, v4, v1
	v_lshrrev_b32_e32 v1, s5, v1
	s_addc_u32 s3, s3, 0
	v_mul_lo_u32 v3, v1, s6
	s_add_u32 s0, s0, 8
	v_sub_u32_e32 v5, v4, v3
	s_addc_u32 s1, s1, 0
	s_add_i32 s4, s4, -1
	v_mov_b32_e32 v4, v1
	v_mad_u64_u32 v[2:3], s[6:7], v5, s9, v[2:3]
	v_mad_u64_u32 v[0:1], s[6:7], v5, s8, v[0:1]
	s_cmp_lg_u32 s4, 0
	v_mov_b32_e32 v1, v2
	s_cbranch_scc1 .LBB103_221
.LBB103_222:
	s_cbranch_execnz .LBB103_225
.LBB103_223:
	s_waitcnt lgkmcnt(0)
	v_mul_hi_u32 v0, s25, v24
	v_add_u32_e32 v0, v24, v0
	v_lshrrev_b32_e32 v1, s26, v0
	v_mul_lo_u32 v0, v1, s24
	v_sub_u32_e32 v0, v24, v0
	v_mul_lo_u32 v2, v0, s21
	s_andn2_b64 vcc, exec, s[42:43]
	v_mul_lo_u32 v0, v0, s20
	s_cbranch_vccnz .LBB103_225
; %bb.224:
	v_mul_hi_u32 v3, s40, v1
	v_add_u32_e32 v3, v1, v3
	v_lshrrev_b32_e32 v3, s41, v3
	v_mul_lo_u32 v3, v3, s27
	v_sub_u32_e32 v3, v1, v3
	v_mad_u64_u32 v[0:1], s[0:1], v3, s22, v[0:1]
	v_mad_u64_u32 v[2:3], s[0:1], v3, s23, v[2:3]
.LBB103_225:
	s_waitcnt lgkmcnt(0)
	global_load_ushort v1, v2, s[18:19]
	s_mov_b32 s0, 0x3fb8aa3b
	s_mov_b32 s1, 0xc2ce8ed0
	s_mov_b32 s2, 0x42b17218
	v_mov_b32_e32 v5, 0x7fc0
	v_add_u32_e32 v24, 0x80, v24
	s_waitcnt vmcnt(0)
	v_lshlrev_b32_e32 v1, 16, v1
	v_mul_f32_e32 v2, 0x3fb8aa3b, v1
	v_fma_f32 v3, v1, s0, -v2
	v_rndne_f32_e32 v4, v2
	v_fmamk_f32 v3, v1, 0x32a5705f, v3
	v_sub_f32_e32 v2, v2, v4
	v_add_f32_e32 v2, v2, v3
	v_cvt_i32_f32_e32 v4, v4
	v_exp_f32_e32 v2, v2
	v_cmp_ngt_f32_e32 vcc, s1, v1
	v_mov_b32_e32 v3, 0x7f800000
	s_movk_i32 s0, 0x7fff
	v_ldexp_f32 v2, v2, v4
	v_cndmask_b32_e32 v2, 0, v2, vcc
	v_cmp_nlt_f32_e32 vcc, s2, v1
	s_nop 1
	v_cndmask_b32_e32 v1, v3, v2, vcc
	v_bfe_u32 v2, v1, 16, 1
	v_cmp_o_f32_e32 vcc, v1, v1
	v_add3_u32 v1, v1, v2, s0
	s_nop 0
	v_cndmask_b32_sdwa v1, v5, v1, vcc dst_sel:DWORD dst_unused:UNUSED_PAD src0_sel:DWORD src1_sel:WORD_1
	global_store_short v0, v1, s[16:17]
	s_or_b64 exec, exec, s[48:49]
	v_cmp_gt_i32_e32 vcc, s55, v24
	s_and_saveexec_b64 s[48:49], vcc
	s_cbranch_execnz .LBB103_210
.LBB103_226:
	s_or_b64 exec, exec, s[48:49]
	v_cmp_gt_i32_e32 vcc, s55, v24
	s_and_saveexec_b64 s[48:49], vcc
	s_cbranch_execnz .LBB103_237
.LBB103_227:
	s_or_b64 exec, exec, s[48:49]
                                        ; implicit-def: $vgpr32
                                        ; implicit-def: $vgpr24
	s_andn2_saveexec_b64 s[0:1], s[38:39]
	s_cbranch_execnz .LBB103_9
.LBB103_228:
	s_endpgm
.LBB103_229:
	v_mov_b32_e32 v0, 0
	s_mov_b32 s57, 0
	v_mov_b32_e32 v1, v0
                                        ; implicit-def: $vgpr2
	v_mov_b32_e32 v4, v24
.LBB103_230:
	s_and_b32 s4, s58, 3
	s_cmp_eq_u32 s4, 0
	s_cbranch_scc1 .LBB103_233
; %bb.231:
	s_lshl_b32 s0, s57, 3
	s_add_u32 s0, s34, s0
	s_addc_u32 s1, s35, 0
	s_add_u32 s0, s0, 0xc4
	s_addc_u32 s1, s1, 0
	s_mul_i32 s2, s57, 12
	s_add_u32 s2, s34, s2
	s_addc_u32 s3, s35, 0
.LBB103_232:                            ; =>This Inner Loop Header: Depth=1
	s_load_dwordx2 s[6:7], s[2:3], 0x4
	s_load_dword s5, s[2:3], 0xc
	s_load_dwordx2 s[8:9], s[0:1], 0x0
	v_mov_b32_e32 v2, v1
	s_add_u32 s2, s2, 12
	s_waitcnt lgkmcnt(0)
	v_mul_hi_u32 v1, s7, v4
	v_add_u32_e32 v1, v4, v1
	v_lshrrev_b32_e32 v1, s5, v1
	s_addc_u32 s3, s3, 0
	v_mul_lo_u32 v3, v1, s6
	s_add_u32 s0, s0, 8
	v_sub_u32_e32 v5, v4, v3
	s_addc_u32 s1, s1, 0
	s_add_i32 s4, s4, -1
	v_mov_b32_e32 v4, v1
	v_mad_u64_u32 v[2:3], s[6:7], v5, s9, v[2:3]
	v_mad_u64_u32 v[0:1], s[6:7], v5, s8, v[0:1]
	s_cmp_lg_u32 s4, 0
	v_mov_b32_e32 v1, v2
	s_cbranch_scc1 .LBB103_232
.LBB103_233:
	s_cbranch_execnz .LBB103_236
.LBB103_234:
	s_waitcnt lgkmcnt(0)
	v_mul_hi_u32 v0, s25, v24
	v_add_u32_e32 v0, v24, v0
	v_lshrrev_b32_e32 v1, s26, v0
	v_mul_lo_u32 v0, v1, s24
	v_sub_u32_e32 v0, v24, v0
	v_mul_lo_u32 v2, v0, s21
	s_andn2_b64 vcc, exec, s[42:43]
	v_mul_lo_u32 v0, v0, s20
	s_cbranch_vccnz .LBB103_236
; %bb.235:
	v_mul_hi_u32 v3, s40, v1
	v_add_u32_e32 v3, v1, v3
	v_lshrrev_b32_e32 v3, s41, v3
	v_mul_lo_u32 v3, v3, s27
	v_sub_u32_e32 v3, v1, v3
	v_mad_u64_u32 v[0:1], s[0:1], v3, s22, v[0:1]
	v_mad_u64_u32 v[2:3], s[0:1], v3, s23, v[2:3]
.LBB103_236:
	s_waitcnt lgkmcnt(0)
	global_load_ushort v1, v2, s[18:19]
	s_mov_b32 s0, 0x3fb8aa3b
	s_mov_b32 s1, 0xc2ce8ed0
	;; [unrolled: 1-line block ×3, first 2 shown]
	v_mov_b32_e32 v5, 0x7fc0
	v_add_u32_e32 v24, 0x80, v24
	s_waitcnt vmcnt(0)
	v_lshlrev_b32_e32 v1, 16, v1
	v_mul_f32_e32 v2, 0x3fb8aa3b, v1
	v_fma_f32 v3, v1, s0, -v2
	v_rndne_f32_e32 v4, v2
	v_fmamk_f32 v3, v1, 0x32a5705f, v3
	v_sub_f32_e32 v2, v2, v4
	v_add_f32_e32 v2, v2, v3
	v_cvt_i32_f32_e32 v4, v4
	v_exp_f32_e32 v2, v2
	v_cmp_ngt_f32_e32 vcc, s1, v1
	v_mov_b32_e32 v3, 0x7f800000
	s_movk_i32 s0, 0x7fff
	v_ldexp_f32 v2, v2, v4
	v_cndmask_b32_e32 v2, 0, v2, vcc
	v_cmp_nlt_f32_e32 vcc, s2, v1
	s_nop 1
	v_cndmask_b32_e32 v1, v3, v2, vcc
	v_bfe_u32 v2, v1, 16, 1
	v_cmp_o_f32_e32 vcc, v1, v1
	v_add3_u32 v1, v1, v2, s0
	s_nop 0
	v_cndmask_b32_sdwa v1, v5, v1, vcc dst_sel:DWORD dst_unused:UNUSED_PAD src0_sel:DWORD src1_sel:WORD_1
	global_store_short v0, v1, s[16:17]
	s_or_b64 exec, exec, s[48:49]
	v_cmp_gt_i32_e32 vcc, s55, v24
	s_and_saveexec_b64 s[48:49], vcc
	s_cbranch_execz .LBB103_227
.LBB103_237:
	s_andn2_b64 vcc, exec, s[36:37]
	s_cbranch_vccnz .LBB103_243
; %bb.238:
	s_andn2_b64 vcc, exec, s[46:47]
	s_cbranch_vccnz .LBB103_244
; %bb.239:
	s_add_i32 s56, s56, 1
	s_cmp_eq_u32 s54, 2
	s_cbranch_scc1 .LBB103_245
; %bb.240:
	s_and_b32 s50, s56, 28
	s_mov_b32 s51, 0
	v_mov_b32_e32 v0, 0
	v_mov_b32_e32 v2, 0
	s_mov_b64 s[46:47], s[34:35]
	v_mov_b32_e32 v4, v24
.LBB103_241:                            ; =>This Inner Loop Header: Depth=1
	s_load_dwordx8 s[8:15], s[46:47], 0x4
	s_load_dwordx4 s[28:31], s[46:47], 0x24
	s_load_dwordx8 s[0:7], s[44:45], 0x0
	s_add_u32 s46, s46, 48
	s_addc_u32 s47, s47, 0
	s_waitcnt lgkmcnt(0)
	v_mul_hi_u32 v1, s9, v4
	v_add_u32_e32 v1, v4, v1
	v_lshrrev_b32_e32 v1, s10, v1
	v_mul_lo_u32 v3, v1, s8
	v_mul_hi_u32 v5, s12, v1
	v_sub_u32_e32 v3, v4, v3
	v_add_u32_e32 v4, v1, v5
	v_lshrrev_b32_e32 v4, s13, v4
	v_mul_lo_u32 v6, v4, s11
	v_mul_hi_u32 v7, s15, v4
	v_sub_u32_e32 v1, v1, v6
	v_add_u32_e32 v6, v4, v7
	v_mul_lo_u32 v5, v3, s1
	v_mul_lo_u32 v3, v3, s0
	;; [unrolled: 1-line block ×4, first 2 shown]
	v_lshrrev_b32_e32 v6, s28, v6
	v_add3_u32 v0, v3, v0, v1
	v_mul_hi_u32 v3, s30, v6
	v_add3_u32 v1, v5, v2, v7
	v_mul_lo_u32 v2, v6, s14
	v_add_u32_e32 v3, v6, v3
	v_sub_u32_e32 v2, v4, v2
	v_lshrrev_b32_e32 v4, s31, v3
	s_add_i32 s51, s51, 4
	v_mul_lo_u32 v3, v4, s29
	s_add_u32 s44, s44, 32
	v_sub_u32_e32 v3, v6, v3
	s_addc_u32 s45, s45, 0
	v_mul_lo_u32 v5, v2, s4
	v_mul_lo_u32 v2, v2, s5
	;; [unrolled: 1-line block ×4, first 2 shown]
	s_cmp_eq_u32 s50, s51
	v_add3_u32 v2, v2, v1, v3
	v_add3_u32 v0, v5, v0, v6
	s_cbranch_scc0 .LBB103_241
; %bb.242:
	v_mov_b32_e32 v1, v2
	s_branch .LBB103_246
.LBB103_243:
                                        ; implicit-def: $vgpr2
                                        ; implicit-def: $vgpr0
	s_branch .LBB103_250
.LBB103_244:
	v_mov_b32_e32 v2, 0
	v_mov_b32_e32 v0, 0
	s_branch .LBB103_249
.LBB103_245:
	v_mov_b32_e32 v0, 0
	s_mov_b32 s50, 0
	v_mov_b32_e32 v1, v0
                                        ; implicit-def: $vgpr2
	v_mov_b32_e32 v4, v24
.LBB103_246:
	s_and_b32 s4, s56, 3
	s_cmp_eq_u32 s4, 0
	s_cbranch_scc1 .LBB103_249
; %bb.247:
	s_lshl_b32 s0, s50, 3
	s_add_u32 s0, s34, s0
	s_addc_u32 s1, s35, 0
	s_add_u32 s0, s0, 0xc4
	s_addc_u32 s1, s1, 0
	s_mul_i32 s2, s50, 12
	s_add_u32 s2, s34, s2
	s_addc_u32 s3, s35, 0
.LBB103_248:                            ; =>This Inner Loop Header: Depth=1
	s_load_dwordx2 s[6:7], s[2:3], 0x4
	s_load_dword s5, s[2:3], 0xc
	s_load_dwordx2 s[8:9], s[0:1], 0x0
	v_mov_b32_e32 v2, v1
	s_add_u32 s2, s2, 12
	s_waitcnt lgkmcnt(0)
	v_mul_hi_u32 v1, s7, v4
	v_add_u32_e32 v1, v4, v1
	v_lshrrev_b32_e32 v1, s5, v1
	s_addc_u32 s3, s3, 0
	v_mul_lo_u32 v3, v1, s6
	s_add_u32 s0, s0, 8
	v_sub_u32_e32 v5, v4, v3
	s_addc_u32 s1, s1, 0
	s_add_i32 s4, s4, -1
	v_mov_b32_e32 v4, v1
	v_mad_u64_u32 v[2:3], s[6:7], v5, s9, v[2:3]
	v_mad_u64_u32 v[0:1], s[6:7], v5, s8, v[0:1]
	s_cmp_lg_u32 s4, 0
	v_mov_b32_e32 v1, v2
	s_cbranch_scc1 .LBB103_248
.LBB103_249:
	s_cbranch_execnz .LBB103_252
.LBB103_250:
	s_waitcnt lgkmcnt(0)
	v_mul_hi_u32 v0, s25, v24
	v_add_u32_e32 v0, v24, v0
	v_lshrrev_b32_e32 v1, s26, v0
	v_mul_lo_u32 v0, v1, s24
	v_sub_u32_e32 v0, v24, v0
	v_mul_lo_u32 v2, v0, s21
	s_andn2_b64 vcc, exec, s[42:43]
	v_mul_lo_u32 v0, v0, s20
	s_cbranch_vccnz .LBB103_252
; %bb.251:
	v_mul_hi_u32 v3, s40, v1
	v_add_u32_e32 v3, v1, v3
	v_lshrrev_b32_e32 v3, s41, v3
	v_mul_lo_u32 v3, v3, s27
	v_sub_u32_e32 v3, v1, v3
	v_mad_u64_u32 v[0:1], s[0:1], v3, s22, v[0:1]
	v_mad_u64_u32 v[2:3], s[0:1], v3, s23, v[2:3]
.LBB103_252:
	s_waitcnt lgkmcnt(0)
	global_load_ushort v1, v2, s[18:19]
	s_mov_b32 s0, 0x3fb8aa3b
	s_mov_b32 s1, 0xc2ce8ed0
	;; [unrolled: 1-line block ×3, first 2 shown]
	v_mov_b32_e32 v5, 0x7fc0
	s_waitcnt vmcnt(0)
	v_lshlrev_b32_e32 v1, 16, v1
	v_mul_f32_e32 v2, 0x3fb8aa3b, v1
	v_fma_f32 v3, v1, s0, -v2
	v_rndne_f32_e32 v4, v2
	v_fmamk_f32 v3, v1, 0x32a5705f, v3
	v_sub_f32_e32 v2, v2, v4
	v_add_f32_e32 v2, v2, v3
	v_cvt_i32_f32_e32 v4, v4
	v_exp_f32_e32 v2, v2
	v_cmp_ngt_f32_e32 vcc, s1, v1
	v_mov_b32_e32 v3, 0x7f800000
	s_movk_i32 s0, 0x7fff
	v_ldexp_f32 v2, v2, v4
	v_cndmask_b32_e32 v2, 0, v2, vcc
	v_cmp_nlt_f32_e32 vcc, s2, v1
	s_nop 1
	v_cndmask_b32_e32 v1, v3, v2, vcc
	v_bfe_u32 v2, v1, 16, 1
	v_cmp_o_f32_e32 vcc, v1, v1
	v_add3_u32 v1, v1, v2, s0
	s_nop 0
	v_cndmask_b32_sdwa v1, v5, v1, vcc dst_sel:DWORD dst_unused:UNUSED_PAD src0_sel:DWORD src1_sel:WORD_1
	global_store_short v0, v1, s[16:17]
	s_or_b64 exec, exec, s[48:49]
                                        ; implicit-def: $vgpr32
                                        ; implicit-def: $vgpr24
	s_andn2_saveexec_b64 s[0:1], s[38:39]
	s_cbranch_execz .LBB103_228
	s_branch .LBB103_9
	.section	.rodata,"a",@progbits
	.p2align	6, 0x0
	.amdhsa_kernel _ZN2at6native32elementwise_kernel_manual_unrollILi128ELi8EZNS0_22gpu_kernel_impl_nocastIZZZNS0_15exp_kernel_cudaERNS_18TensorIteratorBaseEENKUlvE0_clEvENKUlvE2_clEvEUlN3c108BFloat16EE_EEvS4_RKT_EUlibE_EEviT1_
		.amdhsa_group_segment_fixed_size 0
		.amdhsa_private_segment_fixed_size 0
		.amdhsa_kernarg_size 360
		.amdhsa_user_sgpr_count 2
		.amdhsa_user_sgpr_dispatch_ptr 0
		.amdhsa_user_sgpr_queue_ptr 0
		.amdhsa_user_sgpr_kernarg_segment_ptr 1
		.amdhsa_user_sgpr_dispatch_id 0
		.amdhsa_user_sgpr_kernarg_preload_length 0
		.amdhsa_user_sgpr_kernarg_preload_offset 0
		.amdhsa_user_sgpr_private_segment_size 0
		.amdhsa_uses_dynamic_stack 0
		.amdhsa_enable_private_segment 0
		.amdhsa_system_sgpr_workgroup_id_x 1
		.amdhsa_system_sgpr_workgroup_id_y 0
		.amdhsa_system_sgpr_workgroup_id_z 0
		.amdhsa_system_sgpr_workgroup_info 0
		.amdhsa_system_vgpr_workitem_id 0
		.amdhsa_next_free_vgpr 33
		.amdhsa_next_free_sgpr 60
		.amdhsa_accum_offset 36
		.amdhsa_reserve_vcc 1
		.amdhsa_float_round_mode_32 0
		.amdhsa_float_round_mode_16_64 0
		.amdhsa_float_denorm_mode_32 3
		.amdhsa_float_denorm_mode_16_64 3
		.amdhsa_dx10_clamp 1
		.amdhsa_ieee_mode 1
		.amdhsa_fp16_overflow 0
		.amdhsa_tg_split 0
		.amdhsa_exception_fp_ieee_invalid_op 0
		.amdhsa_exception_fp_denorm_src 0
		.amdhsa_exception_fp_ieee_div_zero 0
		.amdhsa_exception_fp_ieee_overflow 0
		.amdhsa_exception_fp_ieee_underflow 0
		.amdhsa_exception_fp_ieee_inexact 0
		.amdhsa_exception_int_div_zero 0
	.end_amdhsa_kernel
	.section	.text._ZN2at6native32elementwise_kernel_manual_unrollILi128ELi8EZNS0_22gpu_kernel_impl_nocastIZZZNS0_15exp_kernel_cudaERNS_18TensorIteratorBaseEENKUlvE0_clEvENKUlvE2_clEvEUlN3c108BFloat16EE_EEvS4_RKT_EUlibE_EEviT1_,"axG",@progbits,_ZN2at6native32elementwise_kernel_manual_unrollILi128ELi8EZNS0_22gpu_kernel_impl_nocastIZZZNS0_15exp_kernel_cudaERNS_18TensorIteratorBaseEENKUlvE0_clEvENKUlvE2_clEvEUlN3c108BFloat16EE_EEvS4_RKT_EUlibE_EEviT1_,comdat
.Lfunc_end103:
	.size	_ZN2at6native32elementwise_kernel_manual_unrollILi128ELi8EZNS0_22gpu_kernel_impl_nocastIZZZNS0_15exp_kernel_cudaERNS_18TensorIteratorBaseEENKUlvE0_clEvENKUlvE2_clEvEUlN3c108BFloat16EE_EEvS4_RKT_EUlibE_EEviT1_, .Lfunc_end103-_ZN2at6native32elementwise_kernel_manual_unrollILi128ELi8EZNS0_22gpu_kernel_impl_nocastIZZZNS0_15exp_kernel_cudaERNS_18TensorIteratorBaseEENKUlvE0_clEvENKUlvE2_clEvEUlN3c108BFloat16EE_EEvS4_RKT_EUlibE_EEviT1_
                                        ; -- End function
	.set _ZN2at6native32elementwise_kernel_manual_unrollILi128ELi8EZNS0_22gpu_kernel_impl_nocastIZZZNS0_15exp_kernel_cudaERNS_18TensorIteratorBaseEENKUlvE0_clEvENKUlvE2_clEvEUlN3c108BFloat16EE_EEvS4_RKT_EUlibE_EEviT1_.num_vgpr, 33
	.set _ZN2at6native32elementwise_kernel_manual_unrollILi128ELi8EZNS0_22gpu_kernel_impl_nocastIZZZNS0_15exp_kernel_cudaERNS_18TensorIteratorBaseEENKUlvE0_clEvENKUlvE2_clEvEUlN3c108BFloat16EE_EEvS4_RKT_EUlibE_EEviT1_.num_agpr, 0
	.set _ZN2at6native32elementwise_kernel_manual_unrollILi128ELi8EZNS0_22gpu_kernel_impl_nocastIZZZNS0_15exp_kernel_cudaERNS_18TensorIteratorBaseEENKUlvE0_clEvENKUlvE2_clEvEUlN3c108BFloat16EE_EEvS4_RKT_EUlibE_EEviT1_.numbered_sgpr, 60
	.set _ZN2at6native32elementwise_kernel_manual_unrollILi128ELi8EZNS0_22gpu_kernel_impl_nocastIZZZNS0_15exp_kernel_cudaERNS_18TensorIteratorBaseEENKUlvE0_clEvENKUlvE2_clEvEUlN3c108BFloat16EE_EEvS4_RKT_EUlibE_EEviT1_.num_named_barrier, 0
	.set _ZN2at6native32elementwise_kernel_manual_unrollILi128ELi8EZNS0_22gpu_kernel_impl_nocastIZZZNS0_15exp_kernel_cudaERNS_18TensorIteratorBaseEENKUlvE0_clEvENKUlvE2_clEvEUlN3c108BFloat16EE_EEvS4_RKT_EUlibE_EEviT1_.private_seg_size, 0
	.set _ZN2at6native32elementwise_kernel_manual_unrollILi128ELi8EZNS0_22gpu_kernel_impl_nocastIZZZNS0_15exp_kernel_cudaERNS_18TensorIteratorBaseEENKUlvE0_clEvENKUlvE2_clEvEUlN3c108BFloat16EE_EEvS4_RKT_EUlibE_EEviT1_.uses_vcc, 1
	.set _ZN2at6native32elementwise_kernel_manual_unrollILi128ELi8EZNS0_22gpu_kernel_impl_nocastIZZZNS0_15exp_kernel_cudaERNS_18TensorIteratorBaseEENKUlvE0_clEvENKUlvE2_clEvEUlN3c108BFloat16EE_EEvS4_RKT_EUlibE_EEviT1_.uses_flat_scratch, 0
	.set _ZN2at6native32elementwise_kernel_manual_unrollILi128ELi8EZNS0_22gpu_kernel_impl_nocastIZZZNS0_15exp_kernel_cudaERNS_18TensorIteratorBaseEENKUlvE0_clEvENKUlvE2_clEvEUlN3c108BFloat16EE_EEvS4_RKT_EUlibE_EEviT1_.has_dyn_sized_stack, 0
	.set _ZN2at6native32elementwise_kernel_manual_unrollILi128ELi8EZNS0_22gpu_kernel_impl_nocastIZZZNS0_15exp_kernel_cudaERNS_18TensorIteratorBaseEENKUlvE0_clEvENKUlvE2_clEvEUlN3c108BFloat16EE_EEvS4_RKT_EUlibE_EEviT1_.has_recursion, 0
	.set _ZN2at6native32elementwise_kernel_manual_unrollILi128ELi8EZNS0_22gpu_kernel_impl_nocastIZZZNS0_15exp_kernel_cudaERNS_18TensorIteratorBaseEENKUlvE0_clEvENKUlvE2_clEvEUlN3c108BFloat16EE_EEvS4_RKT_EUlibE_EEviT1_.has_indirect_call, 0
	.section	.AMDGPU.csdata,"",@progbits
; Kernel info:
; codeLenInByte = 13476
; TotalNumSgprs: 66
; NumVgprs: 33
; NumAgprs: 0
; TotalNumVgprs: 33
; ScratchSize: 0
; MemoryBound: 0
; FloatMode: 240
; IeeeMode: 1
; LDSByteSize: 0 bytes/workgroup (compile time only)
; SGPRBlocks: 8
; VGPRBlocks: 4
; NumSGPRsForWavesPerEU: 66
; NumVGPRsForWavesPerEU: 33
; AccumOffset: 36
; Occupancy: 8
; WaveLimiterHint : 1
; COMPUTE_PGM_RSRC2:SCRATCH_EN: 0
; COMPUTE_PGM_RSRC2:USER_SGPR: 2
; COMPUTE_PGM_RSRC2:TRAP_HANDLER: 0
; COMPUTE_PGM_RSRC2:TGID_X_EN: 1
; COMPUTE_PGM_RSRC2:TGID_Y_EN: 0
; COMPUTE_PGM_RSRC2:TGID_Z_EN: 0
; COMPUTE_PGM_RSRC2:TIDIG_COMP_CNT: 0
; COMPUTE_PGM_RSRC3_GFX90A:ACCUM_OFFSET: 8
; COMPUTE_PGM_RSRC3_GFX90A:TG_SPLIT: 0
	.section	.text._ZN2at6native32elementwise_kernel_manual_unrollILi128ELi4EZNS0_15gpu_kernel_implIZZZNS0_15exp_kernel_cudaERNS_18TensorIteratorBaseEENKUlvE0_clEvENKUlvE2_clEvEUlN3c108BFloat16EE_EEvS4_RKT_EUlibE_EEviT1_,"axG",@progbits,_ZN2at6native32elementwise_kernel_manual_unrollILi128ELi4EZNS0_15gpu_kernel_implIZZZNS0_15exp_kernel_cudaERNS_18TensorIteratorBaseEENKUlvE0_clEvENKUlvE2_clEvEUlN3c108BFloat16EE_EEvS4_RKT_EUlibE_EEviT1_,comdat
	.globl	_ZN2at6native32elementwise_kernel_manual_unrollILi128ELi4EZNS0_15gpu_kernel_implIZZZNS0_15exp_kernel_cudaERNS_18TensorIteratorBaseEENKUlvE0_clEvENKUlvE2_clEvEUlN3c108BFloat16EE_EEvS4_RKT_EUlibE_EEviT1_ ; -- Begin function _ZN2at6native32elementwise_kernel_manual_unrollILi128ELi4EZNS0_15gpu_kernel_implIZZZNS0_15exp_kernel_cudaERNS_18TensorIteratorBaseEENKUlvE0_clEvENKUlvE2_clEvEUlN3c108BFloat16EE_EEvS4_RKT_EUlibE_EEviT1_
	.p2align	8
	.type	_ZN2at6native32elementwise_kernel_manual_unrollILi128ELi4EZNS0_15gpu_kernel_implIZZZNS0_15exp_kernel_cudaERNS_18TensorIteratorBaseEENKUlvE0_clEvENKUlvE2_clEvEUlN3c108BFloat16EE_EEvS4_RKT_EUlibE_EEviT1_,@function
_ZN2at6native32elementwise_kernel_manual_unrollILi128ELi4EZNS0_15gpu_kernel_implIZZZNS0_15exp_kernel_cudaERNS_18TensorIteratorBaseEENKUlvE0_clEvENKUlvE2_clEvEUlN3c108BFloat16EE_EEvS4_RKT_EUlibE_EEviT1_: ; @_ZN2at6native32elementwise_kernel_manual_unrollILi128ELi4EZNS0_15gpu_kernel_implIZZZNS0_15exp_kernel_cudaERNS_18TensorIteratorBaseEENKUlvE0_clEvENKUlvE2_clEvEUlN3c108BFloat16EE_EEvS4_RKT_EUlibE_EEviT1_
; %bb.0:
	v_mov_b32_e32 v1, 0
	global_load_ushort v1, v1, s[0:1] offset:33
	s_load_dwordx4 s[4:7], s[0:1], 0x8
	s_load_dwordx2 s[8:9], s[0:1], 0x18
	s_load_dword s38, s[0:1], 0x0
	v_lshl_or_b32 v4, s2, 9, v0
	v_or_b32_e32 v0, 0x180, v4
	s_mov_b64 s[10:11], 0
	s_mov_b64 s[12:13], 0
	s_waitcnt lgkmcnt(0)
	v_cmp_le_i32_e32 vcc, s38, v0
	s_waitcnt vmcnt(0)
	v_readfirstlane_b32 s33, v1
	s_and_b32 s0, 0xffff, s33
	s_lshr_b32 s42, s0, 8
	s_and_saveexec_b64 s[0:1], vcc
	s_xor_b64 s[2:3], exec, s[0:1]
	s_cbranch_execz .LBB104_1029
; %bb.1:
	v_cmp_gt_i32_e32 vcc, s38, v4
	s_mov_b64 s[18:19], -1
	s_mov_b64 s[20:21], 0
	s_mov_b64 s[14:15], 0
	s_and_saveexec_b64 s[16:17], vcc
	s_cbranch_execz .LBB104_252
; %bb.2:
	v_mul_lo_u32 v0, v4, s9
	v_ashrrev_i32_e32 v1, 31, v0
	s_and_b32 s22, 0xffff, s42
	s_cmp_lt_i32 s22, 11
	v_lshl_add_u64 v[0:1], s[6:7], 0, v[0:1]
	s_cbranch_scc1 .LBB104_9
; %bb.3:
	s_cmp_gt_i32 s22, 25
	s_cbranch_scc0 .LBB104_18
; %bb.4:
	s_cmp_gt_i32 s22, 28
	s_cbranch_scc0 .LBB104_22
	;; [unrolled: 3-line block ×4, first 2 shown]
; %bb.7:
	s_cmp_eq_u32 s22, 46
	s_cbranch_scc0 .LBB104_28
; %bb.8:
	global_load_dword v2, v[0:1], off
	s_mov_b64 s[0:1], -1
	s_branch .LBB104_30
.LBB104_9:
                                        ; implicit-def: $vgpr2
	s_mov_b64 s[0:1], 0
	s_cbranch_execnz .LBB104_203
.LBB104_10:
	s_andn2_b64 vcc, exec, s[0:1]
	s_cbranch_vccnz .LBB104_250
.LBB104_11:
	s_waitcnt vmcnt(0)
	v_lshlrev_b32_e32 v0, 16, v2
	v_mul_f32_e32 v1, 0x3fb8aa3b, v0
	s_mov_b32 s0, 0x3fb8aa3b
	v_rndne_f32_e32 v2, v1
	v_sub_f32_e32 v3, v1, v2
	v_fma_f32 v1, v0, s0, -v1
	v_fmamk_f32 v1, v0, 0x32a5705f, v1
	v_add_f32_e32 v1, v3, v1
	v_exp_f32_e32 v1, v1
	v_cvt_i32_f32_e32 v2, v2
	s_mov_b32 s0, 0xc2ce8ed0
	v_cmp_ngt_f32_e32 vcc, s0, v0
	s_mov_b32 s0, 0x42b17218
	v_ldexp_f32 v1, v1, v2
	v_cndmask_b32_e32 v1, 0, v1, vcc
	v_mov_b32_e32 v2, 0x7f800000
	v_cmp_nlt_f32_e32 vcc, s0, v0
	s_movk_i32 s0, 0x7fff
	s_and_b32 s24, s33, 0xff
	v_cndmask_b32_e32 v0, v2, v1, vcc
	v_bfe_u32 v1, v0, 16, 1
	v_add3_u32 v1, v0, v1, s0
	v_cmp_o_f32_e32 vcc, v0, v0
	v_mov_b32_e32 v0, 0x7fc0
	s_cmp_lt_i32 s24, 11
	v_cndmask_b32_sdwa v2, v0, v1, vcc dst_sel:DWORD dst_unused:UNUSED_PAD src0_sel:DWORD src1_sel:WORD_1
	v_mul_lo_u32 v0, v4, s8
	v_ashrrev_i32_e32 v1, 31, v0
	v_lshl_add_u64 v[0:1], s[4:5], 0, v[0:1]
	s_cbranch_scc1 .LBB104_19
; %bb.12:
	s_and_b32 s25, 0xffff, s24
	s_cmp_gt_i32 s25, 25
	s_cbranch_scc0 .LBB104_23
; %bb.13:
	s_cmp_gt_i32 s25, 28
	s_cbranch_scc0 .LBB104_25
; %bb.14:
	;; [unrolled: 3-line block ×4, first 2 shown]
	s_mov_b64 s[18:19], 0
	s_mov_b64 s[0:1], -1
	s_cmp_eq_u32 s25, 46
	s_mov_b64 s[12:13], 0
	s_cbranch_scc0 .LBB104_34
; %bb.17:
	v_and_b32_e32 v3, 0xffff, v2
	global_store_dword v[0:1], v3, off
	s_mov_b64 s[12:13], -1
	s_mov_b64 s[0:1], 0
	s_branch .LBB104_34
.LBB104_18:
	s_mov_b64 s[0:1], 0
                                        ; implicit-def: $vgpr2
	s_cbranch_execnz .LBB104_168
	s_branch .LBB104_202
.LBB104_19:
	s_mov_b64 s[0:1], 0
	s_mov_b64 s[12:13], 0
	s_cbranch_execnz .LBB104_103
.LBB104_20:
	s_andn2_b64 vcc, exec, s[12:13]
	s_cbranch_vccnz .LBB104_141
.LBB104_21:
	v_add_u32_e32 v4, 0x80, v4
	s_mov_b64 s[18:19], -1
	s_branch .LBB104_251
.LBB104_22:
	s_mov_b64 s[12:13], -1
	s_mov_b64 s[0:1], 0
                                        ; implicit-def: $vgpr2
	s_branch .LBB104_149
.LBB104_23:
	s_mov_b64 s[18:19], -1
	s_mov_b64 s[0:1], 0
	s_mov_b64 s[12:13], 0
	s_branch .LBB104_61
.LBB104_24:
	s_mov_b64 s[12:13], -1
	s_mov_b64 s[0:1], 0
                                        ; implicit-def: $vgpr2
	s_branch .LBB104_144
.LBB104_25:
	s_mov_b64 s[18:19], -1
	s_mov_b64 s[0:1], 0
	s_mov_b64 s[12:13], 0
	s_branch .LBB104_44
.LBB104_26:
	s_mov_b64 s[12:13], -1
	s_branch .LBB104_29
.LBB104_27:
	s_mov_b64 s[18:19], -1
	s_mov_b64 s[0:1], 0
	s_mov_b64 s[12:13], 0
	s_branch .LBB104_40
.LBB104_28:
	s_mov_b64 s[14:15], -1
.LBB104_29:
	s_mov_b64 s[0:1], 0
                                        ; implicit-def: $vgpr2
.LBB104_30:
	s_and_b64 vcc, exec, s[12:13]
	s_cbranch_vccz .LBB104_143
; %bb.31:
	s_cmp_eq_u32 s22, 44
	s_cbranch_scc0 .LBB104_142
; %bb.32:
	global_load_ubyte v2, v[0:1], off
	s_movk_i32 s12, 0xff
	v_mov_b32_e32 v3, 0x7f800001
	v_mov_b32_e32 v5, 0x400000
	;; [unrolled: 1-line block ×3, first 2 shown]
	s_mov_b64 s[0:1], -1
	s_mov_b64 s[14:15], 0
	s_waitcnt vmcnt(0)
	v_lshlrev_b32_e32 v7, 23, v2
	v_cmp_ne_u32_e32 vcc, s12, v2
	s_nop 1
	v_cndmask_b32_e32 v3, v3, v7, vcc
	v_cmp_ne_u32_e32 vcc, 0, v2
	s_nop 1
	v_cndmask_b32_e32 v2, v5, v3, vcc
	v_add_u32_e32 v3, 0x7fff, v2
	v_cmp_o_f32_e32 vcc, v2, v2
	s_nop 1
	v_cndmask_b32_sdwa v2, v6, v3, vcc dst_sel:DWORD dst_unused:UNUSED_PAD src0_sel:DWORD src1_sel:WORD_1
	s_branch .LBB104_143
.LBB104_33:
	s_mov_b64 s[18:19], -1
	s_mov_b64 s[0:1], 0
	s_mov_b64 s[12:13], 0
.LBB104_34:
	s_and_b64 vcc, exec, s[18:19]
	s_cbranch_vccz .LBB104_39
; %bb.35:
	s_cmp_eq_u32 s25, 44
	s_mov_b64 s[0:1], -1
	s_cbranch_scc0 .LBB104_39
; %bb.36:
	v_and_b32_e32 v5, 0xffff, v2
	v_bfe_u32 v3, v5, 7, 8
	s_movk_i32 s0, 0xff
	v_cmp_ne_u32_e32 vcc, s0, v3
	v_mov_b32_e32 v6, 0xff
	s_and_saveexec_b64 s[12:13], vcc
	s_cbranch_execz .LBB104_38
; %bb.37:
	v_lshlrev_b32_e32 v7, 16, v5
	s_mov_b32 s0, 0x3f0000
	v_lshrrev_b32_e32 v6, 7, v5
	v_and_b32_e32 v5, 64, v5
	v_and_or_b32 v3, v7, s0, v3
	v_cmp_ne_u32_e32 vcc, 0, v5
	v_cmp_ne_u32_e64 s[0:1], 0, v3
	s_and_b64 s[0:1], vcc, s[0:1]
	s_nop 0
	v_cndmask_b32_e64 v3, 0, 1, s[0:1]
	v_add_u32_e32 v6, v6, v3
.LBB104_38:
	s_or_b64 exec, exec, s[12:13]
	s_mov_b64 s[12:13], -1
	s_mov_b64 s[0:1], 0
	global_store_byte v[0:1], v6, off
.LBB104_39:
	s_mov_b64 s[18:19], 0
.LBB104_40:
	s_and_b64 vcc, exec, s[18:19]
	s_cbranch_vccz .LBB104_43
; %bb.41:
	s_cmp_eq_u32 s25, 29
	s_mov_b64 s[0:1], -1
	s_cbranch_scc0 .LBB104_43
; %bb.42:
	v_lshlrev_b32_e32 v3, 16, v2
	v_trunc_f32_e32 v3, v3
	v_mul_f32_e32 v5, 0x2f800000, v3
	v_floor_f32_e32 v5, v5
	v_fmamk_f32 v3, v5, 0xcf800000, v3
	v_cvt_u32_f32_e32 v7, v5
	v_cvt_u32_f32_e32 v6, v3
	s_mov_b64 s[12:13], -1
	s_mov_b64 s[0:1], 0
	s_mov_b64 s[18:19], 0
	global_store_dwordx2 v[0:1], v[6:7], off
	s_branch .LBB104_44
.LBB104_43:
	s_mov_b64 s[18:19], 0
.LBB104_44:
	s_and_b64 vcc, exec, s[18:19]
	s_cbranch_vccz .LBB104_60
; %bb.45:
	s_cmp_lt_i32 s25, 27
	s_mov_b64 s[12:13], -1
	s_cbranch_scc1 .LBB104_51
; %bb.46:
	s_cmp_gt_i32 s25, 27
	s_cbranch_scc0 .LBB104_48
; %bb.47:
	v_lshlrev_b32_e32 v3, 16, v2
	v_cvt_u32_f32_e32 v3, v3
	s_mov_b64 s[12:13], 0
	global_store_dword v[0:1], v3, off
.LBB104_48:
	s_andn2_b64 vcc, exec, s[12:13]
	s_cbranch_vccnz .LBB104_50
; %bb.49:
	v_lshlrev_b32_e32 v3, 16, v2
	v_cvt_u32_f32_e32 v3, v3
	global_store_short v[0:1], v3, off
.LBB104_50:
	s_mov_b64 s[12:13], 0
.LBB104_51:
	s_andn2_b64 vcc, exec, s[12:13]
	s_cbranch_vccnz .LBB104_59
; %bb.52:
	v_lshlrev_b32_e32 v6, 16, v2
	v_and_b32_e32 v5, 0x7fffffff, v6
	s_mov_b32 s12, 0x43800000
	v_cmp_gt_u32_e32 vcc, s12, v5
	v_mov_b32_e32 v7, 0x80
	s_and_saveexec_b64 s[12:13], vcc
	s_cbranch_execz .LBB104_58
; %bb.53:
	s_mov_b32 s18, 0x3bffffff
	v_and_b32_e32 v3, 0xffff, v2
	v_cmp_lt_u32_e32 vcc, s18, v5
	s_mov_b64 s[18:19], 0
                                        ; implicit-def: $vgpr5
	s_and_saveexec_b64 s[22:23], vcc
	s_xor_b64 s[22:23], exec, s[22:23]
	s_cbranch_execz .LBB104_279
; %bb.54:
	v_bfe_u32 v5, v3, 4, 1
	s_mov_b32 s26, 0x487ffff
	v_add3_u32 v5, v6, v5, s26
	s_mov_b64 s[18:19], exec
	v_lshrrev_b32_e32 v5, 20, v5
                                        ; implicit-def: $vgpr6
	s_andn2_saveexec_b64 s[22:23], s[22:23]
	s_cbranch_execnz .LBB104_280
.LBB104_55:
	s_or_b64 exec, exec, s[22:23]
	v_mov_b32_e32 v7, 0
	s_and_saveexec_b64 s[22:23], s[18:19]
.LBB104_56:
	v_lshrrev_b32_e32 v3, 8, v3
	s_movk_i32 s18, 0x80
	v_and_or_b32 v7, v3, s18, v5
.LBB104_57:
	s_or_b64 exec, exec, s[22:23]
.LBB104_58:
	s_or_b64 exec, exec, s[12:13]
	global_store_byte v[0:1], v7, off
.LBB104_59:
	s_mov_b64 s[12:13], -1
.LBB104_60:
	s_mov_b64 s[18:19], 0
.LBB104_61:
	s_and_b64 vcc, exec, s[18:19]
	s_cbranch_vccz .LBB104_102
; %bb.62:
	s_cmp_gt_i32 s25, 22
	s_mov_b64 s[18:19], -1
	s_cbranch_scc0 .LBB104_94
; %bb.63:
	s_cmp_lt_i32 s25, 24
	s_mov_b64 s[12:13], -1
	s_cbranch_scc1 .LBB104_83
; %bb.64:
	s_cmp_gt_i32 s25, 24
	s_cbranch_scc0 .LBB104_72
; %bb.65:
	v_lshlrev_b32_e32 v6, 16, v2
	v_and_b32_e32 v5, 0x7fffffff, v6
	s_mov_b32 s12, 0x47800000
	v_cmp_gt_u32_e32 vcc, s12, v5
	v_mov_b32_e32 v7, 0x80
	s_and_saveexec_b64 s[12:13], vcc
	s_cbranch_execz .LBB104_71
; %bb.66:
	s_mov_b32 s18, 0x37ffffff
	v_and_b32_e32 v3, 0xffff, v2
	v_cmp_lt_u32_e32 vcc, s18, v5
	s_mov_b64 s[18:19], 0
                                        ; implicit-def: $vgpr5
	s_and_saveexec_b64 s[22:23], vcc
	s_xor_b64 s[22:23], exec, s[22:23]
	s_cbranch_execz .LBB104_283
; %bb.67:
	v_bfe_u32 v5, v3, 5, 1
	s_mov_b32 s26, 0x88fffff
	v_add3_u32 v5, v6, v5, s26
	s_mov_b64 s[18:19], exec
	v_lshrrev_b32_e32 v5, 21, v5
                                        ; implicit-def: $vgpr6
	s_andn2_saveexec_b64 s[22:23], s[22:23]
	s_cbranch_execnz .LBB104_284
.LBB104_68:
	s_or_b64 exec, exec, s[22:23]
	v_mov_b32_e32 v7, 0
	s_and_saveexec_b64 s[22:23], s[18:19]
.LBB104_69:
	v_lshrrev_b32_e32 v3, 8, v3
	s_movk_i32 s18, 0x80
	v_and_or_b32 v7, v3, s18, v5
.LBB104_70:
	s_or_b64 exec, exec, s[22:23]
.LBB104_71:
	s_or_b64 exec, exec, s[12:13]
	s_mov_b64 s[12:13], 0
	global_store_byte v[0:1], v7, off
.LBB104_72:
	s_and_b64 vcc, exec, s[12:13]
	s_cbranch_vccz .LBB104_82
; %bb.73:
	v_lshlrev_b32_e32 v6, 16, v2
	v_and_b32_e32 v7, 0x7fffffff, v6
	s_mov_b32 s12, 0x43f00000
	v_and_b32_e32 v3, 0xffff, v2
	v_cmp_gt_u32_e32 vcc, s12, v7
                                        ; implicit-def: $vgpr5
	s_and_saveexec_b64 s[12:13], vcc
	s_xor_b64 s[12:13], exec, s[12:13]
	s_cbranch_execz .LBB104_79
; %bb.74:
	s_mov_b32 s18, 0x3c7fffff
	v_cmp_lt_u32_e32 vcc, s18, v7
                                        ; implicit-def: $vgpr5
	s_and_saveexec_b64 s[18:19], vcc
	s_xor_b64 s[18:19], exec, s[18:19]
; %bb.75:
	v_bfe_u32 v5, v3, 4, 1
	s_mov_b32 s22, 0x407ffff
	v_add3_u32 v5, v6, v5, s22
	v_lshrrev_b32_e32 v6, 20, v5
	v_and_b32_e32 v5, 0xff00000, v5
	s_mov_b32 s22, 0x7f00000
	v_mov_b32_e32 v7, 0x7e
	v_cmp_ne_u32_e32 vcc, s22, v5
	s_nop 1
	v_cndmask_b32_e32 v5, v7, v6, vcc
                                        ; implicit-def: $vgpr6
; %bb.76:
	s_andn2_saveexec_b64 s[18:19], s[18:19]
; %bb.77:
	s_mov_b32 s22, 0x46800000
	v_add_f32_e64 v5, |v6|, s22
; %bb.78:
	s_or_b64 exec, exec, s[18:19]
                                        ; implicit-def: $vgpr7
.LBB104_79:
	s_andn2_saveexec_b64 s[12:13], s[12:13]
; %bb.80:
	s_mov_b32 s18, 0x7f800000
	v_mov_b32_e32 v5, 0x7e
	v_mov_b32_e32 v6, 0x7f
	v_cmp_lt_u32_e32 vcc, s18, v7
	s_nop 1
	v_cndmask_b32_e32 v5, v5, v6, vcc
; %bb.81:
	s_or_b64 exec, exec, s[12:13]
	v_lshrrev_b32_e32 v3, 8, v3
	s_movk_i32 s12, 0x80
	v_and_or_b32 v3, v3, s12, v5
	global_store_byte v[0:1], v3, off
.LBB104_82:
	s_mov_b64 s[12:13], 0
.LBB104_83:
	s_andn2_b64 vcc, exec, s[12:13]
	s_cbranch_vccnz .LBB104_93
; %bb.84:
	v_lshlrev_b32_e32 v6, 16, v2
	v_and_b32_e32 v7, 0x7fffffff, v6
	s_mov_b32 s12, 0x47800000
	v_and_b32_e32 v3, 0xffff, v2
	v_cmp_gt_u32_e32 vcc, s12, v7
                                        ; implicit-def: $vgpr5
	s_and_saveexec_b64 s[12:13], vcc
	s_xor_b64 s[12:13], exec, s[12:13]
	s_cbranch_execz .LBB104_90
; %bb.85:
	s_mov_b32 s18, 0x387fffff
	v_cmp_lt_u32_e32 vcc, s18, v7
                                        ; implicit-def: $vgpr5
	s_and_saveexec_b64 s[18:19], vcc
	s_xor_b64 s[18:19], exec, s[18:19]
; %bb.86:
	v_bfe_u32 v5, v3, 5, 1
	s_mov_b32 s22, 0x80fffff
	v_add3_u32 v5, v6, v5, s22
	v_lshrrev_b32_e32 v5, 21, v5
                                        ; implicit-def: $vgpr6
; %bb.87:
	s_andn2_saveexec_b64 s[18:19], s[18:19]
; %bb.88:
	s_mov_b32 s22, 0x43000000
	v_add_f32_e64 v5, |v6|, s22
; %bb.89:
	s_or_b64 exec, exec, s[18:19]
                                        ; implicit-def: $vgpr7
.LBB104_90:
	s_andn2_saveexec_b64 s[12:13], s[12:13]
; %bb.91:
	s_mov_b32 s18, 0x7f800000
	v_mov_b32_e32 v5, 0x7c
	v_mov_b32_e32 v6, 0x7f
	v_cmp_lt_u32_e32 vcc, s18, v7
	s_nop 1
	v_cndmask_b32_e32 v5, v5, v6, vcc
; %bb.92:
	s_or_b64 exec, exec, s[12:13]
	v_lshrrev_b32_e32 v3, 8, v3
	s_movk_i32 s12, 0x80
	v_and_or_b32 v3, v3, s12, v5
	global_store_byte v[0:1], v3, off
.LBB104_93:
	s_mov_b64 s[18:19], 0
	s_mov_b64 s[12:13], -1
.LBB104_94:
	s_andn2_b64 vcc, exec, s[18:19]
	s_cbranch_vccnz .LBB104_102
; %bb.95:
	s_cmp_gt_i32 s25, 14
	s_mov_b64 s[18:19], -1
	s_cbranch_scc0 .LBB104_99
; %bb.96:
	s_cmp_eq_u32 s25, 15
	s_mov_b64 s[0:1], -1
	s_cbranch_scc0 .LBB104_98
; %bb.97:
	global_store_short v[0:1], v2, off
	s_mov_b64 s[12:13], -1
	s_mov_b64 s[0:1], 0
.LBB104_98:
	s_mov_b64 s[18:19], 0
.LBB104_99:
	s_and_b64 vcc, exec, s[18:19]
	s_cbranch_vccz .LBB104_102
; %bb.100:
	s_cmp_eq_u32 s25, 11
	s_mov_b64 s[0:1], -1
	s_cbranch_scc0 .LBB104_102
; %bb.101:
	v_and_b32_e32 v3, 0x7fff, v2
	v_cmp_ne_u16_e32 vcc, 0, v3
	s_mov_b64 s[12:13], -1
	s_mov_b64 s[0:1], 0
	v_cndmask_b32_e64 v3, 0, 1, vcc
	global_store_byte v[0:1], v3, off
.LBB104_102:
	s_branch .LBB104_20
.LBB104_103:
	s_and_b32 s18, 0xffff, s24
	s_cmp_lt_i32 s18, 5
	s_mov_b64 s[12:13], -1
	s_cbranch_scc1 .LBB104_124
; %bb.104:
	s_cmp_lt_i32 s18, 8
	s_cbranch_scc1 .LBB104_114
; %bb.105:
	s_cmp_lt_i32 s18, 9
	s_cbranch_scc1 .LBB104_111
; %bb.106:
	s_cmp_gt_i32 s18, 9
	s_cbranch_scc0 .LBB104_108
; %bb.107:
	v_lshlrev_b32_e32 v3, 16, v2
	v_mov_b32_e32 v8, 0
	v_cvt_f64_f32_e32 v[6:7], v3
	v_mov_b32_e32 v9, v8
	global_store_dwordx4 v[0:1], v[6:9], off
	s_mov_b64 s[12:13], 0
.LBB104_108:
	s_andn2_b64 vcc, exec, s[12:13]
	s_cbranch_vccnz .LBB104_110
; %bb.109:
	v_lshlrev_b32_e32 v6, 16, v2
	v_mov_b32_e32 v7, 0
	global_store_dwordx2 v[0:1], v[6:7], off
.LBB104_110:
	s_mov_b64 s[12:13], 0
.LBB104_111:
	s_andn2_b64 vcc, exec, s[12:13]
	s_cbranch_vccnz .LBB104_113
; %bb.112:
	v_lshlrev_b32_e32 v3, 16, v2
	v_cvt_f16_f32_e32 v3, v3
	global_store_dword v[0:1], v3, off
.LBB104_113:
	s_mov_b64 s[12:13], 0
.LBB104_114:
	s_andn2_b64 vcc, exec, s[12:13]
	s_cbranch_vccnz .LBB104_123
; %bb.115:
	s_cmp_lt_i32 s18, 6
	s_mov_b64 s[12:13], -1
	s_cbranch_scc1 .LBB104_121
; %bb.116:
	s_cmp_gt_i32 s18, 6
	s_cbranch_scc0 .LBB104_118
; %bb.117:
	v_lshlrev_b32_e32 v3, 16, v2
	v_cvt_f64_f32_e32 v[6:7], v3
	global_store_dwordx2 v[0:1], v[6:7], off
	s_mov_b64 s[12:13], 0
.LBB104_118:
	s_andn2_b64 vcc, exec, s[12:13]
	s_cbranch_vccnz .LBB104_120
; %bb.119:
	v_lshlrev_b32_e32 v3, 16, v2
	global_store_dword v[0:1], v3, off
.LBB104_120:
	s_mov_b64 s[12:13], 0
.LBB104_121:
	s_andn2_b64 vcc, exec, s[12:13]
	s_cbranch_vccnz .LBB104_123
; %bb.122:
	v_lshlrev_b32_e32 v3, 16, v2
	v_cvt_f16_f32_e32 v3, v3
	global_store_short v[0:1], v3, off
.LBB104_123:
	s_mov_b64 s[12:13], 0
.LBB104_124:
	s_andn2_b64 vcc, exec, s[12:13]
	s_cbranch_vccnz .LBB104_140
; %bb.125:
	s_cmp_lt_i32 s18, 2
	s_mov_b64 s[12:13], -1
	s_cbranch_scc1 .LBB104_135
; %bb.126:
	s_cmp_lt_i32 s18, 3
	s_cbranch_scc1 .LBB104_132
; %bb.127:
	s_cmp_gt_i32 s18, 3
	s_cbranch_scc0 .LBB104_129
; %bb.128:
	v_lshlrev_b32_e32 v3, 16, v2
	v_trunc_f32_e32 v3, v3
	s_mov_b32 s12, 0x2f800000
	v_mul_f32_e64 v5, |v3|, s12
	v_floor_f32_e32 v5, v5
	s_mov_b32 s12, 0xcf800000
	v_cvt_u32_f32_e32 v6, v5
	v_fma_f32 v5, v5, s12, |v3|
	v_cvt_u32_f32_e32 v5, v5
	v_ashrrev_i32_e32 v3, 31, v3
	v_xor_b32_e32 v7, v6, v3
	s_mov_b64 s[12:13], 0
	v_xor_b32_e32 v5, v5, v3
	v_sub_co_u32_e32 v6, vcc, v5, v3
	s_nop 1
	v_subb_co_u32_e32 v7, vcc, v7, v3, vcc
	global_store_dwordx2 v[0:1], v[6:7], off
.LBB104_129:
	s_andn2_b64 vcc, exec, s[12:13]
	s_cbranch_vccnz .LBB104_131
; %bb.130:
	v_lshlrev_b32_e32 v3, 16, v2
	v_cvt_i32_f32_e32 v3, v3
	global_store_dword v[0:1], v3, off
.LBB104_131:
	s_mov_b64 s[12:13], 0
.LBB104_132:
	s_andn2_b64 vcc, exec, s[12:13]
	s_cbranch_vccnz .LBB104_134
; %bb.133:
	v_lshlrev_b32_e32 v3, 16, v2
	v_cvt_i32_f32_e32 v3, v3
	global_store_short v[0:1], v3, off
.LBB104_134:
	s_mov_b64 s[12:13], 0
.LBB104_135:
	s_andn2_b64 vcc, exec, s[12:13]
	s_cbranch_vccnz .LBB104_140
; %bb.136:
	s_mov_b64 s[12:13], -1
	s_cmp_gt_i32 s18, 0
	v_lshlrev_b32_e32 v2, 16, v2
	s_cbranch_scc0 .LBB104_138
; %bb.137:
	v_cvt_i32_f32_e32 v3, v2
	s_mov_b64 s[12:13], 0
	global_store_byte v[0:1], v3, off
.LBB104_138:
	s_andn2_b64 vcc, exec, s[12:13]
	s_cbranch_vccnz .LBB104_140
; %bb.139:
	v_trunc_f32_e32 v2, v2
	s_mov_b32 s12, 0x2f800000
	v_mul_f32_e64 v3, |v2|, s12
	v_floor_f32_e32 v3, v3
	s_mov_b32 s12, 0xcf800000
	v_fma_f32 v3, v3, s12, |v2|
	v_cvt_u32_f32_e32 v3, v3
	v_ashrrev_i32_e32 v2, 31, v2
	v_xor_b32_e32 v3, v3, v2
	v_sub_u32_e32 v2, v3, v2
	global_store_byte v[0:1], v2, off
.LBB104_140:
	s_branch .LBB104_21
.LBB104_141:
	s_mov_b64 s[18:19], 0
                                        ; implicit-def: $vgpr4
	s_branch .LBB104_251
.LBB104_142:
	s_mov_b64 s[14:15], -1
                                        ; implicit-def: $vgpr2
.LBB104_143:
	s_mov_b64 s[12:13], 0
.LBB104_144:
	s_and_b64 vcc, exec, s[12:13]
	s_cbranch_vccz .LBB104_148
; %bb.145:
	s_cmp_eq_u32 s22, 29
	s_cbranch_scc0 .LBB104_147
; %bb.146:
	global_load_dwordx2 v[2:3], v[0:1], off
	s_movk_i32 s12, 0x7fff
	s_mov_b64 s[0:1], -1
	s_mov_b64 s[14:15], 0
	s_waitcnt vmcnt(0)
	v_ffbh_u32_e32 v5, v3
	v_min_u32_e32 v5, 32, v5
	v_lshlrev_b64 v[2:3], v5, v[2:3]
	v_min_u32_e32 v2, 1, v2
	v_or_b32_e32 v2, v3, v2
	v_cvt_f32_u32_e32 v2, v2
	v_sub_u32_e32 v3, 32, v5
	v_ldexp_f32 v2, v2, v3
	v_bfe_u32 v3, v2, 16, 1
	v_add3_u32 v2, v2, v3, s12
	v_lshrrev_b32_e32 v2, 16, v2
	s_branch .LBB104_148
.LBB104_147:
	s_mov_b64 s[14:15], -1
                                        ; implicit-def: $vgpr2
.LBB104_148:
	s_mov_b64 s[12:13], 0
.LBB104_149:
	s_and_b64 vcc, exec, s[12:13]
	s_cbranch_vccz .LBB104_167
; %bb.150:
	s_cmp_lt_i32 s22, 27
	s_cbranch_scc1 .LBB104_153
; %bb.151:
	s_cmp_gt_i32 s22, 27
	s_cbranch_scc0 .LBB104_154
; %bb.152:
	global_load_dword v2, v[0:1], off
	s_movk_i32 s0, 0x7fff
	s_waitcnt vmcnt(0)
	v_cvt_f32_u32_e32 v2, v2
	v_bfe_u32 v3, v2, 16, 1
	v_add3_u32 v2, v2, v3, s0
	v_lshrrev_b32_e32 v2, 16, v2
	s_mov_b64 s[0:1], 0
	s_branch .LBB104_155
.LBB104_153:
	s_mov_b64 s[0:1], -1
                                        ; implicit-def: $vgpr2
	s_branch .LBB104_158
.LBB104_154:
	s_mov_b64 s[0:1], -1
                                        ; implicit-def: $vgpr2
.LBB104_155:
	s_andn2_b64 vcc, exec, s[0:1]
	s_cbranch_vccnz .LBB104_157
; %bb.156:
	global_load_ushort v2, v[0:1], off
	s_movk_i32 s0, 0x7fff
	s_waitcnt vmcnt(0)
	v_cvt_f32_u32_e32 v2, v2
	v_bfe_u32 v3, v2, 16, 1
	v_add3_u32 v2, v2, v3, s0
	v_lshrrev_b32_e32 v2, 16, v2
.LBB104_157:
	s_mov_b64 s[0:1], 0
.LBB104_158:
	s_andn2_b64 vcc, exec, s[0:1]
	s_cbranch_vccnz .LBB104_166
; %bb.159:
	global_load_ubyte v2, v[0:1], off
	s_movk_i32 s0, 0x7f
	s_waitcnt vmcnt(0)
	v_cmp_lt_i16_e32 vcc, s0, v2
	s_mov_b64 s[0:1], 0
	s_and_saveexec_b64 s[12:13], vcc
	s_xor_b64 s[12:13], exec, s[12:13]
	s_cbranch_execz .LBB104_179
; %bb.160:
	s_movk_i32 s0, 0x80
	v_cmp_eq_u16_e32 vcc, s0, v2
	s_mov_b64 s[0:1], -1
	s_and_saveexec_b64 s[18:19], vcc
; %bb.161:
	s_xor_b64 s[0:1], exec, -1
; %bb.162:
	s_or_b64 exec, exec, s[18:19]
	s_and_b64 s[0:1], s[0:1], exec
	s_or_saveexec_b64 s[12:13], s[12:13]
	v_mov_b32_e32 v3, 0x7f800001
	s_xor_b64 exec, exec, s[12:13]
	s_cbranch_execnz .LBB104_180
.LBB104_163:
	s_or_b64 exec, exec, s[12:13]
	s_and_saveexec_b64 s[12:13], s[0:1]
	s_cbranch_execz .LBB104_165
.LBB104_164:
	v_lshlrev_b32_e32 v3, 24, v2
	v_and_b32_e32 v2, 0xffff, v2
	v_and_b32_e32 v5, 7, v2
	v_ffbh_u32_e32 v7, v5
	v_min_u32_e32 v7, 32, v7
	v_subrev_u32_e32 v8, 28, v7
	v_bfe_u32 v6, v2, 3, 4
	v_lshlrev_b32_e32 v2, v8, v2
	v_sub_u32_e32 v7, 29, v7
	v_and_b32_e32 v2, 7, v2
	v_cmp_eq_u32_e32 vcc, 0, v6
	v_and_b32_e32 v3, 0x80000000, v3
	s_nop 0
	v_cndmask_b32_e32 v6, v6, v7, vcc
	v_cndmask_b32_e32 v2, v5, v2, vcc
	v_mov_b32_e32 v5, 0x3b800000
	v_lshlrev_b32_e32 v2, 20, v2
	v_lshl_add_u32 v5, v6, 23, v5
	v_or3_b32 v3, v3, v5, v2
.LBB104_165:
	s_or_b64 exec, exec, s[12:13]
	v_bfe_u32 v2, v3, 16, 1
	s_movk_i32 s0, 0x7fff
	v_add3_u32 v2, v3, v2, s0
	v_cmp_o_f32_e32 vcc, v3, v3
	v_mov_b32_e32 v3, 0x7fc0
	s_nop 0
	v_cndmask_b32_sdwa v2, v3, v2, vcc dst_sel:DWORD dst_unused:UNUSED_PAD src0_sel:DWORD src1_sel:WORD_1
.LBB104_166:
	s_mov_b64 s[0:1], -1
.LBB104_167:
	s_branch .LBB104_202
.LBB104_168:
	s_cmp_gt_i32 s22, 22
	s_cbranch_scc0 .LBB104_178
; %bb.169:
	s_cmp_lt_i32 s22, 24
	s_cbranch_scc1 .LBB104_181
; %bb.170:
	s_cmp_gt_i32 s22, 24
	s_cbranch_scc0 .LBB104_182
; %bb.171:
	global_load_ubyte v2, v[0:1], off
	s_movk_i32 s0, 0x7f
	s_waitcnt vmcnt(0)
	v_cmp_lt_i16_e32 vcc, s0, v2
	s_mov_b64 s[0:1], 0
	s_and_saveexec_b64 s[12:13], vcc
	s_xor_b64 s[12:13], exec, s[12:13]
	s_cbranch_execz .LBB104_194
; %bb.172:
	s_movk_i32 s0, 0x80
	v_cmp_eq_u16_e32 vcc, s0, v2
	s_mov_b64 s[0:1], -1
	s_and_saveexec_b64 s[18:19], vcc
; %bb.173:
	s_xor_b64 s[0:1], exec, -1
; %bb.174:
	s_or_b64 exec, exec, s[18:19]
	s_and_b64 s[0:1], s[0:1], exec
	s_or_saveexec_b64 s[12:13], s[12:13]
	v_mov_b32_e32 v3, 0x7f800001
	s_xor_b64 exec, exec, s[12:13]
	s_cbranch_execnz .LBB104_195
.LBB104_175:
	s_or_b64 exec, exec, s[12:13]
	s_and_saveexec_b64 s[12:13], s[0:1]
	s_cbranch_execz .LBB104_177
.LBB104_176:
	v_lshlrev_b32_e32 v3, 24, v2
	v_and_b32_e32 v2, 0xffff, v2
	v_and_b32_e32 v5, 3, v2
	v_ffbh_u32_e32 v7, v5
	v_min_u32_e32 v7, 32, v7
	v_subrev_u32_e32 v8, 29, v7
	v_bfe_u32 v6, v2, 2, 5
	v_lshlrev_b32_e32 v2, v8, v2
	v_sub_u32_e32 v7, 30, v7
	v_and_b32_e32 v2, 3, v2
	v_cmp_eq_u32_e32 vcc, 0, v6
	v_and_b32_e32 v3, 0x80000000, v3
	s_nop 0
	v_cndmask_b32_e32 v6, v6, v7, vcc
	v_cndmask_b32_e32 v2, v5, v2, vcc
	v_mov_b32_e32 v5, 0x37800000
	v_lshlrev_b32_e32 v2, 21, v2
	v_lshl_add_u32 v5, v6, 23, v5
	v_or3_b32 v3, v3, v5, v2
.LBB104_177:
	s_or_b64 exec, exec, s[12:13]
	v_bfe_u32 v2, v3, 16, 1
	s_movk_i32 s0, 0x7fff
	v_add3_u32 v2, v3, v2, s0
	v_cmp_o_f32_e32 vcc, v3, v3
	v_mov_b32_e32 v3, 0x7fc0
	s_mov_b64 s[0:1], 0
	v_cndmask_b32_sdwa v2, v3, v2, vcc dst_sel:DWORD dst_unused:UNUSED_PAD src0_sel:DWORD src1_sel:WORD_1
	s_branch .LBB104_183
.LBB104_178:
	s_mov_b64 s[12:13], -1
                                        ; implicit-def: $vgpr2
	s_branch .LBB104_189
.LBB104_179:
	s_or_saveexec_b64 s[12:13], s[12:13]
	v_mov_b32_e32 v3, 0x7f800001
	s_xor_b64 exec, exec, s[12:13]
	s_cbranch_execz .LBB104_163
.LBB104_180:
	v_cmp_ne_u16_e32 vcc, 0, v2
	s_andn2_b64 s[0:1], s[0:1], exec
	s_and_b64 s[18:19], vcc, exec
	v_mov_b32_e32 v3, 0
	s_or_b64 s[0:1], s[0:1], s[18:19]
	s_or_b64 exec, exec, s[12:13]
	s_and_saveexec_b64 s[12:13], s[0:1]
	s_cbranch_execnz .LBB104_164
	s_branch .LBB104_165
.LBB104_181:
	s_mov_b64 s[0:1], -1
                                        ; implicit-def: $vgpr2
	s_branch .LBB104_186
.LBB104_182:
	s_mov_b64 s[0:1], -1
                                        ; implicit-def: $vgpr2
.LBB104_183:
	s_and_b64 vcc, exec, s[0:1]
	s_cbranch_vccz .LBB104_185
; %bb.184:
	global_load_ubyte v2, v[0:1], off
	s_mov_b32 s0, 0x7f800000
	s_brev_b32 s1, 1
	s_movk_i32 s12, 0x7fff
	s_waitcnt vmcnt(0)
	v_lshlrev_b32_e32 v2, 24, v2
	v_and_b32_e32 v3, 0x7f000000, v2
	v_ffbh_u32_e32 v5, v3
	v_min_u32_e32 v5, 32, v5
	v_sub_u32_e64 v5, v5, 4 clamp
	v_lshlrev_b32_e32 v7, v5, v3
	v_lshlrev_b32_e32 v5, 23, v5
	v_lshrrev_b32_e32 v7, 4, v7
	v_add_u32_e32 v6, 0x1000000, v3
	v_sub_u32_e32 v5, v7, v5
	v_ashrrev_i32_e32 v6, 8, v6
	v_add_u32_e32 v5, 0x3c000000, v5
	v_and_or_b32 v5, v6, s0, v5
	v_cmp_ne_u32_e32 vcc, 0, v3
	s_nop 1
	v_cndmask_b32_e32 v3, 0, v5, vcc
	v_and_or_b32 v2, v2, s1, v3
	v_bfe_u32 v3, v3, 16, 1
	v_add3_u32 v3, v2, v3, s12
	v_cmp_o_f32_e32 vcc, v2, v2
	v_mov_b32_e32 v2, 0x7fc0
	s_nop 0
	v_cndmask_b32_sdwa v2, v2, v3, vcc dst_sel:DWORD dst_unused:UNUSED_PAD src0_sel:DWORD src1_sel:WORD_1
.LBB104_185:
	s_mov_b64 s[0:1], 0
.LBB104_186:
	s_andn2_b64 vcc, exec, s[0:1]
	s_cbranch_vccnz .LBB104_188
; %bb.187:
	global_load_ubyte v2, v[0:1], off
	s_movk_i32 s0, 0x7f00
	s_brev_b32 s1, 16
	s_brev_b32 s12, 1
	s_movk_i32 s13, 0x7fff
	s_waitcnt vmcnt(0)
	v_lshlrev_b16_e32 v3, 8, v2
	v_lshlrev_b32_e32 v2, 25, v2
	v_lshrrev_b32_e32 v5, 4, v2
	v_and_or_b32 v6, v3, s0, 0.5
	v_or_b32_e32 v5, 0x70000000, v5
	v_add_f32_e32 v6, -0.5, v6
	v_mul_f32_e32 v5, 0x7800000, v5
	v_cmp_gt_u32_e32 vcc, s1, v2
	v_bfe_i32 v3, v3, 0, 16
	s_nop 0
	v_cndmask_b32_e32 v2, v5, v6, vcc
	v_and_or_b32 v3, v3, s12, v2
	v_bfe_u32 v2, v2, 16, 1
	v_add3_u32 v2, v3, v2, s13
	v_cmp_o_f32_e32 vcc, v3, v3
	v_mov_b32_e32 v3, 0x7fc0
	s_nop 0
	v_cndmask_b32_sdwa v2, v3, v2, vcc dst_sel:DWORD dst_unused:UNUSED_PAD src0_sel:DWORD src1_sel:WORD_1
.LBB104_188:
	s_mov_b64 s[12:13], 0
	s_mov_b64 s[0:1], -1
.LBB104_189:
	s_andn2_b64 vcc, exec, s[12:13]
	s_cbranch_vccnz .LBB104_202
; %bb.190:
	s_cmp_gt_i32 s22, 14
	s_cbranch_scc0 .LBB104_193
; %bb.191:
	s_cmp_eq_u32 s22, 15
	s_cbranch_scc0 .LBB104_196
; %bb.192:
	global_load_ushort v2, v[0:1], off
	s_mov_b64 s[0:1], -1
	s_mov_b64 s[14:15], 0
	s_branch .LBB104_197
.LBB104_193:
	s_mov_b64 s[12:13], -1
                                        ; implicit-def: $vgpr2
	s_branch .LBB104_198
.LBB104_194:
	s_or_saveexec_b64 s[12:13], s[12:13]
	v_mov_b32_e32 v3, 0x7f800001
	s_xor_b64 exec, exec, s[12:13]
	s_cbranch_execz .LBB104_175
.LBB104_195:
	v_cmp_ne_u16_e32 vcc, 0, v2
	s_andn2_b64 s[0:1], s[0:1], exec
	s_and_b64 s[18:19], vcc, exec
	v_mov_b32_e32 v3, 0
	s_or_b64 s[0:1], s[0:1], s[18:19]
	s_or_b64 exec, exec, s[12:13]
	s_and_saveexec_b64 s[12:13], s[0:1]
	s_cbranch_execnz .LBB104_176
	s_branch .LBB104_177
.LBB104_196:
	s_mov_b64 s[14:15], -1
                                        ; implicit-def: $vgpr2
.LBB104_197:
	s_mov_b64 s[12:13], 0
.LBB104_198:
	s_and_b64 vcc, exec, s[12:13]
	s_cbranch_vccz .LBB104_202
; %bb.199:
	s_cmp_eq_u32 s22, 11
	s_cbranch_scc0 .LBB104_201
; %bb.200:
	global_load_ubyte v2, v[0:1], off
	s_mov_b64 s[0:1], -1
	s_mov_b64 s[14:15], 0
	s_waitcnt vmcnt(0)
	v_cmp_ne_u16_e32 vcc, 0, v2
	s_nop 1
	v_cndmask_b32_e64 v2, 0, 1.0, vcc
	v_lshrrev_b32_e32 v2, 16, v2
	s_branch .LBB104_202
.LBB104_201:
	s_mov_b64 s[14:15], -1
                                        ; implicit-def: $vgpr2
.LBB104_202:
	s_branch .LBB104_10
.LBB104_203:
	s_cmp_lt_i32 s22, 5
	s_cbranch_scc1 .LBB104_208
; %bb.204:
	s_cmp_lt_i32 s22, 8
	s_cbranch_scc1 .LBB104_209
; %bb.205:
	;; [unrolled: 3-line block ×3, first 2 shown]
	s_cmp_gt_i32 s22, 9
	s_cbranch_scc0 .LBB104_211
; %bb.207:
	global_load_dwordx2 v[2:3], v[0:1], off
	s_movk_i32 s0, 0x7fff
	v_mov_b32_e32 v5, 0x7fc0
	s_waitcnt vmcnt(0)
	v_cvt_f32_f64_e32 v2, v[2:3]
	v_bfe_u32 v3, v2, 16, 1
	v_cmp_o_f32_e32 vcc, v2, v2
	v_add3_u32 v2, v2, v3, s0
	s_mov_b64 s[0:1], 0
	v_cndmask_b32_sdwa v2, v5, v2, vcc dst_sel:DWORD dst_unused:UNUSED_PAD src0_sel:DWORD src1_sel:WORD_1
	s_branch .LBB104_212
.LBB104_208:
                                        ; implicit-def: $vgpr2
	s_branch .LBB104_230
.LBB104_209:
	s_mov_b64 s[0:1], -1
                                        ; implicit-def: $vgpr2
	s_branch .LBB104_218
.LBB104_210:
	s_mov_b64 s[0:1], -1
                                        ; implicit-def: $vgpr2
	s_branch .LBB104_215
.LBB104_211:
	s_mov_b64 s[0:1], -1
                                        ; implicit-def: $vgpr2
.LBB104_212:
	s_andn2_b64 vcc, exec, s[0:1]
	s_cbranch_vccnz .LBB104_214
; %bb.213:
	global_load_dword v2, v[0:1], off
	s_movk_i32 s0, 0x7fff
	v_mov_b32_e32 v3, 0x7fc0
	s_waitcnt vmcnt(0)
	v_bfe_u32 v5, v2, 16, 1
	v_cmp_o_f32_e32 vcc, v2, v2
	v_add3_u32 v2, v2, v5, s0
	s_nop 0
	v_cndmask_b32_sdwa v2, v3, v2, vcc dst_sel:DWORD dst_unused:UNUSED_PAD src0_sel:DWORD src1_sel:WORD_1
.LBB104_214:
	s_mov_b64 s[0:1], 0
.LBB104_215:
	s_andn2_b64 vcc, exec, s[0:1]
	s_cbranch_vccnz .LBB104_217
; %bb.216:
	global_load_dword v2, v[0:1], off
	s_movk_i32 s0, 0x7fff
	v_mov_b32_e32 v5, 0x7fc0
	s_waitcnt vmcnt(0)
	v_cvt_f32_f16_e32 v3, v2
	v_cmp_o_f16_e32 vcc, v2, v2
	v_bfe_u32 v2, v3, 16, 1
	v_add3_u32 v2, v3, v2, s0
	v_cndmask_b32_sdwa v2, v5, v2, vcc dst_sel:DWORD dst_unused:UNUSED_PAD src0_sel:DWORD src1_sel:WORD_1
.LBB104_217:
	s_mov_b64 s[0:1], 0
.LBB104_218:
	s_andn2_b64 vcc, exec, s[0:1]
	s_cbranch_vccnz .LBB104_229
; %bb.219:
	s_cmp_lt_i32 s22, 6
	s_cbranch_scc1 .LBB104_222
; %bb.220:
	s_cmp_gt_i32 s22, 6
	s_cbranch_scc0 .LBB104_223
; %bb.221:
	global_load_dwordx2 v[2:3], v[0:1], off
	s_movk_i32 s0, 0x7fff
	v_mov_b32_e32 v5, 0x7fc0
	s_waitcnt vmcnt(0)
	v_cvt_f32_f64_e32 v2, v[2:3]
	v_bfe_u32 v3, v2, 16, 1
	v_cmp_o_f32_e32 vcc, v2, v2
	v_add3_u32 v2, v2, v3, s0
	s_mov_b64 s[0:1], 0
	v_cndmask_b32_sdwa v2, v5, v2, vcc dst_sel:DWORD dst_unused:UNUSED_PAD src0_sel:DWORD src1_sel:WORD_1
	s_branch .LBB104_224
.LBB104_222:
	s_mov_b64 s[0:1], -1
                                        ; implicit-def: $vgpr2
	s_branch .LBB104_227
.LBB104_223:
	s_mov_b64 s[0:1], -1
                                        ; implicit-def: $vgpr2
.LBB104_224:
	s_andn2_b64 vcc, exec, s[0:1]
	s_cbranch_vccnz .LBB104_226
; %bb.225:
	global_load_dword v2, v[0:1], off
	s_movk_i32 s0, 0x7fff
	v_mov_b32_e32 v3, 0x7fc0
	s_waitcnt vmcnt(0)
	v_bfe_u32 v5, v2, 16, 1
	v_cmp_o_f32_e32 vcc, v2, v2
	v_add3_u32 v2, v2, v5, s0
	s_nop 0
	v_cndmask_b32_sdwa v2, v3, v2, vcc dst_sel:DWORD dst_unused:UNUSED_PAD src0_sel:DWORD src1_sel:WORD_1
.LBB104_226:
	s_mov_b64 s[0:1], 0
.LBB104_227:
	s_andn2_b64 vcc, exec, s[0:1]
	s_cbranch_vccnz .LBB104_229
; %bb.228:
	global_load_ushort v2, v[0:1], off
	s_movk_i32 s0, 0x7fff
	v_mov_b32_e32 v5, 0x7fc0
	s_waitcnt vmcnt(0)
	v_cvt_f32_f16_e32 v3, v2
	v_cmp_o_f16_e32 vcc, v2, v2
	v_bfe_u32 v2, v3, 16, 1
	v_add3_u32 v2, v3, v2, s0
	v_cndmask_b32_sdwa v2, v5, v2, vcc dst_sel:DWORD dst_unused:UNUSED_PAD src0_sel:DWORD src1_sel:WORD_1
.LBB104_229:
	s_cbranch_execnz .LBB104_249
.LBB104_230:
	s_cmp_lt_i32 s22, 2
	s_cbranch_scc1 .LBB104_234
; %bb.231:
	s_cmp_lt_i32 s22, 3
	s_cbranch_scc1 .LBB104_235
; %bb.232:
	s_cmp_gt_i32 s22, 3
	s_cbranch_scc0 .LBB104_236
; %bb.233:
	global_load_dwordx2 v[2:3], v[0:1], off
	s_movk_i32 s0, 0x7fff
	s_waitcnt vmcnt(0)
	v_xor_b32_e32 v6, v2, v3
	v_ffbh_i32_e32 v5, v3
	v_ashrrev_i32_e32 v6, 31, v6
	v_add_u32_e32 v5, -1, v5
	v_add_u32_e32 v6, 32, v6
	v_min_u32_e32 v5, v5, v6
	v_lshlrev_b64 v[2:3], v5, v[2:3]
	v_min_u32_e32 v2, 1, v2
	v_or_b32_e32 v2, v3, v2
	v_cvt_f32_i32_e32 v2, v2
	v_sub_u32_e32 v3, 32, v5
	v_ldexp_f32 v2, v2, v3
	v_bfe_u32 v3, v2, 16, 1
	v_add3_u32 v2, v2, v3, s0
	v_lshrrev_b32_e32 v2, 16, v2
	s_mov_b64 s[0:1], 0
	s_branch .LBB104_237
.LBB104_234:
	s_mov_b64 s[0:1], -1
                                        ; implicit-def: $vgpr2
	s_branch .LBB104_243
.LBB104_235:
	s_mov_b64 s[0:1], -1
                                        ; implicit-def: $vgpr2
	s_branch .LBB104_240
.LBB104_236:
	s_mov_b64 s[0:1], -1
                                        ; implicit-def: $vgpr2
.LBB104_237:
	s_andn2_b64 vcc, exec, s[0:1]
	s_cbranch_vccnz .LBB104_239
; %bb.238:
	global_load_dword v2, v[0:1], off
	s_movk_i32 s0, 0x7fff
	s_waitcnt vmcnt(0)
	v_cvt_f32_i32_e32 v2, v2
	v_bfe_u32 v3, v2, 16, 1
	v_add3_u32 v2, v2, v3, s0
	v_lshrrev_b32_e32 v2, 16, v2
.LBB104_239:
	s_mov_b64 s[0:1], 0
.LBB104_240:
	s_andn2_b64 vcc, exec, s[0:1]
	s_cbranch_vccnz .LBB104_242
; %bb.241:
	global_load_sshort v2, v[0:1], off
	s_movk_i32 s0, 0x7fff
	s_waitcnt vmcnt(0)
	v_cvt_f32_i32_e32 v2, v2
	v_bfe_u32 v3, v2, 16, 1
	v_add3_u32 v2, v2, v3, s0
	v_lshrrev_b32_e32 v2, 16, v2
.LBB104_242:
	s_mov_b64 s[0:1], 0
.LBB104_243:
	s_andn2_b64 vcc, exec, s[0:1]
	s_cbranch_vccnz .LBB104_249
; %bb.244:
	s_cmp_gt_i32 s22, 0
	s_cbranch_scc0 .LBB104_246
; %bb.245:
	global_load_sbyte v2, v[0:1], off
	s_movk_i32 s0, 0x7fff
	s_waitcnt vmcnt(0)
	v_cvt_f32_i32_e32 v2, v2
	v_bfe_u32 v3, v2, 16, 1
	v_add3_u32 v2, v2, v3, s0
	v_lshrrev_b32_e32 v2, 16, v2
	s_mov_b64 s[0:1], 0
	s_branch .LBB104_247
.LBB104_246:
	s_mov_b64 s[0:1], -1
                                        ; implicit-def: $vgpr2
.LBB104_247:
	s_andn2_b64 vcc, exec, s[0:1]
	s_cbranch_vccnz .LBB104_249
; %bb.248:
	global_load_ubyte v0, v[0:1], off
	s_movk_i32 s0, 0x7fff
	s_waitcnt vmcnt(0)
	v_cvt_f32_ubyte0_e32 v0, v0
	v_bfe_u32 v1, v0, 16, 1
	v_add3_u32 v0, v0, v1, s0
	v_lshrrev_b32_e32 v2, 16, v0
.LBB104_249:
	s_branch .LBB104_11
.LBB104_250:
	s_mov_b64 s[0:1], 0
                                        ; implicit-def: $vgpr4
	s_mov_b64 s[18:19], 0
.LBB104_251:
	s_and_b64 s[12:13], s[0:1], exec
	s_and_b64 s[14:15], s[14:15], exec
	s_orn2_b64 s[18:19], s[18:19], exec
.LBB104_252:
	s_or_b64 exec, exec, s[16:17]
	s_mov_b64 s[22:23], 0
	s_mov_b64 s[0:1], 0
                                        ; implicit-def: $vgpr0_vgpr1
                                        ; implicit-def: $vgpr3
	s_and_saveexec_b64 s[16:17], s[18:19]
	s_cbranch_execz .LBB104_261
; %bb.253:
	v_cmp_gt_i32_e32 vcc, s38, v4
	s_mov_b64 s[0:1], -1
	s_mov_b64 s[18:19], s[14:15]
	s_mov_b64 s[20:21], s[12:13]
	s_and_saveexec_b64 s[22:23], vcc
	s_cbranch_execz .LBB104_514
; %bb.254:
	v_mul_lo_u32 v0, v4, s9
	v_ashrrev_i32_e32 v1, 31, v0
	s_and_b32 s26, 0xffff, s42
	s_cmp_lt_i32 s26, 11
	v_lshl_add_u64 v[0:1], s[6:7], 0, v[0:1]
	s_cbranch_scc1 .LBB104_264
; %bb.255:
	s_cmp_gt_i32 s26, 25
	s_cbranch_scc0 .LBB104_273
; %bb.256:
	s_cmp_gt_i32 s26, 28
	s_cbranch_scc0 .LBB104_275
; %bb.257:
	s_cmp_gt_i32 s26, 43
	s_cbranch_scc0 .LBB104_277
; %bb.258:
	s_cmp_gt_i32 s26, 45
	s_cbranch_scc0 .LBB104_281
; %bb.259:
	s_cmp_eq_u32 s26, 46
	s_mov_b64 s[20:21], 0
	s_cbranch_scc0 .LBB104_285
; %bb.260:
	global_load_dword v2, v[0:1], off
	s_mov_b64 s[18:19], 0
	s_branch .LBB104_286
.LBB104_261:
	s_or_b64 exec, exec, s[16:17]
	s_mov_b64 s[16:17], 0
	s_and_saveexec_b64 s[18:19], s[14:15]
	s_cbranch_execnz .LBB104_861
.LBB104_262:
	s_or_b64 exec, exec, s[18:19]
	s_and_saveexec_b64 s[14:15], s[20:21]
	s_xor_b64 s[14:15], exec, s[14:15]
	s_cbranch_execz .LBB104_862
.LBB104_263:
	global_load_ubyte v2, v[0:1], off
	s_or_b64 s[0:1], s[0:1], exec
	s_waitcnt vmcnt(0)
	v_cmp_ne_u16_e32 vcc, 0, v2
	s_nop 1
	v_cndmask_b32_e64 v2, 0, 1.0, vcc
	v_lshrrev_b32_e32 v3, 16, v2
	s_or_b64 exec, exec, s[14:15]
	s_and_saveexec_b64 s[14:15], s[22:23]
	s_cbranch_execz .LBB104_908
	s_branch .LBB104_863
.LBB104_264:
	s_mov_b64 s[0:1], 0
                                        ; implicit-def: $vgpr2
	s_mov_b64 s[18:19], s[14:15]
	s_cbranch_execnz .LBB104_463
.LBB104_265:
	s_andn2_b64 vcc, exec, s[0:1]
	s_cbranch_vccnz .LBB104_511
.LBB104_266:
	s_waitcnt vmcnt(0)
	v_lshlrev_b32_e32 v0, 16, v2
	v_mul_f32_e32 v1, 0x3fb8aa3b, v0
	s_mov_b32 s0, 0x3fb8aa3b
	v_rndne_f32_e32 v2, v1
	v_sub_f32_e32 v3, v1, v2
	v_fma_f32 v1, v0, s0, -v1
	v_fmamk_f32 v1, v0, 0x32a5705f, v1
	v_add_f32_e32 v1, v3, v1
	v_exp_f32_e32 v1, v1
	v_cvt_i32_f32_e32 v2, v2
	s_mov_b32 s0, 0xc2ce8ed0
	v_cmp_ngt_f32_e32 vcc, s0, v0
	s_mov_b32 s0, 0x42b17218
	v_ldexp_f32 v1, v1, v2
	v_cndmask_b32_e32 v1, 0, v1, vcc
	v_mov_b32_e32 v2, 0x7f800000
	v_cmp_nlt_f32_e32 vcc, s0, v0
	s_movk_i32 s0, 0x7fff
	s_and_b32 s28, s33, 0xff
	v_cndmask_b32_e32 v0, v2, v1, vcc
	v_bfe_u32 v1, v0, 16, 1
	v_add3_u32 v1, v0, v1, s0
	v_cmp_o_f32_e32 vcc, v0, v0
	v_mov_b32_e32 v0, 0x7fc0
	s_cmp_lt_i32 s28, 11
	v_cndmask_b32_sdwa v2, v0, v1, vcc dst_sel:DWORD dst_unused:UNUSED_PAD src0_sel:DWORD src1_sel:WORD_1
	v_mul_lo_u32 v0, v4, s8
	v_ashrrev_i32_e32 v1, 31, v0
	v_lshl_add_u64 v[0:1], s[4:5], 0, v[0:1]
	s_cbranch_scc1 .LBB104_274
; %bb.267:
	s_and_b32 s29, 0xffff, s28
	s_cmp_gt_i32 s29, 25
	s_cbranch_scc0 .LBB104_276
; %bb.268:
	s_cmp_gt_i32 s29, 28
	s_cbranch_scc0 .LBB104_278
; %bb.269:
	s_cmp_gt_i32 s29, 43
	s_cbranch_scc0 .LBB104_282
; %bb.270:
	s_cmp_gt_i32 s29, 45
	s_cbranch_scc0 .LBB104_289
; %bb.271:
	s_mov_b64 s[24:25], 0
	s_mov_b64 s[0:1], -1
	s_cmp_eq_u32 s29, 46
	s_mov_b64 s[20:21], 0
	s_cbranch_scc0 .LBB104_290
; %bb.272:
	v_and_b32_e32 v3, 0xffff, v2
	global_store_dword v[0:1], v3, off
	s_mov_b64 s[20:21], -1
	s_mov_b64 s[0:1], 0
	s_branch .LBB104_290
.LBB104_273:
	s_mov_b64 s[20:21], -1
	s_mov_b64 s[0:1], 0
	s_mov_b64 s[18:19], s[14:15]
                                        ; implicit-def: $vgpr2
	s_branch .LBB104_427
.LBB104_274:
	s_mov_b64 s[24:25], -1
	s_mov_b64 s[20:21], 0
	s_mov_b64 s[0:1], s[12:13]
	s_branch .LBB104_359
.LBB104_275:
	s_mov_b64 s[20:21], -1
	s_mov_b64 s[0:1], 0
	s_mov_b64 s[18:19], s[14:15]
                                        ; implicit-def: $vgpr2
	s_branch .LBB104_408
.LBB104_276:
	s_mov_b64 s[24:25], -1
	s_mov_b64 s[20:21], 0
	s_mov_b64 s[0:1], s[12:13]
	s_branch .LBB104_317
.LBB104_277:
	s_mov_b64 s[20:21], -1
	s_mov_b64 s[0:1], 0
	s_mov_b64 s[18:19], s[14:15]
                                        ; implicit-def: $vgpr2
	s_branch .LBB104_403
.LBB104_278:
	s_mov_b64 s[24:25], -1
	s_mov_b64 s[20:21], 0
	s_mov_b64 s[0:1], s[12:13]
	s_branch .LBB104_300
.LBB104_279:
	s_andn2_saveexec_b64 s[22:23], s[22:23]
	s_cbranch_execz .LBB104_55
.LBB104_280:
	s_mov_b32 s26, 0x46000000
	v_add_f32_e64 v5, |v6|, s26
	v_and_b32_e32 v5, 0xff, v5
	v_cmp_ne_u32_e32 vcc, 0, v5
	s_andn2_b64 s[18:19], s[18:19], exec
	s_and_b64 s[26:27], vcc, exec
	s_or_b64 s[18:19], s[18:19], s[26:27]
	s_or_b64 exec, exec, s[22:23]
	v_mov_b32_e32 v7, 0
	s_and_saveexec_b64 s[22:23], s[18:19]
	s_cbranch_execnz .LBB104_56
	s_branch .LBB104_57
.LBB104_281:
	s_mov_b64 s[20:21], -1
	s_mov_b64 s[0:1], 0
	s_mov_b64 s[18:19], s[14:15]
                                        ; implicit-def: $vgpr2
	s_branch .LBB104_286
.LBB104_282:
	s_mov_b64 s[24:25], -1
	s_mov_b64 s[20:21], 0
	s_mov_b64 s[0:1], s[12:13]
	s_branch .LBB104_296
.LBB104_283:
	s_andn2_saveexec_b64 s[22:23], s[22:23]
	s_cbranch_execz .LBB104_68
.LBB104_284:
	s_mov_b32 s26, 0x42800000
	v_add_f32_e64 v5, |v6|, s26
	v_and_b32_e32 v5, 0xff, v5
	v_cmp_ne_u32_e32 vcc, 0, v5
	s_andn2_b64 s[18:19], s[18:19], exec
	s_and_b64 s[26:27], vcc, exec
	s_or_b64 s[18:19], s[18:19], s[26:27]
	s_or_b64 exec, exec, s[22:23]
	v_mov_b32_e32 v7, 0
	s_and_saveexec_b64 s[22:23], s[18:19]
	s_cbranch_execnz .LBB104_69
	s_branch .LBB104_70
.LBB104_285:
	s_mov_b64 s[18:19], -1
                                        ; implicit-def: $vgpr2
	s_mov_b64 s[0:1], 0
.LBB104_286:
	s_and_b64 vcc, exec, s[20:21]
	s_cbranch_vccz .LBB104_402
; %bb.287:
	s_cmp_eq_u32 s26, 44
	s_cbranch_scc0 .LBB104_401
; %bb.288:
	global_load_ubyte v2, v[0:1], off
	s_movk_i32 s18, 0xff
	v_mov_b32_e32 v3, 0x7f800001
	v_mov_b32_e32 v5, 0x400000
	;; [unrolled: 1-line block ×3, first 2 shown]
	s_mov_b64 s[0:1], -1
	s_waitcnt vmcnt(0)
	v_lshlrev_b32_e32 v7, 23, v2
	v_cmp_ne_u32_e32 vcc, s18, v2
	s_mov_b64 s[18:19], 0
	s_nop 0
	v_cndmask_b32_e32 v3, v3, v7, vcc
	v_cmp_ne_u32_e32 vcc, 0, v2
	s_nop 1
	v_cndmask_b32_e32 v2, v5, v3, vcc
	v_add_u32_e32 v3, 0x7fff, v2
	v_cmp_o_f32_e32 vcc, v2, v2
	s_nop 1
	v_cndmask_b32_sdwa v2, v6, v3, vcc dst_sel:DWORD dst_unused:UNUSED_PAD src0_sel:DWORD src1_sel:WORD_1
	s_branch .LBB104_402
.LBB104_289:
	s_mov_b64 s[24:25], -1
	s_mov_b64 s[20:21], 0
	s_mov_b64 s[0:1], s[12:13]
.LBB104_290:
	s_and_b64 vcc, exec, s[24:25]
	s_cbranch_vccz .LBB104_295
; %bb.291:
	s_cmp_eq_u32 s29, 44
	s_mov_b64 s[0:1], -1
	s_cbranch_scc0 .LBB104_295
; %bb.292:
	v_and_b32_e32 v5, 0xffff, v2
	v_bfe_u32 v3, v5, 7, 8
	s_movk_i32 s0, 0xff
	v_cmp_ne_u32_e32 vcc, s0, v3
	v_mov_b32_e32 v6, 0xff
	s_and_saveexec_b64 s[20:21], vcc
	s_cbranch_execz .LBB104_294
; %bb.293:
	v_lshlrev_b32_e32 v7, 16, v5
	s_mov_b32 s0, 0x3f0000
	v_lshrrev_b32_e32 v6, 7, v5
	v_and_b32_e32 v5, 64, v5
	v_and_or_b32 v3, v7, s0, v3
	v_cmp_ne_u32_e32 vcc, 0, v5
	v_cmp_ne_u32_e64 s[0:1], 0, v3
	s_and_b64 s[0:1], vcc, s[0:1]
	s_nop 0
	v_cndmask_b32_e64 v3, 0, 1, s[0:1]
	v_add_u32_e32 v6, v6, v3
.LBB104_294:
	s_or_b64 exec, exec, s[20:21]
	s_mov_b64 s[20:21], -1
	s_mov_b64 s[0:1], 0
	global_store_byte v[0:1], v6, off
.LBB104_295:
	s_mov_b64 s[24:25], 0
.LBB104_296:
	s_and_b64 vcc, exec, s[24:25]
	s_cbranch_vccz .LBB104_299
; %bb.297:
	s_cmp_eq_u32 s29, 29
	s_mov_b64 s[0:1], -1
	s_cbranch_scc0 .LBB104_299
; %bb.298:
	v_lshlrev_b32_e32 v3, 16, v2
	v_trunc_f32_e32 v3, v3
	v_mul_f32_e32 v5, 0x2f800000, v3
	v_floor_f32_e32 v5, v5
	v_fmamk_f32 v3, v5, 0xcf800000, v3
	v_cvt_u32_f32_e32 v7, v5
	v_cvt_u32_f32_e32 v6, v3
	s_mov_b64 s[20:21], -1
	s_mov_b64 s[0:1], 0
	s_mov_b64 s[24:25], 0
	global_store_dwordx2 v[0:1], v[6:7], off
	s_branch .LBB104_300
.LBB104_299:
	s_mov_b64 s[24:25], 0
.LBB104_300:
	s_and_b64 vcc, exec, s[24:25]
	s_cbranch_vccz .LBB104_316
; %bb.301:
	s_cmp_lt_i32 s29, 27
	s_mov_b64 s[20:21], -1
	s_cbranch_scc1 .LBB104_307
; %bb.302:
	s_cmp_gt_i32 s29, 27
	s_cbranch_scc0 .LBB104_304
; %bb.303:
	v_lshlrev_b32_e32 v3, 16, v2
	v_cvt_u32_f32_e32 v3, v3
	s_mov_b64 s[20:21], 0
	global_store_dword v[0:1], v3, off
.LBB104_304:
	s_andn2_b64 vcc, exec, s[20:21]
	s_cbranch_vccnz .LBB104_306
; %bb.305:
	v_lshlrev_b32_e32 v3, 16, v2
	v_cvt_u32_f32_e32 v3, v3
	global_store_short v[0:1], v3, off
.LBB104_306:
	s_mov_b64 s[20:21], 0
.LBB104_307:
	s_andn2_b64 vcc, exec, s[20:21]
	s_cbranch_vccnz .LBB104_315
; %bb.308:
	v_lshlrev_b32_e32 v6, 16, v2
	v_and_b32_e32 v5, 0x7fffffff, v6
	s_mov_b32 s20, 0x43800000
	v_cmp_gt_u32_e32 vcc, s20, v5
	v_mov_b32_e32 v7, 0x80
	s_and_saveexec_b64 s[20:21], vcc
	s_cbranch_execz .LBB104_314
; %bb.309:
	s_mov_b32 s24, 0x3bffffff
	v_and_b32_e32 v3, 0xffff, v2
	v_cmp_lt_u32_e32 vcc, s24, v5
	s_mov_b64 s[24:25], 0
                                        ; implicit-def: $vgpr5
	s_and_saveexec_b64 s[26:27], vcc
	s_xor_b64 s[26:27], exec, s[26:27]
	s_cbranch_execz .LBB104_527
; %bb.310:
	v_bfe_u32 v5, v3, 4, 1
	s_mov_b32 s30, 0x487ffff
	v_add3_u32 v5, v6, v5, s30
	s_mov_b64 s[24:25], exec
	v_lshrrev_b32_e32 v5, 20, v5
                                        ; implicit-def: $vgpr6
	s_andn2_saveexec_b64 s[26:27], s[26:27]
	s_cbranch_execnz .LBB104_528
.LBB104_311:
	s_or_b64 exec, exec, s[26:27]
	v_mov_b32_e32 v7, 0
	s_and_saveexec_b64 s[26:27], s[24:25]
.LBB104_312:
	v_lshrrev_b32_e32 v3, 8, v3
	s_movk_i32 s24, 0x80
	v_and_or_b32 v7, v3, s24, v5
.LBB104_313:
	s_or_b64 exec, exec, s[26:27]
.LBB104_314:
	s_or_b64 exec, exec, s[20:21]
	global_store_byte v[0:1], v7, off
.LBB104_315:
	s_mov_b64 s[20:21], -1
.LBB104_316:
	s_mov_b64 s[24:25], 0
.LBB104_317:
	s_and_b64 vcc, exec, s[24:25]
	s_cbranch_vccz .LBB104_358
; %bb.318:
	s_cmp_gt_i32 s29, 22
	s_mov_b64 s[24:25], -1
	s_cbranch_scc0 .LBB104_350
; %bb.319:
	s_cmp_lt_i32 s29, 24
	s_mov_b64 s[20:21], -1
	s_cbranch_scc1 .LBB104_339
; %bb.320:
	s_cmp_gt_i32 s29, 24
	s_cbranch_scc0 .LBB104_328
; %bb.321:
	v_lshlrev_b32_e32 v6, 16, v2
	v_and_b32_e32 v5, 0x7fffffff, v6
	s_mov_b32 s20, 0x47800000
	v_cmp_gt_u32_e32 vcc, s20, v5
	v_mov_b32_e32 v7, 0x80
	s_and_saveexec_b64 s[20:21], vcc
	s_cbranch_execz .LBB104_327
; %bb.322:
	s_mov_b32 s24, 0x37ffffff
	v_and_b32_e32 v3, 0xffff, v2
	v_cmp_lt_u32_e32 vcc, s24, v5
	s_mov_b64 s[24:25], 0
                                        ; implicit-def: $vgpr5
	s_and_saveexec_b64 s[26:27], vcc
	s_xor_b64 s[26:27], exec, s[26:27]
	s_cbranch_execz .LBB104_530
; %bb.323:
	v_bfe_u32 v5, v3, 5, 1
	s_mov_b32 s30, 0x88fffff
	v_add3_u32 v5, v6, v5, s30
	s_mov_b64 s[24:25], exec
	v_lshrrev_b32_e32 v5, 21, v5
                                        ; implicit-def: $vgpr6
	s_andn2_saveexec_b64 s[26:27], s[26:27]
	s_cbranch_execnz .LBB104_531
.LBB104_324:
	s_or_b64 exec, exec, s[26:27]
	v_mov_b32_e32 v7, 0
	s_and_saveexec_b64 s[26:27], s[24:25]
.LBB104_325:
	v_lshrrev_b32_e32 v3, 8, v3
	s_movk_i32 s24, 0x80
	v_and_or_b32 v7, v3, s24, v5
.LBB104_326:
	s_or_b64 exec, exec, s[26:27]
.LBB104_327:
	s_or_b64 exec, exec, s[20:21]
	s_mov_b64 s[20:21], 0
	global_store_byte v[0:1], v7, off
.LBB104_328:
	s_and_b64 vcc, exec, s[20:21]
	s_cbranch_vccz .LBB104_338
; %bb.329:
	v_lshlrev_b32_e32 v6, 16, v2
	v_and_b32_e32 v7, 0x7fffffff, v6
	s_mov_b32 s20, 0x43f00000
	v_and_b32_e32 v3, 0xffff, v2
	v_cmp_gt_u32_e32 vcc, s20, v7
                                        ; implicit-def: $vgpr5
	s_and_saveexec_b64 s[20:21], vcc
	s_xor_b64 s[20:21], exec, s[20:21]
	s_cbranch_execz .LBB104_335
; %bb.330:
	s_mov_b32 s24, 0x3c7fffff
	v_cmp_lt_u32_e32 vcc, s24, v7
                                        ; implicit-def: $vgpr5
	s_and_saveexec_b64 s[24:25], vcc
	s_xor_b64 s[24:25], exec, s[24:25]
; %bb.331:
	v_bfe_u32 v5, v3, 4, 1
	s_mov_b32 s26, 0x407ffff
	v_add3_u32 v5, v6, v5, s26
	v_lshrrev_b32_e32 v6, 20, v5
	v_and_b32_e32 v5, 0xff00000, v5
	s_mov_b32 s26, 0x7f00000
	v_mov_b32_e32 v7, 0x7e
	v_cmp_ne_u32_e32 vcc, s26, v5
	s_nop 1
	v_cndmask_b32_e32 v5, v7, v6, vcc
                                        ; implicit-def: $vgpr6
; %bb.332:
	s_andn2_saveexec_b64 s[24:25], s[24:25]
; %bb.333:
	s_mov_b32 s26, 0x46800000
	v_add_f32_e64 v5, |v6|, s26
; %bb.334:
	s_or_b64 exec, exec, s[24:25]
                                        ; implicit-def: $vgpr7
.LBB104_335:
	s_andn2_saveexec_b64 s[20:21], s[20:21]
; %bb.336:
	s_mov_b32 s24, 0x7f800000
	v_mov_b32_e32 v5, 0x7e
	v_mov_b32_e32 v6, 0x7f
	v_cmp_lt_u32_e32 vcc, s24, v7
	s_nop 1
	v_cndmask_b32_e32 v5, v5, v6, vcc
; %bb.337:
	s_or_b64 exec, exec, s[20:21]
	v_lshrrev_b32_e32 v3, 8, v3
	s_movk_i32 s20, 0x80
	v_and_or_b32 v3, v3, s20, v5
	global_store_byte v[0:1], v3, off
.LBB104_338:
	s_mov_b64 s[20:21], 0
.LBB104_339:
	s_andn2_b64 vcc, exec, s[20:21]
	s_cbranch_vccnz .LBB104_349
; %bb.340:
	v_lshlrev_b32_e32 v6, 16, v2
	v_and_b32_e32 v7, 0x7fffffff, v6
	s_mov_b32 s20, 0x47800000
	v_and_b32_e32 v3, 0xffff, v2
	v_cmp_gt_u32_e32 vcc, s20, v7
                                        ; implicit-def: $vgpr5
	s_and_saveexec_b64 s[20:21], vcc
	s_xor_b64 s[20:21], exec, s[20:21]
	s_cbranch_execz .LBB104_346
; %bb.341:
	s_mov_b32 s24, 0x387fffff
	v_cmp_lt_u32_e32 vcc, s24, v7
                                        ; implicit-def: $vgpr5
	s_and_saveexec_b64 s[24:25], vcc
	s_xor_b64 s[24:25], exec, s[24:25]
; %bb.342:
	v_bfe_u32 v5, v3, 5, 1
	s_mov_b32 s26, 0x80fffff
	v_add3_u32 v5, v6, v5, s26
	v_lshrrev_b32_e32 v5, 21, v5
                                        ; implicit-def: $vgpr6
; %bb.343:
	s_andn2_saveexec_b64 s[24:25], s[24:25]
; %bb.344:
	s_mov_b32 s26, 0x43000000
	v_add_f32_e64 v5, |v6|, s26
; %bb.345:
	s_or_b64 exec, exec, s[24:25]
                                        ; implicit-def: $vgpr7
.LBB104_346:
	s_andn2_saveexec_b64 s[20:21], s[20:21]
; %bb.347:
	s_mov_b32 s24, 0x7f800000
	v_mov_b32_e32 v5, 0x7c
	v_mov_b32_e32 v6, 0x7f
	v_cmp_lt_u32_e32 vcc, s24, v7
	s_nop 1
	v_cndmask_b32_e32 v5, v5, v6, vcc
; %bb.348:
	s_or_b64 exec, exec, s[20:21]
	v_lshrrev_b32_e32 v3, 8, v3
	s_movk_i32 s20, 0x80
	v_and_or_b32 v3, v3, s20, v5
	global_store_byte v[0:1], v3, off
.LBB104_349:
	s_mov_b64 s[24:25], 0
	s_mov_b64 s[20:21], -1
.LBB104_350:
	s_andn2_b64 vcc, exec, s[24:25]
	s_cbranch_vccnz .LBB104_358
; %bb.351:
	s_cmp_gt_i32 s29, 14
	s_mov_b64 s[24:25], -1
	s_cbranch_scc0 .LBB104_355
; %bb.352:
	s_cmp_eq_u32 s29, 15
	s_mov_b64 s[0:1], -1
	s_cbranch_scc0 .LBB104_354
; %bb.353:
	global_store_short v[0:1], v2, off
	s_mov_b64 s[20:21], -1
	s_mov_b64 s[0:1], 0
.LBB104_354:
	s_mov_b64 s[24:25], 0
.LBB104_355:
	s_and_b64 vcc, exec, s[24:25]
	s_cbranch_vccz .LBB104_358
; %bb.356:
	s_cmp_eq_u32 s29, 11
	s_mov_b64 s[0:1], -1
	s_cbranch_scc0 .LBB104_358
; %bb.357:
	v_and_b32_e32 v3, 0x7fff, v2
	v_cmp_ne_u16_e32 vcc, 0, v3
	s_mov_b64 s[20:21], -1
	s_mov_b64 s[0:1], 0
	v_cndmask_b32_e64 v3, 0, 1, vcc
	global_store_byte v[0:1], v3, off
.LBB104_358:
	s_mov_b64 s[24:25], 0
.LBB104_359:
	s_and_b64 vcc, exec, s[24:25]
	s_cbranch_vccz .LBB104_398
; %bb.360:
	s_and_b32 s24, 0xffff, s28
	s_cmp_lt_i32 s24, 5
	s_mov_b64 s[20:21], -1
	s_cbranch_scc1 .LBB104_381
; %bb.361:
	s_cmp_lt_i32 s24, 8
	s_cbranch_scc1 .LBB104_371
; %bb.362:
	s_cmp_lt_i32 s24, 9
	s_cbranch_scc1 .LBB104_368
; %bb.363:
	s_cmp_gt_i32 s24, 9
	s_cbranch_scc0 .LBB104_365
; %bb.364:
	v_lshlrev_b32_e32 v3, 16, v2
	v_mov_b32_e32 v8, 0
	v_cvt_f64_f32_e32 v[6:7], v3
	v_mov_b32_e32 v9, v8
	s_mov_b64 s[20:21], 0
	global_store_dwordx4 v[0:1], v[6:9], off
.LBB104_365:
	s_andn2_b64 vcc, exec, s[20:21]
	s_cbranch_vccnz .LBB104_367
; %bb.366:
	v_lshlrev_b32_e32 v6, 16, v2
	v_mov_b32_e32 v7, 0
	global_store_dwordx2 v[0:1], v[6:7], off
.LBB104_367:
	s_mov_b64 s[20:21], 0
.LBB104_368:
	s_andn2_b64 vcc, exec, s[20:21]
	s_cbranch_vccnz .LBB104_370
; %bb.369:
	v_lshlrev_b32_e32 v3, 16, v2
	v_cvt_f16_f32_e32 v3, v3
	global_store_dword v[0:1], v3, off
.LBB104_370:
	s_mov_b64 s[20:21], 0
.LBB104_371:
	s_andn2_b64 vcc, exec, s[20:21]
	s_cbranch_vccnz .LBB104_380
; %bb.372:
	s_cmp_lt_i32 s24, 6
	s_mov_b64 s[20:21], -1
	s_cbranch_scc1 .LBB104_378
; %bb.373:
	s_cmp_gt_i32 s24, 6
	s_cbranch_scc0 .LBB104_375
; %bb.374:
	v_lshlrev_b32_e32 v3, 16, v2
	v_cvt_f64_f32_e32 v[6:7], v3
	s_mov_b64 s[20:21], 0
	global_store_dwordx2 v[0:1], v[6:7], off
.LBB104_375:
	s_andn2_b64 vcc, exec, s[20:21]
	s_cbranch_vccnz .LBB104_377
; %bb.376:
	v_lshlrev_b32_e32 v3, 16, v2
	global_store_dword v[0:1], v3, off
.LBB104_377:
	s_mov_b64 s[20:21], 0
.LBB104_378:
	s_andn2_b64 vcc, exec, s[20:21]
	s_cbranch_vccnz .LBB104_380
; %bb.379:
	v_lshlrev_b32_e32 v3, 16, v2
	v_cvt_f16_f32_e32 v3, v3
	global_store_short v[0:1], v3, off
.LBB104_380:
	s_mov_b64 s[20:21], 0
.LBB104_381:
	s_andn2_b64 vcc, exec, s[20:21]
	s_cbranch_vccnz .LBB104_397
; %bb.382:
	s_cmp_lt_i32 s24, 2
	s_mov_b64 s[20:21], -1
	s_cbranch_scc1 .LBB104_392
; %bb.383:
	s_cmp_lt_i32 s24, 3
	s_cbranch_scc1 .LBB104_389
; %bb.384:
	s_cmp_gt_i32 s24, 3
	s_cbranch_scc0 .LBB104_386
; %bb.385:
	v_lshlrev_b32_e32 v3, 16, v2
	v_trunc_f32_e32 v3, v3
	s_mov_b32 s20, 0x2f800000
	v_mul_f32_e64 v5, |v3|, s20
	v_floor_f32_e32 v5, v5
	s_mov_b32 s20, 0xcf800000
	v_cvt_u32_f32_e32 v6, v5
	v_fma_f32 v5, v5, s20, |v3|
	v_cvt_u32_f32_e32 v5, v5
	v_ashrrev_i32_e32 v3, 31, v3
	v_xor_b32_e32 v7, v6, v3
	s_mov_b64 s[20:21], 0
	v_xor_b32_e32 v5, v5, v3
	v_sub_co_u32_e32 v6, vcc, v5, v3
	s_nop 1
	v_subb_co_u32_e32 v7, vcc, v7, v3, vcc
	global_store_dwordx2 v[0:1], v[6:7], off
.LBB104_386:
	s_andn2_b64 vcc, exec, s[20:21]
	s_cbranch_vccnz .LBB104_388
; %bb.387:
	v_lshlrev_b32_e32 v3, 16, v2
	v_cvt_i32_f32_e32 v3, v3
	global_store_dword v[0:1], v3, off
.LBB104_388:
	s_mov_b64 s[20:21], 0
.LBB104_389:
	s_andn2_b64 vcc, exec, s[20:21]
	s_cbranch_vccnz .LBB104_391
; %bb.390:
	v_lshlrev_b32_e32 v3, 16, v2
	v_cvt_i32_f32_e32 v3, v3
	global_store_short v[0:1], v3, off
.LBB104_391:
	s_mov_b64 s[20:21], 0
.LBB104_392:
	s_andn2_b64 vcc, exec, s[20:21]
	s_cbranch_vccnz .LBB104_397
; %bb.393:
	s_mov_b64 s[20:21], -1
	s_cmp_gt_i32 s24, 0
	v_lshlrev_b32_e32 v2, 16, v2
	s_cbranch_scc0 .LBB104_395
; %bb.394:
	v_cvt_i32_f32_e32 v3, v2
	s_mov_b64 s[20:21], 0
	global_store_byte v[0:1], v3, off
.LBB104_395:
	s_andn2_b64 vcc, exec, s[20:21]
	s_cbranch_vccnz .LBB104_397
; %bb.396:
	v_trunc_f32_e32 v2, v2
	s_mov_b32 s20, 0x2f800000
	v_mul_f32_e64 v3, |v2|, s20
	v_floor_f32_e32 v3, v3
	s_mov_b32 s20, 0xcf800000
	v_fma_f32 v3, v3, s20, |v2|
	v_cvt_u32_f32_e32 v3, v3
	v_ashrrev_i32_e32 v2, 31, v2
	v_xor_b32_e32 v3, v3, v2
	v_sub_u32_e32 v2, v3, v2
	global_store_byte v[0:1], v2, off
.LBB104_397:
	s_mov_b64 s[20:21], -1
.LBB104_398:
	s_andn2_b64 vcc, exec, s[20:21]
	s_cbranch_vccnz .LBB104_400
; %bb.399:
	v_add_u32_e32 v4, 0x80, v4
	s_mov_b64 s[24:25], -1
	s_branch .LBB104_513
.LBB104_400:
	s_mov_b64 s[24:25], 0
	s_branch .LBB104_512
.LBB104_401:
	s_mov_b64 s[18:19], -1
                                        ; implicit-def: $vgpr2
.LBB104_402:
	s_mov_b64 s[20:21], 0
.LBB104_403:
	s_and_b64 vcc, exec, s[20:21]
	s_cbranch_vccz .LBB104_407
; %bb.404:
	s_cmp_eq_u32 s26, 29
	s_cbranch_scc0 .LBB104_406
; %bb.405:
	global_load_dwordx2 v[2:3], v[0:1], off
	s_movk_i32 s18, 0x7fff
	s_mov_b64 s[0:1], -1
	s_mov_b64 s[20:21], 0
	s_waitcnt vmcnt(0)
	v_ffbh_u32_e32 v5, v3
	v_min_u32_e32 v5, 32, v5
	v_lshlrev_b64 v[2:3], v5, v[2:3]
	v_min_u32_e32 v2, 1, v2
	v_or_b32_e32 v2, v3, v2
	v_cvt_f32_u32_e32 v2, v2
	v_sub_u32_e32 v3, 32, v5
	v_ldexp_f32 v2, v2, v3
	v_bfe_u32 v3, v2, 16, 1
	v_add3_u32 v2, v2, v3, s18
	v_lshrrev_b32_e32 v2, 16, v2
	s_mov_b64 s[18:19], 0
	s_branch .LBB104_408
.LBB104_406:
	s_mov_b64 s[18:19], -1
                                        ; implicit-def: $vgpr2
.LBB104_407:
	s_mov_b64 s[20:21], 0
.LBB104_408:
	s_and_b64 vcc, exec, s[20:21]
	s_cbranch_vccz .LBB104_426
; %bb.409:
	s_cmp_lt_i32 s26, 27
	s_cbranch_scc1 .LBB104_412
; %bb.410:
	s_cmp_gt_i32 s26, 27
	s_cbranch_scc0 .LBB104_413
; %bb.411:
	global_load_dword v2, v[0:1], off
	s_movk_i32 s0, 0x7fff
	s_waitcnt vmcnt(0)
	v_cvt_f32_u32_e32 v2, v2
	v_bfe_u32 v3, v2, 16, 1
	v_add3_u32 v2, v2, v3, s0
	v_lshrrev_b32_e32 v2, 16, v2
	s_mov_b64 s[0:1], 0
	s_branch .LBB104_414
.LBB104_412:
	s_mov_b64 s[0:1], -1
                                        ; implicit-def: $vgpr2
	s_branch .LBB104_417
.LBB104_413:
	s_mov_b64 s[0:1], -1
                                        ; implicit-def: $vgpr2
.LBB104_414:
	s_andn2_b64 vcc, exec, s[0:1]
	s_cbranch_vccnz .LBB104_416
; %bb.415:
	global_load_ushort v2, v[0:1], off
	s_movk_i32 s0, 0x7fff
	s_waitcnt vmcnt(0)
	v_cvt_f32_u32_e32 v2, v2
	v_bfe_u32 v3, v2, 16, 1
	v_add3_u32 v2, v2, v3, s0
	v_lshrrev_b32_e32 v2, 16, v2
.LBB104_416:
	s_mov_b64 s[0:1], 0
.LBB104_417:
	s_andn2_b64 vcc, exec, s[0:1]
	s_cbranch_vccnz .LBB104_425
; %bb.418:
	global_load_ubyte v2, v[0:1], off
	s_movk_i32 s0, 0x7f
	s_waitcnt vmcnt(0)
	v_cmp_lt_i16_e32 vcc, s0, v2
	s_mov_b64 s[0:1], 0
	s_and_saveexec_b64 s[20:21], vcc
	s_xor_b64 s[20:21], exec, s[20:21]
	s_cbranch_execz .LBB104_439
; %bb.419:
	s_movk_i32 s0, 0x80
	v_cmp_eq_u16_e32 vcc, s0, v2
	s_mov_b64 s[0:1], -1
	s_and_saveexec_b64 s[24:25], vcc
; %bb.420:
	s_xor_b64 s[0:1], exec, -1
; %bb.421:
	s_or_b64 exec, exec, s[24:25]
	s_and_b64 s[0:1], s[0:1], exec
	s_or_saveexec_b64 s[20:21], s[20:21]
	v_mov_b32_e32 v3, 0x7f800001
	s_xor_b64 exec, exec, s[20:21]
	s_cbranch_execnz .LBB104_440
.LBB104_422:
	s_or_b64 exec, exec, s[20:21]
	s_and_saveexec_b64 s[20:21], s[0:1]
	s_cbranch_execz .LBB104_424
.LBB104_423:
	v_lshlrev_b32_e32 v3, 24, v2
	v_and_b32_e32 v2, 0xffff, v2
	v_and_b32_e32 v5, 7, v2
	v_ffbh_u32_e32 v7, v5
	v_min_u32_e32 v7, 32, v7
	v_subrev_u32_e32 v8, 28, v7
	v_bfe_u32 v6, v2, 3, 4
	v_lshlrev_b32_e32 v2, v8, v2
	v_sub_u32_e32 v7, 29, v7
	v_and_b32_e32 v2, 7, v2
	v_cmp_eq_u32_e32 vcc, 0, v6
	v_and_b32_e32 v3, 0x80000000, v3
	s_nop 0
	v_cndmask_b32_e32 v6, v6, v7, vcc
	v_cndmask_b32_e32 v2, v5, v2, vcc
	v_mov_b32_e32 v5, 0x3b800000
	v_lshlrev_b32_e32 v2, 20, v2
	v_lshl_add_u32 v5, v6, 23, v5
	v_or3_b32 v3, v3, v5, v2
.LBB104_424:
	s_or_b64 exec, exec, s[20:21]
	v_bfe_u32 v2, v3, 16, 1
	s_movk_i32 s0, 0x7fff
	v_add3_u32 v2, v3, v2, s0
	v_cmp_o_f32_e32 vcc, v3, v3
	v_mov_b32_e32 v3, 0x7fc0
	s_nop 0
	v_cndmask_b32_sdwa v2, v3, v2, vcc dst_sel:DWORD dst_unused:UNUSED_PAD src0_sel:DWORD src1_sel:WORD_1
.LBB104_425:
	s_mov_b64 s[0:1], -1
.LBB104_426:
	s_mov_b64 s[20:21], 0
.LBB104_427:
	s_and_b64 vcc, exec, s[20:21]
	s_cbranch_vccz .LBB104_462
; %bb.428:
	s_cmp_gt_i32 s26, 22
	s_cbranch_scc0 .LBB104_438
; %bb.429:
	s_cmp_lt_i32 s26, 24
	s_cbranch_scc1 .LBB104_441
; %bb.430:
	s_cmp_gt_i32 s26, 24
	s_cbranch_scc0 .LBB104_442
; %bb.431:
	global_load_ubyte v2, v[0:1], off
	s_movk_i32 s0, 0x7f
	s_waitcnt vmcnt(0)
	v_cmp_lt_i16_e32 vcc, s0, v2
	s_mov_b64 s[0:1], 0
	s_and_saveexec_b64 s[20:21], vcc
	s_xor_b64 s[20:21], exec, s[20:21]
	s_cbranch_execz .LBB104_454
; %bb.432:
	s_movk_i32 s0, 0x80
	v_cmp_eq_u16_e32 vcc, s0, v2
	s_mov_b64 s[0:1], -1
	s_and_saveexec_b64 s[24:25], vcc
; %bb.433:
	s_xor_b64 s[0:1], exec, -1
; %bb.434:
	s_or_b64 exec, exec, s[24:25]
	s_and_b64 s[0:1], s[0:1], exec
	s_or_saveexec_b64 s[20:21], s[20:21]
	v_mov_b32_e32 v3, 0x7f800001
	s_xor_b64 exec, exec, s[20:21]
	s_cbranch_execnz .LBB104_455
.LBB104_435:
	s_or_b64 exec, exec, s[20:21]
	s_and_saveexec_b64 s[20:21], s[0:1]
	s_cbranch_execz .LBB104_437
.LBB104_436:
	v_lshlrev_b32_e32 v3, 24, v2
	v_and_b32_e32 v2, 0xffff, v2
	v_and_b32_e32 v5, 3, v2
	v_ffbh_u32_e32 v7, v5
	v_min_u32_e32 v7, 32, v7
	v_subrev_u32_e32 v8, 29, v7
	v_bfe_u32 v6, v2, 2, 5
	v_lshlrev_b32_e32 v2, v8, v2
	v_sub_u32_e32 v7, 30, v7
	v_and_b32_e32 v2, 3, v2
	v_cmp_eq_u32_e32 vcc, 0, v6
	v_and_b32_e32 v3, 0x80000000, v3
	s_nop 0
	v_cndmask_b32_e32 v6, v6, v7, vcc
	v_cndmask_b32_e32 v2, v5, v2, vcc
	v_mov_b32_e32 v5, 0x37800000
	v_lshlrev_b32_e32 v2, 21, v2
	v_lshl_add_u32 v5, v6, 23, v5
	v_or3_b32 v3, v3, v5, v2
.LBB104_437:
	s_or_b64 exec, exec, s[20:21]
	v_bfe_u32 v2, v3, 16, 1
	s_movk_i32 s0, 0x7fff
	v_add3_u32 v2, v3, v2, s0
	v_cmp_o_f32_e32 vcc, v3, v3
	v_mov_b32_e32 v3, 0x7fc0
	s_mov_b64 s[0:1], 0
	v_cndmask_b32_sdwa v2, v3, v2, vcc dst_sel:DWORD dst_unused:UNUSED_PAD src0_sel:DWORD src1_sel:WORD_1
	s_branch .LBB104_443
.LBB104_438:
	s_mov_b64 s[20:21], -1
                                        ; implicit-def: $vgpr2
	s_branch .LBB104_449
.LBB104_439:
	s_or_saveexec_b64 s[20:21], s[20:21]
	v_mov_b32_e32 v3, 0x7f800001
	s_xor_b64 exec, exec, s[20:21]
	s_cbranch_execz .LBB104_422
.LBB104_440:
	v_cmp_ne_u16_e32 vcc, 0, v2
	s_andn2_b64 s[0:1], s[0:1], exec
	s_and_b64 s[24:25], vcc, exec
	v_mov_b32_e32 v3, 0
	s_or_b64 s[0:1], s[0:1], s[24:25]
	s_or_b64 exec, exec, s[20:21]
	s_and_saveexec_b64 s[20:21], s[0:1]
	s_cbranch_execnz .LBB104_423
	s_branch .LBB104_424
.LBB104_441:
	s_mov_b64 s[0:1], -1
                                        ; implicit-def: $vgpr2
	s_branch .LBB104_446
.LBB104_442:
	s_mov_b64 s[0:1], -1
                                        ; implicit-def: $vgpr2
.LBB104_443:
	s_and_b64 vcc, exec, s[0:1]
	s_cbranch_vccz .LBB104_445
; %bb.444:
	global_load_ubyte v2, v[0:1], off
	s_mov_b32 s0, 0x7f800000
	s_brev_b32 s1, 1
	s_movk_i32 s20, 0x7fff
	s_waitcnt vmcnt(0)
	v_lshlrev_b32_e32 v2, 24, v2
	v_and_b32_e32 v3, 0x7f000000, v2
	v_ffbh_u32_e32 v5, v3
	v_min_u32_e32 v5, 32, v5
	v_sub_u32_e64 v5, v5, 4 clamp
	v_lshlrev_b32_e32 v7, v5, v3
	v_lshlrev_b32_e32 v5, 23, v5
	v_lshrrev_b32_e32 v7, 4, v7
	v_add_u32_e32 v6, 0x1000000, v3
	v_sub_u32_e32 v5, v7, v5
	v_ashrrev_i32_e32 v6, 8, v6
	v_add_u32_e32 v5, 0x3c000000, v5
	v_and_or_b32 v5, v6, s0, v5
	v_cmp_ne_u32_e32 vcc, 0, v3
	s_nop 1
	v_cndmask_b32_e32 v3, 0, v5, vcc
	v_and_or_b32 v2, v2, s1, v3
	v_bfe_u32 v3, v3, 16, 1
	v_add3_u32 v3, v2, v3, s20
	v_cmp_o_f32_e32 vcc, v2, v2
	v_mov_b32_e32 v2, 0x7fc0
	s_nop 0
	v_cndmask_b32_sdwa v2, v2, v3, vcc dst_sel:DWORD dst_unused:UNUSED_PAD src0_sel:DWORD src1_sel:WORD_1
.LBB104_445:
	s_mov_b64 s[0:1], 0
.LBB104_446:
	s_andn2_b64 vcc, exec, s[0:1]
	s_cbranch_vccnz .LBB104_448
; %bb.447:
	global_load_ubyte v2, v[0:1], off
	s_movk_i32 s0, 0x7f00
	s_brev_b32 s1, 16
	s_brev_b32 s20, 1
	s_movk_i32 s21, 0x7fff
	s_waitcnt vmcnt(0)
	v_lshlrev_b16_e32 v3, 8, v2
	v_lshlrev_b32_e32 v2, 25, v2
	v_lshrrev_b32_e32 v5, 4, v2
	v_and_or_b32 v6, v3, s0, 0.5
	v_or_b32_e32 v5, 0x70000000, v5
	v_add_f32_e32 v6, -0.5, v6
	v_mul_f32_e32 v5, 0x7800000, v5
	v_cmp_gt_u32_e32 vcc, s1, v2
	v_bfe_i32 v3, v3, 0, 16
	s_nop 0
	v_cndmask_b32_e32 v2, v5, v6, vcc
	v_and_or_b32 v3, v3, s20, v2
	v_bfe_u32 v2, v2, 16, 1
	v_add3_u32 v2, v3, v2, s21
	v_cmp_o_f32_e32 vcc, v3, v3
	v_mov_b32_e32 v3, 0x7fc0
	s_nop 0
	v_cndmask_b32_sdwa v2, v3, v2, vcc dst_sel:DWORD dst_unused:UNUSED_PAD src0_sel:DWORD src1_sel:WORD_1
.LBB104_448:
	s_mov_b64 s[20:21], 0
	s_mov_b64 s[0:1], -1
.LBB104_449:
	s_andn2_b64 vcc, exec, s[20:21]
	s_cbranch_vccnz .LBB104_462
; %bb.450:
	s_cmp_gt_i32 s26, 14
	s_cbranch_scc0 .LBB104_453
; %bb.451:
	s_cmp_eq_u32 s26, 15
	s_cbranch_scc0 .LBB104_456
; %bb.452:
	global_load_ushort v2, v[0:1], off
	s_mov_b64 s[0:1], -1
	s_mov_b64 s[18:19], 0
	s_branch .LBB104_457
.LBB104_453:
	s_mov_b64 s[20:21], -1
                                        ; implicit-def: $vgpr2
	s_branch .LBB104_458
.LBB104_454:
	s_or_saveexec_b64 s[20:21], s[20:21]
	v_mov_b32_e32 v3, 0x7f800001
	s_xor_b64 exec, exec, s[20:21]
	s_cbranch_execz .LBB104_435
.LBB104_455:
	v_cmp_ne_u16_e32 vcc, 0, v2
	s_andn2_b64 s[0:1], s[0:1], exec
	s_and_b64 s[24:25], vcc, exec
	v_mov_b32_e32 v3, 0
	s_or_b64 s[0:1], s[0:1], s[24:25]
	s_or_b64 exec, exec, s[20:21]
	s_and_saveexec_b64 s[20:21], s[0:1]
	s_cbranch_execnz .LBB104_436
	s_branch .LBB104_437
.LBB104_456:
	s_mov_b64 s[18:19], -1
                                        ; implicit-def: $vgpr2
.LBB104_457:
	s_mov_b64 s[20:21], 0
.LBB104_458:
	s_and_b64 vcc, exec, s[20:21]
	s_cbranch_vccz .LBB104_462
; %bb.459:
	s_cmp_eq_u32 s26, 11
	s_cbranch_scc0 .LBB104_461
; %bb.460:
	global_load_ubyte v2, v[0:1], off
	s_mov_b64 s[0:1], -1
	s_mov_b64 s[18:19], 0
	s_waitcnt vmcnt(0)
	v_cmp_ne_u16_e32 vcc, 0, v2
	s_nop 1
	v_cndmask_b32_e64 v2, 0, 1.0, vcc
	v_lshrrev_b32_e32 v2, 16, v2
	s_branch .LBB104_462
.LBB104_461:
	s_mov_b64 s[18:19], -1
                                        ; implicit-def: $vgpr2
.LBB104_462:
	s_branch .LBB104_265
.LBB104_463:
	s_cmp_lt_i32 s26, 5
	s_cbranch_scc1 .LBB104_468
; %bb.464:
	s_cmp_lt_i32 s26, 8
	s_cbranch_scc1 .LBB104_469
; %bb.465:
	;; [unrolled: 3-line block ×3, first 2 shown]
	s_cmp_gt_i32 s26, 9
	s_cbranch_scc0 .LBB104_471
; %bb.467:
	global_load_dwordx2 v[2:3], v[0:1], off
	s_movk_i32 s0, 0x7fff
	v_mov_b32_e32 v5, 0x7fc0
	s_waitcnt vmcnt(0)
	v_cvt_f32_f64_e32 v2, v[2:3]
	v_bfe_u32 v3, v2, 16, 1
	v_cmp_o_f32_e32 vcc, v2, v2
	v_add3_u32 v2, v2, v3, s0
	s_mov_b64 s[0:1], 0
	v_cndmask_b32_sdwa v2, v5, v2, vcc dst_sel:DWORD dst_unused:UNUSED_PAD src0_sel:DWORD src1_sel:WORD_1
	s_branch .LBB104_472
.LBB104_468:
	s_mov_b64 s[0:1], -1
                                        ; implicit-def: $vgpr2
	s_branch .LBB104_490
.LBB104_469:
	s_mov_b64 s[0:1], -1
                                        ; implicit-def: $vgpr2
	s_branch .LBB104_478
.LBB104_470:
	s_mov_b64 s[0:1], -1
                                        ; implicit-def: $vgpr2
	s_branch .LBB104_475
.LBB104_471:
	s_mov_b64 s[0:1], -1
                                        ; implicit-def: $vgpr2
.LBB104_472:
	s_andn2_b64 vcc, exec, s[0:1]
	s_cbranch_vccnz .LBB104_474
; %bb.473:
	global_load_dword v2, v[0:1], off
	s_movk_i32 s0, 0x7fff
	v_mov_b32_e32 v3, 0x7fc0
	s_waitcnt vmcnt(0)
	v_bfe_u32 v5, v2, 16, 1
	v_cmp_o_f32_e32 vcc, v2, v2
	v_add3_u32 v2, v2, v5, s0
	s_nop 0
	v_cndmask_b32_sdwa v2, v3, v2, vcc dst_sel:DWORD dst_unused:UNUSED_PAD src0_sel:DWORD src1_sel:WORD_1
.LBB104_474:
	s_mov_b64 s[0:1], 0
.LBB104_475:
	s_andn2_b64 vcc, exec, s[0:1]
	s_cbranch_vccnz .LBB104_477
; %bb.476:
	global_load_dword v2, v[0:1], off
	s_movk_i32 s0, 0x7fff
	v_mov_b32_e32 v5, 0x7fc0
	s_waitcnt vmcnt(0)
	v_cvt_f32_f16_e32 v3, v2
	v_cmp_o_f16_e32 vcc, v2, v2
	v_bfe_u32 v2, v3, 16, 1
	v_add3_u32 v2, v3, v2, s0
	v_cndmask_b32_sdwa v2, v5, v2, vcc dst_sel:DWORD dst_unused:UNUSED_PAD src0_sel:DWORD src1_sel:WORD_1
.LBB104_477:
	s_mov_b64 s[0:1], 0
.LBB104_478:
	s_andn2_b64 vcc, exec, s[0:1]
	s_cbranch_vccnz .LBB104_489
; %bb.479:
	s_cmp_lt_i32 s26, 6
	s_cbranch_scc1 .LBB104_482
; %bb.480:
	s_cmp_gt_i32 s26, 6
	s_cbranch_scc0 .LBB104_483
; %bb.481:
	global_load_dwordx2 v[2:3], v[0:1], off
	s_movk_i32 s0, 0x7fff
	v_mov_b32_e32 v5, 0x7fc0
	s_waitcnt vmcnt(0)
	v_cvt_f32_f64_e32 v2, v[2:3]
	v_bfe_u32 v3, v2, 16, 1
	v_cmp_o_f32_e32 vcc, v2, v2
	v_add3_u32 v2, v2, v3, s0
	s_mov_b64 s[0:1], 0
	v_cndmask_b32_sdwa v2, v5, v2, vcc dst_sel:DWORD dst_unused:UNUSED_PAD src0_sel:DWORD src1_sel:WORD_1
	s_branch .LBB104_484
.LBB104_482:
	s_mov_b64 s[0:1], -1
                                        ; implicit-def: $vgpr2
	s_branch .LBB104_487
.LBB104_483:
	s_mov_b64 s[0:1], -1
                                        ; implicit-def: $vgpr2
.LBB104_484:
	s_andn2_b64 vcc, exec, s[0:1]
	s_cbranch_vccnz .LBB104_486
; %bb.485:
	global_load_dword v2, v[0:1], off
	s_movk_i32 s0, 0x7fff
	v_mov_b32_e32 v3, 0x7fc0
	s_waitcnt vmcnt(0)
	v_bfe_u32 v5, v2, 16, 1
	v_cmp_o_f32_e32 vcc, v2, v2
	v_add3_u32 v2, v2, v5, s0
	s_nop 0
	v_cndmask_b32_sdwa v2, v3, v2, vcc dst_sel:DWORD dst_unused:UNUSED_PAD src0_sel:DWORD src1_sel:WORD_1
.LBB104_486:
	s_mov_b64 s[0:1], 0
.LBB104_487:
	s_andn2_b64 vcc, exec, s[0:1]
	s_cbranch_vccnz .LBB104_489
; %bb.488:
	global_load_ushort v2, v[0:1], off
	s_movk_i32 s0, 0x7fff
	v_mov_b32_e32 v5, 0x7fc0
	s_waitcnt vmcnt(0)
	v_cvt_f32_f16_e32 v3, v2
	v_cmp_o_f16_e32 vcc, v2, v2
	v_bfe_u32 v2, v3, 16, 1
	v_add3_u32 v2, v3, v2, s0
	v_cndmask_b32_sdwa v2, v5, v2, vcc dst_sel:DWORD dst_unused:UNUSED_PAD src0_sel:DWORD src1_sel:WORD_1
.LBB104_489:
	s_mov_b64 s[0:1], 0
.LBB104_490:
	s_andn2_b64 vcc, exec, s[0:1]
	s_cbranch_vccnz .LBB104_510
; %bb.491:
	s_cmp_lt_i32 s26, 2
	s_cbranch_scc1 .LBB104_495
; %bb.492:
	s_cmp_lt_i32 s26, 3
	s_cbranch_scc1 .LBB104_496
; %bb.493:
	s_cmp_gt_i32 s26, 3
	s_cbranch_scc0 .LBB104_497
; %bb.494:
	global_load_dwordx2 v[2:3], v[0:1], off
	s_movk_i32 s0, 0x7fff
	s_waitcnt vmcnt(0)
	v_xor_b32_e32 v6, v2, v3
	v_ffbh_i32_e32 v5, v3
	v_ashrrev_i32_e32 v6, 31, v6
	v_add_u32_e32 v5, -1, v5
	v_add_u32_e32 v6, 32, v6
	v_min_u32_e32 v5, v5, v6
	v_lshlrev_b64 v[2:3], v5, v[2:3]
	v_min_u32_e32 v2, 1, v2
	v_or_b32_e32 v2, v3, v2
	v_cvt_f32_i32_e32 v2, v2
	v_sub_u32_e32 v3, 32, v5
	v_ldexp_f32 v2, v2, v3
	v_bfe_u32 v3, v2, 16, 1
	v_add3_u32 v2, v2, v3, s0
	v_lshrrev_b32_e32 v2, 16, v2
	s_mov_b64 s[0:1], 0
	s_branch .LBB104_498
.LBB104_495:
	s_mov_b64 s[0:1], -1
                                        ; implicit-def: $vgpr2
	s_branch .LBB104_504
.LBB104_496:
	s_mov_b64 s[0:1], -1
                                        ; implicit-def: $vgpr2
	s_branch .LBB104_501
.LBB104_497:
	s_mov_b64 s[0:1], -1
                                        ; implicit-def: $vgpr2
.LBB104_498:
	s_andn2_b64 vcc, exec, s[0:1]
	s_cbranch_vccnz .LBB104_500
; %bb.499:
	global_load_dword v2, v[0:1], off
	s_movk_i32 s0, 0x7fff
	s_waitcnt vmcnt(0)
	v_cvt_f32_i32_e32 v2, v2
	v_bfe_u32 v3, v2, 16, 1
	v_add3_u32 v2, v2, v3, s0
	v_lshrrev_b32_e32 v2, 16, v2
.LBB104_500:
	s_mov_b64 s[0:1], 0
.LBB104_501:
	s_andn2_b64 vcc, exec, s[0:1]
	s_cbranch_vccnz .LBB104_503
; %bb.502:
	global_load_sshort v2, v[0:1], off
	s_movk_i32 s0, 0x7fff
	s_waitcnt vmcnt(0)
	v_cvt_f32_i32_e32 v2, v2
	v_bfe_u32 v3, v2, 16, 1
	v_add3_u32 v2, v2, v3, s0
	v_lshrrev_b32_e32 v2, 16, v2
.LBB104_503:
	s_mov_b64 s[0:1], 0
.LBB104_504:
	s_andn2_b64 vcc, exec, s[0:1]
	s_cbranch_vccnz .LBB104_510
; %bb.505:
	s_cmp_gt_i32 s26, 0
	s_cbranch_scc0 .LBB104_507
; %bb.506:
	global_load_sbyte v2, v[0:1], off
	s_movk_i32 s0, 0x7fff
	s_waitcnt vmcnt(0)
	v_cvt_f32_i32_e32 v2, v2
	v_bfe_u32 v3, v2, 16, 1
	v_add3_u32 v2, v2, v3, s0
	v_lshrrev_b32_e32 v2, 16, v2
	s_mov_b64 s[0:1], 0
	s_branch .LBB104_508
.LBB104_507:
	s_mov_b64 s[0:1], -1
                                        ; implicit-def: $vgpr2
.LBB104_508:
	s_andn2_b64 vcc, exec, s[0:1]
	s_cbranch_vccnz .LBB104_510
; %bb.509:
	global_load_ubyte v0, v[0:1], off
	s_movk_i32 s0, 0x7fff
	s_waitcnt vmcnt(0)
	v_cvt_f32_ubyte0_e32 v0, v0
	v_bfe_u32 v1, v0, 16, 1
	v_add3_u32 v0, v0, v1, s0
	v_lshrrev_b32_e32 v2, 16, v0
.LBB104_510:
	s_branch .LBB104_266
.LBB104_511:
	s_mov_b64 s[24:25], 0
	s_mov_b64 s[0:1], s[12:13]
.LBB104_512:
                                        ; implicit-def: $vgpr4
.LBB104_513:
	s_andn2_b64 s[20:21], s[12:13], exec
	s_and_b64 s[0:1], s[0:1], exec
	s_or_b64 s[20:21], s[20:21], s[0:1]
	s_andn2_b64 s[0:1], s[14:15], exec
	s_and_b64 s[18:19], s[18:19], exec
	s_or_b64 s[18:19], s[0:1], s[18:19]
	s_orn2_b64 s[0:1], s[24:25], exec
.LBB104_514:
	s_or_b64 exec, exec, s[22:23]
	s_mov_b64 s[24:25], 0
	s_mov_b64 s[26:27], 0
	;; [unrolled: 1-line block ×3, first 2 shown]
                                        ; implicit-def: $vgpr0_vgpr1
                                        ; implicit-def: $vgpr3
	s_and_saveexec_b64 s[22:23], s[0:1]
	s_cbranch_execz .LBB104_860
; %bb.515:
	v_cmp_gt_i32_e32 vcc, s38, v4
	s_mov_b64 s[34:35], -1
	s_mov_b64 s[0:1], s[18:19]
	s_mov_b64 s[28:29], s[20:21]
	s_and_saveexec_b64 s[24:25], vcc
	s_cbranch_execz .LBB104_774
; %bb.516:
	v_mul_lo_u32 v0, v4, s9
	v_ashrrev_i32_e32 v1, 31, v0
	s_and_b32 s34, 0xffff, s42
	s_cmp_lt_i32 s34, 11
	v_lshl_add_u64 v[0:1], s[6:7], 0, v[0:1]
	s_cbranch_scc1 .LBB104_523
; %bb.517:
	s_cmp_gt_i32 s34, 25
	s_cbranch_scc0 .LBB104_524
; %bb.518:
	s_cmp_gt_i32 s34, 28
	s_cbranch_scc0 .LBB104_525
	;; [unrolled: 3-line block ×4, first 2 shown]
; %bb.521:
	s_cmp_eq_u32 s34, 46
	s_mov_b64 s[28:29], 0
	s_cbranch_scc0 .LBB104_532
; %bb.522:
	global_load_dword v2, v[0:1], off
	s_mov_b64 s[0:1], -1
	s_branch .LBB104_533
.LBB104_523:
	s_mov_b64 s[28:29], -1
	s_mov_b64 s[0:1], 0
                                        ; implicit-def: $vgpr2
	s_mov_b64 s[26:27], s[18:19]
	s_branch .LBB104_598
.LBB104_524:
	s_mov_b64 s[28:29], -1
	s_mov_b64 s[0:1], 0
	s_mov_b64 s[26:27], s[18:19]
                                        ; implicit-def: $vgpr2
	s_branch .LBB104_562
.LBB104_525:
	s_mov_b64 s[28:29], -1
	s_mov_b64 s[0:1], 0
	s_mov_b64 s[26:27], s[18:19]
                                        ; implicit-def: $vgpr2
	s_branch .LBB104_543
.LBB104_526:
	s_mov_b64 s[28:29], -1
	s_mov_b64 s[0:1], 0
	s_mov_b64 s[26:27], s[18:19]
                                        ; implicit-def: $vgpr2
	s_branch .LBB104_538
.LBB104_527:
	s_andn2_saveexec_b64 s[26:27], s[26:27]
	s_cbranch_execz .LBB104_311
.LBB104_528:
	s_mov_b32 s30, 0x46000000
	v_add_f32_e64 v5, |v6|, s30
	v_and_b32_e32 v5, 0xff, v5
	v_cmp_ne_u32_e32 vcc, 0, v5
	s_andn2_b64 s[24:25], s[24:25], exec
	s_and_b64 s[30:31], vcc, exec
	s_or_b64 s[24:25], s[24:25], s[30:31]
	s_or_b64 exec, exec, s[26:27]
	v_mov_b32_e32 v7, 0
	s_and_saveexec_b64 s[26:27], s[24:25]
	s_cbranch_execnz .LBB104_312
	s_branch .LBB104_313
.LBB104_529:
	s_mov_b64 s[28:29], -1
	s_mov_b64 s[0:1], 0
	s_mov_b64 s[26:27], s[18:19]
                                        ; implicit-def: $vgpr2
	s_branch .LBB104_533
.LBB104_530:
	s_andn2_saveexec_b64 s[26:27], s[26:27]
	s_cbranch_execz .LBB104_324
.LBB104_531:
	s_mov_b32 s30, 0x42800000
	v_add_f32_e64 v5, |v6|, s30
	v_and_b32_e32 v5, 0xff, v5
	v_cmp_ne_u32_e32 vcc, 0, v5
	s_andn2_b64 s[24:25], s[24:25], exec
	s_and_b64 s[30:31], vcc, exec
	s_or_b64 s[24:25], s[24:25], s[30:31]
	s_or_b64 exec, exec, s[26:27]
	v_mov_b32_e32 v7, 0
	s_and_saveexec_b64 s[26:27], s[24:25]
	s_cbranch_execnz .LBB104_325
	s_branch .LBB104_326
.LBB104_532:
	s_mov_b64 s[26:27], -1
                                        ; implicit-def: $vgpr2
	s_mov_b64 s[0:1], 0
.LBB104_533:
	s_and_b64 vcc, exec, s[28:29]
	s_cbranch_vccz .LBB104_537
; %bb.534:
	s_cmp_eq_u32 s34, 44
	s_cbranch_scc0 .LBB104_536
; %bb.535:
	global_load_ubyte v2, v[0:1], off
	s_movk_i32 s26, 0xff
	v_mov_b32_e32 v3, 0x7f800001
	v_mov_b32_e32 v5, 0x400000
	;; [unrolled: 1-line block ×3, first 2 shown]
	s_mov_b64 s[0:1], -1
	s_waitcnt vmcnt(0)
	v_lshlrev_b32_e32 v7, 23, v2
	v_cmp_ne_u32_e32 vcc, s26, v2
	s_mov_b64 s[26:27], 0
	s_nop 0
	v_cndmask_b32_e32 v3, v3, v7, vcc
	v_cmp_ne_u32_e32 vcc, 0, v2
	s_nop 1
	v_cndmask_b32_e32 v2, v5, v3, vcc
	v_add_u32_e32 v3, 0x7fff, v2
	v_cmp_o_f32_e32 vcc, v2, v2
	s_nop 1
	v_cndmask_b32_sdwa v2, v6, v3, vcc dst_sel:DWORD dst_unused:UNUSED_PAD src0_sel:DWORD src1_sel:WORD_1
	s_branch .LBB104_537
.LBB104_536:
	s_mov_b64 s[26:27], -1
                                        ; implicit-def: $vgpr2
.LBB104_537:
	s_mov_b64 s[28:29], 0
.LBB104_538:
	s_and_b64 vcc, exec, s[28:29]
	s_cbranch_vccz .LBB104_542
; %bb.539:
	s_cmp_eq_u32 s34, 29
	s_cbranch_scc0 .LBB104_541
; %bb.540:
	global_load_dwordx2 v[2:3], v[0:1], off
	s_movk_i32 s26, 0x7fff
	s_mov_b64 s[0:1], -1
	s_mov_b64 s[28:29], 0
	s_waitcnt vmcnt(0)
	v_ffbh_u32_e32 v5, v3
	v_min_u32_e32 v5, 32, v5
	v_lshlrev_b64 v[2:3], v5, v[2:3]
	v_min_u32_e32 v2, 1, v2
	v_or_b32_e32 v2, v3, v2
	v_cvt_f32_u32_e32 v2, v2
	v_sub_u32_e32 v3, 32, v5
	v_ldexp_f32 v2, v2, v3
	v_bfe_u32 v3, v2, 16, 1
	v_add3_u32 v2, v2, v3, s26
	v_lshrrev_b32_e32 v2, 16, v2
	s_mov_b64 s[26:27], 0
	s_branch .LBB104_543
.LBB104_541:
	s_mov_b64 s[26:27], -1
                                        ; implicit-def: $vgpr2
.LBB104_542:
	s_mov_b64 s[28:29], 0
.LBB104_543:
	s_and_b64 vcc, exec, s[28:29]
	s_cbranch_vccz .LBB104_561
; %bb.544:
	s_cmp_lt_i32 s34, 27
	s_cbranch_scc1 .LBB104_547
; %bb.545:
	s_cmp_gt_i32 s34, 27
	s_cbranch_scc0 .LBB104_548
; %bb.546:
	global_load_dword v2, v[0:1], off
	s_movk_i32 s0, 0x7fff
	s_waitcnt vmcnt(0)
	v_cvt_f32_u32_e32 v2, v2
	v_bfe_u32 v3, v2, 16, 1
	v_add3_u32 v2, v2, v3, s0
	v_lshrrev_b32_e32 v2, 16, v2
	s_mov_b64 s[0:1], 0
	s_branch .LBB104_549
.LBB104_547:
	s_mov_b64 s[0:1], -1
                                        ; implicit-def: $vgpr2
	s_branch .LBB104_552
.LBB104_548:
	s_mov_b64 s[0:1], -1
                                        ; implicit-def: $vgpr2
.LBB104_549:
	s_andn2_b64 vcc, exec, s[0:1]
	s_cbranch_vccnz .LBB104_551
; %bb.550:
	global_load_ushort v2, v[0:1], off
	s_movk_i32 s0, 0x7fff
	s_waitcnt vmcnt(0)
	v_cvt_f32_u32_e32 v2, v2
	v_bfe_u32 v3, v2, 16, 1
	v_add3_u32 v2, v2, v3, s0
	v_lshrrev_b32_e32 v2, 16, v2
.LBB104_551:
	s_mov_b64 s[0:1], 0
.LBB104_552:
	s_andn2_b64 vcc, exec, s[0:1]
	s_cbranch_vccnz .LBB104_560
; %bb.553:
	global_load_ubyte v2, v[0:1], off
	s_movk_i32 s0, 0x7f
	s_waitcnt vmcnt(0)
	v_cmp_lt_i16_e32 vcc, s0, v2
	s_mov_b64 s[0:1], 0
	s_and_saveexec_b64 s[28:29], vcc
	s_xor_b64 s[28:29], exec, s[28:29]
	s_cbranch_execz .LBB104_574
; %bb.554:
	s_movk_i32 s0, 0x80
	v_cmp_eq_u16_e32 vcc, s0, v2
	s_mov_b64 s[0:1], -1
	s_and_saveexec_b64 s[30:31], vcc
; %bb.555:
	s_xor_b64 s[0:1], exec, -1
; %bb.556:
	s_or_b64 exec, exec, s[30:31]
	s_and_b64 s[0:1], s[0:1], exec
	s_or_saveexec_b64 s[28:29], s[28:29]
	v_mov_b32_e32 v3, 0x7f800001
	s_xor_b64 exec, exec, s[28:29]
	s_cbranch_execnz .LBB104_575
.LBB104_557:
	s_or_b64 exec, exec, s[28:29]
	s_and_saveexec_b64 s[28:29], s[0:1]
	s_cbranch_execz .LBB104_559
.LBB104_558:
	v_lshlrev_b32_e32 v3, 24, v2
	v_and_b32_e32 v2, 0xffff, v2
	v_and_b32_e32 v5, 7, v2
	v_ffbh_u32_e32 v7, v5
	v_min_u32_e32 v7, 32, v7
	v_subrev_u32_e32 v8, 28, v7
	v_bfe_u32 v6, v2, 3, 4
	v_lshlrev_b32_e32 v2, v8, v2
	v_sub_u32_e32 v7, 29, v7
	v_and_b32_e32 v2, 7, v2
	v_cmp_eq_u32_e32 vcc, 0, v6
	v_and_b32_e32 v3, 0x80000000, v3
	s_nop 0
	v_cndmask_b32_e32 v6, v6, v7, vcc
	v_cndmask_b32_e32 v2, v5, v2, vcc
	v_mov_b32_e32 v5, 0x3b800000
	v_lshlrev_b32_e32 v2, 20, v2
	v_lshl_add_u32 v5, v6, 23, v5
	v_or3_b32 v3, v3, v5, v2
.LBB104_559:
	s_or_b64 exec, exec, s[28:29]
	v_bfe_u32 v2, v3, 16, 1
	s_movk_i32 s0, 0x7fff
	v_add3_u32 v2, v3, v2, s0
	v_cmp_o_f32_e32 vcc, v3, v3
	v_mov_b32_e32 v3, 0x7fc0
	s_nop 0
	v_cndmask_b32_sdwa v2, v3, v2, vcc dst_sel:DWORD dst_unused:UNUSED_PAD src0_sel:DWORD src1_sel:WORD_1
.LBB104_560:
	s_mov_b64 s[0:1], -1
.LBB104_561:
	s_mov_b64 s[28:29], 0
.LBB104_562:
	s_and_b64 vcc, exec, s[28:29]
	s_cbranch_vccz .LBB104_597
; %bb.563:
	s_cmp_gt_i32 s34, 22
	s_cbranch_scc0 .LBB104_573
; %bb.564:
	s_cmp_lt_i32 s34, 24
	s_cbranch_scc1 .LBB104_576
; %bb.565:
	s_cmp_gt_i32 s34, 24
	s_cbranch_scc0 .LBB104_577
; %bb.566:
	global_load_ubyte v2, v[0:1], off
	s_movk_i32 s0, 0x7f
	s_waitcnt vmcnt(0)
	v_cmp_lt_i16_e32 vcc, s0, v2
	s_mov_b64 s[0:1], 0
	s_and_saveexec_b64 s[28:29], vcc
	s_xor_b64 s[28:29], exec, s[28:29]
	s_cbranch_execz .LBB104_589
; %bb.567:
	s_movk_i32 s0, 0x80
	v_cmp_eq_u16_e32 vcc, s0, v2
	s_mov_b64 s[0:1], -1
	s_and_saveexec_b64 s[30:31], vcc
; %bb.568:
	s_xor_b64 s[0:1], exec, -1
; %bb.569:
	s_or_b64 exec, exec, s[30:31]
	s_and_b64 s[0:1], s[0:1], exec
	s_or_saveexec_b64 s[28:29], s[28:29]
	v_mov_b32_e32 v3, 0x7f800001
	s_xor_b64 exec, exec, s[28:29]
	s_cbranch_execnz .LBB104_590
.LBB104_570:
	s_or_b64 exec, exec, s[28:29]
	s_and_saveexec_b64 s[28:29], s[0:1]
	s_cbranch_execz .LBB104_572
.LBB104_571:
	v_lshlrev_b32_e32 v3, 24, v2
	v_and_b32_e32 v2, 0xffff, v2
	v_and_b32_e32 v5, 3, v2
	v_ffbh_u32_e32 v7, v5
	v_min_u32_e32 v7, 32, v7
	v_subrev_u32_e32 v8, 29, v7
	v_bfe_u32 v6, v2, 2, 5
	v_lshlrev_b32_e32 v2, v8, v2
	v_sub_u32_e32 v7, 30, v7
	v_and_b32_e32 v2, 3, v2
	v_cmp_eq_u32_e32 vcc, 0, v6
	v_and_b32_e32 v3, 0x80000000, v3
	s_nop 0
	v_cndmask_b32_e32 v6, v6, v7, vcc
	v_cndmask_b32_e32 v2, v5, v2, vcc
	v_mov_b32_e32 v5, 0x37800000
	v_lshlrev_b32_e32 v2, 21, v2
	v_lshl_add_u32 v5, v6, 23, v5
	v_or3_b32 v3, v3, v5, v2
.LBB104_572:
	s_or_b64 exec, exec, s[28:29]
	v_bfe_u32 v2, v3, 16, 1
	s_movk_i32 s0, 0x7fff
	v_add3_u32 v2, v3, v2, s0
	v_cmp_o_f32_e32 vcc, v3, v3
	v_mov_b32_e32 v3, 0x7fc0
	s_mov_b64 s[0:1], 0
	v_cndmask_b32_sdwa v2, v3, v2, vcc dst_sel:DWORD dst_unused:UNUSED_PAD src0_sel:DWORD src1_sel:WORD_1
	s_branch .LBB104_578
.LBB104_573:
	s_mov_b64 s[28:29], -1
                                        ; implicit-def: $vgpr2
	s_branch .LBB104_584
.LBB104_574:
	s_or_saveexec_b64 s[28:29], s[28:29]
	v_mov_b32_e32 v3, 0x7f800001
	s_xor_b64 exec, exec, s[28:29]
	s_cbranch_execz .LBB104_557
.LBB104_575:
	v_cmp_ne_u16_e32 vcc, 0, v2
	s_andn2_b64 s[0:1], s[0:1], exec
	s_and_b64 s[30:31], vcc, exec
	v_mov_b32_e32 v3, 0
	s_or_b64 s[0:1], s[0:1], s[30:31]
	s_or_b64 exec, exec, s[28:29]
	s_and_saveexec_b64 s[28:29], s[0:1]
	s_cbranch_execnz .LBB104_558
	s_branch .LBB104_559
.LBB104_576:
	s_mov_b64 s[0:1], -1
                                        ; implicit-def: $vgpr2
	s_branch .LBB104_581
.LBB104_577:
	s_mov_b64 s[0:1], -1
                                        ; implicit-def: $vgpr2
.LBB104_578:
	s_and_b64 vcc, exec, s[0:1]
	s_cbranch_vccz .LBB104_580
; %bb.579:
	global_load_ubyte v2, v[0:1], off
	s_mov_b32 s0, 0x7f800000
	s_brev_b32 s1, 1
	s_movk_i32 s28, 0x7fff
	s_waitcnt vmcnt(0)
	v_lshlrev_b32_e32 v2, 24, v2
	v_and_b32_e32 v3, 0x7f000000, v2
	v_ffbh_u32_e32 v5, v3
	v_min_u32_e32 v5, 32, v5
	v_sub_u32_e64 v5, v5, 4 clamp
	v_lshlrev_b32_e32 v7, v5, v3
	v_lshlrev_b32_e32 v5, 23, v5
	v_lshrrev_b32_e32 v7, 4, v7
	v_add_u32_e32 v6, 0x1000000, v3
	v_sub_u32_e32 v5, v7, v5
	v_ashrrev_i32_e32 v6, 8, v6
	v_add_u32_e32 v5, 0x3c000000, v5
	v_and_or_b32 v5, v6, s0, v5
	v_cmp_ne_u32_e32 vcc, 0, v3
	s_nop 1
	v_cndmask_b32_e32 v3, 0, v5, vcc
	v_and_or_b32 v2, v2, s1, v3
	v_bfe_u32 v3, v3, 16, 1
	v_add3_u32 v3, v2, v3, s28
	v_cmp_o_f32_e32 vcc, v2, v2
	v_mov_b32_e32 v2, 0x7fc0
	s_nop 0
	v_cndmask_b32_sdwa v2, v2, v3, vcc dst_sel:DWORD dst_unused:UNUSED_PAD src0_sel:DWORD src1_sel:WORD_1
.LBB104_580:
	s_mov_b64 s[0:1], 0
.LBB104_581:
	s_andn2_b64 vcc, exec, s[0:1]
	s_cbranch_vccnz .LBB104_583
; %bb.582:
	global_load_ubyte v2, v[0:1], off
	s_movk_i32 s0, 0x7f00
	s_brev_b32 s1, 16
	s_brev_b32 s28, 1
	s_movk_i32 s29, 0x7fff
	s_waitcnt vmcnt(0)
	v_lshlrev_b16_e32 v3, 8, v2
	v_lshlrev_b32_e32 v2, 25, v2
	v_lshrrev_b32_e32 v5, 4, v2
	v_and_or_b32 v6, v3, s0, 0.5
	v_or_b32_e32 v5, 0x70000000, v5
	v_add_f32_e32 v6, -0.5, v6
	v_mul_f32_e32 v5, 0x7800000, v5
	v_cmp_gt_u32_e32 vcc, s1, v2
	v_bfe_i32 v3, v3, 0, 16
	s_nop 0
	v_cndmask_b32_e32 v2, v5, v6, vcc
	v_and_or_b32 v3, v3, s28, v2
	v_bfe_u32 v2, v2, 16, 1
	v_add3_u32 v2, v3, v2, s29
	v_cmp_o_f32_e32 vcc, v3, v3
	v_mov_b32_e32 v3, 0x7fc0
	s_nop 0
	v_cndmask_b32_sdwa v2, v3, v2, vcc dst_sel:DWORD dst_unused:UNUSED_PAD src0_sel:DWORD src1_sel:WORD_1
.LBB104_583:
	s_mov_b64 s[28:29], 0
	s_mov_b64 s[0:1], -1
.LBB104_584:
	s_andn2_b64 vcc, exec, s[28:29]
	s_cbranch_vccnz .LBB104_597
; %bb.585:
	s_cmp_gt_i32 s34, 14
	s_cbranch_scc0 .LBB104_588
; %bb.586:
	s_cmp_eq_u32 s34, 15
	s_cbranch_scc0 .LBB104_591
; %bb.587:
	global_load_ushort v2, v[0:1], off
	s_mov_b64 s[0:1], -1
	s_mov_b64 s[26:27], 0
	s_branch .LBB104_592
.LBB104_588:
	s_mov_b64 s[28:29], -1
                                        ; implicit-def: $vgpr2
	s_branch .LBB104_593
.LBB104_589:
	s_or_saveexec_b64 s[28:29], s[28:29]
	v_mov_b32_e32 v3, 0x7f800001
	s_xor_b64 exec, exec, s[28:29]
	s_cbranch_execz .LBB104_570
.LBB104_590:
	v_cmp_ne_u16_e32 vcc, 0, v2
	s_andn2_b64 s[0:1], s[0:1], exec
	s_and_b64 s[30:31], vcc, exec
	v_mov_b32_e32 v3, 0
	s_or_b64 s[0:1], s[0:1], s[30:31]
	s_or_b64 exec, exec, s[28:29]
	s_and_saveexec_b64 s[28:29], s[0:1]
	s_cbranch_execnz .LBB104_571
	s_branch .LBB104_572
.LBB104_591:
	s_mov_b64 s[26:27], -1
                                        ; implicit-def: $vgpr2
.LBB104_592:
	s_mov_b64 s[28:29], 0
.LBB104_593:
	s_and_b64 vcc, exec, s[28:29]
	s_cbranch_vccz .LBB104_597
; %bb.594:
	s_cmp_eq_u32 s34, 11
	s_cbranch_scc0 .LBB104_596
; %bb.595:
	global_load_ubyte v2, v[0:1], off
	s_mov_b64 s[0:1], -1
	s_mov_b64 s[26:27], 0
	s_waitcnt vmcnt(0)
	v_cmp_ne_u16_e32 vcc, 0, v2
	s_nop 1
	v_cndmask_b32_e64 v2, 0, 1.0, vcc
	v_lshrrev_b32_e32 v2, 16, v2
	s_branch .LBB104_597
.LBB104_596:
	s_mov_b64 s[26:27], -1
                                        ; implicit-def: $vgpr2
.LBB104_597:
	s_mov_b64 s[28:29], 0
.LBB104_598:
	s_and_b64 vcc, exec, s[28:29]
	s_cbranch_vccz .LBB104_647
; %bb.599:
	s_cmp_lt_i32 s34, 5
	s_cbranch_scc1 .LBB104_604
; %bb.600:
	s_cmp_lt_i32 s34, 8
	s_cbranch_scc1 .LBB104_605
	;; [unrolled: 3-line block ×3, first 2 shown]
; %bb.602:
	s_cmp_gt_i32 s34, 9
	s_cbranch_scc0 .LBB104_607
; %bb.603:
	global_load_dwordx2 v[2:3], v[0:1], off
	s_movk_i32 s0, 0x7fff
	v_mov_b32_e32 v5, 0x7fc0
	s_waitcnt vmcnt(0)
	v_cvt_f32_f64_e32 v2, v[2:3]
	v_bfe_u32 v3, v2, 16, 1
	v_cmp_o_f32_e32 vcc, v2, v2
	v_add3_u32 v2, v2, v3, s0
	s_mov_b64 s[0:1], 0
	v_cndmask_b32_sdwa v2, v5, v2, vcc dst_sel:DWORD dst_unused:UNUSED_PAD src0_sel:DWORD src1_sel:WORD_1
	s_branch .LBB104_608
.LBB104_604:
	s_mov_b64 s[0:1], -1
                                        ; implicit-def: $vgpr2
	s_branch .LBB104_626
.LBB104_605:
	s_mov_b64 s[0:1], -1
                                        ; implicit-def: $vgpr2
	s_branch .LBB104_614
.LBB104_606:
	s_mov_b64 s[0:1], -1
                                        ; implicit-def: $vgpr2
	s_branch .LBB104_611
.LBB104_607:
	s_mov_b64 s[0:1], -1
                                        ; implicit-def: $vgpr2
.LBB104_608:
	s_andn2_b64 vcc, exec, s[0:1]
	s_cbranch_vccnz .LBB104_610
; %bb.609:
	global_load_dword v2, v[0:1], off
	s_movk_i32 s0, 0x7fff
	v_mov_b32_e32 v3, 0x7fc0
	s_waitcnt vmcnt(0)
	v_bfe_u32 v5, v2, 16, 1
	v_cmp_o_f32_e32 vcc, v2, v2
	v_add3_u32 v2, v2, v5, s0
	s_nop 0
	v_cndmask_b32_sdwa v2, v3, v2, vcc dst_sel:DWORD dst_unused:UNUSED_PAD src0_sel:DWORD src1_sel:WORD_1
.LBB104_610:
	s_mov_b64 s[0:1], 0
.LBB104_611:
	s_andn2_b64 vcc, exec, s[0:1]
	s_cbranch_vccnz .LBB104_613
; %bb.612:
	global_load_dword v2, v[0:1], off
	s_movk_i32 s0, 0x7fff
	v_mov_b32_e32 v5, 0x7fc0
	s_waitcnt vmcnt(0)
	v_cvt_f32_f16_e32 v3, v2
	v_cmp_o_f16_e32 vcc, v2, v2
	v_bfe_u32 v2, v3, 16, 1
	v_add3_u32 v2, v3, v2, s0
	v_cndmask_b32_sdwa v2, v5, v2, vcc dst_sel:DWORD dst_unused:UNUSED_PAD src0_sel:DWORD src1_sel:WORD_1
.LBB104_613:
	s_mov_b64 s[0:1], 0
.LBB104_614:
	s_andn2_b64 vcc, exec, s[0:1]
	s_cbranch_vccnz .LBB104_625
; %bb.615:
	s_cmp_lt_i32 s34, 6
	s_cbranch_scc1 .LBB104_618
; %bb.616:
	s_cmp_gt_i32 s34, 6
	s_cbranch_scc0 .LBB104_619
; %bb.617:
	global_load_dwordx2 v[2:3], v[0:1], off
	s_movk_i32 s0, 0x7fff
	v_mov_b32_e32 v5, 0x7fc0
	s_waitcnt vmcnt(0)
	v_cvt_f32_f64_e32 v2, v[2:3]
	v_bfe_u32 v3, v2, 16, 1
	v_cmp_o_f32_e32 vcc, v2, v2
	v_add3_u32 v2, v2, v3, s0
	s_mov_b64 s[0:1], 0
	v_cndmask_b32_sdwa v2, v5, v2, vcc dst_sel:DWORD dst_unused:UNUSED_PAD src0_sel:DWORD src1_sel:WORD_1
	s_branch .LBB104_620
.LBB104_618:
	s_mov_b64 s[0:1], -1
                                        ; implicit-def: $vgpr2
	s_branch .LBB104_623
.LBB104_619:
	s_mov_b64 s[0:1], -1
                                        ; implicit-def: $vgpr2
.LBB104_620:
	s_andn2_b64 vcc, exec, s[0:1]
	s_cbranch_vccnz .LBB104_622
; %bb.621:
	global_load_dword v2, v[0:1], off
	s_movk_i32 s0, 0x7fff
	v_mov_b32_e32 v3, 0x7fc0
	s_waitcnt vmcnt(0)
	v_bfe_u32 v5, v2, 16, 1
	v_cmp_o_f32_e32 vcc, v2, v2
	v_add3_u32 v2, v2, v5, s0
	s_nop 0
	v_cndmask_b32_sdwa v2, v3, v2, vcc dst_sel:DWORD dst_unused:UNUSED_PAD src0_sel:DWORD src1_sel:WORD_1
.LBB104_622:
	s_mov_b64 s[0:1], 0
.LBB104_623:
	s_andn2_b64 vcc, exec, s[0:1]
	s_cbranch_vccnz .LBB104_625
; %bb.624:
	global_load_ushort v2, v[0:1], off
	s_movk_i32 s0, 0x7fff
	v_mov_b32_e32 v5, 0x7fc0
	s_waitcnt vmcnt(0)
	v_cvt_f32_f16_e32 v3, v2
	v_cmp_o_f16_e32 vcc, v2, v2
	v_bfe_u32 v2, v3, 16, 1
	v_add3_u32 v2, v3, v2, s0
	v_cndmask_b32_sdwa v2, v5, v2, vcc dst_sel:DWORD dst_unused:UNUSED_PAD src0_sel:DWORD src1_sel:WORD_1
.LBB104_625:
	s_mov_b64 s[0:1], 0
.LBB104_626:
	s_andn2_b64 vcc, exec, s[0:1]
	s_cbranch_vccnz .LBB104_646
; %bb.627:
	s_cmp_lt_i32 s34, 2
	s_cbranch_scc1 .LBB104_631
; %bb.628:
	s_cmp_lt_i32 s34, 3
	s_cbranch_scc1 .LBB104_632
; %bb.629:
	s_cmp_gt_i32 s34, 3
	s_cbranch_scc0 .LBB104_633
; %bb.630:
	global_load_dwordx2 v[2:3], v[0:1], off
	s_movk_i32 s0, 0x7fff
	s_waitcnt vmcnt(0)
	v_xor_b32_e32 v6, v2, v3
	v_ffbh_i32_e32 v5, v3
	v_ashrrev_i32_e32 v6, 31, v6
	v_add_u32_e32 v5, -1, v5
	v_add_u32_e32 v6, 32, v6
	v_min_u32_e32 v5, v5, v6
	v_lshlrev_b64 v[2:3], v5, v[2:3]
	v_min_u32_e32 v2, 1, v2
	v_or_b32_e32 v2, v3, v2
	v_cvt_f32_i32_e32 v2, v2
	v_sub_u32_e32 v3, 32, v5
	v_ldexp_f32 v2, v2, v3
	v_bfe_u32 v3, v2, 16, 1
	v_add3_u32 v2, v2, v3, s0
	v_lshrrev_b32_e32 v2, 16, v2
	s_mov_b64 s[0:1], 0
	s_branch .LBB104_634
.LBB104_631:
	s_mov_b64 s[0:1], -1
                                        ; implicit-def: $vgpr2
	s_branch .LBB104_640
.LBB104_632:
	s_mov_b64 s[0:1], -1
                                        ; implicit-def: $vgpr2
	s_branch .LBB104_637
.LBB104_633:
	s_mov_b64 s[0:1], -1
                                        ; implicit-def: $vgpr2
.LBB104_634:
	s_andn2_b64 vcc, exec, s[0:1]
	s_cbranch_vccnz .LBB104_636
; %bb.635:
	global_load_dword v2, v[0:1], off
	s_movk_i32 s0, 0x7fff
	s_waitcnt vmcnt(0)
	v_cvt_f32_i32_e32 v2, v2
	v_bfe_u32 v3, v2, 16, 1
	v_add3_u32 v2, v2, v3, s0
	v_lshrrev_b32_e32 v2, 16, v2
.LBB104_636:
	s_mov_b64 s[0:1], 0
.LBB104_637:
	s_andn2_b64 vcc, exec, s[0:1]
	s_cbranch_vccnz .LBB104_639
; %bb.638:
	global_load_sshort v2, v[0:1], off
	s_movk_i32 s0, 0x7fff
	s_waitcnt vmcnt(0)
	v_cvt_f32_i32_e32 v2, v2
	v_bfe_u32 v3, v2, 16, 1
	v_add3_u32 v2, v2, v3, s0
	v_lshrrev_b32_e32 v2, 16, v2
.LBB104_639:
	s_mov_b64 s[0:1], 0
.LBB104_640:
	s_andn2_b64 vcc, exec, s[0:1]
	s_cbranch_vccnz .LBB104_646
; %bb.641:
	s_cmp_gt_i32 s34, 0
	s_cbranch_scc0 .LBB104_643
; %bb.642:
	global_load_sbyte v2, v[0:1], off
	s_movk_i32 s0, 0x7fff
	s_waitcnt vmcnt(0)
	v_cvt_f32_i32_e32 v2, v2
	v_bfe_u32 v3, v2, 16, 1
	v_add3_u32 v2, v2, v3, s0
	v_lshrrev_b32_e32 v2, 16, v2
	s_mov_b64 s[0:1], 0
	s_branch .LBB104_644
.LBB104_643:
	s_mov_b64 s[0:1], -1
                                        ; implicit-def: $vgpr2
.LBB104_644:
	s_andn2_b64 vcc, exec, s[0:1]
	s_cbranch_vccnz .LBB104_646
; %bb.645:
	global_load_ubyte v0, v[0:1], off
	s_movk_i32 s0, 0x7fff
	s_waitcnt vmcnt(0)
	v_cvt_f32_ubyte0_e32 v0, v0
	v_bfe_u32 v1, v0, 16, 1
	v_add3_u32 v0, v0, v1, s0
	v_lshrrev_b32_e32 v2, 16, v0
.LBB104_646:
	s_mov_b64 s[0:1], -1
.LBB104_647:
	s_andn2_b64 vcc, exec, s[0:1]
	s_cbranch_vccnz .LBB104_655
; %bb.648:
	s_waitcnt vmcnt(0)
	v_lshlrev_b32_e32 v0, 16, v2
	v_mul_f32_e32 v1, 0x3fb8aa3b, v0
	s_mov_b32 s0, 0x3fb8aa3b
	v_rndne_f32_e32 v2, v1
	v_sub_f32_e32 v3, v1, v2
	v_fma_f32 v1, v0, s0, -v1
	v_fmamk_f32 v1, v0, 0x32a5705f, v1
	v_add_f32_e32 v1, v3, v1
	v_exp_f32_e32 v1, v1
	v_cvt_i32_f32_e32 v2, v2
	s_mov_b32 s0, 0xc2ce8ed0
	v_cmp_ngt_f32_e32 vcc, s0, v0
	s_mov_b32 s0, 0x42b17218
	v_ldexp_f32 v1, v1, v2
	v_cndmask_b32_e32 v1, 0, v1, vcc
	v_mov_b32_e32 v2, 0x7f800000
	v_cmp_nlt_f32_e32 vcc, s0, v0
	s_movk_i32 s0, 0x7fff
	s_and_b32 s36, s33, 0xff
	v_cndmask_b32_e32 v0, v2, v1, vcc
	v_bfe_u32 v1, v0, 16, 1
	v_add3_u32 v1, v0, v1, s0
	v_cmp_o_f32_e32 vcc, v0, v0
	v_mov_b32_e32 v0, 0x7fc0
	s_cmp_lt_i32 s36, 11
	v_cndmask_b32_sdwa v2, v0, v1, vcc dst_sel:DWORD dst_unused:UNUSED_PAD src0_sel:DWORD src1_sel:WORD_1
	v_mul_lo_u32 v0, v4, s8
	v_ashrrev_i32_e32 v1, 31, v0
	v_lshl_add_u64 v[0:1], s[4:5], 0, v[0:1]
	s_cbranch_scc1 .LBB104_656
; %bb.649:
	s_and_b32 s37, 0xffff, s36
	s_cmp_gt_i32 s37, 25
	s_cbranch_scc0 .LBB104_657
; %bb.650:
	s_cmp_gt_i32 s37, 28
	s_cbranch_scc0 .LBB104_658
; %bb.651:
	;; [unrolled: 3-line block ×4, first 2 shown]
	s_mov_b64 s[30:31], 0
	s_mov_b64 s[0:1], -1
	s_cmp_eq_u32 s37, 46
	s_mov_b64 s[28:29], 0
	s_cbranch_scc0 .LBB104_661
; %bb.654:
	v_and_b32_e32 v3, 0xffff, v2
	global_store_dword v[0:1], v3, off
	s_mov_b64 s[28:29], -1
	s_mov_b64 s[0:1], 0
	s_branch .LBB104_661
.LBB104_655:
	s_mov_b64 s[30:31], 0
	s_mov_b64 s[0:1], s[20:21]
	s_branch .LBB104_772
.LBB104_656:
	s_mov_b64 s[30:31], -1
	s_mov_b64 s[28:29], 0
	s_mov_b64 s[0:1], s[20:21]
	s_branch .LBB104_730
.LBB104_657:
	s_mov_b64 s[30:31], -1
	s_mov_b64 s[28:29], 0
	s_mov_b64 s[0:1], s[20:21]
	s_branch .LBB104_688
.LBB104_658:
	s_mov_b64 s[30:31], -1
	s_mov_b64 s[28:29], 0
	s_mov_b64 s[0:1], s[20:21]
	s_branch .LBB104_671
.LBB104_659:
	s_mov_b64 s[30:31], -1
	s_mov_b64 s[28:29], 0
	s_mov_b64 s[0:1], s[20:21]
	s_branch .LBB104_667
.LBB104_660:
	s_mov_b64 s[30:31], -1
	s_mov_b64 s[28:29], 0
	s_mov_b64 s[0:1], s[20:21]
.LBB104_661:
	s_and_b64 vcc, exec, s[30:31]
	s_cbranch_vccz .LBB104_666
; %bb.662:
	s_cmp_eq_u32 s37, 44
	s_mov_b64 s[0:1], -1
	s_cbranch_scc0 .LBB104_666
; %bb.663:
	v_and_b32_e32 v5, 0xffff, v2
	v_bfe_u32 v3, v5, 7, 8
	s_movk_i32 s0, 0xff
	v_cmp_ne_u32_e32 vcc, s0, v3
	v_mov_b32_e32 v6, 0xff
	s_and_saveexec_b64 s[28:29], vcc
	s_cbranch_execz .LBB104_665
; %bb.664:
	v_lshlrev_b32_e32 v7, 16, v5
	s_mov_b32 s0, 0x3f0000
	v_lshrrev_b32_e32 v6, 7, v5
	v_and_b32_e32 v5, 64, v5
	v_and_or_b32 v3, v7, s0, v3
	v_cmp_ne_u32_e32 vcc, 0, v5
	v_cmp_ne_u32_e64 s[0:1], 0, v3
	s_and_b64 s[0:1], vcc, s[0:1]
	s_nop 0
	v_cndmask_b32_e64 v3, 0, 1, s[0:1]
	v_add_u32_e32 v6, v6, v3
.LBB104_665:
	s_or_b64 exec, exec, s[28:29]
	s_mov_b64 s[28:29], -1
	s_mov_b64 s[0:1], 0
	global_store_byte v[0:1], v6, off
.LBB104_666:
	s_mov_b64 s[30:31], 0
.LBB104_667:
	s_and_b64 vcc, exec, s[30:31]
	s_cbranch_vccz .LBB104_670
; %bb.668:
	s_cmp_eq_u32 s37, 29
	s_mov_b64 s[0:1], -1
	s_cbranch_scc0 .LBB104_670
; %bb.669:
	v_lshlrev_b32_e32 v3, 16, v2
	v_trunc_f32_e32 v3, v3
	v_mul_f32_e32 v5, 0x2f800000, v3
	v_floor_f32_e32 v5, v5
	v_fmamk_f32 v3, v5, 0xcf800000, v3
	v_cvt_u32_f32_e32 v7, v5
	v_cvt_u32_f32_e32 v6, v3
	s_mov_b64 s[28:29], -1
	s_mov_b64 s[0:1], 0
	s_mov_b64 s[30:31], 0
	global_store_dwordx2 v[0:1], v[6:7], off
	s_branch .LBB104_671
.LBB104_670:
	s_mov_b64 s[30:31], 0
.LBB104_671:
	s_and_b64 vcc, exec, s[30:31]
	s_cbranch_vccz .LBB104_687
; %bb.672:
	s_cmp_lt_i32 s37, 27
	s_mov_b64 s[28:29], -1
	s_cbranch_scc1 .LBB104_678
; %bb.673:
	s_cmp_gt_i32 s37, 27
	s_cbranch_scc0 .LBB104_675
; %bb.674:
	v_lshlrev_b32_e32 v3, 16, v2
	v_cvt_u32_f32_e32 v3, v3
	s_mov_b64 s[28:29], 0
	global_store_dword v[0:1], v3, off
.LBB104_675:
	s_andn2_b64 vcc, exec, s[28:29]
	s_cbranch_vccnz .LBB104_677
; %bb.676:
	v_lshlrev_b32_e32 v3, 16, v2
	v_cvt_u32_f32_e32 v3, v3
	global_store_short v[0:1], v3, off
.LBB104_677:
	s_mov_b64 s[28:29], 0
.LBB104_678:
	s_andn2_b64 vcc, exec, s[28:29]
	s_cbranch_vccnz .LBB104_686
; %bb.679:
	v_lshlrev_b32_e32 v6, 16, v2
	v_and_b32_e32 v5, 0x7fffffff, v6
	s_mov_b32 s28, 0x43800000
	v_cmp_gt_u32_e32 vcc, s28, v5
	v_mov_b32_e32 v7, 0x80
	s_and_saveexec_b64 s[28:29], vcc
	s_cbranch_execz .LBB104_685
; %bb.680:
	s_mov_b32 s30, 0x3bffffff
	v_and_b32_e32 v3, 0xffff, v2
	v_cmp_lt_u32_e32 vcc, s30, v5
	s_mov_b64 s[30:31], 0
                                        ; implicit-def: $vgpr5
	s_and_saveexec_b64 s[34:35], vcc
	s_xor_b64 s[34:35], exec, s[34:35]
	s_cbranch_execz .LBB104_787
; %bb.681:
	v_bfe_u32 v5, v3, 4, 1
	s_mov_b32 s39, 0x487ffff
	v_add3_u32 v5, v6, v5, s39
	s_mov_b64 s[30:31], exec
	v_lshrrev_b32_e32 v5, 20, v5
                                        ; implicit-def: $vgpr6
	s_andn2_saveexec_b64 s[34:35], s[34:35]
	s_cbranch_execnz .LBB104_788
.LBB104_682:
	s_or_b64 exec, exec, s[34:35]
	v_mov_b32_e32 v7, 0
	s_and_saveexec_b64 s[34:35], s[30:31]
.LBB104_683:
	v_lshrrev_b32_e32 v3, 8, v3
	s_movk_i32 s30, 0x80
	v_and_or_b32 v7, v3, s30, v5
.LBB104_684:
	s_or_b64 exec, exec, s[34:35]
.LBB104_685:
	s_or_b64 exec, exec, s[28:29]
	global_store_byte v[0:1], v7, off
.LBB104_686:
	s_mov_b64 s[28:29], -1
.LBB104_687:
	s_mov_b64 s[30:31], 0
.LBB104_688:
	s_and_b64 vcc, exec, s[30:31]
	s_cbranch_vccz .LBB104_729
; %bb.689:
	s_cmp_gt_i32 s37, 22
	s_mov_b64 s[30:31], -1
	s_cbranch_scc0 .LBB104_721
; %bb.690:
	s_cmp_lt_i32 s37, 24
	s_mov_b64 s[28:29], -1
	s_cbranch_scc1 .LBB104_710
; %bb.691:
	s_cmp_gt_i32 s37, 24
	s_cbranch_scc0 .LBB104_699
; %bb.692:
	v_lshlrev_b32_e32 v6, 16, v2
	v_and_b32_e32 v5, 0x7fffffff, v6
	s_mov_b32 s28, 0x47800000
	v_cmp_gt_u32_e32 vcc, s28, v5
	v_mov_b32_e32 v7, 0x80
	s_and_saveexec_b64 s[28:29], vcc
	s_cbranch_execz .LBB104_698
; %bb.693:
	s_mov_b32 s30, 0x37ffffff
	v_and_b32_e32 v3, 0xffff, v2
	v_cmp_lt_u32_e32 vcc, s30, v5
	s_mov_b64 s[30:31], 0
                                        ; implicit-def: $vgpr5
	s_and_saveexec_b64 s[34:35], vcc
	s_xor_b64 s[34:35], exec, s[34:35]
	s_cbranch_execz .LBB104_790
; %bb.694:
	v_bfe_u32 v5, v3, 5, 1
	s_mov_b32 s39, 0x88fffff
	v_add3_u32 v5, v6, v5, s39
	s_mov_b64 s[30:31], exec
	v_lshrrev_b32_e32 v5, 21, v5
                                        ; implicit-def: $vgpr6
	s_andn2_saveexec_b64 s[34:35], s[34:35]
	s_cbranch_execnz .LBB104_791
.LBB104_695:
	s_or_b64 exec, exec, s[34:35]
	v_mov_b32_e32 v7, 0
	s_and_saveexec_b64 s[34:35], s[30:31]
.LBB104_696:
	v_lshrrev_b32_e32 v3, 8, v3
	s_movk_i32 s30, 0x80
	v_and_or_b32 v7, v3, s30, v5
.LBB104_697:
	s_or_b64 exec, exec, s[34:35]
.LBB104_698:
	s_or_b64 exec, exec, s[28:29]
	s_mov_b64 s[28:29], 0
	global_store_byte v[0:1], v7, off
.LBB104_699:
	s_and_b64 vcc, exec, s[28:29]
	s_cbranch_vccz .LBB104_709
; %bb.700:
	v_lshlrev_b32_e32 v6, 16, v2
	v_and_b32_e32 v7, 0x7fffffff, v6
	s_mov_b32 s28, 0x43f00000
	v_and_b32_e32 v3, 0xffff, v2
	v_cmp_gt_u32_e32 vcc, s28, v7
                                        ; implicit-def: $vgpr5
	s_and_saveexec_b64 s[28:29], vcc
	s_xor_b64 s[28:29], exec, s[28:29]
	s_cbranch_execz .LBB104_706
; %bb.701:
	s_mov_b32 s30, 0x3c7fffff
	v_cmp_lt_u32_e32 vcc, s30, v7
                                        ; implicit-def: $vgpr5
	s_and_saveexec_b64 s[30:31], vcc
	s_xor_b64 s[30:31], exec, s[30:31]
; %bb.702:
	v_bfe_u32 v5, v3, 4, 1
	s_mov_b32 s34, 0x407ffff
	v_add3_u32 v5, v6, v5, s34
	v_lshrrev_b32_e32 v6, 20, v5
	v_and_b32_e32 v5, 0xff00000, v5
	s_mov_b32 s34, 0x7f00000
	v_mov_b32_e32 v7, 0x7e
	v_cmp_ne_u32_e32 vcc, s34, v5
	s_nop 1
	v_cndmask_b32_e32 v5, v7, v6, vcc
                                        ; implicit-def: $vgpr6
; %bb.703:
	s_andn2_saveexec_b64 s[30:31], s[30:31]
; %bb.704:
	s_mov_b32 s34, 0x46800000
	v_add_f32_e64 v5, |v6|, s34
; %bb.705:
	s_or_b64 exec, exec, s[30:31]
                                        ; implicit-def: $vgpr7
.LBB104_706:
	s_andn2_saveexec_b64 s[28:29], s[28:29]
; %bb.707:
	s_mov_b32 s30, 0x7f800000
	v_mov_b32_e32 v5, 0x7e
	v_mov_b32_e32 v6, 0x7f
	v_cmp_lt_u32_e32 vcc, s30, v7
	s_nop 1
	v_cndmask_b32_e32 v5, v5, v6, vcc
; %bb.708:
	s_or_b64 exec, exec, s[28:29]
	v_lshrrev_b32_e32 v3, 8, v3
	s_movk_i32 s28, 0x80
	v_and_or_b32 v3, v3, s28, v5
	global_store_byte v[0:1], v3, off
.LBB104_709:
	s_mov_b64 s[28:29], 0
.LBB104_710:
	s_andn2_b64 vcc, exec, s[28:29]
	s_cbranch_vccnz .LBB104_720
; %bb.711:
	v_lshlrev_b32_e32 v6, 16, v2
	v_and_b32_e32 v7, 0x7fffffff, v6
	s_mov_b32 s28, 0x47800000
	v_and_b32_e32 v3, 0xffff, v2
	v_cmp_gt_u32_e32 vcc, s28, v7
                                        ; implicit-def: $vgpr5
	s_and_saveexec_b64 s[28:29], vcc
	s_xor_b64 s[28:29], exec, s[28:29]
	s_cbranch_execz .LBB104_717
; %bb.712:
	s_mov_b32 s30, 0x387fffff
	v_cmp_lt_u32_e32 vcc, s30, v7
                                        ; implicit-def: $vgpr5
	s_and_saveexec_b64 s[30:31], vcc
	s_xor_b64 s[30:31], exec, s[30:31]
; %bb.713:
	v_bfe_u32 v5, v3, 5, 1
	s_mov_b32 s34, 0x80fffff
	v_add3_u32 v5, v6, v5, s34
	v_lshrrev_b32_e32 v5, 21, v5
                                        ; implicit-def: $vgpr6
; %bb.714:
	s_andn2_saveexec_b64 s[30:31], s[30:31]
; %bb.715:
	s_mov_b32 s34, 0x43000000
	v_add_f32_e64 v5, |v6|, s34
; %bb.716:
	s_or_b64 exec, exec, s[30:31]
                                        ; implicit-def: $vgpr7
.LBB104_717:
	s_andn2_saveexec_b64 s[28:29], s[28:29]
; %bb.718:
	s_mov_b32 s30, 0x7f800000
	v_mov_b32_e32 v5, 0x7c
	v_mov_b32_e32 v6, 0x7f
	v_cmp_lt_u32_e32 vcc, s30, v7
	s_nop 1
	v_cndmask_b32_e32 v5, v5, v6, vcc
; %bb.719:
	s_or_b64 exec, exec, s[28:29]
	v_lshrrev_b32_e32 v3, 8, v3
	s_movk_i32 s28, 0x80
	v_and_or_b32 v3, v3, s28, v5
	global_store_byte v[0:1], v3, off
.LBB104_720:
	s_mov_b64 s[30:31], 0
	s_mov_b64 s[28:29], -1
.LBB104_721:
	s_andn2_b64 vcc, exec, s[30:31]
	s_cbranch_vccnz .LBB104_729
; %bb.722:
	s_cmp_gt_i32 s37, 14
	s_mov_b64 s[30:31], -1
	s_cbranch_scc0 .LBB104_726
; %bb.723:
	s_cmp_eq_u32 s37, 15
	s_mov_b64 s[0:1], -1
	s_cbranch_scc0 .LBB104_725
; %bb.724:
	global_store_short v[0:1], v2, off
	s_mov_b64 s[28:29], -1
	s_mov_b64 s[0:1], 0
.LBB104_725:
	s_mov_b64 s[30:31], 0
.LBB104_726:
	s_and_b64 vcc, exec, s[30:31]
	s_cbranch_vccz .LBB104_729
; %bb.727:
	s_cmp_eq_u32 s37, 11
	s_mov_b64 s[0:1], -1
	s_cbranch_scc0 .LBB104_729
; %bb.728:
	v_and_b32_e32 v3, 0x7fff, v2
	v_cmp_ne_u16_e32 vcc, 0, v3
	s_mov_b64 s[28:29], -1
	s_mov_b64 s[0:1], 0
	v_cndmask_b32_e64 v3, 0, 1, vcc
	global_store_byte v[0:1], v3, off
.LBB104_729:
	s_mov_b64 s[30:31], 0
.LBB104_730:
	s_and_b64 vcc, exec, s[30:31]
	s_cbranch_vccz .LBB104_769
; %bb.731:
	s_and_b32 s30, 0xffff, s36
	s_cmp_lt_i32 s30, 5
	s_mov_b64 s[28:29], -1
	s_cbranch_scc1 .LBB104_752
; %bb.732:
	s_cmp_lt_i32 s30, 8
	s_cbranch_scc1 .LBB104_742
; %bb.733:
	s_cmp_lt_i32 s30, 9
	s_cbranch_scc1 .LBB104_739
; %bb.734:
	s_cmp_gt_i32 s30, 9
	s_cbranch_scc0 .LBB104_736
; %bb.735:
	v_lshlrev_b32_e32 v3, 16, v2
	v_mov_b32_e32 v8, 0
	v_cvt_f64_f32_e32 v[6:7], v3
	v_mov_b32_e32 v9, v8
	s_mov_b64 s[28:29], 0
	global_store_dwordx4 v[0:1], v[6:9], off
.LBB104_736:
	s_andn2_b64 vcc, exec, s[28:29]
	s_cbranch_vccnz .LBB104_738
; %bb.737:
	v_lshlrev_b32_e32 v6, 16, v2
	v_mov_b32_e32 v7, 0
	global_store_dwordx2 v[0:1], v[6:7], off
.LBB104_738:
	s_mov_b64 s[28:29], 0
.LBB104_739:
	s_andn2_b64 vcc, exec, s[28:29]
	s_cbranch_vccnz .LBB104_741
; %bb.740:
	v_lshlrev_b32_e32 v3, 16, v2
	v_cvt_f16_f32_e32 v3, v3
	global_store_dword v[0:1], v3, off
.LBB104_741:
	s_mov_b64 s[28:29], 0
.LBB104_742:
	s_andn2_b64 vcc, exec, s[28:29]
	s_cbranch_vccnz .LBB104_751
; %bb.743:
	s_cmp_lt_i32 s30, 6
	s_mov_b64 s[28:29], -1
	s_cbranch_scc1 .LBB104_749
; %bb.744:
	s_cmp_gt_i32 s30, 6
	s_cbranch_scc0 .LBB104_746
; %bb.745:
	v_lshlrev_b32_e32 v3, 16, v2
	v_cvt_f64_f32_e32 v[6:7], v3
	s_mov_b64 s[28:29], 0
	global_store_dwordx2 v[0:1], v[6:7], off
.LBB104_746:
	s_andn2_b64 vcc, exec, s[28:29]
	s_cbranch_vccnz .LBB104_748
; %bb.747:
	v_lshlrev_b32_e32 v3, 16, v2
	global_store_dword v[0:1], v3, off
.LBB104_748:
	s_mov_b64 s[28:29], 0
.LBB104_749:
	s_andn2_b64 vcc, exec, s[28:29]
	s_cbranch_vccnz .LBB104_751
; %bb.750:
	v_lshlrev_b32_e32 v3, 16, v2
	v_cvt_f16_f32_e32 v3, v3
	global_store_short v[0:1], v3, off
.LBB104_751:
	s_mov_b64 s[28:29], 0
.LBB104_752:
	s_andn2_b64 vcc, exec, s[28:29]
	s_cbranch_vccnz .LBB104_768
; %bb.753:
	s_cmp_lt_i32 s30, 2
	s_mov_b64 s[28:29], -1
	s_cbranch_scc1 .LBB104_763
; %bb.754:
	s_cmp_lt_i32 s30, 3
	s_cbranch_scc1 .LBB104_760
; %bb.755:
	s_cmp_gt_i32 s30, 3
	s_cbranch_scc0 .LBB104_757
; %bb.756:
	v_lshlrev_b32_e32 v3, 16, v2
	v_trunc_f32_e32 v3, v3
	s_mov_b32 s28, 0x2f800000
	v_mul_f32_e64 v5, |v3|, s28
	v_floor_f32_e32 v5, v5
	s_mov_b32 s28, 0xcf800000
	v_cvt_u32_f32_e32 v6, v5
	v_fma_f32 v5, v5, s28, |v3|
	v_cvt_u32_f32_e32 v5, v5
	v_ashrrev_i32_e32 v3, 31, v3
	v_xor_b32_e32 v7, v6, v3
	s_mov_b64 s[28:29], 0
	v_xor_b32_e32 v5, v5, v3
	v_sub_co_u32_e32 v6, vcc, v5, v3
	s_nop 1
	v_subb_co_u32_e32 v7, vcc, v7, v3, vcc
	global_store_dwordx2 v[0:1], v[6:7], off
.LBB104_757:
	s_andn2_b64 vcc, exec, s[28:29]
	s_cbranch_vccnz .LBB104_759
; %bb.758:
	v_lshlrev_b32_e32 v3, 16, v2
	v_cvt_i32_f32_e32 v3, v3
	global_store_dword v[0:1], v3, off
.LBB104_759:
	s_mov_b64 s[28:29], 0
.LBB104_760:
	s_andn2_b64 vcc, exec, s[28:29]
	s_cbranch_vccnz .LBB104_762
; %bb.761:
	v_lshlrev_b32_e32 v3, 16, v2
	v_cvt_i32_f32_e32 v3, v3
	global_store_short v[0:1], v3, off
.LBB104_762:
	s_mov_b64 s[28:29], 0
.LBB104_763:
	s_andn2_b64 vcc, exec, s[28:29]
	s_cbranch_vccnz .LBB104_768
; %bb.764:
	s_mov_b64 s[28:29], -1
	s_cmp_gt_i32 s30, 0
	v_lshlrev_b32_e32 v2, 16, v2
	s_cbranch_scc0 .LBB104_766
; %bb.765:
	v_cvt_i32_f32_e32 v3, v2
	s_mov_b64 s[28:29], 0
	global_store_byte v[0:1], v3, off
.LBB104_766:
	s_andn2_b64 vcc, exec, s[28:29]
	s_cbranch_vccnz .LBB104_768
; %bb.767:
	v_trunc_f32_e32 v2, v2
	s_mov_b32 s28, 0x2f800000
	v_mul_f32_e64 v3, |v2|, s28
	v_floor_f32_e32 v3, v3
	s_mov_b32 s28, 0xcf800000
	v_fma_f32 v3, v3, s28, |v2|
	v_cvt_u32_f32_e32 v3, v3
	v_ashrrev_i32_e32 v2, 31, v2
	v_xor_b32_e32 v3, v3, v2
	v_sub_u32_e32 v2, v3, v2
	global_store_byte v[0:1], v2, off
.LBB104_768:
	s_mov_b64 s[28:29], -1
.LBB104_769:
	s_andn2_b64 vcc, exec, s[28:29]
	s_cbranch_vccnz .LBB104_771
; %bb.770:
	v_add_u32_e32 v4, 0x80, v4
	s_mov_b64 s[30:31], -1
	s_branch .LBB104_773
.LBB104_771:
	s_mov_b64 s[30:31], 0
.LBB104_772:
                                        ; implicit-def: $vgpr4
.LBB104_773:
	s_andn2_b64 s[28:29], s[20:21], exec
	s_and_b64 s[0:1], s[0:1], exec
	s_or_b64 s[28:29], s[28:29], s[0:1]
	s_andn2_b64 s[0:1], s[18:19], exec
	s_and_b64 s[26:27], s[26:27], exec
	s_or_b64 s[0:1], s[0:1], s[26:27]
	s_orn2_b64 s[34:35], s[30:31], exec
.LBB104_774:
	s_or_b64 exec, exec, s[24:25]
	s_mov_b64 s[30:31], 0
	s_mov_b64 s[26:27], 0
	;; [unrolled: 1-line block ×3, first 2 shown]
                                        ; implicit-def: $vgpr0_vgpr1
                                        ; implicit-def: $vgpr3
	s_and_saveexec_b64 s[24:25], s[34:35]
	s_cbranch_execz .LBB104_859
; %bb.775:
	v_cmp_gt_i32_e32 vcc, s38, v4
	s_mov_b64 s[34:35], 0
	s_mov_b64 s[38:39], s[0:1]
	;; [unrolled: 1-line block ×3, first 2 shown]
                                        ; implicit-def: $vgpr0_vgpr1
                                        ; implicit-def: $vgpr3
	s_and_saveexec_b64 s[26:27], vcc
	s_cbranch_execz .LBB104_858
; %bb.776:
	v_mul_lo_u32 v0, v4, s9
	v_ashrrev_i32_e32 v1, 31, v0
	s_and_b32 s43, 0xffff, s42
	s_cmp_lt_i32 s43, 11
	v_lshl_add_u64 v[0:1], s[6:7], 0, v[0:1]
	s_cbranch_scc1 .LBB104_783
; %bb.777:
	s_cmp_gt_i32 s43, 25
	s_cbranch_scc0 .LBB104_784
; %bb.778:
	s_cmp_gt_i32 s43, 28
	s_cbranch_scc0 .LBB104_785
	;; [unrolled: 3-line block ×4, first 2 shown]
; %bb.781:
	s_cmp_eq_u32 s43, 46
	s_mov_b64 s[38:39], 0
	s_cbranch_scc0 .LBB104_792
; %bb.782:
	global_load_dword v3, v[0:1], off
	s_mov_b64 s[36:37], -1
	s_branch .LBB104_794
.LBB104_783:
	s_mov_b64 s[38:39], -1
                                        ; implicit-def: $vgpr3
	s_mov_b64 s[30:31], s[0:1]
	s_branch .LBB104_857
.LBB104_784:
	s_mov_b64 s[38:39], -1
	s_mov_b64 s[30:31], s[0:1]
                                        ; implicit-def: $vgpr3
	s_branch .LBB104_823
.LBB104_785:
	s_mov_b64 s[38:39], -1
	s_mov_b64 s[30:31], s[0:1]
                                        ; implicit-def: $vgpr3
	s_branch .LBB104_804
.LBB104_786:
	s_mov_b64 s[38:39], -1
	s_mov_b64 s[30:31], s[0:1]
                                        ; implicit-def: $vgpr3
	s_branch .LBB104_799
.LBB104_787:
	s_andn2_saveexec_b64 s[34:35], s[34:35]
	s_cbranch_execz .LBB104_682
.LBB104_788:
	s_mov_b32 s39, 0x46000000
	v_add_f32_e64 v5, |v6|, s39
	v_and_b32_e32 v5, 0xff, v5
	v_cmp_ne_u32_e32 vcc, 0, v5
	s_andn2_b64 s[30:31], s[30:31], exec
	s_and_b64 s[40:41], vcc, exec
	s_or_b64 s[30:31], s[30:31], s[40:41]
	s_or_b64 exec, exec, s[34:35]
	v_mov_b32_e32 v7, 0
	s_and_saveexec_b64 s[34:35], s[30:31]
	s_cbranch_execnz .LBB104_683
	s_branch .LBB104_684
.LBB104_789:
	s_mov_b64 s[38:39], -1
	s_mov_b64 s[30:31], s[0:1]
	s_branch .LBB104_793
.LBB104_790:
	s_andn2_saveexec_b64 s[34:35], s[34:35]
	s_cbranch_execz .LBB104_695
.LBB104_791:
	s_mov_b32 s39, 0x42800000
	v_add_f32_e64 v5, |v6|, s39
	v_and_b32_e32 v5, 0xff, v5
	v_cmp_ne_u32_e32 vcc, 0, v5
	s_andn2_b64 s[30:31], s[30:31], exec
	s_and_b64 s[40:41], vcc, exec
	s_or_b64 s[30:31], s[30:31], s[40:41]
	s_or_b64 exec, exec, s[34:35]
	v_mov_b32_e32 v7, 0
	s_and_saveexec_b64 s[34:35], s[30:31]
	s_cbranch_execnz .LBB104_696
	s_branch .LBB104_697
.LBB104_792:
	s_mov_b64 s[30:31], -1
.LBB104_793:
                                        ; implicit-def: $vgpr3
.LBB104_794:
	s_and_b64 vcc, exec, s[38:39]
	s_cbranch_vccz .LBB104_798
; %bb.795:
	s_cmp_eq_u32 s43, 44
	s_cbranch_scc0 .LBB104_797
; %bb.796:
	global_load_ubyte v2, v[0:1], off
	s_movk_i32 s36, 0xff
	s_waitcnt vmcnt(1)
	v_mov_b32_e32 v3, 0x7f800001
	v_mov_b32_e32 v5, 0x400000
	;; [unrolled: 1-line block ×3, first 2 shown]
	s_mov_b64 s[30:31], 0
	s_waitcnt vmcnt(0)
	v_lshlrev_b32_e32 v7, 23, v2
	v_cmp_ne_u32_e32 vcc, s36, v2
	s_mov_b64 s[36:37], -1
	s_nop 0
	v_cndmask_b32_e32 v3, v3, v7, vcc
	v_cmp_ne_u32_e32 vcc, 0, v2
	s_nop 1
	v_cndmask_b32_e32 v2, v5, v3, vcc
	v_add_u32_e32 v3, 0x7fff, v2
	v_cmp_o_f32_e32 vcc, v2, v2
	s_nop 1
	v_cndmask_b32_sdwa v3, v6, v3, vcc dst_sel:DWORD dst_unused:UNUSED_PAD src0_sel:DWORD src1_sel:WORD_1
	s_branch .LBB104_798
.LBB104_797:
	s_mov_b64 s[30:31], -1
                                        ; implicit-def: $vgpr3
.LBB104_798:
	s_mov_b64 s[38:39], 0
.LBB104_799:
	s_and_b64 vcc, exec, s[38:39]
	s_cbranch_vccz .LBB104_803
; %bb.800:
	s_cmp_eq_u32 s43, 29
	s_cbranch_scc0 .LBB104_802
; %bb.801:
	global_load_dwordx2 v[2:3], v[0:1], off
	s_movk_i32 s36, 0x7fff
	s_mov_b64 s[30:31], 0
	s_mov_b64 s[38:39], 0
	s_waitcnt vmcnt(0)
	v_ffbh_u32_e32 v5, v3
	v_min_u32_e32 v5, 32, v5
	v_lshlrev_b64 v[2:3], v5, v[2:3]
	v_min_u32_e32 v2, 1, v2
	v_or_b32_e32 v2, v3, v2
	v_cvt_f32_u32_e32 v2, v2
	v_sub_u32_e32 v3, 32, v5
	v_ldexp_f32 v2, v2, v3
	v_bfe_u32 v3, v2, 16, 1
	v_add3_u32 v2, v2, v3, s36
	v_lshrrev_b32_e32 v3, 16, v2
	s_mov_b64 s[36:37], -1
	s_branch .LBB104_804
.LBB104_802:
	s_mov_b64 s[30:31], -1
                                        ; implicit-def: $vgpr3
.LBB104_803:
	s_mov_b64 s[38:39], 0
.LBB104_804:
	s_and_b64 vcc, exec, s[38:39]
	s_cbranch_vccz .LBB104_822
; %bb.805:
	s_cmp_lt_i32 s43, 27
	s_cbranch_scc1 .LBB104_808
; %bb.806:
	s_cmp_gt_i32 s43, 27
	s_cbranch_scc0 .LBB104_809
; %bb.807:
	global_load_dword v2, v[0:1], off
	s_movk_i32 s36, 0x7fff
	s_waitcnt vmcnt(0)
	v_cvt_f32_u32_e32 v2, v2
	v_bfe_u32 v3, v2, 16, 1
	v_add3_u32 v2, v2, v3, s36
	v_lshrrev_b32_e32 v3, 16, v2
	s_mov_b64 s[36:37], 0
	s_branch .LBB104_810
.LBB104_808:
	s_mov_b64 s[36:37], -1
                                        ; implicit-def: $vgpr3
	s_branch .LBB104_813
.LBB104_809:
	s_mov_b64 s[36:37], -1
                                        ; implicit-def: $vgpr3
.LBB104_810:
	s_andn2_b64 vcc, exec, s[36:37]
	s_cbranch_vccnz .LBB104_812
; %bb.811:
	global_load_ushort v2, v[0:1], off
	s_movk_i32 s36, 0x7fff
	s_waitcnt vmcnt(0)
	v_cvt_f32_u32_e32 v2, v2
	v_bfe_u32 v3, v2, 16, 1
	v_add3_u32 v2, v2, v3, s36
	v_lshrrev_b32_e32 v3, 16, v2
.LBB104_812:
	s_mov_b64 s[36:37], 0
.LBB104_813:
	s_andn2_b64 vcc, exec, s[36:37]
	s_cbranch_vccnz .LBB104_821
; %bb.814:
	global_load_ubyte v2, v[0:1], off
	s_movk_i32 s36, 0x7f
	s_waitcnt vmcnt(0)
	v_cmp_lt_i16_e32 vcc, s36, v2
	s_mov_b64 s[36:37], 0
	s_and_saveexec_b64 s[38:39], vcc
	s_xor_b64 s[38:39], exec, s[38:39]
	s_cbranch_execz .LBB104_835
; %bb.815:
	s_movk_i32 s36, 0x80
	v_cmp_eq_u16_e32 vcc, s36, v2
	s_mov_b64 s[36:37], -1
	s_and_saveexec_b64 s[40:41], vcc
; %bb.816:
	s_xor_b64 s[36:37], exec, -1
; %bb.817:
	s_or_b64 exec, exec, s[40:41]
	s_and_b64 s[36:37], s[36:37], exec
	s_or_saveexec_b64 s[38:39], s[38:39]
	v_mov_b32_e32 v3, 0x7f800001
	s_xor_b64 exec, exec, s[38:39]
	s_cbranch_execnz .LBB104_836
.LBB104_818:
	s_or_b64 exec, exec, s[38:39]
	s_and_saveexec_b64 s[38:39], s[36:37]
	s_cbranch_execz .LBB104_820
.LBB104_819:
	v_lshlrev_b32_e32 v3, 24, v2
	v_and_b32_e32 v2, 0xffff, v2
	v_and_b32_e32 v5, 7, v2
	v_ffbh_u32_e32 v7, v5
	v_min_u32_e32 v7, 32, v7
	v_subrev_u32_e32 v8, 28, v7
	v_bfe_u32 v6, v2, 3, 4
	v_lshlrev_b32_e32 v2, v8, v2
	v_sub_u32_e32 v7, 29, v7
	v_and_b32_e32 v2, 7, v2
	v_cmp_eq_u32_e32 vcc, 0, v6
	v_and_b32_e32 v3, 0x80000000, v3
	s_nop 0
	v_cndmask_b32_e32 v6, v6, v7, vcc
	v_cndmask_b32_e32 v2, v5, v2, vcc
	v_mov_b32_e32 v5, 0x3b800000
	v_lshlrev_b32_e32 v2, 20, v2
	v_lshl_add_u32 v5, v6, 23, v5
	v_or3_b32 v3, v3, v5, v2
.LBB104_820:
	s_or_b64 exec, exec, s[38:39]
	v_bfe_u32 v2, v3, 16, 1
	s_movk_i32 s36, 0x7fff
	v_add3_u32 v2, v3, v2, s36
	v_cmp_o_f32_e32 vcc, v3, v3
	v_mov_b32_e32 v3, 0x7fc0
	s_nop 0
	v_cndmask_b32_sdwa v3, v3, v2, vcc dst_sel:DWORD dst_unused:UNUSED_PAD src0_sel:DWORD src1_sel:WORD_1
.LBB104_821:
	s_mov_b64 s[36:37], -1
.LBB104_822:
	s_mov_b64 s[38:39], 0
.LBB104_823:
	s_and_b64 vcc, exec, s[38:39]
	s_cbranch_vccz .LBB104_856
; %bb.824:
	s_cmp_gt_i32 s43, 22
	s_cbranch_scc0 .LBB104_834
; %bb.825:
	s_cmp_lt_i32 s43, 24
	s_cbranch_scc1 .LBB104_837
; %bb.826:
	s_cmp_gt_i32 s43, 24
	s_cbranch_scc0 .LBB104_838
; %bb.827:
	global_load_ubyte v2, v[0:1], off
	s_movk_i32 s34, 0x7f
	s_waitcnt vmcnt(0)
	v_cmp_lt_i16_e32 vcc, s34, v2
	s_mov_b64 s[34:35], 0
	s_and_saveexec_b64 s[36:37], vcc
	s_xor_b64 s[36:37], exec, s[36:37]
	s_cbranch_execz .LBB104_850
; %bb.828:
	s_movk_i32 s34, 0x80
	v_cmp_eq_u16_e32 vcc, s34, v2
	s_mov_b64 s[34:35], -1
	s_and_saveexec_b64 s[38:39], vcc
; %bb.829:
	s_xor_b64 s[34:35], exec, -1
; %bb.830:
	s_or_b64 exec, exec, s[38:39]
	s_and_b64 s[34:35], s[34:35], exec
	s_or_saveexec_b64 s[36:37], s[36:37]
	v_mov_b32_e32 v3, 0x7f800001
	s_xor_b64 exec, exec, s[36:37]
	s_cbranch_execnz .LBB104_851
.LBB104_831:
	s_or_b64 exec, exec, s[36:37]
	s_and_saveexec_b64 s[36:37], s[34:35]
	s_cbranch_execz .LBB104_833
.LBB104_832:
	v_lshlrev_b32_e32 v3, 24, v2
	v_and_b32_e32 v2, 0xffff, v2
	v_and_b32_e32 v5, 3, v2
	v_ffbh_u32_e32 v7, v5
	v_min_u32_e32 v7, 32, v7
	v_subrev_u32_e32 v8, 29, v7
	v_bfe_u32 v6, v2, 2, 5
	v_lshlrev_b32_e32 v2, v8, v2
	v_sub_u32_e32 v7, 30, v7
	v_and_b32_e32 v2, 3, v2
	v_cmp_eq_u32_e32 vcc, 0, v6
	v_and_b32_e32 v3, 0x80000000, v3
	s_nop 0
	v_cndmask_b32_e32 v6, v6, v7, vcc
	v_cndmask_b32_e32 v2, v5, v2, vcc
	v_mov_b32_e32 v5, 0x37800000
	v_lshlrev_b32_e32 v2, 21, v2
	v_lshl_add_u32 v5, v6, 23, v5
	v_or3_b32 v3, v3, v5, v2
.LBB104_833:
	s_or_b64 exec, exec, s[36:37]
	v_bfe_u32 v2, v3, 16, 1
	s_movk_i32 s34, 0x7fff
	v_add3_u32 v2, v3, v2, s34
	v_cmp_o_f32_e32 vcc, v3, v3
	v_mov_b32_e32 v3, 0x7fc0
	s_mov_b64 s[34:35], 0
	v_cndmask_b32_sdwa v3, v3, v2, vcc dst_sel:DWORD dst_unused:UNUSED_PAD src0_sel:DWORD src1_sel:WORD_1
	s_branch .LBB104_839
.LBB104_834:
	s_mov_b64 s[34:35], -1
                                        ; implicit-def: $vgpr3
	s_branch .LBB104_845
.LBB104_835:
	s_or_saveexec_b64 s[38:39], s[38:39]
	v_mov_b32_e32 v3, 0x7f800001
	s_xor_b64 exec, exec, s[38:39]
	s_cbranch_execz .LBB104_818
.LBB104_836:
	v_cmp_ne_u16_e32 vcc, 0, v2
	s_andn2_b64 s[36:37], s[36:37], exec
	s_and_b64 s[40:41], vcc, exec
	v_mov_b32_e32 v3, 0
	s_or_b64 s[36:37], s[36:37], s[40:41]
	s_or_b64 exec, exec, s[38:39]
	s_and_saveexec_b64 s[38:39], s[36:37]
	s_cbranch_execnz .LBB104_819
	s_branch .LBB104_820
.LBB104_837:
	s_mov_b64 s[34:35], -1
                                        ; implicit-def: $vgpr3
	s_branch .LBB104_842
.LBB104_838:
	s_mov_b64 s[34:35], -1
                                        ; implicit-def: $vgpr3
.LBB104_839:
	s_and_b64 vcc, exec, s[34:35]
	s_cbranch_vccz .LBB104_841
; %bb.840:
	global_load_ubyte v2, v[0:1], off
	s_mov_b32 s34, 0x7f800000
	s_brev_b32 s35, 1
	s_movk_i32 s36, 0x7fff
	s_waitcnt vmcnt(0)
	v_lshlrev_b32_e32 v2, 24, v2
	v_and_b32_e32 v3, 0x7f000000, v2
	v_ffbh_u32_e32 v5, v3
	v_min_u32_e32 v5, 32, v5
	v_sub_u32_e64 v5, v5, 4 clamp
	v_lshlrev_b32_e32 v7, v5, v3
	v_lshlrev_b32_e32 v5, 23, v5
	v_lshrrev_b32_e32 v7, 4, v7
	v_add_u32_e32 v6, 0x1000000, v3
	v_sub_u32_e32 v5, v7, v5
	v_ashrrev_i32_e32 v6, 8, v6
	v_add_u32_e32 v5, 0x3c000000, v5
	v_and_or_b32 v5, v6, s34, v5
	v_cmp_ne_u32_e32 vcc, 0, v3
	s_nop 1
	v_cndmask_b32_e32 v3, 0, v5, vcc
	v_and_or_b32 v2, v2, s35, v3
	v_bfe_u32 v3, v3, 16, 1
	v_add3_u32 v3, v2, v3, s36
	v_cmp_o_f32_e32 vcc, v2, v2
	v_mov_b32_e32 v2, 0x7fc0
	s_nop 0
	v_cndmask_b32_sdwa v3, v2, v3, vcc dst_sel:DWORD dst_unused:UNUSED_PAD src0_sel:DWORD src1_sel:WORD_1
.LBB104_841:
	s_mov_b64 s[34:35], 0
.LBB104_842:
	s_andn2_b64 vcc, exec, s[34:35]
	s_cbranch_vccnz .LBB104_844
; %bb.843:
	global_load_ubyte v2, v[0:1], off
	s_movk_i32 s34, 0x7f00
	s_brev_b32 s35, 16
	s_brev_b32 s36, 1
	s_movk_i32 s37, 0x7fff
	s_waitcnt vmcnt(0)
	v_lshlrev_b16_e32 v3, 8, v2
	v_lshlrev_b32_e32 v2, 25, v2
	v_lshrrev_b32_e32 v5, 4, v2
	v_and_or_b32 v6, v3, s34, 0.5
	v_or_b32_e32 v5, 0x70000000, v5
	v_add_f32_e32 v6, -0.5, v6
	v_mul_f32_e32 v5, 0x7800000, v5
	v_cmp_gt_u32_e32 vcc, s35, v2
	v_bfe_i32 v3, v3, 0, 16
	s_nop 0
	v_cndmask_b32_e32 v2, v5, v6, vcc
	v_and_or_b32 v3, v3, s36, v2
	v_bfe_u32 v2, v2, 16, 1
	v_add3_u32 v2, v3, v2, s37
	v_cmp_o_f32_e32 vcc, v3, v3
	v_mov_b32_e32 v3, 0x7fc0
	s_nop 0
	v_cndmask_b32_sdwa v3, v3, v2, vcc dst_sel:DWORD dst_unused:UNUSED_PAD src0_sel:DWORD src1_sel:WORD_1
.LBB104_844:
	s_mov_b64 s[34:35], 0
	s_mov_b64 s[36:37], -1
.LBB104_845:
	s_andn2_b64 vcc, exec, s[34:35]
	s_mov_b64 s[34:35], 0
	s_cbranch_vccnz .LBB104_856
; %bb.846:
	s_cmp_gt_i32 s43, 14
	s_cbranch_scc0 .LBB104_849
; %bb.847:
	s_cmp_eq_u32 s43, 15
	s_cbranch_scc0 .LBB104_852
; %bb.848:
	global_load_ushort v3, v[0:1], off
	s_mov_b64 s[30:31], 0
	s_mov_b64 s[36:37], -1
	s_branch .LBB104_853
.LBB104_849:
	s_mov_b64 s[38:39], -1
                                        ; implicit-def: $vgpr3
	s_branch .LBB104_854
.LBB104_850:
	s_or_saveexec_b64 s[36:37], s[36:37]
	v_mov_b32_e32 v3, 0x7f800001
	s_xor_b64 exec, exec, s[36:37]
	s_cbranch_execz .LBB104_831
.LBB104_851:
	v_cmp_ne_u16_e32 vcc, 0, v2
	s_andn2_b64 s[34:35], s[34:35], exec
	s_and_b64 s[38:39], vcc, exec
	v_mov_b32_e32 v3, 0
	s_or_b64 s[34:35], s[34:35], s[38:39]
	s_or_b64 exec, exec, s[36:37]
	s_and_saveexec_b64 s[36:37], s[34:35]
	s_cbranch_execnz .LBB104_832
	s_branch .LBB104_833
.LBB104_852:
	s_mov_b64 s[30:31], -1
                                        ; implicit-def: $vgpr3
.LBB104_853:
	s_mov_b64 s[38:39], 0
.LBB104_854:
	s_and_b64 vcc, exec, s[38:39]
	s_cbranch_vccz .LBB104_856
; %bb.855:
	s_cmp_lg_u32 s43, 11
	s_cselect_b64 s[38:39], -1, 0
	s_andn2_b64 s[30:31], s[30:31], exec
	s_and_b64 s[38:39], s[38:39], exec
	s_mov_b64 s[34:35], -1
	s_or_b64 s[30:31], s[30:31], s[38:39]
.LBB104_856:
	s_mov_b64 s[38:39], 0
.LBB104_857:
	s_and_b64 s[40:41], s[38:39], exec
	s_andn2_b64 s[38:39], s[0:1], exec
	s_and_b64 s[30:31], s[30:31], exec
	s_and_b64 s[36:37], s[36:37], exec
	;; [unrolled: 1-line block ×3, first 2 shown]
	s_or_b64 s[38:39], s[38:39], s[30:31]
.LBB104_858:
	s_or_b64 exec, exec, s[26:27]
	s_and_b64 s[30:31], s[34:35], exec
	s_andn2_b64 s[0:1], s[0:1], exec
	s_and_b64 s[34:35], s[38:39], exec
	s_and_b64 s[36:37], s[36:37], exec
	;; [unrolled: 1-line block ×3, first 2 shown]
	s_or_b64 s[0:1], s[0:1], s[34:35]
.LBB104_859:
	s_or_b64 exec, exec, s[24:25]
	s_andn2_b64 s[20:21], s[20:21], exec
	s_and_b64 s[24:25], s[28:29], exec
	s_andn2_b64 s[18:19], s[18:19], exec
	s_and_b64 s[0:1], s[0:1], exec
	s_or_b64 s[20:21], s[20:21], s[24:25]
	s_and_b64 s[28:29], s[36:37], exec
	s_and_b64 s[26:27], s[26:27], exec
	;; [unrolled: 1-line block ×3, first 2 shown]
	s_or_b64 s[18:19], s[18:19], s[0:1]
.LBB104_860:
	s_or_b64 exec, exec, s[22:23]
	s_andn2_b64 s[0:1], s[12:13], exec
	s_and_b64 s[12:13], s[20:21], exec
	s_andn2_b64 s[14:15], s[14:15], exec
	s_and_b64 s[18:19], s[18:19], exec
	s_or_b64 s[12:13], s[0:1], s[12:13]
	s_and_b64 s[0:1], s[28:29], exec
	s_and_b64 s[22:23], s[26:27], exec
	;; [unrolled: 1-line block ×3, first 2 shown]
	s_or_b64 s[14:15], s[14:15], s[18:19]
	s_or_b64 exec, exec, s[16:17]
	s_mov_b64 s[16:17], 0
	s_and_saveexec_b64 s[18:19], s[14:15]
	s_cbranch_execz .LBB104_262
.LBB104_861:
	s_mov_b64 s[16:17], exec
	s_andn2_b64 s[20:21], s[20:21], exec
	s_trap 2
	s_or_b64 exec, exec, s[18:19]
	s_and_saveexec_b64 s[14:15], s[20:21]
	s_xor_b64 s[14:15], exec, s[14:15]
	s_cbranch_execnz .LBB104_263
.LBB104_862:
	s_or_b64 exec, exec, s[14:15]
	s_and_saveexec_b64 s[14:15], s[22:23]
	s_cbranch_execz .LBB104_908
.LBB104_863:
	s_sext_i32_i16 s18, s42
	s_cmp_lt_i32 s18, 5
	s_cbranch_scc1 .LBB104_868
; %bb.864:
	s_cmp_lt_i32 s18, 8
	s_cbranch_scc1 .LBB104_869
; %bb.865:
	;; [unrolled: 3-line block ×3, first 2 shown]
	s_cmp_gt_i32 s18, 9
	s_cbranch_scc0 .LBB104_871
; %bb.867:
	global_load_dwordx2 v[2:3], v[0:1], off
	s_movk_i32 s18, 0x7fff
	v_mov_b32_e32 v5, 0x7fc0
	s_waitcnt vmcnt(0)
	v_cvt_f32_f64_e32 v2, v[2:3]
	v_bfe_u32 v3, v2, 16, 1
	v_cmp_o_f32_e32 vcc, v2, v2
	v_add3_u32 v2, v2, v3, s18
	s_mov_b64 s[18:19], 0
	v_cndmask_b32_sdwa v3, v5, v2, vcc dst_sel:DWORD dst_unused:UNUSED_PAD src0_sel:DWORD src1_sel:WORD_1
	s_branch .LBB104_872
.LBB104_868:
                                        ; implicit-def: $vgpr3
	s_branch .LBB104_889
.LBB104_869:
                                        ; implicit-def: $vgpr3
	s_branch .LBB104_878
.LBB104_870:
	s_mov_b64 s[18:19], -1
                                        ; implicit-def: $vgpr3
	s_branch .LBB104_875
.LBB104_871:
	s_mov_b64 s[18:19], -1
                                        ; implicit-def: $vgpr3
.LBB104_872:
	s_andn2_b64 vcc, exec, s[18:19]
	s_cbranch_vccnz .LBB104_874
; %bb.873:
	global_load_dword v2, v[0:1], off
	s_movk_i32 s18, 0x7fff
	s_waitcnt vmcnt(1)
	v_mov_b32_e32 v3, 0x7fc0
	s_waitcnt vmcnt(0)
	v_bfe_u32 v5, v2, 16, 1
	v_cmp_o_f32_e32 vcc, v2, v2
	v_add3_u32 v2, v2, v5, s18
	s_nop 0
	v_cndmask_b32_sdwa v3, v3, v2, vcc dst_sel:DWORD dst_unused:UNUSED_PAD src0_sel:DWORD src1_sel:WORD_1
.LBB104_874:
	s_mov_b64 s[18:19], 0
.LBB104_875:
	s_andn2_b64 vcc, exec, s[18:19]
	s_cbranch_vccnz .LBB104_877
; %bb.876:
	global_load_dword v2, v[0:1], off
	s_movk_i32 s18, 0x7fff
	v_mov_b32_e32 v5, 0x7fc0
	s_waitcnt vmcnt(0)
	v_cvt_f32_f16_e32 v3, v2
	v_cmp_o_f16_e32 vcc, v2, v2
	v_bfe_u32 v2, v3, 16, 1
	v_add3_u32 v2, v3, v2, s18
	v_cndmask_b32_sdwa v3, v5, v2, vcc dst_sel:DWORD dst_unused:UNUSED_PAD src0_sel:DWORD src1_sel:WORD_1
.LBB104_877:
	s_cbranch_execnz .LBB104_888
.LBB104_878:
	s_sext_i32_i16 s18, s42
	s_cmp_lt_i32 s18, 6
	s_cbranch_scc1 .LBB104_881
; %bb.879:
	s_cmp_gt_i32 s18, 6
	s_cbranch_scc0 .LBB104_882
; %bb.880:
	global_load_dwordx2 v[2:3], v[0:1], off
	s_movk_i32 s18, 0x7fff
	v_mov_b32_e32 v5, 0x7fc0
	s_waitcnt vmcnt(0)
	v_cvt_f32_f64_e32 v2, v[2:3]
	v_bfe_u32 v3, v2, 16, 1
	v_cmp_o_f32_e32 vcc, v2, v2
	v_add3_u32 v2, v2, v3, s18
	s_mov_b64 s[18:19], 0
	v_cndmask_b32_sdwa v3, v5, v2, vcc dst_sel:DWORD dst_unused:UNUSED_PAD src0_sel:DWORD src1_sel:WORD_1
	s_branch .LBB104_883
.LBB104_881:
	s_mov_b64 s[18:19], -1
                                        ; implicit-def: $vgpr3
	s_branch .LBB104_886
.LBB104_882:
	s_mov_b64 s[18:19], -1
                                        ; implicit-def: $vgpr3
.LBB104_883:
	s_andn2_b64 vcc, exec, s[18:19]
	s_cbranch_vccnz .LBB104_885
; %bb.884:
	global_load_dword v2, v[0:1], off
	s_movk_i32 s18, 0x7fff
	s_waitcnt vmcnt(1)
	v_mov_b32_e32 v3, 0x7fc0
	s_waitcnt vmcnt(0)
	v_bfe_u32 v5, v2, 16, 1
	v_cmp_o_f32_e32 vcc, v2, v2
	v_add3_u32 v2, v2, v5, s18
	s_nop 0
	v_cndmask_b32_sdwa v3, v3, v2, vcc dst_sel:DWORD dst_unused:UNUSED_PAD src0_sel:DWORD src1_sel:WORD_1
.LBB104_885:
	s_mov_b64 s[18:19], 0
.LBB104_886:
	s_andn2_b64 vcc, exec, s[18:19]
	s_cbranch_vccnz .LBB104_888
; %bb.887:
	global_load_ushort v2, v[0:1], off
	s_movk_i32 s18, 0x7fff
	v_mov_b32_e32 v5, 0x7fc0
	s_waitcnt vmcnt(0)
	v_cvt_f32_f16_e32 v3, v2
	v_cmp_o_f16_e32 vcc, v2, v2
	v_bfe_u32 v2, v3, 16, 1
	v_add3_u32 v2, v3, v2, s18
	v_cndmask_b32_sdwa v3, v5, v2, vcc dst_sel:DWORD dst_unused:UNUSED_PAD src0_sel:DWORD src1_sel:WORD_1
.LBB104_888:
	s_cbranch_execnz .LBB104_907
.LBB104_889:
	s_sext_i32_i16 s18, s42
	s_cmp_lt_i32 s18, 2
	s_cbranch_scc1 .LBB104_893
; %bb.890:
	s_cmp_lt_i32 s18, 3
	s_cbranch_scc1 .LBB104_894
; %bb.891:
	s_cmp_gt_i32 s18, 3
	s_cbranch_scc0 .LBB104_895
; %bb.892:
	global_load_dwordx2 v[2:3], v[0:1], off
	s_movk_i32 s18, 0x7fff
	s_waitcnt vmcnt(0)
	v_xor_b32_e32 v6, v2, v3
	v_ffbh_i32_e32 v5, v3
	v_ashrrev_i32_e32 v6, 31, v6
	v_add_u32_e32 v5, -1, v5
	v_add_u32_e32 v6, 32, v6
	v_min_u32_e32 v5, v5, v6
	v_lshlrev_b64 v[2:3], v5, v[2:3]
	v_min_u32_e32 v2, 1, v2
	v_or_b32_e32 v2, v3, v2
	v_cvt_f32_i32_e32 v2, v2
	v_sub_u32_e32 v3, 32, v5
	v_ldexp_f32 v2, v2, v3
	v_bfe_u32 v3, v2, 16, 1
	v_add3_u32 v2, v2, v3, s18
	v_lshrrev_b32_e32 v3, 16, v2
	s_mov_b64 s[18:19], 0
	s_branch .LBB104_896
.LBB104_893:
                                        ; implicit-def: $vgpr3
	s_branch .LBB104_902
.LBB104_894:
	s_mov_b64 s[18:19], -1
                                        ; implicit-def: $vgpr3
	s_branch .LBB104_899
.LBB104_895:
	s_mov_b64 s[18:19], -1
                                        ; implicit-def: $vgpr3
.LBB104_896:
	s_andn2_b64 vcc, exec, s[18:19]
	s_cbranch_vccnz .LBB104_898
; %bb.897:
	global_load_dword v2, v[0:1], off
	s_movk_i32 s18, 0x7fff
	s_waitcnt vmcnt(0)
	v_cvt_f32_i32_e32 v2, v2
	v_bfe_u32 v3, v2, 16, 1
	v_add3_u32 v2, v2, v3, s18
	v_lshrrev_b32_e32 v3, 16, v2
.LBB104_898:
	s_mov_b64 s[18:19], 0
.LBB104_899:
	s_andn2_b64 vcc, exec, s[18:19]
	s_cbranch_vccnz .LBB104_901
; %bb.900:
	global_load_sshort v2, v[0:1], off
	s_movk_i32 s18, 0x7fff
	s_waitcnt vmcnt(0)
	v_cvt_f32_i32_e32 v2, v2
	v_bfe_u32 v3, v2, 16, 1
	v_add3_u32 v2, v2, v3, s18
	v_lshrrev_b32_e32 v3, 16, v2
.LBB104_901:
	s_cbranch_execnz .LBB104_907
.LBB104_902:
	s_sext_i32_i16 s18, s42
	s_cmp_gt_i32 s18, 0
	s_cbranch_scc0 .LBB104_904
; %bb.903:
	global_load_sbyte v2, v[0:1], off
	s_movk_i32 s18, 0x7fff
	s_waitcnt vmcnt(0)
	v_cvt_f32_i32_e32 v2, v2
	v_bfe_u32 v3, v2, 16, 1
	v_add3_u32 v2, v2, v3, s18
	v_lshrrev_b32_e32 v3, 16, v2
	s_mov_b64 s[18:19], 0
	s_branch .LBB104_905
.LBB104_904:
	s_mov_b64 s[18:19], -1
                                        ; implicit-def: $vgpr3
.LBB104_905:
	s_andn2_b64 vcc, exec, s[18:19]
	s_cbranch_vccnz .LBB104_907
; %bb.906:
	global_load_ubyte v0, v[0:1], off
	s_movk_i32 s18, 0x7fff
	s_waitcnt vmcnt(0)
	v_cvt_f32_ubyte0_e32 v0, v0
	v_bfe_u32 v1, v0, 16, 1
	v_add3_u32 v0, v0, v1, s18
	v_lshrrev_b32_e32 v3, 16, v0
.LBB104_907:
	s_or_b64 s[0:1], s[0:1], exec
.LBB104_908:
	s_or_b64 exec, exec, s[14:15]
	s_mov_b64 s[20:21], 0
	s_mov_b64 s[18:19], 0
                                        ; implicit-def: $sgpr26
                                        ; implicit-def: $vgpr0_vgpr1
                                        ; implicit-def: $vgpr2
	s_and_saveexec_b64 s[14:15], s[0:1]
	s_cbranch_execz .LBB104_926
; %bb.909:
	s_waitcnt vmcnt(0)
	v_lshlrev_b32_e32 v0, 16, v3
	v_mul_f32_e32 v1, 0x3fb8aa3b, v0
	s_mov_b32 s0, 0x3fb8aa3b
	v_rndne_f32_e32 v2, v1
	v_sub_f32_e32 v3, v1, v2
	v_fma_f32 v1, v0, s0, -v1
	v_fmamk_f32 v1, v0, 0x32a5705f, v1
	v_add_f32_e32 v1, v3, v1
	v_exp_f32_e32 v1, v1
	v_cvt_i32_f32_e32 v2, v2
	s_mov_b32 s0, 0xc2ce8ed0
	v_cmp_ngt_f32_e32 vcc, s0, v0
	s_mov_b32 s0, 0x42b17218
	v_ldexp_f32 v1, v1, v2
	v_cndmask_b32_e32 v1, 0, v1, vcc
	v_mov_b32_e32 v2, 0x7f800000
	v_cmp_nlt_f32_e32 vcc, s0, v0
	s_movk_i32 s0, 0x7fff
	s_and_b32 s26, s33, 0xff
	v_cndmask_b32_e32 v0, v2, v1, vcc
	v_bfe_u32 v1, v0, 16, 1
	v_add3_u32 v1, v0, v1, s0
	v_cmp_o_f32_e32 vcc, v0, v0
	v_mov_b32_e32 v0, 0x7fc0
	s_cmp_lt_i32 s26, 11
	v_cndmask_b32_sdwa v2, v0, v1, vcc dst_sel:DWORD dst_unused:UNUSED_PAD src0_sel:DWORD src1_sel:WORD_1
	v_mul_lo_u32 v0, v4, s8
	v_ashrrev_i32_e32 v1, 31, v0
	v_lshl_add_u64 v[0:1], s[4:5], 0, v[0:1]
	s_cbranch_scc1 .LBB104_929
; %bb.910:
	s_and_b32 s27, 0xffff, s26
	s_mov_b64 s[20:21], -1
	s_cmp_gt_i32 s27, 25
	s_mov_b64 s[0:1], s[12:13]
	s_cbranch_scc0 .LBB104_947
; %bb.911:
	s_mov_b64 s[18:19], -1
	s_cmp_gt_i32 s27, 28
	s_mov_b64 s[0:1], s[12:13]
	s_cbranch_scc0 .LBB104_931
; %bb.912:
	s_cmp_gt_i32 s27, 43
	s_mov_b64 s[0:1], s[12:13]
	s_cbranch_scc0 .LBB104_923
; %bb.913:
	s_cmp_gt_i32 s27, 45
	s_mov_b64 s[0:1], s[12:13]
	s_cbranch_scc0 .LBB104_917
; %bb.914:
	s_cmp_eq_u32 s27, 46
	s_mov_b64 s[0:1], -1
	s_cbranch_scc0 .LBB104_916
; %bb.915:
	v_and_b32_e32 v3, 0xffff, v2
	global_store_dword v[0:1], v3, off
	s_mov_b64 s[0:1], 0
.LBB104_916:
	s_mov_b64 s[18:19], 0
.LBB104_917:
	s_and_b64 vcc, exec, s[18:19]
	s_cbranch_vccz .LBB104_922
; %bb.918:
	s_cmp_eq_u32 s27, 44
	s_mov_b64 s[0:1], -1
	s_cbranch_scc0 .LBB104_922
; %bb.919:
	v_and_b32_e32 v4, 0xffff, v2
	v_bfe_u32 v3, v4, 7, 8
	s_movk_i32 s0, 0xff
	v_cmp_ne_u32_e32 vcc, s0, v3
	v_mov_b32_e32 v5, 0xff
	s_and_saveexec_b64 s[18:19], vcc
	s_cbranch_execz .LBB104_921
; %bb.920:
	v_lshlrev_b32_e32 v6, 16, v4
	s_mov_b32 s0, 0x3f0000
	v_lshrrev_b32_e32 v5, 7, v4
	v_and_b32_e32 v4, 64, v4
	v_and_or_b32 v3, v6, s0, v3
	v_cmp_ne_u32_e32 vcc, 0, v4
	v_cmp_ne_u32_e64 s[0:1], 0, v3
	s_and_b64 s[0:1], vcc, s[0:1]
	s_nop 0
	v_cndmask_b32_e64 v3, 0, 1, s[0:1]
	v_add_u32_e32 v5, v5, v3
.LBB104_921:
	s_or_b64 exec, exec, s[18:19]
	s_mov_b64 s[0:1], 0
	global_store_byte v[0:1], v5, off
.LBB104_922:
	s_mov_b64 s[18:19], 0
.LBB104_923:
	s_and_b64 vcc, exec, s[18:19]
	s_cbranch_vccz .LBB104_930
; %bb.924:
	s_cmp_eq_u32 s27, 29
	s_mov_b64 s[0:1], -1
	s_cbranch_scc0 .LBB104_930
; %bb.925:
	v_lshlrev_b32_e32 v3, 16, v2
	v_trunc_f32_e32 v3, v3
	v_mul_f32_e32 v4, 0x2f800000, v3
	v_floor_f32_e32 v4, v4
	v_fmamk_f32 v3, v4, 0xcf800000, v3
	v_cvt_u32_f32_e32 v5, v4
	v_cvt_u32_f32_e32 v4, v3
	s_mov_b64 s[0:1], 0
	s_mov_b64 s[18:19], 0
	global_store_dwordx2 v[0:1], v[4:5], off
	s_branch .LBB104_931
.LBB104_926:
	s_or_b64 exec, exec, s[14:15]
	s_and_saveexec_b64 s[0:1], s[12:13]
	s_cbranch_execnz .LBB104_989
.LBB104_927:
	s_or_b64 exec, exec, s[0:1]
	s_and_saveexec_b64 s[0:1], s[20:21]
	s_xor_b64 s[0:1], exec, s[0:1]
	s_cbranch_execz .LBB104_990
.LBB104_928:
	s_waitcnt vmcnt(0)
	v_and_b32_e32 v3, 0x7fff, v2
	v_cmp_ne_u16_e32 vcc, 0, v3
	s_nop 1
	v_cndmask_b32_e64 v3, 0, 1, vcc
	global_store_byte v[0:1], v3, off
	s_or_b64 exec, exec, s[0:1]
	s_and_saveexec_b64 s[0:1], s[18:19]
	s_xor_b64 s[0:1], exec, s[0:1]
	s_cbranch_execz .LBB104_1028
	s_branch .LBB104_991
.LBB104_929:
	s_mov_b64 s[18:19], -1
	s_mov_b64 s[0:1], s[12:13]
	s_branch .LBB104_988
.LBB104_930:
	s_mov_b64 s[18:19], 0
.LBB104_931:
	s_and_b64 vcc, exec, s[18:19]
	s_cbranch_vccz .LBB104_946
; %bb.932:
	s_cmp_lt_i32 s27, 27
	s_mov_b64 s[18:19], -1
	s_cbranch_scc1 .LBB104_938
; %bb.933:
	s_cmp_gt_i32 s27, 27
	s_cbranch_scc0 .LBB104_935
; %bb.934:
	v_lshlrev_b32_e32 v3, 16, v2
	v_cvt_u32_f32_e32 v3, v3
	s_mov_b64 s[18:19], 0
	global_store_dword v[0:1], v3, off
.LBB104_935:
	s_andn2_b64 vcc, exec, s[18:19]
	s_cbranch_vccnz .LBB104_937
; %bb.936:
	v_lshlrev_b32_e32 v3, 16, v2
	v_cvt_u32_f32_e32 v3, v3
	global_store_short v[0:1], v3, off
.LBB104_937:
	s_mov_b64 s[18:19], 0
.LBB104_938:
	s_andn2_b64 vcc, exec, s[18:19]
	s_cbranch_vccnz .LBB104_946
; %bb.939:
	v_lshlrev_b32_e32 v5, 16, v2
	v_and_b32_e32 v4, 0x7fffffff, v5
	s_mov_b32 s18, 0x43800000
	v_cmp_gt_u32_e32 vcc, s18, v4
	v_mov_b32_e32 v6, 0x80
	s_and_saveexec_b64 s[18:19], vcc
	s_cbranch_execz .LBB104_945
; %bb.940:
	s_mov_b32 s20, 0x3bffffff
	v_and_b32_e32 v3, 0xffff, v2
	v_cmp_lt_u32_e32 vcc, s20, v4
	s_mov_b64 s[20:21], 0
                                        ; implicit-def: $vgpr4
	s_and_saveexec_b64 s[22:23], vcc
	s_xor_b64 s[22:23], exec, s[22:23]
	s_cbranch_execz .LBB104_1043
; %bb.941:
	v_bfe_u32 v4, v3, 4, 1
	s_mov_b32 s24, 0x487ffff
	v_add3_u32 v4, v5, v4, s24
	s_mov_b64 s[20:21], exec
	v_lshrrev_b32_e32 v4, 20, v4
                                        ; implicit-def: $vgpr5
	s_andn2_saveexec_b64 s[22:23], s[22:23]
	s_cbranch_execnz .LBB104_1044
.LBB104_942:
	s_or_b64 exec, exec, s[22:23]
	v_mov_b32_e32 v6, 0
	s_and_saveexec_b64 s[22:23], s[20:21]
.LBB104_943:
	v_lshrrev_b32_e32 v3, 8, v3
	s_movk_i32 s20, 0x80
	v_and_or_b32 v6, v3, s20, v4
.LBB104_944:
	s_or_b64 exec, exec, s[22:23]
.LBB104_945:
	s_or_b64 exec, exec, s[18:19]
	global_store_byte v[0:1], v6, off
.LBB104_946:
	s_mov_b64 s[20:21], 0
.LBB104_947:
	s_mov_b64 s[18:19], 0
	s_and_b64 vcc, exec, s[20:21]
	s_cbranch_vccz .LBB104_987
; %bb.948:
	s_cmp_gt_i32 s27, 22
	s_mov_b64 s[20:21], -1
	s_cbranch_scc0 .LBB104_980
; %bb.949:
	s_cmp_lt_i32 s27, 24
	s_cbranch_scc1 .LBB104_969
; %bb.950:
	s_cmp_gt_i32 s27, 24
	s_cbranch_scc0 .LBB104_958
; %bb.951:
	v_lshlrev_b32_e32 v5, 16, v2
	v_and_b32_e32 v4, 0x7fffffff, v5
	s_mov_b32 s20, 0x47800000
	v_cmp_gt_u32_e32 vcc, s20, v4
	v_mov_b32_e32 v6, 0x80
	s_and_saveexec_b64 s[20:21], vcc
	s_cbranch_execz .LBB104_957
; %bb.952:
	s_mov_b32 s22, 0x37ffffff
	v_and_b32_e32 v3, 0xffff, v2
	v_cmp_lt_u32_e32 vcc, s22, v4
	s_mov_b64 s[22:23], 0
                                        ; implicit-def: $vgpr4
	s_and_saveexec_b64 s[24:25], vcc
	s_xor_b64 s[24:25], exec, s[24:25]
	s_cbranch_execz .LBB104_1167
; %bb.953:
	v_bfe_u32 v4, v3, 5, 1
	s_mov_b32 s28, 0x88fffff
	v_add3_u32 v4, v5, v4, s28
	s_mov_b64 s[22:23], exec
	v_lshrrev_b32_e32 v4, 21, v4
                                        ; implicit-def: $vgpr5
	s_andn2_saveexec_b64 s[24:25], s[24:25]
	s_cbranch_execnz .LBB104_1168
.LBB104_954:
	s_or_b64 exec, exec, s[24:25]
	v_mov_b32_e32 v6, 0
	s_and_saveexec_b64 s[24:25], s[22:23]
.LBB104_955:
	v_lshrrev_b32_e32 v3, 8, v3
	s_movk_i32 s22, 0x80
	v_and_or_b32 v6, v3, s22, v4
.LBB104_956:
	s_or_b64 exec, exec, s[24:25]
.LBB104_957:
	s_or_b64 exec, exec, s[20:21]
	s_mov_b64 s[20:21], 0
	global_store_byte v[0:1], v6, off
.LBB104_958:
	s_and_b64 vcc, exec, s[20:21]
	s_cbranch_vccz .LBB104_968
; %bb.959:
	v_lshlrev_b32_e32 v5, 16, v2
	v_and_b32_e32 v6, 0x7fffffff, v5
	s_mov_b32 s20, 0x43f00000
	v_and_b32_e32 v3, 0xffff, v2
	v_cmp_gt_u32_e32 vcc, s20, v6
                                        ; implicit-def: $vgpr4
	s_and_saveexec_b64 s[20:21], vcc
	s_xor_b64 s[20:21], exec, s[20:21]
	s_cbranch_execz .LBB104_965
; %bb.960:
	s_mov_b32 s22, 0x3c7fffff
	v_cmp_lt_u32_e32 vcc, s22, v6
                                        ; implicit-def: $vgpr4
	s_and_saveexec_b64 s[22:23], vcc
	s_xor_b64 s[22:23], exec, s[22:23]
; %bb.961:
	v_bfe_u32 v4, v3, 4, 1
	s_mov_b32 s24, 0x407ffff
	v_add3_u32 v4, v5, v4, s24
	v_lshrrev_b32_e32 v5, 20, v4
	v_and_b32_e32 v4, 0xff00000, v4
	s_mov_b32 s24, 0x7f00000
	v_mov_b32_e32 v6, 0x7e
	v_cmp_ne_u32_e32 vcc, s24, v4
	s_nop 1
	v_cndmask_b32_e32 v4, v6, v5, vcc
                                        ; implicit-def: $vgpr5
; %bb.962:
	s_andn2_saveexec_b64 s[22:23], s[22:23]
; %bb.963:
	s_mov_b32 s24, 0x46800000
	v_add_f32_e64 v4, |v5|, s24
; %bb.964:
	s_or_b64 exec, exec, s[22:23]
                                        ; implicit-def: $vgpr6
.LBB104_965:
	s_andn2_saveexec_b64 s[20:21], s[20:21]
; %bb.966:
	s_mov_b32 s22, 0x7f800000
	v_mov_b32_e32 v4, 0x7e
	v_mov_b32_e32 v5, 0x7f
	v_cmp_lt_u32_e32 vcc, s22, v6
	s_nop 1
	v_cndmask_b32_e32 v4, v4, v5, vcc
; %bb.967:
	s_or_b64 exec, exec, s[20:21]
	v_lshrrev_b32_e32 v3, 8, v3
	s_movk_i32 s20, 0x80
	v_and_or_b32 v3, v3, s20, v4
	global_store_byte v[0:1], v3, off
.LBB104_968:
	s_mov_b64 s[20:21], 0
.LBB104_969:
	s_andn2_b64 vcc, exec, s[20:21]
	s_cbranch_vccnz .LBB104_979
; %bb.970:
	v_lshlrev_b32_e32 v5, 16, v2
	v_and_b32_e32 v6, 0x7fffffff, v5
	s_mov_b32 s20, 0x47800000
	v_and_b32_e32 v3, 0xffff, v2
	v_cmp_gt_u32_e32 vcc, s20, v6
                                        ; implicit-def: $vgpr4
	s_and_saveexec_b64 s[20:21], vcc
	s_xor_b64 s[20:21], exec, s[20:21]
	s_cbranch_execz .LBB104_976
; %bb.971:
	s_mov_b32 s22, 0x387fffff
	v_cmp_lt_u32_e32 vcc, s22, v6
                                        ; implicit-def: $vgpr4
	s_and_saveexec_b64 s[22:23], vcc
	s_xor_b64 s[22:23], exec, s[22:23]
; %bb.972:
	v_bfe_u32 v4, v3, 5, 1
	s_mov_b32 s24, 0x80fffff
	v_add3_u32 v4, v5, v4, s24
	v_lshrrev_b32_e32 v4, 21, v4
                                        ; implicit-def: $vgpr5
; %bb.973:
	s_andn2_saveexec_b64 s[22:23], s[22:23]
; %bb.974:
	s_mov_b32 s24, 0x43000000
	v_add_f32_e64 v4, |v5|, s24
; %bb.975:
	s_or_b64 exec, exec, s[22:23]
                                        ; implicit-def: $vgpr6
.LBB104_976:
	s_andn2_saveexec_b64 s[20:21], s[20:21]
; %bb.977:
	s_mov_b32 s22, 0x7f800000
	v_mov_b32_e32 v4, 0x7c
	v_mov_b32_e32 v5, 0x7f
	v_cmp_lt_u32_e32 vcc, s22, v6
	s_nop 1
	v_cndmask_b32_e32 v4, v4, v5, vcc
; %bb.978:
	s_or_b64 exec, exec, s[20:21]
	v_lshrrev_b32_e32 v3, 8, v3
	s_movk_i32 s20, 0x80
	v_and_or_b32 v3, v3, s20, v4
	global_store_byte v[0:1], v3, off
.LBB104_979:
	s_mov_b64 s[20:21], 0
.LBB104_980:
	s_andn2_b64 vcc, exec, s[20:21]
	s_mov_b64 s[20:21], 0
	s_cbranch_vccnz .LBB104_988
; %bb.981:
	s_cmp_gt_i32 s27, 14
	s_mov_b64 s[22:23], -1
	s_cbranch_scc0 .LBB104_985
; %bb.982:
	s_cmp_eq_u32 s27, 15
	s_mov_b64 s[0:1], -1
	s_cbranch_scc0 .LBB104_984
; %bb.983:
	global_store_short v[0:1], v2, off
	s_mov_b64 s[0:1], 0
.LBB104_984:
	s_mov_b64 s[22:23], 0
.LBB104_985:
	s_and_b64 vcc, exec, s[22:23]
	s_cbranch_vccz .LBB104_988
; %bb.986:
	s_cmp_lg_u32 s27, 11
	s_cselect_b64 s[22:23], -1, 0
	s_andn2_b64 s[0:1], s[0:1], exec
	s_and_b64 s[22:23], s[22:23], exec
	s_mov_b64 s[20:21], -1
	s_or_b64 s[0:1], s[0:1], s[22:23]
	s_branch .LBB104_988
.LBB104_987:
	s_mov_b64 s[20:21], 0
.LBB104_988:
	s_andn2_b64 s[12:13], s[12:13], exec
	s_and_b64 s[0:1], s[0:1], exec
	s_and_b64 s[18:19], s[18:19], exec
	;; [unrolled: 1-line block ×3, first 2 shown]
	s_or_b64 s[12:13], s[12:13], s[0:1]
	s_or_b64 exec, exec, s[14:15]
	s_and_saveexec_b64 s[0:1], s[12:13]
	s_cbranch_execz .LBB104_927
.LBB104_989:
	s_or_b64 s[16:17], s[16:17], exec
	s_andn2_b64 s[20:21], s[20:21], exec
	s_trap 2
	s_or_b64 exec, exec, s[0:1]
	s_and_saveexec_b64 s[0:1], s[20:21]
	s_xor_b64 s[0:1], exec, s[0:1]
	s_cbranch_execnz .LBB104_928
.LBB104_990:
	s_or_b64 exec, exec, s[0:1]
	s_and_saveexec_b64 s[0:1], s[18:19]
	s_xor_b64 s[0:1], exec, s[0:1]
	s_cbranch_execz .LBB104_1028
.LBB104_991:
	s_sext_i32_i16 s14, s26
	s_cmp_lt_i32 s14, 5
	s_mov_b64 s[12:13], -1
	s_cbranch_scc1 .LBB104_1012
; %bb.992:
	s_cmp_lt_i32 s14, 8
	s_cbranch_scc1 .LBB104_1002
; %bb.993:
	s_cmp_lt_i32 s14, 9
	s_cbranch_scc1 .LBB104_999
; %bb.994:
	s_cmp_gt_i32 s14, 9
	s_cbranch_scc0 .LBB104_996
; %bb.995:
	s_waitcnt vmcnt(0)
	v_lshlrev_b32_e32 v3, 16, v2
	v_mov_b32_e32 v6, 0
	v_cvt_f64_f32_e32 v[4:5], v3
	v_mov_b32_e32 v7, v6
	s_mov_b64 s[12:13], 0
	global_store_dwordx4 v[0:1], v[4:7], off
.LBB104_996:
	s_andn2_b64 vcc, exec, s[12:13]
	s_cbranch_vccnz .LBB104_998
; %bb.997:
	s_waitcnt vmcnt(0)
	v_lshlrev_b32_e32 v4, 16, v2
	v_mov_b32_e32 v5, 0
	global_store_dwordx2 v[0:1], v[4:5], off
.LBB104_998:
	s_mov_b64 s[12:13], 0
.LBB104_999:
	s_andn2_b64 vcc, exec, s[12:13]
	s_cbranch_vccnz .LBB104_1001
; %bb.1000:
	s_waitcnt vmcnt(0)
	v_lshlrev_b32_e32 v3, 16, v2
	v_cvt_f16_f32_e32 v3, v3
	global_store_dword v[0:1], v3, off
.LBB104_1001:
	s_mov_b64 s[12:13], 0
.LBB104_1002:
	s_andn2_b64 vcc, exec, s[12:13]
	s_cbranch_vccnz .LBB104_1011
; %bb.1003:
	s_sext_i32_i16 s14, s26
	s_cmp_lt_i32 s14, 6
	s_mov_b64 s[12:13], -1
	s_cbranch_scc1 .LBB104_1009
; %bb.1004:
	s_cmp_gt_i32 s14, 6
	s_cbranch_scc0 .LBB104_1006
; %bb.1005:
	s_waitcnt vmcnt(0)
	v_lshlrev_b32_e32 v3, 16, v2
	v_cvt_f64_f32_e32 v[4:5], v3
	s_mov_b64 s[12:13], 0
	global_store_dwordx2 v[0:1], v[4:5], off
.LBB104_1006:
	s_andn2_b64 vcc, exec, s[12:13]
	s_cbranch_vccnz .LBB104_1008
; %bb.1007:
	s_waitcnt vmcnt(0)
	v_lshlrev_b32_e32 v3, 16, v2
	global_store_dword v[0:1], v3, off
.LBB104_1008:
	s_mov_b64 s[12:13], 0
.LBB104_1009:
	s_andn2_b64 vcc, exec, s[12:13]
	s_cbranch_vccnz .LBB104_1011
; %bb.1010:
	s_waitcnt vmcnt(0)
	v_lshlrev_b32_e32 v3, 16, v2
	v_cvt_f16_f32_e32 v3, v3
	global_store_short v[0:1], v3, off
.LBB104_1011:
	s_mov_b64 s[12:13], 0
.LBB104_1012:
	s_andn2_b64 vcc, exec, s[12:13]
	s_cbranch_vccnz .LBB104_1028
; %bb.1013:
	s_sext_i32_i16 s14, s26
	s_cmp_lt_i32 s14, 2
	s_mov_b64 s[12:13], -1
	s_cbranch_scc1 .LBB104_1023
; %bb.1014:
	s_cmp_lt_i32 s14, 3
	s_cbranch_scc1 .LBB104_1020
; %bb.1015:
	s_cmp_gt_i32 s14, 3
	s_cbranch_scc0 .LBB104_1017
; %bb.1016:
	s_waitcnt vmcnt(0)
	v_lshlrev_b32_e32 v3, 16, v2
	v_trunc_f32_e32 v3, v3
	s_mov_b32 s12, 0x2f800000
	v_mul_f32_e64 v4, |v3|, s12
	v_floor_f32_e32 v4, v4
	s_mov_b32 s12, 0xcf800000
	v_cvt_u32_f32_e32 v5, v4
	v_fma_f32 v4, v4, s12, |v3|
	v_cvt_u32_f32_e32 v4, v4
	v_ashrrev_i32_e32 v3, 31, v3
	v_xor_b32_e32 v5, v5, v3
	s_mov_b64 s[12:13], 0
	v_xor_b32_e32 v4, v4, v3
	v_sub_co_u32_e32 v4, vcc, v4, v3
	s_nop 1
	v_subb_co_u32_e32 v5, vcc, v5, v3, vcc
	global_store_dwordx2 v[0:1], v[4:5], off
.LBB104_1017:
	s_andn2_b64 vcc, exec, s[12:13]
	s_cbranch_vccnz .LBB104_1019
; %bb.1018:
	s_waitcnt vmcnt(0)
	v_lshlrev_b32_e32 v3, 16, v2
	v_cvt_i32_f32_e32 v3, v3
	global_store_dword v[0:1], v3, off
.LBB104_1019:
	s_mov_b64 s[12:13], 0
.LBB104_1020:
	s_andn2_b64 vcc, exec, s[12:13]
	s_cbranch_vccnz .LBB104_1022
; %bb.1021:
	s_waitcnt vmcnt(0)
	v_lshlrev_b32_e32 v3, 16, v2
	v_cvt_i32_f32_e32 v3, v3
	global_store_short v[0:1], v3, off
.LBB104_1022:
	s_mov_b64 s[12:13], 0
.LBB104_1023:
	s_andn2_b64 vcc, exec, s[12:13]
	s_cbranch_vccnz .LBB104_1028
; %bb.1024:
	s_sext_i32_i16 s14, s26
	s_mov_b64 s[12:13], -1
	s_cmp_gt_i32 s14, 0
	s_waitcnt vmcnt(0)
	v_lshlrev_b32_e32 v2, 16, v2
	s_cbranch_scc0 .LBB104_1026
; %bb.1025:
	v_cvt_i32_f32_e32 v3, v2
	s_mov_b64 s[12:13], 0
	global_store_byte v[0:1], v3, off
.LBB104_1026:
	s_andn2_b64 vcc, exec, s[12:13]
	s_cbranch_vccnz .LBB104_1028
; %bb.1027:
	v_trunc_f32_e32 v2, v2
	s_mov_b32 s12, 0x2f800000
	v_mul_f32_e64 v3, |v2|, s12
	v_floor_f32_e32 v3, v3
	s_mov_b32 s12, 0xcf800000
	v_fma_f32 v3, v3, s12, |v2|
	v_cvt_u32_f32_e32 v3, v3
	v_ashrrev_i32_e32 v2, 31, v2
	v_xor_b32_e32 v3, v3, v2
	v_sub_u32_e32 v2, v3, v2
	global_store_byte v[0:1], v2, off
.LBB104_1028:
	s_or_b64 exec, exec, s[0:1]
	s_and_b64 s[12:13], s[16:17], exec
                                        ; implicit-def: $vgpr4
.LBB104_1029:
	s_or_saveexec_b64 s[2:3], s[2:3]
	s_mov_b64 s[0:1], 0
                                        ; implicit-def: $sgpr20
                                        ; implicit-def: $vgpr0_vgpr1
                                        ; implicit-def: $vgpr2
	s_xor_b64 exec, exec, s[2:3]
	s_cbranch_execz .LBB104_1976
; %bb.1030:
	v_mul_lo_u32 v0, s9, v4
	v_ashrrev_i32_e32 v1, 31, v0
	s_and_b32 s22, 0xffff, s42
	s_cmp_lt_i32 s22, 11
	s_waitcnt vmcnt(0)
	v_lshl_add_u64 v[2:3], s[6:7], 0, v[0:1]
	s_cbranch_scc1 .LBB104_1037
; %bb.1031:
	s_cmp_gt_i32 s22, 25
	s_cbranch_scc0 .LBB104_1039
; %bb.1032:
	s_cmp_gt_i32 s22, 28
	s_cbranch_scc0 .LBB104_1040
	;; [unrolled: 3-line block ×4, first 2 shown]
; %bb.1035:
	s_cmp_eq_u32 s22, 46
	s_mov_b64 s[14:15], 0
	s_cbranch_scc0 .LBB104_1045
; %bb.1036:
	global_load_dword v5, v[2:3], off
	s_mov_b64 s[16:17], -1
	s_branch .LBB104_1046
.LBB104_1037:
	s_mov_b64 s[16:17], 0
                                        ; implicit-def: $vgpr5
	s_mov_b64 s[14:15], s[12:13]
	s_cbranch_execnz .LBB104_1108
.LBB104_1038:
	s_andn2_b64 vcc, exec, s[16:17]
	s_cbranch_vccz .LBB104_1153
	s_branch .LBB104_1974
.LBB104_1039:
	s_mov_b64 s[16:17], 0
                                        ; implicit-def: $vgpr5
	s_cbranch_execnz .LBB104_1073
	s_branch .LBB104_1104
.LBB104_1040:
	s_mov_b64 s[16:17], 0
                                        ; implicit-def: $vgpr5
	s_cbranch_execz .LBB104_1072
	s_branch .LBB104_1055
.LBB104_1041:
	s_mov_b64 s[16:17], 0
                                        ; implicit-def: $vgpr5
	s_cbranch_execnz .LBB104_1051
	s_branch .LBB104_1054
.LBB104_1042:
	s_mov_b64 s[14:15], -1
	s_mov_b64 s[16:17], 0
                                        ; implicit-def: $vgpr5
	s_branch .LBB104_1046
.LBB104_1043:
	s_andn2_saveexec_b64 s[22:23], s[22:23]
	s_cbranch_execz .LBB104_942
.LBB104_1044:
	s_mov_b32 s24, 0x46000000
	v_add_f32_e64 v4, |v5|, s24
	v_and_b32_e32 v4, 0xff, v4
	v_cmp_ne_u32_e32 vcc, 0, v4
	s_andn2_b64 s[20:21], s[20:21], exec
	s_and_b64 s[24:25], vcc, exec
	s_or_b64 s[20:21], s[20:21], s[24:25]
	s_or_b64 exec, exec, s[22:23]
	v_mov_b32_e32 v6, 0
	s_and_saveexec_b64 s[22:23], s[20:21]
	s_cbranch_execnz .LBB104_943
	s_branch .LBB104_944
.LBB104_1045:
	s_mov_b64 s[0:1], -1
                                        ; implicit-def: $vgpr5
	s_mov_b64 s[16:17], 0
.LBB104_1046:
	s_and_b64 vcc, exec, s[14:15]
	s_cbranch_vccz .LBB104_1049
; %bb.1047:
	s_cmp_eq_u32 s22, 44
	s_cbranch_scc0 .LBB104_1050
; %bb.1048:
	global_load_ubyte v1, v[2:3], off
	s_movk_i32 s14, 0xff
	s_waitcnt vmcnt(1)
	v_mov_b32_e32 v5, 0x7f800001
	v_mov_b32_e32 v6, 0x400000
	;; [unrolled: 1-line block ×3, first 2 shown]
	s_mov_b64 s[0:1], 0
	s_mov_b64 s[16:17], -1
	s_waitcnt vmcnt(0)
	v_lshlrev_b32_e32 v8, 23, v1
	v_cmp_ne_u32_e32 vcc, s14, v1
	s_nop 1
	v_cndmask_b32_e32 v5, v5, v8, vcc
	v_cmp_ne_u32_e32 vcc, 0, v1
	s_nop 1
	v_cndmask_b32_e32 v1, v6, v5, vcc
	v_add_u32_e32 v5, 0x7fff, v1
	v_cmp_o_f32_e32 vcc, v1, v1
	s_nop 1
	v_cndmask_b32_sdwa v5, v7, v5, vcc dst_sel:DWORD dst_unused:UNUSED_PAD src0_sel:DWORD src1_sel:WORD_1
.LBB104_1049:
	s_branch .LBB104_1054
.LBB104_1050:
	s_mov_b64 s[0:1], -1
                                        ; implicit-def: $vgpr5
	s_branch .LBB104_1054
.LBB104_1051:
	s_cmp_eq_u32 s22, 29
	s_cbranch_scc0 .LBB104_1053
; %bb.1052:
	global_load_dwordx2 v[6:7], v[2:3], off
	s_movk_i32 s14, 0x7fff
	s_mov_b64 s[0:1], 0
	s_mov_b64 s[16:17], -1
	s_waitcnt vmcnt(0)
	v_ffbh_u32_e32 v1, v7
	v_min_u32_e32 v1, 32, v1
	v_lshlrev_b64 v[6:7], v1, v[6:7]
	v_min_u32_e32 v5, 1, v6
	v_or_b32_e32 v5, v7, v5
	v_cvt_f32_u32_e32 v5, v5
	v_sub_u32_e32 v1, 32, v1
	v_ldexp_f32 v1, v5, v1
	v_bfe_u32 v5, v1, 16, 1
	v_add3_u32 v1, v1, v5, s14
	v_lshrrev_b32_e32 v5, 16, v1
	s_branch .LBB104_1054
.LBB104_1053:
	s_mov_b64 s[0:1], -1
                                        ; implicit-def: $vgpr5
.LBB104_1054:
	s_branch .LBB104_1072
.LBB104_1055:
	s_cmp_lt_i32 s22, 27
	s_cbranch_scc1 .LBB104_1058
; %bb.1056:
	s_cmp_gt_i32 s22, 27
	s_cbranch_scc0 .LBB104_1059
; %bb.1057:
	global_load_dword v1, v[2:3], off
	s_movk_i32 s14, 0x7fff
	s_waitcnt vmcnt(0)
	v_cvt_f32_u32_e32 v1, v1
	v_bfe_u32 v5, v1, 16, 1
	v_add3_u32 v1, v1, v5, s14
	v_lshrrev_b32_e32 v5, 16, v1
	s_mov_b64 s[14:15], 0
	s_branch .LBB104_1060
.LBB104_1058:
	s_mov_b64 s[14:15], -1
                                        ; implicit-def: $vgpr5
	s_branch .LBB104_1063
.LBB104_1059:
	s_mov_b64 s[14:15], -1
                                        ; implicit-def: $vgpr5
.LBB104_1060:
	s_andn2_b64 vcc, exec, s[14:15]
	s_cbranch_vccnz .LBB104_1062
; %bb.1061:
	global_load_ushort v1, v[2:3], off
	s_movk_i32 s14, 0x7fff
	s_waitcnt vmcnt(0)
	v_cvt_f32_u32_e32 v1, v1
	v_bfe_u32 v5, v1, 16, 1
	v_add3_u32 v1, v1, v5, s14
	v_lshrrev_b32_e32 v5, 16, v1
.LBB104_1062:
	s_mov_b64 s[14:15], 0
.LBB104_1063:
	s_andn2_b64 vcc, exec, s[14:15]
	s_cbranch_vccnz .LBB104_1071
; %bb.1064:
	global_load_ubyte v1, v[2:3], off
	s_movk_i32 s14, 0x7f
	s_waitcnt vmcnt(0)
	v_cmp_lt_i16_e32 vcc, s14, v1
	s_mov_b64 s[14:15], 0
	s_and_saveexec_b64 s[16:17], vcc
	s_xor_b64 s[16:17], exec, s[16:17]
	s_cbranch_execz .LBB104_1084
; %bb.1065:
	s_movk_i32 s14, 0x80
	v_cmp_eq_u16_e32 vcc, s14, v1
	s_mov_b64 s[14:15], -1
	s_and_saveexec_b64 s[18:19], vcc
; %bb.1066:
	s_xor_b64 s[14:15], exec, -1
; %bb.1067:
	s_or_b64 exec, exec, s[18:19]
	s_and_b64 s[14:15], s[14:15], exec
	s_or_saveexec_b64 s[16:17], s[16:17]
	v_mov_b32_e32 v5, 0x7f800001
	s_xor_b64 exec, exec, s[16:17]
	s_cbranch_execnz .LBB104_1085
.LBB104_1068:
	s_or_b64 exec, exec, s[16:17]
	s_and_saveexec_b64 s[16:17], s[14:15]
	s_cbranch_execz .LBB104_1070
.LBB104_1069:
	v_lshlrev_b32_e32 v5, 24, v1
	v_and_b32_e32 v1, 0xffff, v1
	v_and_b32_e32 v6, 7, v1
	v_ffbh_u32_e32 v8, v6
	v_min_u32_e32 v8, 32, v8
	v_subrev_u32_e32 v9, 28, v8
	v_bfe_u32 v7, v1, 3, 4
	v_lshlrev_b32_e32 v1, v9, v1
	v_sub_u32_e32 v8, 29, v8
	v_and_b32_e32 v1, 7, v1
	v_cmp_eq_u32_e32 vcc, 0, v7
	v_and_b32_e32 v5, 0x80000000, v5
	s_nop 0
	v_cndmask_b32_e32 v7, v7, v8, vcc
	v_cndmask_b32_e32 v1, v6, v1, vcc
	v_mov_b32_e32 v6, 0x3b800000
	v_lshlrev_b32_e32 v1, 20, v1
	v_lshl_add_u32 v6, v7, 23, v6
	v_or3_b32 v5, v5, v6, v1
.LBB104_1070:
	s_or_b64 exec, exec, s[16:17]
	v_bfe_u32 v1, v5, 16, 1
	s_movk_i32 s14, 0x7fff
	v_add3_u32 v1, v5, v1, s14
	v_cmp_o_f32_e32 vcc, v5, v5
	v_mov_b32_e32 v5, 0x7fc0
	s_nop 0
	v_cndmask_b32_sdwa v5, v5, v1, vcc dst_sel:DWORD dst_unused:UNUSED_PAD src0_sel:DWORD src1_sel:WORD_1
.LBB104_1071:
	s_mov_b64 s[16:17], -1
.LBB104_1072:
	s_branch .LBB104_1104
.LBB104_1073:
	s_cmp_gt_i32 s22, 22
	s_cbranch_scc0 .LBB104_1083
; %bb.1074:
	s_cmp_lt_i32 s22, 24
	s_cbranch_scc1 .LBB104_1086
; %bb.1075:
	s_cmp_gt_i32 s22, 24
	s_cbranch_scc0 .LBB104_1087
; %bb.1076:
	global_load_ubyte v1, v[2:3], off
	s_movk_i32 s10, 0x7f
	s_waitcnt vmcnt(0)
	v_cmp_lt_i16_e32 vcc, s10, v1
	s_mov_b64 s[10:11], 0
	s_and_saveexec_b64 s[14:15], vcc
	s_xor_b64 s[14:15], exec, s[14:15]
	s_cbranch_execz .LBB104_1098
; %bb.1077:
	s_movk_i32 s10, 0x80
	v_cmp_eq_u16_e32 vcc, s10, v1
	s_mov_b64 s[10:11], -1
	s_and_saveexec_b64 s[16:17], vcc
; %bb.1078:
	s_xor_b64 s[10:11], exec, -1
; %bb.1079:
	s_or_b64 exec, exec, s[16:17]
	s_and_b64 s[10:11], s[10:11], exec
	s_or_saveexec_b64 s[14:15], s[14:15]
	v_mov_b32_e32 v5, 0x7f800001
	s_xor_b64 exec, exec, s[14:15]
	s_cbranch_execnz .LBB104_1099
.LBB104_1080:
	s_or_b64 exec, exec, s[14:15]
	s_and_saveexec_b64 s[14:15], s[10:11]
	s_cbranch_execz .LBB104_1082
.LBB104_1081:
	v_lshlrev_b32_e32 v5, 24, v1
	v_and_b32_e32 v1, 0xffff, v1
	v_and_b32_e32 v6, 3, v1
	v_ffbh_u32_e32 v8, v6
	v_min_u32_e32 v8, 32, v8
	v_subrev_u32_e32 v9, 29, v8
	v_bfe_u32 v7, v1, 2, 5
	v_lshlrev_b32_e32 v1, v9, v1
	v_sub_u32_e32 v8, 30, v8
	v_and_b32_e32 v1, 3, v1
	v_cmp_eq_u32_e32 vcc, 0, v7
	v_and_b32_e32 v5, 0x80000000, v5
	s_nop 0
	v_cndmask_b32_e32 v7, v7, v8, vcc
	v_cndmask_b32_e32 v1, v6, v1, vcc
	v_mov_b32_e32 v6, 0x37800000
	v_lshlrev_b32_e32 v1, 21, v1
	v_lshl_add_u32 v6, v7, 23, v6
	v_or3_b32 v5, v5, v6, v1
.LBB104_1082:
	s_or_b64 exec, exec, s[14:15]
	v_bfe_u32 v1, v5, 16, 1
	s_movk_i32 s10, 0x7fff
	v_add3_u32 v1, v5, v1, s10
	v_cmp_o_f32_e32 vcc, v5, v5
	v_mov_b32_e32 v5, 0x7fc0
	s_mov_b64 s[10:11], 0
	v_cndmask_b32_sdwa v5, v5, v1, vcc dst_sel:DWORD dst_unused:UNUSED_PAD src0_sel:DWORD src1_sel:WORD_1
	s_branch .LBB104_1088
.LBB104_1083:
                                        ; implicit-def: $vgpr5
	s_mov_b64 s[10:11], 0
	s_branch .LBB104_1094
.LBB104_1084:
	s_or_saveexec_b64 s[16:17], s[16:17]
	v_mov_b32_e32 v5, 0x7f800001
	s_xor_b64 exec, exec, s[16:17]
	s_cbranch_execz .LBB104_1068
.LBB104_1085:
	v_cmp_ne_u16_e32 vcc, 0, v1
	s_andn2_b64 s[14:15], s[14:15], exec
	s_and_b64 s[18:19], vcc, exec
	v_mov_b32_e32 v5, 0
	s_or_b64 s[14:15], s[14:15], s[18:19]
	s_or_b64 exec, exec, s[16:17]
	s_and_saveexec_b64 s[16:17], s[14:15]
	s_cbranch_execnz .LBB104_1069
	s_branch .LBB104_1070
.LBB104_1086:
	s_mov_b64 s[10:11], -1
                                        ; implicit-def: $vgpr5
	s_branch .LBB104_1091
.LBB104_1087:
	s_mov_b64 s[10:11], -1
                                        ; implicit-def: $vgpr5
.LBB104_1088:
	s_and_b64 vcc, exec, s[10:11]
	s_cbranch_vccz .LBB104_1090
; %bb.1089:
	global_load_ubyte v1, v[2:3], off
	s_mov_b32 s10, 0x7f800000
	s_brev_b32 s11, 1
	s_movk_i32 s14, 0x7fff
	s_waitcnt vmcnt(0)
	v_lshlrev_b32_e32 v1, 24, v1
	v_and_b32_e32 v5, 0x7f000000, v1
	v_ffbh_u32_e32 v6, v5
	v_min_u32_e32 v6, 32, v6
	v_sub_u32_e64 v6, v6, 4 clamp
	v_lshlrev_b32_e32 v8, v6, v5
	v_lshlrev_b32_e32 v6, 23, v6
	v_lshrrev_b32_e32 v8, 4, v8
	v_add_u32_e32 v7, 0x1000000, v5
	v_sub_u32_e32 v6, v8, v6
	v_ashrrev_i32_e32 v7, 8, v7
	v_add_u32_e32 v6, 0x3c000000, v6
	v_and_or_b32 v6, v7, s10, v6
	v_cmp_ne_u32_e32 vcc, 0, v5
	s_nop 1
	v_cndmask_b32_e32 v5, 0, v6, vcc
	v_and_or_b32 v1, v1, s11, v5
	v_bfe_u32 v5, v5, 16, 1
	v_add3_u32 v5, v1, v5, s14
	v_cmp_o_f32_e32 vcc, v1, v1
	v_mov_b32_e32 v1, 0x7fc0
	s_nop 0
	v_cndmask_b32_sdwa v5, v1, v5, vcc dst_sel:DWORD dst_unused:UNUSED_PAD src0_sel:DWORD src1_sel:WORD_1
.LBB104_1090:
	s_mov_b64 s[10:11], 0
.LBB104_1091:
	s_andn2_b64 vcc, exec, s[10:11]
	s_cbranch_vccnz .LBB104_1093
; %bb.1092:
	global_load_ubyte v1, v[2:3], off
	s_movk_i32 s10, 0x7f00
	s_brev_b32 s11, 16
	s_brev_b32 s14, 1
	s_movk_i32 s15, 0x7fff
	s_waitcnt vmcnt(0)
	v_lshlrev_b16_e32 v5, 8, v1
	v_lshlrev_b32_e32 v1, 25, v1
	v_lshrrev_b32_e32 v6, 4, v1
	v_and_or_b32 v7, v5, s10, 0.5
	v_or_b32_e32 v6, 0x70000000, v6
	v_add_f32_e32 v7, -0.5, v7
	v_mul_f32_e32 v6, 0x7800000, v6
	v_cmp_gt_u32_e32 vcc, s11, v1
	v_bfe_i32 v5, v5, 0, 16
	s_nop 0
	v_cndmask_b32_e32 v1, v6, v7, vcc
	v_and_or_b32 v5, v5, s14, v1
	v_bfe_u32 v1, v1, 16, 1
	v_add3_u32 v1, v5, v1, s15
	v_cmp_o_f32_e32 vcc, v5, v5
	v_mov_b32_e32 v5, 0x7fc0
	s_nop 0
	v_cndmask_b32_sdwa v5, v5, v1, vcc dst_sel:DWORD dst_unused:UNUSED_PAD src0_sel:DWORD src1_sel:WORD_1
.LBB104_1093:
	s_mov_b64 s[16:17], -1
	s_mov_b64 s[10:11], 0
	s_cbranch_execnz .LBB104_1104
.LBB104_1094:
	s_cmp_gt_i32 s22, 14
	s_cbranch_scc0 .LBB104_1097
; %bb.1095:
	s_cmp_eq_u32 s22, 15
	s_cbranch_scc0 .LBB104_1100
; %bb.1096:
	global_load_ushort v5, v[2:3], off
	s_mov_b64 s[0:1], 0
	s_mov_b64 s[16:17], -1
	s_branch .LBB104_1101
.LBB104_1097:
	s_mov_b64 s[14:15], -1
                                        ; implicit-def: $vgpr5
	s_branch .LBB104_1102
.LBB104_1098:
	s_or_saveexec_b64 s[14:15], s[14:15]
	v_mov_b32_e32 v5, 0x7f800001
	s_xor_b64 exec, exec, s[14:15]
	s_cbranch_execz .LBB104_1080
.LBB104_1099:
	v_cmp_ne_u16_e32 vcc, 0, v1
	s_andn2_b64 s[10:11], s[10:11], exec
	s_and_b64 s[16:17], vcc, exec
	v_mov_b32_e32 v5, 0
	s_or_b64 s[10:11], s[10:11], s[16:17]
	s_or_b64 exec, exec, s[14:15]
	s_and_saveexec_b64 s[14:15], s[10:11]
	s_cbranch_execnz .LBB104_1081
	s_branch .LBB104_1082
.LBB104_1100:
	s_mov_b64 s[0:1], -1
                                        ; implicit-def: $vgpr5
.LBB104_1101:
	s_mov_b64 s[14:15], 0
.LBB104_1102:
	s_and_b64 vcc, exec, s[14:15]
	s_cbranch_vccz .LBB104_1104
; %bb.1103:
	s_cmp_lg_u32 s22, 11
	s_mov_b64 s[10:11], -1
	s_cselect_b64 s[0:1], -1, 0
.LBB104_1104:
	s_and_b64 vcc, exec, s[0:1]
	s_mov_b64 s[14:15], s[12:13]
	s_cbranch_vccnz .LBB104_1165
; %bb.1105:
	s_andn2_b64 vcc, exec, s[10:11]
	s_cbranch_vccnz .LBB104_1107
.LBB104_1106:
	global_load_ubyte v1, v[2:3], off
	s_mov_b64 s[16:17], -1
	s_waitcnt vmcnt(0)
	v_cmp_ne_u16_e32 vcc, 0, v1
	s_nop 1
	v_cndmask_b32_e64 v1, 0, 1.0, vcc
	v_lshrrev_b32_e32 v5, 16, v1
.LBB104_1107:
	s_branch .LBB104_1038
.LBB104_1108:
	s_cmp_lt_i32 s22, 5
	s_cbranch_scc1 .LBB104_1113
; %bb.1109:
	s_cmp_lt_i32 s22, 8
	s_cbranch_scc1 .LBB104_1114
; %bb.1110:
	;; [unrolled: 3-line block ×3, first 2 shown]
	s_cmp_gt_i32 s22, 9
	s_cbranch_scc0 .LBB104_1116
; %bb.1112:
	global_load_dwordx2 v[6:7], v[2:3], off
	s_movk_i32 s0, 0x7fff
	v_mov_b32_e32 v1, 0x7fc0
	s_waitcnt vmcnt(0)
	v_cvt_f32_f64_e32 v5, v[6:7]
	v_bfe_u32 v6, v5, 16, 1
	v_cmp_o_f32_e32 vcc, v5, v5
	v_add3_u32 v5, v5, v6, s0
	s_mov_b64 s[0:1], 0
	v_cndmask_b32_sdwa v5, v1, v5, vcc dst_sel:DWORD dst_unused:UNUSED_PAD src0_sel:DWORD src1_sel:WORD_1
	s_branch .LBB104_1117
.LBB104_1113:
                                        ; implicit-def: $vgpr5
	s_branch .LBB104_1134
.LBB104_1114:
                                        ; implicit-def: $vgpr5
	s_branch .LBB104_1123
.LBB104_1115:
	s_mov_b64 s[0:1], -1
                                        ; implicit-def: $vgpr5
	s_branch .LBB104_1120
.LBB104_1116:
	s_mov_b64 s[0:1], -1
                                        ; implicit-def: $vgpr5
.LBB104_1117:
	s_andn2_b64 vcc, exec, s[0:1]
	s_cbranch_vccnz .LBB104_1119
; %bb.1118:
	global_load_dword v1, v[2:3], off
	s_movk_i32 s0, 0x7fff
	s_waitcnt vmcnt(1)
	v_mov_b32_e32 v5, 0x7fc0
	s_waitcnt vmcnt(0)
	v_bfe_u32 v6, v1, 16, 1
	v_cmp_o_f32_e32 vcc, v1, v1
	v_add3_u32 v1, v1, v6, s0
	s_nop 0
	v_cndmask_b32_sdwa v5, v5, v1, vcc dst_sel:DWORD dst_unused:UNUSED_PAD src0_sel:DWORD src1_sel:WORD_1
.LBB104_1119:
	s_mov_b64 s[0:1], 0
.LBB104_1120:
	s_andn2_b64 vcc, exec, s[0:1]
	s_cbranch_vccnz .LBB104_1122
; %bb.1121:
	global_load_dword v1, v[2:3], off
	s_movk_i32 s0, 0x7fff
	v_mov_b32_e32 v6, 0x7fc0
	s_waitcnt vmcnt(0)
	v_cvt_f32_f16_e32 v5, v1
	v_cmp_o_f16_e32 vcc, v1, v1
	v_bfe_u32 v1, v5, 16, 1
	v_add3_u32 v1, v5, v1, s0
	v_cndmask_b32_sdwa v5, v6, v1, vcc dst_sel:DWORD dst_unused:UNUSED_PAD src0_sel:DWORD src1_sel:WORD_1
.LBB104_1122:
	s_cbranch_execnz .LBB104_1133
.LBB104_1123:
	s_cmp_lt_i32 s22, 6
	s_cbranch_scc1 .LBB104_1126
; %bb.1124:
	s_cmp_gt_i32 s22, 6
	s_cbranch_scc0 .LBB104_1127
; %bb.1125:
	global_load_dwordx2 v[6:7], v[2:3], off
	s_movk_i32 s0, 0x7fff
	v_mov_b32_e32 v1, 0x7fc0
	s_waitcnt vmcnt(0)
	v_cvt_f32_f64_e32 v5, v[6:7]
	v_bfe_u32 v6, v5, 16, 1
	v_cmp_o_f32_e32 vcc, v5, v5
	v_add3_u32 v5, v5, v6, s0
	s_mov_b64 s[0:1], 0
	v_cndmask_b32_sdwa v5, v1, v5, vcc dst_sel:DWORD dst_unused:UNUSED_PAD src0_sel:DWORD src1_sel:WORD_1
	s_branch .LBB104_1128
.LBB104_1126:
	s_mov_b64 s[0:1], -1
                                        ; implicit-def: $vgpr5
	s_branch .LBB104_1131
.LBB104_1127:
	s_mov_b64 s[0:1], -1
                                        ; implicit-def: $vgpr5
.LBB104_1128:
	s_andn2_b64 vcc, exec, s[0:1]
	s_cbranch_vccnz .LBB104_1130
; %bb.1129:
	global_load_dword v1, v[2:3], off
	s_movk_i32 s0, 0x7fff
	s_waitcnt vmcnt(1)
	v_mov_b32_e32 v5, 0x7fc0
	s_waitcnt vmcnt(0)
	v_bfe_u32 v6, v1, 16, 1
	v_cmp_o_f32_e32 vcc, v1, v1
	v_add3_u32 v1, v1, v6, s0
	s_nop 0
	v_cndmask_b32_sdwa v5, v5, v1, vcc dst_sel:DWORD dst_unused:UNUSED_PAD src0_sel:DWORD src1_sel:WORD_1
.LBB104_1130:
	s_mov_b64 s[0:1], 0
.LBB104_1131:
	s_andn2_b64 vcc, exec, s[0:1]
	s_cbranch_vccnz .LBB104_1133
; %bb.1132:
	global_load_ushort v1, v[2:3], off
	s_movk_i32 s0, 0x7fff
	v_mov_b32_e32 v6, 0x7fc0
	s_waitcnt vmcnt(0)
	v_cvt_f32_f16_e32 v5, v1
	v_cmp_o_f16_e32 vcc, v1, v1
	v_bfe_u32 v1, v5, 16, 1
	v_add3_u32 v1, v5, v1, s0
	v_cndmask_b32_sdwa v5, v6, v1, vcc dst_sel:DWORD dst_unused:UNUSED_PAD src0_sel:DWORD src1_sel:WORD_1
.LBB104_1133:
	s_cbranch_execnz .LBB104_1152
.LBB104_1134:
	s_cmp_lt_i32 s22, 2
	s_cbranch_scc1 .LBB104_1138
; %bb.1135:
	s_cmp_lt_i32 s22, 3
	s_cbranch_scc1 .LBB104_1139
; %bb.1136:
	s_cmp_gt_i32 s22, 3
	s_cbranch_scc0 .LBB104_1140
; %bb.1137:
	global_load_dwordx2 v[6:7], v[2:3], off
	s_movk_i32 s0, 0x7fff
	s_waitcnt vmcnt(0)
	v_xor_b32_e32 v5, v6, v7
	v_ffbh_i32_e32 v1, v7
	v_ashrrev_i32_e32 v5, 31, v5
	v_add_u32_e32 v1, -1, v1
	v_add_u32_e32 v5, 32, v5
	v_min_u32_e32 v1, v1, v5
	v_lshlrev_b64 v[6:7], v1, v[6:7]
	v_min_u32_e32 v5, 1, v6
	v_or_b32_e32 v5, v7, v5
	v_cvt_f32_i32_e32 v5, v5
	v_sub_u32_e32 v1, 32, v1
	v_ldexp_f32 v1, v5, v1
	v_bfe_u32 v5, v1, 16, 1
	v_add3_u32 v1, v1, v5, s0
	v_lshrrev_b32_e32 v5, 16, v1
	s_mov_b64 s[0:1], 0
	s_branch .LBB104_1141
.LBB104_1138:
                                        ; implicit-def: $vgpr5
	s_branch .LBB104_1147
.LBB104_1139:
	s_mov_b64 s[0:1], -1
                                        ; implicit-def: $vgpr5
	s_branch .LBB104_1144
.LBB104_1140:
	s_mov_b64 s[0:1], -1
                                        ; implicit-def: $vgpr5
.LBB104_1141:
	s_andn2_b64 vcc, exec, s[0:1]
	s_cbranch_vccnz .LBB104_1143
; %bb.1142:
	global_load_dword v1, v[2:3], off
	s_movk_i32 s0, 0x7fff
	s_waitcnt vmcnt(0)
	v_cvt_f32_i32_e32 v1, v1
	v_bfe_u32 v5, v1, 16, 1
	v_add3_u32 v1, v1, v5, s0
	v_lshrrev_b32_e32 v5, 16, v1
.LBB104_1143:
	s_mov_b64 s[0:1], 0
.LBB104_1144:
	s_andn2_b64 vcc, exec, s[0:1]
	s_cbranch_vccnz .LBB104_1146
; %bb.1145:
	global_load_sshort v1, v[2:3], off
	s_movk_i32 s0, 0x7fff
	s_waitcnt vmcnt(0)
	v_cvt_f32_i32_e32 v1, v1
	v_bfe_u32 v5, v1, 16, 1
	v_add3_u32 v1, v1, v5, s0
	v_lshrrev_b32_e32 v5, 16, v1
.LBB104_1146:
	s_cbranch_execnz .LBB104_1152
.LBB104_1147:
	s_cmp_gt_i32 s22, 0
	s_cbranch_scc0 .LBB104_1149
; %bb.1148:
	global_load_sbyte v1, v[2:3], off
	s_movk_i32 s0, 0x7fff
	s_waitcnt vmcnt(0)
	v_cvt_f32_i32_e32 v1, v1
	v_bfe_u32 v5, v1, 16, 1
	v_add3_u32 v1, v1, v5, s0
	v_lshrrev_b32_e32 v5, 16, v1
	s_mov_b64 s[0:1], 0
	s_branch .LBB104_1150
.LBB104_1149:
	s_mov_b64 s[0:1], -1
                                        ; implicit-def: $vgpr5
.LBB104_1150:
	s_andn2_b64 vcc, exec, s[0:1]
	s_cbranch_vccnz .LBB104_1152
; %bb.1151:
	global_load_ubyte v1, v[2:3], off
	s_movk_i32 s0, 0x7fff
	s_waitcnt vmcnt(0)
	v_cvt_f32_ubyte0_e32 v1, v1
	v_bfe_u32 v2, v1, 16, 1
	v_add3_u32 v1, v1, v2, s0
	v_lshrrev_b32_e32 v5, 16, v1
.LBB104_1152:
.LBB104_1153:
	s_lshl_b32 s9, s9, 7
	v_add_u32_e32 v0, s9, v0
	v_ashrrev_i32_e32 v1, 31, v0
	s_cmp_lt_i32 s22, 11
	v_lshl_add_u64 v[2:3], s[6:7], 0, v[0:1]
	s_cbranch_scc1 .LBB104_1160
; %bb.1154:
	s_cmp_gt_i32 s22, 25
	s_mov_b64 s[10:11], 0
	s_cbranch_scc0 .LBB104_1162
; %bb.1155:
	s_cmp_gt_i32 s22, 28
	s_cbranch_scc0 .LBB104_1163
; %bb.1156:
	s_cmp_gt_i32 s22, 43
	;; [unrolled: 3-line block ×3, first 2 shown]
	s_cbranch_scc0 .LBB104_1166
; %bb.1158:
	s_cmp_eq_u32 s22, 46
	s_mov_b64 s[18:19], 0
	s_cbranch_scc0 .LBB104_1169
; %bb.1159:
	global_load_dword v6, v[2:3], off
	s_mov_b64 s[0:1], 0
	s_mov_b64 s[16:17], -1
	s_branch .LBB104_1170
.LBB104_1160:
	s_mov_b64 s[16:17], 0
                                        ; implicit-def: $vgpr6
	s_cbranch_execnz .LBB104_1235
.LBB104_1161:
	s_andn2_b64 vcc, exec, s[16:17]
	s_cbranch_vccnz .LBB104_1974
	s_branch .LBB104_1282
.LBB104_1162:
	s_mov_b64 s[16:17], 0
	s_mov_b64 s[0:1], 0
                                        ; implicit-def: $vgpr6
	s_cbranch_execnz .LBB104_1199
	s_branch .LBB104_1231
.LBB104_1163:
	s_mov_b64 s[18:19], -1
	s_mov_b64 s[16:17], 0
	s_mov_b64 s[0:1], 0
                                        ; implicit-def: $vgpr6
	s_branch .LBB104_1180
.LBB104_1164:
	s_mov_b64 s[18:19], -1
	s_mov_b64 s[16:17], 0
	s_mov_b64 s[0:1], 0
                                        ; implicit-def: $vgpr6
	s_branch .LBB104_1175
.LBB104_1165:
	s_or_b64 s[14:15], s[12:13], exec
	s_trap 2
	s_cbranch_execz .LBB104_1106
	s_branch .LBB104_1107
.LBB104_1166:
	s_mov_b64 s[18:19], -1
	s_mov_b64 s[16:17], 0
	s_mov_b64 s[0:1], 0
                                        ; implicit-def: $vgpr6
	s_branch .LBB104_1170
.LBB104_1167:
	s_andn2_saveexec_b64 s[24:25], s[24:25]
	s_cbranch_execz .LBB104_954
.LBB104_1168:
	s_mov_b32 s28, 0x42800000
	v_add_f32_e64 v4, |v5|, s28
	v_and_b32_e32 v4, 0xff, v4
	v_cmp_ne_u32_e32 vcc, 0, v4
	s_andn2_b64 s[22:23], s[22:23], exec
	s_and_b64 s[28:29], vcc, exec
	s_or_b64 s[22:23], s[22:23], s[28:29]
	s_or_b64 exec, exec, s[24:25]
	v_mov_b32_e32 v6, 0
	s_and_saveexec_b64 s[24:25], s[22:23]
	s_cbranch_execnz .LBB104_955
	s_branch .LBB104_956
.LBB104_1169:
	s_mov_b64 s[0:1], -1
                                        ; implicit-def: $vgpr6
	s_mov_b64 s[16:17], 0
.LBB104_1170:
	s_and_b64 vcc, exec, s[18:19]
	s_cbranch_vccz .LBB104_1174
; %bb.1171:
	s_cmp_eq_u32 s22, 44
	s_cbranch_scc0 .LBB104_1173
; %bb.1172:
	global_load_ubyte v1, v[2:3], off
	s_movk_i32 s16, 0xff
	s_waitcnt vmcnt(1)
	v_mov_b32_e32 v6, 0x7f800001
	v_mov_b32_e32 v7, 0x400000
	;; [unrolled: 1-line block ×3, first 2 shown]
	s_mov_b64 s[0:1], 0
	s_waitcnt vmcnt(0)
	v_lshlrev_b32_e32 v9, 23, v1
	v_cmp_ne_u32_e32 vcc, s16, v1
	s_mov_b64 s[16:17], -1
	s_nop 0
	v_cndmask_b32_e32 v6, v6, v9, vcc
	v_cmp_ne_u32_e32 vcc, 0, v1
	s_nop 1
	v_cndmask_b32_e32 v1, v7, v6, vcc
	v_add_u32_e32 v6, 0x7fff, v1
	v_cmp_o_f32_e32 vcc, v1, v1
	s_nop 1
	v_cndmask_b32_sdwa v6, v8, v6, vcc dst_sel:DWORD dst_unused:UNUSED_PAD src0_sel:DWORD src1_sel:WORD_1
	s_branch .LBB104_1174
.LBB104_1173:
	s_mov_b64 s[0:1], -1
                                        ; implicit-def: $vgpr6
.LBB104_1174:
	s_mov_b64 s[18:19], 0
.LBB104_1175:
	s_and_b64 vcc, exec, s[18:19]
	s_cbranch_vccz .LBB104_1179
; %bb.1176:
	s_cmp_eq_u32 s22, 29
	s_cbranch_scc0 .LBB104_1178
; %bb.1177:
	global_load_dwordx2 v[6:7], v[2:3], off
	s_movk_i32 s16, 0x7fff
	s_mov_b64 s[0:1], 0
	s_mov_b64 s[18:19], 0
	s_waitcnt vmcnt(0)
	v_ffbh_u32_e32 v1, v7
	v_min_u32_e32 v1, 32, v1
	v_lshlrev_b64 v[6:7], v1, v[6:7]
	v_min_u32_e32 v6, 1, v6
	v_or_b32_e32 v6, v7, v6
	v_cvt_f32_u32_e32 v6, v6
	v_sub_u32_e32 v1, 32, v1
	v_ldexp_f32 v1, v6, v1
	v_bfe_u32 v6, v1, 16, 1
	v_add3_u32 v1, v1, v6, s16
	v_lshrrev_b32_e32 v6, 16, v1
	s_mov_b64 s[16:17], -1
	s_branch .LBB104_1180
.LBB104_1178:
	s_mov_b64 s[0:1], -1
                                        ; implicit-def: $vgpr6
.LBB104_1179:
	s_mov_b64 s[18:19], 0
.LBB104_1180:
	s_and_b64 vcc, exec, s[18:19]
	s_cbranch_vccz .LBB104_1198
; %bb.1181:
	s_cmp_lt_i32 s22, 27
	s_cbranch_scc1 .LBB104_1184
; %bb.1182:
	s_cmp_gt_i32 s22, 27
	s_cbranch_scc0 .LBB104_1185
; %bb.1183:
	global_load_dword v1, v[2:3], off
	s_movk_i32 s16, 0x7fff
	s_waitcnt vmcnt(0)
	v_cvt_f32_u32_e32 v1, v1
	v_bfe_u32 v6, v1, 16, 1
	v_add3_u32 v1, v1, v6, s16
	v_lshrrev_b32_e32 v6, 16, v1
	s_mov_b64 s[16:17], 0
	s_branch .LBB104_1186
.LBB104_1184:
	s_mov_b64 s[16:17], -1
                                        ; implicit-def: $vgpr6
	s_branch .LBB104_1189
.LBB104_1185:
	s_mov_b64 s[16:17], -1
                                        ; implicit-def: $vgpr6
.LBB104_1186:
	s_andn2_b64 vcc, exec, s[16:17]
	s_cbranch_vccnz .LBB104_1188
; %bb.1187:
	global_load_ushort v1, v[2:3], off
	s_movk_i32 s16, 0x7fff
	s_waitcnt vmcnt(0)
	v_cvt_f32_u32_e32 v1, v1
	v_bfe_u32 v6, v1, 16, 1
	v_add3_u32 v1, v1, v6, s16
	v_lshrrev_b32_e32 v6, 16, v1
.LBB104_1188:
	s_mov_b64 s[16:17], 0
.LBB104_1189:
	s_andn2_b64 vcc, exec, s[16:17]
	s_cbranch_vccnz .LBB104_1197
; %bb.1190:
	global_load_ubyte v1, v[2:3], off
	s_movk_i32 s16, 0x7f
	s_waitcnt vmcnt(0)
	v_cmp_lt_i16_e32 vcc, s16, v1
	s_mov_b64 s[16:17], 0
	s_and_saveexec_b64 s[18:19], vcc
	s_xor_b64 s[18:19], exec, s[18:19]
	s_cbranch_execz .LBB104_1210
; %bb.1191:
	s_movk_i32 s16, 0x80
	v_cmp_eq_u16_e32 vcc, s16, v1
	s_mov_b64 s[16:17], -1
	s_and_saveexec_b64 s[20:21], vcc
; %bb.1192:
	s_xor_b64 s[16:17], exec, -1
; %bb.1193:
	s_or_b64 exec, exec, s[20:21]
	s_and_b64 s[16:17], s[16:17], exec
	s_or_saveexec_b64 s[18:19], s[18:19]
	v_mov_b32_e32 v6, 0x7f800001
	s_xor_b64 exec, exec, s[18:19]
	s_cbranch_execnz .LBB104_1211
.LBB104_1194:
	s_or_b64 exec, exec, s[18:19]
	s_and_saveexec_b64 s[18:19], s[16:17]
	s_cbranch_execz .LBB104_1196
.LBB104_1195:
	v_lshlrev_b32_e32 v6, 24, v1
	v_and_b32_e32 v1, 0xffff, v1
	v_and_b32_e32 v7, 7, v1
	v_ffbh_u32_e32 v9, v7
	v_min_u32_e32 v9, 32, v9
	v_subrev_u32_e32 v10, 28, v9
	v_bfe_u32 v8, v1, 3, 4
	v_lshlrev_b32_e32 v1, v10, v1
	v_sub_u32_e32 v9, 29, v9
	v_and_b32_e32 v1, 7, v1
	v_cmp_eq_u32_e32 vcc, 0, v8
	v_and_b32_e32 v6, 0x80000000, v6
	s_nop 0
	v_cndmask_b32_e32 v8, v8, v9, vcc
	v_cndmask_b32_e32 v1, v7, v1, vcc
	v_mov_b32_e32 v7, 0x3b800000
	v_lshlrev_b32_e32 v1, 20, v1
	v_lshl_add_u32 v7, v8, 23, v7
	v_or3_b32 v6, v6, v7, v1
.LBB104_1196:
	s_or_b64 exec, exec, s[18:19]
	v_bfe_u32 v1, v6, 16, 1
	s_movk_i32 s16, 0x7fff
	v_add3_u32 v1, v6, v1, s16
	v_cmp_o_f32_e32 vcc, v6, v6
	v_mov_b32_e32 v6, 0x7fc0
	s_nop 0
	v_cndmask_b32_sdwa v6, v6, v1, vcc dst_sel:DWORD dst_unused:UNUSED_PAD src0_sel:DWORD src1_sel:WORD_1
.LBB104_1197:
	s_mov_b64 s[16:17], -1
.LBB104_1198:
	s_branch .LBB104_1231
.LBB104_1199:
	s_cmp_gt_i32 s22, 22
	s_cbranch_scc0 .LBB104_1209
; %bb.1200:
	s_cmp_lt_i32 s22, 24
	s_cbranch_scc1 .LBB104_1212
; %bb.1201:
	s_cmp_gt_i32 s22, 24
	s_cbranch_scc0 .LBB104_1213
; %bb.1202:
	global_load_ubyte v1, v[2:3], off
	s_movk_i32 s10, 0x7f
	s_waitcnt vmcnt(0)
	v_cmp_lt_i16_e32 vcc, s10, v1
	s_mov_b64 s[10:11], 0
	s_and_saveexec_b64 s[16:17], vcc
	s_xor_b64 s[16:17], exec, s[16:17]
	s_cbranch_execz .LBB104_1225
; %bb.1203:
	s_movk_i32 s10, 0x80
	v_cmp_eq_u16_e32 vcc, s10, v1
	s_mov_b64 s[10:11], -1
	s_and_saveexec_b64 s[18:19], vcc
; %bb.1204:
	s_xor_b64 s[10:11], exec, -1
; %bb.1205:
	s_or_b64 exec, exec, s[18:19]
	s_and_b64 s[10:11], s[10:11], exec
	s_or_saveexec_b64 s[16:17], s[16:17]
	v_mov_b32_e32 v6, 0x7f800001
	s_xor_b64 exec, exec, s[16:17]
	s_cbranch_execnz .LBB104_1226
.LBB104_1206:
	s_or_b64 exec, exec, s[16:17]
	s_and_saveexec_b64 s[16:17], s[10:11]
	s_cbranch_execz .LBB104_1208
.LBB104_1207:
	v_lshlrev_b32_e32 v6, 24, v1
	v_and_b32_e32 v1, 0xffff, v1
	v_and_b32_e32 v7, 3, v1
	v_ffbh_u32_e32 v9, v7
	v_min_u32_e32 v9, 32, v9
	v_subrev_u32_e32 v10, 29, v9
	v_bfe_u32 v8, v1, 2, 5
	v_lshlrev_b32_e32 v1, v10, v1
	v_sub_u32_e32 v9, 30, v9
	v_and_b32_e32 v1, 3, v1
	v_cmp_eq_u32_e32 vcc, 0, v8
	v_and_b32_e32 v6, 0x80000000, v6
	s_nop 0
	v_cndmask_b32_e32 v8, v8, v9, vcc
	v_cndmask_b32_e32 v1, v7, v1, vcc
	v_mov_b32_e32 v7, 0x37800000
	v_lshlrev_b32_e32 v1, 21, v1
	v_lshl_add_u32 v7, v8, 23, v7
	v_or3_b32 v6, v6, v7, v1
.LBB104_1208:
	s_or_b64 exec, exec, s[16:17]
	v_bfe_u32 v1, v6, 16, 1
	s_movk_i32 s10, 0x7fff
	v_add3_u32 v1, v6, v1, s10
	v_cmp_o_f32_e32 vcc, v6, v6
	v_mov_b32_e32 v6, 0x7fc0
	s_mov_b64 s[10:11], 0
	v_cndmask_b32_sdwa v6, v6, v1, vcc dst_sel:DWORD dst_unused:UNUSED_PAD src0_sel:DWORD src1_sel:WORD_1
	s_branch .LBB104_1214
.LBB104_1209:
	s_mov_b64 s[10:11], -1
                                        ; implicit-def: $vgpr6
	s_branch .LBB104_1220
.LBB104_1210:
	s_or_saveexec_b64 s[18:19], s[18:19]
	v_mov_b32_e32 v6, 0x7f800001
	s_xor_b64 exec, exec, s[18:19]
	s_cbranch_execz .LBB104_1194
.LBB104_1211:
	v_cmp_ne_u16_e32 vcc, 0, v1
	s_andn2_b64 s[16:17], s[16:17], exec
	s_and_b64 s[20:21], vcc, exec
	v_mov_b32_e32 v6, 0
	s_or_b64 s[16:17], s[16:17], s[20:21]
	s_or_b64 exec, exec, s[18:19]
	s_and_saveexec_b64 s[18:19], s[16:17]
	s_cbranch_execnz .LBB104_1195
	s_branch .LBB104_1196
.LBB104_1212:
	s_mov_b64 s[10:11], -1
                                        ; implicit-def: $vgpr6
	s_branch .LBB104_1217
.LBB104_1213:
	s_mov_b64 s[10:11], -1
                                        ; implicit-def: $vgpr6
.LBB104_1214:
	s_and_b64 vcc, exec, s[10:11]
	s_cbranch_vccz .LBB104_1216
; %bb.1215:
	global_load_ubyte v1, v[2:3], off
	s_mov_b32 s10, 0x7f800000
	s_brev_b32 s11, 1
	s_movk_i32 s16, 0x7fff
	s_waitcnt vmcnt(0)
	v_lshlrev_b32_e32 v1, 24, v1
	v_and_b32_e32 v6, 0x7f000000, v1
	v_ffbh_u32_e32 v7, v6
	v_min_u32_e32 v7, 32, v7
	v_sub_u32_e64 v7, v7, 4 clamp
	v_lshlrev_b32_e32 v9, v7, v6
	v_lshlrev_b32_e32 v7, 23, v7
	v_lshrrev_b32_e32 v9, 4, v9
	v_add_u32_e32 v8, 0x1000000, v6
	v_sub_u32_e32 v7, v9, v7
	v_ashrrev_i32_e32 v8, 8, v8
	v_add_u32_e32 v7, 0x3c000000, v7
	v_and_or_b32 v7, v8, s10, v7
	v_cmp_ne_u32_e32 vcc, 0, v6
	s_nop 1
	v_cndmask_b32_e32 v6, 0, v7, vcc
	v_and_or_b32 v1, v1, s11, v6
	v_bfe_u32 v6, v6, 16, 1
	v_add3_u32 v6, v1, v6, s16
	v_cmp_o_f32_e32 vcc, v1, v1
	v_mov_b32_e32 v1, 0x7fc0
	s_nop 0
	v_cndmask_b32_sdwa v6, v1, v6, vcc dst_sel:DWORD dst_unused:UNUSED_PAD src0_sel:DWORD src1_sel:WORD_1
.LBB104_1216:
	s_mov_b64 s[10:11], 0
.LBB104_1217:
	s_andn2_b64 vcc, exec, s[10:11]
	s_cbranch_vccnz .LBB104_1219
; %bb.1218:
	global_load_ubyte v1, v[2:3], off
	s_movk_i32 s10, 0x7f00
	s_brev_b32 s11, 16
	s_brev_b32 s16, 1
	s_movk_i32 s17, 0x7fff
	s_waitcnt vmcnt(0)
	v_lshlrev_b16_e32 v6, 8, v1
	v_lshlrev_b32_e32 v1, 25, v1
	v_lshrrev_b32_e32 v7, 4, v1
	v_and_or_b32 v8, v6, s10, 0.5
	v_or_b32_e32 v7, 0x70000000, v7
	v_add_f32_e32 v8, -0.5, v8
	v_mul_f32_e32 v7, 0x7800000, v7
	v_cmp_gt_u32_e32 vcc, s11, v1
	v_bfe_i32 v6, v6, 0, 16
	s_nop 0
	v_cndmask_b32_e32 v1, v7, v8, vcc
	v_and_or_b32 v6, v6, s16, v1
	v_bfe_u32 v1, v1, 16, 1
	v_add3_u32 v1, v6, v1, s17
	v_cmp_o_f32_e32 vcc, v6, v6
	v_mov_b32_e32 v6, 0x7fc0
	s_nop 0
	v_cndmask_b32_sdwa v6, v6, v1, vcc dst_sel:DWORD dst_unused:UNUSED_PAD src0_sel:DWORD src1_sel:WORD_1
.LBB104_1219:
	s_mov_b64 s[10:11], 0
	s_mov_b64 s[16:17], -1
.LBB104_1220:
	s_andn2_b64 vcc, exec, s[10:11]
	s_mov_b64 s[10:11], 0
	s_cbranch_vccnz .LBB104_1231
; %bb.1221:
	s_cmp_gt_i32 s22, 14
	s_cbranch_scc0 .LBB104_1224
; %bb.1222:
	s_cmp_eq_u32 s22, 15
	s_cbranch_scc0 .LBB104_1227
; %bb.1223:
	global_load_ushort v6, v[2:3], off
	s_mov_b64 s[0:1], 0
	s_mov_b64 s[16:17], -1
	s_branch .LBB104_1228
.LBB104_1224:
	s_mov_b64 s[18:19], -1
                                        ; implicit-def: $vgpr6
	s_branch .LBB104_1229
.LBB104_1225:
	s_or_saveexec_b64 s[16:17], s[16:17]
	v_mov_b32_e32 v6, 0x7f800001
	s_xor_b64 exec, exec, s[16:17]
	s_cbranch_execz .LBB104_1206
.LBB104_1226:
	v_cmp_ne_u16_e32 vcc, 0, v1
	s_andn2_b64 s[10:11], s[10:11], exec
	s_and_b64 s[18:19], vcc, exec
	v_mov_b32_e32 v6, 0
	s_or_b64 s[10:11], s[10:11], s[18:19]
	s_or_b64 exec, exec, s[16:17]
	s_and_saveexec_b64 s[16:17], s[10:11]
	s_cbranch_execnz .LBB104_1207
	s_branch .LBB104_1208
.LBB104_1227:
	s_mov_b64 s[0:1], -1
                                        ; implicit-def: $vgpr6
.LBB104_1228:
	s_mov_b64 s[18:19], 0
.LBB104_1229:
	s_and_b64 vcc, exec, s[18:19]
	s_cbranch_vccz .LBB104_1231
; %bb.1230:
	s_cmp_lg_u32 s22, 11
	s_mov_b64 s[10:11], -1
	s_cselect_b64 s[0:1], -1, 0
.LBB104_1231:
	s_and_b64 vcc, exec, s[0:1]
	s_cbranch_vccnz .LBB104_1294
; %bb.1232:
	s_andn2_b64 vcc, exec, s[10:11]
	s_cbranch_vccnz .LBB104_1234
.LBB104_1233:
	global_load_ubyte v1, v[2:3], off
	s_mov_b64 s[16:17], -1
	s_waitcnt vmcnt(0)
	v_cmp_ne_u16_e32 vcc, 0, v1
	s_nop 1
	v_cndmask_b32_e64 v1, 0, 1.0, vcc
	v_lshrrev_b32_e32 v6, 16, v1
.LBB104_1234:
	s_branch .LBB104_1161
.LBB104_1235:
	s_cmp_lt_i32 s22, 5
	s_cbranch_scc1 .LBB104_1240
; %bb.1236:
	s_cmp_lt_i32 s22, 8
	s_cbranch_scc1 .LBB104_1241
; %bb.1237:
	;; [unrolled: 3-line block ×3, first 2 shown]
	s_cmp_gt_i32 s22, 9
	s_cbranch_scc0 .LBB104_1243
; %bb.1239:
	global_load_dwordx2 v[6:7], v[2:3], off
	s_movk_i32 s0, 0x7fff
	v_mov_b32_e32 v1, 0x7fc0
	s_waitcnt vmcnt(0)
	v_cvt_f32_f64_e32 v6, v[6:7]
	v_bfe_u32 v7, v6, 16, 1
	v_cmp_o_f32_e32 vcc, v6, v6
	v_add3_u32 v6, v6, v7, s0
	s_mov_b64 s[0:1], 0
	v_cndmask_b32_sdwa v6, v1, v6, vcc dst_sel:DWORD dst_unused:UNUSED_PAD src0_sel:DWORD src1_sel:WORD_1
	s_branch .LBB104_1244
.LBB104_1240:
                                        ; implicit-def: $vgpr6
	s_branch .LBB104_1262
.LBB104_1241:
	s_mov_b64 s[0:1], -1
                                        ; implicit-def: $vgpr6
	s_branch .LBB104_1250
.LBB104_1242:
	s_mov_b64 s[0:1], -1
                                        ; implicit-def: $vgpr6
	s_branch .LBB104_1247
.LBB104_1243:
	s_mov_b64 s[0:1], -1
                                        ; implicit-def: $vgpr6
.LBB104_1244:
	s_andn2_b64 vcc, exec, s[0:1]
	s_cbranch_vccnz .LBB104_1246
; %bb.1245:
	global_load_dword v1, v[2:3], off
	s_movk_i32 s0, 0x7fff
	s_waitcnt vmcnt(1)
	v_mov_b32_e32 v6, 0x7fc0
	s_waitcnt vmcnt(0)
	v_bfe_u32 v7, v1, 16, 1
	v_cmp_o_f32_e32 vcc, v1, v1
	v_add3_u32 v1, v1, v7, s0
	s_nop 0
	v_cndmask_b32_sdwa v6, v6, v1, vcc dst_sel:DWORD dst_unused:UNUSED_PAD src0_sel:DWORD src1_sel:WORD_1
.LBB104_1246:
	s_mov_b64 s[0:1], 0
.LBB104_1247:
	s_andn2_b64 vcc, exec, s[0:1]
	s_cbranch_vccnz .LBB104_1249
; %bb.1248:
	global_load_dword v1, v[2:3], off
	s_movk_i32 s0, 0x7fff
	v_mov_b32_e32 v7, 0x7fc0
	s_waitcnt vmcnt(0)
	v_cvt_f32_f16_e32 v6, v1
	v_cmp_o_f16_e32 vcc, v1, v1
	v_bfe_u32 v1, v6, 16, 1
	v_add3_u32 v1, v6, v1, s0
	v_cndmask_b32_sdwa v6, v7, v1, vcc dst_sel:DWORD dst_unused:UNUSED_PAD src0_sel:DWORD src1_sel:WORD_1
.LBB104_1249:
	s_mov_b64 s[0:1], 0
.LBB104_1250:
	s_andn2_b64 vcc, exec, s[0:1]
	s_cbranch_vccnz .LBB104_1261
; %bb.1251:
	s_cmp_lt_i32 s22, 6
	s_cbranch_scc1 .LBB104_1254
; %bb.1252:
	s_cmp_gt_i32 s22, 6
	s_cbranch_scc0 .LBB104_1255
; %bb.1253:
	global_load_dwordx2 v[6:7], v[2:3], off
	s_movk_i32 s0, 0x7fff
	v_mov_b32_e32 v1, 0x7fc0
	s_waitcnt vmcnt(0)
	v_cvt_f32_f64_e32 v6, v[6:7]
	v_bfe_u32 v7, v6, 16, 1
	v_cmp_o_f32_e32 vcc, v6, v6
	v_add3_u32 v6, v6, v7, s0
	s_mov_b64 s[0:1], 0
	v_cndmask_b32_sdwa v6, v1, v6, vcc dst_sel:DWORD dst_unused:UNUSED_PAD src0_sel:DWORD src1_sel:WORD_1
	s_branch .LBB104_1256
.LBB104_1254:
	s_mov_b64 s[0:1], -1
                                        ; implicit-def: $vgpr6
	s_branch .LBB104_1259
.LBB104_1255:
	s_mov_b64 s[0:1], -1
                                        ; implicit-def: $vgpr6
.LBB104_1256:
	s_andn2_b64 vcc, exec, s[0:1]
	s_cbranch_vccnz .LBB104_1258
; %bb.1257:
	global_load_dword v1, v[2:3], off
	s_movk_i32 s0, 0x7fff
	s_waitcnt vmcnt(1)
	v_mov_b32_e32 v6, 0x7fc0
	s_waitcnt vmcnt(0)
	v_bfe_u32 v7, v1, 16, 1
	v_cmp_o_f32_e32 vcc, v1, v1
	v_add3_u32 v1, v1, v7, s0
	s_nop 0
	v_cndmask_b32_sdwa v6, v6, v1, vcc dst_sel:DWORD dst_unused:UNUSED_PAD src0_sel:DWORD src1_sel:WORD_1
.LBB104_1258:
	s_mov_b64 s[0:1], 0
.LBB104_1259:
	s_andn2_b64 vcc, exec, s[0:1]
	s_cbranch_vccnz .LBB104_1261
; %bb.1260:
	global_load_ushort v1, v[2:3], off
	s_movk_i32 s0, 0x7fff
	v_mov_b32_e32 v7, 0x7fc0
	s_waitcnt vmcnt(0)
	v_cvt_f32_f16_e32 v6, v1
	v_cmp_o_f16_e32 vcc, v1, v1
	v_bfe_u32 v1, v6, 16, 1
	v_add3_u32 v1, v6, v1, s0
	v_cndmask_b32_sdwa v6, v7, v1, vcc dst_sel:DWORD dst_unused:UNUSED_PAD src0_sel:DWORD src1_sel:WORD_1
.LBB104_1261:
	s_cbranch_execnz .LBB104_1281
.LBB104_1262:
	s_cmp_lt_i32 s22, 2
	s_cbranch_scc1 .LBB104_1266
; %bb.1263:
	s_cmp_lt_i32 s22, 3
	s_cbranch_scc1 .LBB104_1267
; %bb.1264:
	s_cmp_gt_i32 s22, 3
	s_cbranch_scc0 .LBB104_1268
; %bb.1265:
	global_load_dwordx2 v[6:7], v[2:3], off
	s_movk_i32 s0, 0x7fff
	s_waitcnt vmcnt(0)
	v_xor_b32_e32 v8, v6, v7
	v_ffbh_i32_e32 v1, v7
	v_ashrrev_i32_e32 v8, 31, v8
	v_add_u32_e32 v1, -1, v1
	v_add_u32_e32 v8, 32, v8
	v_min_u32_e32 v1, v1, v8
	v_lshlrev_b64 v[6:7], v1, v[6:7]
	v_min_u32_e32 v6, 1, v6
	v_or_b32_e32 v6, v7, v6
	v_cvt_f32_i32_e32 v6, v6
	v_sub_u32_e32 v1, 32, v1
	v_ldexp_f32 v1, v6, v1
	v_bfe_u32 v6, v1, 16, 1
	v_add3_u32 v1, v1, v6, s0
	v_lshrrev_b32_e32 v6, 16, v1
	s_mov_b64 s[0:1], 0
	s_branch .LBB104_1269
.LBB104_1266:
	s_mov_b64 s[0:1], -1
                                        ; implicit-def: $vgpr6
	s_branch .LBB104_1275
.LBB104_1267:
	s_mov_b64 s[0:1], -1
                                        ; implicit-def: $vgpr6
	s_branch .LBB104_1272
.LBB104_1268:
	s_mov_b64 s[0:1], -1
                                        ; implicit-def: $vgpr6
.LBB104_1269:
	s_andn2_b64 vcc, exec, s[0:1]
	s_cbranch_vccnz .LBB104_1271
; %bb.1270:
	global_load_dword v1, v[2:3], off
	s_movk_i32 s0, 0x7fff
	s_waitcnt vmcnt(0)
	v_cvt_f32_i32_e32 v1, v1
	v_bfe_u32 v6, v1, 16, 1
	v_add3_u32 v1, v1, v6, s0
	v_lshrrev_b32_e32 v6, 16, v1
.LBB104_1271:
	s_mov_b64 s[0:1], 0
.LBB104_1272:
	s_andn2_b64 vcc, exec, s[0:1]
	s_cbranch_vccnz .LBB104_1274
; %bb.1273:
	global_load_sshort v1, v[2:3], off
	s_movk_i32 s0, 0x7fff
	s_waitcnt vmcnt(0)
	v_cvt_f32_i32_e32 v1, v1
	v_bfe_u32 v6, v1, 16, 1
	v_add3_u32 v1, v1, v6, s0
	v_lshrrev_b32_e32 v6, 16, v1
.LBB104_1274:
	s_mov_b64 s[0:1], 0
.LBB104_1275:
	s_andn2_b64 vcc, exec, s[0:1]
	s_cbranch_vccnz .LBB104_1281
; %bb.1276:
	s_cmp_gt_i32 s22, 0
	s_cbranch_scc0 .LBB104_1278
; %bb.1277:
	global_load_sbyte v1, v[2:3], off
	s_movk_i32 s0, 0x7fff
	s_waitcnt vmcnt(0)
	v_cvt_f32_i32_e32 v1, v1
	v_bfe_u32 v6, v1, 16, 1
	v_add3_u32 v1, v1, v6, s0
	v_lshrrev_b32_e32 v6, 16, v1
	s_mov_b64 s[0:1], 0
	s_branch .LBB104_1279
.LBB104_1278:
	s_mov_b64 s[0:1], -1
                                        ; implicit-def: $vgpr6
.LBB104_1279:
	s_andn2_b64 vcc, exec, s[0:1]
	s_cbranch_vccnz .LBB104_1281
; %bb.1280:
	global_load_ubyte v1, v[2:3], off
	s_movk_i32 s0, 0x7fff
	s_waitcnt vmcnt(0)
	v_cvt_f32_ubyte0_e32 v1, v1
	v_bfe_u32 v2, v1, 16, 1
	v_add3_u32 v1, v1, v2, s0
	v_lshrrev_b32_e32 v6, 16, v1
.LBB104_1281:
.LBB104_1282:
	v_add_u32_e32 v0, s9, v0
	v_ashrrev_i32_e32 v1, 31, v0
	s_cmp_lt_i32 s22, 11
	v_lshl_add_u64 v[2:3], s[6:7], 0, v[0:1]
	s_cbranch_scc1 .LBB104_1289
; %bb.1283:
	s_cmp_gt_i32 s22, 25
	s_mov_b64 s[10:11], 0
	s_cbranch_scc0 .LBB104_1291
; %bb.1284:
	s_cmp_gt_i32 s22, 28
	s_cbranch_scc0 .LBB104_1292
; %bb.1285:
	s_cmp_gt_i32 s22, 43
	;; [unrolled: 3-line block ×3, first 2 shown]
	s_cbranch_scc0 .LBB104_1295
; %bb.1287:
	s_cmp_eq_u32 s22, 46
	s_mov_b64 s[18:19], 0
	s_cbranch_scc0 .LBB104_1296
; %bb.1288:
	global_load_dword v7, v[2:3], off
	s_mov_b64 s[0:1], 0
	s_mov_b64 s[16:17], -1
	s_branch .LBB104_1297
.LBB104_1289:
	s_mov_b64 s[16:17], 0
                                        ; implicit-def: $vgpr7
	s_cbranch_execnz .LBB104_1363
.LBB104_1290:
	s_andn2_b64 vcc, exec, s[16:17]
	s_cbranch_vccnz .LBB104_1974
	s_branch .LBB104_1411
.LBB104_1291:
	s_mov_b64 s[18:19], -1
	s_mov_b64 s[16:17], 0
	s_mov_b64 s[0:1], 0
                                        ; implicit-def: $vgpr7
	s_branch .LBB104_1326
.LBB104_1292:
	s_mov_b64 s[18:19], -1
	s_mov_b64 s[16:17], 0
	s_mov_b64 s[0:1], 0
                                        ; implicit-def: $vgpr7
	s_branch .LBB104_1307
.LBB104_1293:
	s_mov_b64 s[18:19], -1
	s_mov_b64 s[16:17], 0
	s_mov_b64 s[0:1], 0
                                        ; implicit-def: $vgpr7
	s_branch .LBB104_1302
.LBB104_1294:
	s_trap 2
	s_or_b64 s[14:15], s[14:15], exec
	s_cbranch_execz .LBB104_1233
	s_branch .LBB104_1234
.LBB104_1295:
	s_mov_b64 s[18:19], -1
	s_mov_b64 s[16:17], 0
	s_mov_b64 s[0:1], 0
                                        ; implicit-def: $vgpr7
	s_branch .LBB104_1297
.LBB104_1296:
	s_mov_b64 s[0:1], -1
                                        ; implicit-def: $vgpr7
	s_mov_b64 s[16:17], 0
.LBB104_1297:
	s_and_b64 vcc, exec, s[18:19]
	s_cbranch_vccz .LBB104_1301
; %bb.1298:
	s_cmp_eq_u32 s22, 44
	s_cbranch_scc0 .LBB104_1300
; %bb.1299:
	global_load_ubyte v1, v[2:3], off
	s_movk_i32 s16, 0xff
	s_waitcnt vmcnt(1)
	v_mov_b32_e32 v7, 0x7f800001
	v_mov_b32_e32 v8, 0x400000
	;; [unrolled: 1-line block ×3, first 2 shown]
	s_mov_b64 s[0:1], 0
	s_waitcnt vmcnt(0)
	v_lshlrev_b32_e32 v10, 23, v1
	v_cmp_ne_u32_e32 vcc, s16, v1
	s_mov_b64 s[16:17], -1
	s_nop 0
	v_cndmask_b32_e32 v7, v7, v10, vcc
	v_cmp_ne_u32_e32 vcc, 0, v1
	s_nop 1
	v_cndmask_b32_e32 v1, v8, v7, vcc
	v_add_u32_e32 v7, 0x7fff, v1
	v_cmp_o_f32_e32 vcc, v1, v1
	s_nop 1
	v_cndmask_b32_sdwa v7, v9, v7, vcc dst_sel:DWORD dst_unused:UNUSED_PAD src0_sel:DWORD src1_sel:WORD_1
	s_branch .LBB104_1301
.LBB104_1300:
	s_mov_b64 s[0:1], -1
                                        ; implicit-def: $vgpr7
.LBB104_1301:
	s_mov_b64 s[18:19], 0
.LBB104_1302:
	s_and_b64 vcc, exec, s[18:19]
	s_cbranch_vccz .LBB104_1306
; %bb.1303:
	s_cmp_eq_u32 s22, 29
	s_cbranch_scc0 .LBB104_1305
; %bb.1304:
	global_load_dwordx2 v[8:9], v[2:3], off
	s_movk_i32 s16, 0x7fff
	s_mov_b64 s[0:1], 0
	s_mov_b64 s[18:19], 0
	s_waitcnt vmcnt(0)
	v_ffbh_u32_e32 v1, v9
	v_min_u32_e32 v1, 32, v1
	v_lshlrev_b64 v[8:9], v1, v[8:9]
	v_min_u32_e32 v7, 1, v8
	v_or_b32_e32 v7, v9, v7
	v_cvt_f32_u32_e32 v7, v7
	v_sub_u32_e32 v1, 32, v1
	v_ldexp_f32 v1, v7, v1
	v_bfe_u32 v7, v1, 16, 1
	v_add3_u32 v1, v1, v7, s16
	v_lshrrev_b32_e32 v7, 16, v1
	s_mov_b64 s[16:17], -1
	s_branch .LBB104_1307
.LBB104_1305:
	s_mov_b64 s[0:1], -1
                                        ; implicit-def: $vgpr7
.LBB104_1306:
	s_mov_b64 s[18:19], 0
.LBB104_1307:
	s_and_b64 vcc, exec, s[18:19]
	s_cbranch_vccz .LBB104_1325
; %bb.1308:
	s_cmp_lt_i32 s22, 27
	s_cbranch_scc1 .LBB104_1311
; %bb.1309:
	s_cmp_gt_i32 s22, 27
	s_cbranch_scc0 .LBB104_1312
; %bb.1310:
	global_load_dword v1, v[2:3], off
	s_movk_i32 s16, 0x7fff
	s_waitcnt vmcnt(0)
	v_cvt_f32_u32_e32 v1, v1
	v_bfe_u32 v7, v1, 16, 1
	v_add3_u32 v1, v1, v7, s16
	v_lshrrev_b32_e32 v7, 16, v1
	s_mov_b64 s[16:17], 0
	s_branch .LBB104_1313
.LBB104_1311:
	s_mov_b64 s[16:17], -1
                                        ; implicit-def: $vgpr7
	s_branch .LBB104_1316
.LBB104_1312:
	s_mov_b64 s[16:17], -1
                                        ; implicit-def: $vgpr7
.LBB104_1313:
	s_andn2_b64 vcc, exec, s[16:17]
	s_cbranch_vccnz .LBB104_1315
; %bb.1314:
	global_load_ushort v1, v[2:3], off
	s_movk_i32 s16, 0x7fff
	s_waitcnt vmcnt(0)
	v_cvt_f32_u32_e32 v1, v1
	v_bfe_u32 v7, v1, 16, 1
	v_add3_u32 v1, v1, v7, s16
	v_lshrrev_b32_e32 v7, 16, v1
.LBB104_1315:
	s_mov_b64 s[16:17], 0
.LBB104_1316:
	s_andn2_b64 vcc, exec, s[16:17]
	s_cbranch_vccnz .LBB104_1324
; %bb.1317:
	global_load_ubyte v1, v[2:3], off
	s_movk_i32 s16, 0x7f
	s_waitcnt vmcnt(0)
	v_cmp_lt_i16_e32 vcc, s16, v1
	s_mov_b64 s[16:17], 0
	s_and_saveexec_b64 s[18:19], vcc
	s_xor_b64 s[18:19], exec, s[18:19]
	s_cbranch_execz .LBB104_1338
; %bb.1318:
	s_movk_i32 s16, 0x80
	v_cmp_eq_u16_e32 vcc, s16, v1
	s_mov_b64 s[16:17], -1
	s_and_saveexec_b64 s[20:21], vcc
; %bb.1319:
	s_xor_b64 s[16:17], exec, -1
; %bb.1320:
	s_or_b64 exec, exec, s[20:21]
	s_and_b64 s[16:17], s[16:17], exec
	s_or_saveexec_b64 s[18:19], s[18:19]
	v_mov_b32_e32 v7, 0x7f800001
	s_xor_b64 exec, exec, s[18:19]
	s_cbranch_execnz .LBB104_1339
.LBB104_1321:
	s_or_b64 exec, exec, s[18:19]
	s_and_saveexec_b64 s[18:19], s[16:17]
	s_cbranch_execz .LBB104_1323
.LBB104_1322:
	v_lshlrev_b32_e32 v7, 24, v1
	v_and_b32_e32 v1, 0xffff, v1
	v_and_b32_e32 v8, 7, v1
	v_ffbh_u32_e32 v10, v8
	v_min_u32_e32 v10, 32, v10
	v_subrev_u32_e32 v11, 28, v10
	v_bfe_u32 v9, v1, 3, 4
	v_lshlrev_b32_e32 v1, v11, v1
	v_sub_u32_e32 v10, 29, v10
	v_and_b32_e32 v1, 7, v1
	v_cmp_eq_u32_e32 vcc, 0, v9
	v_and_b32_e32 v7, 0x80000000, v7
	s_nop 0
	v_cndmask_b32_e32 v9, v9, v10, vcc
	v_cndmask_b32_e32 v1, v8, v1, vcc
	v_mov_b32_e32 v8, 0x3b800000
	v_lshlrev_b32_e32 v1, 20, v1
	v_lshl_add_u32 v8, v9, 23, v8
	v_or3_b32 v7, v7, v8, v1
.LBB104_1323:
	s_or_b64 exec, exec, s[18:19]
	v_bfe_u32 v1, v7, 16, 1
	s_movk_i32 s16, 0x7fff
	v_add3_u32 v1, v7, v1, s16
	v_cmp_o_f32_e32 vcc, v7, v7
	v_mov_b32_e32 v7, 0x7fc0
	s_nop 0
	v_cndmask_b32_sdwa v7, v7, v1, vcc dst_sel:DWORD dst_unused:UNUSED_PAD src0_sel:DWORD src1_sel:WORD_1
.LBB104_1324:
	s_mov_b64 s[16:17], -1
.LBB104_1325:
	s_mov_b64 s[18:19], 0
.LBB104_1326:
	s_and_b64 vcc, exec, s[18:19]
	s_cbranch_vccz .LBB104_1359
; %bb.1327:
	s_cmp_gt_i32 s22, 22
	s_cbranch_scc0 .LBB104_1337
; %bb.1328:
	s_cmp_lt_i32 s22, 24
	s_cbranch_scc1 .LBB104_1340
; %bb.1329:
	s_cmp_gt_i32 s22, 24
	s_cbranch_scc0 .LBB104_1341
; %bb.1330:
	global_load_ubyte v1, v[2:3], off
	s_movk_i32 s10, 0x7f
	s_waitcnt vmcnt(0)
	v_cmp_lt_i16_e32 vcc, s10, v1
	s_mov_b64 s[10:11], 0
	s_and_saveexec_b64 s[16:17], vcc
	s_xor_b64 s[16:17], exec, s[16:17]
	s_cbranch_execz .LBB104_1353
; %bb.1331:
	s_movk_i32 s10, 0x80
	v_cmp_eq_u16_e32 vcc, s10, v1
	s_mov_b64 s[10:11], -1
	s_and_saveexec_b64 s[18:19], vcc
; %bb.1332:
	s_xor_b64 s[10:11], exec, -1
; %bb.1333:
	s_or_b64 exec, exec, s[18:19]
	s_and_b64 s[10:11], s[10:11], exec
	s_or_saveexec_b64 s[16:17], s[16:17]
	v_mov_b32_e32 v7, 0x7f800001
	s_xor_b64 exec, exec, s[16:17]
	s_cbranch_execnz .LBB104_1354
.LBB104_1334:
	s_or_b64 exec, exec, s[16:17]
	s_and_saveexec_b64 s[16:17], s[10:11]
	s_cbranch_execz .LBB104_1336
.LBB104_1335:
	v_lshlrev_b32_e32 v7, 24, v1
	v_and_b32_e32 v1, 0xffff, v1
	v_and_b32_e32 v8, 3, v1
	v_ffbh_u32_e32 v10, v8
	v_min_u32_e32 v10, 32, v10
	v_subrev_u32_e32 v11, 29, v10
	v_bfe_u32 v9, v1, 2, 5
	v_lshlrev_b32_e32 v1, v11, v1
	v_sub_u32_e32 v10, 30, v10
	v_and_b32_e32 v1, 3, v1
	v_cmp_eq_u32_e32 vcc, 0, v9
	v_and_b32_e32 v7, 0x80000000, v7
	s_nop 0
	v_cndmask_b32_e32 v9, v9, v10, vcc
	v_cndmask_b32_e32 v1, v8, v1, vcc
	v_mov_b32_e32 v8, 0x37800000
	v_lshlrev_b32_e32 v1, 21, v1
	v_lshl_add_u32 v8, v9, 23, v8
	v_or3_b32 v7, v7, v8, v1
.LBB104_1336:
	s_or_b64 exec, exec, s[16:17]
	v_bfe_u32 v1, v7, 16, 1
	s_movk_i32 s10, 0x7fff
	v_add3_u32 v1, v7, v1, s10
	v_cmp_o_f32_e32 vcc, v7, v7
	v_mov_b32_e32 v7, 0x7fc0
	s_mov_b64 s[10:11], 0
	v_cndmask_b32_sdwa v7, v7, v1, vcc dst_sel:DWORD dst_unused:UNUSED_PAD src0_sel:DWORD src1_sel:WORD_1
	s_branch .LBB104_1342
.LBB104_1337:
	s_mov_b64 s[10:11], -1
                                        ; implicit-def: $vgpr7
	s_branch .LBB104_1348
.LBB104_1338:
	s_or_saveexec_b64 s[18:19], s[18:19]
	v_mov_b32_e32 v7, 0x7f800001
	s_xor_b64 exec, exec, s[18:19]
	s_cbranch_execz .LBB104_1321
.LBB104_1339:
	v_cmp_ne_u16_e32 vcc, 0, v1
	s_andn2_b64 s[16:17], s[16:17], exec
	s_and_b64 s[20:21], vcc, exec
	v_mov_b32_e32 v7, 0
	s_or_b64 s[16:17], s[16:17], s[20:21]
	s_or_b64 exec, exec, s[18:19]
	s_and_saveexec_b64 s[18:19], s[16:17]
	s_cbranch_execnz .LBB104_1322
	s_branch .LBB104_1323
.LBB104_1340:
	s_mov_b64 s[10:11], -1
                                        ; implicit-def: $vgpr7
	s_branch .LBB104_1345
.LBB104_1341:
	s_mov_b64 s[10:11], -1
                                        ; implicit-def: $vgpr7
.LBB104_1342:
	s_and_b64 vcc, exec, s[10:11]
	s_cbranch_vccz .LBB104_1344
; %bb.1343:
	global_load_ubyte v1, v[2:3], off
	s_mov_b32 s10, 0x7f800000
	s_brev_b32 s11, 1
	s_movk_i32 s16, 0x7fff
	s_waitcnt vmcnt(0)
	v_lshlrev_b32_e32 v1, 24, v1
	v_and_b32_e32 v7, 0x7f000000, v1
	v_ffbh_u32_e32 v8, v7
	v_min_u32_e32 v8, 32, v8
	v_sub_u32_e64 v8, v8, 4 clamp
	v_lshlrev_b32_e32 v10, v8, v7
	v_lshlrev_b32_e32 v8, 23, v8
	v_lshrrev_b32_e32 v10, 4, v10
	v_add_u32_e32 v9, 0x1000000, v7
	v_sub_u32_e32 v8, v10, v8
	v_ashrrev_i32_e32 v9, 8, v9
	v_add_u32_e32 v8, 0x3c000000, v8
	v_and_or_b32 v8, v9, s10, v8
	v_cmp_ne_u32_e32 vcc, 0, v7
	s_nop 1
	v_cndmask_b32_e32 v7, 0, v8, vcc
	v_and_or_b32 v1, v1, s11, v7
	v_bfe_u32 v7, v7, 16, 1
	v_add3_u32 v7, v1, v7, s16
	v_cmp_o_f32_e32 vcc, v1, v1
	v_mov_b32_e32 v1, 0x7fc0
	s_nop 0
	v_cndmask_b32_sdwa v7, v1, v7, vcc dst_sel:DWORD dst_unused:UNUSED_PAD src0_sel:DWORD src1_sel:WORD_1
.LBB104_1344:
	s_mov_b64 s[10:11], 0
.LBB104_1345:
	s_andn2_b64 vcc, exec, s[10:11]
	s_cbranch_vccnz .LBB104_1347
; %bb.1346:
	global_load_ubyte v1, v[2:3], off
	s_movk_i32 s10, 0x7f00
	s_brev_b32 s11, 16
	s_brev_b32 s16, 1
	s_movk_i32 s17, 0x7fff
	s_waitcnt vmcnt(0)
	v_lshlrev_b16_e32 v7, 8, v1
	v_lshlrev_b32_e32 v1, 25, v1
	v_lshrrev_b32_e32 v8, 4, v1
	v_and_or_b32 v9, v7, s10, 0.5
	v_or_b32_e32 v8, 0x70000000, v8
	v_add_f32_e32 v9, -0.5, v9
	v_mul_f32_e32 v8, 0x7800000, v8
	v_cmp_gt_u32_e32 vcc, s11, v1
	v_bfe_i32 v7, v7, 0, 16
	s_nop 0
	v_cndmask_b32_e32 v1, v8, v9, vcc
	v_and_or_b32 v7, v7, s16, v1
	v_bfe_u32 v1, v1, 16, 1
	v_add3_u32 v1, v7, v1, s17
	v_cmp_o_f32_e32 vcc, v7, v7
	v_mov_b32_e32 v7, 0x7fc0
	s_nop 0
	v_cndmask_b32_sdwa v7, v7, v1, vcc dst_sel:DWORD dst_unused:UNUSED_PAD src0_sel:DWORD src1_sel:WORD_1
.LBB104_1347:
	s_mov_b64 s[10:11], 0
	s_mov_b64 s[16:17], -1
.LBB104_1348:
	s_andn2_b64 vcc, exec, s[10:11]
	s_mov_b64 s[10:11], 0
	s_cbranch_vccnz .LBB104_1359
; %bb.1349:
	s_cmp_gt_i32 s22, 14
	s_cbranch_scc0 .LBB104_1352
; %bb.1350:
	s_cmp_eq_u32 s22, 15
	s_cbranch_scc0 .LBB104_1355
; %bb.1351:
	global_load_ushort v7, v[2:3], off
	s_mov_b64 s[0:1], 0
	s_mov_b64 s[16:17], -1
	s_branch .LBB104_1356
.LBB104_1352:
	s_mov_b64 s[18:19], -1
                                        ; implicit-def: $vgpr7
	s_branch .LBB104_1357
.LBB104_1353:
	s_or_saveexec_b64 s[16:17], s[16:17]
	v_mov_b32_e32 v7, 0x7f800001
	s_xor_b64 exec, exec, s[16:17]
	s_cbranch_execz .LBB104_1334
.LBB104_1354:
	v_cmp_ne_u16_e32 vcc, 0, v1
	s_andn2_b64 s[10:11], s[10:11], exec
	s_and_b64 s[18:19], vcc, exec
	v_mov_b32_e32 v7, 0
	s_or_b64 s[10:11], s[10:11], s[18:19]
	s_or_b64 exec, exec, s[16:17]
	s_and_saveexec_b64 s[16:17], s[10:11]
	s_cbranch_execnz .LBB104_1335
	s_branch .LBB104_1336
.LBB104_1355:
	s_mov_b64 s[0:1], -1
                                        ; implicit-def: $vgpr7
.LBB104_1356:
	s_mov_b64 s[18:19], 0
.LBB104_1357:
	s_and_b64 vcc, exec, s[18:19]
	s_cbranch_vccz .LBB104_1359
; %bb.1358:
	s_cmp_lg_u32 s22, 11
	s_mov_b64 s[10:11], -1
	s_cselect_b64 s[0:1], -1, 0
.LBB104_1359:
	s_and_b64 vcc, exec, s[0:1]
	s_cbranch_vccnz .LBB104_1422
; %bb.1360:
	s_andn2_b64 vcc, exec, s[10:11]
	s_cbranch_vccnz .LBB104_1362
.LBB104_1361:
	global_load_ubyte v1, v[2:3], off
	s_mov_b64 s[16:17], -1
	s_waitcnt vmcnt(0)
	v_cmp_ne_u16_e32 vcc, 0, v1
	s_nop 1
	v_cndmask_b32_e64 v1, 0, 1.0, vcc
	v_lshrrev_b32_e32 v7, 16, v1
.LBB104_1362:
	s_branch .LBB104_1290
.LBB104_1363:
	s_cmp_lt_i32 s22, 5
	s_cbranch_scc1 .LBB104_1368
; %bb.1364:
	s_cmp_lt_i32 s22, 8
	s_cbranch_scc1 .LBB104_1369
; %bb.1365:
	;; [unrolled: 3-line block ×3, first 2 shown]
	s_cmp_gt_i32 s22, 9
	s_cbranch_scc0 .LBB104_1371
; %bb.1367:
	global_load_dwordx2 v[8:9], v[2:3], off
	s_movk_i32 s0, 0x7fff
	v_mov_b32_e32 v1, 0x7fc0
	s_waitcnt vmcnt(0)
	v_cvt_f32_f64_e32 v7, v[8:9]
	v_bfe_u32 v8, v7, 16, 1
	v_cmp_o_f32_e32 vcc, v7, v7
	v_add3_u32 v7, v7, v8, s0
	s_mov_b64 s[0:1], 0
	v_cndmask_b32_sdwa v7, v1, v7, vcc dst_sel:DWORD dst_unused:UNUSED_PAD src0_sel:DWORD src1_sel:WORD_1
	s_branch .LBB104_1372
.LBB104_1368:
	s_mov_b64 s[0:1], -1
                                        ; implicit-def: $vgpr7
	s_branch .LBB104_1390
.LBB104_1369:
	s_mov_b64 s[0:1], -1
                                        ; implicit-def: $vgpr7
	s_branch .LBB104_1378
.LBB104_1370:
	s_mov_b64 s[0:1], -1
                                        ; implicit-def: $vgpr7
	s_branch .LBB104_1375
.LBB104_1371:
	s_mov_b64 s[0:1], -1
                                        ; implicit-def: $vgpr7
.LBB104_1372:
	s_andn2_b64 vcc, exec, s[0:1]
	s_cbranch_vccnz .LBB104_1374
; %bb.1373:
	global_load_dword v1, v[2:3], off
	s_movk_i32 s0, 0x7fff
	s_waitcnt vmcnt(1)
	v_mov_b32_e32 v7, 0x7fc0
	s_waitcnt vmcnt(0)
	v_bfe_u32 v8, v1, 16, 1
	v_cmp_o_f32_e32 vcc, v1, v1
	v_add3_u32 v1, v1, v8, s0
	s_nop 0
	v_cndmask_b32_sdwa v7, v7, v1, vcc dst_sel:DWORD dst_unused:UNUSED_PAD src0_sel:DWORD src1_sel:WORD_1
.LBB104_1374:
	s_mov_b64 s[0:1], 0
.LBB104_1375:
	s_andn2_b64 vcc, exec, s[0:1]
	s_cbranch_vccnz .LBB104_1377
; %bb.1376:
	global_load_dword v1, v[2:3], off
	s_movk_i32 s0, 0x7fff
	v_mov_b32_e32 v8, 0x7fc0
	s_waitcnt vmcnt(0)
	v_cvt_f32_f16_e32 v7, v1
	v_cmp_o_f16_e32 vcc, v1, v1
	v_bfe_u32 v1, v7, 16, 1
	v_add3_u32 v1, v7, v1, s0
	v_cndmask_b32_sdwa v7, v8, v1, vcc dst_sel:DWORD dst_unused:UNUSED_PAD src0_sel:DWORD src1_sel:WORD_1
.LBB104_1377:
	s_mov_b64 s[0:1], 0
.LBB104_1378:
	s_andn2_b64 vcc, exec, s[0:1]
	s_cbranch_vccnz .LBB104_1389
; %bb.1379:
	s_cmp_lt_i32 s22, 6
	s_cbranch_scc1 .LBB104_1382
; %bb.1380:
	s_cmp_gt_i32 s22, 6
	s_cbranch_scc0 .LBB104_1383
; %bb.1381:
	global_load_dwordx2 v[8:9], v[2:3], off
	s_movk_i32 s0, 0x7fff
	v_mov_b32_e32 v1, 0x7fc0
	s_waitcnt vmcnt(0)
	v_cvt_f32_f64_e32 v7, v[8:9]
	v_bfe_u32 v8, v7, 16, 1
	v_cmp_o_f32_e32 vcc, v7, v7
	v_add3_u32 v7, v7, v8, s0
	s_mov_b64 s[0:1], 0
	v_cndmask_b32_sdwa v7, v1, v7, vcc dst_sel:DWORD dst_unused:UNUSED_PAD src0_sel:DWORD src1_sel:WORD_1
	s_branch .LBB104_1384
.LBB104_1382:
	s_mov_b64 s[0:1], -1
                                        ; implicit-def: $vgpr7
	s_branch .LBB104_1387
.LBB104_1383:
	s_mov_b64 s[0:1], -1
                                        ; implicit-def: $vgpr7
.LBB104_1384:
	s_andn2_b64 vcc, exec, s[0:1]
	s_cbranch_vccnz .LBB104_1386
; %bb.1385:
	global_load_dword v1, v[2:3], off
	s_movk_i32 s0, 0x7fff
	s_waitcnt vmcnt(1)
	v_mov_b32_e32 v7, 0x7fc0
	s_waitcnt vmcnt(0)
	v_bfe_u32 v8, v1, 16, 1
	v_cmp_o_f32_e32 vcc, v1, v1
	v_add3_u32 v1, v1, v8, s0
	s_nop 0
	v_cndmask_b32_sdwa v7, v7, v1, vcc dst_sel:DWORD dst_unused:UNUSED_PAD src0_sel:DWORD src1_sel:WORD_1
.LBB104_1386:
	s_mov_b64 s[0:1], 0
.LBB104_1387:
	s_andn2_b64 vcc, exec, s[0:1]
	s_cbranch_vccnz .LBB104_1389
; %bb.1388:
	global_load_ushort v1, v[2:3], off
	s_movk_i32 s0, 0x7fff
	v_mov_b32_e32 v8, 0x7fc0
	s_waitcnt vmcnt(0)
	v_cvt_f32_f16_e32 v7, v1
	v_cmp_o_f16_e32 vcc, v1, v1
	v_bfe_u32 v1, v7, 16, 1
	v_add3_u32 v1, v7, v1, s0
	v_cndmask_b32_sdwa v7, v8, v1, vcc dst_sel:DWORD dst_unused:UNUSED_PAD src0_sel:DWORD src1_sel:WORD_1
.LBB104_1389:
	s_mov_b64 s[0:1], 0
.LBB104_1390:
	s_andn2_b64 vcc, exec, s[0:1]
	s_cbranch_vccnz .LBB104_1410
; %bb.1391:
	s_cmp_lt_i32 s22, 2
	s_cbranch_scc1 .LBB104_1395
; %bb.1392:
	s_cmp_lt_i32 s22, 3
	s_cbranch_scc1 .LBB104_1396
; %bb.1393:
	s_cmp_gt_i32 s22, 3
	s_cbranch_scc0 .LBB104_1397
; %bb.1394:
	global_load_dwordx2 v[8:9], v[2:3], off
	s_movk_i32 s0, 0x7fff
	s_waitcnt vmcnt(0)
	v_xor_b32_e32 v7, v8, v9
	v_ffbh_i32_e32 v1, v9
	v_ashrrev_i32_e32 v7, 31, v7
	v_add_u32_e32 v1, -1, v1
	v_add_u32_e32 v7, 32, v7
	v_min_u32_e32 v1, v1, v7
	v_lshlrev_b64 v[8:9], v1, v[8:9]
	v_min_u32_e32 v7, 1, v8
	v_or_b32_e32 v7, v9, v7
	v_cvt_f32_i32_e32 v7, v7
	v_sub_u32_e32 v1, 32, v1
	v_ldexp_f32 v1, v7, v1
	v_bfe_u32 v7, v1, 16, 1
	v_add3_u32 v1, v1, v7, s0
	v_lshrrev_b32_e32 v7, 16, v1
	s_mov_b64 s[0:1], 0
	s_branch .LBB104_1398
.LBB104_1395:
	s_mov_b64 s[0:1], -1
                                        ; implicit-def: $vgpr7
	s_branch .LBB104_1404
.LBB104_1396:
	s_mov_b64 s[0:1], -1
                                        ; implicit-def: $vgpr7
	s_branch .LBB104_1401
.LBB104_1397:
	s_mov_b64 s[0:1], -1
                                        ; implicit-def: $vgpr7
.LBB104_1398:
	s_andn2_b64 vcc, exec, s[0:1]
	s_cbranch_vccnz .LBB104_1400
; %bb.1399:
	global_load_dword v1, v[2:3], off
	s_movk_i32 s0, 0x7fff
	s_waitcnt vmcnt(0)
	v_cvt_f32_i32_e32 v1, v1
	v_bfe_u32 v7, v1, 16, 1
	v_add3_u32 v1, v1, v7, s0
	v_lshrrev_b32_e32 v7, 16, v1
.LBB104_1400:
	s_mov_b64 s[0:1], 0
.LBB104_1401:
	s_andn2_b64 vcc, exec, s[0:1]
	s_cbranch_vccnz .LBB104_1403
; %bb.1402:
	global_load_sshort v1, v[2:3], off
	s_movk_i32 s0, 0x7fff
	s_waitcnt vmcnt(0)
	v_cvt_f32_i32_e32 v1, v1
	v_bfe_u32 v7, v1, 16, 1
	v_add3_u32 v1, v1, v7, s0
	v_lshrrev_b32_e32 v7, 16, v1
.LBB104_1403:
	s_mov_b64 s[0:1], 0
.LBB104_1404:
	s_andn2_b64 vcc, exec, s[0:1]
	s_cbranch_vccnz .LBB104_1410
; %bb.1405:
	s_cmp_gt_i32 s22, 0
	s_cbranch_scc0 .LBB104_1407
; %bb.1406:
	global_load_sbyte v1, v[2:3], off
	s_movk_i32 s0, 0x7fff
	s_waitcnt vmcnt(0)
	v_cvt_f32_i32_e32 v1, v1
	v_bfe_u32 v7, v1, 16, 1
	v_add3_u32 v1, v1, v7, s0
	v_lshrrev_b32_e32 v7, 16, v1
	s_mov_b64 s[0:1], 0
	s_branch .LBB104_1408
.LBB104_1407:
	s_mov_b64 s[0:1], -1
                                        ; implicit-def: $vgpr7
.LBB104_1408:
	s_andn2_b64 vcc, exec, s[0:1]
	s_cbranch_vccnz .LBB104_1410
; %bb.1409:
	global_load_ubyte v1, v[2:3], off
	s_movk_i32 s0, 0x7fff
	s_waitcnt vmcnt(0)
	v_cvt_f32_ubyte0_e32 v1, v1
	v_bfe_u32 v2, v1, 16, 1
	v_add3_u32 v1, v1, v2, s0
	v_lshrrev_b32_e32 v7, 16, v1
.LBB104_1410:
.LBB104_1411:
	v_add_u32_e32 v0, s9, v0
	v_ashrrev_i32_e32 v1, 31, v0
	s_cmp_lt_i32 s22, 11
	v_lshl_add_u64 v[0:1], s[6:7], 0, v[0:1]
	s_cbranch_scc1 .LBB104_1418
; %bb.1412:
	s_cmp_gt_i32 s22, 25
	s_mov_b64 s[6:7], 0
	s_cbranch_scc0 .LBB104_1419
; %bb.1413:
	s_cmp_gt_i32 s22, 28
	s_cbranch_scc0 .LBB104_1420
; %bb.1414:
	s_cmp_gt_i32 s22, 43
	;; [unrolled: 3-line block ×3, first 2 shown]
	s_cbranch_scc0 .LBB104_1423
; %bb.1416:
	s_cmp_eq_u32 s22, 46
	s_mov_b64 s[16:17], 0
	s_cbranch_scc0 .LBB104_1424
; %bb.1417:
	global_load_dword v8, v[0:1], off
	s_mov_b64 s[0:1], 0
	s_mov_b64 s[10:11], -1
	s_branch .LBB104_1425
.LBB104_1418:
	s_mov_b64 s[0:1], -1
	s_mov_b64 s[10:11], 0
                                        ; implicit-def: $vgpr8
	s_branch .LBB104_1491
.LBB104_1419:
	s_mov_b64 s[16:17], -1
	s_mov_b64 s[10:11], 0
	s_mov_b64 s[0:1], 0
                                        ; implicit-def: $vgpr8
	s_branch .LBB104_1454
.LBB104_1420:
	s_mov_b64 s[16:17], -1
	s_mov_b64 s[10:11], 0
	s_mov_b64 s[0:1], 0
                                        ; implicit-def: $vgpr8
	s_branch .LBB104_1435
.LBB104_1421:
	s_mov_b64 s[16:17], -1
	s_mov_b64 s[10:11], 0
	s_mov_b64 s[0:1], 0
                                        ; implicit-def: $vgpr8
	s_branch .LBB104_1430
.LBB104_1422:
	s_trap 2
	s_or_b64 s[14:15], s[14:15], exec
	s_cbranch_execz .LBB104_1361
	s_branch .LBB104_1362
.LBB104_1423:
	s_mov_b64 s[16:17], -1
	s_mov_b64 s[10:11], 0
	s_mov_b64 s[0:1], 0
                                        ; implicit-def: $vgpr8
	s_branch .LBB104_1425
.LBB104_1424:
	s_mov_b64 s[0:1], -1
                                        ; implicit-def: $vgpr8
	s_mov_b64 s[10:11], 0
.LBB104_1425:
	s_and_b64 vcc, exec, s[16:17]
	s_cbranch_vccz .LBB104_1429
; %bb.1426:
	s_cmp_eq_u32 s22, 44
	s_cbranch_scc0 .LBB104_1428
; %bb.1427:
	global_load_ubyte v2, v[0:1], off
	s_movk_i32 s9, 0xff
	v_mov_b32_e32 v3, 0x7f800001
	s_waitcnt vmcnt(1)
	v_mov_b32_e32 v8, 0x400000
	v_mov_b32_e32 v9, 0x7fc0
	s_mov_b64 s[0:1], 0
	s_mov_b64 s[10:11], -1
	s_waitcnt vmcnt(0)
	v_lshlrev_b32_e32 v10, 23, v2
	v_cmp_ne_u32_e32 vcc, s9, v2
	s_nop 1
	v_cndmask_b32_e32 v3, v3, v10, vcc
	v_cmp_ne_u32_e32 vcc, 0, v2
	s_nop 1
	v_cndmask_b32_e32 v2, v8, v3, vcc
	v_add_u32_e32 v3, 0x7fff, v2
	v_cmp_o_f32_e32 vcc, v2, v2
	s_nop 1
	v_cndmask_b32_sdwa v8, v9, v3, vcc dst_sel:DWORD dst_unused:UNUSED_PAD src0_sel:DWORD src1_sel:WORD_1
	s_branch .LBB104_1429
.LBB104_1428:
	s_mov_b64 s[0:1], -1
                                        ; implicit-def: $vgpr8
.LBB104_1429:
	s_mov_b64 s[16:17], 0
.LBB104_1430:
	s_and_b64 vcc, exec, s[16:17]
	s_cbranch_vccz .LBB104_1434
; %bb.1431:
	s_cmp_eq_u32 s22, 29
	s_cbranch_scc0 .LBB104_1433
; %bb.1432:
	global_load_dwordx2 v[2:3], v[0:1], off
	s_movk_i32 s9, 0x7fff
	s_mov_b64 s[0:1], 0
	s_mov_b64 s[10:11], -1
	s_mov_b64 s[16:17], 0
	s_waitcnt vmcnt(0)
	v_ffbh_u32_e32 v8, v3
	v_min_u32_e32 v8, 32, v8
	v_lshlrev_b64 v[2:3], v8, v[2:3]
	v_min_u32_e32 v2, 1, v2
	v_or_b32_e32 v2, v3, v2
	v_cvt_f32_u32_e32 v2, v2
	v_sub_u32_e32 v3, 32, v8
	v_ldexp_f32 v2, v2, v3
	v_bfe_u32 v3, v2, 16, 1
	v_add3_u32 v2, v2, v3, s9
	v_lshrrev_b32_e32 v8, 16, v2
	s_branch .LBB104_1435
.LBB104_1433:
	s_mov_b64 s[0:1], -1
                                        ; implicit-def: $vgpr8
.LBB104_1434:
	s_mov_b64 s[16:17], 0
.LBB104_1435:
	s_and_b64 vcc, exec, s[16:17]
	s_cbranch_vccz .LBB104_1453
; %bb.1436:
	s_cmp_lt_i32 s22, 27
	s_cbranch_scc1 .LBB104_1439
; %bb.1437:
	s_cmp_gt_i32 s22, 27
	s_cbranch_scc0 .LBB104_1440
; %bb.1438:
	global_load_dword v2, v[0:1], off
	s_movk_i32 s9, 0x7fff
	s_mov_b64 s[10:11], 0
	s_waitcnt vmcnt(0)
	v_cvt_f32_u32_e32 v2, v2
	v_bfe_u32 v3, v2, 16, 1
	v_add3_u32 v2, v2, v3, s9
	v_lshrrev_b32_e32 v8, 16, v2
	s_branch .LBB104_1441
.LBB104_1439:
	s_mov_b64 s[10:11], -1
                                        ; implicit-def: $vgpr8
	s_branch .LBB104_1444
.LBB104_1440:
	s_mov_b64 s[10:11], -1
                                        ; implicit-def: $vgpr8
.LBB104_1441:
	s_andn2_b64 vcc, exec, s[10:11]
	s_cbranch_vccnz .LBB104_1443
; %bb.1442:
	global_load_ushort v2, v[0:1], off
	s_movk_i32 s9, 0x7fff
	s_waitcnt vmcnt(0)
	v_cvt_f32_u32_e32 v2, v2
	v_bfe_u32 v3, v2, 16, 1
	v_add3_u32 v2, v2, v3, s9
	v_lshrrev_b32_e32 v8, 16, v2
.LBB104_1443:
	s_mov_b64 s[10:11], 0
.LBB104_1444:
	s_andn2_b64 vcc, exec, s[10:11]
	s_cbranch_vccnz .LBB104_1452
; %bb.1445:
	global_load_ubyte v2, v[0:1], off
	s_movk_i32 s9, 0x7f
	s_mov_b64 s[10:11], 0
	s_waitcnt vmcnt(0)
	v_cmp_lt_i16_e32 vcc, s9, v2
	s_and_saveexec_b64 s[16:17], vcc
	s_xor_b64 s[16:17], exec, s[16:17]
	s_cbranch_execz .LBB104_1466
; %bb.1446:
	s_movk_i32 s9, 0x80
	v_cmp_eq_u16_e32 vcc, s9, v2
	s_mov_b64 s[10:11], -1
	s_and_saveexec_b64 s[18:19], vcc
; %bb.1447:
	s_xor_b64 s[10:11], exec, -1
; %bb.1448:
	s_or_b64 exec, exec, s[18:19]
	s_and_b64 s[10:11], s[10:11], exec
	s_or_saveexec_b64 s[16:17], s[16:17]
	v_mov_b32_e32 v3, 0x7f800001
	s_xor_b64 exec, exec, s[16:17]
	s_cbranch_execnz .LBB104_1467
.LBB104_1449:
	s_or_b64 exec, exec, s[16:17]
	s_and_saveexec_b64 s[16:17], s[10:11]
	s_cbranch_execz .LBB104_1451
.LBB104_1450:
	v_lshlrev_b32_e32 v3, 24, v2
	v_and_b32_e32 v2, 0xffff, v2
	v_and_b32_e32 v8, 7, v2
	v_ffbh_u32_e32 v10, v8
	v_min_u32_e32 v10, 32, v10
	v_subrev_u32_e32 v11, 28, v10
	v_bfe_u32 v9, v2, 3, 4
	v_lshlrev_b32_e32 v2, v11, v2
	v_sub_u32_e32 v10, 29, v10
	v_and_b32_e32 v2, 7, v2
	v_cmp_eq_u32_e32 vcc, 0, v9
	v_and_b32_e32 v3, 0x80000000, v3
	s_nop 0
	v_cndmask_b32_e32 v9, v9, v10, vcc
	v_cndmask_b32_e32 v2, v8, v2, vcc
	v_mov_b32_e32 v8, 0x3b800000
	v_lshlrev_b32_e32 v2, 20, v2
	v_lshl_add_u32 v8, v9, 23, v8
	v_or3_b32 v3, v3, v8, v2
.LBB104_1451:
	s_or_b64 exec, exec, s[16:17]
	v_bfe_u32 v2, v3, 16, 1
	s_movk_i32 s9, 0x7fff
	v_add3_u32 v2, v3, v2, s9
	v_cmp_o_f32_e32 vcc, v3, v3
	v_mov_b32_e32 v3, 0x7fc0
	s_nop 0
	v_cndmask_b32_sdwa v8, v3, v2, vcc dst_sel:DWORD dst_unused:UNUSED_PAD src0_sel:DWORD src1_sel:WORD_1
.LBB104_1452:
	s_mov_b64 s[10:11], -1
.LBB104_1453:
	s_mov_b64 s[16:17], 0
.LBB104_1454:
	s_and_b64 vcc, exec, s[16:17]
	s_cbranch_vccz .LBB104_1487
; %bb.1455:
	s_cmp_gt_i32 s22, 22
	s_cbranch_scc0 .LBB104_1465
; %bb.1456:
	s_cmp_lt_i32 s22, 24
	s_cbranch_scc1 .LBB104_1468
; %bb.1457:
	s_cmp_gt_i32 s22, 24
	s_cbranch_scc0 .LBB104_1469
; %bb.1458:
	global_load_ubyte v2, v[0:1], off
	s_movk_i32 s6, 0x7f
	s_waitcnt vmcnt(0)
	v_cmp_lt_i16_e32 vcc, s6, v2
	s_mov_b64 s[6:7], 0
	s_and_saveexec_b64 s[10:11], vcc
	s_xor_b64 s[10:11], exec, s[10:11]
	s_cbranch_execz .LBB104_1481
; %bb.1459:
	s_movk_i32 s6, 0x80
	v_cmp_eq_u16_e32 vcc, s6, v2
	s_mov_b64 s[6:7], -1
	s_and_saveexec_b64 s[16:17], vcc
; %bb.1460:
	s_xor_b64 s[6:7], exec, -1
; %bb.1461:
	s_or_b64 exec, exec, s[16:17]
	s_and_b64 s[6:7], s[6:7], exec
	s_or_saveexec_b64 s[10:11], s[10:11]
	v_mov_b32_e32 v3, 0x7f800001
	s_xor_b64 exec, exec, s[10:11]
	s_cbranch_execnz .LBB104_1482
.LBB104_1462:
	s_or_b64 exec, exec, s[10:11]
	s_and_saveexec_b64 s[10:11], s[6:7]
	s_cbranch_execz .LBB104_1464
.LBB104_1463:
	v_lshlrev_b32_e32 v3, 24, v2
	v_and_b32_e32 v2, 0xffff, v2
	v_and_b32_e32 v8, 3, v2
	v_ffbh_u32_e32 v10, v8
	v_min_u32_e32 v10, 32, v10
	v_subrev_u32_e32 v11, 29, v10
	v_bfe_u32 v9, v2, 2, 5
	v_lshlrev_b32_e32 v2, v11, v2
	v_sub_u32_e32 v10, 30, v10
	v_and_b32_e32 v2, 3, v2
	v_cmp_eq_u32_e32 vcc, 0, v9
	v_and_b32_e32 v3, 0x80000000, v3
	s_nop 0
	v_cndmask_b32_e32 v9, v9, v10, vcc
	v_cndmask_b32_e32 v2, v8, v2, vcc
	v_mov_b32_e32 v8, 0x37800000
	v_lshlrev_b32_e32 v2, 21, v2
	v_lshl_add_u32 v8, v9, 23, v8
	v_or3_b32 v3, v3, v8, v2
.LBB104_1464:
	s_or_b64 exec, exec, s[10:11]
	v_bfe_u32 v2, v3, 16, 1
	s_movk_i32 s6, 0x7fff
	v_add3_u32 v2, v3, v2, s6
	v_cmp_o_f32_e32 vcc, v3, v3
	v_mov_b32_e32 v3, 0x7fc0
	s_mov_b64 s[6:7], 0
	v_cndmask_b32_sdwa v8, v3, v2, vcc dst_sel:DWORD dst_unused:UNUSED_PAD src0_sel:DWORD src1_sel:WORD_1
	s_branch .LBB104_1470
.LBB104_1465:
	s_mov_b64 s[6:7], -1
                                        ; implicit-def: $vgpr8
	s_branch .LBB104_1476
.LBB104_1466:
	s_or_saveexec_b64 s[16:17], s[16:17]
	v_mov_b32_e32 v3, 0x7f800001
	s_xor_b64 exec, exec, s[16:17]
	s_cbranch_execz .LBB104_1449
.LBB104_1467:
	v_cmp_ne_u16_e32 vcc, 0, v2
	s_andn2_b64 s[10:11], s[10:11], exec
	s_and_b64 s[18:19], vcc, exec
	v_mov_b32_e32 v3, 0
	s_or_b64 s[10:11], s[10:11], s[18:19]
	s_or_b64 exec, exec, s[16:17]
	s_and_saveexec_b64 s[16:17], s[10:11]
	s_cbranch_execnz .LBB104_1450
	s_branch .LBB104_1451
.LBB104_1468:
	s_mov_b64 s[6:7], -1
                                        ; implicit-def: $vgpr8
	s_branch .LBB104_1473
.LBB104_1469:
	s_mov_b64 s[6:7], -1
                                        ; implicit-def: $vgpr8
.LBB104_1470:
	s_and_b64 vcc, exec, s[6:7]
	s_cbranch_vccz .LBB104_1472
; %bb.1471:
	global_load_ubyte v2, v[0:1], off
	s_mov_b32 s6, 0x7f800000
	s_brev_b32 s7, 1
	s_movk_i32 s9, 0x7fff
	s_waitcnt vmcnt(0)
	v_lshlrev_b32_e32 v2, 24, v2
	v_and_b32_e32 v3, 0x7f000000, v2
	v_ffbh_u32_e32 v8, v3
	v_min_u32_e32 v8, 32, v8
	v_sub_u32_e64 v8, v8, 4 clamp
	v_lshlrev_b32_e32 v10, v8, v3
	v_lshlrev_b32_e32 v8, 23, v8
	v_lshrrev_b32_e32 v10, 4, v10
	v_add_u32_e32 v9, 0x1000000, v3
	v_sub_u32_e32 v8, v10, v8
	v_ashrrev_i32_e32 v9, 8, v9
	v_add_u32_e32 v8, 0x3c000000, v8
	v_and_or_b32 v8, v9, s6, v8
	v_cmp_ne_u32_e32 vcc, 0, v3
	s_nop 1
	v_cndmask_b32_e32 v3, 0, v8, vcc
	v_and_or_b32 v2, v2, s7, v3
	v_bfe_u32 v3, v3, 16, 1
	v_add3_u32 v3, v2, v3, s9
	v_cmp_o_f32_e32 vcc, v2, v2
	v_mov_b32_e32 v2, 0x7fc0
	s_nop 0
	v_cndmask_b32_sdwa v8, v2, v3, vcc dst_sel:DWORD dst_unused:UNUSED_PAD src0_sel:DWORD src1_sel:WORD_1
.LBB104_1472:
	s_mov_b64 s[6:7], 0
.LBB104_1473:
	s_andn2_b64 vcc, exec, s[6:7]
	s_cbranch_vccnz .LBB104_1475
; %bb.1474:
	global_load_ubyte v2, v[0:1], off
	s_movk_i32 s6, 0x7f00
	s_brev_b32 s7, 16
	s_brev_b32 s9, 1
	s_movk_i32 s10, 0x7fff
	s_waitcnt vmcnt(0)
	v_lshlrev_b16_e32 v3, 8, v2
	v_lshlrev_b32_e32 v2, 25, v2
	v_lshrrev_b32_e32 v8, 4, v2
	v_and_or_b32 v9, v3, s6, 0.5
	v_or_b32_e32 v8, 0x70000000, v8
	v_add_f32_e32 v9, -0.5, v9
	v_mul_f32_e32 v8, 0x7800000, v8
	v_cmp_gt_u32_e32 vcc, s7, v2
	v_bfe_i32 v3, v3, 0, 16
	s_nop 0
	v_cndmask_b32_e32 v2, v8, v9, vcc
	v_and_or_b32 v3, v3, s9, v2
	v_bfe_u32 v2, v2, 16, 1
	v_add3_u32 v2, v3, v2, s10
	v_cmp_o_f32_e32 vcc, v3, v3
	v_mov_b32_e32 v3, 0x7fc0
	s_nop 0
	v_cndmask_b32_sdwa v8, v3, v2, vcc dst_sel:DWORD dst_unused:UNUSED_PAD src0_sel:DWORD src1_sel:WORD_1
.LBB104_1475:
	s_mov_b64 s[6:7], 0
	s_mov_b64 s[10:11], -1
.LBB104_1476:
	s_andn2_b64 vcc, exec, s[6:7]
	s_mov_b64 s[6:7], 0
	s_cbranch_vccnz .LBB104_1487
; %bb.1477:
	s_cmp_gt_i32 s22, 14
	s_cbranch_scc0 .LBB104_1480
; %bb.1478:
	s_cmp_eq_u32 s22, 15
	s_cbranch_scc0 .LBB104_1483
; %bb.1479:
	global_load_ushort v8, v[0:1], off
	s_mov_b64 s[0:1], 0
	s_mov_b64 s[10:11], -1
	s_branch .LBB104_1484
.LBB104_1480:
	s_mov_b64 s[16:17], -1
                                        ; implicit-def: $vgpr8
	s_branch .LBB104_1485
.LBB104_1481:
	s_or_saveexec_b64 s[10:11], s[10:11]
	v_mov_b32_e32 v3, 0x7f800001
	s_xor_b64 exec, exec, s[10:11]
	s_cbranch_execz .LBB104_1462
.LBB104_1482:
	v_cmp_ne_u16_e32 vcc, 0, v2
	s_andn2_b64 s[6:7], s[6:7], exec
	s_and_b64 s[16:17], vcc, exec
	v_mov_b32_e32 v3, 0
	s_or_b64 s[6:7], s[6:7], s[16:17]
	s_or_b64 exec, exec, s[10:11]
	s_and_saveexec_b64 s[10:11], s[6:7]
	s_cbranch_execnz .LBB104_1463
	s_branch .LBB104_1464
.LBB104_1483:
	s_mov_b64 s[0:1], -1
                                        ; implicit-def: $vgpr8
.LBB104_1484:
	s_mov_b64 s[16:17], 0
.LBB104_1485:
	s_and_b64 vcc, exec, s[16:17]
	s_cbranch_vccz .LBB104_1487
; %bb.1486:
	s_cmp_lg_u32 s22, 11
	s_mov_b64 s[6:7], -1
	s_cselect_b64 s[0:1], -1, 0
.LBB104_1487:
	s_and_b64 vcc, exec, s[0:1]
	s_cbranch_vccnz .LBB104_2020
; %bb.1488:
	s_andn2_b64 vcc, exec, s[6:7]
	s_cbranch_vccnz .LBB104_1490
.LBB104_1489:
	global_load_ubyte v2, v[0:1], off
	s_mov_b64 s[10:11], -1
	s_waitcnt vmcnt(0)
	v_cmp_ne_u16_e32 vcc, 0, v2
	s_nop 1
	v_cndmask_b32_e64 v2, 0, 1.0, vcc
	v_lshrrev_b32_e32 v8, 16, v2
.LBB104_1490:
	s_mov_b64 s[0:1], 0
.LBB104_1491:
	s_and_b64 vcc, exec, s[0:1]
	s_cbranch_vccz .LBB104_1540
; %bb.1492:
	s_cmp_lt_i32 s22, 5
	s_cbranch_scc1 .LBB104_1497
; %bb.1493:
	s_cmp_lt_i32 s22, 8
	s_cbranch_scc1 .LBB104_1498
	;; [unrolled: 3-line block ×3, first 2 shown]
; %bb.1495:
	s_cmp_gt_i32 s22, 9
	s_cbranch_scc0 .LBB104_1500
; %bb.1496:
	global_load_dwordx2 v[2:3], v[0:1], off
	s_movk_i32 s0, 0x7fff
	s_waitcnt vmcnt(1)
	v_mov_b32_e32 v8, 0x7fc0
	s_waitcnt vmcnt(0)
	v_cvt_f32_f64_e32 v2, v[2:3]
	v_bfe_u32 v3, v2, 16, 1
	v_cmp_o_f32_e32 vcc, v2, v2
	v_add3_u32 v2, v2, v3, s0
	s_mov_b64 s[0:1], 0
	v_cndmask_b32_sdwa v8, v8, v2, vcc dst_sel:DWORD dst_unused:UNUSED_PAD src0_sel:DWORD src1_sel:WORD_1
	s_branch .LBB104_1501
.LBB104_1497:
	s_mov_b64 s[0:1], -1
                                        ; implicit-def: $vgpr8
	s_branch .LBB104_1519
.LBB104_1498:
	s_mov_b64 s[0:1], -1
                                        ; implicit-def: $vgpr8
	s_branch .LBB104_1507
.LBB104_1499:
	s_mov_b64 s[0:1], -1
                                        ; implicit-def: $vgpr8
	s_branch .LBB104_1504
.LBB104_1500:
	s_mov_b64 s[0:1], -1
                                        ; implicit-def: $vgpr8
.LBB104_1501:
	s_andn2_b64 vcc, exec, s[0:1]
	s_cbranch_vccnz .LBB104_1503
; %bb.1502:
	global_load_dword v2, v[0:1], off
	s_movk_i32 s0, 0x7fff
	v_mov_b32_e32 v3, 0x7fc0
	s_waitcnt vmcnt(0)
	v_bfe_u32 v8, v2, 16, 1
	v_cmp_o_f32_e32 vcc, v2, v2
	v_add3_u32 v2, v2, v8, s0
	s_nop 0
	v_cndmask_b32_sdwa v8, v3, v2, vcc dst_sel:DWORD dst_unused:UNUSED_PAD src0_sel:DWORD src1_sel:WORD_1
.LBB104_1503:
	s_mov_b64 s[0:1], 0
.LBB104_1504:
	s_andn2_b64 vcc, exec, s[0:1]
	s_cbranch_vccnz .LBB104_1506
; %bb.1505:
	global_load_dword v2, v[0:1], off
	s_movk_i32 s0, 0x7fff
	s_waitcnt vmcnt(1)
	v_mov_b32_e32 v8, 0x7fc0
	s_waitcnt vmcnt(0)
	v_cvt_f32_f16_e32 v3, v2
	v_cmp_o_f16_e32 vcc, v2, v2
	v_bfe_u32 v2, v3, 16, 1
	v_add3_u32 v2, v3, v2, s0
	v_cndmask_b32_sdwa v8, v8, v2, vcc dst_sel:DWORD dst_unused:UNUSED_PAD src0_sel:DWORD src1_sel:WORD_1
.LBB104_1506:
	s_mov_b64 s[0:1], 0
.LBB104_1507:
	s_andn2_b64 vcc, exec, s[0:1]
	s_cbranch_vccnz .LBB104_1518
; %bb.1508:
	s_cmp_lt_i32 s22, 6
	s_cbranch_scc1 .LBB104_1511
; %bb.1509:
	s_cmp_gt_i32 s22, 6
	s_cbranch_scc0 .LBB104_1512
; %bb.1510:
	global_load_dwordx2 v[2:3], v[0:1], off
	s_movk_i32 s0, 0x7fff
	s_waitcnt vmcnt(1)
	v_mov_b32_e32 v8, 0x7fc0
	s_waitcnt vmcnt(0)
	v_cvt_f32_f64_e32 v2, v[2:3]
	v_bfe_u32 v3, v2, 16, 1
	v_cmp_o_f32_e32 vcc, v2, v2
	v_add3_u32 v2, v2, v3, s0
	s_mov_b64 s[0:1], 0
	v_cndmask_b32_sdwa v8, v8, v2, vcc dst_sel:DWORD dst_unused:UNUSED_PAD src0_sel:DWORD src1_sel:WORD_1
	s_branch .LBB104_1513
.LBB104_1511:
	s_mov_b64 s[0:1], -1
                                        ; implicit-def: $vgpr8
	s_branch .LBB104_1516
.LBB104_1512:
	s_mov_b64 s[0:1], -1
                                        ; implicit-def: $vgpr8
.LBB104_1513:
	s_andn2_b64 vcc, exec, s[0:1]
	s_cbranch_vccnz .LBB104_1515
; %bb.1514:
	global_load_dword v2, v[0:1], off
	s_movk_i32 s0, 0x7fff
	v_mov_b32_e32 v3, 0x7fc0
	s_waitcnt vmcnt(0)
	v_bfe_u32 v8, v2, 16, 1
	v_cmp_o_f32_e32 vcc, v2, v2
	v_add3_u32 v2, v2, v8, s0
	s_nop 0
	v_cndmask_b32_sdwa v8, v3, v2, vcc dst_sel:DWORD dst_unused:UNUSED_PAD src0_sel:DWORD src1_sel:WORD_1
.LBB104_1515:
	s_mov_b64 s[0:1], 0
.LBB104_1516:
	s_andn2_b64 vcc, exec, s[0:1]
	s_cbranch_vccnz .LBB104_1518
; %bb.1517:
	global_load_ushort v2, v[0:1], off
	s_movk_i32 s0, 0x7fff
	s_waitcnt vmcnt(1)
	v_mov_b32_e32 v8, 0x7fc0
	s_waitcnt vmcnt(0)
	v_cvt_f32_f16_e32 v3, v2
	v_cmp_o_f16_e32 vcc, v2, v2
	v_bfe_u32 v2, v3, 16, 1
	v_add3_u32 v2, v3, v2, s0
	v_cndmask_b32_sdwa v8, v8, v2, vcc dst_sel:DWORD dst_unused:UNUSED_PAD src0_sel:DWORD src1_sel:WORD_1
.LBB104_1518:
	s_mov_b64 s[0:1], 0
.LBB104_1519:
	s_andn2_b64 vcc, exec, s[0:1]
	s_cbranch_vccnz .LBB104_1539
; %bb.1520:
	s_cmp_lt_i32 s22, 2
	s_cbranch_scc1 .LBB104_1524
; %bb.1521:
	s_cmp_lt_i32 s22, 3
	s_cbranch_scc1 .LBB104_1525
; %bb.1522:
	s_cmp_gt_i32 s22, 3
	s_cbranch_scc0 .LBB104_1526
; %bb.1523:
	global_load_dwordx2 v[2:3], v[0:1], off
	s_movk_i32 s0, 0x7fff
	s_waitcnt vmcnt(0)
	v_xor_b32_e32 v9, v2, v3
	v_ffbh_i32_e32 v8, v3
	v_ashrrev_i32_e32 v9, 31, v9
	v_add_u32_e32 v8, -1, v8
	v_add_u32_e32 v9, 32, v9
	v_min_u32_e32 v8, v8, v9
	v_lshlrev_b64 v[2:3], v8, v[2:3]
	v_min_u32_e32 v2, 1, v2
	v_or_b32_e32 v2, v3, v2
	v_cvt_f32_i32_e32 v2, v2
	v_sub_u32_e32 v3, 32, v8
	v_ldexp_f32 v2, v2, v3
	v_bfe_u32 v3, v2, 16, 1
	v_add3_u32 v2, v2, v3, s0
	v_lshrrev_b32_e32 v8, 16, v2
	s_mov_b64 s[0:1], 0
	s_branch .LBB104_1527
.LBB104_1524:
	s_mov_b64 s[0:1], -1
                                        ; implicit-def: $vgpr8
	s_branch .LBB104_1533
.LBB104_1525:
	s_mov_b64 s[0:1], -1
                                        ; implicit-def: $vgpr8
	s_branch .LBB104_1530
.LBB104_1526:
	s_mov_b64 s[0:1], -1
                                        ; implicit-def: $vgpr8
.LBB104_1527:
	s_andn2_b64 vcc, exec, s[0:1]
	s_cbranch_vccnz .LBB104_1529
; %bb.1528:
	global_load_dword v2, v[0:1], off
	s_movk_i32 s0, 0x7fff
	s_waitcnt vmcnt(0)
	v_cvt_f32_i32_e32 v2, v2
	v_bfe_u32 v3, v2, 16, 1
	v_add3_u32 v2, v2, v3, s0
	v_lshrrev_b32_e32 v8, 16, v2
.LBB104_1529:
	s_mov_b64 s[0:1], 0
.LBB104_1530:
	s_andn2_b64 vcc, exec, s[0:1]
	s_cbranch_vccnz .LBB104_1532
; %bb.1531:
	global_load_sshort v2, v[0:1], off
	s_movk_i32 s0, 0x7fff
	s_waitcnt vmcnt(0)
	v_cvt_f32_i32_e32 v2, v2
	v_bfe_u32 v3, v2, 16, 1
	v_add3_u32 v2, v2, v3, s0
	v_lshrrev_b32_e32 v8, 16, v2
.LBB104_1532:
	s_mov_b64 s[0:1], 0
.LBB104_1533:
	s_andn2_b64 vcc, exec, s[0:1]
	s_cbranch_vccnz .LBB104_1539
; %bb.1534:
	s_cmp_gt_i32 s22, 0
	s_cbranch_scc0 .LBB104_1536
; %bb.1535:
	global_load_sbyte v2, v[0:1], off
	s_movk_i32 s0, 0x7fff
	s_waitcnt vmcnt(0)
	v_cvt_f32_i32_e32 v2, v2
	v_bfe_u32 v3, v2, 16, 1
	v_add3_u32 v2, v2, v3, s0
	v_lshrrev_b32_e32 v8, 16, v2
	s_mov_b64 s[0:1], 0
	s_branch .LBB104_1537
.LBB104_1536:
	s_mov_b64 s[0:1], -1
                                        ; implicit-def: $vgpr8
.LBB104_1537:
	s_andn2_b64 vcc, exec, s[0:1]
	s_cbranch_vccnz .LBB104_1539
; %bb.1538:
	global_load_ubyte v0, v[0:1], off
	s_movk_i32 s0, 0x7fff
	s_waitcnt vmcnt(0)
	v_cvt_f32_ubyte0_e32 v0, v0
	v_bfe_u32 v1, v0, 16, 1
	v_add3_u32 v0, v0, v1, s0
	v_lshrrev_b32_e32 v8, 16, v0
.LBB104_1539:
	s_mov_b64 s[10:11], -1
.LBB104_1540:
	s_andn2_b64 vcc, exec, s[10:11]
	s_cbranch_vccnz .LBB104_1974
; %bb.1541:
	s_waitcnt vmcnt(0)
	v_lshlrev_b32_e32 v0, 16, v5
	v_mul_f32_e32 v1, 0x3fb8aa3b, v0
	s_mov_b32 s0, 0x3fb8aa3b
	v_rndne_f32_e32 v2, v1
	v_sub_f32_e32 v3, v1, v2
	v_fma_f32 v1, v0, s0, -v1
	v_fmamk_f32 v1, v0, 0x32a5705f, v1
	v_add_f32_e32 v1, v3, v1
	v_exp_f32_e32 v1, v1
	v_cvt_i32_f32_e32 v2, v2
	s_mov_b32 s0, 0xc2ce8ed0
	v_cmp_ngt_f32_e32 vcc, s0, v0
	s_mov_b32 s0, 0x42b17218
	v_ldexp_f32 v1, v1, v2
	v_cndmask_b32_e32 v1, 0, v1, vcc
	v_mov_b32_e32 v2, 0x7f800000
	v_cmp_nlt_f32_e32 vcc, s0, v0
	s_movk_i32 s0, 0x7fff
	s_and_b32 s20, s33, 0xff
	v_cndmask_b32_e32 v0, v2, v1, vcc
	v_bfe_u32 v1, v0, 16, 1
	v_add3_u32 v1, v0, v1, s0
	v_cmp_o_f32_e32 vcc, v0, v0
	v_mov_b32_e32 v0, 0x7fc0
	s_cmp_lt_i32 s20, 11
	v_cndmask_b32_sdwa v5, v0, v1, vcc dst_sel:DWORD dst_unused:UNUSED_PAD src0_sel:DWORD src1_sel:WORD_1
	v_mul_lo_u32 v0, s8, v4
	v_ashrrev_i32_e32 v1, 31, v0
	v_lshl_add_u64 v[2:3], s[4:5], 0, v[0:1]
	s_cbranch_scc1 .LBB104_1619
; %bb.1542:
	s_and_b32 s9, 0xffff, s20
	s_mov_b64 s[16:17], -1
	s_mov_b64 s[6:7], 0
	s_cmp_gt_i32 s9, 25
	s_mov_b64 s[10:11], 0
	s_mov_b64 s[0:1], 0
	s_cbranch_scc0 .LBB104_1575
; %bb.1543:
	s_cmp_gt_i32 s9, 28
	s_cbranch_scc0 .LBB104_1558
; %bb.1544:
	s_cmp_gt_i32 s9, 43
	s_cbranch_scc0 .LBB104_1554
; %bb.1545:
	s_cmp_gt_i32 s9, 45
	s_cbranch_scc0 .LBB104_1548
; %bb.1546:
	s_mov_b64 s[0:1], -1
	s_mov_b64 s[16:17], 0
	s_cmp_eq_u32 s9, 46
	s_cbranch_scc0 .LBB104_1548
; %bb.1547:
	v_and_b32_e32 v1, 0xffff, v5
	global_store_dword v[2:3], v1, off
	s_mov_b64 s[0:1], 0
	s_mov_b64 s[10:11], -1
.LBB104_1548:
	s_and_b64 vcc, exec, s[16:17]
	s_cbranch_vccz .LBB104_1553
; %bb.1549:
	s_cmp_eq_u32 s9, 44
	s_mov_b64 s[0:1], -1
	s_cbranch_scc0 .LBB104_1553
; %bb.1550:
	v_and_b32_e32 v4, 0xffff, v5
	v_bfe_u32 v1, v4, 7, 8
	s_movk_i32 s0, 0xff
	v_cmp_ne_u32_e32 vcc, s0, v1
	v_mov_b32_e32 v9, 0xff
	s_and_saveexec_b64 s[10:11], vcc
	s_cbranch_execz .LBB104_1552
; %bb.1551:
	v_lshlrev_b32_e32 v10, 16, v4
	s_mov_b32 s0, 0x3f0000
	v_lshrrev_b32_e32 v9, 7, v4
	v_and_b32_e32 v4, 64, v4
	v_and_or_b32 v1, v10, s0, v1
	v_cmp_ne_u32_e32 vcc, 0, v4
	v_cmp_ne_u32_e64 s[0:1], 0, v1
	s_and_b64 s[0:1], vcc, s[0:1]
	s_nop 0
	v_cndmask_b32_e64 v1, 0, 1, s[0:1]
	v_add_u32_e32 v9, v9, v1
.LBB104_1552:
	s_or_b64 exec, exec, s[10:11]
	s_mov_b64 s[0:1], 0
	s_mov_b64 s[10:11], -1
	global_store_byte v[2:3], v9, off
.LBB104_1553:
	s_mov_b64 s[16:17], 0
.LBB104_1554:
	s_and_b64 vcc, exec, s[16:17]
	s_cbranch_vccz .LBB104_1557
; %bb.1555:
	s_cmp_eq_u32 s9, 29
	s_mov_b64 s[0:1], -1
	s_cbranch_scc0 .LBB104_1557
; %bb.1556:
	v_lshlrev_b32_e32 v1, 16, v5
	v_trunc_f32_e32 v1, v1
	v_mul_f32_e32 v4, 0x2f800000, v1
	v_floor_f32_e32 v4, v4
	v_fmamk_f32 v1, v4, 0xcf800000, v1
	v_cvt_u32_f32_e32 v11, v4
	v_cvt_u32_f32_e32 v10, v1
	s_mov_b64 s[0:1], 0
	s_mov_b64 s[10:11], -1
	global_store_dwordx2 v[2:3], v[10:11], off
.LBB104_1557:
	s_mov_b64 s[16:17], 0
.LBB104_1558:
	s_and_b64 vcc, exec, s[16:17]
	s_cbranch_vccz .LBB104_1574
; %bb.1559:
	s_cmp_lt_i32 s9, 27
	s_mov_b64 s[10:11], -1
	s_cbranch_scc1 .LBB104_1565
; %bb.1560:
	s_cmp_gt_i32 s9, 27
	s_cbranch_scc0 .LBB104_1562
; %bb.1561:
	v_lshlrev_b32_e32 v1, 16, v5
	v_cvt_u32_f32_e32 v1, v1
	s_mov_b64 s[10:11], 0
	global_store_dword v[2:3], v1, off
.LBB104_1562:
	s_andn2_b64 vcc, exec, s[10:11]
	s_cbranch_vccnz .LBB104_1564
; %bb.1563:
	v_lshlrev_b32_e32 v1, 16, v5
	v_cvt_u32_f32_e32 v1, v1
	global_store_short v[2:3], v1, off
.LBB104_1564:
	s_mov_b64 s[10:11], 0
.LBB104_1565:
	s_andn2_b64 vcc, exec, s[10:11]
	s_cbranch_vccnz .LBB104_1573
; %bb.1566:
	v_lshlrev_b32_e32 v9, 16, v5
	v_and_b32_e32 v4, 0x7fffffff, v9
	s_mov_b32 s10, 0x43800000
	v_cmp_gt_u32_e32 vcc, s10, v4
	v_mov_b32_e32 v10, 0x80
	s_and_saveexec_b64 s[10:11], vcc
	s_cbranch_execz .LBB104_1572
; %bb.1567:
	s_mov_b32 s16, 0x3bffffff
	v_and_b32_e32 v1, 0xffff, v5
	v_cmp_lt_u32_e32 vcc, s16, v4
	s_mov_b64 s[16:17], 0
                                        ; implicit-def: $vgpr4
	s_and_saveexec_b64 s[18:19], vcc
	s_xor_b64 s[18:19], exec, s[18:19]
	s_cbranch_execz .LBB104_2021
; %bb.1568:
	v_bfe_u32 v4, v1, 4, 1
	s_mov_b32 s21, 0x487ffff
	v_add3_u32 v4, v9, v4, s21
	s_mov_b64 s[16:17], exec
	v_lshrrev_b32_e32 v4, 20, v4
                                        ; implicit-def: $vgpr9
	s_andn2_saveexec_b64 s[18:19], s[18:19]
	s_cbranch_execnz .LBB104_2022
.LBB104_1569:
	s_or_b64 exec, exec, s[18:19]
	v_mov_b32_e32 v10, 0
	s_and_saveexec_b64 s[18:19], s[16:17]
.LBB104_1570:
	v_lshrrev_b32_e32 v1, 8, v1
	s_movk_i32 s16, 0x80
	v_and_or_b32 v10, v1, s16, v4
.LBB104_1571:
	s_or_b64 exec, exec, s[18:19]
.LBB104_1572:
	s_or_b64 exec, exec, s[10:11]
	global_store_byte v[2:3], v10, off
.LBB104_1573:
	s_mov_b64 s[10:11], -1
.LBB104_1574:
	s_mov_b64 s[16:17], 0
.LBB104_1575:
	s_and_b64 vcc, exec, s[16:17]
	s_cbranch_vccz .LBB104_1615
; %bb.1576:
	s_cmp_gt_i32 s9, 22
	s_mov_b64 s[6:7], -1
	s_cbranch_scc0 .LBB104_1608
; %bb.1577:
	s_cmp_lt_i32 s9, 24
	s_cbranch_scc1 .LBB104_1597
; %bb.1578:
	s_cmp_gt_i32 s9, 24
	s_cbranch_scc0 .LBB104_1586
; %bb.1579:
	v_lshlrev_b32_e32 v9, 16, v5
	v_and_b32_e32 v4, 0x7fffffff, v9
	s_mov_b32 s6, 0x47800000
	v_cmp_gt_u32_e32 vcc, s6, v4
	v_mov_b32_e32 v10, 0x80
	s_and_saveexec_b64 s[6:7], vcc
	s_cbranch_execz .LBB104_1585
; %bb.1580:
	s_mov_b32 s10, 0x37ffffff
	v_and_b32_e32 v1, 0xffff, v5
	v_cmp_lt_u32_e32 vcc, s10, v4
	s_mov_b64 s[10:11], 0
                                        ; implicit-def: $vgpr4
	s_and_saveexec_b64 s[16:17], vcc
	s_xor_b64 s[16:17], exec, s[16:17]
	s_cbranch_execz .LBB104_2024
; %bb.1581:
	v_bfe_u32 v4, v1, 5, 1
	s_mov_b32 s18, 0x88fffff
	v_add3_u32 v4, v9, v4, s18
	s_mov_b64 s[10:11], exec
	v_lshrrev_b32_e32 v4, 21, v4
                                        ; implicit-def: $vgpr9
	s_andn2_saveexec_b64 s[16:17], s[16:17]
	s_cbranch_execnz .LBB104_2025
.LBB104_1582:
	s_or_b64 exec, exec, s[16:17]
	v_mov_b32_e32 v10, 0
	s_and_saveexec_b64 s[16:17], s[10:11]
.LBB104_1583:
	v_lshrrev_b32_e32 v1, 8, v1
	s_movk_i32 s10, 0x80
	v_and_or_b32 v10, v1, s10, v4
.LBB104_1584:
	s_or_b64 exec, exec, s[16:17]
.LBB104_1585:
	s_or_b64 exec, exec, s[6:7]
	s_mov_b64 s[6:7], 0
	global_store_byte v[2:3], v10, off
.LBB104_1586:
	s_and_b64 vcc, exec, s[6:7]
	s_cbranch_vccz .LBB104_1596
; %bb.1587:
	v_lshlrev_b32_e32 v9, 16, v5
	v_and_b32_e32 v10, 0x7fffffff, v9
	s_mov_b32 s6, 0x43f00000
	v_and_b32_e32 v1, 0xffff, v5
	v_cmp_gt_u32_e32 vcc, s6, v10
                                        ; implicit-def: $vgpr4
	s_and_saveexec_b64 s[6:7], vcc
	s_xor_b64 s[6:7], exec, s[6:7]
	s_cbranch_execz .LBB104_1593
; %bb.1588:
	s_mov_b32 s10, 0x3c7fffff
	v_cmp_lt_u32_e32 vcc, s10, v10
                                        ; implicit-def: $vgpr4
	s_and_saveexec_b64 s[10:11], vcc
	s_xor_b64 s[10:11], exec, s[10:11]
; %bb.1589:
	v_bfe_u32 v4, v1, 4, 1
	s_mov_b32 s16, 0x407ffff
	v_add3_u32 v4, v9, v4, s16
	v_lshrrev_b32_e32 v9, 20, v4
	v_and_b32_e32 v4, 0xff00000, v4
	s_mov_b32 s16, 0x7f00000
	v_mov_b32_e32 v10, 0x7e
	v_cmp_ne_u32_e32 vcc, s16, v4
	s_nop 1
	v_cndmask_b32_e32 v4, v10, v9, vcc
                                        ; implicit-def: $vgpr9
; %bb.1590:
	s_andn2_saveexec_b64 s[10:11], s[10:11]
; %bb.1591:
	s_mov_b32 s16, 0x46800000
	v_add_f32_e64 v4, |v9|, s16
; %bb.1592:
	s_or_b64 exec, exec, s[10:11]
                                        ; implicit-def: $vgpr10
.LBB104_1593:
	s_andn2_saveexec_b64 s[6:7], s[6:7]
; %bb.1594:
	s_mov_b32 s10, 0x7f800000
	v_mov_b32_e32 v4, 0x7e
	v_mov_b32_e32 v9, 0x7f
	v_cmp_lt_u32_e32 vcc, s10, v10
	s_nop 1
	v_cndmask_b32_e32 v4, v4, v9, vcc
; %bb.1595:
	s_or_b64 exec, exec, s[6:7]
	v_lshrrev_b32_e32 v1, 8, v1
	s_movk_i32 s6, 0x80
	v_and_or_b32 v1, v1, s6, v4
	global_store_byte v[2:3], v1, off
.LBB104_1596:
	s_mov_b64 s[6:7], 0
.LBB104_1597:
	s_andn2_b64 vcc, exec, s[6:7]
	s_cbranch_vccnz .LBB104_1607
; %bb.1598:
	v_lshlrev_b32_e32 v9, 16, v5
	v_and_b32_e32 v10, 0x7fffffff, v9
	s_mov_b32 s6, 0x47800000
	v_and_b32_e32 v1, 0xffff, v5
	v_cmp_gt_u32_e32 vcc, s6, v10
                                        ; implicit-def: $vgpr4
	s_and_saveexec_b64 s[6:7], vcc
	s_xor_b64 s[6:7], exec, s[6:7]
	s_cbranch_execz .LBB104_1604
; %bb.1599:
	s_mov_b32 s10, 0x387fffff
	v_cmp_lt_u32_e32 vcc, s10, v10
                                        ; implicit-def: $vgpr4
	s_and_saveexec_b64 s[10:11], vcc
	s_xor_b64 s[10:11], exec, s[10:11]
; %bb.1600:
	v_bfe_u32 v4, v1, 5, 1
	s_mov_b32 s16, 0x80fffff
	v_add3_u32 v4, v9, v4, s16
	v_lshrrev_b32_e32 v4, 21, v4
                                        ; implicit-def: $vgpr9
; %bb.1601:
	s_andn2_saveexec_b64 s[10:11], s[10:11]
; %bb.1602:
	s_mov_b32 s16, 0x43000000
	v_add_f32_e64 v4, |v9|, s16
; %bb.1603:
	s_or_b64 exec, exec, s[10:11]
                                        ; implicit-def: $vgpr10
.LBB104_1604:
	s_andn2_saveexec_b64 s[6:7], s[6:7]
; %bb.1605:
	s_mov_b32 s10, 0x7f800000
	v_mov_b32_e32 v4, 0x7c
	v_mov_b32_e32 v9, 0x7f
	v_cmp_lt_u32_e32 vcc, s10, v10
	s_nop 1
	v_cndmask_b32_e32 v4, v4, v9, vcc
; %bb.1606:
	s_or_b64 exec, exec, s[6:7]
	v_lshrrev_b32_e32 v1, 8, v1
	s_movk_i32 s6, 0x80
	v_and_or_b32 v1, v1, s6, v4
	global_store_byte v[2:3], v1, off
.LBB104_1607:
	s_mov_b64 s[6:7], 0
	s_mov_b64 s[10:11], -1
.LBB104_1608:
	s_andn2_b64 vcc, exec, s[6:7]
	s_mov_b64 s[6:7], 0
	s_cbranch_vccnz .LBB104_1615
; %bb.1609:
	s_cmp_gt_i32 s9, 14
	s_mov_b64 s[16:17], -1
	s_cbranch_scc0 .LBB104_1613
; %bb.1610:
	s_cmp_eq_u32 s9, 15
	s_mov_b64 s[0:1], -1
	s_cbranch_scc0 .LBB104_1612
; %bb.1611:
	global_store_short v[2:3], v5, off
	s_mov_b64 s[0:1], 0
	s_mov_b64 s[10:11], -1
.LBB104_1612:
	s_mov_b64 s[16:17], 0
.LBB104_1613:
	s_and_b64 vcc, exec, s[16:17]
	s_cbranch_vccz .LBB104_1615
; %bb.1614:
	s_cmp_lg_u32 s9, 11
	s_mov_b64 s[6:7], -1
	s_cselect_b64 s[0:1], -1, 0
.LBB104_1615:
	s_and_b64 vcc, exec, s[0:1]
	s_cbranch_vccnz .LBB104_2023
; %bb.1616:
	s_andn2_b64 vcc, exec, s[6:7]
	s_cbranch_vccnz .LBB104_1618
.LBB104_1617:
	v_and_b32_e32 v1, 0x7fff, v5
	v_cmp_ne_u16_e32 vcc, 0, v1
	s_mov_b64 s[10:11], -1
	s_nop 0
	v_cndmask_b32_e64 v1, 0, 1, vcc
	global_store_byte v[2:3], v1, off
.LBB104_1618:
	s_mov_b64 s[0:1], 0
	s_branch .LBB104_1620
.LBB104_1619:
	s_mov_b64 s[0:1], -1
	s_mov_b64 s[10:11], 0
.LBB104_1620:
	s_and_b64 vcc, exec, s[0:1]
	s_cbranch_vccz .LBB104_1659
; %bb.1621:
	s_and_b32 s6, 0xffff, s20
	s_cmp_lt_i32 s6, 5
	s_mov_b64 s[0:1], -1
	s_cbranch_scc1 .LBB104_1642
; %bb.1622:
	s_cmp_lt_i32 s6, 8
	s_cbranch_scc1 .LBB104_1632
; %bb.1623:
	s_cmp_lt_i32 s6, 9
	s_cbranch_scc1 .LBB104_1629
; %bb.1624:
	s_cmp_gt_i32 s6, 9
	s_cbranch_scc0 .LBB104_1626
; %bb.1625:
	v_lshlrev_b32_e32 v1, 16, v5
	v_mov_b32_e32 v12, 0
	v_cvt_f64_f32_e32 v[10:11], v1
	v_mov_b32_e32 v13, v12
	global_store_dwordx4 v[2:3], v[10:13], off
	s_mov_b64 s[0:1], 0
.LBB104_1626:
	s_andn2_b64 vcc, exec, s[0:1]
	s_cbranch_vccnz .LBB104_1628
; %bb.1627:
	v_lshlrev_b32_e32 v10, 16, v5
	v_mov_b32_e32 v11, 0
	global_store_dwordx2 v[2:3], v[10:11], off
.LBB104_1628:
	s_mov_b64 s[0:1], 0
.LBB104_1629:
	s_andn2_b64 vcc, exec, s[0:1]
	s_cbranch_vccnz .LBB104_1631
; %bb.1630:
	v_lshlrev_b32_e32 v1, 16, v5
	v_cvt_f16_f32_e32 v1, v1
	global_store_dword v[2:3], v1, off
.LBB104_1631:
	s_mov_b64 s[0:1], 0
.LBB104_1632:
	s_andn2_b64 vcc, exec, s[0:1]
	s_cbranch_vccnz .LBB104_1641
; %bb.1633:
	s_cmp_lt_i32 s6, 6
	s_mov_b64 s[0:1], -1
	s_cbranch_scc1 .LBB104_1639
; %bb.1634:
	s_cmp_gt_i32 s6, 6
	s_cbranch_scc0 .LBB104_1636
; %bb.1635:
	v_lshlrev_b32_e32 v1, 16, v5
	v_cvt_f64_f32_e32 v[10:11], v1
	global_store_dwordx2 v[2:3], v[10:11], off
	s_mov_b64 s[0:1], 0
.LBB104_1636:
	s_andn2_b64 vcc, exec, s[0:1]
	s_cbranch_vccnz .LBB104_1638
; %bb.1637:
	v_lshlrev_b32_e32 v1, 16, v5
	global_store_dword v[2:3], v1, off
.LBB104_1638:
	s_mov_b64 s[0:1], 0
.LBB104_1639:
	s_andn2_b64 vcc, exec, s[0:1]
	s_cbranch_vccnz .LBB104_1641
; %bb.1640:
	v_lshlrev_b32_e32 v1, 16, v5
	v_cvt_f16_f32_e32 v1, v1
	global_store_short v[2:3], v1, off
.LBB104_1641:
	s_mov_b64 s[0:1], 0
.LBB104_1642:
	s_andn2_b64 vcc, exec, s[0:1]
	s_cbranch_vccnz .LBB104_1658
; %bb.1643:
	s_cmp_lt_i32 s6, 2
	s_mov_b64 s[0:1], -1
	s_cbranch_scc1 .LBB104_1653
; %bb.1644:
	s_cmp_lt_i32 s6, 3
	s_cbranch_scc1 .LBB104_1650
; %bb.1645:
	s_cmp_gt_i32 s6, 3
	s_cbranch_scc0 .LBB104_1647
; %bb.1646:
	v_lshlrev_b32_e32 v1, 16, v5
	v_trunc_f32_e32 v1, v1
	s_mov_b32 s0, 0x2f800000
	v_mul_f32_e64 v4, |v1|, s0
	v_floor_f32_e32 v4, v4
	s_mov_b32 s0, 0xcf800000
	v_cvt_u32_f32_e32 v9, v4
	v_fma_f32 v4, v4, s0, |v1|
	v_cvt_u32_f32_e32 v4, v4
	v_ashrrev_i32_e32 v1, 31, v1
	v_xor_b32_e32 v9, v9, v1
	s_mov_b64 s[0:1], 0
	v_xor_b32_e32 v4, v4, v1
	v_sub_co_u32_e32 v10, vcc, v4, v1
	s_nop 1
	v_subb_co_u32_e32 v11, vcc, v9, v1, vcc
	global_store_dwordx2 v[2:3], v[10:11], off
.LBB104_1647:
	s_andn2_b64 vcc, exec, s[0:1]
	s_cbranch_vccnz .LBB104_1649
; %bb.1648:
	v_lshlrev_b32_e32 v1, 16, v5
	v_cvt_i32_f32_e32 v1, v1
	global_store_dword v[2:3], v1, off
.LBB104_1649:
	s_mov_b64 s[0:1], 0
.LBB104_1650:
	s_andn2_b64 vcc, exec, s[0:1]
	s_cbranch_vccnz .LBB104_1652
; %bb.1651:
	v_lshlrev_b32_e32 v1, 16, v5
	v_cvt_i32_f32_e32 v1, v1
	global_store_short v[2:3], v1, off
.LBB104_1652:
	s_mov_b64 s[0:1], 0
.LBB104_1653:
	s_andn2_b64 vcc, exec, s[0:1]
	s_cbranch_vccnz .LBB104_1658
; %bb.1654:
	s_mov_b64 s[0:1], -1
	s_cmp_gt_i32 s6, 0
	v_lshlrev_b32_e32 v1, 16, v5
	s_cbranch_scc0 .LBB104_1656
; %bb.1655:
	v_cvt_i32_f32_e32 v4, v1
	s_mov_b64 s[0:1], 0
	global_store_byte v[2:3], v4, off
.LBB104_1656:
	s_andn2_b64 vcc, exec, s[0:1]
	s_cbranch_vccnz .LBB104_1658
; %bb.1657:
	v_trunc_f32_e32 v1, v1
	s_mov_b32 s0, 0x2f800000
	v_mul_f32_e64 v4, |v1|, s0
	v_floor_f32_e32 v4, v4
	s_mov_b32 s0, 0xcf800000
	v_fma_f32 v4, v4, s0, |v1|
	v_cvt_u32_f32_e32 v4, v4
	v_ashrrev_i32_e32 v1, 31, v1
	v_xor_b32_e32 v4, v4, v1
	v_sub_u32_e32 v1, v4, v1
	global_store_byte v[2:3], v1, off
.LBB104_1658:
	s_mov_b64 s[10:11], -1
.LBB104_1659:
	s_andn2_b64 vcc, exec, s[10:11]
	s_cbranch_vccnz .LBB104_1974
; %bb.1660:
	v_lshlrev_b32_e32 v1, 16, v6
	v_mul_f32_e32 v2, 0x3fb8aa3b, v1
	s_mov_b32 s0, 0x3fb8aa3b
	v_rndne_f32_e32 v3, v2
	v_sub_f32_e32 v4, v2, v3
	v_fma_f32 v2, v1, s0, -v2
	v_fmamk_f32 v2, v1, 0x32a5705f, v2
	v_add_f32_e32 v2, v4, v2
	v_exp_f32_e32 v2, v2
	v_cvt_i32_f32_e32 v3, v3
	s_mov_b32 s0, 0xc2ce8ed0
	v_cmp_ngt_f32_e32 vcc, s0, v1
	s_mov_b32 s0, 0x42b17218
	v_ldexp_f32 v2, v2, v3
	v_cndmask_b32_e32 v2, 0, v2, vcc
	v_mov_b32_e32 v3, 0x7f800000
	v_cmp_nlt_f32_e32 vcc, s0, v1
	s_movk_i32 s0, 0x7fff
	s_lshl_b32 s18, s8, 7
	v_cndmask_b32_e32 v1, v3, v2, vcc
	v_bfe_u32 v2, v1, 16, 1
	v_add3_u32 v2, v1, v2, s0
	v_cmp_o_f32_e32 vcc, v1, v1
	v_mov_b32_e32 v1, 0x7fc0
	v_add_u32_e32 v0, s18, v0
	v_cndmask_b32_sdwa v4, v1, v2, vcc dst_sel:DWORD dst_unused:UNUSED_PAD src0_sel:DWORD src1_sel:WORD_1
	v_ashrrev_i32_e32 v1, 31, v0
	s_cmp_lt_i32 s20, 11
	v_lshl_add_u64 v[2:3], s[4:5], 0, v[0:1]
	s_cbranch_scc1 .LBB104_1738
; %bb.1661:
	s_and_b32 s19, 0xffff, s20
	s_mov_b64 s[10:11], -1
	s_mov_b64 s[6:7], 0
	s_cmp_gt_i32 s19, 25
	s_mov_b64 s[8:9], 0
	s_mov_b64 s[0:1], 0
	s_cbranch_scc0 .LBB104_1694
; %bb.1662:
	s_cmp_gt_i32 s19, 28
	s_cbranch_scc0 .LBB104_1677
; %bb.1663:
	s_cmp_gt_i32 s19, 43
	;; [unrolled: 3-line block ×3, first 2 shown]
	s_cbranch_scc0 .LBB104_1667
; %bb.1665:
	s_mov_b64 s[0:1], -1
	s_mov_b64 s[10:11], 0
	s_cmp_eq_u32 s19, 46
	s_cbranch_scc0 .LBB104_1667
; %bb.1666:
	v_and_b32_e32 v1, 0xffff, v4
	global_store_dword v[2:3], v1, off
	s_mov_b64 s[0:1], 0
	s_mov_b64 s[8:9], -1
.LBB104_1667:
	s_and_b64 vcc, exec, s[10:11]
	s_cbranch_vccz .LBB104_1672
; %bb.1668:
	s_cmp_eq_u32 s19, 44
	s_mov_b64 s[0:1], -1
	s_cbranch_scc0 .LBB104_1672
; %bb.1669:
	v_and_b32_e32 v5, 0xffff, v4
	v_bfe_u32 v1, v5, 7, 8
	s_movk_i32 s0, 0xff
	v_cmp_ne_u32_e32 vcc, s0, v1
	v_mov_b32_e32 v6, 0xff
	s_and_saveexec_b64 s[8:9], vcc
	s_cbranch_execz .LBB104_1671
; %bb.1670:
	v_lshlrev_b32_e32 v9, 16, v5
	s_mov_b32 s0, 0x3f0000
	v_lshrrev_b32_e32 v6, 7, v5
	v_and_b32_e32 v5, 64, v5
	v_and_or_b32 v1, v9, s0, v1
	v_cmp_ne_u32_e32 vcc, 0, v5
	v_cmp_ne_u32_e64 s[0:1], 0, v1
	s_and_b64 s[0:1], vcc, s[0:1]
	s_nop 0
	v_cndmask_b32_e64 v1, 0, 1, s[0:1]
	v_add_u32_e32 v6, v6, v1
.LBB104_1671:
	s_or_b64 exec, exec, s[8:9]
	s_mov_b64 s[0:1], 0
	s_mov_b64 s[8:9], -1
	global_store_byte v[2:3], v6, off
.LBB104_1672:
	s_mov_b64 s[10:11], 0
.LBB104_1673:
	s_and_b64 vcc, exec, s[10:11]
	s_cbranch_vccz .LBB104_1676
; %bb.1674:
	s_cmp_eq_u32 s19, 29
	s_mov_b64 s[0:1], -1
	s_cbranch_scc0 .LBB104_1676
; %bb.1675:
	v_lshlrev_b32_e32 v1, 16, v4
	v_trunc_f32_e32 v1, v1
	v_mul_f32_e32 v5, 0x2f800000, v1
	v_floor_f32_e32 v5, v5
	v_fmamk_f32 v1, v5, 0xcf800000, v1
	v_cvt_u32_f32_e32 v11, v5
	v_cvt_u32_f32_e32 v10, v1
	s_mov_b64 s[0:1], 0
	s_mov_b64 s[8:9], -1
	global_store_dwordx2 v[2:3], v[10:11], off
.LBB104_1676:
	s_mov_b64 s[10:11], 0
.LBB104_1677:
	s_and_b64 vcc, exec, s[10:11]
	s_cbranch_vccz .LBB104_1693
; %bb.1678:
	s_cmp_lt_i32 s19, 27
	s_mov_b64 s[8:9], -1
	s_cbranch_scc1 .LBB104_1684
; %bb.1679:
	s_cmp_gt_i32 s19, 27
	s_cbranch_scc0 .LBB104_1681
; %bb.1680:
	v_lshlrev_b32_e32 v1, 16, v4
	v_cvt_u32_f32_e32 v1, v1
	s_mov_b64 s[8:9], 0
	global_store_dword v[2:3], v1, off
.LBB104_1681:
	s_andn2_b64 vcc, exec, s[8:9]
	s_cbranch_vccnz .LBB104_1683
; %bb.1682:
	v_lshlrev_b32_e32 v1, 16, v4
	v_cvt_u32_f32_e32 v1, v1
	global_store_short v[2:3], v1, off
.LBB104_1683:
	s_mov_b64 s[8:9], 0
.LBB104_1684:
	s_andn2_b64 vcc, exec, s[8:9]
	s_cbranch_vccnz .LBB104_1692
; %bb.1685:
	v_lshlrev_b32_e32 v6, 16, v4
	v_and_b32_e32 v5, 0x7fffffff, v6
	s_mov_b32 s8, 0x43800000
	v_cmp_gt_u32_e32 vcc, s8, v5
	v_mov_b32_e32 v9, 0x80
	s_and_saveexec_b64 s[8:9], vcc
	s_cbranch_execz .LBB104_1691
; %bb.1686:
	s_mov_b32 s10, 0x3bffffff
	v_and_b32_e32 v1, 0xffff, v4
	v_cmp_lt_u32_e32 vcc, s10, v5
	s_mov_b64 s[10:11], 0
                                        ; implicit-def: $vgpr5
	s_and_saveexec_b64 s[16:17], vcc
	s_xor_b64 s[16:17], exec, s[16:17]
	s_cbranch_execz .LBB104_2026
; %bb.1687:
	v_bfe_u32 v5, v1, 4, 1
	s_mov_b32 s21, 0x487ffff
	v_add3_u32 v5, v6, v5, s21
	s_mov_b64 s[10:11], exec
	v_lshrrev_b32_e32 v5, 20, v5
                                        ; implicit-def: $vgpr6
	s_andn2_saveexec_b64 s[16:17], s[16:17]
	s_cbranch_execnz .LBB104_2027
.LBB104_1688:
	s_or_b64 exec, exec, s[16:17]
	v_mov_b32_e32 v9, 0
	s_and_saveexec_b64 s[16:17], s[10:11]
.LBB104_1689:
	v_lshrrev_b32_e32 v1, 8, v1
	s_movk_i32 s10, 0x80
	v_and_or_b32 v9, v1, s10, v5
.LBB104_1690:
	s_or_b64 exec, exec, s[16:17]
.LBB104_1691:
	s_or_b64 exec, exec, s[8:9]
	global_store_byte v[2:3], v9, off
.LBB104_1692:
	s_mov_b64 s[8:9], -1
.LBB104_1693:
	s_mov_b64 s[10:11], 0
.LBB104_1694:
	s_and_b64 vcc, exec, s[10:11]
	s_cbranch_vccz .LBB104_1734
; %bb.1695:
	s_cmp_gt_i32 s19, 22
	s_mov_b64 s[6:7], -1
	s_cbranch_scc0 .LBB104_1727
; %bb.1696:
	s_cmp_lt_i32 s19, 24
	s_cbranch_scc1 .LBB104_1716
; %bb.1697:
	s_cmp_gt_i32 s19, 24
	s_cbranch_scc0 .LBB104_1705
; %bb.1698:
	v_lshlrev_b32_e32 v6, 16, v4
	v_and_b32_e32 v5, 0x7fffffff, v6
	s_mov_b32 s6, 0x47800000
	v_cmp_gt_u32_e32 vcc, s6, v5
	v_mov_b32_e32 v9, 0x80
	s_and_saveexec_b64 s[6:7], vcc
	s_cbranch_execz .LBB104_1704
; %bb.1699:
	s_mov_b32 s8, 0x37ffffff
	v_and_b32_e32 v1, 0xffff, v4
	v_cmp_lt_u32_e32 vcc, s8, v5
	s_mov_b64 s[8:9], 0
                                        ; implicit-def: $vgpr5
	s_and_saveexec_b64 s[10:11], vcc
	s_xor_b64 s[10:11], exec, s[10:11]
	s_cbranch_execz .LBB104_2029
; %bb.1700:
	v_bfe_u32 v5, v1, 5, 1
	s_mov_b32 s16, 0x88fffff
	v_add3_u32 v5, v6, v5, s16
	s_mov_b64 s[8:9], exec
	v_lshrrev_b32_e32 v5, 21, v5
                                        ; implicit-def: $vgpr6
	s_andn2_saveexec_b64 s[10:11], s[10:11]
	s_cbranch_execnz .LBB104_2030
.LBB104_1701:
	s_or_b64 exec, exec, s[10:11]
	v_mov_b32_e32 v9, 0
	s_and_saveexec_b64 s[10:11], s[8:9]
.LBB104_1702:
	v_lshrrev_b32_e32 v1, 8, v1
	s_movk_i32 s8, 0x80
	v_and_or_b32 v9, v1, s8, v5
.LBB104_1703:
	s_or_b64 exec, exec, s[10:11]
.LBB104_1704:
	s_or_b64 exec, exec, s[6:7]
	s_mov_b64 s[6:7], 0
	global_store_byte v[2:3], v9, off
.LBB104_1705:
	s_and_b64 vcc, exec, s[6:7]
	s_cbranch_vccz .LBB104_1715
; %bb.1706:
	v_lshlrev_b32_e32 v6, 16, v4
	v_and_b32_e32 v9, 0x7fffffff, v6
	s_mov_b32 s6, 0x43f00000
	v_and_b32_e32 v1, 0xffff, v4
	v_cmp_gt_u32_e32 vcc, s6, v9
                                        ; implicit-def: $vgpr5
	s_and_saveexec_b64 s[6:7], vcc
	s_xor_b64 s[6:7], exec, s[6:7]
	s_cbranch_execz .LBB104_1712
; %bb.1707:
	s_mov_b32 s8, 0x3c7fffff
	v_cmp_lt_u32_e32 vcc, s8, v9
                                        ; implicit-def: $vgpr5
	s_and_saveexec_b64 s[8:9], vcc
	s_xor_b64 s[8:9], exec, s[8:9]
; %bb.1708:
	v_bfe_u32 v5, v1, 4, 1
	s_mov_b32 s10, 0x407ffff
	v_add3_u32 v5, v6, v5, s10
	v_lshrrev_b32_e32 v6, 20, v5
	v_and_b32_e32 v5, 0xff00000, v5
	s_mov_b32 s10, 0x7f00000
	v_mov_b32_e32 v9, 0x7e
	v_cmp_ne_u32_e32 vcc, s10, v5
	s_nop 1
	v_cndmask_b32_e32 v5, v9, v6, vcc
                                        ; implicit-def: $vgpr6
; %bb.1709:
	s_andn2_saveexec_b64 s[8:9], s[8:9]
; %bb.1710:
	s_mov_b32 s10, 0x46800000
	v_add_f32_e64 v5, |v6|, s10
; %bb.1711:
	s_or_b64 exec, exec, s[8:9]
                                        ; implicit-def: $vgpr9
.LBB104_1712:
	s_andn2_saveexec_b64 s[6:7], s[6:7]
; %bb.1713:
	s_mov_b32 s8, 0x7f800000
	v_mov_b32_e32 v5, 0x7e
	v_mov_b32_e32 v6, 0x7f
	v_cmp_lt_u32_e32 vcc, s8, v9
	s_nop 1
	v_cndmask_b32_e32 v5, v5, v6, vcc
; %bb.1714:
	s_or_b64 exec, exec, s[6:7]
	v_lshrrev_b32_e32 v1, 8, v1
	s_movk_i32 s6, 0x80
	v_and_or_b32 v1, v1, s6, v5
	global_store_byte v[2:3], v1, off
.LBB104_1715:
	s_mov_b64 s[6:7], 0
.LBB104_1716:
	s_andn2_b64 vcc, exec, s[6:7]
	s_cbranch_vccnz .LBB104_1726
; %bb.1717:
	v_lshlrev_b32_e32 v6, 16, v4
	v_and_b32_e32 v9, 0x7fffffff, v6
	s_mov_b32 s6, 0x47800000
	v_and_b32_e32 v1, 0xffff, v4
	v_cmp_gt_u32_e32 vcc, s6, v9
                                        ; implicit-def: $vgpr5
	s_and_saveexec_b64 s[6:7], vcc
	s_xor_b64 s[6:7], exec, s[6:7]
	s_cbranch_execz .LBB104_1723
; %bb.1718:
	s_mov_b32 s8, 0x387fffff
	v_cmp_lt_u32_e32 vcc, s8, v9
                                        ; implicit-def: $vgpr5
	s_and_saveexec_b64 s[8:9], vcc
	s_xor_b64 s[8:9], exec, s[8:9]
; %bb.1719:
	v_bfe_u32 v5, v1, 5, 1
	s_mov_b32 s10, 0x80fffff
	v_add3_u32 v5, v6, v5, s10
	v_lshrrev_b32_e32 v5, 21, v5
                                        ; implicit-def: $vgpr6
; %bb.1720:
	s_andn2_saveexec_b64 s[8:9], s[8:9]
; %bb.1721:
	s_mov_b32 s10, 0x43000000
	v_add_f32_e64 v5, |v6|, s10
; %bb.1722:
	s_or_b64 exec, exec, s[8:9]
                                        ; implicit-def: $vgpr9
.LBB104_1723:
	s_andn2_saveexec_b64 s[6:7], s[6:7]
; %bb.1724:
	s_mov_b32 s8, 0x7f800000
	v_mov_b32_e32 v5, 0x7c
	v_mov_b32_e32 v6, 0x7f
	v_cmp_lt_u32_e32 vcc, s8, v9
	s_nop 1
	v_cndmask_b32_e32 v5, v5, v6, vcc
; %bb.1725:
	s_or_b64 exec, exec, s[6:7]
	v_lshrrev_b32_e32 v1, 8, v1
	s_movk_i32 s6, 0x80
	v_and_or_b32 v1, v1, s6, v5
	global_store_byte v[2:3], v1, off
.LBB104_1726:
	s_mov_b64 s[6:7], 0
	s_mov_b64 s[8:9], -1
.LBB104_1727:
	s_andn2_b64 vcc, exec, s[6:7]
	s_mov_b64 s[6:7], 0
	s_cbranch_vccnz .LBB104_1734
; %bb.1728:
	s_cmp_gt_i32 s19, 14
	s_mov_b64 s[10:11], -1
	s_cbranch_scc0 .LBB104_1732
; %bb.1729:
	s_cmp_eq_u32 s19, 15
	s_mov_b64 s[0:1], -1
	s_cbranch_scc0 .LBB104_1731
; %bb.1730:
	global_store_short v[2:3], v4, off
	s_mov_b64 s[0:1], 0
	s_mov_b64 s[8:9], -1
.LBB104_1731:
	s_mov_b64 s[10:11], 0
.LBB104_1732:
	s_and_b64 vcc, exec, s[10:11]
	s_cbranch_vccz .LBB104_1734
; %bb.1733:
	s_cmp_lg_u32 s19, 11
	s_mov_b64 s[6:7], -1
	s_cselect_b64 s[0:1], -1, 0
.LBB104_1734:
	s_and_b64 vcc, exec, s[0:1]
	s_cbranch_vccnz .LBB104_2028
; %bb.1735:
	s_andn2_b64 vcc, exec, s[6:7]
	s_cbranch_vccnz .LBB104_1737
.LBB104_1736:
	v_and_b32_e32 v1, 0x7fff, v4
	v_cmp_ne_u16_e32 vcc, 0, v1
	s_mov_b64 s[8:9], -1
	s_nop 0
	v_cndmask_b32_e64 v1, 0, 1, vcc
	global_store_byte v[2:3], v1, off
.LBB104_1737:
	s_mov_b64 s[0:1], 0
	s_branch .LBB104_1739
.LBB104_1738:
	s_mov_b64 s[0:1], -1
	s_mov_b64 s[8:9], 0
.LBB104_1739:
	s_and_b64 vcc, exec, s[0:1]
	s_cbranch_vccz .LBB104_1778
; %bb.1740:
	s_and_b32 s6, 0xffff, s20
	s_cmp_lt_i32 s6, 5
	s_mov_b64 s[0:1], -1
	s_cbranch_scc1 .LBB104_1761
; %bb.1741:
	s_cmp_lt_i32 s6, 8
	s_cbranch_scc1 .LBB104_1751
; %bb.1742:
	s_cmp_lt_i32 s6, 9
	s_cbranch_scc1 .LBB104_1748
; %bb.1743:
	s_cmp_gt_i32 s6, 9
	s_cbranch_scc0 .LBB104_1745
; %bb.1744:
	v_lshlrev_b32_e32 v1, 16, v4
	v_mov_b32_e32 v12, 0
	v_cvt_f64_f32_e32 v[10:11], v1
	v_mov_b32_e32 v13, v12
	global_store_dwordx4 v[2:3], v[10:13], off
	s_mov_b64 s[0:1], 0
.LBB104_1745:
	s_andn2_b64 vcc, exec, s[0:1]
	s_cbranch_vccnz .LBB104_1747
; %bb.1746:
	v_lshlrev_b32_e32 v10, 16, v4
	v_mov_b32_e32 v11, 0
	global_store_dwordx2 v[2:3], v[10:11], off
.LBB104_1747:
	s_mov_b64 s[0:1], 0
.LBB104_1748:
	s_andn2_b64 vcc, exec, s[0:1]
	s_cbranch_vccnz .LBB104_1750
; %bb.1749:
	v_lshlrev_b32_e32 v1, 16, v4
	v_cvt_f16_f32_e32 v1, v1
	global_store_dword v[2:3], v1, off
.LBB104_1750:
	s_mov_b64 s[0:1], 0
.LBB104_1751:
	s_andn2_b64 vcc, exec, s[0:1]
	s_cbranch_vccnz .LBB104_1760
; %bb.1752:
	s_cmp_lt_i32 s6, 6
	s_mov_b64 s[0:1], -1
	s_cbranch_scc1 .LBB104_1758
; %bb.1753:
	s_cmp_gt_i32 s6, 6
	s_cbranch_scc0 .LBB104_1755
; %bb.1754:
	v_lshlrev_b32_e32 v1, 16, v4
	v_cvt_f64_f32_e32 v[10:11], v1
	global_store_dwordx2 v[2:3], v[10:11], off
	s_mov_b64 s[0:1], 0
.LBB104_1755:
	s_andn2_b64 vcc, exec, s[0:1]
	s_cbranch_vccnz .LBB104_1757
; %bb.1756:
	v_lshlrev_b32_e32 v1, 16, v4
	global_store_dword v[2:3], v1, off
.LBB104_1757:
	s_mov_b64 s[0:1], 0
.LBB104_1758:
	s_andn2_b64 vcc, exec, s[0:1]
	s_cbranch_vccnz .LBB104_1760
; %bb.1759:
	v_lshlrev_b32_e32 v1, 16, v4
	v_cvt_f16_f32_e32 v1, v1
	global_store_short v[2:3], v1, off
.LBB104_1760:
	s_mov_b64 s[0:1], 0
.LBB104_1761:
	s_andn2_b64 vcc, exec, s[0:1]
	s_cbranch_vccnz .LBB104_1777
; %bb.1762:
	s_cmp_lt_i32 s6, 2
	s_mov_b64 s[0:1], -1
	s_cbranch_scc1 .LBB104_1772
; %bb.1763:
	s_cmp_lt_i32 s6, 3
	s_cbranch_scc1 .LBB104_1769
; %bb.1764:
	s_cmp_gt_i32 s6, 3
	s_cbranch_scc0 .LBB104_1766
; %bb.1765:
	v_lshlrev_b32_e32 v1, 16, v4
	v_trunc_f32_e32 v1, v1
	s_mov_b32 s0, 0x2f800000
	v_mul_f32_e64 v5, |v1|, s0
	v_floor_f32_e32 v5, v5
	s_mov_b32 s0, 0xcf800000
	v_cvt_u32_f32_e32 v6, v5
	v_fma_f32 v5, v5, s0, |v1|
	v_cvt_u32_f32_e32 v5, v5
	v_ashrrev_i32_e32 v1, 31, v1
	v_xor_b32_e32 v6, v6, v1
	s_mov_b64 s[0:1], 0
	v_xor_b32_e32 v5, v5, v1
	v_sub_co_u32_e32 v10, vcc, v5, v1
	s_nop 1
	v_subb_co_u32_e32 v11, vcc, v6, v1, vcc
	global_store_dwordx2 v[2:3], v[10:11], off
.LBB104_1766:
	s_andn2_b64 vcc, exec, s[0:1]
	s_cbranch_vccnz .LBB104_1768
; %bb.1767:
	v_lshlrev_b32_e32 v1, 16, v4
	v_cvt_i32_f32_e32 v1, v1
	global_store_dword v[2:3], v1, off
.LBB104_1768:
	s_mov_b64 s[0:1], 0
.LBB104_1769:
	s_andn2_b64 vcc, exec, s[0:1]
	s_cbranch_vccnz .LBB104_1771
; %bb.1770:
	v_lshlrev_b32_e32 v1, 16, v4
	v_cvt_i32_f32_e32 v1, v1
	global_store_short v[2:3], v1, off
.LBB104_1771:
	s_mov_b64 s[0:1], 0
.LBB104_1772:
	s_andn2_b64 vcc, exec, s[0:1]
	s_cbranch_vccnz .LBB104_1777
; %bb.1773:
	s_mov_b64 s[0:1], -1
	s_cmp_gt_i32 s6, 0
	v_lshlrev_b32_e32 v1, 16, v4
	s_cbranch_scc0 .LBB104_1775
; %bb.1774:
	v_cvt_i32_f32_e32 v4, v1
	s_mov_b64 s[0:1], 0
	global_store_byte v[2:3], v4, off
.LBB104_1775:
	s_andn2_b64 vcc, exec, s[0:1]
	s_cbranch_vccnz .LBB104_1777
; %bb.1776:
	v_trunc_f32_e32 v1, v1
	s_mov_b32 s0, 0x2f800000
	v_mul_f32_e64 v4, |v1|, s0
	v_floor_f32_e32 v4, v4
	s_mov_b32 s0, 0xcf800000
	v_fma_f32 v4, v4, s0, |v1|
	v_cvt_u32_f32_e32 v4, v4
	v_ashrrev_i32_e32 v1, 31, v1
	v_xor_b32_e32 v4, v4, v1
	v_sub_u32_e32 v1, v4, v1
	global_store_byte v[2:3], v1, off
.LBB104_1777:
	s_mov_b64 s[8:9], -1
.LBB104_1778:
	s_andn2_b64 vcc, exec, s[8:9]
	s_cbranch_vccnz .LBB104_1974
; %bb.1779:
	v_lshlrev_b32_e32 v1, 16, v7
	v_mul_f32_e32 v2, 0x3fb8aa3b, v1
	s_mov_b32 s0, 0x3fb8aa3b
	v_rndne_f32_e32 v3, v2
	v_sub_f32_e32 v4, v2, v3
	v_fma_f32 v2, v1, s0, -v2
	v_fmamk_f32 v2, v1, 0x32a5705f, v2
	v_add_f32_e32 v2, v4, v2
	v_exp_f32_e32 v2, v2
	v_cvt_i32_f32_e32 v3, v3
	s_mov_b32 s0, 0xc2ce8ed0
	v_cmp_ngt_f32_e32 vcc, s0, v1
	s_mov_b32 s0, 0x42b17218
	v_ldexp_f32 v2, v2, v3
	v_cndmask_b32_e32 v2, 0, v2, vcc
	v_mov_b32_e32 v3, 0x7f800000
	v_cmp_nlt_f32_e32 vcc, s0, v1
	s_movk_i32 s0, 0x7fff
	v_add_u32_e32 v0, s18, v0
	v_cndmask_b32_e32 v1, v3, v2, vcc
	v_bfe_u32 v2, v1, 16, 1
	v_add3_u32 v2, v1, v2, s0
	v_cmp_o_f32_e32 vcc, v1, v1
	v_mov_b32_e32 v1, 0x7fc0
	s_cmp_lt_i32 s20, 11
	v_cndmask_b32_sdwa v4, v1, v2, vcc dst_sel:DWORD dst_unused:UNUSED_PAD src0_sel:DWORD src1_sel:WORD_1
	v_ashrrev_i32_e32 v1, 31, v0
	v_lshl_add_u64 v[2:3], s[4:5], 0, v[0:1]
	s_cbranch_scc1 .LBB104_1857
; %bb.1780:
	s_and_b32 s19, 0xffff, s20
	s_mov_b64 s[10:11], -1
	s_mov_b64 s[6:7], 0
	s_cmp_gt_i32 s19, 25
	s_mov_b64 s[8:9], 0
	s_mov_b64 s[0:1], 0
	s_cbranch_scc0 .LBB104_1813
; %bb.1781:
	s_cmp_gt_i32 s19, 28
	s_cbranch_scc0 .LBB104_1796
; %bb.1782:
	s_cmp_gt_i32 s19, 43
	;; [unrolled: 3-line block ×3, first 2 shown]
	s_cbranch_scc0 .LBB104_1786
; %bb.1784:
	s_mov_b64 s[0:1], -1
	s_mov_b64 s[10:11], 0
	s_cmp_eq_u32 s19, 46
	s_cbranch_scc0 .LBB104_1786
; %bb.1785:
	v_and_b32_e32 v1, 0xffff, v4
	global_store_dword v[2:3], v1, off
	s_mov_b64 s[0:1], 0
	s_mov_b64 s[8:9], -1
.LBB104_1786:
	s_and_b64 vcc, exec, s[10:11]
	s_cbranch_vccz .LBB104_1791
; %bb.1787:
	s_cmp_eq_u32 s19, 44
	s_mov_b64 s[0:1], -1
	s_cbranch_scc0 .LBB104_1791
; %bb.1788:
	v_and_b32_e32 v5, 0xffff, v4
	v_bfe_u32 v1, v5, 7, 8
	s_movk_i32 s0, 0xff
	v_cmp_ne_u32_e32 vcc, s0, v1
	v_mov_b32_e32 v6, 0xff
	s_and_saveexec_b64 s[8:9], vcc
	s_cbranch_execz .LBB104_1790
; %bb.1789:
	v_lshlrev_b32_e32 v7, 16, v5
	s_mov_b32 s0, 0x3f0000
	v_lshrrev_b32_e32 v6, 7, v5
	v_and_b32_e32 v5, 64, v5
	v_and_or_b32 v1, v7, s0, v1
	v_cmp_ne_u32_e32 vcc, 0, v5
	v_cmp_ne_u32_e64 s[0:1], 0, v1
	s_and_b64 s[0:1], vcc, s[0:1]
	s_nop 0
	v_cndmask_b32_e64 v1, 0, 1, s[0:1]
	v_add_u32_e32 v6, v6, v1
.LBB104_1790:
	s_or_b64 exec, exec, s[8:9]
	s_mov_b64 s[0:1], 0
	s_mov_b64 s[8:9], -1
	global_store_byte v[2:3], v6, off
.LBB104_1791:
	s_mov_b64 s[10:11], 0
.LBB104_1792:
	s_and_b64 vcc, exec, s[10:11]
	s_cbranch_vccz .LBB104_1795
; %bb.1793:
	s_cmp_eq_u32 s19, 29
	s_mov_b64 s[0:1], -1
	s_cbranch_scc0 .LBB104_1795
; %bb.1794:
	v_lshlrev_b32_e32 v1, 16, v4
	v_trunc_f32_e32 v1, v1
	v_mul_f32_e32 v5, 0x2f800000, v1
	v_floor_f32_e32 v5, v5
	v_fmamk_f32 v1, v5, 0xcf800000, v1
	v_cvt_u32_f32_e32 v7, v5
	v_cvt_u32_f32_e32 v6, v1
	s_mov_b64 s[0:1], 0
	s_mov_b64 s[8:9], -1
	global_store_dwordx2 v[2:3], v[6:7], off
.LBB104_1795:
	s_mov_b64 s[10:11], 0
.LBB104_1796:
	s_and_b64 vcc, exec, s[10:11]
	s_cbranch_vccz .LBB104_1812
; %bb.1797:
	s_cmp_lt_i32 s19, 27
	s_mov_b64 s[8:9], -1
	s_cbranch_scc1 .LBB104_1803
; %bb.1798:
	s_cmp_gt_i32 s19, 27
	s_cbranch_scc0 .LBB104_1800
; %bb.1799:
	v_lshlrev_b32_e32 v1, 16, v4
	v_cvt_u32_f32_e32 v1, v1
	s_mov_b64 s[8:9], 0
	global_store_dword v[2:3], v1, off
.LBB104_1800:
	s_andn2_b64 vcc, exec, s[8:9]
	s_cbranch_vccnz .LBB104_1802
; %bb.1801:
	v_lshlrev_b32_e32 v1, 16, v4
	v_cvt_u32_f32_e32 v1, v1
	global_store_short v[2:3], v1, off
.LBB104_1802:
	s_mov_b64 s[8:9], 0
.LBB104_1803:
	s_andn2_b64 vcc, exec, s[8:9]
	s_cbranch_vccnz .LBB104_1811
; %bb.1804:
	v_lshlrev_b32_e32 v6, 16, v4
	v_and_b32_e32 v5, 0x7fffffff, v6
	s_mov_b32 s8, 0x43800000
	v_cmp_gt_u32_e32 vcc, s8, v5
	v_mov_b32_e32 v7, 0x80
	s_and_saveexec_b64 s[8:9], vcc
	s_cbranch_execz .LBB104_1810
; %bb.1805:
	s_mov_b32 s10, 0x3bffffff
	v_and_b32_e32 v1, 0xffff, v4
	v_cmp_lt_u32_e32 vcc, s10, v5
	s_mov_b64 s[10:11], 0
                                        ; implicit-def: $vgpr5
	s_and_saveexec_b64 s[16:17], vcc
	s_xor_b64 s[16:17], exec, s[16:17]
	s_cbranch_execz .LBB104_2031
; %bb.1806:
	v_bfe_u32 v5, v1, 4, 1
	s_mov_b32 s21, 0x487ffff
	v_add3_u32 v5, v6, v5, s21
	s_mov_b64 s[10:11], exec
	v_lshrrev_b32_e32 v5, 20, v5
                                        ; implicit-def: $vgpr6
	s_andn2_saveexec_b64 s[16:17], s[16:17]
	s_cbranch_execnz .LBB104_2032
.LBB104_1807:
	s_or_b64 exec, exec, s[16:17]
	v_mov_b32_e32 v7, 0
	s_and_saveexec_b64 s[16:17], s[10:11]
.LBB104_1808:
	v_lshrrev_b32_e32 v1, 8, v1
	s_movk_i32 s10, 0x80
	v_and_or_b32 v7, v1, s10, v5
.LBB104_1809:
	s_or_b64 exec, exec, s[16:17]
.LBB104_1810:
	s_or_b64 exec, exec, s[8:9]
	global_store_byte v[2:3], v7, off
.LBB104_1811:
	s_mov_b64 s[8:9], -1
.LBB104_1812:
	s_mov_b64 s[10:11], 0
.LBB104_1813:
	s_and_b64 vcc, exec, s[10:11]
	s_cbranch_vccz .LBB104_1853
; %bb.1814:
	s_cmp_gt_i32 s19, 22
	s_mov_b64 s[6:7], -1
	s_cbranch_scc0 .LBB104_1846
; %bb.1815:
	s_cmp_lt_i32 s19, 24
	s_cbranch_scc1 .LBB104_1835
; %bb.1816:
	s_cmp_gt_i32 s19, 24
	s_cbranch_scc0 .LBB104_1824
; %bb.1817:
	v_lshlrev_b32_e32 v6, 16, v4
	v_and_b32_e32 v5, 0x7fffffff, v6
	s_mov_b32 s6, 0x47800000
	v_cmp_gt_u32_e32 vcc, s6, v5
	v_mov_b32_e32 v7, 0x80
	s_and_saveexec_b64 s[6:7], vcc
	s_cbranch_execz .LBB104_1823
; %bb.1818:
	s_mov_b32 s8, 0x37ffffff
	v_and_b32_e32 v1, 0xffff, v4
	v_cmp_lt_u32_e32 vcc, s8, v5
	s_mov_b64 s[8:9], 0
                                        ; implicit-def: $vgpr5
	s_and_saveexec_b64 s[10:11], vcc
	s_xor_b64 s[10:11], exec, s[10:11]
	s_cbranch_execz .LBB104_2034
; %bb.1819:
	v_bfe_u32 v5, v1, 5, 1
	s_mov_b32 s16, 0x88fffff
	v_add3_u32 v5, v6, v5, s16
	s_mov_b64 s[8:9], exec
	v_lshrrev_b32_e32 v5, 21, v5
                                        ; implicit-def: $vgpr6
	s_andn2_saveexec_b64 s[10:11], s[10:11]
	s_cbranch_execnz .LBB104_2035
.LBB104_1820:
	s_or_b64 exec, exec, s[10:11]
	v_mov_b32_e32 v7, 0
	s_and_saveexec_b64 s[10:11], s[8:9]
.LBB104_1821:
	v_lshrrev_b32_e32 v1, 8, v1
	s_movk_i32 s8, 0x80
	v_and_or_b32 v7, v1, s8, v5
.LBB104_1822:
	s_or_b64 exec, exec, s[10:11]
.LBB104_1823:
	s_or_b64 exec, exec, s[6:7]
	s_mov_b64 s[6:7], 0
	global_store_byte v[2:3], v7, off
.LBB104_1824:
	s_and_b64 vcc, exec, s[6:7]
	s_cbranch_vccz .LBB104_1834
; %bb.1825:
	v_lshlrev_b32_e32 v6, 16, v4
	v_and_b32_e32 v7, 0x7fffffff, v6
	s_mov_b32 s6, 0x43f00000
	v_and_b32_e32 v1, 0xffff, v4
	v_cmp_gt_u32_e32 vcc, s6, v7
                                        ; implicit-def: $vgpr5
	s_and_saveexec_b64 s[6:7], vcc
	s_xor_b64 s[6:7], exec, s[6:7]
	s_cbranch_execz .LBB104_1831
; %bb.1826:
	s_mov_b32 s8, 0x3c7fffff
	v_cmp_lt_u32_e32 vcc, s8, v7
                                        ; implicit-def: $vgpr5
	s_and_saveexec_b64 s[8:9], vcc
	s_xor_b64 s[8:9], exec, s[8:9]
; %bb.1827:
	v_bfe_u32 v5, v1, 4, 1
	s_mov_b32 s10, 0x407ffff
	v_add3_u32 v5, v6, v5, s10
	v_lshrrev_b32_e32 v6, 20, v5
	v_and_b32_e32 v5, 0xff00000, v5
	s_mov_b32 s10, 0x7f00000
	v_mov_b32_e32 v7, 0x7e
	v_cmp_ne_u32_e32 vcc, s10, v5
	s_nop 1
	v_cndmask_b32_e32 v5, v7, v6, vcc
                                        ; implicit-def: $vgpr6
; %bb.1828:
	s_andn2_saveexec_b64 s[8:9], s[8:9]
; %bb.1829:
	s_mov_b32 s10, 0x46800000
	v_add_f32_e64 v5, |v6|, s10
; %bb.1830:
	s_or_b64 exec, exec, s[8:9]
                                        ; implicit-def: $vgpr7
.LBB104_1831:
	s_andn2_saveexec_b64 s[6:7], s[6:7]
; %bb.1832:
	s_mov_b32 s8, 0x7f800000
	v_mov_b32_e32 v5, 0x7e
	v_mov_b32_e32 v6, 0x7f
	v_cmp_lt_u32_e32 vcc, s8, v7
	s_nop 1
	v_cndmask_b32_e32 v5, v5, v6, vcc
; %bb.1833:
	s_or_b64 exec, exec, s[6:7]
	v_lshrrev_b32_e32 v1, 8, v1
	s_movk_i32 s6, 0x80
	v_and_or_b32 v1, v1, s6, v5
	global_store_byte v[2:3], v1, off
.LBB104_1834:
	s_mov_b64 s[6:7], 0
.LBB104_1835:
	s_andn2_b64 vcc, exec, s[6:7]
	s_cbranch_vccnz .LBB104_1845
; %bb.1836:
	v_lshlrev_b32_e32 v6, 16, v4
	v_and_b32_e32 v7, 0x7fffffff, v6
	s_mov_b32 s6, 0x47800000
	v_and_b32_e32 v1, 0xffff, v4
	v_cmp_gt_u32_e32 vcc, s6, v7
                                        ; implicit-def: $vgpr5
	s_and_saveexec_b64 s[6:7], vcc
	s_xor_b64 s[6:7], exec, s[6:7]
	s_cbranch_execz .LBB104_1842
; %bb.1837:
	s_mov_b32 s8, 0x387fffff
	v_cmp_lt_u32_e32 vcc, s8, v7
                                        ; implicit-def: $vgpr5
	s_and_saveexec_b64 s[8:9], vcc
	s_xor_b64 s[8:9], exec, s[8:9]
; %bb.1838:
	v_bfe_u32 v5, v1, 5, 1
	s_mov_b32 s10, 0x80fffff
	v_add3_u32 v5, v6, v5, s10
	v_lshrrev_b32_e32 v5, 21, v5
                                        ; implicit-def: $vgpr6
; %bb.1839:
	s_andn2_saveexec_b64 s[8:9], s[8:9]
; %bb.1840:
	s_mov_b32 s10, 0x43000000
	v_add_f32_e64 v5, |v6|, s10
; %bb.1841:
	s_or_b64 exec, exec, s[8:9]
                                        ; implicit-def: $vgpr7
.LBB104_1842:
	s_andn2_saveexec_b64 s[6:7], s[6:7]
; %bb.1843:
	s_mov_b32 s8, 0x7f800000
	v_mov_b32_e32 v5, 0x7c
	v_mov_b32_e32 v6, 0x7f
	v_cmp_lt_u32_e32 vcc, s8, v7
	s_nop 1
	v_cndmask_b32_e32 v5, v5, v6, vcc
; %bb.1844:
	s_or_b64 exec, exec, s[6:7]
	v_lshrrev_b32_e32 v1, 8, v1
	s_movk_i32 s6, 0x80
	v_and_or_b32 v1, v1, s6, v5
	global_store_byte v[2:3], v1, off
.LBB104_1845:
	s_mov_b64 s[6:7], 0
	s_mov_b64 s[8:9], -1
.LBB104_1846:
	s_andn2_b64 vcc, exec, s[6:7]
	s_mov_b64 s[6:7], 0
	s_cbranch_vccnz .LBB104_1853
; %bb.1847:
	s_cmp_gt_i32 s19, 14
	s_mov_b64 s[10:11], -1
	s_cbranch_scc0 .LBB104_1851
; %bb.1848:
	s_cmp_eq_u32 s19, 15
	s_mov_b64 s[0:1], -1
	s_cbranch_scc0 .LBB104_1850
; %bb.1849:
	global_store_short v[2:3], v4, off
	s_mov_b64 s[0:1], 0
	s_mov_b64 s[8:9], -1
.LBB104_1850:
	s_mov_b64 s[10:11], 0
.LBB104_1851:
	s_and_b64 vcc, exec, s[10:11]
	s_cbranch_vccz .LBB104_1853
; %bb.1852:
	s_cmp_lg_u32 s19, 11
	s_mov_b64 s[6:7], -1
	s_cselect_b64 s[0:1], -1, 0
.LBB104_1853:
	s_and_b64 vcc, exec, s[0:1]
	s_cbranch_vccnz .LBB104_2033
; %bb.1854:
	s_andn2_b64 vcc, exec, s[6:7]
	s_cbranch_vccnz .LBB104_1856
.LBB104_1855:
	v_and_b32_e32 v1, 0x7fff, v4
	v_cmp_ne_u16_e32 vcc, 0, v1
	s_mov_b64 s[8:9], -1
	s_nop 0
	v_cndmask_b32_e64 v1, 0, 1, vcc
	global_store_byte v[2:3], v1, off
.LBB104_1856:
	s_mov_b64 s[0:1], 0
	s_branch .LBB104_1858
.LBB104_1857:
	s_mov_b64 s[0:1], -1
	s_mov_b64 s[8:9], 0
.LBB104_1858:
	s_and_b64 vcc, exec, s[0:1]
	s_cbranch_vccz .LBB104_1897
; %bb.1859:
	s_and_b32 s6, 0xffff, s20
	s_cmp_lt_i32 s6, 5
	s_mov_b64 s[0:1], -1
	s_cbranch_scc1 .LBB104_1880
; %bb.1860:
	s_cmp_lt_i32 s6, 8
	s_cbranch_scc1 .LBB104_1870
; %bb.1861:
	s_cmp_lt_i32 s6, 9
	s_cbranch_scc1 .LBB104_1867
; %bb.1862:
	s_cmp_gt_i32 s6, 9
	s_cbranch_scc0 .LBB104_1864
; %bb.1863:
	v_lshlrev_b32_e32 v1, 16, v4
	v_mov_b32_e32 v12, 0
	v_cvt_f64_f32_e32 v[10:11], v1
	v_mov_b32_e32 v13, v12
	global_store_dwordx4 v[2:3], v[10:13], off
	s_mov_b64 s[0:1], 0
.LBB104_1864:
	s_andn2_b64 vcc, exec, s[0:1]
	s_cbranch_vccnz .LBB104_1866
; %bb.1865:
	v_lshlrev_b32_e32 v6, 16, v4
	v_mov_b32_e32 v7, 0
	global_store_dwordx2 v[2:3], v[6:7], off
.LBB104_1866:
	s_mov_b64 s[0:1], 0
.LBB104_1867:
	s_andn2_b64 vcc, exec, s[0:1]
	s_cbranch_vccnz .LBB104_1869
; %bb.1868:
	v_lshlrev_b32_e32 v1, 16, v4
	v_cvt_f16_f32_e32 v1, v1
	global_store_dword v[2:3], v1, off
.LBB104_1869:
	s_mov_b64 s[0:1], 0
.LBB104_1870:
	s_andn2_b64 vcc, exec, s[0:1]
	s_cbranch_vccnz .LBB104_1879
; %bb.1871:
	s_cmp_lt_i32 s6, 6
	s_mov_b64 s[0:1], -1
	s_cbranch_scc1 .LBB104_1877
; %bb.1872:
	s_cmp_gt_i32 s6, 6
	s_cbranch_scc0 .LBB104_1874
; %bb.1873:
	v_lshlrev_b32_e32 v1, 16, v4
	v_cvt_f64_f32_e32 v[6:7], v1
	global_store_dwordx2 v[2:3], v[6:7], off
	s_mov_b64 s[0:1], 0
.LBB104_1874:
	s_andn2_b64 vcc, exec, s[0:1]
	s_cbranch_vccnz .LBB104_1876
; %bb.1875:
	v_lshlrev_b32_e32 v1, 16, v4
	global_store_dword v[2:3], v1, off
.LBB104_1876:
	s_mov_b64 s[0:1], 0
.LBB104_1877:
	s_andn2_b64 vcc, exec, s[0:1]
	s_cbranch_vccnz .LBB104_1879
; %bb.1878:
	v_lshlrev_b32_e32 v1, 16, v4
	v_cvt_f16_f32_e32 v1, v1
	global_store_short v[2:3], v1, off
.LBB104_1879:
	s_mov_b64 s[0:1], 0
.LBB104_1880:
	s_andn2_b64 vcc, exec, s[0:1]
	s_cbranch_vccnz .LBB104_1896
; %bb.1881:
	s_cmp_lt_i32 s6, 2
	s_mov_b64 s[0:1], -1
	s_cbranch_scc1 .LBB104_1891
; %bb.1882:
	s_cmp_lt_i32 s6, 3
	s_cbranch_scc1 .LBB104_1888
; %bb.1883:
	s_cmp_gt_i32 s6, 3
	s_cbranch_scc0 .LBB104_1885
; %bb.1884:
	v_lshlrev_b32_e32 v1, 16, v4
	v_trunc_f32_e32 v1, v1
	s_mov_b32 s0, 0x2f800000
	v_mul_f32_e64 v5, |v1|, s0
	v_floor_f32_e32 v5, v5
	s_mov_b32 s0, 0xcf800000
	v_cvt_u32_f32_e32 v6, v5
	v_fma_f32 v5, v5, s0, |v1|
	v_cvt_u32_f32_e32 v5, v5
	v_ashrrev_i32_e32 v1, 31, v1
	v_xor_b32_e32 v7, v6, v1
	s_mov_b64 s[0:1], 0
	v_xor_b32_e32 v5, v5, v1
	v_sub_co_u32_e32 v6, vcc, v5, v1
	s_nop 1
	v_subb_co_u32_e32 v7, vcc, v7, v1, vcc
	global_store_dwordx2 v[2:3], v[6:7], off
.LBB104_1885:
	s_andn2_b64 vcc, exec, s[0:1]
	s_cbranch_vccnz .LBB104_1887
; %bb.1886:
	v_lshlrev_b32_e32 v1, 16, v4
	v_cvt_i32_f32_e32 v1, v1
	global_store_dword v[2:3], v1, off
.LBB104_1887:
	s_mov_b64 s[0:1], 0
.LBB104_1888:
	s_andn2_b64 vcc, exec, s[0:1]
	s_cbranch_vccnz .LBB104_1890
; %bb.1889:
	v_lshlrev_b32_e32 v1, 16, v4
	v_cvt_i32_f32_e32 v1, v1
	global_store_short v[2:3], v1, off
.LBB104_1890:
	s_mov_b64 s[0:1], 0
.LBB104_1891:
	s_andn2_b64 vcc, exec, s[0:1]
	s_cbranch_vccnz .LBB104_1896
; %bb.1892:
	s_mov_b64 s[0:1], -1
	s_cmp_gt_i32 s6, 0
	v_lshlrev_b32_e32 v1, 16, v4
	s_cbranch_scc0 .LBB104_1894
; %bb.1893:
	v_cvt_i32_f32_e32 v4, v1
	s_mov_b64 s[0:1], 0
	global_store_byte v[2:3], v4, off
.LBB104_1894:
	s_andn2_b64 vcc, exec, s[0:1]
	s_cbranch_vccnz .LBB104_1896
; %bb.1895:
	v_trunc_f32_e32 v1, v1
	s_mov_b32 s0, 0x2f800000
	v_mul_f32_e64 v4, |v1|, s0
	v_floor_f32_e32 v4, v4
	s_mov_b32 s0, 0xcf800000
	v_fma_f32 v4, v4, s0, |v1|
	v_cvt_u32_f32_e32 v4, v4
	v_ashrrev_i32_e32 v1, 31, v1
	v_xor_b32_e32 v4, v4, v1
	v_sub_u32_e32 v1, v4, v1
	global_store_byte v[2:3], v1, off
.LBB104_1896:
	s_mov_b64 s[8:9], -1
.LBB104_1897:
	s_andn2_b64 vcc, exec, s[8:9]
	s_cbranch_vccnz .LBB104_1974
; %bb.1898:
	v_lshlrev_b32_e32 v1, 16, v8
	v_mul_f32_e32 v2, 0x3fb8aa3b, v1
	s_mov_b32 s0, 0x3fb8aa3b
	v_rndne_f32_e32 v3, v2
	v_sub_f32_e32 v4, v2, v3
	v_fma_f32 v2, v1, s0, -v2
	v_fmamk_f32 v2, v1, 0x32a5705f, v2
	v_add_f32_e32 v2, v4, v2
	v_exp_f32_e32 v2, v2
	v_cvt_i32_f32_e32 v3, v3
	s_mov_b32 s0, 0xc2ce8ed0
	v_cmp_ngt_f32_e32 vcc, s0, v1
	s_mov_b32 s0, 0x42b17218
	v_ldexp_f32 v2, v2, v3
	v_cndmask_b32_e32 v2, 0, v2, vcc
	v_mov_b32_e32 v3, 0x7f800000
	v_cmp_nlt_f32_e32 vcc, s0, v1
	s_movk_i32 s0, 0x7fff
	v_add_u32_e32 v0, s18, v0
	v_cndmask_b32_e32 v1, v3, v2, vcc
	v_bfe_u32 v2, v1, 16, 1
	v_add3_u32 v2, v1, v2, s0
	v_cmp_o_f32_e32 vcc, v1, v1
	v_mov_b32_e32 v1, 0x7fc0
	s_cmp_lt_i32 s20, 11
	v_cndmask_b32_sdwa v2, v1, v2, vcc dst_sel:DWORD dst_unused:UNUSED_PAD src0_sel:DWORD src1_sel:WORD_1
	v_ashrrev_i32_e32 v1, 31, v0
	v_lshl_add_u64 v[0:1], s[4:5], 0, v[0:1]
	s_cbranch_scc1 .LBB104_2019
; %bb.1899:
	s_and_b32 s16, 0xffff, s20
	s_mov_b64 s[6:7], -1
	s_mov_b64 s[4:5], 0
	s_cmp_gt_i32 s16, 25
	s_mov_b64 s[0:1], 0
	s_cbranch_scc0 .LBB104_1932
; %bb.1900:
	s_cmp_gt_i32 s16, 28
	s_cbranch_scc0 .LBB104_1916
; %bb.1901:
	s_cmp_gt_i32 s16, 43
	;; [unrolled: 3-line block ×3, first 2 shown]
	s_cbranch_scc0 .LBB104_1906
; %bb.1903:
	s_cmp_eq_u32 s16, 46
	s_mov_b64 s[0:1], -1
	s_cbranch_scc0 .LBB104_1905
; %bb.1904:
	v_and_b32_e32 v3, 0xffff, v2
	global_store_dword v[0:1], v3, off
	s_mov_b64 s[0:1], 0
.LBB104_1905:
	s_mov_b64 s[6:7], 0
.LBB104_1906:
	s_and_b64 vcc, exec, s[6:7]
	s_cbranch_vccz .LBB104_1911
; %bb.1907:
	s_cmp_eq_u32 s16, 44
	s_mov_b64 s[0:1], -1
	s_cbranch_scc0 .LBB104_1911
; %bb.1908:
	v_and_b32_e32 v4, 0xffff, v2
	v_bfe_u32 v3, v4, 7, 8
	s_movk_i32 s0, 0xff
	v_cmp_ne_u32_e32 vcc, s0, v3
	v_mov_b32_e32 v5, 0xff
	s_and_saveexec_b64 s[6:7], vcc
	s_cbranch_execz .LBB104_1910
; %bb.1909:
	v_lshlrev_b32_e32 v6, 16, v4
	s_mov_b32 s0, 0x3f0000
	v_lshrrev_b32_e32 v5, 7, v4
	v_and_b32_e32 v4, 64, v4
	v_and_or_b32 v3, v6, s0, v3
	v_cmp_ne_u32_e32 vcc, 0, v4
	v_cmp_ne_u32_e64 s[0:1], 0, v3
	s_and_b64 s[0:1], vcc, s[0:1]
	s_nop 0
	v_cndmask_b32_e64 v3, 0, 1, s[0:1]
	v_add_u32_e32 v5, v5, v3
.LBB104_1910:
	s_or_b64 exec, exec, s[6:7]
	s_mov_b64 s[0:1], 0
	global_store_byte v[0:1], v5, off
.LBB104_1911:
	s_mov_b64 s[6:7], 0
.LBB104_1912:
	s_and_b64 vcc, exec, s[6:7]
	s_cbranch_vccz .LBB104_1915
; %bb.1913:
	s_cmp_eq_u32 s16, 29
	s_mov_b64 s[0:1], -1
	s_cbranch_scc0 .LBB104_1915
; %bb.1914:
	v_lshlrev_b32_e32 v3, 16, v2
	v_trunc_f32_e32 v3, v3
	v_mul_f32_e32 v4, 0x2f800000, v3
	v_floor_f32_e32 v4, v4
	v_fmamk_f32 v3, v4, 0xcf800000, v3
	v_cvt_u32_f32_e32 v5, v4
	v_cvt_u32_f32_e32 v4, v3
	s_mov_b64 s[0:1], 0
	global_store_dwordx2 v[0:1], v[4:5], off
.LBB104_1915:
	s_mov_b64 s[6:7], 0
.LBB104_1916:
	s_and_b64 vcc, exec, s[6:7]
	s_cbranch_vccz .LBB104_1931
; %bb.1917:
	s_cmp_lt_i32 s16, 27
	s_mov_b64 s[6:7], -1
	s_cbranch_scc1 .LBB104_1923
; %bb.1918:
	s_cmp_gt_i32 s16, 27
	s_cbranch_scc0 .LBB104_1920
; %bb.1919:
	v_lshlrev_b32_e32 v3, 16, v2
	v_cvt_u32_f32_e32 v3, v3
	s_mov_b64 s[6:7], 0
	global_store_dword v[0:1], v3, off
.LBB104_1920:
	s_andn2_b64 vcc, exec, s[6:7]
	s_cbranch_vccnz .LBB104_1922
; %bb.1921:
	v_lshlrev_b32_e32 v3, 16, v2
	v_cvt_u32_f32_e32 v3, v3
	global_store_short v[0:1], v3, off
.LBB104_1922:
	s_mov_b64 s[6:7], 0
.LBB104_1923:
	s_andn2_b64 vcc, exec, s[6:7]
	s_cbranch_vccnz .LBB104_1931
; %bb.1924:
	v_lshlrev_b32_e32 v5, 16, v2
	v_and_b32_e32 v4, 0x7fffffff, v5
	s_mov_b32 s6, 0x43800000
	v_cmp_gt_u32_e32 vcc, s6, v4
	v_mov_b32_e32 v6, 0x80
	s_and_saveexec_b64 s[6:7], vcc
	s_cbranch_execz .LBB104_1930
; %bb.1925:
	s_mov_b32 s8, 0x3bffffff
	v_and_b32_e32 v3, 0xffff, v2
	v_cmp_lt_u32_e32 vcc, s8, v4
	s_mov_b64 s[8:9], 0
                                        ; implicit-def: $vgpr4
	s_and_saveexec_b64 s[10:11], vcc
	s_xor_b64 s[10:11], exec, s[10:11]
	s_cbranch_execz .LBB104_2036
; %bb.1926:
	v_bfe_u32 v4, v3, 4, 1
	s_mov_b32 s17, 0x487ffff
	v_add3_u32 v4, v5, v4, s17
	s_mov_b64 s[8:9], exec
	v_lshrrev_b32_e32 v4, 20, v4
                                        ; implicit-def: $vgpr5
	s_andn2_saveexec_b64 s[10:11], s[10:11]
	s_cbranch_execnz .LBB104_2037
.LBB104_1927:
	s_or_b64 exec, exec, s[10:11]
	v_mov_b32_e32 v6, 0
	s_and_saveexec_b64 s[10:11], s[8:9]
.LBB104_1928:
	v_lshrrev_b32_e32 v3, 8, v3
	s_movk_i32 s8, 0x80
	v_and_or_b32 v6, v3, s8, v4
.LBB104_1929:
	s_or_b64 exec, exec, s[10:11]
.LBB104_1930:
	s_or_b64 exec, exec, s[6:7]
	global_store_byte v[0:1], v6, off
.LBB104_1931:
	s_mov_b64 s[6:7], 0
.LBB104_1932:
	s_and_b64 vcc, exec, s[6:7]
	s_cbranch_vccz .LBB104_1972
; %bb.1933:
	s_cmp_gt_i32 s16, 22
	s_mov_b64 s[4:5], -1
	s_cbranch_scc0 .LBB104_1965
; %bb.1934:
	s_cmp_lt_i32 s16, 24
	s_cbranch_scc1 .LBB104_1954
; %bb.1935:
	s_cmp_gt_i32 s16, 24
	s_cbranch_scc0 .LBB104_1943
; %bb.1936:
	v_lshlrev_b32_e32 v5, 16, v2
	v_and_b32_e32 v4, 0x7fffffff, v5
	s_mov_b32 s4, 0x47800000
	v_cmp_gt_u32_e32 vcc, s4, v4
	v_mov_b32_e32 v6, 0x80
	s_and_saveexec_b64 s[4:5], vcc
	s_cbranch_execz .LBB104_1942
; %bb.1937:
	s_mov_b32 s6, 0x37ffffff
	v_and_b32_e32 v3, 0xffff, v2
	v_cmp_lt_u32_e32 vcc, s6, v4
	s_mov_b64 s[6:7], 0
                                        ; implicit-def: $vgpr4
	s_and_saveexec_b64 s[8:9], vcc
	s_xor_b64 s[8:9], exec, s[8:9]
	s_cbranch_execz .LBB104_2039
; %bb.1938:
	v_bfe_u32 v4, v3, 5, 1
	s_mov_b32 s10, 0x88fffff
	v_add3_u32 v4, v5, v4, s10
	s_mov_b64 s[6:7], exec
	v_lshrrev_b32_e32 v4, 21, v4
                                        ; implicit-def: $vgpr5
	s_andn2_saveexec_b64 s[8:9], s[8:9]
	s_cbranch_execnz .LBB104_2040
.LBB104_1939:
	s_or_b64 exec, exec, s[8:9]
	v_mov_b32_e32 v6, 0
	s_and_saveexec_b64 s[8:9], s[6:7]
.LBB104_1940:
	v_lshrrev_b32_e32 v3, 8, v3
	s_movk_i32 s6, 0x80
	v_and_or_b32 v6, v3, s6, v4
.LBB104_1941:
	s_or_b64 exec, exec, s[8:9]
.LBB104_1942:
	s_or_b64 exec, exec, s[4:5]
	s_mov_b64 s[4:5], 0
	global_store_byte v[0:1], v6, off
.LBB104_1943:
	s_and_b64 vcc, exec, s[4:5]
	s_cbranch_vccz .LBB104_1953
; %bb.1944:
	v_lshlrev_b32_e32 v5, 16, v2
	v_and_b32_e32 v6, 0x7fffffff, v5
	s_mov_b32 s4, 0x43f00000
	v_and_b32_e32 v3, 0xffff, v2
	v_cmp_gt_u32_e32 vcc, s4, v6
                                        ; implicit-def: $vgpr4
	s_and_saveexec_b64 s[4:5], vcc
	s_xor_b64 s[4:5], exec, s[4:5]
	s_cbranch_execz .LBB104_1950
; %bb.1945:
	s_mov_b32 s6, 0x3c7fffff
	v_cmp_lt_u32_e32 vcc, s6, v6
                                        ; implicit-def: $vgpr4
	s_and_saveexec_b64 s[6:7], vcc
	s_xor_b64 s[6:7], exec, s[6:7]
; %bb.1946:
	v_bfe_u32 v4, v3, 4, 1
	s_mov_b32 s8, 0x407ffff
	v_add3_u32 v4, v5, v4, s8
	v_lshrrev_b32_e32 v5, 20, v4
	v_and_b32_e32 v4, 0xff00000, v4
	s_mov_b32 s8, 0x7f00000
	v_mov_b32_e32 v6, 0x7e
	v_cmp_ne_u32_e32 vcc, s8, v4
	s_nop 1
	v_cndmask_b32_e32 v4, v6, v5, vcc
                                        ; implicit-def: $vgpr5
; %bb.1947:
	s_andn2_saveexec_b64 s[6:7], s[6:7]
; %bb.1948:
	s_mov_b32 s8, 0x46800000
	v_add_f32_e64 v4, |v5|, s8
; %bb.1949:
	s_or_b64 exec, exec, s[6:7]
                                        ; implicit-def: $vgpr6
.LBB104_1950:
	s_andn2_saveexec_b64 s[4:5], s[4:5]
; %bb.1951:
	s_mov_b32 s6, 0x7f800000
	v_mov_b32_e32 v4, 0x7e
	v_mov_b32_e32 v5, 0x7f
	v_cmp_lt_u32_e32 vcc, s6, v6
	s_nop 1
	v_cndmask_b32_e32 v4, v4, v5, vcc
; %bb.1952:
	s_or_b64 exec, exec, s[4:5]
	v_lshrrev_b32_e32 v3, 8, v3
	s_movk_i32 s4, 0x80
	v_and_or_b32 v3, v3, s4, v4
	global_store_byte v[0:1], v3, off
.LBB104_1953:
	s_mov_b64 s[4:5], 0
.LBB104_1954:
	s_andn2_b64 vcc, exec, s[4:5]
	s_cbranch_vccnz .LBB104_1964
; %bb.1955:
	v_lshlrev_b32_e32 v5, 16, v2
	v_and_b32_e32 v6, 0x7fffffff, v5
	s_mov_b32 s4, 0x47800000
	v_and_b32_e32 v3, 0xffff, v2
	v_cmp_gt_u32_e32 vcc, s4, v6
                                        ; implicit-def: $vgpr4
	s_and_saveexec_b64 s[4:5], vcc
	s_xor_b64 s[4:5], exec, s[4:5]
	s_cbranch_execz .LBB104_1961
; %bb.1956:
	s_mov_b32 s6, 0x387fffff
	v_cmp_lt_u32_e32 vcc, s6, v6
                                        ; implicit-def: $vgpr4
	s_and_saveexec_b64 s[6:7], vcc
	s_xor_b64 s[6:7], exec, s[6:7]
; %bb.1957:
	v_bfe_u32 v4, v3, 5, 1
	s_mov_b32 s8, 0x80fffff
	v_add3_u32 v4, v5, v4, s8
	v_lshrrev_b32_e32 v4, 21, v4
                                        ; implicit-def: $vgpr5
; %bb.1958:
	s_andn2_saveexec_b64 s[6:7], s[6:7]
; %bb.1959:
	s_mov_b32 s8, 0x43000000
	v_add_f32_e64 v4, |v5|, s8
; %bb.1960:
	s_or_b64 exec, exec, s[6:7]
                                        ; implicit-def: $vgpr6
.LBB104_1961:
	s_andn2_saveexec_b64 s[4:5], s[4:5]
; %bb.1962:
	s_mov_b32 s6, 0x7f800000
	v_mov_b32_e32 v4, 0x7c
	v_mov_b32_e32 v5, 0x7f
	v_cmp_lt_u32_e32 vcc, s6, v6
	s_nop 1
	v_cndmask_b32_e32 v4, v4, v5, vcc
; %bb.1963:
	s_or_b64 exec, exec, s[4:5]
	v_lshrrev_b32_e32 v3, 8, v3
	s_movk_i32 s4, 0x80
	v_and_or_b32 v3, v3, s4, v4
	global_store_byte v[0:1], v3, off
.LBB104_1964:
	s_mov_b64 s[4:5], 0
.LBB104_1965:
	s_andn2_b64 vcc, exec, s[4:5]
	s_mov_b64 s[4:5], 0
	s_cbranch_vccnz .LBB104_1972
; %bb.1966:
	s_cmp_gt_i32 s16, 14
	s_mov_b64 s[6:7], -1
	s_cbranch_scc0 .LBB104_1970
; %bb.1967:
	s_cmp_eq_u32 s16, 15
	s_mov_b64 s[0:1], -1
	s_cbranch_scc0 .LBB104_1969
; %bb.1968:
	global_store_short v[0:1], v2, off
	s_mov_b64 s[0:1], 0
.LBB104_1969:
	s_mov_b64 s[6:7], 0
.LBB104_1970:
	s_and_b64 vcc, exec, s[6:7]
	s_cbranch_vccz .LBB104_1972
; %bb.1971:
	s_cmp_lg_u32 s16, 11
	s_mov_b64 s[4:5], -1
	s_cselect_b64 s[0:1], -1, 0
.LBB104_1972:
	s_and_b64 vcc, exec, s[0:1]
	s_cbranch_vccnz .LBB104_2038
.LBB104_1973:
	s_mov_b64 s[0:1], 0
	s_branch .LBB104_1975
.LBB104_1974:
	s_mov_b64 s[0:1], 0
	s_mov_b64 s[4:5], 0
                                        ; implicit-def: $sgpr20
                                        ; implicit-def: $vgpr0_vgpr1
                                        ; implicit-def: $vgpr2
.LBB104_1975:
	s_and_b64 s[10:11], s[4:5], exec
	s_andn2_b64 s[4:5], s[12:13], exec
	s_and_b64 s[6:7], s[14:15], exec
	s_and_b64 s[0:1], s[0:1], exec
	s_or_b64 s[12:13], s[4:5], s[6:7]
.LBB104_1976:
	s_or_b64 exec, exec, s[2:3]
	s_and_saveexec_b64 s[2:3], s[12:13]
	s_cbranch_execz .LBB104_1979
; %bb.1977:
	; divergent unreachable
	s_or_b64 exec, exec, s[2:3]
	s_and_saveexec_b64 s[2:3], s[10:11]
	s_xor_b64 s[2:3], exec, s[2:3]
	s_cbranch_execnz .LBB104_1980
.LBB104_1978:
	s_or_b64 exec, exec, s[2:3]
	s_and_saveexec_b64 s[2:3], s[0:1]
	s_cbranch_execnz .LBB104_1981
	s_branch .LBB104_2018
.LBB104_1979:
	s_or_b64 exec, exec, s[2:3]
	s_and_saveexec_b64 s[2:3], s[10:11]
	s_xor_b64 s[2:3], exec, s[2:3]
	s_cbranch_execz .LBB104_1978
.LBB104_1980:
	s_waitcnt vmcnt(0)
	v_and_b32_e32 v3, 0x7fff, v2
	v_cmp_ne_u16_e32 vcc, 0, v3
	s_nop 1
	v_cndmask_b32_e64 v3, 0, 1, vcc
	global_store_byte v[0:1], v3, off
	s_or_b64 exec, exec, s[2:3]
	s_and_saveexec_b64 s[2:3], s[0:1]
	s_cbranch_execz .LBB104_2018
.LBB104_1981:
	s_sext_i32_i16 s2, s20
	s_cmp_lt_i32 s2, 5
	s_mov_b64 s[0:1], -1
	s_cbranch_scc1 .LBB104_2002
; %bb.1982:
	s_cmp_lt_i32 s2, 8
	s_cbranch_scc1 .LBB104_1992
; %bb.1983:
	s_cmp_lt_i32 s2, 9
	s_cbranch_scc1 .LBB104_1989
; %bb.1984:
	s_cmp_gt_i32 s2, 9
	s_cbranch_scc0 .LBB104_1986
; %bb.1985:
	s_waitcnt vmcnt(0)
	v_lshlrev_b32_e32 v3, 16, v2
	v_mov_b32_e32 v6, 0
	v_cvt_f64_f32_e32 v[4:5], v3
	v_mov_b32_e32 v7, v6
	global_store_dwordx4 v[0:1], v[4:7], off
	s_mov_b64 s[0:1], 0
.LBB104_1986:
	s_andn2_b64 vcc, exec, s[0:1]
	s_cbranch_vccnz .LBB104_1988
; %bb.1987:
	s_waitcnt vmcnt(0)
	v_lshlrev_b32_e32 v4, 16, v2
	v_mov_b32_e32 v5, 0
	global_store_dwordx2 v[0:1], v[4:5], off
.LBB104_1988:
	s_mov_b64 s[0:1], 0
.LBB104_1989:
	s_andn2_b64 vcc, exec, s[0:1]
	s_cbranch_vccnz .LBB104_1991
; %bb.1990:
	s_waitcnt vmcnt(0)
	v_lshlrev_b32_e32 v3, 16, v2
	v_cvt_f16_f32_e32 v3, v3
	global_store_dword v[0:1], v3, off
.LBB104_1991:
	s_mov_b64 s[0:1], 0
.LBB104_1992:
	s_andn2_b64 vcc, exec, s[0:1]
	s_cbranch_vccnz .LBB104_2001
; %bb.1993:
	s_sext_i32_i16 s2, s20
	s_cmp_lt_i32 s2, 6
	s_mov_b64 s[0:1], -1
	s_cbranch_scc1 .LBB104_1999
; %bb.1994:
	s_cmp_gt_i32 s2, 6
	s_cbranch_scc0 .LBB104_1996
; %bb.1995:
	s_waitcnt vmcnt(0)
	v_lshlrev_b32_e32 v3, 16, v2
	v_cvt_f64_f32_e32 v[4:5], v3
	global_store_dwordx2 v[0:1], v[4:5], off
	s_mov_b64 s[0:1], 0
.LBB104_1996:
	s_andn2_b64 vcc, exec, s[0:1]
	s_cbranch_vccnz .LBB104_1998
; %bb.1997:
	s_waitcnt vmcnt(0)
	v_lshlrev_b32_e32 v3, 16, v2
	global_store_dword v[0:1], v3, off
.LBB104_1998:
	s_mov_b64 s[0:1], 0
.LBB104_1999:
	s_andn2_b64 vcc, exec, s[0:1]
	s_cbranch_vccnz .LBB104_2001
; %bb.2000:
	s_waitcnt vmcnt(0)
	v_lshlrev_b32_e32 v3, 16, v2
	v_cvt_f16_f32_e32 v3, v3
	global_store_short v[0:1], v3, off
.LBB104_2001:
	s_mov_b64 s[0:1], 0
.LBB104_2002:
	s_andn2_b64 vcc, exec, s[0:1]
	s_cbranch_vccnz .LBB104_2018
; %bb.2003:
	s_sext_i32_i16 s2, s20
	s_cmp_lt_i32 s2, 2
	s_mov_b64 s[0:1], -1
	s_cbranch_scc1 .LBB104_2013
; %bb.2004:
	s_cmp_lt_i32 s2, 3
	s_cbranch_scc1 .LBB104_2010
; %bb.2005:
	s_cmp_gt_i32 s2, 3
	s_cbranch_scc0 .LBB104_2007
; %bb.2006:
	s_waitcnt vmcnt(0)
	v_lshlrev_b32_e32 v3, 16, v2
	v_trunc_f32_e32 v3, v3
	s_mov_b32 s0, 0x2f800000
	v_mul_f32_e64 v4, |v3|, s0
	v_floor_f32_e32 v4, v4
	s_mov_b32 s0, 0xcf800000
	v_cvt_u32_f32_e32 v5, v4
	v_fma_f32 v4, v4, s0, |v3|
	v_cvt_u32_f32_e32 v4, v4
	v_ashrrev_i32_e32 v3, 31, v3
	v_xor_b32_e32 v5, v5, v3
	s_mov_b64 s[0:1], 0
	v_xor_b32_e32 v4, v4, v3
	v_sub_co_u32_e32 v4, vcc, v4, v3
	s_nop 1
	v_subb_co_u32_e32 v5, vcc, v5, v3, vcc
	global_store_dwordx2 v[0:1], v[4:5], off
.LBB104_2007:
	s_andn2_b64 vcc, exec, s[0:1]
	s_cbranch_vccnz .LBB104_2009
; %bb.2008:
	s_waitcnt vmcnt(0)
	v_lshlrev_b32_e32 v3, 16, v2
	v_cvt_i32_f32_e32 v3, v3
	global_store_dword v[0:1], v3, off
.LBB104_2009:
	s_mov_b64 s[0:1], 0
.LBB104_2010:
	s_andn2_b64 vcc, exec, s[0:1]
	s_cbranch_vccnz .LBB104_2012
; %bb.2011:
	s_waitcnt vmcnt(0)
	v_lshlrev_b32_e32 v3, 16, v2
	v_cvt_i32_f32_e32 v3, v3
	global_store_short v[0:1], v3, off
.LBB104_2012:
	s_mov_b64 s[0:1], 0
.LBB104_2013:
	s_andn2_b64 vcc, exec, s[0:1]
	s_cbranch_vccnz .LBB104_2018
; %bb.2014:
	s_sext_i32_i16 s2, s20
	s_mov_b64 s[0:1], -1
	s_cmp_gt_i32 s2, 0
	s_waitcnt vmcnt(0)
	v_lshlrev_b32_e32 v2, 16, v2
	s_cbranch_scc0 .LBB104_2016
; %bb.2015:
	v_cvt_i32_f32_e32 v3, v2
	s_mov_b64 s[0:1], 0
	global_store_byte v[0:1], v3, off
.LBB104_2016:
	s_andn2_b64 vcc, exec, s[0:1]
	s_cbranch_vccnz .LBB104_2018
; %bb.2017:
	v_trunc_f32_e32 v2, v2
	s_mov_b32 s0, 0x2f800000
	v_mul_f32_e64 v3, |v2|, s0
	v_floor_f32_e32 v3, v3
	s_mov_b32 s0, 0xcf800000
	v_fma_f32 v3, v3, s0, |v2|
	v_cvt_u32_f32_e32 v3, v3
	v_ashrrev_i32_e32 v2, 31, v2
	v_xor_b32_e32 v3, v3, v2
	v_sub_u32_e32 v2, v3, v2
	global_store_byte v[0:1], v2, off
	s_endpgm
.LBB104_2018:
	s_endpgm
.LBB104_2019:
	s_mov_b64 s[4:5], 0
	s_mov_b64 s[0:1], -1
	s_branch .LBB104_1975
.LBB104_2020:
	s_trap 2
	s_or_b64 s[14:15], s[14:15], exec
	s_cbranch_execz .LBB104_1489
	s_branch .LBB104_1490
.LBB104_2021:
	s_andn2_saveexec_b64 s[18:19], s[18:19]
	s_cbranch_execz .LBB104_1569
.LBB104_2022:
	s_mov_b32 s21, 0x46000000
	v_add_f32_e64 v4, |v9|, s21
	v_and_b32_e32 v4, 0xff, v4
	v_cmp_ne_u32_e32 vcc, 0, v4
	s_andn2_b64 s[16:17], s[16:17], exec
	s_and_b64 s[22:23], vcc, exec
	s_or_b64 s[16:17], s[16:17], s[22:23]
	s_or_b64 exec, exec, s[18:19]
	v_mov_b32_e32 v10, 0
	s_and_saveexec_b64 s[18:19], s[16:17]
	s_cbranch_execnz .LBB104_1570
	s_branch .LBB104_1571
.LBB104_2023:
	s_trap 2
	s_or_b64 s[14:15], s[14:15], exec
	s_cbranch_execz .LBB104_1617
	s_branch .LBB104_1618
.LBB104_2024:
	s_andn2_saveexec_b64 s[16:17], s[16:17]
	s_cbranch_execz .LBB104_1582
.LBB104_2025:
	s_mov_b32 s18, 0x42800000
	v_add_f32_e64 v4, |v9|, s18
	v_and_b32_e32 v4, 0xff, v4
	v_cmp_ne_u32_e32 vcc, 0, v4
	s_andn2_b64 s[10:11], s[10:11], exec
	s_and_b64 s[18:19], vcc, exec
	s_or_b64 s[10:11], s[10:11], s[18:19]
	s_or_b64 exec, exec, s[16:17]
	v_mov_b32_e32 v10, 0
	s_and_saveexec_b64 s[16:17], s[10:11]
	s_cbranch_execnz .LBB104_1583
	s_branch .LBB104_1584
.LBB104_2026:
	s_andn2_saveexec_b64 s[16:17], s[16:17]
	s_cbranch_execz .LBB104_1688
.LBB104_2027:
	s_mov_b32 s21, 0x46000000
	v_add_f32_e64 v5, |v6|, s21
	v_and_b32_e32 v5, 0xff, v5
	v_cmp_ne_u32_e32 vcc, 0, v5
	s_andn2_b64 s[10:11], s[10:11], exec
	s_and_b64 s[22:23], vcc, exec
	s_or_b64 s[10:11], s[10:11], s[22:23]
	s_or_b64 exec, exec, s[16:17]
	v_mov_b32_e32 v9, 0
	s_and_saveexec_b64 s[16:17], s[10:11]
	s_cbranch_execnz .LBB104_1689
	s_branch .LBB104_1690
.LBB104_2028:
	s_trap 2
	s_or_b64 s[14:15], s[14:15], exec
	s_cbranch_execz .LBB104_1736
	s_branch .LBB104_1737
.LBB104_2029:
	s_andn2_saveexec_b64 s[10:11], s[10:11]
	s_cbranch_execz .LBB104_1701
.LBB104_2030:
	s_mov_b32 s16, 0x42800000
	v_add_f32_e64 v5, |v6|, s16
	v_and_b32_e32 v5, 0xff, v5
	v_cmp_ne_u32_e32 vcc, 0, v5
	s_andn2_b64 s[8:9], s[8:9], exec
	s_and_b64 s[16:17], vcc, exec
	s_or_b64 s[8:9], s[8:9], s[16:17]
	s_or_b64 exec, exec, s[10:11]
	v_mov_b32_e32 v9, 0
	s_and_saveexec_b64 s[10:11], s[8:9]
	s_cbranch_execnz .LBB104_1702
	s_branch .LBB104_1703
.LBB104_2031:
	s_andn2_saveexec_b64 s[16:17], s[16:17]
	s_cbranch_execz .LBB104_1807
.LBB104_2032:
	s_mov_b32 s21, 0x46000000
	v_add_f32_e64 v5, |v6|, s21
	v_and_b32_e32 v5, 0xff, v5
	v_cmp_ne_u32_e32 vcc, 0, v5
	s_andn2_b64 s[10:11], s[10:11], exec
	s_and_b64 s[22:23], vcc, exec
	s_or_b64 s[10:11], s[10:11], s[22:23]
	s_or_b64 exec, exec, s[16:17]
	v_mov_b32_e32 v7, 0
	s_and_saveexec_b64 s[16:17], s[10:11]
	s_cbranch_execnz .LBB104_1808
	s_branch .LBB104_1809
.LBB104_2033:
	s_trap 2
	s_or_b64 s[14:15], s[14:15], exec
	s_cbranch_execz .LBB104_1855
	s_branch .LBB104_1856
.LBB104_2034:
	s_andn2_saveexec_b64 s[10:11], s[10:11]
	s_cbranch_execz .LBB104_1820
.LBB104_2035:
	s_mov_b32 s16, 0x42800000
	v_add_f32_e64 v5, |v6|, s16
	v_and_b32_e32 v5, 0xff, v5
	v_cmp_ne_u32_e32 vcc, 0, v5
	s_andn2_b64 s[8:9], s[8:9], exec
	s_and_b64 s[16:17], vcc, exec
	s_or_b64 s[8:9], s[8:9], s[16:17]
	s_or_b64 exec, exec, s[10:11]
	v_mov_b32_e32 v7, 0
	s_and_saveexec_b64 s[10:11], s[8:9]
	s_cbranch_execnz .LBB104_1821
	s_branch .LBB104_1822
.LBB104_2036:
	s_andn2_saveexec_b64 s[10:11], s[10:11]
	s_cbranch_execz .LBB104_1927
.LBB104_2037:
	s_mov_b32 s17, 0x46000000
	v_add_f32_e64 v4, |v5|, s17
	v_and_b32_e32 v4, 0xff, v4
	v_cmp_ne_u32_e32 vcc, 0, v4
	s_andn2_b64 s[8:9], s[8:9], exec
	s_and_b64 s[18:19], vcc, exec
	s_or_b64 s[8:9], s[8:9], s[18:19]
	s_or_b64 exec, exec, s[10:11]
	v_mov_b32_e32 v6, 0
	s_and_saveexec_b64 s[10:11], s[8:9]
	s_cbranch_execnz .LBB104_1928
	s_branch .LBB104_1929
.LBB104_2038:
	s_mov_b64 s[4:5], 0
	s_or_b64 s[14:15], s[14:15], exec
	s_trap 2
	s_branch .LBB104_1973
.LBB104_2039:
	s_andn2_saveexec_b64 s[8:9], s[8:9]
	s_cbranch_execz .LBB104_1939
.LBB104_2040:
	s_mov_b32 s10, 0x42800000
	v_add_f32_e64 v4, |v5|, s10
	v_and_b32_e32 v4, 0xff, v4
	v_cmp_ne_u32_e32 vcc, 0, v4
	s_andn2_b64 s[6:7], s[6:7], exec
	s_and_b64 s[10:11], vcc, exec
	s_or_b64 s[6:7], s[6:7], s[10:11]
	s_or_b64 exec, exec, s[8:9]
	v_mov_b32_e32 v6, 0
	s_and_saveexec_b64 s[8:9], s[6:7]
	s_cbranch_execnz .LBB104_1940
	s_branch .LBB104_1941
	.section	.rodata,"a",@progbits
	.p2align	6, 0x0
	.amdhsa_kernel _ZN2at6native32elementwise_kernel_manual_unrollILi128ELi4EZNS0_15gpu_kernel_implIZZZNS0_15exp_kernel_cudaERNS_18TensorIteratorBaseEENKUlvE0_clEvENKUlvE2_clEvEUlN3c108BFloat16EE_EEvS4_RKT_EUlibE_EEviT1_
		.amdhsa_group_segment_fixed_size 0
		.amdhsa_private_segment_fixed_size 0
		.amdhsa_kernarg_size 40
		.amdhsa_user_sgpr_count 2
		.amdhsa_user_sgpr_dispatch_ptr 0
		.amdhsa_user_sgpr_queue_ptr 0
		.amdhsa_user_sgpr_kernarg_segment_ptr 1
		.amdhsa_user_sgpr_dispatch_id 0
		.amdhsa_user_sgpr_kernarg_preload_length 0
		.amdhsa_user_sgpr_kernarg_preload_offset 0
		.amdhsa_user_sgpr_private_segment_size 0
		.amdhsa_uses_dynamic_stack 0
		.amdhsa_enable_private_segment 0
		.amdhsa_system_sgpr_workgroup_id_x 1
		.amdhsa_system_sgpr_workgroup_id_y 0
		.amdhsa_system_sgpr_workgroup_id_z 0
		.amdhsa_system_sgpr_workgroup_info 0
		.amdhsa_system_vgpr_workitem_id 0
		.amdhsa_next_free_vgpr 14
		.amdhsa_next_free_sgpr 44
		.amdhsa_accum_offset 16
		.amdhsa_reserve_vcc 1
		.amdhsa_float_round_mode_32 0
		.amdhsa_float_round_mode_16_64 0
		.amdhsa_float_denorm_mode_32 3
		.amdhsa_float_denorm_mode_16_64 3
		.amdhsa_dx10_clamp 1
		.amdhsa_ieee_mode 1
		.amdhsa_fp16_overflow 0
		.amdhsa_tg_split 0
		.amdhsa_exception_fp_ieee_invalid_op 0
		.amdhsa_exception_fp_denorm_src 0
		.amdhsa_exception_fp_ieee_div_zero 0
		.amdhsa_exception_fp_ieee_overflow 0
		.amdhsa_exception_fp_ieee_underflow 0
		.amdhsa_exception_fp_ieee_inexact 0
		.amdhsa_exception_int_div_zero 0
	.end_amdhsa_kernel
	.section	.text._ZN2at6native32elementwise_kernel_manual_unrollILi128ELi4EZNS0_15gpu_kernel_implIZZZNS0_15exp_kernel_cudaERNS_18TensorIteratorBaseEENKUlvE0_clEvENKUlvE2_clEvEUlN3c108BFloat16EE_EEvS4_RKT_EUlibE_EEviT1_,"axG",@progbits,_ZN2at6native32elementwise_kernel_manual_unrollILi128ELi4EZNS0_15gpu_kernel_implIZZZNS0_15exp_kernel_cudaERNS_18TensorIteratorBaseEENKUlvE0_clEvENKUlvE2_clEvEUlN3c108BFloat16EE_EEvS4_RKT_EUlibE_EEviT1_,comdat
.Lfunc_end104:
	.size	_ZN2at6native32elementwise_kernel_manual_unrollILi128ELi4EZNS0_15gpu_kernel_implIZZZNS0_15exp_kernel_cudaERNS_18TensorIteratorBaseEENKUlvE0_clEvENKUlvE2_clEvEUlN3c108BFloat16EE_EEvS4_RKT_EUlibE_EEviT1_, .Lfunc_end104-_ZN2at6native32elementwise_kernel_manual_unrollILi128ELi4EZNS0_15gpu_kernel_implIZZZNS0_15exp_kernel_cudaERNS_18TensorIteratorBaseEENKUlvE0_clEvENKUlvE2_clEvEUlN3c108BFloat16EE_EEvS4_RKT_EUlibE_EEviT1_
                                        ; -- End function
	.set _ZN2at6native32elementwise_kernel_manual_unrollILi128ELi4EZNS0_15gpu_kernel_implIZZZNS0_15exp_kernel_cudaERNS_18TensorIteratorBaseEENKUlvE0_clEvENKUlvE2_clEvEUlN3c108BFloat16EE_EEvS4_RKT_EUlibE_EEviT1_.num_vgpr, 14
	.set _ZN2at6native32elementwise_kernel_manual_unrollILi128ELi4EZNS0_15gpu_kernel_implIZZZNS0_15exp_kernel_cudaERNS_18TensorIteratorBaseEENKUlvE0_clEvENKUlvE2_clEvEUlN3c108BFloat16EE_EEvS4_RKT_EUlibE_EEviT1_.num_agpr, 0
	.set _ZN2at6native32elementwise_kernel_manual_unrollILi128ELi4EZNS0_15gpu_kernel_implIZZZNS0_15exp_kernel_cudaERNS_18TensorIteratorBaseEENKUlvE0_clEvENKUlvE2_clEvEUlN3c108BFloat16EE_EEvS4_RKT_EUlibE_EEviT1_.numbered_sgpr, 44
	.set _ZN2at6native32elementwise_kernel_manual_unrollILi128ELi4EZNS0_15gpu_kernel_implIZZZNS0_15exp_kernel_cudaERNS_18TensorIteratorBaseEENKUlvE0_clEvENKUlvE2_clEvEUlN3c108BFloat16EE_EEvS4_RKT_EUlibE_EEviT1_.num_named_barrier, 0
	.set _ZN2at6native32elementwise_kernel_manual_unrollILi128ELi4EZNS0_15gpu_kernel_implIZZZNS0_15exp_kernel_cudaERNS_18TensorIteratorBaseEENKUlvE0_clEvENKUlvE2_clEvEUlN3c108BFloat16EE_EEvS4_RKT_EUlibE_EEviT1_.private_seg_size, 0
	.set _ZN2at6native32elementwise_kernel_manual_unrollILi128ELi4EZNS0_15gpu_kernel_implIZZZNS0_15exp_kernel_cudaERNS_18TensorIteratorBaseEENKUlvE0_clEvENKUlvE2_clEvEUlN3c108BFloat16EE_EEvS4_RKT_EUlibE_EEviT1_.uses_vcc, 1
	.set _ZN2at6native32elementwise_kernel_manual_unrollILi128ELi4EZNS0_15gpu_kernel_implIZZZNS0_15exp_kernel_cudaERNS_18TensorIteratorBaseEENKUlvE0_clEvENKUlvE2_clEvEUlN3c108BFloat16EE_EEvS4_RKT_EUlibE_EEviT1_.uses_flat_scratch, 0
	.set _ZN2at6native32elementwise_kernel_manual_unrollILi128ELi4EZNS0_15gpu_kernel_implIZZZNS0_15exp_kernel_cudaERNS_18TensorIteratorBaseEENKUlvE0_clEvENKUlvE2_clEvEUlN3c108BFloat16EE_EEvS4_RKT_EUlibE_EEviT1_.has_dyn_sized_stack, 0
	.set _ZN2at6native32elementwise_kernel_manual_unrollILi128ELi4EZNS0_15gpu_kernel_implIZZZNS0_15exp_kernel_cudaERNS_18TensorIteratorBaseEENKUlvE0_clEvENKUlvE2_clEvEUlN3c108BFloat16EE_EEvS4_RKT_EUlibE_EEviT1_.has_recursion, 0
	.set _ZN2at6native32elementwise_kernel_manual_unrollILi128ELi4EZNS0_15gpu_kernel_implIZZZNS0_15exp_kernel_cudaERNS_18TensorIteratorBaseEENKUlvE0_clEvENKUlvE2_clEvEUlN3c108BFloat16EE_EEvS4_RKT_EUlibE_EEviT1_.has_indirect_call, 0
	.section	.AMDGPU.csdata,"",@progbits
; Kernel info:
; codeLenInByte = 39248
; TotalNumSgprs: 50
; NumVgprs: 14
; NumAgprs: 0
; TotalNumVgprs: 14
; ScratchSize: 0
; MemoryBound: 0
; FloatMode: 240
; IeeeMode: 1
; LDSByteSize: 0 bytes/workgroup (compile time only)
; SGPRBlocks: 6
; VGPRBlocks: 1
; NumSGPRsForWavesPerEU: 50
; NumVGPRsForWavesPerEU: 14
; AccumOffset: 16
; Occupancy: 8
; WaveLimiterHint : 0
; COMPUTE_PGM_RSRC2:SCRATCH_EN: 0
; COMPUTE_PGM_RSRC2:USER_SGPR: 2
; COMPUTE_PGM_RSRC2:TRAP_HANDLER: 0
; COMPUTE_PGM_RSRC2:TGID_X_EN: 1
; COMPUTE_PGM_RSRC2:TGID_Y_EN: 0
; COMPUTE_PGM_RSRC2:TGID_Z_EN: 0
; COMPUTE_PGM_RSRC2:TIDIG_COMP_CNT: 0
; COMPUTE_PGM_RSRC3_GFX90A:ACCUM_OFFSET: 3
; COMPUTE_PGM_RSRC3_GFX90A:TG_SPLIT: 0
	.section	.text._ZN2at6native32elementwise_kernel_manual_unrollILi128ELi4EZNS0_15gpu_kernel_implIZZZNS0_15exp_kernel_cudaERNS_18TensorIteratorBaseEENKUlvE0_clEvENKUlvE2_clEvEUlN3c108BFloat16EE_EEvS4_RKT_EUlibE0_EEviT1_,"axG",@progbits,_ZN2at6native32elementwise_kernel_manual_unrollILi128ELi4EZNS0_15gpu_kernel_implIZZZNS0_15exp_kernel_cudaERNS_18TensorIteratorBaseEENKUlvE0_clEvENKUlvE2_clEvEUlN3c108BFloat16EE_EEvS4_RKT_EUlibE0_EEviT1_,comdat
	.globl	_ZN2at6native32elementwise_kernel_manual_unrollILi128ELi4EZNS0_15gpu_kernel_implIZZZNS0_15exp_kernel_cudaERNS_18TensorIteratorBaseEENKUlvE0_clEvENKUlvE2_clEvEUlN3c108BFloat16EE_EEvS4_RKT_EUlibE0_EEviT1_ ; -- Begin function _ZN2at6native32elementwise_kernel_manual_unrollILi128ELi4EZNS0_15gpu_kernel_implIZZZNS0_15exp_kernel_cudaERNS_18TensorIteratorBaseEENKUlvE0_clEvENKUlvE2_clEvEUlN3c108BFloat16EE_EEvS4_RKT_EUlibE0_EEviT1_
	.p2align	8
	.type	_ZN2at6native32elementwise_kernel_manual_unrollILi128ELi4EZNS0_15gpu_kernel_implIZZZNS0_15exp_kernel_cudaERNS_18TensorIteratorBaseEENKUlvE0_clEvENKUlvE2_clEvEUlN3c108BFloat16EE_EEvS4_RKT_EUlibE0_EEviT1_,@function
_ZN2at6native32elementwise_kernel_manual_unrollILi128ELi4EZNS0_15gpu_kernel_implIZZZNS0_15exp_kernel_cudaERNS_18TensorIteratorBaseEENKUlvE0_clEvENKUlvE2_clEvEUlN3c108BFloat16EE_EEvS4_RKT_EUlibE0_EEviT1_: ; @_ZN2at6native32elementwise_kernel_manual_unrollILi128ELi4EZNS0_15gpu_kernel_implIZZZNS0_15exp_kernel_cudaERNS_18TensorIteratorBaseEENKUlvE0_clEvENKUlvE2_clEvEUlN3c108BFloat16EE_EEvS4_RKT_EUlibE0_EEviT1_
; %bb.0:
	s_load_dword s70, s[0:1], 0x0
	s_load_dword s33, s[0:1], 0x8
	s_add_u32 s34, s0, 8
	s_addc_u32 s35, s1, 0
	v_lshl_or_b32 v8, s2, 9, v0
	v_or_b32_e32 v16, 0x180, v8
	s_waitcnt lgkmcnt(0)
	s_add_i32 s72, s33, -1
	s_cmp_gt_u32 s72, 1
	v_cmp_le_i32_e32 vcc, s70, v16
	s_cselect_b64 s[42:43], -1, 0
	s_mov_b64 s[40:41], 0
	s_mov_b64 s[24:25], 0
	s_and_saveexec_b64 s[2:3], vcc
	s_xor_b64 s[44:45], exec, s[2:3]
	s_cbranch_execz .LBB105_1090
; %bb.1:
	v_mov_b32_e32 v0, 0
	global_load_ushort v0, v0, s[34:35] offset:345
	s_load_dwordx4 s[28:31], s[34:35], 0x4
	s_load_dwordx2 s[46:47], s[34:35], 0x14
	s_load_dwordx4 s[24:27], s[34:35], 0xc4
	s_load_dwordx4 s[20:23], s[34:35], 0x148
	s_cmp_lg_u32 s33, 0
	s_cselect_b64 s[52:53], -1, 0
	s_add_u32 s50, s34, 0xc4
	s_addc_u32 s51, s35, 0
	s_min_u32 s75, s72, 15
	s_cmp_gt_u32 s33, 1
	s_cselect_b64 s[48:49], -1, 0
	v_cmp_gt_i32_e32 vcc, s70, v8
	s_mov_b64 s[4:5], -1
	s_mov_b64 s[62:63], 0
	s_mov_b64 s[56:57], 0
	;; [unrolled: 1-line block ×3, first 2 shown]
	s_waitcnt vmcnt(0)
	v_readfirstlane_b32 s73, v0
	s_and_b32 s2, 0xffff, s73
	s_lshr_b32 s74, s2, 8
	s_and_saveexec_b64 s[58:59], vcc
	s_cbranch_execz .LBB105_267
; %bb.2:
	s_andn2_b64 vcc, exec, s[42:43]
	s_cbranch_vccnz .LBB105_8
; %bb.3:
	s_andn2_b64 vcc, exec, s[52:53]
	s_cbranch_vccnz .LBB105_9
; %bb.4:
	s_add_i32 s57, s75, 1
	s_cmp_eq_u32 s72, 2
	s_cbranch_scc1 .LBB105_10
; %bb.5:
	s_and_b32 s56, s57, 28
	s_mov_b32 s60, 0
	v_mov_b32_e32 v0, 0
	v_mov_b32_e32 v2, 0
	s_mov_b64 s[2:3], s[34:35]
	s_mov_b64 s[54:55], s[50:51]
	v_mov_b32_e32 v4, v8
.LBB105_6:                              ; =>This Inner Loop Header: Depth=1
	s_load_dwordx8 s[12:19], s[2:3], 0x4
	s_load_dwordx4 s[36:39], s[2:3], 0x24
	s_load_dwordx8 s[4:11], s[54:55], 0x0
	s_add_u32 s2, s2, 48
	s_addc_u32 s3, s3, 0
	s_waitcnt lgkmcnt(0)
	v_mul_hi_u32 v1, s13, v4
	v_add_u32_e32 v1, v4, v1
	v_lshrrev_b32_e32 v1, s14, v1
	v_mul_lo_u32 v3, v1, s12
	v_mul_hi_u32 v5, s16, v1
	v_sub_u32_e32 v3, v4, v3
	v_add_u32_e32 v4, v1, v5
	v_lshrrev_b32_e32 v4, s17, v4
	v_mul_lo_u32 v6, v4, s15
	v_mul_hi_u32 v7, s19, v4
	v_sub_u32_e32 v1, v1, v6
	v_add_u32_e32 v6, v4, v7
	v_mul_lo_u32 v5, v3, s5
	v_mul_lo_u32 v3, v3, s4
	;; [unrolled: 1-line block ×4, first 2 shown]
	v_lshrrev_b32_e32 v6, s36, v6
	v_add3_u32 v0, v3, v0, v1
	v_mul_hi_u32 v3, s38, v6
	v_add3_u32 v1, v5, v2, v7
	v_mul_lo_u32 v2, v6, s18
	v_add_u32_e32 v3, v6, v3
	v_sub_u32_e32 v2, v4, v2
	v_lshrrev_b32_e32 v4, s39, v3
	s_add_i32 s60, s60, 4
	v_mul_lo_u32 v3, v4, s37
	s_add_u32 s54, s54, 32
	v_sub_u32_e32 v3, v6, v3
	s_addc_u32 s55, s55, 0
	v_mul_lo_u32 v5, v2, s8
	v_mul_lo_u32 v2, v2, s9
	;; [unrolled: 1-line block ×4, first 2 shown]
	s_cmp_lg_u32 s56, s60
	v_add3_u32 v2, v2, v1, v3
	v_add3_u32 v0, v5, v0, v6
	s_cbranch_scc1 .LBB105_6
; %bb.7:
	v_mov_b32_e32 v1, v2
	s_branch .LBB105_11
.LBB105_8:
                                        ; implicit-def: $vgpr2
                                        ; implicit-def: $vgpr0
	s_branch .LBB105_15
.LBB105_9:
	v_mov_b32_e32 v2, 0
	v_mov_b32_e32 v0, 0
	s_branch .LBB105_14
.LBB105_10:
	v_mov_b32_e32 v0, 0
	s_mov_b32 s56, 0
	v_mov_b32_e32 v1, v0
                                        ; implicit-def: $vgpr2
	v_mov_b32_e32 v4, v8
.LBB105_11:
	s_and_b32 s6, s57, 3
	s_cmp_eq_u32 s6, 0
	s_cbranch_scc1 .LBB105_14
; %bb.12:
	s_lshl_b32 s2, s56, 3
	s_add_u32 s2, s34, s2
	s_addc_u32 s3, s35, 0
	s_add_u32 s2, s2, 0xc4
	s_addc_u32 s3, s3, 0
	s_mul_i32 s4, s56, 12
	s_add_u32 s4, s34, s4
	s_addc_u32 s5, s35, 0
.LBB105_13:                             ; =>This Inner Loop Header: Depth=1
	s_load_dwordx2 s[8:9], s[4:5], 0x4
	s_load_dword s7, s[4:5], 0xc
	s_load_dwordx2 s[10:11], s[2:3], 0x0
	v_mov_b32_e32 v2, v1
	s_add_u32 s4, s4, 12
	s_waitcnt lgkmcnt(0)
	v_mul_hi_u32 v1, s9, v4
	v_add_u32_e32 v1, v4, v1
	v_lshrrev_b32_e32 v1, s7, v1
	s_addc_u32 s5, s5, 0
	v_mul_lo_u32 v3, v1, s8
	s_add_u32 s2, s2, 8
	v_sub_u32_e32 v5, v4, v3
	s_addc_u32 s3, s3, 0
	s_add_i32 s6, s6, -1
	v_mov_b32_e32 v4, v1
	v_mad_u64_u32 v[2:3], s[8:9], v5, s11, v[2:3]
	v_mad_u64_u32 v[0:1], s[8:9], v5, s10, v[0:1]
	s_cmp_lg_u32 s6, 0
	v_mov_b32_e32 v1, v2
	s_cbranch_scc1 .LBB105_13
.LBB105_14:
	s_cbranch_execnz .LBB105_17
.LBB105_15:
	s_waitcnt lgkmcnt(0)
	v_mul_hi_u32 v0, s29, v8
	v_add_u32_e32 v0, v8, v0
	v_lshrrev_b32_e32 v1, s30, v0
	v_mul_lo_u32 v0, v1, s28
	v_sub_u32_e32 v0, v8, v0
	v_mul_lo_u32 v2, v0, s25
	s_andn2_b64 vcc, exec, s[48:49]
	v_mul_lo_u32 v0, v0, s24
	s_cbranch_vccnz .LBB105_17
; %bb.16:
	v_mul_hi_u32 v3, s46, v1
	v_add_u32_e32 v3, v1, v3
	v_lshrrev_b32_e32 v3, s47, v3
	v_mul_lo_u32 v3, v3, s31
	v_sub_u32_e32 v3, v1, v3
	v_mad_u64_u32 v[0:1], s[2:3], v3, s26, v[0:1]
	v_mad_u64_u32 v[2:3], s[2:3], v3, s27, v[2:3]
.LBB105_17:
	v_mov_b32_e32 v3, 0
	s_and_b32 s10, 0xffff, s74
	s_cmp_lt_i32 s10, 11
	s_waitcnt lgkmcnt(0)
	v_lshl_add_u64 v[2:3], s[22:23], 0, v[2:3]
	s_cbranch_scc1 .LBB105_24
; %bb.18:
	s_cmp_gt_i32 s10, 25
	s_cbranch_scc0 .LBB105_33
; %bb.19:
	s_cmp_gt_i32 s10, 28
	s_cbranch_scc0 .LBB105_36
	;; [unrolled: 3-line block ×4, first 2 shown]
; %bb.22:
	s_cmp_eq_u32 s10, 46
	s_mov_b64 s[6:7], 0
	s_cbranch_scc0 .LBB105_42
; %bb.23:
	global_load_dword v1, v[2:3], off
	s_mov_b64 s[2:3], -1
	s_mov_b64 s[4:5], 0
	s_branch .LBB105_44
.LBB105_24:
	s_mov_b64 s[4:5], 0
                                        ; implicit-def: $vgpr1
	s_mov_b64 s[2:3], 0
	s_cbranch_execnz .LBB105_217
.LBB105_25:
	s_andn2_b64 vcc, exec, s[2:3]
	s_cbranch_vccnz .LBB105_264
.LBB105_26:
	s_waitcnt vmcnt(0)
	v_lshlrev_b32_e32 v1, 16, v1
	v_mul_f32_e32 v2, 0x3fb8aa3b, v1
	s_mov_b32 s2, 0x3fb8aa3b
	v_rndne_f32_e32 v3, v2
	v_sub_f32_e32 v4, v2, v3
	v_fma_f32 v2, v1, s2, -v2
	v_fmamk_f32 v2, v1, 0x32a5705f, v2
	v_add_f32_e32 v2, v4, v2
	v_exp_f32_e32 v2, v2
	v_cvt_i32_f32_e32 v3, v3
	s_mov_b32 s2, 0xc2ce8ed0
	v_cmp_ngt_f32_e32 vcc, s2, v1
	s_mov_b32 s2, 0x42b17218
	v_ldexp_f32 v2, v2, v3
	v_cndmask_b32_e32 v2, 0, v2, vcc
	v_mov_b32_e32 v3, 0x7f800000
	v_cmp_nlt_f32_e32 vcc, s2, v1
	s_movk_i32 s2, 0x7fff
	s_and_b32 s12, s73, 0xff
	v_cndmask_b32_e32 v1, v3, v2, vcc
	v_bfe_u32 v2, v1, 16, 1
	v_add3_u32 v2, v1, v2, s2
	v_cmp_o_f32_e32 vcc, v1, v1
	v_mov_b32_e32 v1, 0x7fc0
	s_cmp_lt_i32 s12, 11
	v_cndmask_b32_sdwa v2, v1, v2, vcc dst_sel:DWORD dst_unused:UNUSED_PAD src0_sel:DWORD src1_sel:WORD_1
	v_mov_b32_e32 v1, 0
	v_lshl_add_u64 v[0:1], s[20:21], 0, v[0:1]
	s_cbranch_scc1 .LBB105_34
; %bb.27:
	s_and_b32 s13, 0xffff, s12
	s_cmp_gt_i32 s13, 25
	s_cbranch_scc0 .LBB105_37
; %bb.28:
	s_cmp_gt_i32 s13, 28
	s_cbranch_scc0 .LBB105_39
; %bb.29:
	s_cmp_gt_i32 s13, 43
	s_cbranch_scc0 .LBB105_41
; %bb.30:
	s_cmp_gt_i32 s13, 45
	s_cbranch_scc0 .LBB105_47
; %bb.31:
	s_mov_b64 s[8:9], 0
	s_mov_b64 s[2:3], -1
	s_cmp_eq_u32 s13, 46
	s_mov_b64 s[6:7], 0
	s_cbranch_scc0 .LBB105_48
; %bb.32:
	v_and_b32_e32 v3, 0xffff, v2
	global_store_dword v[0:1], v3, off
	s_mov_b64 s[6:7], -1
	s_mov_b64 s[2:3], 0
	s_branch .LBB105_48
.LBB105_33:
	s_mov_b64 s[4:5], 0
	s_mov_b64 s[2:3], 0
                                        ; implicit-def: $vgpr1
	s_cbranch_execnz .LBB105_182
	s_branch .LBB105_216
.LBB105_34:
	s_mov_b64 s[2:3], 0
	s_mov_b64 s[6:7], 0
	s_cbranch_execnz .LBB105_117
.LBB105_35:
	s_andn2_b64 vcc, exec, s[6:7]
	s_cbranch_vccnz .LBB105_265
	s_branch .LBB105_155
.LBB105_36:
	s_mov_b64 s[6:7], -1
	s_mov_b64 s[4:5], 0
	s_mov_b64 s[2:3], 0
                                        ; implicit-def: $vgpr1
	s_branch .LBB105_163
.LBB105_37:
	s_mov_b64 s[8:9], -1
	s_mov_b64 s[2:3], 0
	s_mov_b64 s[6:7], 0
	s_branch .LBB105_75
.LBB105_38:
	s_mov_b64 s[6:7], -1
	s_mov_b64 s[4:5], 0
	s_mov_b64 s[2:3], 0
                                        ; implicit-def: $vgpr1
	s_branch .LBB105_158
.LBB105_39:
	s_mov_b64 s[8:9], -1
	s_mov_b64 s[2:3], 0
	s_mov_b64 s[6:7], 0
	s_branch .LBB105_58
.LBB105_40:
	s_mov_b64 s[6:7], -1
	s_mov_b64 s[4:5], 0
	s_branch .LBB105_43
.LBB105_41:
	s_mov_b64 s[8:9], -1
	s_mov_b64 s[2:3], 0
	s_mov_b64 s[6:7], 0
	s_branch .LBB105_54
.LBB105_42:
	s_mov_b64 s[4:5], -1
.LBB105_43:
	s_mov_b64 s[2:3], 0
                                        ; implicit-def: $vgpr1
.LBB105_44:
	s_and_b64 vcc, exec, s[6:7]
	s_cbranch_vccz .LBB105_157
; %bb.45:
	s_cmp_eq_u32 s10, 44
	s_cbranch_scc0 .LBB105_156
; %bb.46:
	global_load_ubyte v1, v[2:3], off
	s_movk_i32 s4, 0xff
	v_mov_b32_e32 v4, 0x7f800001
	v_mov_b32_e32 v5, 0x400000
	;; [unrolled: 1-line block ×3, first 2 shown]
	s_mov_b64 s[2:3], -1
	s_waitcnt vmcnt(0)
	v_lshlrev_b32_e32 v7, 23, v1
	v_cmp_ne_u32_e32 vcc, s4, v1
	s_mov_b64 s[4:5], 0
	s_nop 0
	v_cndmask_b32_e32 v4, v4, v7, vcc
	v_cmp_ne_u32_e32 vcc, 0, v1
	s_nop 1
	v_cndmask_b32_e32 v1, v5, v4, vcc
	v_add_u32_e32 v4, 0x7fff, v1
	v_cmp_o_f32_e32 vcc, v1, v1
	s_nop 1
	v_cndmask_b32_sdwa v1, v6, v4, vcc dst_sel:DWORD dst_unused:UNUSED_PAD src0_sel:DWORD src1_sel:WORD_1
	s_branch .LBB105_157
.LBB105_47:
	s_mov_b64 s[8:9], -1
	s_mov_b64 s[2:3], 0
	s_mov_b64 s[6:7], 0
.LBB105_48:
	s_and_b64 vcc, exec, s[8:9]
	s_cbranch_vccz .LBB105_53
; %bb.49:
	s_cmp_eq_u32 s13, 44
	s_mov_b64 s[2:3], -1
	s_cbranch_scc0 .LBB105_53
; %bb.50:
	v_and_b32_e32 v4, 0xffff, v2
	v_bfe_u32 v3, v4, 7, 8
	s_movk_i32 s2, 0xff
	v_cmp_ne_u32_e32 vcc, s2, v3
	v_mov_b32_e32 v5, 0xff
	s_and_saveexec_b64 s[6:7], vcc
	s_cbranch_execz .LBB105_52
; %bb.51:
	v_lshlrev_b32_e32 v6, 16, v4
	s_mov_b32 s2, 0x3f0000
	v_lshrrev_b32_e32 v5, 7, v4
	v_and_b32_e32 v4, 64, v4
	v_and_or_b32 v3, v6, s2, v3
	v_cmp_ne_u32_e32 vcc, 0, v4
	v_cmp_ne_u32_e64 s[2:3], 0, v3
	s_and_b64 s[2:3], vcc, s[2:3]
	s_nop 0
	v_cndmask_b32_e64 v3, 0, 1, s[2:3]
	v_add_u32_e32 v5, v5, v3
.LBB105_52:
	s_or_b64 exec, exec, s[6:7]
	s_mov_b64 s[6:7], -1
	s_mov_b64 s[2:3], 0
	global_store_byte v[0:1], v5, off
.LBB105_53:
	s_mov_b64 s[8:9], 0
.LBB105_54:
	s_and_b64 vcc, exec, s[8:9]
	s_cbranch_vccz .LBB105_57
; %bb.55:
	s_cmp_eq_u32 s13, 29
	s_mov_b64 s[2:3], -1
	s_cbranch_scc0 .LBB105_57
; %bb.56:
	v_lshlrev_b32_e32 v3, 16, v2
	v_trunc_f32_e32 v3, v3
	v_mul_f32_e32 v4, 0x2f800000, v3
	v_floor_f32_e32 v4, v4
	v_fmamk_f32 v3, v4, 0xcf800000, v3
	v_cvt_u32_f32_e32 v5, v4
	v_cvt_u32_f32_e32 v4, v3
	s_mov_b64 s[6:7], -1
	s_mov_b64 s[2:3], 0
	s_mov_b64 s[8:9], 0
	global_store_dwordx2 v[0:1], v[4:5], off
	s_branch .LBB105_58
.LBB105_57:
	s_mov_b64 s[8:9], 0
.LBB105_58:
	s_and_b64 vcc, exec, s[8:9]
	s_cbranch_vccz .LBB105_74
; %bb.59:
	s_cmp_lt_i32 s13, 27
	s_mov_b64 s[6:7], -1
	s_cbranch_scc1 .LBB105_65
; %bb.60:
	s_cmp_gt_i32 s13, 27
	s_cbranch_scc0 .LBB105_62
; %bb.61:
	v_lshlrev_b32_e32 v3, 16, v2
	v_cvt_u32_f32_e32 v3, v3
	s_mov_b64 s[6:7], 0
	global_store_dword v[0:1], v3, off
.LBB105_62:
	s_andn2_b64 vcc, exec, s[6:7]
	s_cbranch_vccnz .LBB105_64
; %bb.63:
	v_lshlrev_b32_e32 v3, 16, v2
	v_cvt_u32_f32_e32 v3, v3
	global_store_short v[0:1], v3, off
.LBB105_64:
	s_mov_b64 s[6:7], 0
.LBB105_65:
	s_andn2_b64 vcc, exec, s[6:7]
	s_cbranch_vccnz .LBB105_73
; %bb.66:
	v_lshlrev_b32_e32 v5, 16, v2
	v_and_b32_e32 v4, 0x7fffffff, v5
	s_mov_b32 s6, 0x43800000
	v_cmp_gt_u32_e32 vcc, s6, v4
	v_mov_b32_e32 v6, 0x80
	s_and_saveexec_b64 s[6:7], vcc
	s_cbranch_execz .LBB105_72
; %bb.67:
	s_mov_b32 s8, 0x3bffffff
	v_and_b32_e32 v3, 0xffff, v2
	v_cmp_lt_u32_e32 vcc, s8, v4
	s_mov_b64 s[8:9], 0
                                        ; implicit-def: $vgpr4
	s_and_saveexec_b64 s[10:11], vcc
	s_xor_b64 s[10:11], exec, s[10:11]
	s_cbranch_execz .LBB105_309
; %bb.68:
	v_bfe_u32 v4, v3, 4, 1
	s_mov_b32 s14, 0x487ffff
	v_add3_u32 v4, v5, v4, s14
	s_mov_b64 s[8:9], exec
	v_lshrrev_b32_e32 v4, 20, v4
                                        ; implicit-def: $vgpr5
	s_andn2_saveexec_b64 s[10:11], s[10:11]
	s_cbranch_execnz .LBB105_310
.LBB105_69:
	s_or_b64 exec, exec, s[10:11]
	v_mov_b32_e32 v6, 0
	s_and_saveexec_b64 s[10:11], s[8:9]
.LBB105_70:
	v_lshrrev_b32_e32 v3, 8, v3
	s_movk_i32 s8, 0x80
	v_and_or_b32 v6, v3, s8, v4
.LBB105_71:
	s_or_b64 exec, exec, s[10:11]
.LBB105_72:
	s_or_b64 exec, exec, s[6:7]
	global_store_byte v[0:1], v6, off
.LBB105_73:
	s_mov_b64 s[6:7], -1
.LBB105_74:
	s_mov_b64 s[8:9], 0
.LBB105_75:
	s_and_b64 vcc, exec, s[8:9]
	s_cbranch_vccz .LBB105_116
; %bb.76:
	s_cmp_gt_i32 s13, 22
	s_mov_b64 s[8:9], -1
	s_cbranch_scc0 .LBB105_108
; %bb.77:
	s_cmp_lt_i32 s13, 24
	s_mov_b64 s[6:7], -1
	s_cbranch_scc1 .LBB105_97
; %bb.78:
	s_cmp_gt_i32 s13, 24
	s_cbranch_scc0 .LBB105_86
; %bb.79:
	v_lshlrev_b32_e32 v5, 16, v2
	v_and_b32_e32 v4, 0x7fffffff, v5
	s_mov_b32 s6, 0x47800000
	v_cmp_gt_u32_e32 vcc, s6, v4
	v_mov_b32_e32 v6, 0x80
	s_and_saveexec_b64 s[6:7], vcc
	s_cbranch_execz .LBB105_85
; %bb.80:
	s_mov_b32 s8, 0x37ffffff
	v_and_b32_e32 v3, 0xffff, v2
	v_cmp_lt_u32_e32 vcc, s8, v4
	s_mov_b64 s[8:9], 0
                                        ; implicit-def: $vgpr4
	s_and_saveexec_b64 s[10:11], vcc
	s_xor_b64 s[10:11], exec, s[10:11]
	s_cbranch_execz .LBB105_313
; %bb.81:
	v_bfe_u32 v4, v3, 5, 1
	s_mov_b32 s14, 0x88fffff
	v_add3_u32 v4, v5, v4, s14
	s_mov_b64 s[8:9], exec
	v_lshrrev_b32_e32 v4, 21, v4
                                        ; implicit-def: $vgpr5
	s_andn2_saveexec_b64 s[10:11], s[10:11]
	s_cbranch_execnz .LBB105_314
.LBB105_82:
	s_or_b64 exec, exec, s[10:11]
	v_mov_b32_e32 v6, 0
	s_and_saveexec_b64 s[10:11], s[8:9]
.LBB105_83:
	v_lshrrev_b32_e32 v3, 8, v3
	s_movk_i32 s8, 0x80
	v_and_or_b32 v6, v3, s8, v4
.LBB105_84:
	s_or_b64 exec, exec, s[10:11]
.LBB105_85:
	s_or_b64 exec, exec, s[6:7]
	s_mov_b64 s[6:7], 0
	global_store_byte v[0:1], v6, off
.LBB105_86:
	s_and_b64 vcc, exec, s[6:7]
	s_cbranch_vccz .LBB105_96
; %bb.87:
	v_lshlrev_b32_e32 v5, 16, v2
	v_and_b32_e32 v6, 0x7fffffff, v5
	s_mov_b32 s6, 0x43f00000
	v_and_b32_e32 v3, 0xffff, v2
	v_cmp_gt_u32_e32 vcc, s6, v6
                                        ; implicit-def: $vgpr4
	s_and_saveexec_b64 s[6:7], vcc
	s_xor_b64 s[6:7], exec, s[6:7]
	s_cbranch_execz .LBB105_93
; %bb.88:
	s_mov_b32 s8, 0x3c7fffff
	v_cmp_lt_u32_e32 vcc, s8, v6
                                        ; implicit-def: $vgpr4
	s_and_saveexec_b64 s[8:9], vcc
	s_xor_b64 s[8:9], exec, s[8:9]
; %bb.89:
	v_bfe_u32 v4, v3, 4, 1
	s_mov_b32 s10, 0x407ffff
	v_add3_u32 v4, v5, v4, s10
	v_lshrrev_b32_e32 v5, 20, v4
	v_and_b32_e32 v4, 0xff00000, v4
	s_mov_b32 s10, 0x7f00000
	v_mov_b32_e32 v6, 0x7e
	v_cmp_ne_u32_e32 vcc, s10, v4
	s_nop 1
	v_cndmask_b32_e32 v4, v6, v5, vcc
                                        ; implicit-def: $vgpr5
; %bb.90:
	s_andn2_saveexec_b64 s[8:9], s[8:9]
; %bb.91:
	s_mov_b32 s10, 0x46800000
	v_add_f32_e64 v4, |v5|, s10
; %bb.92:
	s_or_b64 exec, exec, s[8:9]
                                        ; implicit-def: $vgpr6
.LBB105_93:
	s_andn2_saveexec_b64 s[6:7], s[6:7]
; %bb.94:
	s_mov_b32 s8, 0x7f800000
	v_mov_b32_e32 v4, 0x7e
	v_mov_b32_e32 v5, 0x7f
	v_cmp_lt_u32_e32 vcc, s8, v6
	s_nop 1
	v_cndmask_b32_e32 v4, v4, v5, vcc
; %bb.95:
	s_or_b64 exec, exec, s[6:7]
	v_lshrrev_b32_e32 v3, 8, v3
	s_movk_i32 s6, 0x80
	v_and_or_b32 v3, v3, s6, v4
	global_store_byte v[0:1], v3, off
.LBB105_96:
	s_mov_b64 s[6:7], 0
.LBB105_97:
	s_andn2_b64 vcc, exec, s[6:7]
	s_cbranch_vccnz .LBB105_107
; %bb.98:
	v_lshlrev_b32_e32 v5, 16, v2
	v_and_b32_e32 v6, 0x7fffffff, v5
	s_mov_b32 s6, 0x47800000
	v_and_b32_e32 v3, 0xffff, v2
	v_cmp_gt_u32_e32 vcc, s6, v6
                                        ; implicit-def: $vgpr4
	s_and_saveexec_b64 s[6:7], vcc
	s_xor_b64 s[6:7], exec, s[6:7]
	s_cbranch_execz .LBB105_104
; %bb.99:
	s_mov_b32 s8, 0x387fffff
	v_cmp_lt_u32_e32 vcc, s8, v6
                                        ; implicit-def: $vgpr4
	s_and_saveexec_b64 s[8:9], vcc
	s_xor_b64 s[8:9], exec, s[8:9]
; %bb.100:
	v_bfe_u32 v4, v3, 5, 1
	s_mov_b32 s10, 0x80fffff
	v_add3_u32 v4, v5, v4, s10
	v_lshrrev_b32_e32 v4, 21, v4
                                        ; implicit-def: $vgpr5
; %bb.101:
	s_andn2_saveexec_b64 s[8:9], s[8:9]
; %bb.102:
	s_mov_b32 s10, 0x43000000
	v_add_f32_e64 v4, |v5|, s10
; %bb.103:
	s_or_b64 exec, exec, s[8:9]
                                        ; implicit-def: $vgpr6
.LBB105_104:
	s_andn2_saveexec_b64 s[6:7], s[6:7]
; %bb.105:
	s_mov_b32 s8, 0x7f800000
	v_mov_b32_e32 v4, 0x7c
	v_mov_b32_e32 v5, 0x7f
	v_cmp_lt_u32_e32 vcc, s8, v6
	s_nop 1
	v_cndmask_b32_e32 v4, v4, v5, vcc
; %bb.106:
	s_or_b64 exec, exec, s[6:7]
	v_lshrrev_b32_e32 v3, 8, v3
	s_movk_i32 s6, 0x80
	v_and_or_b32 v3, v3, s6, v4
	global_store_byte v[0:1], v3, off
.LBB105_107:
	s_mov_b64 s[8:9], 0
	s_mov_b64 s[6:7], -1
.LBB105_108:
	s_andn2_b64 vcc, exec, s[8:9]
	s_cbranch_vccnz .LBB105_116
; %bb.109:
	s_cmp_gt_i32 s13, 14
	s_mov_b64 s[8:9], -1
	s_cbranch_scc0 .LBB105_113
; %bb.110:
	s_cmp_eq_u32 s13, 15
	s_mov_b64 s[2:3], -1
	s_cbranch_scc0 .LBB105_112
; %bb.111:
	global_store_short v[0:1], v2, off
	s_mov_b64 s[6:7], -1
	s_mov_b64 s[2:3], 0
.LBB105_112:
	s_mov_b64 s[8:9], 0
.LBB105_113:
	s_and_b64 vcc, exec, s[8:9]
	s_cbranch_vccz .LBB105_116
; %bb.114:
	s_cmp_eq_u32 s13, 11
	s_mov_b64 s[2:3], -1
	s_cbranch_scc0 .LBB105_116
; %bb.115:
	v_and_b32_e32 v3, 0x7fff, v2
	v_cmp_ne_u16_e32 vcc, 0, v3
	s_mov_b64 s[6:7], -1
	s_mov_b64 s[2:3], 0
	v_cndmask_b32_e64 v3, 0, 1, vcc
	global_store_byte v[0:1], v3, off
.LBB105_116:
	s_branch .LBB105_35
.LBB105_117:
	s_and_b32 s8, 0xffff, s12
	s_cmp_lt_i32 s8, 5
	s_mov_b64 s[6:7], -1
	s_cbranch_scc1 .LBB105_138
; %bb.118:
	s_cmp_lt_i32 s8, 8
	s_cbranch_scc1 .LBB105_128
; %bb.119:
	s_cmp_lt_i32 s8, 9
	s_cbranch_scc1 .LBB105_125
; %bb.120:
	s_cmp_gt_i32 s8, 9
	s_cbranch_scc0 .LBB105_122
; %bb.121:
	v_lshlrev_b32_e32 v3, 16, v2
	v_mov_b32_e32 v6, 0
	v_cvt_f64_f32_e32 v[4:5], v3
	v_mov_b32_e32 v7, v6
	global_store_dwordx4 v[0:1], v[4:7], off
	s_mov_b64 s[6:7], 0
.LBB105_122:
	s_andn2_b64 vcc, exec, s[6:7]
	s_cbranch_vccnz .LBB105_124
; %bb.123:
	v_lshlrev_b32_e32 v4, 16, v2
	v_mov_b32_e32 v5, 0
	global_store_dwordx2 v[0:1], v[4:5], off
.LBB105_124:
	s_mov_b64 s[6:7], 0
.LBB105_125:
	s_andn2_b64 vcc, exec, s[6:7]
	s_cbranch_vccnz .LBB105_127
; %bb.126:
	v_lshlrev_b32_e32 v3, 16, v2
	v_cvt_f16_f32_e32 v3, v3
	global_store_dword v[0:1], v3, off
.LBB105_127:
	s_mov_b64 s[6:7], 0
.LBB105_128:
	s_andn2_b64 vcc, exec, s[6:7]
	s_cbranch_vccnz .LBB105_137
; %bb.129:
	s_cmp_lt_i32 s8, 6
	s_mov_b64 s[6:7], -1
	s_cbranch_scc1 .LBB105_135
; %bb.130:
	s_cmp_gt_i32 s8, 6
	s_cbranch_scc0 .LBB105_132
; %bb.131:
	v_lshlrev_b32_e32 v3, 16, v2
	v_cvt_f64_f32_e32 v[4:5], v3
	global_store_dwordx2 v[0:1], v[4:5], off
	s_mov_b64 s[6:7], 0
.LBB105_132:
	s_andn2_b64 vcc, exec, s[6:7]
	s_cbranch_vccnz .LBB105_134
; %bb.133:
	v_lshlrev_b32_e32 v3, 16, v2
	global_store_dword v[0:1], v3, off
.LBB105_134:
	s_mov_b64 s[6:7], 0
.LBB105_135:
	s_andn2_b64 vcc, exec, s[6:7]
	s_cbranch_vccnz .LBB105_137
; %bb.136:
	v_lshlrev_b32_e32 v3, 16, v2
	v_cvt_f16_f32_e32 v3, v3
	global_store_short v[0:1], v3, off
.LBB105_137:
	s_mov_b64 s[6:7], 0
.LBB105_138:
	s_andn2_b64 vcc, exec, s[6:7]
	s_cbranch_vccnz .LBB105_154
; %bb.139:
	s_cmp_lt_i32 s8, 2
	s_mov_b64 s[6:7], -1
	s_cbranch_scc1 .LBB105_149
; %bb.140:
	s_cmp_lt_i32 s8, 3
	s_cbranch_scc1 .LBB105_146
; %bb.141:
	s_cmp_gt_i32 s8, 3
	s_cbranch_scc0 .LBB105_143
; %bb.142:
	v_lshlrev_b32_e32 v3, 16, v2
	v_trunc_f32_e32 v3, v3
	s_mov_b32 s6, 0x2f800000
	v_mul_f32_e64 v4, |v3|, s6
	v_floor_f32_e32 v4, v4
	s_mov_b32 s6, 0xcf800000
	v_cvt_u32_f32_e32 v5, v4
	v_fma_f32 v4, v4, s6, |v3|
	v_cvt_u32_f32_e32 v4, v4
	v_ashrrev_i32_e32 v3, 31, v3
	v_xor_b32_e32 v5, v5, v3
	s_mov_b64 s[6:7], 0
	v_xor_b32_e32 v4, v4, v3
	v_sub_co_u32_e32 v4, vcc, v4, v3
	s_nop 1
	v_subb_co_u32_e32 v5, vcc, v5, v3, vcc
	global_store_dwordx2 v[0:1], v[4:5], off
.LBB105_143:
	s_andn2_b64 vcc, exec, s[6:7]
	s_cbranch_vccnz .LBB105_145
; %bb.144:
	v_lshlrev_b32_e32 v3, 16, v2
	v_cvt_i32_f32_e32 v3, v3
	global_store_dword v[0:1], v3, off
.LBB105_145:
	s_mov_b64 s[6:7], 0
.LBB105_146:
	s_andn2_b64 vcc, exec, s[6:7]
	s_cbranch_vccnz .LBB105_148
; %bb.147:
	v_lshlrev_b32_e32 v3, 16, v2
	v_cvt_i32_f32_e32 v3, v3
	global_store_short v[0:1], v3, off
.LBB105_148:
	s_mov_b64 s[6:7], 0
.LBB105_149:
	s_andn2_b64 vcc, exec, s[6:7]
	s_cbranch_vccnz .LBB105_154
; %bb.150:
	s_cmp_gt_i32 s8, 0
	s_mov_b64 s[6:7], -1
	s_cbranch_scc0 .LBB105_152
; %bb.151:
	v_lshlrev_b32_e32 v3, 16, v2
	v_cvt_i32_f32_e32 v3, v3
	s_mov_b64 s[6:7], 0
	global_store_byte v[0:1], v3, off
.LBB105_152:
	s_andn2_b64 vcc, exec, s[6:7]
	s_cbranch_vccnz .LBB105_154
; %bb.153:
	v_lshlrev_b32_e32 v2, 16, v2
	v_trunc_f32_e32 v2, v2
	s_mov_b32 s6, 0x2f800000
	v_mul_f32_e64 v3, |v2|, s6
	v_floor_f32_e32 v3, v3
	s_mov_b32 s6, 0xcf800000
	v_fma_f32 v3, v3, s6, |v2|
	v_cvt_u32_f32_e32 v3, v3
	v_ashrrev_i32_e32 v2, 31, v2
	v_xor_b32_e32 v3, v3, v2
	v_sub_u32_e32 v2, v3, v2
	global_store_byte v[0:1], v2, off
.LBB105_154:
.LBB105_155:
	v_add_u32_e32 v8, 0x80, v8
	s_mov_b64 s[6:7], -1
	s_branch .LBB105_266
.LBB105_156:
	s_mov_b64 s[4:5], -1
                                        ; implicit-def: $vgpr1
.LBB105_157:
	s_mov_b64 s[6:7], 0
.LBB105_158:
	s_and_b64 vcc, exec, s[6:7]
	s_cbranch_vccz .LBB105_162
; %bb.159:
	s_cmp_eq_u32 s10, 29
	s_cbranch_scc0 .LBB105_161
; %bb.160:
	global_load_dwordx2 v[4:5], v[2:3], off
	s_movk_i32 s4, 0x7fff
	s_mov_b64 s[2:3], -1
	s_mov_b64 s[6:7], 0
	s_waitcnt vmcnt(0)
	v_ffbh_u32_e32 v1, v5
	v_min_u32_e32 v1, 32, v1
	v_lshlrev_b64 v[4:5], v1, v[4:5]
	v_min_u32_e32 v4, 1, v4
	v_or_b32_e32 v4, v5, v4
	v_cvt_f32_u32_e32 v4, v4
	v_sub_u32_e32 v1, 32, v1
	v_ldexp_f32 v1, v4, v1
	v_bfe_u32 v4, v1, 16, 1
	v_add3_u32 v1, v1, v4, s4
	v_lshrrev_b32_e32 v1, 16, v1
	s_mov_b64 s[4:5], 0
	s_branch .LBB105_163
.LBB105_161:
	s_mov_b64 s[4:5], -1
                                        ; implicit-def: $vgpr1
.LBB105_162:
	s_mov_b64 s[6:7], 0
.LBB105_163:
	s_and_b64 vcc, exec, s[6:7]
	s_cbranch_vccz .LBB105_181
; %bb.164:
	s_cmp_lt_i32 s10, 27
	s_cbranch_scc1 .LBB105_167
; %bb.165:
	s_cmp_gt_i32 s10, 27
	s_cbranch_scc0 .LBB105_168
; %bb.166:
	global_load_dword v1, v[2:3], off
	s_movk_i32 s2, 0x7fff
	s_waitcnt vmcnt(0)
	v_cvt_f32_u32_e32 v1, v1
	v_bfe_u32 v4, v1, 16, 1
	v_add3_u32 v1, v1, v4, s2
	v_lshrrev_b32_e32 v1, 16, v1
	s_mov_b64 s[2:3], 0
	s_branch .LBB105_169
.LBB105_167:
	s_mov_b64 s[2:3], -1
                                        ; implicit-def: $vgpr1
	s_branch .LBB105_172
.LBB105_168:
	s_mov_b64 s[2:3], -1
                                        ; implicit-def: $vgpr1
.LBB105_169:
	s_andn2_b64 vcc, exec, s[2:3]
	s_cbranch_vccnz .LBB105_171
; %bb.170:
	global_load_ushort v1, v[2:3], off
	s_movk_i32 s2, 0x7fff
	s_waitcnt vmcnt(0)
	v_cvt_f32_u32_e32 v1, v1
	v_bfe_u32 v4, v1, 16, 1
	v_add3_u32 v1, v1, v4, s2
	v_lshrrev_b32_e32 v1, 16, v1
.LBB105_171:
	s_mov_b64 s[2:3], 0
.LBB105_172:
	s_andn2_b64 vcc, exec, s[2:3]
	s_cbranch_vccnz .LBB105_180
; %bb.173:
	global_load_ubyte v1, v[2:3], off
	s_movk_i32 s2, 0x7f
	s_waitcnt vmcnt(0)
	v_cmp_lt_i16_e32 vcc, s2, v1
	s_mov_b64 s[2:3], 0
	s_and_saveexec_b64 s[6:7], vcc
	s_xor_b64 s[6:7], exec, s[6:7]
	s_cbranch_execz .LBB105_193
; %bb.174:
	s_movk_i32 s2, 0x80
	v_cmp_eq_u16_e32 vcc, s2, v1
	s_mov_b64 s[2:3], -1
	s_and_saveexec_b64 s[8:9], vcc
; %bb.175:
	s_xor_b64 s[2:3], exec, -1
; %bb.176:
	s_or_b64 exec, exec, s[8:9]
	s_and_b64 s[2:3], s[2:3], exec
	s_or_saveexec_b64 s[6:7], s[6:7]
	v_mov_b32_e32 v4, 0x7f800001
	s_xor_b64 exec, exec, s[6:7]
	s_cbranch_execnz .LBB105_194
.LBB105_177:
	s_or_b64 exec, exec, s[6:7]
	s_and_saveexec_b64 s[6:7], s[2:3]
	s_cbranch_execz .LBB105_179
.LBB105_178:
	v_lshlrev_b32_e32 v4, 24, v1
	v_and_b32_e32 v1, 0xffff, v1
	v_and_b32_e32 v5, 7, v1
	v_ffbh_u32_e32 v7, v5
	v_min_u32_e32 v7, 32, v7
	v_subrev_u32_e32 v9, 28, v7
	v_bfe_u32 v6, v1, 3, 4
	v_lshlrev_b32_e32 v1, v9, v1
	v_sub_u32_e32 v7, 29, v7
	v_and_b32_e32 v1, 7, v1
	v_cmp_eq_u32_e32 vcc, 0, v6
	v_and_b32_e32 v4, 0x80000000, v4
	s_nop 0
	v_cndmask_b32_e32 v6, v6, v7, vcc
	v_cndmask_b32_e32 v1, v5, v1, vcc
	v_mov_b32_e32 v5, 0x3b800000
	v_lshlrev_b32_e32 v1, 20, v1
	v_lshl_add_u32 v5, v6, 23, v5
	v_or3_b32 v4, v4, v5, v1
.LBB105_179:
	s_or_b64 exec, exec, s[6:7]
	v_bfe_u32 v1, v4, 16, 1
	s_movk_i32 s2, 0x7fff
	v_add3_u32 v1, v4, v1, s2
	v_cmp_o_f32_e32 vcc, v4, v4
	v_mov_b32_e32 v4, 0x7fc0
	s_nop 0
	v_cndmask_b32_sdwa v1, v4, v1, vcc dst_sel:DWORD dst_unused:UNUSED_PAD src0_sel:DWORD src1_sel:WORD_1
.LBB105_180:
	s_mov_b64 s[2:3], -1
.LBB105_181:
	s_branch .LBB105_216
.LBB105_182:
	s_cmp_gt_i32 s10, 22
	s_cbranch_scc0 .LBB105_192
; %bb.183:
	s_cmp_lt_i32 s10, 24
	s_cbranch_scc1 .LBB105_195
; %bb.184:
	s_cmp_gt_i32 s10, 24
	s_cbranch_scc0 .LBB105_196
; %bb.185:
	global_load_ubyte v1, v[2:3], off
	s_movk_i32 s2, 0x7f
	s_waitcnt vmcnt(0)
	v_cmp_lt_i16_e32 vcc, s2, v1
	s_mov_b64 s[2:3], 0
	s_and_saveexec_b64 s[6:7], vcc
	s_xor_b64 s[6:7], exec, s[6:7]
	s_cbranch_execz .LBB105_208
; %bb.186:
	s_movk_i32 s2, 0x80
	v_cmp_eq_u16_e32 vcc, s2, v1
	s_mov_b64 s[2:3], -1
	s_and_saveexec_b64 s[8:9], vcc
; %bb.187:
	s_xor_b64 s[2:3], exec, -1
; %bb.188:
	s_or_b64 exec, exec, s[8:9]
	s_and_b64 s[2:3], s[2:3], exec
	s_or_saveexec_b64 s[6:7], s[6:7]
	v_mov_b32_e32 v4, 0x7f800001
	s_xor_b64 exec, exec, s[6:7]
	s_cbranch_execnz .LBB105_209
.LBB105_189:
	s_or_b64 exec, exec, s[6:7]
	s_and_saveexec_b64 s[6:7], s[2:3]
	s_cbranch_execz .LBB105_191
.LBB105_190:
	v_lshlrev_b32_e32 v4, 24, v1
	v_and_b32_e32 v1, 0xffff, v1
	v_and_b32_e32 v5, 3, v1
	v_ffbh_u32_e32 v7, v5
	v_min_u32_e32 v7, 32, v7
	v_subrev_u32_e32 v9, 29, v7
	v_bfe_u32 v6, v1, 2, 5
	v_lshlrev_b32_e32 v1, v9, v1
	v_sub_u32_e32 v7, 30, v7
	v_and_b32_e32 v1, 3, v1
	v_cmp_eq_u32_e32 vcc, 0, v6
	v_and_b32_e32 v4, 0x80000000, v4
	s_nop 0
	v_cndmask_b32_e32 v6, v6, v7, vcc
	v_cndmask_b32_e32 v1, v5, v1, vcc
	v_mov_b32_e32 v5, 0x37800000
	v_lshlrev_b32_e32 v1, 21, v1
	v_lshl_add_u32 v5, v6, 23, v5
	v_or3_b32 v4, v4, v5, v1
.LBB105_191:
	s_or_b64 exec, exec, s[6:7]
	v_bfe_u32 v1, v4, 16, 1
	s_movk_i32 s2, 0x7fff
	v_add3_u32 v1, v4, v1, s2
	v_cmp_o_f32_e32 vcc, v4, v4
	v_mov_b32_e32 v4, 0x7fc0
	s_mov_b64 s[2:3], 0
	v_cndmask_b32_sdwa v1, v4, v1, vcc dst_sel:DWORD dst_unused:UNUSED_PAD src0_sel:DWORD src1_sel:WORD_1
	s_branch .LBB105_197
.LBB105_192:
	s_mov_b64 s[6:7], -1
                                        ; implicit-def: $vgpr1
	s_branch .LBB105_203
.LBB105_193:
	s_or_saveexec_b64 s[6:7], s[6:7]
	v_mov_b32_e32 v4, 0x7f800001
	s_xor_b64 exec, exec, s[6:7]
	s_cbranch_execz .LBB105_177
.LBB105_194:
	v_cmp_ne_u16_e32 vcc, 0, v1
	s_andn2_b64 s[2:3], s[2:3], exec
	s_and_b64 s[8:9], vcc, exec
	v_mov_b32_e32 v4, 0
	s_or_b64 s[2:3], s[2:3], s[8:9]
	s_or_b64 exec, exec, s[6:7]
	s_and_saveexec_b64 s[6:7], s[2:3]
	s_cbranch_execnz .LBB105_178
	s_branch .LBB105_179
.LBB105_195:
	s_mov_b64 s[2:3], -1
                                        ; implicit-def: $vgpr1
	s_branch .LBB105_200
.LBB105_196:
	s_mov_b64 s[2:3], -1
                                        ; implicit-def: $vgpr1
.LBB105_197:
	s_and_b64 vcc, exec, s[2:3]
	s_cbranch_vccz .LBB105_199
; %bb.198:
	global_load_ubyte v1, v[2:3], off
	s_mov_b32 s2, 0x7f800000
	s_brev_b32 s3, 1
	s_movk_i32 s6, 0x7fff
	s_waitcnt vmcnt(0)
	v_lshlrev_b32_e32 v1, 24, v1
	v_and_b32_e32 v4, 0x7f000000, v1
	v_ffbh_u32_e32 v5, v4
	v_min_u32_e32 v5, 32, v5
	v_sub_u32_e64 v5, v5, 4 clamp
	v_lshlrev_b32_e32 v7, v5, v4
	v_lshlrev_b32_e32 v5, 23, v5
	v_lshrrev_b32_e32 v7, 4, v7
	v_add_u32_e32 v6, 0x1000000, v4
	v_sub_u32_e32 v5, v7, v5
	v_ashrrev_i32_e32 v6, 8, v6
	v_add_u32_e32 v5, 0x3c000000, v5
	v_and_or_b32 v5, v6, s2, v5
	v_cmp_ne_u32_e32 vcc, 0, v4
	s_nop 1
	v_cndmask_b32_e32 v4, 0, v5, vcc
	v_and_or_b32 v1, v1, s3, v4
	v_bfe_u32 v4, v4, 16, 1
	v_add3_u32 v4, v1, v4, s6
	v_cmp_o_f32_e32 vcc, v1, v1
	v_mov_b32_e32 v1, 0x7fc0
	s_nop 0
	v_cndmask_b32_sdwa v1, v1, v4, vcc dst_sel:DWORD dst_unused:UNUSED_PAD src0_sel:DWORD src1_sel:WORD_1
.LBB105_199:
	s_mov_b64 s[2:3], 0
.LBB105_200:
	s_andn2_b64 vcc, exec, s[2:3]
	s_cbranch_vccnz .LBB105_202
; %bb.201:
	global_load_ubyte v1, v[2:3], off
	s_movk_i32 s2, 0x7f00
	s_brev_b32 s3, 16
	s_brev_b32 s6, 1
	s_movk_i32 s7, 0x7fff
	s_waitcnt vmcnt(0)
	v_lshlrev_b16_e32 v4, 8, v1
	v_lshlrev_b32_e32 v1, 25, v1
	v_lshrrev_b32_e32 v5, 4, v1
	v_and_or_b32 v6, v4, s2, 0.5
	v_or_b32_e32 v5, 0x70000000, v5
	v_add_f32_e32 v6, -0.5, v6
	v_mul_f32_e32 v5, 0x7800000, v5
	v_cmp_gt_u32_e32 vcc, s3, v1
	v_bfe_i32 v4, v4, 0, 16
	s_nop 0
	v_cndmask_b32_e32 v1, v5, v6, vcc
	v_and_or_b32 v4, v4, s6, v1
	v_bfe_u32 v1, v1, 16, 1
	v_add3_u32 v1, v4, v1, s7
	v_cmp_o_f32_e32 vcc, v4, v4
	v_mov_b32_e32 v4, 0x7fc0
	s_nop 0
	v_cndmask_b32_sdwa v1, v4, v1, vcc dst_sel:DWORD dst_unused:UNUSED_PAD src0_sel:DWORD src1_sel:WORD_1
.LBB105_202:
	s_mov_b64 s[6:7], 0
	s_mov_b64 s[2:3], -1
.LBB105_203:
	s_andn2_b64 vcc, exec, s[6:7]
	s_cbranch_vccnz .LBB105_216
; %bb.204:
	s_cmp_gt_i32 s10, 14
	s_cbranch_scc0 .LBB105_207
; %bb.205:
	s_cmp_eq_u32 s10, 15
	s_cbranch_scc0 .LBB105_210
; %bb.206:
	global_load_ushort v1, v[2:3], off
	s_mov_b64 s[2:3], -1
	s_mov_b64 s[4:5], 0
	s_branch .LBB105_211
.LBB105_207:
	s_mov_b64 s[6:7], -1
                                        ; implicit-def: $vgpr1
	s_branch .LBB105_212
.LBB105_208:
	s_or_saveexec_b64 s[6:7], s[6:7]
	v_mov_b32_e32 v4, 0x7f800001
	s_xor_b64 exec, exec, s[6:7]
	s_cbranch_execz .LBB105_189
.LBB105_209:
	v_cmp_ne_u16_e32 vcc, 0, v1
	s_andn2_b64 s[2:3], s[2:3], exec
	s_and_b64 s[8:9], vcc, exec
	v_mov_b32_e32 v4, 0
	s_or_b64 s[2:3], s[2:3], s[8:9]
	s_or_b64 exec, exec, s[6:7]
	s_and_saveexec_b64 s[6:7], s[2:3]
	s_cbranch_execnz .LBB105_190
	s_branch .LBB105_191
.LBB105_210:
	s_mov_b64 s[4:5], -1
                                        ; implicit-def: $vgpr1
.LBB105_211:
	s_mov_b64 s[6:7], 0
.LBB105_212:
	s_and_b64 vcc, exec, s[6:7]
	s_cbranch_vccz .LBB105_216
; %bb.213:
	s_cmp_eq_u32 s10, 11
	s_cbranch_scc0 .LBB105_215
; %bb.214:
	global_load_ubyte v1, v[2:3], off
	s_mov_b64 s[2:3], -1
	s_mov_b64 s[4:5], 0
	s_waitcnt vmcnt(0)
	v_cmp_ne_u16_e32 vcc, 0, v1
	s_nop 1
	v_cndmask_b32_e64 v1, 0, 1.0, vcc
	v_lshrrev_b32_e32 v1, 16, v1
	s_branch .LBB105_216
.LBB105_215:
	s_mov_b64 s[4:5], -1
                                        ; implicit-def: $vgpr1
.LBB105_216:
	s_branch .LBB105_25
.LBB105_217:
	s_cmp_lt_i32 s10, 5
	s_cbranch_scc1 .LBB105_222
; %bb.218:
	s_cmp_lt_i32 s10, 8
	s_cbranch_scc1 .LBB105_223
; %bb.219:
	;; [unrolled: 3-line block ×3, first 2 shown]
	s_cmp_gt_i32 s10, 9
	s_cbranch_scc0 .LBB105_225
; %bb.221:
	global_load_dwordx2 v[4:5], v[2:3], off
	s_movk_i32 s2, 0x7fff
	s_waitcnt vmcnt(1)
	v_mov_b32_e32 v1, 0x7fc0
	s_waitcnt vmcnt(0)
	v_cvt_f32_f64_e32 v4, v[4:5]
	v_bfe_u32 v5, v4, 16, 1
	v_cmp_o_f32_e32 vcc, v4, v4
	v_add3_u32 v4, v4, v5, s2
	s_mov_b64 s[2:3], 0
	v_cndmask_b32_sdwa v1, v1, v4, vcc dst_sel:DWORD dst_unused:UNUSED_PAD src0_sel:DWORD src1_sel:WORD_1
	s_branch .LBB105_226
.LBB105_222:
                                        ; implicit-def: $vgpr1
	s_branch .LBB105_244
.LBB105_223:
	s_mov_b64 s[2:3], -1
                                        ; implicit-def: $vgpr1
	s_branch .LBB105_232
.LBB105_224:
	s_mov_b64 s[2:3], -1
                                        ; implicit-def: $vgpr1
	s_branch .LBB105_229
.LBB105_225:
	s_mov_b64 s[2:3], -1
                                        ; implicit-def: $vgpr1
.LBB105_226:
	s_andn2_b64 vcc, exec, s[2:3]
	s_cbranch_vccnz .LBB105_228
; %bb.227:
	global_load_dword v1, v[2:3], off
	s_movk_i32 s2, 0x7fff
	v_mov_b32_e32 v4, 0x7fc0
	s_waitcnt vmcnt(0)
	v_bfe_u32 v5, v1, 16, 1
	v_cmp_o_f32_e32 vcc, v1, v1
	v_add3_u32 v1, v1, v5, s2
	s_nop 0
	v_cndmask_b32_sdwa v1, v4, v1, vcc dst_sel:DWORD dst_unused:UNUSED_PAD src0_sel:DWORD src1_sel:WORD_1
.LBB105_228:
	s_mov_b64 s[2:3], 0
.LBB105_229:
	s_andn2_b64 vcc, exec, s[2:3]
	s_cbranch_vccnz .LBB105_231
; %bb.230:
	global_load_dword v1, v[2:3], off
	s_movk_i32 s2, 0x7fff
	v_mov_b32_e32 v5, 0x7fc0
	s_waitcnt vmcnt(0)
	v_cvt_f32_f16_e32 v4, v1
	v_cmp_o_f16_e32 vcc, v1, v1
	v_bfe_u32 v1, v4, 16, 1
	v_add3_u32 v1, v4, v1, s2
	v_cndmask_b32_sdwa v1, v5, v1, vcc dst_sel:DWORD dst_unused:UNUSED_PAD src0_sel:DWORD src1_sel:WORD_1
.LBB105_231:
	s_mov_b64 s[2:3], 0
.LBB105_232:
	s_andn2_b64 vcc, exec, s[2:3]
	s_cbranch_vccnz .LBB105_243
; %bb.233:
	s_cmp_lt_i32 s10, 6
	s_cbranch_scc1 .LBB105_236
; %bb.234:
	s_cmp_gt_i32 s10, 6
	s_cbranch_scc0 .LBB105_237
; %bb.235:
	global_load_dwordx2 v[4:5], v[2:3], off
	s_movk_i32 s2, 0x7fff
	s_waitcnt vmcnt(1)
	v_mov_b32_e32 v1, 0x7fc0
	s_waitcnt vmcnt(0)
	v_cvt_f32_f64_e32 v4, v[4:5]
	v_bfe_u32 v5, v4, 16, 1
	v_cmp_o_f32_e32 vcc, v4, v4
	v_add3_u32 v4, v4, v5, s2
	s_mov_b64 s[2:3], 0
	v_cndmask_b32_sdwa v1, v1, v4, vcc dst_sel:DWORD dst_unused:UNUSED_PAD src0_sel:DWORD src1_sel:WORD_1
	s_branch .LBB105_238
.LBB105_236:
	s_mov_b64 s[2:3], -1
                                        ; implicit-def: $vgpr1
	s_branch .LBB105_241
.LBB105_237:
	s_mov_b64 s[2:3], -1
                                        ; implicit-def: $vgpr1
.LBB105_238:
	s_andn2_b64 vcc, exec, s[2:3]
	s_cbranch_vccnz .LBB105_240
; %bb.239:
	global_load_dword v1, v[2:3], off
	s_movk_i32 s2, 0x7fff
	v_mov_b32_e32 v4, 0x7fc0
	s_waitcnt vmcnt(0)
	v_bfe_u32 v5, v1, 16, 1
	v_cmp_o_f32_e32 vcc, v1, v1
	v_add3_u32 v1, v1, v5, s2
	s_nop 0
	v_cndmask_b32_sdwa v1, v4, v1, vcc dst_sel:DWORD dst_unused:UNUSED_PAD src0_sel:DWORD src1_sel:WORD_1
.LBB105_240:
	s_mov_b64 s[2:3], 0
.LBB105_241:
	s_andn2_b64 vcc, exec, s[2:3]
	s_cbranch_vccnz .LBB105_243
; %bb.242:
	global_load_ushort v1, v[2:3], off
	s_movk_i32 s2, 0x7fff
	v_mov_b32_e32 v5, 0x7fc0
	s_waitcnt vmcnt(0)
	v_cvt_f32_f16_e32 v4, v1
	v_cmp_o_f16_e32 vcc, v1, v1
	v_bfe_u32 v1, v4, 16, 1
	v_add3_u32 v1, v4, v1, s2
	v_cndmask_b32_sdwa v1, v5, v1, vcc dst_sel:DWORD dst_unused:UNUSED_PAD src0_sel:DWORD src1_sel:WORD_1
.LBB105_243:
	s_cbranch_execnz .LBB105_263
.LBB105_244:
	s_cmp_lt_i32 s10, 2
	s_cbranch_scc1 .LBB105_248
; %bb.245:
	s_cmp_lt_i32 s10, 3
	s_cbranch_scc1 .LBB105_249
; %bb.246:
	s_cmp_gt_i32 s10, 3
	s_cbranch_scc0 .LBB105_250
; %bb.247:
	global_load_dwordx2 v[4:5], v[2:3], off
	s_movk_i32 s2, 0x7fff
	s_waitcnt vmcnt(0)
	v_xor_b32_e32 v6, v4, v5
	v_ffbh_i32_e32 v1, v5
	v_ashrrev_i32_e32 v6, 31, v6
	v_add_u32_e32 v1, -1, v1
	v_add_u32_e32 v6, 32, v6
	v_min_u32_e32 v1, v1, v6
	v_lshlrev_b64 v[4:5], v1, v[4:5]
	v_min_u32_e32 v4, 1, v4
	v_or_b32_e32 v4, v5, v4
	v_cvt_f32_i32_e32 v4, v4
	v_sub_u32_e32 v1, 32, v1
	v_ldexp_f32 v1, v4, v1
	v_bfe_u32 v4, v1, 16, 1
	v_add3_u32 v1, v1, v4, s2
	v_lshrrev_b32_e32 v1, 16, v1
	s_mov_b64 s[2:3], 0
	s_branch .LBB105_251
.LBB105_248:
	s_mov_b64 s[2:3], -1
                                        ; implicit-def: $vgpr1
	s_branch .LBB105_257
.LBB105_249:
	s_mov_b64 s[2:3], -1
                                        ; implicit-def: $vgpr1
	s_branch .LBB105_254
.LBB105_250:
	s_mov_b64 s[2:3], -1
                                        ; implicit-def: $vgpr1
.LBB105_251:
	s_andn2_b64 vcc, exec, s[2:3]
	s_cbranch_vccnz .LBB105_253
; %bb.252:
	global_load_dword v1, v[2:3], off
	s_movk_i32 s2, 0x7fff
	s_waitcnt vmcnt(0)
	v_cvt_f32_i32_e32 v1, v1
	v_bfe_u32 v4, v1, 16, 1
	v_add3_u32 v1, v1, v4, s2
	v_lshrrev_b32_e32 v1, 16, v1
.LBB105_253:
	s_mov_b64 s[2:3], 0
.LBB105_254:
	s_andn2_b64 vcc, exec, s[2:3]
	s_cbranch_vccnz .LBB105_256
; %bb.255:
	global_load_sshort v1, v[2:3], off
	s_movk_i32 s2, 0x7fff
	s_waitcnt vmcnt(0)
	v_cvt_f32_i32_e32 v1, v1
	v_bfe_u32 v4, v1, 16, 1
	v_add3_u32 v1, v1, v4, s2
	v_lshrrev_b32_e32 v1, 16, v1
.LBB105_256:
	s_mov_b64 s[2:3], 0
.LBB105_257:
	s_andn2_b64 vcc, exec, s[2:3]
	s_cbranch_vccnz .LBB105_263
; %bb.258:
	s_cmp_gt_i32 s10, 0
	s_cbranch_scc0 .LBB105_260
; %bb.259:
	global_load_sbyte v1, v[2:3], off
	s_movk_i32 s2, 0x7fff
	s_waitcnt vmcnt(0)
	v_cvt_f32_i32_e32 v1, v1
	v_bfe_u32 v4, v1, 16, 1
	v_add3_u32 v1, v1, v4, s2
	v_lshrrev_b32_e32 v1, 16, v1
	s_mov_b64 s[2:3], 0
	s_branch .LBB105_261
.LBB105_260:
	s_mov_b64 s[2:3], -1
                                        ; implicit-def: $vgpr1
.LBB105_261:
	s_andn2_b64 vcc, exec, s[2:3]
	s_cbranch_vccnz .LBB105_263
; %bb.262:
	global_load_ubyte v1, v[2:3], off
	s_movk_i32 s2, 0x7fff
	s_waitcnt vmcnt(0)
	v_cvt_f32_ubyte0_e32 v1, v1
	v_bfe_u32 v2, v1, 16, 1
	v_add3_u32 v1, v1, v2, s2
	v_lshrrev_b32_e32 v1, 16, v1
.LBB105_263:
	s_branch .LBB105_26
.LBB105_264:
	s_mov_b64 s[2:3], 0
.LBB105_265:
	s_mov_b64 s[6:7], 0
                                        ; implicit-def: $vgpr8
.LBB105_266:
	s_and_b64 s[54:55], s[2:3], exec
	s_and_b64 s[56:57], s[4:5], exec
	s_orn2_b64 s[4:5], s[6:7], exec
.LBB105_267:
	s_or_b64 exec, exec, s[58:59]
	s_mov_b64 s[8:9], 0
	s_mov_b64 s[2:3], 0
                                        ; implicit-def: $vgpr2_vgpr3
                                        ; implicit-def: $vgpr0
                                        ; implicit-def: $vgpr1
	s_and_saveexec_b64 s[58:59], s[4:5]
	s_cbranch_execz .LBB105_275
; %bb.268:
	v_cmp_gt_i32_e32 vcc, s70, v8
	s_mov_b64 s[2:3], -1
	s_mov_b64 s[60:61], s[56:57]
	s_mov_b64 s[62:63], s[54:55]
	s_and_saveexec_b64 s[64:65], vcc
	s_cbranch_execz .LBB105_544
; %bb.269:
	s_andn2_b64 vcc, exec, s[42:43]
	s_cbranch_vccnz .LBB105_278
; %bb.270:
	s_andn2_b64 vcc, exec, s[52:53]
	s_cbranch_vccnz .LBB105_279
; %bb.271:
	s_add_i32 s63, s75, 1
	s_cmp_eq_u32 s72, 2
	s_cbranch_scc1 .LBB105_280
; %bb.272:
	s_and_b32 s62, s63, 28
	s_mov_b32 s66, 0
	v_mov_b32_e32 v0, 0
	v_mov_b32_e32 v2, 0
	s_mov_b64 s[2:3], s[34:35]
	s_mov_b64 s[60:61], s[50:51]
	v_mov_b32_e32 v4, v8
.LBB105_273:                            ; =>This Inner Loop Header: Depth=1
	s_load_dwordx8 s[12:19], s[2:3], 0x4
	s_load_dwordx4 s[36:39], s[2:3], 0x24
	s_load_dwordx8 s[4:11], s[60:61], 0x0
	s_add_u32 s2, s2, 48
	s_addc_u32 s3, s3, 0
	s_waitcnt vmcnt(0) lgkmcnt(0)
	v_mul_hi_u32 v1, s13, v4
	v_add_u32_e32 v1, v4, v1
	v_lshrrev_b32_e32 v1, s14, v1
	v_mul_lo_u32 v3, v1, s12
	v_mul_hi_u32 v5, s16, v1
	v_sub_u32_e32 v3, v4, v3
	v_add_u32_e32 v4, v1, v5
	v_lshrrev_b32_e32 v4, s17, v4
	v_mul_lo_u32 v6, v4, s15
	v_mul_hi_u32 v7, s19, v4
	v_sub_u32_e32 v1, v1, v6
	v_add_u32_e32 v6, v4, v7
	v_mul_lo_u32 v5, v3, s5
	v_mul_lo_u32 v3, v3, s4
	;; [unrolled: 1-line block ×4, first 2 shown]
	v_lshrrev_b32_e32 v6, s36, v6
	v_add3_u32 v0, v3, v0, v1
	v_mul_hi_u32 v3, s38, v6
	v_add3_u32 v1, v5, v2, v7
	v_mul_lo_u32 v2, v6, s18
	v_add_u32_e32 v3, v6, v3
	v_sub_u32_e32 v2, v4, v2
	v_lshrrev_b32_e32 v4, s39, v3
	s_add_i32 s66, s66, 4
	v_mul_lo_u32 v3, v4, s37
	s_add_u32 s60, s60, 32
	v_sub_u32_e32 v3, v6, v3
	s_addc_u32 s61, s61, 0
	v_mul_lo_u32 v5, v2, s8
	v_mul_lo_u32 v2, v2, s9
	;; [unrolled: 1-line block ×4, first 2 shown]
	s_cmp_eq_u32 s62, s66
	v_add3_u32 v2, v2, v1, v3
	v_add3_u32 v0, v5, v0, v6
	s_cbranch_scc0 .LBB105_273
; %bb.274:
	v_mov_b32_e32 v1, v2
	s_branch .LBB105_281
.LBB105_275:
	s_or_b64 exec, exec, s[58:59]
	s_mov_b64 s[4:5], 0
	s_and_saveexec_b64 s[6:7], s[56:57]
	s_cbranch_execnz .LBB105_922
.LBB105_276:
	s_or_b64 exec, exec, s[6:7]
	s_and_saveexec_b64 s[6:7], s[62:63]
	s_xor_b64 s[6:7], exec, s[6:7]
	s_cbranch_execz .LBB105_923
.LBB105_277:
	global_load_ubyte v1, v[2:3], off
	s_or_b64 s[2:3], s[2:3], exec
	s_waitcnt vmcnt(0)
	v_cmp_ne_u16_e32 vcc, 0, v1
	s_nop 1
	v_cndmask_b32_e64 v1, 0, 1.0, vcc
	v_lshrrev_b32_e32 v1, 16, v1
	s_or_b64 exec, exec, s[6:7]
	s_and_saveexec_b64 s[6:7], s[8:9]
	s_cbranch_execz .LBB105_969
	s_branch .LBB105_924
.LBB105_278:
                                        ; implicit-def: $vgpr2
                                        ; implicit-def: $vgpr0
	s_andn2_b64 vcc, exec, s[2:3]
	s_cbranch_vccz .LBB105_285
	s_branch .LBB105_287
.LBB105_279:
	v_mov_b32_e32 v2, 0
	v_mov_b32_e32 v0, 0
	s_branch .LBB105_284
.LBB105_280:
	v_mov_b32_e32 v0, 0
	s_mov_b32 s62, 0
	s_waitcnt vmcnt(0)
	v_mov_b32_e32 v1, v0
                                        ; implicit-def: $vgpr2
	v_mov_b32_e32 v4, v8
.LBB105_281:
	s_and_b32 s6, s63, 3
	s_cmp_eq_u32 s6, 0
	s_cbranch_scc1 .LBB105_284
; %bb.282:
	s_lshl_b32 s2, s62, 3
	s_add_u32 s2, s34, s2
	s_addc_u32 s3, s35, 0
	s_add_u32 s2, s2, 0xc4
	s_addc_u32 s3, s3, 0
	s_mul_i32 s4, s62, 12
	s_add_u32 s4, s34, s4
	s_addc_u32 s5, s35, 0
.LBB105_283:                            ; =>This Inner Loop Header: Depth=1
	s_load_dwordx2 s[8:9], s[4:5], 0x4
	s_load_dword s7, s[4:5], 0xc
	s_load_dwordx2 s[10:11], s[2:3], 0x0
	v_mov_b32_e32 v2, v1
	s_add_u32 s4, s4, 12
	s_waitcnt lgkmcnt(0)
	v_mul_hi_u32 v1, s9, v4
	v_add_u32_e32 v1, v4, v1
	v_lshrrev_b32_e32 v1, s7, v1
	s_addc_u32 s5, s5, 0
	v_mul_lo_u32 v3, v1, s8
	s_add_u32 s2, s2, 8
	v_sub_u32_e32 v5, v4, v3
	s_addc_u32 s3, s3, 0
	s_add_i32 s6, s6, -1
	v_mov_b32_e32 v4, v1
	v_mad_u64_u32 v[2:3], s[8:9], v5, s11, v[2:3]
	v_mad_u64_u32 v[0:1], s[8:9], v5, s10, v[0:1]
	s_cmp_lg_u32 s6, 0
	v_mov_b32_e32 v1, v2
	s_cbranch_scc1 .LBB105_283
.LBB105_284:
	s_cbranch_execnz .LBB105_287
.LBB105_285:
	s_waitcnt lgkmcnt(0)
	v_mul_hi_u32 v0, s29, v8
	v_add_u32_e32 v0, v8, v0
	s_waitcnt vmcnt(0)
	v_lshrrev_b32_e32 v1, s30, v0
	v_mul_lo_u32 v0, v1, s28
	v_sub_u32_e32 v0, v8, v0
	v_mul_lo_u32 v2, v0, s25
	s_andn2_b64 vcc, exec, s[48:49]
	v_mul_lo_u32 v0, v0, s24
	s_cbranch_vccnz .LBB105_287
; %bb.286:
	v_mul_hi_u32 v3, s46, v1
	v_add_u32_e32 v3, v1, v3
	v_lshrrev_b32_e32 v3, s47, v3
	v_mul_lo_u32 v3, v3, s31
	v_sub_u32_e32 v3, v1, v3
	v_mad_u64_u32 v[0:1], s[2:3], v3, s26, v[0:1]
	v_mad_u64_u32 v[2:3], s[2:3], v3, s27, v[2:3]
.LBB105_287:
	v_mov_b32_e32 v3, 0
	s_and_b32 s10, 0xffff, s74
	s_cmp_lt_i32 s10, 11
	s_waitcnt lgkmcnt(0)
	v_lshl_add_u64 v[2:3], s[22:23], 0, v[2:3]
	s_cbranch_scc1 .LBB105_294
; %bb.288:
	s_cmp_gt_i32 s10, 25
	s_cbranch_scc0 .LBB105_303
; %bb.289:
	s_cmp_gt_i32 s10, 28
	s_cbranch_scc0 .LBB105_305
	;; [unrolled: 3-line block ×4, first 2 shown]
; %bb.292:
	s_cmp_eq_u32 s10, 46
	s_mov_b64 s[6:7], 0
	s_cbranch_scc0 .LBB105_315
; %bb.293:
	global_load_dword v1, v[2:3], off
	s_mov_b64 s[2:3], -1
	s_mov_b64 s[4:5], 0
	s_branch .LBB105_316
.LBB105_294:
	s_mov_b64 s[2:3], 0
                                        ; implicit-def: $vgpr1
	s_mov_b64 s[4:5], s[56:57]
	s_cbranch_execnz .LBB105_493
.LBB105_295:
	s_andn2_b64 vcc, exec, s[2:3]
	s_cbranch_vccnz .LBB105_541
.LBB105_296:
	s_waitcnt vmcnt(0)
	v_lshlrev_b32_e32 v1, 16, v1
	v_mul_f32_e32 v2, 0x3fb8aa3b, v1
	s_mov_b32 s2, 0x3fb8aa3b
	v_rndne_f32_e32 v3, v2
	v_sub_f32_e32 v4, v2, v3
	v_fma_f32 v2, v1, s2, -v2
	v_fmamk_f32 v2, v1, 0x32a5705f, v2
	v_add_f32_e32 v2, v4, v2
	v_exp_f32_e32 v2, v2
	v_cvt_i32_f32_e32 v3, v3
	s_mov_b32 s2, 0xc2ce8ed0
	v_cmp_ngt_f32_e32 vcc, s2, v1
	s_mov_b32 s2, 0x42b17218
	v_ldexp_f32 v2, v2, v3
	v_cndmask_b32_e32 v2, 0, v2, vcc
	v_mov_b32_e32 v3, 0x7f800000
	v_cmp_nlt_f32_e32 vcc, s2, v1
	s_movk_i32 s2, 0x7fff
	s_and_b32 s12, s73, 0xff
	v_cndmask_b32_e32 v1, v3, v2, vcc
	v_bfe_u32 v2, v1, 16, 1
	v_add3_u32 v2, v1, v2, s2
	v_cmp_o_f32_e32 vcc, v1, v1
	v_mov_b32_e32 v1, 0x7fc0
	s_cmp_lt_i32 s12, 11
	v_cndmask_b32_sdwa v2, v1, v2, vcc dst_sel:DWORD dst_unused:UNUSED_PAD src0_sel:DWORD src1_sel:WORD_1
	v_mov_b32_e32 v1, 0
	v_lshl_add_u64 v[0:1], s[20:21], 0, v[0:1]
	s_cbranch_scc1 .LBB105_304
; %bb.297:
	s_and_b32 s13, 0xffff, s12
	s_cmp_gt_i32 s13, 25
	s_cbranch_scc0 .LBB105_306
; %bb.298:
	s_cmp_gt_i32 s13, 28
	s_cbranch_scc0 .LBB105_308
; %bb.299:
	;; [unrolled: 3-line block ×4, first 2 shown]
	s_mov_b64 s[8:9], 0
	s_mov_b64 s[2:3], -1
	s_cmp_eq_u32 s13, 46
	s_mov_b64 s[6:7], 0
	s_cbranch_scc0 .LBB105_320
; %bb.302:
	v_and_b32_e32 v3, 0xffff, v2
	global_store_dword v[0:1], v3, off
	s_mov_b64 s[6:7], -1
	s_mov_b64 s[2:3], 0
	s_branch .LBB105_320
.LBB105_303:
	s_mov_b64 s[6:7], -1
	s_mov_b64 s[2:3], 0
	s_mov_b64 s[4:5], s[56:57]
                                        ; implicit-def: $vgpr1
	s_branch .LBB105_457
.LBB105_304:
	s_mov_b64 s[8:9], -1
	s_mov_b64 s[6:7], 0
	s_mov_b64 s[2:3], s[54:55]
	s_branch .LBB105_389
.LBB105_305:
	s_mov_b64 s[6:7], -1
	s_mov_b64 s[2:3], 0
	s_mov_b64 s[4:5], s[56:57]
                                        ; implicit-def: $vgpr1
	s_branch .LBB105_438
.LBB105_306:
	s_mov_b64 s[8:9], -1
	s_mov_b64 s[6:7], 0
	s_mov_b64 s[2:3], s[54:55]
	s_branch .LBB105_347
.LBB105_307:
	s_mov_b64 s[6:7], -1
	s_mov_b64 s[2:3], 0
	s_mov_b64 s[4:5], s[56:57]
                                        ; implicit-def: $vgpr1
	s_branch .LBB105_433
.LBB105_308:
	s_mov_b64 s[8:9], -1
	s_mov_b64 s[6:7], 0
	s_mov_b64 s[2:3], s[54:55]
	s_branch .LBB105_330
.LBB105_309:
	s_andn2_saveexec_b64 s[10:11], s[10:11]
	s_cbranch_execz .LBB105_69
.LBB105_310:
	s_mov_b32 s14, 0x46000000
	v_add_f32_e64 v4, |v5|, s14
	v_and_b32_e32 v4, 0xff, v4
	v_cmp_ne_u32_e32 vcc, 0, v4
	s_andn2_b64 s[8:9], s[8:9], exec
	s_and_b64 s[14:15], vcc, exec
	s_or_b64 s[8:9], s[8:9], s[14:15]
	s_or_b64 exec, exec, s[10:11]
	v_mov_b32_e32 v6, 0
	s_and_saveexec_b64 s[10:11], s[8:9]
	s_cbranch_execnz .LBB105_70
	s_branch .LBB105_71
.LBB105_311:
	s_mov_b64 s[6:7], -1
	s_mov_b64 s[2:3], 0
	s_mov_b64 s[4:5], s[56:57]
                                        ; implicit-def: $vgpr1
	s_branch .LBB105_316
.LBB105_312:
	s_mov_b64 s[8:9], -1
	s_mov_b64 s[6:7], 0
	s_mov_b64 s[2:3], s[54:55]
	s_branch .LBB105_326
.LBB105_313:
	s_andn2_saveexec_b64 s[10:11], s[10:11]
	s_cbranch_execz .LBB105_82
.LBB105_314:
	s_mov_b32 s14, 0x42800000
	v_add_f32_e64 v4, |v5|, s14
	v_and_b32_e32 v4, 0xff, v4
	v_cmp_ne_u32_e32 vcc, 0, v4
	s_andn2_b64 s[8:9], s[8:9], exec
	s_and_b64 s[14:15], vcc, exec
	s_or_b64 s[8:9], s[8:9], s[14:15]
	s_or_b64 exec, exec, s[10:11]
	v_mov_b32_e32 v6, 0
	s_and_saveexec_b64 s[10:11], s[8:9]
	s_cbranch_execnz .LBB105_83
	s_branch .LBB105_84
.LBB105_315:
	s_mov_b64 s[4:5], -1
                                        ; implicit-def: $vgpr1
	s_mov_b64 s[2:3], 0
.LBB105_316:
	s_and_b64 vcc, exec, s[6:7]
	s_cbranch_vccz .LBB105_432
; %bb.317:
	s_cmp_eq_u32 s10, 44
	s_cbranch_scc0 .LBB105_431
; %bb.318:
	global_load_ubyte v1, v[2:3], off
	s_movk_i32 s4, 0xff
	v_mov_b32_e32 v4, 0x7f800001
	v_mov_b32_e32 v5, 0x400000
	;; [unrolled: 1-line block ×3, first 2 shown]
	s_mov_b64 s[2:3], -1
	s_waitcnt vmcnt(0)
	v_lshlrev_b32_e32 v7, 23, v1
	v_cmp_ne_u32_e32 vcc, s4, v1
	s_mov_b64 s[4:5], 0
	s_nop 0
	v_cndmask_b32_e32 v4, v4, v7, vcc
	v_cmp_ne_u32_e32 vcc, 0, v1
	s_nop 1
	v_cndmask_b32_e32 v1, v5, v4, vcc
	v_add_u32_e32 v4, 0x7fff, v1
	v_cmp_o_f32_e32 vcc, v1, v1
	s_nop 1
	v_cndmask_b32_sdwa v1, v6, v4, vcc dst_sel:DWORD dst_unused:UNUSED_PAD src0_sel:DWORD src1_sel:WORD_1
	s_branch .LBB105_432
.LBB105_319:
	s_mov_b64 s[8:9], -1
	s_mov_b64 s[6:7], 0
	s_mov_b64 s[2:3], s[54:55]
.LBB105_320:
	s_and_b64 vcc, exec, s[8:9]
	s_cbranch_vccz .LBB105_325
; %bb.321:
	s_cmp_eq_u32 s13, 44
	s_mov_b64 s[2:3], -1
	s_cbranch_scc0 .LBB105_325
; %bb.322:
	v_and_b32_e32 v4, 0xffff, v2
	v_bfe_u32 v3, v4, 7, 8
	s_movk_i32 s2, 0xff
	v_cmp_ne_u32_e32 vcc, s2, v3
	v_mov_b32_e32 v5, 0xff
	s_and_saveexec_b64 s[6:7], vcc
	s_cbranch_execz .LBB105_324
; %bb.323:
	v_lshlrev_b32_e32 v6, 16, v4
	s_mov_b32 s2, 0x3f0000
	v_lshrrev_b32_e32 v5, 7, v4
	v_and_b32_e32 v4, 64, v4
	v_and_or_b32 v3, v6, s2, v3
	v_cmp_ne_u32_e32 vcc, 0, v4
	v_cmp_ne_u32_e64 s[2:3], 0, v3
	s_and_b64 s[2:3], vcc, s[2:3]
	s_nop 0
	v_cndmask_b32_e64 v3, 0, 1, s[2:3]
	v_add_u32_e32 v5, v5, v3
.LBB105_324:
	s_or_b64 exec, exec, s[6:7]
	s_mov_b64 s[6:7], -1
	s_mov_b64 s[2:3], 0
	global_store_byte v[0:1], v5, off
.LBB105_325:
	s_mov_b64 s[8:9], 0
.LBB105_326:
	s_and_b64 vcc, exec, s[8:9]
	s_cbranch_vccz .LBB105_329
; %bb.327:
	s_cmp_eq_u32 s13, 29
	s_mov_b64 s[2:3], -1
	s_cbranch_scc0 .LBB105_329
; %bb.328:
	v_lshlrev_b32_e32 v3, 16, v2
	v_trunc_f32_e32 v3, v3
	v_mul_f32_e32 v4, 0x2f800000, v3
	v_floor_f32_e32 v4, v4
	v_fmamk_f32 v3, v4, 0xcf800000, v3
	v_cvt_u32_f32_e32 v5, v4
	v_cvt_u32_f32_e32 v4, v3
	s_mov_b64 s[6:7], -1
	s_mov_b64 s[2:3], 0
	s_mov_b64 s[8:9], 0
	global_store_dwordx2 v[0:1], v[4:5], off
	s_branch .LBB105_330
.LBB105_329:
	s_mov_b64 s[8:9], 0
.LBB105_330:
	s_and_b64 vcc, exec, s[8:9]
	s_cbranch_vccz .LBB105_346
; %bb.331:
	s_cmp_lt_i32 s13, 27
	s_mov_b64 s[6:7], -1
	s_cbranch_scc1 .LBB105_337
; %bb.332:
	s_cmp_gt_i32 s13, 27
	s_cbranch_scc0 .LBB105_334
; %bb.333:
	v_lshlrev_b32_e32 v3, 16, v2
	v_cvt_u32_f32_e32 v3, v3
	s_mov_b64 s[6:7], 0
	global_store_dword v[0:1], v3, off
.LBB105_334:
	s_andn2_b64 vcc, exec, s[6:7]
	s_cbranch_vccnz .LBB105_336
; %bb.335:
	v_lshlrev_b32_e32 v3, 16, v2
	v_cvt_u32_f32_e32 v3, v3
	global_store_short v[0:1], v3, off
.LBB105_336:
	s_mov_b64 s[6:7], 0
.LBB105_337:
	s_andn2_b64 vcc, exec, s[6:7]
	s_cbranch_vccnz .LBB105_345
; %bb.338:
	v_lshlrev_b32_e32 v5, 16, v2
	v_and_b32_e32 v4, 0x7fffffff, v5
	s_mov_b32 s6, 0x43800000
	v_cmp_gt_u32_e32 vcc, s6, v4
	v_mov_b32_e32 v6, 0x80
	s_and_saveexec_b64 s[6:7], vcc
	s_cbranch_execz .LBB105_344
; %bb.339:
	s_mov_b32 s8, 0x3bffffff
	v_and_b32_e32 v3, 0xffff, v2
	v_cmp_lt_u32_e32 vcc, s8, v4
	s_mov_b64 s[8:9], 0
                                        ; implicit-def: $vgpr4
	s_and_saveexec_b64 s[10:11], vcc
	s_xor_b64 s[10:11], exec, s[10:11]
	s_cbranch_execz .LBB105_573
; %bb.340:
	v_bfe_u32 v4, v3, 4, 1
	s_mov_b32 s14, 0x487ffff
	v_add3_u32 v4, v5, v4, s14
	s_mov_b64 s[8:9], exec
	v_lshrrev_b32_e32 v4, 20, v4
                                        ; implicit-def: $vgpr5
	s_andn2_saveexec_b64 s[10:11], s[10:11]
	s_cbranch_execnz .LBB105_574
.LBB105_341:
	s_or_b64 exec, exec, s[10:11]
	v_mov_b32_e32 v6, 0
	s_and_saveexec_b64 s[10:11], s[8:9]
.LBB105_342:
	v_lshrrev_b32_e32 v3, 8, v3
	s_movk_i32 s8, 0x80
	v_and_or_b32 v6, v3, s8, v4
.LBB105_343:
	s_or_b64 exec, exec, s[10:11]
.LBB105_344:
	s_or_b64 exec, exec, s[6:7]
	global_store_byte v[0:1], v6, off
.LBB105_345:
	s_mov_b64 s[6:7], -1
.LBB105_346:
	s_mov_b64 s[8:9], 0
.LBB105_347:
	s_and_b64 vcc, exec, s[8:9]
	s_cbranch_vccz .LBB105_388
; %bb.348:
	s_cmp_gt_i32 s13, 22
	s_mov_b64 s[8:9], -1
	s_cbranch_scc0 .LBB105_380
; %bb.349:
	s_cmp_lt_i32 s13, 24
	s_mov_b64 s[6:7], -1
	s_cbranch_scc1 .LBB105_369
; %bb.350:
	s_cmp_gt_i32 s13, 24
	s_cbranch_scc0 .LBB105_358
; %bb.351:
	v_lshlrev_b32_e32 v5, 16, v2
	v_and_b32_e32 v4, 0x7fffffff, v5
	s_mov_b32 s6, 0x47800000
	v_cmp_gt_u32_e32 vcc, s6, v4
	v_mov_b32_e32 v6, 0x80
	s_and_saveexec_b64 s[6:7], vcc
	s_cbranch_execz .LBB105_357
; %bb.352:
	s_mov_b32 s8, 0x37ffffff
	v_and_b32_e32 v3, 0xffff, v2
	v_cmp_lt_u32_e32 vcc, s8, v4
	s_mov_b64 s[8:9], 0
                                        ; implicit-def: $vgpr4
	s_and_saveexec_b64 s[10:11], vcc
	s_xor_b64 s[10:11], exec, s[10:11]
	s_cbranch_execz .LBB105_576
; %bb.353:
	v_bfe_u32 v4, v3, 5, 1
	s_mov_b32 s14, 0x88fffff
	v_add3_u32 v4, v5, v4, s14
	s_mov_b64 s[8:9], exec
	v_lshrrev_b32_e32 v4, 21, v4
                                        ; implicit-def: $vgpr5
	s_andn2_saveexec_b64 s[10:11], s[10:11]
	s_cbranch_execnz .LBB105_577
.LBB105_354:
	s_or_b64 exec, exec, s[10:11]
	v_mov_b32_e32 v6, 0
	s_and_saveexec_b64 s[10:11], s[8:9]
.LBB105_355:
	v_lshrrev_b32_e32 v3, 8, v3
	s_movk_i32 s8, 0x80
	v_and_or_b32 v6, v3, s8, v4
.LBB105_356:
	s_or_b64 exec, exec, s[10:11]
.LBB105_357:
	s_or_b64 exec, exec, s[6:7]
	s_mov_b64 s[6:7], 0
	global_store_byte v[0:1], v6, off
.LBB105_358:
	s_and_b64 vcc, exec, s[6:7]
	s_cbranch_vccz .LBB105_368
; %bb.359:
	v_lshlrev_b32_e32 v5, 16, v2
	v_and_b32_e32 v6, 0x7fffffff, v5
	s_mov_b32 s6, 0x43f00000
	v_and_b32_e32 v3, 0xffff, v2
	v_cmp_gt_u32_e32 vcc, s6, v6
                                        ; implicit-def: $vgpr4
	s_and_saveexec_b64 s[6:7], vcc
	s_xor_b64 s[6:7], exec, s[6:7]
	s_cbranch_execz .LBB105_365
; %bb.360:
	s_mov_b32 s8, 0x3c7fffff
	v_cmp_lt_u32_e32 vcc, s8, v6
                                        ; implicit-def: $vgpr4
	s_and_saveexec_b64 s[8:9], vcc
	s_xor_b64 s[8:9], exec, s[8:9]
; %bb.361:
	v_bfe_u32 v4, v3, 4, 1
	s_mov_b32 s10, 0x407ffff
	v_add3_u32 v4, v5, v4, s10
	v_lshrrev_b32_e32 v5, 20, v4
	v_and_b32_e32 v4, 0xff00000, v4
	s_mov_b32 s10, 0x7f00000
	v_mov_b32_e32 v6, 0x7e
	v_cmp_ne_u32_e32 vcc, s10, v4
	s_nop 1
	v_cndmask_b32_e32 v4, v6, v5, vcc
                                        ; implicit-def: $vgpr5
; %bb.362:
	s_andn2_saveexec_b64 s[8:9], s[8:9]
; %bb.363:
	s_mov_b32 s10, 0x46800000
	v_add_f32_e64 v4, |v5|, s10
; %bb.364:
	s_or_b64 exec, exec, s[8:9]
                                        ; implicit-def: $vgpr6
.LBB105_365:
	s_andn2_saveexec_b64 s[6:7], s[6:7]
; %bb.366:
	s_mov_b32 s8, 0x7f800000
	v_mov_b32_e32 v4, 0x7e
	v_mov_b32_e32 v5, 0x7f
	v_cmp_lt_u32_e32 vcc, s8, v6
	s_nop 1
	v_cndmask_b32_e32 v4, v4, v5, vcc
; %bb.367:
	s_or_b64 exec, exec, s[6:7]
	v_lshrrev_b32_e32 v3, 8, v3
	s_movk_i32 s6, 0x80
	v_and_or_b32 v3, v3, s6, v4
	global_store_byte v[0:1], v3, off
.LBB105_368:
	s_mov_b64 s[6:7], 0
.LBB105_369:
	s_andn2_b64 vcc, exec, s[6:7]
	s_cbranch_vccnz .LBB105_379
; %bb.370:
	v_lshlrev_b32_e32 v5, 16, v2
	v_and_b32_e32 v6, 0x7fffffff, v5
	s_mov_b32 s6, 0x47800000
	v_and_b32_e32 v3, 0xffff, v2
	v_cmp_gt_u32_e32 vcc, s6, v6
                                        ; implicit-def: $vgpr4
	s_and_saveexec_b64 s[6:7], vcc
	s_xor_b64 s[6:7], exec, s[6:7]
	s_cbranch_execz .LBB105_376
; %bb.371:
	s_mov_b32 s8, 0x387fffff
	v_cmp_lt_u32_e32 vcc, s8, v6
                                        ; implicit-def: $vgpr4
	s_and_saveexec_b64 s[8:9], vcc
	s_xor_b64 s[8:9], exec, s[8:9]
; %bb.372:
	v_bfe_u32 v4, v3, 5, 1
	s_mov_b32 s10, 0x80fffff
	v_add3_u32 v4, v5, v4, s10
	v_lshrrev_b32_e32 v4, 21, v4
                                        ; implicit-def: $vgpr5
; %bb.373:
	s_andn2_saveexec_b64 s[8:9], s[8:9]
; %bb.374:
	s_mov_b32 s10, 0x43000000
	v_add_f32_e64 v4, |v5|, s10
; %bb.375:
	s_or_b64 exec, exec, s[8:9]
                                        ; implicit-def: $vgpr6
.LBB105_376:
	s_andn2_saveexec_b64 s[6:7], s[6:7]
; %bb.377:
	s_mov_b32 s8, 0x7f800000
	v_mov_b32_e32 v4, 0x7c
	v_mov_b32_e32 v5, 0x7f
	v_cmp_lt_u32_e32 vcc, s8, v6
	s_nop 1
	v_cndmask_b32_e32 v4, v4, v5, vcc
; %bb.378:
	s_or_b64 exec, exec, s[6:7]
	v_lshrrev_b32_e32 v3, 8, v3
	s_movk_i32 s6, 0x80
	v_and_or_b32 v3, v3, s6, v4
	global_store_byte v[0:1], v3, off
.LBB105_379:
	s_mov_b64 s[8:9], 0
	s_mov_b64 s[6:7], -1
.LBB105_380:
	s_andn2_b64 vcc, exec, s[8:9]
	s_cbranch_vccnz .LBB105_388
; %bb.381:
	s_cmp_gt_i32 s13, 14
	s_mov_b64 s[8:9], -1
	s_cbranch_scc0 .LBB105_385
; %bb.382:
	s_cmp_eq_u32 s13, 15
	s_mov_b64 s[2:3], -1
	s_cbranch_scc0 .LBB105_384
; %bb.383:
	global_store_short v[0:1], v2, off
	s_mov_b64 s[6:7], -1
	s_mov_b64 s[2:3], 0
.LBB105_384:
	s_mov_b64 s[8:9], 0
.LBB105_385:
	s_and_b64 vcc, exec, s[8:9]
	s_cbranch_vccz .LBB105_388
; %bb.386:
	s_cmp_eq_u32 s13, 11
	s_mov_b64 s[2:3], -1
	s_cbranch_scc0 .LBB105_388
; %bb.387:
	v_and_b32_e32 v3, 0x7fff, v2
	v_cmp_ne_u16_e32 vcc, 0, v3
	s_mov_b64 s[6:7], -1
	s_mov_b64 s[2:3], 0
	v_cndmask_b32_e64 v3, 0, 1, vcc
	global_store_byte v[0:1], v3, off
.LBB105_388:
	s_mov_b64 s[8:9], 0
.LBB105_389:
	s_and_b64 vcc, exec, s[8:9]
	s_cbranch_vccz .LBB105_428
; %bb.390:
	s_and_b32 s8, 0xffff, s12
	s_cmp_lt_i32 s8, 5
	s_mov_b64 s[6:7], -1
	s_cbranch_scc1 .LBB105_411
; %bb.391:
	s_cmp_lt_i32 s8, 8
	s_cbranch_scc1 .LBB105_401
; %bb.392:
	s_cmp_lt_i32 s8, 9
	s_cbranch_scc1 .LBB105_398
; %bb.393:
	s_cmp_gt_i32 s8, 9
	s_cbranch_scc0 .LBB105_395
; %bb.394:
	v_lshlrev_b32_e32 v3, 16, v2
	v_mov_b32_e32 v6, 0
	v_cvt_f64_f32_e32 v[4:5], v3
	v_mov_b32_e32 v7, v6
	s_mov_b64 s[6:7], 0
	global_store_dwordx4 v[0:1], v[4:7], off
.LBB105_395:
	s_andn2_b64 vcc, exec, s[6:7]
	s_cbranch_vccnz .LBB105_397
; %bb.396:
	v_lshlrev_b32_e32 v4, 16, v2
	v_mov_b32_e32 v5, 0
	global_store_dwordx2 v[0:1], v[4:5], off
.LBB105_397:
	s_mov_b64 s[6:7], 0
.LBB105_398:
	s_andn2_b64 vcc, exec, s[6:7]
	s_cbranch_vccnz .LBB105_400
; %bb.399:
	v_lshlrev_b32_e32 v3, 16, v2
	v_cvt_f16_f32_e32 v3, v3
	global_store_dword v[0:1], v3, off
.LBB105_400:
	s_mov_b64 s[6:7], 0
.LBB105_401:
	s_andn2_b64 vcc, exec, s[6:7]
	s_cbranch_vccnz .LBB105_410
; %bb.402:
	s_cmp_lt_i32 s8, 6
	s_mov_b64 s[6:7], -1
	s_cbranch_scc1 .LBB105_408
; %bb.403:
	s_cmp_gt_i32 s8, 6
	s_cbranch_scc0 .LBB105_405
; %bb.404:
	v_lshlrev_b32_e32 v3, 16, v2
	v_cvt_f64_f32_e32 v[4:5], v3
	s_mov_b64 s[6:7], 0
	global_store_dwordx2 v[0:1], v[4:5], off
.LBB105_405:
	s_andn2_b64 vcc, exec, s[6:7]
	s_cbranch_vccnz .LBB105_407
; %bb.406:
	v_lshlrev_b32_e32 v3, 16, v2
	global_store_dword v[0:1], v3, off
.LBB105_407:
	s_mov_b64 s[6:7], 0
.LBB105_408:
	s_andn2_b64 vcc, exec, s[6:7]
	s_cbranch_vccnz .LBB105_410
; %bb.409:
	v_lshlrev_b32_e32 v3, 16, v2
	v_cvt_f16_f32_e32 v3, v3
	global_store_short v[0:1], v3, off
.LBB105_410:
	s_mov_b64 s[6:7], 0
.LBB105_411:
	s_andn2_b64 vcc, exec, s[6:7]
	s_cbranch_vccnz .LBB105_427
; %bb.412:
	s_cmp_lt_i32 s8, 2
	s_mov_b64 s[6:7], -1
	s_cbranch_scc1 .LBB105_422
; %bb.413:
	s_cmp_lt_i32 s8, 3
	s_cbranch_scc1 .LBB105_419
; %bb.414:
	s_cmp_gt_i32 s8, 3
	s_cbranch_scc0 .LBB105_416
; %bb.415:
	v_lshlrev_b32_e32 v3, 16, v2
	v_trunc_f32_e32 v3, v3
	s_mov_b32 s6, 0x2f800000
	v_mul_f32_e64 v4, |v3|, s6
	v_floor_f32_e32 v4, v4
	s_mov_b32 s6, 0xcf800000
	v_cvt_u32_f32_e32 v5, v4
	v_fma_f32 v4, v4, s6, |v3|
	v_cvt_u32_f32_e32 v4, v4
	v_ashrrev_i32_e32 v3, 31, v3
	v_xor_b32_e32 v5, v5, v3
	s_mov_b64 s[6:7], 0
	v_xor_b32_e32 v4, v4, v3
	v_sub_co_u32_e32 v4, vcc, v4, v3
	s_nop 1
	v_subb_co_u32_e32 v5, vcc, v5, v3, vcc
	global_store_dwordx2 v[0:1], v[4:5], off
.LBB105_416:
	s_andn2_b64 vcc, exec, s[6:7]
	s_cbranch_vccnz .LBB105_418
; %bb.417:
	v_lshlrev_b32_e32 v3, 16, v2
	v_cvt_i32_f32_e32 v3, v3
	global_store_dword v[0:1], v3, off
.LBB105_418:
	s_mov_b64 s[6:7], 0
.LBB105_419:
	s_andn2_b64 vcc, exec, s[6:7]
	s_cbranch_vccnz .LBB105_421
; %bb.420:
	v_lshlrev_b32_e32 v3, 16, v2
	v_cvt_i32_f32_e32 v3, v3
	global_store_short v[0:1], v3, off
.LBB105_421:
	s_mov_b64 s[6:7], 0
.LBB105_422:
	s_andn2_b64 vcc, exec, s[6:7]
	s_cbranch_vccnz .LBB105_427
; %bb.423:
	s_mov_b64 s[6:7], -1
	s_cmp_gt_i32 s8, 0
	v_lshlrev_b32_e32 v2, 16, v2
	s_cbranch_scc0 .LBB105_425
; %bb.424:
	v_cvt_i32_f32_e32 v3, v2
	s_mov_b64 s[6:7], 0
	global_store_byte v[0:1], v3, off
.LBB105_425:
	s_andn2_b64 vcc, exec, s[6:7]
	s_cbranch_vccnz .LBB105_427
; %bb.426:
	v_trunc_f32_e32 v2, v2
	s_mov_b32 s6, 0x2f800000
	v_mul_f32_e64 v3, |v2|, s6
	v_floor_f32_e32 v3, v3
	s_mov_b32 s6, 0xcf800000
	v_fma_f32 v3, v3, s6, |v2|
	v_cvt_u32_f32_e32 v3, v3
	v_ashrrev_i32_e32 v2, 31, v2
	v_xor_b32_e32 v3, v3, v2
	v_sub_u32_e32 v2, v3, v2
	global_store_byte v[0:1], v2, off
.LBB105_427:
	s_mov_b64 s[6:7], -1
.LBB105_428:
	s_andn2_b64 vcc, exec, s[6:7]
	s_cbranch_vccnz .LBB105_430
; %bb.429:
	v_add_u32_e32 v8, 0x80, v8
	s_mov_b64 s[6:7], -1
	s_branch .LBB105_543
.LBB105_430:
	s_mov_b64 s[6:7], 0
	s_branch .LBB105_542
.LBB105_431:
	s_mov_b64 s[4:5], -1
                                        ; implicit-def: $vgpr1
.LBB105_432:
	s_mov_b64 s[6:7], 0
.LBB105_433:
	s_and_b64 vcc, exec, s[6:7]
	s_cbranch_vccz .LBB105_437
; %bb.434:
	s_cmp_eq_u32 s10, 29
	s_cbranch_scc0 .LBB105_436
; %bb.435:
	global_load_dwordx2 v[4:5], v[2:3], off
	s_movk_i32 s4, 0x7fff
	s_mov_b64 s[2:3], -1
	s_mov_b64 s[6:7], 0
	s_waitcnt vmcnt(0)
	v_ffbh_u32_e32 v1, v5
	v_min_u32_e32 v1, 32, v1
	v_lshlrev_b64 v[4:5], v1, v[4:5]
	v_min_u32_e32 v4, 1, v4
	v_or_b32_e32 v4, v5, v4
	v_cvt_f32_u32_e32 v4, v4
	v_sub_u32_e32 v1, 32, v1
	v_ldexp_f32 v1, v4, v1
	v_bfe_u32 v4, v1, 16, 1
	v_add3_u32 v1, v1, v4, s4
	v_lshrrev_b32_e32 v1, 16, v1
	s_mov_b64 s[4:5], 0
	s_branch .LBB105_438
.LBB105_436:
	s_mov_b64 s[4:5], -1
                                        ; implicit-def: $vgpr1
.LBB105_437:
	s_mov_b64 s[6:7], 0
.LBB105_438:
	s_and_b64 vcc, exec, s[6:7]
	s_cbranch_vccz .LBB105_456
; %bb.439:
	s_cmp_lt_i32 s10, 27
	s_cbranch_scc1 .LBB105_442
; %bb.440:
	s_cmp_gt_i32 s10, 27
	s_cbranch_scc0 .LBB105_443
; %bb.441:
	global_load_dword v1, v[2:3], off
	s_movk_i32 s2, 0x7fff
	s_waitcnt vmcnt(0)
	v_cvt_f32_u32_e32 v1, v1
	v_bfe_u32 v4, v1, 16, 1
	v_add3_u32 v1, v1, v4, s2
	v_lshrrev_b32_e32 v1, 16, v1
	s_mov_b64 s[2:3], 0
	s_branch .LBB105_444
.LBB105_442:
	s_mov_b64 s[2:3], -1
                                        ; implicit-def: $vgpr1
	s_branch .LBB105_447
.LBB105_443:
	s_mov_b64 s[2:3], -1
                                        ; implicit-def: $vgpr1
.LBB105_444:
	s_andn2_b64 vcc, exec, s[2:3]
	s_cbranch_vccnz .LBB105_446
; %bb.445:
	global_load_ushort v1, v[2:3], off
	s_movk_i32 s2, 0x7fff
	s_waitcnt vmcnt(0)
	v_cvt_f32_u32_e32 v1, v1
	v_bfe_u32 v4, v1, 16, 1
	v_add3_u32 v1, v1, v4, s2
	v_lshrrev_b32_e32 v1, 16, v1
.LBB105_446:
	s_mov_b64 s[2:3], 0
.LBB105_447:
	s_andn2_b64 vcc, exec, s[2:3]
	s_cbranch_vccnz .LBB105_455
; %bb.448:
	global_load_ubyte v1, v[2:3], off
	s_movk_i32 s2, 0x7f
	s_waitcnt vmcnt(0)
	v_cmp_lt_i16_e32 vcc, s2, v1
	s_mov_b64 s[2:3], 0
	s_and_saveexec_b64 s[6:7], vcc
	s_xor_b64 s[6:7], exec, s[6:7]
	s_cbranch_execz .LBB105_469
; %bb.449:
	s_movk_i32 s2, 0x80
	v_cmp_eq_u16_e32 vcc, s2, v1
	s_mov_b64 s[2:3], -1
	s_and_saveexec_b64 s[8:9], vcc
; %bb.450:
	s_xor_b64 s[2:3], exec, -1
; %bb.451:
	s_or_b64 exec, exec, s[8:9]
	s_and_b64 s[2:3], s[2:3], exec
	s_or_saveexec_b64 s[6:7], s[6:7]
	v_mov_b32_e32 v4, 0x7f800001
	s_xor_b64 exec, exec, s[6:7]
	s_cbranch_execnz .LBB105_470
.LBB105_452:
	s_or_b64 exec, exec, s[6:7]
	s_and_saveexec_b64 s[6:7], s[2:3]
	s_cbranch_execz .LBB105_454
.LBB105_453:
	v_lshlrev_b32_e32 v4, 24, v1
	v_and_b32_e32 v1, 0xffff, v1
	v_and_b32_e32 v5, 7, v1
	v_ffbh_u32_e32 v7, v5
	v_min_u32_e32 v7, 32, v7
	v_subrev_u32_e32 v9, 28, v7
	v_bfe_u32 v6, v1, 3, 4
	v_lshlrev_b32_e32 v1, v9, v1
	v_sub_u32_e32 v7, 29, v7
	v_and_b32_e32 v1, 7, v1
	v_cmp_eq_u32_e32 vcc, 0, v6
	v_and_b32_e32 v4, 0x80000000, v4
	s_nop 0
	v_cndmask_b32_e32 v6, v6, v7, vcc
	v_cndmask_b32_e32 v1, v5, v1, vcc
	v_mov_b32_e32 v5, 0x3b800000
	v_lshlrev_b32_e32 v1, 20, v1
	v_lshl_add_u32 v5, v6, 23, v5
	v_or3_b32 v4, v4, v5, v1
.LBB105_454:
	s_or_b64 exec, exec, s[6:7]
	v_bfe_u32 v1, v4, 16, 1
	s_movk_i32 s2, 0x7fff
	v_add3_u32 v1, v4, v1, s2
	v_cmp_o_f32_e32 vcc, v4, v4
	v_mov_b32_e32 v4, 0x7fc0
	s_nop 0
	v_cndmask_b32_sdwa v1, v4, v1, vcc dst_sel:DWORD dst_unused:UNUSED_PAD src0_sel:DWORD src1_sel:WORD_1
.LBB105_455:
	s_mov_b64 s[2:3], -1
.LBB105_456:
	s_mov_b64 s[6:7], 0
.LBB105_457:
	s_and_b64 vcc, exec, s[6:7]
	s_cbranch_vccz .LBB105_492
; %bb.458:
	s_cmp_gt_i32 s10, 22
	s_cbranch_scc0 .LBB105_468
; %bb.459:
	s_cmp_lt_i32 s10, 24
	s_cbranch_scc1 .LBB105_471
; %bb.460:
	s_cmp_gt_i32 s10, 24
	s_cbranch_scc0 .LBB105_472
; %bb.461:
	global_load_ubyte v1, v[2:3], off
	s_movk_i32 s2, 0x7f
	s_waitcnt vmcnt(0)
	v_cmp_lt_i16_e32 vcc, s2, v1
	s_mov_b64 s[2:3], 0
	s_and_saveexec_b64 s[6:7], vcc
	s_xor_b64 s[6:7], exec, s[6:7]
	s_cbranch_execz .LBB105_484
; %bb.462:
	s_movk_i32 s2, 0x80
	v_cmp_eq_u16_e32 vcc, s2, v1
	s_mov_b64 s[2:3], -1
	s_and_saveexec_b64 s[8:9], vcc
; %bb.463:
	s_xor_b64 s[2:3], exec, -1
; %bb.464:
	s_or_b64 exec, exec, s[8:9]
	s_and_b64 s[2:3], s[2:3], exec
	s_or_saveexec_b64 s[6:7], s[6:7]
	v_mov_b32_e32 v4, 0x7f800001
	s_xor_b64 exec, exec, s[6:7]
	s_cbranch_execnz .LBB105_485
.LBB105_465:
	s_or_b64 exec, exec, s[6:7]
	s_and_saveexec_b64 s[6:7], s[2:3]
	s_cbranch_execz .LBB105_467
.LBB105_466:
	v_lshlrev_b32_e32 v4, 24, v1
	v_and_b32_e32 v1, 0xffff, v1
	v_and_b32_e32 v5, 3, v1
	v_ffbh_u32_e32 v7, v5
	v_min_u32_e32 v7, 32, v7
	v_subrev_u32_e32 v9, 29, v7
	v_bfe_u32 v6, v1, 2, 5
	v_lshlrev_b32_e32 v1, v9, v1
	v_sub_u32_e32 v7, 30, v7
	v_and_b32_e32 v1, 3, v1
	v_cmp_eq_u32_e32 vcc, 0, v6
	v_and_b32_e32 v4, 0x80000000, v4
	s_nop 0
	v_cndmask_b32_e32 v6, v6, v7, vcc
	v_cndmask_b32_e32 v1, v5, v1, vcc
	v_mov_b32_e32 v5, 0x37800000
	v_lshlrev_b32_e32 v1, 21, v1
	v_lshl_add_u32 v5, v6, 23, v5
	v_or3_b32 v4, v4, v5, v1
.LBB105_467:
	s_or_b64 exec, exec, s[6:7]
	v_bfe_u32 v1, v4, 16, 1
	s_movk_i32 s2, 0x7fff
	v_add3_u32 v1, v4, v1, s2
	v_cmp_o_f32_e32 vcc, v4, v4
	v_mov_b32_e32 v4, 0x7fc0
	s_mov_b64 s[2:3], 0
	v_cndmask_b32_sdwa v1, v4, v1, vcc dst_sel:DWORD dst_unused:UNUSED_PAD src0_sel:DWORD src1_sel:WORD_1
	s_branch .LBB105_473
.LBB105_468:
	s_mov_b64 s[6:7], -1
                                        ; implicit-def: $vgpr1
	s_branch .LBB105_479
.LBB105_469:
	s_or_saveexec_b64 s[6:7], s[6:7]
	v_mov_b32_e32 v4, 0x7f800001
	s_xor_b64 exec, exec, s[6:7]
	s_cbranch_execz .LBB105_452
.LBB105_470:
	v_cmp_ne_u16_e32 vcc, 0, v1
	s_andn2_b64 s[2:3], s[2:3], exec
	s_and_b64 s[8:9], vcc, exec
	v_mov_b32_e32 v4, 0
	s_or_b64 s[2:3], s[2:3], s[8:9]
	s_or_b64 exec, exec, s[6:7]
	s_and_saveexec_b64 s[6:7], s[2:3]
	s_cbranch_execnz .LBB105_453
	s_branch .LBB105_454
.LBB105_471:
	s_mov_b64 s[2:3], -1
                                        ; implicit-def: $vgpr1
	s_branch .LBB105_476
.LBB105_472:
	s_mov_b64 s[2:3], -1
                                        ; implicit-def: $vgpr1
.LBB105_473:
	s_and_b64 vcc, exec, s[2:3]
	s_cbranch_vccz .LBB105_475
; %bb.474:
	global_load_ubyte v1, v[2:3], off
	s_mov_b32 s2, 0x7f800000
	s_brev_b32 s3, 1
	s_movk_i32 s6, 0x7fff
	s_waitcnt vmcnt(0)
	v_lshlrev_b32_e32 v1, 24, v1
	v_and_b32_e32 v4, 0x7f000000, v1
	v_ffbh_u32_e32 v5, v4
	v_min_u32_e32 v5, 32, v5
	v_sub_u32_e64 v5, v5, 4 clamp
	v_lshlrev_b32_e32 v7, v5, v4
	v_lshlrev_b32_e32 v5, 23, v5
	v_lshrrev_b32_e32 v7, 4, v7
	v_add_u32_e32 v6, 0x1000000, v4
	v_sub_u32_e32 v5, v7, v5
	v_ashrrev_i32_e32 v6, 8, v6
	v_add_u32_e32 v5, 0x3c000000, v5
	v_and_or_b32 v5, v6, s2, v5
	v_cmp_ne_u32_e32 vcc, 0, v4
	s_nop 1
	v_cndmask_b32_e32 v4, 0, v5, vcc
	v_and_or_b32 v1, v1, s3, v4
	v_bfe_u32 v4, v4, 16, 1
	v_add3_u32 v4, v1, v4, s6
	v_cmp_o_f32_e32 vcc, v1, v1
	v_mov_b32_e32 v1, 0x7fc0
	s_nop 0
	v_cndmask_b32_sdwa v1, v1, v4, vcc dst_sel:DWORD dst_unused:UNUSED_PAD src0_sel:DWORD src1_sel:WORD_1
.LBB105_475:
	s_mov_b64 s[2:3], 0
.LBB105_476:
	s_andn2_b64 vcc, exec, s[2:3]
	s_cbranch_vccnz .LBB105_478
; %bb.477:
	global_load_ubyte v1, v[2:3], off
	s_movk_i32 s2, 0x7f00
	s_brev_b32 s3, 16
	s_brev_b32 s6, 1
	s_movk_i32 s7, 0x7fff
	s_waitcnt vmcnt(0)
	v_lshlrev_b16_e32 v4, 8, v1
	v_lshlrev_b32_e32 v1, 25, v1
	v_lshrrev_b32_e32 v5, 4, v1
	v_and_or_b32 v6, v4, s2, 0.5
	v_or_b32_e32 v5, 0x70000000, v5
	v_add_f32_e32 v6, -0.5, v6
	v_mul_f32_e32 v5, 0x7800000, v5
	v_cmp_gt_u32_e32 vcc, s3, v1
	v_bfe_i32 v4, v4, 0, 16
	s_nop 0
	v_cndmask_b32_e32 v1, v5, v6, vcc
	v_and_or_b32 v4, v4, s6, v1
	v_bfe_u32 v1, v1, 16, 1
	v_add3_u32 v1, v4, v1, s7
	v_cmp_o_f32_e32 vcc, v4, v4
	v_mov_b32_e32 v4, 0x7fc0
	s_nop 0
	v_cndmask_b32_sdwa v1, v4, v1, vcc dst_sel:DWORD dst_unused:UNUSED_PAD src0_sel:DWORD src1_sel:WORD_1
.LBB105_478:
	s_mov_b64 s[6:7], 0
	s_mov_b64 s[2:3], -1
.LBB105_479:
	s_andn2_b64 vcc, exec, s[6:7]
	s_cbranch_vccnz .LBB105_492
; %bb.480:
	s_cmp_gt_i32 s10, 14
	s_cbranch_scc0 .LBB105_483
; %bb.481:
	s_cmp_eq_u32 s10, 15
	s_cbranch_scc0 .LBB105_486
; %bb.482:
	global_load_ushort v1, v[2:3], off
	s_mov_b64 s[2:3], -1
	s_mov_b64 s[4:5], 0
	s_branch .LBB105_487
.LBB105_483:
	s_mov_b64 s[6:7], -1
                                        ; implicit-def: $vgpr1
	s_branch .LBB105_488
.LBB105_484:
	s_or_saveexec_b64 s[6:7], s[6:7]
	v_mov_b32_e32 v4, 0x7f800001
	s_xor_b64 exec, exec, s[6:7]
	s_cbranch_execz .LBB105_465
.LBB105_485:
	v_cmp_ne_u16_e32 vcc, 0, v1
	s_andn2_b64 s[2:3], s[2:3], exec
	s_and_b64 s[8:9], vcc, exec
	v_mov_b32_e32 v4, 0
	s_or_b64 s[2:3], s[2:3], s[8:9]
	s_or_b64 exec, exec, s[6:7]
	s_and_saveexec_b64 s[6:7], s[2:3]
	s_cbranch_execnz .LBB105_466
	s_branch .LBB105_467
.LBB105_486:
	s_mov_b64 s[4:5], -1
                                        ; implicit-def: $vgpr1
.LBB105_487:
	s_mov_b64 s[6:7], 0
.LBB105_488:
	s_and_b64 vcc, exec, s[6:7]
	s_cbranch_vccz .LBB105_492
; %bb.489:
	s_cmp_eq_u32 s10, 11
	s_cbranch_scc0 .LBB105_491
; %bb.490:
	global_load_ubyte v1, v[2:3], off
	s_mov_b64 s[2:3], -1
	s_mov_b64 s[4:5], 0
	s_waitcnt vmcnt(0)
	v_cmp_ne_u16_e32 vcc, 0, v1
	s_nop 1
	v_cndmask_b32_e64 v1, 0, 1.0, vcc
	v_lshrrev_b32_e32 v1, 16, v1
	s_branch .LBB105_492
.LBB105_491:
	s_mov_b64 s[4:5], -1
                                        ; implicit-def: $vgpr1
.LBB105_492:
	s_branch .LBB105_295
.LBB105_493:
	s_cmp_lt_i32 s10, 5
	s_cbranch_scc1 .LBB105_498
; %bb.494:
	s_cmp_lt_i32 s10, 8
	s_cbranch_scc1 .LBB105_499
; %bb.495:
	;; [unrolled: 3-line block ×3, first 2 shown]
	s_cmp_gt_i32 s10, 9
	s_cbranch_scc0 .LBB105_501
; %bb.497:
	global_load_dwordx2 v[4:5], v[2:3], off
	s_movk_i32 s2, 0x7fff
	s_waitcnt vmcnt(1)
	v_mov_b32_e32 v1, 0x7fc0
	s_waitcnt vmcnt(0)
	v_cvt_f32_f64_e32 v4, v[4:5]
	v_bfe_u32 v5, v4, 16, 1
	v_cmp_o_f32_e32 vcc, v4, v4
	v_add3_u32 v4, v4, v5, s2
	s_mov_b64 s[2:3], 0
	v_cndmask_b32_sdwa v1, v1, v4, vcc dst_sel:DWORD dst_unused:UNUSED_PAD src0_sel:DWORD src1_sel:WORD_1
	s_branch .LBB105_502
.LBB105_498:
	s_mov_b64 s[2:3], -1
                                        ; implicit-def: $vgpr1
	s_branch .LBB105_520
.LBB105_499:
	s_mov_b64 s[2:3], -1
                                        ; implicit-def: $vgpr1
	s_branch .LBB105_508
.LBB105_500:
	s_mov_b64 s[2:3], -1
                                        ; implicit-def: $vgpr1
	s_branch .LBB105_505
.LBB105_501:
	s_mov_b64 s[2:3], -1
                                        ; implicit-def: $vgpr1
.LBB105_502:
	s_andn2_b64 vcc, exec, s[2:3]
	s_cbranch_vccnz .LBB105_504
; %bb.503:
	global_load_dword v1, v[2:3], off
	s_movk_i32 s2, 0x7fff
	v_mov_b32_e32 v4, 0x7fc0
	s_waitcnt vmcnt(0)
	v_bfe_u32 v5, v1, 16, 1
	v_cmp_o_f32_e32 vcc, v1, v1
	v_add3_u32 v1, v1, v5, s2
	s_nop 0
	v_cndmask_b32_sdwa v1, v4, v1, vcc dst_sel:DWORD dst_unused:UNUSED_PAD src0_sel:DWORD src1_sel:WORD_1
.LBB105_504:
	s_mov_b64 s[2:3], 0
.LBB105_505:
	s_andn2_b64 vcc, exec, s[2:3]
	s_cbranch_vccnz .LBB105_507
; %bb.506:
	global_load_dword v1, v[2:3], off
	s_movk_i32 s2, 0x7fff
	v_mov_b32_e32 v5, 0x7fc0
	s_waitcnt vmcnt(0)
	v_cvt_f32_f16_e32 v4, v1
	v_cmp_o_f16_e32 vcc, v1, v1
	v_bfe_u32 v1, v4, 16, 1
	v_add3_u32 v1, v4, v1, s2
	v_cndmask_b32_sdwa v1, v5, v1, vcc dst_sel:DWORD dst_unused:UNUSED_PAD src0_sel:DWORD src1_sel:WORD_1
.LBB105_507:
	s_mov_b64 s[2:3], 0
.LBB105_508:
	s_andn2_b64 vcc, exec, s[2:3]
	s_cbranch_vccnz .LBB105_519
; %bb.509:
	s_cmp_lt_i32 s10, 6
	s_cbranch_scc1 .LBB105_512
; %bb.510:
	s_cmp_gt_i32 s10, 6
	s_cbranch_scc0 .LBB105_513
; %bb.511:
	global_load_dwordx2 v[4:5], v[2:3], off
	s_movk_i32 s2, 0x7fff
	s_waitcnt vmcnt(1)
	v_mov_b32_e32 v1, 0x7fc0
	s_waitcnt vmcnt(0)
	v_cvt_f32_f64_e32 v4, v[4:5]
	v_bfe_u32 v5, v4, 16, 1
	v_cmp_o_f32_e32 vcc, v4, v4
	v_add3_u32 v4, v4, v5, s2
	s_mov_b64 s[2:3], 0
	v_cndmask_b32_sdwa v1, v1, v4, vcc dst_sel:DWORD dst_unused:UNUSED_PAD src0_sel:DWORD src1_sel:WORD_1
	s_branch .LBB105_514
.LBB105_512:
	s_mov_b64 s[2:3], -1
                                        ; implicit-def: $vgpr1
	s_branch .LBB105_517
.LBB105_513:
	s_mov_b64 s[2:3], -1
                                        ; implicit-def: $vgpr1
.LBB105_514:
	s_andn2_b64 vcc, exec, s[2:3]
	s_cbranch_vccnz .LBB105_516
; %bb.515:
	global_load_dword v1, v[2:3], off
	s_movk_i32 s2, 0x7fff
	v_mov_b32_e32 v4, 0x7fc0
	s_waitcnt vmcnt(0)
	v_bfe_u32 v5, v1, 16, 1
	v_cmp_o_f32_e32 vcc, v1, v1
	v_add3_u32 v1, v1, v5, s2
	s_nop 0
	v_cndmask_b32_sdwa v1, v4, v1, vcc dst_sel:DWORD dst_unused:UNUSED_PAD src0_sel:DWORD src1_sel:WORD_1
.LBB105_516:
	s_mov_b64 s[2:3], 0
.LBB105_517:
	s_andn2_b64 vcc, exec, s[2:3]
	s_cbranch_vccnz .LBB105_519
; %bb.518:
	global_load_ushort v1, v[2:3], off
	s_movk_i32 s2, 0x7fff
	v_mov_b32_e32 v5, 0x7fc0
	s_waitcnt vmcnt(0)
	v_cvt_f32_f16_e32 v4, v1
	v_cmp_o_f16_e32 vcc, v1, v1
	v_bfe_u32 v1, v4, 16, 1
	v_add3_u32 v1, v4, v1, s2
	v_cndmask_b32_sdwa v1, v5, v1, vcc dst_sel:DWORD dst_unused:UNUSED_PAD src0_sel:DWORD src1_sel:WORD_1
.LBB105_519:
	s_mov_b64 s[2:3], 0
.LBB105_520:
	s_andn2_b64 vcc, exec, s[2:3]
	s_cbranch_vccnz .LBB105_540
; %bb.521:
	s_cmp_lt_i32 s10, 2
	s_cbranch_scc1 .LBB105_525
; %bb.522:
	s_cmp_lt_i32 s10, 3
	s_cbranch_scc1 .LBB105_526
; %bb.523:
	s_cmp_gt_i32 s10, 3
	s_cbranch_scc0 .LBB105_527
; %bb.524:
	global_load_dwordx2 v[4:5], v[2:3], off
	s_movk_i32 s2, 0x7fff
	s_waitcnt vmcnt(0)
	v_xor_b32_e32 v6, v4, v5
	v_ffbh_i32_e32 v1, v5
	v_ashrrev_i32_e32 v6, 31, v6
	v_add_u32_e32 v1, -1, v1
	v_add_u32_e32 v6, 32, v6
	v_min_u32_e32 v1, v1, v6
	v_lshlrev_b64 v[4:5], v1, v[4:5]
	v_min_u32_e32 v4, 1, v4
	v_or_b32_e32 v4, v5, v4
	v_cvt_f32_i32_e32 v4, v4
	v_sub_u32_e32 v1, 32, v1
	v_ldexp_f32 v1, v4, v1
	v_bfe_u32 v4, v1, 16, 1
	v_add3_u32 v1, v1, v4, s2
	v_lshrrev_b32_e32 v1, 16, v1
	s_mov_b64 s[2:3], 0
	s_branch .LBB105_528
.LBB105_525:
	s_mov_b64 s[2:3], -1
                                        ; implicit-def: $vgpr1
	s_branch .LBB105_534
.LBB105_526:
	s_mov_b64 s[2:3], -1
                                        ; implicit-def: $vgpr1
	s_branch .LBB105_531
.LBB105_527:
	s_mov_b64 s[2:3], -1
                                        ; implicit-def: $vgpr1
.LBB105_528:
	s_andn2_b64 vcc, exec, s[2:3]
	s_cbranch_vccnz .LBB105_530
; %bb.529:
	global_load_dword v1, v[2:3], off
	s_movk_i32 s2, 0x7fff
	s_waitcnt vmcnt(0)
	v_cvt_f32_i32_e32 v1, v1
	v_bfe_u32 v4, v1, 16, 1
	v_add3_u32 v1, v1, v4, s2
	v_lshrrev_b32_e32 v1, 16, v1
.LBB105_530:
	s_mov_b64 s[2:3], 0
.LBB105_531:
	s_andn2_b64 vcc, exec, s[2:3]
	s_cbranch_vccnz .LBB105_533
; %bb.532:
	global_load_sshort v1, v[2:3], off
	s_movk_i32 s2, 0x7fff
	s_waitcnt vmcnt(0)
	v_cvt_f32_i32_e32 v1, v1
	v_bfe_u32 v4, v1, 16, 1
	v_add3_u32 v1, v1, v4, s2
	v_lshrrev_b32_e32 v1, 16, v1
.LBB105_533:
	s_mov_b64 s[2:3], 0
.LBB105_534:
	s_andn2_b64 vcc, exec, s[2:3]
	s_cbranch_vccnz .LBB105_540
; %bb.535:
	s_cmp_gt_i32 s10, 0
	s_cbranch_scc0 .LBB105_537
; %bb.536:
	global_load_sbyte v1, v[2:3], off
	s_movk_i32 s2, 0x7fff
	s_waitcnt vmcnt(0)
	v_cvt_f32_i32_e32 v1, v1
	v_bfe_u32 v4, v1, 16, 1
	v_add3_u32 v1, v1, v4, s2
	v_lshrrev_b32_e32 v1, 16, v1
	s_mov_b64 s[2:3], 0
	s_branch .LBB105_538
.LBB105_537:
	s_mov_b64 s[2:3], -1
                                        ; implicit-def: $vgpr1
.LBB105_538:
	s_andn2_b64 vcc, exec, s[2:3]
	s_cbranch_vccnz .LBB105_540
; %bb.539:
	global_load_ubyte v1, v[2:3], off
	s_movk_i32 s2, 0x7fff
	s_waitcnt vmcnt(0)
	v_cvt_f32_ubyte0_e32 v1, v1
	v_bfe_u32 v2, v1, 16, 1
	v_add3_u32 v1, v1, v2, s2
	v_lshrrev_b32_e32 v1, 16, v1
.LBB105_540:
	s_branch .LBB105_296
.LBB105_541:
	s_mov_b64 s[6:7], 0
	s_mov_b64 s[2:3], s[54:55]
.LBB105_542:
                                        ; implicit-def: $vgpr8
.LBB105_543:
	s_andn2_b64 s[8:9], s[54:55], exec
	s_and_b64 s[2:3], s[2:3], exec
	s_or_b64 s[62:63], s[8:9], s[2:3]
	s_andn2_b64 s[2:3], s[56:57], exec
	s_and_b64 s[4:5], s[4:5], exec
	s_or_b64 s[60:61], s[2:3], s[4:5]
	s_orn2_b64 s[2:3], s[6:7], exec
.LBB105_544:
	s_or_b64 exec, exec, s[64:65]
	s_mov_b64 s[4:5], 0
	s_mov_b64 s[6:7], 0
	;; [unrolled: 1-line block ×3, first 2 shown]
                                        ; implicit-def: $vgpr2_vgpr3
                                        ; implicit-def: $vgpr0
                                        ; implicit-def: $vgpr1
	s_and_saveexec_b64 s[64:65], s[2:3]
	s_cbranch_execz .LBB105_921
; %bb.545:
	v_cmp_gt_i32_e32 vcc, s70, v8
	s_mov_b64 s[6:7], -1
	s_mov_b64 s[2:3], s[60:61]
	s_mov_b64 s[68:69], s[62:63]
	s_and_saveexec_b64 s[66:67], vcc
	s_cbranch_execz .LBB105_820
; %bb.546:
	s_andn2_b64 vcc, exec, s[42:43]
	s_cbranch_vccnz .LBB105_552
; %bb.547:
	s_andn2_b64 vcc, exec, s[52:53]
	s_cbranch_vccnz .LBB105_553
; %bb.548:
	s_add_i32 s76, s75, 1
	s_cmp_eq_u32 s72, 2
	s_cbranch_scc1 .LBB105_554
; %bb.549:
	s_and_b32 s71, s76, 28
	s_mov_b32 s77, 0
	v_mov_b32_e32 v0, 0
	v_mov_b32_e32 v2, 0
	s_mov_b64 s[2:3], s[34:35]
	s_mov_b64 s[68:69], s[50:51]
	v_mov_b32_e32 v4, v8
.LBB105_550:                            ; =>This Inner Loop Header: Depth=1
	s_load_dwordx8 s[12:19], s[2:3], 0x4
	s_load_dwordx4 s[36:39], s[2:3], 0x24
	s_load_dwordx8 s[4:11], s[68:69], 0x0
	s_add_u32 s2, s2, 48
	s_addc_u32 s3, s3, 0
	s_waitcnt vmcnt(0) lgkmcnt(0)
	v_mul_hi_u32 v1, s13, v4
	v_add_u32_e32 v1, v4, v1
	v_lshrrev_b32_e32 v1, s14, v1
	v_mul_lo_u32 v3, v1, s12
	v_mul_hi_u32 v5, s16, v1
	v_sub_u32_e32 v3, v4, v3
	v_add_u32_e32 v4, v1, v5
	v_lshrrev_b32_e32 v4, s17, v4
	v_mul_lo_u32 v6, v4, s15
	v_mul_hi_u32 v7, s19, v4
	v_sub_u32_e32 v1, v1, v6
	v_add_u32_e32 v6, v4, v7
	v_mul_lo_u32 v5, v3, s5
	v_mul_lo_u32 v3, v3, s4
	;; [unrolled: 1-line block ×4, first 2 shown]
	v_lshrrev_b32_e32 v6, s36, v6
	v_add3_u32 v0, v3, v0, v1
	v_mul_hi_u32 v3, s38, v6
	v_add3_u32 v1, v5, v2, v7
	v_mul_lo_u32 v2, v6, s18
	v_add_u32_e32 v3, v6, v3
	v_sub_u32_e32 v2, v4, v2
	v_lshrrev_b32_e32 v4, s39, v3
	s_add_i32 s77, s77, 4
	v_mul_lo_u32 v3, v4, s37
	s_add_u32 s68, s68, 32
	v_sub_u32_e32 v3, v6, v3
	s_addc_u32 s69, s69, 0
	v_mul_lo_u32 v5, v2, s8
	v_mul_lo_u32 v2, v2, s9
	;; [unrolled: 1-line block ×4, first 2 shown]
	s_cmp_eq_u32 s71, s77
	v_add3_u32 v2, v2, v1, v3
	v_add3_u32 v0, v5, v0, v6
	s_cbranch_scc0 .LBB105_550
; %bb.551:
	v_mov_b32_e32 v1, v2
	s_branch .LBB105_555
.LBB105_552:
	s_mov_b64 s[2:3], -1
                                        ; implicit-def: $vgpr2
                                        ; implicit-def: $vgpr0
	s_branch .LBB105_559
.LBB105_553:
	v_mov_b32_e32 v2, 0
	v_mov_b32_e32 v0, 0
	s_branch .LBB105_558
.LBB105_554:
	v_mov_b32_e32 v0, 0
	s_mov_b32 s71, 0
	s_waitcnt vmcnt(0)
	v_mov_b32_e32 v1, v0
                                        ; implicit-def: $vgpr2
	v_mov_b32_e32 v4, v8
.LBB105_555:
	s_and_b32 s6, s76, 3
	s_cmp_eq_u32 s6, 0
	s_cbranch_scc1 .LBB105_558
; %bb.556:
	s_lshl_b32 s2, s71, 3
	s_add_u32 s2, s34, s2
	s_addc_u32 s3, s35, 0
	s_add_u32 s2, s2, 0xc4
	s_addc_u32 s3, s3, 0
	s_mul_i32 s4, s71, 12
	s_add_u32 s4, s34, s4
	s_addc_u32 s5, s35, 0
.LBB105_557:                            ; =>This Inner Loop Header: Depth=1
	s_load_dwordx2 s[8:9], s[4:5], 0x4
	s_load_dword s7, s[4:5], 0xc
	s_load_dwordx2 s[10:11], s[2:3], 0x0
	v_mov_b32_e32 v2, v1
	s_add_u32 s4, s4, 12
	s_waitcnt lgkmcnt(0)
	v_mul_hi_u32 v1, s9, v4
	v_add_u32_e32 v1, v4, v1
	v_lshrrev_b32_e32 v1, s7, v1
	s_addc_u32 s5, s5, 0
	v_mul_lo_u32 v3, v1, s8
	s_add_u32 s2, s2, 8
	v_sub_u32_e32 v5, v4, v3
	s_addc_u32 s3, s3, 0
	s_add_i32 s6, s6, -1
	v_mov_b32_e32 v4, v1
	v_mad_u64_u32 v[2:3], s[8:9], v5, s11, v[2:3]
	v_mad_u64_u32 v[0:1], s[8:9], v5, s10, v[0:1]
	s_cmp_lg_u32 s6, 0
	v_mov_b32_e32 v1, v2
	s_cbranch_scc1 .LBB105_557
.LBB105_558:
	s_mov_b64 s[2:3], 0
.LBB105_559:
	s_andn2_b64 vcc, exec, s[2:3]
	s_cbranch_vccnz .LBB105_562
; %bb.560:
	s_waitcnt lgkmcnt(0)
	v_mul_hi_u32 v0, s29, v8
	v_add_u32_e32 v0, v8, v0
	s_waitcnt vmcnt(0)
	v_lshrrev_b32_e32 v1, s30, v0
	v_mul_lo_u32 v0, v1, s28
	v_sub_u32_e32 v0, v8, v0
	v_mul_lo_u32 v2, v0, s25
	s_andn2_b64 vcc, exec, s[48:49]
	v_mul_lo_u32 v0, v0, s24
	s_cbranch_vccnz .LBB105_562
; %bb.561:
	v_mul_hi_u32 v3, s46, v1
	v_add_u32_e32 v3, v1, v3
	v_lshrrev_b32_e32 v3, s47, v3
	v_mul_lo_u32 v3, v3, s31
	v_sub_u32_e32 v3, v1, v3
	v_mad_u64_u32 v[0:1], s[2:3], v3, s26, v[0:1]
	v_mad_u64_u32 v[2:3], s[2:3], v3, s27, v[2:3]
.LBB105_562:
	v_mov_b32_e32 v3, 0
	s_and_b32 s10, 0xffff, s74
	s_cmp_lt_i32 s10, 11
	s_waitcnt lgkmcnt(0)
	v_lshl_add_u64 v[2:3], s[22:23], 0, v[2:3]
	s_cbranch_scc1 .LBB105_569
; %bb.563:
	s_cmp_gt_i32 s10, 25
	s_cbranch_scc0 .LBB105_570
; %bb.564:
	s_cmp_gt_i32 s10, 28
	s_cbranch_scc0 .LBB105_571
	;; [unrolled: 3-line block ×4, first 2 shown]
; %bb.567:
	s_cmp_eq_u32 s10, 46
	s_mov_b64 s[6:7], 0
	s_cbranch_scc0 .LBB105_578
; %bb.568:
	global_load_dword v1, v[2:3], off
	s_mov_b64 s[2:3], -1
	s_mov_b64 s[4:5], 0
	s_branch .LBB105_579
.LBB105_569:
	s_mov_b64 s[6:7], -1
	s_mov_b64 s[2:3], 0
                                        ; implicit-def: $vgpr1
	s_mov_b64 s[4:5], s[60:61]
	s_branch .LBB105_644
.LBB105_570:
	s_mov_b64 s[6:7], -1
	s_mov_b64 s[2:3], 0
	s_mov_b64 s[4:5], s[60:61]
                                        ; implicit-def: $vgpr1
	s_branch .LBB105_608
.LBB105_571:
	s_mov_b64 s[6:7], -1
	s_mov_b64 s[2:3], 0
	s_mov_b64 s[4:5], s[60:61]
                                        ; implicit-def: $vgpr1
	s_branch .LBB105_589
.LBB105_572:
	s_mov_b64 s[6:7], -1
	s_mov_b64 s[2:3], 0
	s_mov_b64 s[4:5], s[60:61]
                                        ; implicit-def: $vgpr1
	s_branch .LBB105_584
.LBB105_573:
	s_andn2_saveexec_b64 s[10:11], s[10:11]
	s_cbranch_execz .LBB105_341
.LBB105_574:
	s_mov_b32 s14, 0x46000000
	v_add_f32_e64 v4, |v5|, s14
	v_and_b32_e32 v4, 0xff, v4
	v_cmp_ne_u32_e32 vcc, 0, v4
	s_andn2_b64 s[8:9], s[8:9], exec
	s_and_b64 s[14:15], vcc, exec
	s_or_b64 s[8:9], s[8:9], s[14:15]
	s_or_b64 exec, exec, s[10:11]
	v_mov_b32_e32 v6, 0
	s_and_saveexec_b64 s[10:11], s[8:9]
	s_cbranch_execnz .LBB105_342
	s_branch .LBB105_343
.LBB105_575:
	s_mov_b64 s[6:7], -1
	s_mov_b64 s[2:3], 0
	s_mov_b64 s[4:5], s[60:61]
                                        ; implicit-def: $vgpr1
	s_branch .LBB105_579
.LBB105_576:
	s_andn2_saveexec_b64 s[10:11], s[10:11]
	s_cbranch_execz .LBB105_354
.LBB105_577:
	s_mov_b32 s14, 0x42800000
	v_add_f32_e64 v4, |v5|, s14
	v_and_b32_e32 v4, 0xff, v4
	v_cmp_ne_u32_e32 vcc, 0, v4
	s_andn2_b64 s[8:9], s[8:9], exec
	s_and_b64 s[14:15], vcc, exec
	s_or_b64 s[8:9], s[8:9], s[14:15]
	s_or_b64 exec, exec, s[10:11]
	v_mov_b32_e32 v6, 0
	s_and_saveexec_b64 s[10:11], s[8:9]
	s_cbranch_execnz .LBB105_355
	s_branch .LBB105_356
.LBB105_578:
	s_mov_b64 s[4:5], -1
                                        ; implicit-def: $vgpr1
	s_mov_b64 s[2:3], 0
.LBB105_579:
	s_and_b64 vcc, exec, s[6:7]
	s_cbranch_vccz .LBB105_583
; %bb.580:
	s_cmp_eq_u32 s10, 44
	s_cbranch_scc0 .LBB105_582
; %bb.581:
	global_load_ubyte v1, v[2:3], off
	s_movk_i32 s4, 0xff
	v_mov_b32_e32 v4, 0x7f800001
	v_mov_b32_e32 v5, 0x400000
	;; [unrolled: 1-line block ×3, first 2 shown]
	s_mov_b64 s[2:3], -1
	s_waitcnt vmcnt(0)
	v_lshlrev_b32_e32 v7, 23, v1
	v_cmp_ne_u32_e32 vcc, s4, v1
	s_mov_b64 s[4:5], 0
	s_nop 0
	v_cndmask_b32_e32 v4, v4, v7, vcc
	v_cmp_ne_u32_e32 vcc, 0, v1
	s_nop 1
	v_cndmask_b32_e32 v1, v5, v4, vcc
	v_add_u32_e32 v4, 0x7fff, v1
	v_cmp_o_f32_e32 vcc, v1, v1
	s_nop 1
	v_cndmask_b32_sdwa v1, v6, v4, vcc dst_sel:DWORD dst_unused:UNUSED_PAD src0_sel:DWORD src1_sel:WORD_1
	s_branch .LBB105_583
.LBB105_582:
	s_mov_b64 s[4:5], -1
                                        ; implicit-def: $vgpr1
.LBB105_583:
	s_mov_b64 s[6:7], 0
.LBB105_584:
	s_and_b64 vcc, exec, s[6:7]
	s_cbranch_vccz .LBB105_588
; %bb.585:
	s_cmp_eq_u32 s10, 29
	s_cbranch_scc0 .LBB105_587
; %bb.586:
	global_load_dwordx2 v[4:5], v[2:3], off
	s_movk_i32 s4, 0x7fff
	s_mov_b64 s[2:3], -1
	s_mov_b64 s[6:7], 0
	s_waitcnt vmcnt(0)
	v_ffbh_u32_e32 v1, v5
	v_min_u32_e32 v1, 32, v1
	v_lshlrev_b64 v[4:5], v1, v[4:5]
	v_min_u32_e32 v4, 1, v4
	v_or_b32_e32 v4, v5, v4
	v_cvt_f32_u32_e32 v4, v4
	v_sub_u32_e32 v1, 32, v1
	v_ldexp_f32 v1, v4, v1
	v_bfe_u32 v4, v1, 16, 1
	v_add3_u32 v1, v1, v4, s4
	v_lshrrev_b32_e32 v1, 16, v1
	s_mov_b64 s[4:5], 0
	s_branch .LBB105_589
.LBB105_587:
	s_mov_b64 s[4:5], -1
                                        ; implicit-def: $vgpr1
.LBB105_588:
	s_mov_b64 s[6:7], 0
.LBB105_589:
	s_and_b64 vcc, exec, s[6:7]
	s_cbranch_vccz .LBB105_607
; %bb.590:
	s_cmp_lt_i32 s10, 27
	s_cbranch_scc1 .LBB105_593
; %bb.591:
	s_cmp_gt_i32 s10, 27
	s_cbranch_scc0 .LBB105_594
; %bb.592:
	global_load_dword v1, v[2:3], off
	s_movk_i32 s2, 0x7fff
	s_waitcnt vmcnt(0)
	v_cvt_f32_u32_e32 v1, v1
	v_bfe_u32 v4, v1, 16, 1
	v_add3_u32 v1, v1, v4, s2
	v_lshrrev_b32_e32 v1, 16, v1
	s_mov_b64 s[2:3], 0
	s_branch .LBB105_595
.LBB105_593:
	s_mov_b64 s[2:3], -1
                                        ; implicit-def: $vgpr1
	s_branch .LBB105_598
.LBB105_594:
	s_mov_b64 s[2:3], -1
                                        ; implicit-def: $vgpr1
.LBB105_595:
	s_andn2_b64 vcc, exec, s[2:3]
	s_cbranch_vccnz .LBB105_597
; %bb.596:
	global_load_ushort v1, v[2:3], off
	s_movk_i32 s2, 0x7fff
	s_waitcnt vmcnt(0)
	v_cvt_f32_u32_e32 v1, v1
	v_bfe_u32 v4, v1, 16, 1
	v_add3_u32 v1, v1, v4, s2
	v_lshrrev_b32_e32 v1, 16, v1
.LBB105_597:
	s_mov_b64 s[2:3], 0
.LBB105_598:
	s_andn2_b64 vcc, exec, s[2:3]
	s_cbranch_vccnz .LBB105_606
; %bb.599:
	global_load_ubyte v1, v[2:3], off
	s_movk_i32 s2, 0x7f
	s_waitcnt vmcnt(0)
	v_cmp_lt_i16_e32 vcc, s2, v1
	s_mov_b64 s[2:3], 0
	s_and_saveexec_b64 s[6:7], vcc
	s_xor_b64 s[6:7], exec, s[6:7]
	s_cbranch_execz .LBB105_620
; %bb.600:
	s_movk_i32 s2, 0x80
	v_cmp_eq_u16_e32 vcc, s2, v1
	s_mov_b64 s[2:3], -1
	s_and_saveexec_b64 s[8:9], vcc
; %bb.601:
	s_xor_b64 s[2:3], exec, -1
; %bb.602:
	s_or_b64 exec, exec, s[8:9]
	s_and_b64 s[2:3], s[2:3], exec
	s_or_saveexec_b64 s[6:7], s[6:7]
	v_mov_b32_e32 v4, 0x7f800001
	s_xor_b64 exec, exec, s[6:7]
	s_cbranch_execnz .LBB105_621
.LBB105_603:
	s_or_b64 exec, exec, s[6:7]
	s_and_saveexec_b64 s[6:7], s[2:3]
	s_cbranch_execz .LBB105_605
.LBB105_604:
	v_lshlrev_b32_e32 v4, 24, v1
	v_and_b32_e32 v1, 0xffff, v1
	v_and_b32_e32 v5, 7, v1
	v_ffbh_u32_e32 v7, v5
	v_min_u32_e32 v7, 32, v7
	v_subrev_u32_e32 v9, 28, v7
	v_bfe_u32 v6, v1, 3, 4
	v_lshlrev_b32_e32 v1, v9, v1
	v_sub_u32_e32 v7, 29, v7
	v_and_b32_e32 v1, 7, v1
	v_cmp_eq_u32_e32 vcc, 0, v6
	v_and_b32_e32 v4, 0x80000000, v4
	s_nop 0
	v_cndmask_b32_e32 v6, v6, v7, vcc
	v_cndmask_b32_e32 v1, v5, v1, vcc
	v_mov_b32_e32 v5, 0x3b800000
	v_lshlrev_b32_e32 v1, 20, v1
	v_lshl_add_u32 v5, v6, 23, v5
	v_or3_b32 v4, v4, v5, v1
.LBB105_605:
	s_or_b64 exec, exec, s[6:7]
	v_bfe_u32 v1, v4, 16, 1
	s_movk_i32 s2, 0x7fff
	v_add3_u32 v1, v4, v1, s2
	v_cmp_o_f32_e32 vcc, v4, v4
	v_mov_b32_e32 v4, 0x7fc0
	s_nop 0
	v_cndmask_b32_sdwa v1, v4, v1, vcc dst_sel:DWORD dst_unused:UNUSED_PAD src0_sel:DWORD src1_sel:WORD_1
.LBB105_606:
	s_mov_b64 s[2:3], -1
.LBB105_607:
	s_mov_b64 s[6:7], 0
.LBB105_608:
	s_and_b64 vcc, exec, s[6:7]
	s_cbranch_vccz .LBB105_643
; %bb.609:
	s_cmp_gt_i32 s10, 22
	s_cbranch_scc0 .LBB105_619
; %bb.610:
	s_cmp_lt_i32 s10, 24
	s_cbranch_scc1 .LBB105_622
; %bb.611:
	s_cmp_gt_i32 s10, 24
	s_cbranch_scc0 .LBB105_623
; %bb.612:
	global_load_ubyte v1, v[2:3], off
	s_movk_i32 s2, 0x7f
	s_waitcnt vmcnt(0)
	v_cmp_lt_i16_e32 vcc, s2, v1
	s_mov_b64 s[2:3], 0
	s_and_saveexec_b64 s[6:7], vcc
	s_xor_b64 s[6:7], exec, s[6:7]
	s_cbranch_execz .LBB105_635
; %bb.613:
	s_movk_i32 s2, 0x80
	v_cmp_eq_u16_e32 vcc, s2, v1
	s_mov_b64 s[2:3], -1
	s_and_saveexec_b64 s[8:9], vcc
; %bb.614:
	s_xor_b64 s[2:3], exec, -1
; %bb.615:
	s_or_b64 exec, exec, s[8:9]
	s_and_b64 s[2:3], s[2:3], exec
	s_or_saveexec_b64 s[6:7], s[6:7]
	v_mov_b32_e32 v4, 0x7f800001
	s_xor_b64 exec, exec, s[6:7]
	s_cbranch_execnz .LBB105_636
.LBB105_616:
	s_or_b64 exec, exec, s[6:7]
	s_and_saveexec_b64 s[6:7], s[2:3]
	s_cbranch_execz .LBB105_618
.LBB105_617:
	v_lshlrev_b32_e32 v4, 24, v1
	v_and_b32_e32 v1, 0xffff, v1
	v_and_b32_e32 v5, 3, v1
	v_ffbh_u32_e32 v7, v5
	v_min_u32_e32 v7, 32, v7
	v_subrev_u32_e32 v9, 29, v7
	v_bfe_u32 v6, v1, 2, 5
	v_lshlrev_b32_e32 v1, v9, v1
	v_sub_u32_e32 v7, 30, v7
	v_and_b32_e32 v1, 3, v1
	v_cmp_eq_u32_e32 vcc, 0, v6
	v_and_b32_e32 v4, 0x80000000, v4
	s_nop 0
	v_cndmask_b32_e32 v6, v6, v7, vcc
	v_cndmask_b32_e32 v1, v5, v1, vcc
	v_mov_b32_e32 v5, 0x37800000
	v_lshlrev_b32_e32 v1, 21, v1
	v_lshl_add_u32 v5, v6, 23, v5
	v_or3_b32 v4, v4, v5, v1
.LBB105_618:
	s_or_b64 exec, exec, s[6:7]
	v_bfe_u32 v1, v4, 16, 1
	s_movk_i32 s2, 0x7fff
	v_add3_u32 v1, v4, v1, s2
	v_cmp_o_f32_e32 vcc, v4, v4
	v_mov_b32_e32 v4, 0x7fc0
	s_mov_b64 s[2:3], 0
	v_cndmask_b32_sdwa v1, v4, v1, vcc dst_sel:DWORD dst_unused:UNUSED_PAD src0_sel:DWORD src1_sel:WORD_1
	s_branch .LBB105_624
.LBB105_619:
	s_mov_b64 s[6:7], -1
                                        ; implicit-def: $vgpr1
	s_branch .LBB105_630
.LBB105_620:
	s_or_saveexec_b64 s[6:7], s[6:7]
	v_mov_b32_e32 v4, 0x7f800001
	s_xor_b64 exec, exec, s[6:7]
	s_cbranch_execz .LBB105_603
.LBB105_621:
	v_cmp_ne_u16_e32 vcc, 0, v1
	s_andn2_b64 s[2:3], s[2:3], exec
	s_and_b64 s[8:9], vcc, exec
	v_mov_b32_e32 v4, 0
	s_or_b64 s[2:3], s[2:3], s[8:9]
	s_or_b64 exec, exec, s[6:7]
	s_and_saveexec_b64 s[6:7], s[2:3]
	s_cbranch_execnz .LBB105_604
	s_branch .LBB105_605
.LBB105_622:
	s_mov_b64 s[2:3], -1
                                        ; implicit-def: $vgpr1
	s_branch .LBB105_627
.LBB105_623:
	s_mov_b64 s[2:3], -1
                                        ; implicit-def: $vgpr1
.LBB105_624:
	s_and_b64 vcc, exec, s[2:3]
	s_cbranch_vccz .LBB105_626
; %bb.625:
	global_load_ubyte v1, v[2:3], off
	s_mov_b32 s2, 0x7f800000
	s_brev_b32 s3, 1
	s_movk_i32 s6, 0x7fff
	s_waitcnt vmcnt(0)
	v_lshlrev_b32_e32 v1, 24, v1
	v_and_b32_e32 v4, 0x7f000000, v1
	v_ffbh_u32_e32 v5, v4
	v_min_u32_e32 v5, 32, v5
	v_sub_u32_e64 v5, v5, 4 clamp
	v_lshlrev_b32_e32 v7, v5, v4
	v_lshlrev_b32_e32 v5, 23, v5
	v_lshrrev_b32_e32 v7, 4, v7
	v_add_u32_e32 v6, 0x1000000, v4
	v_sub_u32_e32 v5, v7, v5
	v_ashrrev_i32_e32 v6, 8, v6
	v_add_u32_e32 v5, 0x3c000000, v5
	v_and_or_b32 v5, v6, s2, v5
	v_cmp_ne_u32_e32 vcc, 0, v4
	s_nop 1
	v_cndmask_b32_e32 v4, 0, v5, vcc
	v_and_or_b32 v1, v1, s3, v4
	v_bfe_u32 v4, v4, 16, 1
	v_add3_u32 v4, v1, v4, s6
	v_cmp_o_f32_e32 vcc, v1, v1
	v_mov_b32_e32 v1, 0x7fc0
	s_nop 0
	v_cndmask_b32_sdwa v1, v1, v4, vcc dst_sel:DWORD dst_unused:UNUSED_PAD src0_sel:DWORD src1_sel:WORD_1
.LBB105_626:
	s_mov_b64 s[2:3], 0
.LBB105_627:
	s_andn2_b64 vcc, exec, s[2:3]
	s_cbranch_vccnz .LBB105_629
; %bb.628:
	global_load_ubyte v1, v[2:3], off
	s_movk_i32 s2, 0x7f00
	s_brev_b32 s3, 16
	s_brev_b32 s6, 1
	s_movk_i32 s7, 0x7fff
	s_waitcnt vmcnt(0)
	v_lshlrev_b16_e32 v4, 8, v1
	v_lshlrev_b32_e32 v1, 25, v1
	v_lshrrev_b32_e32 v5, 4, v1
	v_and_or_b32 v6, v4, s2, 0.5
	v_or_b32_e32 v5, 0x70000000, v5
	v_add_f32_e32 v6, -0.5, v6
	v_mul_f32_e32 v5, 0x7800000, v5
	v_cmp_gt_u32_e32 vcc, s3, v1
	v_bfe_i32 v4, v4, 0, 16
	s_nop 0
	v_cndmask_b32_e32 v1, v5, v6, vcc
	v_and_or_b32 v4, v4, s6, v1
	v_bfe_u32 v1, v1, 16, 1
	v_add3_u32 v1, v4, v1, s7
	v_cmp_o_f32_e32 vcc, v4, v4
	v_mov_b32_e32 v4, 0x7fc0
	s_nop 0
	v_cndmask_b32_sdwa v1, v4, v1, vcc dst_sel:DWORD dst_unused:UNUSED_PAD src0_sel:DWORD src1_sel:WORD_1
.LBB105_629:
	s_mov_b64 s[6:7], 0
	s_mov_b64 s[2:3], -1
.LBB105_630:
	s_andn2_b64 vcc, exec, s[6:7]
	s_cbranch_vccnz .LBB105_643
; %bb.631:
	s_cmp_gt_i32 s10, 14
	s_cbranch_scc0 .LBB105_634
; %bb.632:
	s_cmp_eq_u32 s10, 15
	s_cbranch_scc0 .LBB105_637
; %bb.633:
	global_load_ushort v1, v[2:3], off
	s_mov_b64 s[2:3], -1
	s_mov_b64 s[4:5], 0
	s_branch .LBB105_638
.LBB105_634:
	s_mov_b64 s[6:7], -1
                                        ; implicit-def: $vgpr1
	s_branch .LBB105_639
.LBB105_635:
	s_or_saveexec_b64 s[6:7], s[6:7]
	v_mov_b32_e32 v4, 0x7f800001
	s_xor_b64 exec, exec, s[6:7]
	s_cbranch_execz .LBB105_616
.LBB105_636:
	v_cmp_ne_u16_e32 vcc, 0, v1
	s_andn2_b64 s[2:3], s[2:3], exec
	s_and_b64 s[8:9], vcc, exec
	v_mov_b32_e32 v4, 0
	s_or_b64 s[2:3], s[2:3], s[8:9]
	s_or_b64 exec, exec, s[6:7]
	s_and_saveexec_b64 s[6:7], s[2:3]
	s_cbranch_execnz .LBB105_617
	s_branch .LBB105_618
.LBB105_637:
	s_mov_b64 s[4:5], -1
                                        ; implicit-def: $vgpr1
.LBB105_638:
	s_mov_b64 s[6:7], 0
.LBB105_639:
	s_and_b64 vcc, exec, s[6:7]
	s_cbranch_vccz .LBB105_643
; %bb.640:
	s_cmp_eq_u32 s10, 11
	s_cbranch_scc0 .LBB105_642
; %bb.641:
	global_load_ubyte v1, v[2:3], off
	s_mov_b64 s[2:3], -1
	s_mov_b64 s[4:5], 0
	s_waitcnt vmcnt(0)
	v_cmp_ne_u16_e32 vcc, 0, v1
	s_nop 1
	v_cndmask_b32_e64 v1, 0, 1.0, vcc
	v_lshrrev_b32_e32 v1, 16, v1
	s_branch .LBB105_643
.LBB105_642:
	s_mov_b64 s[4:5], -1
                                        ; implicit-def: $vgpr1
.LBB105_643:
	s_mov_b64 s[6:7], 0
.LBB105_644:
	s_and_b64 vcc, exec, s[6:7]
	s_cbranch_vccz .LBB105_693
; %bb.645:
	s_cmp_lt_i32 s10, 5
	s_cbranch_scc1 .LBB105_650
; %bb.646:
	s_cmp_lt_i32 s10, 8
	s_cbranch_scc1 .LBB105_651
	;; [unrolled: 3-line block ×3, first 2 shown]
; %bb.648:
	s_cmp_gt_i32 s10, 9
	s_cbranch_scc0 .LBB105_653
; %bb.649:
	global_load_dwordx2 v[4:5], v[2:3], off
	s_movk_i32 s2, 0x7fff
	s_waitcnt vmcnt(1)
	v_mov_b32_e32 v1, 0x7fc0
	s_waitcnt vmcnt(0)
	v_cvt_f32_f64_e32 v4, v[4:5]
	v_bfe_u32 v5, v4, 16, 1
	v_cmp_o_f32_e32 vcc, v4, v4
	v_add3_u32 v4, v4, v5, s2
	s_mov_b64 s[2:3], 0
	v_cndmask_b32_sdwa v1, v1, v4, vcc dst_sel:DWORD dst_unused:UNUSED_PAD src0_sel:DWORD src1_sel:WORD_1
	s_branch .LBB105_654
.LBB105_650:
	s_mov_b64 s[2:3], -1
                                        ; implicit-def: $vgpr1
	s_branch .LBB105_672
.LBB105_651:
	s_mov_b64 s[2:3], -1
                                        ; implicit-def: $vgpr1
	s_branch .LBB105_660
.LBB105_652:
	s_mov_b64 s[2:3], -1
                                        ; implicit-def: $vgpr1
	s_branch .LBB105_657
.LBB105_653:
	s_mov_b64 s[2:3], -1
                                        ; implicit-def: $vgpr1
.LBB105_654:
	s_andn2_b64 vcc, exec, s[2:3]
	s_cbranch_vccnz .LBB105_656
; %bb.655:
	global_load_dword v1, v[2:3], off
	s_movk_i32 s2, 0x7fff
	v_mov_b32_e32 v4, 0x7fc0
	s_waitcnt vmcnt(0)
	v_bfe_u32 v5, v1, 16, 1
	v_cmp_o_f32_e32 vcc, v1, v1
	v_add3_u32 v1, v1, v5, s2
	s_nop 0
	v_cndmask_b32_sdwa v1, v4, v1, vcc dst_sel:DWORD dst_unused:UNUSED_PAD src0_sel:DWORD src1_sel:WORD_1
.LBB105_656:
	s_mov_b64 s[2:3], 0
.LBB105_657:
	s_andn2_b64 vcc, exec, s[2:3]
	s_cbranch_vccnz .LBB105_659
; %bb.658:
	global_load_dword v1, v[2:3], off
	s_movk_i32 s2, 0x7fff
	v_mov_b32_e32 v5, 0x7fc0
	s_waitcnt vmcnt(0)
	v_cvt_f32_f16_e32 v4, v1
	v_cmp_o_f16_e32 vcc, v1, v1
	v_bfe_u32 v1, v4, 16, 1
	v_add3_u32 v1, v4, v1, s2
	v_cndmask_b32_sdwa v1, v5, v1, vcc dst_sel:DWORD dst_unused:UNUSED_PAD src0_sel:DWORD src1_sel:WORD_1
.LBB105_659:
	s_mov_b64 s[2:3], 0
.LBB105_660:
	s_andn2_b64 vcc, exec, s[2:3]
	s_cbranch_vccnz .LBB105_671
; %bb.661:
	s_cmp_lt_i32 s10, 6
	s_cbranch_scc1 .LBB105_664
; %bb.662:
	s_cmp_gt_i32 s10, 6
	s_cbranch_scc0 .LBB105_665
; %bb.663:
	global_load_dwordx2 v[4:5], v[2:3], off
	s_movk_i32 s2, 0x7fff
	s_waitcnt vmcnt(1)
	v_mov_b32_e32 v1, 0x7fc0
	s_waitcnt vmcnt(0)
	v_cvt_f32_f64_e32 v4, v[4:5]
	v_bfe_u32 v5, v4, 16, 1
	v_cmp_o_f32_e32 vcc, v4, v4
	v_add3_u32 v4, v4, v5, s2
	s_mov_b64 s[2:3], 0
	v_cndmask_b32_sdwa v1, v1, v4, vcc dst_sel:DWORD dst_unused:UNUSED_PAD src0_sel:DWORD src1_sel:WORD_1
	s_branch .LBB105_666
.LBB105_664:
	s_mov_b64 s[2:3], -1
                                        ; implicit-def: $vgpr1
	s_branch .LBB105_669
.LBB105_665:
	s_mov_b64 s[2:3], -1
                                        ; implicit-def: $vgpr1
.LBB105_666:
	s_andn2_b64 vcc, exec, s[2:3]
	s_cbranch_vccnz .LBB105_668
; %bb.667:
	global_load_dword v1, v[2:3], off
	s_movk_i32 s2, 0x7fff
	v_mov_b32_e32 v4, 0x7fc0
	s_waitcnt vmcnt(0)
	v_bfe_u32 v5, v1, 16, 1
	v_cmp_o_f32_e32 vcc, v1, v1
	v_add3_u32 v1, v1, v5, s2
	s_nop 0
	v_cndmask_b32_sdwa v1, v4, v1, vcc dst_sel:DWORD dst_unused:UNUSED_PAD src0_sel:DWORD src1_sel:WORD_1
.LBB105_668:
	s_mov_b64 s[2:3], 0
.LBB105_669:
	s_andn2_b64 vcc, exec, s[2:3]
	s_cbranch_vccnz .LBB105_671
; %bb.670:
	global_load_ushort v1, v[2:3], off
	s_movk_i32 s2, 0x7fff
	v_mov_b32_e32 v5, 0x7fc0
	s_waitcnt vmcnt(0)
	v_cvt_f32_f16_e32 v4, v1
	v_cmp_o_f16_e32 vcc, v1, v1
	v_bfe_u32 v1, v4, 16, 1
	v_add3_u32 v1, v4, v1, s2
	v_cndmask_b32_sdwa v1, v5, v1, vcc dst_sel:DWORD dst_unused:UNUSED_PAD src0_sel:DWORD src1_sel:WORD_1
.LBB105_671:
	s_mov_b64 s[2:3], 0
.LBB105_672:
	s_andn2_b64 vcc, exec, s[2:3]
	s_cbranch_vccnz .LBB105_692
; %bb.673:
	s_cmp_lt_i32 s10, 2
	s_cbranch_scc1 .LBB105_677
; %bb.674:
	s_cmp_lt_i32 s10, 3
	s_cbranch_scc1 .LBB105_678
; %bb.675:
	s_cmp_gt_i32 s10, 3
	s_cbranch_scc0 .LBB105_679
; %bb.676:
	global_load_dwordx2 v[4:5], v[2:3], off
	s_movk_i32 s2, 0x7fff
	s_waitcnt vmcnt(0)
	v_xor_b32_e32 v6, v4, v5
	v_ffbh_i32_e32 v1, v5
	v_ashrrev_i32_e32 v6, 31, v6
	v_add_u32_e32 v1, -1, v1
	v_add_u32_e32 v6, 32, v6
	v_min_u32_e32 v1, v1, v6
	v_lshlrev_b64 v[4:5], v1, v[4:5]
	v_min_u32_e32 v4, 1, v4
	v_or_b32_e32 v4, v5, v4
	v_cvt_f32_i32_e32 v4, v4
	v_sub_u32_e32 v1, 32, v1
	v_ldexp_f32 v1, v4, v1
	v_bfe_u32 v4, v1, 16, 1
	v_add3_u32 v1, v1, v4, s2
	v_lshrrev_b32_e32 v1, 16, v1
	s_mov_b64 s[2:3], 0
	s_branch .LBB105_680
.LBB105_677:
	s_mov_b64 s[2:3], -1
                                        ; implicit-def: $vgpr1
	s_branch .LBB105_686
.LBB105_678:
	s_mov_b64 s[2:3], -1
                                        ; implicit-def: $vgpr1
	s_branch .LBB105_683
.LBB105_679:
	s_mov_b64 s[2:3], -1
                                        ; implicit-def: $vgpr1
.LBB105_680:
	s_andn2_b64 vcc, exec, s[2:3]
	s_cbranch_vccnz .LBB105_682
; %bb.681:
	global_load_dword v1, v[2:3], off
	s_movk_i32 s2, 0x7fff
	s_waitcnt vmcnt(0)
	v_cvt_f32_i32_e32 v1, v1
	v_bfe_u32 v4, v1, 16, 1
	v_add3_u32 v1, v1, v4, s2
	v_lshrrev_b32_e32 v1, 16, v1
.LBB105_682:
	s_mov_b64 s[2:3], 0
.LBB105_683:
	s_andn2_b64 vcc, exec, s[2:3]
	s_cbranch_vccnz .LBB105_685
; %bb.684:
	global_load_sshort v1, v[2:3], off
	s_movk_i32 s2, 0x7fff
	s_waitcnt vmcnt(0)
	v_cvt_f32_i32_e32 v1, v1
	v_bfe_u32 v4, v1, 16, 1
	v_add3_u32 v1, v1, v4, s2
	v_lshrrev_b32_e32 v1, 16, v1
.LBB105_685:
	s_mov_b64 s[2:3], 0
.LBB105_686:
	s_andn2_b64 vcc, exec, s[2:3]
	s_cbranch_vccnz .LBB105_692
; %bb.687:
	s_cmp_gt_i32 s10, 0
	s_cbranch_scc0 .LBB105_689
; %bb.688:
	global_load_sbyte v1, v[2:3], off
	s_movk_i32 s2, 0x7fff
	s_waitcnt vmcnt(0)
	v_cvt_f32_i32_e32 v1, v1
	v_bfe_u32 v4, v1, 16, 1
	v_add3_u32 v1, v1, v4, s2
	v_lshrrev_b32_e32 v1, 16, v1
	s_mov_b64 s[2:3], 0
	s_branch .LBB105_690
.LBB105_689:
	s_mov_b64 s[2:3], -1
                                        ; implicit-def: $vgpr1
.LBB105_690:
	s_andn2_b64 vcc, exec, s[2:3]
	s_cbranch_vccnz .LBB105_692
; %bb.691:
	global_load_ubyte v1, v[2:3], off
	s_movk_i32 s2, 0x7fff
	s_waitcnt vmcnt(0)
	v_cvt_f32_ubyte0_e32 v1, v1
	v_bfe_u32 v2, v1, 16, 1
	v_add3_u32 v1, v1, v2, s2
	v_lshrrev_b32_e32 v1, 16, v1
.LBB105_692:
	s_mov_b64 s[2:3], -1
.LBB105_693:
	s_andn2_b64 vcc, exec, s[2:3]
	s_cbranch_vccnz .LBB105_701
; %bb.694:
	s_waitcnt vmcnt(0)
	v_lshlrev_b32_e32 v1, 16, v1
	v_mul_f32_e32 v2, 0x3fb8aa3b, v1
	s_mov_b32 s2, 0x3fb8aa3b
	v_rndne_f32_e32 v3, v2
	v_sub_f32_e32 v4, v2, v3
	v_fma_f32 v2, v1, s2, -v2
	v_fmamk_f32 v2, v1, 0x32a5705f, v2
	v_add_f32_e32 v2, v4, v2
	v_exp_f32_e32 v2, v2
	v_cvt_i32_f32_e32 v3, v3
	s_mov_b32 s2, 0xc2ce8ed0
	v_cmp_ngt_f32_e32 vcc, s2, v1
	s_mov_b32 s2, 0x42b17218
	v_ldexp_f32 v2, v2, v3
	v_cndmask_b32_e32 v2, 0, v2, vcc
	v_mov_b32_e32 v3, 0x7f800000
	v_cmp_nlt_f32_e32 vcc, s2, v1
	s_movk_i32 s2, 0x7fff
	s_and_b32 s12, s73, 0xff
	v_cndmask_b32_e32 v1, v3, v2, vcc
	v_bfe_u32 v2, v1, 16, 1
	v_add3_u32 v2, v1, v2, s2
	v_cmp_o_f32_e32 vcc, v1, v1
	v_mov_b32_e32 v1, 0x7fc0
	s_cmp_lt_i32 s12, 11
	v_cndmask_b32_sdwa v2, v1, v2, vcc dst_sel:DWORD dst_unused:UNUSED_PAD src0_sel:DWORD src1_sel:WORD_1
	v_mov_b32_e32 v1, 0
	v_lshl_add_u64 v[0:1], s[20:21], 0, v[0:1]
	s_cbranch_scc1 .LBB105_702
; %bb.695:
	s_and_b32 s13, 0xffff, s12
	s_cmp_gt_i32 s13, 25
	s_cbranch_scc0 .LBB105_703
; %bb.696:
	s_cmp_gt_i32 s13, 28
	s_cbranch_scc0 .LBB105_704
; %bb.697:
	;; [unrolled: 3-line block ×4, first 2 shown]
	s_mov_b64 s[8:9], 0
	s_mov_b64 s[2:3], -1
	s_cmp_eq_u32 s13, 46
	s_mov_b64 s[6:7], 0
	s_cbranch_scc0 .LBB105_707
; %bb.700:
	v_and_b32_e32 v3, 0xffff, v2
	global_store_dword v[0:1], v3, off
	s_mov_b64 s[6:7], -1
	s_mov_b64 s[2:3], 0
	s_branch .LBB105_707
.LBB105_701:
	s_mov_b64 s[6:7], 0
	s_mov_b64 s[2:3], s[62:63]
	s_branch .LBB105_818
.LBB105_702:
	s_mov_b64 s[8:9], -1
	s_mov_b64 s[6:7], 0
	s_mov_b64 s[2:3], s[62:63]
	s_branch .LBB105_776
.LBB105_703:
	s_mov_b64 s[8:9], -1
	s_mov_b64 s[6:7], 0
	s_mov_b64 s[2:3], s[62:63]
	s_branch .LBB105_734
.LBB105_704:
	s_mov_b64 s[8:9], -1
	s_mov_b64 s[6:7], 0
	s_mov_b64 s[2:3], s[62:63]
	s_branch .LBB105_717
.LBB105_705:
	s_mov_b64 s[8:9], -1
	s_mov_b64 s[6:7], 0
	s_mov_b64 s[2:3], s[62:63]
	s_branch .LBB105_713
.LBB105_706:
	s_mov_b64 s[8:9], -1
	s_mov_b64 s[6:7], 0
	s_mov_b64 s[2:3], s[62:63]
.LBB105_707:
	s_and_b64 vcc, exec, s[8:9]
	s_cbranch_vccz .LBB105_712
; %bb.708:
	s_cmp_eq_u32 s13, 44
	s_mov_b64 s[2:3], -1
	s_cbranch_scc0 .LBB105_712
; %bb.709:
	v_and_b32_e32 v4, 0xffff, v2
	v_bfe_u32 v3, v4, 7, 8
	s_movk_i32 s2, 0xff
	v_cmp_ne_u32_e32 vcc, s2, v3
	v_mov_b32_e32 v5, 0xff
	s_and_saveexec_b64 s[6:7], vcc
	s_cbranch_execz .LBB105_711
; %bb.710:
	v_lshlrev_b32_e32 v6, 16, v4
	s_mov_b32 s2, 0x3f0000
	v_lshrrev_b32_e32 v5, 7, v4
	v_and_b32_e32 v4, 64, v4
	v_and_or_b32 v3, v6, s2, v3
	v_cmp_ne_u32_e32 vcc, 0, v4
	v_cmp_ne_u32_e64 s[2:3], 0, v3
	s_and_b64 s[2:3], vcc, s[2:3]
	s_nop 0
	v_cndmask_b32_e64 v3, 0, 1, s[2:3]
	v_add_u32_e32 v5, v5, v3
.LBB105_711:
	s_or_b64 exec, exec, s[6:7]
	s_mov_b64 s[6:7], -1
	s_mov_b64 s[2:3], 0
	global_store_byte v[0:1], v5, off
.LBB105_712:
	s_mov_b64 s[8:9], 0
.LBB105_713:
	s_and_b64 vcc, exec, s[8:9]
	s_cbranch_vccz .LBB105_716
; %bb.714:
	s_cmp_eq_u32 s13, 29
	s_mov_b64 s[2:3], -1
	s_cbranch_scc0 .LBB105_716
; %bb.715:
	v_lshlrev_b32_e32 v3, 16, v2
	v_trunc_f32_e32 v3, v3
	v_mul_f32_e32 v4, 0x2f800000, v3
	v_floor_f32_e32 v4, v4
	v_fmamk_f32 v3, v4, 0xcf800000, v3
	v_cvt_u32_f32_e32 v5, v4
	v_cvt_u32_f32_e32 v4, v3
	s_mov_b64 s[6:7], -1
	s_mov_b64 s[2:3], 0
	s_mov_b64 s[8:9], 0
	global_store_dwordx2 v[0:1], v[4:5], off
	s_branch .LBB105_717
.LBB105_716:
	s_mov_b64 s[8:9], 0
.LBB105_717:
	s_and_b64 vcc, exec, s[8:9]
	s_cbranch_vccz .LBB105_733
; %bb.718:
	s_cmp_lt_i32 s13, 27
	s_mov_b64 s[6:7], -1
	s_cbranch_scc1 .LBB105_724
; %bb.719:
	s_cmp_gt_i32 s13, 27
	s_cbranch_scc0 .LBB105_721
; %bb.720:
	v_lshlrev_b32_e32 v3, 16, v2
	v_cvt_u32_f32_e32 v3, v3
	s_mov_b64 s[6:7], 0
	global_store_dword v[0:1], v3, off
.LBB105_721:
	s_andn2_b64 vcc, exec, s[6:7]
	s_cbranch_vccnz .LBB105_723
; %bb.722:
	v_lshlrev_b32_e32 v3, 16, v2
	v_cvt_u32_f32_e32 v3, v3
	global_store_short v[0:1], v3, off
.LBB105_723:
	s_mov_b64 s[6:7], 0
.LBB105_724:
	s_andn2_b64 vcc, exec, s[6:7]
	s_cbranch_vccnz .LBB105_732
; %bb.725:
	v_lshlrev_b32_e32 v5, 16, v2
	v_and_b32_e32 v4, 0x7fffffff, v5
	s_mov_b32 s6, 0x43800000
	v_cmp_gt_u32_e32 vcc, s6, v4
	v_mov_b32_e32 v6, 0x80
	s_and_saveexec_b64 s[6:7], vcc
	s_cbranch_execz .LBB105_731
; %bb.726:
	s_mov_b32 s8, 0x3bffffff
	v_and_b32_e32 v3, 0xffff, v2
	v_cmp_lt_u32_e32 vcc, s8, v4
	s_mov_b64 s[8:9], 0
                                        ; implicit-def: $vgpr4
	s_and_saveexec_b64 s[10:11], vcc
	s_xor_b64 s[10:11], exec, s[10:11]
	s_cbranch_execz .LBB105_849
; %bb.727:
	v_bfe_u32 v4, v3, 4, 1
	s_mov_b32 s14, 0x487ffff
	v_add3_u32 v4, v5, v4, s14
	s_mov_b64 s[8:9], exec
	v_lshrrev_b32_e32 v4, 20, v4
                                        ; implicit-def: $vgpr5
	s_andn2_saveexec_b64 s[10:11], s[10:11]
	s_cbranch_execnz .LBB105_850
.LBB105_728:
	s_or_b64 exec, exec, s[10:11]
	v_mov_b32_e32 v6, 0
	s_and_saveexec_b64 s[10:11], s[8:9]
.LBB105_729:
	v_lshrrev_b32_e32 v3, 8, v3
	s_movk_i32 s8, 0x80
	v_and_or_b32 v6, v3, s8, v4
.LBB105_730:
	s_or_b64 exec, exec, s[10:11]
.LBB105_731:
	s_or_b64 exec, exec, s[6:7]
	global_store_byte v[0:1], v6, off
.LBB105_732:
	s_mov_b64 s[6:7], -1
.LBB105_733:
	s_mov_b64 s[8:9], 0
.LBB105_734:
	s_and_b64 vcc, exec, s[8:9]
	s_cbranch_vccz .LBB105_775
; %bb.735:
	s_cmp_gt_i32 s13, 22
	s_mov_b64 s[8:9], -1
	s_cbranch_scc0 .LBB105_767
; %bb.736:
	s_cmp_lt_i32 s13, 24
	s_mov_b64 s[6:7], -1
	s_cbranch_scc1 .LBB105_756
; %bb.737:
	s_cmp_gt_i32 s13, 24
	s_cbranch_scc0 .LBB105_745
; %bb.738:
	v_lshlrev_b32_e32 v5, 16, v2
	v_and_b32_e32 v4, 0x7fffffff, v5
	s_mov_b32 s6, 0x47800000
	v_cmp_gt_u32_e32 vcc, s6, v4
	v_mov_b32_e32 v6, 0x80
	s_and_saveexec_b64 s[6:7], vcc
	s_cbranch_execz .LBB105_744
; %bb.739:
	s_mov_b32 s8, 0x37ffffff
	v_and_b32_e32 v3, 0xffff, v2
	v_cmp_lt_u32_e32 vcc, s8, v4
	s_mov_b64 s[8:9], 0
                                        ; implicit-def: $vgpr4
	s_and_saveexec_b64 s[10:11], vcc
	s_xor_b64 s[10:11], exec, s[10:11]
	s_cbranch_execz .LBB105_852
; %bb.740:
	v_bfe_u32 v4, v3, 5, 1
	s_mov_b32 s14, 0x88fffff
	v_add3_u32 v4, v5, v4, s14
	s_mov_b64 s[8:9], exec
	v_lshrrev_b32_e32 v4, 21, v4
                                        ; implicit-def: $vgpr5
	s_andn2_saveexec_b64 s[10:11], s[10:11]
	s_cbranch_execnz .LBB105_853
.LBB105_741:
	s_or_b64 exec, exec, s[10:11]
	v_mov_b32_e32 v6, 0
	s_and_saveexec_b64 s[10:11], s[8:9]
.LBB105_742:
	v_lshrrev_b32_e32 v3, 8, v3
	s_movk_i32 s8, 0x80
	v_and_or_b32 v6, v3, s8, v4
.LBB105_743:
	s_or_b64 exec, exec, s[10:11]
.LBB105_744:
	s_or_b64 exec, exec, s[6:7]
	s_mov_b64 s[6:7], 0
	global_store_byte v[0:1], v6, off
.LBB105_745:
	s_and_b64 vcc, exec, s[6:7]
	s_cbranch_vccz .LBB105_755
; %bb.746:
	v_lshlrev_b32_e32 v5, 16, v2
	v_and_b32_e32 v6, 0x7fffffff, v5
	s_mov_b32 s6, 0x43f00000
	v_and_b32_e32 v3, 0xffff, v2
	v_cmp_gt_u32_e32 vcc, s6, v6
                                        ; implicit-def: $vgpr4
	s_and_saveexec_b64 s[6:7], vcc
	s_xor_b64 s[6:7], exec, s[6:7]
	s_cbranch_execz .LBB105_752
; %bb.747:
	s_mov_b32 s8, 0x3c7fffff
	v_cmp_lt_u32_e32 vcc, s8, v6
                                        ; implicit-def: $vgpr4
	s_and_saveexec_b64 s[8:9], vcc
	s_xor_b64 s[8:9], exec, s[8:9]
; %bb.748:
	v_bfe_u32 v4, v3, 4, 1
	s_mov_b32 s10, 0x407ffff
	v_add3_u32 v4, v5, v4, s10
	v_lshrrev_b32_e32 v5, 20, v4
	v_and_b32_e32 v4, 0xff00000, v4
	s_mov_b32 s10, 0x7f00000
	v_mov_b32_e32 v6, 0x7e
	v_cmp_ne_u32_e32 vcc, s10, v4
	s_nop 1
	v_cndmask_b32_e32 v4, v6, v5, vcc
                                        ; implicit-def: $vgpr5
; %bb.749:
	s_andn2_saveexec_b64 s[8:9], s[8:9]
; %bb.750:
	s_mov_b32 s10, 0x46800000
	v_add_f32_e64 v4, |v5|, s10
; %bb.751:
	s_or_b64 exec, exec, s[8:9]
                                        ; implicit-def: $vgpr6
.LBB105_752:
	s_andn2_saveexec_b64 s[6:7], s[6:7]
; %bb.753:
	s_mov_b32 s8, 0x7f800000
	v_mov_b32_e32 v4, 0x7e
	v_mov_b32_e32 v5, 0x7f
	v_cmp_lt_u32_e32 vcc, s8, v6
	s_nop 1
	v_cndmask_b32_e32 v4, v4, v5, vcc
; %bb.754:
	s_or_b64 exec, exec, s[6:7]
	v_lshrrev_b32_e32 v3, 8, v3
	s_movk_i32 s6, 0x80
	v_and_or_b32 v3, v3, s6, v4
	global_store_byte v[0:1], v3, off
.LBB105_755:
	s_mov_b64 s[6:7], 0
.LBB105_756:
	s_andn2_b64 vcc, exec, s[6:7]
	s_cbranch_vccnz .LBB105_766
; %bb.757:
	v_lshlrev_b32_e32 v5, 16, v2
	v_and_b32_e32 v6, 0x7fffffff, v5
	s_mov_b32 s6, 0x47800000
	v_and_b32_e32 v3, 0xffff, v2
	v_cmp_gt_u32_e32 vcc, s6, v6
                                        ; implicit-def: $vgpr4
	s_and_saveexec_b64 s[6:7], vcc
	s_xor_b64 s[6:7], exec, s[6:7]
	s_cbranch_execz .LBB105_763
; %bb.758:
	s_mov_b32 s8, 0x387fffff
	v_cmp_lt_u32_e32 vcc, s8, v6
                                        ; implicit-def: $vgpr4
	s_and_saveexec_b64 s[8:9], vcc
	s_xor_b64 s[8:9], exec, s[8:9]
; %bb.759:
	v_bfe_u32 v4, v3, 5, 1
	s_mov_b32 s10, 0x80fffff
	v_add3_u32 v4, v5, v4, s10
	v_lshrrev_b32_e32 v4, 21, v4
                                        ; implicit-def: $vgpr5
; %bb.760:
	s_andn2_saveexec_b64 s[8:9], s[8:9]
; %bb.761:
	s_mov_b32 s10, 0x43000000
	v_add_f32_e64 v4, |v5|, s10
; %bb.762:
	s_or_b64 exec, exec, s[8:9]
                                        ; implicit-def: $vgpr6
.LBB105_763:
	s_andn2_saveexec_b64 s[6:7], s[6:7]
; %bb.764:
	s_mov_b32 s8, 0x7f800000
	v_mov_b32_e32 v4, 0x7c
	v_mov_b32_e32 v5, 0x7f
	v_cmp_lt_u32_e32 vcc, s8, v6
	s_nop 1
	v_cndmask_b32_e32 v4, v4, v5, vcc
; %bb.765:
	s_or_b64 exec, exec, s[6:7]
	v_lshrrev_b32_e32 v3, 8, v3
	s_movk_i32 s6, 0x80
	v_and_or_b32 v3, v3, s6, v4
	global_store_byte v[0:1], v3, off
.LBB105_766:
	s_mov_b64 s[8:9], 0
	s_mov_b64 s[6:7], -1
.LBB105_767:
	s_andn2_b64 vcc, exec, s[8:9]
	s_cbranch_vccnz .LBB105_775
; %bb.768:
	s_cmp_gt_i32 s13, 14
	s_mov_b64 s[8:9], -1
	s_cbranch_scc0 .LBB105_772
; %bb.769:
	s_cmp_eq_u32 s13, 15
	s_mov_b64 s[2:3], -1
	s_cbranch_scc0 .LBB105_771
; %bb.770:
	global_store_short v[0:1], v2, off
	s_mov_b64 s[6:7], -1
	s_mov_b64 s[2:3], 0
.LBB105_771:
	s_mov_b64 s[8:9], 0
.LBB105_772:
	s_and_b64 vcc, exec, s[8:9]
	s_cbranch_vccz .LBB105_775
; %bb.773:
	s_cmp_eq_u32 s13, 11
	s_mov_b64 s[2:3], -1
	s_cbranch_scc0 .LBB105_775
; %bb.774:
	v_and_b32_e32 v3, 0x7fff, v2
	v_cmp_ne_u16_e32 vcc, 0, v3
	s_mov_b64 s[6:7], -1
	s_mov_b64 s[2:3], 0
	v_cndmask_b32_e64 v3, 0, 1, vcc
	global_store_byte v[0:1], v3, off
.LBB105_775:
	s_mov_b64 s[8:9], 0
.LBB105_776:
	s_and_b64 vcc, exec, s[8:9]
	s_cbranch_vccz .LBB105_815
; %bb.777:
	s_and_b32 s8, 0xffff, s12
	s_cmp_lt_i32 s8, 5
	s_mov_b64 s[6:7], -1
	s_cbranch_scc1 .LBB105_798
; %bb.778:
	s_cmp_lt_i32 s8, 8
	s_cbranch_scc1 .LBB105_788
; %bb.779:
	s_cmp_lt_i32 s8, 9
	s_cbranch_scc1 .LBB105_785
; %bb.780:
	s_cmp_gt_i32 s8, 9
	s_cbranch_scc0 .LBB105_782
; %bb.781:
	v_lshlrev_b32_e32 v3, 16, v2
	v_mov_b32_e32 v6, 0
	v_cvt_f64_f32_e32 v[4:5], v3
	v_mov_b32_e32 v7, v6
	s_mov_b64 s[6:7], 0
	global_store_dwordx4 v[0:1], v[4:7], off
.LBB105_782:
	s_andn2_b64 vcc, exec, s[6:7]
	s_cbranch_vccnz .LBB105_784
; %bb.783:
	v_lshlrev_b32_e32 v4, 16, v2
	v_mov_b32_e32 v5, 0
	global_store_dwordx2 v[0:1], v[4:5], off
.LBB105_784:
	s_mov_b64 s[6:7], 0
.LBB105_785:
	s_andn2_b64 vcc, exec, s[6:7]
	s_cbranch_vccnz .LBB105_787
; %bb.786:
	v_lshlrev_b32_e32 v3, 16, v2
	v_cvt_f16_f32_e32 v3, v3
	global_store_dword v[0:1], v3, off
.LBB105_787:
	s_mov_b64 s[6:7], 0
.LBB105_788:
	s_andn2_b64 vcc, exec, s[6:7]
	s_cbranch_vccnz .LBB105_797
; %bb.789:
	s_cmp_lt_i32 s8, 6
	s_mov_b64 s[6:7], -1
	s_cbranch_scc1 .LBB105_795
; %bb.790:
	s_cmp_gt_i32 s8, 6
	s_cbranch_scc0 .LBB105_792
; %bb.791:
	v_lshlrev_b32_e32 v3, 16, v2
	v_cvt_f64_f32_e32 v[4:5], v3
	s_mov_b64 s[6:7], 0
	global_store_dwordx2 v[0:1], v[4:5], off
.LBB105_792:
	s_andn2_b64 vcc, exec, s[6:7]
	s_cbranch_vccnz .LBB105_794
; %bb.793:
	v_lshlrev_b32_e32 v3, 16, v2
	global_store_dword v[0:1], v3, off
.LBB105_794:
	s_mov_b64 s[6:7], 0
.LBB105_795:
	s_andn2_b64 vcc, exec, s[6:7]
	s_cbranch_vccnz .LBB105_797
; %bb.796:
	v_lshlrev_b32_e32 v3, 16, v2
	v_cvt_f16_f32_e32 v3, v3
	global_store_short v[0:1], v3, off
.LBB105_797:
	s_mov_b64 s[6:7], 0
.LBB105_798:
	s_andn2_b64 vcc, exec, s[6:7]
	s_cbranch_vccnz .LBB105_814
; %bb.799:
	s_cmp_lt_i32 s8, 2
	s_mov_b64 s[6:7], -1
	s_cbranch_scc1 .LBB105_809
; %bb.800:
	s_cmp_lt_i32 s8, 3
	s_cbranch_scc1 .LBB105_806
; %bb.801:
	s_cmp_gt_i32 s8, 3
	s_cbranch_scc0 .LBB105_803
; %bb.802:
	v_lshlrev_b32_e32 v3, 16, v2
	v_trunc_f32_e32 v3, v3
	s_mov_b32 s6, 0x2f800000
	v_mul_f32_e64 v4, |v3|, s6
	v_floor_f32_e32 v4, v4
	s_mov_b32 s6, 0xcf800000
	v_cvt_u32_f32_e32 v5, v4
	v_fma_f32 v4, v4, s6, |v3|
	v_cvt_u32_f32_e32 v4, v4
	v_ashrrev_i32_e32 v3, 31, v3
	v_xor_b32_e32 v5, v5, v3
	s_mov_b64 s[6:7], 0
	v_xor_b32_e32 v4, v4, v3
	v_sub_co_u32_e32 v4, vcc, v4, v3
	s_nop 1
	v_subb_co_u32_e32 v5, vcc, v5, v3, vcc
	global_store_dwordx2 v[0:1], v[4:5], off
.LBB105_803:
	s_andn2_b64 vcc, exec, s[6:7]
	s_cbranch_vccnz .LBB105_805
; %bb.804:
	v_lshlrev_b32_e32 v3, 16, v2
	v_cvt_i32_f32_e32 v3, v3
	global_store_dword v[0:1], v3, off
.LBB105_805:
	s_mov_b64 s[6:7], 0
.LBB105_806:
	s_andn2_b64 vcc, exec, s[6:7]
	s_cbranch_vccnz .LBB105_808
; %bb.807:
	v_lshlrev_b32_e32 v3, 16, v2
	v_cvt_i32_f32_e32 v3, v3
	global_store_short v[0:1], v3, off
.LBB105_808:
	s_mov_b64 s[6:7], 0
.LBB105_809:
	s_andn2_b64 vcc, exec, s[6:7]
	s_cbranch_vccnz .LBB105_814
; %bb.810:
	s_mov_b64 s[6:7], -1
	s_cmp_gt_i32 s8, 0
	v_lshlrev_b32_e32 v2, 16, v2
	s_cbranch_scc0 .LBB105_812
; %bb.811:
	v_cvt_i32_f32_e32 v3, v2
	s_mov_b64 s[6:7], 0
	global_store_byte v[0:1], v3, off
.LBB105_812:
	s_andn2_b64 vcc, exec, s[6:7]
	s_cbranch_vccnz .LBB105_814
; %bb.813:
	v_trunc_f32_e32 v2, v2
	s_mov_b32 s6, 0x2f800000
	v_mul_f32_e64 v3, |v2|, s6
	v_floor_f32_e32 v3, v3
	s_mov_b32 s6, 0xcf800000
	v_fma_f32 v3, v3, s6, |v2|
	v_cvt_u32_f32_e32 v3, v3
	v_ashrrev_i32_e32 v2, 31, v2
	v_xor_b32_e32 v3, v3, v2
	v_sub_u32_e32 v2, v3, v2
	global_store_byte v[0:1], v2, off
.LBB105_814:
	s_mov_b64 s[6:7], -1
.LBB105_815:
	s_andn2_b64 vcc, exec, s[6:7]
	s_cbranch_vccnz .LBB105_817
; %bb.816:
	v_add_u32_e32 v8, 0x80, v8
	s_mov_b64 s[6:7], -1
	s_branch .LBB105_819
.LBB105_817:
	s_mov_b64 s[6:7], 0
.LBB105_818:
                                        ; implicit-def: $vgpr8
.LBB105_819:
	s_andn2_b64 s[8:9], s[62:63], exec
	s_and_b64 s[2:3], s[2:3], exec
	s_or_b64 s[68:69], s[8:9], s[2:3]
	s_andn2_b64 s[2:3], s[60:61], exec
	s_and_b64 s[4:5], s[4:5], exec
	s_or_b64 s[2:3], s[2:3], s[4:5]
	s_orn2_b64 s[6:7], s[6:7], exec
.LBB105_820:
	s_or_b64 exec, exec, s[66:67]
	s_mov_b64 s[4:5], 0
	s_mov_b64 s[10:11], 0
	;; [unrolled: 1-line block ×3, first 2 shown]
                                        ; implicit-def: $vgpr2_vgpr3
                                        ; implicit-def: $vgpr0
                                        ; implicit-def: $vgpr1
	s_and_saveexec_b64 s[66:67], s[6:7]
	s_cbranch_execz .LBB105_920
; %bb.821:
	v_cmp_gt_i32_e32 vcc, s70, v8
	s_mov_b64 s[6:7], 0
	s_mov_b64 s[12:13], s[2:3]
                                        ; implicit-def: $vgpr2_vgpr3
                                        ; implicit-def: $vgpr0
                                        ; implicit-def: $vgpr1
	s_and_saveexec_b64 s[70:71], vcc
	s_cbranch_execz .LBB105_919
; %bb.822:
	s_andn2_b64 vcc, exec, s[42:43]
	s_cbranch_vccnz .LBB105_828
; %bb.823:
	s_andn2_b64 vcc, exec, s[52:53]
	s_cbranch_vccnz .LBB105_829
; %bb.824:
	s_add_i32 s76, s75, 1
	s_cmp_eq_u32 s72, 2
	s_cbranch_scc1 .LBB105_830
; %bb.825:
	s_and_b32 s75, s76, 28
	s_mov_b32 s77, 0
	v_mov_b32_e32 v0, 0
	v_mov_b32_e32 v2, 0
	s_mov_b64 s[52:53], s[34:35]
	v_mov_b32_e32 v4, v8
.LBB105_826:                            ; =>This Inner Loop Header: Depth=1
	s_load_dwordx8 s[12:19], s[52:53], 0x4
	s_load_dwordx4 s[36:39], s[52:53], 0x24
	s_load_dwordx8 s[4:11], s[50:51], 0x0
	s_add_u32 s52, s52, 48
	s_addc_u32 s53, s53, 0
	s_waitcnt vmcnt(0) lgkmcnt(0)
	v_mul_hi_u32 v1, s13, v4
	v_add_u32_e32 v1, v4, v1
	v_lshrrev_b32_e32 v1, s14, v1
	v_mul_lo_u32 v3, v1, s12
	v_mul_hi_u32 v5, s16, v1
	v_sub_u32_e32 v3, v4, v3
	v_add_u32_e32 v4, v1, v5
	v_lshrrev_b32_e32 v4, s17, v4
	v_mul_lo_u32 v6, v4, s15
	v_mul_hi_u32 v7, s19, v4
	v_sub_u32_e32 v1, v1, v6
	v_add_u32_e32 v6, v4, v7
	v_mul_lo_u32 v5, v3, s5
	v_mul_lo_u32 v3, v3, s4
	;; [unrolled: 1-line block ×4, first 2 shown]
	v_lshrrev_b32_e32 v6, s36, v6
	v_add3_u32 v0, v3, v0, v1
	v_mul_hi_u32 v3, s38, v6
	v_add3_u32 v1, v5, v2, v7
	v_mul_lo_u32 v2, v6, s18
	v_add_u32_e32 v3, v6, v3
	v_sub_u32_e32 v2, v4, v2
	v_lshrrev_b32_e32 v4, s39, v3
	s_add_i32 s77, s77, 4
	v_mul_lo_u32 v3, v4, s37
	s_add_u32 s50, s50, 32
	v_sub_u32_e32 v3, v6, v3
	s_addc_u32 s51, s51, 0
	v_mul_lo_u32 v5, v2, s8
	v_mul_lo_u32 v2, v2, s9
	;; [unrolled: 1-line block ×4, first 2 shown]
	s_cmp_eq_u32 s75, s77
	v_add3_u32 v2, v2, v1, v3
	v_add3_u32 v0, v5, v0, v6
	s_cbranch_scc0 .LBB105_826
; %bb.827:
	v_mov_b32_e32 v1, v2
	s_branch .LBB105_831
.LBB105_828:
	s_mov_b64 s[4:5], -1
                                        ; implicit-def: $vgpr2
                                        ; implicit-def: $vgpr0
	s_branch .LBB105_835
.LBB105_829:
	v_mov_b32_e32 v2, 0
	v_mov_b32_e32 v0, 0
	s_branch .LBB105_834
.LBB105_830:
	v_mov_b32_e32 v0, 0
	s_mov_b32 s75, 0
	s_waitcnt vmcnt(0)
	v_mov_b32_e32 v1, v0
                                        ; implicit-def: $vgpr2
	v_mov_b32_e32 v4, v8
.LBB105_831:
	s_and_b32 s8, s76, 3
	s_cmp_eq_u32 s8, 0
	s_cbranch_scc1 .LBB105_834
; %bb.832:
	s_lshl_b32 s4, s75, 3
	s_add_u32 s4, s34, s4
	s_addc_u32 s5, s35, 0
	s_add_u32 s4, s4, 0xc4
	s_addc_u32 s5, s5, 0
	s_mul_i32 s6, s75, 12
	s_add_u32 s6, s34, s6
	s_addc_u32 s7, s35, 0
.LBB105_833:                            ; =>This Inner Loop Header: Depth=1
	s_load_dwordx2 s[10:11], s[6:7], 0x4
	s_load_dword s9, s[6:7], 0xc
	s_load_dwordx2 s[12:13], s[4:5], 0x0
	v_mov_b32_e32 v2, v1
	s_add_u32 s6, s6, 12
	s_waitcnt lgkmcnt(0)
	v_mul_hi_u32 v1, s11, v4
	v_add_u32_e32 v1, v4, v1
	v_lshrrev_b32_e32 v1, s9, v1
	s_addc_u32 s7, s7, 0
	v_mul_lo_u32 v3, v1, s10
	s_add_u32 s4, s4, 8
	v_sub_u32_e32 v5, v4, v3
	s_addc_u32 s5, s5, 0
	s_add_i32 s8, s8, -1
	v_mov_b32_e32 v4, v1
	v_mad_u64_u32 v[2:3], s[10:11], v5, s13, v[2:3]
	v_mad_u64_u32 v[0:1], s[10:11], v5, s12, v[0:1]
	s_cmp_lg_u32 s8, 0
	v_mov_b32_e32 v1, v2
	s_cbranch_scc1 .LBB105_833
.LBB105_834:
	s_mov_b64 s[4:5], 0
.LBB105_835:
	s_andn2_b64 vcc, exec, s[4:5]
	s_cbranch_vccnz .LBB105_838
; %bb.836:
	s_waitcnt lgkmcnt(0)
	v_mul_hi_u32 v0, s29, v8
	v_add_u32_e32 v0, v8, v0
	s_waitcnt vmcnt(0)
	v_lshrrev_b32_e32 v1, s30, v0
	v_mul_lo_u32 v0, v1, s28
	v_sub_u32_e32 v0, v8, v0
	v_mul_lo_u32 v2, v0, s25
	s_andn2_b64 vcc, exec, s[48:49]
	v_mul_lo_u32 v0, v0, s24
	s_cbranch_vccnz .LBB105_838
; %bb.837:
	v_mul_hi_u32 v3, s46, v1
	v_add_u32_e32 v3, v1, v3
	v_lshrrev_b32_e32 v3, s47, v3
	v_mul_lo_u32 v3, v3, s31
	v_sub_u32_e32 v3, v1, v3
	v_mad_u64_u32 v[0:1], s[4:5], v3, s26, v[0:1]
	v_mad_u64_u32 v[2:3], s[4:5], v3, s27, v[2:3]
.LBB105_838:
	v_mov_b32_e32 v3, 0
	s_and_b32 s14, 0xffff, s74
	s_cmp_lt_i32 s14, 11
	s_waitcnt lgkmcnt(0)
	v_lshl_add_u64 v[2:3], s[22:23], 0, v[2:3]
	s_cbranch_scc1 .LBB105_845
; %bb.839:
	s_cmp_gt_i32 s14, 25
	s_mov_b64 s[6:7], 0
	s_cbranch_scc0 .LBB105_846
; %bb.840:
	s_cmp_gt_i32 s14, 28
	s_cbranch_scc0 .LBB105_847
; %bb.841:
	s_cmp_gt_i32 s14, 43
	;; [unrolled: 3-line block ×3, first 2 shown]
	s_cbranch_scc0 .LBB105_851
; %bb.843:
	s_cmp_eq_u32 s14, 46
	s_mov_b64 s[10:11], 0
	s_cbranch_scc0 .LBB105_854
; %bb.844:
	global_load_dword v1, v[2:3], off
	s_mov_b64 s[4:5], 0
	s_mov_b64 s[8:9], -1
	s_branch .LBB105_855
.LBB105_845:
	s_mov_b64 s[10:11], -1
	s_mov_b64 s[8:9], 0
	s_mov_b64 s[6:7], 0
	;; [unrolled: 1-line block ×3, first 2 shown]
                                        ; implicit-def: $vgpr1
	s_branch .LBB105_918
.LBB105_846:
	s_mov_b64 s[10:11], -1
	s_mov_b64 s[8:9], 0
	s_mov_b64 s[4:5], s[2:3]
                                        ; implicit-def: $vgpr1
	s_branch .LBB105_884
.LBB105_847:
	s_mov_b64 s[10:11], -1
	s_mov_b64 s[8:9], 0
	s_mov_b64 s[4:5], s[2:3]
                                        ; implicit-def: $vgpr1
	s_branch .LBB105_865
.LBB105_848:
	s_mov_b64 s[10:11], -1
	s_mov_b64 s[8:9], 0
	s_mov_b64 s[4:5], s[2:3]
                                        ; implicit-def: $vgpr1
	s_branch .LBB105_860
.LBB105_849:
	s_andn2_saveexec_b64 s[10:11], s[10:11]
	s_cbranch_execz .LBB105_728
.LBB105_850:
	s_mov_b32 s14, 0x46000000
	v_add_f32_e64 v4, |v5|, s14
	v_and_b32_e32 v4, 0xff, v4
	v_cmp_ne_u32_e32 vcc, 0, v4
	s_andn2_b64 s[8:9], s[8:9], exec
	s_and_b64 s[14:15], vcc, exec
	s_or_b64 s[8:9], s[8:9], s[14:15]
	s_or_b64 exec, exec, s[10:11]
	v_mov_b32_e32 v6, 0
	s_and_saveexec_b64 s[10:11], s[8:9]
	s_cbranch_execnz .LBB105_729
	s_branch .LBB105_730
.LBB105_851:
	s_mov_b64 s[10:11], -1
	s_mov_b64 s[8:9], 0
	s_mov_b64 s[4:5], s[2:3]
                                        ; implicit-def: $vgpr1
	s_branch .LBB105_855
.LBB105_852:
	s_andn2_saveexec_b64 s[10:11], s[10:11]
	s_cbranch_execz .LBB105_741
.LBB105_853:
	s_mov_b32 s14, 0x42800000
	v_add_f32_e64 v4, |v5|, s14
	v_and_b32_e32 v4, 0xff, v4
	v_cmp_ne_u32_e32 vcc, 0, v4
	s_andn2_b64 s[8:9], s[8:9], exec
	s_and_b64 s[14:15], vcc, exec
	s_or_b64 s[8:9], s[8:9], s[14:15]
	s_or_b64 exec, exec, s[10:11]
	v_mov_b32_e32 v6, 0
	s_and_saveexec_b64 s[10:11], s[8:9]
	s_cbranch_execnz .LBB105_742
	s_branch .LBB105_743
.LBB105_854:
	s_mov_b64 s[4:5], -1
                                        ; implicit-def: $vgpr1
	s_mov_b64 s[8:9], 0
.LBB105_855:
	s_and_b64 vcc, exec, s[10:11]
	s_cbranch_vccz .LBB105_859
; %bb.856:
	s_cmp_eq_u32 s14, 44
	s_cbranch_scc0 .LBB105_858
; %bb.857:
	global_load_ubyte v1, v[2:3], off
	s_movk_i32 s8, 0xff
	v_mov_b32_e32 v4, 0x7f800001
	v_mov_b32_e32 v5, 0x400000
	;; [unrolled: 1-line block ×3, first 2 shown]
	s_mov_b64 s[4:5], 0
	s_waitcnt vmcnt(0)
	v_lshlrev_b32_e32 v7, 23, v1
	v_cmp_ne_u32_e32 vcc, s8, v1
	s_mov_b64 s[8:9], -1
	s_nop 0
	v_cndmask_b32_e32 v4, v4, v7, vcc
	v_cmp_ne_u32_e32 vcc, 0, v1
	s_nop 1
	v_cndmask_b32_e32 v1, v5, v4, vcc
	v_add_u32_e32 v4, 0x7fff, v1
	v_cmp_o_f32_e32 vcc, v1, v1
	s_nop 1
	v_cndmask_b32_sdwa v1, v6, v4, vcc dst_sel:DWORD dst_unused:UNUSED_PAD src0_sel:DWORD src1_sel:WORD_1
	s_branch .LBB105_859
.LBB105_858:
	s_mov_b64 s[4:5], -1
                                        ; implicit-def: $vgpr1
.LBB105_859:
	s_mov_b64 s[10:11], 0
.LBB105_860:
	s_and_b64 vcc, exec, s[10:11]
	s_cbranch_vccz .LBB105_864
; %bb.861:
	s_cmp_eq_u32 s14, 29
	s_cbranch_scc0 .LBB105_863
; %bb.862:
	global_load_dwordx2 v[4:5], v[2:3], off
	s_movk_i32 s8, 0x7fff
	s_mov_b64 s[4:5], 0
	s_mov_b64 s[10:11], 0
	s_waitcnt vmcnt(0)
	v_ffbh_u32_e32 v1, v5
	v_min_u32_e32 v1, 32, v1
	v_lshlrev_b64 v[4:5], v1, v[4:5]
	v_min_u32_e32 v4, 1, v4
	v_or_b32_e32 v4, v5, v4
	v_cvt_f32_u32_e32 v4, v4
	v_sub_u32_e32 v1, 32, v1
	v_ldexp_f32 v1, v4, v1
	v_bfe_u32 v4, v1, 16, 1
	v_add3_u32 v1, v1, v4, s8
	v_lshrrev_b32_e32 v1, 16, v1
	s_mov_b64 s[8:9], -1
	s_branch .LBB105_865
.LBB105_863:
	s_mov_b64 s[4:5], -1
                                        ; implicit-def: $vgpr1
.LBB105_864:
	s_mov_b64 s[10:11], 0
.LBB105_865:
	s_and_b64 vcc, exec, s[10:11]
	s_cbranch_vccz .LBB105_883
; %bb.866:
	s_cmp_lt_i32 s14, 27
	s_cbranch_scc1 .LBB105_869
; %bb.867:
	s_cmp_gt_i32 s14, 27
	s_cbranch_scc0 .LBB105_870
; %bb.868:
	global_load_dword v1, v[2:3], off
	s_movk_i32 s8, 0x7fff
	s_waitcnt vmcnt(0)
	v_cvt_f32_u32_e32 v1, v1
	v_bfe_u32 v4, v1, 16, 1
	v_add3_u32 v1, v1, v4, s8
	v_lshrrev_b32_e32 v1, 16, v1
	s_mov_b64 s[8:9], 0
	s_branch .LBB105_871
.LBB105_869:
	s_mov_b64 s[8:9], -1
                                        ; implicit-def: $vgpr1
	s_branch .LBB105_874
.LBB105_870:
	s_mov_b64 s[8:9], -1
                                        ; implicit-def: $vgpr1
.LBB105_871:
	s_andn2_b64 vcc, exec, s[8:9]
	s_cbranch_vccnz .LBB105_873
; %bb.872:
	global_load_ushort v1, v[2:3], off
	s_movk_i32 s8, 0x7fff
	s_waitcnt vmcnt(0)
	v_cvt_f32_u32_e32 v1, v1
	v_bfe_u32 v4, v1, 16, 1
	v_add3_u32 v1, v1, v4, s8
	v_lshrrev_b32_e32 v1, 16, v1
.LBB105_873:
	s_mov_b64 s[8:9], 0
.LBB105_874:
	s_andn2_b64 vcc, exec, s[8:9]
	s_cbranch_vccnz .LBB105_882
; %bb.875:
	global_load_ubyte v1, v[2:3], off
	s_movk_i32 s8, 0x7f
	s_waitcnt vmcnt(0)
	v_cmp_lt_i16_e32 vcc, s8, v1
	s_mov_b64 s[8:9], 0
	s_and_saveexec_b64 s[10:11], vcc
	s_xor_b64 s[10:11], exec, s[10:11]
	s_cbranch_execz .LBB105_896
; %bb.876:
	s_movk_i32 s8, 0x80
	v_cmp_eq_u16_e32 vcc, s8, v1
	s_mov_b64 s[8:9], -1
	s_and_saveexec_b64 s[12:13], vcc
; %bb.877:
	s_xor_b64 s[8:9], exec, -1
; %bb.878:
	s_or_b64 exec, exec, s[12:13]
	s_and_b64 s[8:9], s[8:9], exec
	s_or_saveexec_b64 s[10:11], s[10:11]
	v_mov_b32_e32 v4, 0x7f800001
	s_xor_b64 exec, exec, s[10:11]
	s_cbranch_execnz .LBB105_897
.LBB105_879:
	s_or_b64 exec, exec, s[10:11]
	s_and_saveexec_b64 s[10:11], s[8:9]
	s_cbranch_execz .LBB105_881
.LBB105_880:
	v_lshlrev_b32_e32 v4, 24, v1
	v_and_b32_e32 v1, 0xffff, v1
	v_and_b32_e32 v5, 7, v1
	v_ffbh_u32_e32 v7, v5
	v_min_u32_e32 v7, 32, v7
	v_subrev_u32_e32 v8, 28, v7
	v_bfe_u32 v6, v1, 3, 4
	v_lshlrev_b32_e32 v1, v8, v1
	v_sub_u32_e32 v7, 29, v7
	v_and_b32_e32 v1, 7, v1
	v_cmp_eq_u32_e32 vcc, 0, v6
	v_and_b32_e32 v4, 0x80000000, v4
	s_nop 0
	v_cndmask_b32_e32 v6, v6, v7, vcc
	v_cndmask_b32_e32 v1, v5, v1, vcc
	v_mov_b32_e32 v5, 0x3b800000
	v_lshlrev_b32_e32 v1, 20, v1
	v_lshl_add_u32 v5, v6, 23, v5
	v_or3_b32 v4, v4, v5, v1
.LBB105_881:
	s_or_b64 exec, exec, s[10:11]
	v_bfe_u32 v1, v4, 16, 1
	s_movk_i32 s8, 0x7fff
	v_add3_u32 v1, v4, v1, s8
	v_cmp_o_f32_e32 vcc, v4, v4
	v_mov_b32_e32 v4, 0x7fc0
	s_nop 0
	v_cndmask_b32_sdwa v1, v4, v1, vcc dst_sel:DWORD dst_unused:UNUSED_PAD src0_sel:DWORD src1_sel:WORD_1
.LBB105_882:
	s_mov_b64 s[8:9], -1
.LBB105_883:
	s_mov_b64 s[10:11], 0
.LBB105_884:
	s_and_b64 vcc, exec, s[10:11]
	s_cbranch_vccz .LBB105_917
; %bb.885:
	s_cmp_gt_i32 s14, 22
	s_cbranch_scc0 .LBB105_895
; %bb.886:
	s_cmp_lt_i32 s14, 24
	s_cbranch_scc1 .LBB105_898
; %bb.887:
	s_cmp_gt_i32 s14, 24
	s_cbranch_scc0 .LBB105_899
; %bb.888:
	global_load_ubyte v1, v[2:3], off
	s_movk_i32 s6, 0x7f
	s_waitcnt vmcnt(0)
	v_cmp_lt_i16_e32 vcc, s6, v1
	s_mov_b64 s[6:7], 0
	s_and_saveexec_b64 s[8:9], vcc
	s_xor_b64 s[8:9], exec, s[8:9]
	s_cbranch_execz .LBB105_911
; %bb.889:
	s_movk_i32 s6, 0x80
	v_cmp_eq_u16_e32 vcc, s6, v1
	s_mov_b64 s[6:7], -1
	s_and_saveexec_b64 s[10:11], vcc
; %bb.890:
	s_xor_b64 s[6:7], exec, -1
; %bb.891:
	s_or_b64 exec, exec, s[10:11]
	s_and_b64 s[6:7], s[6:7], exec
	s_or_saveexec_b64 s[8:9], s[8:9]
	v_mov_b32_e32 v4, 0x7f800001
	s_xor_b64 exec, exec, s[8:9]
	s_cbranch_execnz .LBB105_912
.LBB105_892:
	s_or_b64 exec, exec, s[8:9]
	s_and_saveexec_b64 s[8:9], s[6:7]
	s_cbranch_execz .LBB105_894
.LBB105_893:
	v_lshlrev_b32_e32 v4, 24, v1
	v_and_b32_e32 v1, 0xffff, v1
	v_and_b32_e32 v5, 3, v1
	v_ffbh_u32_e32 v7, v5
	v_min_u32_e32 v7, 32, v7
	v_subrev_u32_e32 v8, 29, v7
	v_bfe_u32 v6, v1, 2, 5
	v_lshlrev_b32_e32 v1, v8, v1
	v_sub_u32_e32 v7, 30, v7
	v_and_b32_e32 v1, 3, v1
	v_cmp_eq_u32_e32 vcc, 0, v6
	v_and_b32_e32 v4, 0x80000000, v4
	s_nop 0
	v_cndmask_b32_e32 v6, v6, v7, vcc
	v_cndmask_b32_e32 v1, v5, v1, vcc
	v_mov_b32_e32 v5, 0x37800000
	v_lshlrev_b32_e32 v1, 21, v1
	v_lshl_add_u32 v5, v6, 23, v5
	v_or3_b32 v4, v4, v5, v1
.LBB105_894:
	s_or_b64 exec, exec, s[8:9]
	v_bfe_u32 v1, v4, 16, 1
	s_movk_i32 s6, 0x7fff
	v_add3_u32 v1, v4, v1, s6
	v_cmp_o_f32_e32 vcc, v4, v4
	v_mov_b32_e32 v4, 0x7fc0
	s_mov_b64 s[6:7], 0
	v_cndmask_b32_sdwa v1, v4, v1, vcc dst_sel:DWORD dst_unused:UNUSED_PAD src0_sel:DWORD src1_sel:WORD_1
	s_branch .LBB105_900
.LBB105_895:
	s_mov_b64 s[6:7], -1
                                        ; implicit-def: $vgpr1
	s_branch .LBB105_906
.LBB105_896:
	s_or_saveexec_b64 s[10:11], s[10:11]
	v_mov_b32_e32 v4, 0x7f800001
	s_xor_b64 exec, exec, s[10:11]
	s_cbranch_execz .LBB105_879
.LBB105_897:
	v_cmp_ne_u16_e32 vcc, 0, v1
	s_andn2_b64 s[8:9], s[8:9], exec
	s_and_b64 s[12:13], vcc, exec
	v_mov_b32_e32 v4, 0
	s_or_b64 s[8:9], s[8:9], s[12:13]
	s_or_b64 exec, exec, s[10:11]
	s_and_saveexec_b64 s[10:11], s[8:9]
	s_cbranch_execnz .LBB105_880
	s_branch .LBB105_881
.LBB105_898:
	s_mov_b64 s[6:7], -1
                                        ; implicit-def: $vgpr1
	s_branch .LBB105_903
.LBB105_899:
	s_mov_b64 s[6:7], -1
                                        ; implicit-def: $vgpr1
.LBB105_900:
	s_and_b64 vcc, exec, s[6:7]
	s_cbranch_vccz .LBB105_902
; %bb.901:
	global_load_ubyte v1, v[2:3], off
	s_mov_b32 s6, 0x7f800000
	s_brev_b32 s7, 1
	s_movk_i32 s8, 0x7fff
	s_waitcnt vmcnt(0)
	v_lshlrev_b32_e32 v1, 24, v1
	v_and_b32_e32 v4, 0x7f000000, v1
	v_ffbh_u32_e32 v5, v4
	v_min_u32_e32 v5, 32, v5
	v_sub_u32_e64 v5, v5, 4 clamp
	v_lshlrev_b32_e32 v7, v5, v4
	v_lshlrev_b32_e32 v5, 23, v5
	v_lshrrev_b32_e32 v7, 4, v7
	v_add_u32_e32 v6, 0x1000000, v4
	v_sub_u32_e32 v5, v7, v5
	v_ashrrev_i32_e32 v6, 8, v6
	v_add_u32_e32 v5, 0x3c000000, v5
	v_and_or_b32 v5, v6, s6, v5
	v_cmp_ne_u32_e32 vcc, 0, v4
	s_nop 1
	v_cndmask_b32_e32 v4, 0, v5, vcc
	v_and_or_b32 v1, v1, s7, v4
	v_bfe_u32 v4, v4, 16, 1
	v_add3_u32 v4, v1, v4, s8
	v_cmp_o_f32_e32 vcc, v1, v1
	v_mov_b32_e32 v1, 0x7fc0
	s_nop 0
	v_cndmask_b32_sdwa v1, v1, v4, vcc dst_sel:DWORD dst_unused:UNUSED_PAD src0_sel:DWORD src1_sel:WORD_1
.LBB105_902:
	s_mov_b64 s[6:7], 0
.LBB105_903:
	s_andn2_b64 vcc, exec, s[6:7]
	s_cbranch_vccnz .LBB105_905
; %bb.904:
	global_load_ubyte v1, v[2:3], off
	s_movk_i32 s6, 0x7f00
	s_brev_b32 s7, 16
	s_brev_b32 s8, 1
	s_movk_i32 s9, 0x7fff
	s_waitcnt vmcnt(0)
	v_lshlrev_b16_e32 v4, 8, v1
	v_lshlrev_b32_e32 v1, 25, v1
	v_lshrrev_b32_e32 v5, 4, v1
	v_and_or_b32 v6, v4, s6, 0.5
	v_or_b32_e32 v5, 0x70000000, v5
	v_add_f32_e32 v6, -0.5, v6
	v_mul_f32_e32 v5, 0x7800000, v5
	v_cmp_gt_u32_e32 vcc, s7, v1
	v_bfe_i32 v4, v4, 0, 16
	s_nop 0
	v_cndmask_b32_e32 v1, v5, v6, vcc
	v_and_or_b32 v4, v4, s8, v1
	v_bfe_u32 v1, v1, 16, 1
	v_add3_u32 v1, v4, v1, s9
	v_cmp_o_f32_e32 vcc, v4, v4
	v_mov_b32_e32 v4, 0x7fc0
	s_nop 0
	v_cndmask_b32_sdwa v1, v4, v1, vcc dst_sel:DWORD dst_unused:UNUSED_PAD src0_sel:DWORD src1_sel:WORD_1
.LBB105_905:
	s_mov_b64 s[6:7], 0
	s_mov_b64 s[8:9], -1
.LBB105_906:
	s_andn2_b64 vcc, exec, s[6:7]
	s_mov_b64 s[6:7], 0
	s_cbranch_vccnz .LBB105_917
; %bb.907:
	s_cmp_gt_i32 s14, 14
	s_cbranch_scc0 .LBB105_910
; %bb.908:
	s_cmp_eq_u32 s14, 15
	s_cbranch_scc0 .LBB105_913
; %bb.909:
	global_load_ushort v1, v[2:3], off
	s_mov_b64 s[4:5], 0
	s_mov_b64 s[8:9], -1
	s_branch .LBB105_914
.LBB105_910:
	s_mov_b64 s[10:11], -1
                                        ; implicit-def: $vgpr1
	s_branch .LBB105_915
.LBB105_911:
	s_or_saveexec_b64 s[8:9], s[8:9]
	v_mov_b32_e32 v4, 0x7f800001
	s_xor_b64 exec, exec, s[8:9]
	s_cbranch_execz .LBB105_892
.LBB105_912:
	v_cmp_ne_u16_e32 vcc, 0, v1
	s_andn2_b64 s[6:7], s[6:7], exec
	s_and_b64 s[10:11], vcc, exec
	v_mov_b32_e32 v4, 0
	s_or_b64 s[6:7], s[6:7], s[10:11]
	s_or_b64 exec, exec, s[8:9]
	s_and_saveexec_b64 s[8:9], s[6:7]
	s_cbranch_execnz .LBB105_893
	s_branch .LBB105_894
.LBB105_913:
	s_mov_b64 s[4:5], -1
                                        ; implicit-def: $vgpr1
.LBB105_914:
	s_mov_b64 s[10:11], 0
.LBB105_915:
	s_and_b64 vcc, exec, s[10:11]
	s_cbranch_vccz .LBB105_917
; %bb.916:
	s_cmp_lg_u32 s14, 11
	s_cselect_b64 s[10:11], -1, 0
	s_andn2_b64 s[4:5], s[4:5], exec
	s_and_b64 s[10:11], s[10:11], exec
	s_mov_b64 s[6:7], -1
	s_or_b64 s[4:5], s[4:5], s[10:11]
.LBB105_917:
	s_mov_b64 s[10:11], 0
.LBB105_918:
	s_andn2_b64 s[12:13], s[2:3], exec
	s_and_b64 s[4:5], s[4:5], exec
	s_and_b64 s[8:9], s[8:9], exec
	;; [unrolled: 1-line block ×4, first 2 shown]
	s_or_b64 s[12:13], s[12:13], s[4:5]
.LBB105_919:
	s_or_b64 exec, exec, s[70:71]
	s_and_b64 s[4:5], s[6:7], exec
	s_andn2_b64 s[2:3], s[2:3], exec
	s_and_b64 s[6:7], s[12:13], exec
	s_and_b64 s[8:9], s[8:9], exec
	s_and_b64 s[10:11], s[10:11], exec
	s_or_b64 s[2:3], s[2:3], s[6:7]
.LBB105_920:
	s_or_b64 exec, exec, s[66:67]
	s_andn2_b64 s[6:7], s[62:63], exec
	s_and_b64 s[12:13], s[68:69], exec
	s_or_b64 s[62:63], s[6:7], s[12:13]
	s_and_b64 s[6:7], s[10:11], exec
	s_andn2_b64 s[10:11], s[60:61], exec
	s_and_b64 s[2:3], s[2:3], exec
	s_and_b64 s[8:9], s[8:9], exec
	;; [unrolled: 1-line block ×3, first 2 shown]
	s_or_b64 s[60:61], s[10:11], s[2:3]
.LBB105_921:
	s_or_b64 exec, exec, s[64:65]
	s_andn2_b64 s[2:3], s[54:55], exec
	s_and_b64 s[10:11], s[62:63], exec
	s_or_b64 s[54:55], s[2:3], s[10:11]
	s_and_b64 s[2:3], s[8:9], exec
	s_and_b64 s[8:9], s[6:7], exec
	;; [unrolled: 1-line block ×3, first 2 shown]
	s_andn2_b64 s[4:5], s[56:57], exec
	s_and_b64 s[6:7], s[60:61], exec
	s_or_b64 s[56:57], s[4:5], s[6:7]
	s_or_b64 exec, exec, s[58:59]
	s_mov_b64 s[4:5], 0
	s_and_saveexec_b64 s[6:7], s[56:57]
	s_cbranch_execz .LBB105_276
.LBB105_922:
	s_mov_b64 s[4:5], exec
	s_andn2_b64 s[62:63], s[62:63], exec
	s_trap 2
	s_or_b64 exec, exec, s[6:7]
	s_and_saveexec_b64 s[6:7], s[62:63]
	s_xor_b64 s[6:7], exec, s[6:7]
	s_cbranch_execnz .LBB105_277
.LBB105_923:
	s_or_b64 exec, exec, s[6:7]
	s_and_saveexec_b64 s[6:7], s[8:9]
	s_cbranch_execz .LBB105_969
.LBB105_924:
	s_sext_i32_i16 s8, s74
	s_cmp_lt_i32 s8, 5
	s_cbranch_scc1 .LBB105_929
; %bb.925:
	s_cmp_lt_i32 s8, 8
	s_cbranch_scc1 .LBB105_930
; %bb.926:
	;; [unrolled: 3-line block ×3, first 2 shown]
	s_cmp_gt_i32 s8, 9
	s_cbranch_scc0 .LBB105_932
; %bb.928:
	global_load_dwordx2 v[4:5], v[2:3], off
	s_movk_i32 s8, 0x7fff
	s_waitcnt vmcnt(1)
	v_mov_b32_e32 v1, 0x7fc0
	s_waitcnt vmcnt(0)
	v_cvt_f32_f64_e32 v4, v[4:5]
	v_bfe_u32 v5, v4, 16, 1
	v_cmp_o_f32_e32 vcc, v4, v4
	v_add3_u32 v4, v4, v5, s8
	s_mov_b64 s[8:9], 0
	v_cndmask_b32_sdwa v1, v1, v4, vcc dst_sel:DWORD dst_unused:UNUSED_PAD src0_sel:DWORD src1_sel:WORD_1
	s_branch .LBB105_933
.LBB105_929:
                                        ; implicit-def: $vgpr1
	s_branch .LBB105_950
.LBB105_930:
                                        ; implicit-def: $vgpr1
	s_branch .LBB105_939
.LBB105_931:
	s_mov_b64 s[8:9], -1
                                        ; implicit-def: $vgpr1
	s_branch .LBB105_936
.LBB105_932:
	s_mov_b64 s[8:9], -1
                                        ; implicit-def: $vgpr1
.LBB105_933:
	s_andn2_b64 vcc, exec, s[8:9]
	s_cbranch_vccnz .LBB105_935
; %bb.934:
	global_load_dword v1, v[2:3], off
	s_movk_i32 s8, 0x7fff
	v_mov_b32_e32 v4, 0x7fc0
	s_waitcnt vmcnt(0)
	v_bfe_u32 v5, v1, 16, 1
	v_cmp_o_f32_e32 vcc, v1, v1
	v_add3_u32 v1, v1, v5, s8
	s_nop 0
	v_cndmask_b32_sdwa v1, v4, v1, vcc dst_sel:DWORD dst_unused:UNUSED_PAD src0_sel:DWORD src1_sel:WORD_1
.LBB105_935:
	s_mov_b64 s[8:9], 0
.LBB105_936:
	s_andn2_b64 vcc, exec, s[8:9]
	s_cbranch_vccnz .LBB105_938
; %bb.937:
	global_load_dword v1, v[2:3], off
	s_movk_i32 s8, 0x7fff
	v_mov_b32_e32 v5, 0x7fc0
	s_waitcnt vmcnt(0)
	v_cvt_f32_f16_e32 v4, v1
	v_cmp_o_f16_e32 vcc, v1, v1
	v_bfe_u32 v1, v4, 16, 1
	v_add3_u32 v1, v4, v1, s8
	v_cndmask_b32_sdwa v1, v5, v1, vcc dst_sel:DWORD dst_unused:UNUSED_PAD src0_sel:DWORD src1_sel:WORD_1
.LBB105_938:
	s_cbranch_execnz .LBB105_949
.LBB105_939:
	s_sext_i32_i16 s8, s74
	s_cmp_lt_i32 s8, 6
	s_cbranch_scc1 .LBB105_942
; %bb.940:
	s_cmp_gt_i32 s8, 6
	s_cbranch_scc0 .LBB105_943
; %bb.941:
	global_load_dwordx2 v[4:5], v[2:3], off
	s_movk_i32 s8, 0x7fff
	s_waitcnt vmcnt(1)
	v_mov_b32_e32 v1, 0x7fc0
	s_waitcnt vmcnt(0)
	v_cvt_f32_f64_e32 v4, v[4:5]
	v_bfe_u32 v5, v4, 16, 1
	v_cmp_o_f32_e32 vcc, v4, v4
	v_add3_u32 v4, v4, v5, s8
	s_mov_b64 s[8:9], 0
	v_cndmask_b32_sdwa v1, v1, v4, vcc dst_sel:DWORD dst_unused:UNUSED_PAD src0_sel:DWORD src1_sel:WORD_1
	s_branch .LBB105_944
.LBB105_942:
	s_mov_b64 s[8:9], -1
                                        ; implicit-def: $vgpr1
	s_branch .LBB105_947
.LBB105_943:
	s_mov_b64 s[8:9], -1
                                        ; implicit-def: $vgpr1
.LBB105_944:
	s_andn2_b64 vcc, exec, s[8:9]
	s_cbranch_vccnz .LBB105_946
; %bb.945:
	global_load_dword v1, v[2:3], off
	s_movk_i32 s8, 0x7fff
	v_mov_b32_e32 v4, 0x7fc0
	s_waitcnt vmcnt(0)
	v_bfe_u32 v5, v1, 16, 1
	v_cmp_o_f32_e32 vcc, v1, v1
	v_add3_u32 v1, v1, v5, s8
	s_nop 0
	v_cndmask_b32_sdwa v1, v4, v1, vcc dst_sel:DWORD dst_unused:UNUSED_PAD src0_sel:DWORD src1_sel:WORD_1
.LBB105_946:
	s_mov_b64 s[8:9], 0
.LBB105_947:
	s_andn2_b64 vcc, exec, s[8:9]
	s_cbranch_vccnz .LBB105_949
; %bb.948:
	global_load_ushort v1, v[2:3], off
	s_movk_i32 s8, 0x7fff
	v_mov_b32_e32 v5, 0x7fc0
	s_waitcnt vmcnt(0)
	v_cvt_f32_f16_e32 v4, v1
	v_cmp_o_f16_e32 vcc, v1, v1
	v_bfe_u32 v1, v4, 16, 1
	v_add3_u32 v1, v4, v1, s8
	v_cndmask_b32_sdwa v1, v5, v1, vcc dst_sel:DWORD dst_unused:UNUSED_PAD src0_sel:DWORD src1_sel:WORD_1
.LBB105_949:
	s_cbranch_execnz .LBB105_968
.LBB105_950:
	s_sext_i32_i16 s8, s74
	s_cmp_lt_i32 s8, 2
	s_cbranch_scc1 .LBB105_954
; %bb.951:
	s_cmp_lt_i32 s8, 3
	s_cbranch_scc1 .LBB105_955
; %bb.952:
	s_cmp_gt_i32 s8, 3
	s_cbranch_scc0 .LBB105_956
; %bb.953:
	global_load_dwordx2 v[4:5], v[2:3], off
	s_movk_i32 s8, 0x7fff
	s_waitcnt vmcnt(0)
	v_xor_b32_e32 v6, v4, v5
	v_ffbh_i32_e32 v1, v5
	v_ashrrev_i32_e32 v6, 31, v6
	v_add_u32_e32 v1, -1, v1
	v_add_u32_e32 v6, 32, v6
	v_min_u32_e32 v1, v1, v6
	v_lshlrev_b64 v[4:5], v1, v[4:5]
	v_min_u32_e32 v4, 1, v4
	v_or_b32_e32 v4, v5, v4
	v_cvt_f32_i32_e32 v4, v4
	v_sub_u32_e32 v1, 32, v1
	v_ldexp_f32 v1, v4, v1
	v_bfe_u32 v4, v1, 16, 1
	v_add3_u32 v1, v1, v4, s8
	v_lshrrev_b32_e32 v1, 16, v1
	s_mov_b64 s[8:9], 0
	s_branch .LBB105_957
.LBB105_954:
                                        ; implicit-def: $vgpr1
	s_branch .LBB105_963
.LBB105_955:
	s_mov_b64 s[8:9], -1
                                        ; implicit-def: $vgpr1
	s_branch .LBB105_960
.LBB105_956:
	s_mov_b64 s[8:9], -1
                                        ; implicit-def: $vgpr1
.LBB105_957:
	s_andn2_b64 vcc, exec, s[8:9]
	s_cbranch_vccnz .LBB105_959
; %bb.958:
	global_load_dword v1, v[2:3], off
	s_movk_i32 s8, 0x7fff
	s_waitcnt vmcnt(0)
	v_cvt_f32_i32_e32 v1, v1
	v_bfe_u32 v4, v1, 16, 1
	v_add3_u32 v1, v1, v4, s8
	v_lshrrev_b32_e32 v1, 16, v1
.LBB105_959:
	s_mov_b64 s[8:9], 0
.LBB105_960:
	s_andn2_b64 vcc, exec, s[8:9]
	s_cbranch_vccnz .LBB105_962
; %bb.961:
	global_load_sshort v1, v[2:3], off
	s_movk_i32 s8, 0x7fff
	s_waitcnt vmcnt(0)
	v_cvt_f32_i32_e32 v1, v1
	v_bfe_u32 v4, v1, 16, 1
	v_add3_u32 v1, v1, v4, s8
	v_lshrrev_b32_e32 v1, 16, v1
.LBB105_962:
	s_cbranch_execnz .LBB105_968
.LBB105_963:
	s_sext_i32_i16 s8, s74
	s_cmp_gt_i32 s8, 0
	s_cbranch_scc0 .LBB105_965
; %bb.964:
	global_load_sbyte v1, v[2:3], off
	s_movk_i32 s8, 0x7fff
	s_waitcnt vmcnt(0)
	v_cvt_f32_i32_e32 v1, v1
	v_bfe_u32 v4, v1, 16, 1
	v_add3_u32 v1, v1, v4, s8
	v_lshrrev_b32_e32 v1, 16, v1
	s_mov_b64 s[8:9], 0
	s_branch .LBB105_966
.LBB105_965:
	s_mov_b64 s[8:9], -1
                                        ; implicit-def: $vgpr1
.LBB105_966:
	s_andn2_b64 vcc, exec, s[8:9]
	s_cbranch_vccnz .LBB105_968
; %bb.967:
	global_load_ubyte v1, v[2:3], off
	s_movk_i32 s8, 0x7fff
	s_waitcnt vmcnt(0)
	v_cvt_f32_ubyte0_e32 v1, v1
	v_bfe_u32 v2, v1, 16, 1
	v_add3_u32 v1, v1, v2, s8
	v_lshrrev_b32_e32 v1, 16, v1
.LBB105_968:
	s_or_b64 s[2:3], s[2:3], exec
.LBB105_969:
	s_or_b64 exec, exec, s[6:7]
	s_mov_b64 s[10:11], 0
	s_mov_b64 s[8:9], 0
                                        ; implicit-def: $sgpr16
                                        ; implicit-def: $vgpr2_vgpr3
                                        ; implicit-def: $vgpr4
	s_and_saveexec_b64 s[6:7], s[2:3]
	s_cbranch_execz .LBB105_987
; %bb.970:
	s_waitcnt vmcnt(0)
	v_lshlrev_b32_e32 v1, 16, v1
	v_mul_f32_e32 v2, 0x3fb8aa3b, v1
	s_mov_b32 s2, 0x3fb8aa3b
	v_rndne_f32_e32 v3, v2
	v_sub_f32_e32 v4, v2, v3
	v_fma_f32 v2, v1, s2, -v2
	v_fmamk_f32 v2, v1, 0x32a5705f, v2
	v_add_f32_e32 v2, v4, v2
	v_exp_f32_e32 v2, v2
	v_cvt_i32_f32_e32 v3, v3
	s_mov_b32 s2, 0xc2ce8ed0
	v_cmp_ngt_f32_e32 vcc, s2, v1
	s_mov_b32 s2, 0x42b17218
	v_ldexp_f32 v2, v2, v3
	v_cndmask_b32_e32 v2, 0, v2, vcc
	v_mov_b32_e32 v3, 0x7f800000
	v_cmp_nlt_f32_e32 vcc, s2, v1
	s_movk_i32 s2, 0x7fff
	s_and_b32 s16, s73, 0xff
	v_cndmask_b32_e32 v1, v3, v2, vcc
	v_bfe_u32 v2, v1, 16, 1
	v_add3_u32 v2, v1, v2, s2
	v_cmp_o_f32_e32 vcc, v1, v1
	v_mov_b32_e32 v1, 0x7fc0
	s_cmp_lt_i32 s16, 11
	v_cndmask_b32_sdwa v4, v1, v2, vcc dst_sel:DWORD dst_unused:UNUSED_PAD src0_sel:DWORD src1_sel:WORD_1
	v_mov_b32_e32 v1, 0
	s_waitcnt lgkmcnt(0)
	v_lshl_add_u64 v[2:3], s[20:21], 0, v[0:1]
	s_cbranch_scc1 .LBB105_990
; %bb.971:
	s_and_b32 s17, 0xffff, s16
	s_mov_b64 s[10:11], -1
	s_cmp_gt_i32 s17, 25
	s_mov_b64 s[2:3], s[54:55]
	s_cbranch_scc0 .LBB105_1008
; %bb.972:
	s_mov_b64 s[8:9], -1
	s_cmp_gt_i32 s17, 28
	s_mov_b64 s[2:3], s[54:55]
	s_cbranch_scc0 .LBB105_992
; %bb.973:
	s_cmp_gt_i32 s17, 43
	s_mov_b64 s[2:3], s[54:55]
	s_cbranch_scc0 .LBB105_984
; %bb.974:
	;; [unrolled: 4-line block ×3, first 2 shown]
	s_cmp_eq_u32 s17, 46
	s_mov_b64 s[2:3], -1
	s_cbranch_scc0 .LBB105_977
; %bb.976:
	v_and_b32_e32 v0, 0xffff, v4
	global_store_dword v[2:3], v0, off
	s_mov_b64 s[2:3], 0
.LBB105_977:
	s_mov_b64 s[8:9], 0
.LBB105_978:
	s_and_b64 vcc, exec, s[8:9]
	s_cbranch_vccz .LBB105_983
; %bb.979:
	s_cmp_eq_u32 s17, 44
	s_mov_b64 s[2:3], -1
	s_cbranch_scc0 .LBB105_983
; %bb.980:
	v_and_b32_e32 v1, 0xffff, v4
	v_bfe_u32 v0, v1, 7, 8
	s_movk_i32 s2, 0xff
	v_cmp_ne_u32_e32 vcc, s2, v0
	v_mov_b32_e32 v5, 0xff
	s_and_saveexec_b64 s[8:9], vcc
	s_cbranch_execz .LBB105_982
; %bb.981:
	v_lshlrev_b32_e32 v6, 16, v1
	s_mov_b32 s2, 0x3f0000
	v_lshrrev_b32_e32 v5, 7, v1
	v_and_b32_e32 v1, 64, v1
	v_and_or_b32 v0, v6, s2, v0
	v_cmp_ne_u32_e32 vcc, 0, v1
	v_cmp_ne_u32_e64 s[2:3], 0, v0
	s_and_b64 s[2:3], vcc, s[2:3]
	s_nop 0
	v_cndmask_b32_e64 v0, 0, 1, s[2:3]
	v_add_u32_e32 v5, v5, v0
.LBB105_982:
	s_or_b64 exec, exec, s[8:9]
	s_mov_b64 s[2:3], 0
	global_store_byte v[2:3], v5, off
.LBB105_983:
	s_mov_b64 s[8:9], 0
.LBB105_984:
	s_and_b64 vcc, exec, s[8:9]
	s_cbranch_vccz .LBB105_991
; %bb.985:
	s_cmp_eq_u32 s17, 29
	s_mov_b64 s[2:3], -1
	s_cbranch_scc0 .LBB105_991
; %bb.986:
	v_lshlrev_b32_e32 v0, 16, v4
	v_trunc_f32_e32 v0, v0
	v_mul_f32_e32 v1, 0x2f800000, v0
	v_floor_f32_e32 v5, v1
	v_fmamk_f32 v0, v5, 0xcf800000, v0
	v_cvt_u32_f32_e32 v1, v5
	v_cvt_u32_f32_e32 v0, v0
	s_mov_b64 s[2:3], 0
	s_mov_b64 s[8:9], 0
	global_store_dwordx2 v[2:3], v[0:1], off
	s_branch .LBB105_992
.LBB105_987:
	s_or_b64 exec, exec, s[6:7]
	s_and_saveexec_b64 s[2:3], s[54:55]
	s_cbranch_execnz .LBB105_1050
.LBB105_988:
	s_or_b64 exec, exec, s[2:3]
	s_and_saveexec_b64 s[2:3], s[10:11]
	s_xor_b64 s[2:3], exec, s[2:3]
	s_cbranch_execz .LBB105_1051
.LBB105_989:
	v_and_b32_e32 v0, 0x7fff, v4
	v_cmp_ne_u16_e32 vcc, 0, v0
	s_nop 1
	v_cndmask_b32_e64 v0, 0, 1, vcc
	global_store_byte v[2:3], v0, off
	s_or_b64 exec, exec, s[2:3]
	s_and_saveexec_b64 s[2:3], s[8:9]
	s_xor_b64 s[2:3], exec, s[2:3]
	s_cbranch_execz .LBB105_1089
	s_branch .LBB105_1052
.LBB105_990:
	s_mov_b64 s[8:9], -1
	s_mov_b64 s[2:3], s[54:55]
	s_branch .LBB105_1049
.LBB105_991:
	s_mov_b64 s[8:9], 0
.LBB105_992:
	s_and_b64 vcc, exec, s[8:9]
	s_cbranch_vccz .LBB105_1007
; %bb.993:
	s_cmp_lt_i32 s17, 27
	s_mov_b64 s[8:9], -1
	s_cbranch_scc1 .LBB105_999
; %bb.994:
	s_cmp_gt_i32 s17, 27
	s_cbranch_scc0 .LBB105_996
; %bb.995:
	v_lshlrev_b32_e32 v0, 16, v4
	v_cvt_u32_f32_e32 v0, v0
	s_mov_b64 s[8:9], 0
	global_store_dword v[2:3], v0, off
.LBB105_996:
	s_andn2_b64 vcc, exec, s[8:9]
	s_cbranch_vccnz .LBB105_998
; %bb.997:
	v_lshlrev_b32_e32 v0, 16, v4
	v_cvt_u32_f32_e32 v0, v0
	global_store_short v[2:3], v0, off
.LBB105_998:
	s_mov_b64 s[8:9], 0
.LBB105_999:
	s_andn2_b64 vcc, exec, s[8:9]
	s_cbranch_vccnz .LBB105_1007
; %bb.1000:
	v_lshlrev_b32_e32 v5, 16, v4
	v_and_b32_e32 v1, 0x7fffffff, v5
	s_mov_b32 s8, 0x43800000
	v_cmp_gt_u32_e32 vcc, s8, v1
	v_mov_b32_e32 v6, 0x80
	s_and_saveexec_b64 s[8:9], vcc
	s_cbranch_execz .LBB105_1006
; %bb.1001:
	s_mov_b32 s10, 0x3bffffff
	v_and_b32_e32 v0, 0xffff, v4
	v_cmp_lt_u32_e32 vcc, s10, v1
	s_mov_b64 s[10:11], 0
                                        ; implicit-def: $vgpr1
	s_and_saveexec_b64 s[12:13], vcc
	s_xor_b64 s[12:13], exec, s[12:13]
	s_cbranch_execz .LBB105_1160
; %bb.1002:
	v_bfe_u32 v1, v0, 4, 1
	s_mov_b32 s14, 0x487ffff
	v_add3_u32 v1, v5, v1, s14
	s_mov_b64 s[10:11], exec
	v_lshrrev_b32_e32 v1, 20, v1
                                        ; implicit-def: $vgpr5
	s_andn2_saveexec_b64 s[12:13], s[12:13]
	s_cbranch_execnz .LBB105_1161
.LBB105_1003:
	s_or_b64 exec, exec, s[12:13]
	v_mov_b32_e32 v6, 0
	s_and_saveexec_b64 s[12:13], s[10:11]
.LBB105_1004:
	v_lshrrev_b32_e32 v0, 8, v0
	s_movk_i32 s10, 0x80
	v_and_or_b32 v6, v0, s10, v1
.LBB105_1005:
	s_or_b64 exec, exec, s[12:13]
.LBB105_1006:
	s_or_b64 exec, exec, s[8:9]
	global_store_byte v[2:3], v6, off
.LBB105_1007:
	s_mov_b64 s[10:11], 0
.LBB105_1008:
	s_mov_b64 s[8:9], 0
	s_and_b64 vcc, exec, s[10:11]
	s_cbranch_vccz .LBB105_1048
; %bb.1009:
	s_cmp_gt_i32 s17, 22
	s_mov_b64 s[10:11], -1
	s_cbranch_scc0 .LBB105_1041
; %bb.1010:
	s_cmp_lt_i32 s17, 24
	s_cbranch_scc1 .LBB105_1030
; %bb.1011:
	s_cmp_gt_i32 s17, 24
	s_cbranch_scc0 .LBB105_1019
; %bb.1012:
	v_lshlrev_b32_e32 v5, 16, v4
	v_and_b32_e32 v1, 0x7fffffff, v5
	s_mov_b32 s10, 0x47800000
	v_cmp_gt_u32_e32 vcc, s10, v1
	v_mov_b32_e32 v6, 0x80
	s_and_saveexec_b64 s[10:11], vcc
	s_cbranch_execz .LBB105_1018
; %bb.1013:
	s_mov_b32 s12, 0x37ffffff
	v_and_b32_e32 v0, 0xffff, v4
	v_cmp_lt_u32_e32 vcc, s12, v1
	s_mov_b64 s[12:13], 0
                                        ; implicit-def: $vgpr1
	s_and_saveexec_b64 s[14:15], vcc
	s_xor_b64 s[14:15], exec, s[14:15]
	s_cbranch_execz .LBB105_1284
; %bb.1014:
	v_bfe_u32 v1, v0, 5, 1
	s_mov_b32 s18, 0x88fffff
	v_add3_u32 v1, v5, v1, s18
	s_mov_b64 s[12:13], exec
	v_lshrrev_b32_e32 v1, 21, v1
                                        ; implicit-def: $vgpr5
	s_andn2_saveexec_b64 s[14:15], s[14:15]
	s_cbranch_execnz .LBB105_1285
.LBB105_1015:
	s_or_b64 exec, exec, s[14:15]
	v_mov_b32_e32 v6, 0
	s_and_saveexec_b64 s[14:15], s[12:13]
.LBB105_1016:
	v_lshrrev_b32_e32 v0, 8, v0
	s_movk_i32 s12, 0x80
	v_and_or_b32 v6, v0, s12, v1
.LBB105_1017:
	s_or_b64 exec, exec, s[14:15]
.LBB105_1018:
	s_or_b64 exec, exec, s[10:11]
	s_mov_b64 s[10:11], 0
	global_store_byte v[2:3], v6, off
.LBB105_1019:
	s_and_b64 vcc, exec, s[10:11]
	s_cbranch_vccz .LBB105_1029
; %bb.1020:
	v_lshlrev_b32_e32 v5, 16, v4
	v_and_b32_e32 v6, 0x7fffffff, v5
	s_mov_b32 s10, 0x43f00000
	v_and_b32_e32 v0, 0xffff, v4
	v_cmp_gt_u32_e32 vcc, s10, v6
                                        ; implicit-def: $vgpr1
	s_and_saveexec_b64 s[10:11], vcc
	s_xor_b64 s[10:11], exec, s[10:11]
	s_cbranch_execz .LBB105_1026
; %bb.1021:
	s_mov_b32 s12, 0x3c7fffff
	v_cmp_lt_u32_e32 vcc, s12, v6
                                        ; implicit-def: $vgpr1
	s_and_saveexec_b64 s[12:13], vcc
	s_xor_b64 s[12:13], exec, s[12:13]
; %bb.1022:
	v_bfe_u32 v1, v0, 4, 1
	s_mov_b32 s14, 0x407ffff
	v_add3_u32 v1, v5, v1, s14
	v_lshrrev_b32_e32 v5, 20, v1
	v_and_b32_e32 v1, 0xff00000, v1
	s_mov_b32 s14, 0x7f00000
	v_mov_b32_e32 v6, 0x7e
	v_cmp_ne_u32_e32 vcc, s14, v1
	s_nop 1
	v_cndmask_b32_e32 v1, v6, v5, vcc
                                        ; implicit-def: $vgpr5
; %bb.1023:
	s_andn2_saveexec_b64 s[12:13], s[12:13]
; %bb.1024:
	s_mov_b32 s14, 0x46800000
	v_add_f32_e64 v1, |v5|, s14
; %bb.1025:
	s_or_b64 exec, exec, s[12:13]
                                        ; implicit-def: $vgpr6
.LBB105_1026:
	s_andn2_saveexec_b64 s[10:11], s[10:11]
; %bb.1027:
	s_mov_b32 s12, 0x7f800000
	v_mov_b32_e32 v1, 0x7e
	v_mov_b32_e32 v5, 0x7f
	v_cmp_lt_u32_e32 vcc, s12, v6
	s_nop 1
	v_cndmask_b32_e32 v1, v1, v5, vcc
; %bb.1028:
	s_or_b64 exec, exec, s[10:11]
	v_lshrrev_b32_e32 v0, 8, v0
	s_movk_i32 s10, 0x80
	v_and_or_b32 v0, v0, s10, v1
	global_store_byte v[2:3], v0, off
.LBB105_1029:
	s_mov_b64 s[10:11], 0
.LBB105_1030:
	s_andn2_b64 vcc, exec, s[10:11]
	s_cbranch_vccnz .LBB105_1040
; %bb.1031:
	v_lshlrev_b32_e32 v5, 16, v4
	v_and_b32_e32 v6, 0x7fffffff, v5
	s_mov_b32 s10, 0x47800000
	v_and_b32_e32 v0, 0xffff, v4
	v_cmp_gt_u32_e32 vcc, s10, v6
                                        ; implicit-def: $vgpr1
	s_and_saveexec_b64 s[10:11], vcc
	s_xor_b64 s[10:11], exec, s[10:11]
	s_cbranch_execz .LBB105_1037
; %bb.1032:
	s_mov_b32 s12, 0x387fffff
	v_cmp_lt_u32_e32 vcc, s12, v6
                                        ; implicit-def: $vgpr1
	s_and_saveexec_b64 s[12:13], vcc
	s_xor_b64 s[12:13], exec, s[12:13]
; %bb.1033:
	v_bfe_u32 v1, v0, 5, 1
	s_mov_b32 s14, 0x80fffff
	v_add3_u32 v1, v5, v1, s14
	v_lshrrev_b32_e32 v1, 21, v1
                                        ; implicit-def: $vgpr5
; %bb.1034:
	s_andn2_saveexec_b64 s[12:13], s[12:13]
; %bb.1035:
	s_mov_b32 s14, 0x43000000
	v_add_f32_e64 v1, |v5|, s14
; %bb.1036:
	s_or_b64 exec, exec, s[12:13]
                                        ; implicit-def: $vgpr6
.LBB105_1037:
	s_andn2_saveexec_b64 s[10:11], s[10:11]
; %bb.1038:
	s_mov_b32 s12, 0x7f800000
	v_mov_b32_e32 v1, 0x7c
	v_mov_b32_e32 v5, 0x7f
	v_cmp_lt_u32_e32 vcc, s12, v6
	s_nop 1
	v_cndmask_b32_e32 v1, v1, v5, vcc
; %bb.1039:
	s_or_b64 exec, exec, s[10:11]
	v_lshrrev_b32_e32 v0, 8, v0
	s_movk_i32 s10, 0x80
	v_and_or_b32 v0, v0, s10, v1
	global_store_byte v[2:3], v0, off
.LBB105_1040:
	s_mov_b64 s[10:11], 0
.LBB105_1041:
	s_andn2_b64 vcc, exec, s[10:11]
	s_mov_b64 s[10:11], 0
	s_cbranch_vccnz .LBB105_1049
; %bb.1042:
	s_cmp_gt_i32 s17, 14
	s_mov_b64 s[12:13], -1
	s_cbranch_scc0 .LBB105_1046
; %bb.1043:
	s_cmp_eq_u32 s17, 15
	s_mov_b64 s[2:3], -1
	s_cbranch_scc0 .LBB105_1045
; %bb.1044:
	global_store_short v[2:3], v4, off
	s_mov_b64 s[2:3], 0
.LBB105_1045:
	s_mov_b64 s[12:13], 0
.LBB105_1046:
	s_and_b64 vcc, exec, s[12:13]
	s_cbranch_vccz .LBB105_1049
; %bb.1047:
	s_cmp_lg_u32 s17, 11
	s_cselect_b64 s[12:13], -1, 0
	s_andn2_b64 s[2:3], s[2:3], exec
	s_and_b64 s[12:13], s[12:13], exec
	s_mov_b64 s[10:11], -1
	s_or_b64 s[2:3], s[2:3], s[12:13]
	s_branch .LBB105_1049
.LBB105_1048:
	s_mov_b64 s[10:11], 0
.LBB105_1049:
	s_andn2_b64 s[12:13], s[54:55], exec
	s_and_b64 s[2:3], s[2:3], exec
	s_and_b64 s[8:9], s[8:9], exec
	;; [unrolled: 1-line block ×3, first 2 shown]
	s_or_b64 s[54:55], s[12:13], s[2:3]
	s_or_b64 exec, exec, s[6:7]
	s_and_saveexec_b64 s[2:3], s[54:55]
	s_cbranch_execz .LBB105_988
.LBB105_1050:
	s_or_b64 s[4:5], s[4:5], exec
	s_andn2_b64 s[10:11], s[10:11], exec
	s_trap 2
	s_or_b64 exec, exec, s[2:3]
	s_and_saveexec_b64 s[2:3], s[10:11]
	s_xor_b64 s[2:3], exec, s[2:3]
	s_cbranch_execnz .LBB105_989
.LBB105_1051:
	s_or_b64 exec, exec, s[2:3]
	s_and_saveexec_b64 s[2:3], s[8:9]
	s_xor_b64 s[2:3], exec, s[2:3]
	s_cbranch_execz .LBB105_1089
.LBB105_1052:
	s_sext_i32_i16 s8, s16
	s_cmp_lt_i32 s8, 5
	s_mov_b64 s[6:7], -1
	s_cbranch_scc1 .LBB105_1073
; %bb.1053:
	s_cmp_lt_i32 s8, 8
	s_cbranch_scc1 .LBB105_1063
; %bb.1054:
	s_cmp_lt_i32 s8, 9
	s_cbranch_scc1 .LBB105_1060
; %bb.1055:
	s_cmp_gt_i32 s8, 9
	s_cbranch_scc0 .LBB105_1057
; %bb.1056:
	v_lshlrev_b32_e32 v0, 16, v4
	v_mov_b32_e32 v8, 0
	v_cvt_f64_f32_e32 v[6:7], v0
	v_mov_b32_e32 v9, v8
	s_mov_b64 s[6:7], 0
	global_store_dwordx4 v[2:3], v[6:9], off
.LBB105_1057:
	s_andn2_b64 vcc, exec, s[6:7]
	s_cbranch_vccnz .LBB105_1059
; %bb.1058:
	v_lshlrev_b32_e32 v0, 16, v4
	s_waitcnt vmcnt(0)
	v_mov_b32_e32 v1, 0
	global_store_dwordx2 v[2:3], v[0:1], off
.LBB105_1059:
	s_mov_b64 s[6:7], 0
.LBB105_1060:
	s_andn2_b64 vcc, exec, s[6:7]
	s_cbranch_vccnz .LBB105_1062
; %bb.1061:
	v_lshlrev_b32_e32 v0, 16, v4
	v_cvt_f16_f32_e32 v0, v0
	global_store_dword v[2:3], v0, off
.LBB105_1062:
	s_mov_b64 s[6:7], 0
.LBB105_1063:
	s_andn2_b64 vcc, exec, s[6:7]
	s_cbranch_vccnz .LBB105_1072
; %bb.1064:
	s_sext_i32_i16 s8, s16
	s_cmp_lt_i32 s8, 6
	s_mov_b64 s[6:7], -1
	s_cbranch_scc1 .LBB105_1070
; %bb.1065:
	s_cmp_gt_i32 s8, 6
	s_cbranch_scc0 .LBB105_1067
; %bb.1066:
	v_lshlrev_b32_e32 v0, 16, v4
	s_waitcnt vmcnt(0)
	v_cvt_f64_f32_e32 v[0:1], v0
	s_mov_b64 s[6:7], 0
	global_store_dwordx2 v[2:3], v[0:1], off
.LBB105_1067:
	s_andn2_b64 vcc, exec, s[6:7]
	s_cbranch_vccnz .LBB105_1069
; %bb.1068:
	v_lshlrev_b32_e32 v0, 16, v4
	global_store_dword v[2:3], v0, off
.LBB105_1069:
	s_mov_b64 s[6:7], 0
.LBB105_1070:
	s_andn2_b64 vcc, exec, s[6:7]
	s_cbranch_vccnz .LBB105_1072
; %bb.1071:
	v_lshlrev_b32_e32 v0, 16, v4
	v_cvt_f16_f32_e32 v0, v0
	global_store_short v[2:3], v0, off
.LBB105_1072:
	s_mov_b64 s[6:7], 0
.LBB105_1073:
	s_andn2_b64 vcc, exec, s[6:7]
	s_cbranch_vccnz .LBB105_1089
; %bb.1074:
	s_sext_i32_i16 s8, s16
	s_cmp_lt_i32 s8, 2
	s_mov_b64 s[6:7], -1
	s_cbranch_scc1 .LBB105_1084
; %bb.1075:
	s_cmp_lt_i32 s8, 3
	s_cbranch_scc1 .LBB105_1081
; %bb.1076:
	s_cmp_gt_i32 s8, 3
	s_cbranch_scc0 .LBB105_1078
; %bb.1077:
	v_lshlrev_b32_e32 v0, 16, v4
	v_trunc_f32_e32 v0, v0
	s_mov_b32 s6, 0x2f800000
	s_waitcnt vmcnt(0)
	v_mul_f32_e64 v1, |v0|, s6
	v_floor_f32_e32 v1, v1
	s_mov_b32 s6, 0xcf800000
	v_cvt_u32_f32_e32 v5, v1
	v_fma_f32 v1, v1, s6, |v0|
	v_cvt_u32_f32_e32 v1, v1
	v_ashrrev_i32_e32 v6, 31, v0
	v_xor_b32_e32 v5, v5, v6
	s_mov_b64 s[6:7], 0
	v_xor_b32_e32 v0, v1, v6
	v_sub_co_u32_e32 v0, vcc, v0, v6
	s_nop 1
	v_subb_co_u32_e32 v1, vcc, v5, v6, vcc
	global_store_dwordx2 v[2:3], v[0:1], off
.LBB105_1078:
	s_andn2_b64 vcc, exec, s[6:7]
	s_cbranch_vccnz .LBB105_1080
; %bb.1079:
	v_lshlrev_b32_e32 v0, 16, v4
	v_cvt_i32_f32_e32 v0, v0
	global_store_dword v[2:3], v0, off
.LBB105_1080:
	s_mov_b64 s[6:7], 0
.LBB105_1081:
	s_andn2_b64 vcc, exec, s[6:7]
	s_cbranch_vccnz .LBB105_1083
; %bb.1082:
	v_lshlrev_b32_e32 v0, 16, v4
	v_cvt_i32_f32_e32 v0, v0
	global_store_short v[2:3], v0, off
.LBB105_1083:
	s_mov_b64 s[6:7], 0
.LBB105_1084:
	s_andn2_b64 vcc, exec, s[6:7]
	s_cbranch_vccnz .LBB105_1089
; %bb.1085:
	s_sext_i32_i16 s6, s16
	s_cmp_gt_i32 s6, 0
	s_mov_b64 s[6:7], -1
	s_cbranch_scc0 .LBB105_1087
; %bb.1086:
	v_lshlrev_b32_e32 v0, 16, v4
	v_cvt_i32_f32_e32 v0, v0
	s_mov_b64 s[6:7], 0
	global_store_byte v[2:3], v0, off
.LBB105_1087:
	s_andn2_b64 vcc, exec, s[6:7]
	s_cbranch_vccnz .LBB105_1089
; %bb.1088:
	v_lshlrev_b32_e32 v0, 16, v4
	v_trunc_f32_e32 v0, v0
	s_mov_b32 s6, 0x2f800000
	s_waitcnt vmcnt(0)
	v_mul_f32_e64 v1, |v0|, s6
	v_floor_f32_e32 v1, v1
	s_mov_b32 s6, 0xcf800000
	v_fma_f32 v1, v1, s6, |v0|
	v_cvt_u32_f32_e32 v1, v1
	v_ashrrev_i32_e32 v0, 31, v0
	v_xor_b32_e32 v1, v1, v0
	v_sub_u32_e32 v0, v1, v0
	global_store_byte v[2:3], v0, off
.LBB105_1089:
	s_or_b64 exec, exec, s[2:3]
	s_waitcnt lgkmcnt(0)
	s_and_b64 s[24:25], s[4:5], exec
                                        ; implicit-def: $vgpr16
                                        ; implicit-def: $vgpr8
.LBB105_1090:
	s_or_saveexec_b64 s[26:27], s[44:45]
	s_mov_b64 s[6:7], 0
                                        ; implicit-def: $vgpr0_vgpr1
                                        ; implicit-def: $sgpr14
                                        ; implicit-def: $vgpr2
	s_xor_b64 exec, exec, s[26:27]
	s_cbranch_execz .LBB105_2093
; %bb.1091:
	v_cndmask_b32_e64 v0, 0, 1, s[42:43]
	v_cmp_ne_u32_e64 s[2:3], 1, v0
	s_andn2_b64 vcc, exec, s[42:43]
	s_cbranch_vccnz .LBB105_1097
; %bb.1092:
	s_cmp_lg_u32 s33, 0
	s_mov_b32 s36, 0
	s_cbranch_scc0 .LBB105_1098
; %bb.1093:
	s_min_u32 s37, s72, 15
	s_add_i32 s37, s37, 1
	s_cmp_eq_u32 s72, 2
	s_cbranch_scc1 .LBB105_1099
; %bb.1094:
	s_and_b32 s36, s37, 28
	s_add_u32 s28, s34, 0xc4
	s_addc_u32 s29, s35, 0
	s_mov_b32 s38, 0
	v_mov_b32_e32 v6, 0
	v_mov_b32_e32 v14, 0
	s_mov_b64 s[30:31], s[34:35]
	v_mov_b32_e32 v0, v8
.LBB105_1095:                           ; =>This Inner Loop Header: Depth=1
	s_load_dwordx8 s[12:19], s[30:31], 0x4
	s_load_dwordx4 s[20:23], s[30:31], 0x24
	s_load_dwordx8 s[4:11], s[28:29], 0x0
	s_add_u32 s30, s30, 48
	s_addc_u32 s31, s31, 0
	s_waitcnt vmcnt(0) lgkmcnt(0)
	v_mul_hi_u32 v1, s13, v0
	v_add_u32_e32 v1, v0, v1
	v_lshrrev_b32_e32 v1, s14, v1
	v_mul_lo_u32 v2, v1, s12
	v_mul_hi_u32 v3, s16, v1
	v_sub_u32_e32 v0, v0, v2
	v_add_u32_e32 v2, v1, v3
	v_lshrrev_b32_e32 v2, s17, v2
	v_mul_lo_u32 v4, v2, s15
	v_mul_hi_u32 v5, s19, v2
	v_sub_u32_e32 v1, v1, v4
	v_add_u32_e32 v4, v2, v5
	v_mul_lo_u32 v3, v0, s5
	v_mul_lo_u32 v0, v0, s4
	;; [unrolled: 1-line block ×4, first 2 shown]
	v_lshrrev_b32_e32 v4, s20, v4
	v_add3_u32 v1, v0, v6, v1
	v_add3_u32 v3, v3, v14, v5
	v_mul_lo_u32 v0, v4, s18
	v_mul_hi_u32 v5, s22, v4
	v_sub_u32_e32 v0, v2, v0
	v_add_u32_e32 v2, v4, v5
	v_mul_lo_u32 v5, v0, s8
	v_mul_lo_u32 v6, v0, s9
	v_lshrrev_b32_e32 v0, s23, v2
	s_add_i32 s38, s38, 4
	v_mul_lo_u32 v2, v0, s21
	s_add_u32 s28, s28, 32
	v_sub_u32_e32 v2, v4, v2
	s_addc_u32 s29, s29, 0
	v_mul_lo_u32 v4, v2, s10
	v_mul_lo_u32 v2, v2, s11
	s_cmp_lg_u32 s36, s38
	v_add3_u32 v14, v6, v3, v2
	v_add3_u32 v6, v5, v1, v4
	s_cbranch_scc1 .LBB105_1095
; %bb.1096:
	v_mov_b32_e32 v1, v14
	s_and_b32 s8, s37, 3
	s_cmp_eq_u32 s8, 0
	s_cbranch_scc0 .LBB105_1100
	s_branch .LBB105_1102
.LBB105_1097:
                                        ; implicit-def: $vgpr14
                                        ; implicit-def: $vgpr6
	s_branch .LBB105_1103
.LBB105_1098:
	v_mov_b32_e32 v14, 0
	v_mov_b32_e32 v6, 0
	s_branch .LBB105_1102
.LBB105_1099:
	v_mov_b32_e32 v6, 0
                                        ; implicit-def: $vgpr14
	s_waitcnt vmcnt(0)
	v_mov_b32_e32 v1, v6
	v_mov_b32_e32 v0, v8
	s_and_b32 s8, s37, 3
	s_cmp_eq_u32 s8, 0
	s_cbranch_scc1 .LBB105_1102
.LBB105_1100:
	s_lshl_b32 s4, s36, 3
	s_add_u32 s4, s34, s4
	s_addc_u32 s5, s35, 0
	s_add_u32 s4, s4, 0xc4
	s_addc_u32 s5, s5, 0
	s_mul_i32 s6, s36, 12
	s_add_u32 s6, s34, s6
	s_addc_u32 s7, s35, 0
.LBB105_1101:                           ; =>This Inner Loop Header: Depth=1
	s_load_dwordx2 s[10:11], s[6:7], 0x4
	s_load_dword s9, s[6:7], 0xc
	s_load_dwordx2 s[12:13], s[4:5], 0x0
	v_mov_b32_e32 v2, v1
	s_add_u32 s6, s6, 12
	s_waitcnt lgkmcnt(0)
	v_mul_hi_u32 v1, s11, v0
	v_add_u32_e32 v1, v0, v1
	v_lshrrev_b32_e32 v1, s9, v1
	s_addc_u32 s7, s7, 0
	v_mul_lo_u32 v3, v1, s10
	s_add_u32 s4, s4, 8
	v_sub_u32_e32 v3, v0, v3
	s_addc_u32 s5, s5, 0
	s_add_i32 s8, s8, -1
	v_mad_u64_u32 v[14:15], s[10:11], v3, s13, v[2:3]
	s_cmp_lg_u32 s8, 0
	v_mov_b32_e32 v0, v1
	v_mad_u64_u32 v[6:7], s[10:11], v3, s12, v[6:7]
	v_mov_b32_e32 v1, v14
	s_cbranch_scc1 .LBB105_1101
.LBB105_1102:
	s_cbranch_execnz .LBB105_1105
.LBB105_1103:
	s_load_dwordx4 s[4:7], s[34:35], 0x4
	s_load_dwordx2 s[8:9], s[34:35], 0xc4
	s_cmp_lt_u32 s33, 2
	s_waitcnt lgkmcnt(0)
	v_mul_hi_u32 v0, s5, v8
	v_add_u32_e32 v0, v8, v0
	v_lshrrev_b32_e32 v0, s6, v0
	s_waitcnt vmcnt(0)
	v_mul_lo_u32 v1, v0, s4
	v_sub_u32_e32 v1, v8, v1
	v_mul_lo_u32 v14, v1, s9
	v_mul_lo_u32 v6, v1, s8
	s_cbranch_scc1 .LBB105_1105
; %bb.1104:
	s_load_dwordx4 s[4:7], s[34:35], 0x10
	s_load_dwordx2 s[8:9], s[34:35], 0xcc
	s_waitcnt lgkmcnt(0)
	v_mul_hi_u32 v1, s5, v0
	v_add_u32_e32 v1, v0, v1
	v_lshrrev_b32_e32 v1, s6, v1
	v_mul_lo_u32 v1, v1, s4
	v_sub_u32_e32 v0, v0, v1
	v_mad_u64_u32 v[6:7], s[4:5], v0, s8, v[6:7]
	v_mad_u64_u32 v[14:15], s[4:5], v0, s9, v[14:15]
.LBB105_1105:
	s_and_b64 vcc, exec, s[2:3]
	v_add_u32_e32 v0, 0x80, v8
	s_cbranch_vccnz .LBB105_1111
; %bb.1106:
	s_cmp_lg_u32 s33, 0
	s_mov_b32 s36, 0
	s_cbranch_scc0 .LBB105_1112
; %bb.1107:
	s_min_u32 s37, s72, 15
	s_add_i32 s37, s37, 1
	s_cmp_eq_u32 s72, 2
	s_cbranch_scc1 .LBB105_1113
; %bb.1108:
	s_and_b32 s36, s37, 28
	s_add_u32 s28, s34, 0xc4
	s_addc_u32 s29, s35, 0
	s_mov_b32 s38, 0
	v_mov_b32_e32 v4, 0
	v_mov_b32_e32 v12, 0
	s_mov_b64 s[30:31], s[34:35]
	v_mov_b32_e32 v2, v0
.LBB105_1109:                           ; =>This Inner Loop Header: Depth=1
	s_load_dwordx8 s[12:19], s[30:31], 0x4
	s_load_dwordx4 s[20:23], s[30:31], 0x24
	s_load_dwordx8 s[4:11], s[28:29], 0x0
	s_add_u32 s30, s30, 48
	s_addc_u32 s31, s31, 0
	s_waitcnt vmcnt(0) lgkmcnt(0)
	v_mul_hi_u32 v1, s13, v2
	v_add_u32_e32 v1, v2, v1
	v_lshrrev_b32_e32 v1, s14, v1
	v_mul_lo_u32 v3, v1, s12
	v_mul_hi_u32 v5, s16, v1
	v_sub_u32_e32 v2, v2, v3
	v_add_u32_e32 v3, v1, v5
	v_lshrrev_b32_e32 v3, s17, v3
	v_mul_lo_u32 v7, v3, s15
	v_mul_hi_u32 v9, s19, v3
	v_sub_u32_e32 v1, v1, v7
	v_add_u32_e32 v7, v3, v9
	v_mul_lo_u32 v5, v2, s5
	v_mul_lo_u32 v2, v2, s4
	;; [unrolled: 1-line block ×4, first 2 shown]
	v_lshrrev_b32_e32 v7, s20, v7
	v_add3_u32 v1, v2, v4, v1
	v_add3_u32 v4, v5, v12, v9
	v_mul_lo_u32 v2, v7, s18
	v_mul_hi_u32 v5, s22, v7
	v_sub_u32_e32 v2, v3, v2
	v_add_u32_e32 v3, v7, v5
	v_mul_lo_u32 v5, v2, s8
	v_mul_lo_u32 v9, v2, s9
	v_lshrrev_b32_e32 v2, s23, v3
	s_add_i32 s38, s38, 4
	v_mul_lo_u32 v3, v2, s21
	s_add_u32 s28, s28, 32
	v_sub_u32_e32 v3, v7, v3
	s_addc_u32 s29, s29, 0
	v_mul_lo_u32 v7, v3, s10
	v_mul_lo_u32 v3, v3, s11
	s_cmp_lg_u32 s36, s38
	v_add3_u32 v12, v9, v4, v3
	v_add3_u32 v4, v5, v1, v7
	s_cbranch_scc1 .LBB105_1109
; %bb.1110:
	v_mov_b32_e32 v1, v12
	s_and_b32 s8, s37, 3
	s_cmp_eq_u32 s8, 0
	s_cbranch_scc0 .LBB105_1114
	s_branch .LBB105_1116
.LBB105_1111:
                                        ; implicit-def: $vgpr12
                                        ; implicit-def: $vgpr4
	s_branch .LBB105_1117
.LBB105_1112:
	v_mov_b32_e32 v12, 0
	v_mov_b32_e32 v4, 0
	s_branch .LBB105_1116
.LBB105_1113:
	v_mov_b32_e32 v4, 0
                                        ; implicit-def: $vgpr12
	s_waitcnt vmcnt(0)
	v_mov_b32_e32 v1, v4
	v_mov_b32_e32 v2, v0
	s_and_b32 s8, s37, 3
	s_cmp_eq_u32 s8, 0
	s_cbranch_scc1 .LBB105_1116
.LBB105_1114:
	s_lshl_b32 s4, s36, 3
	s_add_u32 s4, s34, s4
	s_addc_u32 s5, s35, 0
	s_add_u32 s4, s4, 0xc4
	s_addc_u32 s5, s5, 0
	s_mul_i32 s6, s36, 12
	s_add_u32 s6, s34, s6
	s_addc_u32 s7, s35, 0
.LBB105_1115:                           ; =>This Inner Loop Header: Depth=1
	s_load_dwordx2 s[10:11], s[6:7], 0x4
	s_load_dword s9, s[6:7], 0xc
	s_load_dwordx2 s[12:13], s[4:5], 0x0
	v_mov_b32_e32 v10, v1
	s_add_u32 s6, s6, 12
	s_waitcnt lgkmcnt(0)
	v_mul_hi_u32 v1, s11, v2
	v_add_u32_e32 v1, v2, v1
	v_lshrrev_b32_e32 v1, s9, v1
	s_addc_u32 s7, s7, 0
	v_mul_lo_u32 v3, v1, s10
	s_add_u32 s4, s4, 8
	v_sub_u32_e32 v3, v2, v3
	s_addc_u32 s5, s5, 0
	s_add_i32 s8, s8, -1
	v_mad_u64_u32 v[12:13], s[10:11], v3, s13, v[10:11]
	s_cmp_lg_u32 s8, 0
	v_mov_b32_e32 v2, v1
	v_mad_u64_u32 v[4:5], s[10:11], v3, s12, v[4:5]
	v_mov_b32_e32 v1, v12
	s_cbranch_scc1 .LBB105_1115
.LBB105_1116:
	s_cbranch_execnz .LBB105_1119
.LBB105_1117:
	s_load_dwordx4 s[4:7], s[34:35], 0x4
	s_load_dwordx2 s[8:9], s[34:35], 0xc4
	s_cmp_lt_u32 s33, 2
	s_waitcnt vmcnt(0) lgkmcnt(0)
	v_mul_hi_u32 v1, s5, v0
	v_add_u32_e32 v1, v0, v1
	v_lshrrev_b32_e32 v1, s6, v1
	v_mul_lo_u32 v2, v1, s4
	v_sub_u32_e32 v0, v0, v2
	v_mul_lo_u32 v12, v0, s9
	v_mul_lo_u32 v4, v0, s8
	s_cbranch_scc1 .LBB105_1119
; %bb.1118:
	s_load_dwordx4 s[4:7], s[34:35], 0x10
	s_load_dwordx2 s[8:9], s[34:35], 0xcc
	s_waitcnt lgkmcnt(0)
	v_mul_hi_u32 v0, s5, v1
	v_add_u32_e32 v0, v1, v0
	v_lshrrev_b32_e32 v0, s6, v0
	v_mul_lo_u32 v0, v0, s4
	v_sub_u32_e32 v0, v1, v0
	v_mad_u64_u32 v[4:5], s[4:5], v0, s8, v[4:5]
	v_mad_u64_u32 v[12:13], s[4:5], v0, s9, v[12:13]
.LBB105_1119:
	s_and_b64 vcc, exec, s[2:3]
	v_add_u32_e32 v0, 0x100, v8
	s_cbranch_vccnz .LBB105_1125
; %bb.1120:
	s_cmp_lg_u32 s33, 0
	s_mov_b32 s36, 0
	s_cbranch_scc0 .LBB105_1126
; %bb.1121:
	s_min_u32 s37, s72, 15
	s_add_i32 s37, s37, 1
	s_cmp_eq_u32 s72, 2
	s_cbranch_scc1 .LBB105_1127
; %bb.1122:
	s_and_b32 s36, s37, 28
	s_add_u32 s28, s34, 0xc4
	s_addc_u32 s29, s35, 0
	s_mov_b32 s38, 0
	v_mov_b32_e32 v2, 0
	v_mov_b32_e32 v10, 0
	s_mov_b64 s[30:31], s[34:35]
	v_mov_b32_e32 v5, v0
.LBB105_1123:                           ; =>This Inner Loop Header: Depth=1
	s_load_dwordx8 s[12:19], s[30:31], 0x4
	s_load_dwordx4 s[20:23], s[30:31], 0x24
	s_load_dwordx8 s[4:11], s[28:29], 0x0
	s_add_u32 s30, s30, 48
	s_addc_u32 s31, s31, 0
	s_waitcnt vmcnt(0) lgkmcnt(0)
	v_mul_hi_u32 v1, s13, v5
	v_add_u32_e32 v1, v5, v1
	v_lshrrev_b32_e32 v1, s14, v1
	v_mul_lo_u32 v3, v1, s12
	v_mul_hi_u32 v7, s16, v1
	v_sub_u32_e32 v3, v5, v3
	v_add_u32_e32 v5, v1, v7
	v_lshrrev_b32_e32 v5, s17, v5
	v_mul_lo_u32 v8, v5, s15
	v_mul_hi_u32 v9, s19, v5
	v_sub_u32_e32 v1, v1, v8
	v_add_u32_e32 v8, v5, v9
	v_mul_lo_u32 v7, v3, s5
	v_mul_lo_u32 v3, v3, s4
	;; [unrolled: 1-line block ×4, first 2 shown]
	v_lshrrev_b32_e32 v8, s20, v8
	v_add3_u32 v1, v3, v2, v1
	v_add3_u32 v2, v7, v10, v9
	v_mul_lo_u32 v3, v8, s18
	v_mul_hi_u32 v7, s22, v8
	v_sub_u32_e32 v3, v5, v3
	v_add_u32_e32 v5, v8, v7
	v_lshrrev_b32_e32 v5, s23, v5
	s_add_i32 s38, s38, 4
	v_mul_lo_u32 v9, v5, s21
	s_add_u32 s28, s28, 32
	v_sub_u32_e32 v8, v8, v9
	s_addc_u32 s29, s29, 0
	v_mul_lo_u32 v7, v3, s8
	v_mul_lo_u32 v3, v3, s9
	;; [unrolled: 1-line block ×4, first 2 shown]
	s_cmp_lg_u32 s36, s38
	v_add3_u32 v10, v3, v2, v8
	v_add3_u32 v2, v7, v1, v9
	s_cbranch_scc1 .LBB105_1123
; %bb.1124:
	v_mov_b32_e32 v1, v10
	s_and_b32 s8, s37, 3
	s_cmp_eq_u32 s8, 0
	s_cbranch_scc0 .LBB105_1128
	s_branch .LBB105_1130
.LBB105_1125:
                                        ; implicit-def: $vgpr10
                                        ; implicit-def: $vgpr2
	s_branch .LBB105_1131
.LBB105_1126:
	v_mov_b32_e32 v10, 0
	v_mov_b32_e32 v2, 0
	s_branch .LBB105_1130
.LBB105_1127:
	v_mov_b32_e32 v2, 0
                                        ; implicit-def: $vgpr10
	s_waitcnt vmcnt(0)
	v_mov_b32_e32 v1, v2
	v_mov_b32_e32 v5, v0
	s_and_b32 s8, s37, 3
	s_cmp_eq_u32 s8, 0
	s_cbranch_scc1 .LBB105_1130
.LBB105_1128:
	s_lshl_b32 s4, s36, 3
	s_add_u32 s4, s34, s4
	s_addc_u32 s5, s35, 0
	s_add_u32 s4, s4, 0xc4
	s_addc_u32 s5, s5, 0
	s_mul_i32 s6, s36, 12
	s_add_u32 s6, s34, s6
	s_addc_u32 s7, s35, 0
.LBB105_1129:                           ; =>This Inner Loop Header: Depth=1
	s_load_dwordx2 s[10:11], s[6:7], 0x4
	s_load_dword s9, s[6:7], 0xc
	s_load_dwordx2 s[12:13], s[4:5], 0x0
	v_mov_b32_e32 v8, v1
	s_add_u32 s6, s6, 12
	s_waitcnt lgkmcnt(0)
	v_mul_hi_u32 v1, s11, v5
	v_add_u32_e32 v1, v5, v1
	v_lshrrev_b32_e32 v1, s9, v1
	s_addc_u32 s7, s7, 0
	v_mul_lo_u32 v3, v1, s10
	s_add_u32 s4, s4, 8
	v_sub_u32_e32 v3, v5, v3
	s_addc_u32 s5, s5, 0
	s_add_i32 s8, s8, -1
	v_mad_u64_u32 v[10:11], s[10:11], v3, s13, v[8:9]
	s_cmp_lg_u32 s8, 0
	v_mov_b32_e32 v5, v1
	v_mad_u64_u32 v[2:3], s[10:11], v3, s12, v[2:3]
	v_mov_b32_e32 v1, v10
	s_cbranch_scc1 .LBB105_1129
.LBB105_1130:
	s_cbranch_execnz .LBB105_1133
.LBB105_1131:
	s_load_dwordx4 s[4:7], s[34:35], 0x4
	s_load_dwordx2 s[8:9], s[34:35], 0xc4
	s_cmp_lt_u32 s33, 2
	s_waitcnt vmcnt(0) lgkmcnt(0)
	v_mul_hi_u32 v1, s5, v0
	v_add_u32_e32 v1, v0, v1
	v_lshrrev_b32_e32 v1, s6, v1
	v_mul_lo_u32 v2, v1, s4
	v_sub_u32_e32 v0, v0, v2
	v_mul_lo_u32 v10, v0, s9
	v_mul_lo_u32 v2, v0, s8
	s_cbranch_scc1 .LBB105_1133
; %bb.1132:
	s_load_dwordx4 s[4:7], s[34:35], 0x10
	s_load_dwordx2 s[8:9], s[34:35], 0xcc
	s_waitcnt lgkmcnt(0)
	v_mul_hi_u32 v0, s5, v1
	v_add_u32_e32 v0, v1, v0
	v_lshrrev_b32_e32 v0, s6, v0
	v_mul_lo_u32 v0, v0, s4
	v_sub_u32_e32 v0, v1, v0
	v_mad_u64_u32 v[2:3], s[4:5], v0, s8, v[2:3]
	v_mad_u64_u32 v[10:11], s[4:5], v0, s9, v[10:11]
.LBB105_1133:
	s_and_b64 vcc, exec, s[2:3]
	s_cbranch_vccnz .LBB105_1139
; %bb.1134:
	s_cmp_lg_u32 s33, 0
	s_mov_b32 s30, 0
	s_cbranch_scc0 .LBB105_1140
; %bb.1135:
	s_min_u32 s31, s72, 15
	s_add_i32 s31, s31, 1
	s_cmp_eq_u32 s72, 2
	s_cbranch_scc1 .LBB105_1141
; %bb.1136:
	s_and_b32 s30, s31, 28
	s_add_u32 s2, s34, 0xc4
	s_addc_u32 s3, s35, 0
	s_mov_b32 s36, 0
	v_mov_b32_e32 v0, 0
	v_mov_b32_e32 v8, 0
	s_mov_b64 s[28:29], s[34:35]
	v_mov_b32_e32 v3, v16
.LBB105_1137:                           ; =>This Inner Loop Header: Depth=1
	s_load_dwordx8 s[12:19], s[28:29], 0x4
	s_load_dwordx4 s[20:23], s[28:29], 0x24
	s_load_dwordx8 s[4:11], s[2:3], 0x0
	s_add_u32 s28, s28, 48
	s_addc_u32 s29, s29, 0
	s_waitcnt vmcnt(0) lgkmcnt(0)
	v_mul_hi_u32 v1, s13, v3
	v_add_u32_e32 v1, v3, v1
	v_lshrrev_b32_e32 v1, s14, v1
	v_mul_lo_u32 v5, v1, s12
	v_mul_hi_u32 v7, s16, v1
	v_sub_u32_e32 v3, v3, v5
	v_add_u32_e32 v5, v1, v7
	v_lshrrev_b32_e32 v5, s17, v5
	v_mul_lo_u32 v9, v5, s15
	v_mul_hi_u32 v11, s19, v5
	v_sub_u32_e32 v1, v1, v9
	v_add_u32_e32 v9, v5, v11
	v_mul_lo_u32 v7, v3, s5
	v_mul_lo_u32 v3, v3, s4
	;; [unrolled: 1-line block ×4, first 2 shown]
	v_lshrrev_b32_e32 v9, s20, v9
	v_add3_u32 v0, v3, v0, v1
	v_add3_u32 v1, v7, v8, v11
	v_mul_lo_u32 v3, v9, s18
	v_mul_hi_u32 v7, s22, v9
	v_sub_u32_e32 v3, v5, v3
	v_add_u32_e32 v5, v9, v7
	v_mul_lo_u32 v7, v3, s8
	v_mul_lo_u32 v8, v3, s9
	v_lshrrev_b32_e32 v3, s23, v5
	s_add_i32 s36, s36, 4
	v_mul_lo_u32 v5, v3, s21
	s_add_u32 s2, s2, 32
	v_sub_u32_e32 v5, v9, v5
	s_addc_u32 s3, s3, 0
	v_mul_lo_u32 v9, v5, s10
	v_mul_lo_u32 v5, v5, s11
	s_cmp_lg_u32 s30, s36
	v_add3_u32 v8, v8, v1, v5
	v_add3_u32 v0, v7, v0, v9
	s_cbranch_scc1 .LBB105_1137
; %bb.1138:
	v_mov_b32_e32 v1, v8
	s_and_b32 s6, s31, 3
	s_cmp_eq_u32 s6, 0
	s_cbranch_scc0 .LBB105_1142
	s_branch .LBB105_1144
.LBB105_1139:
                                        ; implicit-def: $vgpr8
                                        ; implicit-def: $vgpr0
	s_branch .LBB105_1145
.LBB105_1140:
	v_mov_b32_e32 v8, 0
	v_mov_b32_e32 v0, 0
	s_branch .LBB105_1144
.LBB105_1141:
	v_mov_b32_e32 v0, 0
                                        ; implicit-def: $vgpr8
	s_waitcnt vmcnt(0)
	v_mov_b32_e32 v1, v0
	v_mov_b32_e32 v3, v16
	s_and_b32 s6, s31, 3
	s_cmp_eq_u32 s6, 0
	s_cbranch_scc1 .LBB105_1144
.LBB105_1142:
	s_lshl_b32 s2, s30, 3
	s_add_u32 s2, s34, s2
	s_addc_u32 s3, s35, 0
	s_add_u32 s2, s2, 0xc4
	s_addc_u32 s3, s3, 0
	s_mul_i32 s4, s30, 12
	s_add_u32 s4, s34, s4
	s_addc_u32 s5, s35, 0
.LBB105_1143:                           ; =>This Inner Loop Header: Depth=1
	s_load_dwordx2 s[8:9], s[4:5], 0x4
	s_load_dword s7, s[4:5], 0xc
	s_load_dwordx2 s[10:11], s[2:3], 0x0
	v_mov_b32_e32 v8, v1
	s_add_u32 s4, s4, 12
	s_waitcnt lgkmcnt(0)
	v_mul_hi_u32 v1, s9, v3
	v_add_u32_e32 v1, v3, v1
	v_lshrrev_b32_e32 v1, s7, v1
	s_addc_u32 s5, s5, 0
	v_mul_lo_u32 v5, v1, s8
	s_add_u32 s2, s2, 8
	v_sub_u32_e32 v5, v3, v5
	s_addc_u32 s3, s3, 0
	s_add_i32 s6, s6, -1
	v_mov_b32_e32 v3, v1
	v_mad_u64_u32 v[8:9], s[8:9], v5, s11, v[8:9]
	v_mad_u64_u32 v[0:1], s[8:9], v5, s10, v[0:1]
	s_cmp_lg_u32 s6, 0
	v_mov_b32_e32 v1, v8
	s_cbranch_scc1 .LBB105_1143
.LBB105_1144:
	s_cbranch_execnz .LBB105_1147
.LBB105_1145:
	s_load_dwordx4 s[4:7], s[34:35], 0x4
	s_load_dwordx2 s[2:3], s[34:35], 0xc4
	s_cmp_lt_u32 s33, 2
	s_waitcnt lgkmcnt(0)
	v_mul_hi_u32 v0, s5, v16
	v_add_u32_e32 v0, v16, v0
	s_waitcnt vmcnt(0)
	v_lshrrev_b32_e32 v1, s6, v0
	v_mul_lo_u32 v0, v1, s4
	v_sub_u32_e32 v0, v16, v0
	v_mul_lo_u32 v8, v0, s3
	v_mul_lo_u32 v0, v0, s2
	s_cbranch_scc1 .LBB105_1147
; %bb.1146:
	s_load_dwordx4 s[4:7], s[34:35], 0x10
	s_load_dwordx2 s[2:3], s[34:35], 0xcc
	s_waitcnt lgkmcnt(0)
	v_mul_hi_u32 v3, s5, v1
	v_add_u32_e32 v3, v1, v3
	v_lshrrev_b32_e32 v3, s6, v3
	v_mul_lo_u32 v3, v3, s4
	v_sub_u32_e32 v3, v1, v3
	v_mad_u64_u32 v[0:1], s[4:5], v3, s2, v[0:1]
	v_mad_u64_u32 v[8:9], s[2:3], v3, s3, v[8:9]
.LBB105_1147:
	s_load_dword s16, s[0:1], 0x160
	s_load_dwordx4 s[4:7], s[34:35], 0x148
	v_mov_b32_e32 v15, 0
	s_waitcnt lgkmcnt(0)
	s_bfe_u32 s14, s16, 0x80010
	s_cmp_lt_i32 s14, 11
	v_lshl_add_u64 v[14:15], s[6:7], 0, v[14:15]
	s_cbranch_scc1 .LBB105_1154
; %bb.1148:
	s_and_b32 s15, 0xffff, s14
	s_cmp_gt_i32 s15, 25
	s_mov_b64 s[8:9], 0
	s_cbranch_scc0 .LBB105_1156
; %bb.1149:
	s_cmp_gt_i32 s15, 28
	s_cbranch_scc0 .LBB105_1157
; %bb.1150:
	s_cmp_gt_i32 s15, 43
	;; [unrolled: 3-line block ×3, first 2 shown]
	s_cbranch_scc0 .LBB105_1159
; %bb.1152:
	s_cmp_eq_u32 s15, 46
	s_mov_b64 s[2:3], 0
	s_cbranch_scc0 .LBB105_1162
; %bb.1153:
	global_load_dword v1, v[14:15], off
	s_mov_b64 s[0:1], 0
	s_mov_b64 s[10:11], -1
	s_branch .LBB105_1163
.LBB105_1154:
	s_mov_b64 s[10:11], 0
                                        ; implicit-def: $vgpr1
	s_mov_b64 s[2:3], s[24:25]
	s_cbranch_execnz .LBB105_1225
.LBB105_1155:
	s_andn2_b64 vcc, exec, s[10:11]
	s_cbranch_vccz .LBB105_1270
	s_branch .LBB105_2091
.LBB105_1156:
	s_mov_b64 s[10:11], 0
	s_mov_b64 s[0:1], 0
                                        ; implicit-def: $vgpr1
	s_cbranch_execnz .LBB105_1190
	s_branch .LBB105_1221
.LBB105_1157:
	s_mov_b64 s[10:11], 0
	s_mov_b64 s[0:1], 0
                                        ; implicit-def: $vgpr1
	s_cbranch_execz .LBB105_1189
	s_branch .LBB105_1172
.LBB105_1158:
	s_mov_b64 s[10:11], 0
	s_mov_b64 s[0:1], 0
                                        ; implicit-def: $vgpr1
	s_cbranch_execnz .LBB105_1168
	s_branch .LBB105_1171
.LBB105_1159:
	s_mov_b64 s[2:3], -1
	s_mov_b64 s[10:11], 0
	s_mov_b64 s[0:1], 0
                                        ; implicit-def: $vgpr1
	s_branch .LBB105_1163
.LBB105_1160:
	s_andn2_saveexec_b64 s[12:13], s[12:13]
	s_cbranch_execz .LBB105_1003
.LBB105_1161:
	s_mov_b32 s14, 0x46000000
	v_add_f32_e64 v1, |v5|, s14
	v_and_b32_e32 v1, 0xff, v1
	v_cmp_ne_u32_e32 vcc, 0, v1
	s_andn2_b64 s[10:11], s[10:11], exec
	s_and_b64 s[14:15], vcc, exec
	s_or_b64 s[10:11], s[10:11], s[14:15]
	s_or_b64 exec, exec, s[12:13]
	v_mov_b32_e32 v6, 0
	s_and_saveexec_b64 s[12:13], s[10:11]
	s_cbranch_execnz .LBB105_1004
	s_branch .LBB105_1005
.LBB105_1162:
	s_mov_b64 s[0:1], -1
                                        ; implicit-def: $vgpr1
	s_mov_b64 s[10:11], 0
.LBB105_1163:
	s_and_b64 vcc, exec, s[2:3]
	s_cbranch_vccz .LBB105_1166
; %bb.1164:
	s_cmp_eq_u32 s15, 44
	s_cbranch_scc0 .LBB105_1167
; %bb.1165:
	global_load_ubyte v1, v[14:15], off
	s_movk_i32 s2, 0xff
	v_mov_b32_e32 v3, 0x7f800001
	v_mov_b32_e32 v5, 0x400000
	;; [unrolled: 1-line block ×3, first 2 shown]
	s_mov_b64 s[0:1], 0
	s_mov_b64 s[10:11], -1
	s_waitcnt vmcnt(0)
	v_lshlrev_b32_e32 v9, 23, v1
	v_cmp_ne_u32_e32 vcc, s2, v1
	s_nop 1
	v_cndmask_b32_e32 v3, v3, v9, vcc
	v_cmp_ne_u32_e32 vcc, 0, v1
	s_nop 1
	v_cndmask_b32_e32 v1, v5, v3, vcc
	v_add_u32_e32 v3, 0x7fff, v1
	v_cmp_o_f32_e32 vcc, v1, v1
	s_nop 1
	v_cndmask_b32_sdwa v1, v7, v3, vcc dst_sel:DWORD dst_unused:UNUSED_PAD src0_sel:DWORD src1_sel:WORD_1
.LBB105_1166:
	s_branch .LBB105_1171
.LBB105_1167:
	s_mov_b64 s[0:1], -1
                                        ; implicit-def: $vgpr1
	s_branch .LBB105_1171
.LBB105_1168:
	s_cmp_eq_u32 s15, 29
	s_cbranch_scc0 .LBB105_1170
; %bb.1169:
	global_load_dwordx2 v[16:17], v[14:15], off
	s_movk_i32 s2, 0x7fff
	s_mov_b64 s[0:1], 0
	s_mov_b64 s[10:11], -1
	s_waitcnt vmcnt(0)
	v_ffbh_u32_e32 v1, v17
	v_min_u32_e32 v1, 32, v1
	v_lshlrev_b64 v[16:17], v1, v[16:17]
	v_min_u32_e32 v3, 1, v16
	v_or_b32_e32 v3, v17, v3
	v_cvt_f32_u32_e32 v3, v3
	v_sub_u32_e32 v1, 32, v1
	v_ldexp_f32 v1, v3, v1
	v_bfe_u32 v3, v1, 16, 1
	v_add3_u32 v1, v1, v3, s2
	v_lshrrev_b32_e32 v1, 16, v1
	s_branch .LBB105_1171
.LBB105_1170:
	s_mov_b64 s[0:1], -1
                                        ; implicit-def: $vgpr1
.LBB105_1171:
	s_branch .LBB105_1189
.LBB105_1172:
	s_cmp_lt_i32 s15, 27
	s_cbranch_scc1 .LBB105_1175
; %bb.1173:
	s_cmp_gt_i32 s15, 27
	s_cbranch_scc0 .LBB105_1176
; %bb.1174:
	global_load_dword v1, v[14:15], off
	s_movk_i32 s2, 0x7fff
	s_waitcnt vmcnt(0)
	v_cvt_f32_u32_e32 v1, v1
	v_bfe_u32 v3, v1, 16, 1
	v_add3_u32 v1, v1, v3, s2
	v_lshrrev_b32_e32 v1, 16, v1
	s_mov_b64 s[2:3], 0
	s_branch .LBB105_1177
.LBB105_1175:
	s_mov_b64 s[2:3], -1
                                        ; implicit-def: $vgpr1
	s_branch .LBB105_1180
.LBB105_1176:
	s_mov_b64 s[2:3], -1
                                        ; implicit-def: $vgpr1
.LBB105_1177:
	s_andn2_b64 vcc, exec, s[2:3]
	s_cbranch_vccnz .LBB105_1179
; %bb.1178:
	global_load_ushort v1, v[14:15], off
	s_movk_i32 s2, 0x7fff
	s_waitcnt vmcnt(0)
	v_cvt_f32_u32_e32 v1, v1
	v_bfe_u32 v3, v1, 16, 1
	v_add3_u32 v1, v1, v3, s2
	v_lshrrev_b32_e32 v1, 16, v1
.LBB105_1179:
	s_mov_b64 s[2:3], 0
.LBB105_1180:
	s_andn2_b64 vcc, exec, s[2:3]
	s_cbranch_vccnz .LBB105_1188
; %bb.1181:
	global_load_ubyte v1, v[14:15], off
	s_movk_i32 s2, 0x7f
	s_waitcnt vmcnt(0)
	v_cmp_lt_i16_e32 vcc, s2, v1
	s_mov_b64 s[2:3], 0
	s_and_saveexec_b64 s[10:11], vcc
	s_xor_b64 s[10:11], exec, s[10:11]
	s_cbranch_execz .LBB105_1201
; %bb.1182:
	s_movk_i32 s2, 0x80
	v_cmp_eq_u16_e32 vcc, s2, v1
	s_mov_b64 s[2:3], -1
	s_and_saveexec_b64 s[12:13], vcc
; %bb.1183:
	s_xor_b64 s[2:3], exec, -1
; %bb.1184:
	s_or_b64 exec, exec, s[12:13]
	s_and_b64 s[2:3], s[2:3], exec
	s_or_saveexec_b64 s[10:11], s[10:11]
	v_mov_b32_e32 v3, 0x7f800001
	s_xor_b64 exec, exec, s[10:11]
	s_cbranch_execnz .LBB105_1202
.LBB105_1185:
	s_or_b64 exec, exec, s[10:11]
	s_and_saveexec_b64 s[10:11], s[2:3]
	s_cbranch_execz .LBB105_1187
.LBB105_1186:
	v_lshlrev_b32_e32 v3, 24, v1
	v_and_b32_e32 v1, 0xffff, v1
	v_and_b32_e32 v5, 7, v1
	v_ffbh_u32_e32 v9, v5
	v_min_u32_e32 v9, 32, v9
	v_subrev_u32_e32 v11, 28, v9
	v_bfe_u32 v7, v1, 3, 4
	v_lshlrev_b32_e32 v1, v11, v1
	v_sub_u32_e32 v9, 29, v9
	v_and_b32_e32 v1, 7, v1
	v_cmp_eq_u32_e32 vcc, 0, v7
	v_and_b32_e32 v3, 0x80000000, v3
	s_nop 0
	v_cndmask_b32_e32 v7, v7, v9, vcc
	v_cndmask_b32_e32 v1, v5, v1, vcc
	v_mov_b32_e32 v5, 0x3b800000
	v_lshlrev_b32_e32 v1, 20, v1
	v_lshl_add_u32 v5, v7, 23, v5
	v_or3_b32 v3, v3, v5, v1
.LBB105_1187:
	s_or_b64 exec, exec, s[10:11]
	v_bfe_u32 v1, v3, 16, 1
	s_movk_i32 s2, 0x7fff
	v_add3_u32 v1, v3, v1, s2
	v_cmp_o_f32_e32 vcc, v3, v3
	v_mov_b32_e32 v3, 0x7fc0
	s_nop 0
	v_cndmask_b32_sdwa v1, v3, v1, vcc dst_sel:DWORD dst_unused:UNUSED_PAD src0_sel:DWORD src1_sel:WORD_1
.LBB105_1188:
	s_mov_b64 s[10:11], -1
.LBB105_1189:
	s_branch .LBB105_1221
.LBB105_1190:
	s_cmp_gt_i32 s15, 22
	s_cbranch_scc0 .LBB105_1200
; %bb.1191:
	s_cmp_lt_i32 s15, 24
	s_cbranch_scc1 .LBB105_1203
; %bb.1192:
	s_cmp_gt_i32 s15, 24
	s_cbranch_scc0 .LBB105_1204
; %bb.1193:
	global_load_ubyte v1, v[14:15], off
	s_movk_i32 s2, 0x7f
	s_waitcnt vmcnt(0)
	v_cmp_lt_i16_e32 vcc, s2, v1
	s_mov_b64 s[2:3], 0
	s_and_saveexec_b64 s[8:9], vcc
	s_xor_b64 s[8:9], exec, s[8:9]
	s_cbranch_execz .LBB105_1215
; %bb.1194:
	s_movk_i32 s2, 0x80
	v_cmp_eq_u16_e32 vcc, s2, v1
	s_mov_b64 s[2:3], -1
	s_and_saveexec_b64 s[10:11], vcc
; %bb.1195:
	s_xor_b64 s[2:3], exec, -1
; %bb.1196:
	s_or_b64 exec, exec, s[10:11]
	s_and_b64 s[2:3], s[2:3], exec
	s_or_saveexec_b64 s[8:9], s[8:9]
	v_mov_b32_e32 v3, 0x7f800001
	s_xor_b64 exec, exec, s[8:9]
	s_cbranch_execnz .LBB105_1216
.LBB105_1197:
	s_or_b64 exec, exec, s[8:9]
	s_and_saveexec_b64 s[8:9], s[2:3]
	s_cbranch_execz .LBB105_1199
.LBB105_1198:
	v_lshlrev_b32_e32 v3, 24, v1
	v_and_b32_e32 v1, 0xffff, v1
	v_and_b32_e32 v5, 3, v1
	v_ffbh_u32_e32 v9, v5
	v_min_u32_e32 v9, 32, v9
	v_subrev_u32_e32 v11, 29, v9
	v_bfe_u32 v7, v1, 2, 5
	v_lshlrev_b32_e32 v1, v11, v1
	v_sub_u32_e32 v9, 30, v9
	v_and_b32_e32 v1, 3, v1
	v_cmp_eq_u32_e32 vcc, 0, v7
	v_and_b32_e32 v3, 0x80000000, v3
	s_nop 0
	v_cndmask_b32_e32 v7, v7, v9, vcc
	v_cndmask_b32_e32 v1, v5, v1, vcc
	v_mov_b32_e32 v5, 0x37800000
	v_lshlrev_b32_e32 v1, 21, v1
	v_lshl_add_u32 v5, v7, 23, v5
	v_or3_b32 v3, v3, v5, v1
.LBB105_1199:
	s_or_b64 exec, exec, s[8:9]
	v_bfe_u32 v1, v3, 16, 1
	s_movk_i32 s2, 0x7fff
	v_add3_u32 v1, v3, v1, s2
	v_cmp_o_f32_e32 vcc, v3, v3
	v_mov_b32_e32 v3, 0x7fc0
	s_mov_b64 s[2:3], 0
	v_cndmask_b32_sdwa v1, v3, v1, vcc dst_sel:DWORD dst_unused:UNUSED_PAD src0_sel:DWORD src1_sel:WORD_1
	s_branch .LBB105_1205
.LBB105_1200:
                                        ; implicit-def: $vgpr1
	s_mov_b64 s[8:9], 0
	s_branch .LBB105_1211
.LBB105_1201:
	s_or_saveexec_b64 s[10:11], s[10:11]
	v_mov_b32_e32 v3, 0x7f800001
	s_xor_b64 exec, exec, s[10:11]
	s_cbranch_execz .LBB105_1185
.LBB105_1202:
	v_cmp_ne_u16_e32 vcc, 0, v1
	s_andn2_b64 s[2:3], s[2:3], exec
	s_and_b64 s[12:13], vcc, exec
	v_mov_b32_e32 v3, 0
	s_or_b64 s[2:3], s[2:3], s[12:13]
	s_or_b64 exec, exec, s[10:11]
	s_and_saveexec_b64 s[10:11], s[2:3]
	s_cbranch_execnz .LBB105_1186
	s_branch .LBB105_1187
.LBB105_1203:
	s_mov_b64 s[2:3], -1
                                        ; implicit-def: $vgpr1
	s_branch .LBB105_1208
.LBB105_1204:
	s_mov_b64 s[2:3], -1
                                        ; implicit-def: $vgpr1
.LBB105_1205:
	s_and_b64 vcc, exec, s[2:3]
	s_cbranch_vccz .LBB105_1207
; %bb.1206:
	global_load_ubyte v1, v[14:15], off
	s_mov_b32 s2, 0x7f800000
	s_brev_b32 s3, 1
	s_movk_i32 s8, 0x7fff
	s_waitcnt vmcnt(0)
	v_lshlrev_b32_e32 v1, 24, v1
	v_and_b32_e32 v3, 0x7f000000, v1
	v_ffbh_u32_e32 v5, v3
	v_min_u32_e32 v5, 32, v5
	v_sub_u32_e64 v5, v5, 4 clamp
	v_lshlrev_b32_e32 v9, v5, v3
	v_lshlrev_b32_e32 v5, 23, v5
	v_lshrrev_b32_e32 v9, 4, v9
	v_add_u32_e32 v7, 0x1000000, v3
	v_sub_u32_e32 v5, v9, v5
	v_ashrrev_i32_e32 v7, 8, v7
	v_add_u32_e32 v5, 0x3c000000, v5
	v_and_or_b32 v5, v7, s2, v5
	v_cmp_ne_u32_e32 vcc, 0, v3
	s_nop 1
	v_cndmask_b32_e32 v3, 0, v5, vcc
	v_and_or_b32 v1, v1, s3, v3
	v_bfe_u32 v3, v3, 16, 1
	v_add3_u32 v3, v1, v3, s8
	v_cmp_o_f32_e32 vcc, v1, v1
	v_mov_b32_e32 v1, 0x7fc0
	s_nop 0
	v_cndmask_b32_sdwa v1, v1, v3, vcc dst_sel:DWORD dst_unused:UNUSED_PAD src0_sel:DWORD src1_sel:WORD_1
.LBB105_1207:
	s_mov_b64 s[2:3], 0
.LBB105_1208:
	s_andn2_b64 vcc, exec, s[2:3]
	s_cbranch_vccnz .LBB105_1210
; %bb.1209:
	global_load_ubyte v1, v[14:15], off
	s_movk_i32 s2, 0x7f00
	s_brev_b32 s3, 16
	s_brev_b32 s8, 1
	s_movk_i32 s9, 0x7fff
	s_waitcnt vmcnt(0)
	v_lshlrev_b16_e32 v3, 8, v1
	v_lshlrev_b32_e32 v1, 25, v1
	v_lshrrev_b32_e32 v5, 4, v1
	v_and_or_b32 v7, v3, s2, 0.5
	v_or_b32_e32 v5, 0x70000000, v5
	v_add_f32_e32 v7, -0.5, v7
	v_mul_f32_e32 v5, 0x7800000, v5
	v_cmp_gt_u32_e32 vcc, s3, v1
	v_bfe_i32 v3, v3, 0, 16
	s_nop 0
	v_cndmask_b32_e32 v1, v5, v7, vcc
	v_and_or_b32 v3, v3, s8, v1
	v_bfe_u32 v1, v1, 16, 1
	v_add3_u32 v1, v3, v1, s9
	v_cmp_o_f32_e32 vcc, v3, v3
	v_mov_b32_e32 v3, 0x7fc0
	s_nop 0
	v_cndmask_b32_sdwa v1, v3, v1, vcc dst_sel:DWORD dst_unused:UNUSED_PAD src0_sel:DWORD src1_sel:WORD_1
.LBB105_1210:
	s_mov_b64 s[10:11], -1
	s_mov_b64 s[8:9], 0
	s_cbranch_execnz .LBB105_1221
.LBB105_1211:
	s_cmp_gt_i32 s15, 14
	s_cbranch_scc0 .LBB105_1214
; %bb.1212:
	s_cmp_eq_u32 s15, 15
	s_cbranch_scc0 .LBB105_1217
; %bb.1213:
	global_load_ushort v1, v[14:15], off
	s_mov_b64 s[0:1], 0
	s_mov_b64 s[10:11], -1
	s_branch .LBB105_1218
.LBB105_1214:
	s_mov_b64 s[2:3], -1
                                        ; implicit-def: $vgpr1
	s_branch .LBB105_1219
.LBB105_1215:
	s_or_saveexec_b64 s[8:9], s[8:9]
	v_mov_b32_e32 v3, 0x7f800001
	s_xor_b64 exec, exec, s[8:9]
	s_cbranch_execz .LBB105_1197
.LBB105_1216:
	v_cmp_ne_u16_e32 vcc, 0, v1
	s_andn2_b64 s[2:3], s[2:3], exec
	s_and_b64 s[10:11], vcc, exec
	v_mov_b32_e32 v3, 0
	s_or_b64 s[2:3], s[2:3], s[10:11]
	s_or_b64 exec, exec, s[8:9]
	s_and_saveexec_b64 s[8:9], s[2:3]
	s_cbranch_execnz .LBB105_1198
	s_branch .LBB105_1199
.LBB105_1217:
	s_mov_b64 s[0:1], -1
                                        ; implicit-def: $vgpr1
.LBB105_1218:
	s_mov_b64 s[2:3], 0
.LBB105_1219:
	s_and_b64 vcc, exec, s[2:3]
	s_cbranch_vccz .LBB105_1221
; %bb.1220:
	s_cmp_lg_u32 s15, 11
	s_mov_b64 s[8:9], -1
	s_cselect_b64 s[0:1], -1, 0
.LBB105_1221:
	s_and_b64 vcc, exec, s[0:1]
	s_mov_b64 s[2:3], s[24:25]
	s_cbranch_vccnz .LBB105_1282
; %bb.1222:
	s_andn2_b64 vcc, exec, s[8:9]
	s_cbranch_vccnz .LBB105_1224
.LBB105_1223:
	global_load_ubyte v1, v[14:15], off
	s_mov_b64 s[10:11], -1
	s_waitcnt vmcnt(0)
	v_cmp_ne_u16_e32 vcc, 0, v1
	s_nop 1
	v_cndmask_b32_e64 v1, 0, 1.0, vcc
	v_lshrrev_b32_e32 v1, 16, v1
.LBB105_1224:
	s_branch .LBB105_1155
.LBB105_1225:
	s_and_b32 s8, 0xffff, s14
	s_cmp_lt_i32 s8, 5
	s_cbranch_scc1 .LBB105_1230
; %bb.1226:
	s_cmp_lt_i32 s8, 8
	s_cbranch_scc1 .LBB105_1231
; %bb.1227:
	s_cmp_lt_i32 s8, 9
	s_cbranch_scc1 .LBB105_1232
; %bb.1228:
	s_cmp_gt_i32 s8, 9
	s_cbranch_scc0 .LBB105_1233
; %bb.1229:
	global_load_dwordx2 v[16:17], v[14:15], off
	s_movk_i32 s0, 0x7fff
	s_waitcnt vmcnt(1)
	v_mov_b32_e32 v1, 0x7fc0
	s_waitcnt vmcnt(0)
	v_cvt_f32_f64_e32 v3, v[16:17]
	v_bfe_u32 v5, v3, 16, 1
	v_cmp_o_f32_e32 vcc, v3, v3
	v_add3_u32 v3, v3, v5, s0
	s_mov_b64 s[0:1], 0
	v_cndmask_b32_sdwa v1, v1, v3, vcc dst_sel:DWORD dst_unused:UNUSED_PAD src0_sel:DWORD src1_sel:WORD_1
	s_branch .LBB105_1234
.LBB105_1230:
                                        ; implicit-def: $vgpr1
	s_branch .LBB105_1251
.LBB105_1231:
                                        ; implicit-def: $vgpr1
	s_branch .LBB105_1240
.LBB105_1232:
	s_mov_b64 s[0:1], -1
                                        ; implicit-def: $vgpr1
	s_branch .LBB105_1237
.LBB105_1233:
	s_mov_b64 s[0:1], -1
                                        ; implicit-def: $vgpr1
.LBB105_1234:
	s_andn2_b64 vcc, exec, s[0:1]
	s_cbranch_vccnz .LBB105_1236
; %bb.1235:
	global_load_dword v1, v[14:15], off
	s_movk_i32 s0, 0x7fff
	v_mov_b32_e32 v3, 0x7fc0
	s_waitcnt vmcnt(0)
	v_bfe_u32 v5, v1, 16, 1
	v_cmp_o_f32_e32 vcc, v1, v1
	v_add3_u32 v1, v1, v5, s0
	s_nop 0
	v_cndmask_b32_sdwa v1, v3, v1, vcc dst_sel:DWORD dst_unused:UNUSED_PAD src0_sel:DWORD src1_sel:WORD_1
.LBB105_1236:
	s_mov_b64 s[0:1], 0
.LBB105_1237:
	s_andn2_b64 vcc, exec, s[0:1]
	s_cbranch_vccnz .LBB105_1239
; %bb.1238:
	global_load_dword v1, v[14:15], off
	s_movk_i32 s0, 0x7fff
	v_mov_b32_e32 v5, 0x7fc0
	s_waitcnt vmcnt(0)
	v_cvt_f32_f16_e32 v3, v1
	v_cmp_o_f16_e32 vcc, v1, v1
	v_bfe_u32 v1, v3, 16, 1
	v_add3_u32 v1, v3, v1, s0
	v_cndmask_b32_sdwa v1, v5, v1, vcc dst_sel:DWORD dst_unused:UNUSED_PAD src0_sel:DWORD src1_sel:WORD_1
.LBB105_1239:
	s_cbranch_execnz .LBB105_1250
.LBB105_1240:
	s_cmp_lt_i32 s8, 6
	s_cbranch_scc1 .LBB105_1243
; %bb.1241:
	s_cmp_gt_i32 s8, 6
	s_cbranch_scc0 .LBB105_1244
; %bb.1242:
	global_load_dwordx2 v[16:17], v[14:15], off
	s_movk_i32 s0, 0x7fff
	s_waitcnt vmcnt(1)
	v_mov_b32_e32 v1, 0x7fc0
	s_waitcnt vmcnt(0)
	v_cvt_f32_f64_e32 v3, v[16:17]
	v_bfe_u32 v5, v3, 16, 1
	v_cmp_o_f32_e32 vcc, v3, v3
	v_add3_u32 v3, v3, v5, s0
	s_mov_b64 s[0:1], 0
	v_cndmask_b32_sdwa v1, v1, v3, vcc dst_sel:DWORD dst_unused:UNUSED_PAD src0_sel:DWORD src1_sel:WORD_1
	s_branch .LBB105_1245
.LBB105_1243:
	s_mov_b64 s[0:1], -1
                                        ; implicit-def: $vgpr1
	s_branch .LBB105_1248
.LBB105_1244:
	s_mov_b64 s[0:1], -1
                                        ; implicit-def: $vgpr1
.LBB105_1245:
	s_andn2_b64 vcc, exec, s[0:1]
	s_cbranch_vccnz .LBB105_1247
; %bb.1246:
	global_load_dword v1, v[14:15], off
	s_movk_i32 s0, 0x7fff
	v_mov_b32_e32 v3, 0x7fc0
	s_waitcnt vmcnt(0)
	v_bfe_u32 v5, v1, 16, 1
	v_cmp_o_f32_e32 vcc, v1, v1
	v_add3_u32 v1, v1, v5, s0
	s_nop 0
	v_cndmask_b32_sdwa v1, v3, v1, vcc dst_sel:DWORD dst_unused:UNUSED_PAD src0_sel:DWORD src1_sel:WORD_1
.LBB105_1247:
	s_mov_b64 s[0:1], 0
.LBB105_1248:
	s_andn2_b64 vcc, exec, s[0:1]
	s_cbranch_vccnz .LBB105_1250
; %bb.1249:
	global_load_ushort v1, v[14:15], off
	s_movk_i32 s0, 0x7fff
	v_mov_b32_e32 v5, 0x7fc0
	s_waitcnt vmcnt(0)
	v_cvt_f32_f16_e32 v3, v1
	v_cmp_o_f16_e32 vcc, v1, v1
	v_bfe_u32 v1, v3, 16, 1
	v_add3_u32 v1, v3, v1, s0
	v_cndmask_b32_sdwa v1, v5, v1, vcc dst_sel:DWORD dst_unused:UNUSED_PAD src0_sel:DWORD src1_sel:WORD_1
.LBB105_1250:
	s_cbranch_execnz .LBB105_1269
.LBB105_1251:
	s_cmp_lt_i32 s8, 2
	s_cbranch_scc1 .LBB105_1255
; %bb.1252:
	s_cmp_lt_i32 s8, 3
	s_cbranch_scc1 .LBB105_1256
; %bb.1253:
	s_cmp_gt_i32 s8, 3
	s_cbranch_scc0 .LBB105_1257
; %bb.1254:
	global_load_dwordx2 v[16:17], v[14:15], off
	s_movk_i32 s0, 0x7fff
	s_waitcnt vmcnt(0)
	v_xor_b32_e32 v3, v16, v17
	v_ffbh_i32_e32 v1, v17
	v_ashrrev_i32_e32 v3, 31, v3
	v_add_u32_e32 v1, -1, v1
	v_add_u32_e32 v3, 32, v3
	v_min_u32_e32 v1, v1, v3
	v_lshlrev_b64 v[16:17], v1, v[16:17]
	v_min_u32_e32 v3, 1, v16
	v_or_b32_e32 v3, v17, v3
	v_cvt_f32_i32_e32 v3, v3
	v_sub_u32_e32 v1, 32, v1
	v_ldexp_f32 v1, v3, v1
	v_bfe_u32 v3, v1, 16, 1
	v_add3_u32 v1, v1, v3, s0
	v_lshrrev_b32_e32 v1, 16, v1
	s_mov_b64 s[0:1], 0
	s_branch .LBB105_1258
.LBB105_1255:
                                        ; implicit-def: $vgpr1
	s_branch .LBB105_1264
.LBB105_1256:
	s_mov_b64 s[0:1], -1
                                        ; implicit-def: $vgpr1
	s_branch .LBB105_1261
.LBB105_1257:
	s_mov_b64 s[0:1], -1
                                        ; implicit-def: $vgpr1
.LBB105_1258:
	s_andn2_b64 vcc, exec, s[0:1]
	s_cbranch_vccnz .LBB105_1260
; %bb.1259:
	global_load_dword v1, v[14:15], off
	s_movk_i32 s0, 0x7fff
	s_waitcnt vmcnt(0)
	v_cvt_f32_i32_e32 v1, v1
	v_bfe_u32 v3, v1, 16, 1
	v_add3_u32 v1, v1, v3, s0
	v_lshrrev_b32_e32 v1, 16, v1
.LBB105_1260:
	s_mov_b64 s[0:1], 0
.LBB105_1261:
	s_andn2_b64 vcc, exec, s[0:1]
	s_cbranch_vccnz .LBB105_1263
; %bb.1262:
	global_load_sshort v1, v[14:15], off
	s_movk_i32 s0, 0x7fff
	s_waitcnt vmcnt(0)
	v_cvt_f32_i32_e32 v1, v1
	v_bfe_u32 v3, v1, 16, 1
	v_add3_u32 v1, v1, v3, s0
	v_lshrrev_b32_e32 v1, 16, v1
.LBB105_1263:
	s_cbranch_execnz .LBB105_1269
.LBB105_1264:
	s_cmp_gt_i32 s8, 0
	s_cbranch_scc0 .LBB105_1266
; %bb.1265:
	global_load_sbyte v1, v[14:15], off
	s_movk_i32 s0, 0x7fff
	s_waitcnt vmcnt(0)
	v_cvt_f32_i32_e32 v1, v1
	v_bfe_u32 v3, v1, 16, 1
	v_add3_u32 v1, v1, v3, s0
	v_lshrrev_b32_e32 v1, 16, v1
	s_mov_b64 s[0:1], 0
	s_branch .LBB105_1267
.LBB105_1266:
	s_mov_b64 s[0:1], -1
                                        ; implicit-def: $vgpr1
.LBB105_1267:
	s_andn2_b64 vcc, exec, s[0:1]
	s_cbranch_vccnz .LBB105_1269
; %bb.1268:
	global_load_ubyte v1, v[14:15], off
	s_movk_i32 s0, 0x7fff
	s_waitcnt vmcnt(0)
	v_cvt_f32_ubyte0_e32 v1, v1
	v_bfe_u32 v3, v1, 16, 1
	v_add3_u32 v1, v1, v3, s0
	v_lshrrev_b32_e32 v1, 16, v1
.LBB105_1269:
.LBB105_1270:
	s_lshr_b32 s0, s16, 16
	v_mov_b32_e32 v13, 0
	s_and_b32 s17, s0, 0xff
	s_cmp_lt_i32 s17, 11
	v_lshl_add_u64 v[12:13], s[6:7], 0, v[12:13]
	s_cbranch_scc1 .LBB105_1277
; %bb.1271:
	s_and_b32 s18, 0xffff, s17
	s_cmp_gt_i32 s18, 25
	s_mov_b64 s[8:9], 0
	s_cbranch_scc0 .LBB105_1279
; %bb.1272:
	s_cmp_gt_i32 s18, 28
	s_cbranch_scc0 .LBB105_1280
; %bb.1273:
	s_cmp_gt_i32 s18, 43
	;; [unrolled: 3-line block ×3, first 2 shown]
	s_cbranch_scc0 .LBB105_1283
; %bb.1275:
	s_cmp_eq_u32 s18, 46
	s_mov_b64 s[12:13], 0
	s_cbranch_scc0 .LBB105_1286
; %bb.1276:
	global_load_dword v3, v[12:13], off
	s_mov_b64 s[0:1], 0
	s_mov_b64 s[10:11], -1
	s_branch .LBB105_1287
.LBB105_1277:
	s_mov_b64 s[10:11], 0
                                        ; implicit-def: $vgpr3
	s_cbranch_execnz .LBB105_1352
.LBB105_1278:
	s_andn2_b64 vcc, exec, s[10:11]
	s_cbranch_vccnz .LBB105_2091
	s_branch .LBB105_1399
.LBB105_1279:
	s_mov_b64 s[10:11], 0
	s_mov_b64 s[0:1], 0
                                        ; implicit-def: $vgpr3
	s_cbranch_execnz .LBB105_1316
	s_branch .LBB105_1348
.LBB105_1280:
	s_mov_b64 s[12:13], -1
	s_mov_b64 s[10:11], 0
	s_mov_b64 s[0:1], 0
                                        ; implicit-def: $vgpr3
	s_branch .LBB105_1297
.LBB105_1281:
	s_mov_b64 s[12:13], -1
	s_mov_b64 s[10:11], 0
	s_mov_b64 s[0:1], 0
                                        ; implicit-def: $vgpr3
	s_branch .LBB105_1292
.LBB105_1282:
	s_or_b64 s[2:3], s[24:25], exec
	s_trap 2
	s_cbranch_execz .LBB105_1223
	s_branch .LBB105_1224
.LBB105_1283:
	s_mov_b64 s[12:13], -1
	s_mov_b64 s[10:11], 0
	s_mov_b64 s[0:1], 0
                                        ; implicit-def: $vgpr3
	s_branch .LBB105_1287
.LBB105_1284:
	s_andn2_saveexec_b64 s[14:15], s[14:15]
	s_cbranch_execz .LBB105_1015
.LBB105_1285:
	s_mov_b32 s18, 0x42800000
	v_add_f32_e64 v1, |v5|, s18
	v_and_b32_e32 v1, 0xff, v1
	v_cmp_ne_u32_e32 vcc, 0, v1
	s_andn2_b64 s[12:13], s[12:13], exec
	s_and_b64 s[18:19], vcc, exec
	s_or_b64 s[12:13], s[12:13], s[18:19]
	s_or_b64 exec, exec, s[14:15]
	v_mov_b32_e32 v6, 0
	s_and_saveexec_b64 s[14:15], s[12:13]
	s_cbranch_execnz .LBB105_1016
	s_branch .LBB105_1017
.LBB105_1286:
	s_mov_b64 s[0:1], -1
                                        ; implicit-def: $vgpr3
	s_mov_b64 s[10:11], 0
.LBB105_1287:
	s_and_b64 vcc, exec, s[12:13]
	s_cbranch_vccz .LBB105_1291
; %bb.1288:
	s_cmp_eq_u32 s18, 44
	s_cbranch_scc0 .LBB105_1290
; %bb.1289:
	global_load_ubyte v3, v[12:13], off
	s_movk_i32 s10, 0xff
	v_mov_b32_e32 v5, 0x7f800001
	v_mov_b32_e32 v7, 0x400000
	;; [unrolled: 1-line block ×3, first 2 shown]
	s_mov_b64 s[0:1], 0
	s_waitcnt vmcnt(0)
	v_lshlrev_b32_e32 v11, 23, v3
	v_cmp_ne_u32_e32 vcc, s10, v3
	s_mov_b64 s[10:11], -1
	s_nop 0
	v_cndmask_b32_e32 v5, v5, v11, vcc
	v_cmp_ne_u32_e32 vcc, 0, v3
	s_nop 1
	v_cndmask_b32_e32 v3, v7, v5, vcc
	v_add_u32_e32 v5, 0x7fff, v3
	v_cmp_o_f32_e32 vcc, v3, v3
	s_nop 1
	v_cndmask_b32_sdwa v3, v9, v5, vcc dst_sel:DWORD dst_unused:UNUSED_PAD src0_sel:DWORD src1_sel:WORD_1
	s_branch .LBB105_1291
.LBB105_1290:
	s_mov_b64 s[0:1], -1
                                        ; implicit-def: $vgpr3
.LBB105_1291:
	s_mov_b64 s[12:13], 0
.LBB105_1292:
	s_and_b64 vcc, exec, s[12:13]
	s_cbranch_vccz .LBB105_1296
; %bb.1293:
	s_cmp_eq_u32 s18, 29
	s_cbranch_scc0 .LBB105_1295
; %bb.1294:
	global_load_dwordx2 v[14:15], v[12:13], off
	s_movk_i32 s10, 0x7fff
	s_mov_b64 s[0:1], 0
	s_mov_b64 s[12:13], 0
	s_waitcnt vmcnt(0)
	v_ffbh_u32_e32 v3, v15
	v_min_u32_e32 v3, 32, v3
	v_lshlrev_b64 v[14:15], v3, v[14:15]
	v_min_u32_e32 v5, 1, v14
	v_or_b32_e32 v5, v15, v5
	v_cvt_f32_u32_e32 v5, v5
	v_sub_u32_e32 v3, 32, v3
	v_ldexp_f32 v3, v5, v3
	v_bfe_u32 v5, v3, 16, 1
	v_add3_u32 v3, v3, v5, s10
	v_lshrrev_b32_e32 v3, 16, v3
	s_mov_b64 s[10:11], -1
	s_branch .LBB105_1297
.LBB105_1295:
	s_mov_b64 s[0:1], -1
                                        ; implicit-def: $vgpr3
.LBB105_1296:
	s_mov_b64 s[12:13], 0
.LBB105_1297:
	s_and_b64 vcc, exec, s[12:13]
	s_cbranch_vccz .LBB105_1315
; %bb.1298:
	s_cmp_lt_i32 s18, 27
	s_cbranch_scc1 .LBB105_1301
; %bb.1299:
	s_cmp_gt_i32 s18, 27
	s_cbranch_scc0 .LBB105_1302
; %bb.1300:
	global_load_dword v3, v[12:13], off
	s_movk_i32 s10, 0x7fff
	s_waitcnt vmcnt(0)
	v_cvt_f32_u32_e32 v3, v3
	v_bfe_u32 v5, v3, 16, 1
	v_add3_u32 v3, v3, v5, s10
	v_lshrrev_b32_e32 v3, 16, v3
	s_mov_b64 s[10:11], 0
	s_branch .LBB105_1303
.LBB105_1301:
	s_mov_b64 s[10:11], -1
                                        ; implicit-def: $vgpr3
	s_branch .LBB105_1306
.LBB105_1302:
	s_mov_b64 s[10:11], -1
                                        ; implicit-def: $vgpr3
.LBB105_1303:
	s_andn2_b64 vcc, exec, s[10:11]
	s_cbranch_vccnz .LBB105_1305
; %bb.1304:
	global_load_ushort v3, v[12:13], off
	s_movk_i32 s10, 0x7fff
	s_waitcnt vmcnt(0)
	v_cvt_f32_u32_e32 v3, v3
	v_bfe_u32 v5, v3, 16, 1
	v_add3_u32 v3, v3, v5, s10
	v_lshrrev_b32_e32 v3, 16, v3
.LBB105_1305:
	s_mov_b64 s[10:11], 0
.LBB105_1306:
	s_andn2_b64 vcc, exec, s[10:11]
	s_cbranch_vccnz .LBB105_1314
; %bb.1307:
	global_load_ubyte v3, v[12:13], off
	s_movk_i32 s10, 0x7f
	s_waitcnt vmcnt(0)
	v_cmp_lt_i16_e32 vcc, s10, v3
	s_mov_b64 s[10:11], 0
	s_and_saveexec_b64 s[12:13], vcc
	s_xor_b64 s[12:13], exec, s[12:13]
	s_cbranch_execz .LBB105_1327
; %bb.1308:
	s_movk_i32 s10, 0x80
	v_cmp_eq_u16_e32 vcc, s10, v3
	s_mov_b64 s[10:11], -1
	s_and_saveexec_b64 s[14:15], vcc
; %bb.1309:
	s_xor_b64 s[10:11], exec, -1
; %bb.1310:
	s_or_b64 exec, exec, s[14:15]
	s_and_b64 s[10:11], s[10:11], exec
	s_or_saveexec_b64 s[12:13], s[12:13]
	v_mov_b32_e32 v5, 0x7f800001
	s_xor_b64 exec, exec, s[12:13]
	s_cbranch_execnz .LBB105_1328
.LBB105_1311:
	s_or_b64 exec, exec, s[12:13]
	s_and_saveexec_b64 s[12:13], s[10:11]
	s_cbranch_execz .LBB105_1313
.LBB105_1312:
	v_lshlrev_b32_e32 v5, 24, v3
	v_and_b32_e32 v3, 0xffff, v3
	v_and_b32_e32 v7, 7, v3
	v_ffbh_u32_e32 v11, v7
	v_min_u32_e32 v11, 32, v11
	v_subrev_u32_e32 v14, 28, v11
	v_bfe_u32 v9, v3, 3, 4
	v_lshlrev_b32_e32 v3, v14, v3
	v_sub_u32_e32 v11, 29, v11
	v_and_b32_e32 v3, 7, v3
	v_cmp_eq_u32_e32 vcc, 0, v9
	v_and_b32_e32 v5, 0x80000000, v5
	s_nop 0
	v_cndmask_b32_e32 v9, v9, v11, vcc
	v_cndmask_b32_e32 v3, v7, v3, vcc
	v_mov_b32_e32 v7, 0x3b800000
	v_lshlrev_b32_e32 v3, 20, v3
	v_lshl_add_u32 v7, v9, 23, v7
	v_or3_b32 v5, v5, v7, v3
.LBB105_1313:
	s_or_b64 exec, exec, s[12:13]
	v_bfe_u32 v3, v5, 16, 1
	s_movk_i32 s10, 0x7fff
	v_add3_u32 v3, v5, v3, s10
	v_cmp_o_f32_e32 vcc, v5, v5
	v_mov_b32_e32 v5, 0x7fc0
	s_nop 0
	v_cndmask_b32_sdwa v3, v5, v3, vcc dst_sel:DWORD dst_unused:UNUSED_PAD src0_sel:DWORD src1_sel:WORD_1
.LBB105_1314:
	s_mov_b64 s[10:11], -1
.LBB105_1315:
	s_branch .LBB105_1348
.LBB105_1316:
	s_cmp_gt_i32 s18, 22
	s_cbranch_scc0 .LBB105_1326
; %bb.1317:
	s_cmp_lt_i32 s18, 24
	s_cbranch_scc1 .LBB105_1329
; %bb.1318:
	s_cmp_gt_i32 s18, 24
	s_cbranch_scc0 .LBB105_1330
; %bb.1319:
	global_load_ubyte v3, v[12:13], off
	s_movk_i32 s8, 0x7f
	s_waitcnt vmcnt(0)
	v_cmp_lt_i16_e32 vcc, s8, v3
	s_mov_b64 s[8:9], 0
	s_and_saveexec_b64 s[10:11], vcc
	s_xor_b64 s[10:11], exec, s[10:11]
	s_cbranch_execz .LBB105_1342
; %bb.1320:
	s_movk_i32 s8, 0x80
	v_cmp_eq_u16_e32 vcc, s8, v3
	s_mov_b64 s[8:9], -1
	s_and_saveexec_b64 s[12:13], vcc
; %bb.1321:
	s_xor_b64 s[8:9], exec, -1
; %bb.1322:
	s_or_b64 exec, exec, s[12:13]
	s_and_b64 s[8:9], s[8:9], exec
	s_or_saveexec_b64 s[10:11], s[10:11]
	v_mov_b32_e32 v5, 0x7f800001
	s_xor_b64 exec, exec, s[10:11]
	s_cbranch_execnz .LBB105_1343
.LBB105_1323:
	s_or_b64 exec, exec, s[10:11]
	s_and_saveexec_b64 s[10:11], s[8:9]
	s_cbranch_execz .LBB105_1325
.LBB105_1324:
	v_lshlrev_b32_e32 v5, 24, v3
	v_and_b32_e32 v3, 0xffff, v3
	v_and_b32_e32 v7, 3, v3
	v_ffbh_u32_e32 v11, v7
	v_min_u32_e32 v11, 32, v11
	v_subrev_u32_e32 v14, 29, v11
	v_bfe_u32 v9, v3, 2, 5
	v_lshlrev_b32_e32 v3, v14, v3
	v_sub_u32_e32 v11, 30, v11
	v_and_b32_e32 v3, 3, v3
	v_cmp_eq_u32_e32 vcc, 0, v9
	v_and_b32_e32 v5, 0x80000000, v5
	s_nop 0
	v_cndmask_b32_e32 v9, v9, v11, vcc
	v_cndmask_b32_e32 v3, v7, v3, vcc
	v_mov_b32_e32 v7, 0x37800000
	v_lshlrev_b32_e32 v3, 21, v3
	v_lshl_add_u32 v7, v9, 23, v7
	v_or3_b32 v5, v5, v7, v3
.LBB105_1325:
	s_or_b64 exec, exec, s[10:11]
	v_bfe_u32 v3, v5, 16, 1
	s_movk_i32 s8, 0x7fff
	v_add3_u32 v3, v5, v3, s8
	v_cmp_o_f32_e32 vcc, v5, v5
	v_mov_b32_e32 v5, 0x7fc0
	s_mov_b64 s[8:9], 0
	v_cndmask_b32_sdwa v3, v5, v3, vcc dst_sel:DWORD dst_unused:UNUSED_PAD src0_sel:DWORD src1_sel:WORD_1
	s_branch .LBB105_1331
.LBB105_1326:
	s_mov_b64 s[8:9], -1
                                        ; implicit-def: $vgpr3
	s_branch .LBB105_1337
.LBB105_1327:
	s_or_saveexec_b64 s[12:13], s[12:13]
	v_mov_b32_e32 v5, 0x7f800001
	s_xor_b64 exec, exec, s[12:13]
	s_cbranch_execz .LBB105_1311
.LBB105_1328:
	v_cmp_ne_u16_e32 vcc, 0, v3
	s_andn2_b64 s[10:11], s[10:11], exec
	s_and_b64 s[14:15], vcc, exec
	v_mov_b32_e32 v5, 0
	s_or_b64 s[10:11], s[10:11], s[14:15]
	s_or_b64 exec, exec, s[12:13]
	s_and_saveexec_b64 s[12:13], s[10:11]
	s_cbranch_execnz .LBB105_1312
	s_branch .LBB105_1313
.LBB105_1329:
	s_mov_b64 s[8:9], -1
                                        ; implicit-def: $vgpr3
	s_branch .LBB105_1334
.LBB105_1330:
	s_mov_b64 s[8:9], -1
                                        ; implicit-def: $vgpr3
.LBB105_1331:
	s_and_b64 vcc, exec, s[8:9]
	s_cbranch_vccz .LBB105_1333
; %bb.1332:
	global_load_ubyte v3, v[12:13], off
	s_mov_b32 s8, 0x7f800000
	s_brev_b32 s9, 1
	s_movk_i32 s10, 0x7fff
	s_waitcnt vmcnt(0)
	v_lshlrev_b32_e32 v3, 24, v3
	v_and_b32_e32 v5, 0x7f000000, v3
	v_ffbh_u32_e32 v7, v5
	v_min_u32_e32 v7, 32, v7
	v_sub_u32_e64 v7, v7, 4 clamp
	v_lshlrev_b32_e32 v11, v7, v5
	v_lshlrev_b32_e32 v7, 23, v7
	v_lshrrev_b32_e32 v11, 4, v11
	v_add_u32_e32 v9, 0x1000000, v5
	v_sub_u32_e32 v7, v11, v7
	v_ashrrev_i32_e32 v9, 8, v9
	v_add_u32_e32 v7, 0x3c000000, v7
	v_and_or_b32 v7, v9, s8, v7
	v_cmp_ne_u32_e32 vcc, 0, v5
	s_nop 1
	v_cndmask_b32_e32 v5, 0, v7, vcc
	v_and_or_b32 v3, v3, s9, v5
	v_bfe_u32 v5, v5, 16, 1
	v_add3_u32 v5, v3, v5, s10
	v_cmp_o_f32_e32 vcc, v3, v3
	v_mov_b32_e32 v3, 0x7fc0
	s_nop 0
	v_cndmask_b32_sdwa v3, v3, v5, vcc dst_sel:DWORD dst_unused:UNUSED_PAD src0_sel:DWORD src1_sel:WORD_1
.LBB105_1333:
	s_mov_b64 s[8:9], 0
.LBB105_1334:
	s_andn2_b64 vcc, exec, s[8:9]
	s_cbranch_vccnz .LBB105_1336
; %bb.1335:
	global_load_ubyte v3, v[12:13], off
	s_movk_i32 s8, 0x7f00
	s_brev_b32 s9, 16
	s_brev_b32 s10, 1
	s_movk_i32 s11, 0x7fff
	s_waitcnt vmcnt(0)
	v_lshlrev_b16_e32 v5, 8, v3
	v_lshlrev_b32_e32 v3, 25, v3
	v_lshrrev_b32_e32 v7, 4, v3
	v_and_or_b32 v9, v5, s8, 0.5
	v_or_b32_e32 v7, 0x70000000, v7
	v_add_f32_e32 v9, -0.5, v9
	v_mul_f32_e32 v7, 0x7800000, v7
	v_cmp_gt_u32_e32 vcc, s9, v3
	v_bfe_i32 v5, v5, 0, 16
	s_nop 0
	v_cndmask_b32_e32 v3, v7, v9, vcc
	v_and_or_b32 v5, v5, s10, v3
	v_bfe_u32 v3, v3, 16, 1
	v_add3_u32 v3, v5, v3, s11
	v_cmp_o_f32_e32 vcc, v5, v5
	v_mov_b32_e32 v5, 0x7fc0
	s_nop 0
	v_cndmask_b32_sdwa v3, v5, v3, vcc dst_sel:DWORD dst_unused:UNUSED_PAD src0_sel:DWORD src1_sel:WORD_1
.LBB105_1336:
	s_mov_b64 s[8:9], 0
	s_mov_b64 s[10:11], -1
.LBB105_1337:
	s_andn2_b64 vcc, exec, s[8:9]
	s_mov_b64 s[8:9], 0
	s_cbranch_vccnz .LBB105_1348
; %bb.1338:
	s_cmp_gt_i32 s18, 14
	s_cbranch_scc0 .LBB105_1341
; %bb.1339:
	s_cmp_eq_u32 s18, 15
	s_cbranch_scc0 .LBB105_1344
; %bb.1340:
	global_load_ushort v3, v[12:13], off
	s_mov_b64 s[0:1], 0
	s_mov_b64 s[10:11], -1
	s_branch .LBB105_1345
.LBB105_1341:
	s_mov_b64 s[12:13], -1
                                        ; implicit-def: $vgpr3
	s_branch .LBB105_1346
.LBB105_1342:
	s_or_saveexec_b64 s[10:11], s[10:11]
	v_mov_b32_e32 v5, 0x7f800001
	s_xor_b64 exec, exec, s[10:11]
	s_cbranch_execz .LBB105_1323
.LBB105_1343:
	v_cmp_ne_u16_e32 vcc, 0, v3
	s_andn2_b64 s[8:9], s[8:9], exec
	s_and_b64 s[12:13], vcc, exec
	v_mov_b32_e32 v5, 0
	s_or_b64 s[8:9], s[8:9], s[12:13]
	s_or_b64 exec, exec, s[10:11]
	s_and_saveexec_b64 s[10:11], s[8:9]
	s_cbranch_execnz .LBB105_1324
	s_branch .LBB105_1325
.LBB105_1344:
	s_mov_b64 s[0:1], -1
                                        ; implicit-def: $vgpr3
.LBB105_1345:
	s_mov_b64 s[12:13], 0
.LBB105_1346:
	s_and_b64 vcc, exec, s[12:13]
	s_cbranch_vccz .LBB105_1348
; %bb.1347:
	s_cmp_lg_u32 s18, 11
	s_mov_b64 s[8:9], -1
	s_cselect_b64 s[0:1], -1, 0
.LBB105_1348:
	s_and_b64 vcc, exec, s[0:1]
	s_cbranch_vccnz .LBB105_1411
; %bb.1349:
	s_andn2_b64 vcc, exec, s[8:9]
	s_cbranch_vccnz .LBB105_1351
.LBB105_1350:
	global_load_ubyte v3, v[12:13], off
	s_mov_b64 s[10:11], -1
	s_waitcnt vmcnt(0)
	v_cmp_ne_u16_e32 vcc, 0, v3
	s_nop 1
	v_cndmask_b32_e64 v3, 0, 1.0, vcc
	v_lshrrev_b32_e32 v3, 16, v3
.LBB105_1351:
	s_branch .LBB105_1278
.LBB105_1352:
	s_and_b32 s8, 0xffff, s17
	s_cmp_lt_i32 s8, 5
	s_cbranch_scc1 .LBB105_1357
; %bb.1353:
	s_cmp_lt_i32 s8, 8
	s_cbranch_scc1 .LBB105_1358
; %bb.1354:
	s_cmp_lt_i32 s8, 9
	s_cbranch_scc1 .LBB105_1359
; %bb.1355:
	s_cmp_gt_i32 s8, 9
	s_cbranch_scc0 .LBB105_1360
; %bb.1356:
	global_load_dwordx2 v[14:15], v[12:13], off
	s_movk_i32 s0, 0x7fff
	s_waitcnt vmcnt(1)
	v_mov_b32_e32 v3, 0x7fc0
	s_waitcnt vmcnt(0)
	v_cvt_f32_f64_e32 v5, v[14:15]
	v_bfe_u32 v7, v5, 16, 1
	v_cmp_o_f32_e32 vcc, v5, v5
	v_add3_u32 v5, v5, v7, s0
	s_mov_b64 s[0:1], 0
	v_cndmask_b32_sdwa v3, v3, v5, vcc dst_sel:DWORD dst_unused:UNUSED_PAD src0_sel:DWORD src1_sel:WORD_1
	s_branch .LBB105_1361
.LBB105_1357:
                                        ; implicit-def: $vgpr3
	s_branch .LBB105_1379
.LBB105_1358:
	s_mov_b64 s[0:1], -1
                                        ; implicit-def: $vgpr3
	s_branch .LBB105_1367
.LBB105_1359:
	s_mov_b64 s[0:1], -1
                                        ; implicit-def: $vgpr3
	s_branch .LBB105_1364
.LBB105_1360:
	s_mov_b64 s[0:1], -1
                                        ; implicit-def: $vgpr3
.LBB105_1361:
	s_andn2_b64 vcc, exec, s[0:1]
	s_cbranch_vccnz .LBB105_1363
; %bb.1362:
	global_load_dword v3, v[12:13], off
	s_movk_i32 s0, 0x7fff
	v_mov_b32_e32 v5, 0x7fc0
	s_waitcnt vmcnt(0)
	v_bfe_u32 v7, v3, 16, 1
	v_cmp_o_f32_e32 vcc, v3, v3
	v_add3_u32 v3, v3, v7, s0
	s_nop 0
	v_cndmask_b32_sdwa v3, v5, v3, vcc dst_sel:DWORD dst_unused:UNUSED_PAD src0_sel:DWORD src1_sel:WORD_1
.LBB105_1363:
	s_mov_b64 s[0:1], 0
.LBB105_1364:
	s_andn2_b64 vcc, exec, s[0:1]
	s_cbranch_vccnz .LBB105_1366
; %bb.1365:
	global_load_dword v3, v[12:13], off
	s_movk_i32 s0, 0x7fff
	v_mov_b32_e32 v7, 0x7fc0
	s_waitcnt vmcnt(0)
	v_cvt_f32_f16_e32 v5, v3
	v_cmp_o_f16_e32 vcc, v3, v3
	v_bfe_u32 v3, v5, 16, 1
	v_add3_u32 v3, v5, v3, s0
	v_cndmask_b32_sdwa v3, v7, v3, vcc dst_sel:DWORD dst_unused:UNUSED_PAD src0_sel:DWORD src1_sel:WORD_1
.LBB105_1366:
	s_mov_b64 s[0:1], 0
.LBB105_1367:
	s_andn2_b64 vcc, exec, s[0:1]
	s_cbranch_vccnz .LBB105_1378
; %bb.1368:
	s_cmp_lt_i32 s8, 6
	s_cbranch_scc1 .LBB105_1371
; %bb.1369:
	s_cmp_gt_i32 s8, 6
	s_cbranch_scc0 .LBB105_1372
; %bb.1370:
	global_load_dwordx2 v[14:15], v[12:13], off
	s_movk_i32 s0, 0x7fff
	s_waitcnt vmcnt(1)
	v_mov_b32_e32 v3, 0x7fc0
	s_waitcnt vmcnt(0)
	v_cvt_f32_f64_e32 v5, v[14:15]
	v_bfe_u32 v7, v5, 16, 1
	v_cmp_o_f32_e32 vcc, v5, v5
	v_add3_u32 v5, v5, v7, s0
	s_mov_b64 s[0:1], 0
	v_cndmask_b32_sdwa v3, v3, v5, vcc dst_sel:DWORD dst_unused:UNUSED_PAD src0_sel:DWORD src1_sel:WORD_1
	s_branch .LBB105_1373
.LBB105_1371:
	s_mov_b64 s[0:1], -1
                                        ; implicit-def: $vgpr3
	s_branch .LBB105_1376
.LBB105_1372:
	s_mov_b64 s[0:1], -1
                                        ; implicit-def: $vgpr3
.LBB105_1373:
	s_andn2_b64 vcc, exec, s[0:1]
	s_cbranch_vccnz .LBB105_1375
; %bb.1374:
	global_load_dword v3, v[12:13], off
	s_movk_i32 s0, 0x7fff
	v_mov_b32_e32 v5, 0x7fc0
	s_waitcnt vmcnt(0)
	v_bfe_u32 v7, v3, 16, 1
	v_cmp_o_f32_e32 vcc, v3, v3
	v_add3_u32 v3, v3, v7, s0
	s_nop 0
	v_cndmask_b32_sdwa v3, v5, v3, vcc dst_sel:DWORD dst_unused:UNUSED_PAD src0_sel:DWORD src1_sel:WORD_1
.LBB105_1375:
	s_mov_b64 s[0:1], 0
.LBB105_1376:
	s_andn2_b64 vcc, exec, s[0:1]
	s_cbranch_vccnz .LBB105_1378
; %bb.1377:
	global_load_ushort v3, v[12:13], off
	s_movk_i32 s0, 0x7fff
	v_mov_b32_e32 v7, 0x7fc0
	s_waitcnt vmcnt(0)
	v_cvt_f32_f16_e32 v5, v3
	v_cmp_o_f16_e32 vcc, v3, v3
	v_bfe_u32 v3, v5, 16, 1
	v_add3_u32 v3, v5, v3, s0
	v_cndmask_b32_sdwa v3, v7, v3, vcc dst_sel:DWORD dst_unused:UNUSED_PAD src0_sel:DWORD src1_sel:WORD_1
.LBB105_1378:
	s_cbranch_execnz .LBB105_1398
.LBB105_1379:
	s_cmp_lt_i32 s8, 2
	s_cbranch_scc1 .LBB105_1383
; %bb.1380:
	s_cmp_lt_i32 s8, 3
	s_cbranch_scc1 .LBB105_1384
; %bb.1381:
	s_cmp_gt_i32 s8, 3
	s_cbranch_scc0 .LBB105_1385
; %bb.1382:
	global_load_dwordx2 v[14:15], v[12:13], off
	s_movk_i32 s0, 0x7fff
	s_waitcnt vmcnt(0)
	v_xor_b32_e32 v5, v14, v15
	v_ffbh_i32_e32 v3, v15
	v_ashrrev_i32_e32 v5, 31, v5
	v_add_u32_e32 v3, -1, v3
	v_add_u32_e32 v5, 32, v5
	v_min_u32_e32 v3, v3, v5
	v_lshlrev_b64 v[14:15], v3, v[14:15]
	v_min_u32_e32 v5, 1, v14
	v_or_b32_e32 v5, v15, v5
	v_cvt_f32_i32_e32 v5, v5
	v_sub_u32_e32 v3, 32, v3
	v_ldexp_f32 v3, v5, v3
	v_bfe_u32 v5, v3, 16, 1
	v_add3_u32 v3, v3, v5, s0
	v_lshrrev_b32_e32 v3, 16, v3
	s_mov_b64 s[0:1], 0
	s_branch .LBB105_1386
.LBB105_1383:
	s_mov_b64 s[0:1], -1
                                        ; implicit-def: $vgpr3
	s_branch .LBB105_1392
.LBB105_1384:
	s_mov_b64 s[0:1], -1
                                        ; implicit-def: $vgpr3
	s_branch .LBB105_1389
.LBB105_1385:
	s_mov_b64 s[0:1], -1
                                        ; implicit-def: $vgpr3
.LBB105_1386:
	s_andn2_b64 vcc, exec, s[0:1]
	s_cbranch_vccnz .LBB105_1388
; %bb.1387:
	global_load_dword v3, v[12:13], off
	s_movk_i32 s0, 0x7fff
	s_waitcnt vmcnt(0)
	v_cvt_f32_i32_e32 v3, v3
	v_bfe_u32 v5, v3, 16, 1
	v_add3_u32 v3, v3, v5, s0
	v_lshrrev_b32_e32 v3, 16, v3
.LBB105_1388:
	s_mov_b64 s[0:1], 0
.LBB105_1389:
	s_andn2_b64 vcc, exec, s[0:1]
	s_cbranch_vccnz .LBB105_1391
; %bb.1390:
	global_load_sshort v3, v[12:13], off
	s_movk_i32 s0, 0x7fff
	s_waitcnt vmcnt(0)
	v_cvt_f32_i32_e32 v3, v3
	v_bfe_u32 v5, v3, 16, 1
	v_add3_u32 v3, v3, v5, s0
	v_lshrrev_b32_e32 v3, 16, v3
.LBB105_1391:
	s_mov_b64 s[0:1], 0
.LBB105_1392:
	s_andn2_b64 vcc, exec, s[0:1]
	s_cbranch_vccnz .LBB105_1398
; %bb.1393:
	s_cmp_gt_i32 s8, 0
	s_cbranch_scc0 .LBB105_1395
; %bb.1394:
	global_load_sbyte v3, v[12:13], off
	s_movk_i32 s0, 0x7fff
	s_waitcnt vmcnt(0)
	v_cvt_f32_i32_e32 v3, v3
	v_bfe_u32 v5, v3, 16, 1
	v_add3_u32 v3, v3, v5, s0
	v_lshrrev_b32_e32 v3, 16, v3
	s_mov_b64 s[0:1], 0
	s_branch .LBB105_1396
.LBB105_1395:
	s_mov_b64 s[0:1], -1
                                        ; implicit-def: $vgpr3
.LBB105_1396:
	s_andn2_b64 vcc, exec, s[0:1]
	s_cbranch_vccnz .LBB105_1398
; %bb.1397:
	global_load_ubyte v3, v[12:13], off
	s_movk_i32 s0, 0x7fff
	s_waitcnt vmcnt(0)
	v_cvt_f32_ubyte0_e32 v3, v3
	v_bfe_u32 v5, v3, 16, 1
	v_add3_u32 v3, v3, v5, s0
	v_lshrrev_b32_e32 v3, 16, v3
.LBB105_1398:
.LBB105_1399:
	v_mov_b32_e32 v11, 0
	s_cmp_lt_i32 s17, 11
	v_lshl_add_u64 v[10:11], s[6:7], 0, v[10:11]
	s_cbranch_scc1 .LBB105_1406
; %bb.1400:
	s_and_b32 s18, 0xffff, s17
	s_cmp_gt_i32 s18, 25
	s_mov_b64 s[8:9], 0
	s_cbranch_scc0 .LBB105_1408
; %bb.1401:
	s_cmp_gt_i32 s18, 28
	s_cbranch_scc0 .LBB105_1409
; %bb.1402:
	s_cmp_gt_i32 s18, 43
	;; [unrolled: 3-line block ×3, first 2 shown]
	s_cbranch_scc0 .LBB105_1412
; %bb.1404:
	s_cmp_eq_u32 s18, 46
	s_mov_b64 s[12:13], 0
	s_cbranch_scc0 .LBB105_1413
; %bb.1405:
	global_load_dword v12, v[10:11], off
	s_mov_b64 s[0:1], 0
	s_mov_b64 s[10:11], -1
	s_branch .LBB105_1414
.LBB105_1406:
	s_mov_b64 s[10:11], 0
                                        ; implicit-def: $vgpr12
	s_cbranch_execnz .LBB105_1480
.LBB105_1407:
	s_andn2_b64 vcc, exec, s[10:11]
	s_cbranch_vccnz .LBB105_2091
	s_branch .LBB105_1528
.LBB105_1408:
	s_mov_b64 s[12:13], -1
	s_mov_b64 s[10:11], 0
	s_mov_b64 s[0:1], 0
                                        ; implicit-def: $vgpr12
	s_branch .LBB105_1443
.LBB105_1409:
	s_mov_b64 s[12:13], -1
	s_mov_b64 s[10:11], 0
	s_mov_b64 s[0:1], 0
                                        ; implicit-def: $vgpr12
	s_branch .LBB105_1424
.LBB105_1410:
	s_mov_b64 s[12:13], -1
	s_mov_b64 s[10:11], 0
	s_mov_b64 s[0:1], 0
                                        ; implicit-def: $vgpr12
	s_branch .LBB105_1419
.LBB105_1411:
	s_trap 2
	s_or_b64 s[2:3], s[2:3], exec
	s_cbranch_execz .LBB105_1350
	s_branch .LBB105_1351
.LBB105_1412:
	s_mov_b64 s[12:13], -1
	s_mov_b64 s[10:11], 0
	s_mov_b64 s[0:1], 0
                                        ; implicit-def: $vgpr12
	s_branch .LBB105_1414
.LBB105_1413:
	s_mov_b64 s[0:1], -1
                                        ; implicit-def: $vgpr12
	s_mov_b64 s[10:11], 0
.LBB105_1414:
	s_and_b64 vcc, exec, s[12:13]
	s_cbranch_vccz .LBB105_1418
; %bb.1415:
	s_cmp_eq_u32 s18, 44
	s_cbranch_scc0 .LBB105_1417
; %bb.1416:
	global_load_ubyte v5, v[10:11], off
	s_movk_i32 s10, 0xff
	v_mov_b32_e32 v7, 0x7f800001
	v_mov_b32_e32 v9, 0x400000
	s_waitcnt vmcnt(1)
	v_mov_b32_e32 v12, 0x7fc0
	s_mov_b64 s[0:1], 0
	s_waitcnt vmcnt(0)
	v_lshlrev_b32_e32 v13, 23, v5
	v_cmp_ne_u32_e32 vcc, s10, v5
	s_mov_b64 s[10:11], -1
	s_nop 0
	v_cndmask_b32_e32 v7, v7, v13, vcc
	v_cmp_ne_u32_e32 vcc, 0, v5
	s_nop 1
	v_cndmask_b32_e32 v5, v9, v7, vcc
	v_add_u32_e32 v7, 0x7fff, v5
	v_cmp_o_f32_e32 vcc, v5, v5
	s_nop 1
	v_cndmask_b32_sdwa v12, v12, v7, vcc dst_sel:DWORD dst_unused:UNUSED_PAD src0_sel:DWORD src1_sel:WORD_1
	s_branch .LBB105_1418
.LBB105_1417:
	s_mov_b64 s[0:1], -1
                                        ; implicit-def: $vgpr12
.LBB105_1418:
	s_mov_b64 s[12:13], 0
.LBB105_1419:
	s_and_b64 vcc, exec, s[12:13]
	s_cbranch_vccz .LBB105_1423
; %bb.1420:
	s_cmp_eq_u32 s18, 29
	s_cbranch_scc0 .LBB105_1422
; %bb.1421:
	global_load_dwordx2 v[12:13], v[10:11], off
	s_movk_i32 s10, 0x7fff
	s_mov_b64 s[0:1], 0
	s_mov_b64 s[12:13], 0
	s_waitcnt vmcnt(0)
	v_ffbh_u32_e32 v5, v13
	v_min_u32_e32 v5, 32, v5
	v_lshlrev_b64 v[12:13], v5, v[12:13]
	v_min_u32_e32 v7, 1, v12
	v_or_b32_e32 v7, v13, v7
	v_cvt_f32_u32_e32 v7, v7
	v_sub_u32_e32 v5, 32, v5
	v_ldexp_f32 v5, v7, v5
	v_bfe_u32 v7, v5, 16, 1
	v_add3_u32 v5, v5, v7, s10
	v_lshrrev_b32_e32 v12, 16, v5
	s_mov_b64 s[10:11], -1
	s_branch .LBB105_1424
.LBB105_1422:
	s_mov_b64 s[0:1], -1
                                        ; implicit-def: $vgpr12
.LBB105_1423:
	s_mov_b64 s[12:13], 0
.LBB105_1424:
	s_and_b64 vcc, exec, s[12:13]
	s_cbranch_vccz .LBB105_1442
; %bb.1425:
	s_cmp_lt_i32 s18, 27
	s_cbranch_scc1 .LBB105_1428
; %bb.1426:
	s_cmp_gt_i32 s18, 27
	s_cbranch_scc0 .LBB105_1429
; %bb.1427:
	global_load_dword v5, v[10:11], off
	s_movk_i32 s10, 0x7fff
	s_waitcnt vmcnt(0)
	v_cvt_f32_u32_e32 v5, v5
	v_bfe_u32 v7, v5, 16, 1
	v_add3_u32 v5, v5, v7, s10
	v_lshrrev_b32_e32 v12, 16, v5
	s_mov_b64 s[10:11], 0
	s_branch .LBB105_1430
.LBB105_1428:
	s_mov_b64 s[10:11], -1
                                        ; implicit-def: $vgpr12
	s_branch .LBB105_1433
.LBB105_1429:
	s_mov_b64 s[10:11], -1
                                        ; implicit-def: $vgpr12
.LBB105_1430:
	s_andn2_b64 vcc, exec, s[10:11]
	s_cbranch_vccnz .LBB105_1432
; %bb.1431:
	global_load_ushort v5, v[10:11], off
	s_movk_i32 s10, 0x7fff
	s_waitcnt vmcnt(0)
	v_cvt_f32_u32_e32 v5, v5
	v_bfe_u32 v7, v5, 16, 1
	v_add3_u32 v5, v5, v7, s10
	v_lshrrev_b32_e32 v12, 16, v5
.LBB105_1432:
	s_mov_b64 s[10:11], 0
.LBB105_1433:
	s_andn2_b64 vcc, exec, s[10:11]
	s_cbranch_vccnz .LBB105_1441
; %bb.1434:
	global_load_ubyte v5, v[10:11], off
	s_movk_i32 s10, 0x7f
	s_waitcnt vmcnt(0)
	v_cmp_lt_i16_e32 vcc, s10, v5
	s_mov_b64 s[10:11], 0
	s_and_saveexec_b64 s[12:13], vcc
	s_xor_b64 s[12:13], exec, s[12:13]
	s_cbranch_execz .LBB105_1455
; %bb.1435:
	s_movk_i32 s10, 0x80
	v_cmp_eq_u16_e32 vcc, s10, v5
	s_mov_b64 s[10:11], -1
	s_and_saveexec_b64 s[14:15], vcc
; %bb.1436:
	s_xor_b64 s[10:11], exec, -1
; %bb.1437:
	s_or_b64 exec, exec, s[14:15]
	s_and_b64 s[10:11], s[10:11], exec
	s_or_saveexec_b64 s[12:13], s[12:13]
	v_mov_b32_e32 v7, 0x7f800001
	s_xor_b64 exec, exec, s[12:13]
	s_cbranch_execnz .LBB105_1456
.LBB105_1438:
	s_or_b64 exec, exec, s[12:13]
	s_and_saveexec_b64 s[12:13], s[10:11]
	s_cbranch_execz .LBB105_1440
.LBB105_1439:
	v_lshlrev_b32_e32 v7, 24, v5
	v_and_b32_e32 v5, 0xffff, v5
	v_and_b32_e32 v9, 7, v5
	v_ffbh_u32_e32 v13, v9
	v_min_u32_e32 v13, 32, v13
	v_subrev_u32_e32 v14, 28, v13
	v_bfe_u32 v12, v5, 3, 4
	v_lshlrev_b32_e32 v5, v14, v5
	v_sub_u32_e32 v13, 29, v13
	v_and_b32_e32 v5, 7, v5
	v_cmp_eq_u32_e32 vcc, 0, v12
	v_and_b32_e32 v7, 0x80000000, v7
	s_nop 0
	v_cndmask_b32_e32 v12, v12, v13, vcc
	v_cndmask_b32_e32 v5, v9, v5, vcc
	v_mov_b32_e32 v9, 0x3b800000
	v_lshlrev_b32_e32 v5, 20, v5
	v_lshl_add_u32 v9, v12, 23, v9
	v_or3_b32 v7, v7, v9, v5
.LBB105_1440:
	s_or_b64 exec, exec, s[12:13]
	v_bfe_u32 v5, v7, 16, 1
	s_movk_i32 s10, 0x7fff
	v_add3_u32 v5, v7, v5, s10
	v_cmp_o_f32_e32 vcc, v7, v7
	v_mov_b32_e32 v7, 0x7fc0
	s_nop 0
	v_cndmask_b32_sdwa v12, v7, v5, vcc dst_sel:DWORD dst_unused:UNUSED_PAD src0_sel:DWORD src1_sel:WORD_1
.LBB105_1441:
	s_mov_b64 s[10:11], -1
.LBB105_1442:
	s_mov_b64 s[12:13], 0
.LBB105_1443:
	s_and_b64 vcc, exec, s[12:13]
	s_cbranch_vccz .LBB105_1476
; %bb.1444:
	s_cmp_gt_i32 s18, 22
	s_cbranch_scc0 .LBB105_1454
; %bb.1445:
	s_cmp_lt_i32 s18, 24
	s_cbranch_scc1 .LBB105_1457
; %bb.1446:
	s_cmp_gt_i32 s18, 24
	s_cbranch_scc0 .LBB105_1458
; %bb.1447:
	global_load_ubyte v5, v[10:11], off
	s_movk_i32 s8, 0x7f
	s_waitcnt vmcnt(0)
	v_cmp_lt_i16_e32 vcc, s8, v5
	s_mov_b64 s[8:9], 0
	s_and_saveexec_b64 s[10:11], vcc
	s_xor_b64 s[10:11], exec, s[10:11]
	s_cbranch_execz .LBB105_1470
; %bb.1448:
	s_movk_i32 s8, 0x80
	v_cmp_eq_u16_e32 vcc, s8, v5
	s_mov_b64 s[8:9], -1
	s_and_saveexec_b64 s[12:13], vcc
; %bb.1449:
	s_xor_b64 s[8:9], exec, -1
; %bb.1450:
	s_or_b64 exec, exec, s[12:13]
	s_and_b64 s[8:9], s[8:9], exec
	s_or_saveexec_b64 s[10:11], s[10:11]
	v_mov_b32_e32 v7, 0x7f800001
	s_xor_b64 exec, exec, s[10:11]
	s_cbranch_execnz .LBB105_1471
.LBB105_1451:
	s_or_b64 exec, exec, s[10:11]
	s_and_saveexec_b64 s[10:11], s[8:9]
	s_cbranch_execz .LBB105_1453
.LBB105_1452:
	v_lshlrev_b32_e32 v7, 24, v5
	v_and_b32_e32 v5, 0xffff, v5
	v_and_b32_e32 v9, 3, v5
	v_ffbh_u32_e32 v13, v9
	v_min_u32_e32 v13, 32, v13
	v_subrev_u32_e32 v14, 29, v13
	v_bfe_u32 v12, v5, 2, 5
	v_lshlrev_b32_e32 v5, v14, v5
	v_sub_u32_e32 v13, 30, v13
	v_and_b32_e32 v5, 3, v5
	v_cmp_eq_u32_e32 vcc, 0, v12
	v_and_b32_e32 v7, 0x80000000, v7
	s_nop 0
	v_cndmask_b32_e32 v12, v12, v13, vcc
	v_cndmask_b32_e32 v5, v9, v5, vcc
	v_mov_b32_e32 v9, 0x37800000
	v_lshlrev_b32_e32 v5, 21, v5
	v_lshl_add_u32 v9, v12, 23, v9
	v_or3_b32 v7, v7, v9, v5
.LBB105_1453:
	s_or_b64 exec, exec, s[10:11]
	v_bfe_u32 v5, v7, 16, 1
	s_movk_i32 s8, 0x7fff
	v_add3_u32 v5, v7, v5, s8
	v_cmp_o_f32_e32 vcc, v7, v7
	v_mov_b32_e32 v7, 0x7fc0
	s_mov_b64 s[8:9], 0
	v_cndmask_b32_sdwa v12, v7, v5, vcc dst_sel:DWORD dst_unused:UNUSED_PAD src0_sel:DWORD src1_sel:WORD_1
	s_branch .LBB105_1459
.LBB105_1454:
	s_mov_b64 s[8:9], -1
                                        ; implicit-def: $vgpr12
	s_branch .LBB105_1465
.LBB105_1455:
	s_or_saveexec_b64 s[12:13], s[12:13]
	v_mov_b32_e32 v7, 0x7f800001
	s_xor_b64 exec, exec, s[12:13]
	s_cbranch_execz .LBB105_1438
.LBB105_1456:
	v_cmp_ne_u16_e32 vcc, 0, v5
	s_andn2_b64 s[10:11], s[10:11], exec
	s_and_b64 s[14:15], vcc, exec
	v_mov_b32_e32 v7, 0
	s_or_b64 s[10:11], s[10:11], s[14:15]
	s_or_b64 exec, exec, s[12:13]
	s_and_saveexec_b64 s[12:13], s[10:11]
	s_cbranch_execnz .LBB105_1439
	s_branch .LBB105_1440
.LBB105_1457:
	s_mov_b64 s[8:9], -1
                                        ; implicit-def: $vgpr12
	s_branch .LBB105_1462
.LBB105_1458:
	s_mov_b64 s[8:9], -1
                                        ; implicit-def: $vgpr12
.LBB105_1459:
	s_and_b64 vcc, exec, s[8:9]
	s_cbranch_vccz .LBB105_1461
; %bb.1460:
	global_load_ubyte v5, v[10:11], off
	s_mov_b32 s8, 0x7f800000
	s_brev_b32 s9, 1
	s_movk_i32 s10, 0x7fff
	s_waitcnt vmcnt(0)
	v_lshlrev_b32_e32 v5, 24, v5
	v_and_b32_e32 v7, 0x7f000000, v5
	v_ffbh_u32_e32 v9, v7
	v_min_u32_e32 v9, 32, v9
	v_sub_u32_e64 v9, v9, 4 clamp
	v_lshlrev_b32_e32 v13, v9, v7
	v_lshlrev_b32_e32 v9, 23, v9
	v_lshrrev_b32_e32 v13, 4, v13
	v_add_u32_e32 v12, 0x1000000, v7
	v_sub_u32_e32 v9, v13, v9
	v_ashrrev_i32_e32 v12, 8, v12
	v_add_u32_e32 v9, 0x3c000000, v9
	v_and_or_b32 v9, v12, s8, v9
	v_cmp_ne_u32_e32 vcc, 0, v7
	s_nop 1
	v_cndmask_b32_e32 v7, 0, v9, vcc
	v_and_or_b32 v5, v5, s9, v7
	v_bfe_u32 v7, v7, 16, 1
	v_add3_u32 v7, v5, v7, s10
	v_cmp_o_f32_e32 vcc, v5, v5
	v_mov_b32_e32 v5, 0x7fc0
	s_nop 0
	v_cndmask_b32_sdwa v12, v5, v7, vcc dst_sel:DWORD dst_unused:UNUSED_PAD src0_sel:DWORD src1_sel:WORD_1
.LBB105_1461:
	s_mov_b64 s[8:9], 0
.LBB105_1462:
	s_andn2_b64 vcc, exec, s[8:9]
	s_cbranch_vccnz .LBB105_1464
; %bb.1463:
	global_load_ubyte v5, v[10:11], off
	s_movk_i32 s8, 0x7f00
	s_brev_b32 s9, 16
	s_brev_b32 s10, 1
	s_movk_i32 s11, 0x7fff
	s_waitcnt vmcnt(0)
	v_lshlrev_b16_e32 v7, 8, v5
	v_lshlrev_b32_e32 v5, 25, v5
	v_lshrrev_b32_e32 v9, 4, v5
	v_and_or_b32 v12, v7, s8, 0.5
	v_or_b32_e32 v9, 0x70000000, v9
	v_add_f32_e32 v12, -0.5, v12
	v_mul_f32_e32 v9, 0x7800000, v9
	v_cmp_gt_u32_e32 vcc, s9, v5
	v_bfe_i32 v7, v7, 0, 16
	s_nop 0
	v_cndmask_b32_e32 v5, v9, v12, vcc
	v_and_or_b32 v7, v7, s10, v5
	v_bfe_u32 v5, v5, 16, 1
	v_add3_u32 v5, v7, v5, s11
	v_cmp_o_f32_e32 vcc, v7, v7
	v_mov_b32_e32 v7, 0x7fc0
	s_nop 0
	v_cndmask_b32_sdwa v12, v7, v5, vcc dst_sel:DWORD dst_unused:UNUSED_PAD src0_sel:DWORD src1_sel:WORD_1
.LBB105_1464:
	s_mov_b64 s[8:9], 0
	s_mov_b64 s[10:11], -1
.LBB105_1465:
	s_andn2_b64 vcc, exec, s[8:9]
	s_mov_b64 s[8:9], 0
	s_cbranch_vccnz .LBB105_1476
; %bb.1466:
	s_cmp_gt_i32 s18, 14
	s_cbranch_scc0 .LBB105_1469
; %bb.1467:
	s_cmp_eq_u32 s18, 15
	s_cbranch_scc0 .LBB105_1472
; %bb.1468:
	global_load_ushort v12, v[10:11], off
	s_mov_b64 s[0:1], 0
	s_mov_b64 s[10:11], -1
	s_branch .LBB105_1473
.LBB105_1469:
	s_mov_b64 s[12:13], -1
                                        ; implicit-def: $vgpr12
	s_branch .LBB105_1474
.LBB105_1470:
	s_or_saveexec_b64 s[10:11], s[10:11]
	v_mov_b32_e32 v7, 0x7f800001
	s_xor_b64 exec, exec, s[10:11]
	s_cbranch_execz .LBB105_1451
.LBB105_1471:
	v_cmp_ne_u16_e32 vcc, 0, v5
	s_andn2_b64 s[8:9], s[8:9], exec
	s_and_b64 s[12:13], vcc, exec
	v_mov_b32_e32 v7, 0
	s_or_b64 s[8:9], s[8:9], s[12:13]
	s_or_b64 exec, exec, s[10:11]
	s_and_saveexec_b64 s[10:11], s[8:9]
	s_cbranch_execnz .LBB105_1452
	s_branch .LBB105_1453
.LBB105_1472:
	s_mov_b64 s[0:1], -1
                                        ; implicit-def: $vgpr12
.LBB105_1473:
	s_mov_b64 s[12:13], 0
.LBB105_1474:
	s_and_b64 vcc, exec, s[12:13]
	s_cbranch_vccz .LBB105_1476
; %bb.1475:
	s_cmp_lg_u32 s18, 11
	s_mov_b64 s[8:9], -1
	s_cselect_b64 s[0:1], -1, 0
.LBB105_1476:
	s_and_b64 vcc, exec, s[0:1]
	s_cbranch_vccnz .LBB105_1539
; %bb.1477:
	s_andn2_b64 vcc, exec, s[8:9]
	s_cbranch_vccnz .LBB105_1479
.LBB105_1478:
	global_load_ubyte v5, v[10:11], off
	s_mov_b64 s[10:11], -1
	s_waitcnt vmcnt(0)
	v_cmp_ne_u16_e32 vcc, 0, v5
	s_nop 1
	v_cndmask_b32_e64 v5, 0, 1.0, vcc
	v_lshrrev_b32_e32 v12, 16, v5
.LBB105_1479:
	s_branch .LBB105_1407
.LBB105_1480:
	s_and_b32 s8, 0xffff, s17
	s_cmp_lt_i32 s8, 5
	s_cbranch_scc1 .LBB105_1485
; %bb.1481:
	s_cmp_lt_i32 s8, 8
	s_cbranch_scc1 .LBB105_1486
; %bb.1482:
	;; [unrolled: 3-line block ×3, first 2 shown]
	s_cmp_gt_i32 s8, 9
	s_cbranch_scc0 .LBB105_1488
; %bb.1484:
	global_load_dwordx2 v[12:13], v[10:11], off
	s_movk_i32 s0, 0x7fff
	v_mov_b32_e32 v5, 0x7fc0
	s_waitcnt vmcnt(0)
	v_cvt_f32_f64_e32 v7, v[12:13]
	v_bfe_u32 v9, v7, 16, 1
	v_cmp_o_f32_e32 vcc, v7, v7
	v_add3_u32 v7, v7, v9, s0
	s_mov_b64 s[0:1], 0
	v_cndmask_b32_sdwa v12, v5, v7, vcc dst_sel:DWORD dst_unused:UNUSED_PAD src0_sel:DWORD src1_sel:WORD_1
	s_branch .LBB105_1489
.LBB105_1485:
	s_mov_b64 s[0:1], -1
                                        ; implicit-def: $vgpr12
	s_branch .LBB105_1507
.LBB105_1486:
	s_mov_b64 s[0:1], -1
                                        ; implicit-def: $vgpr12
	s_branch .LBB105_1495
.LBB105_1487:
	s_mov_b64 s[0:1], -1
                                        ; implicit-def: $vgpr12
	s_branch .LBB105_1492
.LBB105_1488:
	s_mov_b64 s[0:1], -1
                                        ; implicit-def: $vgpr12
.LBB105_1489:
	s_andn2_b64 vcc, exec, s[0:1]
	s_cbranch_vccnz .LBB105_1491
; %bb.1490:
	global_load_dword v5, v[10:11], off
	s_movk_i32 s0, 0x7fff
	v_mov_b32_e32 v7, 0x7fc0
	s_waitcnt vmcnt(0)
	v_bfe_u32 v9, v5, 16, 1
	v_cmp_o_f32_e32 vcc, v5, v5
	v_add3_u32 v5, v5, v9, s0
	s_nop 0
	v_cndmask_b32_sdwa v12, v7, v5, vcc dst_sel:DWORD dst_unused:UNUSED_PAD src0_sel:DWORD src1_sel:WORD_1
.LBB105_1491:
	s_mov_b64 s[0:1], 0
.LBB105_1492:
	s_andn2_b64 vcc, exec, s[0:1]
	s_cbranch_vccnz .LBB105_1494
; %bb.1493:
	global_load_dword v5, v[10:11], off
	s_movk_i32 s0, 0x7fff
	v_mov_b32_e32 v9, 0x7fc0
	s_waitcnt vmcnt(0)
	v_cvt_f32_f16_e32 v7, v5
	v_cmp_o_f16_e32 vcc, v5, v5
	v_bfe_u32 v5, v7, 16, 1
	v_add3_u32 v5, v7, v5, s0
	v_cndmask_b32_sdwa v12, v9, v5, vcc dst_sel:DWORD dst_unused:UNUSED_PAD src0_sel:DWORD src1_sel:WORD_1
.LBB105_1494:
	s_mov_b64 s[0:1], 0
.LBB105_1495:
	s_andn2_b64 vcc, exec, s[0:1]
	s_cbranch_vccnz .LBB105_1506
; %bb.1496:
	s_cmp_lt_i32 s8, 6
	s_cbranch_scc1 .LBB105_1499
; %bb.1497:
	s_cmp_gt_i32 s8, 6
	s_cbranch_scc0 .LBB105_1500
; %bb.1498:
	global_load_dwordx2 v[12:13], v[10:11], off
	s_movk_i32 s0, 0x7fff
	v_mov_b32_e32 v5, 0x7fc0
	s_waitcnt vmcnt(0)
	v_cvt_f32_f64_e32 v7, v[12:13]
	v_bfe_u32 v9, v7, 16, 1
	v_cmp_o_f32_e32 vcc, v7, v7
	v_add3_u32 v7, v7, v9, s0
	s_mov_b64 s[0:1], 0
	v_cndmask_b32_sdwa v12, v5, v7, vcc dst_sel:DWORD dst_unused:UNUSED_PAD src0_sel:DWORD src1_sel:WORD_1
	s_branch .LBB105_1501
.LBB105_1499:
	s_mov_b64 s[0:1], -1
                                        ; implicit-def: $vgpr12
	s_branch .LBB105_1504
.LBB105_1500:
	s_mov_b64 s[0:1], -1
                                        ; implicit-def: $vgpr12
.LBB105_1501:
	s_andn2_b64 vcc, exec, s[0:1]
	s_cbranch_vccnz .LBB105_1503
; %bb.1502:
	global_load_dword v5, v[10:11], off
	s_movk_i32 s0, 0x7fff
	v_mov_b32_e32 v7, 0x7fc0
	s_waitcnt vmcnt(0)
	v_bfe_u32 v9, v5, 16, 1
	v_cmp_o_f32_e32 vcc, v5, v5
	v_add3_u32 v5, v5, v9, s0
	s_nop 0
	v_cndmask_b32_sdwa v12, v7, v5, vcc dst_sel:DWORD dst_unused:UNUSED_PAD src0_sel:DWORD src1_sel:WORD_1
.LBB105_1503:
	s_mov_b64 s[0:1], 0
.LBB105_1504:
	s_andn2_b64 vcc, exec, s[0:1]
	s_cbranch_vccnz .LBB105_1506
; %bb.1505:
	global_load_ushort v5, v[10:11], off
	s_movk_i32 s0, 0x7fff
	v_mov_b32_e32 v9, 0x7fc0
	s_waitcnt vmcnt(0)
	v_cvt_f32_f16_e32 v7, v5
	v_cmp_o_f16_e32 vcc, v5, v5
	v_bfe_u32 v5, v7, 16, 1
	v_add3_u32 v5, v7, v5, s0
	v_cndmask_b32_sdwa v12, v9, v5, vcc dst_sel:DWORD dst_unused:UNUSED_PAD src0_sel:DWORD src1_sel:WORD_1
.LBB105_1506:
	s_mov_b64 s[0:1], 0
.LBB105_1507:
	s_andn2_b64 vcc, exec, s[0:1]
	s_cbranch_vccnz .LBB105_1527
; %bb.1508:
	s_cmp_lt_i32 s8, 2
	s_cbranch_scc1 .LBB105_1512
; %bb.1509:
	s_cmp_lt_i32 s8, 3
	s_cbranch_scc1 .LBB105_1513
; %bb.1510:
	s_cmp_gt_i32 s8, 3
	s_cbranch_scc0 .LBB105_1514
; %bb.1511:
	global_load_dwordx2 v[12:13], v[10:11], off
	s_movk_i32 s0, 0x7fff
	s_waitcnt vmcnt(0)
	v_xor_b32_e32 v7, v12, v13
	v_ffbh_i32_e32 v5, v13
	v_ashrrev_i32_e32 v7, 31, v7
	v_add_u32_e32 v5, -1, v5
	v_add_u32_e32 v7, 32, v7
	v_min_u32_e32 v5, v5, v7
	v_lshlrev_b64 v[12:13], v5, v[12:13]
	v_min_u32_e32 v7, 1, v12
	v_or_b32_e32 v7, v13, v7
	v_cvt_f32_i32_e32 v7, v7
	v_sub_u32_e32 v5, 32, v5
	v_ldexp_f32 v5, v7, v5
	v_bfe_u32 v7, v5, 16, 1
	v_add3_u32 v5, v5, v7, s0
	v_lshrrev_b32_e32 v12, 16, v5
	s_mov_b64 s[0:1], 0
	s_branch .LBB105_1515
.LBB105_1512:
	s_mov_b64 s[0:1], -1
                                        ; implicit-def: $vgpr12
	s_branch .LBB105_1521
.LBB105_1513:
	s_mov_b64 s[0:1], -1
                                        ; implicit-def: $vgpr12
	s_branch .LBB105_1518
.LBB105_1514:
	s_mov_b64 s[0:1], -1
                                        ; implicit-def: $vgpr12
.LBB105_1515:
	s_andn2_b64 vcc, exec, s[0:1]
	s_cbranch_vccnz .LBB105_1517
; %bb.1516:
	global_load_dword v5, v[10:11], off
	s_movk_i32 s0, 0x7fff
	s_waitcnt vmcnt(0)
	v_cvt_f32_i32_e32 v5, v5
	v_bfe_u32 v7, v5, 16, 1
	v_add3_u32 v5, v5, v7, s0
	v_lshrrev_b32_e32 v12, 16, v5
.LBB105_1517:
	s_mov_b64 s[0:1], 0
.LBB105_1518:
	s_andn2_b64 vcc, exec, s[0:1]
	s_cbranch_vccnz .LBB105_1520
; %bb.1519:
	global_load_sshort v5, v[10:11], off
	s_movk_i32 s0, 0x7fff
	s_waitcnt vmcnt(0)
	v_cvt_f32_i32_e32 v5, v5
	v_bfe_u32 v7, v5, 16, 1
	v_add3_u32 v5, v5, v7, s0
	v_lshrrev_b32_e32 v12, 16, v5
.LBB105_1520:
	s_mov_b64 s[0:1], 0
.LBB105_1521:
	s_andn2_b64 vcc, exec, s[0:1]
	s_cbranch_vccnz .LBB105_1527
; %bb.1522:
	s_cmp_gt_i32 s8, 0
	s_cbranch_scc0 .LBB105_1524
; %bb.1523:
	global_load_sbyte v5, v[10:11], off
	s_movk_i32 s0, 0x7fff
	s_waitcnt vmcnt(0)
	v_cvt_f32_i32_e32 v5, v5
	v_bfe_u32 v7, v5, 16, 1
	v_add3_u32 v5, v5, v7, s0
	v_lshrrev_b32_e32 v12, 16, v5
	s_mov_b64 s[0:1], 0
	s_branch .LBB105_1525
.LBB105_1524:
	s_mov_b64 s[0:1], -1
                                        ; implicit-def: $vgpr12
.LBB105_1525:
	s_andn2_b64 vcc, exec, s[0:1]
	s_cbranch_vccnz .LBB105_1527
; %bb.1526:
	global_load_ubyte v5, v[10:11], off
	s_movk_i32 s0, 0x7fff
	s_waitcnt vmcnt(0)
	v_cvt_f32_ubyte0_e32 v5, v5
	v_bfe_u32 v7, v5, 16, 1
	v_add3_u32 v5, v5, v7, s0
	v_lshrrev_b32_e32 v12, 16, v5
.LBB105_1527:
.LBB105_1528:
	v_mov_b32_e32 v9, 0
	s_cmp_lt_i32 s17, 11
	v_lshl_add_u64 v[8:9], s[6:7], 0, v[8:9]
	s_cbranch_scc1 .LBB105_1535
; %bb.1529:
	s_and_b32 s14, 0xffff, s17
	s_cmp_gt_i32 s14, 25
	s_mov_b64 s[6:7], 0
	s_cbranch_scc0 .LBB105_1536
; %bb.1530:
	s_cmp_gt_i32 s14, 28
	s_cbranch_scc0 .LBB105_1537
; %bb.1531:
	s_cmp_gt_i32 s14, 43
	;; [unrolled: 3-line block ×3, first 2 shown]
	s_cbranch_scc0 .LBB105_1540
; %bb.1533:
	s_cmp_eq_u32 s14, 46
	s_mov_b64 s[10:11], 0
	s_cbranch_scc0 .LBB105_1541
; %bb.1534:
	global_load_dword v10, v[8:9], off
	s_mov_b64 s[0:1], 0
	s_mov_b64 s[8:9], -1
	s_branch .LBB105_1542
.LBB105_1535:
	s_mov_b64 s[0:1], -1
	s_mov_b64 s[8:9], 0
                                        ; implicit-def: $vgpr10
	s_branch .LBB105_1608
.LBB105_1536:
	s_mov_b64 s[10:11], -1
	s_mov_b64 s[8:9], 0
	s_mov_b64 s[0:1], 0
                                        ; implicit-def: $vgpr10
	s_branch .LBB105_1571
.LBB105_1537:
	s_mov_b64 s[10:11], -1
	s_mov_b64 s[8:9], 0
	s_mov_b64 s[0:1], 0
                                        ; implicit-def: $vgpr10
	s_branch .LBB105_1552
.LBB105_1538:
	s_mov_b64 s[10:11], -1
	s_mov_b64 s[8:9], 0
	s_mov_b64 s[0:1], 0
                                        ; implicit-def: $vgpr10
	s_branch .LBB105_1547
.LBB105_1539:
	s_trap 2
	s_or_b64 s[2:3], s[2:3], exec
	s_cbranch_execz .LBB105_1478
	s_branch .LBB105_1479
.LBB105_1540:
	s_mov_b64 s[10:11], -1
	s_mov_b64 s[8:9], 0
	s_mov_b64 s[0:1], 0
                                        ; implicit-def: $vgpr10
	s_branch .LBB105_1542
.LBB105_1541:
	s_mov_b64 s[0:1], -1
                                        ; implicit-def: $vgpr10
	s_mov_b64 s[8:9], 0
.LBB105_1542:
	s_and_b64 vcc, exec, s[10:11]
	s_cbranch_vccz .LBB105_1546
; %bb.1543:
	s_cmp_eq_u32 s14, 44
	s_cbranch_scc0 .LBB105_1545
; %bb.1544:
	global_load_ubyte v5, v[8:9], off
	s_movk_i32 s8, 0xff
	v_mov_b32_e32 v7, 0x7f800001
	s_waitcnt vmcnt(1)
	v_mov_b32_e32 v10, 0x400000
	v_mov_b32_e32 v11, 0x7fc0
	s_mov_b64 s[0:1], 0
	s_waitcnt vmcnt(0)
	v_lshlrev_b32_e32 v13, 23, v5
	v_cmp_ne_u32_e32 vcc, s8, v5
	s_mov_b64 s[8:9], -1
	s_nop 0
	v_cndmask_b32_e32 v7, v7, v13, vcc
	v_cmp_ne_u32_e32 vcc, 0, v5
	s_nop 1
	v_cndmask_b32_e32 v5, v10, v7, vcc
	v_add_u32_e32 v7, 0x7fff, v5
	v_cmp_o_f32_e32 vcc, v5, v5
	s_nop 1
	v_cndmask_b32_sdwa v10, v11, v7, vcc dst_sel:DWORD dst_unused:UNUSED_PAD src0_sel:DWORD src1_sel:WORD_1
	s_branch .LBB105_1546
.LBB105_1545:
	s_mov_b64 s[0:1], -1
                                        ; implicit-def: $vgpr10
.LBB105_1546:
	s_mov_b64 s[10:11], 0
.LBB105_1547:
	s_and_b64 vcc, exec, s[10:11]
	s_cbranch_vccz .LBB105_1551
; %bb.1548:
	s_cmp_eq_u32 s14, 29
	s_cbranch_scc0 .LBB105_1550
; %bb.1549:
	global_load_dwordx2 v[10:11], v[8:9], off
	s_movk_i32 s8, 0x7fff
	s_mov_b64 s[0:1], 0
	s_mov_b64 s[10:11], 0
	s_waitcnt vmcnt(0)
	v_ffbh_u32_e32 v5, v11
	v_min_u32_e32 v5, 32, v5
	v_lshlrev_b64 v[10:11], v5, v[10:11]
	v_min_u32_e32 v7, 1, v10
	v_or_b32_e32 v7, v11, v7
	v_cvt_f32_u32_e32 v7, v7
	v_sub_u32_e32 v5, 32, v5
	v_ldexp_f32 v5, v7, v5
	v_bfe_u32 v7, v5, 16, 1
	v_add3_u32 v5, v5, v7, s8
	v_lshrrev_b32_e32 v10, 16, v5
	s_mov_b64 s[8:9], -1
	s_branch .LBB105_1552
.LBB105_1550:
	s_mov_b64 s[0:1], -1
                                        ; implicit-def: $vgpr10
.LBB105_1551:
	s_mov_b64 s[10:11], 0
.LBB105_1552:
	s_and_b64 vcc, exec, s[10:11]
	s_cbranch_vccz .LBB105_1570
; %bb.1553:
	s_cmp_lt_i32 s14, 27
	s_cbranch_scc1 .LBB105_1556
; %bb.1554:
	s_cmp_gt_i32 s14, 27
	s_cbranch_scc0 .LBB105_1557
; %bb.1555:
	global_load_dword v5, v[8:9], off
	s_movk_i32 s8, 0x7fff
	s_waitcnt vmcnt(0)
	v_cvt_f32_u32_e32 v5, v5
	v_bfe_u32 v7, v5, 16, 1
	v_add3_u32 v5, v5, v7, s8
	v_lshrrev_b32_e32 v10, 16, v5
	s_mov_b64 s[8:9], 0
	s_branch .LBB105_1558
.LBB105_1556:
	s_mov_b64 s[8:9], -1
                                        ; implicit-def: $vgpr10
	s_branch .LBB105_1561
.LBB105_1557:
	s_mov_b64 s[8:9], -1
                                        ; implicit-def: $vgpr10
.LBB105_1558:
	s_andn2_b64 vcc, exec, s[8:9]
	s_cbranch_vccnz .LBB105_1560
; %bb.1559:
	global_load_ushort v5, v[8:9], off
	s_movk_i32 s8, 0x7fff
	s_waitcnt vmcnt(0)
	v_cvt_f32_u32_e32 v5, v5
	v_bfe_u32 v7, v5, 16, 1
	v_add3_u32 v5, v5, v7, s8
	v_lshrrev_b32_e32 v10, 16, v5
.LBB105_1560:
	s_mov_b64 s[8:9], 0
.LBB105_1561:
	s_andn2_b64 vcc, exec, s[8:9]
	s_cbranch_vccnz .LBB105_1569
; %bb.1562:
	global_load_ubyte v5, v[8:9], off
	s_movk_i32 s8, 0x7f
	s_waitcnt vmcnt(0)
	v_cmp_lt_i16_e32 vcc, s8, v5
	s_mov_b64 s[8:9], 0
	s_and_saveexec_b64 s[10:11], vcc
	s_xor_b64 s[10:11], exec, s[10:11]
	s_cbranch_execz .LBB105_1583
; %bb.1563:
	s_movk_i32 s8, 0x80
	v_cmp_eq_u16_e32 vcc, s8, v5
	s_mov_b64 s[8:9], -1
	s_and_saveexec_b64 s[12:13], vcc
; %bb.1564:
	s_xor_b64 s[8:9], exec, -1
; %bb.1565:
	s_or_b64 exec, exec, s[12:13]
	s_and_b64 s[8:9], s[8:9], exec
	s_or_saveexec_b64 s[10:11], s[10:11]
	v_mov_b32_e32 v7, 0x7f800001
	s_xor_b64 exec, exec, s[10:11]
	s_cbranch_execnz .LBB105_1584
.LBB105_1566:
	s_or_b64 exec, exec, s[10:11]
	s_and_saveexec_b64 s[10:11], s[8:9]
	s_cbranch_execz .LBB105_1568
.LBB105_1567:
	v_lshlrev_b32_e32 v7, 24, v5
	v_and_b32_e32 v5, 0xffff, v5
	v_and_b32_e32 v10, 7, v5
	v_ffbh_u32_e32 v13, v10
	v_min_u32_e32 v13, 32, v13
	v_subrev_u32_e32 v14, 28, v13
	v_bfe_u32 v11, v5, 3, 4
	v_lshlrev_b32_e32 v5, v14, v5
	v_sub_u32_e32 v13, 29, v13
	v_and_b32_e32 v5, 7, v5
	v_cmp_eq_u32_e32 vcc, 0, v11
	v_and_b32_e32 v7, 0x80000000, v7
	s_nop 0
	v_cndmask_b32_e32 v11, v11, v13, vcc
	v_cndmask_b32_e32 v5, v10, v5, vcc
	v_mov_b32_e32 v10, 0x3b800000
	v_lshlrev_b32_e32 v5, 20, v5
	v_lshl_add_u32 v10, v11, 23, v10
	v_or3_b32 v7, v7, v10, v5
.LBB105_1568:
	s_or_b64 exec, exec, s[10:11]
	v_bfe_u32 v5, v7, 16, 1
	s_movk_i32 s8, 0x7fff
	v_add3_u32 v5, v7, v5, s8
	v_cmp_o_f32_e32 vcc, v7, v7
	v_mov_b32_e32 v7, 0x7fc0
	s_nop 0
	v_cndmask_b32_sdwa v10, v7, v5, vcc dst_sel:DWORD dst_unused:UNUSED_PAD src0_sel:DWORD src1_sel:WORD_1
.LBB105_1569:
	s_mov_b64 s[8:9], -1
.LBB105_1570:
	s_mov_b64 s[10:11], 0
.LBB105_1571:
	s_and_b64 vcc, exec, s[10:11]
	s_cbranch_vccz .LBB105_1604
; %bb.1572:
	s_cmp_gt_i32 s14, 22
	s_cbranch_scc0 .LBB105_1582
; %bb.1573:
	s_cmp_lt_i32 s14, 24
	s_cbranch_scc1 .LBB105_1585
; %bb.1574:
	s_cmp_gt_i32 s14, 24
	s_cbranch_scc0 .LBB105_1586
; %bb.1575:
	global_load_ubyte v5, v[8:9], off
	s_movk_i32 s6, 0x7f
	s_waitcnt vmcnt(0)
	v_cmp_lt_i16_e32 vcc, s6, v5
	s_mov_b64 s[6:7], 0
	s_and_saveexec_b64 s[8:9], vcc
	s_xor_b64 s[8:9], exec, s[8:9]
	s_cbranch_execz .LBB105_1598
; %bb.1576:
	s_movk_i32 s6, 0x80
	v_cmp_eq_u16_e32 vcc, s6, v5
	s_mov_b64 s[6:7], -1
	s_and_saveexec_b64 s[10:11], vcc
; %bb.1577:
	s_xor_b64 s[6:7], exec, -1
; %bb.1578:
	s_or_b64 exec, exec, s[10:11]
	s_and_b64 s[6:7], s[6:7], exec
	s_or_saveexec_b64 s[8:9], s[8:9]
	v_mov_b32_e32 v7, 0x7f800001
	s_xor_b64 exec, exec, s[8:9]
	s_cbranch_execnz .LBB105_1599
.LBB105_1579:
	s_or_b64 exec, exec, s[8:9]
	s_and_saveexec_b64 s[8:9], s[6:7]
	s_cbranch_execz .LBB105_1581
.LBB105_1580:
	v_lshlrev_b32_e32 v7, 24, v5
	v_and_b32_e32 v5, 0xffff, v5
	v_and_b32_e32 v10, 3, v5
	v_ffbh_u32_e32 v13, v10
	v_min_u32_e32 v13, 32, v13
	v_subrev_u32_e32 v14, 29, v13
	v_bfe_u32 v11, v5, 2, 5
	v_lshlrev_b32_e32 v5, v14, v5
	v_sub_u32_e32 v13, 30, v13
	v_and_b32_e32 v5, 3, v5
	v_cmp_eq_u32_e32 vcc, 0, v11
	v_and_b32_e32 v7, 0x80000000, v7
	s_nop 0
	v_cndmask_b32_e32 v11, v11, v13, vcc
	v_cndmask_b32_e32 v5, v10, v5, vcc
	v_mov_b32_e32 v10, 0x37800000
	v_lshlrev_b32_e32 v5, 21, v5
	v_lshl_add_u32 v10, v11, 23, v10
	v_or3_b32 v7, v7, v10, v5
.LBB105_1581:
	s_or_b64 exec, exec, s[8:9]
	v_bfe_u32 v5, v7, 16, 1
	s_movk_i32 s6, 0x7fff
	v_add3_u32 v5, v7, v5, s6
	v_cmp_o_f32_e32 vcc, v7, v7
	v_mov_b32_e32 v7, 0x7fc0
	s_mov_b64 s[6:7], 0
	v_cndmask_b32_sdwa v10, v7, v5, vcc dst_sel:DWORD dst_unused:UNUSED_PAD src0_sel:DWORD src1_sel:WORD_1
	s_branch .LBB105_1587
.LBB105_1582:
	s_mov_b64 s[6:7], -1
                                        ; implicit-def: $vgpr10
	s_branch .LBB105_1593
.LBB105_1583:
	s_or_saveexec_b64 s[10:11], s[10:11]
	v_mov_b32_e32 v7, 0x7f800001
	s_xor_b64 exec, exec, s[10:11]
	s_cbranch_execz .LBB105_1566
.LBB105_1584:
	v_cmp_ne_u16_e32 vcc, 0, v5
	s_andn2_b64 s[8:9], s[8:9], exec
	s_and_b64 s[12:13], vcc, exec
	v_mov_b32_e32 v7, 0
	s_or_b64 s[8:9], s[8:9], s[12:13]
	s_or_b64 exec, exec, s[10:11]
	s_and_saveexec_b64 s[10:11], s[8:9]
	s_cbranch_execnz .LBB105_1567
	s_branch .LBB105_1568
.LBB105_1585:
	s_mov_b64 s[6:7], -1
                                        ; implicit-def: $vgpr10
	s_branch .LBB105_1590
.LBB105_1586:
	s_mov_b64 s[6:7], -1
                                        ; implicit-def: $vgpr10
.LBB105_1587:
	s_and_b64 vcc, exec, s[6:7]
	s_cbranch_vccz .LBB105_1589
; %bb.1588:
	global_load_ubyte v5, v[8:9], off
	s_mov_b32 s6, 0x7f800000
	s_brev_b32 s7, 1
	s_movk_i32 s8, 0x7fff
	s_waitcnt vmcnt(0)
	v_lshlrev_b32_e32 v5, 24, v5
	v_and_b32_e32 v7, 0x7f000000, v5
	v_ffbh_u32_e32 v10, v7
	v_min_u32_e32 v10, 32, v10
	v_sub_u32_e64 v10, v10, 4 clamp
	v_lshlrev_b32_e32 v13, v10, v7
	v_lshlrev_b32_e32 v10, 23, v10
	v_lshrrev_b32_e32 v13, 4, v13
	v_add_u32_e32 v11, 0x1000000, v7
	v_sub_u32_e32 v10, v13, v10
	v_ashrrev_i32_e32 v11, 8, v11
	v_add_u32_e32 v10, 0x3c000000, v10
	v_and_or_b32 v10, v11, s6, v10
	v_cmp_ne_u32_e32 vcc, 0, v7
	s_nop 1
	v_cndmask_b32_e32 v7, 0, v10, vcc
	v_and_or_b32 v5, v5, s7, v7
	v_bfe_u32 v7, v7, 16, 1
	v_add3_u32 v7, v5, v7, s8
	v_cmp_o_f32_e32 vcc, v5, v5
	v_mov_b32_e32 v5, 0x7fc0
	s_nop 0
	v_cndmask_b32_sdwa v10, v5, v7, vcc dst_sel:DWORD dst_unused:UNUSED_PAD src0_sel:DWORD src1_sel:WORD_1
.LBB105_1589:
	s_mov_b64 s[6:7], 0
.LBB105_1590:
	s_andn2_b64 vcc, exec, s[6:7]
	s_cbranch_vccnz .LBB105_1592
; %bb.1591:
	global_load_ubyte v5, v[8:9], off
	s_movk_i32 s6, 0x7f00
	s_brev_b32 s7, 16
	s_brev_b32 s8, 1
	s_movk_i32 s9, 0x7fff
	s_waitcnt vmcnt(0)
	v_lshlrev_b16_e32 v7, 8, v5
	v_lshlrev_b32_e32 v5, 25, v5
	v_lshrrev_b32_e32 v10, 4, v5
	v_and_or_b32 v11, v7, s6, 0.5
	v_or_b32_e32 v10, 0x70000000, v10
	v_add_f32_e32 v11, -0.5, v11
	v_mul_f32_e32 v10, 0x7800000, v10
	v_cmp_gt_u32_e32 vcc, s7, v5
	v_bfe_i32 v7, v7, 0, 16
	s_nop 0
	v_cndmask_b32_e32 v5, v10, v11, vcc
	v_and_or_b32 v7, v7, s8, v5
	v_bfe_u32 v5, v5, 16, 1
	v_add3_u32 v5, v7, v5, s9
	v_cmp_o_f32_e32 vcc, v7, v7
	v_mov_b32_e32 v7, 0x7fc0
	s_nop 0
	v_cndmask_b32_sdwa v10, v7, v5, vcc dst_sel:DWORD dst_unused:UNUSED_PAD src0_sel:DWORD src1_sel:WORD_1
.LBB105_1592:
	s_mov_b64 s[6:7], 0
	s_mov_b64 s[8:9], -1
.LBB105_1593:
	s_andn2_b64 vcc, exec, s[6:7]
	s_mov_b64 s[6:7], 0
	s_cbranch_vccnz .LBB105_1604
; %bb.1594:
	s_cmp_gt_i32 s14, 14
	s_cbranch_scc0 .LBB105_1597
; %bb.1595:
	s_cmp_eq_u32 s14, 15
	s_cbranch_scc0 .LBB105_1600
; %bb.1596:
	global_load_ushort v10, v[8:9], off
	s_mov_b64 s[0:1], 0
	s_mov_b64 s[8:9], -1
	s_branch .LBB105_1601
.LBB105_1597:
	s_mov_b64 s[10:11], -1
                                        ; implicit-def: $vgpr10
	s_branch .LBB105_1602
.LBB105_1598:
	s_or_saveexec_b64 s[8:9], s[8:9]
	v_mov_b32_e32 v7, 0x7f800001
	s_xor_b64 exec, exec, s[8:9]
	s_cbranch_execz .LBB105_1579
.LBB105_1599:
	v_cmp_ne_u16_e32 vcc, 0, v5
	s_andn2_b64 s[6:7], s[6:7], exec
	s_and_b64 s[10:11], vcc, exec
	v_mov_b32_e32 v7, 0
	s_or_b64 s[6:7], s[6:7], s[10:11]
	s_or_b64 exec, exec, s[8:9]
	s_and_saveexec_b64 s[8:9], s[6:7]
	s_cbranch_execnz .LBB105_1580
	s_branch .LBB105_1581
.LBB105_1600:
	s_mov_b64 s[0:1], -1
                                        ; implicit-def: $vgpr10
.LBB105_1601:
	s_mov_b64 s[10:11], 0
.LBB105_1602:
	s_and_b64 vcc, exec, s[10:11]
	s_cbranch_vccz .LBB105_1604
; %bb.1603:
	s_cmp_lg_u32 s14, 11
	s_mov_b64 s[6:7], -1
	s_cselect_b64 s[0:1], -1, 0
.LBB105_1604:
	s_and_b64 vcc, exec, s[0:1]
	s_cbranch_vccnz .LBB105_2137
; %bb.1605:
	s_andn2_b64 vcc, exec, s[6:7]
	s_cbranch_vccnz .LBB105_1607
.LBB105_1606:
	global_load_ubyte v5, v[8:9], off
	s_mov_b64 s[8:9], -1
	s_waitcnt vmcnt(0)
	v_cmp_ne_u16_e32 vcc, 0, v5
	s_nop 1
	v_cndmask_b32_e64 v5, 0, 1.0, vcc
	v_lshrrev_b32_e32 v10, 16, v5
.LBB105_1607:
	s_mov_b64 s[0:1], 0
.LBB105_1608:
	s_and_b64 vcc, exec, s[0:1]
	s_cbranch_vccz .LBB105_1657
; %bb.1609:
	s_and_b32 s6, 0xffff, s17
	s_cmp_lt_i32 s6, 5
	s_cbranch_scc1 .LBB105_1614
; %bb.1610:
	s_cmp_lt_i32 s6, 8
	s_cbranch_scc1 .LBB105_1615
; %bb.1611:
	;; [unrolled: 3-line block ×3, first 2 shown]
	s_cmp_gt_i32 s6, 9
	s_cbranch_scc0 .LBB105_1617
; %bb.1613:
	global_load_dwordx2 v[10:11], v[8:9], off
	s_movk_i32 s0, 0x7fff
	v_mov_b32_e32 v5, 0x7fc0
	s_waitcnt vmcnt(0)
	v_cvt_f32_f64_e32 v7, v[10:11]
	v_bfe_u32 v10, v7, 16, 1
	v_cmp_o_f32_e32 vcc, v7, v7
	v_add3_u32 v7, v7, v10, s0
	s_mov_b64 s[0:1], 0
	v_cndmask_b32_sdwa v10, v5, v7, vcc dst_sel:DWORD dst_unused:UNUSED_PAD src0_sel:DWORD src1_sel:WORD_1
	s_branch .LBB105_1618
.LBB105_1614:
	s_mov_b64 s[0:1], -1
                                        ; implicit-def: $vgpr10
	s_branch .LBB105_1636
.LBB105_1615:
	s_mov_b64 s[0:1], -1
                                        ; implicit-def: $vgpr10
	s_branch .LBB105_1624
.LBB105_1616:
	s_mov_b64 s[0:1], -1
                                        ; implicit-def: $vgpr10
	s_branch .LBB105_1621
.LBB105_1617:
	s_mov_b64 s[0:1], -1
                                        ; implicit-def: $vgpr10
.LBB105_1618:
	s_andn2_b64 vcc, exec, s[0:1]
	s_cbranch_vccnz .LBB105_1620
; %bb.1619:
	global_load_dword v5, v[8:9], off
	s_movk_i32 s0, 0x7fff
	v_mov_b32_e32 v7, 0x7fc0
	s_waitcnt vmcnt(0)
	v_bfe_u32 v10, v5, 16, 1
	v_cmp_o_f32_e32 vcc, v5, v5
	v_add3_u32 v5, v5, v10, s0
	s_nop 0
	v_cndmask_b32_sdwa v10, v7, v5, vcc dst_sel:DWORD dst_unused:UNUSED_PAD src0_sel:DWORD src1_sel:WORD_1
.LBB105_1620:
	s_mov_b64 s[0:1], 0
.LBB105_1621:
	s_andn2_b64 vcc, exec, s[0:1]
	s_cbranch_vccnz .LBB105_1623
; %bb.1622:
	global_load_dword v5, v[8:9], off
	s_movk_i32 s0, 0x7fff
	s_waitcnt vmcnt(1)
	v_mov_b32_e32 v10, 0x7fc0
	s_waitcnt vmcnt(0)
	v_cvt_f32_f16_e32 v7, v5
	v_cmp_o_f16_e32 vcc, v5, v5
	v_bfe_u32 v5, v7, 16, 1
	v_add3_u32 v5, v7, v5, s0
	v_cndmask_b32_sdwa v10, v10, v5, vcc dst_sel:DWORD dst_unused:UNUSED_PAD src0_sel:DWORD src1_sel:WORD_1
.LBB105_1623:
	s_mov_b64 s[0:1], 0
.LBB105_1624:
	s_andn2_b64 vcc, exec, s[0:1]
	s_cbranch_vccnz .LBB105_1635
; %bb.1625:
	s_cmp_lt_i32 s6, 6
	s_cbranch_scc1 .LBB105_1628
; %bb.1626:
	s_cmp_gt_i32 s6, 6
	s_cbranch_scc0 .LBB105_1629
; %bb.1627:
	global_load_dwordx2 v[10:11], v[8:9], off
	s_movk_i32 s0, 0x7fff
	v_mov_b32_e32 v5, 0x7fc0
	s_waitcnt vmcnt(0)
	v_cvt_f32_f64_e32 v7, v[10:11]
	v_bfe_u32 v10, v7, 16, 1
	v_cmp_o_f32_e32 vcc, v7, v7
	v_add3_u32 v7, v7, v10, s0
	s_mov_b64 s[0:1], 0
	v_cndmask_b32_sdwa v10, v5, v7, vcc dst_sel:DWORD dst_unused:UNUSED_PAD src0_sel:DWORD src1_sel:WORD_1
	s_branch .LBB105_1630
.LBB105_1628:
	s_mov_b64 s[0:1], -1
                                        ; implicit-def: $vgpr10
	s_branch .LBB105_1633
.LBB105_1629:
	s_mov_b64 s[0:1], -1
                                        ; implicit-def: $vgpr10
.LBB105_1630:
	s_andn2_b64 vcc, exec, s[0:1]
	s_cbranch_vccnz .LBB105_1632
; %bb.1631:
	global_load_dword v5, v[8:9], off
	s_movk_i32 s0, 0x7fff
	v_mov_b32_e32 v7, 0x7fc0
	s_waitcnt vmcnt(0)
	v_bfe_u32 v10, v5, 16, 1
	v_cmp_o_f32_e32 vcc, v5, v5
	v_add3_u32 v5, v5, v10, s0
	s_nop 0
	v_cndmask_b32_sdwa v10, v7, v5, vcc dst_sel:DWORD dst_unused:UNUSED_PAD src0_sel:DWORD src1_sel:WORD_1
.LBB105_1632:
	s_mov_b64 s[0:1], 0
.LBB105_1633:
	s_andn2_b64 vcc, exec, s[0:1]
	s_cbranch_vccnz .LBB105_1635
; %bb.1634:
	global_load_ushort v5, v[8:9], off
	s_movk_i32 s0, 0x7fff
	s_waitcnt vmcnt(1)
	v_mov_b32_e32 v10, 0x7fc0
	s_waitcnt vmcnt(0)
	v_cvt_f32_f16_e32 v7, v5
	v_cmp_o_f16_e32 vcc, v5, v5
	v_bfe_u32 v5, v7, 16, 1
	v_add3_u32 v5, v7, v5, s0
	v_cndmask_b32_sdwa v10, v10, v5, vcc dst_sel:DWORD dst_unused:UNUSED_PAD src0_sel:DWORD src1_sel:WORD_1
.LBB105_1635:
	s_mov_b64 s[0:1], 0
.LBB105_1636:
	s_andn2_b64 vcc, exec, s[0:1]
	s_cbranch_vccnz .LBB105_1656
; %bb.1637:
	s_cmp_lt_i32 s6, 2
	s_cbranch_scc1 .LBB105_1641
; %bb.1638:
	s_cmp_lt_i32 s6, 3
	s_cbranch_scc1 .LBB105_1642
; %bb.1639:
	s_cmp_gt_i32 s6, 3
	s_cbranch_scc0 .LBB105_1643
; %bb.1640:
	global_load_dwordx2 v[10:11], v[8:9], off
	s_movk_i32 s0, 0x7fff
	s_waitcnt vmcnt(0)
	v_xor_b32_e32 v7, v10, v11
	v_ffbh_i32_e32 v5, v11
	v_ashrrev_i32_e32 v7, 31, v7
	v_add_u32_e32 v5, -1, v5
	v_add_u32_e32 v7, 32, v7
	v_min_u32_e32 v5, v5, v7
	v_lshlrev_b64 v[10:11], v5, v[10:11]
	v_min_u32_e32 v7, 1, v10
	v_or_b32_e32 v7, v11, v7
	v_cvt_f32_i32_e32 v7, v7
	v_sub_u32_e32 v5, 32, v5
	v_ldexp_f32 v5, v7, v5
	v_bfe_u32 v7, v5, 16, 1
	v_add3_u32 v5, v5, v7, s0
	v_lshrrev_b32_e32 v10, 16, v5
	s_mov_b64 s[0:1], 0
	s_branch .LBB105_1644
.LBB105_1641:
	s_mov_b64 s[0:1], -1
                                        ; implicit-def: $vgpr10
	s_branch .LBB105_1650
.LBB105_1642:
	s_mov_b64 s[0:1], -1
                                        ; implicit-def: $vgpr10
	s_branch .LBB105_1647
.LBB105_1643:
	s_mov_b64 s[0:1], -1
                                        ; implicit-def: $vgpr10
.LBB105_1644:
	s_andn2_b64 vcc, exec, s[0:1]
	s_cbranch_vccnz .LBB105_1646
; %bb.1645:
	global_load_dword v5, v[8:9], off
	s_movk_i32 s0, 0x7fff
	s_waitcnt vmcnt(0)
	v_cvt_f32_i32_e32 v5, v5
	v_bfe_u32 v7, v5, 16, 1
	v_add3_u32 v5, v5, v7, s0
	v_lshrrev_b32_e32 v10, 16, v5
.LBB105_1646:
	s_mov_b64 s[0:1], 0
.LBB105_1647:
	s_andn2_b64 vcc, exec, s[0:1]
	s_cbranch_vccnz .LBB105_1649
; %bb.1648:
	global_load_sshort v5, v[8:9], off
	s_movk_i32 s0, 0x7fff
	s_waitcnt vmcnt(0)
	v_cvt_f32_i32_e32 v5, v5
	v_bfe_u32 v7, v5, 16, 1
	v_add3_u32 v5, v5, v7, s0
	v_lshrrev_b32_e32 v10, 16, v5
.LBB105_1649:
	s_mov_b64 s[0:1], 0
.LBB105_1650:
	s_andn2_b64 vcc, exec, s[0:1]
	s_cbranch_vccnz .LBB105_1656
; %bb.1651:
	s_cmp_gt_i32 s6, 0
	s_cbranch_scc0 .LBB105_1653
; %bb.1652:
	global_load_sbyte v5, v[8:9], off
	s_movk_i32 s0, 0x7fff
	s_waitcnt vmcnt(0)
	v_cvt_f32_i32_e32 v5, v5
	v_bfe_u32 v7, v5, 16, 1
	v_add3_u32 v5, v5, v7, s0
	v_lshrrev_b32_e32 v10, 16, v5
	s_mov_b64 s[0:1], 0
	s_branch .LBB105_1654
.LBB105_1653:
	s_mov_b64 s[0:1], -1
                                        ; implicit-def: $vgpr10
.LBB105_1654:
	s_andn2_b64 vcc, exec, s[0:1]
	s_cbranch_vccnz .LBB105_1656
; %bb.1655:
	global_load_ubyte v5, v[8:9], off
	s_movk_i32 s0, 0x7fff
	s_waitcnt vmcnt(0)
	v_cvt_f32_ubyte0_e32 v5, v5
	v_bfe_u32 v7, v5, 16, 1
	v_add3_u32 v5, v5, v7, s0
	v_lshrrev_b32_e32 v10, 16, v5
.LBB105_1656:
	s_mov_b64 s[8:9], -1
.LBB105_1657:
	s_andn2_b64 vcc, exec, s[8:9]
	s_cbranch_vccnz .LBB105_2091
; %bb.1658:
	s_waitcnt vmcnt(0)
	v_lshlrev_b32_e32 v1, 16, v1
	v_mul_f32_e32 v5, 0x3fb8aa3b, v1
	s_mov_b32 s0, 0x3fb8aa3b
	v_rndne_f32_e32 v7, v5
	v_sub_f32_e32 v8, v5, v7
	v_fma_f32 v5, v1, s0, -v5
	v_fmamk_f32 v5, v1, 0x32a5705f, v5
	v_add_f32_e32 v5, v8, v5
	v_exp_f32_e32 v5, v5
	v_cvt_i32_f32_e32 v7, v7
	s_mov_b32 s0, 0xc2ce8ed0
	v_cmp_ngt_f32_e32 vcc, s0, v1
	s_mov_b32 s0, 0x42b17218
	v_ldexp_f32 v5, v5, v7
	v_cndmask_b32_e32 v5, 0, v5, vcc
	v_mov_b32_e32 v7, 0x7f800000
	v_cmp_nlt_f32_e32 vcc, s0, v1
	s_movk_i32 s0, 0x7fff
	s_bfe_u32 s14, s16, 0x80008
	v_cndmask_b32_e32 v1, v7, v5, vcc
	v_bfe_u32 v5, v1, 16, 1
	v_add3_u32 v5, v1, v5, s0
	v_cmp_o_f32_e32 vcc, v1, v1
	v_mov_b32_e32 v1, 0x7fc0
	v_mov_b32_e32 v7, 0
	v_cndmask_b32_sdwa v1, v1, v5, vcc dst_sel:DWORD dst_unused:UNUSED_PAD src0_sel:DWORD src1_sel:WORD_1
	s_cmp_lt_i32 s14, 11
	v_lshl_add_u64 v[6:7], s[4:5], 0, v[6:7]
	s_cbranch_scc1 .LBB105_1736
; %bb.1659:
	s_and_b32 s15, 0xffff, s14
	s_mov_b64 s[10:11], -1
	s_mov_b64 s[6:7], 0
	s_cmp_gt_i32 s15, 25
	s_mov_b64 s[8:9], 0
	s_mov_b64 s[0:1], 0
	s_cbranch_scc0 .LBB105_1692
; %bb.1660:
	s_cmp_gt_i32 s15, 28
	s_cbranch_scc0 .LBB105_1675
; %bb.1661:
	s_cmp_gt_i32 s15, 43
	;; [unrolled: 3-line block ×3, first 2 shown]
	s_cbranch_scc0 .LBB105_1665
; %bb.1663:
	s_mov_b64 s[0:1], -1
	s_mov_b64 s[10:11], 0
	s_cmp_eq_u32 s15, 46
	s_cbranch_scc0 .LBB105_1665
; %bb.1664:
	v_and_b32_e32 v5, 0xffff, v1
	global_store_dword v[6:7], v5, off
	s_mov_b64 s[0:1], 0
	s_mov_b64 s[8:9], -1
.LBB105_1665:
	s_and_b64 vcc, exec, s[10:11]
	s_cbranch_vccz .LBB105_1670
; %bb.1666:
	s_cmp_eq_u32 s15, 44
	s_mov_b64 s[0:1], -1
	s_cbranch_scc0 .LBB105_1670
; %bb.1667:
	v_and_b32_e32 v8, 0xffff, v1
	v_bfe_u32 v5, v8, 7, 8
	s_movk_i32 s0, 0xff
	v_cmp_ne_u32_e32 vcc, s0, v5
	v_mov_b32_e32 v9, 0xff
	s_and_saveexec_b64 s[8:9], vcc
	s_cbranch_execz .LBB105_1669
; %bb.1668:
	v_lshlrev_b32_e32 v11, 16, v8
	s_mov_b32 s0, 0x3f0000
	v_lshrrev_b32_e32 v9, 7, v8
	v_and_b32_e32 v8, 64, v8
	v_and_or_b32 v5, v11, s0, v5
	v_cmp_ne_u32_e32 vcc, 0, v8
	v_cmp_ne_u32_e64 s[0:1], 0, v5
	s_and_b64 s[0:1], vcc, s[0:1]
	s_nop 0
	v_cndmask_b32_e64 v5, 0, 1, s[0:1]
	v_add_u32_e32 v9, v9, v5
.LBB105_1669:
	s_or_b64 exec, exec, s[8:9]
	s_mov_b64 s[0:1], 0
	s_mov_b64 s[8:9], -1
	global_store_byte v[6:7], v9, off
.LBB105_1670:
	s_mov_b64 s[10:11], 0
.LBB105_1671:
	s_and_b64 vcc, exec, s[10:11]
	s_cbranch_vccz .LBB105_1674
; %bb.1672:
	s_cmp_eq_u32 s15, 29
	s_mov_b64 s[0:1], -1
	s_cbranch_scc0 .LBB105_1674
; %bb.1673:
	v_lshlrev_b32_e32 v5, 16, v1
	v_trunc_f32_e32 v5, v5
	v_mul_f32_e32 v8, 0x2f800000, v5
	v_floor_f32_e32 v8, v8
	v_fmamk_f32 v5, v8, 0xcf800000, v5
	v_cvt_u32_f32_e32 v9, v8
	v_cvt_u32_f32_e32 v8, v5
	s_mov_b64 s[0:1], 0
	s_mov_b64 s[8:9], -1
	global_store_dwordx2 v[6:7], v[8:9], off
.LBB105_1674:
	s_mov_b64 s[10:11], 0
.LBB105_1675:
	s_and_b64 vcc, exec, s[10:11]
	s_cbranch_vccz .LBB105_1691
; %bb.1676:
	s_cmp_lt_i32 s15, 27
	s_mov_b64 s[8:9], -1
	s_cbranch_scc1 .LBB105_1682
; %bb.1677:
	s_cmp_gt_i32 s15, 27
	s_cbranch_scc0 .LBB105_1679
; %bb.1678:
	v_lshlrev_b32_e32 v5, 16, v1
	v_cvt_u32_f32_e32 v5, v5
	s_mov_b64 s[8:9], 0
	global_store_dword v[6:7], v5, off
.LBB105_1679:
	s_andn2_b64 vcc, exec, s[8:9]
	s_cbranch_vccnz .LBB105_1681
; %bb.1680:
	v_lshlrev_b32_e32 v5, 16, v1
	v_cvt_u32_f32_e32 v5, v5
	global_store_short v[6:7], v5, off
.LBB105_1681:
	s_mov_b64 s[8:9], 0
.LBB105_1682:
	s_andn2_b64 vcc, exec, s[8:9]
	s_cbranch_vccnz .LBB105_1690
; %bb.1683:
	v_lshlrev_b32_e32 v9, 16, v1
	v_and_b32_e32 v8, 0x7fffffff, v9
	s_mov_b32 s8, 0x43800000
	v_cmp_gt_u32_e32 vcc, s8, v8
	v_mov_b32_e32 v11, 0x80
	s_and_saveexec_b64 s[8:9], vcc
	s_cbranch_execz .LBB105_1689
; %bb.1684:
	s_mov_b32 s10, 0x3bffffff
	v_and_b32_e32 v5, 0xffff, v1
	v_cmp_lt_u32_e32 vcc, s10, v8
	s_mov_b64 s[10:11], 0
                                        ; implicit-def: $vgpr8
	s_and_saveexec_b64 s[12:13], vcc
	s_xor_b64 s[12:13], exec, s[12:13]
	s_cbranch_execz .LBB105_2138
; %bb.1685:
	v_bfe_u32 v8, v5, 4, 1
	s_mov_b32 s17, 0x487ffff
	v_add3_u32 v8, v9, v8, s17
	s_mov_b64 s[10:11], exec
	v_lshrrev_b32_e32 v8, 20, v8
                                        ; implicit-def: $vgpr9
	s_andn2_saveexec_b64 s[12:13], s[12:13]
	s_cbranch_execnz .LBB105_2139
.LBB105_1686:
	s_or_b64 exec, exec, s[12:13]
	v_mov_b32_e32 v11, 0
	s_and_saveexec_b64 s[12:13], s[10:11]
.LBB105_1687:
	v_lshrrev_b32_e32 v5, 8, v5
	s_movk_i32 s10, 0x80
	v_and_or_b32 v11, v5, s10, v8
.LBB105_1688:
	s_or_b64 exec, exec, s[12:13]
.LBB105_1689:
	s_or_b64 exec, exec, s[8:9]
	global_store_byte v[6:7], v11, off
.LBB105_1690:
	s_mov_b64 s[8:9], -1
.LBB105_1691:
	s_mov_b64 s[10:11], 0
.LBB105_1692:
	s_and_b64 vcc, exec, s[10:11]
	s_cbranch_vccz .LBB105_1732
; %bb.1693:
	s_cmp_gt_i32 s15, 22
	s_mov_b64 s[6:7], -1
	s_cbranch_scc0 .LBB105_1725
; %bb.1694:
	s_cmp_lt_i32 s15, 24
	s_cbranch_scc1 .LBB105_1714
; %bb.1695:
	s_cmp_gt_i32 s15, 24
	s_cbranch_scc0 .LBB105_1703
; %bb.1696:
	v_lshlrev_b32_e32 v9, 16, v1
	v_and_b32_e32 v8, 0x7fffffff, v9
	s_mov_b32 s6, 0x47800000
	v_cmp_gt_u32_e32 vcc, s6, v8
	v_mov_b32_e32 v11, 0x80
	s_and_saveexec_b64 s[6:7], vcc
	s_cbranch_execz .LBB105_1702
; %bb.1697:
	s_mov_b32 s8, 0x37ffffff
	v_and_b32_e32 v5, 0xffff, v1
	v_cmp_lt_u32_e32 vcc, s8, v8
	s_mov_b64 s[8:9], 0
                                        ; implicit-def: $vgpr8
	s_and_saveexec_b64 s[10:11], vcc
	s_xor_b64 s[10:11], exec, s[10:11]
	s_cbranch_execz .LBB105_2141
; %bb.1698:
	v_bfe_u32 v8, v5, 5, 1
	s_mov_b32 s12, 0x88fffff
	v_add3_u32 v8, v9, v8, s12
	s_mov_b64 s[8:9], exec
	v_lshrrev_b32_e32 v8, 21, v8
                                        ; implicit-def: $vgpr9
	s_andn2_saveexec_b64 s[10:11], s[10:11]
	s_cbranch_execnz .LBB105_2142
.LBB105_1699:
	s_or_b64 exec, exec, s[10:11]
	v_mov_b32_e32 v11, 0
	s_and_saveexec_b64 s[10:11], s[8:9]
.LBB105_1700:
	v_lshrrev_b32_e32 v5, 8, v5
	s_movk_i32 s8, 0x80
	v_and_or_b32 v11, v5, s8, v8
.LBB105_1701:
	s_or_b64 exec, exec, s[10:11]
.LBB105_1702:
	s_or_b64 exec, exec, s[6:7]
	s_mov_b64 s[6:7], 0
	global_store_byte v[6:7], v11, off
.LBB105_1703:
	s_and_b64 vcc, exec, s[6:7]
	s_cbranch_vccz .LBB105_1713
; %bb.1704:
	v_lshlrev_b32_e32 v9, 16, v1
	v_and_b32_e32 v11, 0x7fffffff, v9
	s_mov_b32 s6, 0x43f00000
	v_and_b32_e32 v5, 0xffff, v1
	v_cmp_gt_u32_e32 vcc, s6, v11
                                        ; implicit-def: $vgpr8
	s_and_saveexec_b64 s[6:7], vcc
	s_xor_b64 s[6:7], exec, s[6:7]
	s_cbranch_execz .LBB105_1710
; %bb.1705:
	s_mov_b32 s8, 0x3c7fffff
	v_cmp_lt_u32_e32 vcc, s8, v11
                                        ; implicit-def: $vgpr8
	s_and_saveexec_b64 s[8:9], vcc
	s_xor_b64 s[8:9], exec, s[8:9]
; %bb.1706:
	v_bfe_u32 v8, v5, 4, 1
	s_mov_b32 s10, 0x407ffff
	v_add3_u32 v8, v9, v8, s10
	v_lshrrev_b32_e32 v9, 20, v8
	v_and_b32_e32 v8, 0xff00000, v8
	s_mov_b32 s10, 0x7f00000
	v_mov_b32_e32 v11, 0x7e
	v_cmp_ne_u32_e32 vcc, s10, v8
	s_nop 1
	v_cndmask_b32_e32 v8, v11, v9, vcc
                                        ; implicit-def: $vgpr9
; %bb.1707:
	s_andn2_saveexec_b64 s[8:9], s[8:9]
; %bb.1708:
	s_mov_b32 s10, 0x46800000
	v_add_f32_e64 v8, |v9|, s10
; %bb.1709:
	s_or_b64 exec, exec, s[8:9]
                                        ; implicit-def: $vgpr11
.LBB105_1710:
	s_andn2_saveexec_b64 s[6:7], s[6:7]
; %bb.1711:
	s_mov_b32 s8, 0x7f800000
	v_mov_b32_e32 v8, 0x7e
	v_mov_b32_e32 v9, 0x7f
	v_cmp_lt_u32_e32 vcc, s8, v11
	s_nop 1
	v_cndmask_b32_e32 v8, v8, v9, vcc
; %bb.1712:
	s_or_b64 exec, exec, s[6:7]
	v_lshrrev_b32_e32 v5, 8, v5
	s_movk_i32 s6, 0x80
	v_and_or_b32 v5, v5, s6, v8
	global_store_byte v[6:7], v5, off
.LBB105_1713:
	s_mov_b64 s[6:7], 0
.LBB105_1714:
	s_andn2_b64 vcc, exec, s[6:7]
	s_cbranch_vccnz .LBB105_1724
; %bb.1715:
	v_lshlrev_b32_e32 v9, 16, v1
	v_and_b32_e32 v11, 0x7fffffff, v9
	s_mov_b32 s6, 0x47800000
	v_and_b32_e32 v5, 0xffff, v1
	v_cmp_gt_u32_e32 vcc, s6, v11
                                        ; implicit-def: $vgpr8
	s_and_saveexec_b64 s[6:7], vcc
	s_xor_b64 s[6:7], exec, s[6:7]
	s_cbranch_execz .LBB105_1721
; %bb.1716:
	s_mov_b32 s8, 0x387fffff
	v_cmp_lt_u32_e32 vcc, s8, v11
                                        ; implicit-def: $vgpr8
	s_and_saveexec_b64 s[8:9], vcc
	s_xor_b64 s[8:9], exec, s[8:9]
; %bb.1717:
	v_bfe_u32 v8, v5, 5, 1
	s_mov_b32 s10, 0x80fffff
	v_add3_u32 v8, v9, v8, s10
	v_lshrrev_b32_e32 v8, 21, v8
                                        ; implicit-def: $vgpr9
; %bb.1718:
	s_andn2_saveexec_b64 s[8:9], s[8:9]
; %bb.1719:
	s_mov_b32 s10, 0x43000000
	v_add_f32_e64 v8, |v9|, s10
; %bb.1720:
	s_or_b64 exec, exec, s[8:9]
                                        ; implicit-def: $vgpr11
.LBB105_1721:
	s_andn2_saveexec_b64 s[6:7], s[6:7]
; %bb.1722:
	s_mov_b32 s8, 0x7f800000
	v_mov_b32_e32 v8, 0x7c
	v_mov_b32_e32 v9, 0x7f
	v_cmp_lt_u32_e32 vcc, s8, v11
	s_nop 1
	v_cndmask_b32_e32 v8, v8, v9, vcc
; %bb.1723:
	s_or_b64 exec, exec, s[6:7]
	v_lshrrev_b32_e32 v5, 8, v5
	s_movk_i32 s6, 0x80
	v_and_or_b32 v5, v5, s6, v8
	global_store_byte v[6:7], v5, off
.LBB105_1724:
	s_mov_b64 s[6:7], 0
	s_mov_b64 s[8:9], -1
.LBB105_1725:
	s_andn2_b64 vcc, exec, s[6:7]
	s_mov_b64 s[6:7], 0
	s_cbranch_vccnz .LBB105_1732
; %bb.1726:
	s_cmp_gt_i32 s15, 14
	s_mov_b64 s[10:11], -1
	s_cbranch_scc0 .LBB105_1730
; %bb.1727:
	s_cmp_eq_u32 s15, 15
	s_mov_b64 s[0:1], -1
	s_cbranch_scc0 .LBB105_1729
; %bb.1728:
	global_store_short v[6:7], v1, off
	s_mov_b64 s[0:1], 0
	s_mov_b64 s[8:9], -1
.LBB105_1729:
	s_mov_b64 s[10:11], 0
.LBB105_1730:
	s_and_b64 vcc, exec, s[10:11]
	s_cbranch_vccz .LBB105_1732
; %bb.1731:
	s_cmp_lg_u32 s15, 11
	s_mov_b64 s[6:7], -1
	s_cselect_b64 s[0:1], -1, 0
.LBB105_1732:
	s_and_b64 vcc, exec, s[0:1]
	s_cbranch_vccnz .LBB105_2140
; %bb.1733:
	s_andn2_b64 vcc, exec, s[6:7]
	s_cbranch_vccnz .LBB105_1735
.LBB105_1734:
	v_and_b32_e32 v5, 0x7fff, v1
	v_cmp_ne_u16_e32 vcc, 0, v5
	s_mov_b64 s[8:9], -1
	s_nop 0
	v_cndmask_b32_e64 v5, 0, 1, vcc
	global_store_byte v[6:7], v5, off
.LBB105_1735:
	s_mov_b64 s[0:1], 0
	s_branch .LBB105_1737
.LBB105_1736:
	s_mov_b64 s[0:1], -1
	s_mov_b64 s[8:9], 0
.LBB105_1737:
	s_and_b64 vcc, exec, s[0:1]
	s_cbranch_vccz .LBB105_1776
; %bb.1738:
	s_and_b32 s6, 0xffff, s14
	s_cmp_lt_i32 s6, 5
	s_mov_b64 s[0:1], -1
	s_cbranch_scc1 .LBB105_1759
; %bb.1739:
	s_cmp_lt_i32 s6, 8
	s_cbranch_scc1 .LBB105_1749
; %bb.1740:
	s_cmp_lt_i32 s6, 9
	s_cbranch_scc1 .LBB105_1746
; %bb.1741:
	s_cmp_gt_i32 s6, 9
	s_cbranch_scc0 .LBB105_1743
; %bb.1742:
	v_lshlrev_b32_e32 v5, 16, v1
	v_mov_b32_e32 v16, 0
	v_cvt_f64_f32_e32 v[14:15], v5
	v_mov_b32_e32 v17, v16
	global_store_dwordx4 v[6:7], v[14:17], off
	s_mov_b64 s[0:1], 0
.LBB105_1743:
	s_andn2_b64 vcc, exec, s[0:1]
	s_cbranch_vccnz .LBB105_1745
; %bb.1744:
	v_lshlrev_b32_e32 v8, 16, v1
	v_mov_b32_e32 v9, 0
	global_store_dwordx2 v[6:7], v[8:9], off
.LBB105_1745:
	s_mov_b64 s[0:1], 0
.LBB105_1746:
	s_andn2_b64 vcc, exec, s[0:1]
	s_cbranch_vccnz .LBB105_1748
; %bb.1747:
	v_lshlrev_b32_e32 v5, 16, v1
	v_cvt_f16_f32_e32 v5, v5
	global_store_dword v[6:7], v5, off
.LBB105_1748:
	s_mov_b64 s[0:1], 0
.LBB105_1749:
	s_andn2_b64 vcc, exec, s[0:1]
	s_cbranch_vccnz .LBB105_1758
; %bb.1750:
	s_cmp_lt_i32 s6, 6
	s_mov_b64 s[0:1], -1
	s_cbranch_scc1 .LBB105_1756
; %bb.1751:
	s_cmp_gt_i32 s6, 6
	s_cbranch_scc0 .LBB105_1753
; %bb.1752:
	v_lshlrev_b32_e32 v5, 16, v1
	v_cvt_f64_f32_e32 v[8:9], v5
	global_store_dwordx2 v[6:7], v[8:9], off
	s_mov_b64 s[0:1], 0
.LBB105_1753:
	s_andn2_b64 vcc, exec, s[0:1]
	s_cbranch_vccnz .LBB105_1755
; %bb.1754:
	v_lshlrev_b32_e32 v5, 16, v1
	global_store_dword v[6:7], v5, off
.LBB105_1755:
	s_mov_b64 s[0:1], 0
.LBB105_1756:
	s_andn2_b64 vcc, exec, s[0:1]
	s_cbranch_vccnz .LBB105_1758
; %bb.1757:
	v_lshlrev_b32_e32 v5, 16, v1
	v_cvt_f16_f32_e32 v5, v5
	global_store_short v[6:7], v5, off
.LBB105_1758:
	s_mov_b64 s[0:1], 0
.LBB105_1759:
	s_andn2_b64 vcc, exec, s[0:1]
	s_cbranch_vccnz .LBB105_1775
; %bb.1760:
	s_cmp_lt_i32 s6, 2
	s_mov_b64 s[0:1], -1
	s_cbranch_scc1 .LBB105_1770
; %bb.1761:
	s_cmp_lt_i32 s6, 3
	s_cbranch_scc1 .LBB105_1767
; %bb.1762:
	s_cmp_gt_i32 s6, 3
	s_cbranch_scc0 .LBB105_1764
; %bb.1763:
	v_lshlrev_b32_e32 v5, 16, v1
	v_trunc_f32_e32 v5, v5
	s_mov_b32 s0, 0x2f800000
	v_mul_f32_e64 v8, |v5|, s0
	v_floor_f32_e32 v8, v8
	s_mov_b32 s0, 0xcf800000
	v_cvt_u32_f32_e32 v9, v8
	v_fma_f32 v8, v8, s0, |v5|
	v_cvt_u32_f32_e32 v8, v8
	v_ashrrev_i32_e32 v5, 31, v5
	v_xor_b32_e32 v9, v9, v5
	s_mov_b64 s[0:1], 0
	v_xor_b32_e32 v8, v8, v5
	v_sub_co_u32_e32 v8, vcc, v8, v5
	s_nop 1
	v_subb_co_u32_e32 v9, vcc, v9, v5, vcc
	global_store_dwordx2 v[6:7], v[8:9], off
.LBB105_1764:
	s_andn2_b64 vcc, exec, s[0:1]
	s_cbranch_vccnz .LBB105_1766
; %bb.1765:
	v_lshlrev_b32_e32 v5, 16, v1
	v_cvt_i32_f32_e32 v5, v5
	global_store_dword v[6:7], v5, off
.LBB105_1766:
	s_mov_b64 s[0:1], 0
.LBB105_1767:
	s_andn2_b64 vcc, exec, s[0:1]
	s_cbranch_vccnz .LBB105_1769
; %bb.1768:
	v_lshlrev_b32_e32 v5, 16, v1
	v_cvt_i32_f32_e32 v5, v5
	global_store_short v[6:7], v5, off
.LBB105_1769:
	s_mov_b64 s[0:1], 0
.LBB105_1770:
	s_andn2_b64 vcc, exec, s[0:1]
	s_cbranch_vccnz .LBB105_1775
; %bb.1771:
	s_mov_b64 s[0:1], -1
	s_cmp_gt_i32 s6, 0
	v_lshlrev_b32_e32 v1, 16, v1
	s_cbranch_scc0 .LBB105_1773
; %bb.1772:
	v_cvt_i32_f32_e32 v5, v1
	s_mov_b64 s[0:1], 0
	global_store_byte v[6:7], v5, off
.LBB105_1773:
	s_andn2_b64 vcc, exec, s[0:1]
	s_cbranch_vccnz .LBB105_1775
; %bb.1774:
	v_trunc_f32_e32 v1, v1
	s_mov_b32 s0, 0x2f800000
	v_mul_f32_e64 v5, |v1|, s0
	v_floor_f32_e32 v5, v5
	s_mov_b32 s0, 0xcf800000
	v_fma_f32 v5, v5, s0, |v1|
	v_cvt_u32_f32_e32 v5, v5
	v_ashrrev_i32_e32 v1, 31, v1
	v_xor_b32_e32 v5, v5, v1
	v_sub_u32_e32 v1, v5, v1
	global_store_byte v[6:7], v1, off
.LBB105_1775:
	s_mov_b64 s[8:9], -1
.LBB105_1776:
	s_andn2_b64 vcc, exec, s[8:9]
	s_cbranch_vccnz .LBB105_2091
; %bb.1777:
	v_lshlrev_b32_e32 v1, 16, v3
	v_mul_f32_e32 v3, 0x3fb8aa3b, v1
	s_mov_b32 s0, 0x3fb8aa3b
	v_rndne_f32_e32 v5, v3
	v_sub_f32_e32 v6, v3, v5
	v_fma_f32 v3, v1, s0, -v3
	v_fmamk_f32 v3, v1, 0x32a5705f, v3
	v_add_f32_e32 v3, v6, v3
	v_exp_f32_e32 v3, v3
	v_cvt_i32_f32_e32 v5, v5
	s_lshr_b32 s0, s16, 8
	s_and_b32 s14, s0, 0xff
	s_mov_b32 s0, 0xc2ce8ed0
	v_ldexp_f32 v3, v3, v5
	v_cmp_ngt_f32_e32 vcc, s0, v1
	s_mov_b32 s0, 0x42b17218
	v_mov_b32_e32 v5, 0x7f800000
	v_cndmask_b32_e32 v3, 0, v3, vcc
	v_cmp_nlt_f32_e32 vcc, s0, v1
	s_movk_i32 s0, 0x7fff
	s_cmp_lt_i32 s14, 11
	v_cndmask_b32_e32 v1, v5, v3, vcc
	v_bfe_u32 v3, v1, 16, 1
	v_add3_u32 v3, v1, v3, s0
	v_cmp_o_f32_e32 vcc, v1, v1
	v_mov_b32_e32 v1, 0x7fc0
	v_mov_b32_e32 v5, 0
	v_cndmask_b32_sdwa v1, v1, v3, vcc dst_sel:DWORD dst_unused:UNUSED_PAD src0_sel:DWORD src1_sel:WORD_1
	v_lshl_add_u64 v[4:5], s[4:5], 0, v[4:5]
	s_cbranch_scc1 .LBB105_1855
; %bb.1778:
	s_and_b32 s15, 0xffff, s14
	s_mov_b64 s[10:11], -1
	s_mov_b64 s[6:7], 0
	s_cmp_gt_i32 s15, 25
	s_mov_b64 s[8:9], 0
	s_mov_b64 s[0:1], 0
	s_cbranch_scc0 .LBB105_1811
; %bb.1779:
	s_cmp_gt_i32 s15, 28
	s_cbranch_scc0 .LBB105_1794
; %bb.1780:
	s_cmp_gt_i32 s15, 43
	;; [unrolled: 3-line block ×3, first 2 shown]
	s_cbranch_scc0 .LBB105_1784
; %bb.1782:
	s_mov_b64 s[0:1], -1
	s_mov_b64 s[10:11], 0
	s_cmp_eq_u32 s15, 46
	s_cbranch_scc0 .LBB105_1784
; %bb.1783:
	v_and_b32_e32 v3, 0xffff, v1
	global_store_dword v[4:5], v3, off
	s_mov_b64 s[0:1], 0
	s_mov_b64 s[8:9], -1
.LBB105_1784:
	s_and_b64 vcc, exec, s[10:11]
	s_cbranch_vccz .LBB105_1789
; %bb.1785:
	s_cmp_eq_u32 s15, 44
	s_mov_b64 s[0:1], -1
	s_cbranch_scc0 .LBB105_1789
; %bb.1786:
	v_and_b32_e32 v6, 0xffff, v1
	v_bfe_u32 v3, v6, 7, 8
	s_movk_i32 s0, 0xff
	v_cmp_ne_u32_e32 vcc, s0, v3
	v_mov_b32_e32 v7, 0xff
	s_and_saveexec_b64 s[8:9], vcc
	s_cbranch_execz .LBB105_1788
; %bb.1787:
	v_lshlrev_b32_e32 v8, 16, v6
	s_mov_b32 s0, 0x3f0000
	v_lshrrev_b32_e32 v7, 7, v6
	v_and_b32_e32 v6, 64, v6
	v_and_or_b32 v3, v8, s0, v3
	v_cmp_ne_u32_e32 vcc, 0, v6
	v_cmp_ne_u32_e64 s[0:1], 0, v3
	s_and_b64 s[0:1], vcc, s[0:1]
	s_nop 0
	v_cndmask_b32_e64 v3, 0, 1, s[0:1]
	v_add_u32_e32 v7, v7, v3
.LBB105_1788:
	s_or_b64 exec, exec, s[8:9]
	s_mov_b64 s[0:1], 0
	s_mov_b64 s[8:9], -1
	global_store_byte v[4:5], v7, off
.LBB105_1789:
	s_mov_b64 s[10:11], 0
.LBB105_1790:
	s_and_b64 vcc, exec, s[10:11]
	s_cbranch_vccz .LBB105_1793
; %bb.1791:
	s_cmp_eq_u32 s15, 29
	s_mov_b64 s[0:1], -1
	s_cbranch_scc0 .LBB105_1793
; %bb.1792:
	v_lshlrev_b32_e32 v3, 16, v1
	v_trunc_f32_e32 v3, v3
	v_mul_f32_e32 v6, 0x2f800000, v3
	v_floor_f32_e32 v6, v6
	v_fmamk_f32 v3, v6, 0xcf800000, v3
	v_cvt_u32_f32_e32 v7, v6
	v_cvt_u32_f32_e32 v6, v3
	s_mov_b64 s[0:1], 0
	s_mov_b64 s[8:9], -1
	global_store_dwordx2 v[4:5], v[6:7], off
.LBB105_1793:
	s_mov_b64 s[10:11], 0
.LBB105_1794:
	s_and_b64 vcc, exec, s[10:11]
	s_cbranch_vccz .LBB105_1810
; %bb.1795:
	s_cmp_lt_i32 s15, 27
	s_mov_b64 s[8:9], -1
	s_cbranch_scc1 .LBB105_1801
; %bb.1796:
	s_cmp_gt_i32 s15, 27
	s_cbranch_scc0 .LBB105_1798
; %bb.1797:
	v_lshlrev_b32_e32 v3, 16, v1
	v_cvt_u32_f32_e32 v3, v3
	s_mov_b64 s[8:9], 0
	global_store_dword v[4:5], v3, off
.LBB105_1798:
	s_andn2_b64 vcc, exec, s[8:9]
	s_cbranch_vccnz .LBB105_1800
; %bb.1799:
	v_lshlrev_b32_e32 v3, 16, v1
	v_cvt_u32_f32_e32 v3, v3
	global_store_short v[4:5], v3, off
.LBB105_1800:
	s_mov_b64 s[8:9], 0
.LBB105_1801:
	s_andn2_b64 vcc, exec, s[8:9]
	s_cbranch_vccnz .LBB105_1809
; %bb.1802:
	v_lshlrev_b32_e32 v7, 16, v1
	v_and_b32_e32 v6, 0x7fffffff, v7
	s_mov_b32 s8, 0x43800000
	v_cmp_gt_u32_e32 vcc, s8, v6
	v_mov_b32_e32 v8, 0x80
	s_and_saveexec_b64 s[8:9], vcc
	s_cbranch_execz .LBB105_1808
; %bb.1803:
	s_mov_b32 s10, 0x3bffffff
	v_and_b32_e32 v3, 0xffff, v1
	v_cmp_lt_u32_e32 vcc, s10, v6
	s_mov_b64 s[10:11], 0
                                        ; implicit-def: $vgpr6
	s_and_saveexec_b64 s[12:13], vcc
	s_xor_b64 s[12:13], exec, s[12:13]
	s_cbranch_execz .LBB105_2143
; %bb.1804:
	v_bfe_u32 v6, v3, 4, 1
	s_mov_b32 s16, 0x487ffff
	v_add3_u32 v6, v7, v6, s16
	s_mov_b64 s[10:11], exec
	v_lshrrev_b32_e32 v6, 20, v6
                                        ; implicit-def: $vgpr7
	s_andn2_saveexec_b64 s[12:13], s[12:13]
	s_cbranch_execnz .LBB105_2144
.LBB105_1805:
	s_or_b64 exec, exec, s[12:13]
	v_mov_b32_e32 v8, 0
	s_and_saveexec_b64 s[12:13], s[10:11]
.LBB105_1806:
	v_lshrrev_b32_e32 v3, 8, v3
	s_movk_i32 s10, 0x80
	v_and_or_b32 v8, v3, s10, v6
.LBB105_1807:
	s_or_b64 exec, exec, s[12:13]
.LBB105_1808:
	s_or_b64 exec, exec, s[8:9]
	global_store_byte v[4:5], v8, off
.LBB105_1809:
	s_mov_b64 s[8:9], -1
.LBB105_1810:
	s_mov_b64 s[10:11], 0
.LBB105_1811:
	s_and_b64 vcc, exec, s[10:11]
	s_cbranch_vccz .LBB105_1851
; %bb.1812:
	s_cmp_gt_i32 s15, 22
	s_mov_b64 s[6:7], -1
	s_cbranch_scc0 .LBB105_1844
; %bb.1813:
	s_cmp_lt_i32 s15, 24
	s_cbranch_scc1 .LBB105_1833
; %bb.1814:
	s_cmp_gt_i32 s15, 24
	s_cbranch_scc0 .LBB105_1822
; %bb.1815:
	v_lshlrev_b32_e32 v7, 16, v1
	v_and_b32_e32 v6, 0x7fffffff, v7
	s_mov_b32 s6, 0x47800000
	v_cmp_gt_u32_e32 vcc, s6, v6
	v_mov_b32_e32 v8, 0x80
	s_and_saveexec_b64 s[6:7], vcc
	s_cbranch_execz .LBB105_1821
; %bb.1816:
	s_mov_b32 s8, 0x37ffffff
	v_and_b32_e32 v3, 0xffff, v1
	v_cmp_lt_u32_e32 vcc, s8, v6
	s_mov_b64 s[8:9], 0
                                        ; implicit-def: $vgpr6
	s_and_saveexec_b64 s[10:11], vcc
	s_xor_b64 s[10:11], exec, s[10:11]
	s_cbranch_execz .LBB105_2146
; %bb.1817:
	v_bfe_u32 v6, v3, 5, 1
	s_mov_b32 s12, 0x88fffff
	v_add3_u32 v6, v7, v6, s12
	s_mov_b64 s[8:9], exec
	v_lshrrev_b32_e32 v6, 21, v6
                                        ; implicit-def: $vgpr7
	s_andn2_saveexec_b64 s[10:11], s[10:11]
	s_cbranch_execnz .LBB105_2147
.LBB105_1818:
	s_or_b64 exec, exec, s[10:11]
	v_mov_b32_e32 v8, 0
	s_and_saveexec_b64 s[10:11], s[8:9]
.LBB105_1819:
	v_lshrrev_b32_e32 v3, 8, v3
	s_movk_i32 s8, 0x80
	v_and_or_b32 v8, v3, s8, v6
.LBB105_1820:
	s_or_b64 exec, exec, s[10:11]
.LBB105_1821:
	s_or_b64 exec, exec, s[6:7]
	s_mov_b64 s[6:7], 0
	global_store_byte v[4:5], v8, off
.LBB105_1822:
	s_and_b64 vcc, exec, s[6:7]
	s_cbranch_vccz .LBB105_1832
; %bb.1823:
	v_lshlrev_b32_e32 v7, 16, v1
	v_and_b32_e32 v8, 0x7fffffff, v7
	s_mov_b32 s6, 0x43f00000
	v_and_b32_e32 v3, 0xffff, v1
	v_cmp_gt_u32_e32 vcc, s6, v8
                                        ; implicit-def: $vgpr6
	s_and_saveexec_b64 s[6:7], vcc
	s_xor_b64 s[6:7], exec, s[6:7]
	s_cbranch_execz .LBB105_1829
; %bb.1824:
	s_mov_b32 s8, 0x3c7fffff
	v_cmp_lt_u32_e32 vcc, s8, v8
                                        ; implicit-def: $vgpr6
	s_and_saveexec_b64 s[8:9], vcc
	s_xor_b64 s[8:9], exec, s[8:9]
; %bb.1825:
	v_bfe_u32 v6, v3, 4, 1
	s_mov_b32 s10, 0x407ffff
	v_add3_u32 v6, v7, v6, s10
	v_lshrrev_b32_e32 v7, 20, v6
	v_and_b32_e32 v6, 0xff00000, v6
	s_mov_b32 s10, 0x7f00000
	v_mov_b32_e32 v8, 0x7e
	v_cmp_ne_u32_e32 vcc, s10, v6
	s_nop 1
	v_cndmask_b32_e32 v6, v8, v7, vcc
                                        ; implicit-def: $vgpr7
; %bb.1826:
	s_andn2_saveexec_b64 s[8:9], s[8:9]
; %bb.1827:
	s_mov_b32 s10, 0x46800000
	v_add_f32_e64 v6, |v7|, s10
; %bb.1828:
	s_or_b64 exec, exec, s[8:9]
                                        ; implicit-def: $vgpr8
.LBB105_1829:
	s_andn2_saveexec_b64 s[6:7], s[6:7]
; %bb.1830:
	s_mov_b32 s8, 0x7f800000
	v_mov_b32_e32 v6, 0x7e
	v_mov_b32_e32 v7, 0x7f
	v_cmp_lt_u32_e32 vcc, s8, v8
	s_nop 1
	v_cndmask_b32_e32 v6, v6, v7, vcc
; %bb.1831:
	s_or_b64 exec, exec, s[6:7]
	v_lshrrev_b32_e32 v3, 8, v3
	s_movk_i32 s6, 0x80
	v_and_or_b32 v3, v3, s6, v6
	global_store_byte v[4:5], v3, off
.LBB105_1832:
	s_mov_b64 s[6:7], 0
.LBB105_1833:
	s_andn2_b64 vcc, exec, s[6:7]
	s_cbranch_vccnz .LBB105_1843
; %bb.1834:
	v_lshlrev_b32_e32 v7, 16, v1
	v_and_b32_e32 v8, 0x7fffffff, v7
	s_mov_b32 s6, 0x47800000
	v_and_b32_e32 v3, 0xffff, v1
	v_cmp_gt_u32_e32 vcc, s6, v8
                                        ; implicit-def: $vgpr6
	s_and_saveexec_b64 s[6:7], vcc
	s_xor_b64 s[6:7], exec, s[6:7]
	s_cbranch_execz .LBB105_1840
; %bb.1835:
	s_mov_b32 s8, 0x387fffff
	v_cmp_lt_u32_e32 vcc, s8, v8
                                        ; implicit-def: $vgpr6
	s_and_saveexec_b64 s[8:9], vcc
	s_xor_b64 s[8:9], exec, s[8:9]
; %bb.1836:
	v_bfe_u32 v6, v3, 5, 1
	s_mov_b32 s10, 0x80fffff
	v_add3_u32 v6, v7, v6, s10
	v_lshrrev_b32_e32 v6, 21, v6
                                        ; implicit-def: $vgpr7
; %bb.1837:
	s_andn2_saveexec_b64 s[8:9], s[8:9]
; %bb.1838:
	s_mov_b32 s10, 0x43000000
	v_add_f32_e64 v6, |v7|, s10
; %bb.1839:
	s_or_b64 exec, exec, s[8:9]
                                        ; implicit-def: $vgpr8
.LBB105_1840:
	s_andn2_saveexec_b64 s[6:7], s[6:7]
; %bb.1841:
	s_mov_b32 s8, 0x7f800000
	v_mov_b32_e32 v6, 0x7c
	v_mov_b32_e32 v7, 0x7f
	v_cmp_lt_u32_e32 vcc, s8, v8
	s_nop 1
	v_cndmask_b32_e32 v6, v6, v7, vcc
; %bb.1842:
	s_or_b64 exec, exec, s[6:7]
	v_lshrrev_b32_e32 v3, 8, v3
	s_movk_i32 s6, 0x80
	v_and_or_b32 v3, v3, s6, v6
	global_store_byte v[4:5], v3, off
.LBB105_1843:
	s_mov_b64 s[6:7], 0
	s_mov_b64 s[8:9], -1
.LBB105_1844:
	s_andn2_b64 vcc, exec, s[6:7]
	s_mov_b64 s[6:7], 0
	s_cbranch_vccnz .LBB105_1851
; %bb.1845:
	s_cmp_gt_i32 s15, 14
	s_mov_b64 s[10:11], -1
	s_cbranch_scc0 .LBB105_1849
; %bb.1846:
	s_cmp_eq_u32 s15, 15
	s_mov_b64 s[0:1], -1
	s_cbranch_scc0 .LBB105_1848
; %bb.1847:
	global_store_short v[4:5], v1, off
	s_mov_b64 s[0:1], 0
	s_mov_b64 s[8:9], -1
.LBB105_1848:
	s_mov_b64 s[10:11], 0
.LBB105_1849:
	s_and_b64 vcc, exec, s[10:11]
	s_cbranch_vccz .LBB105_1851
; %bb.1850:
	s_cmp_lg_u32 s15, 11
	s_mov_b64 s[6:7], -1
	s_cselect_b64 s[0:1], -1, 0
.LBB105_1851:
	s_and_b64 vcc, exec, s[0:1]
	s_cbranch_vccnz .LBB105_2145
; %bb.1852:
	s_andn2_b64 vcc, exec, s[6:7]
	s_cbranch_vccnz .LBB105_1854
.LBB105_1853:
	v_and_b32_e32 v3, 0x7fff, v1
	v_cmp_ne_u16_e32 vcc, 0, v3
	s_mov_b64 s[8:9], -1
	s_nop 0
	v_cndmask_b32_e64 v3, 0, 1, vcc
	global_store_byte v[4:5], v3, off
.LBB105_1854:
	s_mov_b64 s[0:1], 0
	s_branch .LBB105_1856
.LBB105_1855:
	s_mov_b64 s[0:1], -1
	s_mov_b64 s[8:9], 0
.LBB105_1856:
	s_and_b64 vcc, exec, s[0:1]
	s_cbranch_vccz .LBB105_1895
; %bb.1857:
	s_and_b32 s6, 0xffff, s14
	s_cmp_lt_i32 s6, 5
	s_mov_b64 s[0:1], -1
	s_cbranch_scc1 .LBB105_1878
; %bb.1858:
	s_cmp_lt_i32 s6, 8
	s_cbranch_scc1 .LBB105_1868
; %bb.1859:
	s_cmp_lt_i32 s6, 9
	s_cbranch_scc1 .LBB105_1865
; %bb.1860:
	s_cmp_gt_i32 s6, 9
	s_cbranch_scc0 .LBB105_1862
; %bb.1861:
	v_lshlrev_b32_e32 v3, 16, v1
	v_mov_b32_e32 v8, 0
	v_cvt_f64_f32_e32 v[6:7], v3
	v_mov_b32_e32 v9, v8
	global_store_dwordx4 v[4:5], v[6:9], off
	s_mov_b64 s[0:1], 0
.LBB105_1862:
	s_andn2_b64 vcc, exec, s[0:1]
	s_cbranch_vccnz .LBB105_1864
; %bb.1863:
	v_lshlrev_b32_e32 v6, 16, v1
	v_mov_b32_e32 v7, 0
	global_store_dwordx2 v[4:5], v[6:7], off
.LBB105_1864:
	s_mov_b64 s[0:1], 0
.LBB105_1865:
	s_andn2_b64 vcc, exec, s[0:1]
	s_cbranch_vccnz .LBB105_1867
; %bb.1866:
	v_lshlrev_b32_e32 v3, 16, v1
	v_cvt_f16_f32_e32 v3, v3
	global_store_dword v[4:5], v3, off
.LBB105_1867:
	s_mov_b64 s[0:1], 0
.LBB105_1868:
	s_andn2_b64 vcc, exec, s[0:1]
	s_cbranch_vccnz .LBB105_1877
; %bb.1869:
	s_cmp_lt_i32 s6, 6
	s_mov_b64 s[0:1], -1
	s_cbranch_scc1 .LBB105_1875
; %bb.1870:
	s_cmp_gt_i32 s6, 6
	s_cbranch_scc0 .LBB105_1872
; %bb.1871:
	v_lshlrev_b32_e32 v3, 16, v1
	v_cvt_f64_f32_e32 v[6:7], v3
	global_store_dwordx2 v[4:5], v[6:7], off
	s_mov_b64 s[0:1], 0
.LBB105_1872:
	s_andn2_b64 vcc, exec, s[0:1]
	s_cbranch_vccnz .LBB105_1874
; %bb.1873:
	v_lshlrev_b32_e32 v3, 16, v1
	global_store_dword v[4:5], v3, off
.LBB105_1874:
	s_mov_b64 s[0:1], 0
.LBB105_1875:
	s_andn2_b64 vcc, exec, s[0:1]
	s_cbranch_vccnz .LBB105_1877
; %bb.1876:
	v_lshlrev_b32_e32 v3, 16, v1
	v_cvt_f16_f32_e32 v3, v3
	global_store_short v[4:5], v3, off
.LBB105_1877:
	s_mov_b64 s[0:1], 0
.LBB105_1878:
	s_andn2_b64 vcc, exec, s[0:1]
	s_cbranch_vccnz .LBB105_1894
; %bb.1879:
	s_cmp_lt_i32 s6, 2
	s_mov_b64 s[0:1], -1
	s_cbranch_scc1 .LBB105_1889
; %bb.1880:
	s_cmp_lt_i32 s6, 3
	s_cbranch_scc1 .LBB105_1886
; %bb.1881:
	s_cmp_gt_i32 s6, 3
	s_cbranch_scc0 .LBB105_1883
; %bb.1882:
	v_lshlrev_b32_e32 v3, 16, v1
	v_trunc_f32_e32 v3, v3
	s_mov_b32 s0, 0x2f800000
	v_mul_f32_e64 v6, |v3|, s0
	v_floor_f32_e32 v6, v6
	s_mov_b32 s0, 0xcf800000
	v_cvt_u32_f32_e32 v7, v6
	v_fma_f32 v6, v6, s0, |v3|
	v_cvt_u32_f32_e32 v6, v6
	v_ashrrev_i32_e32 v3, 31, v3
	v_xor_b32_e32 v7, v7, v3
	s_mov_b64 s[0:1], 0
	v_xor_b32_e32 v6, v6, v3
	v_sub_co_u32_e32 v6, vcc, v6, v3
	s_nop 1
	v_subb_co_u32_e32 v7, vcc, v7, v3, vcc
	global_store_dwordx2 v[4:5], v[6:7], off
.LBB105_1883:
	s_andn2_b64 vcc, exec, s[0:1]
	s_cbranch_vccnz .LBB105_1885
; %bb.1884:
	v_lshlrev_b32_e32 v3, 16, v1
	v_cvt_i32_f32_e32 v3, v3
	global_store_dword v[4:5], v3, off
.LBB105_1885:
	s_mov_b64 s[0:1], 0
.LBB105_1886:
	s_andn2_b64 vcc, exec, s[0:1]
	s_cbranch_vccnz .LBB105_1888
; %bb.1887:
	v_lshlrev_b32_e32 v3, 16, v1
	v_cvt_i32_f32_e32 v3, v3
	global_store_short v[4:5], v3, off
.LBB105_1888:
	s_mov_b64 s[0:1], 0
.LBB105_1889:
	s_andn2_b64 vcc, exec, s[0:1]
	s_cbranch_vccnz .LBB105_1894
; %bb.1890:
	s_mov_b64 s[0:1], -1
	s_cmp_gt_i32 s6, 0
	v_lshlrev_b32_e32 v1, 16, v1
	s_cbranch_scc0 .LBB105_1892
; %bb.1891:
	v_cvt_i32_f32_e32 v3, v1
	s_mov_b64 s[0:1], 0
	global_store_byte v[4:5], v3, off
.LBB105_1892:
	s_andn2_b64 vcc, exec, s[0:1]
	s_cbranch_vccnz .LBB105_1894
; %bb.1893:
	v_trunc_f32_e32 v1, v1
	s_mov_b32 s0, 0x2f800000
	v_mul_f32_e64 v3, |v1|, s0
	v_floor_f32_e32 v3, v3
	s_mov_b32 s0, 0xcf800000
	v_fma_f32 v3, v3, s0, |v1|
	v_cvt_u32_f32_e32 v3, v3
	v_ashrrev_i32_e32 v1, 31, v1
	v_xor_b32_e32 v3, v3, v1
	v_sub_u32_e32 v1, v3, v1
	global_store_byte v[4:5], v1, off
.LBB105_1894:
	s_mov_b64 s[8:9], -1
.LBB105_1895:
	s_andn2_b64 vcc, exec, s[8:9]
	s_cbranch_vccnz .LBB105_2091
; %bb.1896:
	v_lshlrev_b32_e32 v1, 16, v12
	v_mul_f32_e32 v3, 0x3fb8aa3b, v1
	s_mov_b32 s0, 0x3fb8aa3b
	v_rndne_f32_e32 v4, v3
	v_sub_f32_e32 v5, v3, v4
	v_fma_f32 v3, v1, s0, -v3
	v_fmamk_f32 v3, v1, 0x32a5705f, v3
	v_add_f32_e32 v3, v5, v3
	v_exp_f32_e32 v3, v3
	v_cvt_i32_f32_e32 v4, v4
	s_mov_b32 s0, 0xc2ce8ed0
	v_cmp_ngt_f32_e32 vcc, s0, v1
	s_mov_b32 s0, 0x42b17218
	v_ldexp_f32 v3, v3, v4
	v_cndmask_b32_e32 v3, 0, v3, vcc
	v_mov_b32_e32 v4, 0x7f800000
	v_cmp_nlt_f32_e32 vcc, s0, v1
	s_movk_i32 s0, 0x7fff
	s_cmp_lt_i32 s14, 11
	v_cndmask_b32_e32 v1, v4, v3, vcc
	v_bfe_u32 v3, v1, 16, 1
	v_add3_u32 v3, v1, v3, s0
	v_cmp_o_f32_e32 vcc, v1, v1
	v_mov_b32_e32 v1, 0x7fc0
	s_nop 0
	v_cndmask_b32_sdwa v1, v1, v3, vcc dst_sel:DWORD dst_unused:UNUSED_PAD src0_sel:DWORD src1_sel:WORD_1
	v_mov_b32_e32 v3, 0
	v_lshl_add_u64 v[2:3], s[4:5], 0, v[2:3]
	s_cbranch_scc1 .LBB105_1974
; %bb.1897:
	s_and_b32 s15, 0xffff, s14
	s_mov_b64 s[10:11], -1
	s_mov_b64 s[6:7], 0
	s_cmp_gt_i32 s15, 25
	s_mov_b64 s[8:9], 0
	s_mov_b64 s[0:1], 0
	s_cbranch_scc0 .LBB105_1930
; %bb.1898:
	s_cmp_gt_i32 s15, 28
	s_cbranch_scc0 .LBB105_1913
; %bb.1899:
	s_cmp_gt_i32 s15, 43
	;; [unrolled: 3-line block ×3, first 2 shown]
	s_cbranch_scc0 .LBB105_1903
; %bb.1901:
	s_mov_b64 s[0:1], -1
	s_mov_b64 s[10:11], 0
	s_cmp_eq_u32 s15, 46
	s_cbranch_scc0 .LBB105_1903
; %bb.1902:
	v_and_b32_e32 v4, 0xffff, v1
	global_store_dword v[2:3], v4, off
	s_mov_b64 s[0:1], 0
	s_mov_b64 s[8:9], -1
.LBB105_1903:
	s_and_b64 vcc, exec, s[10:11]
	s_cbranch_vccz .LBB105_1908
; %bb.1904:
	s_cmp_eq_u32 s15, 44
	s_mov_b64 s[0:1], -1
	s_cbranch_scc0 .LBB105_1908
; %bb.1905:
	v_and_b32_e32 v5, 0xffff, v1
	v_bfe_u32 v4, v5, 7, 8
	s_movk_i32 s0, 0xff
	v_cmp_ne_u32_e32 vcc, s0, v4
	v_mov_b32_e32 v6, 0xff
	s_and_saveexec_b64 s[8:9], vcc
	s_cbranch_execz .LBB105_1907
; %bb.1906:
	v_lshlrev_b32_e32 v7, 16, v5
	s_mov_b32 s0, 0x3f0000
	v_lshrrev_b32_e32 v6, 7, v5
	v_and_b32_e32 v5, 64, v5
	v_and_or_b32 v4, v7, s0, v4
	v_cmp_ne_u32_e32 vcc, 0, v5
	v_cmp_ne_u32_e64 s[0:1], 0, v4
	s_and_b64 s[0:1], vcc, s[0:1]
	s_nop 0
	v_cndmask_b32_e64 v4, 0, 1, s[0:1]
	v_add_u32_e32 v6, v6, v4
.LBB105_1907:
	s_or_b64 exec, exec, s[8:9]
	s_mov_b64 s[0:1], 0
	s_mov_b64 s[8:9], -1
	global_store_byte v[2:3], v6, off
.LBB105_1908:
	s_mov_b64 s[10:11], 0
.LBB105_1909:
	s_and_b64 vcc, exec, s[10:11]
	s_cbranch_vccz .LBB105_1912
; %bb.1910:
	s_cmp_eq_u32 s15, 29
	s_mov_b64 s[0:1], -1
	s_cbranch_scc0 .LBB105_1912
; %bb.1911:
	v_lshlrev_b32_e32 v4, 16, v1
	v_trunc_f32_e32 v4, v4
	v_mul_f32_e32 v5, 0x2f800000, v4
	v_floor_f32_e32 v6, v5
	v_fmamk_f32 v4, v6, 0xcf800000, v4
	v_cvt_u32_f32_e32 v5, v6
	v_cvt_u32_f32_e32 v4, v4
	s_mov_b64 s[0:1], 0
	s_mov_b64 s[8:9], -1
	global_store_dwordx2 v[2:3], v[4:5], off
.LBB105_1912:
	s_mov_b64 s[10:11], 0
.LBB105_1913:
	s_and_b64 vcc, exec, s[10:11]
	s_cbranch_vccz .LBB105_1929
; %bb.1914:
	s_cmp_lt_i32 s15, 27
	s_mov_b64 s[8:9], -1
	s_cbranch_scc1 .LBB105_1920
; %bb.1915:
	s_cmp_gt_i32 s15, 27
	s_cbranch_scc0 .LBB105_1917
; %bb.1916:
	v_lshlrev_b32_e32 v4, 16, v1
	v_cvt_u32_f32_e32 v4, v4
	s_mov_b64 s[8:9], 0
	global_store_dword v[2:3], v4, off
.LBB105_1917:
	s_andn2_b64 vcc, exec, s[8:9]
	s_cbranch_vccnz .LBB105_1919
; %bb.1918:
	v_lshlrev_b32_e32 v4, 16, v1
	v_cvt_u32_f32_e32 v4, v4
	global_store_short v[2:3], v4, off
.LBB105_1919:
	s_mov_b64 s[8:9], 0
.LBB105_1920:
	s_andn2_b64 vcc, exec, s[8:9]
	s_cbranch_vccnz .LBB105_1928
; %bb.1921:
	v_lshlrev_b32_e32 v6, 16, v1
	v_and_b32_e32 v5, 0x7fffffff, v6
	s_mov_b32 s8, 0x43800000
	v_cmp_gt_u32_e32 vcc, s8, v5
	v_mov_b32_e32 v7, 0x80
	s_and_saveexec_b64 s[8:9], vcc
	s_cbranch_execz .LBB105_1927
; %bb.1922:
	s_mov_b32 s10, 0x3bffffff
	v_and_b32_e32 v4, 0xffff, v1
	v_cmp_lt_u32_e32 vcc, s10, v5
	s_mov_b64 s[10:11], 0
                                        ; implicit-def: $vgpr5
	s_and_saveexec_b64 s[12:13], vcc
	s_xor_b64 s[12:13], exec, s[12:13]
	s_cbranch_execz .LBB105_2148
; %bb.1923:
	v_bfe_u32 v5, v4, 4, 1
	s_mov_b32 s16, 0x487ffff
	v_add3_u32 v5, v6, v5, s16
	s_mov_b64 s[10:11], exec
	v_lshrrev_b32_e32 v5, 20, v5
                                        ; implicit-def: $vgpr6
	s_andn2_saveexec_b64 s[12:13], s[12:13]
	s_cbranch_execnz .LBB105_2149
.LBB105_1924:
	s_or_b64 exec, exec, s[12:13]
	v_mov_b32_e32 v7, 0
	s_and_saveexec_b64 s[12:13], s[10:11]
.LBB105_1925:
	v_lshrrev_b32_e32 v4, 8, v4
	s_movk_i32 s10, 0x80
	v_and_or_b32 v7, v4, s10, v5
.LBB105_1926:
	s_or_b64 exec, exec, s[12:13]
.LBB105_1927:
	s_or_b64 exec, exec, s[8:9]
	global_store_byte v[2:3], v7, off
.LBB105_1928:
	s_mov_b64 s[8:9], -1
.LBB105_1929:
	s_mov_b64 s[10:11], 0
.LBB105_1930:
	s_and_b64 vcc, exec, s[10:11]
	s_cbranch_vccz .LBB105_1970
; %bb.1931:
	s_cmp_gt_i32 s15, 22
	s_mov_b64 s[6:7], -1
	s_cbranch_scc0 .LBB105_1963
; %bb.1932:
	s_cmp_lt_i32 s15, 24
	s_cbranch_scc1 .LBB105_1952
; %bb.1933:
	s_cmp_gt_i32 s15, 24
	s_cbranch_scc0 .LBB105_1941
; %bb.1934:
	v_lshlrev_b32_e32 v6, 16, v1
	v_and_b32_e32 v5, 0x7fffffff, v6
	s_mov_b32 s6, 0x47800000
	v_cmp_gt_u32_e32 vcc, s6, v5
	v_mov_b32_e32 v7, 0x80
	s_and_saveexec_b64 s[6:7], vcc
	s_cbranch_execz .LBB105_1940
; %bb.1935:
	s_mov_b32 s8, 0x37ffffff
	v_and_b32_e32 v4, 0xffff, v1
	v_cmp_lt_u32_e32 vcc, s8, v5
	s_mov_b64 s[8:9], 0
                                        ; implicit-def: $vgpr5
	s_and_saveexec_b64 s[10:11], vcc
	s_xor_b64 s[10:11], exec, s[10:11]
	s_cbranch_execz .LBB105_2151
; %bb.1936:
	v_bfe_u32 v5, v4, 5, 1
	s_mov_b32 s12, 0x88fffff
	v_add3_u32 v5, v6, v5, s12
	s_mov_b64 s[8:9], exec
	v_lshrrev_b32_e32 v5, 21, v5
                                        ; implicit-def: $vgpr6
	s_andn2_saveexec_b64 s[10:11], s[10:11]
	s_cbranch_execnz .LBB105_2152
.LBB105_1937:
	s_or_b64 exec, exec, s[10:11]
	v_mov_b32_e32 v7, 0
	s_and_saveexec_b64 s[10:11], s[8:9]
.LBB105_1938:
	v_lshrrev_b32_e32 v4, 8, v4
	s_movk_i32 s8, 0x80
	v_and_or_b32 v7, v4, s8, v5
.LBB105_1939:
	s_or_b64 exec, exec, s[10:11]
.LBB105_1940:
	s_or_b64 exec, exec, s[6:7]
	s_mov_b64 s[6:7], 0
	global_store_byte v[2:3], v7, off
.LBB105_1941:
	s_and_b64 vcc, exec, s[6:7]
	s_cbranch_vccz .LBB105_1951
; %bb.1942:
	v_lshlrev_b32_e32 v6, 16, v1
	v_and_b32_e32 v7, 0x7fffffff, v6
	s_mov_b32 s6, 0x43f00000
	v_and_b32_e32 v4, 0xffff, v1
	v_cmp_gt_u32_e32 vcc, s6, v7
                                        ; implicit-def: $vgpr5
	s_and_saveexec_b64 s[6:7], vcc
	s_xor_b64 s[6:7], exec, s[6:7]
	s_cbranch_execz .LBB105_1948
; %bb.1943:
	s_mov_b32 s8, 0x3c7fffff
	v_cmp_lt_u32_e32 vcc, s8, v7
                                        ; implicit-def: $vgpr5
	s_and_saveexec_b64 s[8:9], vcc
	s_xor_b64 s[8:9], exec, s[8:9]
; %bb.1944:
	v_bfe_u32 v5, v4, 4, 1
	s_mov_b32 s10, 0x407ffff
	v_add3_u32 v5, v6, v5, s10
	v_lshrrev_b32_e32 v6, 20, v5
	v_and_b32_e32 v5, 0xff00000, v5
	s_mov_b32 s10, 0x7f00000
	v_mov_b32_e32 v7, 0x7e
	v_cmp_ne_u32_e32 vcc, s10, v5
	s_nop 1
	v_cndmask_b32_e32 v5, v7, v6, vcc
                                        ; implicit-def: $vgpr6
; %bb.1945:
	s_andn2_saveexec_b64 s[8:9], s[8:9]
; %bb.1946:
	s_mov_b32 s10, 0x46800000
	v_add_f32_e64 v5, |v6|, s10
; %bb.1947:
	s_or_b64 exec, exec, s[8:9]
                                        ; implicit-def: $vgpr7
.LBB105_1948:
	s_andn2_saveexec_b64 s[6:7], s[6:7]
; %bb.1949:
	s_mov_b32 s8, 0x7f800000
	v_mov_b32_e32 v5, 0x7e
	v_mov_b32_e32 v6, 0x7f
	v_cmp_lt_u32_e32 vcc, s8, v7
	s_nop 1
	v_cndmask_b32_e32 v5, v5, v6, vcc
; %bb.1950:
	s_or_b64 exec, exec, s[6:7]
	v_lshrrev_b32_e32 v4, 8, v4
	s_movk_i32 s6, 0x80
	v_and_or_b32 v4, v4, s6, v5
	global_store_byte v[2:3], v4, off
.LBB105_1951:
	s_mov_b64 s[6:7], 0
.LBB105_1952:
	s_andn2_b64 vcc, exec, s[6:7]
	s_cbranch_vccnz .LBB105_1962
; %bb.1953:
	v_lshlrev_b32_e32 v6, 16, v1
	v_and_b32_e32 v7, 0x7fffffff, v6
	s_mov_b32 s6, 0x47800000
	v_and_b32_e32 v4, 0xffff, v1
	v_cmp_gt_u32_e32 vcc, s6, v7
                                        ; implicit-def: $vgpr5
	s_and_saveexec_b64 s[6:7], vcc
	s_xor_b64 s[6:7], exec, s[6:7]
	s_cbranch_execz .LBB105_1959
; %bb.1954:
	s_mov_b32 s8, 0x387fffff
	v_cmp_lt_u32_e32 vcc, s8, v7
                                        ; implicit-def: $vgpr5
	s_and_saveexec_b64 s[8:9], vcc
	s_xor_b64 s[8:9], exec, s[8:9]
; %bb.1955:
	v_bfe_u32 v5, v4, 5, 1
	s_mov_b32 s10, 0x80fffff
	v_add3_u32 v5, v6, v5, s10
	v_lshrrev_b32_e32 v5, 21, v5
                                        ; implicit-def: $vgpr6
; %bb.1956:
	s_andn2_saveexec_b64 s[8:9], s[8:9]
; %bb.1957:
	s_mov_b32 s10, 0x43000000
	v_add_f32_e64 v5, |v6|, s10
; %bb.1958:
	s_or_b64 exec, exec, s[8:9]
                                        ; implicit-def: $vgpr7
.LBB105_1959:
	s_andn2_saveexec_b64 s[6:7], s[6:7]
; %bb.1960:
	s_mov_b32 s8, 0x7f800000
	v_mov_b32_e32 v5, 0x7c
	v_mov_b32_e32 v6, 0x7f
	v_cmp_lt_u32_e32 vcc, s8, v7
	s_nop 1
	v_cndmask_b32_e32 v5, v5, v6, vcc
; %bb.1961:
	s_or_b64 exec, exec, s[6:7]
	v_lshrrev_b32_e32 v4, 8, v4
	s_movk_i32 s6, 0x80
	v_and_or_b32 v4, v4, s6, v5
	global_store_byte v[2:3], v4, off
.LBB105_1962:
	s_mov_b64 s[6:7], 0
	s_mov_b64 s[8:9], -1
.LBB105_1963:
	s_andn2_b64 vcc, exec, s[6:7]
	s_mov_b64 s[6:7], 0
	s_cbranch_vccnz .LBB105_1970
; %bb.1964:
	s_cmp_gt_i32 s15, 14
	s_mov_b64 s[10:11], -1
	s_cbranch_scc0 .LBB105_1968
; %bb.1965:
	s_cmp_eq_u32 s15, 15
	s_mov_b64 s[0:1], -1
	s_cbranch_scc0 .LBB105_1967
; %bb.1966:
	global_store_short v[2:3], v1, off
	s_mov_b64 s[0:1], 0
	s_mov_b64 s[8:9], -1
.LBB105_1967:
	s_mov_b64 s[10:11], 0
.LBB105_1968:
	s_and_b64 vcc, exec, s[10:11]
	s_cbranch_vccz .LBB105_1970
; %bb.1969:
	s_cmp_lg_u32 s15, 11
	s_mov_b64 s[6:7], -1
	s_cselect_b64 s[0:1], -1, 0
.LBB105_1970:
	s_and_b64 vcc, exec, s[0:1]
	s_cbranch_vccnz .LBB105_2150
; %bb.1971:
	s_andn2_b64 vcc, exec, s[6:7]
	s_cbranch_vccnz .LBB105_1973
.LBB105_1972:
	v_and_b32_e32 v4, 0x7fff, v1
	v_cmp_ne_u16_e32 vcc, 0, v4
	s_mov_b64 s[8:9], -1
	s_nop 0
	v_cndmask_b32_e64 v4, 0, 1, vcc
	global_store_byte v[2:3], v4, off
.LBB105_1973:
	s_mov_b64 s[0:1], 0
	s_branch .LBB105_1975
.LBB105_1974:
	s_mov_b64 s[0:1], -1
	s_mov_b64 s[8:9], 0
.LBB105_1975:
	s_and_b64 vcc, exec, s[0:1]
	s_cbranch_vccz .LBB105_2014
; %bb.1976:
	s_and_b32 s6, 0xffff, s14
	s_cmp_lt_i32 s6, 5
	s_mov_b64 s[0:1], -1
	s_cbranch_scc1 .LBB105_1997
; %bb.1977:
	s_cmp_lt_i32 s6, 8
	s_cbranch_scc1 .LBB105_1987
; %bb.1978:
	s_cmp_lt_i32 s6, 9
	s_cbranch_scc1 .LBB105_1984
; %bb.1979:
	s_cmp_gt_i32 s6, 9
	s_cbranch_scc0 .LBB105_1981
; %bb.1980:
	v_lshlrev_b32_e32 v4, 16, v1
	v_mov_b32_e32 v6, 0
	v_cvt_f64_f32_e32 v[4:5], v4
	v_mov_b32_e32 v7, v6
	global_store_dwordx4 v[2:3], v[4:7], off
	s_mov_b64 s[0:1], 0
.LBB105_1981:
	s_andn2_b64 vcc, exec, s[0:1]
	s_cbranch_vccnz .LBB105_1983
; %bb.1982:
	v_lshlrev_b32_e32 v4, 16, v1
	v_mov_b32_e32 v5, 0
	global_store_dwordx2 v[2:3], v[4:5], off
.LBB105_1983:
	s_mov_b64 s[0:1], 0
.LBB105_1984:
	s_andn2_b64 vcc, exec, s[0:1]
	s_cbranch_vccnz .LBB105_1986
; %bb.1985:
	v_lshlrev_b32_e32 v4, 16, v1
	v_cvt_f16_f32_e32 v4, v4
	global_store_dword v[2:3], v4, off
.LBB105_1986:
	s_mov_b64 s[0:1], 0
.LBB105_1987:
	s_andn2_b64 vcc, exec, s[0:1]
	s_cbranch_vccnz .LBB105_1996
; %bb.1988:
	s_cmp_lt_i32 s6, 6
	s_mov_b64 s[0:1], -1
	s_cbranch_scc1 .LBB105_1994
; %bb.1989:
	s_cmp_gt_i32 s6, 6
	s_cbranch_scc0 .LBB105_1991
; %bb.1990:
	v_lshlrev_b32_e32 v4, 16, v1
	v_cvt_f64_f32_e32 v[4:5], v4
	global_store_dwordx2 v[2:3], v[4:5], off
	s_mov_b64 s[0:1], 0
.LBB105_1991:
	s_andn2_b64 vcc, exec, s[0:1]
	s_cbranch_vccnz .LBB105_1993
; %bb.1992:
	v_lshlrev_b32_e32 v4, 16, v1
	global_store_dword v[2:3], v4, off
.LBB105_1993:
	s_mov_b64 s[0:1], 0
.LBB105_1994:
	s_andn2_b64 vcc, exec, s[0:1]
	s_cbranch_vccnz .LBB105_1996
; %bb.1995:
	v_lshlrev_b32_e32 v4, 16, v1
	v_cvt_f16_f32_e32 v4, v4
	global_store_short v[2:3], v4, off
.LBB105_1996:
	s_mov_b64 s[0:1], 0
.LBB105_1997:
	s_andn2_b64 vcc, exec, s[0:1]
	s_cbranch_vccnz .LBB105_2013
; %bb.1998:
	s_cmp_lt_i32 s6, 2
	s_mov_b64 s[0:1], -1
	s_cbranch_scc1 .LBB105_2008
; %bb.1999:
	s_cmp_lt_i32 s6, 3
	s_cbranch_scc1 .LBB105_2005
; %bb.2000:
	s_cmp_gt_i32 s6, 3
	s_cbranch_scc0 .LBB105_2002
; %bb.2001:
	v_lshlrev_b32_e32 v4, 16, v1
	v_trunc_f32_e32 v4, v4
	s_mov_b32 s0, 0x2f800000
	v_mul_f32_e64 v5, |v4|, s0
	v_floor_f32_e32 v5, v5
	s_mov_b32 s0, 0xcf800000
	v_cvt_u32_f32_e32 v6, v5
	v_fma_f32 v5, v5, s0, |v4|
	v_cvt_u32_f32_e32 v5, v5
	v_ashrrev_i32_e32 v7, 31, v4
	v_xor_b32_e32 v6, v6, v7
	s_mov_b64 s[0:1], 0
	v_xor_b32_e32 v4, v5, v7
	v_sub_co_u32_e32 v4, vcc, v4, v7
	s_nop 1
	v_subb_co_u32_e32 v5, vcc, v6, v7, vcc
	global_store_dwordx2 v[2:3], v[4:5], off
.LBB105_2002:
	s_andn2_b64 vcc, exec, s[0:1]
	s_cbranch_vccnz .LBB105_2004
; %bb.2003:
	v_lshlrev_b32_e32 v4, 16, v1
	v_cvt_i32_f32_e32 v4, v4
	global_store_dword v[2:3], v4, off
.LBB105_2004:
	s_mov_b64 s[0:1], 0
.LBB105_2005:
	s_andn2_b64 vcc, exec, s[0:1]
	s_cbranch_vccnz .LBB105_2007
; %bb.2006:
	v_lshlrev_b32_e32 v4, 16, v1
	v_cvt_i32_f32_e32 v4, v4
	global_store_short v[2:3], v4, off
.LBB105_2007:
	s_mov_b64 s[0:1], 0
.LBB105_2008:
	s_andn2_b64 vcc, exec, s[0:1]
	s_cbranch_vccnz .LBB105_2013
; %bb.2009:
	s_cmp_gt_i32 s6, 0
	s_mov_b64 s[0:1], -1
	s_cbranch_scc0 .LBB105_2011
; %bb.2010:
	v_lshlrev_b32_e32 v4, 16, v1
	v_cvt_i32_f32_e32 v4, v4
	s_mov_b64 s[0:1], 0
	global_store_byte v[2:3], v4, off
.LBB105_2011:
	s_andn2_b64 vcc, exec, s[0:1]
	s_cbranch_vccnz .LBB105_2013
; %bb.2012:
	v_lshlrev_b32_e32 v1, 16, v1
	v_trunc_f32_e32 v1, v1
	s_mov_b32 s0, 0x2f800000
	v_mul_f32_e64 v4, |v1|, s0
	v_floor_f32_e32 v4, v4
	s_mov_b32 s0, 0xcf800000
	v_fma_f32 v4, v4, s0, |v1|
	v_cvt_u32_f32_e32 v4, v4
	v_ashrrev_i32_e32 v1, 31, v1
	v_xor_b32_e32 v4, v4, v1
	v_sub_u32_e32 v1, v4, v1
	global_store_byte v[2:3], v1, off
.LBB105_2013:
	s_mov_b64 s[8:9], -1
.LBB105_2014:
	s_andn2_b64 vcc, exec, s[8:9]
	s_cbranch_vccnz .LBB105_2091
; %bb.2015:
	v_lshlrev_b32_e32 v1, 16, v10
	v_mul_f32_e32 v2, 0x3fb8aa3b, v1
	s_mov_b32 s0, 0x3fb8aa3b
	v_rndne_f32_e32 v3, v2
	v_sub_f32_e32 v4, v2, v3
	v_fma_f32 v2, v1, s0, -v2
	v_fmamk_f32 v2, v1, 0x32a5705f, v2
	v_add_f32_e32 v2, v4, v2
	v_exp_f32_e32 v2, v2
	v_cvt_i32_f32_e32 v3, v3
	s_mov_b32 s0, 0xc2ce8ed0
	v_cmp_ngt_f32_e32 vcc, s0, v1
	s_mov_b32 s0, 0x42b17218
	v_ldexp_f32 v2, v2, v3
	v_cndmask_b32_e32 v2, 0, v2, vcc
	v_mov_b32_e32 v3, 0x7f800000
	v_cmp_nlt_f32_e32 vcc, s0, v1
	s_movk_i32 s0, 0x7fff
	s_cmp_lt_i32 s14, 11
	v_cndmask_b32_e32 v1, v3, v2, vcc
	v_bfe_u32 v2, v1, 16, 1
	v_add3_u32 v2, v1, v2, s0
	v_cmp_o_f32_e32 vcc, v1, v1
	v_mov_b32_e32 v1, 0x7fc0
	s_nop 0
	v_cndmask_b32_sdwa v2, v1, v2, vcc dst_sel:DWORD dst_unused:UNUSED_PAD src0_sel:DWORD src1_sel:WORD_1
	v_mov_b32_e32 v1, 0
	v_lshl_add_u64 v[0:1], s[4:5], 0, v[0:1]
	s_cbranch_scc1 .LBB105_2136
; %bb.2016:
	s_and_b32 s12, 0xffff, s14
	s_mov_b64 s[6:7], -1
	s_mov_b64 s[4:5], 0
	s_cmp_gt_i32 s12, 25
	s_mov_b64 s[0:1], 0
	s_cbranch_scc0 .LBB105_2049
; %bb.2017:
	s_cmp_gt_i32 s12, 28
	s_cbranch_scc0 .LBB105_2033
; %bb.2018:
	s_cmp_gt_i32 s12, 43
	;; [unrolled: 3-line block ×3, first 2 shown]
	s_cbranch_scc0 .LBB105_2023
; %bb.2020:
	s_cmp_eq_u32 s12, 46
	s_mov_b64 s[0:1], -1
	s_cbranch_scc0 .LBB105_2022
; %bb.2021:
	v_and_b32_e32 v3, 0xffff, v2
	global_store_dword v[0:1], v3, off
	s_mov_b64 s[0:1], 0
.LBB105_2022:
	s_mov_b64 s[6:7], 0
.LBB105_2023:
	s_and_b64 vcc, exec, s[6:7]
	s_cbranch_vccz .LBB105_2028
; %bb.2024:
	s_cmp_eq_u32 s12, 44
	s_mov_b64 s[0:1], -1
	s_cbranch_scc0 .LBB105_2028
; %bb.2025:
	v_and_b32_e32 v4, 0xffff, v2
	v_bfe_u32 v3, v4, 7, 8
	s_movk_i32 s0, 0xff
	v_cmp_ne_u32_e32 vcc, s0, v3
	v_mov_b32_e32 v5, 0xff
	s_and_saveexec_b64 s[6:7], vcc
	s_cbranch_execz .LBB105_2027
; %bb.2026:
	v_lshlrev_b32_e32 v6, 16, v4
	s_mov_b32 s0, 0x3f0000
	v_lshrrev_b32_e32 v5, 7, v4
	v_and_b32_e32 v4, 64, v4
	v_and_or_b32 v3, v6, s0, v3
	v_cmp_ne_u32_e32 vcc, 0, v4
	v_cmp_ne_u32_e64 s[0:1], 0, v3
	s_and_b64 s[0:1], vcc, s[0:1]
	s_nop 0
	v_cndmask_b32_e64 v3, 0, 1, s[0:1]
	v_add_u32_e32 v5, v5, v3
.LBB105_2027:
	s_or_b64 exec, exec, s[6:7]
	s_mov_b64 s[0:1], 0
	global_store_byte v[0:1], v5, off
.LBB105_2028:
	s_mov_b64 s[6:7], 0
.LBB105_2029:
	s_and_b64 vcc, exec, s[6:7]
	s_cbranch_vccz .LBB105_2032
; %bb.2030:
	s_cmp_eq_u32 s12, 29
	s_mov_b64 s[0:1], -1
	s_cbranch_scc0 .LBB105_2032
; %bb.2031:
	v_lshlrev_b32_e32 v3, 16, v2
	v_trunc_f32_e32 v3, v3
	v_mul_f32_e32 v4, 0x2f800000, v3
	v_floor_f32_e32 v4, v4
	v_fmamk_f32 v3, v4, 0xcf800000, v3
	v_cvt_u32_f32_e32 v5, v4
	v_cvt_u32_f32_e32 v4, v3
	s_mov_b64 s[0:1], 0
	global_store_dwordx2 v[0:1], v[4:5], off
.LBB105_2032:
	s_mov_b64 s[6:7], 0
.LBB105_2033:
	s_and_b64 vcc, exec, s[6:7]
	s_cbranch_vccz .LBB105_2048
; %bb.2034:
	s_cmp_lt_i32 s12, 27
	s_mov_b64 s[6:7], -1
	s_cbranch_scc1 .LBB105_2040
; %bb.2035:
	s_cmp_gt_i32 s12, 27
	s_cbranch_scc0 .LBB105_2037
; %bb.2036:
	v_lshlrev_b32_e32 v3, 16, v2
	v_cvt_u32_f32_e32 v3, v3
	s_mov_b64 s[6:7], 0
	global_store_dword v[0:1], v3, off
.LBB105_2037:
	s_andn2_b64 vcc, exec, s[6:7]
	s_cbranch_vccnz .LBB105_2039
; %bb.2038:
	v_lshlrev_b32_e32 v3, 16, v2
	v_cvt_u32_f32_e32 v3, v3
	global_store_short v[0:1], v3, off
.LBB105_2039:
	s_mov_b64 s[6:7], 0
.LBB105_2040:
	s_andn2_b64 vcc, exec, s[6:7]
	s_cbranch_vccnz .LBB105_2048
; %bb.2041:
	v_lshlrev_b32_e32 v5, 16, v2
	v_and_b32_e32 v4, 0x7fffffff, v5
	s_mov_b32 s6, 0x43800000
	v_cmp_gt_u32_e32 vcc, s6, v4
	v_mov_b32_e32 v6, 0x80
	s_and_saveexec_b64 s[6:7], vcc
	s_cbranch_execz .LBB105_2047
; %bb.2042:
	s_mov_b32 s8, 0x3bffffff
	v_and_b32_e32 v3, 0xffff, v2
	v_cmp_lt_u32_e32 vcc, s8, v4
	s_mov_b64 s[8:9], 0
                                        ; implicit-def: $vgpr4
	s_and_saveexec_b64 s[10:11], vcc
	s_xor_b64 s[10:11], exec, s[10:11]
	s_cbranch_execz .LBB105_2153
; %bb.2043:
	v_bfe_u32 v4, v3, 4, 1
	s_mov_b32 s13, 0x487ffff
	v_add3_u32 v4, v5, v4, s13
	s_mov_b64 s[8:9], exec
	v_lshrrev_b32_e32 v4, 20, v4
                                        ; implicit-def: $vgpr5
	s_andn2_saveexec_b64 s[10:11], s[10:11]
	s_cbranch_execnz .LBB105_2154
.LBB105_2044:
	s_or_b64 exec, exec, s[10:11]
	v_mov_b32_e32 v6, 0
	s_and_saveexec_b64 s[10:11], s[8:9]
.LBB105_2045:
	v_lshrrev_b32_e32 v3, 8, v3
	s_movk_i32 s8, 0x80
	v_and_or_b32 v6, v3, s8, v4
.LBB105_2046:
	s_or_b64 exec, exec, s[10:11]
.LBB105_2047:
	s_or_b64 exec, exec, s[6:7]
	global_store_byte v[0:1], v6, off
.LBB105_2048:
	s_mov_b64 s[6:7], 0
.LBB105_2049:
	s_and_b64 vcc, exec, s[6:7]
	s_cbranch_vccz .LBB105_2089
; %bb.2050:
	s_cmp_gt_i32 s12, 22
	s_mov_b64 s[4:5], -1
	s_cbranch_scc0 .LBB105_2082
; %bb.2051:
	s_cmp_lt_i32 s12, 24
	s_cbranch_scc1 .LBB105_2071
; %bb.2052:
	s_cmp_gt_i32 s12, 24
	s_cbranch_scc0 .LBB105_2060
; %bb.2053:
	v_lshlrev_b32_e32 v5, 16, v2
	v_and_b32_e32 v4, 0x7fffffff, v5
	s_mov_b32 s4, 0x47800000
	v_cmp_gt_u32_e32 vcc, s4, v4
	v_mov_b32_e32 v6, 0x80
	s_and_saveexec_b64 s[4:5], vcc
	s_cbranch_execz .LBB105_2059
; %bb.2054:
	s_mov_b32 s6, 0x37ffffff
	v_and_b32_e32 v3, 0xffff, v2
	v_cmp_lt_u32_e32 vcc, s6, v4
	s_mov_b64 s[6:7], 0
                                        ; implicit-def: $vgpr4
	s_and_saveexec_b64 s[8:9], vcc
	s_xor_b64 s[8:9], exec, s[8:9]
	s_cbranch_execz .LBB105_2156
; %bb.2055:
	v_bfe_u32 v4, v3, 5, 1
	s_mov_b32 s10, 0x88fffff
	v_add3_u32 v4, v5, v4, s10
	s_mov_b64 s[6:7], exec
	v_lshrrev_b32_e32 v4, 21, v4
                                        ; implicit-def: $vgpr5
	s_andn2_saveexec_b64 s[8:9], s[8:9]
	s_cbranch_execnz .LBB105_2157
.LBB105_2056:
	s_or_b64 exec, exec, s[8:9]
	v_mov_b32_e32 v6, 0
	s_and_saveexec_b64 s[8:9], s[6:7]
.LBB105_2057:
	v_lshrrev_b32_e32 v3, 8, v3
	s_movk_i32 s6, 0x80
	v_and_or_b32 v6, v3, s6, v4
.LBB105_2058:
	s_or_b64 exec, exec, s[8:9]
.LBB105_2059:
	s_or_b64 exec, exec, s[4:5]
	s_mov_b64 s[4:5], 0
	global_store_byte v[0:1], v6, off
.LBB105_2060:
	s_and_b64 vcc, exec, s[4:5]
	s_cbranch_vccz .LBB105_2070
; %bb.2061:
	v_lshlrev_b32_e32 v5, 16, v2
	v_and_b32_e32 v6, 0x7fffffff, v5
	s_mov_b32 s4, 0x43f00000
	v_and_b32_e32 v3, 0xffff, v2
	v_cmp_gt_u32_e32 vcc, s4, v6
                                        ; implicit-def: $vgpr4
	s_and_saveexec_b64 s[4:5], vcc
	s_xor_b64 s[4:5], exec, s[4:5]
	s_cbranch_execz .LBB105_2067
; %bb.2062:
	s_mov_b32 s6, 0x3c7fffff
	v_cmp_lt_u32_e32 vcc, s6, v6
                                        ; implicit-def: $vgpr4
	s_and_saveexec_b64 s[6:7], vcc
	s_xor_b64 s[6:7], exec, s[6:7]
; %bb.2063:
	v_bfe_u32 v4, v3, 4, 1
	s_mov_b32 s8, 0x407ffff
	v_add3_u32 v4, v5, v4, s8
	v_lshrrev_b32_e32 v5, 20, v4
	v_and_b32_e32 v4, 0xff00000, v4
	s_mov_b32 s8, 0x7f00000
	v_mov_b32_e32 v6, 0x7e
	v_cmp_ne_u32_e32 vcc, s8, v4
	s_nop 1
	v_cndmask_b32_e32 v4, v6, v5, vcc
                                        ; implicit-def: $vgpr5
; %bb.2064:
	s_andn2_saveexec_b64 s[6:7], s[6:7]
; %bb.2065:
	s_mov_b32 s8, 0x46800000
	v_add_f32_e64 v4, |v5|, s8
; %bb.2066:
	s_or_b64 exec, exec, s[6:7]
                                        ; implicit-def: $vgpr6
.LBB105_2067:
	s_andn2_saveexec_b64 s[4:5], s[4:5]
; %bb.2068:
	s_mov_b32 s6, 0x7f800000
	v_mov_b32_e32 v4, 0x7e
	v_mov_b32_e32 v5, 0x7f
	v_cmp_lt_u32_e32 vcc, s6, v6
	s_nop 1
	v_cndmask_b32_e32 v4, v4, v5, vcc
; %bb.2069:
	s_or_b64 exec, exec, s[4:5]
	v_lshrrev_b32_e32 v3, 8, v3
	s_movk_i32 s4, 0x80
	v_and_or_b32 v3, v3, s4, v4
	global_store_byte v[0:1], v3, off
.LBB105_2070:
	s_mov_b64 s[4:5], 0
.LBB105_2071:
	s_andn2_b64 vcc, exec, s[4:5]
	s_cbranch_vccnz .LBB105_2081
; %bb.2072:
	v_lshlrev_b32_e32 v5, 16, v2
	v_and_b32_e32 v6, 0x7fffffff, v5
	s_mov_b32 s4, 0x47800000
	v_and_b32_e32 v3, 0xffff, v2
	v_cmp_gt_u32_e32 vcc, s4, v6
                                        ; implicit-def: $vgpr4
	s_and_saveexec_b64 s[4:5], vcc
	s_xor_b64 s[4:5], exec, s[4:5]
	s_cbranch_execz .LBB105_2078
; %bb.2073:
	s_mov_b32 s6, 0x387fffff
	v_cmp_lt_u32_e32 vcc, s6, v6
                                        ; implicit-def: $vgpr4
	s_and_saveexec_b64 s[6:7], vcc
	s_xor_b64 s[6:7], exec, s[6:7]
; %bb.2074:
	v_bfe_u32 v4, v3, 5, 1
	s_mov_b32 s8, 0x80fffff
	v_add3_u32 v4, v5, v4, s8
	v_lshrrev_b32_e32 v4, 21, v4
                                        ; implicit-def: $vgpr5
; %bb.2075:
	s_andn2_saveexec_b64 s[6:7], s[6:7]
; %bb.2076:
	s_mov_b32 s8, 0x43000000
	v_add_f32_e64 v4, |v5|, s8
; %bb.2077:
	s_or_b64 exec, exec, s[6:7]
                                        ; implicit-def: $vgpr6
.LBB105_2078:
	s_andn2_saveexec_b64 s[4:5], s[4:5]
; %bb.2079:
	s_mov_b32 s6, 0x7f800000
	v_mov_b32_e32 v4, 0x7c
	v_mov_b32_e32 v5, 0x7f
	v_cmp_lt_u32_e32 vcc, s6, v6
	s_nop 1
	v_cndmask_b32_e32 v4, v4, v5, vcc
; %bb.2080:
	s_or_b64 exec, exec, s[4:5]
	v_lshrrev_b32_e32 v3, 8, v3
	s_movk_i32 s4, 0x80
	v_and_or_b32 v3, v3, s4, v4
	global_store_byte v[0:1], v3, off
.LBB105_2081:
	s_mov_b64 s[4:5], 0
.LBB105_2082:
	s_andn2_b64 vcc, exec, s[4:5]
	s_mov_b64 s[4:5], 0
	s_cbranch_vccnz .LBB105_2089
; %bb.2083:
	s_cmp_gt_i32 s12, 14
	s_mov_b64 s[6:7], -1
	s_cbranch_scc0 .LBB105_2087
; %bb.2084:
	s_cmp_eq_u32 s12, 15
	s_mov_b64 s[0:1], -1
	s_cbranch_scc0 .LBB105_2086
; %bb.2085:
	global_store_short v[0:1], v2, off
	s_mov_b64 s[0:1], 0
.LBB105_2086:
	s_mov_b64 s[6:7], 0
.LBB105_2087:
	s_and_b64 vcc, exec, s[6:7]
	s_cbranch_vccz .LBB105_2089
; %bb.2088:
	s_cmp_lg_u32 s12, 11
	s_mov_b64 s[4:5], -1
	s_cselect_b64 s[0:1], -1, 0
.LBB105_2089:
	s_and_b64 vcc, exec, s[0:1]
	s_cbranch_vccnz .LBB105_2155
.LBB105_2090:
	s_mov_b64 s[0:1], 0
	s_branch .LBB105_2092
.LBB105_2091:
	s_mov_b64 s[0:1], 0
	s_mov_b64 s[4:5], 0
                                        ; implicit-def: $vgpr0_vgpr1
                                        ; implicit-def: $sgpr14
                                        ; implicit-def: $vgpr2
.LBB105_2092:
	s_and_b64 s[6:7], s[0:1], exec
	s_andn2_b64 s[0:1], s[24:25], exec
	s_and_b64 s[2:3], s[2:3], exec
	s_and_b64 s[40:41], s[4:5], exec
	s_or_b64 s[24:25], s[0:1], s[2:3]
.LBB105_2093:
	s_or_b64 exec, exec, s[26:27]
	s_and_saveexec_b64 s[0:1], s[24:25]
	s_cbranch_execz .LBB105_2096
; %bb.2094:
	; divergent unreachable
	s_or_b64 exec, exec, s[0:1]
	s_and_saveexec_b64 s[0:1], s[40:41]
	s_xor_b64 s[0:1], exec, s[0:1]
	s_cbranch_execnz .LBB105_2097
.LBB105_2095:
	s_or_b64 exec, exec, s[0:1]
	s_and_saveexec_b64 s[0:1], s[6:7]
	s_cbranch_execnz .LBB105_2098
	s_branch .LBB105_2135
.LBB105_2096:
	s_or_b64 exec, exec, s[0:1]
	s_and_saveexec_b64 s[0:1], s[40:41]
	s_xor_b64 s[0:1], exec, s[0:1]
	s_cbranch_execz .LBB105_2095
.LBB105_2097:
	s_waitcnt vmcnt(0)
	v_and_b32_e32 v3, 0x7fff, v2
	v_cmp_ne_u16_e32 vcc, 0, v3
	s_nop 1
	v_cndmask_b32_e64 v3, 0, 1, vcc
	global_store_byte v[0:1], v3, off
	s_or_b64 exec, exec, s[0:1]
	s_and_saveexec_b64 s[0:1], s[6:7]
	s_cbranch_execz .LBB105_2135
.LBB105_2098:
	s_sext_i32_i16 s2, s14
	s_cmp_lt_i32 s2, 5
	s_mov_b64 s[0:1], -1
	s_cbranch_scc1 .LBB105_2119
; %bb.2099:
	s_cmp_lt_i32 s2, 8
	s_cbranch_scc1 .LBB105_2109
; %bb.2100:
	s_cmp_lt_i32 s2, 9
	s_cbranch_scc1 .LBB105_2106
; %bb.2101:
	s_cmp_gt_i32 s2, 9
	s_cbranch_scc0 .LBB105_2103
; %bb.2102:
	s_waitcnt vmcnt(0)
	v_lshlrev_b32_e32 v3, 16, v2
	v_mov_b32_e32 v6, 0
	v_cvt_f64_f32_e32 v[4:5], v3
	v_mov_b32_e32 v7, v6
	global_store_dwordx4 v[0:1], v[4:7], off
	s_mov_b64 s[0:1], 0
.LBB105_2103:
	s_andn2_b64 vcc, exec, s[0:1]
	s_cbranch_vccnz .LBB105_2105
; %bb.2104:
	v_lshlrev_b32_e32 v4, 16, v2
	v_mov_b32_e32 v5, 0
	s_waitcnt vmcnt(0)
	global_store_dwordx2 v[0:1], v[4:5], off
.LBB105_2105:
	s_mov_b64 s[0:1], 0
.LBB105_2106:
	s_andn2_b64 vcc, exec, s[0:1]
	s_cbranch_vccnz .LBB105_2108
; %bb.2107:
	s_waitcnt vmcnt(0)
	v_lshlrev_b32_e32 v3, 16, v2
	v_cvt_f16_f32_e32 v3, v3
	global_store_dword v[0:1], v3, off
.LBB105_2108:
	s_mov_b64 s[0:1], 0
.LBB105_2109:
	s_andn2_b64 vcc, exec, s[0:1]
	s_cbranch_vccnz .LBB105_2118
; %bb.2110:
	s_sext_i32_i16 s2, s14
	s_cmp_lt_i32 s2, 6
	s_mov_b64 s[0:1], -1
	s_cbranch_scc1 .LBB105_2116
; %bb.2111:
	s_cmp_gt_i32 s2, 6
	s_cbranch_scc0 .LBB105_2113
; %bb.2112:
	s_waitcnt vmcnt(0)
	v_lshlrev_b32_e32 v3, 16, v2
	v_cvt_f64_f32_e32 v[4:5], v3
	global_store_dwordx2 v[0:1], v[4:5], off
	s_mov_b64 s[0:1], 0
.LBB105_2113:
	s_andn2_b64 vcc, exec, s[0:1]
	s_cbranch_vccnz .LBB105_2115
; %bb.2114:
	s_waitcnt vmcnt(0)
	v_lshlrev_b32_e32 v3, 16, v2
	global_store_dword v[0:1], v3, off
.LBB105_2115:
	s_mov_b64 s[0:1], 0
.LBB105_2116:
	s_andn2_b64 vcc, exec, s[0:1]
	s_cbranch_vccnz .LBB105_2118
; %bb.2117:
	s_waitcnt vmcnt(0)
	v_lshlrev_b32_e32 v3, 16, v2
	v_cvt_f16_f32_e32 v3, v3
	global_store_short v[0:1], v3, off
.LBB105_2118:
	s_mov_b64 s[0:1], 0
.LBB105_2119:
	s_andn2_b64 vcc, exec, s[0:1]
	s_cbranch_vccnz .LBB105_2135
; %bb.2120:
	s_sext_i32_i16 s2, s14
	s_cmp_lt_i32 s2, 2
	s_mov_b64 s[0:1], -1
	s_cbranch_scc1 .LBB105_2130
; %bb.2121:
	s_cmp_lt_i32 s2, 3
	s_cbranch_scc1 .LBB105_2127
; %bb.2122:
	s_cmp_gt_i32 s2, 3
	s_cbranch_scc0 .LBB105_2124
; %bb.2123:
	s_waitcnt vmcnt(0)
	v_lshlrev_b32_e32 v3, 16, v2
	v_trunc_f32_e32 v3, v3
	s_mov_b32 s0, 0x2f800000
	v_mul_f32_e64 v4, |v3|, s0
	v_floor_f32_e32 v4, v4
	s_mov_b32 s0, 0xcf800000
	v_cvt_u32_f32_e32 v5, v4
	v_fma_f32 v4, v4, s0, |v3|
	v_cvt_u32_f32_e32 v4, v4
	v_ashrrev_i32_e32 v3, 31, v3
	v_xor_b32_e32 v5, v5, v3
	s_mov_b64 s[0:1], 0
	v_xor_b32_e32 v4, v4, v3
	v_sub_co_u32_e32 v4, vcc, v4, v3
	s_nop 1
	v_subb_co_u32_e32 v5, vcc, v5, v3, vcc
	global_store_dwordx2 v[0:1], v[4:5], off
.LBB105_2124:
	s_andn2_b64 vcc, exec, s[0:1]
	s_cbranch_vccnz .LBB105_2126
; %bb.2125:
	s_waitcnt vmcnt(0)
	v_lshlrev_b32_e32 v3, 16, v2
	v_cvt_i32_f32_e32 v3, v3
	global_store_dword v[0:1], v3, off
.LBB105_2126:
	s_mov_b64 s[0:1], 0
.LBB105_2127:
	s_andn2_b64 vcc, exec, s[0:1]
	s_cbranch_vccnz .LBB105_2129
; %bb.2128:
	s_waitcnt vmcnt(0)
	v_lshlrev_b32_e32 v3, 16, v2
	v_cvt_i32_f32_e32 v3, v3
	global_store_short v[0:1], v3, off
.LBB105_2129:
	s_mov_b64 s[0:1], 0
.LBB105_2130:
	s_andn2_b64 vcc, exec, s[0:1]
	s_cbranch_vccnz .LBB105_2135
; %bb.2131:
	s_sext_i32_i16 s0, s14
	s_cmp_gt_i32 s0, 0
	s_mov_b64 s[0:1], -1
	s_cbranch_scc0 .LBB105_2133
; %bb.2132:
	s_waitcnt vmcnt(0)
	v_lshlrev_b32_e32 v3, 16, v2
	v_cvt_i32_f32_e32 v3, v3
	s_mov_b64 s[0:1], 0
	global_store_byte v[0:1], v3, off
.LBB105_2133:
	s_andn2_b64 vcc, exec, s[0:1]
	s_cbranch_vccnz .LBB105_2135
; %bb.2134:
	v_lshlrev_b32_e32 v2, 16, v2
	v_trunc_f32_e32 v2, v2
	s_mov_b32 s0, 0x2f800000
	s_waitcnt vmcnt(0)
	v_mul_f32_e64 v3, |v2|, s0
	v_floor_f32_e32 v3, v3
	s_mov_b32 s0, 0xcf800000
	v_fma_f32 v3, v3, s0, |v2|
	v_cvt_u32_f32_e32 v3, v3
	v_ashrrev_i32_e32 v2, 31, v2
	v_xor_b32_e32 v3, v3, v2
	v_sub_u32_e32 v2, v3, v2
	global_store_byte v[0:1], v2, off
	s_endpgm
.LBB105_2135:
	s_endpgm
.LBB105_2136:
	s_mov_b64 s[4:5], 0
	s_mov_b64 s[0:1], -1
	s_branch .LBB105_2092
.LBB105_2137:
	s_trap 2
	s_or_b64 s[2:3], s[2:3], exec
	s_cbranch_execz .LBB105_1606
	s_branch .LBB105_1607
.LBB105_2138:
	s_andn2_saveexec_b64 s[12:13], s[12:13]
	s_cbranch_execz .LBB105_1686
.LBB105_2139:
	s_mov_b32 s17, 0x46000000
	v_add_f32_e64 v8, |v9|, s17
	v_and_b32_e32 v8, 0xff, v8
	v_cmp_ne_u32_e32 vcc, 0, v8
	s_andn2_b64 s[10:11], s[10:11], exec
	s_and_b64 s[18:19], vcc, exec
	s_or_b64 s[10:11], s[10:11], s[18:19]
	s_or_b64 exec, exec, s[12:13]
	v_mov_b32_e32 v11, 0
	s_and_saveexec_b64 s[12:13], s[10:11]
	s_cbranch_execnz .LBB105_1687
	s_branch .LBB105_1688
.LBB105_2140:
	s_trap 2
	s_or_b64 s[2:3], s[2:3], exec
	s_cbranch_execz .LBB105_1734
	s_branch .LBB105_1735
.LBB105_2141:
	s_andn2_saveexec_b64 s[10:11], s[10:11]
	s_cbranch_execz .LBB105_1699
.LBB105_2142:
	s_mov_b32 s12, 0x42800000
	v_add_f32_e64 v8, |v9|, s12
	v_and_b32_e32 v8, 0xff, v8
	v_cmp_ne_u32_e32 vcc, 0, v8
	s_andn2_b64 s[8:9], s[8:9], exec
	s_and_b64 s[12:13], vcc, exec
	s_or_b64 s[8:9], s[8:9], s[12:13]
	s_or_b64 exec, exec, s[10:11]
	v_mov_b32_e32 v11, 0
	s_and_saveexec_b64 s[10:11], s[8:9]
	s_cbranch_execnz .LBB105_1700
	s_branch .LBB105_1701
.LBB105_2143:
	s_andn2_saveexec_b64 s[12:13], s[12:13]
	s_cbranch_execz .LBB105_1805
.LBB105_2144:
	s_mov_b32 s16, 0x46000000
	v_add_f32_e64 v6, |v7|, s16
	v_and_b32_e32 v6, 0xff, v6
	v_cmp_ne_u32_e32 vcc, 0, v6
	s_andn2_b64 s[10:11], s[10:11], exec
	s_and_b64 s[16:17], vcc, exec
	s_or_b64 s[10:11], s[10:11], s[16:17]
	s_or_b64 exec, exec, s[12:13]
	v_mov_b32_e32 v8, 0
	s_and_saveexec_b64 s[12:13], s[10:11]
	s_cbranch_execnz .LBB105_1806
	s_branch .LBB105_1807
.LBB105_2145:
	s_trap 2
	s_or_b64 s[2:3], s[2:3], exec
	s_cbranch_execz .LBB105_1853
	s_branch .LBB105_1854
.LBB105_2146:
	s_andn2_saveexec_b64 s[10:11], s[10:11]
	s_cbranch_execz .LBB105_1818
.LBB105_2147:
	s_mov_b32 s12, 0x42800000
	v_add_f32_e64 v6, |v7|, s12
	v_and_b32_e32 v6, 0xff, v6
	v_cmp_ne_u32_e32 vcc, 0, v6
	s_andn2_b64 s[8:9], s[8:9], exec
	s_and_b64 s[12:13], vcc, exec
	s_or_b64 s[8:9], s[8:9], s[12:13]
	s_or_b64 exec, exec, s[10:11]
	v_mov_b32_e32 v8, 0
	s_and_saveexec_b64 s[10:11], s[8:9]
	s_cbranch_execnz .LBB105_1819
	s_branch .LBB105_1820
.LBB105_2148:
	s_andn2_saveexec_b64 s[12:13], s[12:13]
	s_cbranch_execz .LBB105_1924
.LBB105_2149:
	s_mov_b32 s16, 0x46000000
	v_add_f32_e64 v5, |v6|, s16
	v_and_b32_e32 v5, 0xff, v5
	v_cmp_ne_u32_e32 vcc, 0, v5
	s_andn2_b64 s[10:11], s[10:11], exec
	s_and_b64 s[16:17], vcc, exec
	s_or_b64 s[10:11], s[10:11], s[16:17]
	s_or_b64 exec, exec, s[12:13]
	v_mov_b32_e32 v7, 0
	s_and_saveexec_b64 s[12:13], s[10:11]
	s_cbranch_execnz .LBB105_1925
	s_branch .LBB105_1926
.LBB105_2150:
	s_trap 2
	s_or_b64 s[2:3], s[2:3], exec
	s_cbranch_execz .LBB105_1972
	s_branch .LBB105_1973
.LBB105_2151:
	s_andn2_saveexec_b64 s[10:11], s[10:11]
	s_cbranch_execz .LBB105_1937
.LBB105_2152:
	s_mov_b32 s12, 0x42800000
	v_add_f32_e64 v5, |v6|, s12
	v_and_b32_e32 v5, 0xff, v5
	v_cmp_ne_u32_e32 vcc, 0, v5
	s_andn2_b64 s[8:9], s[8:9], exec
	s_and_b64 s[12:13], vcc, exec
	s_or_b64 s[8:9], s[8:9], s[12:13]
	s_or_b64 exec, exec, s[10:11]
	v_mov_b32_e32 v7, 0
	s_and_saveexec_b64 s[10:11], s[8:9]
	s_cbranch_execnz .LBB105_1938
	s_branch .LBB105_1939
.LBB105_2153:
	s_andn2_saveexec_b64 s[10:11], s[10:11]
	s_cbranch_execz .LBB105_2044
.LBB105_2154:
	s_mov_b32 s13, 0x46000000
	v_add_f32_e64 v4, |v5|, s13
	v_and_b32_e32 v4, 0xff, v4
	v_cmp_ne_u32_e32 vcc, 0, v4
	s_andn2_b64 s[8:9], s[8:9], exec
	s_and_b64 s[16:17], vcc, exec
	s_or_b64 s[8:9], s[8:9], s[16:17]
	s_or_b64 exec, exec, s[10:11]
	v_mov_b32_e32 v6, 0
	s_and_saveexec_b64 s[10:11], s[8:9]
	s_cbranch_execnz .LBB105_2045
	s_branch .LBB105_2046
.LBB105_2155:
	s_mov_b64 s[4:5], 0
	s_or_b64 s[2:3], s[2:3], exec
	s_trap 2
	s_branch .LBB105_2090
.LBB105_2156:
	s_andn2_saveexec_b64 s[8:9], s[8:9]
	s_cbranch_execz .LBB105_2056
.LBB105_2157:
	s_mov_b32 s10, 0x42800000
	v_add_f32_e64 v4, |v5|, s10
	v_and_b32_e32 v4, 0xff, v4
	v_cmp_ne_u32_e32 vcc, 0, v4
	s_andn2_b64 s[6:7], s[6:7], exec
	s_and_b64 s[10:11], vcc, exec
	s_or_b64 s[6:7], s[6:7], s[10:11]
	s_or_b64 exec, exec, s[8:9]
	v_mov_b32_e32 v6, 0
	s_and_saveexec_b64 s[8:9], s[6:7]
	s_cbranch_execnz .LBB105_2057
	s_branch .LBB105_2058
	.section	.rodata,"a",@progbits
	.p2align	6, 0x0
	.amdhsa_kernel _ZN2at6native32elementwise_kernel_manual_unrollILi128ELi4EZNS0_15gpu_kernel_implIZZZNS0_15exp_kernel_cudaERNS_18TensorIteratorBaseEENKUlvE0_clEvENKUlvE2_clEvEUlN3c108BFloat16EE_EEvS4_RKT_EUlibE0_EEviT1_
		.amdhsa_group_segment_fixed_size 0
		.amdhsa_private_segment_fixed_size 0
		.amdhsa_kernarg_size 360
		.amdhsa_user_sgpr_count 2
		.amdhsa_user_sgpr_dispatch_ptr 0
		.amdhsa_user_sgpr_queue_ptr 0
		.amdhsa_user_sgpr_kernarg_segment_ptr 1
		.amdhsa_user_sgpr_dispatch_id 0
		.amdhsa_user_sgpr_kernarg_preload_length 0
		.amdhsa_user_sgpr_kernarg_preload_offset 0
		.amdhsa_user_sgpr_private_segment_size 0
		.amdhsa_uses_dynamic_stack 0
		.amdhsa_enable_private_segment 0
		.amdhsa_system_sgpr_workgroup_id_x 1
		.amdhsa_system_sgpr_workgroup_id_y 0
		.amdhsa_system_sgpr_workgroup_id_z 0
		.amdhsa_system_sgpr_workgroup_info 0
		.amdhsa_system_vgpr_workitem_id 0
		.amdhsa_next_free_vgpr 18
		.amdhsa_next_free_sgpr 78
		.amdhsa_accum_offset 20
		.amdhsa_reserve_vcc 1
		.amdhsa_float_round_mode_32 0
		.amdhsa_float_round_mode_16_64 0
		.amdhsa_float_denorm_mode_32 3
		.amdhsa_float_denorm_mode_16_64 3
		.amdhsa_dx10_clamp 1
		.amdhsa_ieee_mode 1
		.amdhsa_fp16_overflow 0
		.amdhsa_tg_split 0
		.amdhsa_exception_fp_ieee_invalid_op 0
		.amdhsa_exception_fp_denorm_src 0
		.amdhsa_exception_fp_ieee_div_zero 0
		.amdhsa_exception_fp_ieee_overflow 0
		.amdhsa_exception_fp_ieee_underflow 0
		.amdhsa_exception_fp_ieee_inexact 0
		.amdhsa_exception_int_div_zero 0
	.end_amdhsa_kernel
	.section	.text._ZN2at6native32elementwise_kernel_manual_unrollILi128ELi4EZNS0_15gpu_kernel_implIZZZNS0_15exp_kernel_cudaERNS_18TensorIteratorBaseEENKUlvE0_clEvENKUlvE2_clEvEUlN3c108BFloat16EE_EEvS4_RKT_EUlibE0_EEviT1_,"axG",@progbits,_ZN2at6native32elementwise_kernel_manual_unrollILi128ELi4EZNS0_15gpu_kernel_implIZZZNS0_15exp_kernel_cudaERNS_18TensorIteratorBaseEENKUlvE0_clEvENKUlvE2_clEvEUlN3c108BFloat16EE_EEvS4_RKT_EUlibE0_EEviT1_,comdat
.Lfunc_end105:
	.size	_ZN2at6native32elementwise_kernel_manual_unrollILi128ELi4EZNS0_15gpu_kernel_implIZZZNS0_15exp_kernel_cudaERNS_18TensorIteratorBaseEENKUlvE0_clEvENKUlvE2_clEvEUlN3c108BFloat16EE_EEvS4_RKT_EUlibE0_EEviT1_, .Lfunc_end105-_ZN2at6native32elementwise_kernel_manual_unrollILi128ELi4EZNS0_15gpu_kernel_implIZZZNS0_15exp_kernel_cudaERNS_18TensorIteratorBaseEENKUlvE0_clEvENKUlvE2_clEvEUlN3c108BFloat16EE_EEvS4_RKT_EUlibE0_EEviT1_
                                        ; -- End function
	.set _ZN2at6native32elementwise_kernel_manual_unrollILi128ELi4EZNS0_15gpu_kernel_implIZZZNS0_15exp_kernel_cudaERNS_18TensorIteratorBaseEENKUlvE0_clEvENKUlvE2_clEvEUlN3c108BFloat16EE_EEvS4_RKT_EUlibE0_EEviT1_.num_vgpr, 18
	.set _ZN2at6native32elementwise_kernel_manual_unrollILi128ELi4EZNS0_15gpu_kernel_implIZZZNS0_15exp_kernel_cudaERNS_18TensorIteratorBaseEENKUlvE0_clEvENKUlvE2_clEvEUlN3c108BFloat16EE_EEvS4_RKT_EUlibE0_EEviT1_.num_agpr, 0
	.set _ZN2at6native32elementwise_kernel_manual_unrollILi128ELi4EZNS0_15gpu_kernel_implIZZZNS0_15exp_kernel_cudaERNS_18TensorIteratorBaseEENKUlvE0_clEvENKUlvE2_clEvEUlN3c108BFloat16EE_EEvS4_RKT_EUlibE0_EEviT1_.numbered_sgpr, 78
	.set _ZN2at6native32elementwise_kernel_manual_unrollILi128ELi4EZNS0_15gpu_kernel_implIZZZNS0_15exp_kernel_cudaERNS_18TensorIteratorBaseEENKUlvE0_clEvENKUlvE2_clEvEUlN3c108BFloat16EE_EEvS4_RKT_EUlibE0_EEviT1_.num_named_barrier, 0
	.set _ZN2at6native32elementwise_kernel_manual_unrollILi128ELi4EZNS0_15gpu_kernel_implIZZZNS0_15exp_kernel_cudaERNS_18TensorIteratorBaseEENKUlvE0_clEvENKUlvE2_clEvEUlN3c108BFloat16EE_EEvS4_RKT_EUlibE0_EEviT1_.private_seg_size, 0
	.set _ZN2at6native32elementwise_kernel_manual_unrollILi128ELi4EZNS0_15gpu_kernel_implIZZZNS0_15exp_kernel_cudaERNS_18TensorIteratorBaseEENKUlvE0_clEvENKUlvE2_clEvEUlN3c108BFloat16EE_EEvS4_RKT_EUlibE0_EEviT1_.uses_vcc, 1
	.set _ZN2at6native32elementwise_kernel_manual_unrollILi128ELi4EZNS0_15gpu_kernel_implIZZZNS0_15exp_kernel_cudaERNS_18TensorIteratorBaseEENKUlvE0_clEvENKUlvE2_clEvEUlN3c108BFloat16EE_EEvS4_RKT_EUlibE0_EEviT1_.uses_flat_scratch, 0
	.set _ZN2at6native32elementwise_kernel_manual_unrollILi128ELi4EZNS0_15gpu_kernel_implIZZZNS0_15exp_kernel_cudaERNS_18TensorIteratorBaseEENKUlvE0_clEvENKUlvE2_clEvEUlN3c108BFloat16EE_EEvS4_RKT_EUlibE0_EEviT1_.has_dyn_sized_stack, 0
	.set _ZN2at6native32elementwise_kernel_manual_unrollILi128ELi4EZNS0_15gpu_kernel_implIZZZNS0_15exp_kernel_cudaERNS_18TensorIteratorBaseEENKUlvE0_clEvENKUlvE2_clEvEUlN3c108BFloat16EE_EEvS4_RKT_EUlibE0_EEviT1_.has_recursion, 0
	.set _ZN2at6native32elementwise_kernel_manual_unrollILi128ELi4EZNS0_15gpu_kernel_implIZZZNS0_15exp_kernel_cudaERNS_18TensorIteratorBaseEENKUlvE0_clEvENKUlvE2_clEvEUlN3c108BFloat16EE_EEvS4_RKT_EUlibE0_EEviT1_.has_indirect_call, 0
	.section	.AMDGPU.csdata,"",@progbits
; Kernel info:
; codeLenInByte = 44768
; TotalNumSgprs: 84
; NumVgprs: 18
; NumAgprs: 0
; TotalNumVgprs: 18
; ScratchSize: 0
; MemoryBound: 0
; FloatMode: 240
; IeeeMode: 1
; LDSByteSize: 0 bytes/workgroup (compile time only)
; SGPRBlocks: 10
; VGPRBlocks: 2
; NumSGPRsForWavesPerEU: 84
; NumVGPRsForWavesPerEU: 18
; AccumOffset: 20
; Occupancy: 8
; WaveLimiterHint : 1
; COMPUTE_PGM_RSRC2:SCRATCH_EN: 0
; COMPUTE_PGM_RSRC2:USER_SGPR: 2
; COMPUTE_PGM_RSRC2:TRAP_HANDLER: 0
; COMPUTE_PGM_RSRC2:TGID_X_EN: 1
; COMPUTE_PGM_RSRC2:TGID_Y_EN: 0
; COMPUTE_PGM_RSRC2:TGID_Z_EN: 0
; COMPUTE_PGM_RSRC2:TIDIG_COMP_CNT: 0
; COMPUTE_PGM_RSRC3_GFX90A:ACCUM_OFFSET: 4
; COMPUTE_PGM_RSRC3_GFX90A:TG_SPLIT: 0
	.section	.text._ZN2at6native29vectorized_elementwise_kernelILi16EZZZNS0_17expm1_kernel_cudaERNS_18TensorIteratorBaseEENKUlvE_clEvENKUlvE_clEvEUldE_St5arrayIPcLm2EEEEviT0_T1_,"axG",@progbits,_ZN2at6native29vectorized_elementwise_kernelILi16EZZZNS0_17expm1_kernel_cudaERNS_18TensorIteratorBaseEENKUlvE_clEvENKUlvE_clEvEUldE_St5arrayIPcLm2EEEEviT0_T1_,comdat
	.globl	_ZN2at6native29vectorized_elementwise_kernelILi16EZZZNS0_17expm1_kernel_cudaERNS_18TensorIteratorBaseEENKUlvE_clEvENKUlvE_clEvEUldE_St5arrayIPcLm2EEEEviT0_T1_ ; -- Begin function _ZN2at6native29vectorized_elementwise_kernelILi16EZZZNS0_17expm1_kernel_cudaERNS_18TensorIteratorBaseEENKUlvE_clEvENKUlvE_clEvEUldE_St5arrayIPcLm2EEEEviT0_T1_
	.p2align	8
	.type	_ZN2at6native29vectorized_elementwise_kernelILi16EZZZNS0_17expm1_kernel_cudaERNS_18TensorIteratorBaseEENKUlvE_clEvENKUlvE_clEvEUldE_St5arrayIPcLm2EEEEviT0_T1_,@function
_ZN2at6native29vectorized_elementwise_kernelILi16EZZZNS0_17expm1_kernel_cudaERNS_18TensorIteratorBaseEENKUlvE_clEvENKUlvE_clEvEUldE_St5arrayIPcLm2EEEEviT0_T1_: ; @_ZN2at6native29vectorized_elementwise_kernelILi16EZZZNS0_17expm1_kernel_cudaERNS_18TensorIteratorBaseEENKUlvE_clEvENKUlvE_clEvEUldE_St5arrayIPcLm2EEEEviT0_T1_
; %bb.0:
	s_load_dword s3, s[0:1], 0x0
	s_load_dwordx4 s[4:7], s[0:1], 0x8
	s_lshl_b32 s8, s2, 10
	s_mov_b64 s[0:1], -1
	s_waitcnt lgkmcnt(0)
	s_sub_i32 s33, s3, s8
	s_cmpk_gt_i32 s33, 0x3ff
	s_cbranch_scc0 .LBB106_2
; %bb.1:
	s_ashr_i32 s9, s8, 31
	s_lshl_b64 s[10:11], s[8:9], 3
	s_add_u32 s0, s6, s10
	s_addc_u32 s1, s7, s11
	v_lshlrev_b32_e32 v1, 5, v0
	global_load_dwordx4 v[6:9], v1, s[0:1]
	global_load_dwordx4 v[2:5], v1, s[0:1] offset:16
	s_mov_b32 s36, 0x652b82fe
	s_mov_b32 s37, 0x3ff71547
	;; [unrolled: 1-line block ×13, first 2 shown]
	v_mov_b64_e32 v[10:11], s[0:1]
	s_mov_b32 s17, 0x3e927e50
	s_mov_b32 s18, 0x1b889c29
	v_mov_b32_e32 v28, 0x7fe00000
	s_mov_b32 s19, 0x3ec71de0
	s_mov_b32 s20, 0x197bcfd8
	;; [unrolled: 1-line block ×17, first 2 shown]
	v_mov_b32_e32 v29, 0x7ff00000
	v_mov_b32_e32 v30, 0xbff00000
	s_waitcnt vmcnt(1)
	v_mul_f64 v[12:13], v[6:7], s[36:37]
	v_mul_f64 v[14:15], v[8:9], s[36:37]
	v_rndne_f64_e32 v[12:13], v[12:13]
	v_rndne_f64_e32 v[14:15], v[14:15]
	v_fma_f64 v[16:17], s[34:35], v[12:13], v[6:7]
	v_cvt_i32_f64_e32 v20, v[12:13]
	v_fma_f64 v[18:19], s[34:35], v[14:15], v[8:9]
	v_cvt_i32_f64_e32 v22, v[14:15]
	v_fmac_f64_e32 v[16:17], s[12:13], v[12:13]
	v_ldexp_f64 v[20:21], 1.0, v20
	v_fmac_f64_e32 v[18:19], s[12:13], v[14:15]
	v_ldexp_f64 v[22:23], 1.0, v22
	v_fma_f64 v[24:25], s[14:15], v[16:17], v[10:11]
	v_cmp_eq_f64_e32 vcc, s[38:39], v[12:13]
	v_cmp_eq_f64_e64 s[0:1], s[38:39], v[14:15]
	v_cmp_ngt_f64_e64 s[2:3], s[42:43], v[6:7]
	v_cndmask_b32_e32 v13, v21, v28, vcc
	v_cndmask_b32_e64 v12, v20, 0, vcc
	v_fma_f64 v[20:21], s[14:15], v[18:19], v[10:11]
	v_cndmask_b32_e64 v15, v23, v28, s[0:1]
	v_cndmask_b32_e64 v14, v22, 0, s[0:1]
	v_fma_f64 v[22:23], v[16:17], v[24:25], s[16:17]
	v_fma_f64 v[20:21], v[18:19], v[20:21], s[16:17]
	;; [unrolled: 1-line block ×16, first 2 shown]
	v_fma_f64 v[22:23], v[16:17], v[22:23], 0.5
	v_fma_f64 v[20:21], v[18:19], v[20:21], 0.5
	v_mul_f64 v[22:23], v[16:17], v[22:23]
	v_add_f64 v[24:25], v[12:13], -1.0
	v_mul_f64 v[20:21], v[18:19], v[20:21]
	v_fmac_f64_e32 v[16:17], v[16:17], v[22:23]
	v_add_f64 v[26:27], v[14:15], -1.0
	v_fmac_f64_e32 v[18:19], v[18:19], v[20:21]
	v_fmac_f64_e32 v[24:25], v[12:13], v[16:17]
	v_fmac_f64_e32 v[26:27], v[14:15], v[18:19]
	v_add_f64 v[12:13], v[24:25], v[24:25]
	v_add_f64 v[14:15], v[26:27], v[26:27]
	v_cndmask_b32_e32 v12, v24, v12, vcc
	v_cndmask_b32_e32 v13, v25, v13, vcc
	v_cmp_nlt_f64_e32 vcc, s[40:41], v[6:7]
	v_cndmask_b32_e64 v14, v26, v14, s[0:1]
	v_cndmask_b32_e64 v15, v27, v15, s[0:1]
	v_cndmask_b32_e32 v13, v29, v13, vcc
	v_cmp_nlt_f64_e64 s[0:1], s[40:41], v[8:9]
	s_and_b64 vcc, s[2:3], vcc
	v_cndmask_b32_e64 v7, v30, v13, s[2:3]
	v_cndmask_b32_e64 v15, v29, v15, s[0:1]
	v_cndmask_b32_e32 v6, 0, v12, vcc
	v_cmp_ngt_f64_e32 vcc, s[42:43], v[8:9]
	s_waitcnt vmcnt(0)
	v_mul_f64 v[12:13], v[2:3], s[36:37]
	v_rndne_f64_e32 v[12:13], v[12:13]
	v_cndmask_b32_e32 v9, v30, v15, vcc
	s_and_b64 vcc, vcc, s[0:1]
	v_cndmask_b32_e32 v8, 0, v14, vcc
	v_fma_f64 v[14:15], s[34:35], v[12:13], v[2:3]
	v_fmac_f64_e32 v[14:15], s[12:13], v[12:13]
	v_fma_f64 v[16:17], s[14:15], v[14:15], v[10:11]
	v_fma_f64 v[16:17], v[14:15], v[16:17], s[16:17]
	;; [unrolled: 1-line block ×9, first 2 shown]
	v_fma_f64 v[16:17], v[14:15], v[16:17], 0.5
	v_mul_f64 v[16:17], v[14:15], v[16:17]
	v_fmac_f64_e32 v[14:15], v[14:15], v[16:17]
	v_cvt_i32_f64_e32 v16, v[12:13]
	v_ldexp_f64 v[16:17], 1.0, v16
	v_cmp_eq_f64_e32 vcc, s[38:39], v[12:13]
	v_cmp_ngt_f64_e64 s[0:1], s[42:43], v[2:3]
	s_nop 0
	v_cndmask_b32_e32 v13, v17, v28, vcc
	v_cndmask_b32_e64 v12, v16, 0, vcc
	v_add_f64 v[16:17], v[12:13], -1.0
	v_fmac_f64_e32 v[16:17], v[12:13], v[14:15]
	v_add_f64 v[12:13], v[16:17], v[16:17]
	v_cndmask_b32_e32 v12, v16, v12, vcc
	v_cndmask_b32_e32 v13, v17, v13, vcc
	v_cmp_nlt_f64_e32 vcc, s[40:41], v[2:3]
	s_nop 1
	v_cndmask_b32_e32 v13, v29, v13, vcc
	s_and_b64 vcc, s[0:1], vcc
	v_cndmask_b32_e64 v3, v30, v13, s[0:1]
	v_cndmask_b32_e32 v2, 0, v12, vcc
	v_mul_f64 v[12:13], v[4:5], s[36:37]
	v_rndne_f64_e32 v[12:13], v[12:13]
	v_fma_f64 v[14:15], s[34:35], v[12:13], v[4:5]
	v_fmac_f64_e32 v[14:15], s[12:13], v[12:13]
	v_fmac_f64_e32 v[10:11], s[14:15], v[14:15]
	v_fma_f64 v[10:11], v[14:15], v[10:11], s[16:17]
	v_fma_f64 v[10:11], v[14:15], v[10:11], s[18:19]
	v_fma_f64 v[10:11], v[14:15], v[10:11], s[20:21]
	v_fma_f64 v[10:11], v[14:15], v[10:11], s[22:23]
	v_fma_f64 v[10:11], v[14:15], v[10:11], s[24:25]
	v_fma_f64 v[10:11], v[14:15], v[10:11], s[26:27]
	v_fma_f64 v[10:11], v[14:15], v[10:11], s[28:29]
	v_fma_f64 v[10:11], v[14:15], v[10:11], s[30:31]
	v_fma_f64 v[10:11], v[14:15], v[10:11], 0.5
	v_mul_f64 v[10:11], v[14:15], v[10:11]
	v_fmac_f64_e32 v[14:15], v[14:15], v[10:11]
	v_cvt_i32_f64_e32 v10, v[12:13]
	v_ldexp_f64 v[10:11], 1.0, v10
	v_cmp_eq_f64_e32 vcc, s[38:39], v[12:13]
	v_cmp_ngt_f64_e64 s[0:1], s[42:43], v[4:5]
	s_nop 0
	v_cndmask_b32_e32 v11, v11, v28, vcc
	v_cndmask_b32_e64 v10, v10, 0, vcc
	v_add_f64 v[12:13], v[10:11], -1.0
	v_fmac_f64_e32 v[12:13], v[10:11], v[14:15]
	v_add_f64 v[10:11], v[12:13], v[12:13]
	v_cndmask_b32_e32 v10, v12, v10, vcc
	v_cndmask_b32_e32 v11, v13, v11, vcc
	v_cmp_nlt_f64_e32 vcc, s[40:41], v[4:5]
	s_nop 1
	v_cndmask_b32_e32 v11, v29, v11, vcc
	s_and_b64 vcc, s[0:1], vcc
	v_cndmask_b32_e64 v5, v30, v11, s[0:1]
	s_add_u32 s0, s4, s10
	s_addc_u32 s1, s5, s11
	v_cndmask_b32_e32 v4, 0, v10, vcc
	global_store_dwordx4 v1, v[6:9], s[0:1]
	global_store_dwordx4 v1, v[2:5], s[0:1] offset:16
	s_mov_b64 s[0:1], 0
.LBB106_2:
	s_andn2_b64 vcc, exec, s[0:1]
	s_cbranch_vccnz .LBB106_23
; %bb.3:
	v_cmp_gt_i32_e32 vcc, s33, v0
	v_mov_b64_e32 v[16:17], 0
	v_or_b32_e32 v10, s8, v0
	v_mov_b64_e32 v[18:19], 0
	v_mov_b32_e32 v1, v0
	s_and_saveexec_b64 s[0:1], vcc
	s_cbranch_execz .LBB106_5
; %bb.4:
	v_mov_b32_e32 v11, 0
	v_lshl_add_u64 v[2:3], v[10:11], 3, s[6:7]
	global_load_dwordx2 v[18:19], v[2:3], off
	v_or_b32_e32 v1, 0x100, v0
.LBB106_5:
	s_or_b64 exec, exec, s[0:1]
	v_cmp_gt_i32_e64 s[0:1], s33, v1
	s_and_saveexec_b64 s[2:3], s[0:1]
	s_cbranch_execz .LBB106_7
; %bb.6:
	v_add_u32_e32 v2, s8, v1
	v_mov_b32_e32 v3, 0
	v_lshl_add_u64 v[2:3], v[2:3], 3, s[6:7]
	global_load_dwordx2 v[16:17], v[2:3], off
	v_add_u32_e32 v1, 0x100, v1
.LBB106_7:
	s_or_b64 exec, exec, s[2:3]
	v_cmp_gt_i32_e64 s[0:1], s33, v1
	v_mov_b64_e32 v[12:13], 0
	v_mov_b64_e32 v[14:15], 0
	s_and_saveexec_b64 s[2:3], s[0:1]
	s_cbranch_execz .LBB106_9
; %bb.8:
	v_add_u32_e32 v2, s8, v1
	v_mov_b32_e32 v3, 0
	v_lshl_add_u64 v[2:3], v[2:3], 3, s[6:7]
	global_load_dwordx2 v[14:15], v[2:3], off
	v_add_u32_e32 v1, 0x100, v1
.LBB106_9:
	s_or_b64 exec, exec, s[2:3]
	v_cmp_gt_i32_e64 s[0:1], s33, v1
	s_and_saveexec_b64 s[2:3], s[0:1]
	s_cbranch_execz .LBB106_11
; %bb.10:
	v_add_u32_e32 v2, s8, v1
	v_mov_b32_e32 v3, 0
	v_lshl_add_u64 v[2:3], v[2:3], 3, s[6:7]
	global_load_dwordx2 v[12:13], v[2:3], off
.LBB106_11:
	s_or_b64 exec, exec, s[2:3]
	v_mov_b32_e32 v2, 0
	v_mov_b32_e32 v3, v2
	;; [unrolled: 1-line block ×8, first 2 shown]
	s_and_saveexec_b64 s[6:7], vcc
	s_cbranch_execz .LBB106_13
; %bb.12:
	s_mov_b32 s0, 0x652b82fe
	s_mov_b32 s1, 0x3ff71547
	s_waitcnt vmcnt(0)
	v_mul_f64 v[4:5], v[18:19], s[0:1]
	v_rndne_f64_e32 v[4:5], v[4:5]
	s_mov_b32 s3, 0xbfe62e42
	s_mov_b32 s2, 0xfefa39ef
	s_mov_b32 s0, 0x3b39803f
	v_fma_f64 v[6:7], s[2:3], v[4:5], v[18:19]
	s_mov_b32 s1, 0xbc7abc9e
	v_fmac_f64_e32 v[6:7], s[0:1], v[4:5]
	s_mov_b32 s0, 0xa9d67f34
	v_mov_b32_e32 v8, 0x2a1b768b
	v_mov_b32_e32 v9, 0x3e5af4eb
	s_mov_b32 s1, 0x3e21f32e
	v_fmac_f64_e32 v[8:9], s[0:1], v[6:7]
	v_mov_b32_e32 v20, 0xe0ac05b
	v_mov_b32_e32 v21, 0x3e927e50
	v_fmac_f64_e32 v[20:21], v[6:7], v[8:9]
	v_mov_b32_e32 v8, 0x1b889c29
	v_mov_b32_e32 v9, 0x3ec71de0
	;; [unrolled: 3-line block ×8, first 2 shown]
	v_fmac_f64_e32 v[8:9], v[6:7], v[20:21]
	v_fma_f64 v[8:9], v[6:7], v[8:9], 0.5
	s_mov_b32 s0, 0
	v_mul_f64 v[8:9], v[6:7], v[8:9]
	s_mov_b32 s1, 0x40900000
	v_cvt_i32_f64_e32 v1, v[4:5]
	v_fmac_f64_e32 v[6:7], v[6:7], v[8:9]
	v_ldexp_f64 v[8:9], 1.0, v1
	v_mov_b32_e32 v1, 0x7fe00000
	v_cmp_eq_f64_e64 s[0:1], s[0:1], v[4:5]
	s_mov_b32 s3, 0x40862e42
	v_mov_b32_e32 v20, v2
	v_cndmask_b32_e64 v5, v9, v1, s[0:1]
	v_cndmask_b32_e64 v4, v8, 0, s[0:1]
	v_add_f64 v[8:9], v[4:5], -1.0
	v_fmac_f64_e32 v[8:9], v[4:5], v[6:7]
	v_add_f64 v[4:5], v[8:9], v[8:9]
	v_cndmask_b32_e64 v1, v8, v4, s[0:1]
	v_cndmask_b32_e64 v3, v9, v5, s[0:1]
	v_cmp_nlt_f64_e64 s[0:1], s[2:3], v[18:19]
	s_mov_b32 s2, 0
	s_mov_b32 s3, 0xc0428000
	v_mov_b32_e32 v4, 0x7ff00000
	v_cmp_ngt_f64_e64 s[2:3], s[2:3], v[18:19]
	v_cndmask_b32_e64 v3, v4, v3, s[0:1]
	v_mov_b32_e32 v4, 0xbff00000
	s_and_b64 s[0:1], s[2:3], s[0:1]
	v_cndmask_b32_e64 v19, v4, v3, s[2:3]
	v_cndmask_b32_e64 v18, 0, v1, s[0:1]
	v_mov_b32_e32 v21, v2
	v_mov_b32_e32 v22, v2
	v_mov_b32_e32 v23, v2
	v_mov_b32_e32 v24, v2
	v_mov_b32_e32 v25, v2
	v_mov_b64_e32 v[2:3], v[18:19]
	v_mov_b64_e32 v[4:5], v[20:21]
	;; [unrolled: 1-line block ×4, first 2 shown]
.LBB106_13:
	s_or_b64 exec, exec, s[6:7]
	v_or_b32_e32 v1, 0x100, v0
	v_cmp_gt_i32_e64 s[0:1], s33, v1
	s_and_saveexec_b64 s[6:7], s[0:1]
	s_cbranch_execz .LBB106_15
; %bb.14:
	s_mov_b32 s0, 0x652b82fe
	s_mov_b32 s1, 0x3ff71547
	s_waitcnt vmcnt(0)
	v_mul_f64 v[4:5], v[16:17], s[0:1]
	v_rndne_f64_e32 v[4:5], v[4:5]
	s_mov_b32 s3, 0xbfe62e42
	s_mov_b32 s2, 0xfefa39ef
	;; [unrolled: 1-line block ×3, first 2 shown]
	v_fma_f64 v[18:19], s[2:3], v[4:5], v[16:17]
	s_mov_b32 s1, 0xbc7abc9e
	v_fmac_f64_e32 v[18:19], s[0:1], v[4:5]
	s_mov_b32 s0, 0xa9d67f34
	v_mov_b32_e32 v20, 0x2a1b768b
	v_mov_b32_e32 v21, 0x3e5af4eb
	s_mov_b32 s1, 0x3e21f32e
	v_fmac_f64_e32 v[20:21], s[0:1], v[18:19]
	v_mov_b32_e32 v22, 0xe0ac05b
	v_mov_b32_e32 v23, 0x3e927e50
	v_fmac_f64_e32 v[22:23], v[18:19], v[20:21]
	v_mov_b32_e32 v20, 0x1b889c29
	v_mov_b32_e32 v21, 0x3ec71de0
	;; [unrolled: 3-line block ×8, first 2 shown]
	v_fmac_f64_e32 v[20:21], v[18:19], v[22:23]
	v_fma_f64 v[20:21], v[18:19], v[20:21], 0.5
	s_mov_b32 s0, 0
	v_mul_f64 v[20:21], v[18:19], v[20:21]
	s_mov_b32 s1, 0x40900000
	v_cvt_i32_f64_e32 v11, v[4:5]
	v_fmac_f64_e32 v[18:19], v[18:19], v[20:21]
	v_ldexp_f64 v[20:21], 1.0, v11
	v_mov_b32_e32 v11, 0x7fe00000
	v_cmp_eq_f64_e64 s[0:1], s[0:1], v[4:5]
	s_mov_b32 s3, 0x40862e42
	s_nop 0
	v_cndmask_b32_e64 v5, v21, v11, s[0:1]
	v_cndmask_b32_e64 v4, v20, 0, s[0:1]
	v_add_f64 v[20:21], v[4:5], -1.0
	v_fmac_f64_e32 v[20:21], v[4:5], v[18:19]
	v_add_f64 v[4:5], v[20:21], v[20:21]
	v_cndmask_b32_e64 v4, v20, v4, s[0:1]
	v_cndmask_b32_e64 v5, v21, v5, s[0:1]
	v_cmp_nlt_f64_e64 s[0:1], s[2:3], v[16:17]
	s_mov_b32 s2, 0
	s_mov_b32 s3, 0xc0428000
	v_mov_b32_e32 v11, 0x7ff00000
	v_cmp_ngt_f64_e64 s[2:3], s[2:3], v[16:17]
	v_cndmask_b32_e64 v5, v11, v5, s[0:1]
	v_mov_b32_e32 v11, 0xbff00000
	s_and_b64 s[0:1], s[2:3], s[0:1]
	v_cndmask_b32_e64 v5, v11, v5, s[2:3]
	v_cndmask_b32_e64 v4, 0, v4, s[0:1]
.LBB106_15:
	s_or_b64 exec, exec, s[6:7]
	v_or_b32_e32 v11, 0x200, v0
	v_cmp_gt_i32_e64 s[0:1], s33, v11
	s_and_saveexec_b64 s[6:7], s[0:1]
	s_cbranch_execz .LBB106_17
; %bb.16:
	s_mov_b32 s0, 0x652b82fe
	s_mov_b32 s1, 0x3ff71547
	s_waitcnt vmcnt(0)
	v_mul_f64 v[6:7], v[14:15], s[0:1]
	v_rndne_f64_e32 v[6:7], v[6:7]
	s_mov_b32 s3, 0xbfe62e42
	s_mov_b32 s2, 0xfefa39ef
	;; [unrolled: 1-line block ×3, first 2 shown]
	v_fma_f64 v[16:17], s[2:3], v[6:7], v[14:15]
	s_mov_b32 s1, 0xbc7abc9e
	v_fmac_f64_e32 v[16:17], s[0:1], v[6:7]
	s_mov_b32 s0, 0xa9d67f34
	v_mov_b32_e32 v18, 0x2a1b768b
	v_mov_b32_e32 v19, 0x3e5af4eb
	s_mov_b32 s1, 0x3e21f32e
	v_fmac_f64_e32 v[18:19], s[0:1], v[16:17]
	v_mov_b32_e32 v20, 0xe0ac05b
	v_mov_b32_e32 v21, 0x3e927e50
	v_fmac_f64_e32 v[20:21], v[16:17], v[18:19]
	v_mov_b32_e32 v18, 0x1b889c29
	v_mov_b32_e32 v19, 0x3ec71de0
	;; [unrolled: 3-line block ×8, first 2 shown]
	v_fmac_f64_e32 v[18:19], v[16:17], v[20:21]
	v_fma_f64 v[18:19], v[16:17], v[18:19], 0.5
	s_mov_b32 s0, 0
	v_mul_f64 v[18:19], v[16:17], v[18:19]
	s_mov_b32 s1, 0x40900000
	v_cvt_i32_f64_e32 v11, v[6:7]
	v_fmac_f64_e32 v[16:17], v[16:17], v[18:19]
	v_ldexp_f64 v[18:19], 1.0, v11
	v_mov_b32_e32 v11, 0x7fe00000
	v_cmp_eq_f64_e64 s[0:1], s[0:1], v[6:7]
	s_mov_b32 s3, 0x40862e42
	s_nop 0
	v_cndmask_b32_e64 v7, v19, v11, s[0:1]
	v_cndmask_b32_e64 v6, v18, 0, s[0:1]
	v_add_f64 v[18:19], v[6:7], -1.0
	v_fmac_f64_e32 v[18:19], v[6:7], v[16:17]
	v_add_f64 v[6:7], v[18:19], v[18:19]
	v_cndmask_b32_e64 v6, v18, v6, s[0:1]
	v_cndmask_b32_e64 v7, v19, v7, s[0:1]
	v_cmp_nlt_f64_e64 s[0:1], s[2:3], v[14:15]
	s_mov_b32 s2, 0
	s_mov_b32 s3, 0xc0428000
	v_mov_b32_e32 v11, 0x7ff00000
	v_cmp_ngt_f64_e64 s[2:3], s[2:3], v[14:15]
	v_cndmask_b32_e64 v7, v11, v7, s[0:1]
	v_mov_b32_e32 v11, 0xbff00000
	s_and_b64 s[0:1], s[2:3], s[0:1]
	v_cndmask_b32_e64 v7, v11, v7, s[2:3]
	v_cndmask_b32_e64 v6, 0, v6, s[0:1]
.LBB106_17:
	s_or_b64 exec, exec, s[6:7]
	v_or_b32_e32 v11, 0x300, v0
	v_cmp_gt_i32_e64 s[0:1], s33, v11
	s_and_saveexec_b64 s[6:7], s[0:1]
	s_cbranch_execnz .LBB106_24
; %bb.18:
	s_or_b64 exec, exec, s[6:7]
	s_and_saveexec_b64 s[0:1], vcc
	s_xor_b64 s[0:1], exec, s[0:1]
	s_cbranch_execnz .LBB106_25
.LBB106_19:
	s_or_b64 exec, exec, s[0:1]
	v_cmp_gt_i32_e32 vcc, s33, v0
	s_and_saveexec_b64 s[0:1], vcc
	s_cbranch_execnz .LBB106_26
.LBB106_20:
	s_or_b64 exec, exec, s[0:1]
	v_cmp_gt_i32_e32 vcc, s33, v0
	s_and_saveexec_b64 s[0:1], vcc
	s_cbranch_execnz .LBB106_27
.LBB106_21:
	s_or_b64 exec, exec, s[0:1]
	v_cmp_gt_i32_e32 vcc, s33, v0
	s_and_saveexec_b64 s[0:1], vcc
	s_cbranch_execz .LBB106_23
.LBB106_22:
	v_add_u32_e32 v0, s8, v0
	v_mov_b32_e32 v1, 0
	v_lshl_add_u64 v[0:1], v[0:1], 3, s[4:5]
	global_store_dwordx2 v[0:1], v[8:9], off
.LBB106_23:
	s_endpgm
.LBB106_24:
	s_mov_b32 s0, 0x652b82fe
	s_mov_b32 s1, 0x3ff71547
	s_waitcnt vmcnt(0)
	v_mul_f64 v[8:9], v[12:13], s[0:1]
	v_rndne_f64_e32 v[8:9], v[8:9]
	s_mov_b32 s3, 0xbfe62e42
	s_mov_b32 s2, 0xfefa39ef
	;; [unrolled: 1-line block ×3, first 2 shown]
	v_fma_f64 v[14:15], s[2:3], v[8:9], v[12:13]
	s_mov_b32 s1, 0xbc7abc9e
	v_fmac_f64_e32 v[14:15], s[0:1], v[8:9]
	s_mov_b32 s0, 0xa9d67f34
	v_mov_b32_e32 v16, 0x2a1b768b
	v_mov_b32_e32 v17, 0x3e5af4eb
	s_mov_b32 s1, 0x3e21f32e
	v_fmac_f64_e32 v[16:17], s[0:1], v[14:15]
	v_mov_b32_e32 v18, 0xe0ac05b
	v_mov_b32_e32 v19, 0x3e927e50
	v_fmac_f64_e32 v[18:19], v[14:15], v[16:17]
	v_mov_b32_e32 v16, 0x1b889c29
	v_mov_b32_e32 v17, 0x3ec71de0
	;; [unrolled: 3-line block ×8, first 2 shown]
	v_fmac_f64_e32 v[16:17], v[14:15], v[18:19]
	v_fma_f64 v[16:17], v[14:15], v[16:17], 0.5
	s_mov_b32 s0, 0
	v_mul_f64 v[16:17], v[14:15], v[16:17]
	s_mov_b32 s1, 0x40900000
	v_cvt_i32_f64_e32 v11, v[8:9]
	v_fmac_f64_e32 v[14:15], v[14:15], v[16:17]
	v_ldexp_f64 v[16:17], 1.0, v11
	v_mov_b32_e32 v11, 0x7fe00000
	v_cmp_eq_f64_e64 s[0:1], s[0:1], v[8:9]
	s_mov_b32 s3, 0x40862e42
	s_nop 0
	v_cndmask_b32_e64 v9, v17, v11, s[0:1]
	v_cndmask_b32_e64 v8, v16, 0, s[0:1]
	v_add_f64 v[16:17], v[8:9], -1.0
	v_fmac_f64_e32 v[16:17], v[8:9], v[14:15]
	v_add_f64 v[8:9], v[16:17], v[16:17]
	v_cndmask_b32_e64 v8, v16, v8, s[0:1]
	v_cndmask_b32_e64 v9, v17, v9, s[0:1]
	v_cmp_nlt_f64_e64 s[0:1], s[2:3], v[12:13]
	s_mov_b32 s2, 0
	s_mov_b32 s3, 0xc0428000
	v_mov_b32_e32 v11, 0x7ff00000
	v_cmp_ngt_f64_e64 s[2:3], s[2:3], v[12:13]
	v_cndmask_b32_e64 v9, v11, v9, s[0:1]
	v_mov_b32_e32 v11, 0xbff00000
	s_and_b64 s[0:1], s[2:3], s[0:1]
	v_cndmask_b32_e64 v9, v11, v9, s[2:3]
	v_cndmask_b32_e64 v8, 0, v8, s[0:1]
	s_or_b64 exec, exec, s[6:7]
	s_and_saveexec_b64 s[0:1], vcc
	s_xor_b64 s[0:1], exec, s[0:1]
	s_cbranch_execz .LBB106_19
.LBB106_25:
	v_mov_b32_e32 v11, 0
	v_lshl_add_u64 v[10:11], v[10:11], 3, s[4:5]
	v_mov_b32_e32 v0, v1
	global_store_dwordx2 v[10:11], v[2:3], off
	s_or_b64 exec, exec, s[0:1]
	v_cmp_gt_i32_e32 vcc, s33, v0
	s_and_saveexec_b64 s[0:1], vcc
	s_cbranch_execz .LBB106_20
.LBB106_26:
	v_add_u32_e32 v2, s8, v0
	v_mov_b32_e32 v3, 0
	v_lshl_add_u64 v[2:3], v[2:3], 3, s[4:5]
	v_add_u32_e32 v0, 0x100, v0
	global_store_dwordx2 v[2:3], v[4:5], off
	s_or_b64 exec, exec, s[0:1]
	v_cmp_gt_i32_e32 vcc, s33, v0
	s_and_saveexec_b64 s[0:1], vcc
	s_cbranch_execz .LBB106_21
.LBB106_27:
	v_add_u32_e32 v2, s8, v0
	v_mov_b32_e32 v3, 0
	v_lshl_add_u64 v[2:3], v[2:3], 3, s[4:5]
	v_add_u32_e32 v0, 0x100, v0
	global_store_dwordx2 v[2:3], v[6:7], off
	s_or_b64 exec, exec, s[0:1]
	v_cmp_gt_i32_e32 vcc, s33, v0
	s_and_saveexec_b64 s[0:1], vcc
	s_cbranch_execnz .LBB106_22
	s_branch .LBB106_23
	.section	.rodata,"a",@progbits
	.p2align	6, 0x0
	.amdhsa_kernel _ZN2at6native29vectorized_elementwise_kernelILi16EZZZNS0_17expm1_kernel_cudaERNS_18TensorIteratorBaseEENKUlvE_clEvENKUlvE_clEvEUldE_St5arrayIPcLm2EEEEviT0_T1_
		.amdhsa_group_segment_fixed_size 0
		.amdhsa_private_segment_fixed_size 0
		.amdhsa_kernarg_size 24
		.amdhsa_user_sgpr_count 2
		.amdhsa_user_sgpr_dispatch_ptr 0
		.amdhsa_user_sgpr_queue_ptr 0
		.amdhsa_user_sgpr_kernarg_segment_ptr 1
		.amdhsa_user_sgpr_dispatch_id 0
		.amdhsa_user_sgpr_kernarg_preload_length 0
		.amdhsa_user_sgpr_kernarg_preload_offset 0
		.amdhsa_user_sgpr_private_segment_size 0
		.amdhsa_uses_dynamic_stack 0
		.amdhsa_enable_private_segment 0
		.amdhsa_system_sgpr_workgroup_id_x 1
		.amdhsa_system_sgpr_workgroup_id_y 0
		.amdhsa_system_sgpr_workgroup_id_z 0
		.amdhsa_system_sgpr_workgroup_info 0
		.amdhsa_system_vgpr_workitem_id 0
		.amdhsa_next_free_vgpr 31
		.amdhsa_next_free_sgpr 44
		.amdhsa_accum_offset 32
		.amdhsa_reserve_vcc 1
		.amdhsa_float_round_mode_32 0
		.amdhsa_float_round_mode_16_64 0
		.amdhsa_float_denorm_mode_32 3
		.amdhsa_float_denorm_mode_16_64 3
		.amdhsa_dx10_clamp 1
		.amdhsa_ieee_mode 1
		.amdhsa_fp16_overflow 0
		.amdhsa_tg_split 0
		.amdhsa_exception_fp_ieee_invalid_op 0
		.amdhsa_exception_fp_denorm_src 0
		.amdhsa_exception_fp_ieee_div_zero 0
		.amdhsa_exception_fp_ieee_overflow 0
		.amdhsa_exception_fp_ieee_underflow 0
		.amdhsa_exception_fp_ieee_inexact 0
		.amdhsa_exception_int_div_zero 0
	.end_amdhsa_kernel
	.section	.text._ZN2at6native29vectorized_elementwise_kernelILi16EZZZNS0_17expm1_kernel_cudaERNS_18TensorIteratorBaseEENKUlvE_clEvENKUlvE_clEvEUldE_St5arrayIPcLm2EEEEviT0_T1_,"axG",@progbits,_ZN2at6native29vectorized_elementwise_kernelILi16EZZZNS0_17expm1_kernel_cudaERNS_18TensorIteratorBaseEENKUlvE_clEvENKUlvE_clEvEUldE_St5arrayIPcLm2EEEEviT0_T1_,comdat
.Lfunc_end106:
	.size	_ZN2at6native29vectorized_elementwise_kernelILi16EZZZNS0_17expm1_kernel_cudaERNS_18TensorIteratorBaseEENKUlvE_clEvENKUlvE_clEvEUldE_St5arrayIPcLm2EEEEviT0_T1_, .Lfunc_end106-_ZN2at6native29vectorized_elementwise_kernelILi16EZZZNS0_17expm1_kernel_cudaERNS_18TensorIteratorBaseEENKUlvE_clEvENKUlvE_clEvEUldE_St5arrayIPcLm2EEEEviT0_T1_
                                        ; -- End function
	.set _ZN2at6native29vectorized_elementwise_kernelILi16EZZZNS0_17expm1_kernel_cudaERNS_18TensorIteratorBaseEENKUlvE_clEvENKUlvE_clEvEUldE_St5arrayIPcLm2EEEEviT0_T1_.num_vgpr, 31
	.set _ZN2at6native29vectorized_elementwise_kernelILi16EZZZNS0_17expm1_kernel_cudaERNS_18TensorIteratorBaseEENKUlvE_clEvENKUlvE_clEvEUldE_St5arrayIPcLm2EEEEviT0_T1_.num_agpr, 0
	.set _ZN2at6native29vectorized_elementwise_kernelILi16EZZZNS0_17expm1_kernel_cudaERNS_18TensorIteratorBaseEENKUlvE_clEvENKUlvE_clEvEUldE_St5arrayIPcLm2EEEEviT0_T1_.numbered_sgpr, 44
	.set _ZN2at6native29vectorized_elementwise_kernelILi16EZZZNS0_17expm1_kernel_cudaERNS_18TensorIteratorBaseEENKUlvE_clEvENKUlvE_clEvEUldE_St5arrayIPcLm2EEEEviT0_T1_.num_named_barrier, 0
	.set _ZN2at6native29vectorized_elementwise_kernelILi16EZZZNS0_17expm1_kernel_cudaERNS_18TensorIteratorBaseEENKUlvE_clEvENKUlvE_clEvEUldE_St5arrayIPcLm2EEEEviT0_T1_.private_seg_size, 0
	.set _ZN2at6native29vectorized_elementwise_kernelILi16EZZZNS0_17expm1_kernel_cudaERNS_18TensorIteratorBaseEENKUlvE_clEvENKUlvE_clEvEUldE_St5arrayIPcLm2EEEEviT0_T1_.uses_vcc, 1
	.set _ZN2at6native29vectorized_elementwise_kernelILi16EZZZNS0_17expm1_kernel_cudaERNS_18TensorIteratorBaseEENKUlvE_clEvENKUlvE_clEvEUldE_St5arrayIPcLm2EEEEviT0_T1_.uses_flat_scratch, 0
	.set _ZN2at6native29vectorized_elementwise_kernelILi16EZZZNS0_17expm1_kernel_cudaERNS_18TensorIteratorBaseEENKUlvE_clEvENKUlvE_clEvEUldE_St5arrayIPcLm2EEEEviT0_T1_.has_dyn_sized_stack, 0
	.set _ZN2at6native29vectorized_elementwise_kernelILi16EZZZNS0_17expm1_kernel_cudaERNS_18TensorIteratorBaseEENKUlvE_clEvENKUlvE_clEvEUldE_St5arrayIPcLm2EEEEviT0_T1_.has_recursion, 0
	.set _ZN2at6native29vectorized_elementwise_kernelILi16EZZZNS0_17expm1_kernel_cudaERNS_18TensorIteratorBaseEENKUlvE_clEvENKUlvE_clEvEUldE_St5arrayIPcLm2EEEEviT0_T1_.has_indirect_call, 0
	.section	.AMDGPU.csdata,"",@progbits
; Kernel info:
; codeLenInByte = 3732
; TotalNumSgprs: 50
; NumVgprs: 31
; NumAgprs: 0
; TotalNumVgprs: 31
; ScratchSize: 0
; MemoryBound: 0
; FloatMode: 240
; IeeeMode: 1
; LDSByteSize: 0 bytes/workgroup (compile time only)
; SGPRBlocks: 6
; VGPRBlocks: 3
; NumSGPRsForWavesPerEU: 50
; NumVGPRsForWavesPerEU: 31
; AccumOffset: 32
; Occupancy: 8
; WaveLimiterHint : 0
; COMPUTE_PGM_RSRC2:SCRATCH_EN: 0
; COMPUTE_PGM_RSRC2:USER_SGPR: 2
; COMPUTE_PGM_RSRC2:TRAP_HANDLER: 0
; COMPUTE_PGM_RSRC2:TGID_X_EN: 1
; COMPUTE_PGM_RSRC2:TGID_Y_EN: 0
; COMPUTE_PGM_RSRC2:TGID_Z_EN: 0
; COMPUTE_PGM_RSRC2:TIDIG_COMP_CNT: 0
; COMPUTE_PGM_RSRC3_GFX90A:ACCUM_OFFSET: 7
; COMPUTE_PGM_RSRC3_GFX90A:TG_SPLIT: 0
	.section	.text._ZN2at6native29vectorized_elementwise_kernelILi8EZZZNS0_17expm1_kernel_cudaERNS_18TensorIteratorBaseEENKUlvE_clEvENKUlvE_clEvEUldE_St5arrayIPcLm2EEEEviT0_T1_,"axG",@progbits,_ZN2at6native29vectorized_elementwise_kernelILi8EZZZNS0_17expm1_kernel_cudaERNS_18TensorIteratorBaseEENKUlvE_clEvENKUlvE_clEvEUldE_St5arrayIPcLm2EEEEviT0_T1_,comdat
	.globl	_ZN2at6native29vectorized_elementwise_kernelILi8EZZZNS0_17expm1_kernel_cudaERNS_18TensorIteratorBaseEENKUlvE_clEvENKUlvE_clEvEUldE_St5arrayIPcLm2EEEEviT0_T1_ ; -- Begin function _ZN2at6native29vectorized_elementwise_kernelILi8EZZZNS0_17expm1_kernel_cudaERNS_18TensorIteratorBaseEENKUlvE_clEvENKUlvE_clEvEUldE_St5arrayIPcLm2EEEEviT0_T1_
	.p2align	8
	.type	_ZN2at6native29vectorized_elementwise_kernelILi8EZZZNS0_17expm1_kernel_cudaERNS_18TensorIteratorBaseEENKUlvE_clEvENKUlvE_clEvEUldE_St5arrayIPcLm2EEEEviT0_T1_,@function
_ZN2at6native29vectorized_elementwise_kernelILi8EZZZNS0_17expm1_kernel_cudaERNS_18TensorIteratorBaseEENKUlvE_clEvENKUlvE_clEvEUldE_St5arrayIPcLm2EEEEviT0_T1_: ; @_ZN2at6native29vectorized_elementwise_kernelILi8EZZZNS0_17expm1_kernel_cudaERNS_18TensorIteratorBaseEENKUlvE_clEvENKUlvE_clEvEUldE_St5arrayIPcLm2EEEEviT0_T1_
; %bb.0:
	s_load_dword s3, s[0:1], 0x0
	s_load_dwordx4 s[4:7], s[0:1], 0x8
	s_lshl_b32 s8, s2, 10
	s_mov_b64 s[0:1], -1
	s_waitcnt lgkmcnt(0)
	s_sub_i32 s33, s3, s8
	s_cmpk_gt_i32 s33, 0x3ff
	s_cbranch_scc0 .LBB107_2
; %bb.1:
	s_ashr_i32 s9, s8, 31
	s_lshl_b64 s[10:11], s[8:9], 3
	s_add_u32 s0, s6, s10
	s_addc_u32 s1, s7, s11
	v_lshlrev_b32_e32 v1, 5, v0
	global_load_dwordx4 v[6:9], v1, s[0:1]
	global_load_dwordx4 v[2:5], v1, s[0:1] offset:16
	s_mov_b32 s36, 0x652b82fe
	s_mov_b32 s37, 0x3ff71547
	;; [unrolled: 1-line block ×13, first 2 shown]
	v_mov_b64_e32 v[10:11], s[0:1]
	s_mov_b32 s17, 0x3e927e50
	s_mov_b32 s18, 0x1b889c29
	v_mov_b32_e32 v28, 0x7fe00000
	s_mov_b32 s19, 0x3ec71de0
	s_mov_b32 s20, 0x197bcfd8
	;; [unrolled: 1-line block ×17, first 2 shown]
	v_mov_b32_e32 v29, 0x7ff00000
	v_mov_b32_e32 v30, 0xbff00000
	s_waitcnt vmcnt(1)
	v_mul_f64 v[12:13], v[6:7], s[36:37]
	v_mul_f64 v[14:15], v[8:9], s[36:37]
	v_rndne_f64_e32 v[12:13], v[12:13]
	v_rndne_f64_e32 v[14:15], v[14:15]
	v_fma_f64 v[16:17], s[34:35], v[12:13], v[6:7]
	v_cvt_i32_f64_e32 v20, v[12:13]
	v_fma_f64 v[18:19], s[34:35], v[14:15], v[8:9]
	v_cvt_i32_f64_e32 v22, v[14:15]
	v_fmac_f64_e32 v[16:17], s[12:13], v[12:13]
	v_ldexp_f64 v[20:21], 1.0, v20
	v_fmac_f64_e32 v[18:19], s[12:13], v[14:15]
	v_ldexp_f64 v[22:23], 1.0, v22
	v_fma_f64 v[24:25], s[14:15], v[16:17], v[10:11]
	v_cmp_eq_f64_e32 vcc, s[38:39], v[12:13]
	v_cmp_eq_f64_e64 s[0:1], s[38:39], v[14:15]
	v_cmp_ngt_f64_e64 s[2:3], s[42:43], v[6:7]
	v_cndmask_b32_e32 v13, v21, v28, vcc
	v_cndmask_b32_e64 v12, v20, 0, vcc
	v_fma_f64 v[20:21], s[14:15], v[18:19], v[10:11]
	v_cndmask_b32_e64 v15, v23, v28, s[0:1]
	v_cndmask_b32_e64 v14, v22, 0, s[0:1]
	v_fma_f64 v[22:23], v[16:17], v[24:25], s[16:17]
	v_fma_f64 v[20:21], v[18:19], v[20:21], s[16:17]
	;; [unrolled: 1-line block ×16, first 2 shown]
	v_fma_f64 v[22:23], v[16:17], v[22:23], 0.5
	v_fma_f64 v[20:21], v[18:19], v[20:21], 0.5
	v_mul_f64 v[22:23], v[16:17], v[22:23]
	v_add_f64 v[24:25], v[12:13], -1.0
	v_mul_f64 v[20:21], v[18:19], v[20:21]
	v_fmac_f64_e32 v[16:17], v[16:17], v[22:23]
	v_add_f64 v[26:27], v[14:15], -1.0
	v_fmac_f64_e32 v[18:19], v[18:19], v[20:21]
	v_fmac_f64_e32 v[24:25], v[12:13], v[16:17]
	;; [unrolled: 1-line block ×3, first 2 shown]
	v_add_f64 v[12:13], v[24:25], v[24:25]
	v_add_f64 v[14:15], v[26:27], v[26:27]
	v_cndmask_b32_e32 v12, v24, v12, vcc
	v_cndmask_b32_e32 v13, v25, v13, vcc
	v_cmp_nlt_f64_e32 vcc, s[40:41], v[6:7]
	v_cndmask_b32_e64 v14, v26, v14, s[0:1]
	v_cndmask_b32_e64 v15, v27, v15, s[0:1]
	v_cndmask_b32_e32 v13, v29, v13, vcc
	v_cmp_nlt_f64_e64 s[0:1], s[40:41], v[8:9]
	s_and_b64 vcc, s[2:3], vcc
	v_cndmask_b32_e64 v7, v30, v13, s[2:3]
	v_cndmask_b32_e64 v15, v29, v15, s[0:1]
	v_cndmask_b32_e32 v6, 0, v12, vcc
	v_cmp_ngt_f64_e32 vcc, s[42:43], v[8:9]
	s_waitcnt vmcnt(0)
	v_mul_f64 v[12:13], v[2:3], s[36:37]
	v_rndne_f64_e32 v[12:13], v[12:13]
	v_cndmask_b32_e32 v9, v30, v15, vcc
	s_and_b64 vcc, vcc, s[0:1]
	v_cndmask_b32_e32 v8, 0, v14, vcc
	v_fma_f64 v[14:15], s[34:35], v[12:13], v[2:3]
	v_fmac_f64_e32 v[14:15], s[12:13], v[12:13]
	v_fma_f64 v[16:17], s[14:15], v[14:15], v[10:11]
	v_fma_f64 v[16:17], v[14:15], v[16:17], s[16:17]
	;; [unrolled: 1-line block ×9, first 2 shown]
	v_fma_f64 v[16:17], v[14:15], v[16:17], 0.5
	v_mul_f64 v[16:17], v[14:15], v[16:17]
	v_fmac_f64_e32 v[14:15], v[14:15], v[16:17]
	v_cvt_i32_f64_e32 v16, v[12:13]
	v_ldexp_f64 v[16:17], 1.0, v16
	v_cmp_eq_f64_e32 vcc, s[38:39], v[12:13]
	v_cmp_ngt_f64_e64 s[0:1], s[42:43], v[2:3]
	s_nop 0
	v_cndmask_b32_e32 v13, v17, v28, vcc
	v_cndmask_b32_e64 v12, v16, 0, vcc
	v_add_f64 v[16:17], v[12:13], -1.0
	v_fmac_f64_e32 v[16:17], v[12:13], v[14:15]
	v_add_f64 v[12:13], v[16:17], v[16:17]
	v_cndmask_b32_e32 v12, v16, v12, vcc
	v_cndmask_b32_e32 v13, v17, v13, vcc
	v_cmp_nlt_f64_e32 vcc, s[40:41], v[2:3]
	s_nop 1
	v_cndmask_b32_e32 v13, v29, v13, vcc
	s_and_b64 vcc, s[0:1], vcc
	v_cndmask_b32_e64 v3, v30, v13, s[0:1]
	v_cndmask_b32_e32 v2, 0, v12, vcc
	v_mul_f64 v[12:13], v[4:5], s[36:37]
	v_rndne_f64_e32 v[12:13], v[12:13]
	v_fma_f64 v[14:15], s[34:35], v[12:13], v[4:5]
	v_fmac_f64_e32 v[14:15], s[12:13], v[12:13]
	v_fmac_f64_e32 v[10:11], s[14:15], v[14:15]
	v_fma_f64 v[10:11], v[14:15], v[10:11], s[16:17]
	v_fma_f64 v[10:11], v[14:15], v[10:11], s[18:19]
	v_fma_f64 v[10:11], v[14:15], v[10:11], s[20:21]
	v_fma_f64 v[10:11], v[14:15], v[10:11], s[22:23]
	v_fma_f64 v[10:11], v[14:15], v[10:11], s[24:25]
	v_fma_f64 v[10:11], v[14:15], v[10:11], s[26:27]
	v_fma_f64 v[10:11], v[14:15], v[10:11], s[28:29]
	v_fma_f64 v[10:11], v[14:15], v[10:11], s[30:31]
	v_fma_f64 v[10:11], v[14:15], v[10:11], 0.5
	v_mul_f64 v[10:11], v[14:15], v[10:11]
	v_fmac_f64_e32 v[14:15], v[14:15], v[10:11]
	v_cvt_i32_f64_e32 v10, v[12:13]
	v_ldexp_f64 v[10:11], 1.0, v10
	v_cmp_eq_f64_e32 vcc, s[38:39], v[12:13]
	v_cmp_ngt_f64_e64 s[0:1], s[42:43], v[4:5]
	s_nop 0
	v_cndmask_b32_e32 v11, v11, v28, vcc
	v_cndmask_b32_e64 v10, v10, 0, vcc
	v_add_f64 v[12:13], v[10:11], -1.0
	v_fmac_f64_e32 v[12:13], v[10:11], v[14:15]
	v_add_f64 v[10:11], v[12:13], v[12:13]
	v_cndmask_b32_e32 v10, v12, v10, vcc
	v_cndmask_b32_e32 v11, v13, v11, vcc
	v_cmp_nlt_f64_e32 vcc, s[40:41], v[4:5]
	s_nop 1
	v_cndmask_b32_e32 v11, v29, v11, vcc
	s_and_b64 vcc, s[0:1], vcc
	v_cndmask_b32_e64 v5, v30, v11, s[0:1]
	s_add_u32 s0, s4, s10
	s_addc_u32 s1, s5, s11
	v_cndmask_b32_e32 v4, 0, v10, vcc
	global_store_dwordx4 v1, v[6:9], s[0:1]
	global_store_dwordx4 v1, v[2:5], s[0:1] offset:16
	s_mov_b64 s[0:1], 0
.LBB107_2:
	s_andn2_b64 vcc, exec, s[0:1]
	s_cbranch_vccnz .LBB107_23
; %bb.3:
	v_cmp_gt_i32_e32 vcc, s33, v0
	v_mov_b64_e32 v[16:17], 0
	v_or_b32_e32 v10, s8, v0
	v_mov_b64_e32 v[18:19], 0
	v_mov_b32_e32 v1, v0
	s_and_saveexec_b64 s[0:1], vcc
	s_cbranch_execz .LBB107_5
; %bb.4:
	v_mov_b32_e32 v11, 0
	v_lshl_add_u64 v[2:3], v[10:11], 3, s[6:7]
	global_load_dwordx2 v[18:19], v[2:3], off
	v_or_b32_e32 v1, 0x100, v0
.LBB107_5:
	s_or_b64 exec, exec, s[0:1]
	v_cmp_gt_i32_e64 s[0:1], s33, v1
	s_and_saveexec_b64 s[2:3], s[0:1]
	s_cbranch_execz .LBB107_7
; %bb.6:
	v_add_u32_e32 v2, s8, v1
	v_mov_b32_e32 v3, 0
	v_lshl_add_u64 v[2:3], v[2:3], 3, s[6:7]
	global_load_dwordx2 v[16:17], v[2:3], off
	v_add_u32_e32 v1, 0x100, v1
.LBB107_7:
	s_or_b64 exec, exec, s[2:3]
	v_cmp_gt_i32_e64 s[0:1], s33, v1
	v_mov_b64_e32 v[12:13], 0
	v_mov_b64_e32 v[14:15], 0
	s_and_saveexec_b64 s[2:3], s[0:1]
	s_cbranch_execz .LBB107_9
; %bb.8:
	v_add_u32_e32 v2, s8, v1
	v_mov_b32_e32 v3, 0
	v_lshl_add_u64 v[2:3], v[2:3], 3, s[6:7]
	global_load_dwordx2 v[14:15], v[2:3], off
	v_add_u32_e32 v1, 0x100, v1
.LBB107_9:
	s_or_b64 exec, exec, s[2:3]
	v_cmp_gt_i32_e64 s[0:1], s33, v1
	s_and_saveexec_b64 s[2:3], s[0:1]
	s_cbranch_execz .LBB107_11
; %bb.10:
	v_add_u32_e32 v2, s8, v1
	v_mov_b32_e32 v3, 0
	v_lshl_add_u64 v[2:3], v[2:3], 3, s[6:7]
	global_load_dwordx2 v[12:13], v[2:3], off
.LBB107_11:
	s_or_b64 exec, exec, s[2:3]
	v_mov_b32_e32 v2, 0
	v_mov_b32_e32 v3, v2
	;; [unrolled: 1-line block ×8, first 2 shown]
	s_and_saveexec_b64 s[6:7], vcc
	s_cbranch_execz .LBB107_13
; %bb.12:
	s_mov_b32 s0, 0x652b82fe
	s_mov_b32 s1, 0x3ff71547
	s_waitcnt vmcnt(0)
	v_mul_f64 v[4:5], v[18:19], s[0:1]
	v_rndne_f64_e32 v[4:5], v[4:5]
	s_mov_b32 s3, 0xbfe62e42
	s_mov_b32 s2, 0xfefa39ef
	;; [unrolled: 1-line block ×3, first 2 shown]
	v_fma_f64 v[6:7], s[2:3], v[4:5], v[18:19]
	s_mov_b32 s1, 0xbc7abc9e
	v_fmac_f64_e32 v[6:7], s[0:1], v[4:5]
	s_mov_b32 s0, 0xa9d67f34
	v_mov_b32_e32 v8, 0x2a1b768b
	v_mov_b32_e32 v9, 0x3e5af4eb
	s_mov_b32 s1, 0x3e21f32e
	v_fmac_f64_e32 v[8:9], s[0:1], v[6:7]
	v_mov_b32_e32 v20, 0xe0ac05b
	v_mov_b32_e32 v21, 0x3e927e50
	v_fmac_f64_e32 v[20:21], v[6:7], v[8:9]
	v_mov_b32_e32 v8, 0x1b889c29
	v_mov_b32_e32 v9, 0x3ec71de0
	;; [unrolled: 3-line block ×8, first 2 shown]
	v_fmac_f64_e32 v[8:9], v[6:7], v[20:21]
	v_fma_f64 v[8:9], v[6:7], v[8:9], 0.5
	s_mov_b32 s0, 0
	v_mul_f64 v[8:9], v[6:7], v[8:9]
	s_mov_b32 s1, 0x40900000
	v_cvt_i32_f64_e32 v1, v[4:5]
	v_fmac_f64_e32 v[6:7], v[6:7], v[8:9]
	v_ldexp_f64 v[8:9], 1.0, v1
	v_mov_b32_e32 v1, 0x7fe00000
	v_cmp_eq_f64_e64 s[0:1], s[0:1], v[4:5]
	s_mov_b32 s3, 0x40862e42
	v_mov_b32_e32 v20, v2
	v_cndmask_b32_e64 v5, v9, v1, s[0:1]
	v_cndmask_b32_e64 v4, v8, 0, s[0:1]
	v_add_f64 v[8:9], v[4:5], -1.0
	v_fmac_f64_e32 v[8:9], v[4:5], v[6:7]
	v_add_f64 v[4:5], v[8:9], v[8:9]
	v_cndmask_b32_e64 v1, v8, v4, s[0:1]
	v_cndmask_b32_e64 v3, v9, v5, s[0:1]
	v_cmp_nlt_f64_e64 s[0:1], s[2:3], v[18:19]
	s_mov_b32 s2, 0
	s_mov_b32 s3, 0xc0428000
	v_mov_b32_e32 v4, 0x7ff00000
	v_cmp_ngt_f64_e64 s[2:3], s[2:3], v[18:19]
	v_cndmask_b32_e64 v3, v4, v3, s[0:1]
	v_mov_b32_e32 v4, 0xbff00000
	s_and_b64 s[0:1], s[2:3], s[0:1]
	v_cndmask_b32_e64 v19, v4, v3, s[2:3]
	v_cndmask_b32_e64 v18, 0, v1, s[0:1]
	v_mov_b32_e32 v21, v2
	v_mov_b32_e32 v22, v2
	;; [unrolled: 1-line block ×5, first 2 shown]
	v_mov_b64_e32 v[2:3], v[18:19]
	v_mov_b64_e32 v[4:5], v[20:21]
	;; [unrolled: 1-line block ×4, first 2 shown]
.LBB107_13:
	s_or_b64 exec, exec, s[6:7]
	v_or_b32_e32 v1, 0x100, v0
	v_cmp_gt_i32_e64 s[0:1], s33, v1
	s_and_saveexec_b64 s[6:7], s[0:1]
	s_cbranch_execz .LBB107_15
; %bb.14:
	s_mov_b32 s0, 0x652b82fe
	s_mov_b32 s1, 0x3ff71547
	s_waitcnt vmcnt(0)
	v_mul_f64 v[4:5], v[16:17], s[0:1]
	v_rndne_f64_e32 v[4:5], v[4:5]
	s_mov_b32 s3, 0xbfe62e42
	s_mov_b32 s2, 0xfefa39ef
	;; [unrolled: 1-line block ×3, first 2 shown]
	v_fma_f64 v[18:19], s[2:3], v[4:5], v[16:17]
	s_mov_b32 s1, 0xbc7abc9e
	v_fmac_f64_e32 v[18:19], s[0:1], v[4:5]
	s_mov_b32 s0, 0xa9d67f34
	v_mov_b32_e32 v20, 0x2a1b768b
	v_mov_b32_e32 v21, 0x3e5af4eb
	s_mov_b32 s1, 0x3e21f32e
	v_fmac_f64_e32 v[20:21], s[0:1], v[18:19]
	v_mov_b32_e32 v22, 0xe0ac05b
	v_mov_b32_e32 v23, 0x3e927e50
	v_fmac_f64_e32 v[22:23], v[18:19], v[20:21]
	v_mov_b32_e32 v20, 0x1b889c29
	v_mov_b32_e32 v21, 0x3ec71de0
	v_fmac_f64_e32 v[20:21], v[18:19], v[22:23]
	v_mov_b32_e32 v22, 0x197bcfd8
	v_mov_b32_e32 v23, 0x3efa01a0
	v_fmac_f64_e32 v[22:23], v[18:19], v[20:21]
	v_mov_b32_e32 v20, 0x1ac1a723
	v_mov_b32_e32 v21, 0x3f2a01a0
	v_fmac_f64_e32 v[20:21], v[18:19], v[22:23]
	v_mov_b32_e32 v22, 0x16c18931
	v_mov_b32_e32 v23, 0x3f56c16c
	v_fmac_f64_e32 v[22:23], v[18:19], v[20:21]
	v_mov_b32_e32 v20, 0x11110056
	v_mov_b32_e32 v21, 0x3f811111
	v_fmac_f64_e32 v[20:21], v[18:19], v[22:23]
	v_mov_b32_e32 v22, 0x55555552
	v_mov_b32_e32 v23, 0x3fa55555
	v_fmac_f64_e32 v[22:23], v[18:19], v[20:21]
	v_mov_b32_e32 v20, 0x55555557
	v_mov_b32_e32 v21, 0x3fc55555
	v_fmac_f64_e32 v[20:21], v[18:19], v[22:23]
	v_fma_f64 v[20:21], v[18:19], v[20:21], 0.5
	s_mov_b32 s0, 0
	v_mul_f64 v[20:21], v[18:19], v[20:21]
	s_mov_b32 s1, 0x40900000
	v_cvt_i32_f64_e32 v11, v[4:5]
	v_fmac_f64_e32 v[18:19], v[18:19], v[20:21]
	v_ldexp_f64 v[20:21], 1.0, v11
	v_mov_b32_e32 v11, 0x7fe00000
	v_cmp_eq_f64_e64 s[0:1], s[0:1], v[4:5]
	s_mov_b32 s3, 0x40862e42
	s_nop 0
	v_cndmask_b32_e64 v5, v21, v11, s[0:1]
	v_cndmask_b32_e64 v4, v20, 0, s[0:1]
	v_add_f64 v[20:21], v[4:5], -1.0
	v_fmac_f64_e32 v[20:21], v[4:5], v[18:19]
	v_add_f64 v[4:5], v[20:21], v[20:21]
	v_cndmask_b32_e64 v4, v20, v4, s[0:1]
	v_cndmask_b32_e64 v5, v21, v5, s[0:1]
	v_cmp_nlt_f64_e64 s[0:1], s[2:3], v[16:17]
	s_mov_b32 s2, 0
	s_mov_b32 s3, 0xc0428000
	v_mov_b32_e32 v11, 0x7ff00000
	v_cmp_ngt_f64_e64 s[2:3], s[2:3], v[16:17]
	v_cndmask_b32_e64 v5, v11, v5, s[0:1]
	v_mov_b32_e32 v11, 0xbff00000
	s_and_b64 s[0:1], s[2:3], s[0:1]
	v_cndmask_b32_e64 v5, v11, v5, s[2:3]
	v_cndmask_b32_e64 v4, 0, v4, s[0:1]
.LBB107_15:
	s_or_b64 exec, exec, s[6:7]
	v_or_b32_e32 v11, 0x200, v0
	v_cmp_gt_i32_e64 s[0:1], s33, v11
	s_and_saveexec_b64 s[6:7], s[0:1]
	s_cbranch_execz .LBB107_17
; %bb.16:
	s_mov_b32 s0, 0x652b82fe
	s_mov_b32 s1, 0x3ff71547
	s_waitcnt vmcnt(0)
	v_mul_f64 v[6:7], v[14:15], s[0:1]
	v_rndne_f64_e32 v[6:7], v[6:7]
	s_mov_b32 s3, 0xbfe62e42
	s_mov_b32 s2, 0xfefa39ef
	s_mov_b32 s0, 0x3b39803f
	v_fma_f64 v[16:17], s[2:3], v[6:7], v[14:15]
	s_mov_b32 s1, 0xbc7abc9e
	v_fmac_f64_e32 v[16:17], s[0:1], v[6:7]
	s_mov_b32 s0, 0xa9d67f34
	v_mov_b32_e32 v18, 0x2a1b768b
	v_mov_b32_e32 v19, 0x3e5af4eb
	s_mov_b32 s1, 0x3e21f32e
	v_fmac_f64_e32 v[18:19], s[0:1], v[16:17]
	v_mov_b32_e32 v20, 0xe0ac05b
	v_mov_b32_e32 v21, 0x3e927e50
	v_fmac_f64_e32 v[20:21], v[16:17], v[18:19]
	v_mov_b32_e32 v18, 0x1b889c29
	v_mov_b32_e32 v19, 0x3ec71de0
	;; [unrolled: 3-line block ×8, first 2 shown]
	v_fmac_f64_e32 v[18:19], v[16:17], v[20:21]
	v_fma_f64 v[18:19], v[16:17], v[18:19], 0.5
	s_mov_b32 s0, 0
	v_mul_f64 v[18:19], v[16:17], v[18:19]
	s_mov_b32 s1, 0x40900000
	v_cvt_i32_f64_e32 v11, v[6:7]
	v_fmac_f64_e32 v[16:17], v[16:17], v[18:19]
	v_ldexp_f64 v[18:19], 1.0, v11
	v_mov_b32_e32 v11, 0x7fe00000
	v_cmp_eq_f64_e64 s[0:1], s[0:1], v[6:7]
	s_mov_b32 s3, 0x40862e42
	s_nop 0
	v_cndmask_b32_e64 v7, v19, v11, s[0:1]
	v_cndmask_b32_e64 v6, v18, 0, s[0:1]
	v_add_f64 v[18:19], v[6:7], -1.0
	v_fmac_f64_e32 v[18:19], v[6:7], v[16:17]
	v_add_f64 v[6:7], v[18:19], v[18:19]
	v_cndmask_b32_e64 v6, v18, v6, s[0:1]
	v_cndmask_b32_e64 v7, v19, v7, s[0:1]
	v_cmp_nlt_f64_e64 s[0:1], s[2:3], v[14:15]
	s_mov_b32 s2, 0
	s_mov_b32 s3, 0xc0428000
	v_mov_b32_e32 v11, 0x7ff00000
	v_cmp_ngt_f64_e64 s[2:3], s[2:3], v[14:15]
	v_cndmask_b32_e64 v7, v11, v7, s[0:1]
	v_mov_b32_e32 v11, 0xbff00000
	s_and_b64 s[0:1], s[2:3], s[0:1]
	v_cndmask_b32_e64 v7, v11, v7, s[2:3]
	v_cndmask_b32_e64 v6, 0, v6, s[0:1]
.LBB107_17:
	s_or_b64 exec, exec, s[6:7]
	v_or_b32_e32 v11, 0x300, v0
	v_cmp_gt_i32_e64 s[0:1], s33, v11
	s_and_saveexec_b64 s[6:7], s[0:1]
	s_cbranch_execnz .LBB107_24
; %bb.18:
	s_or_b64 exec, exec, s[6:7]
	s_and_saveexec_b64 s[0:1], vcc
	s_xor_b64 s[0:1], exec, s[0:1]
	s_cbranch_execnz .LBB107_25
.LBB107_19:
	s_or_b64 exec, exec, s[0:1]
	v_cmp_gt_i32_e32 vcc, s33, v0
	s_and_saveexec_b64 s[0:1], vcc
	s_cbranch_execnz .LBB107_26
.LBB107_20:
	s_or_b64 exec, exec, s[0:1]
	v_cmp_gt_i32_e32 vcc, s33, v0
	s_and_saveexec_b64 s[0:1], vcc
	s_cbranch_execnz .LBB107_27
.LBB107_21:
	s_or_b64 exec, exec, s[0:1]
	v_cmp_gt_i32_e32 vcc, s33, v0
	s_and_saveexec_b64 s[0:1], vcc
	s_cbranch_execz .LBB107_23
.LBB107_22:
	v_add_u32_e32 v0, s8, v0
	v_mov_b32_e32 v1, 0
	v_lshl_add_u64 v[0:1], v[0:1], 3, s[4:5]
	global_store_dwordx2 v[0:1], v[8:9], off
.LBB107_23:
	s_endpgm
.LBB107_24:
	s_mov_b32 s0, 0x652b82fe
	s_mov_b32 s1, 0x3ff71547
	s_waitcnt vmcnt(0)
	v_mul_f64 v[8:9], v[12:13], s[0:1]
	v_rndne_f64_e32 v[8:9], v[8:9]
	s_mov_b32 s3, 0xbfe62e42
	s_mov_b32 s2, 0xfefa39ef
	;; [unrolled: 1-line block ×3, first 2 shown]
	v_fma_f64 v[14:15], s[2:3], v[8:9], v[12:13]
	s_mov_b32 s1, 0xbc7abc9e
	v_fmac_f64_e32 v[14:15], s[0:1], v[8:9]
	s_mov_b32 s0, 0xa9d67f34
	v_mov_b32_e32 v16, 0x2a1b768b
	v_mov_b32_e32 v17, 0x3e5af4eb
	s_mov_b32 s1, 0x3e21f32e
	v_fmac_f64_e32 v[16:17], s[0:1], v[14:15]
	v_mov_b32_e32 v18, 0xe0ac05b
	v_mov_b32_e32 v19, 0x3e927e50
	v_fmac_f64_e32 v[18:19], v[14:15], v[16:17]
	v_mov_b32_e32 v16, 0x1b889c29
	v_mov_b32_e32 v17, 0x3ec71de0
	;; [unrolled: 3-line block ×8, first 2 shown]
	v_fmac_f64_e32 v[16:17], v[14:15], v[18:19]
	v_fma_f64 v[16:17], v[14:15], v[16:17], 0.5
	s_mov_b32 s0, 0
	v_mul_f64 v[16:17], v[14:15], v[16:17]
	s_mov_b32 s1, 0x40900000
	v_cvt_i32_f64_e32 v11, v[8:9]
	v_fmac_f64_e32 v[14:15], v[14:15], v[16:17]
	v_ldexp_f64 v[16:17], 1.0, v11
	v_mov_b32_e32 v11, 0x7fe00000
	v_cmp_eq_f64_e64 s[0:1], s[0:1], v[8:9]
	s_mov_b32 s3, 0x40862e42
	s_nop 0
	v_cndmask_b32_e64 v9, v17, v11, s[0:1]
	v_cndmask_b32_e64 v8, v16, 0, s[0:1]
	v_add_f64 v[16:17], v[8:9], -1.0
	v_fmac_f64_e32 v[16:17], v[8:9], v[14:15]
	v_add_f64 v[8:9], v[16:17], v[16:17]
	v_cndmask_b32_e64 v8, v16, v8, s[0:1]
	v_cndmask_b32_e64 v9, v17, v9, s[0:1]
	v_cmp_nlt_f64_e64 s[0:1], s[2:3], v[12:13]
	s_mov_b32 s2, 0
	s_mov_b32 s3, 0xc0428000
	v_mov_b32_e32 v11, 0x7ff00000
	v_cmp_ngt_f64_e64 s[2:3], s[2:3], v[12:13]
	v_cndmask_b32_e64 v9, v11, v9, s[0:1]
	v_mov_b32_e32 v11, 0xbff00000
	s_and_b64 s[0:1], s[2:3], s[0:1]
	v_cndmask_b32_e64 v9, v11, v9, s[2:3]
	v_cndmask_b32_e64 v8, 0, v8, s[0:1]
	s_or_b64 exec, exec, s[6:7]
	s_and_saveexec_b64 s[0:1], vcc
	s_xor_b64 s[0:1], exec, s[0:1]
	s_cbranch_execz .LBB107_19
.LBB107_25:
	v_mov_b32_e32 v11, 0
	v_lshl_add_u64 v[10:11], v[10:11], 3, s[4:5]
	v_mov_b32_e32 v0, v1
	global_store_dwordx2 v[10:11], v[2:3], off
	s_or_b64 exec, exec, s[0:1]
	v_cmp_gt_i32_e32 vcc, s33, v0
	s_and_saveexec_b64 s[0:1], vcc
	s_cbranch_execz .LBB107_20
.LBB107_26:
	v_add_u32_e32 v2, s8, v0
	v_mov_b32_e32 v3, 0
	v_lshl_add_u64 v[2:3], v[2:3], 3, s[4:5]
	v_add_u32_e32 v0, 0x100, v0
	global_store_dwordx2 v[2:3], v[4:5], off
	s_or_b64 exec, exec, s[0:1]
	v_cmp_gt_i32_e32 vcc, s33, v0
	s_and_saveexec_b64 s[0:1], vcc
	s_cbranch_execz .LBB107_21
.LBB107_27:
	v_add_u32_e32 v2, s8, v0
	v_mov_b32_e32 v3, 0
	v_lshl_add_u64 v[2:3], v[2:3], 3, s[4:5]
	v_add_u32_e32 v0, 0x100, v0
	global_store_dwordx2 v[2:3], v[6:7], off
	s_or_b64 exec, exec, s[0:1]
	v_cmp_gt_i32_e32 vcc, s33, v0
	s_and_saveexec_b64 s[0:1], vcc
	s_cbranch_execnz .LBB107_22
	s_branch .LBB107_23
	.section	.rodata,"a",@progbits
	.p2align	6, 0x0
	.amdhsa_kernel _ZN2at6native29vectorized_elementwise_kernelILi8EZZZNS0_17expm1_kernel_cudaERNS_18TensorIteratorBaseEENKUlvE_clEvENKUlvE_clEvEUldE_St5arrayIPcLm2EEEEviT0_T1_
		.amdhsa_group_segment_fixed_size 0
		.amdhsa_private_segment_fixed_size 0
		.amdhsa_kernarg_size 24
		.amdhsa_user_sgpr_count 2
		.amdhsa_user_sgpr_dispatch_ptr 0
		.amdhsa_user_sgpr_queue_ptr 0
		.amdhsa_user_sgpr_kernarg_segment_ptr 1
		.amdhsa_user_sgpr_dispatch_id 0
		.amdhsa_user_sgpr_kernarg_preload_length 0
		.amdhsa_user_sgpr_kernarg_preload_offset 0
		.amdhsa_user_sgpr_private_segment_size 0
		.amdhsa_uses_dynamic_stack 0
		.amdhsa_enable_private_segment 0
		.amdhsa_system_sgpr_workgroup_id_x 1
		.amdhsa_system_sgpr_workgroup_id_y 0
		.amdhsa_system_sgpr_workgroup_id_z 0
		.amdhsa_system_sgpr_workgroup_info 0
		.amdhsa_system_vgpr_workitem_id 0
		.amdhsa_next_free_vgpr 31
		.amdhsa_next_free_sgpr 44
		.amdhsa_accum_offset 32
		.amdhsa_reserve_vcc 1
		.amdhsa_float_round_mode_32 0
		.amdhsa_float_round_mode_16_64 0
		.amdhsa_float_denorm_mode_32 3
		.amdhsa_float_denorm_mode_16_64 3
		.amdhsa_dx10_clamp 1
		.amdhsa_ieee_mode 1
		.amdhsa_fp16_overflow 0
		.amdhsa_tg_split 0
		.amdhsa_exception_fp_ieee_invalid_op 0
		.amdhsa_exception_fp_denorm_src 0
		.amdhsa_exception_fp_ieee_div_zero 0
		.amdhsa_exception_fp_ieee_overflow 0
		.amdhsa_exception_fp_ieee_underflow 0
		.amdhsa_exception_fp_ieee_inexact 0
		.amdhsa_exception_int_div_zero 0
	.end_amdhsa_kernel
	.section	.text._ZN2at6native29vectorized_elementwise_kernelILi8EZZZNS0_17expm1_kernel_cudaERNS_18TensorIteratorBaseEENKUlvE_clEvENKUlvE_clEvEUldE_St5arrayIPcLm2EEEEviT0_T1_,"axG",@progbits,_ZN2at6native29vectorized_elementwise_kernelILi8EZZZNS0_17expm1_kernel_cudaERNS_18TensorIteratorBaseEENKUlvE_clEvENKUlvE_clEvEUldE_St5arrayIPcLm2EEEEviT0_T1_,comdat
.Lfunc_end107:
	.size	_ZN2at6native29vectorized_elementwise_kernelILi8EZZZNS0_17expm1_kernel_cudaERNS_18TensorIteratorBaseEENKUlvE_clEvENKUlvE_clEvEUldE_St5arrayIPcLm2EEEEviT0_T1_, .Lfunc_end107-_ZN2at6native29vectorized_elementwise_kernelILi8EZZZNS0_17expm1_kernel_cudaERNS_18TensorIteratorBaseEENKUlvE_clEvENKUlvE_clEvEUldE_St5arrayIPcLm2EEEEviT0_T1_
                                        ; -- End function
	.set _ZN2at6native29vectorized_elementwise_kernelILi8EZZZNS0_17expm1_kernel_cudaERNS_18TensorIteratorBaseEENKUlvE_clEvENKUlvE_clEvEUldE_St5arrayIPcLm2EEEEviT0_T1_.num_vgpr, 31
	.set _ZN2at6native29vectorized_elementwise_kernelILi8EZZZNS0_17expm1_kernel_cudaERNS_18TensorIteratorBaseEENKUlvE_clEvENKUlvE_clEvEUldE_St5arrayIPcLm2EEEEviT0_T1_.num_agpr, 0
	.set _ZN2at6native29vectorized_elementwise_kernelILi8EZZZNS0_17expm1_kernel_cudaERNS_18TensorIteratorBaseEENKUlvE_clEvENKUlvE_clEvEUldE_St5arrayIPcLm2EEEEviT0_T1_.numbered_sgpr, 44
	.set _ZN2at6native29vectorized_elementwise_kernelILi8EZZZNS0_17expm1_kernel_cudaERNS_18TensorIteratorBaseEENKUlvE_clEvENKUlvE_clEvEUldE_St5arrayIPcLm2EEEEviT0_T1_.num_named_barrier, 0
	.set _ZN2at6native29vectorized_elementwise_kernelILi8EZZZNS0_17expm1_kernel_cudaERNS_18TensorIteratorBaseEENKUlvE_clEvENKUlvE_clEvEUldE_St5arrayIPcLm2EEEEviT0_T1_.private_seg_size, 0
	.set _ZN2at6native29vectorized_elementwise_kernelILi8EZZZNS0_17expm1_kernel_cudaERNS_18TensorIteratorBaseEENKUlvE_clEvENKUlvE_clEvEUldE_St5arrayIPcLm2EEEEviT0_T1_.uses_vcc, 1
	.set _ZN2at6native29vectorized_elementwise_kernelILi8EZZZNS0_17expm1_kernel_cudaERNS_18TensorIteratorBaseEENKUlvE_clEvENKUlvE_clEvEUldE_St5arrayIPcLm2EEEEviT0_T1_.uses_flat_scratch, 0
	.set _ZN2at6native29vectorized_elementwise_kernelILi8EZZZNS0_17expm1_kernel_cudaERNS_18TensorIteratorBaseEENKUlvE_clEvENKUlvE_clEvEUldE_St5arrayIPcLm2EEEEviT0_T1_.has_dyn_sized_stack, 0
	.set _ZN2at6native29vectorized_elementwise_kernelILi8EZZZNS0_17expm1_kernel_cudaERNS_18TensorIteratorBaseEENKUlvE_clEvENKUlvE_clEvEUldE_St5arrayIPcLm2EEEEviT0_T1_.has_recursion, 0
	.set _ZN2at6native29vectorized_elementwise_kernelILi8EZZZNS0_17expm1_kernel_cudaERNS_18TensorIteratorBaseEENKUlvE_clEvENKUlvE_clEvEUldE_St5arrayIPcLm2EEEEviT0_T1_.has_indirect_call, 0
	.section	.AMDGPU.csdata,"",@progbits
; Kernel info:
; codeLenInByte = 3732
; TotalNumSgprs: 50
; NumVgprs: 31
; NumAgprs: 0
; TotalNumVgprs: 31
; ScratchSize: 0
; MemoryBound: 0
; FloatMode: 240
; IeeeMode: 1
; LDSByteSize: 0 bytes/workgroup (compile time only)
; SGPRBlocks: 6
; VGPRBlocks: 3
; NumSGPRsForWavesPerEU: 50
; NumVGPRsForWavesPerEU: 31
; AccumOffset: 32
; Occupancy: 8
; WaveLimiterHint : 0
; COMPUTE_PGM_RSRC2:SCRATCH_EN: 0
; COMPUTE_PGM_RSRC2:USER_SGPR: 2
; COMPUTE_PGM_RSRC2:TRAP_HANDLER: 0
; COMPUTE_PGM_RSRC2:TGID_X_EN: 1
; COMPUTE_PGM_RSRC2:TGID_Y_EN: 0
; COMPUTE_PGM_RSRC2:TGID_Z_EN: 0
; COMPUTE_PGM_RSRC2:TIDIG_COMP_CNT: 0
; COMPUTE_PGM_RSRC3_GFX90A:ACCUM_OFFSET: 7
; COMPUTE_PGM_RSRC3_GFX90A:TG_SPLIT: 0
	.section	.text._ZN2at6native29vectorized_elementwise_kernelILi4EZZZNS0_17expm1_kernel_cudaERNS_18TensorIteratorBaseEENKUlvE_clEvENKUlvE_clEvEUldE_St5arrayIPcLm2EEEEviT0_T1_,"axG",@progbits,_ZN2at6native29vectorized_elementwise_kernelILi4EZZZNS0_17expm1_kernel_cudaERNS_18TensorIteratorBaseEENKUlvE_clEvENKUlvE_clEvEUldE_St5arrayIPcLm2EEEEviT0_T1_,comdat
	.globl	_ZN2at6native29vectorized_elementwise_kernelILi4EZZZNS0_17expm1_kernel_cudaERNS_18TensorIteratorBaseEENKUlvE_clEvENKUlvE_clEvEUldE_St5arrayIPcLm2EEEEviT0_T1_ ; -- Begin function _ZN2at6native29vectorized_elementwise_kernelILi4EZZZNS0_17expm1_kernel_cudaERNS_18TensorIteratorBaseEENKUlvE_clEvENKUlvE_clEvEUldE_St5arrayIPcLm2EEEEviT0_T1_
	.p2align	8
	.type	_ZN2at6native29vectorized_elementwise_kernelILi4EZZZNS0_17expm1_kernel_cudaERNS_18TensorIteratorBaseEENKUlvE_clEvENKUlvE_clEvEUldE_St5arrayIPcLm2EEEEviT0_T1_,@function
_ZN2at6native29vectorized_elementwise_kernelILi4EZZZNS0_17expm1_kernel_cudaERNS_18TensorIteratorBaseEENKUlvE_clEvENKUlvE_clEvEUldE_St5arrayIPcLm2EEEEviT0_T1_: ; @_ZN2at6native29vectorized_elementwise_kernelILi4EZZZNS0_17expm1_kernel_cudaERNS_18TensorIteratorBaseEENKUlvE_clEvENKUlvE_clEvEUldE_St5arrayIPcLm2EEEEviT0_T1_
; %bb.0:
	s_load_dword s3, s[0:1], 0x0
	s_load_dwordx4 s[4:7], s[0:1], 0x8
	s_lshl_b32 s8, s2, 10
	s_mov_b64 s[0:1], -1
	s_waitcnt lgkmcnt(0)
	s_sub_i32 s33, s3, s8
	s_cmpk_gt_i32 s33, 0x3ff
	s_cbranch_scc0 .LBB108_2
; %bb.1:
	s_ashr_i32 s9, s8, 31
	s_lshl_b64 s[10:11], s[8:9], 3
	s_add_u32 s0, s6, s10
	s_addc_u32 s1, s7, s11
	v_lshlrev_b32_e32 v1, 5, v0
	global_load_dwordx4 v[6:9], v1, s[0:1]
	global_load_dwordx4 v[2:5], v1, s[0:1] offset:16
	s_mov_b32 s36, 0x652b82fe
	s_mov_b32 s37, 0x3ff71547
	;; [unrolled: 1-line block ×13, first 2 shown]
	v_mov_b64_e32 v[10:11], s[0:1]
	s_mov_b32 s17, 0x3e927e50
	s_mov_b32 s18, 0x1b889c29
	v_mov_b32_e32 v28, 0x7fe00000
	s_mov_b32 s19, 0x3ec71de0
	s_mov_b32 s20, 0x197bcfd8
	;; [unrolled: 1-line block ×17, first 2 shown]
	v_mov_b32_e32 v29, 0x7ff00000
	v_mov_b32_e32 v30, 0xbff00000
	s_waitcnt vmcnt(1)
	v_mul_f64 v[12:13], v[6:7], s[36:37]
	v_mul_f64 v[14:15], v[8:9], s[36:37]
	v_rndne_f64_e32 v[12:13], v[12:13]
	v_rndne_f64_e32 v[14:15], v[14:15]
	v_fma_f64 v[16:17], s[34:35], v[12:13], v[6:7]
	v_cvt_i32_f64_e32 v20, v[12:13]
	v_fma_f64 v[18:19], s[34:35], v[14:15], v[8:9]
	v_cvt_i32_f64_e32 v22, v[14:15]
	v_fmac_f64_e32 v[16:17], s[12:13], v[12:13]
	v_ldexp_f64 v[20:21], 1.0, v20
	v_fmac_f64_e32 v[18:19], s[12:13], v[14:15]
	v_ldexp_f64 v[22:23], 1.0, v22
	v_fma_f64 v[24:25], s[14:15], v[16:17], v[10:11]
	v_cmp_eq_f64_e32 vcc, s[38:39], v[12:13]
	v_cmp_eq_f64_e64 s[0:1], s[38:39], v[14:15]
	v_cmp_ngt_f64_e64 s[2:3], s[42:43], v[6:7]
	v_cndmask_b32_e32 v13, v21, v28, vcc
	v_cndmask_b32_e64 v12, v20, 0, vcc
	v_fma_f64 v[20:21], s[14:15], v[18:19], v[10:11]
	v_cndmask_b32_e64 v15, v23, v28, s[0:1]
	v_cndmask_b32_e64 v14, v22, 0, s[0:1]
	v_fma_f64 v[22:23], v[16:17], v[24:25], s[16:17]
	v_fma_f64 v[20:21], v[18:19], v[20:21], s[16:17]
	;; [unrolled: 1-line block ×16, first 2 shown]
	v_fma_f64 v[22:23], v[16:17], v[22:23], 0.5
	v_fma_f64 v[20:21], v[18:19], v[20:21], 0.5
	v_mul_f64 v[22:23], v[16:17], v[22:23]
	v_add_f64 v[24:25], v[12:13], -1.0
	v_mul_f64 v[20:21], v[18:19], v[20:21]
	v_fmac_f64_e32 v[16:17], v[16:17], v[22:23]
	v_add_f64 v[26:27], v[14:15], -1.0
	v_fmac_f64_e32 v[18:19], v[18:19], v[20:21]
	v_fmac_f64_e32 v[24:25], v[12:13], v[16:17]
	;; [unrolled: 1-line block ×3, first 2 shown]
	v_add_f64 v[12:13], v[24:25], v[24:25]
	v_add_f64 v[14:15], v[26:27], v[26:27]
	v_cndmask_b32_e32 v12, v24, v12, vcc
	v_cndmask_b32_e32 v13, v25, v13, vcc
	v_cmp_nlt_f64_e32 vcc, s[40:41], v[6:7]
	v_cndmask_b32_e64 v14, v26, v14, s[0:1]
	v_cndmask_b32_e64 v15, v27, v15, s[0:1]
	v_cndmask_b32_e32 v13, v29, v13, vcc
	v_cmp_nlt_f64_e64 s[0:1], s[40:41], v[8:9]
	s_and_b64 vcc, s[2:3], vcc
	v_cndmask_b32_e64 v7, v30, v13, s[2:3]
	v_cndmask_b32_e64 v15, v29, v15, s[0:1]
	v_cndmask_b32_e32 v6, 0, v12, vcc
	v_cmp_ngt_f64_e32 vcc, s[42:43], v[8:9]
	s_waitcnt vmcnt(0)
	v_mul_f64 v[12:13], v[2:3], s[36:37]
	v_rndne_f64_e32 v[12:13], v[12:13]
	v_cndmask_b32_e32 v9, v30, v15, vcc
	s_and_b64 vcc, vcc, s[0:1]
	v_cndmask_b32_e32 v8, 0, v14, vcc
	v_fma_f64 v[14:15], s[34:35], v[12:13], v[2:3]
	v_fmac_f64_e32 v[14:15], s[12:13], v[12:13]
	v_fma_f64 v[16:17], s[14:15], v[14:15], v[10:11]
	v_fma_f64 v[16:17], v[14:15], v[16:17], s[16:17]
	;; [unrolled: 1-line block ×9, first 2 shown]
	v_fma_f64 v[16:17], v[14:15], v[16:17], 0.5
	v_mul_f64 v[16:17], v[14:15], v[16:17]
	v_fmac_f64_e32 v[14:15], v[14:15], v[16:17]
	v_cvt_i32_f64_e32 v16, v[12:13]
	v_ldexp_f64 v[16:17], 1.0, v16
	v_cmp_eq_f64_e32 vcc, s[38:39], v[12:13]
	v_cmp_ngt_f64_e64 s[0:1], s[42:43], v[2:3]
	s_nop 0
	v_cndmask_b32_e32 v13, v17, v28, vcc
	v_cndmask_b32_e64 v12, v16, 0, vcc
	v_add_f64 v[16:17], v[12:13], -1.0
	v_fmac_f64_e32 v[16:17], v[12:13], v[14:15]
	v_add_f64 v[12:13], v[16:17], v[16:17]
	v_cndmask_b32_e32 v12, v16, v12, vcc
	v_cndmask_b32_e32 v13, v17, v13, vcc
	v_cmp_nlt_f64_e32 vcc, s[40:41], v[2:3]
	s_nop 1
	v_cndmask_b32_e32 v13, v29, v13, vcc
	s_and_b64 vcc, s[0:1], vcc
	v_cndmask_b32_e64 v3, v30, v13, s[0:1]
	v_cndmask_b32_e32 v2, 0, v12, vcc
	v_mul_f64 v[12:13], v[4:5], s[36:37]
	v_rndne_f64_e32 v[12:13], v[12:13]
	v_fma_f64 v[14:15], s[34:35], v[12:13], v[4:5]
	v_fmac_f64_e32 v[14:15], s[12:13], v[12:13]
	v_fmac_f64_e32 v[10:11], s[14:15], v[14:15]
	v_fma_f64 v[10:11], v[14:15], v[10:11], s[16:17]
	v_fma_f64 v[10:11], v[14:15], v[10:11], s[18:19]
	;; [unrolled: 1-line block ×8, first 2 shown]
	v_fma_f64 v[10:11], v[14:15], v[10:11], 0.5
	v_mul_f64 v[10:11], v[14:15], v[10:11]
	v_fmac_f64_e32 v[14:15], v[14:15], v[10:11]
	v_cvt_i32_f64_e32 v10, v[12:13]
	v_ldexp_f64 v[10:11], 1.0, v10
	v_cmp_eq_f64_e32 vcc, s[38:39], v[12:13]
	v_cmp_ngt_f64_e64 s[0:1], s[42:43], v[4:5]
	s_nop 0
	v_cndmask_b32_e32 v11, v11, v28, vcc
	v_cndmask_b32_e64 v10, v10, 0, vcc
	v_add_f64 v[12:13], v[10:11], -1.0
	v_fmac_f64_e32 v[12:13], v[10:11], v[14:15]
	v_add_f64 v[10:11], v[12:13], v[12:13]
	v_cndmask_b32_e32 v10, v12, v10, vcc
	v_cndmask_b32_e32 v11, v13, v11, vcc
	v_cmp_nlt_f64_e32 vcc, s[40:41], v[4:5]
	s_nop 1
	v_cndmask_b32_e32 v11, v29, v11, vcc
	s_and_b64 vcc, s[0:1], vcc
	v_cndmask_b32_e64 v5, v30, v11, s[0:1]
	s_add_u32 s0, s4, s10
	s_addc_u32 s1, s5, s11
	v_cndmask_b32_e32 v4, 0, v10, vcc
	global_store_dwordx4 v1, v[6:9], s[0:1]
	global_store_dwordx4 v1, v[2:5], s[0:1] offset:16
	s_mov_b64 s[0:1], 0
.LBB108_2:
	s_andn2_b64 vcc, exec, s[0:1]
	s_cbranch_vccnz .LBB108_23
; %bb.3:
	v_cmp_gt_i32_e32 vcc, s33, v0
	v_mov_b64_e32 v[16:17], 0
	v_or_b32_e32 v10, s8, v0
	v_mov_b64_e32 v[18:19], 0
	v_mov_b32_e32 v1, v0
	s_and_saveexec_b64 s[0:1], vcc
	s_cbranch_execz .LBB108_5
; %bb.4:
	v_mov_b32_e32 v11, 0
	v_lshl_add_u64 v[2:3], v[10:11], 3, s[6:7]
	global_load_dwordx2 v[18:19], v[2:3], off
	v_or_b32_e32 v1, 0x100, v0
.LBB108_5:
	s_or_b64 exec, exec, s[0:1]
	v_cmp_gt_i32_e64 s[0:1], s33, v1
	s_and_saveexec_b64 s[2:3], s[0:1]
	s_cbranch_execz .LBB108_7
; %bb.6:
	v_add_u32_e32 v2, s8, v1
	v_mov_b32_e32 v3, 0
	v_lshl_add_u64 v[2:3], v[2:3], 3, s[6:7]
	global_load_dwordx2 v[16:17], v[2:3], off
	v_add_u32_e32 v1, 0x100, v1
.LBB108_7:
	s_or_b64 exec, exec, s[2:3]
	v_cmp_gt_i32_e64 s[0:1], s33, v1
	v_mov_b64_e32 v[12:13], 0
	v_mov_b64_e32 v[14:15], 0
	s_and_saveexec_b64 s[2:3], s[0:1]
	s_cbranch_execz .LBB108_9
; %bb.8:
	v_add_u32_e32 v2, s8, v1
	v_mov_b32_e32 v3, 0
	v_lshl_add_u64 v[2:3], v[2:3], 3, s[6:7]
	global_load_dwordx2 v[14:15], v[2:3], off
	v_add_u32_e32 v1, 0x100, v1
.LBB108_9:
	s_or_b64 exec, exec, s[2:3]
	v_cmp_gt_i32_e64 s[0:1], s33, v1
	s_and_saveexec_b64 s[2:3], s[0:1]
	s_cbranch_execz .LBB108_11
; %bb.10:
	v_add_u32_e32 v2, s8, v1
	v_mov_b32_e32 v3, 0
	v_lshl_add_u64 v[2:3], v[2:3], 3, s[6:7]
	global_load_dwordx2 v[12:13], v[2:3], off
.LBB108_11:
	s_or_b64 exec, exec, s[2:3]
	v_mov_b32_e32 v2, 0
	v_mov_b32_e32 v3, v2
	;; [unrolled: 1-line block ×8, first 2 shown]
	s_and_saveexec_b64 s[6:7], vcc
	s_cbranch_execz .LBB108_13
; %bb.12:
	s_mov_b32 s0, 0x652b82fe
	s_mov_b32 s1, 0x3ff71547
	s_waitcnt vmcnt(0)
	v_mul_f64 v[4:5], v[18:19], s[0:1]
	v_rndne_f64_e32 v[4:5], v[4:5]
	s_mov_b32 s3, 0xbfe62e42
	s_mov_b32 s2, 0xfefa39ef
	;; [unrolled: 1-line block ×3, first 2 shown]
	v_fma_f64 v[6:7], s[2:3], v[4:5], v[18:19]
	s_mov_b32 s1, 0xbc7abc9e
	v_fmac_f64_e32 v[6:7], s[0:1], v[4:5]
	s_mov_b32 s0, 0xa9d67f34
	v_mov_b32_e32 v8, 0x2a1b768b
	v_mov_b32_e32 v9, 0x3e5af4eb
	s_mov_b32 s1, 0x3e21f32e
	v_fmac_f64_e32 v[8:9], s[0:1], v[6:7]
	v_mov_b32_e32 v20, 0xe0ac05b
	v_mov_b32_e32 v21, 0x3e927e50
	v_fmac_f64_e32 v[20:21], v[6:7], v[8:9]
	v_mov_b32_e32 v8, 0x1b889c29
	v_mov_b32_e32 v9, 0x3ec71de0
	;; [unrolled: 3-line block ×8, first 2 shown]
	v_fmac_f64_e32 v[8:9], v[6:7], v[20:21]
	v_fma_f64 v[8:9], v[6:7], v[8:9], 0.5
	s_mov_b32 s0, 0
	v_mul_f64 v[8:9], v[6:7], v[8:9]
	s_mov_b32 s1, 0x40900000
	v_cvt_i32_f64_e32 v1, v[4:5]
	v_fmac_f64_e32 v[6:7], v[6:7], v[8:9]
	v_ldexp_f64 v[8:9], 1.0, v1
	v_mov_b32_e32 v1, 0x7fe00000
	v_cmp_eq_f64_e64 s[0:1], s[0:1], v[4:5]
	s_mov_b32 s3, 0x40862e42
	v_mov_b32_e32 v20, v2
	v_cndmask_b32_e64 v5, v9, v1, s[0:1]
	v_cndmask_b32_e64 v4, v8, 0, s[0:1]
	v_add_f64 v[8:9], v[4:5], -1.0
	v_fmac_f64_e32 v[8:9], v[4:5], v[6:7]
	v_add_f64 v[4:5], v[8:9], v[8:9]
	v_cndmask_b32_e64 v1, v8, v4, s[0:1]
	v_cndmask_b32_e64 v3, v9, v5, s[0:1]
	v_cmp_nlt_f64_e64 s[0:1], s[2:3], v[18:19]
	s_mov_b32 s2, 0
	s_mov_b32 s3, 0xc0428000
	v_mov_b32_e32 v4, 0x7ff00000
	v_cmp_ngt_f64_e64 s[2:3], s[2:3], v[18:19]
	v_cndmask_b32_e64 v3, v4, v3, s[0:1]
	v_mov_b32_e32 v4, 0xbff00000
	s_and_b64 s[0:1], s[2:3], s[0:1]
	v_cndmask_b32_e64 v19, v4, v3, s[2:3]
	v_cndmask_b32_e64 v18, 0, v1, s[0:1]
	v_mov_b32_e32 v21, v2
	v_mov_b32_e32 v22, v2
	;; [unrolled: 1-line block ×5, first 2 shown]
	v_mov_b64_e32 v[2:3], v[18:19]
	v_mov_b64_e32 v[4:5], v[20:21]
	;; [unrolled: 1-line block ×4, first 2 shown]
.LBB108_13:
	s_or_b64 exec, exec, s[6:7]
	v_or_b32_e32 v1, 0x100, v0
	v_cmp_gt_i32_e64 s[0:1], s33, v1
	s_and_saveexec_b64 s[6:7], s[0:1]
	s_cbranch_execz .LBB108_15
; %bb.14:
	s_mov_b32 s0, 0x652b82fe
	s_mov_b32 s1, 0x3ff71547
	s_waitcnt vmcnt(0)
	v_mul_f64 v[4:5], v[16:17], s[0:1]
	v_rndne_f64_e32 v[4:5], v[4:5]
	s_mov_b32 s3, 0xbfe62e42
	s_mov_b32 s2, 0xfefa39ef
	;; [unrolled: 1-line block ×3, first 2 shown]
	v_fma_f64 v[18:19], s[2:3], v[4:5], v[16:17]
	s_mov_b32 s1, 0xbc7abc9e
	v_fmac_f64_e32 v[18:19], s[0:1], v[4:5]
	s_mov_b32 s0, 0xa9d67f34
	v_mov_b32_e32 v20, 0x2a1b768b
	v_mov_b32_e32 v21, 0x3e5af4eb
	s_mov_b32 s1, 0x3e21f32e
	v_fmac_f64_e32 v[20:21], s[0:1], v[18:19]
	v_mov_b32_e32 v22, 0xe0ac05b
	v_mov_b32_e32 v23, 0x3e927e50
	v_fmac_f64_e32 v[22:23], v[18:19], v[20:21]
	v_mov_b32_e32 v20, 0x1b889c29
	v_mov_b32_e32 v21, 0x3ec71de0
	;; [unrolled: 3-line block ×8, first 2 shown]
	v_fmac_f64_e32 v[20:21], v[18:19], v[22:23]
	v_fma_f64 v[20:21], v[18:19], v[20:21], 0.5
	s_mov_b32 s0, 0
	v_mul_f64 v[20:21], v[18:19], v[20:21]
	s_mov_b32 s1, 0x40900000
	v_cvt_i32_f64_e32 v11, v[4:5]
	v_fmac_f64_e32 v[18:19], v[18:19], v[20:21]
	v_ldexp_f64 v[20:21], 1.0, v11
	v_mov_b32_e32 v11, 0x7fe00000
	v_cmp_eq_f64_e64 s[0:1], s[0:1], v[4:5]
	s_mov_b32 s3, 0x40862e42
	s_nop 0
	v_cndmask_b32_e64 v5, v21, v11, s[0:1]
	v_cndmask_b32_e64 v4, v20, 0, s[0:1]
	v_add_f64 v[20:21], v[4:5], -1.0
	v_fmac_f64_e32 v[20:21], v[4:5], v[18:19]
	v_add_f64 v[4:5], v[20:21], v[20:21]
	v_cndmask_b32_e64 v4, v20, v4, s[0:1]
	v_cndmask_b32_e64 v5, v21, v5, s[0:1]
	v_cmp_nlt_f64_e64 s[0:1], s[2:3], v[16:17]
	s_mov_b32 s2, 0
	s_mov_b32 s3, 0xc0428000
	v_mov_b32_e32 v11, 0x7ff00000
	v_cmp_ngt_f64_e64 s[2:3], s[2:3], v[16:17]
	v_cndmask_b32_e64 v5, v11, v5, s[0:1]
	v_mov_b32_e32 v11, 0xbff00000
	s_and_b64 s[0:1], s[2:3], s[0:1]
	v_cndmask_b32_e64 v5, v11, v5, s[2:3]
	v_cndmask_b32_e64 v4, 0, v4, s[0:1]
.LBB108_15:
	s_or_b64 exec, exec, s[6:7]
	v_or_b32_e32 v11, 0x200, v0
	v_cmp_gt_i32_e64 s[0:1], s33, v11
	s_and_saveexec_b64 s[6:7], s[0:1]
	s_cbranch_execz .LBB108_17
; %bb.16:
	s_mov_b32 s0, 0x652b82fe
	s_mov_b32 s1, 0x3ff71547
	s_waitcnt vmcnt(0)
	v_mul_f64 v[6:7], v[14:15], s[0:1]
	v_rndne_f64_e32 v[6:7], v[6:7]
	s_mov_b32 s3, 0xbfe62e42
	s_mov_b32 s2, 0xfefa39ef
	;; [unrolled: 1-line block ×3, first 2 shown]
	v_fma_f64 v[16:17], s[2:3], v[6:7], v[14:15]
	s_mov_b32 s1, 0xbc7abc9e
	v_fmac_f64_e32 v[16:17], s[0:1], v[6:7]
	s_mov_b32 s0, 0xa9d67f34
	v_mov_b32_e32 v18, 0x2a1b768b
	v_mov_b32_e32 v19, 0x3e5af4eb
	s_mov_b32 s1, 0x3e21f32e
	v_fmac_f64_e32 v[18:19], s[0:1], v[16:17]
	v_mov_b32_e32 v20, 0xe0ac05b
	v_mov_b32_e32 v21, 0x3e927e50
	v_fmac_f64_e32 v[20:21], v[16:17], v[18:19]
	v_mov_b32_e32 v18, 0x1b889c29
	v_mov_b32_e32 v19, 0x3ec71de0
	;; [unrolled: 3-line block ×8, first 2 shown]
	v_fmac_f64_e32 v[18:19], v[16:17], v[20:21]
	v_fma_f64 v[18:19], v[16:17], v[18:19], 0.5
	s_mov_b32 s0, 0
	v_mul_f64 v[18:19], v[16:17], v[18:19]
	s_mov_b32 s1, 0x40900000
	v_cvt_i32_f64_e32 v11, v[6:7]
	v_fmac_f64_e32 v[16:17], v[16:17], v[18:19]
	v_ldexp_f64 v[18:19], 1.0, v11
	v_mov_b32_e32 v11, 0x7fe00000
	v_cmp_eq_f64_e64 s[0:1], s[0:1], v[6:7]
	s_mov_b32 s3, 0x40862e42
	s_nop 0
	v_cndmask_b32_e64 v7, v19, v11, s[0:1]
	v_cndmask_b32_e64 v6, v18, 0, s[0:1]
	v_add_f64 v[18:19], v[6:7], -1.0
	v_fmac_f64_e32 v[18:19], v[6:7], v[16:17]
	v_add_f64 v[6:7], v[18:19], v[18:19]
	v_cndmask_b32_e64 v6, v18, v6, s[0:1]
	v_cndmask_b32_e64 v7, v19, v7, s[0:1]
	v_cmp_nlt_f64_e64 s[0:1], s[2:3], v[14:15]
	s_mov_b32 s2, 0
	s_mov_b32 s3, 0xc0428000
	v_mov_b32_e32 v11, 0x7ff00000
	v_cmp_ngt_f64_e64 s[2:3], s[2:3], v[14:15]
	v_cndmask_b32_e64 v7, v11, v7, s[0:1]
	v_mov_b32_e32 v11, 0xbff00000
	s_and_b64 s[0:1], s[2:3], s[0:1]
	v_cndmask_b32_e64 v7, v11, v7, s[2:3]
	v_cndmask_b32_e64 v6, 0, v6, s[0:1]
.LBB108_17:
	s_or_b64 exec, exec, s[6:7]
	v_or_b32_e32 v11, 0x300, v0
	v_cmp_gt_i32_e64 s[0:1], s33, v11
	s_and_saveexec_b64 s[6:7], s[0:1]
	s_cbranch_execnz .LBB108_24
; %bb.18:
	s_or_b64 exec, exec, s[6:7]
	s_and_saveexec_b64 s[0:1], vcc
	s_xor_b64 s[0:1], exec, s[0:1]
	s_cbranch_execnz .LBB108_25
.LBB108_19:
	s_or_b64 exec, exec, s[0:1]
	v_cmp_gt_i32_e32 vcc, s33, v0
	s_and_saveexec_b64 s[0:1], vcc
	s_cbranch_execnz .LBB108_26
.LBB108_20:
	s_or_b64 exec, exec, s[0:1]
	v_cmp_gt_i32_e32 vcc, s33, v0
	s_and_saveexec_b64 s[0:1], vcc
	s_cbranch_execnz .LBB108_27
.LBB108_21:
	s_or_b64 exec, exec, s[0:1]
	v_cmp_gt_i32_e32 vcc, s33, v0
	s_and_saveexec_b64 s[0:1], vcc
	s_cbranch_execz .LBB108_23
.LBB108_22:
	v_add_u32_e32 v0, s8, v0
	v_mov_b32_e32 v1, 0
	v_lshl_add_u64 v[0:1], v[0:1], 3, s[4:5]
	global_store_dwordx2 v[0:1], v[8:9], off
.LBB108_23:
	s_endpgm
.LBB108_24:
	s_mov_b32 s0, 0x652b82fe
	s_mov_b32 s1, 0x3ff71547
	s_waitcnt vmcnt(0)
	v_mul_f64 v[8:9], v[12:13], s[0:1]
	v_rndne_f64_e32 v[8:9], v[8:9]
	s_mov_b32 s3, 0xbfe62e42
	s_mov_b32 s2, 0xfefa39ef
	;; [unrolled: 1-line block ×3, first 2 shown]
	v_fma_f64 v[14:15], s[2:3], v[8:9], v[12:13]
	s_mov_b32 s1, 0xbc7abc9e
	v_fmac_f64_e32 v[14:15], s[0:1], v[8:9]
	s_mov_b32 s0, 0xa9d67f34
	v_mov_b32_e32 v16, 0x2a1b768b
	v_mov_b32_e32 v17, 0x3e5af4eb
	s_mov_b32 s1, 0x3e21f32e
	v_fmac_f64_e32 v[16:17], s[0:1], v[14:15]
	v_mov_b32_e32 v18, 0xe0ac05b
	v_mov_b32_e32 v19, 0x3e927e50
	v_fmac_f64_e32 v[18:19], v[14:15], v[16:17]
	v_mov_b32_e32 v16, 0x1b889c29
	v_mov_b32_e32 v17, 0x3ec71de0
	;; [unrolled: 3-line block ×8, first 2 shown]
	v_fmac_f64_e32 v[16:17], v[14:15], v[18:19]
	v_fma_f64 v[16:17], v[14:15], v[16:17], 0.5
	s_mov_b32 s0, 0
	v_mul_f64 v[16:17], v[14:15], v[16:17]
	s_mov_b32 s1, 0x40900000
	v_cvt_i32_f64_e32 v11, v[8:9]
	v_fmac_f64_e32 v[14:15], v[14:15], v[16:17]
	v_ldexp_f64 v[16:17], 1.0, v11
	v_mov_b32_e32 v11, 0x7fe00000
	v_cmp_eq_f64_e64 s[0:1], s[0:1], v[8:9]
	s_mov_b32 s3, 0x40862e42
	s_nop 0
	v_cndmask_b32_e64 v9, v17, v11, s[0:1]
	v_cndmask_b32_e64 v8, v16, 0, s[0:1]
	v_add_f64 v[16:17], v[8:9], -1.0
	v_fmac_f64_e32 v[16:17], v[8:9], v[14:15]
	v_add_f64 v[8:9], v[16:17], v[16:17]
	v_cndmask_b32_e64 v8, v16, v8, s[0:1]
	v_cndmask_b32_e64 v9, v17, v9, s[0:1]
	v_cmp_nlt_f64_e64 s[0:1], s[2:3], v[12:13]
	s_mov_b32 s2, 0
	s_mov_b32 s3, 0xc0428000
	v_mov_b32_e32 v11, 0x7ff00000
	v_cmp_ngt_f64_e64 s[2:3], s[2:3], v[12:13]
	v_cndmask_b32_e64 v9, v11, v9, s[0:1]
	v_mov_b32_e32 v11, 0xbff00000
	s_and_b64 s[0:1], s[2:3], s[0:1]
	v_cndmask_b32_e64 v9, v11, v9, s[2:3]
	v_cndmask_b32_e64 v8, 0, v8, s[0:1]
	s_or_b64 exec, exec, s[6:7]
	s_and_saveexec_b64 s[0:1], vcc
	s_xor_b64 s[0:1], exec, s[0:1]
	s_cbranch_execz .LBB108_19
.LBB108_25:
	v_mov_b32_e32 v11, 0
	v_lshl_add_u64 v[10:11], v[10:11], 3, s[4:5]
	v_mov_b32_e32 v0, v1
	global_store_dwordx2 v[10:11], v[2:3], off
	s_or_b64 exec, exec, s[0:1]
	v_cmp_gt_i32_e32 vcc, s33, v0
	s_and_saveexec_b64 s[0:1], vcc
	s_cbranch_execz .LBB108_20
.LBB108_26:
	v_add_u32_e32 v2, s8, v0
	v_mov_b32_e32 v3, 0
	v_lshl_add_u64 v[2:3], v[2:3], 3, s[4:5]
	v_add_u32_e32 v0, 0x100, v0
	global_store_dwordx2 v[2:3], v[4:5], off
	s_or_b64 exec, exec, s[0:1]
	v_cmp_gt_i32_e32 vcc, s33, v0
	s_and_saveexec_b64 s[0:1], vcc
	s_cbranch_execz .LBB108_21
.LBB108_27:
	v_add_u32_e32 v2, s8, v0
	v_mov_b32_e32 v3, 0
	v_lshl_add_u64 v[2:3], v[2:3], 3, s[4:5]
	v_add_u32_e32 v0, 0x100, v0
	global_store_dwordx2 v[2:3], v[6:7], off
	s_or_b64 exec, exec, s[0:1]
	v_cmp_gt_i32_e32 vcc, s33, v0
	s_and_saveexec_b64 s[0:1], vcc
	s_cbranch_execnz .LBB108_22
	s_branch .LBB108_23
	.section	.rodata,"a",@progbits
	.p2align	6, 0x0
	.amdhsa_kernel _ZN2at6native29vectorized_elementwise_kernelILi4EZZZNS0_17expm1_kernel_cudaERNS_18TensorIteratorBaseEENKUlvE_clEvENKUlvE_clEvEUldE_St5arrayIPcLm2EEEEviT0_T1_
		.amdhsa_group_segment_fixed_size 0
		.amdhsa_private_segment_fixed_size 0
		.amdhsa_kernarg_size 24
		.amdhsa_user_sgpr_count 2
		.amdhsa_user_sgpr_dispatch_ptr 0
		.amdhsa_user_sgpr_queue_ptr 0
		.amdhsa_user_sgpr_kernarg_segment_ptr 1
		.amdhsa_user_sgpr_dispatch_id 0
		.amdhsa_user_sgpr_kernarg_preload_length 0
		.amdhsa_user_sgpr_kernarg_preload_offset 0
		.amdhsa_user_sgpr_private_segment_size 0
		.amdhsa_uses_dynamic_stack 0
		.amdhsa_enable_private_segment 0
		.amdhsa_system_sgpr_workgroup_id_x 1
		.amdhsa_system_sgpr_workgroup_id_y 0
		.amdhsa_system_sgpr_workgroup_id_z 0
		.amdhsa_system_sgpr_workgroup_info 0
		.amdhsa_system_vgpr_workitem_id 0
		.amdhsa_next_free_vgpr 31
		.amdhsa_next_free_sgpr 44
		.amdhsa_accum_offset 32
		.amdhsa_reserve_vcc 1
		.amdhsa_float_round_mode_32 0
		.amdhsa_float_round_mode_16_64 0
		.amdhsa_float_denorm_mode_32 3
		.amdhsa_float_denorm_mode_16_64 3
		.amdhsa_dx10_clamp 1
		.amdhsa_ieee_mode 1
		.amdhsa_fp16_overflow 0
		.amdhsa_tg_split 0
		.amdhsa_exception_fp_ieee_invalid_op 0
		.amdhsa_exception_fp_denorm_src 0
		.amdhsa_exception_fp_ieee_div_zero 0
		.amdhsa_exception_fp_ieee_overflow 0
		.amdhsa_exception_fp_ieee_underflow 0
		.amdhsa_exception_fp_ieee_inexact 0
		.amdhsa_exception_int_div_zero 0
	.end_amdhsa_kernel
	.section	.text._ZN2at6native29vectorized_elementwise_kernelILi4EZZZNS0_17expm1_kernel_cudaERNS_18TensorIteratorBaseEENKUlvE_clEvENKUlvE_clEvEUldE_St5arrayIPcLm2EEEEviT0_T1_,"axG",@progbits,_ZN2at6native29vectorized_elementwise_kernelILi4EZZZNS0_17expm1_kernel_cudaERNS_18TensorIteratorBaseEENKUlvE_clEvENKUlvE_clEvEUldE_St5arrayIPcLm2EEEEviT0_T1_,comdat
.Lfunc_end108:
	.size	_ZN2at6native29vectorized_elementwise_kernelILi4EZZZNS0_17expm1_kernel_cudaERNS_18TensorIteratorBaseEENKUlvE_clEvENKUlvE_clEvEUldE_St5arrayIPcLm2EEEEviT0_T1_, .Lfunc_end108-_ZN2at6native29vectorized_elementwise_kernelILi4EZZZNS0_17expm1_kernel_cudaERNS_18TensorIteratorBaseEENKUlvE_clEvENKUlvE_clEvEUldE_St5arrayIPcLm2EEEEviT0_T1_
                                        ; -- End function
	.set _ZN2at6native29vectorized_elementwise_kernelILi4EZZZNS0_17expm1_kernel_cudaERNS_18TensorIteratorBaseEENKUlvE_clEvENKUlvE_clEvEUldE_St5arrayIPcLm2EEEEviT0_T1_.num_vgpr, 31
	.set _ZN2at6native29vectorized_elementwise_kernelILi4EZZZNS0_17expm1_kernel_cudaERNS_18TensorIteratorBaseEENKUlvE_clEvENKUlvE_clEvEUldE_St5arrayIPcLm2EEEEviT0_T1_.num_agpr, 0
	.set _ZN2at6native29vectorized_elementwise_kernelILi4EZZZNS0_17expm1_kernel_cudaERNS_18TensorIteratorBaseEENKUlvE_clEvENKUlvE_clEvEUldE_St5arrayIPcLm2EEEEviT0_T1_.numbered_sgpr, 44
	.set _ZN2at6native29vectorized_elementwise_kernelILi4EZZZNS0_17expm1_kernel_cudaERNS_18TensorIteratorBaseEENKUlvE_clEvENKUlvE_clEvEUldE_St5arrayIPcLm2EEEEviT0_T1_.num_named_barrier, 0
	.set _ZN2at6native29vectorized_elementwise_kernelILi4EZZZNS0_17expm1_kernel_cudaERNS_18TensorIteratorBaseEENKUlvE_clEvENKUlvE_clEvEUldE_St5arrayIPcLm2EEEEviT0_T1_.private_seg_size, 0
	.set _ZN2at6native29vectorized_elementwise_kernelILi4EZZZNS0_17expm1_kernel_cudaERNS_18TensorIteratorBaseEENKUlvE_clEvENKUlvE_clEvEUldE_St5arrayIPcLm2EEEEviT0_T1_.uses_vcc, 1
	.set _ZN2at6native29vectorized_elementwise_kernelILi4EZZZNS0_17expm1_kernel_cudaERNS_18TensorIteratorBaseEENKUlvE_clEvENKUlvE_clEvEUldE_St5arrayIPcLm2EEEEviT0_T1_.uses_flat_scratch, 0
	.set _ZN2at6native29vectorized_elementwise_kernelILi4EZZZNS0_17expm1_kernel_cudaERNS_18TensorIteratorBaseEENKUlvE_clEvENKUlvE_clEvEUldE_St5arrayIPcLm2EEEEviT0_T1_.has_dyn_sized_stack, 0
	.set _ZN2at6native29vectorized_elementwise_kernelILi4EZZZNS0_17expm1_kernel_cudaERNS_18TensorIteratorBaseEENKUlvE_clEvENKUlvE_clEvEUldE_St5arrayIPcLm2EEEEviT0_T1_.has_recursion, 0
	.set _ZN2at6native29vectorized_elementwise_kernelILi4EZZZNS0_17expm1_kernel_cudaERNS_18TensorIteratorBaseEENKUlvE_clEvENKUlvE_clEvEUldE_St5arrayIPcLm2EEEEviT0_T1_.has_indirect_call, 0
	.section	.AMDGPU.csdata,"",@progbits
; Kernel info:
; codeLenInByte = 3732
; TotalNumSgprs: 50
; NumVgprs: 31
; NumAgprs: 0
; TotalNumVgprs: 31
; ScratchSize: 0
; MemoryBound: 0
; FloatMode: 240
; IeeeMode: 1
; LDSByteSize: 0 bytes/workgroup (compile time only)
; SGPRBlocks: 6
; VGPRBlocks: 3
; NumSGPRsForWavesPerEU: 50
; NumVGPRsForWavesPerEU: 31
; AccumOffset: 32
; Occupancy: 8
; WaveLimiterHint : 0
; COMPUTE_PGM_RSRC2:SCRATCH_EN: 0
; COMPUTE_PGM_RSRC2:USER_SGPR: 2
; COMPUTE_PGM_RSRC2:TRAP_HANDLER: 0
; COMPUTE_PGM_RSRC2:TGID_X_EN: 1
; COMPUTE_PGM_RSRC2:TGID_Y_EN: 0
; COMPUTE_PGM_RSRC2:TGID_Z_EN: 0
; COMPUTE_PGM_RSRC2:TIDIG_COMP_CNT: 0
; COMPUTE_PGM_RSRC3_GFX90A:ACCUM_OFFSET: 7
; COMPUTE_PGM_RSRC3_GFX90A:TG_SPLIT: 0
	.section	.text._ZN2at6native29vectorized_elementwise_kernelILi2EZZZNS0_17expm1_kernel_cudaERNS_18TensorIteratorBaseEENKUlvE_clEvENKUlvE_clEvEUldE_St5arrayIPcLm2EEEEviT0_T1_,"axG",@progbits,_ZN2at6native29vectorized_elementwise_kernelILi2EZZZNS0_17expm1_kernel_cudaERNS_18TensorIteratorBaseEENKUlvE_clEvENKUlvE_clEvEUldE_St5arrayIPcLm2EEEEviT0_T1_,comdat
	.globl	_ZN2at6native29vectorized_elementwise_kernelILi2EZZZNS0_17expm1_kernel_cudaERNS_18TensorIteratorBaseEENKUlvE_clEvENKUlvE_clEvEUldE_St5arrayIPcLm2EEEEviT0_T1_ ; -- Begin function _ZN2at6native29vectorized_elementwise_kernelILi2EZZZNS0_17expm1_kernel_cudaERNS_18TensorIteratorBaseEENKUlvE_clEvENKUlvE_clEvEUldE_St5arrayIPcLm2EEEEviT0_T1_
	.p2align	8
	.type	_ZN2at6native29vectorized_elementwise_kernelILi2EZZZNS0_17expm1_kernel_cudaERNS_18TensorIteratorBaseEENKUlvE_clEvENKUlvE_clEvEUldE_St5arrayIPcLm2EEEEviT0_T1_,@function
_ZN2at6native29vectorized_elementwise_kernelILi2EZZZNS0_17expm1_kernel_cudaERNS_18TensorIteratorBaseEENKUlvE_clEvENKUlvE_clEvEUldE_St5arrayIPcLm2EEEEviT0_T1_: ; @_ZN2at6native29vectorized_elementwise_kernelILi2EZZZNS0_17expm1_kernel_cudaERNS_18TensorIteratorBaseEENKUlvE_clEvENKUlvE_clEvEUldE_St5arrayIPcLm2EEEEviT0_T1_
; %bb.0:
	s_load_dword s3, s[0:1], 0x0
	s_load_dwordx4 s[4:7], s[0:1], 0x8
	s_lshl_b32 s8, s2, 10
	s_mov_b64 s[0:1], -1
	s_waitcnt lgkmcnt(0)
	s_sub_i32 s33, s3, s8
	s_cmpk_gt_i32 s33, 0x3ff
	s_cbranch_scc0 .LBB109_2
; %bb.1:
	s_ashr_i32 s9, s8, 31
	s_lshl_b64 s[10:11], s[8:9], 3
	s_add_u32 s2, s6, s10
	s_addc_u32 s3, s7, s11
	v_lshlrev_b32_e32 v2, 4, v0
	global_load_dwordx4 v[4:7], v2, s[2:3]
	v_mov_b32_e32 v3, 0
	v_lshl_add_u64 v[8:9], s[2:3], 0, v[2:3]
	v_add_co_u32_e32 v8, vcc, 0x1000, v8
	s_mov_b32 s30, 0x652b82fe
	s_nop 0
	v_addc_co_u32_e32 v9, vcc, 0, v9, vcc
	global_load_dwordx4 v[8:11], v[8:9], off
	s_mov_b32 s31, 0x3ff71547
	s_mov_b32 s28, 0xfefa39ef
	;; [unrolled: 1-line block ×12, first 2 shown]
	v_mov_b64_e32 v[12:13], s[0:1]
	s_mov_b32 s17, 0x3e927e50
	s_mov_b32 s18, 0x1b889c29
	v_mov_b32_e32 v1, 0x7fe00000
	s_mov_b32 s19, 0x3ec71de0
	s_mov_b32 s20, 0x197bcfd8
	;; [unrolled: 1-line block ×17, first 2 shown]
	v_mov_b32_e32 v30, 0x7ff00000
	v_mov_b32_e32 v31, 0xbff00000
	s_waitcnt vmcnt(1)
	v_mul_f64 v[14:15], v[4:5], s[30:31]
	v_mul_f64 v[16:17], v[6:7], s[30:31]
	v_rndne_f64_e32 v[14:15], v[14:15]
	v_rndne_f64_e32 v[16:17], v[16:17]
	v_fma_f64 v[18:19], s[28:29], v[14:15], v[4:5]
	v_cvt_i32_f64_e32 v24, v[16:17]
	v_fmac_f64_e32 v[18:19], s[12:13], v[14:15]
	v_fma_f64 v[20:21], s[28:29], v[16:17], v[6:7]
	v_ldexp_f64 v[24:25], 1.0, v24
	v_fma_f64 v[26:27], s[14:15], v[18:19], v[12:13]
	v_cmp_eq_f64_e64 s[0:1], s[38:39], v[16:17]
	v_cvt_i32_f64_e32 v22, v[14:15]
	v_fmac_f64_e32 v[20:21], s[12:13], v[16:17]
	v_cndmask_b32_e64 v17, v25, v1, s[0:1]
	v_cndmask_b32_e64 v16, v24, 0, s[0:1]
	v_fma_f64 v[24:25], v[18:19], v[26:27], s[16:17]
	v_ldexp_f64 v[22:23], 1.0, v22
	v_cmp_eq_f64_e32 vcc, s[38:39], v[14:15]
	v_fma_f64 v[24:25], v[18:19], v[24:25], s[18:19]
	v_fma_f64 v[24:25], v[18:19], v[24:25], s[20:21]
	v_cndmask_b32_e32 v15, v23, v1, vcc
	v_cndmask_b32_e64 v14, v22, 0, vcc
	v_fma_f64 v[22:23], s[14:15], v[20:21], v[12:13]
	v_fma_f64 v[22:23], v[20:21], v[22:23], s[16:17]
	;; [unrolled: 1-line block ×12, first 2 shown]
	v_fma_f64 v[24:25], v[18:19], v[24:25], 0.5
	v_fma_f64 v[22:23], v[20:21], v[22:23], s[34:35]
	v_mul_f64 v[24:25], v[18:19], v[24:25]
	v_add_f64 v[26:27], v[14:15], -1.0
	v_fma_f64 v[22:23], v[20:21], v[22:23], s[36:37]
	v_fmac_f64_e32 v[18:19], v[18:19], v[24:25]
	v_fma_f64 v[22:23], v[20:21], v[22:23], 0.5
	v_fmac_f64_e32 v[26:27], v[14:15], v[18:19]
	v_mul_f64 v[22:23], v[20:21], v[22:23]
	v_add_f64 v[14:15], v[26:27], v[26:27]
	v_add_f64 v[28:29], v[16:17], -1.0
	v_fmac_f64_e32 v[20:21], v[20:21], v[22:23]
	v_cndmask_b32_e32 v14, v26, v14, vcc
	v_cndmask_b32_e32 v15, v27, v15, vcc
	v_cmp_nlt_f64_e32 vcc, s[40:41], v[4:5]
	v_cmp_ngt_f64_e64 s[2:3], s[42:43], v[4:5]
	v_fmac_f64_e32 v[28:29], v[16:17], v[20:21]
	v_cndmask_b32_e32 v15, v30, v15, vcc
	s_and_b64 vcc, s[2:3], vcc
	v_cndmask_b32_e64 v5, v31, v15, s[2:3]
	v_cndmask_b32_e32 v4, 0, v14, vcc
	v_add_f64 v[14:15], v[28:29], v[28:29]
	v_cndmask_b32_e64 v14, v28, v14, s[0:1]
	v_cndmask_b32_e64 v15, v29, v15, s[0:1]
	v_cmp_nlt_f64_e32 vcc, s[40:41], v[6:7]
	v_cmp_ngt_f64_e64 s[0:1], s[42:43], v[6:7]
	s_nop 0
	v_cndmask_b32_e32 v15, v30, v15, vcc
	s_and_b64 vcc, s[0:1], vcc
	v_cndmask_b32_e64 v7, v31, v15, s[0:1]
	v_cndmask_b32_e32 v6, 0, v14, vcc
	s_waitcnt vmcnt(0)
	v_mul_f64 v[14:15], v[8:9], s[30:31]
	v_rndne_f64_e32 v[14:15], v[14:15]
	v_fma_f64 v[16:17], s[28:29], v[14:15], v[8:9]
	v_fmac_f64_e32 v[16:17], s[12:13], v[14:15]
	v_fma_f64 v[18:19], s[14:15], v[16:17], v[12:13]
	v_fma_f64 v[18:19], v[16:17], v[18:19], s[16:17]
	;; [unrolled: 1-line block ×9, first 2 shown]
	v_fma_f64 v[18:19], v[16:17], v[18:19], 0.5
	v_mul_f64 v[18:19], v[16:17], v[18:19]
	v_fmac_f64_e32 v[16:17], v[16:17], v[18:19]
	v_cvt_i32_f64_e32 v18, v[14:15]
	v_ldexp_f64 v[18:19], 1.0, v18
	v_cmp_eq_f64_e32 vcc, s[38:39], v[14:15]
	v_cmp_ngt_f64_e64 s[0:1], s[42:43], v[8:9]
	s_nop 0
	v_cndmask_b32_e32 v15, v19, v1, vcc
	v_cndmask_b32_e64 v14, v18, 0, vcc
	v_add_f64 v[18:19], v[14:15], -1.0
	v_fmac_f64_e32 v[18:19], v[14:15], v[16:17]
	v_add_f64 v[14:15], v[18:19], v[18:19]
	v_cndmask_b32_e32 v14, v18, v14, vcc
	v_cndmask_b32_e32 v15, v19, v15, vcc
	v_cmp_nlt_f64_e32 vcc, s[40:41], v[8:9]
	s_nop 1
	v_cndmask_b32_e32 v15, v30, v15, vcc
	s_and_b64 vcc, s[0:1], vcc
	v_cndmask_b32_e64 v9, v31, v15, s[0:1]
	v_cndmask_b32_e32 v8, 0, v14, vcc
	v_mul_f64 v[14:15], v[10:11], s[30:31]
	v_rndne_f64_e32 v[14:15], v[14:15]
	v_fma_f64 v[16:17], s[28:29], v[14:15], v[10:11]
	v_fmac_f64_e32 v[16:17], s[12:13], v[14:15]
	v_fmac_f64_e32 v[12:13], s[14:15], v[16:17]
	v_fma_f64 v[12:13], v[16:17], v[12:13], s[16:17]
	v_fma_f64 v[12:13], v[16:17], v[12:13], s[18:19]
	v_fma_f64 v[12:13], v[16:17], v[12:13], s[20:21]
	v_fma_f64 v[12:13], v[16:17], v[12:13], s[22:23]
	v_fma_f64 v[12:13], v[16:17], v[12:13], s[24:25]
	v_fma_f64 v[12:13], v[16:17], v[12:13], s[26:27]
	v_fma_f64 v[12:13], v[16:17], v[12:13], s[34:35]
	v_fma_f64 v[12:13], v[16:17], v[12:13], s[36:37]
	v_fma_f64 v[12:13], v[16:17], v[12:13], 0.5
	v_mul_f64 v[12:13], v[16:17], v[12:13]
	v_fmac_f64_e32 v[16:17], v[16:17], v[12:13]
	v_cvt_i32_f64_e32 v12, v[14:15]
	v_ldexp_f64 v[12:13], 1.0, v12
	v_cmp_eq_f64_e32 vcc, s[38:39], v[14:15]
	v_cmp_ngt_f64_e64 s[0:1], s[42:43], v[10:11]
	s_nop 0
	v_cndmask_b32_e32 v13, v13, v1, vcc
	v_cndmask_b32_e64 v12, v12, 0, vcc
	v_add_f64 v[14:15], v[12:13], -1.0
	v_fmac_f64_e32 v[14:15], v[12:13], v[16:17]
	v_add_f64 v[12:13], v[14:15], v[14:15]
	v_cndmask_b32_e32 v1, v14, v12, vcc
	v_cndmask_b32_e32 v12, v15, v13, vcc
	v_cmp_nlt_f64_e32 vcc, s[40:41], v[10:11]
	s_nop 1
	v_cndmask_b32_e32 v12, v30, v12, vcc
	s_and_b64 vcc, s[0:1], vcc
	v_cndmask_b32_e64 v11, v31, v12, s[0:1]
	s_add_u32 s0, s4, s10
	s_addc_u32 s1, s5, s11
	v_lshl_add_u64 v[12:13], s[0:1], 0, v[2:3]
	v_cndmask_b32_e32 v10, 0, v1, vcc
	global_store_dwordx4 v2, v[4:7], s[0:1]
	v_add_co_u32_e32 v2, vcc, 0x1000, v12
	s_mov_b64 s[0:1], 0
	s_nop 0
	v_addc_co_u32_e32 v3, vcc, 0, v13, vcc
	global_store_dwordx4 v[2:3], v[8:11], off
.LBB109_2:
	s_andn2_b64 vcc, exec, s[0:1]
	s_cbranch_vccnz .LBB109_23
; %bb.3:
	v_cmp_gt_i32_e32 vcc, s33, v0
	v_mov_b64_e32 v[16:17], 0
	v_or_b32_e32 v10, s8, v0
	v_mov_b64_e32 v[18:19], 0
	v_mov_b32_e32 v1, v0
	s_and_saveexec_b64 s[0:1], vcc
	s_cbranch_execz .LBB109_5
; %bb.4:
	v_mov_b32_e32 v11, 0
	v_lshl_add_u64 v[2:3], v[10:11], 3, s[6:7]
	global_load_dwordx2 v[18:19], v[2:3], off
	v_or_b32_e32 v1, 0x100, v0
.LBB109_5:
	s_or_b64 exec, exec, s[0:1]
	v_cmp_gt_i32_e64 s[0:1], s33, v1
	s_and_saveexec_b64 s[2:3], s[0:1]
	s_cbranch_execz .LBB109_7
; %bb.6:
	v_add_u32_e32 v2, s8, v1
	v_mov_b32_e32 v3, 0
	v_lshl_add_u64 v[2:3], v[2:3], 3, s[6:7]
	global_load_dwordx2 v[16:17], v[2:3], off
	v_add_u32_e32 v1, 0x100, v1
.LBB109_7:
	s_or_b64 exec, exec, s[2:3]
	v_cmp_gt_i32_e64 s[0:1], s33, v1
	v_mov_b64_e32 v[12:13], 0
	v_mov_b64_e32 v[14:15], 0
	s_and_saveexec_b64 s[2:3], s[0:1]
	s_cbranch_execz .LBB109_9
; %bb.8:
	v_add_u32_e32 v2, s8, v1
	v_mov_b32_e32 v3, 0
	v_lshl_add_u64 v[2:3], v[2:3], 3, s[6:7]
	global_load_dwordx2 v[14:15], v[2:3], off
	v_add_u32_e32 v1, 0x100, v1
.LBB109_9:
	s_or_b64 exec, exec, s[2:3]
	v_cmp_gt_i32_e64 s[0:1], s33, v1
	s_and_saveexec_b64 s[2:3], s[0:1]
	s_cbranch_execz .LBB109_11
; %bb.10:
	v_add_u32_e32 v2, s8, v1
	v_mov_b32_e32 v3, 0
	v_lshl_add_u64 v[2:3], v[2:3], 3, s[6:7]
	global_load_dwordx2 v[12:13], v[2:3], off
.LBB109_11:
	s_or_b64 exec, exec, s[2:3]
	v_mov_b32_e32 v2, 0
	v_mov_b32_e32 v3, v2
	;; [unrolled: 1-line block ×8, first 2 shown]
	s_and_saveexec_b64 s[6:7], vcc
	s_cbranch_execz .LBB109_13
; %bb.12:
	s_mov_b32 s0, 0x652b82fe
	s_mov_b32 s1, 0x3ff71547
	s_waitcnt vmcnt(0)
	v_mul_f64 v[4:5], v[18:19], s[0:1]
	v_rndne_f64_e32 v[4:5], v[4:5]
	s_mov_b32 s3, 0xbfe62e42
	s_mov_b32 s2, 0xfefa39ef
	;; [unrolled: 1-line block ×3, first 2 shown]
	v_fma_f64 v[6:7], s[2:3], v[4:5], v[18:19]
	s_mov_b32 s1, 0xbc7abc9e
	v_fmac_f64_e32 v[6:7], s[0:1], v[4:5]
	s_mov_b32 s0, 0xa9d67f34
	v_mov_b32_e32 v8, 0x2a1b768b
	v_mov_b32_e32 v9, 0x3e5af4eb
	s_mov_b32 s1, 0x3e21f32e
	v_fmac_f64_e32 v[8:9], s[0:1], v[6:7]
	v_mov_b32_e32 v20, 0xe0ac05b
	v_mov_b32_e32 v21, 0x3e927e50
	v_fmac_f64_e32 v[20:21], v[6:7], v[8:9]
	v_mov_b32_e32 v8, 0x1b889c29
	v_mov_b32_e32 v9, 0x3ec71de0
	;; [unrolled: 3-line block ×8, first 2 shown]
	v_fmac_f64_e32 v[8:9], v[6:7], v[20:21]
	v_fma_f64 v[8:9], v[6:7], v[8:9], 0.5
	s_mov_b32 s0, 0
	v_mul_f64 v[8:9], v[6:7], v[8:9]
	s_mov_b32 s1, 0x40900000
	v_cvt_i32_f64_e32 v1, v[4:5]
	v_fmac_f64_e32 v[6:7], v[6:7], v[8:9]
	v_ldexp_f64 v[8:9], 1.0, v1
	v_mov_b32_e32 v1, 0x7fe00000
	v_cmp_eq_f64_e64 s[0:1], s[0:1], v[4:5]
	s_mov_b32 s3, 0x40862e42
	v_mov_b32_e32 v20, v2
	v_cndmask_b32_e64 v5, v9, v1, s[0:1]
	v_cndmask_b32_e64 v4, v8, 0, s[0:1]
	v_add_f64 v[8:9], v[4:5], -1.0
	v_fmac_f64_e32 v[8:9], v[4:5], v[6:7]
	v_add_f64 v[4:5], v[8:9], v[8:9]
	v_cndmask_b32_e64 v1, v8, v4, s[0:1]
	v_cndmask_b32_e64 v3, v9, v5, s[0:1]
	v_cmp_nlt_f64_e64 s[0:1], s[2:3], v[18:19]
	s_mov_b32 s2, 0
	s_mov_b32 s3, 0xc0428000
	v_mov_b32_e32 v4, 0x7ff00000
	v_cmp_ngt_f64_e64 s[2:3], s[2:3], v[18:19]
	v_cndmask_b32_e64 v3, v4, v3, s[0:1]
	v_mov_b32_e32 v4, 0xbff00000
	s_and_b64 s[0:1], s[2:3], s[0:1]
	v_cndmask_b32_e64 v19, v4, v3, s[2:3]
	v_cndmask_b32_e64 v18, 0, v1, s[0:1]
	v_mov_b32_e32 v21, v2
	v_mov_b32_e32 v22, v2
	;; [unrolled: 1-line block ×5, first 2 shown]
	v_mov_b64_e32 v[2:3], v[18:19]
	v_mov_b64_e32 v[4:5], v[20:21]
	;; [unrolled: 1-line block ×4, first 2 shown]
.LBB109_13:
	s_or_b64 exec, exec, s[6:7]
	v_or_b32_e32 v1, 0x100, v0
	v_cmp_gt_i32_e64 s[0:1], s33, v1
	s_and_saveexec_b64 s[6:7], s[0:1]
	s_cbranch_execz .LBB109_15
; %bb.14:
	s_mov_b32 s0, 0x652b82fe
	s_mov_b32 s1, 0x3ff71547
	s_waitcnt vmcnt(0)
	v_mul_f64 v[4:5], v[16:17], s[0:1]
	v_rndne_f64_e32 v[4:5], v[4:5]
	s_mov_b32 s3, 0xbfe62e42
	s_mov_b32 s2, 0xfefa39ef
	;; [unrolled: 1-line block ×3, first 2 shown]
	v_fma_f64 v[18:19], s[2:3], v[4:5], v[16:17]
	s_mov_b32 s1, 0xbc7abc9e
	v_fmac_f64_e32 v[18:19], s[0:1], v[4:5]
	s_mov_b32 s0, 0xa9d67f34
	v_mov_b32_e32 v20, 0x2a1b768b
	v_mov_b32_e32 v21, 0x3e5af4eb
	s_mov_b32 s1, 0x3e21f32e
	v_fmac_f64_e32 v[20:21], s[0:1], v[18:19]
	v_mov_b32_e32 v22, 0xe0ac05b
	v_mov_b32_e32 v23, 0x3e927e50
	v_fmac_f64_e32 v[22:23], v[18:19], v[20:21]
	v_mov_b32_e32 v20, 0x1b889c29
	v_mov_b32_e32 v21, 0x3ec71de0
	;; [unrolled: 3-line block ×8, first 2 shown]
	v_fmac_f64_e32 v[20:21], v[18:19], v[22:23]
	v_fma_f64 v[20:21], v[18:19], v[20:21], 0.5
	s_mov_b32 s0, 0
	v_mul_f64 v[20:21], v[18:19], v[20:21]
	s_mov_b32 s1, 0x40900000
	v_cvt_i32_f64_e32 v11, v[4:5]
	v_fmac_f64_e32 v[18:19], v[18:19], v[20:21]
	v_ldexp_f64 v[20:21], 1.0, v11
	v_mov_b32_e32 v11, 0x7fe00000
	v_cmp_eq_f64_e64 s[0:1], s[0:1], v[4:5]
	s_mov_b32 s3, 0x40862e42
	s_nop 0
	v_cndmask_b32_e64 v5, v21, v11, s[0:1]
	v_cndmask_b32_e64 v4, v20, 0, s[0:1]
	v_add_f64 v[20:21], v[4:5], -1.0
	v_fmac_f64_e32 v[20:21], v[4:5], v[18:19]
	v_add_f64 v[4:5], v[20:21], v[20:21]
	v_cndmask_b32_e64 v4, v20, v4, s[0:1]
	v_cndmask_b32_e64 v5, v21, v5, s[0:1]
	v_cmp_nlt_f64_e64 s[0:1], s[2:3], v[16:17]
	s_mov_b32 s2, 0
	s_mov_b32 s3, 0xc0428000
	v_mov_b32_e32 v11, 0x7ff00000
	v_cmp_ngt_f64_e64 s[2:3], s[2:3], v[16:17]
	v_cndmask_b32_e64 v5, v11, v5, s[0:1]
	v_mov_b32_e32 v11, 0xbff00000
	s_and_b64 s[0:1], s[2:3], s[0:1]
	v_cndmask_b32_e64 v5, v11, v5, s[2:3]
	v_cndmask_b32_e64 v4, 0, v4, s[0:1]
.LBB109_15:
	s_or_b64 exec, exec, s[6:7]
	v_or_b32_e32 v11, 0x200, v0
	v_cmp_gt_i32_e64 s[0:1], s33, v11
	s_and_saveexec_b64 s[6:7], s[0:1]
	s_cbranch_execz .LBB109_17
; %bb.16:
	s_mov_b32 s0, 0x652b82fe
	s_mov_b32 s1, 0x3ff71547
	s_waitcnt vmcnt(0)
	v_mul_f64 v[6:7], v[14:15], s[0:1]
	v_rndne_f64_e32 v[6:7], v[6:7]
	s_mov_b32 s3, 0xbfe62e42
	s_mov_b32 s2, 0xfefa39ef
	;; [unrolled: 1-line block ×3, first 2 shown]
	v_fma_f64 v[16:17], s[2:3], v[6:7], v[14:15]
	s_mov_b32 s1, 0xbc7abc9e
	v_fmac_f64_e32 v[16:17], s[0:1], v[6:7]
	s_mov_b32 s0, 0xa9d67f34
	v_mov_b32_e32 v18, 0x2a1b768b
	v_mov_b32_e32 v19, 0x3e5af4eb
	s_mov_b32 s1, 0x3e21f32e
	v_fmac_f64_e32 v[18:19], s[0:1], v[16:17]
	v_mov_b32_e32 v20, 0xe0ac05b
	v_mov_b32_e32 v21, 0x3e927e50
	v_fmac_f64_e32 v[20:21], v[16:17], v[18:19]
	v_mov_b32_e32 v18, 0x1b889c29
	v_mov_b32_e32 v19, 0x3ec71de0
	;; [unrolled: 3-line block ×8, first 2 shown]
	v_fmac_f64_e32 v[18:19], v[16:17], v[20:21]
	v_fma_f64 v[18:19], v[16:17], v[18:19], 0.5
	s_mov_b32 s0, 0
	v_mul_f64 v[18:19], v[16:17], v[18:19]
	s_mov_b32 s1, 0x40900000
	v_cvt_i32_f64_e32 v11, v[6:7]
	v_fmac_f64_e32 v[16:17], v[16:17], v[18:19]
	v_ldexp_f64 v[18:19], 1.0, v11
	v_mov_b32_e32 v11, 0x7fe00000
	v_cmp_eq_f64_e64 s[0:1], s[0:1], v[6:7]
	s_mov_b32 s3, 0x40862e42
	s_nop 0
	v_cndmask_b32_e64 v7, v19, v11, s[0:1]
	v_cndmask_b32_e64 v6, v18, 0, s[0:1]
	v_add_f64 v[18:19], v[6:7], -1.0
	v_fmac_f64_e32 v[18:19], v[6:7], v[16:17]
	v_add_f64 v[6:7], v[18:19], v[18:19]
	v_cndmask_b32_e64 v6, v18, v6, s[0:1]
	v_cndmask_b32_e64 v7, v19, v7, s[0:1]
	v_cmp_nlt_f64_e64 s[0:1], s[2:3], v[14:15]
	s_mov_b32 s2, 0
	s_mov_b32 s3, 0xc0428000
	v_mov_b32_e32 v11, 0x7ff00000
	v_cmp_ngt_f64_e64 s[2:3], s[2:3], v[14:15]
	v_cndmask_b32_e64 v7, v11, v7, s[0:1]
	v_mov_b32_e32 v11, 0xbff00000
	s_and_b64 s[0:1], s[2:3], s[0:1]
	v_cndmask_b32_e64 v7, v11, v7, s[2:3]
	v_cndmask_b32_e64 v6, 0, v6, s[0:1]
.LBB109_17:
	s_or_b64 exec, exec, s[6:7]
	v_or_b32_e32 v11, 0x300, v0
	v_cmp_gt_i32_e64 s[0:1], s33, v11
	s_and_saveexec_b64 s[6:7], s[0:1]
	s_cbranch_execnz .LBB109_24
; %bb.18:
	s_or_b64 exec, exec, s[6:7]
	s_and_saveexec_b64 s[0:1], vcc
	s_xor_b64 s[0:1], exec, s[0:1]
	s_cbranch_execnz .LBB109_25
.LBB109_19:
	s_or_b64 exec, exec, s[0:1]
	v_cmp_gt_i32_e32 vcc, s33, v0
	s_and_saveexec_b64 s[0:1], vcc
	s_cbranch_execnz .LBB109_26
.LBB109_20:
	s_or_b64 exec, exec, s[0:1]
	v_cmp_gt_i32_e32 vcc, s33, v0
	s_and_saveexec_b64 s[0:1], vcc
	s_cbranch_execnz .LBB109_27
.LBB109_21:
	s_or_b64 exec, exec, s[0:1]
	v_cmp_gt_i32_e32 vcc, s33, v0
	s_and_saveexec_b64 s[0:1], vcc
	s_cbranch_execz .LBB109_23
.LBB109_22:
	v_add_u32_e32 v0, s8, v0
	v_mov_b32_e32 v1, 0
	v_lshl_add_u64 v[0:1], v[0:1], 3, s[4:5]
	global_store_dwordx2 v[0:1], v[8:9], off
.LBB109_23:
	s_endpgm
.LBB109_24:
	s_mov_b32 s0, 0x652b82fe
	s_mov_b32 s1, 0x3ff71547
	s_waitcnt vmcnt(0)
	v_mul_f64 v[8:9], v[12:13], s[0:1]
	v_rndne_f64_e32 v[8:9], v[8:9]
	s_mov_b32 s3, 0xbfe62e42
	s_mov_b32 s2, 0xfefa39ef
	;; [unrolled: 1-line block ×3, first 2 shown]
	v_fma_f64 v[14:15], s[2:3], v[8:9], v[12:13]
	s_mov_b32 s1, 0xbc7abc9e
	v_fmac_f64_e32 v[14:15], s[0:1], v[8:9]
	s_mov_b32 s0, 0xa9d67f34
	v_mov_b32_e32 v16, 0x2a1b768b
	v_mov_b32_e32 v17, 0x3e5af4eb
	s_mov_b32 s1, 0x3e21f32e
	v_fmac_f64_e32 v[16:17], s[0:1], v[14:15]
	v_mov_b32_e32 v18, 0xe0ac05b
	v_mov_b32_e32 v19, 0x3e927e50
	v_fmac_f64_e32 v[18:19], v[14:15], v[16:17]
	v_mov_b32_e32 v16, 0x1b889c29
	v_mov_b32_e32 v17, 0x3ec71de0
	;; [unrolled: 3-line block ×8, first 2 shown]
	v_fmac_f64_e32 v[16:17], v[14:15], v[18:19]
	v_fma_f64 v[16:17], v[14:15], v[16:17], 0.5
	s_mov_b32 s0, 0
	v_mul_f64 v[16:17], v[14:15], v[16:17]
	s_mov_b32 s1, 0x40900000
	v_cvt_i32_f64_e32 v11, v[8:9]
	v_fmac_f64_e32 v[14:15], v[14:15], v[16:17]
	v_ldexp_f64 v[16:17], 1.0, v11
	v_mov_b32_e32 v11, 0x7fe00000
	v_cmp_eq_f64_e64 s[0:1], s[0:1], v[8:9]
	s_mov_b32 s3, 0x40862e42
	s_nop 0
	v_cndmask_b32_e64 v9, v17, v11, s[0:1]
	v_cndmask_b32_e64 v8, v16, 0, s[0:1]
	v_add_f64 v[16:17], v[8:9], -1.0
	v_fmac_f64_e32 v[16:17], v[8:9], v[14:15]
	v_add_f64 v[8:9], v[16:17], v[16:17]
	v_cndmask_b32_e64 v8, v16, v8, s[0:1]
	v_cndmask_b32_e64 v9, v17, v9, s[0:1]
	v_cmp_nlt_f64_e64 s[0:1], s[2:3], v[12:13]
	s_mov_b32 s2, 0
	s_mov_b32 s3, 0xc0428000
	v_mov_b32_e32 v11, 0x7ff00000
	v_cmp_ngt_f64_e64 s[2:3], s[2:3], v[12:13]
	v_cndmask_b32_e64 v9, v11, v9, s[0:1]
	v_mov_b32_e32 v11, 0xbff00000
	s_and_b64 s[0:1], s[2:3], s[0:1]
	v_cndmask_b32_e64 v9, v11, v9, s[2:3]
	v_cndmask_b32_e64 v8, 0, v8, s[0:1]
	s_or_b64 exec, exec, s[6:7]
	s_and_saveexec_b64 s[0:1], vcc
	s_xor_b64 s[0:1], exec, s[0:1]
	s_cbranch_execz .LBB109_19
.LBB109_25:
	v_mov_b32_e32 v11, 0
	v_lshl_add_u64 v[10:11], v[10:11], 3, s[4:5]
	v_mov_b32_e32 v0, v1
	global_store_dwordx2 v[10:11], v[2:3], off
	s_or_b64 exec, exec, s[0:1]
	v_cmp_gt_i32_e32 vcc, s33, v0
	s_and_saveexec_b64 s[0:1], vcc
	s_cbranch_execz .LBB109_20
.LBB109_26:
	v_add_u32_e32 v2, s8, v0
	v_mov_b32_e32 v3, 0
	v_lshl_add_u64 v[2:3], v[2:3], 3, s[4:5]
	v_add_u32_e32 v0, 0x100, v0
	global_store_dwordx2 v[2:3], v[4:5], off
	s_or_b64 exec, exec, s[0:1]
	v_cmp_gt_i32_e32 vcc, s33, v0
	s_and_saveexec_b64 s[0:1], vcc
	s_cbranch_execz .LBB109_21
.LBB109_27:
	v_add_u32_e32 v2, s8, v0
	v_mov_b32_e32 v3, 0
	v_lshl_add_u64 v[2:3], v[2:3], 3, s[4:5]
	v_add_u32_e32 v0, 0x100, v0
	global_store_dwordx2 v[2:3], v[6:7], off
	s_or_b64 exec, exec, s[0:1]
	v_cmp_gt_i32_e32 vcc, s33, v0
	s_and_saveexec_b64 s[0:1], vcc
	s_cbranch_execnz .LBB109_22
	s_branch .LBB109_23
	.section	.rodata,"a",@progbits
	.p2align	6, 0x0
	.amdhsa_kernel _ZN2at6native29vectorized_elementwise_kernelILi2EZZZNS0_17expm1_kernel_cudaERNS_18TensorIteratorBaseEENKUlvE_clEvENKUlvE_clEvEUldE_St5arrayIPcLm2EEEEviT0_T1_
		.amdhsa_group_segment_fixed_size 0
		.amdhsa_private_segment_fixed_size 0
		.amdhsa_kernarg_size 24
		.amdhsa_user_sgpr_count 2
		.amdhsa_user_sgpr_dispatch_ptr 0
		.amdhsa_user_sgpr_queue_ptr 0
		.amdhsa_user_sgpr_kernarg_segment_ptr 1
		.amdhsa_user_sgpr_dispatch_id 0
		.amdhsa_user_sgpr_kernarg_preload_length 0
		.amdhsa_user_sgpr_kernarg_preload_offset 0
		.amdhsa_user_sgpr_private_segment_size 0
		.amdhsa_uses_dynamic_stack 0
		.amdhsa_enable_private_segment 0
		.amdhsa_system_sgpr_workgroup_id_x 1
		.amdhsa_system_sgpr_workgroup_id_y 0
		.amdhsa_system_sgpr_workgroup_id_z 0
		.amdhsa_system_sgpr_workgroup_info 0
		.amdhsa_system_vgpr_workitem_id 0
		.amdhsa_next_free_vgpr 32
		.amdhsa_next_free_sgpr 44
		.amdhsa_accum_offset 32
		.amdhsa_reserve_vcc 1
		.amdhsa_float_round_mode_32 0
		.amdhsa_float_round_mode_16_64 0
		.amdhsa_float_denorm_mode_32 3
		.amdhsa_float_denorm_mode_16_64 3
		.amdhsa_dx10_clamp 1
		.amdhsa_ieee_mode 1
		.amdhsa_fp16_overflow 0
		.amdhsa_tg_split 0
		.amdhsa_exception_fp_ieee_invalid_op 0
		.amdhsa_exception_fp_denorm_src 0
		.amdhsa_exception_fp_ieee_div_zero 0
		.amdhsa_exception_fp_ieee_overflow 0
		.amdhsa_exception_fp_ieee_underflow 0
		.amdhsa_exception_fp_ieee_inexact 0
		.amdhsa_exception_int_div_zero 0
	.end_amdhsa_kernel
	.section	.text._ZN2at6native29vectorized_elementwise_kernelILi2EZZZNS0_17expm1_kernel_cudaERNS_18TensorIteratorBaseEENKUlvE_clEvENKUlvE_clEvEUldE_St5arrayIPcLm2EEEEviT0_T1_,"axG",@progbits,_ZN2at6native29vectorized_elementwise_kernelILi2EZZZNS0_17expm1_kernel_cudaERNS_18TensorIteratorBaseEENKUlvE_clEvENKUlvE_clEvEUldE_St5arrayIPcLm2EEEEviT0_T1_,comdat
.Lfunc_end109:
	.size	_ZN2at6native29vectorized_elementwise_kernelILi2EZZZNS0_17expm1_kernel_cudaERNS_18TensorIteratorBaseEENKUlvE_clEvENKUlvE_clEvEUldE_St5arrayIPcLm2EEEEviT0_T1_, .Lfunc_end109-_ZN2at6native29vectorized_elementwise_kernelILi2EZZZNS0_17expm1_kernel_cudaERNS_18TensorIteratorBaseEENKUlvE_clEvENKUlvE_clEvEUldE_St5arrayIPcLm2EEEEviT0_T1_
                                        ; -- End function
	.set _ZN2at6native29vectorized_elementwise_kernelILi2EZZZNS0_17expm1_kernel_cudaERNS_18TensorIteratorBaseEENKUlvE_clEvENKUlvE_clEvEUldE_St5arrayIPcLm2EEEEviT0_T1_.num_vgpr, 32
	.set _ZN2at6native29vectorized_elementwise_kernelILi2EZZZNS0_17expm1_kernel_cudaERNS_18TensorIteratorBaseEENKUlvE_clEvENKUlvE_clEvEUldE_St5arrayIPcLm2EEEEviT0_T1_.num_agpr, 0
	.set _ZN2at6native29vectorized_elementwise_kernelILi2EZZZNS0_17expm1_kernel_cudaERNS_18TensorIteratorBaseEENKUlvE_clEvENKUlvE_clEvEUldE_St5arrayIPcLm2EEEEviT0_T1_.numbered_sgpr, 44
	.set _ZN2at6native29vectorized_elementwise_kernelILi2EZZZNS0_17expm1_kernel_cudaERNS_18TensorIteratorBaseEENKUlvE_clEvENKUlvE_clEvEUldE_St5arrayIPcLm2EEEEviT0_T1_.num_named_barrier, 0
	.set _ZN2at6native29vectorized_elementwise_kernelILi2EZZZNS0_17expm1_kernel_cudaERNS_18TensorIteratorBaseEENKUlvE_clEvENKUlvE_clEvEUldE_St5arrayIPcLm2EEEEviT0_T1_.private_seg_size, 0
	.set _ZN2at6native29vectorized_elementwise_kernelILi2EZZZNS0_17expm1_kernel_cudaERNS_18TensorIteratorBaseEENKUlvE_clEvENKUlvE_clEvEUldE_St5arrayIPcLm2EEEEviT0_T1_.uses_vcc, 1
	.set _ZN2at6native29vectorized_elementwise_kernelILi2EZZZNS0_17expm1_kernel_cudaERNS_18TensorIteratorBaseEENKUlvE_clEvENKUlvE_clEvEUldE_St5arrayIPcLm2EEEEviT0_T1_.uses_flat_scratch, 0
	.set _ZN2at6native29vectorized_elementwise_kernelILi2EZZZNS0_17expm1_kernel_cudaERNS_18TensorIteratorBaseEENKUlvE_clEvENKUlvE_clEvEUldE_St5arrayIPcLm2EEEEviT0_T1_.has_dyn_sized_stack, 0
	.set _ZN2at6native29vectorized_elementwise_kernelILi2EZZZNS0_17expm1_kernel_cudaERNS_18TensorIteratorBaseEENKUlvE_clEvENKUlvE_clEvEUldE_St5arrayIPcLm2EEEEviT0_T1_.has_recursion, 0
	.set _ZN2at6native29vectorized_elementwise_kernelILi2EZZZNS0_17expm1_kernel_cudaERNS_18TensorIteratorBaseEENKUlvE_clEvENKUlvE_clEvEUldE_St5arrayIPcLm2EEEEviT0_T1_.has_indirect_call, 0
	.section	.AMDGPU.csdata,"",@progbits
; Kernel info:
; codeLenInByte = 3788
; TotalNumSgprs: 50
; NumVgprs: 32
; NumAgprs: 0
; TotalNumVgprs: 32
; ScratchSize: 0
; MemoryBound: 0
; FloatMode: 240
; IeeeMode: 1
; LDSByteSize: 0 bytes/workgroup (compile time only)
; SGPRBlocks: 6
; VGPRBlocks: 3
; NumSGPRsForWavesPerEU: 50
; NumVGPRsForWavesPerEU: 32
; AccumOffset: 32
; Occupancy: 8
; WaveLimiterHint : 1
; COMPUTE_PGM_RSRC2:SCRATCH_EN: 0
; COMPUTE_PGM_RSRC2:USER_SGPR: 2
; COMPUTE_PGM_RSRC2:TRAP_HANDLER: 0
; COMPUTE_PGM_RSRC2:TGID_X_EN: 1
; COMPUTE_PGM_RSRC2:TGID_Y_EN: 0
; COMPUTE_PGM_RSRC2:TGID_Z_EN: 0
; COMPUTE_PGM_RSRC2:TIDIG_COMP_CNT: 0
; COMPUTE_PGM_RSRC3_GFX90A:ACCUM_OFFSET: 7
; COMPUTE_PGM_RSRC3_GFX90A:TG_SPLIT: 0
	.section	.text._ZN2at6native27unrolled_elementwise_kernelIZZZNS0_17expm1_kernel_cudaERNS_18TensorIteratorBaseEENKUlvE_clEvENKUlvE_clEvEUldE_St5arrayIPcLm2EELi4E23TrivialOffsetCalculatorILi1EjESB_NS0_6memory15LoadWithoutCastENSC_16StoreWithoutCastEEEviT_T0_T2_T3_T4_T5_,"axG",@progbits,_ZN2at6native27unrolled_elementwise_kernelIZZZNS0_17expm1_kernel_cudaERNS_18TensorIteratorBaseEENKUlvE_clEvENKUlvE_clEvEUldE_St5arrayIPcLm2EELi4E23TrivialOffsetCalculatorILi1EjESB_NS0_6memory15LoadWithoutCastENSC_16StoreWithoutCastEEEviT_T0_T2_T3_T4_T5_,comdat
	.globl	_ZN2at6native27unrolled_elementwise_kernelIZZZNS0_17expm1_kernel_cudaERNS_18TensorIteratorBaseEENKUlvE_clEvENKUlvE_clEvEUldE_St5arrayIPcLm2EELi4E23TrivialOffsetCalculatorILi1EjESB_NS0_6memory15LoadWithoutCastENSC_16StoreWithoutCastEEEviT_T0_T2_T3_T4_T5_ ; -- Begin function _ZN2at6native27unrolled_elementwise_kernelIZZZNS0_17expm1_kernel_cudaERNS_18TensorIteratorBaseEENKUlvE_clEvENKUlvE_clEvEUldE_St5arrayIPcLm2EELi4E23TrivialOffsetCalculatorILi1EjESB_NS0_6memory15LoadWithoutCastENSC_16StoreWithoutCastEEEviT_T0_T2_T3_T4_T5_
	.p2align	8
	.type	_ZN2at6native27unrolled_elementwise_kernelIZZZNS0_17expm1_kernel_cudaERNS_18TensorIteratorBaseEENKUlvE_clEvENKUlvE_clEvEUldE_St5arrayIPcLm2EELi4E23TrivialOffsetCalculatorILi1EjESB_NS0_6memory15LoadWithoutCastENSC_16StoreWithoutCastEEEviT_T0_T2_T3_T4_T5_,@function
_ZN2at6native27unrolled_elementwise_kernelIZZZNS0_17expm1_kernel_cudaERNS_18TensorIteratorBaseEENKUlvE_clEvENKUlvE_clEvEUldE_St5arrayIPcLm2EELi4E23TrivialOffsetCalculatorILi1EjESB_NS0_6memory15LoadWithoutCastENSC_16StoreWithoutCastEEEviT_T0_T2_T3_T4_T5_: ; @_ZN2at6native27unrolled_elementwise_kernelIZZZNS0_17expm1_kernel_cudaERNS_18TensorIteratorBaseEENKUlvE_clEvENKUlvE_clEvEUldE_St5arrayIPcLm2EELi4E23TrivialOffsetCalculatorILi1EjESB_NS0_6memory15LoadWithoutCastENSC_16StoreWithoutCastEEEviT_T0_T2_T3_T4_T5_
; %bb.0:
	s_load_dword s3, s[0:1], 0x0
	s_load_dwordx4 s[4:7], s[0:1], 0x8
	s_lshl_b32 s8, s2, 10
	v_mov_b64_e32 v[16:17], 0
	v_or_b32_e32 v10, s8, v0
	s_waitcnt lgkmcnt(0)
	s_sub_i32 s9, s3, s8
	v_cmp_gt_i32_e32 vcc, s9, v0
	v_mov_b64_e32 v[18:19], 0
	v_mov_b32_e32 v1, v0
	s_and_saveexec_b64 s[0:1], vcc
	s_cbranch_execz .LBB110_2
; %bb.1:
	v_mov_b32_e32 v11, 0
	v_lshl_add_u64 v[2:3], v[10:11], 3, s[6:7]
	global_load_dwordx2 v[18:19], v[2:3], off
	v_or_b32_e32 v1, 0x100, v0
.LBB110_2:
	s_or_b64 exec, exec, s[0:1]
	v_cmp_gt_i32_e64 s[0:1], s9, v1
	s_and_saveexec_b64 s[2:3], s[0:1]
	s_cbranch_execz .LBB110_4
; %bb.3:
	v_add_u32_e32 v2, s8, v1
	v_mov_b32_e32 v3, 0
	v_lshl_add_u64 v[2:3], v[2:3], 3, s[6:7]
	global_load_dwordx2 v[16:17], v[2:3], off
	v_add_u32_e32 v1, 0x100, v1
.LBB110_4:
	s_or_b64 exec, exec, s[2:3]
	v_cmp_gt_i32_e64 s[0:1], s9, v1
	v_mov_b64_e32 v[12:13], 0
	v_mov_b64_e32 v[14:15], 0
	s_and_saveexec_b64 s[2:3], s[0:1]
	s_cbranch_execz .LBB110_6
; %bb.5:
	v_add_u32_e32 v2, s8, v1
	v_mov_b32_e32 v3, 0
	v_lshl_add_u64 v[2:3], v[2:3], 3, s[6:7]
	global_load_dwordx2 v[14:15], v[2:3], off
	v_add_u32_e32 v1, 0x100, v1
.LBB110_6:
	s_or_b64 exec, exec, s[2:3]
	v_cmp_gt_i32_e64 s[0:1], s9, v1
	s_and_saveexec_b64 s[2:3], s[0:1]
	s_cbranch_execz .LBB110_8
; %bb.7:
	v_add_u32_e32 v2, s8, v1
	v_mov_b32_e32 v3, 0
	v_lshl_add_u64 v[2:3], v[2:3], 3, s[6:7]
	global_load_dwordx2 v[12:13], v[2:3], off
.LBB110_8:
	s_or_b64 exec, exec, s[2:3]
	v_mov_b32_e32 v2, 0
	v_mov_b32_e32 v3, v2
	;; [unrolled: 1-line block ×8, first 2 shown]
	s_and_saveexec_b64 s[6:7], vcc
	s_cbranch_execz .LBB110_10
; %bb.9:
	s_mov_b32 s0, 0x652b82fe
	s_mov_b32 s1, 0x3ff71547
	s_waitcnt vmcnt(0)
	v_mul_f64 v[4:5], v[18:19], s[0:1]
	v_rndne_f64_e32 v[4:5], v[4:5]
	s_mov_b32 s3, 0xbfe62e42
	s_mov_b32 s2, 0xfefa39ef
	;; [unrolled: 1-line block ×3, first 2 shown]
	v_fma_f64 v[6:7], s[2:3], v[4:5], v[18:19]
	s_mov_b32 s1, 0xbc7abc9e
	v_fmac_f64_e32 v[6:7], s[0:1], v[4:5]
	s_mov_b32 s0, 0xa9d67f34
	v_mov_b32_e32 v8, 0x2a1b768b
	v_mov_b32_e32 v9, 0x3e5af4eb
	s_mov_b32 s1, 0x3e21f32e
	v_fmac_f64_e32 v[8:9], s[0:1], v[6:7]
	v_mov_b32_e32 v20, 0xe0ac05b
	v_mov_b32_e32 v21, 0x3e927e50
	v_fmac_f64_e32 v[20:21], v[6:7], v[8:9]
	v_mov_b32_e32 v8, 0x1b889c29
	v_mov_b32_e32 v9, 0x3ec71de0
	;; [unrolled: 3-line block ×8, first 2 shown]
	v_fmac_f64_e32 v[8:9], v[6:7], v[20:21]
	v_fma_f64 v[8:9], v[6:7], v[8:9], 0.5
	s_mov_b32 s0, 0
	v_mul_f64 v[8:9], v[6:7], v[8:9]
	s_mov_b32 s1, 0x40900000
	v_cvt_i32_f64_e32 v1, v[4:5]
	v_fmac_f64_e32 v[6:7], v[6:7], v[8:9]
	v_ldexp_f64 v[8:9], 1.0, v1
	v_mov_b32_e32 v1, 0x7fe00000
	v_cmp_eq_f64_e64 s[0:1], s[0:1], v[4:5]
	s_mov_b32 s3, 0x40862e42
	v_mov_b32_e32 v20, v2
	v_cndmask_b32_e64 v5, v9, v1, s[0:1]
	v_cndmask_b32_e64 v4, v8, 0, s[0:1]
	v_add_f64 v[8:9], v[4:5], -1.0
	v_fmac_f64_e32 v[8:9], v[4:5], v[6:7]
	v_add_f64 v[4:5], v[8:9], v[8:9]
	v_cndmask_b32_e64 v1, v8, v4, s[0:1]
	v_cndmask_b32_e64 v3, v9, v5, s[0:1]
	v_cmp_nlt_f64_e64 s[0:1], s[2:3], v[18:19]
	s_mov_b32 s2, 0
	s_mov_b32 s3, 0xc0428000
	v_mov_b32_e32 v4, 0x7ff00000
	v_cmp_ngt_f64_e64 s[2:3], s[2:3], v[18:19]
	v_cndmask_b32_e64 v3, v4, v3, s[0:1]
	v_mov_b32_e32 v4, 0xbff00000
	s_and_b64 s[0:1], s[2:3], s[0:1]
	v_cndmask_b32_e64 v19, v4, v3, s[2:3]
	v_cndmask_b32_e64 v18, 0, v1, s[0:1]
	v_mov_b32_e32 v21, v2
	v_mov_b32_e32 v22, v2
	;; [unrolled: 1-line block ×5, first 2 shown]
	v_mov_b64_e32 v[2:3], v[18:19]
	v_mov_b64_e32 v[4:5], v[20:21]
	;; [unrolled: 1-line block ×4, first 2 shown]
.LBB110_10:
	s_or_b64 exec, exec, s[6:7]
	v_or_b32_e32 v1, 0x100, v0
	v_cmp_gt_i32_e64 s[0:1], s9, v1
	s_and_saveexec_b64 s[6:7], s[0:1]
	s_cbranch_execz .LBB110_12
; %bb.11:
	s_mov_b32 s0, 0x652b82fe
	s_mov_b32 s1, 0x3ff71547
	s_waitcnt vmcnt(0)
	v_mul_f64 v[4:5], v[16:17], s[0:1]
	v_rndne_f64_e32 v[4:5], v[4:5]
	s_mov_b32 s3, 0xbfe62e42
	s_mov_b32 s2, 0xfefa39ef
	;; [unrolled: 1-line block ×3, first 2 shown]
	v_fma_f64 v[18:19], s[2:3], v[4:5], v[16:17]
	s_mov_b32 s1, 0xbc7abc9e
	v_fmac_f64_e32 v[18:19], s[0:1], v[4:5]
	s_mov_b32 s0, 0xa9d67f34
	v_mov_b32_e32 v20, 0x2a1b768b
	v_mov_b32_e32 v21, 0x3e5af4eb
	s_mov_b32 s1, 0x3e21f32e
	v_fmac_f64_e32 v[20:21], s[0:1], v[18:19]
	v_mov_b32_e32 v22, 0xe0ac05b
	v_mov_b32_e32 v23, 0x3e927e50
	v_fmac_f64_e32 v[22:23], v[18:19], v[20:21]
	v_mov_b32_e32 v20, 0x1b889c29
	v_mov_b32_e32 v21, 0x3ec71de0
	v_fmac_f64_e32 v[20:21], v[18:19], v[22:23]
	v_mov_b32_e32 v22, 0x197bcfd8
	v_mov_b32_e32 v23, 0x3efa01a0
	v_fmac_f64_e32 v[22:23], v[18:19], v[20:21]
	v_mov_b32_e32 v20, 0x1ac1a723
	v_mov_b32_e32 v21, 0x3f2a01a0
	v_fmac_f64_e32 v[20:21], v[18:19], v[22:23]
	v_mov_b32_e32 v22, 0x16c18931
	v_mov_b32_e32 v23, 0x3f56c16c
	v_fmac_f64_e32 v[22:23], v[18:19], v[20:21]
	v_mov_b32_e32 v20, 0x11110056
	v_mov_b32_e32 v21, 0x3f811111
	v_fmac_f64_e32 v[20:21], v[18:19], v[22:23]
	v_mov_b32_e32 v22, 0x55555552
	v_mov_b32_e32 v23, 0x3fa55555
	v_fmac_f64_e32 v[22:23], v[18:19], v[20:21]
	v_mov_b32_e32 v20, 0x55555557
	v_mov_b32_e32 v21, 0x3fc55555
	v_fmac_f64_e32 v[20:21], v[18:19], v[22:23]
	v_fma_f64 v[20:21], v[18:19], v[20:21], 0.5
	s_mov_b32 s0, 0
	v_mul_f64 v[20:21], v[18:19], v[20:21]
	s_mov_b32 s1, 0x40900000
	v_cvt_i32_f64_e32 v11, v[4:5]
	v_fmac_f64_e32 v[18:19], v[18:19], v[20:21]
	v_ldexp_f64 v[20:21], 1.0, v11
	v_mov_b32_e32 v11, 0x7fe00000
	v_cmp_eq_f64_e64 s[0:1], s[0:1], v[4:5]
	s_mov_b32 s3, 0x40862e42
	s_nop 0
	v_cndmask_b32_e64 v5, v21, v11, s[0:1]
	v_cndmask_b32_e64 v4, v20, 0, s[0:1]
	v_add_f64 v[20:21], v[4:5], -1.0
	v_fmac_f64_e32 v[20:21], v[4:5], v[18:19]
	v_add_f64 v[4:5], v[20:21], v[20:21]
	v_cndmask_b32_e64 v4, v20, v4, s[0:1]
	v_cndmask_b32_e64 v5, v21, v5, s[0:1]
	v_cmp_nlt_f64_e64 s[0:1], s[2:3], v[16:17]
	s_mov_b32 s2, 0
	s_mov_b32 s3, 0xc0428000
	v_mov_b32_e32 v11, 0x7ff00000
	v_cmp_ngt_f64_e64 s[2:3], s[2:3], v[16:17]
	v_cndmask_b32_e64 v5, v11, v5, s[0:1]
	v_mov_b32_e32 v11, 0xbff00000
	s_and_b64 s[0:1], s[2:3], s[0:1]
	v_cndmask_b32_e64 v5, v11, v5, s[2:3]
	v_cndmask_b32_e64 v4, 0, v4, s[0:1]
.LBB110_12:
	s_or_b64 exec, exec, s[6:7]
	v_or_b32_e32 v11, 0x200, v0
	v_cmp_gt_i32_e64 s[0:1], s9, v11
	s_and_saveexec_b64 s[6:7], s[0:1]
	s_cbranch_execz .LBB110_14
; %bb.13:
	s_mov_b32 s0, 0x652b82fe
	s_mov_b32 s1, 0x3ff71547
	s_waitcnt vmcnt(0)
	v_mul_f64 v[6:7], v[14:15], s[0:1]
	v_rndne_f64_e32 v[6:7], v[6:7]
	s_mov_b32 s3, 0xbfe62e42
	s_mov_b32 s2, 0xfefa39ef
	;; [unrolled: 1-line block ×3, first 2 shown]
	v_fma_f64 v[16:17], s[2:3], v[6:7], v[14:15]
	s_mov_b32 s1, 0xbc7abc9e
	v_fmac_f64_e32 v[16:17], s[0:1], v[6:7]
	s_mov_b32 s0, 0xa9d67f34
	v_mov_b32_e32 v18, 0x2a1b768b
	v_mov_b32_e32 v19, 0x3e5af4eb
	s_mov_b32 s1, 0x3e21f32e
	v_fmac_f64_e32 v[18:19], s[0:1], v[16:17]
	v_mov_b32_e32 v20, 0xe0ac05b
	v_mov_b32_e32 v21, 0x3e927e50
	v_fmac_f64_e32 v[20:21], v[16:17], v[18:19]
	v_mov_b32_e32 v18, 0x1b889c29
	v_mov_b32_e32 v19, 0x3ec71de0
	;; [unrolled: 3-line block ×8, first 2 shown]
	v_fmac_f64_e32 v[18:19], v[16:17], v[20:21]
	v_fma_f64 v[18:19], v[16:17], v[18:19], 0.5
	s_mov_b32 s0, 0
	v_mul_f64 v[18:19], v[16:17], v[18:19]
	s_mov_b32 s1, 0x40900000
	v_cvt_i32_f64_e32 v11, v[6:7]
	v_fmac_f64_e32 v[16:17], v[16:17], v[18:19]
	v_ldexp_f64 v[18:19], 1.0, v11
	v_mov_b32_e32 v11, 0x7fe00000
	v_cmp_eq_f64_e64 s[0:1], s[0:1], v[6:7]
	s_mov_b32 s3, 0x40862e42
	s_nop 0
	v_cndmask_b32_e64 v7, v19, v11, s[0:1]
	v_cndmask_b32_e64 v6, v18, 0, s[0:1]
	v_add_f64 v[18:19], v[6:7], -1.0
	v_fmac_f64_e32 v[18:19], v[6:7], v[16:17]
	v_add_f64 v[6:7], v[18:19], v[18:19]
	v_cndmask_b32_e64 v6, v18, v6, s[0:1]
	v_cndmask_b32_e64 v7, v19, v7, s[0:1]
	v_cmp_nlt_f64_e64 s[0:1], s[2:3], v[14:15]
	s_mov_b32 s2, 0
	s_mov_b32 s3, 0xc0428000
	v_mov_b32_e32 v11, 0x7ff00000
	v_cmp_ngt_f64_e64 s[2:3], s[2:3], v[14:15]
	v_cndmask_b32_e64 v7, v11, v7, s[0:1]
	v_mov_b32_e32 v11, 0xbff00000
	s_and_b64 s[0:1], s[2:3], s[0:1]
	v_cndmask_b32_e64 v7, v11, v7, s[2:3]
	v_cndmask_b32_e64 v6, 0, v6, s[0:1]
.LBB110_14:
	s_or_b64 exec, exec, s[6:7]
	v_or_b32_e32 v11, 0x300, v0
	v_cmp_gt_i32_e64 s[0:1], s9, v11
	s_and_saveexec_b64 s[6:7], s[0:1]
	s_cbranch_execnz .LBB110_20
; %bb.15:
	s_or_b64 exec, exec, s[6:7]
	s_and_saveexec_b64 s[0:1], vcc
	s_xor_b64 s[0:1], exec, s[0:1]
	s_cbranch_execnz .LBB110_21
.LBB110_16:
	s_or_b64 exec, exec, s[0:1]
	v_cmp_gt_i32_e32 vcc, s9, v0
	s_and_saveexec_b64 s[0:1], vcc
	s_cbranch_execnz .LBB110_22
.LBB110_17:
	s_or_b64 exec, exec, s[0:1]
	v_cmp_gt_i32_e32 vcc, s9, v0
	s_and_saveexec_b64 s[0:1], vcc
	s_cbranch_execnz .LBB110_23
.LBB110_18:
	s_or_b64 exec, exec, s[0:1]
	v_cmp_gt_i32_e32 vcc, s9, v0
	s_and_saveexec_b64 s[0:1], vcc
	s_cbranch_execnz .LBB110_24
.LBB110_19:
	s_endpgm
.LBB110_20:
	s_mov_b32 s0, 0x652b82fe
	s_mov_b32 s1, 0x3ff71547
	s_waitcnt vmcnt(0)
	v_mul_f64 v[8:9], v[12:13], s[0:1]
	v_rndne_f64_e32 v[8:9], v[8:9]
	s_mov_b32 s3, 0xbfe62e42
	s_mov_b32 s2, 0xfefa39ef
	;; [unrolled: 1-line block ×3, first 2 shown]
	v_fma_f64 v[14:15], s[2:3], v[8:9], v[12:13]
	s_mov_b32 s1, 0xbc7abc9e
	v_fmac_f64_e32 v[14:15], s[0:1], v[8:9]
	s_mov_b32 s0, 0xa9d67f34
	v_mov_b32_e32 v16, 0x2a1b768b
	v_mov_b32_e32 v17, 0x3e5af4eb
	s_mov_b32 s1, 0x3e21f32e
	v_fmac_f64_e32 v[16:17], s[0:1], v[14:15]
	v_mov_b32_e32 v18, 0xe0ac05b
	v_mov_b32_e32 v19, 0x3e927e50
	v_fmac_f64_e32 v[18:19], v[14:15], v[16:17]
	v_mov_b32_e32 v16, 0x1b889c29
	v_mov_b32_e32 v17, 0x3ec71de0
	;; [unrolled: 3-line block ×8, first 2 shown]
	v_fmac_f64_e32 v[16:17], v[14:15], v[18:19]
	v_fma_f64 v[16:17], v[14:15], v[16:17], 0.5
	s_mov_b32 s0, 0
	v_mul_f64 v[16:17], v[14:15], v[16:17]
	s_mov_b32 s1, 0x40900000
	v_cvt_i32_f64_e32 v11, v[8:9]
	v_fmac_f64_e32 v[14:15], v[14:15], v[16:17]
	v_ldexp_f64 v[16:17], 1.0, v11
	v_mov_b32_e32 v11, 0x7fe00000
	v_cmp_eq_f64_e64 s[0:1], s[0:1], v[8:9]
	s_mov_b32 s3, 0x40862e42
	s_nop 0
	v_cndmask_b32_e64 v9, v17, v11, s[0:1]
	v_cndmask_b32_e64 v8, v16, 0, s[0:1]
	v_add_f64 v[16:17], v[8:9], -1.0
	v_fmac_f64_e32 v[16:17], v[8:9], v[14:15]
	v_add_f64 v[8:9], v[16:17], v[16:17]
	v_cndmask_b32_e64 v8, v16, v8, s[0:1]
	v_cndmask_b32_e64 v9, v17, v9, s[0:1]
	v_cmp_nlt_f64_e64 s[0:1], s[2:3], v[12:13]
	s_mov_b32 s2, 0
	s_mov_b32 s3, 0xc0428000
	v_mov_b32_e32 v11, 0x7ff00000
	v_cmp_ngt_f64_e64 s[2:3], s[2:3], v[12:13]
	v_cndmask_b32_e64 v9, v11, v9, s[0:1]
	v_mov_b32_e32 v11, 0xbff00000
	s_and_b64 s[0:1], s[2:3], s[0:1]
	v_cndmask_b32_e64 v9, v11, v9, s[2:3]
	v_cndmask_b32_e64 v8, 0, v8, s[0:1]
	s_or_b64 exec, exec, s[6:7]
	s_and_saveexec_b64 s[0:1], vcc
	s_xor_b64 s[0:1], exec, s[0:1]
	s_cbranch_execz .LBB110_16
.LBB110_21:
	v_mov_b32_e32 v11, 0
	v_lshl_add_u64 v[10:11], v[10:11], 3, s[4:5]
	v_mov_b32_e32 v0, v1
	global_store_dwordx2 v[10:11], v[2:3], off
	s_or_b64 exec, exec, s[0:1]
	v_cmp_gt_i32_e32 vcc, s9, v0
	s_and_saveexec_b64 s[0:1], vcc
	s_cbranch_execz .LBB110_17
.LBB110_22:
	v_add_u32_e32 v2, 0x100, v0
	v_add_u32_e32 v0, s8, v0
	v_mov_b32_e32 v1, 0
	v_lshl_add_u64 v[0:1], v[0:1], 3, s[4:5]
	global_store_dwordx2 v[0:1], v[4:5], off
	v_mov_b32_e32 v0, v2
	s_or_b64 exec, exec, s[0:1]
	v_cmp_gt_i32_e32 vcc, s9, v0
	s_and_saveexec_b64 s[0:1], vcc
	s_cbranch_execz .LBB110_18
.LBB110_23:
	v_add_u32_e32 v2, 0x100, v0
	v_add_u32_e32 v0, s8, v0
	v_mov_b32_e32 v1, 0
	v_lshl_add_u64 v[0:1], v[0:1], 3, s[4:5]
	global_store_dwordx2 v[0:1], v[6:7], off
	v_mov_b32_e32 v0, v2
	s_or_b64 exec, exec, s[0:1]
	v_cmp_gt_i32_e32 vcc, s9, v0
	s_and_saveexec_b64 s[0:1], vcc
	s_cbranch_execz .LBB110_19
.LBB110_24:
	v_add_u32_e32 v0, s8, v0
	v_mov_b32_e32 v1, 0
	v_lshl_add_u64 v[0:1], v[0:1], 3, s[4:5]
	global_store_dwordx2 v[0:1], v[8:9], off
	s_endpgm
	.section	.rodata,"a",@progbits
	.p2align	6, 0x0
	.amdhsa_kernel _ZN2at6native27unrolled_elementwise_kernelIZZZNS0_17expm1_kernel_cudaERNS_18TensorIteratorBaseEENKUlvE_clEvENKUlvE_clEvEUldE_St5arrayIPcLm2EELi4E23TrivialOffsetCalculatorILi1EjESB_NS0_6memory15LoadWithoutCastENSC_16StoreWithoutCastEEEviT_T0_T2_T3_T4_T5_
		.amdhsa_group_segment_fixed_size 0
		.amdhsa_private_segment_fixed_size 0
		.amdhsa_kernarg_size 28
		.amdhsa_user_sgpr_count 2
		.amdhsa_user_sgpr_dispatch_ptr 0
		.amdhsa_user_sgpr_queue_ptr 0
		.amdhsa_user_sgpr_kernarg_segment_ptr 1
		.amdhsa_user_sgpr_dispatch_id 0
		.amdhsa_user_sgpr_kernarg_preload_length 0
		.amdhsa_user_sgpr_kernarg_preload_offset 0
		.amdhsa_user_sgpr_private_segment_size 0
		.amdhsa_uses_dynamic_stack 0
		.amdhsa_enable_private_segment 0
		.amdhsa_system_sgpr_workgroup_id_x 1
		.amdhsa_system_sgpr_workgroup_id_y 0
		.amdhsa_system_sgpr_workgroup_id_z 0
		.amdhsa_system_sgpr_workgroup_info 0
		.amdhsa_system_vgpr_workitem_id 0
		.amdhsa_next_free_vgpr 26
		.amdhsa_next_free_sgpr 10
		.amdhsa_accum_offset 28
		.amdhsa_reserve_vcc 1
		.amdhsa_float_round_mode_32 0
		.amdhsa_float_round_mode_16_64 0
		.amdhsa_float_denorm_mode_32 3
		.amdhsa_float_denorm_mode_16_64 3
		.amdhsa_dx10_clamp 1
		.amdhsa_ieee_mode 1
		.amdhsa_fp16_overflow 0
		.amdhsa_tg_split 0
		.amdhsa_exception_fp_ieee_invalid_op 0
		.amdhsa_exception_fp_denorm_src 0
		.amdhsa_exception_fp_ieee_div_zero 0
		.amdhsa_exception_fp_ieee_overflow 0
		.amdhsa_exception_fp_ieee_underflow 0
		.amdhsa_exception_fp_ieee_inexact 0
		.amdhsa_exception_int_div_zero 0
	.end_amdhsa_kernel
	.section	.text._ZN2at6native27unrolled_elementwise_kernelIZZZNS0_17expm1_kernel_cudaERNS_18TensorIteratorBaseEENKUlvE_clEvENKUlvE_clEvEUldE_St5arrayIPcLm2EELi4E23TrivialOffsetCalculatorILi1EjESB_NS0_6memory15LoadWithoutCastENSC_16StoreWithoutCastEEEviT_T0_T2_T3_T4_T5_,"axG",@progbits,_ZN2at6native27unrolled_elementwise_kernelIZZZNS0_17expm1_kernel_cudaERNS_18TensorIteratorBaseEENKUlvE_clEvENKUlvE_clEvEUldE_St5arrayIPcLm2EELi4E23TrivialOffsetCalculatorILi1EjESB_NS0_6memory15LoadWithoutCastENSC_16StoreWithoutCastEEEviT_T0_T2_T3_T4_T5_,comdat
.Lfunc_end110:
	.size	_ZN2at6native27unrolled_elementwise_kernelIZZZNS0_17expm1_kernel_cudaERNS_18TensorIteratorBaseEENKUlvE_clEvENKUlvE_clEvEUldE_St5arrayIPcLm2EELi4E23TrivialOffsetCalculatorILi1EjESB_NS0_6memory15LoadWithoutCastENSC_16StoreWithoutCastEEEviT_T0_T2_T3_T4_T5_, .Lfunc_end110-_ZN2at6native27unrolled_elementwise_kernelIZZZNS0_17expm1_kernel_cudaERNS_18TensorIteratorBaseEENKUlvE_clEvENKUlvE_clEvEUldE_St5arrayIPcLm2EELi4E23TrivialOffsetCalculatorILi1EjESB_NS0_6memory15LoadWithoutCastENSC_16StoreWithoutCastEEEviT_T0_T2_T3_T4_T5_
                                        ; -- End function
	.set _ZN2at6native27unrolled_elementwise_kernelIZZZNS0_17expm1_kernel_cudaERNS_18TensorIteratorBaseEENKUlvE_clEvENKUlvE_clEvEUldE_St5arrayIPcLm2EELi4E23TrivialOffsetCalculatorILi1EjESB_NS0_6memory15LoadWithoutCastENSC_16StoreWithoutCastEEEviT_T0_T2_T3_T4_T5_.num_vgpr, 26
	.set _ZN2at6native27unrolled_elementwise_kernelIZZZNS0_17expm1_kernel_cudaERNS_18TensorIteratorBaseEENKUlvE_clEvENKUlvE_clEvEUldE_St5arrayIPcLm2EELi4E23TrivialOffsetCalculatorILi1EjESB_NS0_6memory15LoadWithoutCastENSC_16StoreWithoutCastEEEviT_T0_T2_T3_T4_T5_.num_agpr, 0
	.set _ZN2at6native27unrolled_elementwise_kernelIZZZNS0_17expm1_kernel_cudaERNS_18TensorIteratorBaseEENKUlvE_clEvENKUlvE_clEvEUldE_St5arrayIPcLm2EELi4E23TrivialOffsetCalculatorILi1EjESB_NS0_6memory15LoadWithoutCastENSC_16StoreWithoutCastEEEviT_T0_T2_T3_T4_T5_.numbered_sgpr, 10
	.set _ZN2at6native27unrolled_elementwise_kernelIZZZNS0_17expm1_kernel_cudaERNS_18TensorIteratorBaseEENKUlvE_clEvENKUlvE_clEvEUldE_St5arrayIPcLm2EELi4E23TrivialOffsetCalculatorILi1EjESB_NS0_6memory15LoadWithoutCastENSC_16StoreWithoutCastEEEviT_T0_T2_T3_T4_T5_.num_named_barrier, 0
	.set _ZN2at6native27unrolled_elementwise_kernelIZZZNS0_17expm1_kernel_cudaERNS_18TensorIteratorBaseEENKUlvE_clEvENKUlvE_clEvEUldE_St5arrayIPcLm2EELi4E23TrivialOffsetCalculatorILi1EjESB_NS0_6memory15LoadWithoutCastENSC_16StoreWithoutCastEEEviT_T0_T2_T3_T4_T5_.private_seg_size, 0
	.set _ZN2at6native27unrolled_elementwise_kernelIZZZNS0_17expm1_kernel_cudaERNS_18TensorIteratorBaseEENKUlvE_clEvENKUlvE_clEvEUldE_St5arrayIPcLm2EELi4E23TrivialOffsetCalculatorILi1EjESB_NS0_6memory15LoadWithoutCastENSC_16StoreWithoutCastEEEviT_T0_T2_T3_T4_T5_.uses_vcc, 1
	.set _ZN2at6native27unrolled_elementwise_kernelIZZZNS0_17expm1_kernel_cudaERNS_18TensorIteratorBaseEENKUlvE_clEvENKUlvE_clEvEUldE_St5arrayIPcLm2EELi4E23TrivialOffsetCalculatorILi1EjESB_NS0_6memory15LoadWithoutCastENSC_16StoreWithoutCastEEEviT_T0_T2_T3_T4_T5_.uses_flat_scratch, 0
	.set _ZN2at6native27unrolled_elementwise_kernelIZZZNS0_17expm1_kernel_cudaERNS_18TensorIteratorBaseEENKUlvE_clEvENKUlvE_clEvEUldE_St5arrayIPcLm2EELi4E23TrivialOffsetCalculatorILi1EjESB_NS0_6memory15LoadWithoutCastENSC_16StoreWithoutCastEEEviT_T0_T2_T3_T4_T5_.has_dyn_sized_stack, 0
	.set _ZN2at6native27unrolled_elementwise_kernelIZZZNS0_17expm1_kernel_cudaERNS_18TensorIteratorBaseEENKUlvE_clEvENKUlvE_clEvEUldE_St5arrayIPcLm2EELi4E23TrivialOffsetCalculatorILi1EjESB_NS0_6memory15LoadWithoutCastENSC_16StoreWithoutCastEEEviT_T0_T2_T3_T4_T5_.has_recursion, 0
	.set _ZN2at6native27unrolled_elementwise_kernelIZZZNS0_17expm1_kernel_cudaERNS_18TensorIteratorBaseEENKUlvE_clEvENKUlvE_clEvEUldE_St5arrayIPcLm2EELi4E23TrivialOffsetCalculatorILi1EjESB_NS0_6memory15LoadWithoutCastENSC_16StoreWithoutCastEEEviT_T0_T2_T3_T4_T5_.has_indirect_call, 0
	.section	.AMDGPU.csdata,"",@progbits
; Kernel info:
; codeLenInByte = 2532
; TotalNumSgprs: 16
; NumVgprs: 26
; NumAgprs: 0
; TotalNumVgprs: 26
; ScratchSize: 0
; MemoryBound: 0
; FloatMode: 240
; IeeeMode: 1
; LDSByteSize: 0 bytes/workgroup (compile time only)
; SGPRBlocks: 1
; VGPRBlocks: 3
; NumSGPRsForWavesPerEU: 16
; NumVGPRsForWavesPerEU: 26
; AccumOffset: 28
; Occupancy: 8
; WaveLimiterHint : 0
; COMPUTE_PGM_RSRC2:SCRATCH_EN: 0
; COMPUTE_PGM_RSRC2:USER_SGPR: 2
; COMPUTE_PGM_RSRC2:TRAP_HANDLER: 0
; COMPUTE_PGM_RSRC2:TGID_X_EN: 1
; COMPUTE_PGM_RSRC2:TGID_Y_EN: 0
; COMPUTE_PGM_RSRC2:TGID_Z_EN: 0
; COMPUTE_PGM_RSRC2:TIDIG_COMP_CNT: 0
; COMPUTE_PGM_RSRC3_GFX90A:ACCUM_OFFSET: 6
; COMPUTE_PGM_RSRC3_GFX90A:TG_SPLIT: 0
	.section	.text._ZN2at6native32elementwise_kernel_manual_unrollILi128ELi4EZNS0_22gpu_kernel_impl_nocastIZZZNS0_17expm1_kernel_cudaERNS_18TensorIteratorBaseEENKUlvE_clEvENKUlvE_clEvEUldE_EEvS4_RKT_EUlibE_EEviT1_,"axG",@progbits,_ZN2at6native32elementwise_kernel_manual_unrollILi128ELi4EZNS0_22gpu_kernel_impl_nocastIZZZNS0_17expm1_kernel_cudaERNS_18TensorIteratorBaseEENKUlvE_clEvENKUlvE_clEvEUldE_EEvS4_RKT_EUlibE_EEviT1_,comdat
	.globl	_ZN2at6native32elementwise_kernel_manual_unrollILi128ELi4EZNS0_22gpu_kernel_impl_nocastIZZZNS0_17expm1_kernel_cudaERNS_18TensorIteratorBaseEENKUlvE_clEvENKUlvE_clEvEUldE_EEvS4_RKT_EUlibE_EEviT1_ ; -- Begin function _ZN2at6native32elementwise_kernel_manual_unrollILi128ELi4EZNS0_22gpu_kernel_impl_nocastIZZZNS0_17expm1_kernel_cudaERNS_18TensorIteratorBaseEENKUlvE_clEvENKUlvE_clEvEUldE_EEvS4_RKT_EUlibE_EEviT1_
	.p2align	8
	.type	_ZN2at6native32elementwise_kernel_manual_unrollILi128ELi4EZNS0_22gpu_kernel_impl_nocastIZZZNS0_17expm1_kernel_cudaERNS_18TensorIteratorBaseEENKUlvE_clEvENKUlvE_clEvEUldE_EEvS4_RKT_EUlibE_EEviT1_,@function
_ZN2at6native32elementwise_kernel_manual_unrollILi128ELi4EZNS0_22gpu_kernel_impl_nocastIZZZNS0_17expm1_kernel_cudaERNS_18TensorIteratorBaseEENKUlvE_clEvENKUlvE_clEvEUldE_EEvS4_RKT_EUlibE_EEviT1_: ; @_ZN2at6native32elementwise_kernel_manual_unrollILi128ELi4EZNS0_22gpu_kernel_impl_nocastIZZZNS0_17expm1_kernel_cudaERNS_18TensorIteratorBaseEENKUlvE_clEvENKUlvE_clEvEUldE_EEvS4_RKT_EUlibE_EEviT1_
; %bb.0:
	s_load_dword s55, s[0:1], 0x0
	s_load_dword s33, s[0:1], 0x8
	s_add_u32 s34, s0, 8
	s_addc_u32 s35, s1, 0
	v_lshl_or_b32 v8, s2, 9, v0
	v_or_b32_e32 v16, 0x180, v8
	s_waitcnt lgkmcnt(0)
	s_add_i32 s54, s33, -1
	s_cmp_gt_u32 s54, 1
	v_cmp_le_i32_e32 vcc, s55, v16
	s_cselect_b64 s[36:37], -1, 0
	s_and_saveexec_b64 s[0:1], vcc
	s_xor_b64 s[38:39], exec, s[0:1]
	s_cbranch_execz .LBB111_8
; %bb.1:
	s_load_dwordx4 s[24:27], s[34:35], 0x4
	s_load_dwordx2 s[40:41], s[34:35], 0x14
	s_load_dwordx4 s[20:23], s[34:35], 0xc4
	s_load_dwordx4 s[16:19], s[34:35], 0x148
	s_cmp_lg_u32 s33, 0
	s_cselect_b64 s[46:47], -1, 0
	s_add_u32 s44, s34, 0xc4
	s_addc_u32 s45, s35, 0
	s_min_u32 s56, s54, 15
	s_cmp_gt_u32 s33, 1
	s_cselect_b64 s[42:43], -1, 0
	v_cmp_gt_i32_e32 vcc, s55, v8
	s_and_saveexec_b64 s[48:49], vcc
	s_cbranch_execz .LBB111_15
; %bb.2:
	s_andn2_b64 vcc, exec, s[36:37]
	s_cbranch_vccnz .LBB111_23
; %bb.3:
	s_andn2_b64 vcc, exec, s[46:47]
	s_cbranch_vccnz .LBB111_75
; %bb.4:
	s_add_i32 s58, s56, 1
	s_cmp_eq_u32 s54, 2
	s_cbranch_scc1 .LBB111_77
; %bb.5:
	s_and_b32 s57, s58, 28
	s_mov_b32 s59, 0
	v_mov_b32_e32 v0, 0
	v_mov_b32_e32 v2, 0
	s_mov_b64 s[50:51], s[34:35]
	s_mov_b64 s[52:53], s[44:45]
	v_mov_b32_e32 v4, v8
.LBB111_6:                              ; =>This Inner Loop Header: Depth=1
	s_load_dwordx8 s[8:15], s[50:51], 0x4
	s_load_dwordx4 s[28:31], s[50:51], 0x24
	s_load_dwordx8 s[0:7], s[52:53], 0x0
	s_add_u32 s50, s50, 48
	s_addc_u32 s51, s51, 0
	s_waitcnt lgkmcnt(0)
	v_mul_hi_u32 v1, s9, v4
	v_add_u32_e32 v1, v4, v1
	v_lshrrev_b32_e32 v1, s10, v1
	v_mul_lo_u32 v3, v1, s8
	v_mul_hi_u32 v5, s12, v1
	v_sub_u32_e32 v3, v4, v3
	v_add_u32_e32 v4, v1, v5
	v_lshrrev_b32_e32 v4, s13, v4
	v_mul_lo_u32 v6, v4, s11
	v_mul_hi_u32 v7, s15, v4
	v_sub_u32_e32 v1, v1, v6
	v_add_u32_e32 v6, v4, v7
	v_mul_lo_u32 v5, v3, s1
	v_mul_lo_u32 v3, v3, s0
	;; [unrolled: 1-line block ×4, first 2 shown]
	v_lshrrev_b32_e32 v6, s28, v6
	v_add3_u32 v0, v3, v0, v1
	v_mul_hi_u32 v3, s30, v6
	v_add3_u32 v1, v5, v2, v7
	v_mul_lo_u32 v2, v6, s14
	v_add_u32_e32 v3, v6, v3
	v_sub_u32_e32 v2, v4, v2
	v_lshrrev_b32_e32 v4, s31, v3
	s_add_i32 s59, s59, 4
	v_mul_lo_u32 v3, v4, s29
	s_add_u32 s52, s52, 32
	v_sub_u32_e32 v3, v6, v3
	s_addc_u32 s53, s53, 0
	v_mul_lo_u32 v5, v2, s4
	v_mul_lo_u32 v2, v2, s5
	;; [unrolled: 1-line block ×4, first 2 shown]
	s_cmp_lg_u32 s57, s59
	v_add3_u32 v2, v2, v1, v3
	v_add3_u32 v0, v5, v0, v6
	s_cbranch_scc1 .LBB111_6
; %bb.7:
	v_mov_b32_e32 v1, v2
	s_branch .LBB111_78
.LBB111_8:
	s_andn2_saveexec_b64 s[0:1], s[38:39]
	s_cbranch_execz .LBB111_104
.LBB111_9:
	v_cndmask_b32_e64 v0, 0, 1, s[36:37]
	v_cmp_ne_u32_e64 s[0:1], 1, v0
	s_andn2_b64 vcc, exec, s[36:37]
	s_cbranch_vccnz .LBB111_22
; %bb.10:
	s_cmp_lg_u32 s33, 0
	s_waitcnt lgkmcnt(0)
	s_mov_b32 s26, 0
	s_cbranch_scc0 .LBB111_25
; %bb.11:
	s_min_u32 s27, s54, 15
	s_add_i32 s27, s27, 1
	s_cmp_eq_u32 s54, 2
	s_cbranch_scc1 .LBB111_26
; %bb.12:
	s_and_b32 s26, s27, 28
	s_add_u32 s2, s34, 0xc4
	s_addc_u32 s3, s35, 0
	s_mov_b32 s28, 0
	v_mov_b32_e32 v0, 0
	v_mov_b32_e32 v2, 0
	s_mov_b64 s[24:25], s[34:35]
	v_mov_b32_e32 v4, v8
.LBB111_13:                             ; =>This Inner Loop Header: Depth=1
	s_load_dwordx8 s[12:19], s[24:25], 0x4
	s_load_dwordx4 s[20:23], s[24:25], 0x24
	s_load_dwordx8 s[4:11], s[2:3], 0x0
	s_add_u32 s24, s24, 48
	s_addc_u32 s25, s25, 0
	s_waitcnt lgkmcnt(0)
	v_mul_hi_u32 v1, s13, v4
	v_add_u32_e32 v1, v4, v1
	v_lshrrev_b32_e32 v1, s14, v1
	v_mul_lo_u32 v3, v1, s12
	v_mul_hi_u32 v5, s16, v1
	v_sub_u32_e32 v3, v4, v3
	v_add_u32_e32 v4, v1, v5
	v_lshrrev_b32_e32 v4, s17, v4
	v_mul_lo_u32 v6, v4, s15
	v_mul_hi_u32 v7, s19, v4
	v_sub_u32_e32 v1, v1, v6
	v_add_u32_e32 v6, v4, v7
	v_mul_lo_u32 v5, v3, s5
	v_mul_lo_u32 v3, v3, s4
	;; [unrolled: 1-line block ×4, first 2 shown]
	v_lshrrev_b32_e32 v6, s20, v6
	v_add3_u32 v0, v3, v0, v1
	v_mul_hi_u32 v3, s22, v6
	v_add3_u32 v1, v5, v2, v7
	v_mul_lo_u32 v2, v6, s18
	v_add_u32_e32 v3, v6, v3
	v_sub_u32_e32 v2, v4, v2
	v_lshrrev_b32_e32 v4, s23, v3
	s_add_i32 s28, s28, 4
	v_mul_lo_u32 v3, v4, s21
	s_add_u32 s2, s2, 32
	v_sub_u32_e32 v3, v6, v3
	s_addc_u32 s3, s3, 0
	v_mul_lo_u32 v5, v2, s8
	v_mul_lo_u32 v2, v2, s9
	;; [unrolled: 1-line block ×4, first 2 shown]
	s_cmp_lg_u32 s26, s28
	v_add3_u32 v2, v2, v1, v3
	v_add3_u32 v0, v5, v0, v6
	s_cbranch_scc1 .LBB111_13
; %bb.14:
	v_mov_b32_e32 v1, v2
	s_and_b32 s6, s27, 3
	s_cmp_eq_u32 s6, 0
	s_cbranch_scc0 .LBB111_27
	s_branch .LBB111_29
.LBB111_15:
	s_or_b64 exec, exec, s[48:49]
	v_cmp_gt_i32_e32 vcc, s55, v8
	s_and_saveexec_b64 s[48:49], vcc
	s_cbranch_execz .LBB111_85
.LBB111_16:
	s_andn2_b64 vcc, exec, s[36:37]
	s_cbranch_vccnz .LBB111_24
; %bb.17:
	s_andn2_b64 vcc, exec, s[46:47]
	s_cbranch_vccnz .LBB111_76
; %bb.18:
	s_add_i32 s58, s56, 1
	s_cmp_eq_u32 s54, 2
	s_cbranch_scc1 .LBB111_94
; %bb.19:
	s_and_b32 s57, s58, 28
	s_mov_b32 s59, 0
	v_mov_b32_e32 v0, 0
	v_mov_b32_e32 v2, 0
	s_mov_b64 s[50:51], s[34:35]
	s_mov_b64 s[52:53], s[44:45]
	v_mov_b32_e32 v4, v8
.LBB111_20:                             ; =>This Inner Loop Header: Depth=1
	s_load_dwordx8 s[8:15], s[50:51], 0x4
	s_load_dwordx4 s[28:31], s[50:51], 0x24
	s_load_dwordx8 s[0:7], s[52:53], 0x0
	s_add_u32 s50, s50, 48
	s_addc_u32 s51, s51, 0
	s_waitcnt lgkmcnt(0)
	v_mul_hi_u32 v1, s9, v4
	v_add_u32_e32 v1, v4, v1
	v_lshrrev_b32_e32 v1, s10, v1
	v_mul_lo_u32 v3, v1, s8
	v_mul_hi_u32 v5, s12, v1
	v_sub_u32_e32 v3, v4, v3
	v_add_u32_e32 v4, v1, v5
	v_lshrrev_b32_e32 v4, s13, v4
	v_mul_lo_u32 v6, v4, s11
	v_mul_hi_u32 v7, s15, v4
	v_sub_u32_e32 v1, v1, v6
	v_add_u32_e32 v6, v4, v7
	v_mul_lo_u32 v5, v3, s1
	v_mul_lo_u32 v3, v3, s0
	;; [unrolled: 1-line block ×4, first 2 shown]
	v_lshrrev_b32_e32 v6, s28, v6
	v_add3_u32 v0, v3, v0, v1
	v_mul_hi_u32 v3, s30, v6
	v_add3_u32 v1, v5, v2, v7
	v_mul_lo_u32 v2, v6, s14
	v_add_u32_e32 v3, v6, v3
	v_sub_u32_e32 v2, v4, v2
	v_lshrrev_b32_e32 v4, s31, v3
	s_add_i32 s59, s59, 4
	v_mul_lo_u32 v3, v4, s29
	s_add_u32 s52, s52, 32
	v_sub_u32_e32 v3, v6, v3
	s_addc_u32 s53, s53, 0
	v_mul_lo_u32 v5, v2, s4
	v_mul_lo_u32 v2, v2, s5
	;; [unrolled: 1-line block ×4, first 2 shown]
	s_cmp_eq_u32 s57, s59
	v_add3_u32 v2, v2, v1, v3
	v_add3_u32 v0, v5, v0, v6
	s_cbranch_scc0 .LBB111_20
; %bb.21:
	v_mov_b32_e32 v1, v2
	s_branch .LBB111_95
.LBB111_22:
                                        ; implicit-def: $vgpr2
                                        ; implicit-def: $vgpr0
	s_branch .LBB111_30
.LBB111_23:
                                        ; implicit-def: $vgpr2
                                        ; implicit-def: $vgpr0
	s_branch .LBB111_82
.LBB111_24:
                                        ; implicit-def: $vgpr2
                                        ; implicit-def: $vgpr0
	s_branch .LBB111_99
.LBB111_25:
	v_mov_b32_e32 v2, 0
	v_mov_b32_e32 v0, 0
	s_branch .LBB111_29
.LBB111_26:
	v_mov_b32_e32 v0, 0
                                        ; implicit-def: $vgpr2
	v_mov_b32_e32 v1, v0
	v_mov_b32_e32 v4, v8
	s_and_b32 s6, s27, 3
	s_cmp_eq_u32 s6, 0
	s_cbranch_scc1 .LBB111_29
.LBB111_27:
	s_lshl_b32 s2, s26, 3
	s_add_u32 s2, s34, s2
	s_addc_u32 s3, s35, 0
	s_add_u32 s2, s2, 0xc4
	s_addc_u32 s3, s3, 0
	s_mul_i32 s4, s26, 12
	s_add_u32 s4, s34, s4
	s_addc_u32 s5, s35, 0
.LBB111_28:                             ; =>This Inner Loop Header: Depth=1
	s_load_dwordx2 s[8:9], s[4:5], 0x4
	s_load_dword s7, s[4:5], 0xc
	s_load_dwordx2 s[10:11], s[2:3], 0x0
	v_mov_b32_e32 v2, v1
	s_add_u32 s4, s4, 12
	s_waitcnt lgkmcnt(0)
	v_mul_hi_u32 v1, s9, v4
	v_add_u32_e32 v1, v4, v1
	v_lshrrev_b32_e32 v1, s7, v1
	s_addc_u32 s5, s5, 0
	v_mul_lo_u32 v3, v1, s8
	s_add_u32 s2, s2, 8
	v_sub_u32_e32 v5, v4, v3
	s_addc_u32 s3, s3, 0
	s_add_i32 s6, s6, -1
	v_mov_b32_e32 v4, v1
	v_mad_u64_u32 v[2:3], s[8:9], v5, s11, v[2:3]
	v_mad_u64_u32 v[0:1], s[8:9], v5, s10, v[0:1]
	s_cmp_lg_u32 s6, 0
	v_mov_b32_e32 v1, v2
	s_cbranch_scc1 .LBB111_28
.LBB111_29:
	s_cbranch_execnz .LBB111_32
.LBB111_30:
	s_load_dwordx4 s[4:7], s[34:35], 0x4
	s_load_dwordx2 s[2:3], s[34:35], 0xc4
	s_cmp_lt_u32 s33, 2
	s_waitcnt lgkmcnt(0)
	v_mul_hi_u32 v0, s5, v8
	v_add_u32_e32 v0, v8, v0
	v_lshrrev_b32_e32 v1, s6, v0
	v_mul_lo_u32 v0, v1, s4
	v_sub_u32_e32 v0, v8, v0
	v_mul_lo_u32 v2, v0, s3
	v_mul_lo_u32 v0, v0, s2
	s_cbranch_scc1 .LBB111_32
; %bb.31:
	s_load_dwordx4 s[4:7], s[34:35], 0x10
	s_load_dwordx2 s[2:3], s[34:35], 0xcc
	s_waitcnt lgkmcnt(0)
	v_mul_hi_u32 v3, s5, v1
	v_add_u32_e32 v3, v1, v3
	v_lshrrev_b32_e32 v3, s6, v3
	v_mul_lo_u32 v3, v3, s4
	v_sub_u32_e32 v3, v1, v3
	v_mad_u64_u32 v[0:1], s[4:5], v3, s2, v[0:1]
	v_mad_u64_u32 v[2:3], s[2:3], v3, s3, v[2:3]
.LBB111_32:
	s_and_b64 vcc, exec, s[0:1]
	v_add_u32_e32 v3, 0x80, v8
	s_cbranch_vccnz .LBB111_38
; %bb.33:
	s_cmp_lg_u32 s33, 0
	s_waitcnt lgkmcnt(0)
	s_mov_b32 s26, 0
	s_cbranch_scc0 .LBB111_39
; %bb.34:
	s_min_u32 s27, s54, 15
	s_add_i32 s27, s27, 1
	s_cmp_eq_u32 s54, 2
	s_cbranch_scc1 .LBB111_40
; %bb.35:
	s_and_b32 s26, s27, 28
	s_add_u32 s2, s34, 0xc4
	s_addc_u32 s3, s35, 0
	s_mov_b32 s28, 0
	v_mov_b32_e32 v4, 0
	v_mov_b32_e32 v6, 0
	s_mov_b64 s[24:25], s[34:35]
	v_mov_b32_e32 v9, v3
.LBB111_36:                             ; =>This Inner Loop Header: Depth=1
	s_load_dwordx8 s[12:19], s[24:25], 0x4
	s_load_dwordx4 s[20:23], s[24:25], 0x24
	s_load_dwordx8 s[4:11], s[2:3], 0x0
	s_add_u32 s24, s24, 48
	s_addc_u32 s25, s25, 0
	s_waitcnt lgkmcnt(0)
	v_mul_hi_u32 v1, s13, v9
	v_add_u32_e32 v1, v9, v1
	v_lshrrev_b32_e32 v1, s14, v1
	v_mul_hi_u32 v7, s16, v1
	v_add_u32_e32 v7, v1, v7
	v_lshrrev_b32_e32 v7, s17, v7
	v_mul_lo_u32 v5, v1, s12
	v_mul_lo_u32 v10, v7, s15
	v_mul_hi_u32 v11, s19, v7
	v_sub_u32_e32 v5, v9, v5
	v_sub_u32_e32 v1, v1, v10
	v_add_u32_e32 v10, v7, v11
	v_mul_lo_u32 v9, v5, s5
	v_mul_lo_u32 v5, v5, s4
	;; [unrolled: 1-line block ×4, first 2 shown]
	v_lshrrev_b32_e32 v10, s20, v10
	v_add3_u32 v1, v5, v4, v1
	v_add3_u32 v4, v9, v6, v11
	v_mul_hi_u32 v6, s22, v10
	v_add_u32_e32 v6, v10, v6
	v_lshrrev_b32_e32 v9, s23, v6
	s_add_i32 s28, s28, 4
	v_mul_lo_u32 v5, v10, s18
	v_mul_lo_u32 v6, v9, s21
	s_add_u32 s2, s2, 32
	v_sub_u32_e32 v5, v7, v5
	v_sub_u32_e32 v6, v10, v6
	s_addc_u32 s3, s3, 0
	v_mul_lo_u32 v7, v5, s8
	v_mul_lo_u32 v5, v5, s9
	;; [unrolled: 1-line block ×4, first 2 shown]
	s_cmp_lg_u32 s26, s28
	v_add3_u32 v6, v5, v4, v6
	v_add3_u32 v4, v7, v1, v10
	s_cbranch_scc1 .LBB111_36
; %bb.37:
	v_mov_b32_e32 v1, v6
	s_and_b32 s6, s27, 3
	s_cmp_eq_u32 s6, 0
	s_cbranch_scc0 .LBB111_41
	s_branch .LBB111_43
.LBB111_38:
                                        ; implicit-def: $vgpr6
                                        ; implicit-def: $vgpr4
	s_branch .LBB111_44
.LBB111_39:
	v_mov_b32_e32 v6, 0
	v_mov_b32_e32 v4, 0
	s_branch .LBB111_43
.LBB111_40:
	v_mov_b32_e32 v4, 0
                                        ; implicit-def: $vgpr6
	v_mov_b32_e32 v1, v4
	v_mov_b32_e32 v9, v3
	s_and_b32 s6, s27, 3
	s_cmp_eq_u32 s6, 0
	s_cbranch_scc1 .LBB111_43
.LBB111_41:
	s_lshl_b32 s2, s26, 3
	s_add_u32 s2, s34, s2
	s_addc_u32 s3, s35, 0
	s_add_u32 s2, s2, 0xc4
	s_addc_u32 s3, s3, 0
	s_mul_i32 s4, s26, 12
	s_add_u32 s4, s34, s4
	s_addc_u32 s5, s35, 0
.LBB111_42:                             ; =>This Inner Loop Header: Depth=1
	s_load_dwordx2 s[8:9], s[4:5], 0x4
	s_load_dword s7, s[4:5], 0xc
	s_load_dwordx2 s[10:11], s[2:3], 0x0
	v_mov_b32_e32 v6, v1
	s_add_u32 s4, s4, 12
	s_waitcnt lgkmcnt(0)
	v_mul_hi_u32 v1, s9, v9
	v_add_u32_e32 v1, v9, v1
	v_lshrrev_b32_e32 v1, s7, v1
	s_addc_u32 s5, s5, 0
	v_mul_lo_u32 v5, v1, s8
	s_add_u32 s2, s2, 8
	v_sub_u32_e32 v5, v9, v5
	s_addc_u32 s3, s3, 0
	s_add_i32 s6, s6, -1
	v_mad_u64_u32 v[6:7], s[8:9], v5, s11, v[6:7]
	s_cmp_lg_u32 s6, 0
	v_mov_b32_e32 v9, v1
	v_mad_u64_u32 v[4:5], s[8:9], v5, s10, v[4:5]
	v_mov_b32_e32 v1, v6
	s_cbranch_scc1 .LBB111_42
.LBB111_43:
	s_cbranch_execnz .LBB111_46
.LBB111_44:
	s_load_dwordx4 s[4:7], s[34:35], 0x4
	s_load_dwordx2 s[2:3], s[34:35], 0xc4
	s_cmp_lt_u32 s33, 2
	s_waitcnt lgkmcnt(0)
	v_mul_hi_u32 v1, s5, v3
	v_add_u32_e32 v1, v3, v1
	v_lshrrev_b32_e32 v1, s6, v1
	v_mul_lo_u32 v4, v1, s4
	v_sub_u32_e32 v3, v3, v4
	v_mul_lo_u32 v6, v3, s3
	v_mul_lo_u32 v4, v3, s2
	s_cbranch_scc1 .LBB111_46
; %bb.45:
	s_load_dwordx4 s[4:7], s[34:35], 0x10
	s_load_dwordx2 s[2:3], s[34:35], 0xcc
	s_waitcnt lgkmcnt(0)
	v_mul_hi_u32 v3, s5, v1
	v_add_u32_e32 v3, v1, v3
	v_lshrrev_b32_e32 v3, s6, v3
	v_mul_lo_u32 v3, v3, s4
	v_sub_u32_e32 v1, v1, v3
	v_mad_u64_u32 v[4:5], s[4:5], v1, s2, v[4:5]
	v_mad_u64_u32 v[6:7], s[2:3], v1, s3, v[6:7]
.LBB111_46:
	s_and_b64 vcc, exec, s[0:1]
	v_add_u32_e32 v3, 0x100, v8
	s_cbranch_vccnz .LBB111_52
; %bb.47:
	s_cmp_lg_u32 s33, 0
	s_waitcnt lgkmcnt(0)
	s_mov_b32 s26, 0
	s_cbranch_scc0 .LBB111_53
; %bb.48:
	s_min_u32 s27, s54, 15
	s_add_i32 s27, s27, 1
	s_cmp_eq_u32 s54, 2
	s_cbranch_scc1 .LBB111_54
; %bb.49:
	s_and_b32 s26, s27, 28
	s_add_u32 s2, s34, 0xc4
	s_addc_u32 s3, s35, 0
	s_mov_b32 s28, 0
	v_mov_b32_e32 v8, 0
	v_mov_b32_e32 v10, 0
	s_mov_b64 s[24:25], s[34:35]
	v_mov_b32_e32 v5, v3
.LBB111_50:                             ; =>This Inner Loop Header: Depth=1
	s_load_dwordx8 s[12:19], s[24:25], 0x4
	s_load_dwordx4 s[20:23], s[24:25], 0x24
	s_load_dwordx8 s[4:11], s[2:3], 0x0
	s_add_u32 s24, s24, 48
	s_addc_u32 s25, s25, 0
	s_waitcnt lgkmcnt(0)
	v_mul_hi_u32 v1, s13, v5
	v_add_u32_e32 v1, v5, v1
	v_lshrrev_b32_e32 v1, s14, v1
	v_mul_lo_u32 v7, v1, s12
	v_mul_hi_u32 v9, s16, v1
	v_sub_u32_e32 v5, v5, v7
	v_add_u32_e32 v7, v1, v9
	v_lshrrev_b32_e32 v7, s17, v7
	v_mul_lo_u32 v11, v7, s15
	v_mul_hi_u32 v12, s19, v7
	v_sub_u32_e32 v1, v1, v11
	v_add_u32_e32 v11, v7, v12
	v_mul_lo_u32 v9, v5, s5
	v_mul_lo_u32 v5, v5, s4
	;; [unrolled: 1-line block ×4, first 2 shown]
	v_lshrrev_b32_e32 v11, s20, v11
	v_add3_u32 v1, v5, v8, v1
	v_add3_u32 v8, v9, v10, v12
	v_mul_lo_u32 v5, v11, s18
	v_mul_hi_u32 v9, s22, v11
	v_sub_u32_e32 v5, v7, v5
	v_add_u32_e32 v7, v11, v9
	v_mul_lo_u32 v9, v5, s8
	v_mul_lo_u32 v10, v5, s9
	v_lshrrev_b32_e32 v5, s23, v7
	s_add_i32 s28, s28, 4
	v_mul_lo_u32 v7, v5, s21
	s_add_u32 s2, s2, 32
	v_sub_u32_e32 v7, v11, v7
	s_addc_u32 s3, s3, 0
	v_mul_lo_u32 v11, v7, s10
	v_mul_lo_u32 v7, v7, s11
	s_cmp_lg_u32 s26, s28
	v_add3_u32 v10, v10, v8, v7
	v_add3_u32 v8, v9, v1, v11
	s_cbranch_scc1 .LBB111_50
; %bb.51:
	v_mov_b32_e32 v1, v10
	s_and_b32 s6, s27, 3
	s_cmp_eq_u32 s6, 0
	s_cbranch_scc0 .LBB111_55
	s_branch .LBB111_57
.LBB111_52:
                                        ; implicit-def: $vgpr10
                                        ; implicit-def: $vgpr8
	s_branch .LBB111_58
.LBB111_53:
	v_mov_b32_e32 v10, 0
	v_mov_b32_e32 v8, 0
	s_branch .LBB111_57
.LBB111_54:
	v_mov_b32_e32 v8, 0
                                        ; implicit-def: $vgpr10
	v_mov_b32_e32 v1, v8
	v_mov_b32_e32 v5, v3
	s_and_b32 s6, s27, 3
	s_cmp_eq_u32 s6, 0
	s_cbranch_scc1 .LBB111_57
.LBB111_55:
	s_lshl_b32 s2, s26, 3
	s_add_u32 s2, s34, s2
	s_addc_u32 s3, s35, 0
	s_add_u32 s2, s2, 0xc4
	s_addc_u32 s3, s3, 0
	s_mul_i32 s4, s26, 12
	s_add_u32 s4, s34, s4
	s_addc_u32 s5, s35, 0
.LBB111_56:                             ; =>This Inner Loop Header: Depth=1
	s_load_dwordx2 s[8:9], s[4:5], 0x4
	s_load_dword s7, s[4:5], 0xc
	s_load_dwordx2 s[10:11], s[2:3], 0x0
	v_mov_b32_e32 v10, v1
	s_add_u32 s4, s4, 12
	s_waitcnt lgkmcnt(0)
	v_mul_hi_u32 v1, s9, v5
	v_add_u32_e32 v1, v5, v1
	v_lshrrev_b32_e32 v1, s7, v1
	s_addc_u32 s5, s5, 0
	v_mul_lo_u32 v7, v1, s8
	s_add_u32 s2, s2, 8
	v_sub_u32_e32 v7, v5, v7
	s_addc_u32 s3, s3, 0
	s_add_i32 s6, s6, -1
	v_mad_u64_u32 v[10:11], s[8:9], v7, s11, v[10:11]
	s_cmp_lg_u32 s6, 0
	v_mov_b32_e32 v5, v1
	v_mad_u64_u32 v[8:9], s[8:9], v7, s10, v[8:9]
	v_mov_b32_e32 v1, v10
	s_cbranch_scc1 .LBB111_56
.LBB111_57:
	s_cbranch_execnz .LBB111_60
.LBB111_58:
	s_load_dwordx4 s[4:7], s[34:35], 0x4
	s_load_dwordx2 s[2:3], s[34:35], 0xc4
	s_cmp_lt_u32 s33, 2
	s_waitcnt lgkmcnt(0)
	v_mul_hi_u32 v1, s5, v3
	v_add_u32_e32 v1, v3, v1
	v_lshrrev_b32_e32 v1, s6, v1
	v_mul_lo_u32 v5, v1, s4
	v_sub_u32_e32 v3, v3, v5
	v_mul_lo_u32 v10, v3, s3
	v_mul_lo_u32 v8, v3, s2
	s_cbranch_scc1 .LBB111_60
; %bb.59:
	s_load_dwordx4 s[4:7], s[34:35], 0x10
	s_load_dwordx2 s[2:3], s[34:35], 0xcc
	s_waitcnt lgkmcnt(0)
	v_mul_hi_u32 v3, s5, v1
	v_add_u32_e32 v3, v1, v3
	v_lshrrev_b32_e32 v3, s6, v3
	v_mul_lo_u32 v3, v3, s4
	v_sub_u32_e32 v1, v1, v3
	v_mad_u64_u32 v[8:9], s[4:5], v1, s2, v[8:9]
	v_mad_u64_u32 v[10:11], s[2:3], v1, s3, v[10:11]
.LBB111_60:
	s_and_b64 vcc, exec, s[0:1]
	s_cbranch_vccnz .LBB111_66
; %bb.61:
	s_cmp_lg_u32 s33, 0
	s_waitcnt lgkmcnt(0)
	s_mov_b32 s24, 0
	s_cbranch_scc0 .LBB111_67
; %bb.62:
	s_min_u32 s25, s54, 15
	s_add_i32 s25, s25, 1
	s_cmp_eq_u32 s54, 2
	s_cbranch_scc1 .LBB111_68
; %bb.63:
	s_and_b32 s24, s25, 28
	s_add_u32 s20, s34, 0xc4
	s_addc_u32 s21, s35, 0
	s_mov_b32 s26, 0
	v_mov_b32_e32 v12, 0
	v_mov_b32_e32 v14, 0
	s_mov_b64 s[22:23], s[34:35]
	v_mov_b32_e32 v3, v16
.LBB111_64:                             ; =>This Inner Loop Header: Depth=1
	s_load_dwordx8 s[8:15], s[22:23], 0x4
	s_load_dwordx4 s[16:19], s[22:23], 0x24
	s_load_dwordx8 s[0:7], s[20:21], 0x0
	s_add_u32 s22, s22, 48
	s_addc_u32 s23, s23, 0
	s_waitcnt lgkmcnt(0)
	v_mul_hi_u32 v1, s9, v3
	v_add_u32_e32 v1, v3, v1
	v_lshrrev_b32_e32 v1, s10, v1
	v_mul_lo_u32 v5, v1, s8
	v_mul_hi_u32 v7, s12, v1
	v_sub_u32_e32 v3, v3, v5
	v_add_u32_e32 v5, v1, v7
	v_lshrrev_b32_e32 v5, s13, v5
	v_mul_lo_u32 v9, v5, s11
	v_mul_hi_u32 v11, s15, v5
	v_sub_u32_e32 v1, v1, v9
	v_add_u32_e32 v9, v5, v11
	v_mul_lo_u32 v7, v3, s1
	v_mul_lo_u32 v3, v3, s0
	;; [unrolled: 1-line block ×4, first 2 shown]
	v_lshrrev_b32_e32 v9, s16, v9
	v_add3_u32 v1, v3, v12, v1
	v_add3_u32 v7, v7, v14, v11
	v_mul_lo_u32 v3, v9, s14
	v_mul_hi_u32 v11, s18, v9
	v_sub_u32_e32 v3, v5, v3
	v_add_u32_e32 v5, v9, v11
	v_mul_lo_u32 v11, v3, s4
	v_mul_lo_u32 v12, v3, s5
	v_lshrrev_b32_e32 v3, s19, v5
	s_add_i32 s26, s26, 4
	v_mul_lo_u32 v5, v3, s17
	s_add_u32 s20, s20, 32
	v_sub_u32_e32 v5, v9, v5
	s_addc_u32 s21, s21, 0
	v_mul_lo_u32 v9, v5, s6
	v_mul_lo_u32 v5, v5, s7
	s_cmp_lg_u32 s24, s26
	v_add3_u32 v14, v12, v7, v5
	v_add3_u32 v12, v11, v1, v9
	s_cbranch_scc1 .LBB111_64
; %bb.65:
	v_mov_b32_e32 v1, v14
	s_and_b32 s4, s25, 3
	s_cmp_eq_u32 s4, 0
	s_cbranch_scc0 .LBB111_69
	s_branch .LBB111_71
.LBB111_66:
                                        ; implicit-def: $vgpr14
                                        ; implicit-def: $vgpr12
	s_branch .LBB111_72
.LBB111_67:
	v_mov_b32_e32 v14, 0
	v_mov_b32_e32 v12, 0
	s_branch .LBB111_71
.LBB111_68:
	v_mov_b32_e32 v12, 0
                                        ; implicit-def: $vgpr14
	v_mov_b32_e32 v1, v12
	v_mov_b32_e32 v3, v16
	s_and_b32 s4, s25, 3
	s_cmp_eq_u32 s4, 0
	s_cbranch_scc1 .LBB111_71
.LBB111_69:
	s_lshl_b32 s0, s24, 3
	s_add_u32 s0, s34, s0
	s_addc_u32 s1, s35, 0
	s_add_u32 s0, s0, 0xc4
	s_addc_u32 s1, s1, 0
	s_mul_i32 s2, s24, 12
	s_add_u32 s2, s34, s2
	s_addc_u32 s3, s35, 0
.LBB111_70:                             ; =>This Inner Loop Header: Depth=1
	s_load_dwordx2 s[6:7], s[2:3], 0x4
	s_load_dword s5, s[2:3], 0xc
	s_load_dwordx2 s[8:9], s[0:1], 0x0
	v_mov_b32_e32 v14, v1
	s_add_u32 s2, s2, 12
	s_waitcnt lgkmcnt(0)
	v_mul_hi_u32 v1, s7, v3
	v_add_u32_e32 v1, v3, v1
	v_lshrrev_b32_e32 v1, s5, v1
	s_addc_u32 s3, s3, 0
	v_mul_lo_u32 v5, v1, s6
	s_add_u32 s0, s0, 8
	v_sub_u32_e32 v5, v3, v5
	s_addc_u32 s1, s1, 0
	s_add_i32 s4, s4, -1
	v_mad_u64_u32 v[14:15], s[6:7], v5, s9, v[14:15]
	s_cmp_lg_u32 s4, 0
	v_mov_b32_e32 v3, v1
	v_mad_u64_u32 v[12:13], s[6:7], v5, s8, v[12:13]
	v_mov_b32_e32 v1, v14
	s_cbranch_scc1 .LBB111_70
.LBB111_71:
	s_cbranch_execnz .LBB111_74
.LBB111_72:
	s_load_dwordx4 s[0:3], s[34:35], 0x4
	s_load_dwordx2 s[4:5], s[34:35], 0xc4
	s_cmp_lt_u32 s33, 2
	s_waitcnt lgkmcnt(0)
	v_mul_hi_u32 v1, s1, v16
	v_add_u32_e32 v1, v16, v1
	v_lshrrev_b32_e32 v1, s2, v1
	v_mul_lo_u32 v3, v1, s0
	v_sub_u32_e32 v3, v16, v3
	v_mul_lo_u32 v14, v3, s5
	v_mul_lo_u32 v12, v3, s4
	s_cbranch_scc1 .LBB111_74
; %bb.73:
	s_load_dwordx4 s[0:3], s[34:35], 0x10
	s_load_dwordx2 s[4:5], s[34:35], 0xcc
	s_waitcnt lgkmcnt(0)
	v_mul_hi_u32 v3, s1, v1
	v_add_u32_e32 v3, v1, v3
	v_lshrrev_b32_e32 v3, s2, v3
	v_mul_lo_u32 v3, v3, s0
	v_sub_u32_e32 v1, v1, v3
	v_mad_u64_u32 v[12:13], s[0:1], v1, s4, v[12:13]
	v_mad_u64_u32 v[14:15], s[0:1], v1, s5, v[14:15]
.LBB111_74:
	s_load_dwordx4 s[4:7], s[34:35], 0x148
	s_mov_b32 s30, 0x652b82fe
	s_mov_b32 s31, 0x3ff71547
	;; [unrolled: 1-line block ×4, first 2 shown]
	s_waitcnt lgkmcnt(0)
	global_load_dwordx2 v[16:17], v2, s[6:7]
	global_load_dwordx2 v[18:19], v6, s[6:7]
	;; [unrolled: 1-line block ×3, first 2 shown]
	s_mov_b32 s8, 0x3b39803f
	global_load_dwordx2 v[6:7], v14, s[6:7]
	s_mov_b32 s0, 0x2a1b768b
	s_mov_b32 s9, 0xbc7abc9e
	;; [unrolled: 1-line block ×8, first 2 shown]
	v_mov_b64_e32 v[2:3], s[0:1]
	s_mov_b32 s13, 0x3e927e50
	s_mov_b32 s14, 0x1b889c29
	v_mov_b32_e32 v1, 0x7fe00000
	s_mov_b32 s15, 0x3ec71de0
	s_mov_b32 s16, 0x197bcfd8
	;; [unrolled: 1-line block ×17, first 2 shown]
	v_mov_b32_e32 v5, 0x7ff00000
	v_mov_b32_e32 v9, 0xbff00000
	s_waitcnt vmcnt(3)
	v_mul_f64 v[10:11], v[16:17], s[30:31]
	s_waitcnt vmcnt(2)
	v_mul_f64 v[14:15], v[18:19], s[30:31]
	v_rndne_f64_e32 v[10:11], v[10:11]
	v_rndne_f64_e32 v[14:15], v[14:15]
	v_fma_f64 v[24:25], s[28:29], v[10:11], v[16:17]
	v_cvt_i32_f64_e32 v30, v[14:15]
	v_fmac_f64_e32 v[24:25], s[8:9], v[10:11]
	v_cvt_i32_f64_e32 v13, v[10:11]
	v_fma_f64 v[26:27], s[28:29], v[14:15], v[18:19]
	v_ldexp_f64 v[30:31], 1.0, v30
	v_fma_f64 v[32:33], s[10:11], v[24:25], v[2:3]
	v_cmp_eq_f64_e64 s[0:1], s[38:39], v[14:15]
	v_ldexp_f64 v[28:29], 1.0, v13
	v_fmac_f64_e32 v[26:27], s[8:9], v[14:15]
	v_cmp_eq_f64_e32 vcc, s[38:39], v[10:11]
	v_cndmask_b32_e64 v15, v31, v1, s[0:1]
	v_cndmask_b32_e64 v14, v30, 0, s[0:1]
	v_fma_f64 v[30:31], v[24:25], v[32:33], s[12:13]
	v_cndmask_b32_e32 v11, v29, v1, vcc
	v_cndmask_b32_e64 v10, v28, 0, vcc
	v_fma_f64 v[28:29], s[10:11], v[26:27], v[2:3]
	v_fma_f64 v[30:31], v[24:25], v[30:31], s[14:15]
	;; [unrolled: 1-line block ×15, first 2 shown]
	v_fma_f64 v[30:31], v[24:25], v[30:31], 0.5
	v_fma_f64 v[28:29], v[26:27], v[28:29], s[26:27]
	v_mul_f64 v[30:31], v[24:25], v[30:31]
	v_add_f64 v[32:33], v[10:11], -1.0
	v_fma_f64 v[28:29], v[26:27], v[28:29], 0.5
	v_fmac_f64_e32 v[24:25], v[24:25], v[30:31]
	v_mul_f64 v[28:29], v[26:27], v[28:29]
	v_fmac_f64_e32 v[32:33], v[10:11], v[24:25]
	v_add_f64 v[34:35], v[14:15], -1.0
	v_fmac_f64_e32 v[26:27], v[26:27], v[28:29]
	v_add_f64 v[10:11], v[32:33], v[32:33]
	s_waitcnt vmcnt(1)
	v_mul_f64 v[22:23], v[20:21], s[30:31]
	v_fmac_f64_e32 v[34:35], v[14:15], v[26:27]
	v_cndmask_b32_e32 v10, v32, v10, vcc
	v_cndmask_b32_e32 v11, v33, v11, vcc
	v_cmp_nlt_f64_e32 vcc, s[34:35], v[16:17]
	v_cmp_ngt_f64_e64 s[2:3], s[36:37], v[16:17]
	v_add_f64 v[14:15], v[34:35], v[34:35]
	v_cndmask_b32_e32 v11, v5, v11, vcc
	s_and_b64 vcc, s[2:3], vcc
	v_rndne_f64_e32 v[16:17], v[22:23]
	v_cndmask_b32_e64 v13, v34, v14, s[0:1]
	v_cndmask_b32_e64 v14, v35, v15, s[0:1]
	v_cmp_nlt_f64_e64 s[0:1], s[34:35], v[18:19]
	v_cndmask_b32_e32 v10, 0, v10, vcc
	v_cmp_ngt_f64_e32 vcc, s[36:37], v[18:19]
	v_fma_f64 v[18:19], s[28:29], v[16:17], v[20:21]
	v_fmac_f64_e32 v[18:19], s[8:9], v[16:17]
	v_fma_f64 v[22:23], s[10:11], v[18:19], v[2:3]
	v_fma_f64 v[22:23], v[18:19], v[22:23], s[12:13]
	;; [unrolled: 1-line block ×8, first 2 shown]
	v_cndmask_b32_e64 v14, v5, v14, s[0:1]
	v_fma_f64 v[22:23], v[18:19], v[22:23], s[26:27]
	v_cndmask_b32_e32 v15, v9, v14, vcc
	s_and_b64 vcc, vcc, s[0:1]
	v_fma_f64 v[22:23], v[18:19], v[22:23], 0.5
	v_cndmask_b32_e32 v14, 0, v13, vcc
	v_mul_f64 v[22:23], v[18:19], v[22:23]
	v_cvt_i32_f64_e32 v13, v[16:17]
	v_fmac_f64_e32 v[18:19], v[18:19], v[22:23]
	v_ldexp_f64 v[22:23], 1.0, v13
	v_cmp_eq_f64_e32 vcc, s[38:39], v[16:17]
	v_cmp_ngt_f64_e64 s[0:1], s[36:37], v[20:21]
	v_cndmask_b32_e64 v11, v9, v11, s[2:3]
	v_cndmask_b32_e32 v17, v23, v1, vcc
	v_cndmask_b32_e64 v16, v22, 0, vcc
	v_add_f64 v[22:23], v[16:17], -1.0
	v_fmac_f64_e32 v[22:23], v[16:17], v[18:19]
	s_waitcnt vmcnt(0)
	v_mul_f64 v[18:19], v[6:7], s[30:31]
	v_add_f64 v[16:17], v[22:23], v[22:23]
	v_rndne_f64_e32 v[18:19], v[18:19]
	v_cndmask_b32_e32 v13, v22, v16, vcc
	v_cndmask_b32_e32 v16, v23, v17, vcc
	v_cmp_nlt_f64_e32 vcc, s[34:35], v[20:21]
	v_fma_f64 v[20:21], s[28:29], v[18:19], v[6:7]
	v_fmac_f64_e32 v[20:21], s[8:9], v[18:19]
	v_fmac_f64_e32 v[2:3], s[10:11], v[20:21]
	v_fma_f64 v[2:3], v[20:21], v[2:3], s[12:13]
	v_fma_f64 v[2:3], v[20:21], v[2:3], s[14:15]
	;; [unrolled: 1-line block ×8, first 2 shown]
	v_fma_f64 v[2:3], v[20:21], v[2:3], 0.5
	v_mul_f64 v[2:3], v[20:21], v[2:3]
	v_cndmask_b32_e32 v16, v5, v16, vcc
	s_and_b64 vcc, s[0:1], vcc
	v_fmac_f64_e32 v[20:21], v[20:21], v[2:3]
	v_cvt_i32_f64_e32 v2, v[18:19]
	v_cndmask_b32_e64 v17, v9, v16, s[0:1]
	v_cndmask_b32_e32 v16, 0, v13, vcc
	v_ldexp_f64 v[2:3], 1.0, v2
	v_cmp_eq_f64_e32 vcc, s[38:39], v[18:19]
	v_cmp_ngt_f64_e64 s[0:1], s[36:37], v[6:7]
	s_nop 0
	v_cndmask_b32_e32 v3, v3, v1, vcc
	v_cndmask_b32_e64 v2, v2, 0, vcc
	v_add_f64 v[18:19], v[2:3], -1.0
	v_fmac_f64_e32 v[18:19], v[2:3], v[20:21]
	v_add_f64 v[2:3], v[18:19], v[18:19]
	v_cndmask_b32_e32 v1, v18, v2, vcc
	v_cndmask_b32_e32 v2, v19, v3, vcc
	v_cmp_nlt_f64_e32 vcc, s[34:35], v[6:7]
	s_nop 1
	v_cndmask_b32_e32 v2, v5, v2, vcc
	s_and_b64 vcc, s[0:1], vcc
	v_cndmask_b32_e64 v3, v9, v2, s[0:1]
	v_cndmask_b32_e32 v2, 0, v1, vcc
	global_store_dwordx2 v0, v[10:11], s[4:5]
	global_store_dwordx2 v4, v[14:15], s[4:5]
	;; [unrolled: 1-line block ×4, first 2 shown]
	s_endpgm
.LBB111_75:
	v_mov_b32_e32 v2, 0
	v_mov_b32_e32 v0, 0
	s_branch .LBB111_81
.LBB111_76:
	v_mov_b32_e32 v2, 0
	v_mov_b32_e32 v0, 0
	s_branch .LBB111_98
.LBB111_77:
	v_mov_b32_e32 v0, 0
	s_mov_b32 s57, 0
	v_mov_b32_e32 v1, v0
                                        ; implicit-def: $vgpr2
	v_mov_b32_e32 v4, v8
.LBB111_78:
	s_and_b32 s4, s58, 3
	s_cmp_eq_u32 s4, 0
	s_cbranch_scc1 .LBB111_81
; %bb.79:
	s_lshl_b32 s0, s57, 3
	s_add_u32 s0, s34, s0
	s_addc_u32 s1, s35, 0
	s_add_u32 s0, s0, 0xc4
	s_addc_u32 s1, s1, 0
	s_mul_i32 s2, s57, 12
	s_add_u32 s2, s34, s2
	s_addc_u32 s3, s35, 0
.LBB111_80:                             ; =>This Inner Loop Header: Depth=1
	s_load_dwordx2 s[6:7], s[2:3], 0x4
	s_load_dword s5, s[2:3], 0xc
	s_load_dwordx2 s[8:9], s[0:1], 0x0
	v_mov_b32_e32 v2, v1
	s_add_u32 s2, s2, 12
	s_waitcnt lgkmcnt(0)
	v_mul_hi_u32 v1, s7, v4
	v_add_u32_e32 v1, v4, v1
	v_lshrrev_b32_e32 v1, s5, v1
	s_addc_u32 s3, s3, 0
	v_mul_lo_u32 v3, v1, s6
	s_add_u32 s0, s0, 8
	v_sub_u32_e32 v5, v4, v3
	s_addc_u32 s1, s1, 0
	s_add_i32 s4, s4, -1
	v_mov_b32_e32 v4, v1
	v_mad_u64_u32 v[2:3], s[6:7], v5, s9, v[2:3]
	v_mad_u64_u32 v[0:1], s[6:7], v5, s8, v[0:1]
	s_cmp_lg_u32 s4, 0
	v_mov_b32_e32 v1, v2
	s_cbranch_scc1 .LBB111_80
.LBB111_81:
	s_cbranch_execnz .LBB111_84
.LBB111_82:
	s_waitcnt lgkmcnt(0)
	v_mul_hi_u32 v0, s25, v8
	v_add_u32_e32 v0, v8, v0
	v_lshrrev_b32_e32 v1, s26, v0
	v_mul_lo_u32 v0, v1, s24
	v_sub_u32_e32 v0, v8, v0
	v_mul_lo_u32 v2, v0, s21
	s_andn2_b64 vcc, exec, s[42:43]
	v_mul_lo_u32 v0, v0, s20
	s_cbranch_vccnz .LBB111_84
; %bb.83:
	v_mul_hi_u32 v3, s40, v1
	v_add_u32_e32 v3, v1, v3
	v_lshrrev_b32_e32 v3, s41, v3
	v_mul_lo_u32 v3, v3, s27
	v_sub_u32_e32 v3, v1, v3
	v_mad_u64_u32 v[0:1], s[0:1], v3, s22, v[0:1]
	v_mad_u64_u32 v[2:3], s[0:1], v3, s23, v[2:3]
.LBB111_84:
	s_waitcnt lgkmcnt(0)
	global_load_dwordx2 v[2:3], v2, s[18:19]
	s_mov_b32 s2, 0x652b82fe
	s_mov_b32 s3, 0x3ff71547
	;; [unrolled: 1-line block ×7, first 2 shown]
	v_mov_b32_e32 v4, 0x2a1b768b
	v_mov_b32_e32 v5, 0x3e5af4eb
	s_mov_b32 s7, 0x3e21f32e
	v_mov_b32_e32 v6, 0xe0ac05b
	v_mov_b32_e32 v7, 0x3e927e50
	;; [unrolled: 1-line block ×16, first 2 shown]
	s_mov_b32 s8, 0
	s_mov_b32 s9, 0x40900000
	v_mov_b32_e32 v1, 0x7fe00000
	s_mov_b32 s10, 0
	s_mov_b32 s11, 0xc0428000
	v_mov_b32_e32 v9, 0x7ff00000
	v_mov_b32_e32 v30, 0xbff00000
	v_add_u32_e32 v8, 0x80, v8
	s_waitcnt vmcnt(0)
	v_mul_f64 v[24:25], v[2:3], s[2:3]
	v_rndne_f64_e32 v[24:25], v[24:25]
	v_fma_f64 v[26:27], s[0:1], v[24:25], v[2:3]
	v_fmac_f64_e32 v[26:27], s[4:5], v[24:25]
	v_fmac_f64_e32 v[4:5], s[6:7], v[26:27]
	;; [unrolled: 1-line block ×9, first 2 shown]
	v_cvt_i32_f64_e32 v28, v[24:25]
	v_fmac_f64_e32 v[22:23], v[26:27], v[20:21]
	v_ldexp_f64 v[28:29], 1.0, v28
	v_cmp_eq_f64_e32 vcc, s[8:9], v[24:25]
	v_fma_f64 v[6:7], v[26:27], v[22:23], 0.5
	v_mul_f64 v[6:7], v[26:27], v[6:7]
	v_cndmask_b32_e32 v25, v29, v1, vcc
	v_cndmask_b32_e64 v24, v28, 0, vcc
	v_add_f64 v[4:5], v[24:25], -1.0
	v_fmac_f64_e32 v[26:27], v[26:27], v[6:7]
	v_fmac_f64_e32 v[4:5], v[24:25], v[26:27]
	s_mov_b32 s1, 0x40862e42
	v_add_f64 v[6:7], v[4:5], v[4:5]
	v_cndmask_b32_e32 v1, v4, v6, vcc
	v_cndmask_b32_e32 v4, v5, v7, vcc
	v_cmp_nlt_f64_e32 vcc, s[0:1], v[2:3]
	v_cmp_ngt_f64_e64 s[0:1], s[10:11], v[2:3]
	s_nop 0
	v_cndmask_b32_e32 v4, v9, v4, vcc
	s_and_b64 vcc, s[0:1], vcc
	v_cndmask_b32_e64 v3, v30, v4, s[0:1]
	v_cndmask_b32_e32 v2, 0, v1, vcc
	global_store_dwordx2 v0, v[2:3], s[16:17]
	s_or_b64 exec, exec, s[48:49]
	v_cmp_gt_i32_e32 vcc, s55, v8
	s_and_saveexec_b64 s[48:49], vcc
	s_cbranch_execnz .LBB111_16
.LBB111_85:
	s_or_b64 exec, exec, s[48:49]
	v_cmp_gt_i32_e32 vcc, s55, v8
	s_and_saveexec_b64 s[48:49], vcc
	s_cbranch_execz .LBB111_102
.LBB111_86:
	s_andn2_b64 vcc, exec, s[36:37]
	s_cbranch_vccnz .LBB111_92
; %bb.87:
	s_andn2_b64 vcc, exec, s[46:47]
	s_cbranch_vccnz .LBB111_93
; %bb.88:
	s_add_i32 s58, s56, 1
	s_cmp_eq_u32 s54, 2
	s_cbranch_scc1 .LBB111_105
; %bb.89:
	s_and_b32 s57, s58, 28
	s_mov_b32 s59, 0
	v_mov_b32_e32 v0, 0
	v_mov_b32_e32 v2, 0
	s_mov_b64 s[50:51], s[34:35]
	s_mov_b64 s[52:53], s[44:45]
	v_mov_b32_e32 v4, v8
.LBB111_90:                             ; =>This Inner Loop Header: Depth=1
	s_load_dwordx8 s[8:15], s[50:51], 0x4
	s_load_dwordx4 s[28:31], s[50:51], 0x24
	s_load_dwordx8 s[0:7], s[52:53], 0x0
	s_add_u32 s50, s50, 48
	s_addc_u32 s51, s51, 0
	s_waitcnt lgkmcnt(0)
	v_mul_hi_u32 v1, s9, v4
	v_add_u32_e32 v1, v4, v1
	v_lshrrev_b32_e32 v1, s10, v1
	v_mul_lo_u32 v3, v1, s8
	v_mul_hi_u32 v5, s12, v1
	v_sub_u32_e32 v3, v4, v3
	v_add_u32_e32 v4, v1, v5
	v_lshrrev_b32_e32 v4, s13, v4
	v_mul_lo_u32 v6, v4, s11
	v_mul_hi_u32 v7, s15, v4
	v_sub_u32_e32 v1, v1, v6
	v_add_u32_e32 v6, v4, v7
	v_mul_lo_u32 v5, v3, s1
	v_mul_lo_u32 v3, v3, s0
	;; [unrolled: 1-line block ×4, first 2 shown]
	v_lshrrev_b32_e32 v6, s28, v6
	v_add3_u32 v0, v3, v0, v1
	v_mul_hi_u32 v3, s30, v6
	v_add3_u32 v1, v5, v2, v7
	v_mul_lo_u32 v2, v6, s14
	v_add_u32_e32 v3, v6, v3
	v_sub_u32_e32 v2, v4, v2
	v_lshrrev_b32_e32 v4, s31, v3
	s_add_i32 s59, s59, 4
	v_mul_lo_u32 v3, v4, s29
	s_add_u32 s52, s52, 32
	v_sub_u32_e32 v3, v6, v3
	s_addc_u32 s53, s53, 0
	v_mul_lo_u32 v5, v2, s4
	v_mul_lo_u32 v2, v2, s5
	;; [unrolled: 1-line block ×4, first 2 shown]
	s_cmp_eq_u32 s57, s59
	v_add3_u32 v2, v2, v1, v3
	v_add3_u32 v0, v5, v0, v6
	s_cbranch_scc0 .LBB111_90
; %bb.91:
	v_mov_b32_e32 v1, v2
	s_branch .LBB111_106
.LBB111_92:
                                        ; implicit-def: $vgpr2
                                        ; implicit-def: $vgpr0
	s_branch .LBB111_110
.LBB111_93:
	v_mov_b32_e32 v2, 0
	v_mov_b32_e32 v0, 0
	s_branch .LBB111_109
.LBB111_94:
	v_mov_b32_e32 v0, 0
	s_mov_b32 s57, 0
	v_mov_b32_e32 v1, v0
                                        ; implicit-def: $vgpr2
	v_mov_b32_e32 v4, v8
.LBB111_95:
	s_and_b32 s4, s58, 3
	s_cmp_eq_u32 s4, 0
	s_cbranch_scc1 .LBB111_98
; %bb.96:
	s_lshl_b32 s0, s57, 3
	s_add_u32 s0, s34, s0
	s_addc_u32 s1, s35, 0
	s_add_u32 s0, s0, 0xc4
	s_addc_u32 s1, s1, 0
	s_mul_i32 s2, s57, 12
	s_add_u32 s2, s34, s2
	s_addc_u32 s3, s35, 0
.LBB111_97:                             ; =>This Inner Loop Header: Depth=1
	s_load_dwordx2 s[6:7], s[2:3], 0x4
	s_load_dword s5, s[2:3], 0xc
	s_load_dwordx2 s[8:9], s[0:1], 0x0
	v_mov_b32_e32 v2, v1
	s_add_u32 s2, s2, 12
	s_waitcnt lgkmcnt(0)
	v_mul_hi_u32 v1, s7, v4
	v_add_u32_e32 v1, v4, v1
	v_lshrrev_b32_e32 v1, s5, v1
	s_addc_u32 s3, s3, 0
	v_mul_lo_u32 v3, v1, s6
	s_add_u32 s0, s0, 8
	v_sub_u32_e32 v5, v4, v3
	s_addc_u32 s1, s1, 0
	s_add_i32 s4, s4, -1
	v_mov_b32_e32 v4, v1
	v_mad_u64_u32 v[2:3], s[6:7], v5, s9, v[2:3]
	v_mad_u64_u32 v[0:1], s[6:7], v5, s8, v[0:1]
	s_cmp_lg_u32 s4, 0
	v_mov_b32_e32 v1, v2
	s_cbranch_scc1 .LBB111_97
.LBB111_98:
	s_cbranch_execnz .LBB111_101
.LBB111_99:
	s_waitcnt lgkmcnt(0)
	v_mul_hi_u32 v0, s25, v8
	v_add_u32_e32 v0, v8, v0
	v_lshrrev_b32_e32 v1, s26, v0
	v_mul_lo_u32 v0, v1, s24
	v_sub_u32_e32 v0, v8, v0
	v_mul_lo_u32 v2, v0, s21
	s_andn2_b64 vcc, exec, s[42:43]
	v_mul_lo_u32 v0, v0, s20
	s_cbranch_vccnz .LBB111_101
; %bb.100:
	v_mul_hi_u32 v3, s40, v1
	v_add_u32_e32 v3, v1, v3
	v_lshrrev_b32_e32 v3, s41, v3
	v_mul_lo_u32 v3, v3, s27
	v_sub_u32_e32 v3, v1, v3
	v_mad_u64_u32 v[0:1], s[0:1], v3, s22, v[0:1]
	v_mad_u64_u32 v[2:3], s[0:1], v3, s23, v[2:3]
.LBB111_101:
	s_waitcnt lgkmcnt(0)
	global_load_dwordx2 v[2:3], v2, s[18:19]
	s_mov_b32 s2, 0x652b82fe
	s_mov_b32 s3, 0x3ff71547
	;; [unrolled: 1-line block ×7, first 2 shown]
	v_mov_b32_e32 v4, 0x2a1b768b
	v_mov_b32_e32 v5, 0x3e5af4eb
	s_mov_b32 s7, 0x3e21f32e
	v_mov_b32_e32 v6, 0xe0ac05b
	v_mov_b32_e32 v7, 0x3e927e50
	;; [unrolled: 1-line block ×16, first 2 shown]
	s_mov_b32 s8, 0
	s_mov_b32 s9, 0x40900000
	v_mov_b32_e32 v1, 0x7fe00000
	s_mov_b32 s10, 0
	s_mov_b32 s11, 0xc0428000
	v_mov_b32_e32 v9, 0x7ff00000
	v_mov_b32_e32 v30, 0xbff00000
	v_add_u32_e32 v8, 0x80, v8
	s_waitcnt vmcnt(0)
	v_mul_f64 v[24:25], v[2:3], s[2:3]
	v_rndne_f64_e32 v[24:25], v[24:25]
	v_fma_f64 v[26:27], s[0:1], v[24:25], v[2:3]
	v_fmac_f64_e32 v[26:27], s[4:5], v[24:25]
	v_fmac_f64_e32 v[4:5], s[6:7], v[26:27]
	;; [unrolled: 1-line block ×9, first 2 shown]
	v_cvt_i32_f64_e32 v28, v[24:25]
	v_fmac_f64_e32 v[22:23], v[26:27], v[20:21]
	v_ldexp_f64 v[28:29], 1.0, v28
	v_cmp_eq_f64_e32 vcc, s[8:9], v[24:25]
	v_fma_f64 v[6:7], v[26:27], v[22:23], 0.5
	v_mul_f64 v[6:7], v[26:27], v[6:7]
	v_cndmask_b32_e32 v25, v29, v1, vcc
	v_cndmask_b32_e64 v24, v28, 0, vcc
	v_add_f64 v[4:5], v[24:25], -1.0
	v_fmac_f64_e32 v[26:27], v[26:27], v[6:7]
	v_fmac_f64_e32 v[4:5], v[24:25], v[26:27]
	s_mov_b32 s1, 0x40862e42
	v_add_f64 v[6:7], v[4:5], v[4:5]
	v_cndmask_b32_e32 v1, v4, v6, vcc
	v_cndmask_b32_e32 v4, v5, v7, vcc
	v_cmp_nlt_f64_e32 vcc, s[0:1], v[2:3]
	v_cmp_ngt_f64_e64 s[0:1], s[10:11], v[2:3]
	s_nop 0
	v_cndmask_b32_e32 v4, v9, v4, vcc
	s_and_b64 vcc, s[0:1], vcc
	v_cndmask_b32_e64 v3, v30, v4, s[0:1]
	v_cndmask_b32_e32 v2, 0, v1, vcc
	global_store_dwordx2 v0, v[2:3], s[16:17]
	s_or_b64 exec, exec, s[48:49]
	v_cmp_gt_i32_e32 vcc, s55, v8
	s_and_saveexec_b64 s[48:49], vcc
	s_cbranch_execnz .LBB111_86
.LBB111_102:
	s_or_b64 exec, exec, s[48:49]
	v_cmp_gt_i32_e32 vcc, s55, v8
	s_and_saveexec_b64 s[48:49], vcc
	s_cbranch_execnz .LBB111_113
.LBB111_103:
	s_or_b64 exec, exec, s[48:49]
                                        ; implicit-def: $vgpr16
                                        ; implicit-def: $vgpr8
	s_andn2_saveexec_b64 s[0:1], s[38:39]
	s_cbranch_execnz .LBB111_9
.LBB111_104:
	s_endpgm
.LBB111_105:
	v_mov_b32_e32 v0, 0
	s_mov_b32 s57, 0
	v_mov_b32_e32 v1, v0
                                        ; implicit-def: $vgpr2
	v_mov_b32_e32 v4, v8
.LBB111_106:
	s_and_b32 s4, s58, 3
	s_cmp_eq_u32 s4, 0
	s_cbranch_scc1 .LBB111_109
; %bb.107:
	s_lshl_b32 s0, s57, 3
	s_add_u32 s0, s34, s0
	s_addc_u32 s1, s35, 0
	s_add_u32 s0, s0, 0xc4
	s_addc_u32 s1, s1, 0
	s_mul_i32 s2, s57, 12
	s_add_u32 s2, s34, s2
	s_addc_u32 s3, s35, 0
.LBB111_108:                            ; =>This Inner Loop Header: Depth=1
	s_load_dwordx2 s[6:7], s[2:3], 0x4
	s_load_dword s5, s[2:3], 0xc
	s_load_dwordx2 s[8:9], s[0:1], 0x0
	v_mov_b32_e32 v2, v1
	s_add_u32 s2, s2, 12
	s_waitcnt lgkmcnt(0)
	v_mul_hi_u32 v1, s7, v4
	v_add_u32_e32 v1, v4, v1
	v_lshrrev_b32_e32 v1, s5, v1
	s_addc_u32 s3, s3, 0
	v_mul_lo_u32 v3, v1, s6
	s_add_u32 s0, s0, 8
	v_sub_u32_e32 v5, v4, v3
	s_addc_u32 s1, s1, 0
	s_add_i32 s4, s4, -1
	v_mov_b32_e32 v4, v1
	v_mad_u64_u32 v[2:3], s[6:7], v5, s9, v[2:3]
	v_mad_u64_u32 v[0:1], s[6:7], v5, s8, v[0:1]
	s_cmp_lg_u32 s4, 0
	v_mov_b32_e32 v1, v2
	s_cbranch_scc1 .LBB111_108
.LBB111_109:
	s_cbranch_execnz .LBB111_112
.LBB111_110:
	s_waitcnt lgkmcnt(0)
	v_mul_hi_u32 v0, s25, v8
	v_add_u32_e32 v0, v8, v0
	v_lshrrev_b32_e32 v1, s26, v0
	v_mul_lo_u32 v0, v1, s24
	v_sub_u32_e32 v0, v8, v0
	v_mul_lo_u32 v2, v0, s21
	s_andn2_b64 vcc, exec, s[42:43]
	v_mul_lo_u32 v0, v0, s20
	s_cbranch_vccnz .LBB111_112
; %bb.111:
	v_mul_hi_u32 v3, s40, v1
	v_add_u32_e32 v3, v1, v3
	v_lshrrev_b32_e32 v3, s41, v3
	v_mul_lo_u32 v3, v3, s27
	v_sub_u32_e32 v3, v1, v3
	v_mad_u64_u32 v[0:1], s[0:1], v3, s22, v[0:1]
	v_mad_u64_u32 v[2:3], s[0:1], v3, s23, v[2:3]
.LBB111_112:
	s_waitcnt lgkmcnt(0)
	global_load_dwordx2 v[2:3], v2, s[18:19]
	s_mov_b32 s2, 0x652b82fe
	s_mov_b32 s3, 0x3ff71547
	;; [unrolled: 1-line block ×7, first 2 shown]
	v_mov_b32_e32 v4, 0x2a1b768b
	v_mov_b32_e32 v5, 0x3e5af4eb
	s_mov_b32 s7, 0x3e21f32e
	v_mov_b32_e32 v6, 0xe0ac05b
	v_mov_b32_e32 v7, 0x3e927e50
	;; [unrolled: 1-line block ×16, first 2 shown]
	s_mov_b32 s8, 0
	s_mov_b32 s9, 0x40900000
	v_mov_b32_e32 v1, 0x7fe00000
	s_mov_b32 s10, 0
	s_mov_b32 s11, 0xc0428000
	v_mov_b32_e32 v9, 0x7ff00000
	v_mov_b32_e32 v30, 0xbff00000
	v_add_u32_e32 v8, 0x80, v8
	s_waitcnt vmcnt(0)
	v_mul_f64 v[24:25], v[2:3], s[2:3]
	v_rndne_f64_e32 v[24:25], v[24:25]
	v_fma_f64 v[26:27], s[0:1], v[24:25], v[2:3]
	v_fmac_f64_e32 v[26:27], s[4:5], v[24:25]
	v_fmac_f64_e32 v[4:5], s[6:7], v[26:27]
	;; [unrolled: 1-line block ×9, first 2 shown]
	v_cvt_i32_f64_e32 v28, v[24:25]
	v_fmac_f64_e32 v[22:23], v[26:27], v[20:21]
	v_ldexp_f64 v[28:29], 1.0, v28
	v_cmp_eq_f64_e32 vcc, s[8:9], v[24:25]
	v_fma_f64 v[6:7], v[26:27], v[22:23], 0.5
	v_mul_f64 v[6:7], v[26:27], v[6:7]
	v_cndmask_b32_e32 v25, v29, v1, vcc
	v_cndmask_b32_e64 v24, v28, 0, vcc
	v_add_f64 v[4:5], v[24:25], -1.0
	v_fmac_f64_e32 v[26:27], v[26:27], v[6:7]
	v_fmac_f64_e32 v[4:5], v[24:25], v[26:27]
	s_mov_b32 s1, 0x40862e42
	v_add_f64 v[6:7], v[4:5], v[4:5]
	v_cndmask_b32_e32 v1, v4, v6, vcc
	v_cndmask_b32_e32 v4, v5, v7, vcc
	v_cmp_nlt_f64_e32 vcc, s[0:1], v[2:3]
	v_cmp_ngt_f64_e64 s[0:1], s[10:11], v[2:3]
	s_nop 0
	v_cndmask_b32_e32 v4, v9, v4, vcc
	s_and_b64 vcc, s[0:1], vcc
	v_cndmask_b32_e64 v3, v30, v4, s[0:1]
	v_cndmask_b32_e32 v2, 0, v1, vcc
	global_store_dwordx2 v0, v[2:3], s[16:17]
	s_or_b64 exec, exec, s[48:49]
	v_cmp_gt_i32_e32 vcc, s55, v8
	s_and_saveexec_b64 s[48:49], vcc
	s_cbranch_execz .LBB111_103
.LBB111_113:
	s_andn2_b64 vcc, exec, s[36:37]
	s_cbranch_vccnz .LBB111_119
; %bb.114:
	s_andn2_b64 vcc, exec, s[46:47]
	s_cbranch_vccnz .LBB111_120
; %bb.115:
	s_add_i32 s56, s56, 1
	s_cmp_eq_u32 s54, 2
	s_cbranch_scc1 .LBB111_121
; %bb.116:
	s_and_b32 s50, s56, 28
	s_mov_b32 s51, 0
	v_mov_b32_e32 v0, 0
	v_mov_b32_e32 v2, 0
	s_mov_b64 s[46:47], s[34:35]
	v_mov_b32_e32 v4, v8
.LBB111_117:                            ; =>This Inner Loop Header: Depth=1
	s_load_dwordx8 s[8:15], s[46:47], 0x4
	s_load_dwordx4 s[28:31], s[46:47], 0x24
	s_load_dwordx8 s[0:7], s[44:45], 0x0
	s_add_u32 s46, s46, 48
	s_addc_u32 s47, s47, 0
	s_waitcnt lgkmcnt(0)
	v_mul_hi_u32 v1, s9, v4
	v_add_u32_e32 v1, v4, v1
	v_lshrrev_b32_e32 v1, s10, v1
	v_mul_lo_u32 v3, v1, s8
	v_mul_hi_u32 v5, s12, v1
	v_sub_u32_e32 v3, v4, v3
	v_add_u32_e32 v4, v1, v5
	v_lshrrev_b32_e32 v4, s13, v4
	v_mul_lo_u32 v6, v4, s11
	v_mul_hi_u32 v7, s15, v4
	v_sub_u32_e32 v1, v1, v6
	v_add_u32_e32 v6, v4, v7
	v_mul_lo_u32 v5, v3, s1
	v_mul_lo_u32 v3, v3, s0
	;; [unrolled: 1-line block ×4, first 2 shown]
	v_lshrrev_b32_e32 v6, s28, v6
	v_add3_u32 v0, v3, v0, v1
	v_mul_hi_u32 v3, s30, v6
	v_add3_u32 v1, v5, v2, v7
	v_mul_lo_u32 v2, v6, s14
	v_add_u32_e32 v3, v6, v3
	v_sub_u32_e32 v2, v4, v2
	v_lshrrev_b32_e32 v4, s31, v3
	s_add_i32 s51, s51, 4
	v_mul_lo_u32 v3, v4, s29
	s_add_u32 s44, s44, 32
	v_sub_u32_e32 v3, v6, v3
	s_addc_u32 s45, s45, 0
	v_mul_lo_u32 v5, v2, s4
	v_mul_lo_u32 v2, v2, s5
	;; [unrolled: 1-line block ×4, first 2 shown]
	s_cmp_eq_u32 s50, s51
	v_add3_u32 v2, v2, v1, v3
	v_add3_u32 v0, v5, v0, v6
	s_cbranch_scc0 .LBB111_117
; %bb.118:
	v_mov_b32_e32 v1, v2
	s_branch .LBB111_122
.LBB111_119:
                                        ; implicit-def: $vgpr2
                                        ; implicit-def: $vgpr0
	s_branch .LBB111_126
.LBB111_120:
	v_mov_b32_e32 v2, 0
	v_mov_b32_e32 v0, 0
	s_branch .LBB111_125
.LBB111_121:
	v_mov_b32_e32 v0, 0
	s_mov_b32 s50, 0
	v_mov_b32_e32 v1, v0
                                        ; implicit-def: $vgpr2
	v_mov_b32_e32 v4, v8
.LBB111_122:
	s_and_b32 s4, s56, 3
	s_cmp_eq_u32 s4, 0
	s_cbranch_scc1 .LBB111_125
; %bb.123:
	s_lshl_b32 s0, s50, 3
	s_add_u32 s0, s34, s0
	s_addc_u32 s1, s35, 0
	s_add_u32 s0, s0, 0xc4
	s_addc_u32 s1, s1, 0
	s_mul_i32 s2, s50, 12
	s_add_u32 s2, s34, s2
	s_addc_u32 s3, s35, 0
.LBB111_124:                            ; =>This Inner Loop Header: Depth=1
	s_load_dwordx2 s[6:7], s[2:3], 0x4
	s_load_dword s5, s[2:3], 0xc
	s_load_dwordx2 s[8:9], s[0:1], 0x0
	v_mov_b32_e32 v2, v1
	s_add_u32 s2, s2, 12
	s_waitcnt lgkmcnt(0)
	v_mul_hi_u32 v1, s7, v4
	v_add_u32_e32 v1, v4, v1
	v_lshrrev_b32_e32 v1, s5, v1
	s_addc_u32 s3, s3, 0
	v_mul_lo_u32 v3, v1, s6
	s_add_u32 s0, s0, 8
	v_sub_u32_e32 v5, v4, v3
	s_addc_u32 s1, s1, 0
	s_add_i32 s4, s4, -1
	v_mov_b32_e32 v4, v1
	v_mad_u64_u32 v[2:3], s[6:7], v5, s9, v[2:3]
	v_mad_u64_u32 v[0:1], s[6:7], v5, s8, v[0:1]
	s_cmp_lg_u32 s4, 0
	v_mov_b32_e32 v1, v2
	s_cbranch_scc1 .LBB111_124
.LBB111_125:
	s_cbranch_execnz .LBB111_128
.LBB111_126:
	s_waitcnt lgkmcnt(0)
	v_mul_hi_u32 v0, s25, v8
	v_add_u32_e32 v0, v8, v0
	v_lshrrev_b32_e32 v1, s26, v0
	v_mul_lo_u32 v0, v1, s24
	v_sub_u32_e32 v0, v8, v0
	v_mul_lo_u32 v2, v0, s21
	s_andn2_b64 vcc, exec, s[42:43]
	v_mul_lo_u32 v0, v0, s20
	s_cbranch_vccnz .LBB111_128
; %bb.127:
	v_mul_hi_u32 v3, s40, v1
	v_add_u32_e32 v3, v1, v3
	v_lshrrev_b32_e32 v3, s41, v3
	v_mul_lo_u32 v3, v3, s27
	v_sub_u32_e32 v3, v1, v3
	v_mad_u64_u32 v[0:1], s[0:1], v3, s22, v[0:1]
	v_mad_u64_u32 v[2:3], s[0:1], v3, s23, v[2:3]
.LBB111_128:
	s_waitcnt lgkmcnt(0)
	global_load_dwordx2 v[2:3], v2, s[18:19]
	s_mov_b32 s2, 0x652b82fe
	s_mov_b32 s3, 0x3ff71547
	;; [unrolled: 1-line block ×7, first 2 shown]
	v_mov_b32_e32 v4, 0x2a1b768b
	v_mov_b32_e32 v5, 0x3e5af4eb
	s_mov_b32 s7, 0x3e21f32e
	v_mov_b32_e32 v6, 0xe0ac05b
	v_mov_b32_e32 v7, 0x3e927e50
	;; [unrolled: 1-line block ×16, first 2 shown]
	s_mov_b32 s8, 0
	s_mov_b32 s9, 0x40900000
	v_mov_b32_e32 v1, 0x7fe00000
	s_mov_b32 s10, 0
	s_mov_b32 s11, 0xc0428000
	v_mov_b32_e32 v28, 0x7ff00000
	v_mov_b32_e32 v29, 0xbff00000
	s_waitcnt vmcnt(0)
	v_mul_f64 v[22:23], v[2:3], s[2:3]
	v_rndne_f64_e32 v[22:23], v[22:23]
	v_fma_f64 v[24:25], s[0:1], v[22:23], v[2:3]
	v_fmac_f64_e32 v[24:25], s[4:5], v[22:23]
	v_fmac_f64_e32 v[4:5], s[6:7], v[24:25]
	;; [unrolled: 1-line block ×9, first 2 shown]
	v_cvt_i32_f64_e32 v26, v[22:23]
	v_fmac_f64_e32 v[20:21], v[24:25], v[18:19]
	v_ldexp_f64 v[26:27], 1.0, v26
	v_cmp_eq_f64_e32 vcc, s[8:9], v[22:23]
	v_fma_f64 v[6:7], v[24:25], v[20:21], 0.5
	v_mul_f64 v[6:7], v[24:25], v[6:7]
	v_cndmask_b32_e32 v23, v27, v1, vcc
	v_cndmask_b32_e64 v22, v26, 0, vcc
	v_add_f64 v[4:5], v[22:23], -1.0
	v_fmac_f64_e32 v[24:25], v[24:25], v[6:7]
	v_fmac_f64_e32 v[4:5], v[22:23], v[24:25]
	s_mov_b32 s1, 0x40862e42
	v_add_f64 v[6:7], v[4:5], v[4:5]
	v_cndmask_b32_e32 v1, v4, v6, vcc
	v_cndmask_b32_e32 v4, v5, v7, vcc
	v_cmp_nlt_f64_e32 vcc, s[0:1], v[2:3]
	v_cmp_ngt_f64_e64 s[0:1], s[10:11], v[2:3]
	s_nop 0
	v_cndmask_b32_e32 v4, v28, v4, vcc
	s_and_b64 vcc, s[0:1], vcc
	v_cndmask_b32_e64 v3, v29, v4, s[0:1]
	v_cndmask_b32_e32 v2, 0, v1, vcc
	global_store_dwordx2 v0, v[2:3], s[16:17]
	s_or_b64 exec, exec, s[48:49]
                                        ; implicit-def: $vgpr16
                                        ; implicit-def: $vgpr8
	s_andn2_saveexec_b64 s[0:1], s[38:39]
	s_cbranch_execz .LBB111_104
	s_branch .LBB111_9
	.section	.rodata,"a",@progbits
	.p2align	6, 0x0
	.amdhsa_kernel _ZN2at6native32elementwise_kernel_manual_unrollILi128ELi4EZNS0_22gpu_kernel_impl_nocastIZZZNS0_17expm1_kernel_cudaERNS_18TensorIteratorBaseEENKUlvE_clEvENKUlvE_clEvEUldE_EEvS4_RKT_EUlibE_EEviT1_
		.amdhsa_group_segment_fixed_size 0
		.amdhsa_private_segment_fixed_size 0
		.amdhsa_kernarg_size 360
		.amdhsa_user_sgpr_count 2
		.amdhsa_user_sgpr_dispatch_ptr 0
		.amdhsa_user_sgpr_queue_ptr 0
		.amdhsa_user_sgpr_kernarg_segment_ptr 1
		.amdhsa_user_sgpr_dispatch_id 0
		.amdhsa_user_sgpr_kernarg_preload_length 0
		.amdhsa_user_sgpr_kernarg_preload_offset 0
		.amdhsa_user_sgpr_private_segment_size 0
		.amdhsa_uses_dynamic_stack 0
		.amdhsa_enable_private_segment 0
		.amdhsa_system_sgpr_workgroup_id_x 1
		.amdhsa_system_sgpr_workgroup_id_y 0
		.amdhsa_system_sgpr_workgroup_id_z 0
		.amdhsa_system_sgpr_workgroup_info 0
		.amdhsa_system_vgpr_workitem_id 0
		.amdhsa_next_free_vgpr 36
		.amdhsa_next_free_sgpr 60
		.amdhsa_accum_offset 36
		.amdhsa_reserve_vcc 1
		.amdhsa_float_round_mode_32 0
		.amdhsa_float_round_mode_16_64 0
		.amdhsa_float_denorm_mode_32 3
		.amdhsa_float_denorm_mode_16_64 3
		.amdhsa_dx10_clamp 1
		.amdhsa_ieee_mode 1
		.amdhsa_fp16_overflow 0
		.amdhsa_tg_split 0
		.amdhsa_exception_fp_ieee_invalid_op 0
		.amdhsa_exception_fp_denorm_src 0
		.amdhsa_exception_fp_ieee_div_zero 0
		.amdhsa_exception_fp_ieee_overflow 0
		.amdhsa_exception_fp_ieee_underflow 0
		.amdhsa_exception_fp_ieee_inexact 0
		.amdhsa_exception_int_div_zero 0
	.end_amdhsa_kernel
	.section	.text._ZN2at6native32elementwise_kernel_manual_unrollILi128ELi4EZNS0_22gpu_kernel_impl_nocastIZZZNS0_17expm1_kernel_cudaERNS_18TensorIteratorBaseEENKUlvE_clEvENKUlvE_clEvEUldE_EEvS4_RKT_EUlibE_EEviT1_,"axG",@progbits,_ZN2at6native32elementwise_kernel_manual_unrollILi128ELi4EZNS0_22gpu_kernel_impl_nocastIZZZNS0_17expm1_kernel_cudaERNS_18TensorIteratorBaseEENKUlvE_clEvENKUlvE_clEvEUldE_EEvS4_RKT_EUlibE_EEviT1_,comdat
.Lfunc_end111:
	.size	_ZN2at6native32elementwise_kernel_manual_unrollILi128ELi4EZNS0_22gpu_kernel_impl_nocastIZZZNS0_17expm1_kernel_cudaERNS_18TensorIteratorBaseEENKUlvE_clEvENKUlvE_clEvEUldE_EEvS4_RKT_EUlibE_EEviT1_, .Lfunc_end111-_ZN2at6native32elementwise_kernel_manual_unrollILi128ELi4EZNS0_22gpu_kernel_impl_nocastIZZZNS0_17expm1_kernel_cudaERNS_18TensorIteratorBaseEENKUlvE_clEvENKUlvE_clEvEUldE_EEvS4_RKT_EUlibE_EEviT1_
                                        ; -- End function
	.set _ZN2at6native32elementwise_kernel_manual_unrollILi128ELi4EZNS0_22gpu_kernel_impl_nocastIZZZNS0_17expm1_kernel_cudaERNS_18TensorIteratorBaseEENKUlvE_clEvENKUlvE_clEvEUldE_EEvS4_RKT_EUlibE_EEviT1_.num_vgpr, 36
	.set _ZN2at6native32elementwise_kernel_manual_unrollILi128ELi4EZNS0_22gpu_kernel_impl_nocastIZZZNS0_17expm1_kernel_cudaERNS_18TensorIteratorBaseEENKUlvE_clEvENKUlvE_clEvEUldE_EEvS4_RKT_EUlibE_EEviT1_.num_agpr, 0
	.set _ZN2at6native32elementwise_kernel_manual_unrollILi128ELi4EZNS0_22gpu_kernel_impl_nocastIZZZNS0_17expm1_kernel_cudaERNS_18TensorIteratorBaseEENKUlvE_clEvENKUlvE_clEvEUldE_EEvS4_RKT_EUlibE_EEviT1_.numbered_sgpr, 60
	.set _ZN2at6native32elementwise_kernel_manual_unrollILi128ELi4EZNS0_22gpu_kernel_impl_nocastIZZZNS0_17expm1_kernel_cudaERNS_18TensorIteratorBaseEENKUlvE_clEvENKUlvE_clEvEUldE_EEvS4_RKT_EUlibE_EEviT1_.num_named_barrier, 0
	.set _ZN2at6native32elementwise_kernel_manual_unrollILi128ELi4EZNS0_22gpu_kernel_impl_nocastIZZZNS0_17expm1_kernel_cudaERNS_18TensorIteratorBaseEENKUlvE_clEvENKUlvE_clEvEUldE_EEvS4_RKT_EUlibE_EEviT1_.private_seg_size, 0
	.set _ZN2at6native32elementwise_kernel_manual_unrollILi128ELi4EZNS0_22gpu_kernel_impl_nocastIZZZNS0_17expm1_kernel_cudaERNS_18TensorIteratorBaseEENKUlvE_clEvENKUlvE_clEvEUldE_EEvS4_RKT_EUlibE_EEviT1_.uses_vcc, 1
	.set _ZN2at6native32elementwise_kernel_manual_unrollILi128ELi4EZNS0_22gpu_kernel_impl_nocastIZZZNS0_17expm1_kernel_cudaERNS_18TensorIteratorBaseEENKUlvE_clEvENKUlvE_clEvEUldE_EEvS4_RKT_EUlibE_EEviT1_.uses_flat_scratch, 0
	.set _ZN2at6native32elementwise_kernel_manual_unrollILi128ELi4EZNS0_22gpu_kernel_impl_nocastIZZZNS0_17expm1_kernel_cudaERNS_18TensorIteratorBaseEENKUlvE_clEvENKUlvE_clEvEUldE_EEvS4_RKT_EUlibE_EEviT1_.has_dyn_sized_stack, 0
	.set _ZN2at6native32elementwise_kernel_manual_unrollILi128ELi4EZNS0_22gpu_kernel_impl_nocastIZZZNS0_17expm1_kernel_cudaERNS_18TensorIteratorBaseEENKUlvE_clEvENKUlvE_clEvEUldE_EEvS4_RKT_EUlibE_EEviT1_.has_recursion, 0
	.set _ZN2at6native32elementwise_kernel_manual_unrollILi128ELi4EZNS0_22gpu_kernel_impl_nocastIZZZNS0_17expm1_kernel_cudaERNS_18TensorIteratorBaseEENKUlvE_clEvENKUlvE_clEvEUldE_EEvS4_RKT_EUlibE_EEviT1_.has_indirect_call, 0
	.section	.AMDGPU.csdata,"",@progbits
; Kernel info:
; codeLenInByte = 8628
; TotalNumSgprs: 66
; NumVgprs: 36
; NumAgprs: 0
; TotalNumVgprs: 36
; ScratchSize: 0
; MemoryBound: 0
; FloatMode: 240
; IeeeMode: 1
; LDSByteSize: 0 bytes/workgroup (compile time only)
; SGPRBlocks: 8
; VGPRBlocks: 4
; NumSGPRsForWavesPerEU: 66
; NumVGPRsForWavesPerEU: 36
; AccumOffset: 36
; Occupancy: 8
; WaveLimiterHint : 1
; COMPUTE_PGM_RSRC2:SCRATCH_EN: 0
; COMPUTE_PGM_RSRC2:USER_SGPR: 2
; COMPUTE_PGM_RSRC2:TRAP_HANDLER: 0
; COMPUTE_PGM_RSRC2:TGID_X_EN: 1
; COMPUTE_PGM_RSRC2:TGID_Y_EN: 0
; COMPUTE_PGM_RSRC2:TGID_Z_EN: 0
; COMPUTE_PGM_RSRC2:TIDIG_COMP_CNT: 0
; COMPUTE_PGM_RSRC3_GFX90A:ACCUM_OFFSET: 8
; COMPUTE_PGM_RSRC3_GFX90A:TG_SPLIT: 0
	.section	.text._ZN2at6native32elementwise_kernel_manual_unrollILi128ELi4EZNS0_15gpu_kernel_implIZZZNS0_17expm1_kernel_cudaERNS_18TensorIteratorBaseEENKUlvE_clEvENKUlvE_clEvEUldE_EEvS4_RKT_EUlibE_EEviT1_,"axG",@progbits,_ZN2at6native32elementwise_kernel_manual_unrollILi128ELi4EZNS0_15gpu_kernel_implIZZZNS0_17expm1_kernel_cudaERNS_18TensorIteratorBaseEENKUlvE_clEvENKUlvE_clEvEUldE_EEvS4_RKT_EUlibE_EEviT1_,comdat
	.globl	_ZN2at6native32elementwise_kernel_manual_unrollILi128ELi4EZNS0_15gpu_kernel_implIZZZNS0_17expm1_kernel_cudaERNS_18TensorIteratorBaseEENKUlvE_clEvENKUlvE_clEvEUldE_EEvS4_RKT_EUlibE_EEviT1_ ; -- Begin function _ZN2at6native32elementwise_kernel_manual_unrollILi128ELi4EZNS0_15gpu_kernel_implIZZZNS0_17expm1_kernel_cudaERNS_18TensorIteratorBaseEENKUlvE_clEvENKUlvE_clEvEUldE_EEvS4_RKT_EUlibE_EEviT1_
	.p2align	8
	.type	_ZN2at6native32elementwise_kernel_manual_unrollILi128ELi4EZNS0_15gpu_kernel_implIZZZNS0_17expm1_kernel_cudaERNS_18TensorIteratorBaseEENKUlvE_clEvENKUlvE_clEvEUldE_EEvS4_RKT_EUlibE_EEviT1_,@function
_ZN2at6native32elementwise_kernel_manual_unrollILi128ELi4EZNS0_15gpu_kernel_implIZZZNS0_17expm1_kernel_cudaERNS_18TensorIteratorBaseEENKUlvE_clEvENKUlvE_clEvEUldE_EEvS4_RKT_EUlibE_EEviT1_: ; @_ZN2at6native32elementwise_kernel_manual_unrollILi128ELi4EZNS0_15gpu_kernel_implIZZZNS0_17expm1_kernel_cudaERNS_18TensorIteratorBaseEENKUlvE_clEvENKUlvE_clEvEUldE_EEvS4_RKT_EUlibE_EEviT1_
; %bb.0:
	v_mov_b32_e32 v1, 0
	global_load_ushort v1, v1, s[0:1] offset:33
	s_load_dwordx4 s[4:7], s[0:1], 0x8
	s_load_dwordx2 s[8:9], s[0:1], 0x18
	s_load_dword s38, s[0:1], 0x0
	v_lshl_or_b32 v10, s2, 9, v0
	v_or_b32_e32 v0, 0x180, v10
	s_mov_b64 s[10:11], 0
	s_mov_b64 s[12:13], 0
	s_waitcnt lgkmcnt(0)
	v_cmp_le_i32_e32 vcc, s38, v0
	s_waitcnt vmcnt(0)
	v_readfirstlane_b32 s33, v1
	s_and_b32 s0, 0xffff, s33
	s_lshr_b32 s42, s0, 8
	s_and_saveexec_b64 s[0:1], vcc
	s_xor_b64 s[2:3], exec, s[0:1]
	s_cbranch_execz .LBB112_1027
; %bb.1:
	v_cmp_gt_i32_e32 vcc, s38, v10
	s_mov_b64 s[18:19], -1
	s_mov_b64 s[20:21], 0
	s_mov_b64 s[14:15], 0
	s_and_saveexec_b64 s[16:17], vcc
	s_cbranch_execz .LBB112_252
; %bb.2:
	v_mul_lo_u32 v0, v10, s9
	v_ashrrev_i32_e32 v1, 31, v0
	s_and_b32 s22, 0xffff, s42
	s_cmp_lt_i32 s22, 11
	v_lshl_add_u64 v[0:1], s[6:7], 0, v[0:1]
	s_cbranch_scc1 .LBB112_9
; %bb.3:
	s_cmp_gt_i32 s22, 25
	s_cbranch_scc0 .LBB112_18
; %bb.4:
	s_cmp_gt_i32 s22, 28
	s_cbranch_scc0 .LBB112_22
	;; [unrolled: 3-line block ×4, first 2 shown]
; %bb.7:
	s_cmp_eq_u32 s22, 46
	s_cbranch_scc0 .LBB112_28
; %bb.8:
	global_load_dword v2, v[0:1], off
	s_mov_b64 s[0:1], -1
	s_waitcnt vmcnt(0)
	v_lshlrev_b32_e32 v2, 16, v2
	v_cvt_f64_f32_e32 v[2:3], v2
	s_branch .LBB112_30
.LBB112_9:
                                        ; implicit-def: $vgpr2_vgpr3
	s_mov_b64 s[0:1], 0
	s_cbranch_execnz .LBB112_203
.LBB112_10:
	s_andn2_b64 vcc, exec, s[0:1]
	s_cbranch_vccnz .LBB112_250
.LBB112_11:
	s_mov_b32 s0, 0x652b82fe
	s_mov_b32 s1, 0x3ff71547
	s_waitcnt vmcnt(0)
	v_mul_f64 v[0:1], v[2:3], s[0:1]
	v_rndne_f64_e32 v[0:1], v[0:1]
	s_mov_b32 s1, 0xbfe62e42
	s_mov_b32 s0, 0xfefa39ef
	;; [unrolled: 1-line block ×3, first 2 shown]
	v_fma_f64 v[4:5], s[0:1], v[0:1], v[2:3]
	s_mov_b32 s13, 0xbc7abc9e
	v_fmac_f64_e32 v[4:5], s[12:13], v[0:1]
	s_mov_b32 s12, 0xa9d67f34
	v_mov_b32_e32 v6, 0x2a1b768b
	v_mov_b32_e32 v7, 0x3e5af4eb
	s_mov_b32 s13, 0x3e21f32e
	v_fmac_f64_e32 v[6:7], s[12:13], v[4:5]
	v_mov_b32_e32 v8, 0xe0ac05b
	v_mov_b32_e32 v9, 0x3e927e50
	v_fmac_f64_e32 v[8:9], v[4:5], v[6:7]
	v_mov_b32_e32 v6, 0x1b889c29
	v_mov_b32_e32 v7, 0x3ec71de0
	;; [unrolled: 3-line block ×8, first 2 shown]
	v_fmac_f64_e32 v[6:7], v[4:5], v[8:9]
	v_fma_f64 v[6:7], v[4:5], v[6:7], 0.5
	v_mul_f64 v[6:7], v[4:5], v[6:7]
	s_mov_b32 s12, 0
	v_fmac_f64_e32 v[4:5], v[4:5], v[6:7]
	s_mov_b32 s13, 0x40900000
	v_cvt_i32_f64_e32 v6, v[0:1]
	v_ldexp_f64 v[6:7], 1.0, v6
	v_mov_b32_e32 v8, 0x7fe00000
	v_cmp_eq_f64_e32 vcc, s[12:13], v[0:1]
	s_mov_b32 s1, 0x40862e42
	s_and_b32 s24, s33, 0xff
	v_cndmask_b32_e32 v1, v7, v8, vcc
	v_cndmask_b32_e64 v0, v6, 0, vcc
	v_add_f64 v[6:7], v[0:1], -1.0
	v_fmac_f64_e32 v[6:7], v[0:1], v[4:5]
	v_add_f64 v[0:1], v[6:7], v[6:7]
	v_cndmask_b32_e32 v0, v6, v0, vcc
	v_cndmask_b32_e32 v1, v7, v1, vcc
	v_cmp_nlt_f64_e32 vcc, s[0:1], v[2:3]
	s_mov_b32 s0, 0
	s_mov_b32 s1, 0xc0428000
	v_mov_b32_e32 v4, 0x7ff00000
	v_cmp_ngt_f64_e64 s[0:1], s[0:1], v[2:3]
	v_mul_lo_u32 v2, v10, s8
	v_cndmask_b32_e32 v1, v4, v1, vcc
	v_mov_b32_e32 v4, 0xbff00000
	s_and_b64 vcc, s[0:1], vcc
	v_ashrrev_i32_e32 v3, 31, v2
	v_cndmask_b32_e64 v1, v4, v1, s[0:1]
	v_cndmask_b32_e32 v0, 0, v0, vcc
	s_cmp_lt_i32 s24, 11
	v_lshl_add_u64 v[4:5], s[4:5], 0, v[2:3]
	s_cbranch_scc1 .LBB112_19
; %bb.12:
	s_and_b32 s25, 0xffff, s24
	s_cmp_gt_i32 s25, 25
	s_cbranch_scc0 .LBB112_23
; %bb.13:
	s_cmp_gt_i32 s25, 28
	s_cbranch_scc0 .LBB112_25
; %bb.14:
	s_cmp_gt_i32 s25, 43
	s_cbranch_scc0 .LBB112_27
; %bb.15:
	s_cmp_gt_i32 s25, 45
	s_cbranch_scc0 .LBB112_33
; %bb.16:
	s_mov_b64 s[18:19], 0
	s_mov_b64 s[0:1], -1
	s_cmp_eq_u32 s25, 46
	s_mov_b64 s[12:13], 0
	s_cbranch_scc0 .LBB112_34
; %bb.17:
	v_cvt_f32_f64_e32 v2, v[0:1]
	v_bfe_u32 v3, v2, 16, 1
	s_movk_i32 s0, 0x7fff
	v_add3_u32 v3, v2, v3, s0
	v_cmp_o_f32_e32 vcc, v2, v2
	v_mov_b32_e32 v2, 0x7fc0
	s_mov_b64 s[12:13], -1
	v_cndmask_b32_sdwa v2, v2, v3, vcc dst_sel:DWORD dst_unused:UNUSED_PAD src0_sel:DWORD src1_sel:WORD_1
	global_store_dword v[4:5], v2, off
	s_mov_b64 s[0:1], 0
	s_branch .LBB112_34
.LBB112_18:
	s_mov_b64 s[0:1], 0
                                        ; implicit-def: $vgpr2_vgpr3
	s_cbranch_execnz .LBB112_170
	s_branch .LBB112_202
.LBB112_19:
	s_mov_b64 s[0:1], 0
	s_mov_b64 s[12:13], 0
	s_cbranch_execnz .LBB112_103
.LBB112_20:
	s_andn2_b64 vcc, exec, s[12:13]
	s_cbranch_vccnz .LBB112_141
.LBB112_21:
	v_add_u32_e32 v10, 0x80, v10
	s_mov_b64 s[18:19], -1
	s_branch .LBB112_251
.LBB112_22:
	s_mov_b64 s[12:13], -1
	s_mov_b64 s[0:1], 0
                                        ; implicit-def: $vgpr2_vgpr3
	s_branch .LBB112_149
.LBB112_23:
	s_mov_b64 s[18:19], -1
	s_mov_b64 s[0:1], 0
	s_mov_b64 s[12:13], 0
	s_branch .LBB112_61
.LBB112_24:
	s_mov_b64 s[12:13], -1
	s_mov_b64 s[0:1], 0
                                        ; implicit-def: $vgpr2_vgpr3
	s_branch .LBB112_144
.LBB112_25:
	s_mov_b64 s[18:19], -1
	s_mov_b64 s[0:1], 0
	s_mov_b64 s[12:13], 0
	s_branch .LBB112_44
.LBB112_26:
	s_mov_b64 s[12:13], -1
	s_branch .LBB112_29
.LBB112_27:
	s_mov_b64 s[18:19], -1
	s_mov_b64 s[0:1], 0
	s_mov_b64 s[12:13], 0
	s_branch .LBB112_40
.LBB112_28:
	s_mov_b64 s[14:15], -1
.LBB112_29:
	s_mov_b64 s[0:1], 0
                                        ; implicit-def: $vgpr2_vgpr3
.LBB112_30:
	s_and_b64 vcc, exec, s[12:13]
	s_cbranch_vccz .LBB112_143
; %bb.31:
	s_cmp_eq_u32 s22, 44
	s_cbranch_scc0 .LBB112_142
; %bb.32:
	global_load_ubyte v4, v[0:1], off
	s_movk_i32 s12, 0xff
	v_bfrev_b32_e32 v5, 4
	v_mov_b32_e32 v6, 0x7ff80000
	v_bfrev_b32_e32 v7, 28
	s_mov_b64 s[0:1], -1
	s_mov_b64 s[14:15], 0
	s_waitcnt vmcnt(0)
	v_lshlrev_b32_e32 v2, 23, v4
	v_cvt_f64_f32_e32 v[2:3], v2
	v_cmp_ne_u32_e32 vcc, s12, v4
	s_nop 1
	v_cndmask_b32_e32 v2, v5, v2, vcc
	v_cndmask_b32_e32 v3, v6, v3, vcc
	v_cmp_ne_u32_e32 vcc, 0, v4
	s_nop 1
	v_cndmask_b32_e32 v3, v7, v3, vcc
	v_cndmask_b32_e32 v2, 0, v2, vcc
	s_branch .LBB112_143
.LBB112_33:
	s_mov_b64 s[18:19], -1
	s_mov_b64 s[0:1], 0
	s_mov_b64 s[12:13], 0
.LBB112_34:
	s_and_b64 vcc, exec, s[18:19]
	s_cbranch_vccz .LBB112_39
; %bb.35:
	s_cmp_eq_u32 s25, 44
	s_mov_b64 s[0:1], -1
	s_cbranch_scc0 .LBB112_39
; %bb.36:
	v_cvt_f32_f64_e32 v2, v[0:1]
	v_bfe_u32 v3, v2, 23, 8
	s_movk_i32 s0, 0xff
	v_cmp_ne_u32_e32 vcc, s0, v3
	v_mov_b32_e32 v6, 0xff
	s_and_saveexec_b64 s[12:13], vcc
; %bb.37:
	s_mov_b32 s0, 0x3fffff
	v_lshrrev_b32_e32 v6, 23, v2
	v_and_b32_e32 v7, 0x400000, v2
	v_and_or_b32 v2, v2, s0, v3
	v_cmp_ne_u32_e32 vcc, 0, v7
	v_cmp_ne_u32_e64 s[0:1], 0, v2
	s_and_b64 s[0:1], vcc, s[0:1]
	s_nop 0
	v_cndmask_b32_e64 v2, 0, 1, s[0:1]
	v_add_u32_e32 v6, v6, v2
; %bb.38:
	s_or_b64 exec, exec, s[12:13]
	s_mov_b64 s[12:13], -1
	s_mov_b64 s[0:1], 0
	global_store_byte v[4:5], v6, off
.LBB112_39:
	s_mov_b64 s[18:19], 0
.LBB112_40:
	s_and_b64 vcc, exec, s[18:19]
	s_cbranch_vccz .LBB112_43
; %bb.41:
	s_cmp_eq_u32 s25, 29
	s_mov_b64 s[0:1], -1
	s_cbranch_scc0 .LBB112_43
; %bb.42:
	v_trunc_f64_e32 v[2:3], v[0:1]
	s_movk_i32 s0, 0xffe0
	v_ldexp_f64 v[6:7], v[2:3], s0
	v_floor_f64_e32 v[6:7], v[6:7]
	v_fmac_f64_e32 v[2:3], 0xc1f00000, v[6:7]
	v_cvt_u32_f64_e32 v9, v[6:7]
	v_cvt_u32_f64_e32 v8, v[2:3]
	global_store_dwordx2 v[4:5], v[8:9], off
	s_mov_b64 s[12:13], -1
	s_mov_b64 s[0:1], 0
.LBB112_43:
	s_mov_b64 s[18:19], 0
.LBB112_44:
	s_and_b64 vcc, exec, s[18:19]
	s_cbranch_vccz .LBB112_60
; %bb.45:
	s_cmp_lt_i32 s25, 27
	s_mov_b64 s[12:13], -1
	s_cbranch_scc1 .LBB112_51
; %bb.46:
	s_cmp_gt_i32 s25, 27
	v_cvt_u32_f64_e32 v2, v[0:1]
	s_cbranch_scc0 .LBB112_48
; %bb.47:
	s_mov_b64 s[12:13], 0
	global_store_dword v[4:5], v2, off
.LBB112_48:
	s_andn2_b64 vcc, exec, s[12:13]
	s_cbranch_vccnz .LBB112_50
; %bb.49:
	global_store_short v[4:5], v2, off
.LBB112_50:
	s_mov_b64 s[12:13], 0
.LBB112_51:
	s_andn2_b64 vcc, exec, s[12:13]
	s_cbranch_vccnz .LBB112_59
; %bb.52:
	v_cvt_f32_f64_e32 v2, v[0:1]
	v_and_b32_e32 v3, 0x7fffffff, v2
	s_mov_b32 s12, 0x43800000
	v_cmp_gt_u32_e32 vcc, s12, v3
	v_mov_b32_e32 v6, 0x80
	s_and_saveexec_b64 s[12:13], vcc
	s_cbranch_execz .LBB112_58
; %bb.53:
	s_mov_b32 s18, 0x3bffffff
	v_cmp_lt_u32_e32 vcc, s18, v3
	s_mov_b64 s[18:19], 0
                                        ; implicit-def: $vgpr3
	s_and_saveexec_b64 s[22:23], vcc
	s_xor_b64 s[22:23], exec, s[22:23]
	s_cbranch_execz .LBB112_279
; %bb.54:
	v_bfe_u32 v3, v2, 20, 1
	s_mov_b32 s26, 0x487ffff
	v_add3_u32 v3, v2, v3, s26
	s_mov_b64 s[18:19], exec
	v_lshrrev_b32_e32 v3, 20, v3
	s_andn2_saveexec_b64 s[22:23], s[22:23]
	s_cbranch_execnz .LBB112_280
.LBB112_55:
	s_or_b64 exec, exec, s[22:23]
	v_mov_b32_e32 v6, 0
	s_and_saveexec_b64 s[22:23], s[18:19]
.LBB112_56:
	v_lshrrev_b32_e32 v2, 24, v2
	s_movk_i32 s18, 0x80
	v_and_or_b32 v6, v2, s18, v3
.LBB112_57:
	s_or_b64 exec, exec, s[22:23]
.LBB112_58:
	s_or_b64 exec, exec, s[12:13]
	global_store_byte v[4:5], v6, off
.LBB112_59:
	s_mov_b64 s[12:13], -1
.LBB112_60:
	s_mov_b64 s[18:19], 0
.LBB112_61:
	s_and_b64 vcc, exec, s[18:19]
	s_cbranch_vccz .LBB112_102
; %bb.62:
	s_cmp_gt_i32 s25, 22
	s_mov_b64 s[18:19], -1
	s_cbranch_scc0 .LBB112_94
; %bb.63:
	s_cmp_lt_i32 s25, 24
	s_mov_b64 s[12:13], -1
	s_cbranch_scc1 .LBB112_83
; %bb.64:
	s_cmp_gt_i32 s25, 24
	s_cbranch_scc0 .LBB112_72
; %bb.65:
	v_cvt_f32_f64_e32 v2, v[0:1]
	v_and_b32_e32 v3, 0x7fffffff, v2
	s_mov_b32 s12, 0x47800000
	v_cmp_gt_u32_e32 vcc, s12, v3
	v_mov_b32_e32 v6, 0x80
	s_and_saveexec_b64 s[12:13], vcc
	s_cbranch_execz .LBB112_71
; %bb.66:
	s_mov_b32 s18, 0x37ffffff
	v_cmp_lt_u32_e32 vcc, s18, v3
	s_mov_b64 s[18:19], 0
                                        ; implicit-def: $vgpr3
	s_and_saveexec_b64 s[22:23], vcc
	s_xor_b64 s[22:23], exec, s[22:23]
	s_cbranch_execz .LBB112_283
; %bb.67:
	v_bfe_u32 v3, v2, 21, 1
	s_mov_b32 s26, 0x88fffff
	v_add3_u32 v3, v2, v3, s26
	s_mov_b64 s[18:19], exec
	v_lshrrev_b32_e32 v3, 21, v3
	s_andn2_saveexec_b64 s[22:23], s[22:23]
	s_cbranch_execnz .LBB112_284
.LBB112_68:
	s_or_b64 exec, exec, s[22:23]
	v_mov_b32_e32 v6, 0
	s_and_saveexec_b64 s[22:23], s[18:19]
.LBB112_69:
	v_lshrrev_b32_e32 v2, 24, v2
	s_movk_i32 s18, 0x80
	v_and_or_b32 v6, v2, s18, v3
.LBB112_70:
	s_or_b64 exec, exec, s[22:23]
.LBB112_71:
	s_or_b64 exec, exec, s[12:13]
	s_mov_b64 s[12:13], 0
	global_store_byte v[4:5], v6, off
.LBB112_72:
	s_and_b64 vcc, exec, s[12:13]
	s_cbranch_vccz .LBB112_82
; %bb.73:
	v_cvt_f32_f64_e32 v2, v[0:1]
	v_and_b32_e32 v6, 0x7fffffff, v2
	s_mov_b32 s12, 0x43f00000
	v_cmp_gt_u32_e32 vcc, s12, v6
                                        ; implicit-def: $vgpr3
	s_and_saveexec_b64 s[12:13], vcc
	s_xor_b64 s[12:13], exec, s[12:13]
	s_cbranch_execz .LBB112_79
; %bb.74:
	s_mov_b32 s18, 0x3c7fffff
	v_cmp_lt_u32_e32 vcc, s18, v6
                                        ; implicit-def: $vgpr3
	s_and_saveexec_b64 s[18:19], vcc
	s_xor_b64 s[18:19], exec, s[18:19]
; %bb.75:
	v_bfe_u32 v3, v2, 20, 1
	s_mov_b32 s22, 0x407ffff
	v_add3_u32 v3, v2, v3, s22
	v_lshrrev_b32_e32 v6, 20, v3
	v_and_b32_e32 v3, 0xff00000, v3
	s_mov_b32 s22, 0x7f00000
	v_mov_b32_e32 v7, 0x7e
	v_cmp_ne_u32_e32 vcc, s22, v3
	s_nop 1
	v_cndmask_b32_e32 v3, v7, v6, vcc
; %bb.76:
	s_andn2_saveexec_b64 s[18:19], s[18:19]
; %bb.77:
	s_mov_b32 s22, 0x46800000
	v_add_f32_e64 v3, |v2|, s22
; %bb.78:
	s_or_b64 exec, exec, s[18:19]
                                        ; implicit-def: $vgpr6
.LBB112_79:
	s_andn2_saveexec_b64 s[12:13], s[12:13]
; %bb.80:
	s_mov_b32 s18, 0x7f800000
	v_mov_b32_e32 v3, 0x7e
	v_mov_b32_e32 v7, 0x7f
	v_cmp_lt_u32_e32 vcc, s18, v6
	s_nop 1
	v_cndmask_b32_e32 v3, v3, v7, vcc
; %bb.81:
	s_or_b64 exec, exec, s[12:13]
	v_lshrrev_b32_e32 v2, 24, v2
	s_movk_i32 s12, 0x80
	v_and_or_b32 v2, v2, s12, v3
	global_store_byte v[4:5], v2, off
.LBB112_82:
	s_mov_b64 s[12:13], 0
.LBB112_83:
	s_andn2_b64 vcc, exec, s[12:13]
	s_cbranch_vccnz .LBB112_93
; %bb.84:
	v_cvt_f32_f64_e32 v2, v[0:1]
	v_and_b32_e32 v6, 0x7fffffff, v2
	s_mov_b32 s12, 0x47800000
	v_cmp_gt_u32_e32 vcc, s12, v6
                                        ; implicit-def: $vgpr3
	s_and_saveexec_b64 s[12:13], vcc
	s_xor_b64 s[12:13], exec, s[12:13]
	s_cbranch_execz .LBB112_90
; %bb.85:
	s_mov_b32 s18, 0x387fffff
	v_cmp_lt_u32_e32 vcc, s18, v6
                                        ; implicit-def: $vgpr3
	s_and_saveexec_b64 s[18:19], vcc
	s_xor_b64 s[18:19], exec, s[18:19]
; %bb.86:
	v_bfe_u32 v3, v2, 21, 1
	s_mov_b32 s22, 0x80fffff
	v_add3_u32 v3, v2, v3, s22
	v_lshrrev_b32_e32 v3, 21, v3
; %bb.87:
	s_andn2_saveexec_b64 s[18:19], s[18:19]
; %bb.88:
	s_mov_b32 s22, 0x43000000
	v_add_f32_e64 v3, |v2|, s22
; %bb.89:
	s_or_b64 exec, exec, s[18:19]
                                        ; implicit-def: $vgpr6
.LBB112_90:
	s_andn2_saveexec_b64 s[12:13], s[12:13]
; %bb.91:
	s_mov_b32 s18, 0x7f800000
	v_mov_b32_e32 v3, 0x7c
	v_mov_b32_e32 v7, 0x7f
	v_cmp_lt_u32_e32 vcc, s18, v6
	s_nop 1
	v_cndmask_b32_e32 v3, v3, v7, vcc
; %bb.92:
	s_or_b64 exec, exec, s[12:13]
	v_lshrrev_b32_e32 v2, 24, v2
	s_movk_i32 s12, 0x80
	v_and_or_b32 v2, v2, s12, v3
	global_store_byte v[4:5], v2, off
.LBB112_93:
	s_mov_b64 s[18:19], 0
	s_mov_b64 s[12:13], -1
.LBB112_94:
	s_andn2_b64 vcc, exec, s[18:19]
	s_cbranch_vccnz .LBB112_102
; %bb.95:
	s_cmp_gt_i32 s25, 14
	s_mov_b64 s[18:19], -1
	s_cbranch_scc0 .LBB112_99
; %bb.96:
	s_cmp_eq_u32 s25, 15
	s_mov_b64 s[0:1], -1
	s_cbranch_scc0 .LBB112_98
; %bb.97:
	v_cvt_f32_f64_e32 v2, v[0:1]
	v_bfe_u32 v3, v2, 16, 1
	s_movk_i32 s0, 0x7fff
	v_add3_u32 v3, v2, v3, s0
	v_cmp_o_f32_e32 vcc, v2, v2
	v_mov_b32_e32 v2, 0x7fc0
	s_mov_b64 s[12:13], -1
	v_cndmask_b32_sdwa v2, v2, v3, vcc dst_sel:DWORD dst_unused:UNUSED_PAD src0_sel:DWORD src1_sel:WORD_1
	global_store_short v[4:5], v2, off
	s_mov_b64 s[0:1], 0
.LBB112_98:
	s_mov_b64 s[18:19], 0
.LBB112_99:
	s_and_b64 vcc, exec, s[18:19]
	s_cbranch_vccz .LBB112_102
; %bb.100:
	s_cmp_eq_u32 s25, 11
	s_mov_b64 s[0:1], -1
	s_cbranch_scc0 .LBB112_102
; %bb.101:
	v_cmp_neq_f64_e32 vcc, 0, v[0:1]
	s_mov_b64 s[0:1], 0
	s_mov_b64 s[12:13], -1
	v_cndmask_b32_e64 v2, 0, 1, vcc
	global_store_byte v[4:5], v2, off
.LBB112_102:
	s_branch .LBB112_20
.LBB112_103:
	s_and_b32 s18, 0xffff, s24
	s_cmp_lt_i32 s18, 5
	s_mov_b64 s[12:13], -1
	s_cbranch_scc1 .LBB112_124
; %bb.104:
	s_cmp_lt_i32 s18, 8
	s_cbranch_scc1 .LBB112_114
; %bb.105:
	s_cmp_lt_i32 s18, 9
	s_cbranch_scc1 .LBB112_111
; %bb.106:
	s_cmp_gt_i32 s18, 9
	s_cbranch_scc0 .LBB112_108
; %bb.107:
	v_mov_b32_e32 v2, 0
	v_mov_b32_e32 v3, v2
	global_store_dwordx4 v[4:5], v[0:3], off
	s_mov_b64 s[12:13], 0
.LBB112_108:
	s_andn2_b64 vcc, exec, s[12:13]
	s_cbranch_vccnz .LBB112_110
; %bb.109:
	v_cvt_f32_f64_e32 v2, v[0:1]
	v_mov_b32_e32 v3, 0
	global_store_dwordx2 v[4:5], v[2:3], off
.LBB112_110:
	s_mov_b64 s[12:13], 0
.LBB112_111:
	s_andn2_b64 vcc, exec, s[12:13]
	s_cbranch_vccnz .LBB112_113
; %bb.112:
	s_movk_i32 s12, 0x1ff
	v_and_or_b32 v2, v1, s12, v0
	v_cmp_ne_u32_e32 vcc, 0, v2
	v_lshrrev_b32_e32 v3, 8, v1
	s_movk_i32 s12, 0xffe
	v_cndmask_b32_e64 v2, 0, 1, vcc
	v_bfe_u32 v6, v1, 20, 11
	v_and_or_b32 v2, v3, s12, v2
	v_sub_u32_e32 v7, 0x3f1, v6
	v_or_b32_e32 v3, 0x1000, v2
	v_med3_i32 v7, v7, 0, 13
	v_lshrrev_b32_e32 v8, v7, v3
	v_lshlrev_b32_e32 v7, v7, v8
	v_cmp_ne_u32_e32 vcc, v7, v3
	v_add_u32_e32 v6, 0xfffffc10, v6
	v_lshl_or_b32 v7, v6, 12, v2
	v_cndmask_b32_e64 v3, 0, 1, vcc
	v_or_b32_e32 v3, v8, v3
	v_cmp_gt_i32_e32 vcc, 1, v6
	s_movk_i32 s12, 0x40f
	s_nop 0
	v_cndmask_b32_e32 v3, v7, v3, vcc
	v_and_b32_e32 v7, 7, v3
	v_cmp_lt_i32_e32 vcc, 5, v7
	v_lshrrev_b32_e32 v3, 2, v3
	s_nop 0
	v_cndmask_b32_e64 v8, 0, 1, vcc
	v_cmp_eq_u32_e32 vcc, 3, v7
	s_nop 1
	v_cndmask_b32_e64 v7, 0, 1, vcc
	v_or_b32_e32 v7, v7, v8
	v_add_u32_e32 v3, v3, v7
	v_mov_b32_e32 v7, 0x7c00
	v_cmp_gt_i32_e32 vcc, 31, v6
	v_mov_b32_e32 v8, 0x7e00
	s_nop 0
	v_cndmask_b32_e32 v3, v7, v3, vcc
	v_cmp_ne_u32_e32 vcc, 0, v2
	s_nop 1
	v_cndmask_b32_e32 v2, v7, v8, vcc
	v_cmp_eq_u32_e32 vcc, s12, v6
	s_mov_b32 s12, 0x8000
	s_nop 0
	v_cndmask_b32_e32 v2, v3, v2, vcc
	v_and_b32_sdwa v3, v1, s12 dst_sel:DWORD dst_unused:UNUSED_PAD src0_sel:WORD_1 src1_sel:DWORD
	s_mov_b32 s12, 0xffff
	v_bitop3_b32 v2, v3, s12, v2 bitop3:0xc8
	global_store_dword v[4:5], v2, off
.LBB112_113:
	s_mov_b64 s[12:13], 0
.LBB112_114:
	s_andn2_b64 vcc, exec, s[12:13]
	s_cbranch_vccnz .LBB112_123
; %bb.115:
	s_cmp_lt_i32 s18, 6
	s_mov_b64 s[12:13], -1
	s_cbranch_scc1 .LBB112_121
; %bb.116:
	s_cmp_gt_i32 s18, 6
	s_cbranch_scc0 .LBB112_118
; %bb.117:
	global_store_dwordx2 v[4:5], v[0:1], off
	s_mov_b64 s[12:13], 0
.LBB112_118:
	s_andn2_b64 vcc, exec, s[12:13]
	s_cbranch_vccnz .LBB112_120
; %bb.119:
	v_cvt_f32_f64_e32 v2, v[0:1]
	global_store_dword v[4:5], v2, off
.LBB112_120:
	s_mov_b64 s[12:13], 0
.LBB112_121:
	s_andn2_b64 vcc, exec, s[12:13]
	s_cbranch_vccnz .LBB112_123
; %bb.122:
	s_movk_i32 s12, 0x1ff
	v_and_or_b32 v2, v1, s12, v0
	v_cmp_ne_u32_e32 vcc, 0, v2
	v_lshrrev_b32_e32 v3, 8, v1
	s_movk_i32 s12, 0xffe
	v_cndmask_b32_e64 v2, 0, 1, vcc
	v_bfe_u32 v6, v1, 20, 11
	v_and_or_b32 v2, v3, s12, v2
	v_sub_u32_e32 v7, 0x3f1, v6
	v_or_b32_e32 v3, 0x1000, v2
	v_med3_i32 v7, v7, 0, 13
	v_lshrrev_b32_e32 v8, v7, v3
	v_lshlrev_b32_e32 v7, v7, v8
	v_cmp_ne_u32_e32 vcc, v7, v3
	v_add_u32_e32 v6, 0xfffffc10, v6
	v_lshl_or_b32 v7, v6, 12, v2
	v_cndmask_b32_e64 v3, 0, 1, vcc
	v_or_b32_e32 v3, v8, v3
	v_cmp_gt_i32_e32 vcc, 1, v6
	s_movk_i32 s12, 0x40f
	s_nop 0
	v_cndmask_b32_e32 v3, v7, v3, vcc
	v_and_b32_e32 v7, 7, v3
	v_cmp_lt_i32_e32 vcc, 5, v7
	v_lshrrev_b32_e32 v3, 2, v3
	s_nop 0
	v_cndmask_b32_e64 v8, 0, 1, vcc
	v_cmp_eq_u32_e32 vcc, 3, v7
	s_nop 1
	v_cndmask_b32_e64 v7, 0, 1, vcc
	v_or_b32_e32 v7, v7, v8
	v_add_u32_e32 v3, v3, v7
	v_mov_b32_e32 v7, 0x7c00
	v_cmp_gt_i32_e32 vcc, 31, v6
	v_mov_b32_e32 v8, 0x7e00
	s_nop 0
	v_cndmask_b32_e32 v3, v7, v3, vcc
	v_cmp_ne_u32_e32 vcc, 0, v2
	s_nop 1
	v_cndmask_b32_e32 v2, v7, v8, vcc
	v_cmp_eq_u32_e32 vcc, s12, v6
	s_mov_b32 s12, 0x8000
	s_nop 0
	v_cndmask_b32_e32 v2, v3, v2, vcc
	v_lshrrev_b32_e32 v3, 16, v1
	v_and_or_b32 v2, v3, s12, v2
	global_store_short v[4:5], v2, off
.LBB112_123:
	s_mov_b64 s[12:13], 0
.LBB112_124:
	s_andn2_b64 vcc, exec, s[12:13]
	s_cbranch_vccnz .LBB112_140
; %bb.125:
	s_cmp_lt_i32 s18, 2
	s_mov_b64 s[12:13], -1
	s_cbranch_scc1 .LBB112_135
; %bb.126:
	s_cmp_lt_i32 s18, 3
	s_cbranch_scc1 .LBB112_132
; %bb.127:
	s_cmp_gt_i32 s18, 3
	s_cbranch_scc0 .LBB112_129
; %bb.128:
	v_trunc_f64_e32 v[2:3], v[0:1]
	s_movk_i32 s12, 0xffe0
	v_ldexp_f64 v[6:7], v[2:3], s12
	v_floor_f64_e32 v[6:7], v[6:7]
	v_fmac_f64_e32 v[2:3], 0xc1f00000, v[6:7]
	v_cvt_i32_f64_e32 v9, v[6:7]
	v_cvt_u32_f64_e32 v8, v[2:3]
	global_store_dwordx2 v[4:5], v[8:9], off
	s_mov_b64 s[12:13], 0
.LBB112_129:
	s_andn2_b64 vcc, exec, s[12:13]
	s_cbranch_vccnz .LBB112_131
; %bb.130:
	v_cvt_i32_f64_e32 v2, v[0:1]
	global_store_dword v[4:5], v2, off
.LBB112_131:
	s_mov_b64 s[12:13], 0
.LBB112_132:
	s_andn2_b64 vcc, exec, s[12:13]
	s_cbranch_vccnz .LBB112_134
; %bb.133:
	v_cvt_i32_f64_e32 v2, v[0:1]
	global_store_short v[4:5], v2, off
.LBB112_134:
	s_mov_b64 s[12:13], 0
.LBB112_135:
	s_andn2_b64 vcc, exec, s[12:13]
	s_cbranch_vccnz .LBB112_140
; %bb.136:
	s_cmp_gt_i32 s18, 0
	s_mov_b64 s[12:13], -1
	s_cbranch_scc0 .LBB112_138
; %bb.137:
	v_cvt_i32_f64_e32 v2, v[0:1]
	global_store_byte v[4:5], v2, off
	s_mov_b64 s[12:13], 0
.LBB112_138:
	s_andn2_b64 vcc, exec, s[12:13]
	s_cbranch_vccnz .LBB112_140
; %bb.139:
	v_trunc_f64_e32 v[0:1], v[0:1]
	s_movk_i32 s12, 0xffe0
	v_ldexp_f64 v[2:3], v[0:1], s12
	v_floor_f64_e32 v[2:3], v[2:3]
	v_fmac_f64_e32 v[0:1], 0xc1f00000, v[2:3]
	v_cvt_u32_f64_e32 v0, v[0:1]
	global_store_byte v[4:5], v0, off
.LBB112_140:
	s_branch .LBB112_21
.LBB112_141:
	s_mov_b64 s[18:19], 0
                                        ; implicit-def: $vgpr10
	s_branch .LBB112_251
.LBB112_142:
	s_mov_b64 s[14:15], -1
                                        ; implicit-def: $vgpr2_vgpr3
.LBB112_143:
	s_mov_b64 s[12:13], 0
.LBB112_144:
	s_and_b64 vcc, exec, s[12:13]
	s_cbranch_vccz .LBB112_148
; %bb.145:
	s_cmp_eq_u32 s22, 29
	s_cbranch_scc0 .LBB112_147
; %bb.146:
	global_load_dwordx2 v[2:3], v[0:1], off
	s_mov_b64 s[0:1], -1
	s_mov_b64 s[14:15], 0
	s_mov_b64 s[12:13], 0
	s_waitcnt vmcnt(0)
	v_cvt_f64_u32_e32 v[4:5], v3
	v_cvt_f64_u32_e32 v[2:3], v2
	v_ldexp_f64 v[4:5], v[4:5], 32
	v_add_f64 v[2:3], v[4:5], v[2:3]
	s_branch .LBB112_149
.LBB112_147:
	s_mov_b64 s[14:15], -1
                                        ; implicit-def: $vgpr2_vgpr3
.LBB112_148:
	s_mov_b64 s[12:13], 0
.LBB112_149:
	s_and_b64 vcc, exec, s[12:13]
	s_cbranch_vccz .LBB112_169
; %bb.150:
	s_cmp_lt_i32 s22, 27
	s_cbranch_scc1 .LBB112_153
; %bb.151:
	s_cmp_gt_i32 s22, 27
	s_cbranch_scc0 .LBB112_154
; %bb.152:
	global_load_dword v2, v[0:1], off
	s_mov_b64 s[0:1], 0
	s_waitcnt vmcnt(0)
	v_cvt_f64_u32_e32 v[2:3], v2
	s_branch .LBB112_155
.LBB112_153:
	s_mov_b64 s[0:1], -1
                                        ; implicit-def: $vgpr2_vgpr3
	s_branch .LBB112_158
.LBB112_154:
	s_mov_b64 s[0:1], -1
                                        ; implicit-def: $vgpr2_vgpr3
.LBB112_155:
	s_andn2_b64 vcc, exec, s[0:1]
	s_cbranch_vccnz .LBB112_157
; %bb.156:
	global_load_ushort v2, v[0:1], off
	s_waitcnt vmcnt(0)
	v_cvt_f64_u32_e32 v[2:3], v2
.LBB112_157:
	s_mov_b64 s[0:1], 0
.LBB112_158:
	s_andn2_b64 vcc, exec, s[0:1]
	s_cbranch_vccnz .LBB112_168
; %bb.159:
	global_load_ubyte v4, v[0:1], off
	s_movk_i32 s0, 0x7f
	s_waitcnt vmcnt(0)
	v_cmp_lt_i16_e32 vcc, s0, v4
	s_mov_b64 s[0:1], 0
	s_and_saveexec_b64 s[12:13], vcc
	s_xor_b64 s[12:13], exec, s[12:13]
	s_cbranch_execz .LBB112_163
; %bb.160:
	s_movk_i32 s0, 0x80
	v_cmp_eq_u16_e32 vcc, s0, v4
	s_mov_b64 s[0:1], -1
	s_and_saveexec_b64 s[18:19], vcc
; %bb.161:
	s_xor_b64 s[0:1], exec, -1
; %bb.162:
	s_or_b64 exec, exec, s[18:19]
	s_and_b64 s[0:1], s[0:1], exec
.LBB112_163:
	s_or_saveexec_b64 s[12:13], s[12:13]
	v_bfrev_b32_e32 v2, 4
	v_mov_b32_e32 v3, 0x7ff80000
	s_xor_b64 exec, exec, s[12:13]
; %bb.164:
	v_cmp_ne_u16_e32 vcc, 0, v4
	s_andn2_b64 s[0:1], s[0:1], exec
	s_and_b64 s[18:19], vcc, exec
	v_mov_b64_e32 v[2:3], 0
	s_or_b64 s[0:1], s[0:1], s[18:19]
; %bb.165:
	s_or_b64 exec, exec, s[12:13]
	s_and_saveexec_b64 s[12:13], s[0:1]
	s_cbranch_execz .LBB112_167
; %bb.166:
	v_and_b32_e32 v3, 0xffff, v4
	v_lshlrev_b32_e32 v2, 24, v4
	v_and_b32_e32 v4, 7, v3
	v_ffbh_u32_e32 v6, v4
	v_min_u32_e32 v6, 32, v6
	v_subrev_u32_e32 v7, 28, v6
	v_bfe_u32 v5, v3, 3, 4
	v_lshlrev_b32_e32 v3, v7, v3
	v_sub_u32_e32 v6, 29, v6
	v_and_b32_e32 v3, 7, v3
	v_cmp_eq_u32_e32 vcc, 0, v5
	v_and_b32_e32 v2, 0x80000000, v2
	s_nop 0
	v_cndmask_b32_e32 v5, v5, v6, vcc
	v_cndmask_b32_e32 v3, v4, v3, vcc
	v_mov_b32_e32 v4, 0x3b800000
	v_lshlrev_b32_e32 v3, 20, v3
	v_lshl_add_u32 v4, v5, 23, v4
	v_or3_b32 v2, v2, v4, v3
	v_cvt_f64_f32_e32 v[2:3], v2
.LBB112_167:
	s_or_b64 exec, exec, s[12:13]
.LBB112_168:
	s_mov_b64 s[0:1], -1
.LBB112_169:
	s_branch .LBB112_202
.LBB112_170:
	s_cmp_gt_i32 s22, 22
	s_cbranch_scc0 .LBB112_182
; %bb.171:
	s_cmp_lt_i32 s22, 24
	s_cbranch_scc1 .LBB112_183
; %bb.172:
	s_cmp_gt_i32 s22, 24
	s_cbranch_scc0 .LBB112_184
; %bb.173:
	global_load_ubyte v4, v[0:1], off
	s_movk_i32 s0, 0x7f
	s_waitcnt vmcnt(0)
	v_cmp_lt_i16_e32 vcc, s0, v4
	s_mov_b64 s[0:1], 0
	s_and_saveexec_b64 s[12:13], vcc
	s_xor_b64 s[12:13], exec, s[12:13]
	s_cbranch_execz .LBB112_177
; %bb.174:
	s_movk_i32 s0, 0x80
	v_cmp_eq_u16_e32 vcc, s0, v4
	s_mov_b64 s[0:1], -1
	s_and_saveexec_b64 s[18:19], vcc
; %bb.175:
	s_xor_b64 s[0:1], exec, -1
; %bb.176:
	s_or_b64 exec, exec, s[18:19]
	s_and_b64 s[0:1], s[0:1], exec
.LBB112_177:
	s_or_saveexec_b64 s[12:13], s[12:13]
	v_bfrev_b32_e32 v2, 4
	v_mov_b32_e32 v3, 0x7ff80000
	s_xor_b64 exec, exec, s[12:13]
; %bb.178:
	v_cmp_ne_u16_e32 vcc, 0, v4
	s_andn2_b64 s[0:1], s[0:1], exec
	s_and_b64 s[18:19], vcc, exec
	v_mov_b64_e32 v[2:3], 0
	s_or_b64 s[0:1], s[0:1], s[18:19]
; %bb.179:
	s_or_b64 exec, exec, s[12:13]
	s_and_saveexec_b64 s[12:13], s[0:1]
	s_cbranch_execz .LBB112_181
; %bb.180:
	v_and_b32_e32 v3, 0xffff, v4
	v_lshlrev_b32_e32 v2, 24, v4
	v_and_b32_e32 v4, 3, v3
	v_ffbh_u32_e32 v6, v4
	v_min_u32_e32 v6, 32, v6
	v_subrev_u32_e32 v7, 29, v6
	v_bfe_u32 v5, v3, 2, 5
	v_lshlrev_b32_e32 v3, v7, v3
	v_sub_u32_e32 v6, 30, v6
	v_and_b32_e32 v3, 3, v3
	v_cmp_eq_u32_e32 vcc, 0, v5
	v_and_b32_e32 v2, 0x80000000, v2
	s_nop 0
	v_cndmask_b32_e32 v5, v5, v6, vcc
	v_cndmask_b32_e32 v3, v4, v3, vcc
	v_mov_b32_e32 v4, 0x37800000
	v_lshlrev_b32_e32 v3, 21, v3
	v_lshl_add_u32 v4, v5, 23, v4
	v_or3_b32 v2, v2, v4, v3
	v_cvt_f64_f32_e32 v[2:3], v2
.LBB112_181:
	s_or_b64 exec, exec, s[12:13]
	s_mov_b64 s[0:1], 0
	s_branch .LBB112_185
.LBB112_182:
	s_mov_b64 s[12:13], -1
                                        ; implicit-def: $vgpr2_vgpr3
	s_branch .LBB112_191
.LBB112_183:
	s_mov_b64 s[0:1], -1
                                        ; implicit-def: $vgpr2_vgpr3
	s_branch .LBB112_188
.LBB112_184:
	s_mov_b64 s[0:1], -1
                                        ; implicit-def: $vgpr2_vgpr3
.LBB112_185:
	s_and_b64 vcc, exec, s[0:1]
	s_cbranch_vccz .LBB112_187
; %bb.186:
	global_load_ubyte v2, v[0:1], off
	s_mov_b32 s0, 0x7f800000
	s_waitcnt vmcnt(0)
	v_lshlrev_b32_e32 v2, 24, v2
	v_and_b32_e32 v3, 0x7f000000, v2
	v_ffbh_u32_e32 v4, v3
	v_min_u32_e32 v4, 32, v4
	v_sub_u32_e64 v4, v4, 4 clamp
	v_lshlrev_b32_e32 v6, v4, v3
	v_lshlrev_b32_e32 v4, 23, v4
	v_lshrrev_b32_e32 v6, 4, v6
	v_add_u32_e32 v5, 0x1000000, v3
	v_sub_u32_e32 v4, v6, v4
	v_ashrrev_i32_e32 v5, 8, v5
	v_add_u32_e32 v4, 0x3c000000, v4
	v_and_or_b32 v4, v5, s0, v4
	v_cmp_ne_u32_e32 vcc, 0, v3
	s_brev_b32 s0, 1
	s_nop 0
	v_cndmask_b32_e32 v3, 0, v4, vcc
	v_and_or_b32 v2, v2, s0, v3
	v_cvt_f64_f32_e32 v[2:3], v2
.LBB112_187:
	s_mov_b64 s[0:1], 0
.LBB112_188:
	s_andn2_b64 vcc, exec, s[0:1]
	s_cbranch_vccnz .LBB112_190
; %bb.189:
	global_load_ubyte v2, v[0:1], off
	s_movk_i32 s0, 0x7f00
	s_brev_b32 s1, 16
	s_waitcnt vmcnt(0)
	v_lshlrev_b16_e32 v3, 8, v2
	v_lshlrev_b32_e32 v2, 25, v2
	v_lshrrev_b32_e32 v4, 4, v2
	v_and_or_b32 v5, v3, s0, 0.5
	v_or_b32_e32 v4, 0x70000000, v4
	v_add_f32_e32 v5, -0.5, v5
	v_mul_f32_e32 v4, 0x7800000, v4
	v_cmp_gt_u32_e32 vcc, s1, v2
	v_bfe_i32 v3, v3, 0, 16
	s_brev_b32 s0, 1
	v_cndmask_b32_e32 v2, v4, v5, vcc
	v_and_or_b32 v2, v3, s0, v2
	v_cvt_f64_f32_e32 v[2:3], v2
.LBB112_190:
	s_mov_b64 s[12:13], 0
	s_mov_b64 s[0:1], -1
.LBB112_191:
	s_andn2_b64 vcc, exec, s[12:13]
	s_cbranch_vccnz .LBB112_202
; %bb.192:
	s_cmp_gt_i32 s22, 14
	s_cbranch_scc0 .LBB112_195
; %bb.193:
	s_cmp_eq_u32 s22, 15
	s_cbranch_scc0 .LBB112_196
; %bb.194:
	global_load_ushort v2, v[0:1], off
	s_mov_b64 s[0:1], -1
	s_mov_b64 s[14:15], 0
	s_waitcnt vmcnt(0)
	v_lshlrev_b32_e32 v2, 16, v2
	v_cvt_f64_f32_e32 v[2:3], v2
	s_branch .LBB112_197
.LBB112_195:
	s_mov_b64 s[12:13], -1
                                        ; implicit-def: $vgpr2_vgpr3
	s_branch .LBB112_198
.LBB112_196:
	s_mov_b64 s[14:15], -1
                                        ; implicit-def: $vgpr2_vgpr3
.LBB112_197:
	s_mov_b64 s[12:13], 0
.LBB112_198:
	s_and_b64 vcc, exec, s[12:13]
	s_cbranch_vccz .LBB112_202
; %bb.199:
	s_cmp_eq_u32 s22, 11
	s_cbranch_scc0 .LBB112_201
; %bb.200:
	global_load_ubyte v3, v[0:1], off
	v_mov_b32_e32 v4, 0x3ff00000
	v_mov_b32_e32 v2, 0
	s_mov_b64 s[0:1], -1
	s_mov_b64 s[14:15], 0
	s_waitcnt vmcnt(0)
	v_cmp_ne_u16_e32 vcc, 0, v3
	s_nop 1
	v_cndmask_b32_e32 v3, 0, v4, vcc
	s_branch .LBB112_202
.LBB112_201:
	s_mov_b64 s[14:15], -1
                                        ; implicit-def: $vgpr2_vgpr3
.LBB112_202:
	s_branch .LBB112_10
.LBB112_203:
	s_cmp_lt_i32 s22, 5
	s_cbranch_scc1 .LBB112_208
; %bb.204:
	s_cmp_lt_i32 s22, 8
	s_cbranch_scc1 .LBB112_209
; %bb.205:
	;; [unrolled: 3-line block ×3, first 2 shown]
	s_cmp_gt_i32 s22, 9
	s_cbranch_scc0 .LBB112_211
; %bb.207:
	global_load_dwordx2 v[2:3], v[0:1], off
	s_mov_b64 s[0:1], 0
	s_branch .LBB112_212
.LBB112_208:
                                        ; implicit-def: $vgpr2_vgpr3
	s_branch .LBB112_230
.LBB112_209:
	s_mov_b64 s[0:1], -1
                                        ; implicit-def: $vgpr2_vgpr3
	s_branch .LBB112_218
.LBB112_210:
	s_mov_b64 s[0:1], -1
                                        ; implicit-def: $vgpr2_vgpr3
	s_branch .LBB112_215
.LBB112_211:
	s_mov_b64 s[0:1], -1
                                        ; implicit-def: $vgpr2_vgpr3
.LBB112_212:
	s_andn2_b64 vcc, exec, s[0:1]
	s_cbranch_vccnz .LBB112_214
; %bb.213:
	global_load_dword v2, v[0:1], off
	s_waitcnt vmcnt(0)
	v_cvt_f64_f32_e32 v[2:3], v2
.LBB112_214:
	s_mov_b64 s[0:1], 0
.LBB112_215:
	s_andn2_b64 vcc, exec, s[0:1]
	s_cbranch_vccnz .LBB112_217
; %bb.216:
	global_load_dword v2, v[0:1], off
	s_waitcnt vmcnt(0)
	v_cvt_f32_f16_e32 v2, v2
	v_cvt_f64_f32_e32 v[2:3], v2
.LBB112_217:
	s_mov_b64 s[0:1], 0
.LBB112_218:
	s_andn2_b64 vcc, exec, s[0:1]
	s_cbranch_vccnz .LBB112_229
; %bb.219:
	s_cmp_lt_i32 s22, 6
	s_cbranch_scc1 .LBB112_222
; %bb.220:
	s_cmp_gt_i32 s22, 6
	s_cbranch_scc0 .LBB112_223
; %bb.221:
	global_load_dwordx2 v[2:3], v[0:1], off
	s_mov_b64 s[0:1], 0
	s_branch .LBB112_224
.LBB112_222:
	s_mov_b64 s[0:1], -1
                                        ; implicit-def: $vgpr2_vgpr3
	s_branch .LBB112_227
.LBB112_223:
	s_mov_b64 s[0:1], -1
                                        ; implicit-def: $vgpr2_vgpr3
.LBB112_224:
	s_andn2_b64 vcc, exec, s[0:1]
	s_cbranch_vccnz .LBB112_226
; %bb.225:
	global_load_dword v2, v[0:1], off
	s_waitcnt vmcnt(0)
	v_cvt_f64_f32_e32 v[2:3], v2
.LBB112_226:
	s_mov_b64 s[0:1], 0
.LBB112_227:
	s_andn2_b64 vcc, exec, s[0:1]
	s_cbranch_vccnz .LBB112_229
; %bb.228:
	global_load_ushort v2, v[0:1], off
	s_waitcnt vmcnt(0)
	v_cvt_f32_f16_e32 v2, v2
	v_cvt_f64_f32_e32 v[2:3], v2
.LBB112_229:
	s_cbranch_execnz .LBB112_249
.LBB112_230:
	s_cmp_lt_i32 s22, 2
	s_cbranch_scc1 .LBB112_234
; %bb.231:
	s_cmp_lt_i32 s22, 3
	s_cbranch_scc1 .LBB112_235
; %bb.232:
	s_cmp_gt_i32 s22, 3
	s_cbranch_scc0 .LBB112_236
; %bb.233:
	global_load_dwordx2 v[2:3], v[0:1], off
	s_mov_b64 s[0:1], 0
	s_waitcnt vmcnt(0)
	v_cvt_f64_i32_e32 v[4:5], v3
	v_cvt_f64_u32_e32 v[2:3], v2
	v_ldexp_f64 v[4:5], v[4:5], 32
	v_add_f64 v[2:3], v[4:5], v[2:3]
	s_branch .LBB112_237
.LBB112_234:
	s_mov_b64 s[0:1], -1
                                        ; implicit-def: $vgpr2_vgpr3
	s_branch .LBB112_243
.LBB112_235:
	s_mov_b64 s[0:1], -1
                                        ; implicit-def: $vgpr2_vgpr3
	s_branch .LBB112_240
.LBB112_236:
	s_mov_b64 s[0:1], -1
                                        ; implicit-def: $vgpr2_vgpr3
.LBB112_237:
	s_andn2_b64 vcc, exec, s[0:1]
	s_cbranch_vccnz .LBB112_239
; %bb.238:
	global_load_dword v2, v[0:1], off
	s_waitcnt vmcnt(0)
	v_cvt_f64_i32_e32 v[2:3], v2
.LBB112_239:
	s_mov_b64 s[0:1], 0
.LBB112_240:
	s_andn2_b64 vcc, exec, s[0:1]
	s_cbranch_vccnz .LBB112_242
; %bb.241:
	global_load_sshort v2, v[0:1], off
	s_waitcnt vmcnt(0)
	v_cvt_f64_i32_e32 v[2:3], v2
.LBB112_242:
	s_mov_b64 s[0:1], 0
.LBB112_243:
	s_andn2_b64 vcc, exec, s[0:1]
	s_cbranch_vccnz .LBB112_249
; %bb.244:
	s_cmp_gt_i32 s22, 0
	s_cbranch_scc0 .LBB112_246
; %bb.245:
	global_load_sbyte v2, v[0:1], off
	s_mov_b64 s[0:1], 0
	s_waitcnt vmcnt(0)
	v_cvt_f64_i32_e32 v[2:3], v2
	s_branch .LBB112_247
.LBB112_246:
	s_mov_b64 s[0:1], -1
                                        ; implicit-def: $vgpr2_vgpr3
.LBB112_247:
	s_andn2_b64 vcc, exec, s[0:1]
	s_cbranch_vccnz .LBB112_249
; %bb.248:
	global_load_ubyte v0, v[0:1], off
	s_waitcnt vmcnt(0)
	v_cvt_f64_u32_e32 v[2:3], v0
.LBB112_249:
	s_branch .LBB112_11
.LBB112_250:
	s_mov_b64 s[0:1], 0
                                        ; implicit-def: $vgpr10
	s_mov_b64 s[18:19], 0
.LBB112_251:
	s_and_b64 s[12:13], s[0:1], exec
	s_and_b64 s[14:15], s[14:15], exec
	s_orn2_b64 s[18:19], s[18:19], exec
.LBB112_252:
	s_or_b64 exec, exec, s[16:17]
	s_mov_b64 s[22:23], 0
	s_mov_b64 s[0:1], 0
                                        ; implicit-def: $vgpr0_vgpr1
                                        ; implicit-def: $vgpr2_vgpr3
	s_and_saveexec_b64 s[16:17], s[18:19]
	s_cbranch_execz .LBB112_261
; %bb.253:
	v_cmp_gt_i32_e32 vcc, s38, v10
	s_mov_b64 s[0:1], -1
	s_mov_b64 s[18:19], s[14:15]
	s_mov_b64 s[20:21], s[12:13]
	s_and_saveexec_b64 s[22:23], vcc
	s_cbranch_execz .LBB112_513
; %bb.254:
	v_mul_lo_u32 v0, v10, s9
	v_ashrrev_i32_e32 v1, 31, v0
	s_and_b32 s26, 0xffff, s42
	s_cmp_lt_i32 s26, 11
	v_lshl_add_u64 v[0:1], s[6:7], 0, v[0:1]
	s_cbranch_scc1 .LBB112_264
; %bb.255:
	s_cmp_gt_i32 s26, 25
	s_cbranch_scc0 .LBB112_273
; %bb.256:
	s_cmp_gt_i32 s26, 28
	s_cbranch_scc0 .LBB112_275
; %bb.257:
	s_cmp_gt_i32 s26, 43
	s_cbranch_scc0 .LBB112_277
; %bb.258:
	s_cmp_gt_i32 s26, 45
	s_cbranch_scc0 .LBB112_281
; %bb.259:
	s_cmp_eq_u32 s26, 46
	s_mov_b64 s[20:21], 0
	s_cbranch_scc0 .LBB112_285
; %bb.260:
	global_load_dword v2, v[0:1], off
	s_mov_b64 s[18:19], 0
	s_waitcnt vmcnt(0)
	v_lshlrev_b32_e32 v2, 16, v2
	v_cvt_f64_f32_e32 v[2:3], v2
	s_branch .LBB112_286
.LBB112_261:
	s_or_b64 exec, exec, s[16:17]
	s_mov_b64 s[16:17], 0
	s_and_saveexec_b64 s[18:19], s[14:15]
	s_cbranch_execnz .LBB112_859
.LBB112_262:
	s_or_b64 exec, exec, s[18:19]
	s_and_saveexec_b64 s[14:15], s[20:21]
	s_xor_b64 s[14:15], exec, s[14:15]
	s_cbranch_execz .LBB112_860
.LBB112_263:
	global_load_ubyte v3, v[0:1], off
	v_mov_b32_e32 v4, 0x3ff00000
	s_waitcnt vmcnt(1)
	v_mov_b32_e32 v2, 0
	s_or_b64 s[0:1], s[0:1], exec
	s_waitcnt vmcnt(0)
	v_cmp_ne_u16_e32 vcc, 0, v3
	s_nop 1
	v_cndmask_b32_e32 v3, 0, v4, vcc
	s_or_b64 exec, exec, s[14:15]
	s_and_saveexec_b64 s[14:15], s[22:23]
	s_cbranch_execz .LBB112_906
	s_branch .LBB112_861
.LBB112_264:
	s_mov_b64 s[0:1], 0
                                        ; implicit-def: $vgpr2_vgpr3
	s_mov_b64 s[18:19], s[14:15]
	s_cbranch_execnz .LBB112_463
.LBB112_265:
	s_andn2_b64 vcc, exec, s[0:1]
	s_cbranch_vccnz .LBB112_511
.LBB112_266:
	s_mov_b32 s0, 0x652b82fe
	s_mov_b32 s1, 0x3ff71547
	s_waitcnt vmcnt(0)
	v_mul_f64 v[0:1], v[2:3], s[0:1]
	v_rndne_f64_e32 v[0:1], v[0:1]
	s_mov_b32 s1, 0xbfe62e42
	s_mov_b32 s0, 0xfefa39ef
	;; [unrolled: 1-line block ×3, first 2 shown]
	v_fma_f64 v[4:5], s[0:1], v[0:1], v[2:3]
	s_mov_b32 s21, 0xbc7abc9e
	v_fmac_f64_e32 v[4:5], s[20:21], v[0:1]
	s_mov_b32 s20, 0xa9d67f34
	v_mov_b32_e32 v6, 0x2a1b768b
	v_mov_b32_e32 v7, 0x3e5af4eb
	s_mov_b32 s21, 0x3e21f32e
	v_fmac_f64_e32 v[6:7], s[20:21], v[4:5]
	v_mov_b32_e32 v8, 0xe0ac05b
	v_mov_b32_e32 v9, 0x3e927e50
	v_fmac_f64_e32 v[8:9], v[4:5], v[6:7]
	v_mov_b32_e32 v6, 0x1b889c29
	v_mov_b32_e32 v7, 0x3ec71de0
	;; [unrolled: 3-line block ×8, first 2 shown]
	v_fmac_f64_e32 v[6:7], v[4:5], v[8:9]
	v_fma_f64 v[6:7], v[4:5], v[6:7], 0.5
	v_mul_f64 v[6:7], v[4:5], v[6:7]
	s_mov_b32 s20, 0
	v_fmac_f64_e32 v[4:5], v[4:5], v[6:7]
	s_mov_b32 s21, 0x40900000
	v_cvt_i32_f64_e32 v6, v[0:1]
	v_ldexp_f64 v[6:7], 1.0, v6
	v_mov_b32_e32 v8, 0x7fe00000
	v_cmp_eq_f64_e32 vcc, s[20:21], v[0:1]
	s_mov_b32 s1, 0x40862e42
	s_and_b32 s28, s33, 0xff
	v_cndmask_b32_e32 v1, v7, v8, vcc
	v_cndmask_b32_e64 v0, v6, 0, vcc
	v_add_f64 v[6:7], v[0:1], -1.0
	v_fmac_f64_e32 v[6:7], v[0:1], v[4:5]
	v_add_f64 v[0:1], v[6:7], v[6:7]
	v_cndmask_b32_e32 v0, v6, v0, vcc
	v_cndmask_b32_e32 v1, v7, v1, vcc
	v_cmp_nlt_f64_e32 vcc, s[0:1], v[2:3]
	s_mov_b32 s0, 0
	s_mov_b32 s1, 0xc0428000
	v_mov_b32_e32 v4, 0x7ff00000
	v_cmp_ngt_f64_e64 s[0:1], s[0:1], v[2:3]
	v_mul_lo_u32 v2, v10, s8
	v_cndmask_b32_e32 v1, v4, v1, vcc
	v_mov_b32_e32 v4, 0xbff00000
	s_and_b64 vcc, s[0:1], vcc
	v_ashrrev_i32_e32 v3, 31, v2
	v_cndmask_b32_e64 v1, v4, v1, s[0:1]
	v_cndmask_b32_e32 v0, 0, v0, vcc
	s_cmp_lt_i32 s28, 11
	v_lshl_add_u64 v[4:5], s[4:5], 0, v[2:3]
	s_cbranch_scc1 .LBB112_274
; %bb.267:
	s_and_b32 s29, 0xffff, s28
	s_cmp_gt_i32 s29, 25
	s_cbranch_scc0 .LBB112_276
; %bb.268:
	s_cmp_gt_i32 s29, 28
	s_cbranch_scc0 .LBB112_278
; %bb.269:
	;; [unrolled: 3-line block ×4, first 2 shown]
	s_mov_b64 s[24:25], 0
	s_mov_b64 s[0:1], -1
	s_cmp_eq_u32 s29, 46
	s_mov_b64 s[20:21], 0
	s_cbranch_scc0 .LBB112_290
; %bb.272:
	v_cvt_f32_f64_e32 v2, v[0:1]
	v_bfe_u32 v3, v2, 16, 1
	s_movk_i32 s0, 0x7fff
	v_add3_u32 v3, v2, v3, s0
	v_cmp_o_f32_e32 vcc, v2, v2
	v_mov_b32_e32 v2, 0x7fc0
	s_mov_b64 s[20:21], -1
	v_cndmask_b32_sdwa v2, v2, v3, vcc dst_sel:DWORD dst_unused:UNUSED_PAD src0_sel:DWORD src1_sel:WORD_1
	global_store_dword v[4:5], v2, off
	s_mov_b64 s[0:1], 0
	s_branch .LBB112_290
.LBB112_273:
	s_mov_b64 s[20:21], -1
	s_mov_b64 s[0:1], 0
	s_mov_b64 s[18:19], s[14:15]
                                        ; implicit-def: $vgpr2_vgpr3
	s_branch .LBB112_429
.LBB112_274:
	s_mov_b64 s[24:25], -1
	s_mov_b64 s[20:21], 0
	s_mov_b64 s[0:1], s[12:13]
	s_branch .LBB112_359
.LBB112_275:
	s_mov_b64 s[20:21], -1
	s_mov_b64 s[0:1], 0
	s_mov_b64 s[18:19], s[14:15]
                                        ; implicit-def: $vgpr2_vgpr3
	s_branch .LBB112_408
.LBB112_276:
	s_mov_b64 s[24:25], -1
	s_mov_b64 s[20:21], 0
	s_mov_b64 s[0:1], s[12:13]
	s_branch .LBB112_317
.LBB112_277:
	s_mov_b64 s[20:21], -1
	s_mov_b64 s[0:1], 0
	s_mov_b64 s[18:19], s[14:15]
                                        ; implicit-def: $vgpr2_vgpr3
	s_branch .LBB112_403
.LBB112_278:
	s_mov_b64 s[24:25], -1
	s_mov_b64 s[20:21], 0
	s_mov_b64 s[0:1], s[12:13]
	s_branch .LBB112_300
.LBB112_279:
	s_andn2_saveexec_b64 s[22:23], s[22:23]
	s_cbranch_execz .LBB112_55
.LBB112_280:
	s_mov_b32 s26, 0x46000000
	v_add_f32_e64 v3, |v2|, s26
	v_and_b32_e32 v3, 0xff, v3
	v_cmp_ne_u32_e32 vcc, 0, v3
	s_andn2_b64 s[18:19], s[18:19], exec
	s_and_b64 s[26:27], vcc, exec
	s_or_b64 s[18:19], s[18:19], s[26:27]
	s_or_b64 exec, exec, s[22:23]
	v_mov_b32_e32 v6, 0
	s_and_saveexec_b64 s[22:23], s[18:19]
	s_cbranch_execnz .LBB112_56
	s_branch .LBB112_57
.LBB112_281:
	s_mov_b64 s[20:21], -1
	s_mov_b64 s[0:1], 0
	s_mov_b64 s[18:19], s[14:15]
                                        ; implicit-def: $vgpr2_vgpr3
	s_branch .LBB112_286
.LBB112_282:
	s_mov_b64 s[24:25], -1
	s_mov_b64 s[20:21], 0
	s_mov_b64 s[0:1], s[12:13]
	s_branch .LBB112_296
.LBB112_283:
	s_andn2_saveexec_b64 s[22:23], s[22:23]
	s_cbranch_execz .LBB112_68
.LBB112_284:
	s_mov_b32 s26, 0x42800000
	v_add_f32_e64 v3, |v2|, s26
	v_and_b32_e32 v3, 0xff, v3
	v_cmp_ne_u32_e32 vcc, 0, v3
	s_andn2_b64 s[18:19], s[18:19], exec
	s_and_b64 s[26:27], vcc, exec
	s_or_b64 s[18:19], s[18:19], s[26:27]
	s_or_b64 exec, exec, s[22:23]
	v_mov_b32_e32 v6, 0
	s_and_saveexec_b64 s[22:23], s[18:19]
	s_cbranch_execnz .LBB112_69
	s_branch .LBB112_70
.LBB112_285:
	s_mov_b64 s[18:19], -1
                                        ; implicit-def: $vgpr2_vgpr3
	s_mov_b64 s[0:1], 0
.LBB112_286:
	s_and_b64 vcc, exec, s[20:21]
	s_cbranch_vccz .LBB112_402
; %bb.287:
	s_cmp_eq_u32 s26, 44
	s_cbranch_scc0 .LBB112_401
; %bb.288:
	global_load_ubyte v4, v[0:1], off
	s_movk_i32 s18, 0xff
	v_bfrev_b32_e32 v5, 4
	v_mov_b32_e32 v6, 0x7ff80000
	v_bfrev_b32_e32 v7, 28
	s_mov_b64 s[0:1], -1
	s_waitcnt vmcnt(0)
	v_lshlrev_b32_e32 v2, 23, v4
	v_cvt_f64_f32_e32 v[2:3], v2
	v_cmp_ne_u32_e32 vcc, s18, v4
	s_mov_b64 s[18:19], 0
	s_nop 0
	v_cndmask_b32_e32 v2, v5, v2, vcc
	v_cndmask_b32_e32 v3, v6, v3, vcc
	v_cmp_ne_u32_e32 vcc, 0, v4
	s_nop 1
	v_cndmask_b32_e32 v3, v7, v3, vcc
	v_cndmask_b32_e32 v2, 0, v2, vcc
	s_branch .LBB112_402
.LBB112_289:
	s_mov_b64 s[24:25], -1
	s_mov_b64 s[20:21], 0
	s_mov_b64 s[0:1], s[12:13]
.LBB112_290:
	s_and_b64 vcc, exec, s[24:25]
	s_cbranch_vccz .LBB112_295
; %bb.291:
	s_cmp_eq_u32 s29, 44
	s_mov_b64 s[0:1], -1
	s_cbranch_scc0 .LBB112_295
; %bb.292:
	v_cvt_f32_f64_e32 v2, v[0:1]
	v_bfe_u32 v3, v2, 23, 8
	s_movk_i32 s0, 0xff
	v_cmp_ne_u32_e32 vcc, s0, v3
	v_mov_b32_e32 v6, 0xff
	s_and_saveexec_b64 s[20:21], vcc
; %bb.293:
	s_mov_b32 s0, 0x3fffff
	v_lshrrev_b32_e32 v6, 23, v2
	v_and_b32_e32 v7, 0x400000, v2
	v_and_or_b32 v2, v2, s0, v3
	v_cmp_ne_u32_e32 vcc, 0, v7
	v_cmp_ne_u32_e64 s[0:1], 0, v2
	s_and_b64 s[0:1], vcc, s[0:1]
	s_nop 0
	v_cndmask_b32_e64 v2, 0, 1, s[0:1]
	v_add_u32_e32 v6, v6, v2
; %bb.294:
	s_or_b64 exec, exec, s[20:21]
	s_mov_b64 s[20:21], -1
	s_mov_b64 s[0:1], 0
	global_store_byte v[4:5], v6, off
.LBB112_295:
	s_mov_b64 s[24:25], 0
.LBB112_296:
	s_and_b64 vcc, exec, s[24:25]
	s_cbranch_vccz .LBB112_299
; %bb.297:
	s_cmp_eq_u32 s29, 29
	s_mov_b64 s[0:1], -1
	s_cbranch_scc0 .LBB112_299
; %bb.298:
	v_trunc_f64_e32 v[2:3], v[0:1]
	s_movk_i32 s0, 0xffe0
	v_ldexp_f64 v[6:7], v[2:3], s0
	v_floor_f64_e32 v[6:7], v[6:7]
	v_fmac_f64_e32 v[2:3], 0xc1f00000, v[6:7]
	v_cvt_u32_f64_e32 v9, v[6:7]
	v_cvt_u32_f64_e32 v8, v[2:3]
	global_store_dwordx2 v[4:5], v[8:9], off
	s_mov_b64 s[20:21], -1
	s_mov_b64 s[0:1], 0
.LBB112_299:
	s_mov_b64 s[24:25], 0
.LBB112_300:
	s_and_b64 vcc, exec, s[24:25]
	s_cbranch_vccz .LBB112_316
; %bb.301:
	s_cmp_lt_i32 s29, 27
	s_mov_b64 s[20:21], -1
	s_cbranch_scc1 .LBB112_307
; %bb.302:
	s_cmp_gt_i32 s29, 27
	v_cvt_u32_f64_e32 v2, v[0:1]
	s_cbranch_scc0 .LBB112_304
; %bb.303:
	s_mov_b64 s[20:21], 0
	global_store_dword v[4:5], v2, off
.LBB112_304:
	s_andn2_b64 vcc, exec, s[20:21]
	s_cbranch_vccnz .LBB112_306
; %bb.305:
	global_store_short v[4:5], v2, off
.LBB112_306:
	s_mov_b64 s[20:21], 0
.LBB112_307:
	s_andn2_b64 vcc, exec, s[20:21]
	s_cbranch_vccnz .LBB112_315
; %bb.308:
	v_cvt_f32_f64_e32 v2, v[0:1]
	v_and_b32_e32 v3, 0x7fffffff, v2
	s_mov_b32 s20, 0x43800000
	v_cmp_gt_u32_e32 vcc, s20, v3
	v_mov_b32_e32 v6, 0x80
	s_and_saveexec_b64 s[20:21], vcc
	s_cbranch_execz .LBB112_314
; %bb.309:
	s_mov_b32 s24, 0x3bffffff
	v_cmp_lt_u32_e32 vcc, s24, v3
	s_mov_b64 s[24:25], 0
                                        ; implicit-def: $vgpr3
	s_and_saveexec_b64 s[26:27], vcc
	s_xor_b64 s[26:27], exec, s[26:27]
	s_cbranch_execz .LBB112_526
; %bb.310:
	v_bfe_u32 v3, v2, 20, 1
	s_mov_b32 s30, 0x487ffff
	v_add3_u32 v3, v2, v3, s30
	s_mov_b64 s[24:25], exec
	v_lshrrev_b32_e32 v3, 20, v3
	s_andn2_saveexec_b64 s[26:27], s[26:27]
	s_cbranch_execnz .LBB112_527
.LBB112_311:
	s_or_b64 exec, exec, s[26:27]
	v_mov_b32_e32 v6, 0
	s_and_saveexec_b64 s[26:27], s[24:25]
.LBB112_312:
	v_lshrrev_b32_e32 v2, 24, v2
	s_movk_i32 s24, 0x80
	v_and_or_b32 v6, v2, s24, v3
.LBB112_313:
	s_or_b64 exec, exec, s[26:27]
.LBB112_314:
	s_or_b64 exec, exec, s[20:21]
	global_store_byte v[4:5], v6, off
.LBB112_315:
	s_mov_b64 s[20:21], -1
.LBB112_316:
	s_mov_b64 s[24:25], 0
.LBB112_317:
	s_and_b64 vcc, exec, s[24:25]
	s_cbranch_vccz .LBB112_358
; %bb.318:
	s_cmp_gt_i32 s29, 22
	s_mov_b64 s[24:25], -1
	s_cbranch_scc0 .LBB112_350
; %bb.319:
	s_cmp_lt_i32 s29, 24
	s_mov_b64 s[20:21], -1
	s_cbranch_scc1 .LBB112_339
; %bb.320:
	s_cmp_gt_i32 s29, 24
	s_cbranch_scc0 .LBB112_328
; %bb.321:
	v_cvt_f32_f64_e32 v2, v[0:1]
	v_and_b32_e32 v3, 0x7fffffff, v2
	s_mov_b32 s20, 0x47800000
	v_cmp_gt_u32_e32 vcc, s20, v3
	v_mov_b32_e32 v6, 0x80
	s_and_saveexec_b64 s[20:21], vcc
	s_cbranch_execz .LBB112_327
; %bb.322:
	s_mov_b32 s24, 0x37ffffff
	v_cmp_lt_u32_e32 vcc, s24, v3
	s_mov_b64 s[24:25], 0
                                        ; implicit-def: $vgpr3
	s_and_saveexec_b64 s[26:27], vcc
	s_xor_b64 s[26:27], exec, s[26:27]
	s_cbranch_execz .LBB112_529
; %bb.323:
	v_bfe_u32 v3, v2, 21, 1
	s_mov_b32 s30, 0x88fffff
	v_add3_u32 v3, v2, v3, s30
	s_mov_b64 s[24:25], exec
	v_lshrrev_b32_e32 v3, 21, v3
	s_andn2_saveexec_b64 s[26:27], s[26:27]
	s_cbranch_execnz .LBB112_530
.LBB112_324:
	s_or_b64 exec, exec, s[26:27]
	v_mov_b32_e32 v6, 0
	s_and_saveexec_b64 s[26:27], s[24:25]
.LBB112_325:
	v_lshrrev_b32_e32 v2, 24, v2
	s_movk_i32 s24, 0x80
	v_and_or_b32 v6, v2, s24, v3
.LBB112_326:
	s_or_b64 exec, exec, s[26:27]
.LBB112_327:
	s_or_b64 exec, exec, s[20:21]
	s_mov_b64 s[20:21], 0
	global_store_byte v[4:5], v6, off
.LBB112_328:
	s_and_b64 vcc, exec, s[20:21]
	s_cbranch_vccz .LBB112_338
; %bb.329:
	v_cvt_f32_f64_e32 v2, v[0:1]
	v_and_b32_e32 v6, 0x7fffffff, v2
	s_mov_b32 s20, 0x43f00000
	v_cmp_gt_u32_e32 vcc, s20, v6
                                        ; implicit-def: $vgpr3
	s_and_saveexec_b64 s[20:21], vcc
	s_xor_b64 s[20:21], exec, s[20:21]
	s_cbranch_execz .LBB112_335
; %bb.330:
	s_mov_b32 s24, 0x3c7fffff
	v_cmp_lt_u32_e32 vcc, s24, v6
                                        ; implicit-def: $vgpr3
	s_and_saveexec_b64 s[24:25], vcc
	s_xor_b64 s[24:25], exec, s[24:25]
; %bb.331:
	v_bfe_u32 v3, v2, 20, 1
	s_mov_b32 s26, 0x407ffff
	v_add3_u32 v3, v2, v3, s26
	v_lshrrev_b32_e32 v6, 20, v3
	v_and_b32_e32 v3, 0xff00000, v3
	s_mov_b32 s26, 0x7f00000
	v_mov_b32_e32 v7, 0x7e
	v_cmp_ne_u32_e32 vcc, s26, v3
	s_nop 1
	v_cndmask_b32_e32 v3, v7, v6, vcc
; %bb.332:
	s_andn2_saveexec_b64 s[24:25], s[24:25]
; %bb.333:
	s_mov_b32 s26, 0x46800000
	v_add_f32_e64 v3, |v2|, s26
; %bb.334:
	s_or_b64 exec, exec, s[24:25]
                                        ; implicit-def: $vgpr6
.LBB112_335:
	s_andn2_saveexec_b64 s[20:21], s[20:21]
; %bb.336:
	s_mov_b32 s24, 0x7f800000
	v_mov_b32_e32 v3, 0x7e
	v_mov_b32_e32 v7, 0x7f
	v_cmp_lt_u32_e32 vcc, s24, v6
	s_nop 1
	v_cndmask_b32_e32 v3, v3, v7, vcc
; %bb.337:
	s_or_b64 exec, exec, s[20:21]
	v_lshrrev_b32_e32 v2, 24, v2
	s_movk_i32 s20, 0x80
	v_and_or_b32 v2, v2, s20, v3
	global_store_byte v[4:5], v2, off
.LBB112_338:
	s_mov_b64 s[20:21], 0
.LBB112_339:
	s_andn2_b64 vcc, exec, s[20:21]
	s_cbranch_vccnz .LBB112_349
; %bb.340:
	v_cvt_f32_f64_e32 v2, v[0:1]
	v_and_b32_e32 v6, 0x7fffffff, v2
	s_mov_b32 s20, 0x47800000
	v_cmp_gt_u32_e32 vcc, s20, v6
                                        ; implicit-def: $vgpr3
	s_and_saveexec_b64 s[20:21], vcc
	s_xor_b64 s[20:21], exec, s[20:21]
	s_cbranch_execz .LBB112_346
; %bb.341:
	s_mov_b32 s24, 0x387fffff
	v_cmp_lt_u32_e32 vcc, s24, v6
                                        ; implicit-def: $vgpr3
	s_and_saveexec_b64 s[24:25], vcc
	s_xor_b64 s[24:25], exec, s[24:25]
; %bb.342:
	v_bfe_u32 v3, v2, 21, 1
	s_mov_b32 s26, 0x80fffff
	v_add3_u32 v3, v2, v3, s26
	v_lshrrev_b32_e32 v3, 21, v3
; %bb.343:
	s_andn2_saveexec_b64 s[24:25], s[24:25]
; %bb.344:
	s_mov_b32 s26, 0x43000000
	v_add_f32_e64 v3, |v2|, s26
; %bb.345:
	s_or_b64 exec, exec, s[24:25]
                                        ; implicit-def: $vgpr6
.LBB112_346:
	s_andn2_saveexec_b64 s[20:21], s[20:21]
; %bb.347:
	s_mov_b32 s24, 0x7f800000
	v_mov_b32_e32 v3, 0x7c
	v_mov_b32_e32 v7, 0x7f
	v_cmp_lt_u32_e32 vcc, s24, v6
	s_nop 1
	v_cndmask_b32_e32 v3, v3, v7, vcc
; %bb.348:
	s_or_b64 exec, exec, s[20:21]
	v_lshrrev_b32_e32 v2, 24, v2
	s_movk_i32 s20, 0x80
	v_and_or_b32 v2, v2, s20, v3
	global_store_byte v[4:5], v2, off
.LBB112_349:
	s_mov_b64 s[24:25], 0
	s_mov_b64 s[20:21], -1
.LBB112_350:
	s_andn2_b64 vcc, exec, s[24:25]
	s_cbranch_vccnz .LBB112_358
; %bb.351:
	s_cmp_gt_i32 s29, 14
	s_mov_b64 s[24:25], -1
	s_cbranch_scc0 .LBB112_355
; %bb.352:
	s_cmp_eq_u32 s29, 15
	s_mov_b64 s[0:1], -1
	s_cbranch_scc0 .LBB112_354
; %bb.353:
	v_cvt_f32_f64_e32 v2, v[0:1]
	v_bfe_u32 v3, v2, 16, 1
	s_movk_i32 s0, 0x7fff
	v_add3_u32 v3, v2, v3, s0
	v_cmp_o_f32_e32 vcc, v2, v2
	v_mov_b32_e32 v2, 0x7fc0
	s_mov_b64 s[20:21], -1
	v_cndmask_b32_sdwa v2, v2, v3, vcc dst_sel:DWORD dst_unused:UNUSED_PAD src0_sel:DWORD src1_sel:WORD_1
	global_store_short v[4:5], v2, off
	s_mov_b64 s[0:1], 0
.LBB112_354:
	s_mov_b64 s[24:25], 0
.LBB112_355:
	s_and_b64 vcc, exec, s[24:25]
	s_cbranch_vccz .LBB112_358
; %bb.356:
	s_cmp_eq_u32 s29, 11
	s_mov_b64 s[0:1], -1
	s_cbranch_scc0 .LBB112_358
; %bb.357:
	v_cmp_neq_f64_e32 vcc, 0, v[0:1]
	s_mov_b64 s[0:1], 0
	s_mov_b64 s[20:21], -1
	v_cndmask_b32_e64 v2, 0, 1, vcc
	global_store_byte v[4:5], v2, off
.LBB112_358:
	s_mov_b64 s[24:25], 0
.LBB112_359:
	s_and_b64 vcc, exec, s[24:25]
	s_cbranch_vccz .LBB112_398
; %bb.360:
	s_and_b32 s24, 0xffff, s28
	s_cmp_lt_i32 s24, 5
	s_mov_b64 s[20:21], -1
	s_cbranch_scc1 .LBB112_381
; %bb.361:
	s_cmp_lt_i32 s24, 8
	s_cbranch_scc1 .LBB112_371
; %bb.362:
	s_cmp_lt_i32 s24, 9
	s_cbranch_scc1 .LBB112_368
; %bb.363:
	s_cmp_gt_i32 s24, 9
	s_cbranch_scc0 .LBB112_365
; %bb.364:
	v_mov_b32_e32 v2, 0
	v_mov_b32_e32 v3, v2
	s_mov_b64 s[20:21], 0
	global_store_dwordx4 v[4:5], v[0:3], off
.LBB112_365:
	s_andn2_b64 vcc, exec, s[20:21]
	s_cbranch_vccnz .LBB112_367
; %bb.366:
	v_cvt_f32_f64_e32 v2, v[0:1]
	v_mov_b32_e32 v3, 0
	global_store_dwordx2 v[4:5], v[2:3], off
.LBB112_367:
	s_mov_b64 s[20:21], 0
.LBB112_368:
	s_andn2_b64 vcc, exec, s[20:21]
	s_cbranch_vccnz .LBB112_370
; %bb.369:
	s_movk_i32 s20, 0x1ff
	v_and_or_b32 v2, v1, s20, v0
	v_cmp_ne_u32_e32 vcc, 0, v2
	v_lshrrev_b32_e32 v3, 8, v1
	s_movk_i32 s20, 0xffe
	v_cndmask_b32_e64 v2, 0, 1, vcc
	v_bfe_u32 v6, v1, 20, 11
	v_and_or_b32 v2, v3, s20, v2
	v_sub_u32_e32 v7, 0x3f1, v6
	v_or_b32_e32 v3, 0x1000, v2
	v_med3_i32 v7, v7, 0, 13
	v_lshrrev_b32_e32 v8, v7, v3
	v_lshlrev_b32_e32 v7, v7, v8
	v_cmp_ne_u32_e32 vcc, v7, v3
	v_add_u32_e32 v6, 0xfffffc10, v6
	v_lshl_or_b32 v7, v6, 12, v2
	v_cndmask_b32_e64 v3, 0, 1, vcc
	v_or_b32_e32 v3, v8, v3
	v_cmp_gt_i32_e32 vcc, 1, v6
	s_movk_i32 s20, 0x40f
	s_nop 0
	v_cndmask_b32_e32 v3, v7, v3, vcc
	v_and_b32_e32 v7, 7, v3
	v_cmp_lt_i32_e32 vcc, 5, v7
	v_lshrrev_b32_e32 v3, 2, v3
	s_nop 0
	v_cndmask_b32_e64 v8, 0, 1, vcc
	v_cmp_eq_u32_e32 vcc, 3, v7
	s_nop 1
	v_cndmask_b32_e64 v7, 0, 1, vcc
	v_or_b32_e32 v7, v7, v8
	v_add_u32_e32 v3, v3, v7
	v_mov_b32_e32 v7, 0x7c00
	v_cmp_gt_i32_e32 vcc, 31, v6
	v_mov_b32_e32 v8, 0x7e00
	s_nop 0
	v_cndmask_b32_e32 v3, v7, v3, vcc
	v_cmp_ne_u32_e32 vcc, 0, v2
	s_nop 1
	v_cndmask_b32_e32 v2, v7, v8, vcc
	v_cmp_eq_u32_e32 vcc, s20, v6
	s_mov_b32 s20, 0x8000
	s_nop 0
	v_cndmask_b32_e32 v2, v3, v2, vcc
	v_and_b32_sdwa v3, v1, s20 dst_sel:DWORD dst_unused:UNUSED_PAD src0_sel:WORD_1 src1_sel:DWORD
	s_mov_b32 s20, 0xffff
	v_bitop3_b32 v2, v3, s20, v2 bitop3:0xc8
	global_store_dword v[4:5], v2, off
.LBB112_370:
	s_mov_b64 s[20:21], 0
.LBB112_371:
	s_andn2_b64 vcc, exec, s[20:21]
	s_cbranch_vccnz .LBB112_380
; %bb.372:
	s_cmp_lt_i32 s24, 6
	s_mov_b64 s[20:21], -1
	s_cbranch_scc1 .LBB112_378
; %bb.373:
	s_cmp_gt_i32 s24, 6
	s_cbranch_scc0 .LBB112_375
; %bb.374:
	s_mov_b64 s[20:21], 0
	global_store_dwordx2 v[4:5], v[0:1], off
.LBB112_375:
	s_andn2_b64 vcc, exec, s[20:21]
	s_cbranch_vccnz .LBB112_377
; %bb.376:
	v_cvt_f32_f64_e32 v2, v[0:1]
	global_store_dword v[4:5], v2, off
.LBB112_377:
	s_mov_b64 s[20:21], 0
.LBB112_378:
	s_andn2_b64 vcc, exec, s[20:21]
	s_cbranch_vccnz .LBB112_380
; %bb.379:
	s_movk_i32 s20, 0x1ff
	v_and_or_b32 v2, v1, s20, v0
	v_cmp_ne_u32_e32 vcc, 0, v2
	v_lshrrev_b32_e32 v3, 8, v1
	s_movk_i32 s20, 0xffe
	v_cndmask_b32_e64 v2, 0, 1, vcc
	v_bfe_u32 v6, v1, 20, 11
	v_and_or_b32 v2, v3, s20, v2
	v_sub_u32_e32 v7, 0x3f1, v6
	v_or_b32_e32 v3, 0x1000, v2
	v_med3_i32 v7, v7, 0, 13
	v_lshrrev_b32_e32 v8, v7, v3
	v_lshlrev_b32_e32 v7, v7, v8
	v_cmp_ne_u32_e32 vcc, v7, v3
	v_add_u32_e32 v6, 0xfffffc10, v6
	v_lshl_or_b32 v7, v6, 12, v2
	v_cndmask_b32_e64 v3, 0, 1, vcc
	v_or_b32_e32 v3, v8, v3
	v_cmp_gt_i32_e32 vcc, 1, v6
	s_movk_i32 s20, 0x40f
	s_nop 0
	v_cndmask_b32_e32 v3, v7, v3, vcc
	v_and_b32_e32 v7, 7, v3
	v_cmp_lt_i32_e32 vcc, 5, v7
	v_lshrrev_b32_e32 v3, 2, v3
	s_nop 0
	v_cndmask_b32_e64 v8, 0, 1, vcc
	v_cmp_eq_u32_e32 vcc, 3, v7
	s_nop 1
	v_cndmask_b32_e64 v7, 0, 1, vcc
	v_or_b32_e32 v7, v7, v8
	v_add_u32_e32 v3, v3, v7
	v_mov_b32_e32 v7, 0x7c00
	v_cmp_gt_i32_e32 vcc, 31, v6
	v_mov_b32_e32 v8, 0x7e00
	s_nop 0
	v_cndmask_b32_e32 v3, v7, v3, vcc
	v_cmp_ne_u32_e32 vcc, 0, v2
	s_nop 1
	v_cndmask_b32_e32 v2, v7, v8, vcc
	v_cmp_eq_u32_e32 vcc, s20, v6
	s_mov_b32 s20, 0x8000
	s_nop 0
	v_cndmask_b32_e32 v2, v3, v2, vcc
	v_lshrrev_b32_e32 v3, 16, v1
	v_and_or_b32 v2, v3, s20, v2
	global_store_short v[4:5], v2, off
.LBB112_380:
	s_mov_b64 s[20:21], 0
.LBB112_381:
	s_andn2_b64 vcc, exec, s[20:21]
	s_cbranch_vccnz .LBB112_397
; %bb.382:
	s_cmp_lt_i32 s24, 2
	s_mov_b64 s[20:21], -1
	s_cbranch_scc1 .LBB112_392
; %bb.383:
	s_cmp_lt_i32 s24, 3
	s_cbranch_scc1 .LBB112_389
; %bb.384:
	s_cmp_gt_i32 s24, 3
	s_cbranch_scc0 .LBB112_386
; %bb.385:
	v_trunc_f64_e32 v[2:3], v[0:1]
	s_movk_i32 s20, 0xffe0
	v_ldexp_f64 v[6:7], v[2:3], s20
	v_floor_f64_e32 v[6:7], v[6:7]
	v_fmac_f64_e32 v[2:3], 0xc1f00000, v[6:7]
	v_cvt_i32_f64_e32 v9, v[6:7]
	v_cvt_u32_f64_e32 v8, v[2:3]
	s_mov_b64 s[20:21], 0
	global_store_dwordx2 v[4:5], v[8:9], off
.LBB112_386:
	s_andn2_b64 vcc, exec, s[20:21]
	s_cbranch_vccnz .LBB112_388
; %bb.387:
	v_cvt_i32_f64_e32 v2, v[0:1]
	global_store_dword v[4:5], v2, off
.LBB112_388:
	s_mov_b64 s[20:21], 0
.LBB112_389:
	s_andn2_b64 vcc, exec, s[20:21]
	s_cbranch_vccnz .LBB112_391
; %bb.390:
	v_cvt_i32_f64_e32 v2, v[0:1]
	global_store_short v[4:5], v2, off
.LBB112_391:
	s_mov_b64 s[20:21], 0
.LBB112_392:
	s_andn2_b64 vcc, exec, s[20:21]
	s_cbranch_vccnz .LBB112_397
; %bb.393:
	s_cmp_gt_i32 s24, 0
	s_mov_b64 s[20:21], -1
	s_cbranch_scc0 .LBB112_395
; %bb.394:
	v_cvt_i32_f64_e32 v2, v[0:1]
	s_mov_b64 s[20:21], 0
	global_store_byte v[4:5], v2, off
.LBB112_395:
	s_andn2_b64 vcc, exec, s[20:21]
	s_cbranch_vccnz .LBB112_397
; %bb.396:
	v_trunc_f64_e32 v[0:1], v[0:1]
	s_movk_i32 s20, 0xffe0
	v_ldexp_f64 v[2:3], v[0:1], s20
	v_floor_f64_e32 v[2:3], v[2:3]
	v_fmac_f64_e32 v[0:1], 0xc1f00000, v[2:3]
	v_cvt_u32_f64_e32 v0, v[0:1]
	global_store_byte v[4:5], v0, off
.LBB112_397:
	s_mov_b64 s[20:21], -1
.LBB112_398:
	s_andn2_b64 vcc, exec, s[20:21]
	s_cbranch_vccnz .LBB112_400
; %bb.399:
	v_add_u32_e32 v10, 0x80, v10
	s_mov_b64 s[24:25], -1
	s_branch .LBB112_512
.LBB112_400:
	s_mov_b64 s[24:25], 0
                                        ; implicit-def: $vgpr10
	s_branch .LBB112_512
.LBB112_401:
	s_mov_b64 s[18:19], -1
                                        ; implicit-def: $vgpr2_vgpr3
.LBB112_402:
	s_mov_b64 s[20:21], 0
.LBB112_403:
	s_and_b64 vcc, exec, s[20:21]
	s_cbranch_vccz .LBB112_407
; %bb.404:
	s_cmp_eq_u32 s26, 29
	s_cbranch_scc0 .LBB112_406
; %bb.405:
	global_load_dwordx2 v[2:3], v[0:1], off
	s_mov_b64 s[0:1], -1
	s_mov_b64 s[18:19], 0
	s_mov_b64 s[20:21], 0
	s_waitcnt vmcnt(0)
	v_cvt_f64_u32_e32 v[4:5], v3
	v_cvt_f64_u32_e32 v[2:3], v2
	v_ldexp_f64 v[4:5], v[4:5], 32
	v_add_f64 v[2:3], v[4:5], v[2:3]
	s_branch .LBB112_408
.LBB112_406:
	s_mov_b64 s[18:19], -1
                                        ; implicit-def: $vgpr2_vgpr3
.LBB112_407:
	s_mov_b64 s[20:21], 0
.LBB112_408:
	s_and_b64 vcc, exec, s[20:21]
	s_cbranch_vccz .LBB112_428
; %bb.409:
	s_cmp_lt_i32 s26, 27
	s_cbranch_scc1 .LBB112_412
; %bb.410:
	s_cmp_gt_i32 s26, 27
	s_cbranch_scc0 .LBB112_413
; %bb.411:
	global_load_dword v2, v[0:1], off
	s_mov_b64 s[0:1], 0
	s_waitcnt vmcnt(0)
	v_cvt_f64_u32_e32 v[2:3], v2
	s_branch .LBB112_414
.LBB112_412:
	s_mov_b64 s[0:1], -1
                                        ; implicit-def: $vgpr2_vgpr3
	s_branch .LBB112_417
.LBB112_413:
	s_mov_b64 s[0:1], -1
                                        ; implicit-def: $vgpr2_vgpr3
.LBB112_414:
	s_andn2_b64 vcc, exec, s[0:1]
	s_cbranch_vccnz .LBB112_416
; %bb.415:
	global_load_ushort v2, v[0:1], off
	s_waitcnt vmcnt(0)
	v_cvt_f64_u32_e32 v[2:3], v2
.LBB112_416:
	s_mov_b64 s[0:1], 0
.LBB112_417:
	s_andn2_b64 vcc, exec, s[0:1]
	s_cbranch_vccnz .LBB112_427
; %bb.418:
	global_load_ubyte v4, v[0:1], off
	s_movk_i32 s0, 0x7f
	s_waitcnt vmcnt(0)
	v_cmp_lt_i16_e32 vcc, s0, v4
	s_mov_b64 s[0:1], 0
	s_and_saveexec_b64 s[20:21], vcc
	s_xor_b64 s[20:21], exec, s[20:21]
	s_cbranch_execz .LBB112_422
; %bb.419:
	s_movk_i32 s0, 0x80
	v_cmp_eq_u16_e32 vcc, s0, v4
	s_mov_b64 s[0:1], -1
	s_and_saveexec_b64 s[24:25], vcc
; %bb.420:
	s_xor_b64 s[0:1], exec, -1
; %bb.421:
	s_or_b64 exec, exec, s[24:25]
	s_and_b64 s[0:1], s[0:1], exec
.LBB112_422:
	s_or_saveexec_b64 s[20:21], s[20:21]
	v_bfrev_b32_e32 v2, 4
	v_mov_b32_e32 v3, 0x7ff80000
	s_xor_b64 exec, exec, s[20:21]
; %bb.423:
	v_cmp_ne_u16_e32 vcc, 0, v4
	s_andn2_b64 s[0:1], s[0:1], exec
	s_and_b64 s[24:25], vcc, exec
	v_mov_b64_e32 v[2:3], 0
	s_or_b64 s[0:1], s[0:1], s[24:25]
; %bb.424:
	s_or_b64 exec, exec, s[20:21]
	s_and_saveexec_b64 s[20:21], s[0:1]
	s_cbranch_execz .LBB112_426
; %bb.425:
	v_and_b32_e32 v3, 0xffff, v4
	v_lshlrev_b32_e32 v2, 24, v4
	v_and_b32_e32 v4, 7, v3
	v_ffbh_u32_e32 v6, v4
	v_min_u32_e32 v6, 32, v6
	v_subrev_u32_e32 v7, 28, v6
	v_bfe_u32 v5, v3, 3, 4
	v_lshlrev_b32_e32 v3, v7, v3
	v_sub_u32_e32 v6, 29, v6
	v_and_b32_e32 v3, 7, v3
	v_cmp_eq_u32_e32 vcc, 0, v5
	v_and_b32_e32 v2, 0x80000000, v2
	s_nop 0
	v_cndmask_b32_e32 v5, v5, v6, vcc
	v_cndmask_b32_e32 v3, v4, v3, vcc
	v_mov_b32_e32 v4, 0x3b800000
	v_lshlrev_b32_e32 v3, 20, v3
	v_lshl_add_u32 v4, v5, 23, v4
	v_or3_b32 v2, v2, v4, v3
	v_cvt_f64_f32_e32 v[2:3], v2
.LBB112_426:
	s_or_b64 exec, exec, s[20:21]
.LBB112_427:
	s_mov_b64 s[0:1], -1
.LBB112_428:
	s_mov_b64 s[20:21], 0
.LBB112_429:
	s_and_b64 vcc, exec, s[20:21]
	s_cbranch_vccz .LBB112_462
; %bb.430:
	s_cmp_gt_i32 s26, 22
	s_cbranch_scc0 .LBB112_442
; %bb.431:
	s_cmp_lt_i32 s26, 24
	s_cbranch_scc1 .LBB112_443
; %bb.432:
	s_cmp_gt_i32 s26, 24
	s_cbranch_scc0 .LBB112_444
; %bb.433:
	global_load_ubyte v4, v[0:1], off
	s_movk_i32 s0, 0x7f
	s_waitcnt vmcnt(0)
	v_cmp_lt_i16_e32 vcc, s0, v4
	s_mov_b64 s[0:1], 0
	s_and_saveexec_b64 s[20:21], vcc
	s_xor_b64 s[20:21], exec, s[20:21]
	s_cbranch_execz .LBB112_437
; %bb.434:
	s_movk_i32 s0, 0x80
	v_cmp_eq_u16_e32 vcc, s0, v4
	s_mov_b64 s[0:1], -1
	s_and_saveexec_b64 s[24:25], vcc
; %bb.435:
	s_xor_b64 s[0:1], exec, -1
; %bb.436:
	s_or_b64 exec, exec, s[24:25]
	s_and_b64 s[0:1], s[0:1], exec
.LBB112_437:
	s_or_saveexec_b64 s[20:21], s[20:21]
	v_bfrev_b32_e32 v2, 4
	v_mov_b32_e32 v3, 0x7ff80000
	s_xor_b64 exec, exec, s[20:21]
; %bb.438:
	v_cmp_ne_u16_e32 vcc, 0, v4
	s_andn2_b64 s[0:1], s[0:1], exec
	s_and_b64 s[24:25], vcc, exec
	v_mov_b64_e32 v[2:3], 0
	s_or_b64 s[0:1], s[0:1], s[24:25]
; %bb.439:
	s_or_b64 exec, exec, s[20:21]
	s_and_saveexec_b64 s[20:21], s[0:1]
	s_cbranch_execz .LBB112_441
; %bb.440:
	v_and_b32_e32 v3, 0xffff, v4
	v_lshlrev_b32_e32 v2, 24, v4
	v_and_b32_e32 v4, 3, v3
	v_ffbh_u32_e32 v6, v4
	v_min_u32_e32 v6, 32, v6
	v_subrev_u32_e32 v7, 29, v6
	v_bfe_u32 v5, v3, 2, 5
	v_lshlrev_b32_e32 v3, v7, v3
	v_sub_u32_e32 v6, 30, v6
	v_and_b32_e32 v3, 3, v3
	v_cmp_eq_u32_e32 vcc, 0, v5
	v_and_b32_e32 v2, 0x80000000, v2
	s_nop 0
	v_cndmask_b32_e32 v5, v5, v6, vcc
	v_cndmask_b32_e32 v3, v4, v3, vcc
	v_mov_b32_e32 v4, 0x37800000
	v_lshlrev_b32_e32 v3, 21, v3
	v_lshl_add_u32 v4, v5, 23, v4
	v_or3_b32 v2, v2, v4, v3
	v_cvt_f64_f32_e32 v[2:3], v2
.LBB112_441:
	s_or_b64 exec, exec, s[20:21]
	s_mov_b64 s[0:1], 0
	s_branch .LBB112_445
.LBB112_442:
	s_mov_b64 s[20:21], -1
                                        ; implicit-def: $vgpr2_vgpr3
	s_branch .LBB112_451
.LBB112_443:
	s_mov_b64 s[0:1], -1
                                        ; implicit-def: $vgpr2_vgpr3
	s_branch .LBB112_448
.LBB112_444:
	s_mov_b64 s[0:1], -1
                                        ; implicit-def: $vgpr2_vgpr3
.LBB112_445:
	s_and_b64 vcc, exec, s[0:1]
	s_cbranch_vccz .LBB112_447
; %bb.446:
	global_load_ubyte v2, v[0:1], off
	s_mov_b32 s0, 0x7f800000
	s_waitcnt vmcnt(0)
	v_lshlrev_b32_e32 v2, 24, v2
	v_and_b32_e32 v3, 0x7f000000, v2
	v_ffbh_u32_e32 v4, v3
	v_min_u32_e32 v4, 32, v4
	v_sub_u32_e64 v4, v4, 4 clamp
	v_lshlrev_b32_e32 v6, v4, v3
	v_lshlrev_b32_e32 v4, 23, v4
	v_lshrrev_b32_e32 v6, 4, v6
	v_add_u32_e32 v5, 0x1000000, v3
	v_sub_u32_e32 v4, v6, v4
	v_ashrrev_i32_e32 v5, 8, v5
	v_add_u32_e32 v4, 0x3c000000, v4
	v_and_or_b32 v4, v5, s0, v4
	v_cmp_ne_u32_e32 vcc, 0, v3
	s_brev_b32 s0, 1
	s_nop 0
	v_cndmask_b32_e32 v3, 0, v4, vcc
	v_and_or_b32 v2, v2, s0, v3
	v_cvt_f64_f32_e32 v[2:3], v2
.LBB112_447:
	s_mov_b64 s[0:1], 0
.LBB112_448:
	s_andn2_b64 vcc, exec, s[0:1]
	s_cbranch_vccnz .LBB112_450
; %bb.449:
	global_load_ubyte v2, v[0:1], off
	s_movk_i32 s0, 0x7f00
	s_brev_b32 s1, 16
	s_waitcnt vmcnt(0)
	v_lshlrev_b16_e32 v3, 8, v2
	v_lshlrev_b32_e32 v2, 25, v2
	v_lshrrev_b32_e32 v4, 4, v2
	v_and_or_b32 v5, v3, s0, 0.5
	v_or_b32_e32 v4, 0x70000000, v4
	v_add_f32_e32 v5, -0.5, v5
	v_mul_f32_e32 v4, 0x7800000, v4
	v_cmp_gt_u32_e32 vcc, s1, v2
	v_bfe_i32 v3, v3, 0, 16
	s_brev_b32 s0, 1
	v_cndmask_b32_e32 v2, v4, v5, vcc
	v_and_or_b32 v2, v3, s0, v2
	v_cvt_f64_f32_e32 v[2:3], v2
.LBB112_450:
	s_mov_b64 s[20:21], 0
	s_mov_b64 s[0:1], -1
.LBB112_451:
	s_andn2_b64 vcc, exec, s[20:21]
	s_cbranch_vccnz .LBB112_462
; %bb.452:
	s_cmp_gt_i32 s26, 14
	s_cbranch_scc0 .LBB112_455
; %bb.453:
	s_cmp_eq_u32 s26, 15
	s_cbranch_scc0 .LBB112_456
; %bb.454:
	global_load_ushort v2, v[0:1], off
	s_mov_b64 s[0:1], -1
	s_mov_b64 s[18:19], 0
	s_waitcnt vmcnt(0)
	v_lshlrev_b32_e32 v2, 16, v2
	v_cvt_f64_f32_e32 v[2:3], v2
	s_branch .LBB112_457
.LBB112_455:
	s_mov_b64 s[20:21], -1
                                        ; implicit-def: $vgpr2_vgpr3
	s_branch .LBB112_458
.LBB112_456:
	s_mov_b64 s[18:19], -1
                                        ; implicit-def: $vgpr2_vgpr3
.LBB112_457:
	s_mov_b64 s[20:21], 0
.LBB112_458:
	s_and_b64 vcc, exec, s[20:21]
	s_cbranch_vccz .LBB112_462
; %bb.459:
	s_cmp_eq_u32 s26, 11
	s_cbranch_scc0 .LBB112_461
; %bb.460:
	global_load_ubyte v3, v[0:1], off
	v_mov_b32_e32 v4, 0x3ff00000
	s_waitcnt vmcnt(1)
	v_mov_b32_e32 v2, 0
	s_mov_b64 s[0:1], -1
	s_mov_b64 s[18:19], 0
	s_waitcnt vmcnt(0)
	v_cmp_ne_u16_e32 vcc, 0, v3
	s_nop 1
	v_cndmask_b32_e32 v3, 0, v4, vcc
	s_branch .LBB112_462
.LBB112_461:
	s_mov_b64 s[18:19], -1
                                        ; implicit-def: $vgpr2_vgpr3
.LBB112_462:
	s_branch .LBB112_265
.LBB112_463:
	s_cmp_lt_i32 s26, 5
	s_cbranch_scc1 .LBB112_468
; %bb.464:
	s_cmp_lt_i32 s26, 8
	s_cbranch_scc1 .LBB112_469
; %bb.465:
	;; [unrolled: 3-line block ×3, first 2 shown]
	s_cmp_gt_i32 s26, 9
	s_cbranch_scc0 .LBB112_471
; %bb.467:
	global_load_dwordx2 v[2:3], v[0:1], off
	s_mov_b64 s[0:1], 0
	s_branch .LBB112_472
.LBB112_468:
	s_mov_b64 s[0:1], -1
                                        ; implicit-def: $vgpr2_vgpr3
	s_branch .LBB112_490
.LBB112_469:
	s_mov_b64 s[0:1], -1
                                        ; implicit-def: $vgpr2_vgpr3
	s_branch .LBB112_478
.LBB112_470:
	s_mov_b64 s[0:1], -1
                                        ; implicit-def: $vgpr2_vgpr3
	s_branch .LBB112_475
.LBB112_471:
	s_mov_b64 s[0:1], -1
                                        ; implicit-def: $vgpr2_vgpr3
.LBB112_472:
	s_andn2_b64 vcc, exec, s[0:1]
	s_cbranch_vccnz .LBB112_474
; %bb.473:
	global_load_dword v2, v[0:1], off
	s_waitcnt vmcnt(0)
	v_cvt_f64_f32_e32 v[2:3], v2
.LBB112_474:
	s_mov_b64 s[0:1], 0
.LBB112_475:
	s_andn2_b64 vcc, exec, s[0:1]
	s_cbranch_vccnz .LBB112_477
; %bb.476:
	global_load_dword v2, v[0:1], off
	s_waitcnt vmcnt(0)
	v_cvt_f32_f16_e32 v2, v2
	v_cvt_f64_f32_e32 v[2:3], v2
.LBB112_477:
	s_mov_b64 s[0:1], 0
.LBB112_478:
	s_andn2_b64 vcc, exec, s[0:1]
	s_cbranch_vccnz .LBB112_489
; %bb.479:
	s_cmp_lt_i32 s26, 6
	s_cbranch_scc1 .LBB112_482
; %bb.480:
	s_cmp_gt_i32 s26, 6
	s_cbranch_scc0 .LBB112_483
; %bb.481:
	global_load_dwordx2 v[2:3], v[0:1], off
	s_mov_b64 s[0:1], 0
	s_branch .LBB112_484
.LBB112_482:
	s_mov_b64 s[0:1], -1
                                        ; implicit-def: $vgpr2_vgpr3
	s_branch .LBB112_487
.LBB112_483:
	s_mov_b64 s[0:1], -1
                                        ; implicit-def: $vgpr2_vgpr3
.LBB112_484:
	s_andn2_b64 vcc, exec, s[0:1]
	s_cbranch_vccnz .LBB112_486
; %bb.485:
	global_load_dword v2, v[0:1], off
	s_waitcnt vmcnt(0)
	v_cvt_f64_f32_e32 v[2:3], v2
.LBB112_486:
	s_mov_b64 s[0:1], 0
.LBB112_487:
	s_andn2_b64 vcc, exec, s[0:1]
	s_cbranch_vccnz .LBB112_489
; %bb.488:
	global_load_ushort v2, v[0:1], off
	s_waitcnt vmcnt(0)
	v_cvt_f32_f16_e32 v2, v2
	v_cvt_f64_f32_e32 v[2:3], v2
.LBB112_489:
	s_mov_b64 s[0:1], 0
.LBB112_490:
	s_andn2_b64 vcc, exec, s[0:1]
	s_cbranch_vccnz .LBB112_510
; %bb.491:
	s_cmp_lt_i32 s26, 2
	s_cbranch_scc1 .LBB112_495
; %bb.492:
	s_cmp_lt_i32 s26, 3
	s_cbranch_scc1 .LBB112_496
; %bb.493:
	s_cmp_gt_i32 s26, 3
	s_cbranch_scc0 .LBB112_497
; %bb.494:
	global_load_dwordx2 v[2:3], v[0:1], off
	s_mov_b64 s[0:1], 0
	s_waitcnt vmcnt(0)
	v_cvt_f64_i32_e32 v[4:5], v3
	v_cvt_f64_u32_e32 v[2:3], v2
	v_ldexp_f64 v[4:5], v[4:5], 32
	v_add_f64 v[2:3], v[4:5], v[2:3]
	s_branch .LBB112_498
.LBB112_495:
	s_mov_b64 s[0:1], -1
                                        ; implicit-def: $vgpr2_vgpr3
	s_branch .LBB112_504
.LBB112_496:
	s_mov_b64 s[0:1], -1
                                        ; implicit-def: $vgpr2_vgpr3
	s_branch .LBB112_501
.LBB112_497:
	s_mov_b64 s[0:1], -1
                                        ; implicit-def: $vgpr2_vgpr3
.LBB112_498:
	s_andn2_b64 vcc, exec, s[0:1]
	s_cbranch_vccnz .LBB112_500
; %bb.499:
	global_load_dword v2, v[0:1], off
	s_waitcnt vmcnt(0)
	v_cvt_f64_i32_e32 v[2:3], v2
.LBB112_500:
	s_mov_b64 s[0:1], 0
.LBB112_501:
	s_andn2_b64 vcc, exec, s[0:1]
	s_cbranch_vccnz .LBB112_503
; %bb.502:
	global_load_sshort v2, v[0:1], off
	s_waitcnt vmcnt(0)
	v_cvt_f64_i32_e32 v[2:3], v2
.LBB112_503:
	s_mov_b64 s[0:1], 0
.LBB112_504:
	s_andn2_b64 vcc, exec, s[0:1]
	s_cbranch_vccnz .LBB112_510
; %bb.505:
	s_cmp_gt_i32 s26, 0
	s_cbranch_scc0 .LBB112_507
; %bb.506:
	global_load_sbyte v2, v[0:1], off
	s_mov_b64 s[0:1], 0
	s_waitcnt vmcnt(0)
	v_cvt_f64_i32_e32 v[2:3], v2
	s_branch .LBB112_508
.LBB112_507:
	s_mov_b64 s[0:1], -1
                                        ; implicit-def: $vgpr2_vgpr3
.LBB112_508:
	s_andn2_b64 vcc, exec, s[0:1]
	s_cbranch_vccnz .LBB112_510
; %bb.509:
	global_load_ubyte v0, v[0:1], off
	s_waitcnt vmcnt(0)
	v_cvt_f64_u32_e32 v[2:3], v0
.LBB112_510:
	s_branch .LBB112_266
.LBB112_511:
	s_mov_b64 s[24:25], 0
                                        ; implicit-def: $vgpr10
	s_mov_b64 s[0:1], s[12:13]
.LBB112_512:
	s_andn2_b64 s[20:21], s[12:13], exec
	s_and_b64 s[0:1], s[0:1], exec
	s_or_b64 s[20:21], s[20:21], s[0:1]
	s_andn2_b64 s[0:1], s[14:15], exec
	s_and_b64 s[18:19], s[18:19], exec
	s_or_b64 s[18:19], s[0:1], s[18:19]
	s_orn2_b64 s[0:1], s[24:25], exec
.LBB112_513:
	s_or_b64 exec, exec, s[22:23]
	s_mov_b64 s[24:25], 0
	s_mov_b64 s[26:27], 0
	;; [unrolled: 1-line block ×3, first 2 shown]
                                        ; implicit-def: $vgpr0_vgpr1
                                        ; implicit-def: $vgpr2_vgpr3
	s_and_saveexec_b64 s[22:23], s[0:1]
	s_cbranch_execz .LBB112_858
; %bb.514:
	v_cmp_gt_i32_e32 vcc, s38, v10
	s_mov_b64 s[34:35], -1
	s_mov_b64 s[0:1], s[18:19]
	s_mov_b64 s[28:29], s[20:21]
	s_and_saveexec_b64 s[24:25], vcc
	s_cbranch_execz .LBB112_772
; %bb.515:
	v_mul_lo_u32 v0, v10, s9
	v_ashrrev_i32_e32 v1, 31, v0
	s_and_b32 s34, 0xffff, s42
	s_cmp_lt_i32 s34, 11
	v_lshl_add_u64 v[0:1], s[6:7], 0, v[0:1]
	s_cbranch_scc1 .LBB112_522
; %bb.516:
	s_cmp_gt_i32 s34, 25
	s_cbranch_scc0 .LBB112_523
; %bb.517:
	s_cmp_gt_i32 s34, 28
	s_cbranch_scc0 .LBB112_524
; %bb.518:
	s_cmp_gt_i32 s34, 43
	s_cbranch_scc0 .LBB112_525
; %bb.519:
	s_cmp_gt_i32 s34, 45
	s_cbranch_scc0 .LBB112_528
; %bb.520:
	s_cmp_eq_u32 s34, 46
	s_mov_b64 s[28:29], 0
	s_cbranch_scc0 .LBB112_531
; %bb.521:
	global_load_dword v2, v[0:1], off
	s_mov_b64 s[0:1], -1
	s_waitcnt vmcnt(0)
	v_lshlrev_b32_e32 v2, 16, v2
	v_cvt_f64_f32_e32 v[2:3], v2
	s_branch .LBB112_532
.LBB112_522:
	s_mov_b64 s[28:29], -1
	s_mov_b64 s[0:1], 0
                                        ; implicit-def: $vgpr2_vgpr3
	s_mov_b64 s[26:27], s[18:19]
	s_branch .LBB112_597
.LBB112_523:
	s_mov_b64 s[28:29], -1
	s_mov_b64 s[0:1], 0
	s_mov_b64 s[26:27], s[18:19]
                                        ; implicit-def: $vgpr2_vgpr3
	s_branch .LBB112_563
.LBB112_524:
	s_mov_b64 s[28:29], -1
	s_mov_b64 s[0:1], 0
	s_mov_b64 s[26:27], s[18:19]
                                        ; implicit-def: $vgpr2_vgpr3
	s_branch .LBB112_542
.LBB112_525:
	s_mov_b64 s[28:29], -1
	s_mov_b64 s[0:1], 0
	s_mov_b64 s[26:27], s[18:19]
                                        ; implicit-def: $vgpr2_vgpr3
	s_branch .LBB112_537
.LBB112_526:
	s_andn2_saveexec_b64 s[26:27], s[26:27]
	s_cbranch_execz .LBB112_311
.LBB112_527:
	s_mov_b32 s30, 0x46000000
	v_add_f32_e64 v3, |v2|, s30
	v_and_b32_e32 v3, 0xff, v3
	v_cmp_ne_u32_e32 vcc, 0, v3
	s_andn2_b64 s[24:25], s[24:25], exec
	s_and_b64 s[30:31], vcc, exec
	s_or_b64 s[24:25], s[24:25], s[30:31]
	s_or_b64 exec, exec, s[26:27]
	v_mov_b32_e32 v6, 0
	s_and_saveexec_b64 s[26:27], s[24:25]
	s_cbranch_execnz .LBB112_312
	s_branch .LBB112_313
.LBB112_528:
	s_mov_b64 s[28:29], -1
	s_mov_b64 s[0:1], 0
	s_mov_b64 s[26:27], s[18:19]
                                        ; implicit-def: $vgpr2_vgpr3
	s_branch .LBB112_532
.LBB112_529:
	s_andn2_saveexec_b64 s[26:27], s[26:27]
	s_cbranch_execz .LBB112_324
.LBB112_530:
	s_mov_b32 s30, 0x42800000
	v_add_f32_e64 v3, |v2|, s30
	v_and_b32_e32 v3, 0xff, v3
	v_cmp_ne_u32_e32 vcc, 0, v3
	s_andn2_b64 s[24:25], s[24:25], exec
	s_and_b64 s[30:31], vcc, exec
	s_or_b64 s[24:25], s[24:25], s[30:31]
	s_or_b64 exec, exec, s[26:27]
	v_mov_b32_e32 v6, 0
	s_and_saveexec_b64 s[26:27], s[24:25]
	s_cbranch_execnz .LBB112_325
	s_branch .LBB112_326
.LBB112_531:
	s_mov_b64 s[26:27], -1
                                        ; implicit-def: $vgpr2_vgpr3
	s_mov_b64 s[0:1], 0
.LBB112_532:
	s_and_b64 vcc, exec, s[28:29]
	s_cbranch_vccz .LBB112_536
; %bb.533:
	s_cmp_eq_u32 s34, 44
	s_cbranch_scc0 .LBB112_535
; %bb.534:
	global_load_ubyte v4, v[0:1], off
	s_movk_i32 s26, 0xff
	v_bfrev_b32_e32 v5, 4
	v_mov_b32_e32 v6, 0x7ff80000
	v_bfrev_b32_e32 v7, 28
	s_mov_b64 s[0:1], -1
	s_waitcnt vmcnt(0)
	v_lshlrev_b32_e32 v2, 23, v4
	v_cvt_f64_f32_e32 v[2:3], v2
	v_cmp_ne_u32_e32 vcc, s26, v4
	s_mov_b64 s[26:27], 0
	s_nop 0
	v_cndmask_b32_e32 v2, v5, v2, vcc
	v_cndmask_b32_e32 v3, v6, v3, vcc
	v_cmp_ne_u32_e32 vcc, 0, v4
	s_nop 1
	v_cndmask_b32_e32 v3, v7, v3, vcc
	v_cndmask_b32_e32 v2, 0, v2, vcc
	s_branch .LBB112_536
.LBB112_535:
	s_mov_b64 s[26:27], -1
                                        ; implicit-def: $vgpr2_vgpr3
.LBB112_536:
	s_mov_b64 s[28:29], 0
.LBB112_537:
	s_and_b64 vcc, exec, s[28:29]
	s_cbranch_vccz .LBB112_541
; %bb.538:
	s_cmp_eq_u32 s34, 29
	s_cbranch_scc0 .LBB112_540
; %bb.539:
	global_load_dwordx2 v[2:3], v[0:1], off
	s_mov_b64 s[0:1], -1
	s_mov_b64 s[26:27], 0
	s_mov_b64 s[28:29], 0
	s_waitcnt vmcnt(0)
	v_cvt_f64_u32_e32 v[4:5], v3
	v_cvt_f64_u32_e32 v[2:3], v2
	v_ldexp_f64 v[4:5], v[4:5], 32
	v_add_f64 v[2:3], v[4:5], v[2:3]
	s_branch .LBB112_542
.LBB112_540:
	s_mov_b64 s[26:27], -1
                                        ; implicit-def: $vgpr2_vgpr3
.LBB112_541:
	s_mov_b64 s[28:29], 0
.LBB112_542:
	s_and_b64 vcc, exec, s[28:29]
	s_cbranch_vccz .LBB112_562
; %bb.543:
	s_cmp_lt_i32 s34, 27
	s_cbranch_scc1 .LBB112_546
; %bb.544:
	s_cmp_gt_i32 s34, 27
	s_cbranch_scc0 .LBB112_547
; %bb.545:
	global_load_dword v2, v[0:1], off
	s_mov_b64 s[0:1], 0
	s_waitcnt vmcnt(0)
	v_cvt_f64_u32_e32 v[2:3], v2
	s_branch .LBB112_548
.LBB112_546:
	s_mov_b64 s[0:1], -1
                                        ; implicit-def: $vgpr2_vgpr3
	s_branch .LBB112_551
.LBB112_547:
	s_mov_b64 s[0:1], -1
                                        ; implicit-def: $vgpr2_vgpr3
.LBB112_548:
	s_andn2_b64 vcc, exec, s[0:1]
	s_cbranch_vccnz .LBB112_550
; %bb.549:
	global_load_ushort v2, v[0:1], off
	s_waitcnt vmcnt(0)
	v_cvt_f64_u32_e32 v[2:3], v2
.LBB112_550:
	s_mov_b64 s[0:1], 0
.LBB112_551:
	s_andn2_b64 vcc, exec, s[0:1]
	s_cbranch_vccnz .LBB112_561
; %bb.552:
	global_load_ubyte v4, v[0:1], off
	s_movk_i32 s0, 0x7f
	s_waitcnt vmcnt(0)
	v_cmp_lt_i16_e32 vcc, s0, v4
	s_mov_b64 s[0:1], 0
	s_and_saveexec_b64 s[28:29], vcc
	s_xor_b64 s[28:29], exec, s[28:29]
	s_cbranch_execz .LBB112_556
; %bb.553:
	s_movk_i32 s0, 0x80
	v_cmp_eq_u16_e32 vcc, s0, v4
	s_mov_b64 s[0:1], -1
	s_and_saveexec_b64 s[30:31], vcc
; %bb.554:
	s_xor_b64 s[0:1], exec, -1
; %bb.555:
	s_or_b64 exec, exec, s[30:31]
	s_and_b64 s[0:1], s[0:1], exec
.LBB112_556:
	s_or_saveexec_b64 s[28:29], s[28:29]
	v_bfrev_b32_e32 v2, 4
	v_mov_b32_e32 v3, 0x7ff80000
	s_xor_b64 exec, exec, s[28:29]
; %bb.557:
	v_cmp_ne_u16_e32 vcc, 0, v4
	s_andn2_b64 s[0:1], s[0:1], exec
	s_and_b64 s[30:31], vcc, exec
	v_mov_b64_e32 v[2:3], 0
	s_or_b64 s[0:1], s[0:1], s[30:31]
; %bb.558:
	s_or_b64 exec, exec, s[28:29]
	s_and_saveexec_b64 s[28:29], s[0:1]
	s_cbranch_execz .LBB112_560
; %bb.559:
	v_and_b32_e32 v3, 0xffff, v4
	v_lshlrev_b32_e32 v2, 24, v4
	v_and_b32_e32 v4, 7, v3
	v_ffbh_u32_e32 v6, v4
	v_min_u32_e32 v6, 32, v6
	v_subrev_u32_e32 v7, 28, v6
	v_bfe_u32 v5, v3, 3, 4
	v_lshlrev_b32_e32 v3, v7, v3
	v_sub_u32_e32 v6, 29, v6
	v_and_b32_e32 v3, 7, v3
	v_cmp_eq_u32_e32 vcc, 0, v5
	v_and_b32_e32 v2, 0x80000000, v2
	s_nop 0
	v_cndmask_b32_e32 v5, v5, v6, vcc
	v_cndmask_b32_e32 v3, v4, v3, vcc
	v_mov_b32_e32 v4, 0x3b800000
	v_lshlrev_b32_e32 v3, 20, v3
	v_lshl_add_u32 v4, v5, 23, v4
	v_or3_b32 v2, v2, v4, v3
	v_cvt_f64_f32_e32 v[2:3], v2
.LBB112_560:
	s_or_b64 exec, exec, s[28:29]
.LBB112_561:
	s_mov_b64 s[0:1], -1
.LBB112_562:
	s_mov_b64 s[28:29], 0
.LBB112_563:
	s_and_b64 vcc, exec, s[28:29]
	s_cbranch_vccz .LBB112_596
; %bb.564:
	s_cmp_gt_i32 s34, 22
	s_cbranch_scc0 .LBB112_576
; %bb.565:
	s_cmp_lt_i32 s34, 24
	s_cbranch_scc1 .LBB112_577
; %bb.566:
	s_cmp_gt_i32 s34, 24
	s_cbranch_scc0 .LBB112_578
; %bb.567:
	global_load_ubyte v4, v[0:1], off
	s_movk_i32 s0, 0x7f
	s_waitcnt vmcnt(0)
	v_cmp_lt_i16_e32 vcc, s0, v4
	s_mov_b64 s[0:1], 0
	s_and_saveexec_b64 s[28:29], vcc
	s_xor_b64 s[28:29], exec, s[28:29]
	s_cbranch_execz .LBB112_571
; %bb.568:
	s_movk_i32 s0, 0x80
	v_cmp_eq_u16_e32 vcc, s0, v4
	s_mov_b64 s[0:1], -1
	s_and_saveexec_b64 s[30:31], vcc
; %bb.569:
	s_xor_b64 s[0:1], exec, -1
; %bb.570:
	s_or_b64 exec, exec, s[30:31]
	s_and_b64 s[0:1], s[0:1], exec
.LBB112_571:
	s_or_saveexec_b64 s[28:29], s[28:29]
	v_bfrev_b32_e32 v2, 4
	v_mov_b32_e32 v3, 0x7ff80000
	s_xor_b64 exec, exec, s[28:29]
; %bb.572:
	v_cmp_ne_u16_e32 vcc, 0, v4
	s_andn2_b64 s[0:1], s[0:1], exec
	s_and_b64 s[30:31], vcc, exec
	v_mov_b64_e32 v[2:3], 0
	s_or_b64 s[0:1], s[0:1], s[30:31]
; %bb.573:
	s_or_b64 exec, exec, s[28:29]
	s_and_saveexec_b64 s[28:29], s[0:1]
	s_cbranch_execz .LBB112_575
; %bb.574:
	v_and_b32_e32 v3, 0xffff, v4
	v_lshlrev_b32_e32 v2, 24, v4
	v_and_b32_e32 v4, 3, v3
	v_ffbh_u32_e32 v6, v4
	v_min_u32_e32 v6, 32, v6
	v_subrev_u32_e32 v7, 29, v6
	v_bfe_u32 v5, v3, 2, 5
	v_lshlrev_b32_e32 v3, v7, v3
	v_sub_u32_e32 v6, 30, v6
	v_and_b32_e32 v3, 3, v3
	v_cmp_eq_u32_e32 vcc, 0, v5
	v_and_b32_e32 v2, 0x80000000, v2
	s_nop 0
	v_cndmask_b32_e32 v5, v5, v6, vcc
	v_cndmask_b32_e32 v3, v4, v3, vcc
	v_mov_b32_e32 v4, 0x37800000
	v_lshlrev_b32_e32 v3, 21, v3
	v_lshl_add_u32 v4, v5, 23, v4
	v_or3_b32 v2, v2, v4, v3
	v_cvt_f64_f32_e32 v[2:3], v2
.LBB112_575:
	s_or_b64 exec, exec, s[28:29]
	s_mov_b64 s[0:1], 0
	s_branch .LBB112_579
.LBB112_576:
	s_mov_b64 s[28:29], -1
                                        ; implicit-def: $vgpr2_vgpr3
	s_branch .LBB112_585
.LBB112_577:
	s_mov_b64 s[0:1], -1
                                        ; implicit-def: $vgpr2_vgpr3
	s_branch .LBB112_582
.LBB112_578:
	s_mov_b64 s[0:1], -1
                                        ; implicit-def: $vgpr2_vgpr3
.LBB112_579:
	s_and_b64 vcc, exec, s[0:1]
	s_cbranch_vccz .LBB112_581
; %bb.580:
	global_load_ubyte v2, v[0:1], off
	s_mov_b32 s0, 0x7f800000
	s_waitcnt vmcnt(0)
	v_lshlrev_b32_e32 v2, 24, v2
	v_and_b32_e32 v3, 0x7f000000, v2
	v_ffbh_u32_e32 v4, v3
	v_min_u32_e32 v4, 32, v4
	v_sub_u32_e64 v4, v4, 4 clamp
	v_lshlrev_b32_e32 v6, v4, v3
	v_lshlrev_b32_e32 v4, 23, v4
	v_lshrrev_b32_e32 v6, 4, v6
	v_add_u32_e32 v5, 0x1000000, v3
	v_sub_u32_e32 v4, v6, v4
	v_ashrrev_i32_e32 v5, 8, v5
	v_add_u32_e32 v4, 0x3c000000, v4
	v_and_or_b32 v4, v5, s0, v4
	v_cmp_ne_u32_e32 vcc, 0, v3
	s_brev_b32 s0, 1
	s_nop 0
	v_cndmask_b32_e32 v3, 0, v4, vcc
	v_and_or_b32 v2, v2, s0, v3
	v_cvt_f64_f32_e32 v[2:3], v2
.LBB112_581:
	s_mov_b64 s[0:1], 0
.LBB112_582:
	s_andn2_b64 vcc, exec, s[0:1]
	s_cbranch_vccnz .LBB112_584
; %bb.583:
	global_load_ubyte v2, v[0:1], off
	s_movk_i32 s0, 0x7f00
	s_brev_b32 s1, 16
	s_waitcnt vmcnt(0)
	v_lshlrev_b16_e32 v3, 8, v2
	v_lshlrev_b32_e32 v2, 25, v2
	v_lshrrev_b32_e32 v4, 4, v2
	v_and_or_b32 v5, v3, s0, 0.5
	v_or_b32_e32 v4, 0x70000000, v4
	v_add_f32_e32 v5, -0.5, v5
	v_mul_f32_e32 v4, 0x7800000, v4
	v_cmp_gt_u32_e32 vcc, s1, v2
	v_bfe_i32 v3, v3, 0, 16
	s_brev_b32 s0, 1
	v_cndmask_b32_e32 v2, v4, v5, vcc
	v_and_or_b32 v2, v3, s0, v2
	v_cvt_f64_f32_e32 v[2:3], v2
.LBB112_584:
	s_mov_b64 s[28:29], 0
	s_mov_b64 s[0:1], -1
.LBB112_585:
	s_andn2_b64 vcc, exec, s[28:29]
	s_cbranch_vccnz .LBB112_596
; %bb.586:
	s_cmp_gt_i32 s34, 14
	s_cbranch_scc0 .LBB112_589
; %bb.587:
	s_cmp_eq_u32 s34, 15
	s_cbranch_scc0 .LBB112_590
; %bb.588:
	global_load_ushort v2, v[0:1], off
	s_mov_b64 s[0:1], -1
	s_mov_b64 s[26:27], 0
	s_waitcnt vmcnt(0)
	v_lshlrev_b32_e32 v2, 16, v2
	v_cvt_f64_f32_e32 v[2:3], v2
	s_branch .LBB112_591
.LBB112_589:
	s_mov_b64 s[28:29], -1
                                        ; implicit-def: $vgpr2_vgpr3
	s_branch .LBB112_592
.LBB112_590:
	s_mov_b64 s[26:27], -1
                                        ; implicit-def: $vgpr2_vgpr3
.LBB112_591:
	s_mov_b64 s[28:29], 0
.LBB112_592:
	s_and_b64 vcc, exec, s[28:29]
	s_cbranch_vccz .LBB112_596
; %bb.593:
	s_cmp_eq_u32 s34, 11
	s_cbranch_scc0 .LBB112_595
; %bb.594:
	global_load_ubyte v3, v[0:1], off
	v_mov_b32_e32 v4, 0x3ff00000
	s_waitcnt vmcnt(1)
	v_mov_b32_e32 v2, 0
	s_mov_b64 s[0:1], -1
	s_mov_b64 s[26:27], 0
	s_waitcnt vmcnt(0)
	v_cmp_ne_u16_e32 vcc, 0, v3
	s_nop 1
	v_cndmask_b32_e32 v3, 0, v4, vcc
	s_branch .LBB112_596
.LBB112_595:
	s_mov_b64 s[26:27], -1
                                        ; implicit-def: $vgpr2_vgpr3
.LBB112_596:
	s_mov_b64 s[28:29], 0
.LBB112_597:
	s_and_b64 vcc, exec, s[28:29]
	s_cbranch_vccz .LBB112_646
; %bb.598:
	s_cmp_lt_i32 s34, 5
	s_cbranch_scc1 .LBB112_603
; %bb.599:
	s_cmp_lt_i32 s34, 8
	s_cbranch_scc1 .LBB112_604
	;; [unrolled: 3-line block ×3, first 2 shown]
; %bb.601:
	s_cmp_gt_i32 s34, 9
	s_cbranch_scc0 .LBB112_606
; %bb.602:
	global_load_dwordx2 v[2:3], v[0:1], off
	s_mov_b64 s[0:1], 0
	s_branch .LBB112_607
.LBB112_603:
	s_mov_b64 s[0:1], -1
                                        ; implicit-def: $vgpr2_vgpr3
	s_branch .LBB112_625
.LBB112_604:
	s_mov_b64 s[0:1], -1
                                        ; implicit-def: $vgpr2_vgpr3
	s_branch .LBB112_613
.LBB112_605:
	s_mov_b64 s[0:1], -1
                                        ; implicit-def: $vgpr2_vgpr3
	s_branch .LBB112_610
.LBB112_606:
	s_mov_b64 s[0:1], -1
                                        ; implicit-def: $vgpr2_vgpr3
.LBB112_607:
	s_andn2_b64 vcc, exec, s[0:1]
	s_cbranch_vccnz .LBB112_609
; %bb.608:
	global_load_dword v2, v[0:1], off
	s_waitcnt vmcnt(0)
	v_cvt_f64_f32_e32 v[2:3], v2
.LBB112_609:
	s_mov_b64 s[0:1], 0
.LBB112_610:
	s_andn2_b64 vcc, exec, s[0:1]
	s_cbranch_vccnz .LBB112_612
; %bb.611:
	global_load_dword v2, v[0:1], off
	s_waitcnt vmcnt(0)
	v_cvt_f32_f16_e32 v2, v2
	v_cvt_f64_f32_e32 v[2:3], v2
.LBB112_612:
	s_mov_b64 s[0:1], 0
.LBB112_613:
	s_andn2_b64 vcc, exec, s[0:1]
	s_cbranch_vccnz .LBB112_624
; %bb.614:
	s_cmp_lt_i32 s34, 6
	s_cbranch_scc1 .LBB112_617
; %bb.615:
	s_cmp_gt_i32 s34, 6
	s_cbranch_scc0 .LBB112_618
; %bb.616:
	global_load_dwordx2 v[2:3], v[0:1], off
	s_mov_b64 s[0:1], 0
	s_branch .LBB112_619
.LBB112_617:
	s_mov_b64 s[0:1], -1
                                        ; implicit-def: $vgpr2_vgpr3
	s_branch .LBB112_622
.LBB112_618:
	s_mov_b64 s[0:1], -1
                                        ; implicit-def: $vgpr2_vgpr3
.LBB112_619:
	s_andn2_b64 vcc, exec, s[0:1]
	s_cbranch_vccnz .LBB112_621
; %bb.620:
	global_load_dword v2, v[0:1], off
	s_waitcnt vmcnt(0)
	v_cvt_f64_f32_e32 v[2:3], v2
.LBB112_621:
	s_mov_b64 s[0:1], 0
.LBB112_622:
	s_andn2_b64 vcc, exec, s[0:1]
	s_cbranch_vccnz .LBB112_624
; %bb.623:
	global_load_ushort v2, v[0:1], off
	s_waitcnt vmcnt(0)
	v_cvt_f32_f16_e32 v2, v2
	v_cvt_f64_f32_e32 v[2:3], v2
.LBB112_624:
	s_mov_b64 s[0:1], 0
.LBB112_625:
	s_andn2_b64 vcc, exec, s[0:1]
	s_cbranch_vccnz .LBB112_645
; %bb.626:
	s_cmp_lt_i32 s34, 2
	s_cbranch_scc1 .LBB112_630
; %bb.627:
	s_cmp_lt_i32 s34, 3
	s_cbranch_scc1 .LBB112_631
; %bb.628:
	s_cmp_gt_i32 s34, 3
	s_cbranch_scc0 .LBB112_632
; %bb.629:
	global_load_dwordx2 v[2:3], v[0:1], off
	s_mov_b64 s[0:1], 0
	s_waitcnt vmcnt(0)
	v_cvt_f64_i32_e32 v[4:5], v3
	v_cvt_f64_u32_e32 v[2:3], v2
	v_ldexp_f64 v[4:5], v[4:5], 32
	v_add_f64 v[2:3], v[4:5], v[2:3]
	s_branch .LBB112_633
.LBB112_630:
	s_mov_b64 s[0:1], -1
                                        ; implicit-def: $vgpr2_vgpr3
	s_branch .LBB112_639
.LBB112_631:
	s_mov_b64 s[0:1], -1
                                        ; implicit-def: $vgpr2_vgpr3
	s_branch .LBB112_636
.LBB112_632:
	s_mov_b64 s[0:1], -1
                                        ; implicit-def: $vgpr2_vgpr3
.LBB112_633:
	s_andn2_b64 vcc, exec, s[0:1]
	s_cbranch_vccnz .LBB112_635
; %bb.634:
	global_load_dword v2, v[0:1], off
	s_waitcnt vmcnt(0)
	v_cvt_f64_i32_e32 v[2:3], v2
.LBB112_635:
	s_mov_b64 s[0:1], 0
.LBB112_636:
	s_andn2_b64 vcc, exec, s[0:1]
	s_cbranch_vccnz .LBB112_638
; %bb.637:
	global_load_sshort v2, v[0:1], off
	s_waitcnt vmcnt(0)
	v_cvt_f64_i32_e32 v[2:3], v2
.LBB112_638:
	s_mov_b64 s[0:1], 0
.LBB112_639:
	s_andn2_b64 vcc, exec, s[0:1]
	s_cbranch_vccnz .LBB112_645
; %bb.640:
	s_cmp_gt_i32 s34, 0
	s_cbranch_scc0 .LBB112_642
; %bb.641:
	global_load_sbyte v2, v[0:1], off
	s_mov_b64 s[0:1], 0
	s_waitcnt vmcnt(0)
	v_cvt_f64_i32_e32 v[2:3], v2
	s_branch .LBB112_643
.LBB112_642:
	s_mov_b64 s[0:1], -1
                                        ; implicit-def: $vgpr2_vgpr3
.LBB112_643:
	s_andn2_b64 vcc, exec, s[0:1]
	s_cbranch_vccnz .LBB112_645
; %bb.644:
	global_load_ubyte v0, v[0:1], off
	s_waitcnt vmcnt(0)
	v_cvt_f64_u32_e32 v[2:3], v0
.LBB112_645:
	s_mov_b64 s[0:1], -1
.LBB112_646:
	s_andn2_b64 vcc, exec, s[0:1]
	s_cbranch_vccnz .LBB112_654
; %bb.647:
	s_mov_b32 s0, 0x652b82fe
	s_mov_b32 s1, 0x3ff71547
	s_waitcnt vmcnt(0)
	v_mul_f64 v[0:1], v[2:3], s[0:1]
	v_rndne_f64_e32 v[0:1], v[0:1]
	s_mov_b32 s1, 0xbfe62e42
	s_mov_b32 s0, 0xfefa39ef
	;; [unrolled: 1-line block ×3, first 2 shown]
	v_fma_f64 v[4:5], s[0:1], v[0:1], v[2:3]
	s_mov_b32 s29, 0xbc7abc9e
	v_fmac_f64_e32 v[4:5], s[28:29], v[0:1]
	s_mov_b32 s28, 0xa9d67f34
	v_mov_b32_e32 v6, 0x2a1b768b
	v_mov_b32_e32 v7, 0x3e5af4eb
	s_mov_b32 s29, 0x3e21f32e
	v_fmac_f64_e32 v[6:7], s[28:29], v[4:5]
	v_mov_b32_e32 v8, 0xe0ac05b
	v_mov_b32_e32 v9, 0x3e927e50
	v_fmac_f64_e32 v[8:9], v[4:5], v[6:7]
	v_mov_b32_e32 v6, 0x1b889c29
	v_mov_b32_e32 v7, 0x3ec71de0
	;; [unrolled: 3-line block ×8, first 2 shown]
	v_fmac_f64_e32 v[6:7], v[4:5], v[8:9]
	v_fma_f64 v[6:7], v[4:5], v[6:7], 0.5
	v_mul_f64 v[6:7], v[4:5], v[6:7]
	s_mov_b32 s28, 0
	v_fmac_f64_e32 v[4:5], v[4:5], v[6:7]
	s_mov_b32 s29, 0x40900000
	v_cvt_i32_f64_e32 v6, v[0:1]
	v_ldexp_f64 v[6:7], 1.0, v6
	v_mov_b32_e32 v8, 0x7fe00000
	v_cmp_eq_f64_e32 vcc, s[28:29], v[0:1]
	s_mov_b32 s1, 0x40862e42
	s_and_b32 s36, s33, 0xff
	v_cndmask_b32_e32 v1, v7, v8, vcc
	v_cndmask_b32_e64 v0, v6, 0, vcc
	v_add_f64 v[6:7], v[0:1], -1.0
	v_fmac_f64_e32 v[6:7], v[0:1], v[4:5]
	v_add_f64 v[0:1], v[6:7], v[6:7]
	v_cndmask_b32_e32 v0, v6, v0, vcc
	v_cndmask_b32_e32 v1, v7, v1, vcc
	v_cmp_nlt_f64_e32 vcc, s[0:1], v[2:3]
	s_mov_b32 s0, 0
	s_mov_b32 s1, 0xc0428000
	v_mov_b32_e32 v4, 0x7ff00000
	v_cmp_ngt_f64_e64 s[0:1], s[0:1], v[2:3]
	v_mul_lo_u32 v2, v10, s8
	v_cndmask_b32_e32 v1, v4, v1, vcc
	v_mov_b32_e32 v4, 0xbff00000
	s_and_b64 vcc, s[0:1], vcc
	v_ashrrev_i32_e32 v3, 31, v2
	v_cndmask_b32_e64 v1, v4, v1, s[0:1]
	v_cndmask_b32_e32 v0, 0, v0, vcc
	s_cmp_lt_i32 s36, 11
	v_lshl_add_u64 v[4:5], s[4:5], 0, v[2:3]
	s_cbranch_scc1 .LBB112_655
; %bb.648:
	s_and_b32 s37, 0xffff, s36
	s_cmp_gt_i32 s37, 25
	s_cbranch_scc0 .LBB112_656
; %bb.649:
	s_cmp_gt_i32 s37, 28
	s_cbranch_scc0 .LBB112_657
; %bb.650:
	;; [unrolled: 3-line block ×4, first 2 shown]
	s_mov_b64 s[30:31], 0
	s_mov_b64 s[0:1], -1
	s_cmp_eq_u32 s37, 46
	s_mov_b64 s[28:29], 0
	s_cbranch_scc0 .LBB112_660
; %bb.653:
	v_cvt_f32_f64_e32 v2, v[0:1]
	v_bfe_u32 v3, v2, 16, 1
	s_movk_i32 s0, 0x7fff
	v_add3_u32 v3, v2, v3, s0
	v_cmp_o_f32_e32 vcc, v2, v2
	v_mov_b32_e32 v2, 0x7fc0
	s_mov_b64 s[28:29], -1
	v_cndmask_b32_sdwa v2, v2, v3, vcc dst_sel:DWORD dst_unused:UNUSED_PAD src0_sel:DWORD src1_sel:WORD_1
	global_store_dword v[4:5], v2, off
	s_mov_b64 s[0:1], 0
	s_branch .LBB112_660
.LBB112_654:
	s_mov_b64 s[30:31], 0
                                        ; implicit-def: $vgpr10
	s_mov_b64 s[0:1], s[20:21]
	s_branch .LBB112_771
.LBB112_655:
	s_mov_b64 s[30:31], -1
	s_mov_b64 s[28:29], 0
	s_mov_b64 s[0:1], s[20:21]
	s_branch .LBB112_729
.LBB112_656:
	s_mov_b64 s[30:31], -1
	s_mov_b64 s[28:29], 0
	s_mov_b64 s[0:1], s[20:21]
	s_branch .LBB112_687
.LBB112_657:
	s_mov_b64 s[30:31], -1
	s_mov_b64 s[28:29], 0
	s_mov_b64 s[0:1], s[20:21]
	s_branch .LBB112_670
.LBB112_658:
	s_mov_b64 s[30:31], -1
	s_mov_b64 s[28:29], 0
	s_mov_b64 s[0:1], s[20:21]
	s_branch .LBB112_666
.LBB112_659:
	s_mov_b64 s[30:31], -1
	s_mov_b64 s[28:29], 0
	s_mov_b64 s[0:1], s[20:21]
.LBB112_660:
	s_and_b64 vcc, exec, s[30:31]
	s_cbranch_vccz .LBB112_665
; %bb.661:
	s_cmp_eq_u32 s37, 44
	s_mov_b64 s[0:1], -1
	s_cbranch_scc0 .LBB112_665
; %bb.662:
	v_cvt_f32_f64_e32 v2, v[0:1]
	v_bfe_u32 v3, v2, 23, 8
	s_movk_i32 s0, 0xff
	v_cmp_ne_u32_e32 vcc, s0, v3
	v_mov_b32_e32 v6, 0xff
	s_and_saveexec_b64 s[28:29], vcc
; %bb.663:
	s_mov_b32 s0, 0x3fffff
	v_lshrrev_b32_e32 v6, 23, v2
	v_and_b32_e32 v7, 0x400000, v2
	v_and_or_b32 v2, v2, s0, v3
	v_cmp_ne_u32_e32 vcc, 0, v7
	v_cmp_ne_u32_e64 s[0:1], 0, v2
	s_and_b64 s[0:1], vcc, s[0:1]
	s_nop 0
	v_cndmask_b32_e64 v2, 0, 1, s[0:1]
	v_add_u32_e32 v6, v6, v2
; %bb.664:
	s_or_b64 exec, exec, s[28:29]
	s_mov_b64 s[28:29], -1
	s_mov_b64 s[0:1], 0
	global_store_byte v[4:5], v6, off
.LBB112_665:
	s_mov_b64 s[30:31], 0
.LBB112_666:
	s_and_b64 vcc, exec, s[30:31]
	s_cbranch_vccz .LBB112_669
; %bb.667:
	s_cmp_eq_u32 s37, 29
	s_mov_b64 s[0:1], -1
	s_cbranch_scc0 .LBB112_669
; %bb.668:
	v_trunc_f64_e32 v[2:3], v[0:1]
	s_movk_i32 s0, 0xffe0
	v_ldexp_f64 v[6:7], v[2:3], s0
	v_floor_f64_e32 v[6:7], v[6:7]
	v_fmac_f64_e32 v[2:3], 0xc1f00000, v[6:7]
	v_cvt_u32_f64_e32 v9, v[6:7]
	v_cvt_u32_f64_e32 v8, v[2:3]
	global_store_dwordx2 v[4:5], v[8:9], off
	s_mov_b64 s[28:29], -1
	s_mov_b64 s[0:1], 0
.LBB112_669:
	s_mov_b64 s[30:31], 0
.LBB112_670:
	s_and_b64 vcc, exec, s[30:31]
	s_cbranch_vccz .LBB112_686
; %bb.671:
	s_cmp_lt_i32 s37, 27
	s_mov_b64 s[28:29], -1
	s_cbranch_scc1 .LBB112_677
; %bb.672:
	s_cmp_gt_i32 s37, 27
	v_cvt_u32_f64_e32 v2, v[0:1]
	s_cbranch_scc0 .LBB112_674
; %bb.673:
	s_mov_b64 s[28:29], 0
	global_store_dword v[4:5], v2, off
.LBB112_674:
	s_andn2_b64 vcc, exec, s[28:29]
	s_cbranch_vccnz .LBB112_676
; %bb.675:
	global_store_short v[4:5], v2, off
.LBB112_676:
	s_mov_b64 s[28:29], 0
.LBB112_677:
	s_andn2_b64 vcc, exec, s[28:29]
	s_cbranch_vccnz .LBB112_685
; %bb.678:
	v_cvt_f32_f64_e32 v2, v[0:1]
	v_and_b32_e32 v3, 0x7fffffff, v2
	s_mov_b32 s28, 0x43800000
	v_cmp_gt_u32_e32 vcc, s28, v3
	v_mov_b32_e32 v6, 0x80
	s_and_saveexec_b64 s[28:29], vcc
	s_cbranch_execz .LBB112_684
; %bb.679:
	s_mov_b32 s30, 0x3bffffff
	v_cmp_lt_u32_e32 vcc, s30, v3
	s_mov_b64 s[30:31], 0
                                        ; implicit-def: $vgpr3
	s_and_saveexec_b64 s[34:35], vcc
	s_xor_b64 s[34:35], exec, s[34:35]
	s_cbranch_execz .LBB112_785
; %bb.680:
	v_bfe_u32 v3, v2, 20, 1
	s_mov_b32 s39, 0x487ffff
	v_add3_u32 v3, v2, v3, s39
	s_mov_b64 s[30:31], exec
	v_lshrrev_b32_e32 v3, 20, v3
	s_andn2_saveexec_b64 s[34:35], s[34:35]
	s_cbranch_execnz .LBB112_786
.LBB112_681:
	s_or_b64 exec, exec, s[34:35]
	v_mov_b32_e32 v6, 0
	s_and_saveexec_b64 s[34:35], s[30:31]
.LBB112_682:
	v_lshrrev_b32_e32 v2, 24, v2
	s_movk_i32 s30, 0x80
	v_and_or_b32 v6, v2, s30, v3
.LBB112_683:
	s_or_b64 exec, exec, s[34:35]
.LBB112_684:
	s_or_b64 exec, exec, s[28:29]
	global_store_byte v[4:5], v6, off
.LBB112_685:
	s_mov_b64 s[28:29], -1
.LBB112_686:
	s_mov_b64 s[30:31], 0
.LBB112_687:
	s_and_b64 vcc, exec, s[30:31]
	s_cbranch_vccz .LBB112_728
; %bb.688:
	s_cmp_gt_i32 s37, 22
	s_mov_b64 s[30:31], -1
	s_cbranch_scc0 .LBB112_720
; %bb.689:
	s_cmp_lt_i32 s37, 24
	s_mov_b64 s[28:29], -1
	s_cbranch_scc1 .LBB112_709
; %bb.690:
	s_cmp_gt_i32 s37, 24
	s_cbranch_scc0 .LBB112_698
; %bb.691:
	v_cvt_f32_f64_e32 v2, v[0:1]
	v_and_b32_e32 v3, 0x7fffffff, v2
	s_mov_b32 s28, 0x47800000
	v_cmp_gt_u32_e32 vcc, s28, v3
	v_mov_b32_e32 v6, 0x80
	s_and_saveexec_b64 s[28:29], vcc
	s_cbranch_execz .LBB112_697
; %bb.692:
	s_mov_b32 s30, 0x37ffffff
	v_cmp_lt_u32_e32 vcc, s30, v3
	s_mov_b64 s[30:31], 0
                                        ; implicit-def: $vgpr3
	s_and_saveexec_b64 s[34:35], vcc
	s_xor_b64 s[34:35], exec, s[34:35]
	s_cbranch_execz .LBB112_788
; %bb.693:
	v_bfe_u32 v3, v2, 21, 1
	s_mov_b32 s39, 0x88fffff
	v_add3_u32 v3, v2, v3, s39
	s_mov_b64 s[30:31], exec
	v_lshrrev_b32_e32 v3, 21, v3
	s_andn2_saveexec_b64 s[34:35], s[34:35]
	s_cbranch_execnz .LBB112_789
.LBB112_694:
	s_or_b64 exec, exec, s[34:35]
	v_mov_b32_e32 v6, 0
	s_and_saveexec_b64 s[34:35], s[30:31]
.LBB112_695:
	v_lshrrev_b32_e32 v2, 24, v2
	s_movk_i32 s30, 0x80
	v_and_or_b32 v6, v2, s30, v3
.LBB112_696:
	s_or_b64 exec, exec, s[34:35]
.LBB112_697:
	s_or_b64 exec, exec, s[28:29]
	s_mov_b64 s[28:29], 0
	global_store_byte v[4:5], v6, off
.LBB112_698:
	s_and_b64 vcc, exec, s[28:29]
	s_cbranch_vccz .LBB112_708
; %bb.699:
	v_cvt_f32_f64_e32 v2, v[0:1]
	v_and_b32_e32 v6, 0x7fffffff, v2
	s_mov_b32 s28, 0x43f00000
	v_cmp_gt_u32_e32 vcc, s28, v6
                                        ; implicit-def: $vgpr3
	s_and_saveexec_b64 s[28:29], vcc
	s_xor_b64 s[28:29], exec, s[28:29]
	s_cbranch_execz .LBB112_705
; %bb.700:
	s_mov_b32 s30, 0x3c7fffff
	v_cmp_lt_u32_e32 vcc, s30, v6
                                        ; implicit-def: $vgpr3
	s_and_saveexec_b64 s[30:31], vcc
	s_xor_b64 s[30:31], exec, s[30:31]
; %bb.701:
	v_bfe_u32 v3, v2, 20, 1
	s_mov_b32 s34, 0x407ffff
	v_add3_u32 v3, v2, v3, s34
	v_lshrrev_b32_e32 v6, 20, v3
	v_and_b32_e32 v3, 0xff00000, v3
	s_mov_b32 s34, 0x7f00000
	v_mov_b32_e32 v7, 0x7e
	v_cmp_ne_u32_e32 vcc, s34, v3
	s_nop 1
	v_cndmask_b32_e32 v3, v7, v6, vcc
; %bb.702:
	s_andn2_saveexec_b64 s[30:31], s[30:31]
; %bb.703:
	s_mov_b32 s34, 0x46800000
	v_add_f32_e64 v3, |v2|, s34
; %bb.704:
	s_or_b64 exec, exec, s[30:31]
                                        ; implicit-def: $vgpr6
.LBB112_705:
	s_andn2_saveexec_b64 s[28:29], s[28:29]
; %bb.706:
	s_mov_b32 s30, 0x7f800000
	v_mov_b32_e32 v3, 0x7e
	v_mov_b32_e32 v7, 0x7f
	v_cmp_lt_u32_e32 vcc, s30, v6
	s_nop 1
	v_cndmask_b32_e32 v3, v3, v7, vcc
; %bb.707:
	s_or_b64 exec, exec, s[28:29]
	v_lshrrev_b32_e32 v2, 24, v2
	s_movk_i32 s28, 0x80
	v_and_or_b32 v2, v2, s28, v3
	global_store_byte v[4:5], v2, off
.LBB112_708:
	s_mov_b64 s[28:29], 0
.LBB112_709:
	s_andn2_b64 vcc, exec, s[28:29]
	s_cbranch_vccnz .LBB112_719
; %bb.710:
	v_cvt_f32_f64_e32 v2, v[0:1]
	v_and_b32_e32 v6, 0x7fffffff, v2
	s_mov_b32 s28, 0x47800000
	v_cmp_gt_u32_e32 vcc, s28, v6
                                        ; implicit-def: $vgpr3
	s_and_saveexec_b64 s[28:29], vcc
	s_xor_b64 s[28:29], exec, s[28:29]
	s_cbranch_execz .LBB112_716
; %bb.711:
	s_mov_b32 s30, 0x387fffff
	v_cmp_lt_u32_e32 vcc, s30, v6
                                        ; implicit-def: $vgpr3
	s_and_saveexec_b64 s[30:31], vcc
	s_xor_b64 s[30:31], exec, s[30:31]
; %bb.712:
	v_bfe_u32 v3, v2, 21, 1
	s_mov_b32 s34, 0x80fffff
	v_add3_u32 v3, v2, v3, s34
	v_lshrrev_b32_e32 v3, 21, v3
; %bb.713:
	s_andn2_saveexec_b64 s[30:31], s[30:31]
; %bb.714:
	s_mov_b32 s34, 0x43000000
	v_add_f32_e64 v3, |v2|, s34
; %bb.715:
	s_or_b64 exec, exec, s[30:31]
                                        ; implicit-def: $vgpr6
.LBB112_716:
	s_andn2_saveexec_b64 s[28:29], s[28:29]
; %bb.717:
	s_mov_b32 s30, 0x7f800000
	v_mov_b32_e32 v3, 0x7c
	v_mov_b32_e32 v7, 0x7f
	v_cmp_lt_u32_e32 vcc, s30, v6
	s_nop 1
	v_cndmask_b32_e32 v3, v3, v7, vcc
; %bb.718:
	s_or_b64 exec, exec, s[28:29]
	v_lshrrev_b32_e32 v2, 24, v2
	s_movk_i32 s28, 0x80
	v_and_or_b32 v2, v2, s28, v3
	global_store_byte v[4:5], v2, off
.LBB112_719:
	s_mov_b64 s[30:31], 0
	s_mov_b64 s[28:29], -1
.LBB112_720:
	s_andn2_b64 vcc, exec, s[30:31]
	s_cbranch_vccnz .LBB112_728
; %bb.721:
	s_cmp_gt_i32 s37, 14
	s_mov_b64 s[30:31], -1
	s_cbranch_scc0 .LBB112_725
; %bb.722:
	s_cmp_eq_u32 s37, 15
	s_mov_b64 s[0:1], -1
	s_cbranch_scc0 .LBB112_724
; %bb.723:
	v_cvt_f32_f64_e32 v2, v[0:1]
	v_bfe_u32 v3, v2, 16, 1
	s_movk_i32 s0, 0x7fff
	v_add3_u32 v3, v2, v3, s0
	v_cmp_o_f32_e32 vcc, v2, v2
	v_mov_b32_e32 v2, 0x7fc0
	s_mov_b64 s[28:29], -1
	v_cndmask_b32_sdwa v2, v2, v3, vcc dst_sel:DWORD dst_unused:UNUSED_PAD src0_sel:DWORD src1_sel:WORD_1
	global_store_short v[4:5], v2, off
	s_mov_b64 s[0:1], 0
.LBB112_724:
	s_mov_b64 s[30:31], 0
.LBB112_725:
	s_and_b64 vcc, exec, s[30:31]
	s_cbranch_vccz .LBB112_728
; %bb.726:
	s_cmp_eq_u32 s37, 11
	s_mov_b64 s[0:1], -1
	s_cbranch_scc0 .LBB112_728
; %bb.727:
	v_cmp_neq_f64_e32 vcc, 0, v[0:1]
	s_mov_b64 s[0:1], 0
	s_mov_b64 s[28:29], -1
	v_cndmask_b32_e64 v2, 0, 1, vcc
	global_store_byte v[4:5], v2, off
.LBB112_728:
	s_mov_b64 s[30:31], 0
.LBB112_729:
	s_and_b64 vcc, exec, s[30:31]
	s_cbranch_vccz .LBB112_768
; %bb.730:
	s_and_b32 s30, 0xffff, s36
	s_cmp_lt_i32 s30, 5
	s_mov_b64 s[28:29], -1
	s_cbranch_scc1 .LBB112_751
; %bb.731:
	s_cmp_lt_i32 s30, 8
	s_cbranch_scc1 .LBB112_741
; %bb.732:
	s_cmp_lt_i32 s30, 9
	s_cbranch_scc1 .LBB112_738
; %bb.733:
	s_cmp_gt_i32 s30, 9
	s_cbranch_scc0 .LBB112_735
; %bb.734:
	v_mov_b32_e32 v2, 0
	v_mov_b32_e32 v3, v2
	s_mov_b64 s[28:29], 0
	global_store_dwordx4 v[4:5], v[0:3], off
.LBB112_735:
	s_andn2_b64 vcc, exec, s[28:29]
	s_cbranch_vccnz .LBB112_737
; %bb.736:
	v_cvt_f32_f64_e32 v2, v[0:1]
	v_mov_b32_e32 v3, 0
	global_store_dwordx2 v[4:5], v[2:3], off
.LBB112_737:
	s_mov_b64 s[28:29], 0
.LBB112_738:
	s_andn2_b64 vcc, exec, s[28:29]
	s_cbranch_vccnz .LBB112_740
; %bb.739:
	s_movk_i32 s28, 0x1ff
	v_and_or_b32 v2, v1, s28, v0
	v_cmp_ne_u32_e32 vcc, 0, v2
	v_lshrrev_b32_e32 v3, 8, v1
	s_movk_i32 s28, 0xffe
	v_cndmask_b32_e64 v2, 0, 1, vcc
	v_bfe_u32 v6, v1, 20, 11
	v_and_or_b32 v2, v3, s28, v2
	v_sub_u32_e32 v7, 0x3f1, v6
	v_or_b32_e32 v3, 0x1000, v2
	v_med3_i32 v7, v7, 0, 13
	v_lshrrev_b32_e32 v8, v7, v3
	v_lshlrev_b32_e32 v7, v7, v8
	v_cmp_ne_u32_e32 vcc, v7, v3
	v_add_u32_e32 v6, 0xfffffc10, v6
	v_lshl_or_b32 v7, v6, 12, v2
	v_cndmask_b32_e64 v3, 0, 1, vcc
	v_or_b32_e32 v3, v8, v3
	v_cmp_gt_i32_e32 vcc, 1, v6
	s_movk_i32 s28, 0x40f
	s_nop 0
	v_cndmask_b32_e32 v3, v7, v3, vcc
	v_and_b32_e32 v7, 7, v3
	v_cmp_lt_i32_e32 vcc, 5, v7
	v_lshrrev_b32_e32 v3, 2, v3
	s_nop 0
	v_cndmask_b32_e64 v8, 0, 1, vcc
	v_cmp_eq_u32_e32 vcc, 3, v7
	s_nop 1
	v_cndmask_b32_e64 v7, 0, 1, vcc
	v_or_b32_e32 v7, v7, v8
	v_add_u32_e32 v3, v3, v7
	v_mov_b32_e32 v7, 0x7c00
	v_cmp_gt_i32_e32 vcc, 31, v6
	v_mov_b32_e32 v8, 0x7e00
	s_nop 0
	v_cndmask_b32_e32 v3, v7, v3, vcc
	v_cmp_ne_u32_e32 vcc, 0, v2
	s_nop 1
	v_cndmask_b32_e32 v2, v7, v8, vcc
	v_cmp_eq_u32_e32 vcc, s28, v6
	s_mov_b32 s28, 0x8000
	s_nop 0
	v_cndmask_b32_e32 v2, v3, v2, vcc
	v_and_b32_sdwa v3, v1, s28 dst_sel:DWORD dst_unused:UNUSED_PAD src0_sel:WORD_1 src1_sel:DWORD
	s_mov_b32 s28, 0xffff
	v_bitop3_b32 v2, v3, s28, v2 bitop3:0xc8
	global_store_dword v[4:5], v2, off
.LBB112_740:
	s_mov_b64 s[28:29], 0
.LBB112_741:
	s_andn2_b64 vcc, exec, s[28:29]
	s_cbranch_vccnz .LBB112_750
; %bb.742:
	s_cmp_lt_i32 s30, 6
	s_mov_b64 s[28:29], -1
	s_cbranch_scc1 .LBB112_748
; %bb.743:
	s_cmp_gt_i32 s30, 6
	s_cbranch_scc0 .LBB112_745
; %bb.744:
	s_mov_b64 s[28:29], 0
	global_store_dwordx2 v[4:5], v[0:1], off
.LBB112_745:
	s_andn2_b64 vcc, exec, s[28:29]
	s_cbranch_vccnz .LBB112_747
; %bb.746:
	v_cvt_f32_f64_e32 v2, v[0:1]
	global_store_dword v[4:5], v2, off
.LBB112_747:
	s_mov_b64 s[28:29], 0
.LBB112_748:
	s_andn2_b64 vcc, exec, s[28:29]
	s_cbranch_vccnz .LBB112_750
; %bb.749:
	s_movk_i32 s28, 0x1ff
	v_and_or_b32 v2, v1, s28, v0
	v_cmp_ne_u32_e32 vcc, 0, v2
	v_lshrrev_b32_e32 v3, 8, v1
	s_movk_i32 s28, 0xffe
	v_cndmask_b32_e64 v2, 0, 1, vcc
	v_bfe_u32 v6, v1, 20, 11
	v_and_or_b32 v2, v3, s28, v2
	v_sub_u32_e32 v7, 0x3f1, v6
	v_or_b32_e32 v3, 0x1000, v2
	v_med3_i32 v7, v7, 0, 13
	v_lshrrev_b32_e32 v8, v7, v3
	v_lshlrev_b32_e32 v7, v7, v8
	v_cmp_ne_u32_e32 vcc, v7, v3
	v_add_u32_e32 v6, 0xfffffc10, v6
	v_lshl_or_b32 v7, v6, 12, v2
	v_cndmask_b32_e64 v3, 0, 1, vcc
	v_or_b32_e32 v3, v8, v3
	v_cmp_gt_i32_e32 vcc, 1, v6
	s_movk_i32 s28, 0x40f
	s_nop 0
	v_cndmask_b32_e32 v3, v7, v3, vcc
	v_and_b32_e32 v7, 7, v3
	v_cmp_lt_i32_e32 vcc, 5, v7
	v_lshrrev_b32_e32 v3, 2, v3
	s_nop 0
	v_cndmask_b32_e64 v8, 0, 1, vcc
	v_cmp_eq_u32_e32 vcc, 3, v7
	s_nop 1
	v_cndmask_b32_e64 v7, 0, 1, vcc
	v_or_b32_e32 v7, v7, v8
	v_add_u32_e32 v3, v3, v7
	v_mov_b32_e32 v7, 0x7c00
	v_cmp_gt_i32_e32 vcc, 31, v6
	v_mov_b32_e32 v8, 0x7e00
	s_nop 0
	v_cndmask_b32_e32 v3, v7, v3, vcc
	v_cmp_ne_u32_e32 vcc, 0, v2
	s_nop 1
	v_cndmask_b32_e32 v2, v7, v8, vcc
	v_cmp_eq_u32_e32 vcc, s28, v6
	s_mov_b32 s28, 0x8000
	s_nop 0
	v_cndmask_b32_e32 v2, v3, v2, vcc
	v_lshrrev_b32_e32 v3, 16, v1
	v_and_or_b32 v2, v3, s28, v2
	global_store_short v[4:5], v2, off
.LBB112_750:
	s_mov_b64 s[28:29], 0
.LBB112_751:
	s_andn2_b64 vcc, exec, s[28:29]
	s_cbranch_vccnz .LBB112_767
; %bb.752:
	s_cmp_lt_i32 s30, 2
	s_mov_b64 s[28:29], -1
	s_cbranch_scc1 .LBB112_762
; %bb.753:
	s_cmp_lt_i32 s30, 3
	s_cbranch_scc1 .LBB112_759
; %bb.754:
	s_cmp_gt_i32 s30, 3
	s_cbranch_scc0 .LBB112_756
; %bb.755:
	v_trunc_f64_e32 v[2:3], v[0:1]
	s_movk_i32 s28, 0xffe0
	v_ldexp_f64 v[6:7], v[2:3], s28
	v_floor_f64_e32 v[6:7], v[6:7]
	v_fmac_f64_e32 v[2:3], 0xc1f00000, v[6:7]
	v_cvt_i32_f64_e32 v9, v[6:7]
	v_cvt_u32_f64_e32 v8, v[2:3]
	s_mov_b64 s[28:29], 0
	global_store_dwordx2 v[4:5], v[8:9], off
.LBB112_756:
	s_andn2_b64 vcc, exec, s[28:29]
	s_cbranch_vccnz .LBB112_758
; %bb.757:
	v_cvt_i32_f64_e32 v2, v[0:1]
	global_store_dword v[4:5], v2, off
.LBB112_758:
	s_mov_b64 s[28:29], 0
.LBB112_759:
	s_andn2_b64 vcc, exec, s[28:29]
	s_cbranch_vccnz .LBB112_761
; %bb.760:
	v_cvt_i32_f64_e32 v2, v[0:1]
	global_store_short v[4:5], v2, off
.LBB112_761:
	s_mov_b64 s[28:29], 0
.LBB112_762:
	s_andn2_b64 vcc, exec, s[28:29]
	s_cbranch_vccnz .LBB112_767
; %bb.763:
	s_cmp_gt_i32 s30, 0
	s_mov_b64 s[28:29], -1
	s_cbranch_scc0 .LBB112_765
; %bb.764:
	v_cvt_i32_f64_e32 v2, v[0:1]
	s_mov_b64 s[28:29], 0
	global_store_byte v[4:5], v2, off
.LBB112_765:
	s_andn2_b64 vcc, exec, s[28:29]
	s_cbranch_vccnz .LBB112_767
; %bb.766:
	v_trunc_f64_e32 v[0:1], v[0:1]
	s_movk_i32 s28, 0xffe0
	v_ldexp_f64 v[2:3], v[0:1], s28
	v_floor_f64_e32 v[2:3], v[2:3]
	v_fmac_f64_e32 v[0:1], 0xc1f00000, v[2:3]
	v_cvt_u32_f64_e32 v0, v[0:1]
	global_store_byte v[4:5], v0, off
.LBB112_767:
	s_mov_b64 s[28:29], -1
.LBB112_768:
	s_andn2_b64 vcc, exec, s[28:29]
	s_cbranch_vccnz .LBB112_770
; %bb.769:
	v_add_u32_e32 v10, 0x80, v10
	s_mov_b64 s[30:31], -1
	s_branch .LBB112_771
.LBB112_770:
	s_mov_b64 s[30:31], 0
                                        ; implicit-def: $vgpr10
.LBB112_771:
	s_andn2_b64 s[28:29], s[20:21], exec
	s_and_b64 s[0:1], s[0:1], exec
	s_or_b64 s[28:29], s[28:29], s[0:1]
	s_andn2_b64 s[0:1], s[18:19], exec
	s_and_b64 s[26:27], s[26:27], exec
	s_or_b64 s[0:1], s[0:1], s[26:27]
	s_orn2_b64 s[34:35], s[30:31], exec
.LBB112_772:
	s_or_b64 exec, exec, s[24:25]
	s_mov_b64 s[30:31], 0
	s_mov_b64 s[26:27], 0
	;; [unrolled: 1-line block ×3, first 2 shown]
                                        ; implicit-def: $vgpr0_vgpr1
                                        ; implicit-def: $vgpr2_vgpr3
	s_and_saveexec_b64 s[24:25], s[34:35]
	s_cbranch_execz .LBB112_857
; %bb.773:
	v_cmp_gt_i32_e32 vcc, s38, v10
	s_mov_b64 s[34:35], 0
	s_mov_b64 s[38:39], s[0:1]
	s_mov_b64 s[40:41], 0
                                        ; implicit-def: $vgpr0_vgpr1
                                        ; implicit-def: $vgpr2_vgpr3
	s_and_saveexec_b64 s[26:27], vcc
	s_cbranch_execz .LBB112_856
; %bb.774:
	v_mul_lo_u32 v0, v10, s9
	v_ashrrev_i32_e32 v1, 31, v0
	s_and_b32 s43, 0xffff, s42
	s_cmp_lt_i32 s43, 11
	v_lshl_add_u64 v[0:1], s[6:7], 0, v[0:1]
	s_cbranch_scc1 .LBB112_781
; %bb.775:
	s_cmp_gt_i32 s43, 25
	s_cbranch_scc0 .LBB112_782
; %bb.776:
	s_cmp_gt_i32 s43, 28
	s_cbranch_scc0 .LBB112_783
	;; [unrolled: 3-line block ×4, first 2 shown]
; %bb.779:
	s_cmp_eq_u32 s43, 46
	s_mov_b64 s[38:39], 0
	s_cbranch_scc0 .LBB112_790
; %bb.780:
	global_load_dword v2, v[0:1], off
	s_mov_b64 s[36:37], -1
	s_waitcnt vmcnt(0)
	v_lshlrev_b32_e32 v2, 16, v2
	v_cvt_f64_f32_e32 v[2:3], v2
	s_branch .LBB112_792
.LBB112_781:
	s_mov_b64 s[38:39], -1
                                        ; implicit-def: $vgpr2_vgpr3
	s_mov_b64 s[30:31], s[0:1]
	s_branch .LBB112_855
.LBB112_782:
	s_mov_b64 s[38:39], -1
	s_mov_b64 s[30:31], s[0:1]
                                        ; implicit-def: $vgpr2_vgpr3
	s_branch .LBB112_823
.LBB112_783:
	s_mov_b64 s[38:39], -1
	s_mov_b64 s[30:31], s[0:1]
                                        ; implicit-def: $vgpr2_vgpr3
	s_branch .LBB112_802
.LBB112_784:
	s_mov_b64 s[38:39], -1
	s_mov_b64 s[30:31], s[0:1]
                                        ; implicit-def: $vgpr2_vgpr3
	s_branch .LBB112_797
.LBB112_785:
	s_andn2_saveexec_b64 s[34:35], s[34:35]
	s_cbranch_execz .LBB112_681
.LBB112_786:
	s_mov_b32 s39, 0x46000000
	v_add_f32_e64 v3, |v2|, s39
	v_and_b32_e32 v3, 0xff, v3
	v_cmp_ne_u32_e32 vcc, 0, v3
	s_andn2_b64 s[30:31], s[30:31], exec
	s_and_b64 s[40:41], vcc, exec
	s_or_b64 s[30:31], s[30:31], s[40:41]
	s_or_b64 exec, exec, s[34:35]
	v_mov_b32_e32 v6, 0
	s_and_saveexec_b64 s[34:35], s[30:31]
	s_cbranch_execnz .LBB112_682
	s_branch .LBB112_683
.LBB112_787:
	s_mov_b64 s[38:39], -1
	s_mov_b64 s[30:31], s[0:1]
	s_branch .LBB112_791
.LBB112_788:
	s_andn2_saveexec_b64 s[34:35], s[34:35]
	s_cbranch_execz .LBB112_694
.LBB112_789:
	s_mov_b32 s39, 0x42800000
	v_add_f32_e64 v3, |v2|, s39
	v_and_b32_e32 v3, 0xff, v3
	v_cmp_ne_u32_e32 vcc, 0, v3
	s_andn2_b64 s[30:31], s[30:31], exec
	s_and_b64 s[40:41], vcc, exec
	s_or_b64 s[30:31], s[30:31], s[40:41]
	s_or_b64 exec, exec, s[34:35]
	v_mov_b32_e32 v6, 0
	s_and_saveexec_b64 s[34:35], s[30:31]
	s_cbranch_execnz .LBB112_695
	s_branch .LBB112_696
.LBB112_790:
	s_mov_b64 s[30:31], -1
.LBB112_791:
                                        ; implicit-def: $vgpr2_vgpr3
.LBB112_792:
	s_and_b64 vcc, exec, s[38:39]
	s_cbranch_vccz .LBB112_796
; %bb.793:
	s_cmp_eq_u32 s43, 44
	s_cbranch_scc0 .LBB112_795
; %bb.794:
	global_load_ubyte v4, v[0:1], off
	s_movk_i32 s36, 0xff
	v_bfrev_b32_e32 v5, 4
	v_mov_b32_e32 v6, 0x7ff80000
	v_bfrev_b32_e32 v7, 28
	s_mov_b64 s[30:31], 0
	s_waitcnt vmcnt(0)
	v_lshlrev_b32_e32 v2, 23, v4
	v_cvt_f64_f32_e32 v[2:3], v2
	v_cmp_ne_u32_e32 vcc, s36, v4
	s_mov_b64 s[36:37], -1
	s_nop 0
	v_cndmask_b32_e32 v2, v5, v2, vcc
	v_cndmask_b32_e32 v3, v6, v3, vcc
	v_cmp_ne_u32_e32 vcc, 0, v4
	s_nop 1
	v_cndmask_b32_e32 v3, v7, v3, vcc
	v_cndmask_b32_e32 v2, 0, v2, vcc
	s_branch .LBB112_796
.LBB112_795:
	s_mov_b64 s[30:31], -1
                                        ; implicit-def: $vgpr2_vgpr3
.LBB112_796:
	s_mov_b64 s[38:39], 0
.LBB112_797:
	s_and_b64 vcc, exec, s[38:39]
	s_cbranch_vccz .LBB112_801
; %bb.798:
	s_cmp_eq_u32 s43, 29
	s_cbranch_scc0 .LBB112_800
; %bb.799:
	global_load_dwordx2 v[2:3], v[0:1], off
	s_mov_b64 s[30:31], 0
	s_mov_b64 s[36:37], -1
	s_mov_b64 s[38:39], 0
	s_waitcnt vmcnt(0)
	v_cvt_f64_u32_e32 v[4:5], v3
	v_cvt_f64_u32_e32 v[2:3], v2
	v_ldexp_f64 v[4:5], v[4:5], 32
	v_add_f64 v[2:3], v[4:5], v[2:3]
	s_branch .LBB112_802
.LBB112_800:
	s_mov_b64 s[30:31], -1
                                        ; implicit-def: $vgpr2_vgpr3
.LBB112_801:
	s_mov_b64 s[38:39], 0
.LBB112_802:
	s_and_b64 vcc, exec, s[38:39]
	s_cbranch_vccz .LBB112_822
; %bb.803:
	s_cmp_lt_i32 s43, 27
	s_cbranch_scc1 .LBB112_806
; %bb.804:
	s_cmp_gt_i32 s43, 27
	s_cbranch_scc0 .LBB112_807
; %bb.805:
	global_load_dword v2, v[0:1], off
	s_mov_b64 s[36:37], 0
	s_waitcnt vmcnt(0)
	v_cvt_f64_u32_e32 v[2:3], v2
	s_branch .LBB112_808
.LBB112_806:
	s_mov_b64 s[36:37], -1
                                        ; implicit-def: $vgpr2_vgpr3
	s_branch .LBB112_811
.LBB112_807:
	s_mov_b64 s[36:37], -1
                                        ; implicit-def: $vgpr2_vgpr3
.LBB112_808:
	s_andn2_b64 vcc, exec, s[36:37]
	s_cbranch_vccnz .LBB112_810
; %bb.809:
	global_load_ushort v2, v[0:1], off
	s_waitcnt vmcnt(0)
	v_cvt_f64_u32_e32 v[2:3], v2
.LBB112_810:
	s_mov_b64 s[36:37], 0
.LBB112_811:
	s_andn2_b64 vcc, exec, s[36:37]
	s_cbranch_vccnz .LBB112_821
; %bb.812:
	global_load_ubyte v4, v[0:1], off
	s_movk_i32 s36, 0x7f
	s_waitcnt vmcnt(0)
	v_cmp_lt_i16_e32 vcc, s36, v4
	s_mov_b64 s[36:37], 0
	s_and_saveexec_b64 s[38:39], vcc
	s_xor_b64 s[38:39], exec, s[38:39]
	s_cbranch_execz .LBB112_816
; %bb.813:
	s_movk_i32 s36, 0x80
	v_cmp_eq_u16_e32 vcc, s36, v4
	s_mov_b64 s[36:37], -1
	s_and_saveexec_b64 s[40:41], vcc
; %bb.814:
	s_xor_b64 s[36:37], exec, -1
; %bb.815:
	s_or_b64 exec, exec, s[40:41]
	s_and_b64 s[36:37], s[36:37], exec
.LBB112_816:
	s_or_saveexec_b64 s[38:39], s[38:39]
	v_bfrev_b32_e32 v2, 4
	v_mov_b32_e32 v3, 0x7ff80000
	s_xor_b64 exec, exec, s[38:39]
; %bb.817:
	v_cmp_ne_u16_e32 vcc, 0, v4
	s_andn2_b64 s[36:37], s[36:37], exec
	s_and_b64 s[40:41], vcc, exec
	v_mov_b64_e32 v[2:3], 0
	s_or_b64 s[36:37], s[36:37], s[40:41]
; %bb.818:
	s_or_b64 exec, exec, s[38:39]
	s_and_saveexec_b64 s[38:39], s[36:37]
	s_cbranch_execz .LBB112_820
; %bb.819:
	v_and_b32_e32 v3, 0xffff, v4
	v_lshlrev_b32_e32 v2, 24, v4
	v_and_b32_e32 v4, 7, v3
	v_ffbh_u32_e32 v6, v4
	v_min_u32_e32 v6, 32, v6
	v_subrev_u32_e32 v7, 28, v6
	v_bfe_u32 v5, v3, 3, 4
	v_lshlrev_b32_e32 v3, v7, v3
	v_sub_u32_e32 v6, 29, v6
	v_and_b32_e32 v3, 7, v3
	v_cmp_eq_u32_e32 vcc, 0, v5
	v_and_b32_e32 v2, 0x80000000, v2
	s_nop 0
	v_cndmask_b32_e32 v5, v5, v6, vcc
	v_cndmask_b32_e32 v3, v4, v3, vcc
	v_mov_b32_e32 v4, 0x3b800000
	v_lshlrev_b32_e32 v3, 20, v3
	v_lshl_add_u32 v4, v5, 23, v4
	v_or3_b32 v2, v2, v4, v3
	v_cvt_f64_f32_e32 v[2:3], v2
.LBB112_820:
	s_or_b64 exec, exec, s[38:39]
.LBB112_821:
	s_mov_b64 s[36:37], -1
.LBB112_822:
	s_mov_b64 s[38:39], 0
.LBB112_823:
	s_and_b64 vcc, exec, s[38:39]
	s_cbranch_vccz .LBB112_854
; %bb.824:
	s_cmp_gt_i32 s43, 22
	s_cbranch_scc0 .LBB112_836
; %bb.825:
	s_cmp_lt_i32 s43, 24
	s_cbranch_scc1 .LBB112_837
; %bb.826:
	s_cmp_gt_i32 s43, 24
	s_cbranch_scc0 .LBB112_838
; %bb.827:
	global_load_ubyte v4, v[0:1], off
	s_movk_i32 s34, 0x7f
	s_waitcnt vmcnt(0)
	v_cmp_lt_i16_e32 vcc, s34, v4
	s_mov_b64 s[34:35], 0
	s_and_saveexec_b64 s[36:37], vcc
	s_xor_b64 s[36:37], exec, s[36:37]
	s_cbranch_execz .LBB112_831
; %bb.828:
	s_movk_i32 s34, 0x80
	v_cmp_eq_u16_e32 vcc, s34, v4
	s_mov_b64 s[34:35], -1
	s_and_saveexec_b64 s[38:39], vcc
; %bb.829:
	s_xor_b64 s[34:35], exec, -1
; %bb.830:
	s_or_b64 exec, exec, s[38:39]
	s_and_b64 s[34:35], s[34:35], exec
.LBB112_831:
	s_or_saveexec_b64 s[36:37], s[36:37]
	v_bfrev_b32_e32 v2, 4
	v_mov_b32_e32 v3, 0x7ff80000
	s_xor_b64 exec, exec, s[36:37]
; %bb.832:
	v_cmp_ne_u16_e32 vcc, 0, v4
	s_andn2_b64 s[34:35], s[34:35], exec
	s_and_b64 s[38:39], vcc, exec
	v_mov_b64_e32 v[2:3], 0
	s_or_b64 s[34:35], s[34:35], s[38:39]
; %bb.833:
	s_or_b64 exec, exec, s[36:37]
	s_and_saveexec_b64 s[36:37], s[34:35]
	s_cbranch_execz .LBB112_835
; %bb.834:
	v_and_b32_e32 v3, 0xffff, v4
	v_lshlrev_b32_e32 v2, 24, v4
	v_and_b32_e32 v4, 3, v3
	v_ffbh_u32_e32 v6, v4
	v_min_u32_e32 v6, 32, v6
	v_subrev_u32_e32 v7, 29, v6
	v_bfe_u32 v5, v3, 2, 5
	v_lshlrev_b32_e32 v3, v7, v3
	v_sub_u32_e32 v6, 30, v6
	v_and_b32_e32 v3, 3, v3
	v_cmp_eq_u32_e32 vcc, 0, v5
	v_and_b32_e32 v2, 0x80000000, v2
	s_nop 0
	v_cndmask_b32_e32 v5, v5, v6, vcc
	v_cndmask_b32_e32 v3, v4, v3, vcc
	v_mov_b32_e32 v4, 0x37800000
	v_lshlrev_b32_e32 v3, 21, v3
	v_lshl_add_u32 v4, v5, 23, v4
	v_or3_b32 v2, v2, v4, v3
	v_cvt_f64_f32_e32 v[2:3], v2
.LBB112_835:
	s_or_b64 exec, exec, s[36:37]
	s_mov_b64 s[34:35], 0
	s_branch .LBB112_839
.LBB112_836:
	s_mov_b64 s[34:35], -1
                                        ; implicit-def: $vgpr2_vgpr3
	s_branch .LBB112_845
.LBB112_837:
	s_mov_b64 s[34:35], -1
                                        ; implicit-def: $vgpr2_vgpr3
	s_branch .LBB112_842
.LBB112_838:
	s_mov_b64 s[34:35], -1
                                        ; implicit-def: $vgpr2_vgpr3
.LBB112_839:
	s_and_b64 vcc, exec, s[34:35]
	s_cbranch_vccz .LBB112_841
; %bb.840:
	global_load_ubyte v2, v[0:1], off
	s_mov_b32 s34, 0x7f800000
	s_waitcnt vmcnt(0)
	v_lshlrev_b32_e32 v2, 24, v2
	v_and_b32_e32 v3, 0x7f000000, v2
	v_ffbh_u32_e32 v4, v3
	v_min_u32_e32 v4, 32, v4
	v_sub_u32_e64 v4, v4, 4 clamp
	v_lshlrev_b32_e32 v6, v4, v3
	v_lshlrev_b32_e32 v4, 23, v4
	v_lshrrev_b32_e32 v6, 4, v6
	v_add_u32_e32 v5, 0x1000000, v3
	v_sub_u32_e32 v4, v6, v4
	v_ashrrev_i32_e32 v5, 8, v5
	v_add_u32_e32 v4, 0x3c000000, v4
	v_and_or_b32 v4, v5, s34, v4
	v_cmp_ne_u32_e32 vcc, 0, v3
	s_brev_b32 s34, 1
	s_nop 0
	v_cndmask_b32_e32 v3, 0, v4, vcc
	v_and_or_b32 v2, v2, s34, v3
	v_cvt_f64_f32_e32 v[2:3], v2
.LBB112_841:
	s_mov_b64 s[34:35], 0
.LBB112_842:
	s_andn2_b64 vcc, exec, s[34:35]
	s_cbranch_vccnz .LBB112_844
; %bb.843:
	global_load_ubyte v2, v[0:1], off
	s_movk_i32 s34, 0x7f00
	s_brev_b32 s35, 16
	s_waitcnt vmcnt(0)
	v_lshlrev_b16_e32 v3, 8, v2
	v_lshlrev_b32_e32 v2, 25, v2
	v_lshrrev_b32_e32 v4, 4, v2
	v_and_or_b32 v5, v3, s34, 0.5
	v_or_b32_e32 v4, 0x70000000, v4
	v_add_f32_e32 v5, -0.5, v5
	v_mul_f32_e32 v4, 0x7800000, v4
	v_cmp_gt_u32_e32 vcc, s35, v2
	v_bfe_i32 v3, v3, 0, 16
	s_brev_b32 s34, 1
	v_cndmask_b32_e32 v2, v4, v5, vcc
	v_and_or_b32 v2, v3, s34, v2
	v_cvt_f64_f32_e32 v[2:3], v2
.LBB112_844:
	s_mov_b64 s[34:35], 0
	s_mov_b64 s[36:37], -1
.LBB112_845:
	s_andn2_b64 vcc, exec, s[34:35]
	s_mov_b64 s[34:35], 0
	s_cbranch_vccnz .LBB112_854
; %bb.846:
	s_cmp_gt_i32 s43, 14
	s_cbranch_scc0 .LBB112_849
; %bb.847:
	s_cmp_eq_u32 s43, 15
	s_cbranch_scc0 .LBB112_850
; %bb.848:
	global_load_ushort v2, v[0:1], off
	s_mov_b64 s[30:31], 0
	s_mov_b64 s[36:37], -1
	s_waitcnt vmcnt(0)
	v_lshlrev_b32_e32 v2, 16, v2
	v_cvt_f64_f32_e32 v[2:3], v2
	s_branch .LBB112_851
.LBB112_849:
	s_mov_b64 s[38:39], -1
                                        ; implicit-def: $vgpr2_vgpr3
	s_branch .LBB112_852
.LBB112_850:
	s_mov_b64 s[30:31], -1
                                        ; implicit-def: $vgpr2_vgpr3
.LBB112_851:
	s_mov_b64 s[38:39], 0
.LBB112_852:
	s_and_b64 vcc, exec, s[38:39]
	s_cbranch_vccz .LBB112_854
; %bb.853:
	s_cmp_lg_u32 s43, 11
	s_cselect_b64 s[38:39], -1, 0
	s_andn2_b64 s[30:31], s[30:31], exec
	s_and_b64 s[38:39], s[38:39], exec
	s_mov_b64 s[34:35], -1
	s_or_b64 s[30:31], s[30:31], s[38:39]
.LBB112_854:
	s_mov_b64 s[38:39], 0
.LBB112_855:
	s_and_b64 s[40:41], s[38:39], exec
	s_andn2_b64 s[38:39], s[0:1], exec
	s_and_b64 s[30:31], s[30:31], exec
	s_and_b64 s[36:37], s[36:37], exec
	;; [unrolled: 1-line block ×3, first 2 shown]
	s_or_b64 s[38:39], s[38:39], s[30:31]
.LBB112_856:
	s_or_b64 exec, exec, s[26:27]
	s_and_b64 s[30:31], s[34:35], exec
	s_andn2_b64 s[0:1], s[0:1], exec
	s_and_b64 s[34:35], s[38:39], exec
	s_and_b64 s[36:37], s[36:37], exec
	;; [unrolled: 1-line block ×3, first 2 shown]
	s_or_b64 s[0:1], s[0:1], s[34:35]
.LBB112_857:
	s_or_b64 exec, exec, s[24:25]
	s_andn2_b64 s[20:21], s[20:21], exec
	s_and_b64 s[24:25], s[28:29], exec
	s_andn2_b64 s[18:19], s[18:19], exec
	s_and_b64 s[0:1], s[0:1], exec
	s_or_b64 s[20:21], s[20:21], s[24:25]
	s_and_b64 s[28:29], s[36:37], exec
	s_and_b64 s[26:27], s[26:27], exec
	;; [unrolled: 1-line block ×3, first 2 shown]
	s_or_b64 s[18:19], s[18:19], s[0:1]
.LBB112_858:
	s_or_b64 exec, exec, s[22:23]
	s_andn2_b64 s[0:1], s[12:13], exec
	s_and_b64 s[12:13], s[20:21], exec
	s_andn2_b64 s[14:15], s[14:15], exec
	s_and_b64 s[18:19], s[18:19], exec
	s_or_b64 s[12:13], s[0:1], s[12:13]
	s_and_b64 s[0:1], s[28:29], exec
	s_and_b64 s[22:23], s[26:27], exec
	;; [unrolled: 1-line block ×3, first 2 shown]
	s_or_b64 s[14:15], s[14:15], s[18:19]
	s_or_b64 exec, exec, s[16:17]
	s_mov_b64 s[16:17], 0
	s_and_saveexec_b64 s[18:19], s[14:15]
	s_cbranch_execz .LBB112_262
.LBB112_859:
	s_mov_b64 s[16:17], exec
	s_andn2_b64 s[20:21], s[20:21], exec
	s_trap 2
	s_or_b64 exec, exec, s[18:19]
	s_and_saveexec_b64 s[14:15], s[20:21]
	s_xor_b64 s[14:15], exec, s[14:15]
	s_cbranch_execnz .LBB112_263
.LBB112_860:
	s_or_b64 exec, exec, s[14:15]
	s_and_saveexec_b64 s[14:15], s[22:23]
	s_cbranch_execz .LBB112_906
.LBB112_861:
	s_sext_i32_i16 s18, s42
	s_cmp_lt_i32 s18, 5
	s_cbranch_scc1 .LBB112_866
; %bb.862:
	s_cmp_lt_i32 s18, 8
	s_cbranch_scc1 .LBB112_867
; %bb.863:
	s_cmp_lt_i32 s18, 9
	s_cbranch_scc1 .LBB112_868
; %bb.864:
	s_cmp_gt_i32 s18, 9
	s_cbranch_scc0 .LBB112_869
; %bb.865:
	global_load_dwordx2 v[2:3], v[0:1], off
	s_mov_b64 s[18:19], 0
	s_branch .LBB112_870
.LBB112_866:
                                        ; implicit-def: $vgpr2_vgpr3
	s_branch .LBB112_887
.LBB112_867:
                                        ; implicit-def: $vgpr2_vgpr3
	s_branch .LBB112_876
.LBB112_868:
	s_mov_b64 s[18:19], -1
                                        ; implicit-def: $vgpr2_vgpr3
	s_branch .LBB112_873
.LBB112_869:
	s_mov_b64 s[18:19], -1
                                        ; implicit-def: $vgpr2_vgpr3
.LBB112_870:
	s_andn2_b64 vcc, exec, s[18:19]
	s_cbranch_vccnz .LBB112_872
; %bb.871:
	global_load_dword v2, v[0:1], off
	s_waitcnt vmcnt(0)
	v_cvt_f64_f32_e32 v[2:3], v2
.LBB112_872:
	s_mov_b64 s[18:19], 0
.LBB112_873:
	s_andn2_b64 vcc, exec, s[18:19]
	s_cbranch_vccnz .LBB112_875
; %bb.874:
	global_load_dword v2, v[0:1], off
	s_waitcnt vmcnt(0)
	v_cvt_f32_f16_e32 v2, v2
	v_cvt_f64_f32_e32 v[2:3], v2
.LBB112_875:
	s_cbranch_execnz .LBB112_886
.LBB112_876:
	s_sext_i32_i16 s18, s42
	s_cmp_lt_i32 s18, 6
	s_cbranch_scc1 .LBB112_879
; %bb.877:
	s_cmp_gt_i32 s18, 6
	s_cbranch_scc0 .LBB112_880
; %bb.878:
	global_load_dwordx2 v[2:3], v[0:1], off
	s_mov_b64 s[18:19], 0
	s_branch .LBB112_881
.LBB112_879:
	s_mov_b64 s[18:19], -1
                                        ; implicit-def: $vgpr2_vgpr3
	s_branch .LBB112_884
.LBB112_880:
	s_mov_b64 s[18:19], -1
                                        ; implicit-def: $vgpr2_vgpr3
.LBB112_881:
	s_andn2_b64 vcc, exec, s[18:19]
	s_cbranch_vccnz .LBB112_883
; %bb.882:
	global_load_dword v2, v[0:1], off
	s_waitcnt vmcnt(0)
	v_cvt_f64_f32_e32 v[2:3], v2
.LBB112_883:
	s_mov_b64 s[18:19], 0
.LBB112_884:
	s_andn2_b64 vcc, exec, s[18:19]
	s_cbranch_vccnz .LBB112_886
; %bb.885:
	global_load_ushort v2, v[0:1], off
	s_waitcnt vmcnt(0)
	v_cvt_f32_f16_e32 v2, v2
	v_cvt_f64_f32_e32 v[2:3], v2
.LBB112_886:
	s_cbranch_execnz .LBB112_905
.LBB112_887:
	s_sext_i32_i16 s18, s42
	s_cmp_lt_i32 s18, 2
	s_cbranch_scc1 .LBB112_891
; %bb.888:
	s_cmp_lt_i32 s18, 3
	s_cbranch_scc1 .LBB112_892
; %bb.889:
	s_cmp_gt_i32 s18, 3
	s_cbranch_scc0 .LBB112_893
; %bb.890:
	global_load_dwordx2 v[2:3], v[0:1], off
	s_mov_b64 s[18:19], 0
	s_waitcnt vmcnt(0)
	v_cvt_f64_i32_e32 v[4:5], v3
	v_cvt_f64_u32_e32 v[2:3], v2
	v_ldexp_f64 v[4:5], v[4:5], 32
	v_add_f64 v[2:3], v[4:5], v[2:3]
	s_branch .LBB112_894
.LBB112_891:
                                        ; implicit-def: $vgpr2_vgpr3
	s_branch .LBB112_900
.LBB112_892:
	s_mov_b64 s[18:19], -1
                                        ; implicit-def: $vgpr2_vgpr3
	s_branch .LBB112_897
.LBB112_893:
	s_mov_b64 s[18:19], -1
                                        ; implicit-def: $vgpr2_vgpr3
.LBB112_894:
	s_andn2_b64 vcc, exec, s[18:19]
	s_cbranch_vccnz .LBB112_896
; %bb.895:
	global_load_dword v2, v[0:1], off
	s_waitcnt vmcnt(0)
	v_cvt_f64_i32_e32 v[2:3], v2
.LBB112_896:
	s_mov_b64 s[18:19], 0
.LBB112_897:
	s_andn2_b64 vcc, exec, s[18:19]
	s_cbranch_vccnz .LBB112_899
; %bb.898:
	global_load_sshort v2, v[0:1], off
	s_waitcnt vmcnt(0)
	v_cvt_f64_i32_e32 v[2:3], v2
.LBB112_899:
	s_cbranch_execnz .LBB112_905
.LBB112_900:
	s_sext_i32_i16 s18, s42
	s_cmp_gt_i32 s18, 0
	s_cbranch_scc0 .LBB112_902
; %bb.901:
	global_load_sbyte v2, v[0:1], off
	s_mov_b64 s[18:19], 0
	s_waitcnt vmcnt(0)
	v_cvt_f64_i32_e32 v[2:3], v2
	s_branch .LBB112_903
.LBB112_902:
	s_mov_b64 s[18:19], -1
                                        ; implicit-def: $vgpr2_vgpr3
.LBB112_903:
	s_andn2_b64 vcc, exec, s[18:19]
	s_cbranch_vccnz .LBB112_905
; %bb.904:
	global_load_ubyte v0, v[0:1], off
	s_waitcnt vmcnt(0)
	v_cvt_f64_u32_e32 v[2:3], v0
.LBB112_905:
	s_or_b64 s[0:1], s[0:1], exec
.LBB112_906:
	s_or_b64 exec, exec, s[14:15]
	s_mov_b64 s[20:21], 0
	s_mov_b64 s[18:19], 0
                                        ; implicit-def: $sgpr26
                                        ; implicit-def: $vgpr4_vgpr5
                                        ; implicit-def: $vgpr0_vgpr1
	s_and_saveexec_b64 s[14:15], s[0:1]
	s_cbranch_execz .LBB112_981
; %bb.907:
	s_mov_b32 s0, 0x652b82fe
	s_mov_b32 s1, 0x3ff71547
	s_waitcnt vmcnt(0)
	v_mul_f64 v[0:1], v[2:3], s[0:1]
	v_rndne_f64_e32 v[0:1], v[0:1]
	s_mov_b32 s1, 0xbfe62e42
	s_mov_b32 s0, 0xfefa39ef
	s_mov_b32 s18, 0x3b39803f
	v_fma_f64 v[4:5], s[0:1], v[0:1], v[2:3]
	s_mov_b32 s19, 0xbc7abc9e
	v_fmac_f64_e32 v[4:5], s[18:19], v[0:1]
	s_mov_b32 s18, 0xa9d67f34
	v_mov_b32_e32 v6, 0x2a1b768b
	v_mov_b32_e32 v7, 0x3e5af4eb
	s_mov_b32 s19, 0x3e21f32e
	v_fmac_f64_e32 v[6:7], s[18:19], v[4:5]
	v_mov_b32_e32 v8, 0xe0ac05b
	v_mov_b32_e32 v9, 0x3e927e50
	v_fmac_f64_e32 v[8:9], v[4:5], v[6:7]
	v_mov_b32_e32 v6, 0x1b889c29
	v_mov_b32_e32 v7, 0x3ec71de0
	;; [unrolled: 3-line block ×8, first 2 shown]
	v_fmac_f64_e32 v[6:7], v[4:5], v[8:9]
	v_fma_f64 v[6:7], v[4:5], v[6:7], 0.5
	v_mul_f64 v[6:7], v[4:5], v[6:7]
	s_mov_b32 s18, 0
	v_fmac_f64_e32 v[4:5], v[4:5], v[6:7]
	s_mov_b32 s19, 0x40900000
	v_cvt_i32_f64_e32 v6, v[0:1]
	v_ldexp_f64 v[6:7], 1.0, v6
	v_mov_b32_e32 v8, 0x7fe00000
	v_cmp_eq_f64_e32 vcc, s[18:19], v[0:1]
	s_mov_b32 s1, 0x40862e42
	s_and_b32 s26, s33, 0xff
	v_cndmask_b32_e32 v1, v7, v8, vcc
	v_cndmask_b32_e64 v0, v6, 0, vcc
	v_add_f64 v[6:7], v[0:1], -1.0
	v_fmac_f64_e32 v[6:7], v[0:1], v[4:5]
	v_add_f64 v[0:1], v[6:7], v[6:7]
	v_cndmask_b32_e32 v0, v6, v0, vcc
	v_cndmask_b32_e32 v1, v7, v1, vcc
	v_cmp_nlt_f64_e32 vcc, s[0:1], v[2:3]
	s_mov_b32 s0, 0
	s_mov_b32 s1, 0xc0428000
	v_mov_b32_e32 v4, 0x7ff00000
	v_cmp_ngt_f64_e64 s[0:1], s[0:1], v[2:3]
	v_mul_lo_u32 v2, v10, s8
	v_cndmask_b32_e32 v1, v4, v1, vcc
	v_mov_b32_e32 v4, 0xbff00000
	s_and_b64 vcc, s[0:1], vcc
	v_ashrrev_i32_e32 v3, 31, v2
	v_cndmask_b32_e64 v1, v4, v1, s[0:1]
	v_cndmask_b32_e32 v0, 0, v0, vcc
	s_cmp_lt_i32 s26, 11
	v_lshl_add_u64 v[4:5], s[4:5], 0, v[2:3]
	s_cbranch_scc1 .LBB112_984
; %bb.908:
	s_and_b32 s27, 0xffff, s26
	s_mov_b64 s[20:21], -1
	s_cmp_gt_i32 s27, 25
	s_mov_b64 s[0:1], s[12:13]
	s_cbranch_scc0 .LBB112_941
; %bb.909:
	s_mov_b64 s[18:19], -1
	s_cmp_gt_i32 s27, 28
	s_mov_b64 s[0:1], s[12:13]
	s_cbranch_scc0 .LBB112_925
; %bb.910:
	s_cmp_gt_i32 s27, 43
	s_mov_b64 s[0:1], s[12:13]
	s_cbranch_scc0 .LBB112_921
; %bb.911:
	;; [unrolled: 4-line block ×3, first 2 shown]
	s_cmp_eq_u32 s27, 46
	s_mov_b64 s[0:1], -1
	s_cbranch_scc0 .LBB112_914
; %bb.913:
	v_cvt_f32_f64_e32 v2, v[0:1]
	v_bfe_u32 v3, v2, 16, 1
	s_movk_i32 s0, 0x7fff
	v_add3_u32 v3, v2, v3, s0
	v_cmp_o_f32_e32 vcc, v2, v2
	v_mov_b32_e32 v2, 0x7fc0
	s_mov_b64 s[0:1], 0
	v_cndmask_b32_sdwa v2, v2, v3, vcc dst_sel:DWORD dst_unused:UNUSED_PAD src0_sel:DWORD src1_sel:WORD_1
	global_store_dword v[4:5], v2, off
.LBB112_914:
	s_mov_b64 s[18:19], 0
.LBB112_915:
	s_and_b64 vcc, exec, s[18:19]
	s_cbranch_vccz .LBB112_920
; %bb.916:
	s_cmp_eq_u32 s27, 44
	s_mov_b64 s[0:1], -1
	s_cbranch_scc0 .LBB112_920
; %bb.917:
	v_cvt_f32_f64_e32 v2, v[0:1]
	v_bfe_u32 v3, v2, 23, 8
	s_movk_i32 s0, 0xff
	v_cmp_ne_u32_e32 vcc, s0, v3
	v_mov_b32_e32 v6, 0xff
	s_and_saveexec_b64 s[18:19], vcc
; %bb.918:
	s_mov_b32 s0, 0x3fffff
	v_lshrrev_b32_e32 v6, 23, v2
	v_and_b32_e32 v7, 0x400000, v2
	v_and_or_b32 v2, v2, s0, v3
	v_cmp_ne_u32_e32 vcc, 0, v7
	v_cmp_ne_u32_e64 s[0:1], 0, v2
	s_and_b64 s[0:1], vcc, s[0:1]
	s_nop 0
	v_cndmask_b32_e64 v2, 0, 1, s[0:1]
	v_add_u32_e32 v6, v6, v2
; %bb.919:
	s_or_b64 exec, exec, s[18:19]
	s_mov_b64 s[0:1], 0
	global_store_byte v[4:5], v6, off
.LBB112_920:
	s_mov_b64 s[18:19], 0
.LBB112_921:
	s_and_b64 vcc, exec, s[18:19]
	s_cbranch_vccz .LBB112_924
; %bb.922:
	s_cmp_eq_u32 s27, 29
	s_mov_b64 s[0:1], -1
	s_cbranch_scc0 .LBB112_924
; %bb.923:
	v_trunc_f64_e32 v[2:3], v[0:1]
	s_movk_i32 s0, 0xffe0
	v_ldexp_f64 v[6:7], v[2:3], s0
	v_floor_f64_e32 v[6:7], v[6:7]
	v_fmac_f64_e32 v[2:3], 0xc1f00000, v[6:7]
	v_cvt_u32_f64_e32 v9, v[6:7]
	v_cvt_u32_f64_e32 v8, v[2:3]
	global_store_dwordx2 v[4:5], v[8:9], off
	s_mov_b64 s[0:1], 0
.LBB112_924:
	s_mov_b64 s[18:19], 0
.LBB112_925:
	s_and_b64 vcc, exec, s[18:19]
	s_cbranch_vccz .LBB112_940
; %bb.926:
	s_cmp_lt_i32 s27, 27
	s_mov_b64 s[18:19], -1
	s_cbranch_scc1 .LBB112_932
; %bb.927:
	s_cmp_gt_i32 s27, 27
	v_cvt_u32_f64_e32 v2, v[0:1]
	s_cbranch_scc0 .LBB112_929
; %bb.928:
	s_mov_b64 s[18:19], 0
	global_store_dword v[4:5], v2, off
.LBB112_929:
	s_andn2_b64 vcc, exec, s[18:19]
	s_cbranch_vccnz .LBB112_931
; %bb.930:
	global_store_short v[4:5], v2, off
.LBB112_931:
	s_mov_b64 s[18:19], 0
.LBB112_932:
	s_andn2_b64 vcc, exec, s[18:19]
	s_cbranch_vccnz .LBB112_940
; %bb.933:
	v_cvt_f32_f64_e32 v2, v[0:1]
	v_and_b32_e32 v3, 0x7fffffff, v2
	s_mov_b32 s18, 0x43800000
	v_cmp_gt_u32_e32 vcc, s18, v3
	v_mov_b32_e32 v6, 0x80
	s_and_saveexec_b64 s[18:19], vcc
	s_cbranch_execz .LBB112_939
; %bb.934:
	s_mov_b32 s20, 0x3bffffff
	v_cmp_lt_u32_e32 vcc, s20, v3
	s_mov_b64 s[20:21], 0
                                        ; implicit-def: $vgpr3
	s_and_saveexec_b64 s[22:23], vcc
	s_xor_b64 s[22:23], exec, s[22:23]
	s_cbranch_execz .LBB112_1041
; %bb.935:
	v_bfe_u32 v3, v2, 20, 1
	s_mov_b32 s24, 0x487ffff
	v_add3_u32 v3, v2, v3, s24
	s_mov_b64 s[20:21], exec
	v_lshrrev_b32_e32 v3, 20, v3
	s_andn2_saveexec_b64 s[22:23], s[22:23]
	s_cbranch_execnz .LBB112_1042
.LBB112_936:
	s_or_b64 exec, exec, s[22:23]
	v_mov_b32_e32 v6, 0
	s_and_saveexec_b64 s[22:23], s[20:21]
.LBB112_937:
	v_lshrrev_b32_e32 v2, 24, v2
	s_movk_i32 s20, 0x80
	v_and_or_b32 v6, v2, s20, v3
.LBB112_938:
	s_or_b64 exec, exec, s[22:23]
.LBB112_939:
	s_or_b64 exec, exec, s[18:19]
	global_store_byte v[4:5], v6, off
.LBB112_940:
	s_mov_b64 s[20:21], 0
.LBB112_941:
	s_mov_b64 s[18:19], 0
	s_and_b64 vcc, exec, s[20:21]
	s_cbranch_vccz .LBB112_985
; %bb.942:
	s_cmp_gt_i32 s27, 22
	s_mov_b64 s[20:21], -1
	s_cbranch_scc0 .LBB112_974
; %bb.943:
	s_cmp_lt_i32 s27, 24
	s_cbranch_scc1 .LBB112_963
; %bb.944:
	s_cmp_gt_i32 s27, 24
	s_cbranch_scc0 .LBB112_952
; %bb.945:
	v_cvt_f32_f64_e32 v2, v[0:1]
	v_and_b32_e32 v3, 0x7fffffff, v2
	s_mov_b32 s20, 0x47800000
	v_cmp_gt_u32_e32 vcc, s20, v3
	v_mov_b32_e32 v6, 0x80
	s_and_saveexec_b64 s[20:21], vcc
	s_cbranch_execz .LBB112_951
; %bb.946:
	s_mov_b32 s22, 0x37ffffff
	v_cmp_lt_u32_e32 vcc, s22, v3
	s_mov_b64 s[22:23], 0
                                        ; implicit-def: $vgpr3
	s_and_saveexec_b64 s[24:25], vcc
	s_xor_b64 s[24:25], exec, s[24:25]
	s_cbranch_execz .LBB112_1166
; %bb.947:
	v_bfe_u32 v3, v2, 21, 1
	s_mov_b32 s28, 0x88fffff
	v_add3_u32 v3, v2, v3, s28
	s_mov_b64 s[22:23], exec
	v_lshrrev_b32_e32 v3, 21, v3
	s_andn2_saveexec_b64 s[24:25], s[24:25]
	s_cbranch_execnz .LBB112_1167
.LBB112_948:
	s_or_b64 exec, exec, s[24:25]
	v_mov_b32_e32 v6, 0
	s_and_saveexec_b64 s[24:25], s[22:23]
.LBB112_949:
	v_lshrrev_b32_e32 v2, 24, v2
	s_movk_i32 s22, 0x80
	v_and_or_b32 v6, v2, s22, v3
.LBB112_950:
	s_or_b64 exec, exec, s[24:25]
.LBB112_951:
	s_or_b64 exec, exec, s[20:21]
	s_mov_b64 s[20:21], 0
	global_store_byte v[4:5], v6, off
.LBB112_952:
	s_and_b64 vcc, exec, s[20:21]
	s_cbranch_vccz .LBB112_962
; %bb.953:
	v_cvt_f32_f64_e32 v2, v[0:1]
	v_and_b32_e32 v6, 0x7fffffff, v2
	s_mov_b32 s20, 0x43f00000
	v_cmp_gt_u32_e32 vcc, s20, v6
                                        ; implicit-def: $vgpr3
	s_and_saveexec_b64 s[20:21], vcc
	s_xor_b64 s[20:21], exec, s[20:21]
	s_cbranch_execz .LBB112_959
; %bb.954:
	s_mov_b32 s22, 0x3c7fffff
	v_cmp_lt_u32_e32 vcc, s22, v6
                                        ; implicit-def: $vgpr3
	s_and_saveexec_b64 s[22:23], vcc
	s_xor_b64 s[22:23], exec, s[22:23]
; %bb.955:
	v_bfe_u32 v3, v2, 20, 1
	s_mov_b32 s24, 0x407ffff
	v_add3_u32 v3, v2, v3, s24
	v_lshrrev_b32_e32 v6, 20, v3
	v_and_b32_e32 v3, 0xff00000, v3
	s_mov_b32 s24, 0x7f00000
	v_mov_b32_e32 v7, 0x7e
	v_cmp_ne_u32_e32 vcc, s24, v3
	s_nop 1
	v_cndmask_b32_e32 v3, v7, v6, vcc
; %bb.956:
	s_andn2_saveexec_b64 s[22:23], s[22:23]
; %bb.957:
	s_mov_b32 s24, 0x46800000
	v_add_f32_e64 v3, |v2|, s24
; %bb.958:
	s_or_b64 exec, exec, s[22:23]
                                        ; implicit-def: $vgpr6
.LBB112_959:
	s_andn2_saveexec_b64 s[20:21], s[20:21]
; %bb.960:
	s_mov_b32 s22, 0x7f800000
	v_mov_b32_e32 v3, 0x7e
	v_mov_b32_e32 v7, 0x7f
	v_cmp_lt_u32_e32 vcc, s22, v6
	s_nop 1
	v_cndmask_b32_e32 v3, v3, v7, vcc
; %bb.961:
	s_or_b64 exec, exec, s[20:21]
	v_lshrrev_b32_e32 v2, 24, v2
	s_movk_i32 s20, 0x80
	v_and_or_b32 v2, v2, s20, v3
	global_store_byte v[4:5], v2, off
.LBB112_962:
	s_mov_b64 s[20:21], 0
.LBB112_963:
	s_andn2_b64 vcc, exec, s[20:21]
	s_cbranch_vccnz .LBB112_973
; %bb.964:
	v_cvt_f32_f64_e32 v2, v[0:1]
	v_and_b32_e32 v6, 0x7fffffff, v2
	s_mov_b32 s20, 0x47800000
	v_cmp_gt_u32_e32 vcc, s20, v6
                                        ; implicit-def: $vgpr3
	s_and_saveexec_b64 s[20:21], vcc
	s_xor_b64 s[20:21], exec, s[20:21]
	s_cbranch_execz .LBB112_970
; %bb.965:
	s_mov_b32 s22, 0x387fffff
	v_cmp_lt_u32_e32 vcc, s22, v6
                                        ; implicit-def: $vgpr3
	s_and_saveexec_b64 s[22:23], vcc
	s_xor_b64 s[22:23], exec, s[22:23]
; %bb.966:
	v_bfe_u32 v3, v2, 21, 1
	s_mov_b32 s24, 0x80fffff
	v_add3_u32 v3, v2, v3, s24
	v_lshrrev_b32_e32 v3, 21, v3
; %bb.967:
	s_andn2_saveexec_b64 s[22:23], s[22:23]
; %bb.968:
	s_mov_b32 s24, 0x43000000
	v_add_f32_e64 v3, |v2|, s24
; %bb.969:
	s_or_b64 exec, exec, s[22:23]
                                        ; implicit-def: $vgpr6
.LBB112_970:
	s_andn2_saveexec_b64 s[20:21], s[20:21]
; %bb.971:
	s_mov_b32 s22, 0x7f800000
	v_mov_b32_e32 v3, 0x7c
	v_mov_b32_e32 v7, 0x7f
	v_cmp_lt_u32_e32 vcc, s22, v6
	s_nop 1
	v_cndmask_b32_e32 v3, v3, v7, vcc
; %bb.972:
	s_or_b64 exec, exec, s[20:21]
	v_lshrrev_b32_e32 v2, 24, v2
	s_movk_i32 s20, 0x80
	v_and_or_b32 v2, v2, s20, v3
	global_store_byte v[4:5], v2, off
.LBB112_973:
	s_mov_b64 s[20:21], 0
.LBB112_974:
	s_andn2_b64 vcc, exec, s[20:21]
	s_mov_b64 s[20:21], 0
	s_cbranch_vccnz .LBB112_986
; %bb.975:
	s_cmp_gt_i32 s27, 14
	s_mov_b64 s[22:23], -1
	s_cbranch_scc0 .LBB112_979
; %bb.976:
	s_cmp_eq_u32 s27, 15
	s_mov_b64 s[0:1], -1
	s_cbranch_scc0 .LBB112_978
; %bb.977:
	v_cvt_f32_f64_e32 v2, v[0:1]
	v_bfe_u32 v3, v2, 16, 1
	s_movk_i32 s0, 0x7fff
	v_add3_u32 v3, v2, v3, s0
	v_cmp_o_f32_e32 vcc, v2, v2
	v_mov_b32_e32 v2, 0x7fc0
	s_mov_b64 s[0:1], 0
	v_cndmask_b32_sdwa v2, v2, v3, vcc dst_sel:DWORD dst_unused:UNUSED_PAD src0_sel:DWORD src1_sel:WORD_1
	global_store_short v[4:5], v2, off
.LBB112_978:
	s_mov_b64 s[22:23], 0
.LBB112_979:
	s_and_b64 vcc, exec, s[22:23]
	s_cbranch_vccz .LBB112_986
; %bb.980:
	s_cmp_lg_u32 s27, 11
	s_cselect_b64 s[22:23], -1, 0
	s_andn2_b64 s[0:1], s[0:1], exec
	s_and_b64 s[22:23], s[22:23], exec
	s_mov_b64 s[20:21], -1
	s_or_b64 s[0:1], s[0:1], s[22:23]
	s_branch .LBB112_986
.LBB112_981:
	s_or_b64 exec, exec, s[14:15]
	s_and_saveexec_b64 s[0:1], s[12:13]
	s_cbranch_execnz .LBB112_987
.LBB112_982:
	s_or_b64 exec, exec, s[0:1]
	s_and_saveexec_b64 s[0:1], s[20:21]
	s_xor_b64 s[0:1], exec, s[0:1]
	s_cbranch_execz .LBB112_988
.LBB112_983:
	v_cmp_neq_f64_e32 vcc, 0, v[0:1]
	s_waitcnt vmcnt(0)
	s_nop 0
	v_cndmask_b32_e64 v2, 0, 1, vcc
	global_store_byte v[4:5], v2, off
	s_or_b64 exec, exec, s[0:1]
	s_and_saveexec_b64 s[0:1], s[18:19]
	s_xor_b64 s[0:1], exec, s[0:1]
	s_cbranch_execz .LBB112_1026
	s_branch .LBB112_989
.LBB112_984:
	s_mov_b64 s[18:19], -1
	s_mov_b64 s[0:1], s[12:13]
	s_branch .LBB112_986
.LBB112_985:
	s_mov_b64 s[20:21], 0
.LBB112_986:
	s_andn2_b64 s[12:13], s[12:13], exec
	s_and_b64 s[0:1], s[0:1], exec
	s_and_b64 s[18:19], s[18:19], exec
	;; [unrolled: 1-line block ×3, first 2 shown]
	s_or_b64 s[12:13], s[12:13], s[0:1]
	s_or_b64 exec, exec, s[14:15]
	s_and_saveexec_b64 s[0:1], s[12:13]
	s_cbranch_execz .LBB112_982
.LBB112_987:
	s_or_b64 s[16:17], s[16:17], exec
	s_andn2_b64 s[20:21], s[20:21], exec
	s_trap 2
	s_or_b64 exec, exec, s[0:1]
	s_and_saveexec_b64 s[0:1], s[20:21]
	s_xor_b64 s[0:1], exec, s[0:1]
	s_cbranch_execnz .LBB112_983
.LBB112_988:
	s_or_b64 exec, exec, s[0:1]
	s_and_saveexec_b64 s[0:1], s[18:19]
	s_xor_b64 s[0:1], exec, s[0:1]
	s_cbranch_execz .LBB112_1026
.LBB112_989:
	s_sext_i32_i16 s14, s26
	s_cmp_lt_i32 s14, 5
	s_mov_b64 s[12:13], -1
	s_cbranch_scc1 .LBB112_1010
; %bb.990:
	s_cmp_lt_i32 s14, 8
	s_cbranch_scc1 .LBB112_1000
; %bb.991:
	s_cmp_lt_i32 s14, 9
	s_cbranch_scc1 .LBB112_997
; %bb.992:
	s_cmp_gt_i32 s14, 9
	s_cbranch_scc0 .LBB112_994
; %bb.993:
	s_waitcnt vmcnt(0)
	v_mov_b32_e32 v2, 0
	v_mov_b32_e32 v3, v2
	s_mov_b64 s[12:13], 0
	global_store_dwordx4 v[4:5], v[0:3], off
.LBB112_994:
	s_andn2_b64 vcc, exec, s[12:13]
	s_cbranch_vccnz .LBB112_996
; %bb.995:
	s_waitcnt vmcnt(0)
	v_cvt_f32_f64_e32 v2, v[0:1]
	v_mov_b32_e32 v3, 0
	global_store_dwordx2 v[4:5], v[2:3], off
.LBB112_996:
	s_mov_b64 s[12:13], 0
.LBB112_997:
	s_andn2_b64 vcc, exec, s[12:13]
	s_cbranch_vccnz .LBB112_999
; %bb.998:
	s_movk_i32 s12, 0x1ff
	s_waitcnt vmcnt(0)
	v_and_or_b32 v2, v1, s12, v0
	v_cmp_ne_u32_e32 vcc, 0, v2
	v_lshrrev_b32_e32 v3, 8, v1
	s_movk_i32 s12, 0xffe
	v_cndmask_b32_e64 v2, 0, 1, vcc
	v_bfe_u32 v6, v1, 20, 11
	v_and_or_b32 v2, v3, s12, v2
	v_sub_u32_e32 v7, 0x3f1, v6
	v_or_b32_e32 v3, 0x1000, v2
	v_med3_i32 v7, v7, 0, 13
	v_lshrrev_b32_e32 v8, v7, v3
	v_lshlrev_b32_e32 v7, v7, v8
	v_cmp_ne_u32_e32 vcc, v7, v3
	v_add_u32_e32 v6, 0xfffffc10, v6
	v_lshl_or_b32 v7, v6, 12, v2
	v_cndmask_b32_e64 v3, 0, 1, vcc
	v_or_b32_e32 v3, v8, v3
	v_cmp_gt_i32_e32 vcc, 1, v6
	s_movk_i32 s12, 0x40f
	s_nop 0
	v_cndmask_b32_e32 v3, v7, v3, vcc
	v_and_b32_e32 v7, 7, v3
	v_cmp_lt_i32_e32 vcc, 5, v7
	v_lshrrev_b32_e32 v3, 2, v3
	s_nop 0
	v_cndmask_b32_e64 v8, 0, 1, vcc
	v_cmp_eq_u32_e32 vcc, 3, v7
	s_nop 1
	v_cndmask_b32_e64 v7, 0, 1, vcc
	v_or_b32_e32 v7, v7, v8
	v_add_u32_e32 v3, v3, v7
	v_mov_b32_e32 v7, 0x7c00
	v_cmp_gt_i32_e32 vcc, 31, v6
	v_mov_b32_e32 v8, 0x7e00
	s_nop 0
	v_cndmask_b32_e32 v3, v7, v3, vcc
	v_cmp_ne_u32_e32 vcc, 0, v2
	s_nop 1
	v_cndmask_b32_e32 v2, v7, v8, vcc
	v_cmp_eq_u32_e32 vcc, s12, v6
	s_mov_b32 s12, 0x8000
	s_nop 0
	v_cndmask_b32_e32 v2, v3, v2, vcc
	v_and_b32_sdwa v3, v1, s12 dst_sel:DWORD dst_unused:UNUSED_PAD src0_sel:WORD_1 src1_sel:DWORD
	s_mov_b32 s12, 0xffff
	v_bitop3_b32 v2, v3, s12, v2 bitop3:0xc8
	global_store_dword v[4:5], v2, off
.LBB112_999:
	s_mov_b64 s[12:13], 0
.LBB112_1000:
	s_andn2_b64 vcc, exec, s[12:13]
	s_cbranch_vccnz .LBB112_1009
; %bb.1001:
	s_sext_i32_i16 s14, s26
	s_cmp_lt_i32 s14, 6
	s_mov_b64 s[12:13], -1
	s_cbranch_scc1 .LBB112_1007
; %bb.1002:
	s_cmp_gt_i32 s14, 6
	s_cbranch_scc0 .LBB112_1004
; %bb.1003:
	s_mov_b64 s[12:13], 0
	global_store_dwordx2 v[4:5], v[0:1], off
.LBB112_1004:
	s_andn2_b64 vcc, exec, s[12:13]
	s_cbranch_vccnz .LBB112_1006
; %bb.1005:
	s_waitcnt vmcnt(0)
	v_cvt_f32_f64_e32 v2, v[0:1]
	global_store_dword v[4:5], v2, off
.LBB112_1006:
	s_mov_b64 s[12:13], 0
.LBB112_1007:
	s_andn2_b64 vcc, exec, s[12:13]
	s_cbranch_vccnz .LBB112_1009
; %bb.1008:
	s_movk_i32 s12, 0x1ff
	s_waitcnt vmcnt(0)
	v_and_or_b32 v2, v1, s12, v0
	v_cmp_ne_u32_e32 vcc, 0, v2
	v_lshrrev_b32_e32 v3, 8, v1
	s_movk_i32 s12, 0xffe
	v_cndmask_b32_e64 v2, 0, 1, vcc
	v_bfe_u32 v6, v1, 20, 11
	v_and_or_b32 v2, v3, s12, v2
	v_sub_u32_e32 v7, 0x3f1, v6
	v_or_b32_e32 v3, 0x1000, v2
	v_med3_i32 v7, v7, 0, 13
	v_lshrrev_b32_e32 v8, v7, v3
	v_lshlrev_b32_e32 v7, v7, v8
	v_cmp_ne_u32_e32 vcc, v7, v3
	v_add_u32_e32 v6, 0xfffffc10, v6
	v_lshl_or_b32 v7, v6, 12, v2
	v_cndmask_b32_e64 v3, 0, 1, vcc
	v_or_b32_e32 v3, v8, v3
	v_cmp_gt_i32_e32 vcc, 1, v6
	s_movk_i32 s12, 0x40f
	s_nop 0
	v_cndmask_b32_e32 v3, v7, v3, vcc
	v_and_b32_e32 v7, 7, v3
	v_cmp_lt_i32_e32 vcc, 5, v7
	v_lshrrev_b32_e32 v3, 2, v3
	s_nop 0
	v_cndmask_b32_e64 v8, 0, 1, vcc
	v_cmp_eq_u32_e32 vcc, 3, v7
	s_nop 1
	v_cndmask_b32_e64 v7, 0, 1, vcc
	v_or_b32_e32 v7, v7, v8
	v_add_u32_e32 v3, v3, v7
	v_mov_b32_e32 v7, 0x7c00
	v_cmp_gt_i32_e32 vcc, 31, v6
	v_mov_b32_e32 v8, 0x7e00
	s_nop 0
	v_cndmask_b32_e32 v3, v7, v3, vcc
	v_cmp_ne_u32_e32 vcc, 0, v2
	s_nop 1
	v_cndmask_b32_e32 v2, v7, v8, vcc
	v_cmp_eq_u32_e32 vcc, s12, v6
	s_mov_b32 s12, 0x8000
	s_nop 0
	v_cndmask_b32_e32 v2, v3, v2, vcc
	v_lshrrev_b32_e32 v3, 16, v1
	v_and_or_b32 v2, v3, s12, v2
	global_store_short v[4:5], v2, off
.LBB112_1009:
	s_mov_b64 s[12:13], 0
.LBB112_1010:
	s_andn2_b64 vcc, exec, s[12:13]
	s_cbranch_vccnz .LBB112_1026
; %bb.1011:
	s_sext_i32_i16 s14, s26
	s_cmp_lt_i32 s14, 2
	s_mov_b64 s[12:13], -1
	s_cbranch_scc1 .LBB112_1021
; %bb.1012:
	s_cmp_lt_i32 s14, 3
	s_cbranch_scc1 .LBB112_1018
; %bb.1013:
	s_cmp_gt_i32 s14, 3
	s_cbranch_scc0 .LBB112_1015
; %bb.1014:
	s_waitcnt vmcnt(0)
	v_trunc_f64_e32 v[2:3], v[0:1]
	s_movk_i32 s12, 0xffe0
	v_ldexp_f64 v[6:7], v[2:3], s12
	v_floor_f64_e32 v[6:7], v[6:7]
	v_fmac_f64_e32 v[2:3], 0xc1f00000, v[6:7]
	v_cvt_i32_f64_e32 v9, v[6:7]
	v_cvt_u32_f64_e32 v8, v[2:3]
	s_mov_b64 s[12:13], 0
	global_store_dwordx2 v[4:5], v[8:9], off
.LBB112_1015:
	s_andn2_b64 vcc, exec, s[12:13]
	s_cbranch_vccnz .LBB112_1017
; %bb.1016:
	s_waitcnt vmcnt(0)
	v_cvt_i32_f64_e32 v2, v[0:1]
	global_store_dword v[4:5], v2, off
.LBB112_1017:
	s_mov_b64 s[12:13], 0
.LBB112_1018:
	s_andn2_b64 vcc, exec, s[12:13]
	s_cbranch_vccnz .LBB112_1020
; %bb.1019:
	s_waitcnt vmcnt(0)
	v_cvt_i32_f64_e32 v2, v[0:1]
	global_store_short v[4:5], v2, off
.LBB112_1020:
	s_mov_b64 s[12:13], 0
.LBB112_1021:
	s_andn2_b64 vcc, exec, s[12:13]
	s_cbranch_vccnz .LBB112_1026
; %bb.1022:
	s_sext_i32_i16 s12, s26
	s_cmp_gt_i32 s12, 0
	s_mov_b64 s[12:13], -1
	s_cbranch_scc0 .LBB112_1024
; %bb.1023:
	s_waitcnt vmcnt(0)
	v_cvt_i32_f64_e32 v2, v[0:1]
	s_mov_b64 s[12:13], 0
	global_store_byte v[4:5], v2, off
.LBB112_1024:
	s_andn2_b64 vcc, exec, s[12:13]
	s_cbranch_vccnz .LBB112_1026
; %bb.1025:
	v_trunc_f64_e32 v[0:1], v[0:1]
	s_movk_i32 s12, 0xffe0
	s_waitcnt vmcnt(0)
	v_ldexp_f64 v[2:3], v[0:1], s12
	v_floor_f64_e32 v[2:3], v[2:3]
	v_fmac_f64_e32 v[0:1], 0xc1f00000, v[2:3]
	v_cvt_u32_f64_e32 v0, v[0:1]
	global_store_byte v[4:5], v0, off
.LBB112_1026:
	s_or_b64 exec, exec, s[0:1]
	s_and_b64 s[12:13], s[16:17], exec
                                        ; implicit-def: $vgpr10
.LBB112_1027:
	s_or_saveexec_b64 s[2:3], s[2:3]
	s_mov_b64 s[0:1], 0
                                        ; implicit-def: $sgpr20
                                        ; implicit-def: $vgpr4_vgpr5
                                        ; implicit-def: $vgpr0_vgpr1
	s_xor_b64 exec, exec, s[2:3]
	s_cbranch_execz .LBB112_1975
; %bb.1028:
	s_waitcnt vmcnt(0)
	v_mul_lo_u32 v2, s9, v10
	v_ashrrev_i32_e32 v3, 31, v2
	s_and_b32 s22, 0xffff, s42
	s_cmp_lt_i32 s22, 11
	v_lshl_add_u64 v[4:5], s[6:7], 0, v[2:3]
	s_cbranch_scc1 .LBB112_1035
; %bb.1029:
	s_cmp_gt_i32 s22, 25
	s_cbranch_scc0 .LBB112_1037
; %bb.1030:
	s_cmp_gt_i32 s22, 28
	s_cbranch_scc0 .LBB112_1038
	;; [unrolled: 3-line block ×4, first 2 shown]
; %bb.1033:
	s_cmp_eq_u32 s22, 46
	s_mov_b64 s[14:15], 0
	s_cbranch_scc0 .LBB112_1043
; %bb.1034:
	global_load_dword v0, v[4:5], off
	s_mov_b64 s[16:17], -1
	s_waitcnt vmcnt(0)
	v_lshlrev_b32_e32 v0, 16, v0
	v_cvt_f64_f32_e32 v[0:1], v0
	s_branch .LBB112_1044
.LBB112_1035:
	s_mov_b64 s[16:17], 0
                                        ; implicit-def: $vgpr0_vgpr1
	s_mov_b64 s[14:15], s[12:13]
	s_cbranch_execnz .LBB112_1107
.LBB112_1036:
	s_andn2_b64 vcc, exec, s[16:17]
	s_cbranch_vccz .LBB112_1152
	s_branch .LBB112_1973
.LBB112_1037:
	s_mov_b64 s[16:17], 0
                                        ; implicit-def: $vgpr0_vgpr1
	s_cbranch_execnz .LBB112_1074
	s_branch .LBB112_1103
.LBB112_1038:
	s_mov_b64 s[14:15], -1
	s_mov_b64 s[16:17], 0
                                        ; implicit-def: $vgpr0_vgpr1
	s_branch .LBB112_1053
.LBB112_1039:
	s_mov_b64 s[16:17], 0
                                        ; implicit-def: $vgpr0_vgpr1
	s_cbranch_execnz .LBB112_1049
	s_branch .LBB112_1052
.LBB112_1040:
	s_mov_b64 s[14:15], -1
	s_mov_b64 s[16:17], 0
                                        ; implicit-def: $vgpr0_vgpr1
	s_branch .LBB112_1044
.LBB112_1041:
	s_andn2_saveexec_b64 s[22:23], s[22:23]
	s_cbranch_execz .LBB112_936
.LBB112_1042:
	s_mov_b32 s24, 0x46000000
	v_add_f32_e64 v3, |v2|, s24
	v_and_b32_e32 v3, 0xff, v3
	v_cmp_ne_u32_e32 vcc, 0, v3
	s_andn2_b64 s[20:21], s[20:21], exec
	s_and_b64 s[24:25], vcc, exec
	s_or_b64 s[20:21], s[20:21], s[24:25]
	s_or_b64 exec, exec, s[22:23]
	v_mov_b32_e32 v6, 0
	s_and_saveexec_b64 s[22:23], s[20:21]
	s_cbranch_execnz .LBB112_937
	s_branch .LBB112_938
.LBB112_1043:
	s_mov_b64 s[0:1], -1
                                        ; implicit-def: $vgpr0_vgpr1
	s_mov_b64 s[16:17], 0
.LBB112_1044:
	s_and_b64 vcc, exec, s[14:15]
	s_cbranch_vccz .LBB112_1047
; %bb.1045:
	s_cmp_eq_u32 s22, 44
	s_cbranch_scc0 .LBB112_1048
; %bb.1046:
	global_load_ubyte v3, v[4:5], off
	s_movk_i32 s14, 0xff
	v_bfrev_b32_e32 v6, 4
	v_mov_b32_e32 v7, 0x7ff80000
	v_bfrev_b32_e32 v8, 28
	s_mov_b64 s[0:1], 0
	s_mov_b64 s[16:17], -1
	s_waitcnt vmcnt(0)
	v_lshlrev_b32_e32 v0, 23, v3
	v_cvt_f64_f32_e32 v[0:1], v0
	v_cmp_ne_u32_e32 vcc, s14, v3
	s_nop 1
	v_cndmask_b32_e32 v0, v6, v0, vcc
	v_cndmask_b32_e32 v1, v7, v1, vcc
	v_cmp_ne_u32_e32 vcc, 0, v3
	s_nop 1
	v_cndmask_b32_e32 v1, v8, v1, vcc
	v_cndmask_b32_e32 v0, 0, v0, vcc
.LBB112_1047:
	s_branch .LBB112_1052
.LBB112_1048:
	s_mov_b64 s[0:1], -1
                                        ; implicit-def: $vgpr0_vgpr1
	s_branch .LBB112_1052
.LBB112_1049:
	s_cmp_eq_u32 s22, 29
	s_cbranch_scc0 .LBB112_1051
; %bb.1050:
	global_load_dwordx2 v[0:1], v[4:5], off
	s_mov_b64 s[0:1], 0
	s_mov_b64 s[16:17], -1
	s_mov_b64 s[14:15], 0
	s_waitcnt vmcnt(0)
	v_cvt_f64_u32_e32 v[6:7], v1
	v_cvt_f64_u32_e32 v[0:1], v0
	v_ldexp_f64 v[6:7], v[6:7], 32
	v_add_f64 v[0:1], v[6:7], v[0:1]
	s_branch .LBB112_1053
.LBB112_1051:
	s_mov_b64 s[0:1], -1
                                        ; implicit-def: $vgpr0_vgpr1
.LBB112_1052:
	s_mov_b64 s[14:15], 0
.LBB112_1053:
	s_and_b64 vcc, exec, s[14:15]
	s_cbranch_vccz .LBB112_1073
; %bb.1054:
	s_cmp_lt_i32 s22, 27
	s_cbranch_scc1 .LBB112_1057
; %bb.1055:
	s_cmp_gt_i32 s22, 27
	s_cbranch_scc0 .LBB112_1058
; %bb.1056:
	global_load_dword v0, v[4:5], off
	s_mov_b64 s[14:15], 0
	s_waitcnt vmcnt(0)
	v_cvt_f64_u32_e32 v[0:1], v0
	s_branch .LBB112_1059
.LBB112_1057:
	s_mov_b64 s[14:15], -1
                                        ; implicit-def: $vgpr0_vgpr1
	s_branch .LBB112_1062
.LBB112_1058:
	s_mov_b64 s[14:15], -1
                                        ; implicit-def: $vgpr0_vgpr1
.LBB112_1059:
	s_andn2_b64 vcc, exec, s[14:15]
	s_cbranch_vccnz .LBB112_1061
; %bb.1060:
	global_load_ushort v0, v[4:5], off
	s_waitcnt vmcnt(0)
	v_cvt_f64_u32_e32 v[0:1], v0
.LBB112_1061:
	s_mov_b64 s[14:15], 0
.LBB112_1062:
	s_andn2_b64 vcc, exec, s[14:15]
	s_cbranch_vccnz .LBB112_1072
; %bb.1063:
	global_load_ubyte v3, v[4:5], off
	s_movk_i32 s14, 0x7f
	s_waitcnt vmcnt(0)
	v_cmp_lt_i16_e32 vcc, s14, v3
	s_mov_b64 s[14:15], 0
	s_and_saveexec_b64 s[16:17], vcc
	s_xor_b64 s[16:17], exec, s[16:17]
	s_cbranch_execz .LBB112_1067
; %bb.1064:
	s_movk_i32 s14, 0x80
	v_cmp_eq_u16_e32 vcc, s14, v3
	s_mov_b64 s[14:15], -1
	s_and_saveexec_b64 s[18:19], vcc
; %bb.1065:
	s_xor_b64 s[14:15], exec, -1
; %bb.1066:
	s_or_b64 exec, exec, s[18:19]
	s_and_b64 s[14:15], s[14:15], exec
.LBB112_1067:
	s_or_saveexec_b64 s[16:17], s[16:17]
	v_bfrev_b32_e32 v0, 4
	v_mov_b32_e32 v1, 0x7ff80000
	s_xor_b64 exec, exec, s[16:17]
; %bb.1068:
	v_cmp_ne_u16_e32 vcc, 0, v3
	s_andn2_b64 s[14:15], s[14:15], exec
	s_and_b64 s[18:19], vcc, exec
	v_mov_b64_e32 v[0:1], 0
	s_or_b64 s[14:15], s[14:15], s[18:19]
; %bb.1069:
	s_or_b64 exec, exec, s[16:17]
	s_and_saveexec_b64 s[16:17], s[14:15]
	s_cbranch_execz .LBB112_1071
; %bb.1070:
	v_and_b32_e32 v1, 0xffff, v3
	v_lshlrev_b32_e32 v0, 24, v3
	v_and_b32_e32 v3, 7, v1
	v_ffbh_u32_e32 v7, v3
	v_min_u32_e32 v7, 32, v7
	v_subrev_u32_e32 v8, 28, v7
	v_bfe_u32 v6, v1, 3, 4
	v_lshlrev_b32_e32 v1, v8, v1
	v_sub_u32_e32 v7, 29, v7
	v_and_b32_e32 v1, 7, v1
	v_cmp_eq_u32_e32 vcc, 0, v6
	v_and_b32_e32 v0, 0x80000000, v0
	s_nop 0
	v_cndmask_b32_e32 v6, v6, v7, vcc
	v_cndmask_b32_e32 v1, v3, v1, vcc
	v_mov_b32_e32 v3, 0x3b800000
	v_lshlrev_b32_e32 v1, 20, v1
	v_lshl_add_u32 v3, v6, 23, v3
	v_or3_b32 v0, v0, v3, v1
	v_cvt_f64_f32_e32 v[0:1], v0
.LBB112_1071:
	s_or_b64 exec, exec, s[16:17]
.LBB112_1072:
	s_mov_b64 s[16:17], -1
.LBB112_1073:
	s_branch .LBB112_1103
.LBB112_1074:
	s_cmp_gt_i32 s22, 22
	s_cbranch_scc0 .LBB112_1086
; %bb.1075:
	s_cmp_lt_i32 s22, 24
	s_cbranch_scc1 .LBB112_1087
; %bb.1076:
	s_cmp_gt_i32 s22, 24
	s_cbranch_scc0 .LBB112_1088
; %bb.1077:
	global_load_ubyte v3, v[4:5], off
	s_movk_i32 s10, 0x7f
	s_waitcnt vmcnt(0)
	v_cmp_lt_i16_e32 vcc, s10, v3
	s_mov_b64 s[10:11], 0
	s_and_saveexec_b64 s[14:15], vcc
	s_xor_b64 s[14:15], exec, s[14:15]
	s_cbranch_execz .LBB112_1081
; %bb.1078:
	s_movk_i32 s10, 0x80
	v_cmp_eq_u16_e32 vcc, s10, v3
	s_mov_b64 s[10:11], -1
	s_and_saveexec_b64 s[16:17], vcc
; %bb.1079:
	s_xor_b64 s[10:11], exec, -1
; %bb.1080:
	s_or_b64 exec, exec, s[16:17]
	s_and_b64 s[10:11], s[10:11], exec
.LBB112_1081:
	s_or_saveexec_b64 s[14:15], s[14:15]
	v_bfrev_b32_e32 v0, 4
	v_mov_b32_e32 v1, 0x7ff80000
	s_xor_b64 exec, exec, s[14:15]
; %bb.1082:
	v_cmp_ne_u16_e32 vcc, 0, v3
	s_andn2_b64 s[10:11], s[10:11], exec
	s_and_b64 s[16:17], vcc, exec
	v_mov_b64_e32 v[0:1], 0
	s_or_b64 s[10:11], s[10:11], s[16:17]
; %bb.1083:
	s_or_b64 exec, exec, s[14:15]
	s_and_saveexec_b64 s[14:15], s[10:11]
	s_cbranch_execz .LBB112_1085
; %bb.1084:
	v_and_b32_e32 v1, 0xffff, v3
	v_lshlrev_b32_e32 v0, 24, v3
	v_and_b32_e32 v3, 3, v1
	v_ffbh_u32_e32 v7, v3
	v_min_u32_e32 v7, 32, v7
	v_subrev_u32_e32 v8, 29, v7
	v_bfe_u32 v6, v1, 2, 5
	v_lshlrev_b32_e32 v1, v8, v1
	v_sub_u32_e32 v7, 30, v7
	v_and_b32_e32 v1, 3, v1
	v_cmp_eq_u32_e32 vcc, 0, v6
	v_and_b32_e32 v0, 0x80000000, v0
	s_nop 0
	v_cndmask_b32_e32 v6, v6, v7, vcc
	v_cndmask_b32_e32 v1, v3, v1, vcc
	v_mov_b32_e32 v3, 0x37800000
	v_lshlrev_b32_e32 v1, 21, v1
	v_lshl_add_u32 v3, v6, 23, v3
	v_or3_b32 v0, v0, v3, v1
	v_cvt_f64_f32_e32 v[0:1], v0
.LBB112_1085:
	s_or_b64 exec, exec, s[14:15]
	s_mov_b64 s[10:11], 0
	s_branch .LBB112_1089
.LBB112_1086:
                                        ; implicit-def: $vgpr0_vgpr1
	s_mov_b64 s[10:11], 0
	s_branch .LBB112_1095
.LBB112_1087:
	s_mov_b64 s[10:11], -1
                                        ; implicit-def: $vgpr0_vgpr1
	s_branch .LBB112_1092
.LBB112_1088:
	s_mov_b64 s[10:11], -1
                                        ; implicit-def: $vgpr0_vgpr1
.LBB112_1089:
	s_and_b64 vcc, exec, s[10:11]
	s_cbranch_vccz .LBB112_1091
; %bb.1090:
	global_load_ubyte v0, v[4:5], off
	s_mov_b32 s10, 0x7f800000
	s_waitcnt vmcnt(0)
	v_lshlrev_b32_e32 v0, 24, v0
	v_and_b32_e32 v1, 0x7f000000, v0
	v_ffbh_u32_e32 v3, v1
	v_min_u32_e32 v3, 32, v3
	v_sub_u32_e64 v3, v3, 4 clamp
	v_lshlrev_b32_e32 v7, v3, v1
	v_lshlrev_b32_e32 v3, 23, v3
	v_lshrrev_b32_e32 v7, 4, v7
	v_add_u32_e32 v6, 0x1000000, v1
	v_sub_u32_e32 v3, v7, v3
	v_ashrrev_i32_e32 v6, 8, v6
	v_add_u32_e32 v3, 0x3c000000, v3
	v_and_or_b32 v3, v6, s10, v3
	v_cmp_ne_u32_e32 vcc, 0, v1
	s_brev_b32 s10, 1
	s_nop 0
	v_cndmask_b32_e32 v1, 0, v3, vcc
	v_and_or_b32 v0, v0, s10, v1
	v_cvt_f64_f32_e32 v[0:1], v0
.LBB112_1091:
	s_mov_b64 s[10:11], 0
.LBB112_1092:
	s_andn2_b64 vcc, exec, s[10:11]
	s_cbranch_vccnz .LBB112_1094
; %bb.1093:
	global_load_ubyte v0, v[4:5], off
	s_movk_i32 s10, 0x7f00
	s_brev_b32 s11, 16
	s_waitcnt vmcnt(0)
	v_lshlrev_b16_e32 v1, 8, v0
	v_lshlrev_b32_e32 v0, 25, v0
	v_lshrrev_b32_e32 v3, 4, v0
	v_and_or_b32 v6, v1, s10, 0.5
	v_or_b32_e32 v3, 0x70000000, v3
	v_add_f32_e32 v6, -0.5, v6
	v_mul_f32_e32 v3, 0x7800000, v3
	v_cmp_gt_u32_e32 vcc, s11, v0
	v_bfe_i32 v1, v1, 0, 16
	s_brev_b32 s10, 1
	v_cndmask_b32_e32 v0, v3, v6, vcc
	v_and_or_b32 v0, v1, s10, v0
	v_cvt_f64_f32_e32 v[0:1], v0
.LBB112_1094:
	s_mov_b64 s[16:17], -1
	s_mov_b64 s[10:11], 0
	s_cbranch_execnz .LBB112_1103
.LBB112_1095:
	s_cmp_gt_i32 s22, 14
	s_cbranch_scc0 .LBB112_1098
; %bb.1096:
	s_cmp_eq_u32 s22, 15
	s_cbranch_scc0 .LBB112_1099
; %bb.1097:
	global_load_ushort v0, v[4:5], off
	s_mov_b64 s[0:1], 0
	s_mov_b64 s[16:17], -1
	s_waitcnt vmcnt(0)
	v_lshlrev_b32_e32 v0, 16, v0
	v_cvt_f64_f32_e32 v[0:1], v0
	s_branch .LBB112_1100
.LBB112_1098:
	s_mov_b64 s[14:15], -1
                                        ; implicit-def: $vgpr0_vgpr1
	s_branch .LBB112_1101
.LBB112_1099:
	s_mov_b64 s[0:1], -1
                                        ; implicit-def: $vgpr0_vgpr1
.LBB112_1100:
	s_mov_b64 s[14:15], 0
.LBB112_1101:
	s_and_b64 vcc, exec, s[14:15]
	s_cbranch_vccz .LBB112_1103
; %bb.1102:
	s_cmp_lg_u32 s22, 11
	s_mov_b64 s[10:11], -1
	s_cselect_b64 s[0:1], -1, 0
.LBB112_1103:
	s_and_b64 vcc, exec, s[0:1]
	s_mov_b64 s[14:15], s[12:13]
	s_cbranch_vccnz .LBB112_1164
; %bb.1104:
	s_andn2_b64 vcc, exec, s[10:11]
	s_cbranch_vccnz .LBB112_1106
.LBB112_1105:
	global_load_ubyte v1, v[4:5], off
	v_mov_b32_e32 v3, 0x3ff00000
	v_mov_b32_e32 v0, 0
	s_mov_b64 s[16:17], -1
	s_waitcnt vmcnt(0)
	v_cmp_ne_u16_e32 vcc, 0, v1
	s_nop 1
	v_cndmask_b32_e32 v1, 0, v3, vcc
.LBB112_1106:
	s_branch .LBB112_1036
.LBB112_1107:
	s_cmp_lt_i32 s22, 5
	s_cbranch_scc1 .LBB112_1112
; %bb.1108:
	s_cmp_lt_i32 s22, 8
	s_cbranch_scc1 .LBB112_1113
; %bb.1109:
	;; [unrolled: 3-line block ×3, first 2 shown]
	s_cmp_gt_i32 s22, 9
	s_cbranch_scc0 .LBB112_1115
; %bb.1111:
	global_load_dwordx2 v[0:1], v[4:5], off
	s_mov_b64 s[0:1], 0
	s_branch .LBB112_1116
.LBB112_1112:
                                        ; implicit-def: $vgpr0_vgpr1
	s_branch .LBB112_1133
.LBB112_1113:
                                        ; implicit-def: $vgpr0_vgpr1
	s_branch .LBB112_1122
.LBB112_1114:
	s_mov_b64 s[0:1], -1
                                        ; implicit-def: $vgpr0_vgpr1
	s_branch .LBB112_1119
.LBB112_1115:
	s_mov_b64 s[0:1], -1
                                        ; implicit-def: $vgpr0_vgpr1
.LBB112_1116:
	s_andn2_b64 vcc, exec, s[0:1]
	s_cbranch_vccnz .LBB112_1118
; %bb.1117:
	global_load_dword v0, v[4:5], off
	s_waitcnt vmcnt(0)
	v_cvt_f64_f32_e32 v[0:1], v0
.LBB112_1118:
	s_mov_b64 s[0:1], 0
.LBB112_1119:
	s_andn2_b64 vcc, exec, s[0:1]
	s_cbranch_vccnz .LBB112_1121
; %bb.1120:
	global_load_dword v0, v[4:5], off
	s_waitcnt vmcnt(0)
	v_cvt_f32_f16_e32 v0, v0
	v_cvt_f64_f32_e32 v[0:1], v0
.LBB112_1121:
	s_cbranch_execnz .LBB112_1132
.LBB112_1122:
	s_cmp_lt_i32 s22, 6
	s_cbranch_scc1 .LBB112_1125
; %bb.1123:
	s_cmp_gt_i32 s22, 6
	s_cbranch_scc0 .LBB112_1126
; %bb.1124:
	global_load_dwordx2 v[0:1], v[4:5], off
	s_mov_b64 s[0:1], 0
	s_branch .LBB112_1127
.LBB112_1125:
	s_mov_b64 s[0:1], -1
                                        ; implicit-def: $vgpr0_vgpr1
	s_branch .LBB112_1130
.LBB112_1126:
	s_mov_b64 s[0:1], -1
                                        ; implicit-def: $vgpr0_vgpr1
.LBB112_1127:
	s_andn2_b64 vcc, exec, s[0:1]
	s_cbranch_vccnz .LBB112_1129
; %bb.1128:
	global_load_dword v0, v[4:5], off
	s_waitcnt vmcnt(0)
	v_cvt_f64_f32_e32 v[0:1], v0
.LBB112_1129:
	s_mov_b64 s[0:1], 0
.LBB112_1130:
	s_andn2_b64 vcc, exec, s[0:1]
	s_cbranch_vccnz .LBB112_1132
; %bb.1131:
	global_load_ushort v0, v[4:5], off
	s_waitcnt vmcnt(0)
	v_cvt_f32_f16_e32 v0, v0
	v_cvt_f64_f32_e32 v[0:1], v0
.LBB112_1132:
	s_cbranch_execnz .LBB112_1151
.LBB112_1133:
	s_cmp_lt_i32 s22, 2
	s_cbranch_scc1 .LBB112_1137
; %bb.1134:
	s_cmp_lt_i32 s22, 3
	s_cbranch_scc1 .LBB112_1138
; %bb.1135:
	s_cmp_gt_i32 s22, 3
	s_cbranch_scc0 .LBB112_1139
; %bb.1136:
	global_load_dwordx2 v[0:1], v[4:5], off
	s_mov_b64 s[0:1], 0
	s_waitcnt vmcnt(0)
	v_cvt_f64_i32_e32 v[6:7], v1
	v_cvt_f64_u32_e32 v[0:1], v0
	v_ldexp_f64 v[6:7], v[6:7], 32
	v_add_f64 v[0:1], v[6:7], v[0:1]
	s_branch .LBB112_1140
.LBB112_1137:
                                        ; implicit-def: $vgpr0_vgpr1
	s_branch .LBB112_1146
.LBB112_1138:
	s_mov_b64 s[0:1], -1
                                        ; implicit-def: $vgpr0_vgpr1
	s_branch .LBB112_1143
.LBB112_1139:
	s_mov_b64 s[0:1], -1
                                        ; implicit-def: $vgpr0_vgpr1
.LBB112_1140:
	s_andn2_b64 vcc, exec, s[0:1]
	s_cbranch_vccnz .LBB112_1142
; %bb.1141:
	global_load_dword v0, v[4:5], off
	s_waitcnt vmcnt(0)
	v_cvt_f64_i32_e32 v[0:1], v0
.LBB112_1142:
	s_mov_b64 s[0:1], 0
.LBB112_1143:
	s_andn2_b64 vcc, exec, s[0:1]
	s_cbranch_vccnz .LBB112_1145
; %bb.1144:
	global_load_sshort v0, v[4:5], off
	s_waitcnt vmcnt(0)
	v_cvt_f64_i32_e32 v[0:1], v0
.LBB112_1145:
	s_cbranch_execnz .LBB112_1151
.LBB112_1146:
	s_cmp_gt_i32 s22, 0
	s_cbranch_scc0 .LBB112_1148
; %bb.1147:
	global_load_sbyte v0, v[4:5], off
	s_mov_b64 s[0:1], 0
	s_waitcnt vmcnt(0)
	v_cvt_f64_i32_e32 v[0:1], v0
	s_branch .LBB112_1149
.LBB112_1148:
	s_mov_b64 s[0:1], -1
                                        ; implicit-def: $vgpr0_vgpr1
.LBB112_1149:
	s_andn2_b64 vcc, exec, s[0:1]
	s_cbranch_vccnz .LBB112_1151
; %bb.1150:
	global_load_ubyte v0, v[4:5], off
	s_waitcnt vmcnt(0)
	v_cvt_f64_u32_e32 v[0:1], v0
.LBB112_1151:
.LBB112_1152:
	s_lshl_b32 s9, s9, 7
	v_add_u32_e32 v2, s9, v2
	v_ashrrev_i32_e32 v3, 31, v2
	s_cmp_lt_i32 s22, 11
	v_lshl_add_u64 v[4:5], s[6:7], 0, v[2:3]
	s_cbranch_scc1 .LBB112_1159
; %bb.1153:
	s_cmp_gt_i32 s22, 25
	s_mov_b64 s[10:11], 0
	s_cbranch_scc0 .LBB112_1161
; %bb.1154:
	s_cmp_gt_i32 s22, 28
	s_cbranch_scc0 .LBB112_1162
; %bb.1155:
	s_cmp_gt_i32 s22, 43
	;; [unrolled: 3-line block ×3, first 2 shown]
	s_cbranch_scc0 .LBB112_1165
; %bb.1157:
	s_cmp_eq_u32 s22, 46
	s_mov_b64 s[18:19], 0
	s_cbranch_scc0 .LBB112_1168
; %bb.1158:
	global_load_dword v3, v[4:5], off
	s_mov_b64 s[0:1], 0
	s_mov_b64 s[16:17], -1
	s_waitcnt vmcnt(0)
	v_lshlrev_b32_e32 v3, 16, v3
	v_cvt_f64_f32_e32 v[8:9], v3
	s_branch .LBB112_1169
.LBB112_1159:
	s_mov_b64 s[16:17], 0
                                        ; implicit-def: $vgpr8_vgpr9
	s_cbranch_execnz .LBB112_1234
.LBB112_1160:
	s_andn2_b64 vcc, exec, s[16:17]
	s_cbranch_vccnz .LBB112_1973
	s_branch .LBB112_1281
.LBB112_1161:
	s_mov_b64 s[16:17], 0
	s_mov_b64 s[0:1], 0
                                        ; implicit-def: $vgpr8_vgpr9
	s_cbranch_execnz .LBB112_1200
	s_branch .LBB112_1230
.LBB112_1162:
	s_mov_b64 s[18:19], -1
	s_mov_b64 s[16:17], 0
	s_mov_b64 s[0:1], 0
                                        ; implicit-def: $vgpr8_vgpr9
	s_branch .LBB112_1179
.LBB112_1163:
	s_mov_b64 s[18:19], -1
	s_mov_b64 s[16:17], 0
	s_mov_b64 s[0:1], 0
                                        ; implicit-def: $vgpr8_vgpr9
	s_branch .LBB112_1174
.LBB112_1164:
	s_or_b64 s[14:15], s[12:13], exec
	s_trap 2
	s_cbranch_execz .LBB112_1105
	s_branch .LBB112_1106
.LBB112_1165:
	s_mov_b64 s[18:19], -1
	s_mov_b64 s[16:17], 0
	s_mov_b64 s[0:1], 0
                                        ; implicit-def: $vgpr8_vgpr9
	s_branch .LBB112_1169
.LBB112_1166:
	s_andn2_saveexec_b64 s[24:25], s[24:25]
	s_cbranch_execz .LBB112_948
.LBB112_1167:
	s_mov_b32 s28, 0x42800000
	v_add_f32_e64 v3, |v2|, s28
	v_and_b32_e32 v3, 0xff, v3
	v_cmp_ne_u32_e32 vcc, 0, v3
	s_andn2_b64 s[22:23], s[22:23], exec
	s_and_b64 s[28:29], vcc, exec
	s_or_b64 s[22:23], s[22:23], s[28:29]
	s_or_b64 exec, exec, s[24:25]
	v_mov_b32_e32 v6, 0
	s_and_saveexec_b64 s[24:25], s[22:23]
	s_cbranch_execnz .LBB112_949
	s_branch .LBB112_950
.LBB112_1168:
	s_mov_b64 s[0:1], -1
                                        ; implicit-def: $vgpr8_vgpr9
	s_mov_b64 s[16:17], 0
.LBB112_1169:
	s_and_b64 vcc, exec, s[18:19]
	s_cbranch_vccz .LBB112_1173
; %bb.1170:
	s_cmp_eq_u32 s22, 44
	s_cbranch_scc0 .LBB112_1172
; %bb.1171:
	global_load_ubyte v3, v[4:5], off
	s_movk_i32 s16, 0xff
	v_bfrev_b32_e32 v8, 4
	v_mov_b32_e32 v9, 0x7ff80000
	v_bfrev_b32_e32 v11, 28
	s_mov_b64 s[0:1], 0
	s_waitcnt vmcnt(0)
	v_lshlrev_b32_e32 v6, 23, v3
	v_cvt_f64_f32_e32 v[6:7], v6
	v_cmp_ne_u32_e32 vcc, s16, v3
	s_mov_b64 s[16:17], -1
	s_nop 0
	v_cndmask_b32_e32 v6, v8, v6, vcc
	v_cndmask_b32_e32 v7, v9, v7, vcc
	v_cmp_ne_u32_e32 vcc, 0, v3
	s_nop 1
	v_cndmask_b32_e32 v9, v11, v7, vcc
	v_cndmask_b32_e32 v8, 0, v6, vcc
	s_branch .LBB112_1173
.LBB112_1172:
	s_mov_b64 s[0:1], -1
                                        ; implicit-def: $vgpr8_vgpr9
.LBB112_1173:
	s_mov_b64 s[18:19], 0
.LBB112_1174:
	s_and_b64 vcc, exec, s[18:19]
	s_cbranch_vccz .LBB112_1178
; %bb.1175:
	s_cmp_eq_u32 s22, 29
	s_cbranch_scc0 .LBB112_1177
; %bb.1176:
	global_load_dwordx2 v[6:7], v[4:5], off
	s_mov_b64 s[0:1], 0
	s_mov_b64 s[16:17], -1
	s_mov_b64 s[18:19], 0
	s_waitcnt vmcnt(0)
	v_cvt_f64_u32_e32 v[8:9], v7
	v_cvt_f64_u32_e32 v[6:7], v6
	v_ldexp_f64 v[8:9], v[8:9], 32
	v_add_f64 v[8:9], v[8:9], v[6:7]
	s_branch .LBB112_1179
.LBB112_1177:
	s_mov_b64 s[0:1], -1
                                        ; implicit-def: $vgpr8_vgpr9
.LBB112_1178:
	s_mov_b64 s[18:19], 0
.LBB112_1179:
	s_and_b64 vcc, exec, s[18:19]
	s_cbranch_vccz .LBB112_1199
; %bb.1180:
	s_cmp_lt_i32 s22, 27
	s_cbranch_scc1 .LBB112_1183
; %bb.1181:
	s_cmp_gt_i32 s22, 27
	s_cbranch_scc0 .LBB112_1184
; %bb.1182:
	global_load_dword v3, v[4:5], off
	s_mov_b64 s[16:17], 0
	s_waitcnt vmcnt(0)
	v_cvt_f64_u32_e32 v[8:9], v3
	s_branch .LBB112_1185
.LBB112_1183:
	s_mov_b64 s[16:17], -1
                                        ; implicit-def: $vgpr8_vgpr9
	s_branch .LBB112_1188
.LBB112_1184:
	s_mov_b64 s[16:17], -1
                                        ; implicit-def: $vgpr8_vgpr9
.LBB112_1185:
	s_andn2_b64 vcc, exec, s[16:17]
	s_cbranch_vccnz .LBB112_1187
; %bb.1186:
	global_load_ushort v3, v[4:5], off
	s_waitcnt vmcnt(0)
	v_cvt_f64_u32_e32 v[8:9], v3
.LBB112_1187:
	s_mov_b64 s[16:17], 0
.LBB112_1188:
	s_andn2_b64 vcc, exec, s[16:17]
	s_cbranch_vccnz .LBB112_1198
; %bb.1189:
	global_load_ubyte v3, v[4:5], off
	s_movk_i32 s16, 0x7f
	s_waitcnt vmcnt(0)
	v_cmp_lt_i16_e32 vcc, s16, v3
	s_mov_b64 s[16:17], 0
	s_and_saveexec_b64 s[18:19], vcc
	s_xor_b64 s[18:19], exec, s[18:19]
	s_cbranch_execz .LBB112_1193
; %bb.1190:
	s_movk_i32 s16, 0x80
	v_cmp_eq_u16_e32 vcc, s16, v3
	s_mov_b64 s[16:17], -1
	s_and_saveexec_b64 s[20:21], vcc
; %bb.1191:
	s_xor_b64 s[16:17], exec, -1
; %bb.1192:
	s_or_b64 exec, exec, s[20:21]
	s_and_b64 s[16:17], s[16:17], exec
.LBB112_1193:
	s_or_saveexec_b64 s[18:19], s[18:19]
	v_bfrev_b32_e32 v8, 4
	v_mov_b32_e32 v9, 0x7ff80000
	s_xor_b64 exec, exec, s[18:19]
; %bb.1194:
	v_cmp_ne_u16_e32 vcc, 0, v3
	s_andn2_b64 s[16:17], s[16:17], exec
	s_and_b64 s[20:21], vcc, exec
	v_mov_b64_e32 v[8:9], 0
	s_or_b64 s[16:17], s[16:17], s[20:21]
; %bb.1195:
	s_or_b64 exec, exec, s[18:19]
	s_and_saveexec_b64 s[18:19], s[16:17]
	s_cbranch_execz .LBB112_1197
; %bb.1196:
	v_lshlrev_b32_e32 v6, 24, v3
	v_and_b32_e32 v3, 0xffff, v3
	v_and_b32_e32 v7, 7, v3
	v_ffbh_u32_e32 v9, v7
	v_min_u32_e32 v9, 32, v9
	v_subrev_u32_e32 v11, 28, v9
	v_bfe_u32 v8, v3, 3, 4
	v_lshlrev_b32_e32 v3, v11, v3
	v_sub_u32_e32 v9, 29, v9
	v_and_b32_e32 v3, 7, v3
	v_cmp_eq_u32_e32 vcc, 0, v8
	v_and_b32_e32 v6, 0x80000000, v6
	s_nop 0
	v_cndmask_b32_e32 v8, v8, v9, vcc
	v_cndmask_b32_e32 v3, v7, v3, vcc
	v_mov_b32_e32 v7, 0x3b800000
	v_lshlrev_b32_e32 v3, 20, v3
	v_lshl_add_u32 v7, v8, 23, v7
	v_or3_b32 v3, v6, v7, v3
	v_cvt_f64_f32_e32 v[8:9], v3
.LBB112_1197:
	s_or_b64 exec, exec, s[18:19]
.LBB112_1198:
	s_mov_b64 s[16:17], -1
.LBB112_1199:
	s_branch .LBB112_1230
.LBB112_1200:
	s_cmp_gt_i32 s22, 22
	s_cbranch_scc0 .LBB112_1212
; %bb.1201:
	s_cmp_lt_i32 s22, 24
	s_cbranch_scc1 .LBB112_1213
; %bb.1202:
	s_cmp_gt_i32 s22, 24
	s_cbranch_scc0 .LBB112_1214
; %bb.1203:
	global_load_ubyte v3, v[4:5], off
	s_movk_i32 s10, 0x7f
	s_waitcnt vmcnt(0)
	v_cmp_lt_i16_e32 vcc, s10, v3
	s_mov_b64 s[10:11], 0
	s_and_saveexec_b64 s[16:17], vcc
	s_xor_b64 s[16:17], exec, s[16:17]
	s_cbranch_execz .LBB112_1207
; %bb.1204:
	s_movk_i32 s10, 0x80
	v_cmp_eq_u16_e32 vcc, s10, v3
	s_mov_b64 s[10:11], -1
	s_and_saveexec_b64 s[18:19], vcc
; %bb.1205:
	s_xor_b64 s[10:11], exec, -1
; %bb.1206:
	s_or_b64 exec, exec, s[18:19]
	s_and_b64 s[10:11], s[10:11], exec
.LBB112_1207:
	s_or_saveexec_b64 s[16:17], s[16:17]
	v_bfrev_b32_e32 v8, 4
	v_mov_b32_e32 v9, 0x7ff80000
	s_xor_b64 exec, exec, s[16:17]
; %bb.1208:
	v_cmp_ne_u16_e32 vcc, 0, v3
	s_andn2_b64 s[10:11], s[10:11], exec
	s_and_b64 s[18:19], vcc, exec
	v_mov_b64_e32 v[8:9], 0
	s_or_b64 s[10:11], s[10:11], s[18:19]
; %bb.1209:
	s_or_b64 exec, exec, s[16:17]
	s_and_saveexec_b64 s[16:17], s[10:11]
	s_cbranch_execz .LBB112_1211
; %bb.1210:
	v_lshlrev_b32_e32 v6, 24, v3
	v_and_b32_e32 v3, 0xffff, v3
	v_and_b32_e32 v7, 3, v3
	v_ffbh_u32_e32 v9, v7
	v_min_u32_e32 v9, 32, v9
	v_subrev_u32_e32 v11, 29, v9
	v_bfe_u32 v8, v3, 2, 5
	v_lshlrev_b32_e32 v3, v11, v3
	v_sub_u32_e32 v9, 30, v9
	v_and_b32_e32 v3, 3, v3
	v_cmp_eq_u32_e32 vcc, 0, v8
	v_and_b32_e32 v6, 0x80000000, v6
	s_nop 0
	v_cndmask_b32_e32 v8, v8, v9, vcc
	v_cndmask_b32_e32 v3, v7, v3, vcc
	v_mov_b32_e32 v7, 0x37800000
	v_lshlrev_b32_e32 v3, 21, v3
	v_lshl_add_u32 v7, v8, 23, v7
	v_or3_b32 v3, v6, v7, v3
	v_cvt_f64_f32_e32 v[8:9], v3
.LBB112_1211:
	s_or_b64 exec, exec, s[16:17]
	s_mov_b64 s[10:11], 0
	s_branch .LBB112_1215
.LBB112_1212:
	s_mov_b64 s[10:11], -1
                                        ; implicit-def: $vgpr8_vgpr9
	s_branch .LBB112_1221
.LBB112_1213:
	s_mov_b64 s[10:11], -1
                                        ; implicit-def: $vgpr8_vgpr9
	s_branch .LBB112_1218
.LBB112_1214:
	s_mov_b64 s[10:11], -1
                                        ; implicit-def: $vgpr8_vgpr9
.LBB112_1215:
	s_and_b64 vcc, exec, s[10:11]
	s_cbranch_vccz .LBB112_1217
; %bb.1216:
	global_load_ubyte v3, v[4:5], off
	s_mov_b32 s10, 0x7f800000
	s_waitcnt vmcnt(0)
	v_lshlrev_b32_e32 v3, 24, v3
	v_and_b32_e32 v6, 0x7f000000, v3
	v_ffbh_u32_e32 v7, v6
	v_min_u32_e32 v7, 32, v7
	v_sub_u32_e64 v7, v7, 4 clamp
	v_lshlrev_b32_e32 v9, v7, v6
	v_lshlrev_b32_e32 v7, 23, v7
	v_lshrrev_b32_e32 v9, 4, v9
	v_add_u32_e32 v8, 0x1000000, v6
	v_sub_u32_e32 v7, v9, v7
	v_ashrrev_i32_e32 v8, 8, v8
	v_add_u32_e32 v7, 0x3c000000, v7
	v_and_or_b32 v7, v8, s10, v7
	v_cmp_ne_u32_e32 vcc, 0, v6
	s_brev_b32 s10, 1
	s_nop 0
	v_cndmask_b32_e32 v6, 0, v7, vcc
	v_and_or_b32 v3, v3, s10, v6
	v_cvt_f64_f32_e32 v[8:9], v3
.LBB112_1217:
	s_mov_b64 s[10:11], 0
.LBB112_1218:
	s_andn2_b64 vcc, exec, s[10:11]
	s_cbranch_vccnz .LBB112_1220
; %bb.1219:
	global_load_ubyte v3, v[4:5], off
	s_movk_i32 s10, 0x7f00
	s_brev_b32 s11, 16
	s_waitcnt vmcnt(0)
	v_lshlrev_b16_e32 v6, 8, v3
	v_lshlrev_b32_e32 v3, 25, v3
	v_lshrrev_b32_e32 v7, 4, v3
	v_and_or_b32 v8, v6, s10, 0.5
	v_or_b32_e32 v7, 0x70000000, v7
	v_add_f32_e32 v8, -0.5, v8
	v_mul_f32_e32 v7, 0x7800000, v7
	v_cmp_gt_u32_e32 vcc, s11, v3
	v_bfe_i32 v6, v6, 0, 16
	s_brev_b32 s10, 1
	v_cndmask_b32_e32 v3, v7, v8, vcc
	v_and_or_b32 v3, v6, s10, v3
	v_cvt_f64_f32_e32 v[8:9], v3
.LBB112_1220:
	s_mov_b64 s[10:11], 0
	s_mov_b64 s[16:17], -1
.LBB112_1221:
	s_andn2_b64 vcc, exec, s[10:11]
	s_mov_b64 s[10:11], 0
	s_cbranch_vccnz .LBB112_1230
; %bb.1222:
	s_cmp_gt_i32 s22, 14
	s_cbranch_scc0 .LBB112_1225
; %bb.1223:
	s_cmp_eq_u32 s22, 15
	s_cbranch_scc0 .LBB112_1226
; %bb.1224:
	global_load_ushort v3, v[4:5], off
	s_mov_b64 s[0:1], 0
	s_mov_b64 s[16:17], -1
	s_waitcnt vmcnt(0)
	v_lshlrev_b32_e32 v3, 16, v3
	v_cvt_f64_f32_e32 v[8:9], v3
	s_branch .LBB112_1227
.LBB112_1225:
	s_mov_b64 s[18:19], -1
                                        ; implicit-def: $vgpr8_vgpr9
	s_branch .LBB112_1228
.LBB112_1226:
	s_mov_b64 s[0:1], -1
                                        ; implicit-def: $vgpr8_vgpr9
.LBB112_1227:
	s_mov_b64 s[18:19], 0
.LBB112_1228:
	s_and_b64 vcc, exec, s[18:19]
	s_cbranch_vccz .LBB112_1230
; %bb.1229:
	s_cmp_lg_u32 s22, 11
	s_mov_b64 s[10:11], -1
	s_cselect_b64 s[0:1], -1, 0
.LBB112_1230:
	s_and_b64 vcc, exec, s[0:1]
	s_cbranch_vccnz .LBB112_1293
; %bb.1231:
	s_andn2_b64 vcc, exec, s[10:11]
	s_cbranch_vccnz .LBB112_1233
.LBB112_1232:
	global_load_ubyte v3, v[4:5], off
	v_mov_b32_e32 v6, 0x3ff00000
	v_mov_b32_e32 v8, 0
	s_mov_b64 s[16:17], -1
	s_waitcnt vmcnt(0)
	v_cmp_ne_u16_e32 vcc, 0, v3
	s_nop 1
	v_cndmask_b32_e32 v9, 0, v6, vcc
.LBB112_1233:
	s_branch .LBB112_1160
.LBB112_1234:
	s_cmp_lt_i32 s22, 5
	s_cbranch_scc1 .LBB112_1239
; %bb.1235:
	s_cmp_lt_i32 s22, 8
	s_cbranch_scc1 .LBB112_1240
; %bb.1236:
	;; [unrolled: 3-line block ×3, first 2 shown]
	s_cmp_gt_i32 s22, 9
	s_cbranch_scc0 .LBB112_1242
; %bb.1238:
	global_load_dwordx2 v[8:9], v[4:5], off
	s_mov_b64 s[0:1], 0
	s_branch .LBB112_1243
.LBB112_1239:
                                        ; implicit-def: $vgpr8_vgpr9
	s_branch .LBB112_1261
.LBB112_1240:
	s_mov_b64 s[0:1], -1
                                        ; implicit-def: $vgpr8_vgpr9
	s_branch .LBB112_1249
.LBB112_1241:
	s_mov_b64 s[0:1], -1
                                        ; implicit-def: $vgpr8_vgpr9
	s_branch .LBB112_1246
.LBB112_1242:
	s_mov_b64 s[0:1], -1
                                        ; implicit-def: $vgpr8_vgpr9
.LBB112_1243:
	s_andn2_b64 vcc, exec, s[0:1]
	s_cbranch_vccnz .LBB112_1245
; %bb.1244:
	global_load_dword v3, v[4:5], off
	s_waitcnt vmcnt(0)
	v_cvt_f64_f32_e32 v[8:9], v3
.LBB112_1245:
	s_mov_b64 s[0:1], 0
.LBB112_1246:
	s_andn2_b64 vcc, exec, s[0:1]
	s_cbranch_vccnz .LBB112_1248
; %bb.1247:
	global_load_dword v3, v[4:5], off
	s_waitcnt vmcnt(0)
	v_cvt_f32_f16_e32 v3, v3
	v_cvt_f64_f32_e32 v[8:9], v3
.LBB112_1248:
	s_mov_b64 s[0:1], 0
.LBB112_1249:
	s_andn2_b64 vcc, exec, s[0:1]
	s_cbranch_vccnz .LBB112_1260
; %bb.1250:
	s_cmp_lt_i32 s22, 6
	s_cbranch_scc1 .LBB112_1253
; %bb.1251:
	s_cmp_gt_i32 s22, 6
	s_cbranch_scc0 .LBB112_1254
; %bb.1252:
	global_load_dwordx2 v[8:9], v[4:5], off
	s_mov_b64 s[0:1], 0
	s_branch .LBB112_1255
.LBB112_1253:
	s_mov_b64 s[0:1], -1
                                        ; implicit-def: $vgpr8_vgpr9
	s_branch .LBB112_1258
.LBB112_1254:
	s_mov_b64 s[0:1], -1
                                        ; implicit-def: $vgpr8_vgpr9
.LBB112_1255:
	s_andn2_b64 vcc, exec, s[0:1]
	s_cbranch_vccnz .LBB112_1257
; %bb.1256:
	global_load_dword v3, v[4:5], off
	s_waitcnt vmcnt(0)
	v_cvt_f64_f32_e32 v[8:9], v3
.LBB112_1257:
	s_mov_b64 s[0:1], 0
.LBB112_1258:
	s_andn2_b64 vcc, exec, s[0:1]
	s_cbranch_vccnz .LBB112_1260
; %bb.1259:
	global_load_ushort v3, v[4:5], off
	s_waitcnt vmcnt(0)
	v_cvt_f32_f16_e32 v3, v3
	v_cvt_f64_f32_e32 v[8:9], v3
.LBB112_1260:
	s_cbranch_execnz .LBB112_1280
.LBB112_1261:
	s_cmp_lt_i32 s22, 2
	s_cbranch_scc1 .LBB112_1265
; %bb.1262:
	s_cmp_lt_i32 s22, 3
	s_cbranch_scc1 .LBB112_1266
; %bb.1263:
	s_cmp_gt_i32 s22, 3
	s_cbranch_scc0 .LBB112_1267
; %bb.1264:
	global_load_dwordx2 v[6:7], v[4:5], off
	s_mov_b64 s[0:1], 0
	s_waitcnt vmcnt(0)
	v_cvt_f64_i32_e32 v[8:9], v7
	v_cvt_f64_u32_e32 v[6:7], v6
	v_ldexp_f64 v[8:9], v[8:9], 32
	v_add_f64 v[8:9], v[8:9], v[6:7]
	s_branch .LBB112_1268
.LBB112_1265:
	s_mov_b64 s[0:1], -1
                                        ; implicit-def: $vgpr8_vgpr9
	s_branch .LBB112_1274
.LBB112_1266:
	s_mov_b64 s[0:1], -1
                                        ; implicit-def: $vgpr8_vgpr9
	s_branch .LBB112_1271
.LBB112_1267:
	s_mov_b64 s[0:1], -1
                                        ; implicit-def: $vgpr8_vgpr9
.LBB112_1268:
	s_andn2_b64 vcc, exec, s[0:1]
	s_cbranch_vccnz .LBB112_1270
; %bb.1269:
	global_load_dword v3, v[4:5], off
	s_waitcnt vmcnt(0)
	v_cvt_f64_i32_e32 v[8:9], v3
.LBB112_1270:
	s_mov_b64 s[0:1], 0
.LBB112_1271:
	s_andn2_b64 vcc, exec, s[0:1]
	s_cbranch_vccnz .LBB112_1273
; %bb.1272:
	global_load_sshort v3, v[4:5], off
	s_waitcnt vmcnt(0)
	v_cvt_f64_i32_e32 v[8:9], v3
.LBB112_1273:
	s_mov_b64 s[0:1], 0
.LBB112_1274:
	s_andn2_b64 vcc, exec, s[0:1]
	s_cbranch_vccnz .LBB112_1280
; %bb.1275:
	s_cmp_gt_i32 s22, 0
	s_cbranch_scc0 .LBB112_1277
; %bb.1276:
	global_load_sbyte v3, v[4:5], off
	s_mov_b64 s[0:1], 0
	s_waitcnt vmcnt(0)
	v_cvt_f64_i32_e32 v[8:9], v3
	s_branch .LBB112_1278
.LBB112_1277:
	s_mov_b64 s[0:1], -1
                                        ; implicit-def: $vgpr8_vgpr9
.LBB112_1278:
	s_andn2_b64 vcc, exec, s[0:1]
	s_cbranch_vccnz .LBB112_1280
; %bb.1279:
	global_load_ubyte v3, v[4:5], off
	s_waitcnt vmcnt(0)
	v_cvt_f64_u32_e32 v[8:9], v3
.LBB112_1280:
.LBB112_1281:
	v_add_u32_e32 v2, s9, v2
	v_ashrrev_i32_e32 v3, 31, v2
	s_cmp_lt_i32 s22, 11
	v_lshl_add_u64 v[4:5], s[6:7], 0, v[2:3]
	s_cbranch_scc1 .LBB112_1288
; %bb.1282:
	s_cmp_gt_i32 s22, 25
	s_mov_b64 s[10:11], 0
	s_cbranch_scc0 .LBB112_1290
; %bb.1283:
	s_cmp_gt_i32 s22, 28
	s_cbranch_scc0 .LBB112_1291
; %bb.1284:
	s_cmp_gt_i32 s22, 43
	;; [unrolled: 3-line block ×3, first 2 shown]
	s_cbranch_scc0 .LBB112_1294
; %bb.1286:
	s_cmp_eq_u32 s22, 46
	s_mov_b64 s[18:19], 0
	s_cbranch_scc0 .LBB112_1295
; %bb.1287:
	global_load_dword v3, v[4:5], off
	s_mov_b64 s[0:1], 0
	s_mov_b64 s[16:17], -1
	s_waitcnt vmcnt(0)
	v_lshlrev_b32_e32 v3, 16, v3
	v_cvt_f64_f32_e32 v[6:7], v3
	s_branch .LBB112_1296
.LBB112_1288:
	s_mov_b64 s[16:17], 0
                                        ; implicit-def: $vgpr6_vgpr7
	s_cbranch_execnz .LBB112_1362
.LBB112_1289:
	s_andn2_b64 vcc, exec, s[16:17]
	s_cbranch_vccnz .LBB112_1973
	s_branch .LBB112_1410
.LBB112_1290:
	s_mov_b64 s[18:19], -1
	s_mov_b64 s[16:17], 0
	s_mov_b64 s[0:1], 0
                                        ; implicit-def: $vgpr6_vgpr7
	s_branch .LBB112_1327
.LBB112_1291:
	s_mov_b64 s[18:19], -1
	s_mov_b64 s[16:17], 0
	s_mov_b64 s[0:1], 0
                                        ; implicit-def: $vgpr6_vgpr7
	s_branch .LBB112_1306
.LBB112_1292:
	s_mov_b64 s[18:19], -1
	s_mov_b64 s[16:17], 0
	s_mov_b64 s[0:1], 0
                                        ; implicit-def: $vgpr6_vgpr7
	s_branch .LBB112_1301
.LBB112_1293:
	s_trap 2
	s_or_b64 s[14:15], s[14:15], exec
	s_cbranch_execz .LBB112_1232
	s_branch .LBB112_1233
.LBB112_1294:
	s_mov_b64 s[18:19], -1
	s_mov_b64 s[16:17], 0
	s_mov_b64 s[0:1], 0
                                        ; implicit-def: $vgpr6_vgpr7
	s_branch .LBB112_1296
.LBB112_1295:
	s_mov_b64 s[0:1], -1
                                        ; implicit-def: $vgpr6_vgpr7
	s_mov_b64 s[16:17], 0
.LBB112_1296:
	s_and_b64 vcc, exec, s[18:19]
	s_cbranch_vccz .LBB112_1300
; %bb.1297:
	s_cmp_eq_u32 s22, 44
	s_cbranch_scc0 .LBB112_1299
; %bb.1298:
	global_load_ubyte v3, v[4:5], off
	s_movk_i32 s16, 0xff
	v_bfrev_b32_e32 v11, 4
	v_mov_b32_e32 v12, 0x7ff80000
	v_bfrev_b32_e32 v13, 28
	s_mov_b64 s[0:1], 0
	s_waitcnt vmcnt(0)
	v_lshlrev_b32_e32 v6, 23, v3
	v_cvt_f64_f32_e32 v[6:7], v6
	v_cmp_ne_u32_e32 vcc, s16, v3
	s_mov_b64 s[16:17], -1
	s_nop 0
	v_cndmask_b32_e32 v6, v11, v6, vcc
	v_cndmask_b32_e32 v7, v12, v7, vcc
	v_cmp_ne_u32_e32 vcc, 0, v3
	s_nop 1
	v_cndmask_b32_e32 v7, v13, v7, vcc
	v_cndmask_b32_e32 v6, 0, v6, vcc
	s_branch .LBB112_1300
.LBB112_1299:
	s_mov_b64 s[0:1], -1
                                        ; implicit-def: $vgpr6_vgpr7
.LBB112_1300:
	s_mov_b64 s[18:19], 0
.LBB112_1301:
	s_and_b64 vcc, exec, s[18:19]
	s_cbranch_vccz .LBB112_1305
; %bb.1302:
	s_cmp_eq_u32 s22, 29
	s_cbranch_scc0 .LBB112_1304
; %bb.1303:
	global_load_dwordx2 v[6:7], v[4:5], off
	s_mov_b64 s[0:1], 0
	s_mov_b64 s[16:17], -1
	s_mov_b64 s[18:19], 0
	s_waitcnt vmcnt(0)
	v_cvt_f64_u32_e32 v[12:13], v7
	v_cvt_f64_u32_e32 v[6:7], v6
	v_ldexp_f64 v[12:13], v[12:13], 32
	v_add_f64 v[6:7], v[12:13], v[6:7]
	s_branch .LBB112_1306
.LBB112_1304:
	s_mov_b64 s[0:1], -1
                                        ; implicit-def: $vgpr6_vgpr7
.LBB112_1305:
	s_mov_b64 s[18:19], 0
.LBB112_1306:
	s_and_b64 vcc, exec, s[18:19]
	s_cbranch_vccz .LBB112_1326
; %bb.1307:
	s_cmp_lt_i32 s22, 27
	s_cbranch_scc1 .LBB112_1310
; %bb.1308:
	s_cmp_gt_i32 s22, 27
	s_cbranch_scc0 .LBB112_1311
; %bb.1309:
	global_load_dword v3, v[4:5], off
	s_mov_b64 s[16:17], 0
	s_waitcnt vmcnt(0)
	v_cvt_f64_u32_e32 v[6:7], v3
	s_branch .LBB112_1312
.LBB112_1310:
	s_mov_b64 s[16:17], -1
                                        ; implicit-def: $vgpr6_vgpr7
	s_branch .LBB112_1315
.LBB112_1311:
	s_mov_b64 s[16:17], -1
                                        ; implicit-def: $vgpr6_vgpr7
.LBB112_1312:
	s_andn2_b64 vcc, exec, s[16:17]
	s_cbranch_vccnz .LBB112_1314
; %bb.1313:
	global_load_ushort v3, v[4:5], off
	s_waitcnt vmcnt(0)
	v_cvt_f64_u32_e32 v[6:7], v3
.LBB112_1314:
	s_mov_b64 s[16:17], 0
.LBB112_1315:
	s_andn2_b64 vcc, exec, s[16:17]
	s_cbranch_vccnz .LBB112_1325
; %bb.1316:
	global_load_ubyte v3, v[4:5], off
	s_movk_i32 s16, 0x7f
	s_waitcnt vmcnt(0)
	v_cmp_lt_i16_e32 vcc, s16, v3
	s_mov_b64 s[16:17], 0
	s_and_saveexec_b64 s[18:19], vcc
	s_xor_b64 s[18:19], exec, s[18:19]
	s_cbranch_execz .LBB112_1320
; %bb.1317:
	s_movk_i32 s16, 0x80
	v_cmp_eq_u16_e32 vcc, s16, v3
	s_mov_b64 s[16:17], -1
	s_and_saveexec_b64 s[20:21], vcc
; %bb.1318:
	s_xor_b64 s[16:17], exec, -1
; %bb.1319:
	s_or_b64 exec, exec, s[20:21]
	s_and_b64 s[16:17], s[16:17], exec
.LBB112_1320:
	s_or_saveexec_b64 s[18:19], s[18:19]
	v_bfrev_b32_e32 v6, 4
	v_mov_b32_e32 v7, 0x7ff80000
	s_xor_b64 exec, exec, s[18:19]
; %bb.1321:
	v_cmp_ne_u16_e32 vcc, 0, v3
	s_andn2_b64 s[16:17], s[16:17], exec
	s_and_b64 s[20:21], vcc, exec
	v_mov_b64_e32 v[6:7], 0
	s_or_b64 s[16:17], s[16:17], s[20:21]
; %bb.1322:
	s_or_b64 exec, exec, s[18:19]
	s_and_saveexec_b64 s[18:19], s[16:17]
	s_cbranch_execz .LBB112_1324
; %bb.1323:
	v_lshlrev_b32_e32 v6, 24, v3
	v_and_b32_e32 v3, 0xffff, v3
	v_and_b32_e32 v7, 7, v3
	v_ffbh_u32_e32 v12, v7
	v_min_u32_e32 v12, 32, v12
	v_subrev_u32_e32 v13, 28, v12
	v_bfe_u32 v11, v3, 3, 4
	v_lshlrev_b32_e32 v3, v13, v3
	v_sub_u32_e32 v12, 29, v12
	v_and_b32_e32 v3, 7, v3
	v_cmp_eq_u32_e32 vcc, 0, v11
	v_and_b32_e32 v6, 0x80000000, v6
	s_nop 0
	v_cndmask_b32_e32 v11, v11, v12, vcc
	v_cndmask_b32_e32 v3, v7, v3, vcc
	v_mov_b32_e32 v7, 0x3b800000
	v_lshlrev_b32_e32 v3, 20, v3
	v_lshl_add_u32 v7, v11, 23, v7
	v_or3_b32 v3, v6, v7, v3
	v_cvt_f64_f32_e32 v[6:7], v3
.LBB112_1324:
	s_or_b64 exec, exec, s[18:19]
.LBB112_1325:
	s_mov_b64 s[16:17], -1
.LBB112_1326:
	s_mov_b64 s[18:19], 0
.LBB112_1327:
	s_and_b64 vcc, exec, s[18:19]
	s_cbranch_vccz .LBB112_1358
; %bb.1328:
	s_cmp_gt_i32 s22, 22
	s_cbranch_scc0 .LBB112_1340
; %bb.1329:
	s_cmp_lt_i32 s22, 24
	s_cbranch_scc1 .LBB112_1341
; %bb.1330:
	s_cmp_gt_i32 s22, 24
	s_cbranch_scc0 .LBB112_1342
; %bb.1331:
	global_load_ubyte v3, v[4:5], off
	s_movk_i32 s10, 0x7f
	s_waitcnt vmcnt(0)
	v_cmp_lt_i16_e32 vcc, s10, v3
	s_mov_b64 s[10:11], 0
	s_and_saveexec_b64 s[16:17], vcc
	s_xor_b64 s[16:17], exec, s[16:17]
	s_cbranch_execz .LBB112_1335
; %bb.1332:
	s_movk_i32 s10, 0x80
	v_cmp_eq_u16_e32 vcc, s10, v3
	s_mov_b64 s[10:11], -1
	s_and_saveexec_b64 s[18:19], vcc
; %bb.1333:
	s_xor_b64 s[10:11], exec, -1
; %bb.1334:
	s_or_b64 exec, exec, s[18:19]
	s_and_b64 s[10:11], s[10:11], exec
.LBB112_1335:
	s_or_saveexec_b64 s[16:17], s[16:17]
	v_bfrev_b32_e32 v6, 4
	v_mov_b32_e32 v7, 0x7ff80000
	s_xor_b64 exec, exec, s[16:17]
; %bb.1336:
	v_cmp_ne_u16_e32 vcc, 0, v3
	s_andn2_b64 s[10:11], s[10:11], exec
	s_and_b64 s[18:19], vcc, exec
	v_mov_b64_e32 v[6:7], 0
	s_or_b64 s[10:11], s[10:11], s[18:19]
; %bb.1337:
	s_or_b64 exec, exec, s[16:17]
	s_and_saveexec_b64 s[16:17], s[10:11]
	s_cbranch_execz .LBB112_1339
; %bb.1338:
	v_lshlrev_b32_e32 v6, 24, v3
	v_and_b32_e32 v3, 0xffff, v3
	v_and_b32_e32 v7, 3, v3
	v_ffbh_u32_e32 v12, v7
	v_min_u32_e32 v12, 32, v12
	v_subrev_u32_e32 v13, 29, v12
	v_bfe_u32 v11, v3, 2, 5
	v_lshlrev_b32_e32 v3, v13, v3
	v_sub_u32_e32 v12, 30, v12
	v_and_b32_e32 v3, 3, v3
	v_cmp_eq_u32_e32 vcc, 0, v11
	v_and_b32_e32 v6, 0x80000000, v6
	s_nop 0
	v_cndmask_b32_e32 v11, v11, v12, vcc
	v_cndmask_b32_e32 v3, v7, v3, vcc
	v_mov_b32_e32 v7, 0x37800000
	v_lshlrev_b32_e32 v3, 21, v3
	v_lshl_add_u32 v7, v11, 23, v7
	v_or3_b32 v3, v6, v7, v3
	v_cvt_f64_f32_e32 v[6:7], v3
.LBB112_1339:
	s_or_b64 exec, exec, s[16:17]
	s_mov_b64 s[10:11], 0
	s_branch .LBB112_1343
.LBB112_1340:
	s_mov_b64 s[10:11], -1
                                        ; implicit-def: $vgpr6_vgpr7
	s_branch .LBB112_1349
.LBB112_1341:
	s_mov_b64 s[10:11], -1
                                        ; implicit-def: $vgpr6_vgpr7
	s_branch .LBB112_1346
.LBB112_1342:
	s_mov_b64 s[10:11], -1
                                        ; implicit-def: $vgpr6_vgpr7
.LBB112_1343:
	s_and_b64 vcc, exec, s[10:11]
	s_cbranch_vccz .LBB112_1345
; %bb.1344:
	global_load_ubyte v3, v[4:5], off
	s_mov_b32 s10, 0x7f800000
	s_waitcnt vmcnt(0)
	v_lshlrev_b32_e32 v3, 24, v3
	v_and_b32_e32 v6, 0x7f000000, v3
	v_ffbh_u32_e32 v7, v6
	v_min_u32_e32 v7, 32, v7
	v_sub_u32_e64 v7, v7, 4 clamp
	v_lshlrev_b32_e32 v12, v7, v6
	v_lshlrev_b32_e32 v7, 23, v7
	v_lshrrev_b32_e32 v12, 4, v12
	v_add_u32_e32 v11, 0x1000000, v6
	v_sub_u32_e32 v7, v12, v7
	v_ashrrev_i32_e32 v11, 8, v11
	v_add_u32_e32 v7, 0x3c000000, v7
	v_and_or_b32 v7, v11, s10, v7
	v_cmp_ne_u32_e32 vcc, 0, v6
	s_brev_b32 s10, 1
	s_nop 0
	v_cndmask_b32_e32 v6, 0, v7, vcc
	v_and_or_b32 v3, v3, s10, v6
	v_cvt_f64_f32_e32 v[6:7], v3
.LBB112_1345:
	s_mov_b64 s[10:11], 0
.LBB112_1346:
	s_andn2_b64 vcc, exec, s[10:11]
	s_cbranch_vccnz .LBB112_1348
; %bb.1347:
	global_load_ubyte v3, v[4:5], off
	s_movk_i32 s10, 0x7f00
	s_brev_b32 s11, 16
	s_waitcnt vmcnt(0)
	v_lshlrev_b16_e32 v6, 8, v3
	v_lshlrev_b32_e32 v3, 25, v3
	v_lshrrev_b32_e32 v7, 4, v3
	v_and_or_b32 v11, v6, s10, 0.5
	v_or_b32_e32 v7, 0x70000000, v7
	v_add_f32_e32 v11, -0.5, v11
	v_mul_f32_e32 v7, 0x7800000, v7
	v_cmp_gt_u32_e32 vcc, s11, v3
	v_bfe_i32 v6, v6, 0, 16
	s_brev_b32 s10, 1
	v_cndmask_b32_e32 v3, v7, v11, vcc
	v_and_or_b32 v3, v6, s10, v3
	v_cvt_f64_f32_e32 v[6:7], v3
.LBB112_1348:
	s_mov_b64 s[10:11], 0
	s_mov_b64 s[16:17], -1
.LBB112_1349:
	s_andn2_b64 vcc, exec, s[10:11]
	s_mov_b64 s[10:11], 0
	s_cbranch_vccnz .LBB112_1358
; %bb.1350:
	s_cmp_gt_i32 s22, 14
	s_cbranch_scc0 .LBB112_1353
; %bb.1351:
	s_cmp_eq_u32 s22, 15
	s_cbranch_scc0 .LBB112_1354
; %bb.1352:
	global_load_ushort v3, v[4:5], off
	s_mov_b64 s[0:1], 0
	s_mov_b64 s[16:17], -1
	s_waitcnt vmcnt(0)
	v_lshlrev_b32_e32 v3, 16, v3
	v_cvt_f64_f32_e32 v[6:7], v3
	s_branch .LBB112_1355
.LBB112_1353:
	s_mov_b64 s[18:19], -1
                                        ; implicit-def: $vgpr6_vgpr7
	s_branch .LBB112_1356
.LBB112_1354:
	s_mov_b64 s[0:1], -1
                                        ; implicit-def: $vgpr6_vgpr7
.LBB112_1355:
	s_mov_b64 s[18:19], 0
.LBB112_1356:
	s_and_b64 vcc, exec, s[18:19]
	s_cbranch_vccz .LBB112_1358
; %bb.1357:
	s_cmp_lg_u32 s22, 11
	s_mov_b64 s[10:11], -1
	s_cselect_b64 s[0:1], -1, 0
.LBB112_1358:
	s_and_b64 vcc, exec, s[0:1]
	s_cbranch_vccnz .LBB112_1421
; %bb.1359:
	s_andn2_b64 vcc, exec, s[10:11]
	s_cbranch_vccnz .LBB112_1361
.LBB112_1360:
	global_load_ubyte v3, v[4:5], off
	v_mov_b32_e32 v7, 0x3ff00000
	v_mov_b32_e32 v6, 0
	s_mov_b64 s[16:17], -1
	s_waitcnt vmcnt(0)
	v_cmp_ne_u16_e32 vcc, 0, v3
	s_nop 1
	v_cndmask_b32_e32 v7, 0, v7, vcc
.LBB112_1361:
	s_branch .LBB112_1289
.LBB112_1362:
	s_cmp_lt_i32 s22, 5
	s_cbranch_scc1 .LBB112_1367
; %bb.1363:
	s_cmp_lt_i32 s22, 8
	s_cbranch_scc1 .LBB112_1368
; %bb.1364:
	;; [unrolled: 3-line block ×3, first 2 shown]
	s_cmp_gt_i32 s22, 9
	s_cbranch_scc0 .LBB112_1370
; %bb.1366:
	global_load_dwordx2 v[6:7], v[4:5], off
	s_mov_b64 s[0:1], 0
	s_branch .LBB112_1371
.LBB112_1367:
	s_mov_b64 s[0:1], -1
                                        ; implicit-def: $vgpr6_vgpr7
	s_branch .LBB112_1389
.LBB112_1368:
	s_mov_b64 s[0:1], -1
                                        ; implicit-def: $vgpr6_vgpr7
	s_branch .LBB112_1377
.LBB112_1369:
	s_mov_b64 s[0:1], -1
                                        ; implicit-def: $vgpr6_vgpr7
	s_branch .LBB112_1374
.LBB112_1370:
	s_mov_b64 s[0:1], -1
                                        ; implicit-def: $vgpr6_vgpr7
.LBB112_1371:
	s_andn2_b64 vcc, exec, s[0:1]
	s_cbranch_vccnz .LBB112_1373
; %bb.1372:
	global_load_dword v3, v[4:5], off
	s_waitcnt vmcnt(0)
	v_cvt_f64_f32_e32 v[6:7], v3
.LBB112_1373:
	s_mov_b64 s[0:1], 0
.LBB112_1374:
	s_andn2_b64 vcc, exec, s[0:1]
	s_cbranch_vccnz .LBB112_1376
; %bb.1375:
	global_load_dword v3, v[4:5], off
	s_waitcnt vmcnt(0)
	v_cvt_f32_f16_e32 v3, v3
	v_cvt_f64_f32_e32 v[6:7], v3
.LBB112_1376:
	s_mov_b64 s[0:1], 0
.LBB112_1377:
	s_andn2_b64 vcc, exec, s[0:1]
	s_cbranch_vccnz .LBB112_1388
; %bb.1378:
	s_cmp_lt_i32 s22, 6
	s_cbranch_scc1 .LBB112_1381
; %bb.1379:
	s_cmp_gt_i32 s22, 6
	s_cbranch_scc0 .LBB112_1382
; %bb.1380:
	global_load_dwordx2 v[6:7], v[4:5], off
	s_mov_b64 s[0:1], 0
	s_branch .LBB112_1383
.LBB112_1381:
	s_mov_b64 s[0:1], -1
                                        ; implicit-def: $vgpr6_vgpr7
	s_branch .LBB112_1386
.LBB112_1382:
	s_mov_b64 s[0:1], -1
                                        ; implicit-def: $vgpr6_vgpr7
.LBB112_1383:
	s_andn2_b64 vcc, exec, s[0:1]
	s_cbranch_vccnz .LBB112_1385
; %bb.1384:
	global_load_dword v3, v[4:5], off
	s_waitcnt vmcnt(0)
	v_cvt_f64_f32_e32 v[6:7], v3
.LBB112_1385:
	s_mov_b64 s[0:1], 0
.LBB112_1386:
	s_andn2_b64 vcc, exec, s[0:1]
	s_cbranch_vccnz .LBB112_1388
; %bb.1387:
	global_load_ushort v3, v[4:5], off
	s_waitcnt vmcnt(0)
	v_cvt_f32_f16_e32 v3, v3
	v_cvt_f64_f32_e32 v[6:7], v3
.LBB112_1388:
	s_mov_b64 s[0:1], 0
.LBB112_1389:
	s_andn2_b64 vcc, exec, s[0:1]
	s_cbranch_vccnz .LBB112_1409
; %bb.1390:
	s_cmp_lt_i32 s22, 2
	s_cbranch_scc1 .LBB112_1394
; %bb.1391:
	s_cmp_lt_i32 s22, 3
	s_cbranch_scc1 .LBB112_1395
; %bb.1392:
	s_cmp_gt_i32 s22, 3
	s_cbranch_scc0 .LBB112_1396
; %bb.1393:
	global_load_dwordx2 v[6:7], v[4:5], off
	s_mov_b64 s[0:1], 0
	s_waitcnt vmcnt(0)
	v_cvt_f64_i32_e32 v[12:13], v7
	v_cvt_f64_u32_e32 v[6:7], v6
	v_ldexp_f64 v[12:13], v[12:13], 32
	v_add_f64 v[6:7], v[12:13], v[6:7]
	s_branch .LBB112_1397
.LBB112_1394:
	s_mov_b64 s[0:1], -1
                                        ; implicit-def: $vgpr6_vgpr7
	s_branch .LBB112_1403
.LBB112_1395:
	s_mov_b64 s[0:1], -1
                                        ; implicit-def: $vgpr6_vgpr7
	s_branch .LBB112_1400
.LBB112_1396:
	s_mov_b64 s[0:1], -1
                                        ; implicit-def: $vgpr6_vgpr7
.LBB112_1397:
	s_andn2_b64 vcc, exec, s[0:1]
	s_cbranch_vccnz .LBB112_1399
; %bb.1398:
	global_load_dword v3, v[4:5], off
	s_waitcnt vmcnt(0)
	v_cvt_f64_i32_e32 v[6:7], v3
.LBB112_1399:
	s_mov_b64 s[0:1], 0
.LBB112_1400:
	s_andn2_b64 vcc, exec, s[0:1]
	s_cbranch_vccnz .LBB112_1402
; %bb.1401:
	global_load_sshort v3, v[4:5], off
	s_waitcnt vmcnt(0)
	v_cvt_f64_i32_e32 v[6:7], v3
.LBB112_1402:
	s_mov_b64 s[0:1], 0
.LBB112_1403:
	s_andn2_b64 vcc, exec, s[0:1]
	s_cbranch_vccnz .LBB112_1409
; %bb.1404:
	s_cmp_gt_i32 s22, 0
	s_cbranch_scc0 .LBB112_1406
; %bb.1405:
	global_load_sbyte v3, v[4:5], off
	s_mov_b64 s[0:1], 0
	s_waitcnt vmcnt(0)
	v_cvt_f64_i32_e32 v[6:7], v3
	s_branch .LBB112_1407
.LBB112_1406:
	s_mov_b64 s[0:1], -1
                                        ; implicit-def: $vgpr6_vgpr7
.LBB112_1407:
	s_andn2_b64 vcc, exec, s[0:1]
	s_cbranch_vccnz .LBB112_1409
; %bb.1408:
	global_load_ubyte v3, v[4:5], off
	s_waitcnt vmcnt(0)
	v_cvt_f64_u32_e32 v[6:7], v3
.LBB112_1409:
.LBB112_1410:
	v_add_u32_e32 v2, s9, v2
	v_ashrrev_i32_e32 v3, 31, v2
	s_cmp_lt_i32 s22, 11
	v_lshl_add_u64 v[2:3], s[6:7], 0, v[2:3]
	s_cbranch_scc1 .LBB112_1417
; %bb.1411:
	s_cmp_gt_i32 s22, 25
	s_mov_b64 s[6:7], 0
	s_cbranch_scc0 .LBB112_1418
; %bb.1412:
	s_cmp_gt_i32 s22, 28
	s_cbranch_scc0 .LBB112_1419
; %bb.1413:
	s_cmp_gt_i32 s22, 43
	;; [unrolled: 3-line block ×3, first 2 shown]
	s_cbranch_scc0 .LBB112_1422
; %bb.1415:
	s_cmp_eq_u32 s22, 46
	s_mov_b64 s[16:17], 0
	s_cbranch_scc0 .LBB112_1423
; %bb.1416:
	global_load_dword v4, v[2:3], off
	s_mov_b64 s[0:1], 0
	s_mov_b64 s[10:11], -1
	s_waitcnt vmcnt(0)
	v_lshlrev_b32_e32 v4, 16, v4
	v_cvt_f64_f32_e32 v[4:5], v4
	s_branch .LBB112_1424
.LBB112_1417:
	s_mov_b64 s[0:1], -1
	s_mov_b64 s[10:11], 0
                                        ; implicit-def: $vgpr4_vgpr5
	s_branch .LBB112_1490
.LBB112_1418:
	s_mov_b64 s[16:17], -1
	s_mov_b64 s[10:11], 0
	s_mov_b64 s[0:1], 0
                                        ; implicit-def: $vgpr4_vgpr5
	s_branch .LBB112_1455
.LBB112_1419:
	s_mov_b64 s[16:17], -1
	s_mov_b64 s[10:11], 0
	s_mov_b64 s[0:1], 0
                                        ; implicit-def: $vgpr4_vgpr5
	s_branch .LBB112_1434
.LBB112_1420:
	s_mov_b64 s[16:17], -1
	s_mov_b64 s[10:11], 0
	s_mov_b64 s[0:1], 0
                                        ; implicit-def: $vgpr4_vgpr5
	s_branch .LBB112_1429
.LBB112_1421:
	s_trap 2
	s_or_b64 s[14:15], s[14:15], exec
	s_cbranch_execz .LBB112_1360
	s_branch .LBB112_1361
.LBB112_1422:
	s_mov_b64 s[16:17], -1
	s_mov_b64 s[10:11], 0
	s_mov_b64 s[0:1], 0
                                        ; implicit-def: $vgpr4_vgpr5
	s_branch .LBB112_1424
.LBB112_1423:
	s_mov_b64 s[0:1], -1
                                        ; implicit-def: $vgpr4_vgpr5
	s_mov_b64 s[10:11], 0
.LBB112_1424:
	s_and_b64 vcc, exec, s[16:17]
	s_cbranch_vccz .LBB112_1428
; %bb.1425:
	s_cmp_eq_u32 s22, 44
	s_cbranch_scc0 .LBB112_1427
; %bb.1426:
	global_load_ubyte v11, v[2:3], off
	s_movk_i32 s9, 0xff
	v_bfrev_b32_e32 v12, 4
	v_mov_b32_e32 v13, 0x7ff80000
	v_bfrev_b32_e32 v14, 28
	s_mov_b64 s[0:1], 0
	s_mov_b64 s[10:11], -1
	s_waitcnt vmcnt(0)
	v_lshlrev_b32_e32 v4, 23, v11
	v_cvt_f64_f32_e32 v[4:5], v4
	v_cmp_ne_u32_e32 vcc, s9, v11
	s_nop 1
	v_cndmask_b32_e32 v4, v12, v4, vcc
	v_cndmask_b32_e32 v5, v13, v5, vcc
	v_cmp_ne_u32_e32 vcc, 0, v11
	s_nop 1
	v_cndmask_b32_e32 v5, v14, v5, vcc
	v_cndmask_b32_e32 v4, 0, v4, vcc
	s_branch .LBB112_1428
.LBB112_1427:
	s_mov_b64 s[0:1], -1
                                        ; implicit-def: $vgpr4_vgpr5
.LBB112_1428:
	s_mov_b64 s[16:17], 0
.LBB112_1429:
	s_and_b64 vcc, exec, s[16:17]
	s_cbranch_vccz .LBB112_1433
; %bb.1430:
	s_cmp_eq_u32 s22, 29
	s_cbranch_scc0 .LBB112_1432
; %bb.1431:
	global_load_dwordx2 v[4:5], v[2:3], off
	s_mov_b64 s[0:1], 0
	s_mov_b64 s[10:11], -1
	s_mov_b64 s[16:17], 0
	s_waitcnt vmcnt(0)
	v_cvt_f64_u32_e32 v[12:13], v5
	v_cvt_f64_u32_e32 v[4:5], v4
	v_ldexp_f64 v[12:13], v[12:13], 32
	v_add_f64 v[4:5], v[12:13], v[4:5]
	s_branch .LBB112_1434
.LBB112_1432:
	s_mov_b64 s[0:1], -1
                                        ; implicit-def: $vgpr4_vgpr5
.LBB112_1433:
	s_mov_b64 s[16:17], 0
.LBB112_1434:
	s_and_b64 vcc, exec, s[16:17]
	s_cbranch_vccz .LBB112_1454
; %bb.1435:
	s_cmp_lt_i32 s22, 27
	s_cbranch_scc1 .LBB112_1438
; %bb.1436:
	s_cmp_gt_i32 s22, 27
	s_cbranch_scc0 .LBB112_1439
; %bb.1437:
	global_load_dword v4, v[2:3], off
	s_mov_b64 s[10:11], 0
	s_waitcnt vmcnt(0)
	v_cvt_f64_u32_e32 v[4:5], v4
	s_branch .LBB112_1440
.LBB112_1438:
	s_mov_b64 s[10:11], -1
                                        ; implicit-def: $vgpr4_vgpr5
	s_branch .LBB112_1443
.LBB112_1439:
	s_mov_b64 s[10:11], -1
                                        ; implicit-def: $vgpr4_vgpr5
.LBB112_1440:
	s_andn2_b64 vcc, exec, s[10:11]
	s_cbranch_vccnz .LBB112_1442
; %bb.1441:
	global_load_ushort v4, v[2:3], off
	s_waitcnt vmcnt(0)
	v_cvt_f64_u32_e32 v[4:5], v4
.LBB112_1442:
	s_mov_b64 s[10:11], 0
.LBB112_1443:
	s_andn2_b64 vcc, exec, s[10:11]
	s_cbranch_vccnz .LBB112_1453
; %bb.1444:
	global_load_ubyte v11, v[2:3], off
	s_movk_i32 s9, 0x7f
	s_mov_b64 s[10:11], 0
	s_waitcnt vmcnt(0)
	v_cmp_lt_i16_e32 vcc, s9, v11
	s_and_saveexec_b64 s[16:17], vcc
	s_xor_b64 s[16:17], exec, s[16:17]
	s_cbranch_execz .LBB112_1448
; %bb.1445:
	s_movk_i32 s9, 0x80
	v_cmp_eq_u16_e32 vcc, s9, v11
	s_mov_b64 s[10:11], -1
	s_and_saveexec_b64 s[18:19], vcc
; %bb.1446:
	s_xor_b64 s[10:11], exec, -1
; %bb.1447:
	s_or_b64 exec, exec, s[18:19]
	s_and_b64 s[10:11], s[10:11], exec
.LBB112_1448:
	s_or_saveexec_b64 s[16:17], s[16:17]
	v_bfrev_b32_e32 v4, 4
	v_mov_b32_e32 v5, 0x7ff80000
	s_xor_b64 exec, exec, s[16:17]
; %bb.1449:
	v_cmp_ne_u16_e32 vcc, 0, v11
	s_andn2_b64 s[10:11], s[10:11], exec
	s_and_b64 s[18:19], vcc, exec
	v_mov_b64_e32 v[4:5], 0
	s_or_b64 s[10:11], s[10:11], s[18:19]
; %bb.1450:
	s_or_b64 exec, exec, s[16:17]
	s_and_saveexec_b64 s[16:17], s[10:11]
	s_cbranch_execz .LBB112_1452
; %bb.1451:
	v_and_b32_e32 v5, 0xffff, v11
	v_lshlrev_b32_e32 v4, 24, v11
	v_and_b32_e32 v11, 7, v5
	v_ffbh_u32_e32 v13, v11
	v_min_u32_e32 v13, 32, v13
	v_subrev_u32_e32 v14, 28, v13
	v_bfe_u32 v12, v5, 3, 4
	v_lshlrev_b32_e32 v5, v14, v5
	v_sub_u32_e32 v13, 29, v13
	v_and_b32_e32 v5, 7, v5
	v_cmp_eq_u32_e32 vcc, 0, v12
	v_and_b32_e32 v4, 0x80000000, v4
	s_nop 0
	v_cndmask_b32_e32 v12, v12, v13, vcc
	v_cndmask_b32_e32 v5, v11, v5, vcc
	v_mov_b32_e32 v11, 0x3b800000
	v_lshlrev_b32_e32 v5, 20, v5
	v_lshl_add_u32 v11, v12, 23, v11
	v_or3_b32 v4, v4, v11, v5
	v_cvt_f64_f32_e32 v[4:5], v4
.LBB112_1452:
	s_or_b64 exec, exec, s[16:17]
.LBB112_1453:
	s_mov_b64 s[10:11], -1
.LBB112_1454:
	s_mov_b64 s[16:17], 0
.LBB112_1455:
	s_and_b64 vcc, exec, s[16:17]
	s_cbranch_vccz .LBB112_1486
; %bb.1456:
	s_cmp_gt_i32 s22, 22
	s_cbranch_scc0 .LBB112_1468
; %bb.1457:
	s_cmp_lt_i32 s22, 24
	s_cbranch_scc1 .LBB112_1469
; %bb.1458:
	s_cmp_gt_i32 s22, 24
	s_cbranch_scc0 .LBB112_1470
; %bb.1459:
	global_load_ubyte v11, v[2:3], off
	s_movk_i32 s6, 0x7f
	s_waitcnt vmcnt(0)
	v_cmp_lt_i16_e32 vcc, s6, v11
	s_mov_b64 s[6:7], 0
	s_and_saveexec_b64 s[10:11], vcc
	s_xor_b64 s[10:11], exec, s[10:11]
	s_cbranch_execz .LBB112_1463
; %bb.1460:
	s_movk_i32 s6, 0x80
	v_cmp_eq_u16_e32 vcc, s6, v11
	s_mov_b64 s[6:7], -1
	s_and_saveexec_b64 s[16:17], vcc
; %bb.1461:
	s_xor_b64 s[6:7], exec, -1
; %bb.1462:
	s_or_b64 exec, exec, s[16:17]
	s_and_b64 s[6:7], s[6:7], exec
.LBB112_1463:
	s_or_saveexec_b64 s[10:11], s[10:11]
	v_bfrev_b32_e32 v4, 4
	v_mov_b32_e32 v5, 0x7ff80000
	s_xor_b64 exec, exec, s[10:11]
; %bb.1464:
	v_cmp_ne_u16_e32 vcc, 0, v11
	s_andn2_b64 s[6:7], s[6:7], exec
	s_and_b64 s[16:17], vcc, exec
	v_mov_b64_e32 v[4:5], 0
	s_or_b64 s[6:7], s[6:7], s[16:17]
; %bb.1465:
	s_or_b64 exec, exec, s[10:11]
	s_and_saveexec_b64 s[10:11], s[6:7]
	s_cbranch_execz .LBB112_1467
; %bb.1466:
	v_and_b32_e32 v5, 0xffff, v11
	v_lshlrev_b32_e32 v4, 24, v11
	v_and_b32_e32 v11, 3, v5
	v_ffbh_u32_e32 v13, v11
	v_min_u32_e32 v13, 32, v13
	v_subrev_u32_e32 v14, 29, v13
	v_bfe_u32 v12, v5, 2, 5
	v_lshlrev_b32_e32 v5, v14, v5
	v_sub_u32_e32 v13, 30, v13
	v_and_b32_e32 v5, 3, v5
	v_cmp_eq_u32_e32 vcc, 0, v12
	v_and_b32_e32 v4, 0x80000000, v4
	s_nop 0
	v_cndmask_b32_e32 v12, v12, v13, vcc
	v_cndmask_b32_e32 v5, v11, v5, vcc
	v_mov_b32_e32 v11, 0x37800000
	v_lshlrev_b32_e32 v5, 21, v5
	v_lshl_add_u32 v11, v12, 23, v11
	v_or3_b32 v4, v4, v11, v5
	v_cvt_f64_f32_e32 v[4:5], v4
.LBB112_1467:
	s_or_b64 exec, exec, s[10:11]
	s_mov_b64 s[6:7], 0
	s_branch .LBB112_1471
.LBB112_1468:
	s_mov_b64 s[6:7], -1
                                        ; implicit-def: $vgpr4_vgpr5
	s_branch .LBB112_1477
.LBB112_1469:
	s_mov_b64 s[6:7], -1
                                        ; implicit-def: $vgpr4_vgpr5
	s_branch .LBB112_1474
.LBB112_1470:
	s_mov_b64 s[6:7], -1
                                        ; implicit-def: $vgpr4_vgpr5
.LBB112_1471:
	s_and_b64 vcc, exec, s[6:7]
	s_cbranch_vccz .LBB112_1473
; %bb.1472:
	global_load_ubyte v4, v[2:3], off
	s_mov_b32 s6, 0x7f800000
	s_waitcnt vmcnt(0)
	v_lshlrev_b32_e32 v4, 24, v4
	v_and_b32_e32 v5, 0x7f000000, v4
	v_ffbh_u32_e32 v11, v5
	v_min_u32_e32 v11, 32, v11
	v_sub_u32_e64 v11, v11, 4 clamp
	v_lshlrev_b32_e32 v13, v11, v5
	v_lshlrev_b32_e32 v11, 23, v11
	v_lshrrev_b32_e32 v13, 4, v13
	v_add_u32_e32 v12, 0x1000000, v5
	v_sub_u32_e32 v11, v13, v11
	v_ashrrev_i32_e32 v12, 8, v12
	v_add_u32_e32 v11, 0x3c000000, v11
	v_and_or_b32 v11, v12, s6, v11
	v_cmp_ne_u32_e32 vcc, 0, v5
	s_brev_b32 s6, 1
	s_nop 0
	v_cndmask_b32_e32 v5, 0, v11, vcc
	v_and_or_b32 v4, v4, s6, v5
	v_cvt_f64_f32_e32 v[4:5], v4
.LBB112_1473:
	s_mov_b64 s[6:7], 0
.LBB112_1474:
	s_andn2_b64 vcc, exec, s[6:7]
	s_cbranch_vccnz .LBB112_1476
; %bb.1475:
	global_load_ubyte v4, v[2:3], off
	s_movk_i32 s6, 0x7f00
	s_brev_b32 s7, 16
	s_waitcnt vmcnt(0)
	v_lshlrev_b16_e32 v5, 8, v4
	v_lshlrev_b32_e32 v4, 25, v4
	v_lshrrev_b32_e32 v11, 4, v4
	v_and_or_b32 v12, v5, s6, 0.5
	v_or_b32_e32 v11, 0x70000000, v11
	v_add_f32_e32 v12, -0.5, v12
	v_mul_f32_e32 v11, 0x7800000, v11
	v_cmp_gt_u32_e32 vcc, s7, v4
	v_bfe_i32 v5, v5, 0, 16
	s_brev_b32 s6, 1
	v_cndmask_b32_e32 v4, v11, v12, vcc
	v_and_or_b32 v4, v5, s6, v4
	v_cvt_f64_f32_e32 v[4:5], v4
.LBB112_1476:
	s_mov_b64 s[6:7], 0
	s_mov_b64 s[10:11], -1
.LBB112_1477:
	s_andn2_b64 vcc, exec, s[6:7]
	s_mov_b64 s[6:7], 0
	s_cbranch_vccnz .LBB112_1486
; %bb.1478:
	s_cmp_gt_i32 s22, 14
	s_cbranch_scc0 .LBB112_1481
; %bb.1479:
	s_cmp_eq_u32 s22, 15
	s_cbranch_scc0 .LBB112_1482
; %bb.1480:
	global_load_ushort v4, v[2:3], off
	s_mov_b64 s[0:1], 0
	s_mov_b64 s[10:11], -1
	s_waitcnt vmcnt(0)
	v_lshlrev_b32_e32 v4, 16, v4
	v_cvt_f64_f32_e32 v[4:5], v4
	s_branch .LBB112_1483
.LBB112_1481:
	s_mov_b64 s[16:17], -1
                                        ; implicit-def: $vgpr4_vgpr5
	s_branch .LBB112_1484
.LBB112_1482:
	s_mov_b64 s[0:1], -1
                                        ; implicit-def: $vgpr4_vgpr5
.LBB112_1483:
	s_mov_b64 s[16:17], 0
.LBB112_1484:
	s_and_b64 vcc, exec, s[16:17]
	s_cbranch_vccz .LBB112_1486
; %bb.1485:
	s_cmp_lg_u32 s22, 11
	s_mov_b64 s[6:7], -1
	s_cselect_b64 s[0:1], -1, 0
.LBB112_1486:
	s_and_b64 vcc, exec, s[0:1]
	s_cbranch_vccnz .LBB112_2019
; %bb.1487:
	s_andn2_b64 vcc, exec, s[6:7]
	s_cbranch_vccnz .LBB112_1489
.LBB112_1488:
	global_load_ubyte v5, v[2:3], off
	v_mov_b32_e32 v11, 0x3ff00000
	v_mov_b32_e32 v4, 0
	s_mov_b64 s[10:11], -1
	s_waitcnt vmcnt(0)
	v_cmp_ne_u16_e32 vcc, 0, v5
	s_nop 1
	v_cndmask_b32_e32 v5, 0, v11, vcc
.LBB112_1489:
	s_mov_b64 s[0:1], 0
.LBB112_1490:
	s_and_b64 vcc, exec, s[0:1]
	s_cbranch_vccz .LBB112_1539
; %bb.1491:
	s_cmp_lt_i32 s22, 5
	s_cbranch_scc1 .LBB112_1496
; %bb.1492:
	s_cmp_lt_i32 s22, 8
	s_cbranch_scc1 .LBB112_1497
	;; [unrolled: 3-line block ×3, first 2 shown]
; %bb.1494:
	s_cmp_gt_i32 s22, 9
	s_cbranch_scc0 .LBB112_1499
; %bb.1495:
	global_load_dwordx2 v[4:5], v[2:3], off
	s_mov_b64 s[0:1], 0
	s_branch .LBB112_1500
.LBB112_1496:
	s_mov_b64 s[0:1], -1
                                        ; implicit-def: $vgpr4_vgpr5
	s_branch .LBB112_1518
.LBB112_1497:
	s_mov_b64 s[0:1], -1
                                        ; implicit-def: $vgpr4_vgpr5
	s_branch .LBB112_1506
.LBB112_1498:
	s_mov_b64 s[0:1], -1
                                        ; implicit-def: $vgpr4_vgpr5
	s_branch .LBB112_1503
.LBB112_1499:
	s_mov_b64 s[0:1], -1
                                        ; implicit-def: $vgpr4_vgpr5
.LBB112_1500:
	s_andn2_b64 vcc, exec, s[0:1]
	s_cbranch_vccnz .LBB112_1502
; %bb.1501:
	global_load_dword v4, v[2:3], off
	s_waitcnt vmcnt(0)
	v_cvt_f64_f32_e32 v[4:5], v4
.LBB112_1502:
	s_mov_b64 s[0:1], 0
.LBB112_1503:
	s_andn2_b64 vcc, exec, s[0:1]
	s_cbranch_vccnz .LBB112_1505
; %bb.1504:
	global_load_dword v4, v[2:3], off
	s_waitcnt vmcnt(0)
	v_cvt_f32_f16_e32 v4, v4
	v_cvt_f64_f32_e32 v[4:5], v4
.LBB112_1505:
	s_mov_b64 s[0:1], 0
.LBB112_1506:
	s_andn2_b64 vcc, exec, s[0:1]
	s_cbranch_vccnz .LBB112_1517
; %bb.1507:
	s_cmp_lt_i32 s22, 6
	s_cbranch_scc1 .LBB112_1510
; %bb.1508:
	s_cmp_gt_i32 s22, 6
	s_cbranch_scc0 .LBB112_1511
; %bb.1509:
	global_load_dwordx2 v[4:5], v[2:3], off
	s_mov_b64 s[0:1], 0
	s_branch .LBB112_1512
.LBB112_1510:
	s_mov_b64 s[0:1], -1
                                        ; implicit-def: $vgpr4_vgpr5
	s_branch .LBB112_1515
.LBB112_1511:
	s_mov_b64 s[0:1], -1
                                        ; implicit-def: $vgpr4_vgpr5
.LBB112_1512:
	s_andn2_b64 vcc, exec, s[0:1]
	s_cbranch_vccnz .LBB112_1514
; %bb.1513:
	global_load_dword v4, v[2:3], off
	s_waitcnt vmcnt(0)
	v_cvt_f64_f32_e32 v[4:5], v4
.LBB112_1514:
	s_mov_b64 s[0:1], 0
.LBB112_1515:
	s_andn2_b64 vcc, exec, s[0:1]
	s_cbranch_vccnz .LBB112_1517
; %bb.1516:
	global_load_ushort v4, v[2:3], off
	s_waitcnt vmcnt(0)
	v_cvt_f32_f16_e32 v4, v4
	v_cvt_f64_f32_e32 v[4:5], v4
.LBB112_1517:
	s_mov_b64 s[0:1], 0
.LBB112_1518:
	s_andn2_b64 vcc, exec, s[0:1]
	s_cbranch_vccnz .LBB112_1538
; %bb.1519:
	s_cmp_lt_i32 s22, 2
	s_cbranch_scc1 .LBB112_1523
; %bb.1520:
	s_cmp_lt_i32 s22, 3
	s_cbranch_scc1 .LBB112_1524
; %bb.1521:
	s_cmp_gt_i32 s22, 3
	s_cbranch_scc0 .LBB112_1525
; %bb.1522:
	global_load_dwordx2 v[4:5], v[2:3], off
	s_mov_b64 s[0:1], 0
	s_waitcnt vmcnt(0)
	v_cvt_f64_i32_e32 v[12:13], v5
	v_cvt_f64_u32_e32 v[4:5], v4
	v_ldexp_f64 v[12:13], v[12:13], 32
	v_add_f64 v[4:5], v[12:13], v[4:5]
	s_branch .LBB112_1526
.LBB112_1523:
	s_mov_b64 s[0:1], -1
                                        ; implicit-def: $vgpr4_vgpr5
	s_branch .LBB112_1532
.LBB112_1524:
	s_mov_b64 s[0:1], -1
                                        ; implicit-def: $vgpr4_vgpr5
	s_branch .LBB112_1529
.LBB112_1525:
	s_mov_b64 s[0:1], -1
                                        ; implicit-def: $vgpr4_vgpr5
.LBB112_1526:
	s_andn2_b64 vcc, exec, s[0:1]
	s_cbranch_vccnz .LBB112_1528
; %bb.1527:
	global_load_dword v4, v[2:3], off
	s_waitcnt vmcnt(0)
	v_cvt_f64_i32_e32 v[4:5], v4
.LBB112_1528:
	s_mov_b64 s[0:1], 0
.LBB112_1529:
	s_andn2_b64 vcc, exec, s[0:1]
	s_cbranch_vccnz .LBB112_1531
; %bb.1530:
	global_load_sshort v4, v[2:3], off
	s_waitcnt vmcnt(0)
	v_cvt_f64_i32_e32 v[4:5], v4
.LBB112_1531:
	s_mov_b64 s[0:1], 0
.LBB112_1532:
	s_andn2_b64 vcc, exec, s[0:1]
	s_cbranch_vccnz .LBB112_1538
; %bb.1533:
	s_cmp_gt_i32 s22, 0
	s_cbranch_scc0 .LBB112_1535
; %bb.1534:
	global_load_sbyte v4, v[2:3], off
	s_mov_b64 s[0:1], 0
	s_waitcnt vmcnt(0)
	v_cvt_f64_i32_e32 v[4:5], v4
	s_branch .LBB112_1536
.LBB112_1535:
	s_mov_b64 s[0:1], -1
                                        ; implicit-def: $vgpr4_vgpr5
.LBB112_1536:
	s_andn2_b64 vcc, exec, s[0:1]
	s_cbranch_vccnz .LBB112_1538
; %bb.1537:
	global_load_ubyte v2, v[2:3], off
	s_waitcnt vmcnt(0)
	v_cvt_f64_u32_e32 v[4:5], v2
.LBB112_1538:
	s_mov_b64 s[10:11], -1
.LBB112_1539:
	s_andn2_b64 vcc, exec, s[10:11]
	s_cbranch_vccnz .LBB112_1973
; %bb.1540:
	s_mov_b32 s0, 0x652b82fe
	s_mov_b32 s1, 0x3ff71547
	s_waitcnt vmcnt(0)
	v_mul_f64 v[2:3], v[0:1], s[0:1]
	v_rndne_f64_e32 v[2:3], v[2:3]
	s_mov_b32 s1, 0xbfe62e42
	s_mov_b32 s0, 0xfefa39ef
	;; [unrolled: 1-line block ×3, first 2 shown]
	v_fma_f64 v[12:13], s[0:1], v[2:3], v[0:1]
	s_mov_b32 s7, 0xbc7abc9e
	v_fmac_f64_e32 v[12:13], s[6:7], v[2:3]
	s_mov_b32 s6, 0xa9d67f34
	v_mov_b32_e32 v14, 0x2a1b768b
	v_mov_b32_e32 v15, 0x3e5af4eb
	s_mov_b32 s7, 0x3e21f32e
	v_fmac_f64_e32 v[14:15], s[6:7], v[12:13]
	v_mov_b32_e32 v16, 0xe0ac05b
	v_mov_b32_e32 v17, 0x3e927e50
	v_fmac_f64_e32 v[16:17], v[12:13], v[14:15]
	v_mov_b32_e32 v14, 0x1b889c29
	v_mov_b32_e32 v15, 0x3ec71de0
	;; [unrolled: 3-line block ×8, first 2 shown]
	v_fmac_f64_e32 v[14:15], v[12:13], v[16:17]
	v_fma_f64 v[14:15], v[12:13], v[14:15], 0.5
	s_mov_b32 s6, 0
	v_mul_f64 v[14:15], v[12:13], v[14:15]
	s_mov_b32 s7, 0x40900000
	v_cvt_i32_f64_e32 v11, v[2:3]
	v_fmac_f64_e32 v[12:13], v[12:13], v[14:15]
	v_ldexp_f64 v[14:15], 1.0, v11
	v_mov_b32_e32 v11, 0x7fe00000
	v_cmp_eq_f64_e32 vcc, s[6:7], v[2:3]
	s_mov_b32 s1, 0x40862e42
	v_mul_lo_u32 v10, s8, v10
	v_cndmask_b32_e32 v3, v15, v11, vcc
	v_cndmask_b32_e64 v2, v14, 0, vcc
	v_add_f64 v[14:15], v[2:3], -1.0
	v_fmac_f64_e32 v[14:15], v[2:3], v[12:13]
	v_add_f64 v[2:3], v[14:15], v[14:15]
	v_cndmask_b32_e32 v2, v14, v2, vcc
	v_cndmask_b32_e32 v3, v15, v3, vcc
	v_cmp_nlt_f64_e32 vcc, s[0:1], v[0:1]
	s_mov_b32 s0, 0
	v_mov_b32_e32 v11, 0x7ff00000
	s_mov_b32 s1, 0xc0428000
	v_cndmask_b32_e32 v3, v11, v3, vcc
	v_mov_b32_e32 v11, 0xbff00000
	v_cmp_ngt_f64_e64 s[0:1], s[0:1], v[0:1]
	s_and_b64 vcc, s[0:1], vcc
	s_and_b32 s20, s33, 0xff
	v_cndmask_b32_e64 v1, v11, v3, s[0:1]
	v_ashrrev_i32_e32 v11, 31, v10
	v_cndmask_b32_e32 v0, 0, v2, vcc
	s_cmp_lt_i32 s20, 11
	v_lshl_add_u64 v[12:13], s[4:5], 0, v[10:11]
	s_cbranch_scc1 .LBB112_1618
; %bb.1541:
	s_and_b32 s9, 0xffff, s20
	s_mov_b64 s[16:17], -1
	s_mov_b64 s[6:7], 0
	s_cmp_gt_i32 s9, 25
	s_mov_b64 s[10:11], 0
	s_mov_b64 s[0:1], 0
	s_cbranch_scc0 .LBB112_1574
; %bb.1542:
	s_cmp_gt_i32 s9, 28
	s_cbranch_scc0 .LBB112_1557
; %bb.1543:
	s_cmp_gt_i32 s9, 43
	;; [unrolled: 3-line block ×3, first 2 shown]
	s_cbranch_scc0 .LBB112_1547
; %bb.1545:
	s_mov_b64 s[0:1], -1
	s_mov_b64 s[16:17], 0
	s_cmp_eq_u32 s9, 46
	s_cbranch_scc0 .LBB112_1547
; %bb.1546:
	v_cvt_f32_f64_e32 v2, v[0:1]
	v_bfe_u32 v3, v2, 16, 1
	s_movk_i32 s0, 0x7fff
	v_add3_u32 v3, v2, v3, s0
	v_cmp_o_f32_e32 vcc, v2, v2
	v_mov_b32_e32 v2, 0x7fc0
	s_mov_b64 s[0:1], 0
	v_cndmask_b32_sdwa v2, v2, v3, vcc dst_sel:DWORD dst_unused:UNUSED_PAD src0_sel:DWORD src1_sel:WORD_1
	global_store_dword v[12:13], v2, off
	s_mov_b64 s[10:11], -1
.LBB112_1547:
	s_and_b64 vcc, exec, s[16:17]
	s_cbranch_vccz .LBB112_1552
; %bb.1548:
	s_cmp_eq_u32 s9, 44
	s_mov_b64 s[0:1], -1
	s_cbranch_scc0 .LBB112_1552
; %bb.1549:
	v_cvt_f32_f64_e32 v2, v[0:1]
	v_bfe_u32 v3, v2, 23, 8
	s_movk_i32 s0, 0xff
	v_cmp_ne_u32_e32 vcc, s0, v3
	v_mov_b32_e32 v11, 0xff
	s_and_saveexec_b64 s[10:11], vcc
; %bb.1550:
	s_mov_b32 s0, 0x3fffff
	v_lshrrev_b32_e32 v11, 23, v2
	v_and_b32_e32 v14, 0x400000, v2
	v_and_or_b32 v2, v2, s0, v3
	v_cmp_ne_u32_e32 vcc, 0, v14
	v_cmp_ne_u32_e64 s[0:1], 0, v2
	s_and_b64 s[0:1], vcc, s[0:1]
	s_nop 0
	v_cndmask_b32_e64 v2, 0, 1, s[0:1]
	v_add_u32_e32 v11, v11, v2
; %bb.1551:
	s_or_b64 exec, exec, s[10:11]
	s_mov_b64 s[0:1], 0
	s_mov_b64 s[10:11], -1
	global_store_byte v[12:13], v11, off
.LBB112_1552:
	s_mov_b64 s[16:17], 0
.LBB112_1553:
	s_and_b64 vcc, exec, s[16:17]
	s_cbranch_vccz .LBB112_1556
; %bb.1554:
	s_cmp_eq_u32 s9, 29
	s_mov_b64 s[0:1], -1
	s_cbranch_scc0 .LBB112_1556
; %bb.1555:
	v_trunc_f64_e32 v[2:3], v[0:1]
	s_movk_i32 s0, 0xffe0
	v_ldexp_f64 v[14:15], v[2:3], s0
	v_floor_f64_e32 v[14:15], v[14:15]
	v_fmac_f64_e32 v[2:3], 0xc1f00000, v[14:15]
	v_cvt_u32_f64_e32 v17, v[14:15]
	v_cvt_u32_f64_e32 v16, v[2:3]
	global_store_dwordx2 v[12:13], v[16:17], off
	s_mov_b64 s[0:1], 0
	s_mov_b64 s[10:11], -1
.LBB112_1556:
	s_mov_b64 s[16:17], 0
.LBB112_1557:
	s_and_b64 vcc, exec, s[16:17]
	s_cbranch_vccz .LBB112_1573
; %bb.1558:
	s_cmp_lt_i32 s9, 27
	s_mov_b64 s[10:11], -1
	s_cbranch_scc1 .LBB112_1564
; %bb.1559:
	s_cmp_gt_i32 s9, 27
	v_cvt_u32_f64_e32 v2, v[0:1]
	s_cbranch_scc0 .LBB112_1561
; %bb.1560:
	s_mov_b64 s[10:11], 0
	global_store_dword v[12:13], v2, off
.LBB112_1561:
	s_andn2_b64 vcc, exec, s[10:11]
	s_cbranch_vccnz .LBB112_1563
; %bb.1562:
	global_store_short v[12:13], v2, off
.LBB112_1563:
	s_mov_b64 s[10:11], 0
.LBB112_1564:
	s_andn2_b64 vcc, exec, s[10:11]
	s_cbranch_vccnz .LBB112_1572
; %bb.1565:
	v_cvt_f32_f64_e32 v2, v[0:1]
	v_and_b32_e32 v3, 0x7fffffff, v2
	s_mov_b32 s10, 0x43800000
	v_cmp_gt_u32_e32 vcc, s10, v3
	v_mov_b32_e32 v11, 0x80
	s_and_saveexec_b64 s[10:11], vcc
	s_cbranch_execz .LBB112_1571
; %bb.1566:
	s_mov_b32 s16, 0x3bffffff
	v_cmp_lt_u32_e32 vcc, s16, v3
	s_mov_b64 s[16:17], 0
                                        ; implicit-def: $vgpr3
	s_and_saveexec_b64 s[18:19], vcc
	s_xor_b64 s[18:19], exec, s[18:19]
	s_cbranch_execz .LBB112_2020
; %bb.1567:
	v_bfe_u32 v3, v2, 20, 1
	s_mov_b32 s21, 0x487ffff
	v_add3_u32 v3, v2, v3, s21
	s_mov_b64 s[16:17], exec
	v_lshrrev_b32_e32 v3, 20, v3
	s_andn2_saveexec_b64 s[18:19], s[18:19]
	s_cbranch_execnz .LBB112_2021
.LBB112_1568:
	s_or_b64 exec, exec, s[18:19]
	v_mov_b32_e32 v11, 0
	s_and_saveexec_b64 s[18:19], s[16:17]
.LBB112_1569:
	v_lshrrev_b32_e32 v2, 24, v2
	s_movk_i32 s16, 0x80
	v_and_or_b32 v11, v2, s16, v3
.LBB112_1570:
	s_or_b64 exec, exec, s[18:19]
.LBB112_1571:
	s_or_b64 exec, exec, s[10:11]
	global_store_byte v[12:13], v11, off
.LBB112_1572:
	s_mov_b64 s[10:11], -1
.LBB112_1573:
	s_mov_b64 s[16:17], 0
.LBB112_1574:
	s_and_b64 vcc, exec, s[16:17]
	s_cbranch_vccz .LBB112_1614
; %bb.1575:
	s_cmp_gt_i32 s9, 22
	s_mov_b64 s[6:7], -1
	s_cbranch_scc0 .LBB112_1607
; %bb.1576:
	s_cmp_lt_i32 s9, 24
	s_cbranch_scc1 .LBB112_1596
; %bb.1577:
	s_cmp_gt_i32 s9, 24
	s_cbranch_scc0 .LBB112_1585
; %bb.1578:
	v_cvt_f32_f64_e32 v2, v[0:1]
	v_and_b32_e32 v3, 0x7fffffff, v2
	s_mov_b32 s6, 0x47800000
	v_cmp_gt_u32_e32 vcc, s6, v3
	v_mov_b32_e32 v11, 0x80
	s_and_saveexec_b64 s[6:7], vcc
	s_cbranch_execz .LBB112_1584
; %bb.1579:
	s_mov_b32 s10, 0x37ffffff
	v_cmp_lt_u32_e32 vcc, s10, v3
	s_mov_b64 s[10:11], 0
                                        ; implicit-def: $vgpr3
	s_and_saveexec_b64 s[16:17], vcc
	s_xor_b64 s[16:17], exec, s[16:17]
	s_cbranch_execz .LBB112_2023
; %bb.1580:
	v_bfe_u32 v3, v2, 21, 1
	s_mov_b32 s18, 0x88fffff
	v_add3_u32 v3, v2, v3, s18
	s_mov_b64 s[10:11], exec
	v_lshrrev_b32_e32 v3, 21, v3
	s_andn2_saveexec_b64 s[16:17], s[16:17]
	s_cbranch_execnz .LBB112_2024
.LBB112_1581:
	s_or_b64 exec, exec, s[16:17]
	v_mov_b32_e32 v11, 0
	s_and_saveexec_b64 s[16:17], s[10:11]
.LBB112_1582:
	v_lshrrev_b32_e32 v2, 24, v2
	s_movk_i32 s10, 0x80
	v_and_or_b32 v11, v2, s10, v3
.LBB112_1583:
	s_or_b64 exec, exec, s[16:17]
.LBB112_1584:
	s_or_b64 exec, exec, s[6:7]
	s_mov_b64 s[6:7], 0
	global_store_byte v[12:13], v11, off
.LBB112_1585:
	s_and_b64 vcc, exec, s[6:7]
	s_cbranch_vccz .LBB112_1595
; %bb.1586:
	v_cvt_f32_f64_e32 v2, v[0:1]
	v_and_b32_e32 v11, 0x7fffffff, v2
	s_mov_b32 s6, 0x43f00000
	v_cmp_gt_u32_e32 vcc, s6, v11
                                        ; implicit-def: $vgpr3
	s_and_saveexec_b64 s[6:7], vcc
	s_xor_b64 s[6:7], exec, s[6:7]
	s_cbranch_execz .LBB112_1592
; %bb.1587:
	s_mov_b32 s10, 0x3c7fffff
	v_cmp_lt_u32_e32 vcc, s10, v11
                                        ; implicit-def: $vgpr3
	s_and_saveexec_b64 s[10:11], vcc
	s_xor_b64 s[10:11], exec, s[10:11]
; %bb.1588:
	v_bfe_u32 v3, v2, 20, 1
	s_mov_b32 s16, 0x407ffff
	v_add3_u32 v3, v2, v3, s16
	v_lshrrev_b32_e32 v11, 20, v3
	v_and_b32_e32 v3, 0xff00000, v3
	s_mov_b32 s16, 0x7f00000
	v_mov_b32_e32 v14, 0x7e
	v_cmp_ne_u32_e32 vcc, s16, v3
	s_nop 1
	v_cndmask_b32_e32 v3, v14, v11, vcc
; %bb.1589:
	s_andn2_saveexec_b64 s[10:11], s[10:11]
; %bb.1590:
	s_mov_b32 s16, 0x46800000
	v_add_f32_e64 v3, |v2|, s16
; %bb.1591:
	s_or_b64 exec, exec, s[10:11]
                                        ; implicit-def: $vgpr11
.LBB112_1592:
	s_andn2_saveexec_b64 s[6:7], s[6:7]
; %bb.1593:
	s_mov_b32 s10, 0x7f800000
	v_mov_b32_e32 v3, 0x7e
	v_mov_b32_e32 v14, 0x7f
	v_cmp_lt_u32_e32 vcc, s10, v11
	s_nop 1
	v_cndmask_b32_e32 v3, v3, v14, vcc
; %bb.1594:
	s_or_b64 exec, exec, s[6:7]
	v_lshrrev_b32_e32 v2, 24, v2
	s_movk_i32 s6, 0x80
	v_and_or_b32 v2, v2, s6, v3
	global_store_byte v[12:13], v2, off
.LBB112_1595:
	s_mov_b64 s[6:7], 0
.LBB112_1596:
	s_andn2_b64 vcc, exec, s[6:7]
	s_cbranch_vccnz .LBB112_1606
; %bb.1597:
	v_cvt_f32_f64_e32 v2, v[0:1]
	v_and_b32_e32 v11, 0x7fffffff, v2
	s_mov_b32 s6, 0x47800000
	v_cmp_gt_u32_e32 vcc, s6, v11
                                        ; implicit-def: $vgpr3
	s_and_saveexec_b64 s[6:7], vcc
	s_xor_b64 s[6:7], exec, s[6:7]
	s_cbranch_execz .LBB112_1603
; %bb.1598:
	s_mov_b32 s10, 0x387fffff
	v_cmp_lt_u32_e32 vcc, s10, v11
                                        ; implicit-def: $vgpr3
	s_and_saveexec_b64 s[10:11], vcc
	s_xor_b64 s[10:11], exec, s[10:11]
; %bb.1599:
	v_bfe_u32 v3, v2, 21, 1
	s_mov_b32 s16, 0x80fffff
	v_add3_u32 v3, v2, v3, s16
	v_lshrrev_b32_e32 v3, 21, v3
; %bb.1600:
	s_andn2_saveexec_b64 s[10:11], s[10:11]
; %bb.1601:
	s_mov_b32 s16, 0x43000000
	v_add_f32_e64 v3, |v2|, s16
; %bb.1602:
	s_or_b64 exec, exec, s[10:11]
                                        ; implicit-def: $vgpr11
.LBB112_1603:
	s_andn2_saveexec_b64 s[6:7], s[6:7]
; %bb.1604:
	s_mov_b32 s10, 0x7f800000
	v_mov_b32_e32 v3, 0x7c
	v_mov_b32_e32 v14, 0x7f
	v_cmp_lt_u32_e32 vcc, s10, v11
	s_nop 1
	v_cndmask_b32_e32 v3, v3, v14, vcc
; %bb.1605:
	s_or_b64 exec, exec, s[6:7]
	v_lshrrev_b32_e32 v2, 24, v2
	s_movk_i32 s6, 0x80
	v_and_or_b32 v2, v2, s6, v3
	global_store_byte v[12:13], v2, off
.LBB112_1606:
	s_mov_b64 s[6:7], 0
	s_mov_b64 s[10:11], -1
.LBB112_1607:
	s_andn2_b64 vcc, exec, s[6:7]
	s_mov_b64 s[6:7], 0
	s_cbranch_vccnz .LBB112_1614
; %bb.1608:
	s_cmp_gt_i32 s9, 14
	s_mov_b64 s[16:17], -1
	s_cbranch_scc0 .LBB112_1612
; %bb.1609:
	s_cmp_eq_u32 s9, 15
	s_mov_b64 s[0:1], -1
	s_cbranch_scc0 .LBB112_1611
; %bb.1610:
	v_cvt_f32_f64_e32 v2, v[0:1]
	v_bfe_u32 v3, v2, 16, 1
	s_movk_i32 s0, 0x7fff
	v_add3_u32 v3, v2, v3, s0
	v_cmp_o_f32_e32 vcc, v2, v2
	v_mov_b32_e32 v2, 0x7fc0
	s_mov_b64 s[0:1], 0
	v_cndmask_b32_sdwa v2, v2, v3, vcc dst_sel:DWORD dst_unused:UNUSED_PAD src0_sel:DWORD src1_sel:WORD_1
	global_store_short v[12:13], v2, off
	s_mov_b64 s[10:11], -1
.LBB112_1611:
	s_mov_b64 s[16:17], 0
.LBB112_1612:
	s_and_b64 vcc, exec, s[16:17]
	s_cbranch_vccz .LBB112_1614
; %bb.1613:
	s_cmp_lg_u32 s9, 11
	s_mov_b64 s[6:7], -1
	s_cselect_b64 s[0:1], -1, 0
.LBB112_1614:
	s_and_b64 vcc, exec, s[0:1]
	s_cbranch_vccnz .LBB112_2022
; %bb.1615:
	s_andn2_b64 vcc, exec, s[6:7]
	s_cbranch_vccnz .LBB112_1617
.LBB112_1616:
	v_cmp_neq_f64_e32 vcc, 0, v[0:1]
	s_mov_b64 s[10:11], -1
	s_nop 0
	v_cndmask_b32_e64 v2, 0, 1, vcc
	global_store_byte v[12:13], v2, off
.LBB112_1617:
	s_mov_b64 s[0:1], 0
	s_branch .LBB112_1619
.LBB112_1618:
	s_mov_b64 s[0:1], -1
	s_mov_b64 s[10:11], 0
.LBB112_1619:
	s_and_b64 vcc, exec, s[0:1]
	s_cbranch_vccz .LBB112_1658
; %bb.1620:
	s_and_b32 s6, 0xffff, s20
	s_cmp_lt_i32 s6, 5
	s_mov_b64 s[0:1], -1
	s_cbranch_scc1 .LBB112_1641
; %bb.1621:
	s_cmp_lt_i32 s6, 8
	s_cbranch_scc1 .LBB112_1631
; %bb.1622:
	s_cmp_lt_i32 s6, 9
	s_cbranch_scc1 .LBB112_1628
; %bb.1623:
	s_cmp_gt_i32 s6, 9
	s_cbranch_scc0 .LBB112_1625
; %bb.1624:
	v_mov_b32_e32 v2, 0
	v_mov_b32_e32 v3, v2
	global_store_dwordx4 v[12:13], v[0:3], off
	s_mov_b64 s[0:1], 0
.LBB112_1625:
	s_andn2_b64 vcc, exec, s[0:1]
	s_cbranch_vccnz .LBB112_1627
; %bb.1626:
	v_cvt_f32_f64_e32 v2, v[0:1]
	v_mov_b32_e32 v3, 0
	global_store_dwordx2 v[12:13], v[2:3], off
.LBB112_1627:
	s_mov_b64 s[0:1], 0
.LBB112_1628:
	s_andn2_b64 vcc, exec, s[0:1]
	s_cbranch_vccnz .LBB112_1630
; %bb.1629:
	s_movk_i32 s0, 0x1ff
	v_and_or_b32 v2, v1, s0, v0
	v_cmp_ne_u32_e32 vcc, 0, v2
	v_lshrrev_b32_e32 v3, 8, v1
	s_movk_i32 s0, 0xffe
	v_cndmask_b32_e64 v2, 0, 1, vcc
	v_bfe_u32 v11, v1, 20, 11
	v_and_or_b32 v2, v3, s0, v2
	v_sub_u32_e32 v14, 0x3f1, v11
	v_or_b32_e32 v3, 0x1000, v2
	v_med3_i32 v14, v14, 0, 13
	v_lshrrev_b32_e32 v15, v14, v3
	v_lshlrev_b32_e32 v14, v14, v15
	v_cmp_ne_u32_e32 vcc, v14, v3
	v_add_u32_e32 v11, 0xfffffc10, v11
	v_lshl_or_b32 v14, v11, 12, v2
	v_cndmask_b32_e64 v3, 0, 1, vcc
	v_or_b32_e32 v3, v15, v3
	v_cmp_gt_i32_e32 vcc, 1, v11
	s_movk_i32 s0, 0x40f
	s_nop 0
	v_cndmask_b32_e32 v3, v14, v3, vcc
	v_and_b32_e32 v14, 7, v3
	v_cmp_lt_i32_e32 vcc, 5, v14
	v_lshrrev_b32_e32 v3, 2, v3
	s_nop 0
	v_cndmask_b32_e64 v15, 0, 1, vcc
	v_cmp_eq_u32_e32 vcc, 3, v14
	s_nop 1
	v_cndmask_b32_e64 v14, 0, 1, vcc
	v_or_b32_e32 v14, v14, v15
	v_add_u32_e32 v3, v3, v14
	v_mov_b32_e32 v14, 0x7c00
	v_cmp_gt_i32_e32 vcc, 31, v11
	v_mov_b32_e32 v15, 0x7e00
	s_nop 0
	v_cndmask_b32_e32 v3, v14, v3, vcc
	v_cmp_ne_u32_e32 vcc, 0, v2
	s_nop 1
	v_cndmask_b32_e32 v2, v14, v15, vcc
	v_cmp_eq_u32_e32 vcc, s0, v11
	s_mov_b32 s0, 0x8000
	s_nop 0
	v_cndmask_b32_e32 v2, v3, v2, vcc
	v_and_b32_sdwa v3, v1, s0 dst_sel:DWORD dst_unused:UNUSED_PAD src0_sel:WORD_1 src1_sel:DWORD
	s_mov_b32 s0, 0xffff
	v_bitop3_b32 v2, v3, s0, v2 bitop3:0xc8
	global_store_dword v[12:13], v2, off
.LBB112_1630:
	s_mov_b64 s[0:1], 0
.LBB112_1631:
	s_andn2_b64 vcc, exec, s[0:1]
	s_cbranch_vccnz .LBB112_1640
; %bb.1632:
	s_cmp_lt_i32 s6, 6
	s_mov_b64 s[0:1], -1
	s_cbranch_scc1 .LBB112_1638
; %bb.1633:
	s_cmp_gt_i32 s6, 6
	s_cbranch_scc0 .LBB112_1635
; %bb.1634:
	global_store_dwordx2 v[12:13], v[0:1], off
	s_mov_b64 s[0:1], 0
.LBB112_1635:
	s_andn2_b64 vcc, exec, s[0:1]
	s_cbranch_vccnz .LBB112_1637
; %bb.1636:
	v_cvt_f32_f64_e32 v2, v[0:1]
	global_store_dword v[12:13], v2, off
.LBB112_1637:
	s_mov_b64 s[0:1], 0
.LBB112_1638:
	s_andn2_b64 vcc, exec, s[0:1]
	s_cbranch_vccnz .LBB112_1640
; %bb.1639:
	s_movk_i32 s0, 0x1ff
	v_and_or_b32 v2, v1, s0, v0
	v_cmp_ne_u32_e32 vcc, 0, v2
	v_lshrrev_b32_e32 v3, 8, v1
	s_movk_i32 s0, 0xffe
	v_cndmask_b32_e64 v2, 0, 1, vcc
	v_bfe_u32 v11, v1, 20, 11
	v_and_or_b32 v2, v3, s0, v2
	v_sub_u32_e32 v14, 0x3f1, v11
	v_or_b32_e32 v3, 0x1000, v2
	v_med3_i32 v14, v14, 0, 13
	v_lshrrev_b32_e32 v15, v14, v3
	v_lshlrev_b32_e32 v14, v14, v15
	v_cmp_ne_u32_e32 vcc, v14, v3
	v_add_u32_e32 v11, 0xfffffc10, v11
	v_lshl_or_b32 v14, v11, 12, v2
	v_cndmask_b32_e64 v3, 0, 1, vcc
	v_or_b32_e32 v3, v15, v3
	v_cmp_gt_i32_e32 vcc, 1, v11
	s_movk_i32 s0, 0x40f
	s_nop 0
	v_cndmask_b32_e32 v3, v14, v3, vcc
	v_and_b32_e32 v14, 7, v3
	v_cmp_lt_i32_e32 vcc, 5, v14
	v_lshrrev_b32_e32 v3, 2, v3
	s_nop 0
	v_cndmask_b32_e64 v15, 0, 1, vcc
	v_cmp_eq_u32_e32 vcc, 3, v14
	s_nop 1
	v_cndmask_b32_e64 v14, 0, 1, vcc
	v_or_b32_e32 v14, v14, v15
	v_add_u32_e32 v3, v3, v14
	v_mov_b32_e32 v14, 0x7c00
	v_cmp_gt_i32_e32 vcc, 31, v11
	v_mov_b32_e32 v15, 0x7e00
	s_nop 0
	v_cndmask_b32_e32 v3, v14, v3, vcc
	v_cmp_ne_u32_e32 vcc, 0, v2
	s_nop 1
	v_cndmask_b32_e32 v2, v14, v15, vcc
	v_cmp_eq_u32_e32 vcc, s0, v11
	s_mov_b32 s0, 0x8000
	s_nop 0
	v_cndmask_b32_e32 v2, v3, v2, vcc
	v_lshrrev_b32_e32 v3, 16, v1
	v_and_or_b32 v2, v3, s0, v2
	global_store_short v[12:13], v2, off
.LBB112_1640:
	s_mov_b64 s[0:1], 0
.LBB112_1641:
	s_andn2_b64 vcc, exec, s[0:1]
	s_cbranch_vccnz .LBB112_1657
; %bb.1642:
	s_cmp_lt_i32 s6, 2
	s_mov_b64 s[0:1], -1
	s_cbranch_scc1 .LBB112_1652
; %bb.1643:
	s_cmp_lt_i32 s6, 3
	s_cbranch_scc1 .LBB112_1649
; %bb.1644:
	s_cmp_gt_i32 s6, 3
	s_cbranch_scc0 .LBB112_1646
; %bb.1645:
	v_trunc_f64_e32 v[2:3], v[0:1]
	s_movk_i32 s0, 0xffe0
	v_ldexp_f64 v[14:15], v[2:3], s0
	v_floor_f64_e32 v[14:15], v[14:15]
	v_fmac_f64_e32 v[2:3], 0xc1f00000, v[14:15]
	v_cvt_i32_f64_e32 v17, v[14:15]
	v_cvt_u32_f64_e32 v16, v[2:3]
	global_store_dwordx2 v[12:13], v[16:17], off
	s_mov_b64 s[0:1], 0
.LBB112_1646:
	s_andn2_b64 vcc, exec, s[0:1]
	s_cbranch_vccnz .LBB112_1648
; %bb.1647:
	v_cvt_i32_f64_e32 v2, v[0:1]
	global_store_dword v[12:13], v2, off
.LBB112_1648:
	s_mov_b64 s[0:1], 0
.LBB112_1649:
	s_andn2_b64 vcc, exec, s[0:1]
	s_cbranch_vccnz .LBB112_1651
; %bb.1650:
	v_cvt_i32_f64_e32 v2, v[0:1]
	global_store_short v[12:13], v2, off
.LBB112_1651:
	s_mov_b64 s[0:1], 0
.LBB112_1652:
	s_andn2_b64 vcc, exec, s[0:1]
	s_cbranch_vccnz .LBB112_1657
; %bb.1653:
	s_cmp_gt_i32 s6, 0
	s_mov_b64 s[0:1], -1
	s_cbranch_scc0 .LBB112_1655
; %bb.1654:
	v_cvt_i32_f64_e32 v2, v[0:1]
	global_store_byte v[12:13], v2, off
	s_mov_b64 s[0:1], 0
.LBB112_1655:
	s_andn2_b64 vcc, exec, s[0:1]
	s_cbranch_vccnz .LBB112_1657
; %bb.1656:
	v_trunc_f64_e32 v[0:1], v[0:1]
	s_movk_i32 s0, 0xffe0
	v_ldexp_f64 v[2:3], v[0:1], s0
	v_floor_f64_e32 v[2:3], v[2:3]
	v_fmac_f64_e32 v[0:1], 0xc1f00000, v[2:3]
	v_cvt_u32_f64_e32 v0, v[0:1]
	global_store_byte v[12:13], v0, off
.LBB112_1657:
	s_mov_b64 s[10:11], -1
.LBB112_1658:
	s_andn2_b64 vcc, exec, s[10:11]
	s_cbranch_vccnz .LBB112_1973
; %bb.1659:
	s_mov_b32 s0, 0x652b82fe
	s_mov_b32 s1, 0x3ff71547
	v_mul_f64 v[0:1], v[8:9], s[0:1]
	v_rndne_f64_e32 v[0:1], v[0:1]
	s_mov_b32 s1, 0xbfe62e42
	s_mov_b32 s0, 0xfefa39ef
	s_mov_b32 s6, 0x3b39803f
	v_fma_f64 v[2:3], s[0:1], v[0:1], v[8:9]
	s_mov_b32 s7, 0xbc7abc9e
	v_fmac_f64_e32 v[2:3], s[6:7], v[0:1]
	s_mov_b32 s6, 0xa9d67f34
	v_mov_b32_e32 v12, 0x2a1b768b
	v_mov_b32_e32 v13, 0x3e5af4eb
	s_mov_b32 s7, 0x3e21f32e
	v_fmac_f64_e32 v[12:13], s[6:7], v[2:3]
	v_mov_b32_e32 v14, 0xe0ac05b
	v_mov_b32_e32 v15, 0x3e927e50
	v_fmac_f64_e32 v[14:15], v[2:3], v[12:13]
	v_mov_b32_e32 v12, 0x1b889c29
	v_mov_b32_e32 v13, 0x3ec71de0
	;; [unrolled: 3-line block ×8, first 2 shown]
	v_fmac_f64_e32 v[12:13], v[2:3], v[14:15]
	v_fma_f64 v[12:13], v[2:3], v[12:13], 0.5
	s_mov_b32 s6, 0
	v_mul_f64 v[12:13], v[2:3], v[12:13]
	s_mov_b32 s7, 0x40900000
	v_cvt_i32_f64_e32 v11, v[0:1]
	v_fmac_f64_e32 v[2:3], v[2:3], v[12:13]
	v_ldexp_f64 v[12:13], 1.0, v11
	v_mov_b32_e32 v11, 0x7fe00000
	v_cmp_eq_f64_e32 vcc, s[6:7], v[0:1]
	s_mov_b32 s1, 0x40862e42
	s_lshl_b32 s18, s8, 7
	v_cndmask_b32_e32 v1, v13, v11, vcc
	v_cndmask_b32_e64 v0, v12, 0, vcc
	v_add_f64 v[12:13], v[0:1], -1.0
	v_fmac_f64_e32 v[12:13], v[0:1], v[2:3]
	v_add_f64 v[0:1], v[12:13], v[12:13]
	v_cndmask_b32_e32 v0, v12, v0, vcc
	v_cndmask_b32_e32 v1, v13, v1, vcc
	v_cmp_nlt_f64_e32 vcc, s[0:1], v[8:9]
	s_mov_b32 s0, 0
	s_mov_b32 s1, 0xc0428000
	v_mov_b32_e32 v2, 0x7ff00000
	v_cmp_ngt_f64_e64 s[0:1], s[0:1], v[8:9]
	v_add_u32_e32 v8, s18, v10
	v_cndmask_b32_e32 v1, v2, v1, vcc
	v_mov_b32_e32 v2, 0xbff00000
	s_and_b64 vcc, s[0:1], vcc
	v_ashrrev_i32_e32 v9, 31, v8
	v_cndmask_b32_e64 v1, v2, v1, s[0:1]
	v_cndmask_b32_e32 v0, 0, v0, vcc
	s_cmp_lt_i32 s20, 11
	v_lshl_add_u64 v[10:11], s[4:5], 0, v[8:9]
	s_cbranch_scc1 .LBB112_1737
; %bb.1660:
	s_and_b32 s19, 0xffff, s20
	s_mov_b64 s[10:11], -1
	s_mov_b64 s[6:7], 0
	s_cmp_gt_i32 s19, 25
	s_mov_b64 s[8:9], 0
	s_mov_b64 s[0:1], 0
	s_cbranch_scc0 .LBB112_1693
; %bb.1661:
	s_cmp_gt_i32 s19, 28
	s_cbranch_scc0 .LBB112_1676
; %bb.1662:
	s_cmp_gt_i32 s19, 43
	;; [unrolled: 3-line block ×3, first 2 shown]
	s_cbranch_scc0 .LBB112_1666
; %bb.1664:
	s_mov_b64 s[0:1], -1
	s_mov_b64 s[10:11], 0
	s_cmp_eq_u32 s19, 46
	s_cbranch_scc0 .LBB112_1666
; %bb.1665:
	v_cvt_f32_f64_e32 v2, v[0:1]
	v_bfe_u32 v3, v2, 16, 1
	s_movk_i32 s0, 0x7fff
	v_add3_u32 v3, v2, v3, s0
	v_cmp_o_f32_e32 vcc, v2, v2
	v_mov_b32_e32 v2, 0x7fc0
	s_mov_b64 s[0:1], 0
	v_cndmask_b32_sdwa v2, v2, v3, vcc dst_sel:DWORD dst_unused:UNUSED_PAD src0_sel:DWORD src1_sel:WORD_1
	global_store_dword v[10:11], v2, off
	s_mov_b64 s[8:9], -1
.LBB112_1666:
	s_and_b64 vcc, exec, s[10:11]
	s_cbranch_vccz .LBB112_1671
; %bb.1667:
	s_cmp_eq_u32 s19, 44
	s_mov_b64 s[0:1], -1
	s_cbranch_scc0 .LBB112_1671
; %bb.1668:
	v_cvt_f32_f64_e32 v2, v[0:1]
	v_bfe_u32 v3, v2, 23, 8
	s_movk_i32 s0, 0xff
	v_cmp_ne_u32_e32 vcc, s0, v3
	v_mov_b32_e32 v9, 0xff
	s_and_saveexec_b64 s[8:9], vcc
; %bb.1669:
	s_mov_b32 s0, 0x3fffff
	v_lshrrev_b32_e32 v9, 23, v2
	v_and_b32_e32 v12, 0x400000, v2
	v_and_or_b32 v2, v2, s0, v3
	v_cmp_ne_u32_e32 vcc, 0, v12
	v_cmp_ne_u32_e64 s[0:1], 0, v2
	s_and_b64 s[0:1], vcc, s[0:1]
	s_nop 0
	v_cndmask_b32_e64 v2, 0, 1, s[0:1]
	v_add_u32_e32 v9, v9, v2
; %bb.1670:
	s_or_b64 exec, exec, s[8:9]
	s_mov_b64 s[0:1], 0
	s_mov_b64 s[8:9], -1
	global_store_byte v[10:11], v9, off
.LBB112_1671:
	s_mov_b64 s[10:11], 0
.LBB112_1672:
	s_and_b64 vcc, exec, s[10:11]
	s_cbranch_vccz .LBB112_1675
; %bb.1673:
	s_cmp_eq_u32 s19, 29
	s_mov_b64 s[0:1], -1
	s_cbranch_scc0 .LBB112_1675
; %bb.1674:
	v_trunc_f64_e32 v[2:3], v[0:1]
	s_movk_i32 s0, 0xffe0
	v_ldexp_f64 v[12:13], v[2:3], s0
	v_floor_f64_e32 v[12:13], v[12:13]
	v_fmac_f64_e32 v[2:3], 0xc1f00000, v[12:13]
	v_cvt_u32_f64_e32 v15, v[12:13]
	v_cvt_u32_f64_e32 v14, v[2:3]
	global_store_dwordx2 v[10:11], v[14:15], off
	s_mov_b64 s[0:1], 0
	s_mov_b64 s[8:9], -1
.LBB112_1675:
	s_mov_b64 s[10:11], 0
.LBB112_1676:
	s_and_b64 vcc, exec, s[10:11]
	s_cbranch_vccz .LBB112_1692
; %bb.1677:
	s_cmp_lt_i32 s19, 27
	s_mov_b64 s[8:9], -1
	s_cbranch_scc1 .LBB112_1683
; %bb.1678:
	s_cmp_gt_i32 s19, 27
	v_cvt_u32_f64_e32 v2, v[0:1]
	s_cbranch_scc0 .LBB112_1680
; %bb.1679:
	s_mov_b64 s[8:9], 0
	global_store_dword v[10:11], v2, off
.LBB112_1680:
	s_andn2_b64 vcc, exec, s[8:9]
	s_cbranch_vccnz .LBB112_1682
; %bb.1681:
	global_store_short v[10:11], v2, off
.LBB112_1682:
	s_mov_b64 s[8:9], 0
.LBB112_1683:
	s_andn2_b64 vcc, exec, s[8:9]
	s_cbranch_vccnz .LBB112_1691
; %bb.1684:
	v_cvt_f32_f64_e32 v2, v[0:1]
	v_and_b32_e32 v3, 0x7fffffff, v2
	s_mov_b32 s8, 0x43800000
	v_cmp_gt_u32_e32 vcc, s8, v3
	v_mov_b32_e32 v9, 0x80
	s_and_saveexec_b64 s[8:9], vcc
	s_cbranch_execz .LBB112_1690
; %bb.1685:
	s_mov_b32 s10, 0x3bffffff
	v_cmp_lt_u32_e32 vcc, s10, v3
	s_mov_b64 s[10:11], 0
                                        ; implicit-def: $vgpr3
	s_and_saveexec_b64 s[16:17], vcc
	s_xor_b64 s[16:17], exec, s[16:17]
	s_cbranch_execz .LBB112_2025
; %bb.1686:
	v_bfe_u32 v3, v2, 20, 1
	s_mov_b32 s21, 0x487ffff
	v_add3_u32 v3, v2, v3, s21
	s_mov_b64 s[10:11], exec
	v_lshrrev_b32_e32 v3, 20, v3
	s_andn2_saveexec_b64 s[16:17], s[16:17]
	s_cbranch_execnz .LBB112_2026
.LBB112_1687:
	s_or_b64 exec, exec, s[16:17]
	v_mov_b32_e32 v9, 0
	s_and_saveexec_b64 s[16:17], s[10:11]
.LBB112_1688:
	v_lshrrev_b32_e32 v2, 24, v2
	s_movk_i32 s10, 0x80
	v_and_or_b32 v9, v2, s10, v3
.LBB112_1689:
	s_or_b64 exec, exec, s[16:17]
.LBB112_1690:
	s_or_b64 exec, exec, s[8:9]
	global_store_byte v[10:11], v9, off
.LBB112_1691:
	s_mov_b64 s[8:9], -1
.LBB112_1692:
	s_mov_b64 s[10:11], 0
.LBB112_1693:
	s_and_b64 vcc, exec, s[10:11]
	s_cbranch_vccz .LBB112_1733
; %bb.1694:
	s_cmp_gt_i32 s19, 22
	s_mov_b64 s[6:7], -1
	s_cbranch_scc0 .LBB112_1726
; %bb.1695:
	s_cmp_lt_i32 s19, 24
	s_cbranch_scc1 .LBB112_1715
; %bb.1696:
	s_cmp_gt_i32 s19, 24
	s_cbranch_scc0 .LBB112_1704
; %bb.1697:
	v_cvt_f32_f64_e32 v2, v[0:1]
	v_and_b32_e32 v3, 0x7fffffff, v2
	s_mov_b32 s6, 0x47800000
	v_cmp_gt_u32_e32 vcc, s6, v3
	v_mov_b32_e32 v9, 0x80
	s_and_saveexec_b64 s[6:7], vcc
	s_cbranch_execz .LBB112_1703
; %bb.1698:
	s_mov_b32 s8, 0x37ffffff
	v_cmp_lt_u32_e32 vcc, s8, v3
	s_mov_b64 s[8:9], 0
                                        ; implicit-def: $vgpr3
	s_and_saveexec_b64 s[10:11], vcc
	s_xor_b64 s[10:11], exec, s[10:11]
	s_cbranch_execz .LBB112_2028
; %bb.1699:
	v_bfe_u32 v3, v2, 21, 1
	s_mov_b32 s16, 0x88fffff
	v_add3_u32 v3, v2, v3, s16
	s_mov_b64 s[8:9], exec
	v_lshrrev_b32_e32 v3, 21, v3
	s_andn2_saveexec_b64 s[10:11], s[10:11]
	s_cbranch_execnz .LBB112_2029
.LBB112_1700:
	s_or_b64 exec, exec, s[10:11]
	v_mov_b32_e32 v9, 0
	s_and_saveexec_b64 s[10:11], s[8:9]
.LBB112_1701:
	v_lshrrev_b32_e32 v2, 24, v2
	s_movk_i32 s8, 0x80
	v_and_or_b32 v9, v2, s8, v3
.LBB112_1702:
	s_or_b64 exec, exec, s[10:11]
.LBB112_1703:
	s_or_b64 exec, exec, s[6:7]
	s_mov_b64 s[6:7], 0
	global_store_byte v[10:11], v9, off
.LBB112_1704:
	s_and_b64 vcc, exec, s[6:7]
	s_cbranch_vccz .LBB112_1714
; %bb.1705:
	v_cvt_f32_f64_e32 v2, v[0:1]
	v_and_b32_e32 v9, 0x7fffffff, v2
	s_mov_b32 s6, 0x43f00000
	v_cmp_gt_u32_e32 vcc, s6, v9
                                        ; implicit-def: $vgpr3
	s_and_saveexec_b64 s[6:7], vcc
	s_xor_b64 s[6:7], exec, s[6:7]
	s_cbranch_execz .LBB112_1711
; %bb.1706:
	s_mov_b32 s8, 0x3c7fffff
	v_cmp_lt_u32_e32 vcc, s8, v9
                                        ; implicit-def: $vgpr3
	s_and_saveexec_b64 s[8:9], vcc
	s_xor_b64 s[8:9], exec, s[8:9]
; %bb.1707:
	v_bfe_u32 v3, v2, 20, 1
	s_mov_b32 s10, 0x407ffff
	v_add3_u32 v3, v2, v3, s10
	v_lshrrev_b32_e32 v9, 20, v3
	v_and_b32_e32 v3, 0xff00000, v3
	s_mov_b32 s10, 0x7f00000
	v_mov_b32_e32 v12, 0x7e
	v_cmp_ne_u32_e32 vcc, s10, v3
	s_nop 1
	v_cndmask_b32_e32 v3, v12, v9, vcc
; %bb.1708:
	s_andn2_saveexec_b64 s[8:9], s[8:9]
; %bb.1709:
	s_mov_b32 s10, 0x46800000
	v_add_f32_e64 v3, |v2|, s10
; %bb.1710:
	s_or_b64 exec, exec, s[8:9]
                                        ; implicit-def: $vgpr9
.LBB112_1711:
	s_andn2_saveexec_b64 s[6:7], s[6:7]
; %bb.1712:
	s_mov_b32 s8, 0x7f800000
	v_mov_b32_e32 v3, 0x7e
	v_mov_b32_e32 v12, 0x7f
	v_cmp_lt_u32_e32 vcc, s8, v9
	s_nop 1
	v_cndmask_b32_e32 v3, v3, v12, vcc
; %bb.1713:
	s_or_b64 exec, exec, s[6:7]
	v_lshrrev_b32_e32 v2, 24, v2
	s_movk_i32 s6, 0x80
	v_and_or_b32 v2, v2, s6, v3
	global_store_byte v[10:11], v2, off
.LBB112_1714:
	s_mov_b64 s[6:7], 0
.LBB112_1715:
	s_andn2_b64 vcc, exec, s[6:7]
	s_cbranch_vccnz .LBB112_1725
; %bb.1716:
	v_cvt_f32_f64_e32 v2, v[0:1]
	v_and_b32_e32 v9, 0x7fffffff, v2
	s_mov_b32 s6, 0x47800000
	v_cmp_gt_u32_e32 vcc, s6, v9
                                        ; implicit-def: $vgpr3
	s_and_saveexec_b64 s[6:7], vcc
	s_xor_b64 s[6:7], exec, s[6:7]
	s_cbranch_execz .LBB112_1722
; %bb.1717:
	s_mov_b32 s8, 0x387fffff
	v_cmp_lt_u32_e32 vcc, s8, v9
                                        ; implicit-def: $vgpr3
	s_and_saveexec_b64 s[8:9], vcc
	s_xor_b64 s[8:9], exec, s[8:9]
; %bb.1718:
	v_bfe_u32 v3, v2, 21, 1
	s_mov_b32 s10, 0x80fffff
	v_add3_u32 v3, v2, v3, s10
	v_lshrrev_b32_e32 v3, 21, v3
; %bb.1719:
	s_andn2_saveexec_b64 s[8:9], s[8:9]
; %bb.1720:
	s_mov_b32 s10, 0x43000000
	v_add_f32_e64 v3, |v2|, s10
; %bb.1721:
	s_or_b64 exec, exec, s[8:9]
                                        ; implicit-def: $vgpr9
.LBB112_1722:
	s_andn2_saveexec_b64 s[6:7], s[6:7]
; %bb.1723:
	s_mov_b32 s8, 0x7f800000
	v_mov_b32_e32 v3, 0x7c
	v_mov_b32_e32 v12, 0x7f
	v_cmp_lt_u32_e32 vcc, s8, v9
	s_nop 1
	v_cndmask_b32_e32 v3, v3, v12, vcc
; %bb.1724:
	s_or_b64 exec, exec, s[6:7]
	v_lshrrev_b32_e32 v2, 24, v2
	s_movk_i32 s6, 0x80
	v_and_or_b32 v2, v2, s6, v3
	global_store_byte v[10:11], v2, off
.LBB112_1725:
	s_mov_b64 s[6:7], 0
	s_mov_b64 s[8:9], -1
.LBB112_1726:
	s_andn2_b64 vcc, exec, s[6:7]
	s_mov_b64 s[6:7], 0
	s_cbranch_vccnz .LBB112_1733
; %bb.1727:
	s_cmp_gt_i32 s19, 14
	s_mov_b64 s[10:11], -1
	s_cbranch_scc0 .LBB112_1731
; %bb.1728:
	s_cmp_eq_u32 s19, 15
	s_mov_b64 s[0:1], -1
	s_cbranch_scc0 .LBB112_1730
; %bb.1729:
	v_cvt_f32_f64_e32 v2, v[0:1]
	v_bfe_u32 v3, v2, 16, 1
	s_movk_i32 s0, 0x7fff
	v_add3_u32 v3, v2, v3, s0
	v_cmp_o_f32_e32 vcc, v2, v2
	v_mov_b32_e32 v2, 0x7fc0
	s_mov_b64 s[0:1], 0
	v_cndmask_b32_sdwa v2, v2, v3, vcc dst_sel:DWORD dst_unused:UNUSED_PAD src0_sel:DWORD src1_sel:WORD_1
	global_store_short v[10:11], v2, off
	s_mov_b64 s[8:9], -1
.LBB112_1730:
	s_mov_b64 s[10:11], 0
.LBB112_1731:
	s_and_b64 vcc, exec, s[10:11]
	s_cbranch_vccz .LBB112_1733
; %bb.1732:
	s_cmp_lg_u32 s19, 11
	s_mov_b64 s[6:7], -1
	s_cselect_b64 s[0:1], -1, 0
.LBB112_1733:
	s_and_b64 vcc, exec, s[0:1]
	s_cbranch_vccnz .LBB112_2027
; %bb.1734:
	s_andn2_b64 vcc, exec, s[6:7]
	s_cbranch_vccnz .LBB112_1736
.LBB112_1735:
	v_cmp_neq_f64_e32 vcc, 0, v[0:1]
	s_mov_b64 s[8:9], -1
	s_nop 0
	v_cndmask_b32_e64 v2, 0, 1, vcc
	global_store_byte v[10:11], v2, off
.LBB112_1736:
	s_mov_b64 s[0:1], 0
	s_branch .LBB112_1738
.LBB112_1737:
	s_mov_b64 s[0:1], -1
	s_mov_b64 s[8:9], 0
.LBB112_1738:
	s_and_b64 vcc, exec, s[0:1]
	s_cbranch_vccz .LBB112_1777
; %bb.1739:
	s_and_b32 s6, 0xffff, s20
	s_cmp_lt_i32 s6, 5
	s_mov_b64 s[0:1], -1
	s_cbranch_scc1 .LBB112_1760
; %bb.1740:
	s_cmp_lt_i32 s6, 8
	s_cbranch_scc1 .LBB112_1750
; %bb.1741:
	s_cmp_lt_i32 s6, 9
	s_cbranch_scc1 .LBB112_1747
; %bb.1742:
	s_cmp_gt_i32 s6, 9
	s_cbranch_scc0 .LBB112_1744
; %bb.1743:
	v_mov_b32_e32 v2, 0
	v_mov_b32_e32 v3, v2
	global_store_dwordx4 v[10:11], v[0:3], off
	s_mov_b64 s[0:1], 0
.LBB112_1744:
	s_andn2_b64 vcc, exec, s[0:1]
	s_cbranch_vccnz .LBB112_1746
; %bb.1745:
	v_cvt_f32_f64_e32 v2, v[0:1]
	v_mov_b32_e32 v3, 0
	global_store_dwordx2 v[10:11], v[2:3], off
.LBB112_1746:
	s_mov_b64 s[0:1], 0
.LBB112_1747:
	s_andn2_b64 vcc, exec, s[0:1]
	s_cbranch_vccnz .LBB112_1749
; %bb.1748:
	s_movk_i32 s0, 0x1ff
	v_and_or_b32 v2, v1, s0, v0
	v_cmp_ne_u32_e32 vcc, 0, v2
	v_lshrrev_b32_e32 v3, 8, v1
	s_movk_i32 s0, 0xffe
	v_cndmask_b32_e64 v2, 0, 1, vcc
	v_bfe_u32 v9, v1, 20, 11
	v_and_or_b32 v2, v3, s0, v2
	v_sub_u32_e32 v12, 0x3f1, v9
	v_or_b32_e32 v3, 0x1000, v2
	v_med3_i32 v12, v12, 0, 13
	v_lshrrev_b32_e32 v13, v12, v3
	v_lshlrev_b32_e32 v12, v12, v13
	v_cmp_ne_u32_e32 vcc, v12, v3
	v_add_u32_e32 v9, 0xfffffc10, v9
	v_lshl_or_b32 v12, v9, 12, v2
	v_cndmask_b32_e64 v3, 0, 1, vcc
	v_or_b32_e32 v3, v13, v3
	v_cmp_gt_i32_e32 vcc, 1, v9
	s_movk_i32 s0, 0x40f
	s_nop 0
	v_cndmask_b32_e32 v3, v12, v3, vcc
	v_and_b32_e32 v12, 7, v3
	v_cmp_lt_i32_e32 vcc, 5, v12
	v_lshrrev_b32_e32 v3, 2, v3
	s_nop 0
	v_cndmask_b32_e64 v13, 0, 1, vcc
	v_cmp_eq_u32_e32 vcc, 3, v12
	s_nop 1
	v_cndmask_b32_e64 v12, 0, 1, vcc
	v_or_b32_e32 v12, v12, v13
	v_add_u32_e32 v3, v3, v12
	v_mov_b32_e32 v12, 0x7c00
	v_cmp_gt_i32_e32 vcc, 31, v9
	v_mov_b32_e32 v13, 0x7e00
	s_nop 0
	v_cndmask_b32_e32 v3, v12, v3, vcc
	v_cmp_ne_u32_e32 vcc, 0, v2
	s_nop 1
	v_cndmask_b32_e32 v2, v12, v13, vcc
	v_cmp_eq_u32_e32 vcc, s0, v9
	s_mov_b32 s0, 0x8000
	s_nop 0
	v_cndmask_b32_e32 v2, v3, v2, vcc
	v_and_b32_sdwa v3, v1, s0 dst_sel:DWORD dst_unused:UNUSED_PAD src0_sel:WORD_1 src1_sel:DWORD
	s_mov_b32 s0, 0xffff
	v_bitop3_b32 v2, v3, s0, v2 bitop3:0xc8
	global_store_dword v[10:11], v2, off
.LBB112_1749:
	s_mov_b64 s[0:1], 0
.LBB112_1750:
	s_andn2_b64 vcc, exec, s[0:1]
	s_cbranch_vccnz .LBB112_1759
; %bb.1751:
	s_cmp_lt_i32 s6, 6
	s_mov_b64 s[0:1], -1
	s_cbranch_scc1 .LBB112_1757
; %bb.1752:
	s_cmp_gt_i32 s6, 6
	s_cbranch_scc0 .LBB112_1754
; %bb.1753:
	global_store_dwordx2 v[10:11], v[0:1], off
	s_mov_b64 s[0:1], 0
.LBB112_1754:
	s_andn2_b64 vcc, exec, s[0:1]
	s_cbranch_vccnz .LBB112_1756
; %bb.1755:
	v_cvt_f32_f64_e32 v2, v[0:1]
	global_store_dword v[10:11], v2, off
.LBB112_1756:
	s_mov_b64 s[0:1], 0
.LBB112_1757:
	s_andn2_b64 vcc, exec, s[0:1]
	s_cbranch_vccnz .LBB112_1759
; %bb.1758:
	s_movk_i32 s0, 0x1ff
	v_and_or_b32 v2, v1, s0, v0
	v_cmp_ne_u32_e32 vcc, 0, v2
	v_lshrrev_b32_e32 v3, 8, v1
	s_movk_i32 s0, 0xffe
	v_cndmask_b32_e64 v2, 0, 1, vcc
	v_bfe_u32 v9, v1, 20, 11
	v_and_or_b32 v2, v3, s0, v2
	v_sub_u32_e32 v12, 0x3f1, v9
	v_or_b32_e32 v3, 0x1000, v2
	v_med3_i32 v12, v12, 0, 13
	v_lshrrev_b32_e32 v13, v12, v3
	v_lshlrev_b32_e32 v12, v12, v13
	v_cmp_ne_u32_e32 vcc, v12, v3
	v_add_u32_e32 v9, 0xfffffc10, v9
	v_lshl_or_b32 v12, v9, 12, v2
	v_cndmask_b32_e64 v3, 0, 1, vcc
	v_or_b32_e32 v3, v13, v3
	v_cmp_gt_i32_e32 vcc, 1, v9
	s_movk_i32 s0, 0x40f
	s_nop 0
	v_cndmask_b32_e32 v3, v12, v3, vcc
	v_and_b32_e32 v12, 7, v3
	v_cmp_lt_i32_e32 vcc, 5, v12
	v_lshrrev_b32_e32 v3, 2, v3
	s_nop 0
	v_cndmask_b32_e64 v13, 0, 1, vcc
	v_cmp_eq_u32_e32 vcc, 3, v12
	s_nop 1
	v_cndmask_b32_e64 v12, 0, 1, vcc
	v_or_b32_e32 v12, v12, v13
	v_add_u32_e32 v3, v3, v12
	v_mov_b32_e32 v12, 0x7c00
	v_cmp_gt_i32_e32 vcc, 31, v9
	v_mov_b32_e32 v13, 0x7e00
	s_nop 0
	v_cndmask_b32_e32 v3, v12, v3, vcc
	v_cmp_ne_u32_e32 vcc, 0, v2
	s_nop 1
	v_cndmask_b32_e32 v2, v12, v13, vcc
	v_cmp_eq_u32_e32 vcc, s0, v9
	s_mov_b32 s0, 0x8000
	s_nop 0
	v_cndmask_b32_e32 v2, v3, v2, vcc
	v_lshrrev_b32_e32 v3, 16, v1
	v_and_or_b32 v2, v3, s0, v2
	global_store_short v[10:11], v2, off
.LBB112_1759:
	s_mov_b64 s[0:1], 0
.LBB112_1760:
	s_andn2_b64 vcc, exec, s[0:1]
	s_cbranch_vccnz .LBB112_1776
; %bb.1761:
	s_cmp_lt_i32 s6, 2
	s_mov_b64 s[0:1], -1
	s_cbranch_scc1 .LBB112_1771
; %bb.1762:
	s_cmp_lt_i32 s6, 3
	s_cbranch_scc1 .LBB112_1768
; %bb.1763:
	s_cmp_gt_i32 s6, 3
	s_cbranch_scc0 .LBB112_1765
; %bb.1764:
	v_trunc_f64_e32 v[2:3], v[0:1]
	s_movk_i32 s0, 0xffe0
	v_ldexp_f64 v[12:13], v[2:3], s0
	v_floor_f64_e32 v[12:13], v[12:13]
	v_fmac_f64_e32 v[2:3], 0xc1f00000, v[12:13]
	v_cvt_i32_f64_e32 v15, v[12:13]
	v_cvt_u32_f64_e32 v14, v[2:3]
	global_store_dwordx2 v[10:11], v[14:15], off
	s_mov_b64 s[0:1], 0
.LBB112_1765:
	s_andn2_b64 vcc, exec, s[0:1]
	s_cbranch_vccnz .LBB112_1767
; %bb.1766:
	v_cvt_i32_f64_e32 v2, v[0:1]
	global_store_dword v[10:11], v2, off
.LBB112_1767:
	s_mov_b64 s[0:1], 0
.LBB112_1768:
	s_andn2_b64 vcc, exec, s[0:1]
	s_cbranch_vccnz .LBB112_1770
; %bb.1769:
	v_cvt_i32_f64_e32 v2, v[0:1]
	global_store_short v[10:11], v2, off
.LBB112_1770:
	s_mov_b64 s[0:1], 0
.LBB112_1771:
	s_andn2_b64 vcc, exec, s[0:1]
	s_cbranch_vccnz .LBB112_1776
; %bb.1772:
	s_cmp_gt_i32 s6, 0
	s_mov_b64 s[0:1], -1
	s_cbranch_scc0 .LBB112_1774
; %bb.1773:
	v_cvt_i32_f64_e32 v2, v[0:1]
	global_store_byte v[10:11], v2, off
	s_mov_b64 s[0:1], 0
.LBB112_1774:
	s_andn2_b64 vcc, exec, s[0:1]
	s_cbranch_vccnz .LBB112_1776
; %bb.1775:
	v_trunc_f64_e32 v[0:1], v[0:1]
	s_movk_i32 s0, 0xffe0
	v_ldexp_f64 v[2:3], v[0:1], s0
	v_floor_f64_e32 v[2:3], v[2:3]
	v_fmac_f64_e32 v[0:1], 0xc1f00000, v[2:3]
	v_cvt_u32_f64_e32 v0, v[0:1]
	global_store_byte v[10:11], v0, off
.LBB112_1776:
	s_mov_b64 s[8:9], -1
.LBB112_1777:
	s_andn2_b64 vcc, exec, s[8:9]
	s_cbranch_vccnz .LBB112_1973
; %bb.1778:
	s_mov_b32 s0, 0x652b82fe
	s_mov_b32 s1, 0x3ff71547
	v_mul_f64 v[0:1], v[6:7], s[0:1]
	v_rndne_f64_e32 v[0:1], v[0:1]
	s_mov_b32 s1, 0xbfe62e42
	s_mov_b32 s0, 0xfefa39ef
	;; [unrolled: 1-line block ×3, first 2 shown]
	v_fma_f64 v[2:3], s[0:1], v[0:1], v[6:7]
	s_mov_b32 s7, 0xbc7abc9e
	v_fmac_f64_e32 v[2:3], s[6:7], v[0:1]
	s_mov_b32 s6, 0xa9d67f34
	v_mov_b32_e32 v10, 0x2a1b768b
	v_mov_b32_e32 v11, 0x3e5af4eb
	s_mov_b32 s7, 0x3e21f32e
	v_fmac_f64_e32 v[10:11], s[6:7], v[2:3]
	v_mov_b32_e32 v12, 0xe0ac05b
	v_mov_b32_e32 v13, 0x3e927e50
	v_fmac_f64_e32 v[12:13], v[2:3], v[10:11]
	v_mov_b32_e32 v10, 0x1b889c29
	v_mov_b32_e32 v11, 0x3ec71de0
	;; [unrolled: 3-line block ×8, first 2 shown]
	v_fmac_f64_e32 v[10:11], v[2:3], v[12:13]
	v_fma_f64 v[10:11], v[2:3], v[10:11], 0.5
	s_mov_b32 s6, 0
	v_mul_f64 v[10:11], v[2:3], v[10:11]
	s_mov_b32 s7, 0x40900000
	v_cvt_i32_f64_e32 v9, v[0:1]
	v_fmac_f64_e32 v[2:3], v[2:3], v[10:11]
	v_ldexp_f64 v[10:11], 1.0, v9
	v_mov_b32_e32 v9, 0x7fe00000
	v_cmp_eq_f64_e32 vcc, s[6:7], v[0:1]
	s_mov_b32 s1, 0x40862e42
	s_nop 0
	v_cndmask_b32_e32 v1, v11, v9, vcc
	v_cndmask_b32_e64 v0, v10, 0, vcc
	v_add_f64 v[10:11], v[0:1], -1.0
	v_fmac_f64_e32 v[10:11], v[0:1], v[2:3]
	v_add_f64 v[0:1], v[10:11], v[10:11]
	v_cndmask_b32_e32 v0, v10, v0, vcc
	v_cndmask_b32_e32 v1, v11, v1, vcc
	v_cmp_nlt_f64_e32 vcc, s[0:1], v[6:7]
	s_mov_b32 s0, 0
	s_mov_b32 s1, 0xc0428000
	v_mov_b32_e32 v2, 0x7ff00000
	v_cmp_ngt_f64_e64 s[0:1], s[0:1], v[6:7]
	v_add_u32_e32 v6, s18, v8
	v_cndmask_b32_e32 v1, v2, v1, vcc
	v_mov_b32_e32 v2, 0xbff00000
	s_and_b64 vcc, s[0:1], vcc
	v_ashrrev_i32_e32 v7, 31, v6
	v_cndmask_b32_e64 v1, v2, v1, s[0:1]
	v_cndmask_b32_e32 v0, 0, v0, vcc
	s_cmp_lt_i32 s20, 11
	v_lshl_add_u64 v[8:9], s[4:5], 0, v[6:7]
	s_cbranch_scc1 .LBB112_1856
; %bb.1779:
	s_and_b32 s19, 0xffff, s20
	s_mov_b64 s[10:11], -1
	s_mov_b64 s[6:7], 0
	s_cmp_gt_i32 s19, 25
	s_mov_b64 s[8:9], 0
	s_mov_b64 s[0:1], 0
	s_cbranch_scc0 .LBB112_1812
; %bb.1780:
	s_cmp_gt_i32 s19, 28
	s_cbranch_scc0 .LBB112_1795
; %bb.1781:
	s_cmp_gt_i32 s19, 43
	s_cbranch_scc0 .LBB112_1791
; %bb.1782:
	s_cmp_gt_i32 s19, 45
	s_cbranch_scc0 .LBB112_1785
; %bb.1783:
	s_mov_b64 s[0:1], -1
	s_mov_b64 s[10:11], 0
	s_cmp_eq_u32 s19, 46
	s_cbranch_scc0 .LBB112_1785
; %bb.1784:
	v_cvt_f32_f64_e32 v2, v[0:1]
	v_bfe_u32 v3, v2, 16, 1
	s_movk_i32 s0, 0x7fff
	v_add3_u32 v3, v2, v3, s0
	v_cmp_o_f32_e32 vcc, v2, v2
	v_mov_b32_e32 v2, 0x7fc0
	s_mov_b64 s[0:1], 0
	v_cndmask_b32_sdwa v2, v2, v3, vcc dst_sel:DWORD dst_unused:UNUSED_PAD src0_sel:DWORD src1_sel:WORD_1
	global_store_dword v[8:9], v2, off
	s_mov_b64 s[8:9], -1
.LBB112_1785:
	s_and_b64 vcc, exec, s[10:11]
	s_cbranch_vccz .LBB112_1790
; %bb.1786:
	s_cmp_eq_u32 s19, 44
	s_mov_b64 s[0:1], -1
	s_cbranch_scc0 .LBB112_1790
; %bb.1787:
	v_cvt_f32_f64_e32 v2, v[0:1]
	v_bfe_u32 v3, v2, 23, 8
	s_movk_i32 s0, 0xff
	v_cmp_ne_u32_e32 vcc, s0, v3
	v_mov_b32_e32 v7, 0xff
	s_and_saveexec_b64 s[8:9], vcc
; %bb.1788:
	s_mov_b32 s0, 0x3fffff
	v_lshrrev_b32_e32 v7, 23, v2
	v_and_b32_e32 v10, 0x400000, v2
	v_and_or_b32 v2, v2, s0, v3
	v_cmp_ne_u32_e32 vcc, 0, v10
	v_cmp_ne_u32_e64 s[0:1], 0, v2
	s_and_b64 s[0:1], vcc, s[0:1]
	s_nop 0
	v_cndmask_b32_e64 v2, 0, 1, s[0:1]
	v_add_u32_e32 v7, v7, v2
; %bb.1789:
	s_or_b64 exec, exec, s[8:9]
	s_mov_b64 s[0:1], 0
	s_mov_b64 s[8:9], -1
	global_store_byte v[8:9], v7, off
.LBB112_1790:
	s_mov_b64 s[10:11], 0
.LBB112_1791:
	s_and_b64 vcc, exec, s[10:11]
	s_cbranch_vccz .LBB112_1794
; %bb.1792:
	s_cmp_eq_u32 s19, 29
	s_mov_b64 s[0:1], -1
	s_cbranch_scc0 .LBB112_1794
; %bb.1793:
	v_trunc_f64_e32 v[2:3], v[0:1]
	s_movk_i32 s0, 0xffe0
	v_ldexp_f64 v[10:11], v[2:3], s0
	v_floor_f64_e32 v[10:11], v[10:11]
	v_fmac_f64_e32 v[2:3], 0xc1f00000, v[10:11]
	v_cvt_u32_f64_e32 v13, v[10:11]
	v_cvt_u32_f64_e32 v12, v[2:3]
	global_store_dwordx2 v[8:9], v[12:13], off
	s_mov_b64 s[0:1], 0
	s_mov_b64 s[8:9], -1
.LBB112_1794:
	s_mov_b64 s[10:11], 0
.LBB112_1795:
	s_and_b64 vcc, exec, s[10:11]
	s_cbranch_vccz .LBB112_1811
; %bb.1796:
	s_cmp_lt_i32 s19, 27
	s_mov_b64 s[8:9], -1
	s_cbranch_scc1 .LBB112_1802
; %bb.1797:
	s_cmp_gt_i32 s19, 27
	v_cvt_u32_f64_e32 v2, v[0:1]
	s_cbranch_scc0 .LBB112_1799
; %bb.1798:
	s_mov_b64 s[8:9], 0
	global_store_dword v[8:9], v2, off
.LBB112_1799:
	s_andn2_b64 vcc, exec, s[8:9]
	s_cbranch_vccnz .LBB112_1801
; %bb.1800:
	global_store_short v[8:9], v2, off
.LBB112_1801:
	s_mov_b64 s[8:9], 0
.LBB112_1802:
	s_andn2_b64 vcc, exec, s[8:9]
	s_cbranch_vccnz .LBB112_1810
; %bb.1803:
	v_cvt_f32_f64_e32 v2, v[0:1]
	v_and_b32_e32 v3, 0x7fffffff, v2
	s_mov_b32 s8, 0x43800000
	v_cmp_gt_u32_e32 vcc, s8, v3
	v_mov_b32_e32 v7, 0x80
	s_and_saveexec_b64 s[8:9], vcc
	s_cbranch_execz .LBB112_1809
; %bb.1804:
	s_mov_b32 s10, 0x3bffffff
	v_cmp_lt_u32_e32 vcc, s10, v3
	s_mov_b64 s[10:11], 0
                                        ; implicit-def: $vgpr3
	s_and_saveexec_b64 s[16:17], vcc
	s_xor_b64 s[16:17], exec, s[16:17]
	s_cbranch_execz .LBB112_2030
; %bb.1805:
	v_bfe_u32 v3, v2, 20, 1
	s_mov_b32 s21, 0x487ffff
	v_add3_u32 v3, v2, v3, s21
	s_mov_b64 s[10:11], exec
	v_lshrrev_b32_e32 v3, 20, v3
	s_andn2_saveexec_b64 s[16:17], s[16:17]
	s_cbranch_execnz .LBB112_2031
.LBB112_1806:
	s_or_b64 exec, exec, s[16:17]
	v_mov_b32_e32 v7, 0
	s_and_saveexec_b64 s[16:17], s[10:11]
.LBB112_1807:
	v_lshrrev_b32_e32 v2, 24, v2
	s_movk_i32 s10, 0x80
	v_and_or_b32 v7, v2, s10, v3
.LBB112_1808:
	s_or_b64 exec, exec, s[16:17]
.LBB112_1809:
	s_or_b64 exec, exec, s[8:9]
	global_store_byte v[8:9], v7, off
.LBB112_1810:
	s_mov_b64 s[8:9], -1
.LBB112_1811:
	s_mov_b64 s[10:11], 0
.LBB112_1812:
	s_and_b64 vcc, exec, s[10:11]
	s_cbranch_vccz .LBB112_1852
; %bb.1813:
	s_cmp_gt_i32 s19, 22
	s_mov_b64 s[6:7], -1
	s_cbranch_scc0 .LBB112_1845
; %bb.1814:
	s_cmp_lt_i32 s19, 24
	s_cbranch_scc1 .LBB112_1834
; %bb.1815:
	s_cmp_gt_i32 s19, 24
	s_cbranch_scc0 .LBB112_1823
; %bb.1816:
	v_cvt_f32_f64_e32 v2, v[0:1]
	v_and_b32_e32 v3, 0x7fffffff, v2
	s_mov_b32 s6, 0x47800000
	v_cmp_gt_u32_e32 vcc, s6, v3
	v_mov_b32_e32 v7, 0x80
	s_and_saveexec_b64 s[6:7], vcc
	s_cbranch_execz .LBB112_1822
; %bb.1817:
	s_mov_b32 s8, 0x37ffffff
	v_cmp_lt_u32_e32 vcc, s8, v3
	s_mov_b64 s[8:9], 0
                                        ; implicit-def: $vgpr3
	s_and_saveexec_b64 s[10:11], vcc
	s_xor_b64 s[10:11], exec, s[10:11]
	s_cbranch_execz .LBB112_2033
; %bb.1818:
	v_bfe_u32 v3, v2, 21, 1
	s_mov_b32 s16, 0x88fffff
	v_add3_u32 v3, v2, v3, s16
	s_mov_b64 s[8:9], exec
	v_lshrrev_b32_e32 v3, 21, v3
	s_andn2_saveexec_b64 s[10:11], s[10:11]
	s_cbranch_execnz .LBB112_2034
.LBB112_1819:
	s_or_b64 exec, exec, s[10:11]
	v_mov_b32_e32 v7, 0
	s_and_saveexec_b64 s[10:11], s[8:9]
.LBB112_1820:
	v_lshrrev_b32_e32 v2, 24, v2
	s_movk_i32 s8, 0x80
	v_and_or_b32 v7, v2, s8, v3
.LBB112_1821:
	s_or_b64 exec, exec, s[10:11]
.LBB112_1822:
	s_or_b64 exec, exec, s[6:7]
	s_mov_b64 s[6:7], 0
	global_store_byte v[8:9], v7, off
.LBB112_1823:
	s_and_b64 vcc, exec, s[6:7]
	s_cbranch_vccz .LBB112_1833
; %bb.1824:
	v_cvt_f32_f64_e32 v2, v[0:1]
	v_and_b32_e32 v7, 0x7fffffff, v2
	s_mov_b32 s6, 0x43f00000
	v_cmp_gt_u32_e32 vcc, s6, v7
                                        ; implicit-def: $vgpr3
	s_and_saveexec_b64 s[6:7], vcc
	s_xor_b64 s[6:7], exec, s[6:7]
	s_cbranch_execz .LBB112_1830
; %bb.1825:
	s_mov_b32 s8, 0x3c7fffff
	v_cmp_lt_u32_e32 vcc, s8, v7
                                        ; implicit-def: $vgpr3
	s_and_saveexec_b64 s[8:9], vcc
	s_xor_b64 s[8:9], exec, s[8:9]
; %bb.1826:
	v_bfe_u32 v3, v2, 20, 1
	s_mov_b32 s10, 0x407ffff
	v_add3_u32 v3, v2, v3, s10
	v_lshrrev_b32_e32 v7, 20, v3
	v_and_b32_e32 v3, 0xff00000, v3
	s_mov_b32 s10, 0x7f00000
	v_mov_b32_e32 v10, 0x7e
	v_cmp_ne_u32_e32 vcc, s10, v3
	s_nop 1
	v_cndmask_b32_e32 v3, v10, v7, vcc
; %bb.1827:
	s_andn2_saveexec_b64 s[8:9], s[8:9]
; %bb.1828:
	s_mov_b32 s10, 0x46800000
	v_add_f32_e64 v3, |v2|, s10
; %bb.1829:
	s_or_b64 exec, exec, s[8:9]
                                        ; implicit-def: $vgpr7
.LBB112_1830:
	s_andn2_saveexec_b64 s[6:7], s[6:7]
; %bb.1831:
	s_mov_b32 s8, 0x7f800000
	v_mov_b32_e32 v3, 0x7e
	v_mov_b32_e32 v10, 0x7f
	v_cmp_lt_u32_e32 vcc, s8, v7
	s_nop 1
	v_cndmask_b32_e32 v3, v3, v10, vcc
; %bb.1832:
	s_or_b64 exec, exec, s[6:7]
	v_lshrrev_b32_e32 v2, 24, v2
	s_movk_i32 s6, 0x80
	v_and_or_b32 v2, v2, s6, v3
	global_store_byte v[8:9], v2, off
.LBB112_1833:
	s_mov_b64 s[6:7], 0
.LBB112_1834:
	s_andn2_b64 vcc, exec, s[6:7]
	s_cbranch_vccnz .LBB112_1844
; %bb.1835:
	v_cvt_f32_f64_e32 v2, v[0:1]
	v_and_b32_e32 v7, 0x7fffffff, v2
	s_mov_b32 s6, 0x47800000
	v_cmp_gt_u32_e32 vcc, s6, v7
                                        ; implicit-def: $vgpr3
	s_and_saveexec_b64 s[6:7], vcc
	s_xor_b64 s[6:7], exec, s[6:7]
	s_cbranch_execz .LBB112_1841
; %bb.1836:
	s_mov_b32 s8, 0x387fffff
	v_cmp_lt_u32_e32 vcc, s8, v7
                                        ; implicit-def: $vgpr3
	s_and_saveexec_b64 s[8:9], vcc
	s_xor_b64 s[8:9], exec, s[8:9]
; %bb.1837:
	v_bfe_u32 v3, v2, 21, 1
	s_mov_b32 s10, 0x80fffff
	v_add3_u32 v3, v2, v3, s10
	v_lshrrev_b32_e32 v3, 21, v3
; %bb.1838:
	s_andn2_saveexec_b64 s[8:9], s[8:9]
; %bb.1839:
	s_mov_b32 s10, 0x43000000
	v_add_f32_e64 v3, |v2|, s10
; %bb.1840:
	s_or_b64 exec, exec, s[8:9]
                                        ; implicit-def: $vgpr7
.LBB112_1841:
	s_andn2_saveexec_b64 s[6:7], s[6:7]
; %bb.1842:
	s_mov_b32 s8, 0x7f800000
	v_mov_b32_e32 v3, 0x7c
	v_mov_b32_e32 v10, 0x7f
	v_cmp_lt_u32_e32 vcc, s8, v7
	s_nop 1
	v_cndmask_b32_e32 v3, v3, v10, vcc
; %bb.1843:
	s_or_b64 exec, exec, s[6:7]
	v_lshrrev_b32_e32 v2, 24, v2
	s_movk_i32 s6, 0x80
	v_and_or_b32 v2, v2, s6, v3
	global_store_byte v[8:9], v2, off
.LBB112_1844:
	s_mov_b64 s[6:7], 0
	s_mov_b64 s[8:9], -1
.LBB112_1845:
	s_andn2_b64 vcc, exec, s[6:7]
	s_mov_b64 s[6:7], 0
	s_cbranch_vccnz .LBB112_1852
; %bb.1846:
	s_cmp_gt_i32 s19, 14
	s_mov_b64 s[10:11], -1
	s_cbranch_scc0 .LBB112_1850
; %bb.1847:
	s_cmp_eq_u32 s19, 15
	s_mov_b64 s[0:1], -1
	s_cbranch_scc0 .LBB112_1849
; %bb.1848:
	v_cvt_f32_f64_e32 v2, v[0:1]
	v_bfe_u32 v3, v2, 16, 1
	s_movk_i32 s0, 0x7fff
	v_add3_u32 v3, v2, v3, s0
	v_cmp_o_f32_e32 vcc, v2, v2
	v_mov_b32_e32 v2, 0x7fc0
	s_mov_b64 s[0:1], 0
	v_cndmask_b32_sdwa v2, v2, v3, vcc dst_sel:DWORD dst_unused:UNUSED_PAD src0_sel:DWORD src1_sel:WORD_1
	global_store_short v[8:9], v2, off
	s_mov_b64 s[8:9], -1
.LBB112_1849:
	s_mov_b64 s[10:11], 0
.LBB112_1850:
	s_and_b64 vcc, exec, s[10:11]
	s_cbranch_vccz .LBB112_1852
; %bb.1851:
	s_cmp_lg_u32 s19, 11
	s_mov_b64 s[6:7], -1
	s_cselect_b64 s[0:1], -1, 0
.LBB112_1852:
	s_and_b64 vcc, exec, s[0:1]
	s_cbranch_vccnz .LBB112_2032
; %bb.1853:
	s_andn2_b64 vcc, exec, s[6:7]
	s_cbranch_vccnz .LBB112_1855
.LBB112_1854:
	v_cmp_neq_f64_e32 vcc, 0, v[0:1]
	s_mov_b64 s[8:9], -1
	s_nop 0
	v_cndmask_b32_e64 v2, 0, 1, vcc
	global_store_byte v[8:9], v2, off
.LBB112_1855:
	s_mov_b64 s[0:1], 0
	s_branch .LBB112_1857
.LBB112_1856:
	s_mov_b64 s[0:1], -1
	s_mov_b64 s[8:9], 0
.LBB112_1857:
	s_and_b64 vcc, exec, s[0:1]
	s_cbranch_vccz .LBB112_1896
; %bb.1858:
	s_and_b32 s6, 0xffff, s20
	s_cmp_lt_i32 s6, 5
	s_mov_b64 s[0:1], -1
	s_cbranch_scc1 .LBB112_1879
; %bb.1859:
	s_cmp_lt_i32 s6, 8
	s_cbranch_scc1 .LBB112_1869
; %bb.1860:
	s_cmp_lt_i32 s6, 9
	s_cbranch_scc1 .LBB112_1866
; %bb.1861:
	s_cmp_gt_i32 s6, 9
	s_cbranch_scc0 .LBB112_1863
; %bb.1862:
	v_mov_b32_e32 v2, 0
	v_mov_b32_e32 v3, v2
	global_store_dwordx4 v[8:9], v[0:3], off
	s_mov_b64 s[0:1], 0
.LBB112_1863:
	s_andn2_b64 vcc, exec, s[0:1]
	s_cbranch_vccnz .LBB112_1865
; %bb.1864:
	v_cvt_f32_f64_e32 v2, v[0:1]
	v_mov_b32_e32 v3, 0
	global_store_dwordx2 v[8:9], v[2:3], off
.LBB112_1865:
	s_mov_b64 s[0:1], 0
.LBB112_1866:
	s_andn2_b64 vcc, exec, s[0:1]
	s_cbranch_vccnz .LBB112_1868
; %bb.1867:
	s_movk_i32 s0, 0x1ff
	v_and_or_b32 v2, v1, s0, v0
	v_cmp_ne_u32_e32 vcc, 0, v2
	v_lshrrev_b32_e32 v3, 8, v1
	s_movk_i32 s0, 0xffe
	v_cndmask_b32_e64 v2, 0, 1, vcc
	v_bfe_u32 v7, v1, 20, 11
	v_and_or_b32 v2, v3, s0, v2
	v_sub_u32_e32 v10, 0x3f1, v7
	v_or_b32_e32 v3, 0x1000, v2
	v_med3_i32 v10, v10, 0, 13
	v_lshrrev_b32_e32 v11, v10, v3
	v_lshlrev_b32_e32 v10, v10, v11
	v_cmp_ne_u32_e32 vcc, v10, v3
	v_add_u32_e32 v7, 0xfffffc10, v7
	v_lshl_or_b32 v10, v7, 12, v2
	v_cndmask_b32_e64 v3, 0, 1, vcc
	v_or_b32_e32 v3, v11, v3
	v_cmp_gt_i32_e32 vcc, 1, v7
	s_movk_i32 s0, 0x40f
	s_nop 0
	v_cndmask_b32_e32 v3, v10, v3, vcc
	v_and_b32_e32 v10, 7, v3
	v_cmp_lt_i32_e32 vcc, 5, v10
	v_lshrrev_b32_e32 v3, 2, v3
	s_nop 0
	v_cndmask_b32_e64 v11, 0, 1, vcc
	v_cmp_eq_u32_e32 vcc, 3, v10
	s_nop 1
	v_cndmask_b32_e64 v10, 0, 1, vcc
	v_or_b32_e32 v10, v10, v11
	v_add_u32_e32 v3, v3, v10
	v_mov_b32_e32 v10, 0x7c00
	v_cmp_gt_i32_e32 vcc, 31, v7
	v_mov_b32_e32 v11, 0x7e00
	s_nop 0
	v_cndmask_b32_e32 v3, v10, v3, vcc
	v_cmp_ne_u32_e32 vcc, 0, v2
	s_nop 1
	v_cndmask_b32_e32 v2, v10, v11, vcc
	v_cmp_eq_u32_e32 vcc, s0, v7
	s_mov_b32 s0, 0x8000
	s_nop 0
	v_cndmask_b32_e32 v2, v3, v2, vcc
	v_and_b32_sdwa v3, v1, s0 dst_sel:DWORD dst_unused:UNUSED_PAD src0_sel:WORD_1 src1_sel:DWORD
	s_mov_b32 s0, 0xffff
	v_bitop3_b32 v2, v3, s0, v2 bitop3:0xc8
	global_store_dword v[8:9], v2, off
.LBB112_1868:
	s_mov_b64 s[0:1], 0
.LBB112_1869:
	s_andn2_b64 vcc, exec, s[0:1]
	s_cbranch_vccnz .LBB112_1878
; %bb.1870:
	s_cmp_lt_i32 s6, 6
	s_mov_b64 s[0:1], -1
	s_cbranch_scc1 .LBB112_1876
; %bb.1871:
	s_cmp_gt_i32 s6, 6
	s_cbranch_scc0 .LBB112_1873
; %bb.1872:
	global_store_dwordx2 v[8:9], v[0:1], off
	s_mov_b64 s[0:1], 0
.LBB112_1873:
	s_andn2_b64 vcc, exec, s[0:1]
	s_cbranch_vccnz .LBB112_1875
; %bb.1874:
	v_cvt_f32_f64_e32 v2, v[0:1]
	global_store_dword v[8:9], v2, off
.LBB112_1875:
	s_mov_b64 s[0:1], 0
.LBB112_1876:
	s_andn2_b64 vcc, exec, s[0:1]
	s_cbranch_vccnz .LBB112_1878
; %bb.1877:
	s_movk_i32 s0, 0x1ff
	v_and_or_b32 v2, v1, s0, v0
	v_cmp_ne_u32_e32 vcc, 0, v2
	v_lshrrev_b32_e32 v3, 8, v1
	s_movk_i32 s0, 0xffe
	v_cndmask_b32_e64 v2, 0, 1, vcc
	v_bfe_u32 v7, v1, 20, 11
	v_and_or_b32 v2, v3, s0, v2
	v_sub_u32_e32 v10, 0x3f1, v7
	v_or_b32_e32 v3, 0x1000, v2
	v_med3_i32 v10, v10, 0, 13
	v_lshrrev_b32_e32 v11, v10, v3
	v_lshlrev_b32_e32 v10, v10, v11
	v_cmp_ne_u32_e32 vcc, v10, v3
	v_add_u32_e32 v7, 0xfffffc10, v7
	v_lshl_or_b32 v10, v7, 12, v2
	v_cndmask_b32_e64 v3, 0, 1, vcc
	v_or_b32_e32 v3, v11, v3
	v_cmp_gt_i32_e32 vcc, 1, v7
	s_movk_i32 s0, 0x40f
	s_nop 0
	v_cndmask_b32_e32 v3, v10, v3, vcc
	v_and_b32_e32 v10, 7, v3
	v_cmp_lt_i32_e32 vcc, 5, v10
	v_lshrrev_b32_e32 v3, 2, v3
	s_nop 0
	v_cndmask_b32_e64 v11, 0, 1, vcc
	v_cmp_eq_u32_e32 vcc, 3, v10
	s_nop 1
	v_cndmask_b32_e64 v10, 0, 1, vcc
	v_or_b32_e32 v10, v10, v11
	v_add_u32_e32 v3, v3, v10
	v_mov_b32_e32 v10, 0x7c00
	v_cmp_gt_i32_e32 vcc, 31, v7
	v_mov_b32_e32 v11, 0x7e00
	s_nop 0
	v_cndmask_b32_e32 v3, v10, v3, vcc
	v_cmp_ne_u32_e32 vcc, 0, v2
	s_nop 1
	v_cndmask_b32_e32 v2, v10, v11, vcc
	v_cmp_eq_u32_e32 vcc, s0, v7
	s_mov_b32 s0, 0x8000
	s_nop 0
	v_cndmask_b32_e32 v2, v3, v2, vcc
	v_lshrrev_b32_e32 v3, 16, v1
	v_and_or_b32 v2, v3, s0, v2
	global_store_short v[8:9], v2, off
.LBB112_1878:
	s_mov_b64 s[0:1], 0
.LBB112_1879:
	s_andn2_b64 vcc, exec, s[0:1]
	s_cbranch_vccnz .LBB112_1895
; %bb.1880:
	s_cmp_lt_i32 s6, 2
	s_mov_b64 s[0:1], -1
	s_cbranch_scc1 .LBB112_1890
; %bb.1881:
	s_cmp_lt_i32 s6, 3
	s_cbranch_scc1 .LBB112_1887
; %bb.1882:
	s_cmp_gt_i32 s6, 3
	s_cbranch_scc0 .LBB112_1884
; %bb.1883:
	v_trunc_f64_e32 v[2:3], v[0:1]
	s_movk_i32 s0, 0xffe0
	v_ldexp_f64 v[10:11], v[2:3], s0
	v_floor_f64_e32 v[10:11], v[10:11]
	v_fmac_f64_e32 v[2:3], 0xc1f00000, v[10:11]
	v_cvt_i32_f64_e32 v13, v[10:11]
	v_cvt_u32_f64_e32 v12, v[2:3]
	global_store_dwordx2 v[8:9], v[12:13], off
	s_mov_b64 s[0:1], 0
.LBB112_1884:
	s_andn2_b64 vcc, exec, s[0:1]
	s_cbranch_vccnz .LBB112_1886
; %bb.1885:
	v_cvt_i32_f64_e32 v2, v[0:1]
	global_store_dword v[8:9], v2, off
.LBB112_1886:
	s_mov_b64 s[0:1], 0
.LBB112_1887:
	s_andn2_b64 vcc, exec, s[0:1]
	s_cbranch_vccnz .LBB112_1889
; %bb.1888:
	v_cvt_i32_f64_e32 v2, v[0:1]
	global_store_short v[8:9], v2, off
.LBB112_1889:
	s_mov_b64 s[0:1], 0
.LBB112_1890:
	s_andn2_b64 vcc, exec, s[0:1]
	s_cbranch_vccnz .LBB112_1895
; %bb.1891:
	s_cmp_gt_i32 s6, 0
	s_mov_b64 s[0:1], -1
	s_cbranch_scc0 .LBB112_1893
; %bb.1892:
	v_cvt_i32_f64_e32 v2, v[0:1]
	global_store_byte v[8:9], v2, off
	s_mov_b64 s[0:1], 0
.LBB112_1893:
	s_andn2_b64 vcc, exec, s[0:1]
	s_cbranch_vccnz .LBB112_1895
; %bb.1894:
	v_trunc_f64_e32 v[0:1], v[0:1]
	s_movk_i32 s0, 0xffe0
	v_ldexp_f64 v[2:3], v[0:1], s0
	v_floor_f64_e32 v[2:3], v[2:3]
	v_fmac_f64_e32 v[0:1], 0xc1f00000, v[2:3]
	v_cvt_u32_f64_e32 v0, v[0:1]
	global_store_byte v[8:9], v0, off
.LBB112_1895:
	s_mov_b64 s[8:9], -1
.LBB112_1896:
	s_andn2_b64 vcc, exec, s[8:9]
	s_cbranch_vccnz .LBB112_1973
; %bb.1897:
	s_mov_b32 s0, 0x652b82fe
	s_mov_b32 s1, 0x3ff71547
	v_mul_f64 v[0:1], v[4:5], s[0:1]
	v_rndne_f64_e32 v[0:1], v[0:1]
	s_mov_b32 s1, 0xbfe62e42
	s_mov_b32 s0, 0xfefa39ef
	;; [unrolled: 1-line block ×3, first 2 shown]
	v_fma_f64 v[2:3], s[0:1], v[0:1], v[4:5]
	s_mov_b32 s7, 0xbc7abc9e
	v_fmac_f64_e32 v[2:3], s[6:7], v[0:1]
	s_mov_b32 s6, 0xa9d67f34
	v_mov_b32_e32 v8, 0x2a1b768b
	v_mov_b32_e32 v9, 0x3e5af4eb
	s_mov_b32 s7, 0x3e21f32e
	v_fmac_f64_e32 v[8:9], s[6:7], v[2:3]
	v_mov_b32_e32 v10, 0xe0ac05b
	v_mov_b32_e32 v11, 0x3e927e50
	v_fmac_f64_e32 v[10:11], v[2:3], v[8:9]
	v_mov_b32_e32 v8, 0x1b889c29
	v_mov_b32_e32 v9, 0x3ec71de0
	v_fmac_f64_e32 v[8:9], v[2:3], v[10:11]
	v_mov_b32_e32 v10, 0x197bcfd8
	v_mov_b32_e32 v11, 0x3efa01a0
	v_fmac_f64_e32 v[10:11], v[2:3], v[8:9]
	v_mov_b32_e32 v8, 0x1ac1a723
	v_mov_b32_e32 v9, 0x3f2a01a0
	v_fmac_f64_e32 v[8:9], v[2:3], v[10:11]
	v_mov_b32_e32 v10, 0x16c18931
	v_mov_b32_e32 v11, 0x3f56c16c
	v_fmac_f64_e32 v[10:11], v[2:3], v[8:9]
	v_mov_b32_e32 v8, 0x11110056
	v_mov_b32_e32 v9, 0x3f811111
	v_fmac_f64_e32 v[8:9], v[2:3], v[10:11]
	v_mov_b32_e32 v10, 0x55555552
	v_mov_b32_e32 v11, 0x3fa55555
	v_fmac_f64_e32 v[10:11], v[2:3], v[8:9]
	v_mov_b32_e32 v8, 0x55555557
	v_mov_b32_e32 v9, 0x3fc55555
	v_fmac_f64_e32 v[8:9], v[2:3], v[10:11]
	v_fma_f64 v[8:9], v[2:3], v[8:9], 0.5
	s_mov_b32 s6, 0
	v_mul_f64 v[8:9], v[2:3], v[8:9]
	s_mov_b32 s7, 0x40900000
	v_cvt_i32_f64_e32 v7, v[0:1]
	v_fmac_f64_e32 v[2:3], v[2:3], v[8:9]
	v_ldexp_f64 v[8:9], 1.0, v7
	v_mov_b32_e32 v7, 0x7fe00000
	v_cmp_eq_f64_e32 vcc, s[6:7], v[0:1]
	s_mov_b32 s1, 0x40862e42
	s_nop 0
	v_cndmask_b32_e32 v1, v9, v7, vcc
	v_cndmask_b32_e64 v0, v8, 0, vcc
	v_add_f64 v[8:9], v[0:1], -1.0
	v_fmac_f64_e32 v[8:9], v[0:1], v[2:3]
	v_add_f64 v[0:1], v[8:9], v[8:9]
	v_cndmask_b32_e32 v0, v8, v0, vcc
	v_cndmask_b32_e32 v1, v9, v1, vcc
	v_cmp_nlt_f64_e32 vcc, s[0:1], v[4:5]
	s_mov_b32 s0, 0
	v_mov_b32_e32 v2, 0x7ff00000
	s_mov_b32 s1, 0xc0428000
	v_cndmask_b32_e32 v1, v2, v1, vcc
	v_mov_b32_e32 v2, 0xbff00000
	v_cmp_ngt_f64_e64 s[0:1], s[0:1], v[4:5]
	s_and_b64 vcc, s[0:1], vcc
	v_cndmask_b32_e32 v0, 0, v0, vcc
	v_cndmask_b32_e64 v1, v2, v1, s[0:1]
	v_add_u32_e32 v2, s18, v6
	v_ashrrev_i32_e32 v3, 31, v2
	s_cmp_lt_i32 s20, 11
	v_lshl_add_u64 v[4:5], s[4:5], 0, v[2:3]
	s_cbranch_scc1 .LBB112_2018
; %bb.1898:
	s_and_b32 s16, 0xffff, s20
	s_mov_b64 s[6:7], -1
	s_mov_b64 s[4:5], 0
	s_cmp_gt_i32 s16, 25
	s_mov_b64 s[0:1], 0
	s_cbranch_scc0 .LBB112_1931
; %bb.1899:
	s_cmp_gt_i32 s16, 28
	s_cbranch_scc0 .LBB112_1915
; %bb.1900:
	s_cmp_gt_i32 s16, 43
	s_cbranch_scc0 .LBB112_1911
; %bb.1901:
	s_cmp_gt_i32 s16, 45
	s_cbranch_scc0 .LBB112_1905
; %bb.1902:
	s_cmp_eq_u32 s16, 46
	s_mov_b64 s[0:1], -1
	s_cbranch_scc0 .LBB112_1904
; %bb.1903:
	v_cvt_f32_f64_e32 v2, v[0:1]
	v_bfe_u32 v3, v2, 16, 1
	s_movk_i32 s0, 0x7fff
	v_add3_u32 v3, v2, v3, s0
	v_cmp_o_f32_e32 vcc, v2, v2
	v_mov_b32_e32 v2, 0x7fc0
	s_mov_b64 s[0:1], 0
	v_cndmask_b32_sdwa v2, v2, v3, vcc dst_sel:DWORD dst_unused:UNUSED_PAD src0_sel:DWORD src1_sel:WORD_1
	global_store_dword v[4:5], v2, off
.LBB112_1904:
	s_mov_b64 s[6:7], 0
.LBB112_1905:
	s_and_b64 vcc, exec, s[6:7]
	s_cbranch_vccz .LBB112_1910
; %bb.1906:
	s_cmp_eq_u32 s16, 44
	s_mov_b64 s[0:1], -1
	s_cbranch_scc0 .LBB112_1910
; %bb.1907:
	v_cvt_f32_f64_e32 v2, v[0:1]
	v_bfe_u32 v3, v2, 23, 8
	s_movk_i32 s0, 0xff
	v_cmp_ne_u32_e32 vcc, s0, v3
	v_mov_b32_e32 v6, 0xff
	s_and_saveexec_b64 s[6:7], vcc
; %bb.1908:
	s_mov_b32 s0, 0x3fffff
	v_lshrrev_b32_e32 v6, 23, v2
	v_and_b32_e32 v7, 0x400000, v2
	v_and_or_b32 v2, v2, s0, v3
	v_cmp_ne_u32_e32 vcc, 0, v7
	v_cmp_ne_u32_e64 s[0:1], 0, v2
	s_and_b64 s[0:1], vcc, s[0:1]
	s_nop 0
	v_cndmask_b32_e64 v2, 0, 1, s[0:1]
	v_add_u32_e32 v6, v6, v2
; %bb.1909:
	s_or_b64 exec, exec, s[6:7]
	s_mov_b64 s[0:1], 0
	global_store_byte v[4:5], v6, off
.LBB112_1910:
	s_mov_b64 s[6:7], 0
.LBB112_1911:
	s_and_b64 vcc, exec, s[6:7]
	s_cbranch_vccz .LBB112_1914
; %bb.1912:
	s_cmp_eq_u32 s16, 29
	s_mov_b64 s[0:1], -1
	s_cbranch_scc0 .LBB112_1914
; %bb.1913:
	v_trunc_f64_e32 v[2:3], v[0:1]
	s_movk_i32 s0, 0xffe0
	v_ldexp_f64 v[6:7], v[2:3], s0
	v_floor_f64_e32 v[6:7], v[6:7]
	v_fmac_f64_e32 v[2:3], 0xc1f00000, v[6:7]
	v_cvt_u32_f64_e32 v9, v[6:7]
	v_cvt_u32_f64_e32 v8, v[2:3]
	global_store_dwordx2 v[4:5], v[8:9], off
	s_mov_b64 s[0:1], 0
.LBB112_1914:
	s_mov_b64 s[6:7], 0
.LBB112_1915:
	s_and_b64 vcc, exec, s[6:7]
	s_cbranch_vccz .LBB112_1930
; %bb.1916:
	s_cmp_lt_i32 s16, 27
	s_mov_b64 s[6:7], -1
	s_cbranch_scc1 .LBB112_1922
; %bb.1917:
	s_cmp_gt_i32 s16, 27
	v_cvt_u32_f64_e32 v2, v[0:1]
	s_cbranch_scc0 .LBB112_1919
; %bb.1918:
	global_store_dword v[4:5], v2, off
	s_mov_b64 s[6:7], 0
.LBB112_1919:
	s_andn2_b64 vcc, exec, s[6:7]
	s_cbranch_vccnz .LBB112_1921
; %bb.1920:
	global_store_short v[4:5], v2, off
.LBB112_1921:
	s_mov_b64 s[6:7], 0
.LBB112_1922:
	s_andn2_b64 vcc, exec, s[6:7]
	s_cbranch_vccnz .LBB112_1930
; %bb.1923:
	v_cvt_f32_f64_e32 v2, v[0:1]
	v_and_b32_e32 v3, 0x7fffffff, v2
	s_mov_b32 s6, 0x43800000
	v_cmp_gt_u32_e32 vcc, s6, v3
	v_mov_b32_e32 v6, 0x80
	s_and_saveexec_b64 s[6:7], vcc
	s_cbranch_execz .LBB112_1929
; %bb.1924:
	s_mov_b32 s8, 0x3bffffff
	v_cmp_lt_u32_e32 vcc, s8, v3
	s_mov_b64 s[8:9], 0
                                        ; implicit-def: $vgpr3
	s_and_saveexec_b64 s[10:11], vcc
	s_xor_b64 s[10:11], exec, s[10:11]
	s_cbranch_execz .LBB112_2035
; %bb.1925:
	v_bfe_u32 v3, v2, 20, 1
	s_mov_b32 s17, 0x487ffff
	v_add3_u32 v3, v2, v3, s17
	s_mov_b64 s[8:9], exec
	v_lshrrev_b32_e32 v3, 20, v3
	s_andn2_saveexec_b64 s[10:11], s[10:11]
	s_cbranch_execnz .LBB112_2036
.LBB112_1926:
	s_or_b64 exec, exec, s[10:11]
	v_mov_b32_e32 v6, 0
	s_and_saveexec_b64 s[10:11], s[8:9]
.LBB112_1927:
	v_lshrrev_b32_e32 v2, 24, v2
	s_movk_i32 s8, 0x80
	v_and_or_b32 v6, v2, s8, v3
.LBB112_1928:
	s_or_b64 exec, exec, s[10:11]
.LBB112_1929:
	s_or_b64 exec, exec, s[6:7]
	global_store_byte v[4:5], v6, off
.LBB112_1930:
	s_mov_b64 s[6:7], 0
.LBB112_1931:
	s_and_b64 vcc, exec, s[6:7]
	s_cbranch_vccz .LBB112_1971
; %bb.1932:
	s_cmp_gt_i32 s16, 22
	s_mov_b64 s[4:5], -1
	s_cbranch_scc0 .LBB112_1964
; %bb.1933:
	s_cmp_lt_i32 s16, 24
	s_cbranch_scc1 .LBB112_1953
; %bb.1934:
	s_cmp_gt_i32 s16, 24
	s_cbranch_scc0 .LBB112_1942
; %bb.1935:
	v_cvt_f32_f64_e32 v2, v[0:1]
	v_and_b32_e32 v3, 0x7fffffff, v2
	s_mov_b32 s4, 0x47800000
	v_cmp_gt_u32_e32 vcc, s4, v3
	v_mov_b32_e32 v6, 0x80
	s_and_saveexec_b64 s[4:5], vcc
	s_cbranch_execz .LBB112_1941
; %bb.1936:
	s_mov_b32 s6, 0x37ffffff
	v_cmp_lt_u32_e32 vcc, s6, v3
	s_mov_b64 s[6:7], 0
                                        ; implicit-def: $vgpr3
	s_and_saveexec_b64 s[8:9], vcc
	s_xor_b64 s[8:9], exec, s[8:9]
	s_cbranch_execz .LBB112_2038
; %bb.1937:
	v_bfe_u32 v3, v2, 21, 1
	s_mov_b32 s10, 0x88fffff
	v_add3_u32 v3, v2, v3, s10
	s_mov_b64 s[6:7], exec
	v_lshrrev_b32_e32 v3, 21, v3
	s_andn2_saveexec_b64 s[8:9], s[8:9]
	s_cbranch_execnz .LBB112_2039
.LBB112_1938:
	s_or_b64 exec, exec, s[8:9]
	v_mov_b32_e32 v6, 0
	s_and_saveexec_b64 s[8:9], s[6:7]
.LBB112_1939:
	v_lshrrev_b32_e32 v2, 24, v2
	s_movk_i32 s6, 0x80
	v_and_or_b32 v6, v2, s6, v3
.LBB112_1940:
	s_or_b64 exec, exec, s[8:9]
.LBB112_1941:
	s_or_b64 exec, exec, s[4:5]
	s_mov_b64 s[4:5], 0
	global_store_byte v[4:5], v6, off
.LBB112_1942:
	s_and_b64 vcc, exec, s[4:5]
	s_cbranch_vccz .LBB112_1952
; %bb.1943:
	v_cvt_f32_f64_e32 v2, v[0:1]
	v_and_b32_e32 v6, 0x7fffffff, v2
	s_mov_b32 s4, 0x43f00000
	v_cmp_gt_u32_e32 vcc, s4, v6
                                        ; implicit-def: $vgpr3
	s_and_saveexec_b64 s[4:5], vcc
	s_xor_b64 s[4:5], exec, s[4:5]
	s_cbranch_execz .LBB112_1949
; %bb.1944:
	s_mov_b32 s6, 0x3c7fffff
	v_cmp_lt_u32_e32 vcc, s6, v6
                                        ; implicit-def: $vgpr3
	s_and_saveexec_b64 s[6:7], vcc
	s_xor_b64 s[6:7], exec, s[6:7]
; %bb.1945:
	v_bfe_u32 v3, v2, 20, 1
	s_mov_b32 s8, 0x407ffff
	v_add3_u32 v3, v2, v3, s8
	v_lshrrev_b32_e32 v6, 20, v3
	v_and_b32_e32 v3, 0xff00000, v3
	s_mov_b32 s8, 0x7f00000
	v_mov_b32_e32 v7, 0x7e
	v_cmp_ne_u32_e32 vcc, s8, v3
	s_nop 1
	v_cndmask_b32_e32 v3, v7, v6, vcc
; %bb.1946:
	s_andn2_saveexec_b64 s[6:7], s[6:7]
; %bb.1947:
	s_mov_b32 s8, 0x46800000
	v_add_f32_e64 v3, |v2|, s8
; %bb.1948:
	s_or_b64 exec, exec, s[6:7]
                                        ; implicit-def: $vgpr6
.LBB112_1949:
	s_andn2_saveexec_b64 s[4:5], s[4:5]
; %bb.1950:
	s_mov_b32 s6, 0x7f800000
	v_mov_b32_e32 v3, 0x7e
	v_mov_b32_e32 v7, 0x7f
	v_cmp_lt_u32_e32 vcc, s6, v6
	s_nop 1
	v_cndmask_b32_e32 v3, v3, v7, vcc
; %bb.1951:
	s_or_b64 exec, exec, s[4:5]
	v_lshrrev_b32_e32 v2, 24, v2
	s_movk_i32 s4, 0x80
	v_and_or_b32 v2, v2, s4, v3
	global_store_byte v[4:5], v2, off
.LBB112_1952:
	s_mov_b64 s[4:5], 0
.LBB112_1953:
	s_andn2_b64 vcc, exec, s[4:5]
	s_cbranch_vccnz .LBB112_1963
; %bb.1954:
	v_cvt_f32_f64_e32 v2, v[0:1]
	v_and_b32_e32 v6, 0x7fffffff, v2
	s_mov_b32 s4, 0x47800000
	v_cmp_gt_u32_e32 vcc, s4, v6
                                        ; implicit-def: $vgpr3
	s_and_saveexec_b64 s[4:5], vcc
	s_xor_b64 s[4:5], exec, s[4:5]
	s_cbranch_execz .LBB112_1960
; %bb.1955:
	s_mov_b32 s6, 0x387fffff
	v_cmp_lt_u32_e32 vcc, s6, v6
                                        ; implicit-def: $vgpr3
	s_and_saveexec_b64 s[6:7], vcc
	s_xor_b64 s[6:7], exec, s[6:7]
; %bb.1956:
	v_bfe_u32 v3, v2, 21, 1
	s_mov_b32 s8, 0x80fffff
	v_add3_u32 v3, v2, v3, s8
	v_lshrrev_b32_e32 v3, 21, v3
; %bb.1957:
	s_andn2_saveexec_b64 s[6:7], s[6:7]
; %bb.1958:
	s_mov_b32 s8, 0x43000000
	v_add_f32_e64 v3, |v2|, s8
; %bb.1959:
	s_or_b64 exec, exec, s[6:7]
                                        ; implicit-def: $vgpr6
.LBB112_1960:
	s_andn2_saveexec_b64 s[4:5], s[4:5]
; %bb.1961:
	s_mov_b32 s6, 0x7f800000
	v_mov_b32_e32 v3, 0x7c
	v_mov_b32_e32 v7, 0x7f
	v_cmp_lt_u32_e32 vcc, s6, v6
	s_nop 1
	v_cndmask_b32_e32 v3, v3, v7, vcc
; %bb.1962:
	s_or_b64 exec, exec, s[4:5]
	v_lshrrev_b32_e32 v2, 24, v2
	s_movk_i32 s4, 0x80
	v_and_or_b32 v2, v2, s4, v3
	global_store_byte v[4:5], v2, off
.LBB112_1963:
	s_mov_b64 s[4:5], 0
.LBB112_1964:
	s_andn2_b64 vcc, exec, s[4:5]
	s_mov_b64 s[4:5], 0
	s_cbranch_vccnz .LBB112_1971
; %bb.1965:
	s_cmp_gt_i32 s16, 14
	s_mov_b64 s[6:7], -1
	s_cbranch_scc0 .LBB112_1969
; %bb.1966:
	s_cmp_eq_u32 s16, 15
	s_mov_b64 s[0:1], -1
	s_cbranch_scc0 .LBB112_1968
; %bb.1967:
	v_cvt_f32_f64_e32 v2, v[0:1]
	v_bfe_u32 v3, v2, 16, 1
	s_movk_i32 s0, 0x7fff
	v_add3_u32 v3, v2, v3, s0
	v_cmp_o_f32_e32 vcc, v2, v2
	v_mov_b32_e32 v2, 0x7fc0
	s_mov_b64 s[0:1], 0
	v_cndmask_b32_sdwa v2, v2, v3, vcc dst_sel:DWORD dst_unused:UNUSED_PAD src0_sel:DWORD src1_sel:WORD_1
	global_store_short v[4:5], v2, off
.LBB112_1968:
	s_mov_b64 s[6:7], 0
.LBB112_1969:
	s_and_b64 vcc, exec, s[6:7]
	s_cbranch_vccz .LBB112_1971
; %bb.1970:
	s_cmp_lg_u32 s16, 11
	s_mov_b64 s[4:5], -1
	s_cselect_b64 s[0:1], -1, 0
.LBB112_1971:
	s_and_b64 vcc, exec, s[0:1]
	s_cbranch_vccnz .LBB112_2037
.LBB112_1972:
	s_mov_b64 s[0:1], 0
	s_branch .LBB112_1974
.LBB112_1973:
	s_mov_b64 s[0:1], 0
	s_mov_b64 s[4:5], 0
                                        ; implicit-def: $sgpr20
                                        ; implicit-def: $vgpr4_vgpr5
                                        ; implicit-def: $vgpr0_vgpr1
.LBB112_1974:
	s_and_b64 s[10:11], s[4:5], exec
	s_andn2_b64 s[4:5], s[12:13], exec
	s_and_b64 s[6:7], s[14:15], exec
	s_and_b64 s[0:1], s[0:1], exec
	s_or_b64 s[12:13], s[4:5], s[6:7]
.LBB112_1975:
	s_or_b64 exec, exec, s[2:3]
	s_and_saveexec_b64 s[2:3], s[12:13]
	s_cbranch_execz .LBB112_1978
; %bb.1976:
	; divergent unreachable
	s_or_b64 exec, exec, s[2:3]
	s_and_saveexec_b64 s[2:3], s[10:11]
	s_xor_b64 s[2:3], exec, s[2:3]
	s_cbranch_execnz .LBB112_1979
.LBB112_1977:
	s_or_b64 exec, exec, s[2:3]
	s_and_saveexec_b64 s[2:3], s[0:1]
	s_cbranch_execnz .LBB112_1980
	s_branch .LBB112_2017
.LBB112_1978:
	s_or_b64 exec, exec, s[2:3]
	s_and_saveexec_b64 s[2:3], s[10:11]
	s_xor_b64 s[2:3], exec, s[2:3]
	s_cbranch_execz .LBB112_1977
.LBB112_1979:
	s_waitcnt vmcnt(0)
	v_cmp_neq_f64_e32 vcc, 0, v[0:1]
	s_nop 1
	v_cndmask_b32_e64 v2, 0, 1, vcc
	global_store_byte v[4:5], v2, off
	s_or_b64 exec, exec, s[2:3]
	s_and_saveexec_b64 s[2:3], s[0:1]
	s_cbranch_execz .LBB112_2017
.LBB112_1980:
	s_sext_i32_i16 s2, s20
	s_cmp_lt_i32 s2, 5
	s_mov_b64 s[0:1], -1
	s_cbranch_scc1 .LBB112_2001
; %bb.1981:
	s_cmp_lt_i32 s2, 8
	s_cbranch_scc1 .LBB112_1991
; %bb.1982:
	s_cmp_lt_i32 s2, 9
	s_cbranch_scc1 .LBB112_1988
; %bb.1983:
	s_cmp_gt_i32 s2, 9
	s_cbranch_scc0 .LBB112_1985
; %bb.1984:
	s_waitcnt vmcnt(0)
	v_mov_b32_e32 v2, 0
	v_mov_b32_e32 v3, v2
	global_store_dwordx4 v[4:5], v[0:3], off
	s_mov_b64 s[0:1], 0
.LBB112_1985:
	s_andn2_b64 vcc, exec, s[0:1]
	s_cbranch_vccnz .LBB112_1987
; %bb.1986:
	s_waitcnt vmcnt(0)
	v_cvt_f32_f64_e32 v2, v[0:1]
	v_mov_b32_e32 v3, 0
	global_store_dwordx2 v[4:5], v[2:3], off
.LBB112_1987:
	s_mov_b64 s[0:1], 0
.LBB112_1988:
	s_andn2_b64 vcc, exec, s[0:1]
	s_cbranch_vccnz .LBB112_1990
; %bb.1989:
	s_movk_i32 s0, 0x1ff
	s_waitcnt vmcnt(0)
	v_and_or_b32 v2, v1, s0, v0
	v_cmp_ne_u32_e32 vcc, 0, v2
	v_lshrrev_b32_e32 v3, 8, v1
	s_movk_i32 s0, 0xffe
	v_cndmask_b32_e64 v2, 0, 1, vcc
	v_bfe_u32 v6, v1, 20, 11
	v_and_or_b32 v2, v3, s0, v2
	v_sub_u32_e32 v7, 0x3f1, v6
	v_or_b32_e32 v3, 0x1000, v2
	v_med3_i32 v7, v7, 0, 13
	v_lshrrev_b32_e32 v8, v7, v3
	v_lshlrev_b32_e32 v7, v7, v8
	v_cmp_ne_u32_e32 vcc, v7, v3
	v_add_u32_e32 v6, 0xfffffc10, v6
	v_lshl_or_b32 v7, v6, 12, v2
	v_cndmask_b32_e64 v3, 0, 1, vcc
	v_or_b32_e32 v3, v8, v3
	v_cmp_gt_i32_e32 vcc, 1, v6
	s_movk_i32 s0, 0x40f
	s_nop 0
	v_cndmask_b32_e32 v3, v7, v3, vcc
	v_and_b32_e32 v7, 7, v3
	v_cmp_lt_i32_e32 vcc, 5, v7
	v_lshrrev_b32_e32 v3, 2, v3
	s_nop 0
	v_cndmask_b32_e64 v8, 0, 1, vcc
	v_cmp_eq_u32_e32 vcc, 3, v7
	s_nop 1
	v_cndmask_b32_e64 v7, 0, 1, vcc
	v_or_b32_e32 v7, v7, v8
	v_add_u32_e32 v3, v3, v7
	v_mov_b32_e32 v7, 0x7c00
	v_cmp_gt_i32_e32 vcc, 31, v6
	v_mov_b32_e32 v8, 0x7e00
	s_nop 0
	v_cndmask_b32_e32 v3, v7, v3, vcc
	v_cmp_ne_u32_e32 vcc, 0, v2
	s_nop 1
	v_cndmask_b32_e32 v2, v7, v8, vcc
	v_cmp_eq_u32_e32 vcc, s0, v6
	s_mov_b32 s0, 0x8000
	s_nop 0
	v_cndmask_b32_e32 v2, v3, v2, vcc
	v_and_b32_sdwa v3, v1, s0 dst_sel:DWORD dst_unused:UNUSED_PAD src0_sel:WORD_1 src1_sel:DWORD
	s_mov_b32 s0, 0xffff
	v_bitop3_b32 v2, v3, s0, v2 bitop3:0xc8
	global_store_dword v[4:5], v2, off
.LBB112_1990:
	s_mov_b64 s[0:1], 0
.LBB112_1991:
	s_andn2_b64 vcc, exec, s[0:1]
	s_cbranch_vccnz .LBB112_2000
; %bb.1992:
	s_sext_i32_i16 s2, s20
	s_cmp_lt_i32 s2, 6
	s_mov_b64 s[0:1], -1
	s_cbranch_scc1 .LBB112_1998
; %bb.1993:
	s_cmp_gt_i32 s2, 6
	s_cbranch_scc0 .LBB112_1995
; %bb.1994:
	s_waitcnt vmcnt(0)
	global_store_dwordx2 v[4:5], v[0:1], off
	s_mov_b64 s[0:1], 0
.LBB112_1995:
	s_andn2_b64 vcc, exec, s[0:1]
	s_cbranch_vccnz .LBB112_1997
; %bb.1996:
	s_waitcnt vmcnt(0)
	v_cvt_f32_f64_e32 v2, v[0:1]
	global_store_dword v[4:5], v2, off
.LBB112_1997:
	s_mov_b64 s[0:1], 0
.LBB112_1998:
	s_andn2_b64 vcc, exec, s[0:1]
	s_cbranch_vccnz .LBB112_2000
; %bb.1999:
	s_movk_i32 s0, 0x1ff
	s_waitcnt vmcnt(0)
	v_and_or_b32 v2, v1, s0, v0
	v_cmp_ne_u32_e32 vcc, 0, v2
	v_lshrrev_b32_e32 v3, 8, v1
	s_movk_i32 s0, 0xffe
	v_cndmask_b32_e64 v2, 0, 1, vcc
	v_bfe_u32 v6, v1, 20, 11
	v_and_or_b32 v2, v3, s0, v2
	v_sub_u32_e32 v7, 0x3f1, v6
	v_or_b32_e32 v3, 0x1000, v2
	v_med3_i32 v7, v7, 0, 13
	v_lshrrev_b32_e32 v8, v7, v3
	v_lshlrev_b32_e32 v7, v7, v8
	v_cmp_ne_u32_e32 vcc, v7, v3
	v_add_u32_e32 v6, 0xfffffc10, v6
	v_lshl_or_b32 v7, v6, 12, v2
	v_cndmask_b32_e64 v3, 0, 1, vcc
	v_or_b32_e32 v3, v8, v3
	v_cmp_gt_i32_e32 vcc, 1, v6
	s_movk_i32 s0, 0x40f
	s_nop 0
	v_cndmask_b32_e32 v3, v7, v3, vcc
	v_and_b32_e32 v7, 7, v3
	v_cmp_lt_i32_e32 vcc, 5, v7
	v_lshrrev_b32_e32 v3, 2, v3
	s_nop 0
	v_cndmask_b32_e64 v8, 0, 1, vcc
	v_cmp_eq_u32_e32 vcc, 3, v7
	s_nop 1
	v_cndmask_b32_e64 v7, 0, 1, vcc
	v_or_b32_e32 v7, v7, v8
	v_add_u32_e32 v3, v3, v7
	v_mov_b32_e32 v7, 0x7c00
	v_cmp_gt_i32_e32 vcc, 31, v6
	v_mov_b32_e32 v8, 0x7e00
	s_nop 0
	v_cndmask_b32_e32 v3, v7, v3, vcc
	v_cmp_ne_u32_e32 vcc, 0, v2
	s_nop 1
	v_cndmask_b32_e32 v2, v7, v8, vcc
	v_cmp_eq_u32_e32 vcc, s0, v6
	s_mov_b32 s0, 0x8000
	s_nop 0
	v_cndmask_b32_e32 v2, v3, v2, vcc
	v_lshrrev_b32_e32 v3, 16, v1
	v_and_or_b32 v2, v3, s0, v2
	global_store_short v[4:5], v2, off
.LBB112_2000:
	s_mov_b64 s[0:1], 0
.LBB112_2001:
	s_andn2_b64 vcc, exec, s[0:1]
	s_cbranch_vccnz .LBB112_2017
; %bb.2002:
	s_sext_i32_i16 s2, s20
	s_cmp_lt_i32 s2, 2
	s_mov_b64 s[0:1], -1
	s_cbranch_scc1 .LBB112_2012
; %bb.2003:
	s_cmp_lt_i32 s2, 3
	s_cbranch_scc1 .LBB112_2009
; %bb.2004:
	s_cmp_gt_i32 s2, 3
	s_cbranch_scc0 .LBB112_2006
; %bb.2005:
	s_waitcnt vmcnt(0)
	v_trunc_f64_e32 v[2:3], v[0:1]
	s_movk_i32 s0, 0xffe0
	v_ldexp_f64 v[6:7], v[2:3], s0
	v_floor_f64_e32 v[6:7], v[6:7]
	v_fmac_f64_e32 v[2:3], 0xc1f00000, v[6:7]
	v_cvt_i32_f64_e32 v9, v[6:7]
	v_cvt_u32_f64_e32 v8, v[2:3]
	global_store_dwordx2 v[4:5], v[8:9], off
	s_mov_b64 s[0:1], 0
.LBB112_2006:
	s_andn2_b64 vcc, exec, s[0:1]
	s_cbranch_vccnz .LBB112_2008
; %bb.2007:
	s_waitcnt vmcnt(0)
	v_cvt_i32_f64_e32 v2, v[0:1]
	global_store_dword v[4:5], v2, off
.LBB112_2008:
	s_mov_b64 s[0:1], 0
.LBB112_2009:
	s_andn2_b64 vcc, exec, s[0:1]
	s_cbranch_vccnz .LBB112_2011
; %bb.2010:
	s_waitcnt vmcnt(0)
	v_cvt_i32_f64_e32 v2, v[0:1]
	global_store_short v[4:5], v2, off
.LBB112_2011:
	s_mov_b64 s[0:1], 0
.LBB112_2012:
	s_andn2_b64 vcc, exec, s[0:1]
	s_cbranch_vccnz .LBB112_2017
; %bb.2013:
	s_sext_i32_i16 s0, s20
	s_cmp_gt_i32 s0, 0
	s_mov_b64 s[0:1], -1
	s_cbranch_scc0 .LBB112_2015
; %bb.2014:
	s_waitcnt vmcnt(0)
	v_cvt_i32_f64_e32 v2, v[0:1]
	global_store_byte v[4:5], v2, off
	s_mov_b64 s[0:1], 0
.LBB112_2015:
	s_andn2_b64 vcc, exec, s[0:1]
	s_cbranch_vccnz .LBB112_2017
; %bb.2016:
	s_waitcnt vmcnt(0)
	v_trunc_f64_e32 v[0:1], v[0:1]
	s_movk_i32 s0, 0xffe0
	v_ldexp_f64 v[2:3], v[0:1], s0
	v_floor_f64_e32 v[2:3], v[2:3]
	v_fmac_f64_e32 v[0:1], 0xc1f00000, v[2:3]
	v_cvt_u32_f64_e32 v0, v[0:1]
	global_store_byte v[4:5], v0, off
	s_endpgm
.LBB112_2017:
	s_endpgm
.LBB112_2018:
	s_mov_b64 s[4:5], 0
	s_mov_b64 s[0:1], -1
	s_branch .LBB112_1974
.LBB112_2019:
	s_trap 2
	s_or_b64 s[14:15], s[14:15], exec
	s_cbranch_execz .LBB112_1488
	s_branch .LBB112_1489
.LBB112_2020:
	s_andn2_saveexec_b64 s[18:19], s[18:19]
	s_cbranch_execz .LBB112_1568
.LBB112_2021:
	s_mov_b32 s21, 0x46000000
	v_add_f32_e64 v3, |v2|, s21
	v_and_b32_e32 v3, 0xff, v3
	v_cmp_ne_u32_e32 vcc, 0, v3
	s_andn2_b64 s[16:17], s[16:17], exec
	s_and_b64 s[22:23], vcc, exec
	s_or_b64 s[16:17], s[16:17], s[22:23]
	s_or_b64 exec, exec, s[18:19]
	v_mov_b32_e32 v11, 0
	s_and_saveexec_b64 s[18:19], s[16:17]
	s_cbranch_execnz .LBB112_1569
	s_branch .LBB112_1570
.LBB112_2022:
	s_trap 2
	s_or_b64 s[14:15], s[14:15], exec
	s_cbranch_execz .LBB112_1616
	s_branch .LBB112_1617
.LBB112_2023:
	s_andn2_saveexec_b64 s[16:17], s[16:17]
	s_cbranch_execz .LBB112_1581
.LBB112_2024:
	s_mov_b32 s18, 0x42800000
	v_add_f32_e64 v3, |v2|, s18
	v_and_b32_e32 v3, 0xff, v3
	v_cmp_ne_u32_e32 vcc, 0, v3
	s_andn2_b64 s[10:11], s[10:11], exec
	s_and_b64 s[18:19], vcc, exec
	s_or_b64 s[10:11], s[10:11], s[18:19]
	s_or_b64 exec, exec, s[16:17]
	v_mov_b32_e32 v11, 0
	s_and_saveexec_b64 s[16:17], s[10:11]
	s_cbranch_execnz .LBB112_1582
	s_branch .LBB112_1583
.LBB112_2025:
	s_andn2_saveexec_b64 s[16:17], s[16:17]
	s_cbranch_execz .LBB112_1687
.LBB112_2026:
	s_mov_b32 s21, 0x46000000
	v_add_f32_e64 v3, |v2|, s21
	v_and_b32_e32 v3, 0xff, v3
	v_cmp_ne_u32_e32 vcc, 0, v3
	s_andn2_b64 s[10:11], s[10:11], exec
	s_and_b64 s[22:23], vcc, exec
	s_or_b64 s[10:11], s[10:11], s[22:23]
	s_or_b64 exec, exec, s[16:17]
	v_mov_b32_e32 v9, 0
	s_and_saveexec_b64 s[16:17], s[10:11]
	s_cbranch_execnz .LBB112_1688
	s_branch .LBB112_1689
.LBB112_2027:
	s_trap 2
	s_or_b64 s[14:15], s[14:15], exec
	s_cbranch_execz .LBB112_1735
	s_branch .LBB112_1736
.LBB112_2028:
	s_andn2_saveexec_b64 s[10:11], s[10:11]
	s_cbranch_execz .LBB112_1700
.LBB112_2029:
	s_mov_b32 s16, 0x42800000
	v_add_f32_e64 v3, |v2|, s16
	v_and_b32_e32 v3, 0xff, v3
	v_cmp_ne_u32_e32 vcc, 0, v3
	s_andn2_b64 s[8:9], s[8:9], exec
	s_and_b64 s[16:17], vcc, exec
	s_or_b64 s[8:9], s[8:9], s[16:17]
	s_or_b64 exec, exec, s[10:11]
	v_mov_b32_e32 v9, 0
	s_and_saveexec_b64 s[10:11], s[8:9]
	s_cbranch_execnz .LBB112_1701
	s_branch .LBB112_1702
.LBB112_2030:
	s_andn2_saveexec_b64 s[16:17], s[16:17]
	s_cbranch_execz .LBB112_1806
.LBB112_2031:
	s_mov_b32 s21, 0x46000000
	v_add_f32_e64 v3, |v2|, s21
	v_and_b32_e32 v3, 0xff, v3
	v_cmp_ne_u32_e32 vcc, 0, v3
	s_andn2_b64 s[10:11], s[10:11], exec
	s_and_b64 s[22:23], vcc, exec
	s_or_b64 s[10:11], s[10:11], s[22:23]
	s_or_b64 exec, exec, s[16:17]
	v_mov_b32_e32 v7, 0
	s_and_saveexec_b64 s[16:17], s[10:11]
	s_cbranch_execnz .LBB112_1807
	s_branch .LBB112_1808
.LBB112_2032:
	s_trap 2
	s_or_b64 s[14:15], s[14:15], exec
	s_cbranch_execz .LBB112_1854
	s_branch .LBB112_1855
.LBB112_2033:
	s_andn2_saveexec_b64 s[10:11], s[10:11]
	s_cbranch_execz .LBB112_1819
.LBB112_2034:
	s_mov_b32 s16, 0x42800000
	v_add_f32_e64 v3, |v2|, s16
	v_and_b32_e32 v3, 0xff, v3
	v_cmp_ne_u32_e32 vcc, 0, v3
	s_andn2_b64 s[8:9], s[8:9], exec
	s_and_b64 s[16:17], vcc, exec
	s_or_b64 s[8:9], s[8:9], s[16:17]
	s_or_b64 exec, exec, s[10:11]
	v_mov_b32_e32 v7, 0
	s_and_saveexec_b64 s[10:11], s[8:9]
	s_cbranch_execnz .LBB112_1820
	s_branch .LBB112_1821
.LBB112_2035:
	s_andn2_saveexec_b64 s[10:11], s[10:11]
	s_cbranch_execz .LBB112_1926
.LBB112_2036:
	s_mov_b32 s17, 0x46000000
	v_add_f32_e64 v3, |v2|, s17
	v_and_b32_e32 v3, 0xff, v3
	v_cmp_ne_u32_e32 vcc, 0, v3
	s_andn2_b64 s[8:9], s[8:9], exec
	s_and_b64 s[18:19], vcc, exec
	s_or_b64 s[8:9], s[8:9], s[18:19]
	s_or_b64 exec, exec, s[10:11]
	v_mov_b32_e32 v6, 0
	s_and_saveexec_b64 s[10:11], s[8:9]
	s_cbranch_execnz .LBB112_1927
	s_branch .LBB112_1928
.LBB112_2037:
	s_mov_b64 s[4:5], 0
	s_or_b64 s[14:15], s[14:15], exec
	s_trap 2
	s_branch .LBB112_1972
.LBB112_2038:
	s_andn2_saveexec_b64 s[8:9], s[8:9]
	s_cbranch_execz .LBB112_1938
.LBB112_2039:
	s_mov_b32 s10, 0x42800000
	v_add_f32_e64 v3, |v2|, s10
	v_and_b32_e32 v3, 0xff, v3
	v_cmp_ne_u32_e32 vcc, 0, v3
	s_andn2_b64 s[6:7], s[6:7], exec
	s_and_b64 s[10:11], vcc, exec
	s_or_b64 s[6:7], s[6:7], s[10:11]
	s_or_b64 exec, exec, s[8:9]
	v_mov_b32_e32 v6, 0
	s_and_saveexec_b64 s[8:9], s[6:7]
	s_cbranch_execnz .LBB112_1939
	s_branch .LBB112_1940
	.section	.rodata,"a",@progbits
	.p2align	6, 0x0
	.amdhsa_kernel _ZN2at6native32elementwise_kernel_manual_unrollILi128ELi4EZNS0_15gpu_kernel_implIZZZNS0_17expm1_kernel_cudaERNS_18TensorIteratorBaseEENKUlvE_clEvENKUlvE_clEvEUldE_EEvS4_RKT_EUlibE_EEviT1_
		.amdhsa_group_segment_fixed_size 0
		.amdhsa_private_segment_fixed_size 0
		.amdhsa_kernarg_size 40
		.amdhsa_user_sgpr_count 2
		.amdhsa_user_sgpr_dispatch_ptr 0
		.amdhsa_user_sgpr_queue_ptr 0
		.amdhsa_user_sgpr_kernarg_segment_ptr 1
		.amdhsa_user_sgpr_dispatch_id 0
		.amdhsa_user_sgpr_kernarg_preload_length 0
		.amdhsa_user_sgpr_kernarg_preload_offset 0
		.amdhsa_user_sgpr_private_segment_size 0
		.amdhsa_uses_dynamic_stack 0
		.amdhsa_enable_private_segment 0
		.amdhsa_system_sgpr_workgroup_id_x 1
		.amdhsa_system_sgpr_workgroup_id_y 0
		.amdhsa_system_sgpr_workgroup_id_z 0
		.amdhsa_system_sgpr_workgroup_info 0
		.amdhsa_system_vgpr_workitem_id 0
		.amdhsa_next_free_vgpr 18
		.amdhsa_next_free_sgpr 44
		.amdhsa_accum_offset 20
		.amdhsa_reserve_vcc 1
		.amdhsa_float_round_mode_32 0
		.amdhsa_float_round_mode_16_64 0
		.amdhsa_float_denorm_mode_32 3
		.amdhsa_float_denorm_mode_16_64 3
		.amdhsa_dx10_clamp 1
		.amdhsa_ieee_mode 1
		.amdhsa_fp16_overflow 0
		.amdhsa_tg_split 0
		.amdhsa_exception_fp_ieee_invalid_op 0
		.amdhsa_exception_fp_denorm_src 0
		.amdhsa_exception_fp_ieee_div_zero 0
		.amdhsa_exception_fp_ieee_overflow 0
		.amdhsa_exception_fp_ieee_underflow 0
		.amdhsa_exception_fp_ieee_inexact 0
		.amdhsa_exception_int_div_zero 0
	.end_amdhsa_kernel
	.section	.text._ZN2at6native32elementwise_kernel_manual_unrollILi128ELi4EZNS0_15gpu_kernel_implIZZZNS0_17expm1_kernel_cudaERNS_18TensorIteratorBaseEENKUlvE_clEvENKUlvE_clEvEUldE_EEvS4_RKT_EUlibE_EEviT1_,"axG",@progbits,_ZN2at6native32elementwise_kernel_manual_unrollILi128ELi4EZNS0_15gpu_kernel_implIZZZNS0_17expm1_kernel_cudaERNS_18TensorIteratorBaseEENKUlvE_clEvENKUlvE_clEvEUldE_EEvS4_RKT_EUlibE_EEviT1_,comdat
.Lfunc_end112:
	.size	_ZN2at6native32elementwise_kernel_manual_unrollILi128ELi4EZNS0_15gpu_kernel_implIZZZNS0_17expm1_kernel_cudaERNS_18TensorIteratorBaseEENKUlvE_clEvENKUlvE_clEvEUldE_EEvS4_RKT_EUlibE_EEviT1_, .Lfunc_end112-_ZN2at6native32elementwise_kernel_manual_unrollILi128ELi4EZNS0_15gpu_kernel_implIZZZNS0_17expm1_kernel_cudaERNS_18TensorIteratorBaseEENKUlvE_clEvENKUlvE_clEvEUldE_EEvS4_RKT_EUlibE_EEviT1_
                                        ; -- End function
	.set _ZN2at6native32elementwise_kernel_manual_unrollILi128ELi4EZNS0_15gpu_kernel_implIZZZNS0_17expm1_kernel_cudaERNS_18TensorIteratorBaseEENKUlvE_clEvENKUlvE_clEvEUldE_EEvS4_RKT_EUlibE_EEviT1_.num_vgpr, 18
	.set _ZN2at6native32elementwise_kernel_manual_unrollILi128ELi4EZNS0_15gpu_kernel_implIZZZNS0_17expm1_kernel_cudaERNS_18TensorIteratorBaseEENKUlvE_clEvENKUlvE_clEvEUldE_EEvS4_RKT_EUlibE_EEviT1_.num_agpr, 0
	.set _ZN2at6native32elementwise_kernel_manual_unrollILi128ELi4EZNS0_15gpu_kernel_implIZZZNS0_17expm1_kernel_cudaERNS_18TensorIteratorBaseEENKUlvE_clEvENKUlvE_clEvEUldE_EEvS4_RKT_EUlibE_EEviT1_.numbered_sgpr, 44
	.set _ZN2at6native32elementwise_kernel_manual_unrollILi128ELi4EZNS0_15gpu_kernel_implIZZZNS0_17expm1_kernel_cudaERNS_18TensorIteratorBaseEENKUlvE_clEvENKUlvE_clEvEUldE_EEvS4_RKT_EUlibE_EEviT1_.num_named_barrier, 0
	.set _ZN2at6native32elementwise_kernel_manual_unrollILi128ELi4EZNS0_15gpu_kernel_implIZZZNS0_17expm1_kernel_cudaERNS_18TensorIteratorBaseEENKUlvE_clEvENKUlvE_clEvEUldE_EEvS4_RKT_EUlibE_EEviT1_.private_seg_size, 0
	.set _ZN2at6native32elementwise_kernel_manual_unrollILi128ELi4EZNS0_15gpu_kernel_implIZZZNS0_17expm1_kernel_cudaERNS_18TensorIteratorBaseEENKUlvE_clEvENKUlvE_clEvEUldE_EEvS4_RKT_EUlibE_EEviT1_.uses_vcc, 1
	.set _ZN2at6native32elementwise_kernel_manual_unrollILi128ELi4EZNS0_15gpu_kernel_implIZZZNS0_17expm1_kernel_cudaERNS_18TensorIteratorBaseEENKUlvE_clEvENKUlvE_clEvEUldE_EEvS4_RKT_EUlibE_EEviT1_.uses_flat_scratch, 0
	.set _ZN2at6native32elementwise_kernel_manual_unrollILi128ELi4EZNS0_15gpu_kernel_implIZZZNS0_17expm1_kernel_cudaERNS_18TensorIteratorBaseEENKUlvE_clEvENKUlvE_clEvEUldE_EEvS4_RKT_EUlibE_EEviT1_.has_dyn_sized_stack, 0
	.set _ZN2at6native32elementwise_kernel_manual_unrollILi128ELi4EZNS0_15gpu_kernel_implIZZZNS0_17expm1_kernel_cudaERNS_18TensorIteratorBaseEENKUlvE_clEvENKUlvE_clEvEUldE_EEvS4_RKT_EUlibE_EEviT1_.has_recursion, 0
	.set _ZN2at6native32elementwise_kernel_manual_unrollILi128ELi4EZNS0_15gpu_kernel_implIZZZNS0_17expm1_kernel_cudaERNS_18TensorIteratorBaseEENKUlvE_clEvENKUlvE_clEvEUldE_EEvS4_RKT_EUlibE_EEviT1_.has_indirect_call, 0
	.section	.AMDGPU.csdata,"",@progbits
; Kernel info:
; codeLenInByte = 39156
; TotalNumSgprs: 50
; NumVgprs: 18
; NumAgprs: 0
; TotalNumVgprs: 18
; ScratchSize: 0
; MemoryBound: 1
; FloatMode: 240
; IeeeMode: 1
; LDSByteSize: 0 bytes/workgroup (compile time only)
; SGPRBlocks: 6
; VGPRBlocks: 2
; NumSGPRsForWavesPerEU: 50
; NumVGPRsForWavesPerEU: 18
; AccumOffset: 20
; Occupancy: 8
; WaveLimiterHint : 0
; COMPUTE_PGM_RSRC2:SCRATCH_EN: 0
; COMPUTE_PGM_RSRC2:USER_SGPR: 2
; COMPUTE_PGM_RSRC2:TRAP_HANDLER: 0
; COMPUTE_PGM_RSRC2:TGID_X_EN: 1
; COMPUTE_PGM_RSRC2:TGID_Y_EN: 0
; COMPUTE_PGM_RSRC2:TGID_Z_EN: 0
; COMPUTE_PGM_RSRC2:TIDIG_COMP_CNT: 0
; COMPUTE_PGM_RSRC3_GFX90A:ACCUM_OFFSET: 4
; COMPUTE_PGM_RSRC3_GFX90A:TG_SPLIT: 0
	.section	.text._ZN2at6native32elementwise_kernel_manual_unrollILi128ELi4EZNS0_15gpu_kernel_implIZZZNS0_17expm1_kernel_cudaERNS_18TensorIteratorBaseEENKUlvE_clEvENKUlvE_clEvEUldE_EEvS4_RKT_EUlibE0_EEviT1_,"axG",@progbits,_ZN2at6native32elementwise_kernel_manual_unrollILi128ELi4EZNS0_15gpu_kernel_implIZZZNS0_17expm1_kernel_cudaERNS_18TensorIteratorBaseEENKUlvE_clEvENKUlvE_clEvEUldE_EEvS4_RKT_EUlibE0_EEviT1_,comdat
	.globl	_ZN2at6native32elementwise_kernel_manual_unrollILi128ELi4EZNS0_15gpu_kernel_implIZZZNS0_17expm1_kernel_cudaERNS_18TensorIteratorBaseEENKUlvE_clEvENKUlvE_clEvEUldE_EEvS4_RKT_EUlibE0_EEviT1_ ; -- Begin function _ZN2at6native32elementwise_kernel_manual_unrollILi128ELi4EZNS0_15gpu_kernel_implIZZZNS0_17expm1_kernel_cudaERNS_18TensorIteratorBaseEENKUlvE_clEvENKUlvE_clEvEUldE_EEvS4_RKT_EUlibE0_EEviT1_
	.p2align	8
	.type	_ZN2at6native32elementwise_kernel_manual_unrollILi128ELi4EZNS0_15gpu_kernel_implIZZZNS0_17expm1_kernel_cudaERNS_18TensorIteratorBaseEENKUlvE_clEvENKUlvE_clEvEUldE_EEvS4_RKT_EUlibE0_EEviT1_,@function
_ZN2at6native32elementwise_kernel_manual_unrollILi128ELi4EZNS0_15gpu_kernel_implIZZZNS0_17expm1_kernel_cudaERNS_18TensorIteratorBaseEENKUlvE_clEvENKUlvE_clEvEUldE_EEvS4_RKT_EUlibE0_EEviT1_: ; @_ZN2at6native32elementwise_kernel_manual_unrollILi128ELi4EZNS0_15gpu_kernel_implIZZZNS0_17expm1_kernel_cudaERNS_18TensorIteratorBaseEENKUlvE_clEvENKUlvE_clEvEUldE_EEvS4_RKT_EUlibE0_EEviT1_
; %bb.0:
	s_load_dword s70, s[0:1], 0x0
	s_load_dword s33, s[0:1], 0x8
	s_add_u32 s34, s0, 8
	s_addc_u32 s35, s1, 0
	v_lshl_or_b32 v10, s2, 9, v0
	v_or_b32_e32 v16, 0x180, v10
	s_waitcnt lgkmcnt(0)
	s_add_i32 s72, s33, -1
	s_cmp_gt_u32 s72, 1
	v_cmp_le_i32_e32 vcc, s70, v16
	s_cselect_b64 s[42:43], -1, 0
	s_mov_b64 s[40:41], 0
	s_mov_b64 s[24:25], 0
	s_and_saveexec_b64 s[2:3], vcc
	s_xor_b64 s[44:45], exec, s[2:3]
	s_cbranch_execz .LBB113_1090
; %bb.1:
	v_mov_b32_e32 v0, 0
	global_load_ushort v0, v0, s[34:35] offset:345
	s_load_dwordx4 s[28:31], s[34:35], 0x4
	s_load_dwordx2 s[46:47], s[34:35], 0x14
	s_load_dwordx4 s[24:27], s[34:35], 0xc4
	s_load_dwordx4 s[20:23], s[34:35], 0x148
	s_cmp_lg_u32 s33, 0
	s_cselect_b64 s[52:53], -1, 0
	s_add_u32 s50, s34, 0xc4
	s_addc_u32 s51, s35, 0
	s_min_u32 s75, s72, 15
	s_cmp_gt_u32 s33, 1
	s_cselect_b64 s[48:49], -1, 0
	v_cmp_gt_i32_e32 vcc, s70, v10
	s_mov_b64 s[4:5], -1
	s_mov_b64 s[62:63], 0
	s_mov_b64 s[56:57], 0
	;; [unrolled: 1-line block ×3, first 2 shown]
	s_waitcnt vmcnt(0)
	v_readfirstlane_b32 s73, v0
	s_and_b32 s2, 0xffff, s73
	s_lshr_b32 s74, s2, 8
	s_and_saveexec_b64 s[58:59], vcc
	s_cbranch_execz .LBB113_267
; %bb.2:
	s_andn2_b64 vcc, exec, s[42:43]
	s_cbranch_vccnz .LBB113_8
; %bb.3:
	s_andn2_b64 vcc, exec, s[52:53]
	s_cbranch_vccnz .LBB113_9
; %bb.4:
	s_add_i32 s57, s75, 1
	s_cmp_eq_u32 s72, 2
	s_cbranch_scc1 .LBB113_10
; %bb.5:
	s_and_b32 s56, s57, 28
	s_mov_b32 s60, 0
	v_mov_b32_e32 v2, 0
	v_mov_b32_e32 v0, 0
	s_mov_b64 s[2:3], s[34:35]
	s_mov_b64 s[54:55], s[50:51]
	v_mov_b32_e32 v4, v10
.LBB113_6:                              ; =>This Inner Loop Header: Depth=1
	s_load_dwordx8 s[12:19], s[2:3], 0x4
	s_load_dwordx4 s[36:39], s[2:3], 0x24
	s_load_dwordx8 s[4:11], s[54:55], 0x0
	s_add_u32 s2, s2, 48
	s_addc_u32 s3, s3, 0
	s_waitcnt lgkmcnt(0)
	v_mul_hi_u32 v1, s13, v4
	v_add_u32_e32 v1, v4, v1
	v_lshrrev_b32_e32 v1, s14, v1
	v_mul_lo_u32 v3, v1, s12
	v_mul_hi_u32 v5, s16, v1
	v_sub_u32_e32 v3, v4, v3
	v_add_u32_e32 v4, v1, v5
	v_lshrrev_b32_e32 v4, s17, v4
	v_mul_lo_u32 v6, v4, s15
	v_mul_hi_u32 v7, s19, v4
	v_sub_u32_e32 v1, v1, v6
	v_add_u32_e32 v6, v4, v7
	v_mul_lo_u32 v5, v3, s5
	v_mul_lo_u32 v3, v3, s4
	;; [unrolled: 1-line block ×4, first 2 shown]
	v_lshrrev_b32_e32 v6, s36, v6
	v_add3_u32 v1, v3, v2, v1
	v_mul_hi_u32 v3, s38, v6
	v_mul_lo_u32 v2, v6, s18
	v_add_u32_e32 v3, v6, v3
	v_sub_u32_e32 v2, v4, v2
	v_lshrrev_b32_e32 v4, s39, v3
	s_add_i32 s60, s60, 4
	v_mul_lo_u32 v3, v4, s37
	s_add_u32 s54, s54, 32
	v_sub_u32_e32 v3, v6, v3
	s_addc_u32 s55, s55, 0
	v_add3_u32 v0, v5, v0, v7
	v_mul_lo_u32 v5, v2, s8
	v_mul_lo_u32 v2, v2, s9
	;; [unrolled: 1-line block ×4, first 2 shown]
	s_cmp_lg_u32 s56, s60
	v_add3_u32 v0, v2, v0, v3
	v_add3_u32 v2, v5, v1, v6
	s_cbranch_scc1 .LBB113_6
; %bb.7:
	v_mov_b32_e32 v1, v0
	s_branch .LBB113_11
.LBB113_8:
                                        ; implicit-def: $vgpr0
                                        ; implicit-def: $vgpr2
	s_branch .LBB113_15
.LBB113_9:
	v_mov_b32_e32 v0, 0
	v_mov_b32_e32 v2, 0
	s_branch .LBB113_14
.LBB113_10:
	v_mov_b32_e32 v2, 0
	s_mov_b32 s56, 0
	v_mov_b32_e32 v1, v2
                                        ; implicit-def: $vgpr0
	v_mov_b32_e32 v4, v10
.LBB113_11:
	s_and_b32 s6, s57, 3
	s_cmp_eq_u32 s6, 0
	s_cbranch_scc1 .LBB113_14
; %bb.12:
	s_lshl_b32 s2, s56, 3
	s_add_u32 s2, s34, s2
	s_addc_u32 s3, s35, 0
	s_add_u32 s2, s2, 0xc4
	s_addc_u32 s3, s3, 0
	s_mul_i32 s4, s56, 12
	s_add_u32 s4, s34, s4
	s_addc_u32 s5, s35, 0
.LBB113_13:                             ; =>This Inner Loop Header: Depth=1
	s_load_dwordx2 s[8:9], s[4:5], 0x4
	s_load_dword s7, s[4:5], 0xc
	s_load_dwordx2 s[10:11], s[2:3], 0x0
	v_mov_b32_e32 v0, v1
	s_add_u32 s4, s4, 12
	s_waitcnt lgkmcnt(0)
	v_mul_hi_u32 v1, s9, v4
	v_add_u32_e32 v1, v4, v1
	v_lshrrev_b32_e32 v1, s7, v1
	s_addc_u32 s5, s5, 0
	v_mul_lo_u32 v3, v1, s8
	s_add_u32 s2, s2, 8
	v_sub_u32_e32 v3, v4, v3
	s_addc_u32 s3, s3, 0
	s_add_i32 s6, s6, -1
	v_mov_b32_e32 v4, v1
	v_mad_u64_u32 v[0:1], s[8:9], v3, s11, v[0:1]
	s_cmp_lg_u32 s6, 0
	v_mad_u64_u32 v[2:3], s[8:9], v3, s10, v[2:3]
	v_mov_b32_e32 v1, v0
	s_cbranch_scc1 .LBB113_13
.LBB113_14:
	s_cbranch_execnz .LBB113_17
.LBB113_15:
	s_waitcnt lgkmcnt(0)
	v_mul_hi_u32 v0, s29, v10
	v_add_u32_e32 v0, v10, v0
	v_lshrrev_b32_e32 v1, s30, v0
	v_mul_lo_u32 v0, v1, s28
	v_sub_u32_e32 v2, v10, v0
	v_mul_lo_u32 v0, v2, s25
	s_andn2_b64 vcc, exec, s[48:49]
	v_mul_lo_u32 v2, v2, s24
	s_cbranch_vccnz .LBB113_17
; %bb.16:
	v_mul_hi_u32 v3, s46, v1
	v_add_u32_e32 v3, v1, v3
	v_lshrrev_b32_e32 v3, s47, v3
	v_mul_lo_u32 v3, v3, s31
	v_sub_u32_e32 v1, v1, v3
	v_mad_u64_u32 v[2:3], s[2:3], v1, s26, v[2:3]
	v_mad_u64_u32 v[0:1], s[2:3], v1, s27, v[0:1]
.LBB113_17:
	v_mov_b32_e32 v1, 0
	s_and_b32 s10, 0xffff, s74
	s_cmp_lt_i32 s10, 11
	s_waitcnt lgkmcnt(0)
	v_lshl_add_u64 v[0:1], s[22:23], 0, v[0:1]
	s_cbranch_scc1 .LBB113_24
; %bb.18:
	s_cmp_gt_i32 s10, 25
	s_cbranch_scc0 .LBB113_33
; %bb.19:
	s_cmp_gt_i32 s10, 28
	s_cbranch_scc0 .LBB113_36
	;; [unrolled: 3-line block ×4, first 2 shown]
; %bb.22:
	s_cmp_eq_u32 s10, 46
	s_mov_b64 s[6:7], 0
	s_cbranch_scc0 .LBB113_42
; %bb.23:
	global_load_dword v3, v[0:1], off
	s_mov_b64 s[2:3], -1
	s_mov_b64 s[4:5], 0
	s_waitcnt vmcnt(0)
	v_lshlrev_b32_e32 v3, 16, v3
	v_cvt_f64_f32_e32 v[4:5], v3
	s_branch .LBB113_44
.LBB113_24:
	s_mov_b64 s[4:5], 0
                                        ; implicit-def: $vgpr4_vgpr5
	s_mov_b64 s[2:3], 0
	s_cbranch_execnz .LBB113_217
.LBB113_25:
	s_andn2_b64 vcc, exec, s[2:3]
	s_cbranch_vccnz .LBB113_264
.LBB113_26:
	s_mov_b32 s2, 0x652b82fe
	s_mov_b32 s3, 0x3ff71547
	s_waitcnt vmcnt(0)
	v_mul_f64 v[0:1], v[4:5], s[2:3]
	v_rndne_f64_e32 v[0:1], v[0:1]
	s_mov_b32 s3, 0xbfe62e42
	s_mov_b32 s2, 0xfefa39ef
	s_mov_b32 s6, 0x3b39803f
	v_fma_f64 v[6:7], s[2:3], v[0:1], v[4:5]
	s_mov_b32 s7, 0xbc7abc9e
	v_fmac_f64_e32 v[6:7], s[6:7], v[0:1]
	s_mov_b32 s6, 0xa9d67f34
	v_mov_b32_e32 v8, 0x2a1b768b
	v_mov_b32_e32 v9, 0x3e5af4eb
	s_mov_b32 s7, 0x3e21f32e
	v_fmac_f64_e32 v[8:9], s[6:7], v[6:7]
	v_mov_b32_e32 v12, 0xe0ac05b
	v_mov_b32_e32 v13, 0x3e927e50
	v_fmac_f64_e32 v[12:13], v[6:7], v[8:9]
	v_mov_b32_e32 v8, 0x1b889c29
	v_mov_b32_e32 v9, 0x3ec71de0
	;; [unrolled: 3-line block ×8, first 2 shown]
	v_fmac_f64_e32 v[8:9], v[6:7], v[12:13]
	v_fma_f64 v[8:9], v[6:7], v[8:9], 0.5
	s_mov_b32 s6, 0
	v_mul_f64 v[8:9], v[6:7], v[8:9]
	s_mov_b32 s7, 0x40900000
	v_cvt_i32_f64_e32 v3, v[0:1]
	v_fmac_f64_e32 v[6:7], v[6:7], v[8:9]
	v_ldexp_f64 v[8:9], 1.0, v3
	v_mov_b32_e32 v3, 0x7fe00000
	v_cmp_eq_f64_e32 vcc, s[6:7], v[0:1]
	s_mov_b32 s3, 0x40862e42
	s_and_b32 s12, s73, 0xff
	v_cndmask_b32_e32 v1, v9, v3, vcc
	v_cndmask_b32_e64 v0, v8, 0, vcc
	v_add_f64 v[8:9], v[0:1], -1.0
	v_fmac_f64_e32 v[8:9], v[0:1], v[6:7]
	v_add_f64 v[0:1], v[8:9], v[8:9]
	v_cndmask_b32_e32 v0, v8, v0, vcc
	v_cndmask_b32_e32 v1, v9, v1, vcc
	v_cmp_nlt_f64_e32 vcc, s[2:3], v[4:5]
	s_mov_b32 s2, 0
	v_mov_b32_e32 v3, 0x7ff00000
	s_mov_b32 s3, 0xc0428000
	v_cndmask_b32_e32 v1, v3, v1, vcc
	v_mov_b32_e32 v3, 0xbff00000
	v_cmp_ngt_f64_e64 s[2:3], s[2:3], v[4:5]
	s_and_b64 vcc, s[2:3], vcc
	v_cndmask_b32_e32 v0, 0, v0, vcc
	v_cndmask_b32_e64 v1, v3, v1, s[2:3]
	v_mov_b32_e32 v3, 0
	s_cmp_lt_i32 s12, 11
	v_lshl_add_u64 v[4:5], s[20:21], 0, v[2:3]
	s_cbranch_scc1 .LBB113_34
; %bb.27:
	s_and_b32 s13, 0xffff, s12
	s_cmp_gt_i32 s13, 25
	s_cbranch_scc0 .LBB113_37
; %bb.28:
	s_cmp_gt_i32 s13, 28
	s_cbranch_scc0 .LBB113_39
; %bb.29:
	;; [unrolled: 3-line block ×4, first 2 shown]
	s_mov_b64 s[8:9], 0
	s_mov_b64 s[2:3], -1
	s_cmp_eq_u32 s13, 46
	s_mov_b64 s[6:7], 0
	s_cbranch_scc0 .LBB113_48
; %bb.32:
	v_cvt_f32_f64_e32 v2, v[0:1]
	v_bfe_u32 v3, v2, 16, 1
	s_movk_i32 s2, 0x7fff
	v_add3_u32 v3, v2, v3, s2
	v_cmp_o_f32_e32 vcc, v2, v2
	v_mov_b32_e32 v2, 0x7fc0
	s_mov_b64 s[6:7], -1
	v_cndmask_b32_sdwa v2, v2, v3, vcc dst_sel:DWORD dst_unused:UNUSED_PAD src0_sel:DWORD src1_sel:WORD_1
	global_store_dword v[4:5], v2, off
	s_mov_b64 s[2:3], 0
	s_branch .LBB113_48
.LBB113_33:
	s_mov_b64 s[4:5], 0
	s_mov_b64 s[2:3], 0
                                        ; implicit-def: $vgpr4_vgpr5
	s_cbranch_execnz .LBB113_184
	s_branch .LBB113_216
.LBB113_34:
	s_mov_b64 s[2:3], 0
	s_mov_b64 s[6:7], 0
	s_cbranch_execnz .LBB113_117
.LBB113_35:
	s_andn2_b64 vcc, exec, s[6:7]
	s_cbranch_vccnz .LBB113_265
	s_branch .LBB113_155
.LBB113_36:
	s_mov_b64 s[6:7], -1
	s_mov_b64 s[4:5], 0
	s_mov_b64 s[2:3], 0
                                        ; implicit-def: $vgpr4_vgpr5
	s_branch .LBB113_163
.LBB113_37:
	s_mov_b64 s[8:9], -1
	s_mov_b64 s[2:3], 0
	s_mov_b64 s[6:7], 0
	s_branch .LBB113_75
.LBB113_38:
	s_mov_b64 s[6:7], -1
	s_mov_b64 s[4:5], 0
	s_mov_b64 s[2:3], 0
                                        ; implicit-def: $vgpr4_vgpr5
	s_branch .LBB113_158
.LBB113_39:
	s_mov_b64 s[8:9], -1
	s_mov_b64 s[2:3], 0
	s_mov_b64 s[6:7], 0
	s_branch .LBB113_58
.LBB113_40:
	s_mov_b64 s[6:7], -1
	s_mov_b64 s[4:5], 0
	s_branch .LBB113_43
.LBB113_41:
	s_mov_b64 s[8:9], -1
	s_mov_b64 s[2:3], 0
	s_mov_b64 s[6:7], 0
	s_branch .LBB113_54
.LBB113_42:
	s_mov_b64 s[4:5], -1
.LBB113_43:
	s_mov_b64 s[2:3], 0
                                        ; implicit-def: $vgpr4_vgpr5
.LBB113_44:
	s_and_b64 vcc, exec, s[6:7]
	s_cbranch_vccz .LBB113_157
; %bb.45:
	s_cmp_eq_u32 s10, 44
	s_cbranch_scc0 .LBB113_156
; %bb.46:
	global_load_ubyte v3, v[0:1], off
	s_movk_i32 s4, 0xff
	v_bfrev_b32_e32 v6, 4
	v_mov_b32_e32 v7, 0x7ff80000
	v_bfrev_b32_e32 v8, 28
	s_mov_b64 s[2:3], -1
	s_waitcnt vmcnt(0)
	v_lshlrev_b32_e32 v4, 23, v3
	v_cvt_f64_f32_e32 v[4:5], v4
	v_cmp_ne_u32_e32 vcc, s4, v3
	s_mov_b64 s[4:5], 0
	s_nop 0
	v_cndmask_b32_e32 v4, v6, v4, vcc
	v_cndmask_b32_e32 v5, v7, v5, vcc
	v_cmp_ne_u32_e32 vcc, 0, v3
	s_nop 1
	v_cndmask_b32_e32 v5, v8, v5, vcc
	v_cndmask_b32_e32 v4, 0, v4, vcc
	s_branch .LBB113_157
.LBB113_47:
	s_mov_b64 s[8:9], -1
	s_mov_b64 s[2:3], 0
	s_mov_b64 s[6:7], 0
.LBB113_48:
	s_and_b64 vcc, exec, s[8:9]
	s_cbranch_vccz .LBB113_53
; %bb.49:
	s_cmp_eq_u32 s13, 44
	s_mov_b64 s[2:3], -1
	s_cbranch_scc0 .LBB113_53
; %bb.50:
	v_cvt_f32_f64_e32 v2, v[0:1]
	v_bfe_u32 v3, v2, 23, 8
	s_movk_i32 s2, 0xff
	v_cmp_ne_u32_e32 vcc, s2, v3
	v_mov_b32_e32 v6, 0xff
	s_and_saveexec_b64 s[6:7], vcc
; %bb.51:
	s_mov_b32 s2, 0x3fffff
	v_lshrrev_b32_e32 v6, 23, v2
	v_and_b32_e32 v7, 0x400000, v2
	v_and_or_b32 v2, v2, s2, v3
	v_cmp_ne_u32_e32 vcc, 0, v7
	v_cmp_ne_u32_e64 s[2:3], 0, v2
	s_and_b64 s[2:3], vcc, s[2:3]
	s_nop 0
	v_cndmask_b32_e64 v2, 0, 1, s[2:3]
	v_add_u32_e32 v6, v6, v2
; %bb.52:
	s_or_b64 exec, exec, s[6:7]
	s_mov_b64 s[6:7], -1
	s_mov_b64 s[2:3], 0
	global_store_byte v[4:5], v6, off
.LBB113_53:
	s_mov_b64 s[8:9], 0
.LBB113_54:
	s_and_b64 vcc, exec, s[8:9]
	s_cbranch_vccz .LBB113_57
; %bb.55:
	s_cmp_eq_u32 s13, 29
	s_mov_b64 s[2:3], -1
	s_cbranch_scc0 .LBB113_57
; %bb.56:
	v_trunc_f64_e32 v[2:3], v[0:1]
	s_movk_i32 s2, 0xffe0
	v_ldexp_f64 v[6:7], v[2:3], s2
	v_floor_f64_e32 v[6:7], v[6:7]
	v_fmac_f64_e32 v[2:3], 0xc1f00000, v[6:7]
	v_cvt_u32_f64_e32 v9, v[6:7]
	v_cvt_u32_f64_e32 v8, v[2:3]
	global_store_dwordx2 v[4:5], v[8:9], off
	s_mov_b64 s[6:7], -1
	s_mov_b64 s[2:3], 0
.LBB113_57:
	s_mov_b64 s[8:9], 0
.LBB113_58:
	s_and_b64 vcc, exec, s[8:9]
	s_cbranch_vccz .LBB113_74
; %bb.59:
	s_cmp_lt_i32 s13, 27
	s_mov_b64 s[6:7], -1
	s_cbranch_scc1 .LBB113_65
; %bb.60:
	s_cmp_gt_i32 s13, 27
	v_cvt_u32_f64_e32 v2, v[0:1]
	s_cbranch_scc0 .LBB113_62
; %bb.61:
	s_mov_b64 s[6:7], 0
	global_store_dword v[4:5], v2, off
.LBB113_62:
	s_andn2_b64 vcc, exec, s[6:7]
	s_cbranch_vccnz .LBB113_64
; %bb.63:
	global_store_short v[4:5], v2, off
.LBB113_64:
	s_mov_b64 s[6:7], 0
.LBB113_65:
	s_andn2_b64 vcc, exec, s[6:7]
	s_cbranch_vccnz .LBB113_73
; %bb.66:
	v_cvt_f32_f64_e32 v2, v[0:1]
	v_and_b32_e32 v3, 0x7fffffff, v2
	s_mov_b32 s6, 0x43800000
	v_cmp_gt_u32_e32 vcc, s6, v3
	v_mov_b32_e32 v6, 0x80
	s_and_saveexec_b64 s[6:7], vcc
	s_cbranch_execz .LBB113_72
; %bb.67:
	s_mov_b32 s8, 0x3bffffff
	v_cmp_lt_u32_e32 vcc, s8, v3
	s_mov_b64 s[8:9], 0
                                        ; implicit-def: $vgpr3
	s_and_saveexec_b64 s[10:11], vcc
	s_xor_b64 s[10:11], exec, s[10:11]
	s_cbranch_execz .LBB113_309
; %bb.68:
	v_bfe_u32 v3, v2, 20, 1
	s_mov_b32 s14, 0x487ffff
	v_add3_u32 v3, v2, v3, s14
	s_mov_b64 s[8:9], exec
	v_lshrrev_b32_e32 v3, 20, v3
	s_andn2_saveexec_b64 s[10:11], s[10:11]
	s_cbranch_execnz .LBB113_310
.LBB113_69:
	s_or_b64 exec, exec, s[10:11]
	v_mov_b32_e32 v6, 0
	s_and_saveexec_b64 s[10:11], s[8:9]
.LBB113_70:
	v_lshrrev_b32_e32 v2, 24, v2
	s_movk_i32 s8, 0x80
	v_and_or_b32 v6, v2, s8, v3
.LBB113_71:
	s_or_b64 exec, exec, s[10:11]
.LBB113_72:
	s_or_b64 exec, exec, s[6:7]
	global_store_byte v[4:5], v6, off
.LBB113_73:
	s_mov_b64 s[6:7], -1
.LBB113_74:
	s_mov_b64 s[8:9], 0
.LBB113_75:
	s_and_b64 vcc, exec, s[8:9]
	s_cbranch_vccz .LBB113_116
; %bb.76:
	s_cmp_gt_i32 s13, 22
	s_mov_b64 s[8:9], -1
	s_cbranch_scc0 .LBB113_108
; %bb.77:
	s_cmp_lt_i32 s13, 24
	s_mov_b64 s[6:7], -1
	s_cbranch_scc1 .LBB113_97
; %bb.78:
	s_cmp_gt_i32 s13, 24
	s_cbranch_scc0 .LBB113_86
; %bb.79:
	v_cvt_f32_f64_e32 v2, v[0:1]
	v_and_b32_e32 v3, 0x7fffffff, v2
	s_mov_b32 s6, 0x47800000
	v_cmp_gt_u32_e32 vcc, s6, v3
	v_mov_b32_e32 v6, 0x80
	s_and_saveexec_b64 s[6:7], vcc
	s_cbranch_execz .LBB113_85
; %bb.80:
	s_mov_b32 s8, 0x37ffffff
	v_cmp_lt_u32_e32 vcc, s8, v3
	s_mov_b64 s[8:9], 0
                                        ; implicit-def: $vgpr3
	s_and_saveexec_b64 s[10:11], vcc
	s_xor_b64 s[10:11], exec, s[10:11]
	s_cbranch_execz .LBB113_313
; %bb.81:
	v_bfe_u32 v3, v2, 21, 1
	s_mov_b32 s14, 0x88fffff
	v_add3_u32 v3, v2, v3, s14
	s_mov_b64 s[8:9], exec
	v_lshrrev_b32_e32 v3, 21, v3
	s_andn2_saveexec_b64 s[10:11], s[10:11]
	s_cbranch_execnz .LBB113_314
.LBB113_82:
	s_or_b64 exec, exec, s[10:11]
	v_mov_b32_e32 v6, 0
	s_and_saveexec_b64 s[10:11], s[8:9]
.LBB113_83:
	v_lshrrev_b32_e32 v2, 24, v2
	s_movk_i32 s8, 0x80
	v_and_or_b32 v6, v2, s8, v3
.LBB113_84:
	s_or_b64 exec, exec, s[10:11]
.LBB113_85:
	s_or_b64 exec, exec, s[6:7]
	s_mov_b64 s[6:7], 0
	global_store_byte v[4:5], v6, off
.LBB113_86:
	s_and_b64 vcc, exec, s[6:7]
	s_cbranch_vccz .LBB113_96
; %bb.87:
	v_cvt_f32_f64_e32 v2, v[0:1]
	v_and_b32_e32 v6, 0x7fffffff, v2
	s_mov_b32 s6, 0x43f00000
	v_cmp_gt_u32_e32 vcc, s6, v6
                                        ; implicit-def: $vgpr3
	s_and_saveexec_b64 s[6:7], vcc
	s_xor_b64 s[6:7], exec, s[6:7]
	s_cbranch_execz .LBB113_93
; %bb.88:
	s_mov_b32 s8, 0x3c7fffff
	v_cmp_lt_u32_e32 vcc, s8, v6
                                        ; implicit-def: $vgpr3
	s_and_saveexec_b64 s[8:9], vcc
	s_xor_b64 s[8:9], exec, s[8:9]
; %bb.89:
	v_bfe_u32 v3, v2, 20, 1
	s_mov_b32 s10, 0x407ffff
	v_add3_u32 v3, v2, v3, s10
	v_lshrrev_b32_e32 v6, 20, v3
	v_and_b32_e32 v3, 0xff00000, v3
	s_mov_b32 s10, 0x7f00000
	v_mov_b32_e32 v7, 0x7e
	v_cmp_ne_u32_e32 vcc, s10, v3
	s_nop 1
	v_cndmask_b32_e32 v3, v7, v6, vcc
; %bb.90:
	s_andn2_saveexec_b64 s[8:9], s[8:9]
; %bb.91:
	s_mov_b32 s10, 0x46800000
	v_add_f32_e64 v3, |v2|, s10
; %bb.92:
	s_or_b64 exec, exec, s[8:9]
                                        ; implicit-def: $vgpr6
.LBB113_93:
	s_andn2_saveexec_b64 s[6:7], s[6:7]
; %bb.94:
	s_mov_b32 s8, 0x7f800000
	v_mov_b32_e32 v3, 0x7e
	v_mov_b32_e32 v7, 0x7f
	v_cmp_lt_u32_e32 vcc, s8, v6
	s_nop 1
	v_cndmask_b32_e32 v3, v3, v7, vcc
; %bb.95:
	s_or_b64 exec, exec, s[6:7]
	v_lshrrev_b32_e32 v2, 24, v2
	s_movk_i32 s6, 0x80
	v_and_or_b32 v2, v2, s6, v3
	global_store_byte v[4:5], v2, off
.LBB113_96:
	s_mov_b64 s[6:7], 0
.LBB113_97:
	s_andn2_b64 vcc, exec, s[6:7]
	s_cbranch_vccnz .LBB113_107
; %bb.98:
	v_cvt_f32_f64_e32 v2, v[0:1]
	v_and_b32_e32 v6, 0x7fffffff, v2
	s_mov_b32 s6, 0x47800000
	v_cmp_gt_u32_e32 vcc, s6, v6
                                        ; implicit-def: $vgpr3
	s_and_saveexec_b64 s[6:7], vcc
	s_xor_b64 s[6:7], exec, s[6:7]
	s_cbranch_execz .LBB113_104
; %bb.99:
	s_mov_b32 s8, 0x387fffff
	v_cmp_lt_u32_e32 vcc, s8, v6
                                        ; implicit-def: $vgpr3
	s_and_saveexec_b64 s[8:9], vcc
	s_xor_b64 s[8:9], exec, s[8:9]
; %bb.100:
	v_bfe_u32 v3, v2, 21, 1
	s_mov_b32 s10, 0x80fffff
	v_add3_u32 v3, v2, v3, s10
	v_lshrrev_b32_e32 v3, 21, v3
; %bb.101:
	s_andn2_saveexec_b64 s[8:9], s[8:9]
; %bb.102:
	s_mov_b32 s10, 0x43000000
	v_add_f32_e64 v3, |v2|, s10
; %bb.103:
	s_or_b64 exec, exec, s[8:9]
                                        ; implicit-def: $vgpr6
.LBB113_104:
	s_andn2_saveexec_b64 s[6:7], s[6:7]
; %bb.105:
	s_mov_b32 s8, 0x7f800000
	v_mov_b32_e32 v3, 0x7c
	v_mov_b32_e32 v7, 0x7f
	v_cmp_lt_u32_e32 vcc, s8, v6
	s_nop 1
	v_cndmask_b32_e32 v3, v3, v7, vcc
; %bb.106:
	s_or_b64 exec, exec, s[6:7]
	v_lshrrev_b32_e32 v2, 24, v2
	s_movk_i32 s6, 0x80
	v_and_or_b32 v2, v2, s6, v3
	global_store_byte v[4:5], v2, off
.LBB113_107:
	s_mov_b64 s[8:9], 0
	s_mov_b64 s[6:7], -1
.LBB113_108:
	s_andn2_b64 vcc, exec, s[8:9]
	s_cbranch_vccnz .LBB113_116
; %bb.109:
	s_cmp_gt_i32 s13, 14
	s_mov_b64 s[8:9], -1
	s_cbranch_scc0 .LBB113_113
; %bb.110:
	s_cmp_eq_u32 s13, 15
	s_mov_b64 s[2:3], -1
	s_cbranch_scc0 .LBB113_112
; %bb.111:
	v_cvt_f32_f64_e32 v2, v[0:1]
	v_bfe_u32 v3, v2, 16, 1
	s_movk_i32 s2, 0x7fff
	v_add3_u32 v3, v2, v3, s2
	v_cmp_o_f32_e32 vcc, v2, v2
	v_mov_b32_e32 v2, 0x7fc0
	s_mov_b64 s[6:7], -1
	v_cndmask_b32_sdwa v2, v2, v3, vcc dst_sel:DWORD dst_unused:UNUSED_PAD src0_sel:DWORD src1_sel:WORD_1
	global_store_short v[4:5], v2, off
	s_mov_b64 s[2:3], 0
.LBB113_112:
	s_mov_b64 s[8:9], 0
.LBB113_113:
	s_and_b64 vcc, exec, s[8:9]
	s_cbranch_vccz .LBB113_116
; %bb.114:
	s_cmp_eq_u32 s13, 11
	s_mov_b64 s[2:3], -1
	s_cbranch_scc0 .LBB113_116
; %bb.115:
	v_cmp_neq_f64_e32 vcc, 0, v[0:1]
	s_mov_b64 s[2:3], 0
	s_mov_b64 s[6:7], -1
	v_cndmask_b32_e64 v2, 0, 1, vcc
	global_store_byte v[4:5], v2, off
.LBB113_116:
	s_branch .LBB113_35
.LBB113_117:
	s_and_b32 s8, 0xffff, s12
	s_cmp_lt_i32 s8, 5
	s_mov_b64 s[6:7], -1
	s_cbranch_scc1 .LBB113_138
; %bb.118:
	s_cmp_lt_i32 s8, 8
	s_cbranch_scc1 .LBB113_128
; %bb.119:
	s_cmp_lt_i32 s8, 9
	s_cbranch_scc1 .LBB113_125
; %bb.120:
	s_cmp_gt_i32 s8, 9
	s_cbranch_scc0 .LBB113_122
; %bb.121:
	v_mov_b32_e32 v2, 0
	v_mov_b32_e32 v3, v2
	global_store_dwordx4 v[4:5], v[0:3], off
	s_mov_b64 s[6:7], 0
.LBB113_122:
	s_andn2_b64 vcc, exec, s[6:7]
	s_cbranch_vccnz .LBB113_124
; %bb.123:
	v_cvt_f32_f64_e32 v2, v[0:1]
	v_mov_b32_e32 v3, 0
	global_store_dwordx2 v[4:5], v[2:3], off
.LBB113_124:
	s_mov_b64 s[6:7], 0
.LBB113_125:
	s_andn2_b64 vcc, exec, s[6:7]
	s_cbranch_vccnz .LBB113_127
; %bb.126:
	s_movk_i32 s6, 0x1ff
	v_and_or_b32 v2, v1, s6, v0
	v_cmp_ne_u32_e32 vcc, 0, v2
	v_lshrrev_b32_e32 v3, 8, v1
	s_movk_i32 s6, 0xffe
	v_cndmask_b32_e64 v2, 0, 1, vcc
	v_bfe_u32 v6, v1, 20, 11
	v_and_or_b32 v2, v3, s6, v2
	v_sub_u32_e32 v7, 0x3f1, v6
	v_or_b32_e32 v3, 0x1000, v2
	v_med3_i32 v7, v7, 0, 13
	v_lshrrev_b32_e32 v8, v7, v3
	v_lshlrev_b32_e32 v7, v7, v8
	v_cmp_ne_u32_e32 vcc, v7, v3
	v_add_u32_e32 v6, 0xfffffc10, v6
	v_lshl_or_b32 v7, v6, 12, v2
	v_cndmask_b32_e64 v3, 0, 1, vcc
	v_or_b32_e32 v3, v8, v3
	v_cmp_gt_i32_e32 vcc, 1, v6
	s_movk_i32 s6, 0x40f
	s_nop 0
	v_cndmask_b32_e32 v3, v7, v3, vcc
	v_and_b32_e32 v7, 7, v3
	v_cmp_lt_i32_e32 vcc, 5, v7
	v_lshrrev_b32_e32 v3, 2, v3
	s_nop 0
	v_cndmask_b32_e64 v8, 0, 1, vcc
	v_cmp_eq_u32_e32 vcc, 3, v7
	s_nop 1
	v_cndmask_b32_e64 v7, 0, 1, vcc
	v_or_b32_e32 v7, v7, v8
	v_add_u32_e32 v3, v3, v7
	v_mov_b32_e32 v7, 0x7c00
	v_cmp_gt_i32_e32 vcc, 31, v6
	v_mov_b32_e32 v8, 0x7e00
	s_nop 0
	v_cndmask_b32_e32 v3, v7, v3, vcc
	v_cmp_ne_u32_e32 vcc, 0, v2
	s_nop 1
	v_cndmask_b32_e32 v2, v7, v8, vcc
	v_cmp_eq_u32_e32 vcc, s6, v6
	s_mov_b32 s6, 0x8000
	s_nop 0
	v_cndmask_b32_e32 v2, v3, v2, vcc
	v_and_b32_sdwa v3, v1, s6 dst_sel:DWORD dst_unused:UNUSED_PAD src0_sel:WORD_1 src1_sel:DWORD
	s_mov_b32 s6, 0xffff
	v_bitop3_b32 v2, v3, s6, v2 bitop3:0xc8
	global_store_dword v[4:5], v2, off
.LBB113_127:
	s_mov_b64 s[6:7], 0
.LBB113_128:
	s_andn2_b64 vcc, exec, s[6:7]
	s_cbranch_vccnz .LBB113_137
; %bb.129:
	s_cmp_lt_i32 s8, 6
	s_mov_b64 s[6:7], -1
	s_cbranch_scc1 .LBB113_135
; %bb.130:
	s_cmp_gt_i32 s8, 6
	s_cbranch_scc0 .LBB113_132
; %bb.131:
	global_store_dwordx2 v[4:5], v[0:1], off
	s_mov_b64 s[6:7], 0
.LBB113_132:
	s_andn2_b64 vcc, exec, s[6:7]
	s_cbranch_vccnz .LBB113_134
; %bb.133:
	v_cvt_f32_f64_e32 v2, v[0:1]
	global_store_dword v[4:5], v2, off
.LBB113_134:
	s_mov_b64 s[6:7], 0
.LBB113_135:
	s_andn2_b64 vcc, exec, s[6:7]
	s_cbranch_vccnz .LBB113_137
; %bb.136:
	s_movk_i32 s6, 0x1ff
	v_and_or_b32 v2, v1, s6, v0
	v_cmp_ne_u32_e32 vcc, 0, v2
	v_lshrrev_b32_e32 v3, 8, v1
	s_movk_i32 s6, 0xffe
	v_cndmask_b32_e64 v2, 0, 1, vcc
	v_bfe_u32 v6, v1, 20, 11
	v_and_or_b32 v2, v3, s6, v2
	v_sub_u32_e32 v7, 0x3f1, v6
	v_or_b32_e32 v3, 0x1000, v2
	v_med3_i32 v7, v7, 0, 13
	v_lshrrev_b32_e32 v8, v7, v3
	v_lshlrev_b32_e32 v7, v7, v8
	v_cmp_ne_u32_e32 vcc, v7, v3
	v_add_u32_e32 v6, 0xfffffc10, v6
	v_lshl_or_b32 v7, v6, 12, v2
	v_cndmask_b32_e64 v3, 0, 1, vcc
	v_or_b32_e32 v3, v8, v3
	v_cmp_gt_i32_e32 vcc, 1, v6
	s_movk_i32 s6, 0x40f
	s_nop 0
	v_cndmask_b32_e32 v3, v7, v3, vcc
	v_and_b32_e32 v7, 7, v3
	v_cmp_lt_i32_e32 vcc, 5, v7
	v_lshrrev_b32_e32 v3, 2, v3
	s_nop 0
	v_cndmask_b32_e64 v8, 0, 1, vcc
	v_cmp_eq_u32_e32 vcc, 3, v7
	s_nop 1
	v_cndmask_b32_e64 v7, 0, 1, vcc
	v_or_b32_e32 v7, v7, v8
	v_add_u32_e32 v3, v3, v7
	v_mov_b32_e32 v7, 0x7c00
	v_cmp_gt_i32_e32 vcc, 31, v6
	v_mov_b32_e32 v8, 0x7e00
	s_nop 0
	v_cndmask_b32_e32 v3, v7, v3, vcc
	v_cmp_ne_u32_e32 vcc, 0, v2
	s_nop 1
	v_cndmask_b32_e32 v2, v7, v8, vcc
	v_cmp_eq_u32_e32 vcc, s6, v6
	s_mov_b32 s6, 0x8000
	s_nop 0
	v_cndmask_b32_e32 v2, v3, v2, vcc
	v_lshrrev_b32_e32 v3, 16, v1
	v_and_or_b32 v2, v3, s6, v2
	global_store_short v[4:5], v2, off
.LBB113_137:
	s_mov_b64 s[6:7], 0
.LBB113_138:
	s_andn2_b64 vcc, exec, s[6:7]
	s_cbranch_vccnz .LBB113_154
; %bb.139:
	s_cmp_lt_i32 s8, 2
	s_mov_b64 s[6:7], -1
	s_cbranch_scc1 .LBB113_149
; %bb.140:
	s_cmp_lt_i32 s8, 3
	s_cbranch_scc1 .LBB113_146
; %bb.141:
	s_cmp_gt_i32 s8, 3
	s_cbranch_scc0 .LBB113_143
; %bb.142:
	v_trunc_f64_e32 v[2:3], v[0:1]
	s_movk_i32 s6, 0xffe0
	v_ldexp_f64 v[6:7], v[2:3], s6
	v_floor_f64_e32 v[6:7], v[6:7]
	v_fmac_f64_e32 v[2:3], 0xc1f00000, v[6:7]
	v_cvt_i32_f64_e32 v9, v[6:7]
	v_cvt_u32_f64_e32 v8, v[2:3]
	global_store_dwordx2 v[4:5], v[8:9], off
	s_mov_b64 s[6:7], 0
.LBB113_143:
	s_andn2_b64 vcc, exec, s[6:7]
	s_cbranch_vccnz .LBB113_145
; %bb.144:
	v_cvt_i32_f64_e32 v2, v[0:1]
	global_store_dword v[4:5], v2, off
.LBB113_145:
	s_mov_b64 s[6:7], 0
.LBB113_146:
	s_andn2_b64 vcc, exec, s[6:7]
	s_cbranch_vccnz .LBB113_148
; %bb.147:
	v_cvt_i32_f64_e32 v2, v[0:1]
	global_store_short v[4:5], v2, off
.LBB113_148:
	s_mov_b64 s[6:7], 0
.LBB113_149:
	s_andn2_b64 vcc, exec, s[6:7]
	s_cbranch_vccnz .LBB113_154
; %bb.150:
	s_cmp_gt_i32 s8, 0
	s_mov_b64 s[6:7], -1
	s_cbranch_scc0 .LBB113_152
; %bb.151:
	v_cvt_i32_f64_e32 v2, v[0:1]
	global_store_byte v[4:5], v2, off
	s_mov_b64 s[6:7], 0
.LBB113_152:
	s_andn2_b64 vcc, exec, s[6:7]
	s_cbranch_vccnz .LBB113_154
; %bb.153:
	v_trunc_f64_e32 v[0:1], v[0:1]
	s_movk_i32 s6, 0xffe0
	v_ldexp_f64 v[2:3], v[0:1], s6
	v_floor_f64_e32 v[2:3], v[2:3]
	v_fmac_f64_e32 v[0:1], 0xc1f00000, v[2:3]
	v_cvt_u32_f64_e32 v0, v[0:1]
	global_store_byte v[4:5], v0, off
.LBB113_154:
.LBB113_155:
	v_add_u32_e32 v10, 0x80, v10
	s_mov_b64 s[6:7], -1
	s_branch .LBB113_266
.LBB113_156:
	s_mov_b64 s[4:5], -1
                                        ; implicit-def: $vgpr4_vgpr5
.LBB113_157:
	s_mov_b64 s[6:7], 0
.LBB113_158:
	s_and_b64 vcc, exec, s[6:7]
	s_cbranch_vccz .LBB113_162
; %bb.159:
	s_cmp_eq_u32 s10, 29
	s_cbranch_scc0 .LBB113_161
; %bb.160:
	global_load_dwordx2 v[4:5], v[0:1], off
	s_mov_b64 s[2:3], -1
	s_mov_b64 s[4:5], 0
	s_mov_b64 s[6:7], 0
	s_waitcnt vmcnt(0)
	v_cvt_f64_u32_e32 v[6:7], v5
	v_cvt_f64_u32_e32 v[4:5], v4
	v_ldexp_f64 v[6:7], v[6:7], 32
	v_add_f64 v[4:5], v[6:7], v[4:5]
	s_branch .LBB113_163
.LBB113_161:
	s_mov_b64 s[4:5], -1
                                        ; implicit-def: $vgpr4_vgpr5
.LBB113_162:
	s_mov_b64 s[6:7], 0
.LBB113_163:
	s_and_b64 vcc, exec, s[6:7]
	s_cbranch_vccz .LBB113_183
; %bb.164:
	s_cmp_lt_i32 s10, 27
	s_cbranch_scc1 .LBB113_167
; %bb.165:
	s_cmp_gt_i32 s10, 27
	s_cbranch_scc0 .LBB113_168
; %bb.166:
	global_load_dword v3, v[0:1], off
	s_mov_b64 s[2:3], 0
	s_waitcnt vmcnt(0)
	v_cvt_f64_u32_e32 v[4:5], v3
	s_branch .LBB113_169
.LBB113_167:
	s_mov_b64 s[2:3], -1
                                        ; implicit-def: $vgpr4_vgpr5
	s_branch .LBB113_172
.LBB113_168:
	s_mov_b64 s[2:3], -1
                                        ; implicit-def: $vgpr4_vgpr5
.LBB113_169:
	s_andn2_b64 vcc, exec, s[2:3]
	s_cbranch_vccnz .LBB113_171
; %bb.170:
	global_load_ushort v3, v[0:1], off
	s_waitcnt vmcnt(0)
	v_cvt_f64_u32_e32 v[4:5], v3
.LBB113_171:
	s_mov_b64 s[2:3], 0
.LBB113_172:
	s_andn2_b64 vcc, exec, s[2:3]
	s_cbranch_vccnz .LBB113_182
; %bb.173:
	global_load_ubyte v3, v[0:1], off
	s_movk_i32 s2, 0x7f
	s_waitcnt vmcnt(0)
	v_cmp_lt_i16_e32 vcc, s2, v3
	s_mov_b64 s[2:3], 0
	s_and_saveexec_b64 s[6:7], vcc
	s_xor_b64 s[6:7], exec, s[6:7]
	s_cbranch_execz .LBB113_177
; %bb.174:
	s_movk_i32 s2, 0x80
	v_cmp_eq_u16_e32 vcc, s2, v3
	s_mov_b64 s[2:3], -1
	s_and_saveexec_b64 s[8:9], vcc
; %bb.175:
	s_xor_b64 s[2:3], exec, -1
; %bb.176:
	s_or_b64 exec, exec, s[8:9]
	s_and_b64 s[2:3], s[2:3], exec
.LBB113_177:
	s_or_saveexec_b64 s[6:7], s[6:7]
	v_bfrev_b32_e32 v4, 4
	v_mov_b32_e32 v5, 0x7ff80000
	s_xor_b64 exec, exec, s[6:7]
; %bb.178:
	v_cmp_ne_u16_e32 vcc, 0, v3
	s_andn2_b64 s[2:3], s[2:3], exec
	s_and_b64 s[8:9], vcc, exec
	v_mov_b64_e32 v[4:5], 0
	s_or_b64 s[2:3], s[2:3], s[8:9]
; %bb.179:
	s_or_b64 exec, exec, s[6:7]
	s_and_saveexec_b64 s[6:7], s[2:3]
	s_cbranch_execz .LBB113_181
; %bb.180:
	v_lshlrev_b32_e32 v4, 24, v3
	v_and_b32_e32 v3, 0xffff, v3
	v_and_b32_e32 v5, 7, v3
	v_ffbh_u32_e32 v7, v5
	v_min_u32_e32 v7, 32, v7
	v_subrev_u32_e32 v8, 28, v7
	v_bfe_u32 v6, v3, 3, 4
	v_lshlrev_b32_e32 v3, v8, v3
	v_sub_u32_e32 v7, 29, v7
	v_and_b32_e32 v3, 7, v3
	v_cmp_eq_u32_e32 vcc, 0, v6
	v_and_b32_e32 v4, 0x80000000, v4
	s_nop 0
	v_cndmask_b32_e32 v6, v6, v7, vcc
	v_cndmask_b32_e32 v3, v5, v3, vcc
	v_mov_b32_e32 v5, 0x3b800000
	v_lshlrev_b32_e32 v3, 20, v3
	v_lshl_add_u32 v5, v6, 23, v5
	v_or3_b32 v3, v4, v5, v3
	v_cvt_f64_f32_e32 v[4:5], v3
.LBB113_181:
	s_or_b64 exec, exec, s[6:7]
.LBB113_182:
	s_mov_b64 s[2:3], -1
.LBB113_183:
	s_branch .LBB113_216
.LBB113_184:
	s_cmp_gt_i32 s10, 22
	s_cbranch_scc0 .LBB113_196
; %bb.185:
	s_cmp_lt_i32 s10, 24
	s_cbranch_scc1 .LBB113_197
; %bb.186:
	s_cmp_gt_i32 s10, 24
	s_cbranch_scc0 .LBB113_198
; %bb.187:
	global_load_ubyte v3, v[0:1], off
	s_movk_i32 s2, 0x7f
	s_waitcnt vmcnt(0)
	v_cmp_lt_i16_e32 vcc, s2, v3
	s_mov_b64 s[2:3], 0
	s_and_saveexec_b64 s[6:7], vcc
	s_xor_b64 s[6:7], exec, s[6:7]
	s_cbranch_execz .LBB113_191
; %bb.188:
	s_movk_i32 s2, 0x80
	v_cmp_eq_u16_e32 vcc, s2, v3
	s_mov_b64 s[2:3], -1
	s_and_saveexec_b64 s[8:9], vcc
; %bb.189:
	s_xor_b64 s[2:3], exec, -1
; %bb.190:
	s_or_b64 exec, exec, s[8:9]
	s_and_b64 s[2:3], s[2:3], exec
.LBB113_191:
	s_or_saveexec_b64 s[6:7], s[6:7]
	v_bfrev_b32_e32 v4, 4
	v_mov_b32_e32 v5, 0x7ff80000
	s_xor_b64 exec, exec, s[6:7]
; %bb.192:
	v_cmp_ne_u16_e32 vcc, 0, v3
	s_andn2_b64 s[2:3], s[2:3], exec
	s_and_b64 s[8:9], vcc, exec
	v_mov_b64_e32 v[4:5], 0
	s_or_b64 s[2:3], s[2:3], s[8:9]
; %bb.193:
	s_or_b64 exec, exec, s[6:7]
	s_and_saveexec_b64 s[6:7], s[2:3]
	s_cbranch_execz .LBB113_195
; %bb.194:
	v_lshlrev_b32_e32 v4, 24, v3
	v_and_b32_e32 v3, 0xffff, v3
	v_and_b32_e32 v5, 3, v3
	v_ffbh_u32_e32 v7, v5
	v_min_u32_e32 v7, 32, v7
	v_subrev_u32_e32 v8, 29, v7
	v_bfe_u32 v6, v3, 2, 5
	v_lshlrev_b32_e32 v3, v8, v3
	v_sub_u32_e32 v7, 30, v7
	v_and_b32_e32 v3, 3, v3
	v_cmp_eq_u32_e32 vcc, 0, v6
	v_and_b32_e32 v4, 0x80000000, v4
	s_nop 0
	v_cndmask_b32_e32 v6, v6, v7, vcc
	v_cndmask_b32_e32 v3, v5, v3, vcc
	v_mov_b32_e32 v5, 0x37800000
	v_lshlrev_b32_e32 v3, 21, v3
	v_lshl_add_u32 v5, v6, 23, v5
	v_or3_b32 v3, v4, v5, v3
	v_cvt_f64_f32_e32 v[4:5], v3
.LBB113_195:
	s_or_b64 exec, exec, s[6:7]
	s_mov_b64 s[2:3], 0
	s_branch .LBB113_199
.LBB113_196:
	s_mov_b64 s[6:7], -1
                                        ; implicit-def: $vgpr4_vgpr5
	s_branch .LBB113_205
.LBB113_197:
	s_mov_b64 s[2:3], -1
                                        ; implicit-def: $vgpr4_vgpr5
	s_branch .LBB113_202
.LBB113_198:
	s_mov_b64 s[2:3], -1
                                        ; implicit-def: $vgpr4_vgpr5
.LBB113_199:
	s_and_b64 vcc, exec, s[2:3]
	s_cbranch_vccz .LBB113_201
; %bb.200:
	global_load_ubyte v3, v[0:1], off
	s_mov_b32 s2, 0x7f800000
	s_waitcnt vmcnt(0)
	v_lshlrev_b32_e32 v3, 24, v3
	v_and_b32_e32 v4, 0x7f000000, v3
	v_ffbh_u32_e32 v5, v4
	v_min_u32_e32 v5, 32, v5
	v_sub_u32_e64 v5, v5, 4 clamp
	v_lshlrev_b32_e32 v7, v5, v4
	v_lshlrev_b32_e32 v5, 23, v5
	v_lshrrev_b32_e32 v7, 4, v7
	v_add_u32_e32 v6, 0x1000000, v4
	v_sub_u32_e32 v5, v7, v5
	v_ashrrev_i32_e32 v6, 8, v6
	v_add_u32_e32 v5, 0x3c000000, v5
	v_and_or_b32 v5, v6, s2, v5
	v_cmp_ne_u32_e32 vcc, 0, v4
	s_brev_b32 s2, 1
	s_nop 0
	v_cndmask_b32_e32 v4, 0, v5, vcc
	v_and_or_b32 v3, v3, s2, v4
	v_cvt_f64_f32_e32 v[4:5], v3
.LBB113_201:
	s_mov_b64 s[2:3], 0
.LBB113_202:
	s_andn2_b64 vcc, exec, s[2:3]
	s_cbranch_vccnz .LBB113_204
; %bb.203:
	global_load_ubyte v3, v[0:1], off
	s_movk_i32 s2, 0x7f00
	s_brev_b32 s3, 16
	s_waitcnt vmcnt(0)
	v_lshlrev_b16_e32 v4, 8, v3
	v_lshlrev_b32_e32 v3, 25, v3
	v_lshrrev_b32_e32 v5, 4, v3
	v_and_or_b32 v6, v4, s2, 0.5
	v_or_b32_e32 v5, 0x70000000, v5
	v_add_f32_e32 v6, -0.5, v6
	v_mul_f32_e32 v5, 0x7800000, v5
	v_cmp_gt_u32_e32 vcc, s3, v3
	v_bfe_i32 v4, v4, 0, 16
	s_brev_b32 s2, 1
	v_cndmask_b32_e32 v3, v5, v6, vcc
	v_and_or_b32 v3, v4, s2, v3
	v_cvt_f64_f32_e32 v[4:5], v3
.LBB113_204:
	s_mov_b64 s[6:7], 0
	s_mov_b64 s[2:3], -1
.LBB113_205:
	s_andn2_b64 vcc, exec, s[6:7]
	s_cbranch_vccnz .LBB113_216
; %bb.206:
	s_cmp_gt_i32 s10, 14
	s_cbranch_scc0 .LBB113_209
; %bb.207:
	s_cmp_eq_u32 s10, 15
	s_cbranch_scc0 .LBB113_210
; %bb.208:
	global_load_ushort v3, v[0:1], off
	s_mov_b64 s[2:3], -1
	s_mov_b64 s[4:5], 0
	s_waitcnt vmcnt(0)
	v_lshlrev_b32_e32 v3, 16, v3
	v_cvt_f64_f32_e32 v[4:5], v3
	s_branch .LBB113_211
.LBB113_209:
	s_mov_b64 s[6:7], -1
                                        ; implicit-def: $vgpr4_vgpr5
	s_branch .LBB113_212
.LBB113_210:
	s_mov_b64 s[4:5], -1
                                        ; implicit-def: $vgpr4_vgpr5
.LBB113_211:
	s_mov_b64 s[6:7], 0
.LBB113_212:
	s_and_b64 vcc, exec, s[6:7]
	s_cbranch_vccz .LBB113_216
; %bb.213:
	s_cmp_eq_u32 s10, 11
	s_cbranch_scc0 .LBB113_215
; %bb.214:
	global_load_ubyte v3, v[0:1], off
	v_mov_b32_e32 v5, 0x3ff00000
	v_mov_b32_e32 v4, 0
	s_mov_b64 s[2:3], -1
	s_mov_b64 s[4:5], 0
	s_waitcnt vmcnt(0)
	v_cmp_ne_u16_e32 vcc, 0, v3
	s_nop 1
	v_cndmask_b32_e32 v5, 0, v5, vcc
	s_branch .LBB113_216
.LBB113_215:
	s_mov_b64 s[4:5], -1
                                        ; implicit-def: $vgpr4_vgpr5
.LBB113_216:
	s_branch .LBB113_25
.LBB113_217:
	s_cmp_lt_i32 s10, 5
	s_cbranch_scc1 .LBB113_222
; %bb.218:
	s_cmp_lt_i32 s10, 8
	s_cbranch_scc1 .LBB113_223
; %bb.219:
	;; [unrolled: 3-line block ×3, first 2 shown]
	s_cmp_gt_i32 s10, 9
	s_cbranch_scc0 .LBB113_225
; %bb.221:
	global_load_dwordx2 v[4:5], v[0:1], off
	s_mov_b64 s[2:3], 0
	s_branch .LBB113_226
.LBB113_222:
                                        ; implicit-def: $vgpr4_vgpr5
	s_branch .LBB113_244
.LBB113_223:
	s_mov_b64 s[2:3], -1
                                        ; implicit-def: $vgpr4_vgpr5
	s_branch .LBB113_232
.LBB113_224:
	s_mov_b64 s[2:3], -1
                                        ; implicit-def: $vgpr4_vgpr5
	s_branch .LBB113_229
.LBB113_225:
	s_mov_b64 s[2:3], -1
                                        ; implicit-def: $vgpr4_vgpr5
.LBB113_226:
	s_andn2_b64 vcc, exec, s[2:3]
	s_cbranch_vccnz .LBB113_228
; %bb.227:
	global_load_dword v3, v[0:1], off
	s_waitcnt vmcnt(0)
	v_cvt_f64_f32_e32 v[4:5], v3
.LBB113_228:
	s_mov_b64 s[2:3], 0
.LBB113_229:
	s_andn2_b64 vcc, exec, s[2:3]
	s_cbranch_vccnz .LBB113_231
; %bb.230:
	global_load_dword v3, v[0:1], off
	s_waitcnt vmcnt(0)
	v_cvt_f32_f16_e32 v3, v3
	v_cvt_f64_f32_e32 v[4:5], v3
.LBB113_231:
	s_mov_b64 s[2:3], 0
.LBB113_232:
	s_andn2_b64 vcc, exec, s[2:3]
	s_cbranch_vccnz .LBB113_243
; %bb.233:
	s_cmp_lt_i32 s10, 6
	s_cbranch_scc1 .LBB113_236
; %bb.234:
	s_cmp_gt_i32 s10, 6
	s_cbranch_scc0 .LBB113_237
; %bb.235:
	global_load_dwordx2 v[4:5], v[0:1], off
	s_mov_b64 s[2:3], 0
	s_branch .LBB113_238
.LBB113_236:
	s_mov_b64 s[2:3], -1
                                        ; implicit-def: $vgpr4_vgpr5
	s_branch .LBB113_241
.LBB113_237:
	s_mov_b64 s[2:3], -1
                                        ; implicit-def: $vgpr4_vgpr5
.LBB113_238:
	s_andn2_b64 vcc, exec, s[2:3]
	s_cbranch_vccnz .LBB113_240
; %bb.239:
	global_load_dword v3, v[0:1], off
	s_waitcnt vmcnt(0)
	v_cvt_f64_f32_e32 v[4:5], v3
.LBB113_240:
	s_mov_b64 s[2:3], 0
.LBB113_241:
	s_andn2_b64 vcc, exec, s[2:3]
	s_cbranch_vccnz .LBB113_243
; %bb.242:
	global_load_ushort v3, v[0:1], off
	s_waitcnt vmcnt(0)
	v_cvt_f32_f16_e32 v3, v3
	v_cvt_f64_f32_e32 v[4:5], v3
.LBB113_243:
	s_cbranch_execnz .LBB113_263
.LBB113_244:
	s_cmp_lt_i32 s10, 2
	s_cbranch_scc1 .LBB113_248
; %bb.245:
	s_cmp_lt_i32 s10, 3
	s_cbranch_scc1 .LBB113_249
; %bb.246:
	s_cmp_gt_i32 s10, 3
	s_cbranch_scc0 .LBB113_250
; %bb.247:
	global_load_dwordx2 v[4:5], v[0:1], off
	s_mov_b64 s[2:3], 0
	s_waitcnt vmcnt(0)
	v_cvt_f64_i32_e32 v[6:7], v5
	v_cvt_f64_u32_e32 v[4:5], v4
	v_ldexp_f64 v[6:7], v[6:7], 32
	v_add_f64 v[4:5], v[6:7], v[4:5]
	s_branch .LBB113_251
.LBB113_248:
	s_mov_b64 s[2:3], -1
                                        ; implicit-def: $vgpr4_vgpr5
	s_branch .LBB113_257
.LBB113_249:
	s_mov_b64 s[2:3], -1
                                        ; implicit-def: $vgpr4_vgpr5
	s_branch .LBB113_254
.LBB113_250:
	s_mov_b64 s[2:3], -1
                                        ; implicit-def: $vgpr4_vgpr5
.LBB113_251:
	s_andn2_b64 vcc, exec, s[2:3]
	s_cbranch_vccnz .LBB113_253
; %bb.252:
	global_load_dword v3, v[0:1], off
	s_waitcnt vmcnt(0)
	v_cvt_f64_i32_e32 v[4:5], v3
.LBB113_253:
	s_mov_b64 s[2:3], 0
.LBB113_254:
	s_andn2_b64 vcc, exec, s[2:3]
	s_cbranch_vccnz .LBB113_256
; %bb.255:
	global_load_sshort v3, v[0:1], off
	s_waitcnt vmcnt(0)
	v_cvt_f64_i32_e32 v[4:5], v3
.LBB113_256:
	s_mov_b64 s[2:3], 0
.LBB113_257:
	s_andn2_b64 vcc, exec, s[2:3]
	s_cbranch_vccnz .LBB113_263
; %bb.258:
	s_cmp_gt_i32 s10, 0
	s_cbranch_scc0 .LBB113_260
; %bb.259:
	global_load_sbyte v3, v[0:1], off
	s_mov_b64 s[2:3], 0
	s_waitcnt vmcnt(0)
	v_cvt_f64_i32_e32 v[4:5], v3
	s_branch .LBB113_261
.LBB113_260:
	s_mov_b64 s[2:3], -1
                                        ; implicit-def: $vgpr4_vgpr5
.LBB113_261:
	s_andn2_b64 vcc, exec, s[2:3]
	s_cbranch_vccnz .LBB113_263
; %bb.262:
	global_load_ubyte v0, v[0:1], off
	s_waitcnt vmcnt(0)
	v_cvt_f64_u32_e32 v[4:5], v0
.LBB113_263:
	s_branch .LBB113_26
.LBB113_264:
	s_mov_b64 s[2:3], 0
.LBB113_265:
	s_mov_b64 s[6:7], 0
                                        ; implicit-def: $vgpr10
.LBB113_266:
	s_and_b64 s[54:55], s[2:3], exec
	s_and_b64 s[56:57], s[4:5], exec
	s_orn2_b64 s[4:5], s[6:7], exec
.LBB113_267:
	s_or_b64 exec, exec, s[58:59]
	s_mov_b64 s[8:9], 0
	s_mov_b64 s[2:3], 0
                                        ; implicit-def: $vgpr0_vgpr1
                                        ; implicit-def: $vgpr2
                                        ; implicit-def: $vgpr6_vgpr7
	s_and_saveexec_b64 s[58:59], s[4:5]
	s_cbranch_execz .LBB113_275
; %bb.268:
	v_cmp_gt_i32_e32 vcc, s70, v10
	s_mov_b64 s[2:3], -1
	s_mov_b64 s[60:61], s[56:57]
	s_mov_b64 s[62:63], s[54:55]
	s_and_saveexec_b64 s[64:65], vcc
	s_cbranch_execz .LBB113_544
; %bb.269:
	s_andn2_b64 vcc, exec, s[42:43]
	s_cbranch_vccnz .LBB113_278
; %bb.270:
	s_andn2_b64 vcc, exec, s[52:53]
	s_cbranch_vccnz .LBB113_279
; %bb.271:
	s_add_i32 s63, s75, 1
	s_cmp_eq_u32 s72, 2
	s_cbranch_scc1 .LBB113_280
; %bb.272:
	s_and_b32 s62, s63, 28
	s_mov_b32 s66, 0
	v_mov_b32_e32 v2, 0
	v_mov_b32_e32 v0, 0
	s_mov_b64 s[2:3], s[34:35]
	s_mov_b64 s[60:61], s[50:51]
	s_waitcnt vmcnt(0)
	v_mov_b32_e32 v4, v10
.LBB113_273:                            ; =>This Inner Loop Header: Depth=1
	s_load_dwordx8 s[12:19], s[2:3], 0x4
	s_load_dwordx4 s[36:39], s[2:3], 0x24
	s_load_dwordx8 s[4:11], s[60:61], 0x0
	s_add_u32 s2, s2, 48
	s_addc_u32 s3, s3, 0
	s_waitcnt lgkmcnt(0)
	v_mul_hi_u32 v1, s13, v4
	v_add_u32_e32 v1, v4, v1
	v_lshrrev_b32_e32 v1, s14, v1
	v_mul_lo_u32 v3, v1, s12
	v_mul_hi_u32 v5, s16, v1
	v_sub_u32_e32 v3, v4, v3
	v_add_u32_e32 v4, v1, v5
	v_lshrrev_b32_e32 v4, s17, v4
	v_mul_lo_u32 v6, v4, s15
	v_mul_hi_u32 v7, s19, v4
	v_sub_u32_e32 v1, v1, v6
	v_add_u32_e32 v6, v4, v7
	v_mul_lo_u32 v5, v3, s5
	v_mul_lo_u32 v3, v3, s4
	;; [unrolled: 1-line block ×4, first 2 shown]
	v_lshrrev_b32_e32 v6, s36, v6
	v_add3_u32 v1, v3, v2, v1
	v_mul_hi_u32 v3, s38, v6
	v_mul_lo_u32 v2, v6, s18
	v_add_u32_e32 v3, v6, v3
	v_sub_u32_e32 v2, v4, v2
	v_lshrrev_b32_e32 v4, s39, v3
	s_add_i32 s66, s66, 4
	v_mul_lo_u32 v3, v4, s37
	s_add_u32 s60, s60, 32
	v_sub_u32_e32 v3, v6, v3
	s_addc_u32 s61, s61, 0
	v_add3_u32 v0, v5, v0, v7
	v_mul_lo_u32 v5, v2, s8
	v_mul_lo_u32 v2, v2, s9
	;; [unrolled: 1-line block ×4, first 2 shown]
	s_cmp_eq_u32 s62, s66
	v_add3_u32 v0, v2, v0, v3
	v_add3_u32 v2, v5, v1, v6
	s_cbranch_scc0 .LBB113_273
; %bb.274:
	v_mov_b32_e32 v1, v0
	s_branch .LBB113_281
.LBB113_275:
	s_or_b64 exec, exec, s[58:59]
	s_mov_b64 s[4:5], 0
	s_and_saveexec_b64 s[6:7], s[56:57]
	s_cbranch_execnz .LBB113_922
.LBB113_276:
	s_or_b64 exec, exec, s[6:7]
	s_and_saveexec_b64 s[6:7], s[62:63]
	s_xor_b64 s[6:7], exec, s[6:7]
	s_cbranch_execz .LBB113_923
.LBB113_277:
	global_load_ubyte v3, v[0:1], off
	s_waitcnt vmcnt(1)
	v_mov_b32_e32 v4, 0x3ff00000
	v_mov_b32_e32 v6, 0
	s_or_b64 s[2:3], s[2:3], exec
	s_waitcnt vmcnt(0)
	v_cmp_ne_u16_e32 vcc, 0, v3
	s_nop 1
	v_cndmask_b32_e32 v7, 0, v4, vcc
	s_or_b64 exec, exec, s[6:7]
	s_and_saveexec_b64 s[6:7], s[8:9]
	s_cbranch_execz .LBB113_969
	s_branch .LBB113_924
.LBB113_278:
                                        ; implicit-def: $vgpr0
                                        ; implicit-def: $vgpr2
	s_andn2_b64 vcc, exec, s[2:3]
	s_cbranch_vccz .LBB113_285
	s_branch .LBB113_287
.LBB113_279:
	v_mov_b32_e32 v0, 0
	v_mov_b32_e32 v2, 0
	s_branch .LBB113_284
.LBB113_280:
	v_mov_b32_e32 v2, 0
	s_mov_b32 s62, 0
	v_mov_b32_e32 v1, v2
                                        ; implicit-def: $vgpr0
	s_waitcnt vmcnt(0)
	v_mov_b32_e32 v4, v10
.LBB113_281:
	s_and_b32 s6, s63, 3
	s_cmp_eq_u32 s6, 0
	s_cbranch_scc1 .LBB113_284
; %bb.282:
	s_lshl_b32 s2, s62, 3
	s_add_u32 s2, s34, s2
	s_addc_u32 s3, s35, 0
	s_add_u32 s2, s2, 0xc4
	s_addc_u32 s3, s3, 0
	s_mul_i32 s4, s62, 12
	s_add_u32 s4, s34, s4
	s_addc_u32 s5, s35, 0
.LBB113_283:                            ; =>This Inner Loop Header: Depth=1
	s_load_dwordx2 s[8:9], s[4:5], 0x4
	s_load_dword s7, s[4:5], 0xc
	s_load_dwordx2 s[10:11], s[2:3], 0x0
	v_mov_b32_e32 v0, v1
	s_add_u32 s4, s4, 12
	s_waitcnt lgkmcnt(0)
	v_mul_hi_u32 v1, s9, v4
	v_add_u32_e32 v1, v4, v1
	v_lshrrev_b32_e32 v1, s7, v1
	s_addc_u32 s5, s5, 0
	v_mul_lo_u32 v3, v1, s8
	s_add_u32 s2, s2, 8
	v_sub_u32_e32 v3, v4, v3
	s_addc_u32 s3, s3, 0
	s_add_i32 s6, s6, -1
	v_mov_b32_e32 v4, v1
	v_mad_u64_u32 v[0:1], s[8:9], v3, s11, v[0:1]
	s_cmp_lg_u32 s6, 0
	v_mad_u64_u32 v[2:3], s[8:9], v3, s10, v[2:3]
	v_mov_b32_e32 v1, v0
	s_cbranch_scc1 .LBB113_283
.LBB113_284:
	s_cbranch_execnz .LBB113_287
.LBB113_285:
	s_waitcnt lgkmcnt(0)
	v_mul_hi_u32 v0, s29, v10
	v_add_u32_e32 v0, v10, v0
	v_lshrrev_b32_e32 v1, s30, v0
	v_mul_lo_u32 v0, v1, s28
	v_sub_u32_e32 v2, v10, v0
	v_mul_lo_u32 v0, v2, s25
	s_andn2_b64 vcc, exec, s[48:49]
	v_mul_lo_u32 v2, v2, s24
	s_cbranch_vccnz .LBB113_287
; %bb.286:
	v_mul_hi_u32 v3, s46, v1
	v_add_u32_e32 v3, v1, v3
	v_lshrrev_b32_e32 v3, s47, v3
	v_mul_lo_u32 v3, v3, s31
	v_sub_u32_e32 v1, v1, v3
	v_mad_u64_u32 v[2:3], s[2:3], v1, s26, v[2:3]
	v_mad_u64_u32 v[0:1], s[2:3], v1, s27, v[0:1]
.LBB113_287:
	v_mov_b32_e32 v1, 0
	s_and_b32 s10, 0xffff, s74
	s_cmp_lt_i32 s10, 11
	s_waitcnt lgkmcnt(0)
	v_lshl_add_u64 v[0:1], s[22:23], 0, v[0:1]
	s_cbranch_scc1 .LBB113_294
; %bb.288:
	s_cmp_gt_i32 s10, 25
	s_cbranch_scc0 .LBB113_303
; %bb.289:
	s_cmp_gt_i32 s10, 28
	s_cbranch_scc0 .LBB113_305
	;; [unrolled: 3-line block ×4, first 2 shown]
; %bb.292:
	s_cmp_eq_u32 s10, 46
	s_mov_b64 s[6:7], 0
	s_cbranch_scc0 .LBB113_315
; %bb.293:
	global_load_dword v3, v[0:1], off
	s_mov_b64 s[2:3], -1
	s_mov_b64 s[4:5], 0
	s_waitcnt vmcnt(0)
	v_lshlrev_b32_e32 v3, 16, v3
	v_cvt_f64_f32_e32 v[4:5], v3
	s_branch .LBB113_316
.LBB113_294:
	s_mov_b64 s[2:3], 0
                                        ; implicit-def: $vgpr4_vgpr5
	s_mov_b64 s[4:5], s[56:57]
	s_cbranch_execnz .LBB113_493
.LBB113_295:
	s_andn2_b64 vcc, exec, s[2:3]
	s_cbranch_vccnz .LBB113_541
.LBB113_296:
	s_mov_b32 s2, 0x652b82fe
	s_mov_b32 s3, 0x3ff71547
	s_waitcnt vmcnt(0)
	v_mul_f64 v[0:1], v[4:5], s[2:3]
	v_rndne_f64_e32 v[0:1], v[0:1]
	s_mov_b32 s3, 0xbfe62e42
	s_mov_b32 s2, 0xfefa39ef
	;; [unrolled: 1-line block ×3, first 2 shown]
	v_fma_f64 v[6:7], s[2:3], v[0:1], v[4:5]
	s_mov_b32 s7, 0xbc7abc9e
	v_fmac_f64_e32 v[6:7], s[6:7], v[0:1]
	s_mov_b32 s6, 0xa9d67f34
	v_mov_b32_e32 v8, 0x2a1b768b
	v_mov_b32_e32 v9, 0x3e5af4eb
	s_mov_b32 s7, 0x3e21f32e
	v_fmac_f64_e32 v[8:9], s[6:7], v[6:7]
	v_mov_b32_e32 v12, 0xe0ac05b
	v_mov_b32_e32 v13, 0x3e927e50
	v_fmac_f64_e32 v[12:13], v[6:7], v[8:9]
	v_mov_b32_e32 v8, 0x1b889c29
	v_mov_b32_e32 v9, 0x3ec71de0
	;; [unrolled: 3-line block ×8, first 2 shown]
	v_fmac_f64_e32 v[8:9], v[6:7], v[12:13]
	v_fma_f64 v[8:9], v[6:7], v[8:9], 0.5
	s_mov_b32 s6, 0
	v_mul_f64 v[8:9], v[6:7], v[8:9]
	s_mov_b32 s7, 0x40900000
	v_cvt_i32_f64_e32 v3, v[0:1]
	v_fmac_f64_e32 v[6:7], v[6:7], v[8:9]
	v_ldexp_f64 v[8:9], 1.0, v3
	v_mov_b32_e32 v3, 0x7fe00000
	v_cmp_eq_f64_e32 vcc, s[6:7], v[0:1]
	s_mov_b32 s3, 0x40862e42
	s_and_b32 s12, s73, 0xff
	v_cndmask_b32_e32 v1, v9, v3, vcc
	v_cndmask_b32_e64 v0, v8, 0, vcc
	v_add_f64 v[8:9], v[0:1], -1.0
	v_fmac_f64_e32 v[8:9], v[0:1], v[6:7]
	v_add_f64 v[0:1], v[8:9], v[8:9]
	v_cndmask_b32_e32 v0, v8, v0, vcc
	v_cndmask_b32_e32 v1, v9, v1, vcc
	v_cmp_nlt_f64_e32 vcc, s[2:3], v[4:5]
	s_mov_b32 s2, 0
	v_mov_b32_e32 v3, 0x7ff00000
	s_mov_b32 s3, 0xc0428000
	v_cndmask_b32_e32 v1, v3, v1, vcc
	v_mov_b32_e32 v3, 0xbff00000
	v_cmp_ngt_f64_e64 s[2:3], s[2:3], v[4:5]
	s_and_b64 vcc, s[2:3], vcc
	v_cndmask_b32_e32 v0, 0, v0, vcc
	v_cndmask_b32_e64 v1, v3, v1, s[2:3]
	v_mov_b32_e32 v3, 0
	s_cmp_lt_i32 s12, 11
	v_lshl_add_u64 v[4:5], s[20:21], 0, v[2:3]
	s_cbranch_scc1 .LBB113_304
; %bb.297:
	s_and_b32 s13, 0xffff, s12
	s_cmp_gt_i32 s13, 25
	s_cbranch_scc0 .LBB113_306
; %bb.298:
	s_cmp_gt_i32 s13, 28
	s_cbranch_scc0 .LBB113_308
; %bb.299:
	;; [unrolled: 3-line block ×4, first 2 shown]
	s_mov_b64 s[8:9], 0
	s_mov_b64 s[2:3], -1
	s_cmp_eq_u32 s13, 46
	s_mov_b64 s[6:7], 0
	s_cbranch_scc0 .LBB113_320
; %bb.302:
	v_cvt_f32_f64_e32 v2, v[0:1]
	v_bfe_u32 v3, v2, 16, 1
	s_movk_i32 s2, 0x7fff
	v_add3_u32 v3, v2, v3, s2
	v_cmp_o_f32_e32 vcc, v2, v2
	v_mov_b32_e32 v2, 0x7fc0
	s_mov_b64 s[6:7], -1
	v_cndmask_b32_sdwa v2, v2, v3, vcc dst_sel:DWORD dst_unused:UNUSED_PAD src0_sel:DWORD src1_sel:WORD_1
	global_store_dword v[4:5], v2, off
	s_mov_b64 s[2:3], 0
	s_branch .LBB113_320
.LBB113_303:
	s_mov_b64 s[6:7], -1
	s_mov_b64 s[2:3], 0
	s_mov_b64 s[4:5], s[56:57]
                                        ; implicit-def: $vgpr4_vgpr5
	s_branch .LBB113_459
.LBB113_304:
	s_mov_b64 s[8:9], -1
	s_mov_b64 s[6:7], 0
	s_mov_b64 s[2:3], s[54:55]
	s_branch .LBB113_389
.LBB113_305:
	s_mov_b64 s[6:7], -1
	s_mov_b64 s[2:3], 0
	s_mov_b64 s[4:5], s[56:57]
                                        ; implicit-def: $vgpr4_vgpr5
	s_branch .LBB113_438
.LBB113_306:
	s_mov_b64 s[8:9], -1
	s_mov_b64 s[6:7], 0
	s_mov_b64 s[2:3], s[54:55]
	s_branch .LBB113_347
.LBB113_307:
	s_mov_b64 s[6:7], -1
	s_mov_b64 s[2:3], 0
	s_mov_b64 s[4:5], s[56:57]
                                        ; implicit-def: $vgpr4_vgpr5
	s_branch .LBB113_433
.LBB113_308:
	s_mov_b64 s[8:9], -1
	s_mov_b64 s[6:7], 0
	s_mov_b64 s[2:3], s[54:55]
	s_branch .LBB113_330
.LBB113_309:
	s_andn2_saveexec_b64 s[10:11], s[10:11]
	s_cbranch_execz .LBB113_69
.LBB113_310:
	s_mov_b32 s14, 0x46000000
	v_add_f32_e64 v3, |v2|, s14
	v_and_b32_e32 v3, 0xff, v3
	v_cmp_ne_u32_e32 vcc, 0, v3
	s_andn2_b64 s[8:9], s[8:9], exec
	s_and_b64 s[14:15], vcc, exec
	s_or_b64 s[8:9], s[8:9], s[14:15]
	s_or_b64 exec, exec, s[10:11]
	v_mov_b32_e32 v6, 0
	s_and_saveexec_b64 s[10:11], s[8:9]
	s_cbranch_execnz .LBB113_70
	s_branch .LBB113_71
.LBB113_311:
	s_mov_b64 s[6:7], -1
	s_mov_b64 s[2:3], 0
	s_mov_b64 s[4:5], s[56:57]
                                        ; implicit-def: $vgpr4_vgpr5
	s_branch .LBB113_316
.LBB113_312:
	s_mov_b64 s[8:9], -1
	s_mov_b64 s[6:7], 0
	s_mov_b64 s[2:3], s[54:55]
	s_branch .LBB113_326
.LBB113_313:
	s_andn2_saveexec_b64 s[10:11], s[10:11]
	s_cbranch_execz .LBB113_82
.LBB113_314:
	s_mov_b32 s14, 0x42800000
	v_add_f32_e64 v3, |v2|, s14
	v_and_b32_e32 v3, 0xff, v3
	v_cmp_ne_u32_e32 vcc, 0, v3
	s_andn2_b64 s[8:9], s[8:9], exec
	s_and_b64 s[14:15], vcc, exec
	s_or_b64 s[8:9], s[8:9], s[14:15]
	s_or_b64 exec, exec, s[10:11]
	v_mov_b32_e32 v6, 0
	s_and_saveexec_b64 s[10:11], s[8:9]
	s_cbranch_execnz .LBB113_83
	s_branch .LBB113_84
.LBB113_315:
	s_mov_b64 s[4:5], -1
                                        ; implicit-def: $vgpr4_vgpr5
	s_mov_b64 s[2:3], 0
.LBB113_316:
	s_and_b64 vcc, exec, s[6:7]
	s_cbranch_vccz .LBB113_432
; %bb.317:
	s_cmp_eq_u32 s10, 44
	s_cbranch_scc0 .LBB113_431
; %bb.318:
	global_load_ubyte v3, v[0:1], off
	s_movk_i32 s4, 0xff
	v_bfrev_b32_e32 v6, 4
	v_mov_b32_e32 v7, 0x7ff80000
	v_bfrev_b32_e32 v8, 28
	s_mov_b64 s[2:3], -1
	s_waitcnt vmcnt(0)
	v_lshlrev_b32_e32 v4, 23, v3
	v_cvt_f64_f32_e32 v[4:5], v4
	v_cmp_ne_u32_e32 vcc, s4, v3
	s_mov_b64 s[4:5], 0
	s_nop 0
	v_cndmask_b32_e32 v4, v6, v4, vcc
	v_cndmask_b32_e32 v5, v7, v5, vcc
	v_cmp_ne_u32_e32 vcc, 0, v3
	s_nop 1
	v_cndmask_b32_e32 v5, v8, v5, vcc
	v_cndmask_b32_e32 v4, 0, v4, vcc
	s_branch .LBB113_432
.LBB113_319:
	s_mov_b64 s[8:9], -1
	s_mov_b64 s[6:7], 0
	s_mov_b64 s[2:3], s[54:55]
.LBB113_320:
	s_and_b64 vcc, exec, s[8:9]
	s_cbranch_vccz .LBB113_325
; %bb.321:
	s_cmp_eq_u32 s13, 44
	s_mov_b64 s[2:3], -1
	s_cbranch_scc0 .LBB113_325
; %bb.322:
	v_cvt_f32_f64_e32 v2, v[0:1]
	v_bfe_u32 v3, v2, 23, 8
	s_movk_i32 s2, 0xff
	v_cmp_ne_u32_e32 vcc, s2, v3
	v_mov_b32_e32 v6, 0xff
	s_and_saveexec_b64 s[6:7], vcc
; %bb.323:
	s_mov_b32 s2, 0x3fffff
	v_lshrrev_b32_e32 v6, 23, v2
	v_and_b32_e32 v7, 0x400000, v2
	v_and_or_b32 v2, v2, s2, v3
	v_cmp_ne_u32_e32 vcc, 0, v7
	v_cmp_ne_u32_e64 s[2:3], 0, v2
	s_and_b64 s[2:3], vcc, s[2:3]
	s_nop 0
	v_cndmask_b32_e64 v2, 0, 1, s[2:3]
	v_add_u32_e32 v6, v6, v2
; %bb.324:
	s_or_b64 exec, exec, s[6:7]
	s_mov_b64 s[6:7], -1
	s_mov_b64 s[2:3], 0
	global_store_byte v[4:5], v6, off
.LBB113_325:
	s_mov_b64 s[8:9], 0
.LBB113_326:
	s_and_b64 vcc, exec, s[8:9]
	s_cbranch_vccz .LBB113_329
; %bb.327:
	s_cmp_eq_u32 s13, 29
	s_mov_b64 s[2:3], -1
	s_cbranch_scc0 .LBB113_329
; %bb.328:
	v_trunc_f64_e32 v[2:3], v[0:1]
	s_movk_i32 s2, 0xffe0
	v_ldexp_f64 v[6:7], v[2:3], s2
	v_floor_f64_e32 v[6:7], v[6:7]
	v_fmac_f64_e32 v[2:3], 0xc1f00000, v[6:7]
	v_cvt_u32_f64_e32 v9, v[6:7]
	v_cvt_u32_f64_e32 v8, v[2:3]
	global_store_dwordx2 v[4:5], v[8:9], off
	s_mov_b64 s[6:7], -1
	s_mov_b64 s[2:3], 0
.LBB113_329:
	s_mov_b64 s[8:9], 0
.LBB113_330:
	s_and_b64 vcc, exec, s[8:9]
	s_cbranch_vccz .LBB113_346
; %bb.331:
	s_cmp_lt_i32 s13, 27
	s_mov_b64 s[6:7], -1
	s_cbranch_scc1 .LBB113_337
; %bb.332:
	s_cmp_gt_i32 s13, 27
	v_cvt_u32_f64_e32 v2, v[0:1]
	s_cbranch_scc0 .LBB113_334
; %bb.333:
	s_mov_b64 s[6:7], 0
	global_store_dword v[4:5], v2, off
.LBB113_334:
	s_andn2_b64 vcc, exec, s[6:7]
	s_cbranch_vccnz .LBB113_336
; %bb.335:
	global_store_short v[4:5], v2, off
.LBB113_336:
	s_mov_b64 s[6:7], 0
.LBB113_337:
	s_andn2_b64 vcc, exec, s[6:7]
	s_cbranch_vccnz .LBB113_345
; %bb.338:
	v_cvt_f32_f64_e32 v2, v[0:1]
	v_and_b32_e32 v3, 0x7fffffff, v2
	s_mov_b32 s6, 0x43800000
	v_cmp_gt_u32_e32 vcc, s6, v3
	v_mov_b32_e32 v6, 0x80
	s_and_saveexec_b64 s[6:7], vcc
	s_cbranch_execz .LBB113_344
; %bb.339:
	s_mov_b32 s8, 0x3bffffff
	v_cmp_lt_u32_e32 vcc, s8, v3
	s_mov_b64 s[8:9], 0
                                        ; implicit-def: $vgpr3
	s_and_saveexec_b64 s[10:11], vcc
	s_xor_b64 s[10:11], exec, s[10:11]
	s_cbranch_execz .LBB113_573
; %bb.340:
	v_bfe_u32 v3, v2, 20, 1
	s_mov_b32 s14, 0x487ffff
	v_add3_u32 v3, v2, v3, s14
	s_mov_b64 s[8:9], exec
	v_lshrrev_b32_e32 v3, 20, v3
	s_andn2_saveexec_b64 s[10:11], s[10:11]
	s_cbranch_execnz .LBB113_574
.LBB113_341:
	s_or_b64 exec, exec, s[10:11]
	v_mov_b32_e32 v6, 0
	s_and_saveexec_b64 s[10:11], s[8:9]
.LBB113_342:
	v_lshrrev_b32_e32 v2, 24, v2
	s_movk_i32 s8, 0x80
	v_and_or_b32 v6, v2, s8, v3
.LBB113_343:
	s_or_b64 exec, exec, s[10:11]
.LBB113_344:
	s_or_b64 exec, exec, s[6:7]
	global_store_byte v[4:5], v6, off
.LBB113_345:
	s_mov_b64 s[6:7], -1
.LBB113_346:
	s_mov_b64 s[8:9], 0
.LBB113_347:
	s_and_b64 vcc, exec, s[8:9]
	s_cbranch_vccz .LBB113_388
; %bb.348:
	s_cmp_gt_i32 s13, 22
	s_mov_b64 s[8:9], -1
	s_cbranch_scc0 .LBB113_380
; %bb.349:
	s_cmp_lt_i32 s13, 24
	s_mov_b64 s[6:7], -1
	s_cbranch_scc1 .LBB113_369
; %bb.350:
	s_cmp_gt_i32 s13, 24
	s_cbranch_scc0 .LBB113_358
; %bb.351:
	v_cvt_f32_f64_e32 v2, v[0:1]
	v_and_b32_e32 v3, 0x7fffffff, v2
	s_mov_b32 s6, 0x47800000
	v_cmp_gt_u32_e32 vcc, s6, v3
	v_mov_b32_e32 v6, 0x80
	s_and_saveexec_b64 s[6:7], vcc
	s_cbranch_execz .LBB113_357
; %bb.352:
	s_mov_b32 s8, 0x37ffffff
	v_cmp_lt_u32_e32 vcc, s8, v3
	s_mov_b64 s[8:9], 0
                                        ; implicit-def: $vgpr3
	s_and_saveexec_b64 s[10:11], vcc
	s_xor_b64 s[10:11], exec, s[10:11]
	s_cbranch_execz .LBB113_576
; %bb.353:
	v_bfe_u32 v3, v2, 21, 1
	s_mov_b32 s14, 0x88fffff
	v_add3_u32 v3, v2, v3, s14
	s_mov_b64 s[8:9], exec
	v_lshrrev_b32_e32 v3, 21, v3
	s_andn2_saveexec_b64 s[10:11], s[10:11]
	s_cbranch_execnz .LBB113_577
.LBB113_354:
	s_or_b64 exec, exec, s[10:11]
	v_mov_b32_e32 v6, 0
	s_and_saveexec_b64 s[10:11], s[8:9]
.LBB113_355:
	v_lshrrev_b32_e32 v2, 24, v2
	s_movk_i32 s8, 0x80
	v_and_or_b32 v6, v2, s8, v3
.LBB113_356:
	s_or_b64 exec, exec, s[10:11]
.LBB113_357:
	s_or_b64 exec, exec, s[6:7]
	s_mov_b64 s[6:7], 0
	global_store_byte v[4:5], v6, off
.LBB113_358:
	s_and_b64 vcc, exec, s[6:7]
	s_cbranch_vccz .LBB113_368
; %bb.359:
	v_cvt_f32_f64_e32 v2, v[0:1]
	v_and_b32_e32 v6, 0x7fffffff, v2
	s_mov_b32 s6, 0x43f00000
	v_cmp_gt_u32_e32 vcc, s6, v6
                                        ; implicit-def: $vgpr3
	s_and_saveexec_b64 s[6:7], vcc
	s_xor_b64 s[6:7], exec, s[6:7]
	s_cbranch_execz .LBB113_365
; %bb.360:
	s_mov_b32 s8, 0x3c7fffff
	v_cmp_lt_u32_e32 vcc, s8, v6
                                        ; implicit-def: $vgpr3
	s_and_saveexec_b64 s[8:9], vcc
	s_xor_b64 s[8:9], exec, s[8:9]
; %bb.361:
	v_bfe_u32 v3, v2, 20, 1
	s_mov_b32 s10, 0x407ffff
	v_add3_u32 v3, v2, v3, s10
	v_lshrrev_b32_e32 v6, 20, v3
	v_and_b32_e32 v3, 0xff00000, v3
	s_mov_b32 s10, 0x7f00000
	v_mov_b32_e32 v7, 0x7e
	v_cmp_ne_u32_e32 vcc, s10, v3
	s_nop 1
	v_cndmask_b32_e32 v3, v7, v6, vcc
; %bb.362:
	s_andn2_saveexec_b64 s[8:9], s[8:9]
; %bb.363:
	s_mov_b32 s10, 0x46800000
	v_add_f32_e64 v3, |v2|, s10
; %bb.364:
	s_or_b64 exec, exec, s[8:9]
                                        ; implicit-def: $vgpr6
.LBB113_365:
	s_andn2_saveexec_b64 s[6:7], s[6:7]
; %bb.366:
	s_mov_b32 s8, 0x7f800000
	v_mov_b32_e32 v3, 0x7e
	v_mov_b32_e32 v7, 0x7f
	v_cmp_lt_u32_e32 vcc, s8, v6
	s_nop 1
	v_cndmask_b32_e32 v3, v3, v7, vcc
; %bb.367:
	s_or_b64 exec, exec, s[6:7]
	v_lshrrev_b32_e32 v2, 24, v2
	s_movk_i32 s6, 0x80
	v_and_or_b32 v2, v2, s6, v3
	global_store_byte v[4:5], v2, off
.LBB113_368:
	s_mov_b64 s[6:7], 0
.LBB113_369:
	s_andn2_b64 vcc, exec, s[6:7]
	s_cbranch_vccnz .LBB113_379
; %bb.370:
	v_cvt_f32_f64_e32 v2, v[0:1]
	v_and_b32_e32 v6, 0x7fffffff, v2
	s_mov_b32 s6, 0x47800000
	v_cmp_gt_u32_e32 vcc, s6, v6
                                        ; implicit-def: $vgpr3
	s_and_saveexec_b64 s[6:7], vcc
	s_xor_b64 s[6:7], exec, s[6:7]
	s_cbranch_execz .LBB113_376
; %bb.371:
	s_mov_b32 s8, 0x387fffff
	v_cmp_lt_u32_e32 vcc, s8, v6
                                        ; implicit-def: $vgpr3
	s_and_saveexec_b64 s[8:9], vcc
	s_xor_b64 s[8:9], exec, s[8:9]
; %bb.372:
	v_bfe_u32 v3, v2, 21, 1
	s_mov_b32 s10, 0x80fffff
	v_add3_u32 v3, v2, v3, s10
	v_lshrrev_b32_e32 v3, 21, v3
; %bb.373:
	s_andn2_saveexec_b64 s[8:9], s[8:9]
; %bb.374:
	s_mov_b32 s10, 0x43000000
	v_add_f32_e64 v3, |v2|, s10
; %bb.375:
	s_or_b64 exec, exec, s[8:9]
                                        ; implicit-def: $vgpr6
.LBB113_376:
	s_andn2_saveexec_b64 s[6:7], s[6:7]
; %bb.377:
	s_mov_b32 s8, 0x7f800000
	v_mov_b32_e32 v3, 0x7c
	v_mov_b32_e32 v7, 0x7f
	v_cmp_lt_u32_e32 vcc, s8, v6
	s_nop 1
	v_cndmask_b32_e32 v3, v3, v7, vcc
; %bb.378:
	s_or_b64 exec, exec, s[6:7]
	v_lshrrev_b32_e32 v2, 24, v2
	s_movk_i32 s6, 0x80
	v_and_or_b32 v2, v2, s6, v3
	global_store_byte v[4:5], v2, off
.LBB113_379:
	s_mov_b64 s[8:9], 0
	s_mov_b64 s[6:7], -1
.LBB113_380:
	s_andn2_b64 vcc, exec, s[8:9]
	s_cbranch_vccnz .LBB113_388
; %bb.381:
	s_cmp_gt_i32 s13, 14
	s_mov_b64 s[8:9], -1
	s_cbranch_scc0 .LBB113_385
; %bb.382:
	s_cmp_eq_u32 s13, 15
	s_mov_b64 s[2:3], -1
	s_cbranch_scc0 .LBB113_384
; %bb.383:
	v_cvt_f32_f64_e32 v2, v[0:1]
	v_bfe_u32 v3, v2, 16, 1
	s_movk_i32 s2, 0x7fff
	v_add3_u32 v3, v2, v3, s2
	v_cmp_o_f32_e32 vcc, v2, v2
	v_mov_b32_e32 v2, 0x7fc0
	s_mov_b64 s[6:7], -1
	v_cndmask_b32_sdwa v2, v2, v3, vcc dst_sel:DWORD dst_unused:UNUSED_PAD src0_sel:DWORD src1_sel:WORD_1
	global_store_short v[4:5], v2, off
	s_mov_b64 s[2:3], 0
.LBB113_384:
	s_mov_b64 s[8:9], 0
.LBB113_385:
	s_and_b64 vcc, exec, s[8:9]
	s_cbranch_vccz .LBB113_388
; %bb.386:
	s_cmp_eq_u32 s13, 11
	s_mov_b64 s[2:3], -1
	s_cbranch_scc0 .LBB113_388
; %bb.387:
	v_cmp_neq_f64_e32 vcc, 0, v[0:1]
	s_mov_b64 s[2:3], 0
	s_mov_b64 s[6:7], -1
	v_cndmask_b32_e64 v2, 0, 1, vcc
	global_store_byte v[4:5], v2, off
.LBB113_388:
	s_mov_b64 s[8:9], 0
.LBB113_389:
	s_and_b64 vcc, exec, s[8:9]
	s_cbranch_vccz .LBB113_428
; %bb.390:
	s_and_b32 s8, 0xffff, s12
	s_cmp_lt_i32 s8, 5
	s_mov_b64 s[6:7], -1
	s_cbranch_scc1 .LBB113_411
; %bb.391:
	s_cmp_lt_i32 s8, 8
	s_cbranch_scc1 .LBB113_401
; %bb.392:
	s_cmp_lt_i32 s8, 9
	s_cbranch_scc1 .LBB113_398
; %bb.393:
	s_cmp_gt_i32 s8, 9
	s_cbranch_scc0 .LBB113_395
; %bb.394:
	v_mov_b32_e32 v2, 0
	v_mov_b32_e32 v3, v2
	s_mov_b64 s[6:7], 0
	global_store_dwordx4 v[4:5], v[0:3], off
.LBB113_395:
	s_andn2_b64 vcc, exec, s[6:7]
	s_cbranch_vccnz .LBB113_397
; %bb.396:
	v_cvt_f32_f64_e32 v2, v[0:1]
	v_mov_b32_e32 v3, 0
	global_store_dwordx2 v[4:5], v[2:3], off
.LBB113_397:
	s_mov_b64 s[6:7], 0
.LBB113_398:
	s_andn2_b64 vcc, exec, s[6:7]
	s_cbranch_vccnz .LBB113_400
; %bb.399:
	s_movk_i32 s6, 0x1ff
	v_and_or_b32 v2, v1, s6, v0
	v_cmp_ne_u32_e32 vcc, 0, v2
	v_lshrrev_b32_e32 v3, 8, v1
	s_movk_i32 s6, 0xffe
	v_cndmask_b32_e64 v2, 0, 1, vcc
	v_bfe_u32 v6, v1, 20, 11
	v_and_or_b32 v2, v3, s6, v2
	v_sub_u32_e32 v7, 0x3f1, v6
	v_or_b32_e32 v3, 0x1000, v2
	v_med3_i32 v7, v7, 0, 13
	v_lshrrev_b32_e32 v8, v7, v3
	v_lshlrev_b32_e32 v7, v7, v8
	v_cmp_ne_u32_e32 vcc, v7, v3
	v_add_u32_e32 v6, 0xfffffc10, v6
	v_lshl_or_b32 v7, v6, 12, v2
	v_cndmask_b32_e64 v3, 0, 1, vcc
	v_or_b32_e32 v3, v8, v3
	v_cmp_gt_i32_e32 vcc, 1, v6
	s_movk_i32 s6, 0x40f
	s_nop 0
	v_cndmask_b32_e32 v3, v7, v3, vcc
	v_and_b32_e32 v7, 7, v3
	v_cmp_lt_i32_e32 vcc, 5, v7
	v_lshrrev_b32_e32 v3, 2, v3
	s_nop 0
	v_cndmask_b32_e64 v8, 0, 1, vcc
	v_cmp_eq_u32_e32 vcc, 3, v7
	s_nop 1
	v_cndmask_b32_e64 v7, 0, 1, vcc
	v_or_b32_e32 v7, v7, v8
	v_add_u32_e32 v3, v3, v7
	v_mov_b32_e32 v7, 0x7c00
	v_cmp_gt_i32_e32 vcc, 31, v6
	v_mov_b32_e32 v8, 0x7e00
	s_nop 0
	v_cndmask_b32_e32 v3, v7, v3, vcc
	v_cmp_ne_u32_e32 vcc, 0, v2
	s_nop 1
	v_cndmask_b32_e32 v2, v7, v8, vcc
	v_cmp_eq_u32_e32 vcc, s6, v6
	s_mov_b32 s6, 0x8000
	s_nop 0
	v_cndmask_b32_e32 v2, v3, v2, vcc
	v_and_b32_sdwa v3, v1, s6 dst_sel:DWORD dst_unused:UNUSED_PAD src0_sel:WORD_1 src1_sel:DWORD
	s_mov_b32 s6, 0xffff
	v_bitop3_b32 v2, v3, s6, v2 bitop3:0xc8
	global_store_dword v[4:5], v2, off
.LBB113_400:
	s_mov_b64 s[6:7], 0
.LBB113_401:
	s_andn2_b64 vcc, exec, s[6:7]
	s_cbranch_vccnz .LBB113_410
; %bb.402:
	s_cmp_lt_i32 s8, 6
	s_mov_b64 s[6:7], -1
	s_cbranch_scc1 .LBB113_408
; %bb.403:
	s_cmp_gt_i32 s8, 6
	s_cbranch_scc0 .LBB113_405
; %bb.404:
	s_mov_b64 s[6:7], 0
	global_store_dwordx2 v[4:5], v[0:1], off
.LBB113_405:
	s_andn2_b64 vcc, exec, s[6:7]
	s_cbranch_vccnz .LBB113_407
; %bb.406:
	v_cvt_f32_f64_e32 v2, v[0:1]
	global_store_dword v[4:5], v2, off
.LBB113_407:
	s_mov_b64 s[6:7], 0
.LBB113_408:
	s_andn2_b64 vcc, exec, s[6:7]
	s_cbranch_vccnz .LBB113_410
; %bb.409:
	s_movk_i32 s6, 0x1ff
	v_and_or_b32 v2, v1, s6, v0
	v_cmp_ne_u32_e32 vcc, 0, v2
	v_lshrrev_b32_e32 v3, 8, v1
	s_movk_i32 s6, 0xffe
	v_cndmask_b32_e64 v2, 0, 1, vcc
	v_bfe_u32 v6, v1, 20, 11
	v_and_or_b32 v2, v3, s6, v2
	v_sub_u32_e32 v7, 0x3f1, v6
	v_or_b32_e32 v3, 0x1000, v2
	v_med3_i32 v7, v7, 0, 13
	v_lshrrev_b32_e32 v8, v7, v3
	v_lshlrev_b32_e32 v7, v7, v8
	v_cmp_ne_u32_e32 vcc, v7, v3
	v_add_u32_e32 v6, 0xfffffc10, v6
	v_lshl_or_b32 v7, v6, 12, v2
	v_cndmask_b32_e64 v3, 0, 1, vcc
	v_or_b32_e32 v3, v8, v3
	v_cmp_gt_i32_e32 vcc, 1, v6
	s_movk_i32 s6, 0x40f
	s_nop 0
	v_cndmask_b32_e32 v3, v7, v3, vcc
	v_and_b32_e32 v7, 7, v3
	v_cmp_lt_i32_e32 vcc, 5, v7
	v_lshrrev_b32_e32 v3, 2, v3
	s_nop 0
	v_cndmask_b32_e64 v8, 0, 1, vcc
	v_cmp_eq_u32_e32 vcc, 3, v7
	s_nop 1
	v_cndmask_b32_e64 v7, 0, 1, vcc
	v_or_b32_e32 v7, v7, v8
	v_add_u32_e32 v3, v3, v7
	v_mov_b32_e32 v7, 0x7c00
	v_cmp_gt_i32_e32 vcc, 31, v6
	v_mov_b32_e32 v8, 0x7e00
	s_nop 0
	v_cndmask_b32_e32 v3, v7, v3, vcc
	v_cmp_ne_u32_e32 vcc, 0, v2
	s_nop 1
	v_cndmask_b32_e32 v2, v7, v8, vcc
	v_cmp_eq_u32_e32 vcc, s6, v6
	s_mov_b32 s6, 0x8000
	s_nop 0
	v_cndmask_b32_e32 v2, v3, v2, vcc
	v_lshrrev_b32_e32 v3, 16, v1
	v_and_or_b32 v2, v3, s6, v2
	global_store_short v[4:5], v2, off
.LBB113_410:
	s_mov_b64 s[6:7], 0
.LBB113_411:
	s_andn2_b64 vcc, exec, s[6:7]
	s_cbranch_vccnz .LBB113_427
; %bb.412:
	s_cmp_lt_i32 s8, 2
	s_mov_b64 s[6:7], -1
	s_cbranch_scc1 .LBB113_422
; %bb.413:
	s_cmp_lt_i32 s8, 3
	s_cbranch_scc1 .LBB113_419
; %bb.414:
	s_cmp_gt_i32 s8, 3
	s_cbranch_scc0 .LBB113_416
; %bb.415:
	v_trunc_f64_e32 v[2:3], v[0:1]
	s_movk_i32 s6, 0xffe0
	v_ldexp_f64 v[6:7], v[2:3], s6
	v_floor_f64_e32 v[6:7], v[6:7]
	v_fmac_f64_e32 v[2:3], 0xc1f00000, v[6:7]
	v_cvt_i32_f64_e32 v9, v[6:7]
	v_cvt_u32_f64_e32 v8, v[2:3]
	s_mov_b64 s[6:7], 0
	global_store_dwordx2 v[4:5], v[8:9], off
.LBB113_416:
	s_andn2_b64 vcc, exec, s[6:7]
	s_cbranch_vccnz .LBB113_418
; %bb.417:
	v_cvt_i32_f64_e32 v2, v[0:1]
	global_store_dword v[4:5], v2, off
.LBB113_418:
	s_mov_b64 s[6:7], 0
.LBB113_419:
	s_andn2_b64 vcc, exec, s[6:7]
	s_cbranch_vccnz .LBB113_421
; %bb.420:
	v_cvt_i32_f64_e32 v2, v[0:1]
	global_store_short v[4:5], v2, off
.LBB113_421:
	s_mov_b64 s[6:7], 0
.LBB113_422:
	s_andn2_b64 vcc, exec, s[6:7]
	s_cbranch_vccnz .LBB113_427
; %bb.423:
	s_cmp_gt_i32 s8, 0
	s_mov_b64 s[6:7], -1
	s_cbranch_scc0 .LBB113_425
; %bb.424:
	v_cvt_i32_f64_e32 v2, v[0:1]
	s_mov_b64 s[6:7], 0
	global_store_byte v[4:5], v2, off
.LBB113_425:
	s_andn2_b64 vcc, exec, s[6:7]
	s_cbranch_vccnz .LBB113_427
; %bb.426:
	v_trunc_f64_e32 v[0:1], v[0:1]
	s_movk_i32 s6, 0xffe0
	v_ldexp_f64 v[2:3], v[0:1], s6
	v_floor_f64_e32 v[2:3], v[2:3]
	v_fmac_f64_e32 v[0:1], 0xc1f00000, v[2:3]
	v_cvt_u32_f64_e32 v0, v[0:1]
	global_store_byte v[4:5], v0, off
.LBB113_427:
	s_mov_b64 s[6:7], -1
.LBB113_428:
	s_andn2_b64 vcc, exec, s[6:7]
	s_cbranch_vccnz .LBB113_430
; %bb.429:
	v_add_u32_e32 v10, 0x80, v10
	s_mov_b64 s[6:7], -1
	s_branch .LBB113_543
.LBB113_430:
	s_mov_b64 s[6:7], 0
	s_branch .LBB113_542
.LBB113_431:
	s_mov_b64 s[4:5], -1
                                        ; implicit-def: $vgpr4_vgpr5
.LBB113_432:
	s_mov_b64 s[6:7], 0
.LBB113_433:
	s_and_b64 vcc, exec, s[6:7]
	s_cbranch_vccz .LBB113_437
; %bb.434:
	s_cmp_eq_u32 s10, 29
	s_cbranch_scc0 .LBB113_436
; %bb.435:
	global_load_dwordx2 v[4:5], v[0:1], off
	s_mov_b64 s[2:3], -1
	s_mov_b64 s[4:5], 0
	s_mov_b64 s[6:7], 0
	s_waitcnt vmcnt(0)
	v_cvt_f64_u32_e32 v[6:7], v5
	v_cvt_f64_u32_e32 v[4:5], v4
	v_ldexp_f64 v[6:7], v[6:7], 32
	v_add_f64 v[4:5], v[6:7], v[4:5]
	s_branch .LBB113_438
.LBB113_436:
	s_mov_b64 s[4:5], -1
                                        ; implicit-def: $vgpr4_vgpr5
.LBB113_437:
	s_mov_b64 s[6:7], 0
.LBB113_438:
	s_and_b64 vcc, exec, s[6:7]
	s_cbranch_vccz .LBB113_458
; %bb.439:
	s_cmp_lt_i32 s10, 27
	s_cbranch_scc1 .LBB113_442
; %bb.440:
	s_cmp_gt_i32 s10, 27
	s_cbranch_scc0 .LBB113_443
; %bb.441:
	global_load_dword v3, v[0:1], off
	s_mov_b64 s[2:3], 0
	s_waitcnt vmcnt(0)
	v_cvt_f64_u32_e32 v[4:5], v3
	s_branch .LBB113_444
.LBB113_442:
	s_mov_b64 s[2:3], -1
                                        ; implicit-def: $vgpr4_vgpr5
	s_branch .LBB113_447
.LBB113_443:
	s_mov_b64 s[2:3], -1
                                        ; implicit-def: $vgpr4_vgpr5
.LBB113_444:
	s_andn2_b64 vcc, exec, s[2:3]
	s_cbranch_vccnz .LBB113_446
; %bb.445:
	global_load_ushort v3, v[0:1], off
	s_waitcnt vmcnt(0)
	v_cvt_f64_u32_e32 v[4:5], v3
.LBB113_446:
	s_mov_b64 s[2:3], 0
.LBB113_447:
	s_andn2_b64 vcc, exec, s[2:3]
	s_cbranch_vccnz .LBB113_457
; %bb.448:
	global_load_ubyte v3, v[0:1], off
	s_movk_i32 s2, 0x7f
	s_waitcnt vmcnt(0)
	v_cmp_lt_i16_e32 vcc, s2, v3
	s_mov_b64 s[2:3], 0
	s_and_saveexec_b64 s[6:7], vcc
	s_xor_b64 s[6:7], exec, s[6:7]
	s_cbranch_execz .LBB113_452
; %bb.449:
	s_movk_i32 s2, 0x80
	v_cmp_eq_u16_e32 vcc, s2, v3
	s_mov_b64 s[2:3], -1
	s_and_saveexec_b64 s[8:9], vcc
; %bb.450:
	s_xor_b64 s[2:3], exec, -1
; %bb.451:
	s_or_b64 exec, exec, s[8:9]
	s_and_b64 s[2:3], s[2:3], exec
.LBB113_452:
	s_or_saveexec_b64 s[6:7], s[6:7]
	v_bfrev_b32_e32 v4, 4
	v_mov_b32_e32 v5, 0x7ff80000
	s_xor_b64 exec, exec, s[6:7]
; %bb.453:
	v_cmp_ne_u16_e32 vcc, 0, v3
	s_andn2_b64 s[2:3], s[2:3], exec
	s_and_b64 s[8:9], vcc, exec
	v_mov_b64_e32 v[4:5], 0
	s_or_b64 s[2:3], s[2:3], s[8:9]
; %bb.454:
	s_or_b64 exec, exec, s[6:7]
	s_and_saveexec_b64 s[6:7], s[2:3]
	s_cbranch_execz .LBB113_456
; %bb.455:
	v_lshlrev_b32_e32 v4, 24, v3
	v_and_b32_e32 v3, 0xffff, v3
	v_and_b32_e32 v5, 7, v3
	v_ffbh_u32_e32 v7, v5
	v_min_u32_e32 v7, 32, v7
	v_subrev_u32_e32 v8, 28, v7
	v_bfe_u32 v6, v3, 3, 4
	v_lshlrev_b32_e32 v3, v8, v3
	v_sub_u32_e32 v7, 29, v7
	v_and_b32_e32 v3, 7, v3
	v_cmp_eq_u32_e32 vcc, 0, v6
	v_and_b32_e32 v4, 0x80000000, v4
	s_nop 0
	v_cndmask_b32_e32 v6, v6, v7, vcc
	v_cndmask_b32_e32 v3, v5, v3, vcc
	v_mov_b32_e32 v5, 0x3b800000
	v_lshlrev_b32_e32 v3, 20, v3
	v_lshl_add_u32 v5, v6, 23, v5
	v_or3_b32 v3, v4, v5, v3
	v_cvt_f64_f32_e32 v[4:5], v3
.LBB113_456:
	s_or_b64 exec, exec, s[6:7]
.LBB113_457:
	s_mov_b64 s[2:3], -1
.LBB113_458:
	s_mov_b64 s[6:7], 0
.LBB113_459:
	s_and_b64 vcc, exec, s[6:7]
	s_cbranch_vccz .LBB113_492
; %bb.460:
	s_cmp_gt_i32 s10, 22
	s_cbranch_scc0 .LBB113_472
; %bb.461:
	s_cmp_lt_i32 s10, 24
	s_cbranch_scc1 .LBB113_473
; %bb.462:
	s_cmp_gt_i32 s10, 24
	s_cbranch_scc0 .LBB113_474
; %bb.463:
	global_load_ubyte v3, v[0:1], off
	s_movk_i32 s2, 0x7f
	s_waitcnt vmcnt(0)
	v_cmp_lt_i16_e32 vcc, s2, v3
	s_mov_b64 s[2:3], 0
	s_and_saveexec_b64 s[6:7], vcc
	s_xor_b64 s[6:7], exec, s[6:7]
	s_cbranch_execz .LBB113_467
; %bb.464:
	s_movk_i32 s2, 0x80
	v_cmp_eq_u16_e32 vcc, s2, v3
	s_mov_b64 s[2:3], -1
	s_and_saveexec_b64 s[8:9], vcc
; %bb.465:
	s_xor_b64 s[2:3], exec, -1
; %bb.466:
	s_or_b64 exec, exec, s[8:9]
	s_and_b64 s[2:3], s[2:3], exec
.LBB113_467:
	s_or_saveexec_b64 s[6:7], s[6:7]
	v_bfrev_b32_e32 v4, 4
	v_mov_b32_e32 v5, 0x7ff80000
	s_xor_b64 exec, exec, s[6:7]
; %bb.468:
	v_cmp_ne_u16_e32 vcc, 0, v3
	s_andn2_b64 s[2:3], s[2:3], exec
	s_and_b64 s[8:9], vcc, exec
	v_mov_b64_e32 v[4:5], 0
	s_or_b64 s[2:3], s[2:3], s[8:9]
; %bb.469:
	s_or_b64 exec, exec, s[6:7]
	s_and_saveexec_b64 s[6:7], s[2:3]
	s_cbranch_execz .LBB113_471
; %bb.470:
	v_lshlrev_b32_e32 v4, 24, v3
	v_and_b32_e32 v3, 0xffff, v3
	v_and_b32_e32 v5, 3, v3
	v_ffbh_u32_e32 v7, v5
	v_min_u32_e32 v7, 32, v7
	v_subrev_u32_e32 v8, 29, v7
	v_bfe_u32 v6, v3, 2, 5
	v_lshlrev_b32_e32 v3, v8, v3
	v_sub_u32_e32 v7, 30, v7
	v_and_b32_e32 v3, 3, v3
	v_cmp_eq_u32_e32 vcc, 0, v6
	v_and_b32_e32 v4, 0x80000000, v4
	s_nop 0
	v_cndmask_b32_e32 v6, v6, v7, vcc
	v_cndmask_b32_e32 v3, v5, v3, vcc
	v_mov_b32_e32 v5, 0x37800000
	v_lshlrev_b32_e32 v3, 21, v3
	v_lshl_add_u32 v5, v6, 23, v5
	v_or3_b32 v3, v4, v5, v3
	v_cvt_f64_f32_e32 v[4:5], v3
.LBB113_471:
	s_or_b64 exec, exec, s[6:7]
	s_mov_b64 s[2:3], 0
	s_branch .LBB113_475
.LBB113_472:
	s_mov_b64 s[6:7], -1
                                        ; implicit-def: $vgpr4_vgpr5
	s_branch .LBB113_481
.LBB113_473:
	s_mov_b64 s[2:3], -1
                                        ; implicit-def: $vgpr4_vgpr5
	s_branch .LBB113_478
.LBB113_474:
	s_mov_b64 s[2:3], -1
                                        ; implicit-def: $vgpr4_vgpr5
.LBB113_475:
	s_and_b64 vcc, exec, s[2:3]
	s_cbranch_vccz .LBB113_477
; %bb.476:
	global_load_ubyte v3, v[0:1], off
	s_mov_b32 s2, 0x7f800000
	s_waitcnt vmcnt(0)
	v_lshlrev_b32_e32 v3, 24, v3
	v_and_b32_e32 v4, 0x7f000000, v3
	v_ffbh_u32_e32 v5, v4
	v_min_u32_e32 v5, 32, v5
	v_sub_u32_e64 v5, v5, 4 clamp
	v_lshlrev_b32_e32 v7, v5, v4
	v_lshlrev_b32_e32 v5, 23, v5
	v_lshrrev_b32_e32 v7, 4, v7
	v_add_u32_e32 v6, 0x1000000, v4
	v_sub_u32_e32 v5, v7, v5
	v_ashrrev_i32_e32 v6, 8, v6
	v_add_u32_e32 v5, 0x3c000000, v5
	v_and_or_b32 v5, v6, s2, v5
	v_cmp_ne_u32_e32 vcc, 0, v4
	s_brev_b32 s2, 1
	s_nop 0
	v_cndmask_b32_e32 v4, 0, v5, vcc
	v_and_or_b32 v3, v3, s2, v4
	v_cvt_f64_f32_e32 v[4:5], v3
.LBB113_477:
	s_mov_b64 s[2:3], 0
.LBB113_478:
	s_andn2_b64 vcc, exec, s[2:3]
	s_cbranch_vccnz .LBB113_480
; %bb.479:
	global_load_ubyte v3, v[0:1], off
	s_movk_i32 s2, 0x7f00
	s_brev_b32 s3, 16
	s_waitcnt vmcnt(0)
	v_lshlrev_b16_e32 v4, 8, v3
	v_lshlrev_b32_e32 v3, 25, v3
	v_lshrrev_b32_e32 v5, 4, v3
	v_and_or_b32 v6, v4, s2, 0.5
	v_or_b32_e32 v5, 0x70000000, v5
	v_add_f32_e32 v6, -0.5, v6
	v_mul_f32_e32 v5, 0x7800000, v5
	v_cmp_gt_u32_e32 vcc, s3, v3
	v_bfe_i32 v4, v4, 0, 16
	s_brev_b32 s2, 1
	v_cndmask_b32_e32 v3, v5, v6, vcc
	v_and_or_b32 v3, v4, s2, v3
	v_cvt_f64_f32_e32 v[4:5], v3
.LBB113_480:
	s_mov_b64 s[6:7], 0
	s_mov_b64 s[2:3], -1
.LBB113_481:
	s_andn2_b64 vcc, exec, s[6:7]
	s_cbranch_vccnz .LBB113_492
; %bb.482:
	s_cmp_gt_i32 s10, 14
	s_cbranch_scc0 .LBB113_485
; %bb.483:
	s_cmp_eq_u32 s10, 15
	s_cbranch_scc0 .LBB113_486
; %bb.484:
	global_load_ushort v3, v[0:1], off
	s_mov_b64 s[2:3], -1
	s_mov_b64 s[4:5], 0
	s_waitcnt vmcnt(0)
	v_lshlrev_b32_e32 v3, 16, v3
	v_cvt_f64_f32_e32 v[4:5], v3
	s_branch .LBB113_487
.LBB113_485:
	s_mov_b64 s[6:7], -1
                                        ; implicit-def: $vgpr4_vgpr5
	s_branch .LBB113_488
.LBB113_486:
	s_mov_b64 s[4:5], -1
                                        ; implicit-def: $vgpr4_vgpr5
.LBB113_487:
	s_mov_b64 s[6:7], 0
.LBB113_488:
	s_and_b64 vcc, exec, s[6:7]
	s_cbranch_vccz .LBB113_492
; %bb.489:
	s_cmp_eq_u32 s10, 11
	s_cbranch_scc0 .LBB113_491
; %bb.490:
	global_load_ubyte v3, v[0:1], off
	s_waitcnt vmcnt(1)
	v_mov_b32_e32 v5, 0x3ff00000
	v_mov_b32_e32 v4, 0
	s_mov_b64 s[2:3], -1
	s_mov_b64 s[4:5], 0
	s_waitcnt vmcnt(0)
	v_cmp_ne_u16_e32 vcc, 0, v3
	s_nop 1
	v_cndmask_b32_e32 v5, 0, v5, vcc
	s_branch .LBB113_492
.LBB113_491:
	s_mov_b64 s[4:5], -1
                                        ; implicit-def: $vgpr4_vgpr5
.LBB113_492:
	s_branch .LBB113_295
.LBB113_493:
	s_cmp_lt_i32 s10, 5
	s_cbranch_scc1 .LBB113_498
; %bb.494:
	s_cmp_lt_i32 s10, 8
	s_cbranch_scc1 .LBB113_499
; %bb.495:
	;; [unrolled: 3-line block ×3, first 2 shown]
	s_cmp_gt_i32 s10, 9
	s_cbranch_scc0 .LBB113_501
; %bb.497:
	global_load_dwordx2 v[4:5], v[0:1], off
	s_mov_b64 s[2:3], 0
	s_branch .LBB113_502
.LBB113_498:
	s_mov_b64 s[2:3], -1
                                        ; implicit-def: $vgpr4_vgpr5
	s_branch .LBB113_520
.LBB113_499:
	s_mov_b64 s[2:3], -1
                                        ; implicit-def: $vgpr4_vgpr5
	s_branch .LBB113_508
.LBB113_500:
	s_mov_b64 s[2:3], -1
                                        ; implicit-def: $vgpr4_vgpr5
	s_branch .LBB113_505
.LBB113_501:
	s_mov_b64 s[2:3], -1
                                        ; implicit-def: $vgpr4_vgpr5
.LBB113_502:
	s_andn2_b64 vcc, exec, s[2:3]
	s_cbranch_vccnz .LBB113_504
; %bb.503:
	global_load_dword v3, v[0:1], off
	s_waitcnt vmcnt(0)
	v_cvt_f64_f32_e32 v[4:5], v3
.LBB113_504:
	s_mov_b64 s[2:3], 0
.LBB113_505:
	s_andn2_b64 vcc, exec, s[2:3]
	s_cbranch_vccnz .LBB113_507
; %bb.506:
	global_load_dword v3, v[0:1], off
	s_waitcnt vmcnt(0)
	v_cvt_f32_f16_e32 v3, v3
	v_cvt_f64_f32_e32 v[4:5], v3
.LBB113_507:
	s_mov_b64 s[2:3], 0
.LBB113_508:
	s_andn2_b64 vcc, exec, s[2:3]
	s_cbranch_vccnz .LBB113_519
; %bb.509:
	s_cmp_lt_i32 s10, 6
	s_cbranch_scc1 .LBB113_512
; %bb.510:
	s_cmp_gt_i32 s10, 6
	s_cbranch_scc0 .LBB113_513
; %bb.511:
	global_load_dwordx2 v[4:5], v[0:1], off
	s_mov_b64 s[2:3], 0
	s_branch .LBB113_514
.LBB113_512:
	s_mov_b64 s[2:3], -1
                                        ; implicit-def: $vgpr4_vgpr5
	s_branch .LBB113_517
.LBB113_513:
	s_mov_b64 s[2:3], -1
                                        ; implicit-def: $vgpr4_vgpr5
.LBB113_514:
	s_andn2_b64 vcc, exec, s[2:3]
	s_cbranch_vccnz .LBB113_516
; %bb.515:
	global_load_dword v3, v[0:1], off
	s_waitcnt vmcnt(0)
	v_cvt_f64_f32_e32 v[4:5], v3
.LBB113_516:
	s_mov_b64 s[2:3], 0
.LBB113_517:
	s_andn2_b64 vcc, exec, s[2:3]
	s_cbranch_vccnz .LBB113_519
; %bb.518:
	global_load_ushort v3, v[0:1], off
	s_waitcnt vmcnt(0)
	v_cvt_f32_f16_e32 v3, v3
	v_cvt_f64_f32_e32 v[4:5], v3
.LBB113_519:
	s_mov_b64 s[2:3], 0
.LBB113_520:
	s_andn2_b64 vcc, exec, s[2:3]
	s_cbranch_vccnz .LBB113_540
; %bb.521:
	s_cmp_lt_i32 s10, 2
	s_cbranch_scc1 .LBB113_525
; %bb.522:
	s_cmp_lt_i32 s10, 3
	s_cbranch_scc1 .LBB113_526
; %bb.523:
	s_cmp_gt_i32 s10, 3
	s_cbranch_scc0 .LBB113_527
; %bb.524:
	global_load_dwordx2 v[4:5], v[0:1], off
	s_mov_b64 s[2:3], 0
	s_waitcnt vmcnt(0)
	v_cvt_f64_i32_e32 v[6:7], v5
	v_cvt_f64_u32_e32 v[4:5], v4
	v_ldexp_f64 v[6:7], v[6:7], 32
	v_add_f64 v[4:5], v[6:7], v[4:5]
	s_branch .LBB113_528
.LBB113_525:
	s_mov_b64 s[2:3], -1
                                        ; implicit-def: $vgpr4_vgpr5
	s_branch .LBB113_534
.LBB113_526:
	s_mov_b64 s[2:3], -1
                                        ; implicit-def: $vgpr4_vgpr5
	s_branch .LBB113_531
.LBB113_527:
	s_mov_b64 s[2:3], -1
                                        ; implicit-def: $vgpr4_vgpr5
.LBB113_528:
	s_andn2_b64 vcc, exec, s[2:3]
	s_cbranch_vccnz .LBB113_530
; %bb.529:
	global_load_dword v3, v[0:1], off
	s_waitcnt vmcnt(0)
	v_cvt_f64_i32_e32 v[4:5], v3
.LBB113_530:
	s_mov_b64 s[2:3], 0
.LBB113_531:
	s_andn2_b64 vcc, exec, s[2:3]
	s_cbranch_vccnz .LBB113_533
; %bb.532:
	global_load_sshort v3, v[0:1], off
	s_waitcnt vmcnt(0)
	v_cvt_f64_i32_e32 v[4:5], v3
.LBB113_533:
	s_mov_b64 s[2:3], 0
.LBB113_534:
	s_andn2_b64 vcc, exec, s[2:3]
	s_cbranch_vccnz .LBB113_540
; %bb.535:
	s_cmp_gt_i32 s10, 0
	s_cbranch_scc0 .LBB113_537
; %bb.536:
	global_load_sbyte v3, v[0:1], off
	s_mov_b64 s[2:3], 0
	s_waitcnt vmcnt(0)
	v_cvt_f64_i32_e32 v[4:5], v3
	s_branch .LBB113_538
.LBB113_537:
	s_mov_b64 s[2:3], -1
                                        ; implicit-def: $vgpr4_vgpr5
.LBB113_538:
	s_andn2_b64 vcc, exec, s[2:3]
	s_cbranch_vccnz .LBB113_540
; %bb.539:
	global_load_ubyte v0, v[0:1], off
	s_waitcnt vmcnt(0)
	v_cvt_f64_u32_e32 v[4:5], v0
.LBB113_540:
	s_branch .LBB113_296
.LBB113_541:
	s_mov_b64 s[6:7], 0
	s_mov_b64 s[2:3], s[54:55]
.LBB113_542:
                                        ; implicit-def: $vgpr10
.LBB113_543:
	s_andn2_b64 s[8:9], s[54:55], exec
	s_and_b64 s[2:3], s[2:3], exec
	s_or_b64 s[62:63], s[8:9], s[2:3]
	s_andn2_b64 s[2:3], s[56:57], exec
	s_and_b64 s[4:5], s[4:5], exec
	s_or_b64 s[60:61], s[2:3], s[4:5]
	s_orn2_b64 s[2:3], s[6:7], exec
.LBB113_544:
	s_or_b64 exec, exec, s[64:65]
	s_mov_b64 s[4:5], 0
	s_mov_b64 s[6:7], 0
	;; [unrolled: 1-line block ×3, first 2 shown]
                                        ; implicit-def: $vgpr0_vgpr1
                                        ; implicit-def: $vgpr2
                                        ; implicit-def: $vgpr6_vgpr7
	s_and_saveexec_b64 s[64:65], s[2:3]
	s_cbranch_execz .LBB113_921
; %bb.545:
	v_cmp_gt_i32_e32 vcc, s70, v10
	s_mov_b64 s[6:7], -1
	s_mov_b64 s[2:3], s[60:61]
	s_mov_b64 s[68:69], s[62:63]
	s_and_saveexec_b64 s[66:67], vcc
	s_cbranch_execz .LBB113_820
; %bb.546:
	s_andn2_b64 vcc, exec, s[42:43]
	s_cbranch_vccnz .LBB113_552
; %bb.547:
	s_andn2_b64 vcc, exec, s[52:53]
	s_cbranch_vccnz .LBB113_553
; %bb.548:
	s_add_i32 s76, s75, 1
	s_cmp_eq_u32 s72, 2
	s_cbranch_scc1 .LBB113_554
; %bb.549:
	s_and_b32 s71, s76, 28
	s_mov_b32 s77, 0
	v_mov_b32_e32 v2, 0
	v_mov_b32_e32 v0, 0
	s_mov_b64 s[2:3], s[34:35]
	s_mov_b64 s[68:69], s[50:51]
	s_waitcnt vmcnt(0)
	v_mov_b32_e32 v4, v10
.LBB113_550:                            ; =>This Inner Loop Header: Depth=1
	s_load_dwordx8 s[12:19], s[2:3], 0x4
	s_load_dwordx4 s[36:39], s[2:3], 0x24
	s_load_dwordx8 s[4:11], s[68:69], 0x0
	s_add_u32 s2, s2, 48
	s_addc_u32 s3, s3, 0
	s_waitcnt lgkmcnt(0)
	v_mul_hi_u32 v1, s13, v4
	v_add_u32_e32 v1, v4, v1
	v_lshrrev_b32_e32 v1, s14, v1
	v_mul_lo_u32 v3, v1, s12
	v_mul_hi_u32 v5, s16, v1
	v_sub_u32_e32 v3, v4, v3
	v_add_u32_e32 v4, v1, v5
	v_lshrrev_b32_e32 v4, s17, v4
	v_mul_lo_u32 v6, v4, s15
	v_mul_hi_u32 v7, s19, v4
	v_sub_u32_e32 v1, v1, v6
	v_add_u32_e32 v6, v4, v7
	v_mul_lo_u32 v5, v3, s5
	v_mul_lo_u32 v3, v3, s4
	;; [unrolled: 1-line block ×4, first 2 shown]
	v_lshrrev_b32_e32 v6, s36, v6
	v_add3_u32 v1, v3, v2, v1
	v_mul_hi_u32 v3, s38, v6
	v_mul_lo_u32 v2, v6, s18
	v_add_u32_e32 v3, v6, v3
	v_sub_u32_e32 v2, v4, v2
	v_lshrrev_b32_e32 v4, s39, v3
	s_add_i32 s77, s77, 4
	v_mul_lo_u32 v3, v4, s37
	s_add_u32 s68, s68, 32
	v_sub_u32_e32 v3, v6, v3
	s_addc_u32 s69, s69, 0
	v_add3_u32 v0, v5, v0, v7
	v_mul_lo_u32 v5, v2, s8
	v_mul_lo_u32 v2, v2, s9
	;; [unrolled: 1-line block ×4, first 2 shown]
	s_cmp_eq_u32 s71, s77
	v_add3_u32 v0, v2, v0, v3
	v_add3_u32 v2, v5, v1, v6
	s_cbranch_scc0 .LBB113_550
; %bb.551:
	v_mov_b32_e32 v1, v0
	s_branch .LBB113_555
.LBB113_552:
	s_mov_b64 s[2:3], -1
                                        ; implicit-def: $vgpr0
                                        ; implicit-def: $vgpr2
	s_branch .LBB113_559
.LBB113_553:
	v_mov_b32_e32 v0, 0
	v_mov_b32_e32 v2, 0
	s_branch .LBB113_558
.LBB113_554:
	v_mov_b32_e32 v2, 0
	s_mov_b32 s71, 0
	v_mov_b32_e32 v1, v2
                                        ; implicit-def: $vgpr0
	s_waitcnt vmcnt(0)
	v_mov_b32_e32 v4, v10
.LBB113_555:
	s_and_b32 s6, s76, 3
	s_cmp_eq_u32 s6, 0
	s_cbranch_scc1 .LBB113_558
; %bb.556:
	s_lshl_b32 s2, s71, 3
	s_add_u32 s2, s34, s2
	s_addc_u32 s3, s35, 0
	s_add_u32 s2, s2, 0xc4
	s_addc_u32 s3, s3, 0
	s_mul_i32 s4, s71, 12
	s_add_u32 s4, s34, s4
	s_addc_u32 s5, s35, 0
.LBB113_557:                            ; =>This Inner Loop Header: Depth=1
	s_load_dwordx2 s[8:9], s[4:5], 0x4
	s_load_dword s7, s[4:5], 0xc
	s_load_dwordx2 s[10:11], s[2:3], 0x0
	v_mov_b32_e32 v0, v1
	s_add_u32 s4, s4, 12
	s_waitcnt lgkmcnt(0)
	v_mul_hi_u32 v1, s9, v4
	v_add_u32_e32 v1, v4, v1
	v_lshrrev_b32_e32 v1, s7, v1
	s_addc_u32 s5, s5, 0
	v_mul_lo_u32 v3, v1, s8
	s_add_u32 s2, s2, 8
	v_sub_u32_e32 v3, v4, v3
	s_addc_u32 s3, s3, 0
	s_add_i32 s6, s6, -1
	v_mov_b32_e32 v4, v1
	v_mad_u64_u32 v[0:1], s[8:9], v3, s11, v[0:1]
	s_cmp_lg_u32 s6, 0
	v_mad_u64_u32 v[2:3], s[8:9], v3, s10, v[2:3]
	v_mov_b32_e32 v1, v0
	s_cbranch_scc1 .LBB113_557
.LBB113_558:
	s_mov_b64 s[2:3], 0
.LBB113_559:
	s_andn2_b64 vcc, exec, s[2:3]
	s_cbranch_vccnz .LBB113_562
; %bb.560:
	s_waitcnt lgkmcnt(0)
	v_mul_hi_u32 v0, s29, v10
	v_add_u32_e32 v0, v10, v0
	v_lshrrev_b32_e32 v1, s30, v0
	v_mul_lo_u32 v0, v1, s28
	v_sub_u32_e32 v2, v10, v0
	v_mul_lo_u32 v0, v2, s25
	s_andn2_b64 vcc, exec, s[48:49]
	v_mul_lo_u32 v2, v2, s24
	s_cbranch_vccnz .LBB113_562
; %bb.561:
	v_mul_hi_u32 v3, s46, v1
	v_add_u32_e32 v3, v1, v3
	v_lshrrev_b32_e32 v3, s47, v3
	v_mul_lo_u32 v3, v3, s31
	v_sub_u32_e32 v1, v1, v3
	v_mad_u64_u32 v[2:3], s[2:3], v1, s26, v[2:3]
	v_mad_u64_u32 v[0:1], s[2:3], v1, s27, v[0:1]
.LBB113_562:
	v_mov_b32_e32 v1, 0
	s_and_b32 s10, 0xffff, s74
	s_cmp_lt_i32 s10, 11
	s_waitcnt lgkmcnt(0)
	v_lshl_add_u64 v[0:1], s[22:23], 0, v[0:1]
	s_cbranch_scc1 .LBB113_569
; %bb.563:
	s_cmp_gt_i32 s10, 25
	s_cbranch_scc0 .LBB113_570
; %bb.564:
	s_cmp_gt_i32 s10, 28
	s_cbranch_scc0 .LBB113_571
	;; [unrolled: 3-line block ×4, first 2 shown]
; %bb.567:
	s_cmp_eq_u32 s10, 46
	s_mov_b64 s[6:7], 0
	s_cbranch_scc0 .LBB113_578
; %bb.568:
	global_load_dword v3, v[0:1], off
	s_mov_b64 s[2:3], -1
	s_mov_b64 s[4:5], 0
	s_waitcnt vmcnt(0)
	v_lshlrev_b32_e32 v3, 16, v3
	v_cvt_f64_f32_e32 v[4:5], v3
	s_branch .LBB113_579
.LBB113_569:
	s_mov_b64 s[6:7], -1
	s_mov_b64 s[2:3], 0
                                        ; implicit-def: $vgpr4_vgpr5
	s_mov_b64 s[4:5], s[60:61]
	s_branch .LBB113_644
.LBB113_570:
	s_mov_b64 s[6:7], -1
	s_mov_b64 s[2:3], 0
	s_mov_b64 s[4:5], s[60:61]
                                        ; implicit-def: $vgpr4_vgpr5
	s_branch .LBB113_610
.LBB113_571:
	s_mov_b64 s[6:7], -1
	s_mov_b64 s[2:3], 0
	s_mov_b64 s[4:5], s[60:61]
                                        ; implicit-def: $vgpr4_vgpr5
	s_branch .LBB113_589
.LBB113_572:
	s_mov_b64 s[6:7], -1
	s_mov_b64 s[2:3], 0
	s_mov_b64 s[4:5], s[60:61]
                                        ; implicit-def: $vgpr4_vgpr5
	s_branch .LBB113_584
.LBB113_573:
	s_andn2_saveexec_b64 s[10:11], s[10:11]
	s_cbranch_execz .LBB113_341
.LBB113_574:
	s_mov_b32 s14, 0x46000000
	v_add_f32_e64 v3, |v2|, s14
	v_and_b32_e32 v3, 0xff, v3
	v_cmp_ne_u32_e32 vcc, 0, v3
	s_andn2_b64 s[8:9], s[8:9], exec
	s_and_b64 s[14:15], vcc, exec
	s_or_b64 s[8:9], s[8:9], s[14:15]
	s_or_b64 exec, exec, s[10:11]
	v_mov_b32_e32 v6, 0
	s_and_saveexec_b64 s[10:11], s[8:9]
	s_cbranch_execnz .LBB113_342
	s_branch .LBB113_343
.LBB113_575:
	s_mov_b64 s[6:7], -1
	s_mov_b64 s[2:3], 0
	s_mov_b64 s[4:5], s[60:61]
                                        ; implicit-def: $vgpr4_vgpr5
	s_branch .LBB113_579
.LBB113_576:
	s_andn2_saveexec_b64 s[10:11], s[10:11]
	s_cbranch_execz .LBB113_354
.LBB113_577:
	s_mov_b32 s14, 0x42800000
	v_add_f32_e64 v3, |v2|, s14
	v_and_b32_e32 v3, 0xff, v3
	v_cmp_ne_u32_e32 vcc, 0, v3
	s_andn2_b64 s[8:9], s[8:9], exec
	s_and_b64 s[14:15], vcc, exec
	s_or_b64 s[8:9], s[8:9], s[14:15]
	s_or_b64 exec, exec, s[10:11]
	v_mov_b32_e32 v6, 0
	s_and_saveexec_b64 s[10:11], s[8:9]
	s_cbranch_execnz .LBB113_355
	s_branch .LBB113_356
.LBB113_578:
	s_mov_b64 s[4:5], -1
                                        ; implicit-def: $vgpr4_vgpr5
	s_mov_b64 s[2:3], 0
.LBB113_579:
	s_and_b64 vcc, exec, s[6:7]
	s_cbranch_vccz .LBB113_583
; %bb.580:
	s_cmp_eq_u32 s10, 44
	s_cbranch_scc0 .LBB113_582
; %bb.581:
	global_load_ubyte v3, v[0:1], off
	s_movk_i32 s4, 0xff
	v_bfrev_b32_e32 v6, 4
	v_mov_b32_e32 v7, 0x7ff80000
	v_bfrev_b32_e32 v8, 28
	s_mov_b64 s[2:3], -1
	s_waitcnt vmcnt(0)
	v_lshlrev_b32_e32 v4, 23, v3
	v_cvt_f64_f32_e32 v[4:5], v4
	v_cmp_ne_u32_e32 vcc, s4, v3
	s_mov_b64 s[4:5], 0
	s_nop 0
	v_cndmask_b32_e32 v4, v6, v4, vcc
	v_cndmask_b32_e32 v5, v7, v5, vcc
	v_cmp_ne_u32_e32 vcc, 0, v3
	s_nop 1
	v_cndmask_b32_e32 v5, v8, v5, vcc
	v_cndmask_b32_e32 v4, 0, v4, vcc
	s_branch .LBB113_583
.LBB113_582:
	s_mov_b64 s[4:5], -1
                                        ; implicit-def: $vgpr4_vgpr5
.LBB113_583:
	s_mov_b64 s[6:7], 0
.LBB113_584:
	s_and_b64 vcc, exec, s[6:7]
	s_cbranch_vccz .LBB113_588
; %bb.585:
	s_cmp_eq_u32 s10, 29
	s_cbranch_scc0 .LBB113_587
; %bb.586:
	global_load_dwordx2 v[4:5], v[0:1], off
	s_mov_b64 s[2:3], -1
	s_mov_b64 s[4:5], 0
	s_mov_b64 s[6:7], 0
	s_waitcnt vmcnt(0)
	v_cvt_f64_u32_e32 v[6:7], v5
	v_cvt_f64_u32_e32 v[4:5], v4
	v_ldexp_f64 v[6:7], v[6:7], 32
	v_add_f64 v[4:5], v[6:7], v[4:5]
	s_branch .LBB113_589
.LBB113_587:
	s_mov_b64 s[4:5], -1
                                        ; implicit-def: $vgpr4_vgpr5
.LBB113_588:
	s_mov_b64 s[6:7], 0
.LBB113_589:
	s_and_b64 vcc, exec, s[6:7]
	s_cbranch_vccz .LBB113_609
; %bb.590:
	s_cmp_lt_i32 s10, 27
	s_cbranch_scc1 .LBB113_593
; %bb.591:
	s_cmp_gt_i32 s10, 27
	s_cbranch_scc0 .LBB113_594
; %bb.592:
	global_load_dword v3, v[0:1], off
	s_mov_b64 s[2:3], 0
	s_waitcnt vmcnt(0)
	v_cvt_f64_u32_e32 v[4:5], v3
	s_branch .LBB113_595
.LBB113_593:
	s_mov_b64 s[2:3], -1
                                        ; implicit-def: $vgpr4_vgpr5
	s_branch .LBB113_598
.LBB113_594:
	s_mov_b64 s[2:3], -1
                                        ; implicit-def: $vgpr4_vgpr5
.LBB113_595:
	s_andn2_b64 vcc, exec, s[2:3]
	s_cbranch_vccnz .LBB113_597
; %bb.596:
	global_load_ushort v3, v[0:1], off
	s_waitcnt vmcnt(0)
	v_cvt_f64_u32_e32 v[4:5], v3
.LBB113_597:
	s_mov_b64 s[2:3], 0
.LBB113_598:
	s_andn2_b64 vcc, exec, s[2:3]
	s_cbranch_vccnz .LBB113_608
; %bb.599:
	global_load_ubyte v3, v[0:1], off
	s_movk_i32 s2, 0x7f
	s_waitcnt vmcnt(0)
	v_cmp_lt_i16_e32 vcc, s2, v3
	s_mov_b64 s[2:3], 0
	s_and_saveexec_b64 s[6:7], vcc
	s_xor_b64 s[6:7], exec, s[6:7]
	s_cbranch_execz .LBB113_603
; %bb.600:
	s_movk_i32 s2, 0x80
	v_cmp_eq_u16_e32 vcc, s2, v3
	s_mov_b64 s[2:3], -1
	s_and_saveexec_b64 s[8:9], vcc
; %bb.601:
	s_xor_b64 s[2:3], exec, -1
; %bb.602:
	s_or_b64 exec, exec, s[8:9]
	s_and_b64 s[2:3], s[2:3], exec
.LBB113_603:
	s_or_saveexec_b64 s[6:7], s[6:7]
	v_bfrev_b32_e32 v4, 4
	v_mov_b32_e32 v5, 0x7ff80000
	s_xor_b64 exec, exec, s[6:7]
; %bb.604:
	v_cmp_ne_u16_e32 vcc, 0, v3
	s_andn2_b64 s[2:3], s[2:3], exec
	s_and_b64 s[8:9], vcc, exec
	v_mov_b64_e32 v[4:5], 0
	s_or_b64 s[2:3], s[2:3], s[8:9]
; %bb.605:
	s_or_b64 exec, exec, s[6:7]
	s_and_saveexec_b64 s[6:7], s[2:3]
	s_cbranch_execz .LBB113_607
; %bb.606:
	v_lshlrev_b32_e32 v4, 24, v3
	v_and_b32_e32 v3, 0xffff, v3
	v_and_b32_e32 v5, 7, v3
	v_ffbh_u32_e32 v7, v5
	v_min_u32_e32 v7, 32, v7
	v_subrev_u32_e32 v8, 28, v7
	v_bfe_u32 v6, v3, 3, 4
	v_lshlrev_b32_e32 v3, v8, v3
	v_sub_u32_e32 v7, 29, v7
	v_and_b32_e32 v3, 7, v3
	v_cmp_eq_u32_e32 vcc, 0, v6
	v_and_b32_e32 v4, 0x80000000, v4
	s_nop 0
	v_cndmask_b32_e32 v6, v6, v7, vcc
	v_cndmask_b32_e32 v3, v5, v3, vcc
	v_mov_b32_e32 v5, 0x3b800000
	v_lshlrev_b32_e32 v3, 20, v3
	v_lshl_add_u32 v5, v6, 23, v5
	v_or3_b32 v3, v4, v5, v3
	v_cvt_f64_f32_e32 v[4:5], v3
.LBB113_607:
	s_or_b64 exec, exec, s[6:7]
.LBB113_608:
	s_mov_b64 s[2:3], -1
.LBB113_609:
	s_mov_b64 s[6:7], 0
.LBB113_610:
	s_and_b64 vcc, exec, s[6:7]
	s_cbranch_vccz .LBB113_643
; %bb.611:
	s_cmp_gt_i32 s10, 22
	s_cbranch_scc0 .LBB113_623
; %bb.612:
	s_cmp_lt_i32 s10, 24
	s_cbranch_scc1 .LBB113_624
; %bb.613:
	s_cmp_gt_i32 s10, 24
	s_cbranch_scc0 .LBB113_625
; %bb.614:
	global_load_ubyte v3, v[0:1], off
	s_movk_i32 s2, 0x7f
	s_waitcnt vmcnt(0)
	v_cmp_lt_i16_e32 vcc, s2, v3
	s_mov_b64 s[2:3], 0
	s_and_saveexec_b64 s[6:7], vcc
	s_xor_b64 s[6:7], exec, s[6:7]
	s_cbranch_execz .LBB113_618
; %bb.615:
	s_movk_i32 s2, 0x80
	v_cmp_eq_u16_e32 vcc, s2, v3
	s_mov_b64 s[2:3], -1
	s_and_saveexec_b64 s[8:9], vcc
; %bb.616:
	s_xor_b64 s[2:3], exec, -1
; %bb.617:
	s_or_b64 exec, exec, s[8:9]
	s_and_b64 s[2:3], s[2:3], exec
.LBB113_618:
	s_or_saveexec_b64 s[6:7], s[6:7]
	v_bfrev_b32_e32 v4, 4
	v_mov_b32_e32 v5, 0x7ff80000
	s_xor_b64 exec, exec, s[6:7]
; %bb.619:
	v_cmp_ne_u16_e32 vcc, 0, v3
	s_andn2_b64 s[2:3], s[2:3], exec
	s_and_b64 s[8:9], vcc, exec
	v_mov_b64_e32 v[4:5], 0
	s_or_b64 s[2:3], s[2:3], s[8:9]
; %bb.620:
	s_or_b64 exec, exec, s[6:7]
	s_and_saveexec_b64 s[6:7], s[2:3]
	s_cbranch_execz .LBB113_622
; %bb.621:
	v_lshlrev_b32_e32 v4, 24, v3
	v_and_b32_e32 v3, 0xffff, v3
	v_and_b32_e32 v5, 3, v3
	v_ffbh_u32_e32 v7, v5
	v_min_u32_e32 v7, 32, v7
	v_subrev_u32_e32 v8, 29, v7
	v_bfe_u32 v6, v3, 2, 5
	v_lshlrev_b32_e32 v3, v8, v3
	v_sub_u32_e32 v7, 30, v7
	v_and_b32_e32 v3, 3, v3
	v_cmp_eq_u32_e32 vcc, 0, v6
	v_and_b32_e32 v4, 0x80000000, v4
	s_nop 0
	v_cndmask_b32_e32 v6, v6, v7, vcc
	v_cndmask_b32_e32 v3, v5, v3, vcc
	v_mov_b32_e32 v5, 0x37800000
	v_lshlrev_b32_e32 v3, 21, v3
	v_lshl_add_u32 v5, v6, 23, v5
	v_or3_b32 v3, v4, v5, v3
	v_cvt_f64_f32_e32 v[4:5], v3
.LBB113_622:
	s_or_b64 exec, exec, s[6:7]
	s_mov_b64 s[2:3], 0
	s_branch .LBB113_626
.LBB113_623:
	s_mov_b64 s[6:7], -1
                                        ; implicit-def: $vgpr4_vgpr5
	s_branch .LBB113_632
.LBB113_624:
	s_mov_b64 s[2:3], -1
                                        ; implicit-def: $vgpr4_vgpr5
	s_branch .LBB113_629
.LBB113_625:
	s_mov_b64 s[2:3], -1
                                        ; implicit-def: $vgpr4_vgpr5
.LBB113_626:
	s_and_b64 vcc, exec, s[2:3]
	s_cbranch_vccz .LBB113_628
; %bb.627:
	global_load_ubyte v3, v[0:1], off
	s_mov_b32 s2, 0x7f800000
	s_waitcnt vmcnt(0)
	v_lshlrev_b32_e32 v3, 24, v3
	v_and_b32_e32 v4, 0x7f000000, v3
	v_ffbh_u32_e32 v5, v4
	v_min_u32_e32 v5, 32, v5
	v_sub_u32_e64 v5, v5, 4 clamp
	v_lshlrev_b32_e32 v7, v5, v4
	v_lshlrev_b32_e32 v5, 23, v5
	v_lshrrev_b32_e32 v7, 4, v7
	v_add_u32_e32 v6, 0x1000000, v4
	v_sub_u32_e32 v5, v7, v5
	v_ashrrev_i32_e32 v6, 8, v6
	v_add_u32_e32 v5, 0x3c000000, v5
	v_and_or_b32 v5, v6, s2, v5
	v_cmp_ne_u32_e32 vcc, 0, v4
	s_brev_b32 s2, 1
	s_nop 0
	v_cndmask_b32_e32 v4, 0, v5, vcc
	v_and_or_b32 v3, v3, s2, v4
	v_cvt_f64_f32_e32 v[4:5], v3
.LBB113_628:
	s_mov_b64 s[2:3], 0
.LBB113_629:
	s_andn2_b64 vcc, exec, s[2:3]
	s_cbranch_vccnz .LBB113_631
; %bb.630:
	global_load_ubyte v3, v[0:1], off
	s_movk_i32 s2, 0x7f00
	s_brev_b32 s3, 16
	s_waitcnt vmcnt(0)
	v_lshlrev_b16_e32 v4, 8, v3
	v_lshlrev_b32_e32 v3, 25, v3
	v_lshrrev_b32_e32 v5, 4, v3
	v_and_or_b32 v6, v4, s2, 0.5
	v_or_b32_e32 v5, 0x70000000, v5
	v_add_f32_e32 v6, -0.5, v6
	v_mul_f32_e32 v5, 0x7800000, v5
	v_cmp_gt_u32_e32 vcc, s3, v3
	v_bfe_i32 v4, v4, 0, 16
	s_brev_b32 s2, 1
	v_cndmask_b32_e32 v3, v5, v6, vcc
	v_and_or_b32 v3, v4, s2, v3
	v_cvt_f64_f32_e32 v[4:5], v3
.LBB113_631:
	s_mov_b64 s[6:7], 0
	s_mov_b64 s[2:3], -1
.LBB113_632:
	s_andn2_b64 vcc, exec, s[6:7]
	s_cbranch_vccnz .LBB113_643
; %bb.633:
	s_cmp_gt_i32 s10, 14
	s_cbranch_scc0 .LBB113_636
; %bb.634:
	s_cmp_eq_u32 s10, 15
	s_cbranch_scc0 .LBB113_637
; %bb.635:
	global_load_ushort v3, v[0:1], off
	s_mov_b64 s[2:3], -1
	s_mov_b64 s[4:5], 0
	s_waitcnt vmcnt(0)
	v_lshlrev_b32_e32 v3, 16, v3
	v_cvt_f64_f32_e32 v[4:5], v3
	s_branch .LBB113_638
.LBB113_636:
	s_mov_b64 s[6:7], -1
                                        ; implicit-def: $vgpr4_vgpr5
	s_branch .LBB113_639
.LBB113_637:
	s_mov_b64 s[4:5], -1
                                        ; implicit-def: $vgpr4_vgpr5
.LBB113_638:
	s_mov_b64 s[6:7], 0
.LBB113_639:
	s_and_b64 vcc, exec, s[6:7]
	s_cbranch_vccz .LBB113_643
; %bb.640:
	s_cmp_eq_u32 s10, 11
	s_cbranch_scc0 .LBB113_642
; %bb.641:
	global_load_ubyte v3, v[0:1], off
	s_waitcnt vmcnt(1)
	v_mov_b32_e32 v5, 0x3ff00000
	v_mov_b32_e32 v4, 0
	s_mov_b64 s[2:3], -1
	s_mov_b64 s[4:5], 0
	s_waitcnt vmcnt(0)
	v_cmp_ne_u16_e32 vcc, 0, v3
	s_nop 1
	v_cndmask_b32_e32 v5, 0, v5, vcc
	s_branch .LBB113_643
.LBB113_642:
	s_mov_b64 s[4:5], -1
                                        ; implicit-def: $vgpr4_vgpr5
.LBB113_643:
	s_mov_b64 s[6:7], 0
.LBB113_644:
	s_and_b64 vcc, exec, s[6:7]
	s_cbranch_vccz .LBB113_693
; %bb.645:
	s_cmp_lt_i32 s10, 5
	s_cbranch_scc1 .LBB113_650
; %bb.646:
	s_cmp_lt_i32 s10, 8
	s_cbranch_scc1 .LBB113_651
	;; [unrolled: 3-line block ×3, first 2 shown]
; %bb.648:
	s_cmp_gt_i32 s10, 9
	s_cbranch_scc0 .LBB113_653
; %bb.649:
	global_load_dwordx2 v[4:5], v[0:1], off
	s_mov_b64 s[2:3], 0
	s_branch .LBB113_654
.LBB113_650:
	s_mov_b64 s[2:3], -1
                                        ; implicit-def: $vgpr4_vgpr5
	s_branch .LBB113_672
.LBB113_651:
	s_mov_b64 s[2:3], -1
                                        ; implicit-def: $vgpr4_vgpr5
	s_branch .LBB113_660
.LBB113_652:
	s_mov_b64 s[2:3], -1
                                        ; implicit-def: $vgpr4_vgpr5
	s_branch .LBB113_657
.LBB113_653:
	s_mov_b64 s[2:3], -1
                                        ; implicit-def: $vgpr4_vgpr5
.LBB113_654:
	s_andn2_b64 vcc, exec, s[2:3]
	s_cbranch_vccnz .LBB113_656
; %bb.655:
	global_load_dword v3, v[0:1], off
	s_waitcnt vmcnt(0)
	v_cvt_f64_f32_e32 v[4:5], v3
.LBB113_656:
	s_mov_b64 s[2:3], 0
.LBB113_657:
	s_andn2_b64 vcc, exec, s[2:3]
	s_cbranch_vccnz .LBB113_659
; %bb.658:
	global_load_dword v3, v[0:1], off
	s_waitcnt vmcnt(0)
	v_cvt_f32_f16_e32 v3, v3
	v_cvt_f64_f32_e32 v[4:5], v3
.LBB113_659:
	s_mov_b64 s[2:3], 0
.LBB113_660:
	s_andn2_b64 vcc, exec, s[2:3]
	s_cbranch_vccnz .LBB113_671
; %bb.661:
	s_cmp_lt_i32 s10, 6
	s_cbranch_scc1 .LBB113_664
; %bb.662:
	s_cmp_gt_i32 s10, 6
	s_cbranch_scc0 .LBB113_665
; %bb.663:
	global_load_dwordx2 v[4:5], v[0:1], off
	s_mov_b64 s[2:3], 0
	s_branch .LBB113_666
.LBB113_664:
	s_mov_b64 s[2:3], -1
                                        ; implicit-def: $vgpr4_vgpr5
	s_branch .LBB113_669
.LBB113_665:
	s_mov_b64 s[2:3], -1
                                        ; implicit-def: $vgpr4_vgpr5
.LBB113_666:
	s_andn2_b64 vcc, exec, s[2:3]
	s_cbranch_vccnz .LBB113_668
; %bb.667:
	global_load_dword v3, v[0:1], off
	s_waitcnt vmcnt(0)
	v_cvt_f64_f32_e32 v[4:5], v3
.LBB113_668:
	s_mov_b64 s[2:3], 0
.LBB113_669:
	s_andn2_b64 vcc, exec, s[2:3]
	s_cbranch_vccnz .LBB113_671
; %bb.670:
	global_load_ushort v3, v[0:1], off
	s_waitcnt vmcnt(0)
	v_cvt_f32_f16_e32 v3, v3
	v_cvt_f64_f32_e32 v[4:5], v3
.LBB113_671:
	s_mov_b64 s[2:3], 0
.LBB113_672:
	s_andn2_b64 vcc, exec, s[2:3]
	s_cbranch_vccnz .LBB113_692
; %bb.673:
	s_cmp_lt_i32 s10, 2
	s_cbranch_scc1 .LBB113_677
; %bb.674:
	s_cmp_lt_i32 s10, 3
	s_cbranch_scc1 .LBB113_678
; %bb.675:
	s_cmp_gt_i32 s10, 3
	s_cbranch_scc0 .LBB113_679
; %bb.676:
	global_load_dwordx2 v[4:5], v[0:1], off
	s_mov_b64 s[2:3], 0
	s_waitcnt vmcnt(0)
	v_cvt_f64_i32_e32 v[6:7], v5
	v_cvt_f64_u32_e32 v[4:5], v4
	v_ldexp_f64 v[6:7], v[6:7], 32
	v_add_f64 v[4:5], v[6:7], v[4:5]
	s_branch .LBB113_680
.LBB113_677:
	s_mov_b64 s[2:3], -1
                                        ; implicit-def: $vgpr4_vgpr5
	s_branch .LBB113_686
.LBB113_678:
	s_mov_b64 s[2:3], -1
                                        ; implicit-def: $vgpr4_vgpr5
	s_branch .LBB113_683
.LBB113_679:
	s_mov_b64 s[2:3], -1
                                        ; implicit-def: $vgpr4_vgpr5
.LBB113_680:
	s_andn2_b64 vcc, exec, s[2:3]
	s_cbranch_vccnz .LBB113_682
; %bb.681:
	global_load_dword v3, v[0:1], off
	s_waitcnt vmcnt(0)
	v_cvt_f64_i32_e32 v[4:5], v3
.LBB113_682:
	s_mov_b64 s[2:3], 0
.LBB113_683:
	s_andn2_b64 vcc, exec, s[2:3]
	s_cbranch_vccnz .LBB113_685
; %bb.684:
	global_load_sshort v3, v[0:1], off
	s_waitcnt vmcnt(0)
	v_cvt_f64_i32_e32 v[4:5], v3
.LBB113_685:
	s_mov_b64 s[2:3], 0
.LBB113_686:
	s_andn2_b64 vcc, exec, s[2:3]
	s_cbranch_vccnz .LBB113_692
; %bb.687:
	s_cmp_gt_i32 s10, 0
	s_cbranch_scc0 .LBB113_689
; %bb.688:
	global_load_sbyte v3, v[0:1], off
	s_mov_b64 s[2:3], 0
	s_waitcnt vmcnt(0)
	v_cvt_f64_i32_e32 v[4:5], v3
	s_branch .LBB113_690
.LBB113_689:
	s_mov_b64 s[2:3], -1
                                        ; implicit-def: $vgpr4_vgpr5
.LBB113_690:
	s_andn2_b64 vcc, exec, s[2:3]
	s_cbranch_vccnz .LBB113_692
; %bb.691:
	global_load_ubyte v0, v[0:1], off
	s_waitcnt vmcnt(0)
	v_cvt_f64_u32_e32 v[4:5], v0
.LBB113_692:
	s_mov_b64 s[2:3], -1
.LBB113_693:
	s_andn2_b64 vcc, exec, s[2:3]
	s_cbranch_vccnz .LBB113_701
; %bb.694:
	s_mov_b32 s2, 0x652b82fe
	s_mov_b32 s3, 0x3ff71547
	s_waitcnt vmcnt(0)
	v_mul_f64 v[0:1], v[4:5], s[2:3]
	v_rndne_f64_e32 v[0:1], v[0:1]
	s_mov_b32 s3, 0xbfe62e42
	s_mov_b32 s2, 0xfefa39ef
	;; [unrolled: 1-line block ×3, first 2 shown]
	v_fma_f64 v[6:7], s[2:3], v[0:1], v[4:5]
	s_mov_b32 s7, 0xbc7abc9e
	v_fmac_f64_e32 v[6:7], s[6:7], v[0:1]
	s_mov_b32 s6, 0xa9d67f34
	v_mov_b32_e32 v8, 0x2a1b768b
	v_mov_b32_e32 v9, 0x3e5af4eb
	s_mov_b32 s7, 0x3e21f32e
	v_fmac_f64_e32 v[8:9], s[6:7], v[6:7]
	v_mov_b32_e32 v12, 0xe0ac05b
	v_mov_b32_e32 v13, 0x3e927e50
	v_fmac_f64_e32 v[12:13], v[6:7], v[8:9]
	v_mov_b32_e32 v8, 0x1b889c29
	v_mov_b32_e32 v9, 0x3ec71de0
	;; [unrolled: 3-line block ×8, first 2 shown]
	v_fmac_f64_e32 v[8:9], v[6:7], v[12:13]
	v_fma_f64 v[8:9], v[6:7], v[8:9], 0.5
	s_mov_b32 s6, 0
	v_mul_f64 v[8:9], v[6:7], v[8:9]
	s_mov_b32 s7, 0x40900000
	v_cvt_i32_f64_e32 v3, v[0:1]
	v_fmac_f64_e32 v[6:7], v[6:7], v[8:9]
	v_ldexp_f64 v[8:9], 1.0, v3
	v_mov_b32_e32 v3, 0x7fe00000
	v_cmp_eq_f64_e32 vcc, s[6:7], v[0:1]
	s_mov_b32 s3, 0x40862e42
	s_and_b32 s12, s73, 0xff
	v_cndmask_b32_e32 v1, v9, v3, vcc
	v_cndmask_b32_e64 v0, v8, 0, vcc
	v_add_f64 v[8:9], v[0:1], -1.0
	v_fmac_f64_e32 v[8:9], v[0:1], v[6:7]
	v_add_f64 v[0:1], v[8:9], v[8:9]
	v_cndmask_b32_e32 v0, v8, v0, vcc
	v_cndmask_b32_e32 v1, v9, v1, vcc
	v_cmp_nlt_f64_e32 vcc, s[2:3], v[4:5]
	s_mov_b32 s2, 0
	v_mov_b32_e32 v3, 0x7ff00000
	s_mov_b32 s3, 0xc0428000
	v_cndmask_b32_e32 v1, v3, v1, vcc
	v_mov_b32_e32 v3, 0xbff00000
	v_cmp_ngt_f64_e64 s[2:3], s[2:3], v[4:5]
	s_and_b64 vcc, s[2:3], vcc
	v_cndmask_b32_e32 v0, 0, v0, vcc
	v_cndmask_b32_e64 v1, v3, v1, s[2:3]
	v_mov_b32_e32 v3, 0
	s_cmp_lt_i32 s12, 11
	v_lshl_add_u64 v[4:5], s[20:21], 0, v[2:3]
	s_cbranch_scc1 .LBB113_702
; %bb.695:
	s_and_b32 s13, 0xffff, s12
	s_cmp_gt_i32 s13, 25
	s_cbranch_scc0 .LBB113_703
; %bb.696:
	s_cmp_gt_i32 s13, 28
	s_cbranch_scc0 .LBB113_704
; %bb.697:
	;; [unrolled: 3-line block ×4, first 2 shown]
	s_mov_b64 s[8:9], 0
	s_mov_b64 s[2:3], -1
	s_cmp_eq_u32 s13, 46
	s_mov_b64 s[6:7], 0
	s_cbranch_scc0 .LBB113_707
; %bb.700:
	v_cvt_f32_f64_e32 v2, v[0:1]
	v_bfe_u32 v3, v2, 16, 1
	s_movk_i32 s2, 0x7fff
	v_add3_u32 v3, v2, v3, s2
	v_cmp_o_f32_e32 vcc, v2, v2
	v_mov_b32_e32 v2, 0x7fc0
	s_mov_b64 s[6:7], -1
	v_cndmask_b32_sdwa v2, v2, v3, vcc dst_sel:DWORD dst_unused:UNUSED_PAD src0_sel:DWORD src1_sel:WORD_1
	global_store_dword v[4:5], v2, off
	s_mov_b64 s[2:3], 0
	s_branch .LBB113_707
.LBB113_701:
	s_mov_b64 s[6:7], 0
	s_mov_b64 s[2:3], s[62:63]
	s_branch .LBB113_818
.LBB113_702:
	s_mov_b64 s[8:9], -1
	s_mov_b64 s[6:7], 0
	s_mov_b64 s[2:3], s[62:63]
	s_branch .LBB113_776
.LBB113_703:
	s_mov_b64 s[8:9], -1
	s_mov_b64 s[6:7], 0
	s_mov_b64 s[2:3], s[62:63]
	s_branch .LBB113_734
.LBB113_704:
	s_mov_b64 s[8:9], -1
	s_mov_b64 s[6:7], 0
	s_mov_b64 s[2:3], s[62:63]
	s_branch .LBB113_717
.LBB113_705:
	s_mov_b64 s[8:9], -1
	s_mov_b64 s[6:7], 0
	s_mov_b64 s[2:3], s[62:63]
	s_branch .LBB113_713
.LBB113_706:
	s_mov_b64 s[8:9], -1
	s_mov_b64 s[6:7], 0
	s_mov_b64 s[2:3], s[62:63]
.LBB113_707:
	s_and_b64 vcc, exec, s[8:9]
	s_cbranch_vccz .LBB113_712
; %bb.708:
	s_cmp_eq_u32 s13, 44
	s_mov_b64 s[2:3], -1
	s_cbranch_scc0 .LBB113_712
; %bb.709:
	v_cvt_f32_f64_e32 v2, v[0:1]
	v_bfe_u32 v3, v2, 23, 8
	s_movk_i32 s2, 0xff
	v_cmp_ne_u32_e32 vcc, s2, v3
	v_mov_b32_e32 v6, 0xff
	s_and_saveexec_b64 s[6:7], vcc
; %bb.710:
	s_mov_b32 s2, 0x3fffff
	v_lshrrev_b32_e32 v6, 23, v2
	v_and_b32_e32 v7, 0x400000, v2
	v_and_or_b32 v2, v2, s2, v3
	v_cmp_ne_u32_e32 vcc, 0, v7
	v_cmp_ne_u32_e64 s[2:3], 0, v2
	s_and_b64 s[2:3], vcc, s[2:3]
	s_nop 0
	v_cndmask_b32_e64 v2, 0, 1, s[2:3]
	v_add_u32_e32 v6, v6, v2
; %bb.711:
	s_or_b64 exec, exec, s[6:7]
	s_mov_b64 s[6:7], -1
	s_mov_b64 s[2:3], 0
	global_store_byte v[4:5], v6, off
.LBB113_712:
	s_mov_b64 s[8:9], 0
.LBB113_713:
	s_and_b64 vcc, exec, s[8:9]
	s_cbranch_vccz .LBB113_716
; %bb.714:
	s_cmp_eq_u32 s13, 29
	s_mov_b64 s[2:3], -1
	s_cbranch_scc0 .LBB113_716
; %bb.715:
	v_trunc_f64_e32 v[2:3], v[0:1]
	s_movk_i32 s2, 0xffe0
	v_ldexp_f64 v[6:7], v[2:3], s2
	v_floor_f64_e32 v[6:7], v[6:7]
	v_fmac_f64_e32 v[2:3], 0xc1f00000, v[6:7]
	v_cvt_u32_f64_e32 v9, v[6:7]
	v_cvt_u32_f64_e32 v8, v[2:3]
	global_store_dwordx2 v[4:5], v[8:9], off
	s_mov_b64 s[6:7], -1
	s_mov_b64 s[2:3], 0
.LBB113_716:
	s_mov_b64 s[8:9], 0
.LBB113_717:
	s_and_b64 vcc, exec, s[8:9]
	s_cbranch_vccz .LBB113_733
; %bb.718:
	s_cmp_lt_i32 s13, 27
	s_mov_b64 s[6:7], -1
	s_cbranch_scc1 .LBB113_724
; %bb.719:
	s_cmp_gt_i32 s13, 27
	v_cvt_u32_f64_e32 v2, v[0:1]
	s_cbranch_scc0 .LBB113_721
; %bb.720:
	s_mov_b64 s[6:7], 0
	global_store_dword v[4:5], v2, off
.LBB113_721:
	s_andn2_b64 vcc, exec, s[6:7]
	s_cbranch_vccnz .LBB113_723
; %bb.722:
	global_store_short v[4:5], v2, off
.LBB113_723:
	s_mov_b64 s[6:7], 0
.LBB113_724:
	s_andn2_b64 vcc, exec, s[6:7]
	s_cbranch_vccnz .LBB113_732
; %bb.725:
	v_cvt_f32_f64_e32 v2, v[0:1]
	v_and_b32_e32 v3, 0x7fffffff, v2
	s_mov_b32 s6, 0x43800000
	v_cmp_gt_u32_e32 vcc, s6, v3
	v_mov_b32_e32 v6, 0x80
	s_and_saveexec_b64 s[6:7], vcc
	s_cbranch_execz .LBB113_731
; %bb.726:
	s_mov_b32 s8, 0x3bffffff
	v_cmp_lt_u32_e32 vcc, s8, v3
	s_mov_b64 s[8:9], 0
                                        ; implicit-def: $vgpr3
	s_and_saveexec_b64 s[10:11], vcc
	s_xor_b64 s[10:11], exec, s[10:11]
	s_cbranch_execz .LBB113_849
; %bb.727:
	v_bfe_u32 v3, v2, 20, 1
	s_mov_b32 s14, 0x487ffff
	v_add3_u32 v3, v2, v3, s14
	s_mov_b64 s[8:9], exec
	v_lshrrev_b32_e32 v3, 20, v3
	s_andn2_saveexec_b64 s[10:11], s[10:11]
	s_cbranch_execnz .LBB113_850
.LBB113_728:
	s_or_b64 exec, exec, s[10:11]
	v_mov_b32_e32 v6, 0
	s_and_saveexec_b64 s[10:11], s[8:9]
.LBB113_729:
	v_lshrrev_b32_e32 v2, 24, v2
	s_movk_i32 s8, 0x80
	v_and_or_b32 v6, v2, s8, v3
.LBB113_730:
	s_or_b64 exec, exec, s[10:11]
.LBB113_731:
	s_or_b64 exec, exec, s[6:7]
	global_store_byte v[4:5], v6, off
.LBB113_732:
	s_mov_b64 s[6:7], -1
.LBB113_733:
	s_mov_b64 s[8:9], 0
.LBB113_734:
	s_and_b64 vcc, exec, s[8:9]
	s_cbranch_vccz .LBB113_775
; %bb.735:
	s_cmp_gt_i32 s13, 22
	s_mov_b64 s[8:9], -1
	s_cbranch_scc0 .LBB113_767
; %bb.736:
	s_cmp_lt_i32 s13, 24
	s_mov_b64 s[6:7], -1
	s_cbranch_scc1 .LBB113_756
; %bb.737:
	s_cmp_gt_i32 s13, 24
	s_cbranch_scc0 .LBB113_745
; %bb.738:
	v_cvt_f32_f64_e32 v2, v[0:1]
	v_and_b32_e32 v3, 0x7fffffff, v2
	s_mov_b32 s6, 0x47800000
	v_cmp_gt_u32_e32 vcc, s6, v3
	v_mov_b32_e32 v6, 0x80
	s_and_saveexec_b64 s[6:7], vcc
	s_cbranch_execz .LBB113_744
; %bb.739:
	s_mov_b32 s8, 0x37ffffff
	v_cmp_lt_u32_e32 vcc, s8, v3
	s_mov_b64 s[8:9], 0
                                        ; implicit-def: $vgpr3
	s_and_saveexec_b64 s[10:11], vcc
	s_xor_b64 s[10:11], exec, s[10:11]
	s_cbranch_execz .LBB113_852
; %bb.740:
	v_bfe_u32 v3, v2, 21, 1
	s_mov_b32 s14, 0x88fffff
	v_add3_u32 v3, v2, v3, s14
	s_mov_b64 s[8:9], exec
	v_lshrrev_b32_e32 v3, 21, v3
	s_andn2_saveexec_b64 s[10:11], s[10:11]
	s_cbranch_execnz .LBB113_853
.LBB113_741:
	s_or_b64 exec, exec, s[10:11]
	v_mov_b32_e32 v6, 0
	s_and_saveexec_b64 s[10:11], s[8:9]
.LBB113_742:
	v_lshrrev_b32_e32 v2, 24, v2
	s_movk_i32 s8, 0x80
	v_and_or_b32 v6, v2, s8, v3
.LBB113_743:
	s_or_b64 exec, exec, s[10:11]
.LBB113_744:
	s_or_b64 exec, exec, s[6:7]
	s_mov_b64 s[6:7], 0
	global_store_byte v[4:5], v6, off
.LBB113_745:
	s_and_b64 vcc, exec, s[6:7]
	s_cbranch_vccz .LBB113_755
; %bb.746:
	v_cvt_f32_f64_e32 v2, v[0:1]
	v_and_b32_e32 v6, 0x7fffffff, v2
	s_mov_b32 s6, 0x43f00000
	v_cmp_gt_u32_e32 vcc, s6, v6
                                        ; implicit-def: $vgpr3
	s_and_saveexec_b64 s[6:7], vcc
	s_xor_b64 s[6:7], exec, s[6:7]
	s_cbranch_execz .LBB113_752
; %bb.747:
	s_mov_b32 s8, 0x3c7fffff
	v_cmp_lt_u32_e32 vcc, s8, v6
                                        ; implicit-def: $vgpr3
	s_and_saveexec_b64 s[8:9], vcc
	s_xor_b64 s[8:9], exec, s[8:9]
; %bb.748:
	v_bfe_u32 v3, v2, 20, 1
	s_mov_b32 s10, 0x407ffff
	v_add3_u32 v3, v2, v3, s10
	v_lshrrev_b32_e32 v6, 20, v3
	v_and_b32_e32 v3, 0xff00000, v3
	s_mov_b32 s10, 0x7f00000
	v_mov_b32_e32 v7, 0x7e
	v_cmp_ne_u32_e32 vcc, s10, v3
	s_nop 1
	v_cndmask_b32_e32 v3, v7, v6, vcc
; %bb.749:
	s_andn2_saveexec_b64 s[8:9], s[8:9]
; %bb.750:
	s_mov_b32 s10, 0x46800000
	v_add_f32_e64 v3, |v2|, s10
; %bb.751:
	s_or_b64 exec, exec, s[8:9]
                                        ; implicit-def: $vgpr6
.LBB113_752:
	s_andn2_saveexec_b64 s[6:7], s[6:7]
; %bb.753:
	s_mov_b32 s8, 0x7f800000
	v_mov_b32_e32 v3, 0x7e
	v_mov_b32_e32 v7, 0x7f
	v_cmp_lt_u32_e32 vcc, s8, v6
	s_nop 1
	v_cndmask_b32_e32 v3, v3, v7, vcc
; %bb.754:
	s_or_b64 exec, exec, s[6:7]
	v_lshrrev_b32_e32 v2, 24, v2
	s_movk_i32 s6, 0x80
	v_and_or_b32 v2, v2, s6, v3
	global_store_byte v[4:5], v2, off
.LBB113_755:
	s_mov_b64 s[6:7], 0
.LBB113_756:
	s_andn2_b64 vcc, exec, s[6:7]
	s_cbranch_vccnz .LBB113_766
; %bb.757:
	v_cvt_f32_f64_e32 v2, v[0:1]
	v_and_b32_e32 v6, 0x7fffffff, v2
	s_mov_b32 s6, 0x47800000
	v_cmp_gt_u32_e32 vcc, s6, v6
                                        ; implicit-def: $vgpr3
	s_and_saveexec_b64 s[6:7], vcc
	s_xor_b64 s[6:7], exec, s[6:7]
	s_cbranch_execz .LBB113_763
; %bb.758:
	s_mov_b32 s8, 0x387fffff
	v_cmp_lt_u32_e32 vcc, s8, v6
                                        ; implicit-def: $vgpr3
	s_and_saveexec_b64 s[8:9], vcc
	s_xor_b64 s[8:9], exec, s[8:9]
; %bb.759:
	v_bfe_u32 v3, v2, 21, 1
	s_mov_b32 s10, 0x80fffff
	v_add3_u32 v3, v2, v3, s10
	v_lshrrev_b32_e32 v3, 21, v3
; %bb.760:
	s_andn2_saveexec_b64 s[8:9], s[8:9]
; %bb.761:
	s_mov_b32 s10, 0x43000000
	v_add_f32_e64 v3, |v2|, s10
; %bb.762:
	s_or_b64 exec, exec, s[8:9]
                                        ; implicit-def: $vgpr6
.LBB113_763:
	s_andn2_saveexec_b64 s[6:7], s[6:7]
; %bb.764:
	s_mov_b32 s8, 0x7f800000
	v_mov_b32_e32 v3, 0x7c
	v_mov_b32_e32 v7, 0x7f
	v_cmp_lt_u32_e32 vcc, s8, v6
	s_nop 1
	v_cndmask_b32_e32 v3, v3, v7, vcc
; %bb.765:
	s_or_b64 exec, exec, s[6:7]
	v_lshrrev_b32_e32 v2, 24, v2
	s_movk_i32 s6, 0x80
	v_and_or_b32 v2, v2, s6, v3
	global_store_byte v[4:5], v2, off
.LBB113_766:
	s_mov_b64 s[8:9], 0
	s_mov_b64 s[6:7], -1
.LBB113_767:
	s_andn2_b64 vcc, exec, s[8:9]
	s_cbranch_vccnz .LBB113_775
; %bb.768:
	s_cmp_gt_i32 s13, 14
	s_mov_b64 s[8:9], -1
	s_cbranch_scc0 .LBB113_772
; %bb.769:
	s_cmp_eq_u32 s13, 15
	s_mov_b64 s[2:3], -1
	s_cbranch_scc0 .LBB113_771
; %bb.770:
	v_cvt_f32_f64_e32 v2, v[0:1]
	v_bfe_u32 v3, v2, 16, 1
	s_movk_i32 s2, 0x7fff
	v_add3_u32 v3, v2, v3, s2
	v_cmp_o_f32_e32 vcc, v2, v2
	v_mov_b32_e32 v2, 0x7fc0
	s_mov_b64 s[6:7], -1
	v_cndmask_b32_sdwa v2, v2, v3, vcc dst_sel:DWORD dst_unused:UNUSED_PAD src0_sel:DWORD src1_sel:WORD_1
	global_store_short v[4:5], v2, off
	s_mov_b64 s[2:3], 0
.LBB113_771:
	s_mov_b64 s[8:9], 0
.LBB113_772:
	s_and_b64 vcc, exec, s[8:9]
	s_cbranch_vccz .LBB113_775
; %bb.773:
	s_cmp_eq_u32 s13, 11
	s_mov_b64 s[2:3], -1
	s_cbranch_scc0 .LBB113_775
; %bb.774:
	v_cmp_neq_f64_e32 vcc, 0, v[0:1]
	s_mov_b64 s[2:3], 0
	s_mov_b64 s[6:7], -1
	v_cndmask_b32_e64 v2, 0, 1, vcc
	global_store_byte v[4:5], v2, off
.LBB113_775:
	s_mov_b64 s[8:9], 0
.LBB113_776:
	s_and_b64 vcc, exec, s[8:9]
	s_cbranch_vccz .LBB113_815
; %bb.777:
	s_and_b32 s8, 0xffff, s12
	s_cmp_lt_i32 s8, 5
	s_mov_b64 s[6:7], -1
	s_cbranch_scc1 .LBB113_798
; %bb.778:
	s_cmp_lt_i32 s8, 8
	s_cbranch_scc1 .LBB113_788
; %bb.779:
	s_cmp_lt_i32 s8, 9
	s_cbranch_scc1 .LBB113_785
; %bb.780:
	s_cmp_gt_i32 s8, 9
	s_cbranch_scc0 .LBB113_782
; %bb.781:
	v_mov_b32_e32 v2, 0
	v_mov_b32_e32 v3, v2
	s_mov_b64 s[6:7], 0
	global_store_dwordx4 v[4:5], v[0:3], off
.LBB113_782:
	s_andn2_b64 vcc, exec, s[6:7]
	s_cbranch_vccnz .LBB113_784
; %bb.783:
	v_cvt_f32_f64_e32 v2, v[0:1]
	v_mov_b32_e32 v3, 0
	global_store_dwordx2 v[4:5], v[2:3], off
.LBB113_784:
	s_mov_b64 s[6:7], 0
.LBB113_785:
	s_andn2_b64 vcc, exec, s[6:7]
	s_cbranch_vccnz .LBB113_787
; %bb.786:
	s_movk_i32 s6, 0x1ff
	v_and_or_b32 v2, v1, s6, v0
	v_cmp_ne_u32_e32 vcc, 0, v2
	v_lshrrev_b32_e32 v3, 8, v1
	s_movk_i32 s6, 0xffe
	v_cndmask_b32_e64 v2, 0, 1, vcc
	v_bfe_u32 v6, v1, 20, 11
	v_and_or_b32 v2, v3, s6, v2
	v_sub_u32_e32 v7, 0x3f1, v6
	v_or_b32_e32 v3, 0x1000, v2
	v_med3_i32 v7, v7, 0, 13
	v_lshrrev_b32_e32 v8, v7, v3
	v_lshlrev_b32_e32 v7, v7, v8
	v_cmp_ne_u32_e32 vcc, v7, v3
	v_add_u32_e32 v6, 0xfffffc10, v6
	v_lshl_or_b32 v7, v6, 12, v2
	v_cndmask_b32_e64 v3, 0, 1, vcc
	v_or_b32_e32 v3, v8, v3
	v_cmp_gt_i32_e32 vcc, 1, v6
	s_movk_i32 s6, 0x40f
	s_nop 0
	v_cndmask_b32_e32 v3, v7, v3, vcc
	v_and_b32_e32 v7, 7, v3
	v_cmp_lt_i32_e32 vcc, 5, v7
	v_lshrrev_b32_e32 v3, 2, v3
	s_nop 0
	v_cndmask_b32_e64 v8, 0, 1, vcc
	v_cmp_eq_u32_e32 vcc, 3, v7
	s_nop 1
	v_cndmask_b32_e64 v7, 0, 1, vcc
	v_or_b32_e32 v7, v7, v8
	v_add_u32_e32 v3, v3, v7
	v_mov_b32_e32 v7, 0x7c00
	v_cmp_gt_i32_e32 vcc, 31, v6
	v_mov_b32_e32 v8, 0x7e00
	s_nop 0
	v_cndmask_b32_e32 v3, v7, v3, vcc
	v_cmp_ne_u32_e32 vcc, 0, v2
	s_nop 1
	v_cndmask_b32_e32 v2, v7, v8, vcc
	v_cmp_eq_u32_e32 vcc, s6, v6
	s_mov_b32 s6, 0x8000
	s_nop 0
	v_cndmask_b32_e32 v2, v3, v2, vcc
	v_and_b32_sdwa v3, v1, s6 dst_sel:DWORD dst_unused:UNUSED_PAD src0_sel:WORD_1 src1_sel:DWORD
	s_mov_b32 s6, 0xffff
	v_bitop3_b32 v2, v3, s6, v2 bitop3:0xc8
	global_store_dword v[4:5], v2, off
.LBB113_787:
	s_mov_b64 s[6:7], 0
.LBB113_788:
	s_andn2_b64 vcc, exec, s[6:7]
	s_cbranch_vccnz .LBB113_797
; %bb.789:
	s_cmp_lt_i32 s8, 6
	s_mov_b64 s[6:7], -1
	s_cbranch_scc1 .LBB113_795
; %bb.790:
	s_cmp_gt_i32 s8, 6
	s_cbranch_scc0 .LBB113_792
; %bb.791:
	s_mov_b64 s[6:7], 0
	global_store_dwordx2 v[4:5], v[0:1], off
.LBB113_792:
	s_andn2_b64 vcc, exec, s[6:7]
	s_cbranch_vccnz .LBB113_794
; %bb.793:
	v_cvt_f32_f64_e32 v2, v[0:1]
	global_store_dword v[4:5], v2, off
.LBB113_794:
	s_mov_b64 s[6:7], 0
.LBB113_795:
	s_andn2_b64 vcc, exec, s[6:7]
	s_cbranch_vccnz .LBB113_797
; %bb.796:
	s_movk_i32 s6, 0x1ff
	v_and_or_b32 v2, v1, s6, v0
	v_cmp_ne_u32_e32 vcc, 0, v2
	v_lshrrev_b32_e32 v3, 8, v1
	s_movk_i32 s6, 0xffe
	v_cndmask_b32_e64 v2, 0, 1, vcc
	v_bfe_u32 v6, v1, 20, 11
	v_and_or_b32 v2, v3, s6, v2
	v_sub_u32_e32 v7, 0x3f1, v6
	v_or_b32_e32 v3, 0x1000, v2
	v_med3_i32 v7, v7, 0, 13
	v_lshrrev_b32_e32 v8, v7, v3
	v_lshlrev_b32_e32 v7, v7, v8
	v_cmp_ne_u32_e32 vcc, v7, v3
	v_add_u32_e32 v6, 0xfffffc10, v6
	v_lshl_or_b32 v7, v6, 12, v2
	v_cndmask_b32_e64 v3, 0, 1, vcc
	v_or_b32_e32 v3, v8, v3
	v_cmp_gt_i32_e32 vcc, 1, v6
	s_movk_i32 s6, 0x40f
	s_nop 0
	v_cndmask_b32_e32 v3, v7, v3, vcc
	v_and_b32_e32 v7, 7, v3
	v_cmp_lt_i32_e32 vcc, 5, v7
	v_lshrrev_b32_e32 v3, 2, v3
	s_nop 0
	v_cndmask_b32_e64 v8, 0, 1, vcc
	v_cmp_eq_u32_e32 vcc, 3, v7
	s_nop 1
	v_cndmask_b32_e64 v7, 0, 1, vcc
	v_or_b32_e32 v7, v7, v8
	v_add_u32_e32 v3, v3, v7
	v_mov_b32_e32 v7, 0x7c00
	v_cmp_gt_i32_e32 vcc, 31, v6
	v_mov_b32_e32 v8, 0x7e00
	s_nop 0
	v_cndmask_b32_e32 v3, v7, v3, vcc
	v_cmp_ne_u32_e32 vcc, 0, v2
	s_nop 1
	v_cndmask_b32_e32 v2, v7, v8, vcc
	v_cmp_eq_u32_e32 vcc, s6, v6
	s_mov_b32 s6, 0x8000
	s_nop 0
	v_cndmask_b32_e32 v2, v3, v2, vcc
	v_lshrrev_b32_e32 v3, 16, v1
	v_and_or_b32 v2, v3, s6, v2
	global_store_short v[4:5], v2, off
.LBB113_797:
	s_mov_b64 s[6:7], 0
.LBB113_798:
	s_andn2_b64 vcc, exec, s[6:7]
	s_cbranch_vccnz .LBB113_814
; %bb.799:
	s_cmp_lt_i32 s8, 2
	s_mov_b64 s[6:7], -1
	s_cbranch_scc1 .LBB113_809
; %bb.800:
	s_cmp_lt_i32 s8, 3
	s_cbranch_scc1 .LBB113_806
; %bb.801:
	s_cmp_gt_i32 s8, 3
	s_cbranch_scc0 .LBB113_803
; %bb.802:
	v_trunc_f64_e32 v[2:3], v[0:1]
	s_movk_i32 s6, 0xffe0
	v_ldexp_f64 v[6:7], v[2:3], s6
	v_floor_f64_e32 v[6:7], v[6:7]
	v_fmac_f64_e32 v[2:3], 0xc1f00000, v[6:7]
	v_cvt_i32_f64_e32 v9, v[6:7]
	v_cvt_u32_f64_e32 v8, v[2:3]
	s_mov_b64 s[6:7], 0
	global_store_dwordx2 v[4:5], v[8:9], off
.LBB113_803:
	s_andn2_b64 vcc, exec, s[6:7]
	s_cbranch_vccnz .LBB113_805
; %bb.804:
	v_cvt_i32_f64_e32 v2, v[0:1]
	global_store_dword v[4:5], v2, off
.LBB113_805:
	s_mov_b64 s[6:7], 0
.LBB113_806:
	s_andn2_b64 vcc, exec, s[6:7]
	s_cbranch_vccnz .LBB113_808
; %bb.807:
	v_cvt_i32_f64_e32 v2, v[0:1]
	global_store_short v[4:5], v2, off
.LBB113_808:
	s_mov_b64 s[6:7], 0
.LBB113_809:
	s_andn2_b64 vcc, exec, s[6:7]
	s_cbranch_vccnz .LBB113_814
; %bb.810:
	s_cmp_gt_i32 s8, 0
	s_mov_b64 s[6:7], -1
	s_cbranch_scc0 .LBB113_812
; %bb.811:
	v_cvt_i32_f64_e32 v2, v[0:1]
	s_mov_b64 s[6:7], 0
	global_store_byte v[4:5], v2, off
.LBB113_812:
	s_andn2_b64 vcc, exec, s[6:7]
	s_cbranch_vccnz .LBB113_814
; %bb.813:
	v_trunc_f64_e32 v[0:1], v[0:1]
	s_movk_i32 s6, 0xffe0
	v_ldexp_f64 v[2:3], v[0:1], s6
	v_floor_f64_e32 v[2:3], v[2:3]
	v_fmac_f64_e32 v[0:1], 0xc1f00000, v[2:3]
	v_cvt_u32_f64_e32 v0, v[0:1]
	global_store_byte v[4:5], v0, off
.LBB113_814:
	s_mov_b64 s[6:7], -1
.LBB113_815:
	s_andn2_b64 vcc, exec, s[6:7]
	s_cbranch_vccnz .LBB113_817
; %bb.816:
	v_add_u32_e32 v10, 0x80, v10
	s_mov_b64 s[6:7], -1
	s_branch .LBB113_819
.LBB113_817:
	s_mov_b64 s[6:7], 0
.LBB113_818:
                                        ; implicit-def: $vgpr10
.LBB113_819:
	s_andn2_b64 s[8:9], s[62:63], exec
	s_and_b64 s[2:3], s[2:3], exec
	s_or_b64 s[68:69], s[8:9], s[2:3]
	s_andn2_b64 s[2:3], s[60:61], exec
	s_and_b64 s[4:5], s[4:5], exec
	s_or_b64 s[2:3], s[2:3], s[4:5]
	s_orn2_b64 s[6:7], s[6:7], exec
.LBB113_820:
	s_or_b64 exec, exec, s[66:67]
	s_mov_b64 s[4:5], 0
	s_mov_b64 s[10:11], 0
	;; [unrolled: 1-line block ×3, first 2 shown]
                                        ; implicit-def: $vgpr0_vgpr1
                                        ; implicit-def: $vgpr2
                                        ; implicit-def: $vgpr6_vgpr7
	s_and_saveexec_b64 s[66:67], s[6:7]
	s_cbranch_execz .LBB113_920
; %bb.821:
	v_cmp_gt_i32_e32 vcc, s70, v10
	s_mov_b64 s[6:7], 0
	s_mov_b64 s[12:13], s[2:3]
                                        ; implicit-def: $vgpr0_vgpr1
                                        ; implicit-def: $vgpr2
                                        ; implicit-def: $vgpr6_vgpr7
	s_and_saveexec_b64 s[70:71], vcc
	s_cbranch_execz .LBB113_919
; %bb.822:
	s_andn2_b64 vcc, exec, s[42:43]
	s_cbranch_vccnz .LBB113_828
; %bb.823:
	s_andn2_b64 vcc, exec, s[52:53]
	s_cbranch_vccnz .LBB113_829
; %bb.824:
	s_add_i32 s76, s75, 1
	s_cmp_eq_u32 s72, 2
	s_cbranch_scc1 .LBB113_830
; %bb.825:
	s_and_b32 s75, s76, 28
	s_mov_b32 s77, 0
	v_mov_b32_e32 v2, 0
	v_mov_b32_e32 v0, 0
	s_mov_b64 s[52:53], s[34:35]
	s_waitcnt vmcnt(0)
	v_mov_b32_e32 v4, v10
.LBB113_826:                            ; =>This Inner Loop Header: Depth=1
	s_load_dwordx8 s[12:19], s[52:53], 0x4
	s_load_dwordx4 s[36:39], s[52:53], 0x24
	s_load_dwordx8 s[4:11], s[50:51], 0x0
	s_add_u32 s52, s52, 48
	s_addc_u32 s53, s53, 0
	s_waitcnt lgkmcnt(0)
	v_mul_hi_u32 v1, s13, v4
	v_add_u32_e32 v1, v4, v1
	v_lshrrev_b32_e32 v1, s14, v1
	v_mul_lo_u32 v3, v1, s12
	v_mul_hi_u32 v5, s16, v1
	v_sub_u32_e32 v3, v4, v3
	v_add_u32_e32 v4, v1, v5
	v_lshrrev_b32_e32 v4, s17, v4
	v_mul_lo_u32 v6, v4, s15
	v_mul_hi_u32 v7, s19, v4
	v_sub_u32_e32 v1, v1, v6
	v_add_u32_e32 v6, v4, v7
	v_mul_lo_u32 v5, v3, s5
	v_mul_lo_u32 v3, v3, s4
	;; [unrolled: 1-line block ×4, first 2 shown]
	v_lshrrev_b32_e32 v6, s36, v6
	v_add3_u32 v1, v3, v2, v1
	v_mul_hi_u32 v3, s38, v6
	v_mul_lo_u32 v2, v6, s18
	v_add_u32_e32 v3, v6, v3
	v_sub_u32_e32 v2, v4, v2
	v_lshrrev_b32_e32 v4, s39, v3
	s_add_i32 s77, s77, 4
	v_mul_lo_u32 v3, v4, s37
	s_add_u32 s50, s50, 32
	v_sub_u32_e32 v3, v6, v3
	s_addc_u32 s51, s51, 0
	v_add3_u32 v0, v5, v0, v7
	v_mul_lo_u32 v5, v2, s8
	v_mul_lo_u32 v2, v2, s9
	;; [unrolled: 1-line block ×4, first 2 shown]
	s_cmp_eq_u32 s75, s77
	v_add3_u32 v0, v2, v0, v3
	v_add3_u32 v2, v5, v1, v6
	s_cbranch_scc0 .LBB113_826
; %bb.827:
	v_mov_b32_e32 v1, v0
	s_branch .LBB113_831
.LBB113_828:
	s_mov_b64 s[4:5], -1
                                        ; implicit-def: $vgpr0
                                        ; implicit-def: $vgpr2
	s_branch .LBB113_835
.LBB113_829:
	v_mov_b32_e32 v0, 0
	v_mov_b32_e32 v2, 0
	s_branch .LBB113_834
.LBB113_830:
	v_mov_b32_e32 v2, 0
	s_mov_b32 s75, 0
	v_mov_b32_e32 v1, v2
                                        ; implicit-def: $vgpr0
	s_waitcnt vmcnt(0)
	v_mov_b32_e32 v4, v10
.LBB113_831:
	s_and_b32 s8, s76, 3
	s_cmp_eq_u32 s8, 0
	s_cbranch_scc1 .LBB113_834
; %bb.832:
	s_lshl_b32 s4, s75, 3
	s_add_u32 s4, s34, s4
	s_addc_u32 s5, s35, 0
	s_add_u32 s4, s4, 0xc4
	s_addc_u32 s5, s5, 0
	s_mul_i32 s6, s75, 12
	s_add_u32 s6, s34, s6
	s_addc_u32 s7, s35, 0
.LBB113_833:                            ; =>This Inner Loop Header: Depth=1
	s_load_dwordx2 s[10:11], s[6:7], 0x4
	s_load_dword s9, s[6:7], 0xc
	s_load_dwordx2 s[12:13], s[4:5], 0x0
	v_mov_b32_e32 v0, v1
	s_add_u32 s6, s6, 12
	s_waitcnt lgkmcnt(0)
	v_mul_hi_u32 v1, s11, v4
	v_add_u32_e32 v1, v4, v1
	v_lshrrev_b32_e32 v1, s9, v1
	s_addc_u32 s7, s7, 0
	v_mul_lo_u32 v3, v1, s10
	s_add_u32 s4, s4, 8
	v_sub_u32_e32 v3, v4, v3
	s_addc_u32 s5, s5, 0
	s_add_i32 s8, s8, -1
	v_mov_b32_e32 v4, v1
	v_mad_u64_u32 v[0:1], s[10:11], v3, s13, v[0:1]
	s_cmp_lg_u32 s8, 0
	v_mad_u64_u32 v[2:3], s[10:11], v3, s12, v[2:3]
	v_mov_b32_e32 v1, v0
	s_cbranch_scc1 .LBB113_833
.LBB113_834:
	s_mov_b64 s[4:5], 0
.LBB113_835:
	s_andn2_b64 vcc, exec, s[4:5]
	s_cbranch_vccnz .LBB113_838
; %bb.836:
	s_waitcnt lgkmcnt(0)
	v_mul_hi_u32 v0, s29, v10
	v_add_u32_e32 v0, v10, v0
	v_lshrrev_b32_e32 v1, s30, v0
	v_mul_lo_u32 v0, v1, s28
	v_sub_u32_e32 v2, v10, v0
	v_mul_lo_u32 v0, v2, s25
	s_andn2_b64 vcc, exec, s[48:49]
	v_mul_lo_u32 v2, v2, s24
	s_cbranch_vccnz .LBB113_838
; %bb.837:
	v_mul_hi_u32 v3, s46, v1
	v_add_u32_e32 v3, v1, v3
	v_lshrrev_b32_e32 v3, s47, v3
	v_mul_lo_u32 v3, v3, s31
	v_sub_u32_e32 v1, v1, v3
	v_mad_u64_u32 v[2:3], s[4:5], v1, s26, v[2:3]
	v_mad_u64_u32 v[0:1], s[4:5], v1, s27, v[0:1]
.LBB113_838:
	v_mov_b32_e32 v1, 0
	s_and_b32 s14, 0xffff, s74
	s_cmp_lt_i32 s14, 11
	s_waitcnt lgkmcnt(0)
	v_lshl_add_u64 v[0:1], s[22:23], 0, v[0:1]
	s_cbranch_scc1 .LBB113_845
; %bb.839:
	s_cmp_gt_i32 s14, 25
	s_mov_b64 s[6:7], 0
	s_cbranch_scc0 .LBB113_846
; %bb.840:
	s_cmp_gt_i32 s14, 28
	s_cbranch_scc0 .LBB113_847
; %bb.841:
	s_cmp_gt_i32 s14, 43
	s_cbranch_scc0 .LBB113_848
; %bb.842:
	s_cmp_gt_i32 s14, 45
	s_cbranch_scc0 .LBB113_851
; %bb.843:
	s_cmp_eq_u32 s14, 46
	s_mov_b64 s[10:11], 0
	s_cbranch_scc0 .LBB113_854
; %bb.844:
	global_load_dword v3, v[0:1], off
	s_mov_b64 s[4:5], 0
	s_mov_b64 s[8:9], -1
	s_waitcnt vmcnt(0)
	v_lshlrev_b32_e32 v3, 16, v3
	v_cvt_f64_f32_e32 v[6:7], v3
	s_branch .LBB113_855
.LBB113_845:
	s_mov_b64 s[10:11], -1
	s_mov_b64 s[8:9], 0
	s_mov_b64 s[6:7], 0
	s_mov_b64 s[4:5], s[2:3]
                                        ; implicit-def: $vgpr6_vgpr7
	s_branch .LBB113_918
.LBB113_846:
	s_mov_b64 s[10:11], -1
	s_mov_b64 s[8:9], 0
	s_mov_b64 s[4:5], s[2:3]
                                        ; implicit-def: $vgpr6_vgpr7
	s_branch .LBB113_886
.LBB113_847:
	s_mov_b64 s[10:11], -1
	s_mov_b64 s[8:9], 0
	s_mov_b64 s[4:5], s[2:3]
                                        ; implicit-def: $vgpr6_vgpr7
	s_branch .LBB113_865
.LBB113_848:
	s_mov_b64 s[10:11], -1
	s_mov_b64 s[8:9], 0
	s_mov_b64 s[4:5], s[2:3]
                                        ; implicit-def: $vgpr6_vgpr7
	s_branch .LBB113_860
.LBB113_849:
	s_andn2_saveexec_b64 s[10:11], s[10:11]
	s_cbranch_execz .LBB113_728
.LBB113_850:
	s_mov_b32 s14, 0x46000000
	v_add_f32_e64 v3, |v2|, s14
	v_and_b32_e32 v3, 0xff, v3
	v_cmp_ne_u32_e32 vcc, 0, v3
	s_andn2_b64 s[8:9], s[8:9], exec
	s_and_b64 s[14:15], vcc, exec
	s_or_b64 s[8:9], s[8:9], s[14:15]
	s_or_b64 exec, exec, s[10:11]
	v_mov_b32_e32 v6, 0
	s_and_saveexec_b64 s[10:11], s[8:9]
	s_cbranch_execnz .LBB113_729
	s_branch .LBB113_730
.LBB113_851:
	s_mov_b64 s[10:11], -1
	s_mov_b64 s[8:9], 0
	s_mov_b64 s[4:5], s[2:3]
                                        ; implicit-def: $vgpr6_vgpr7
	s_branch .LBB113_855
.LBB113_852:
	s_andn2_saveexec_b64 s[10:11], s[10:11]
	s_cbranch_execz .LBB113_741
.LBB113_853:
	s_mov_b32 s14, 0x42800000
	v_add_f32_e64 v3, |v2|, s14
	v_and_b32_e32 v3, 0xff, v3
	v_cmp_ne_u32_e32 vcc, 0, v3
	s_andn2_b64 s[8:9], s[8:9], exec
	s_and_b64 s[14:15], vcc, exec
	s_or_b64 s[8:9], s[8:9], s[14:15]
	s_or_b64 exec, exec, s[10:11]
	v_mov_b32_e32 v6, 0
	s_and_saveexec_b64 s[10:11], s[8:9]
	s_cbranch_execnz .LBB113_742
	s_branch .LBB113_743
.LBB113_854:
	s_mov_b64 s[4:5], -1
                                        ; implicit-def: $vgpr6_vgpr7
	s_mov_b64 s[8:9], 0
.LBB113_855:
	s_and_b64 vcc, exec, s[10:11]
	s_cbranch_vccz .LBB113_859
; %bb.856:
	s_cmp_eq_u32 s14, 44
	s_cbranch_scc0 .LBB113_858
; %bb.857:
	global_load_ubyte v3, v[0:1], off
	s_movk_i32 s8, 0xff
	v_bfrev_b32_e32 v6, 4
	v_mov_b32_e32 v7, 0x7ff80000
	v_bfrev_b32_e32 v8, 28
	s_mov_b64 s[4:5], 0
	s_waitcnt vmcnt(0)
	v_lshlrev_b32_e32 v4, 23, v3
	v_cvt_f64_f32_e32 v[4:5], v4
	v_cmp_ne_u32_e32 vcc, s8, v3
	s_mov_b64 s[8:9], -1
	s_nop 0
	v_cndmask_b32_e32 v4, v6, v4, vcc
	v_cndmask_b32_e32 v5, v7, v5, vcc
	v_cmp_ne_u32_e32 vcc, 0, v3
	s_nop 1
	v_cndmask_b32_e32 v7, v8, v5, vcc
	v_cndmask_b32_e32 v6, 0, v4, vcc
	s_branch .LBB113_859
.LBB113_858:
	s_mov_b64 s[4:5], -1
                                        ; implicit-def: $vgpr6_vgpr7
.LBB113_859:
	s_mov_b64 s[10:11], 0
.LBB113_860:
	s_and_b64 vcc, exec, s[10:11]
	s_cbranch_vccz .LBB113_864
; %bb.861:
	s_cmp_eq_u32 s14, 29
	s_cbranch_scc0 .LBB113_863
; %bb.862:
	global_load_dwordx2 v[4:5], v[0:1], off
	s_mov_b64 s[4:5], 0
	s_mov_b64 s[8:9], -1
	s_mov_b64 s[10:11], 0
	s_waitcnt vmcnt(0)
	v_cvt_f64_u32_e32 v[6:7], v5
	v_cvt_f64_u32_e32 v[4:5], v4
	v_ldexp_f64 v[6:7], v[6:7], 32
	v_add_f64 v[6:7], v[6:7], v[4:5]
	s_branch .LBB113_865
.LBB113_863:
	s_mov_b64 s[4:5], -1
                                        ; implicit-def: $vgpr6_vgpr7
.LBB113_864:
	s_mov_b64 s[10:11], 0
.LBB113_865:
	s_and_b64 vcc, exec, s[10:11]
	s_cbranch_vccz .LBB113_885
; %bb.866:
	s_cmp_lt_i32 s14, 27
	s_cbranch_scc1 .LBB113_869
; %bb.867:
	s_cmp_gt_i32 s14, 27
	s_cbranch_scc0 .LBB113_870
; %bb.868:
	global_load_dword v3, v[0:1], off
	s_mov_b64 s[8:9], 0
	s_waitcnt vmcnt(0)
	v_cvt_f64_u32_e32 v[6:7], v3
	s_branch .LBB113_871
.LBB113_869:
	s_mov_b64 s[8:9], -1
                                        ; implicit-def: $vgpr6_vgpr7
	s_branch .LBB113_874
.LBB113_870:
	s_mov_b64 s[8:9], -1
                                        ; implicit-def: $vgpr6_vgpr7
.LBB113_871:
	s_andn2_b64 vcc, exec, s[8:9]
	s_cbranch_vccnz .LBB113_873
; %bb.872:
	global_load_ushort v3, v[0:1], off
	s_waitcnt vmcnt(0)
	v_cvt_f64_u32_e32 v[6:7], v3
.LBB113_873:
	s_mov_b64 s[8:9], 0
.LBB113_874:
	s_andn2_b64 vcc, exec, s[8:9]
	s_cbranch_vccnz .LBB113_884
; %bb.875:
	global_load_ubyte v3, v[0:1], off
	s_movk_i32 s8, 0x7f
	s_waitcnt vmcnt(0)
	v_cmp_lt_i16_e32 vcc, s8, v3
	s_mov_b64 s[8:9], 0
	s_and_saveexec_b64 s[10:11], vcc
	s_xor_b64 s[10:11], exec, s[10:11]
	s_cbranch_execz .LBB113_879
; %bb.876:
	s_movk_i32 s8, 0x80
	v_cmp_eq_u16_e32 vcc, s8, v3
	s_mov_b64 s[8:9], -1
	s_and_saveexec_b64 s[12:13], vcc
; %bb.877:
	s_xor_b64 s[8:9], exec, -1
; %bb.878:
	s_or_b64 exec, exec, s[12:13]
	s_and_b64 s[8:9], s[8:9], exec
.LBB113_879:
	s_or_saveexec_b64 s[10:11], s[10:11]
	v_bfrev_b32_e32 v6, 4
	v_mov_b32_e32 v7, 0x7ff80000
	s_xor_b64 exec, exec, s[10:11]
; %bb.880:
	v_cmp_ne_u16_e32 vcc, 0, v3
	s_andn2_b64 s[8:9], s[8:9], exec
	s_and_b64 s[12:13], vcc, exec
	v_mov_b64_e32 v[6:7], 0
	s_or_b64 s[8:9], s[8:9], s[12:13]
; %bb.881:
	s_or_b64 exec, exec, s[10:11]
	s_and_saveexec_b64 s[10:11], s[8:9]
	s_cbranch_execz .LBB113_883
; %bb.882:
	v_lshlrev_b32_e32 v4, 24, v3
	v_and_b32_e32 v3, 0xffff, v3
	v_and_b32_e32 v5, 7, v3
	v_ffbh_u32_e32 v7, v5
	v_min_u32_e32 v7, 32, v7
	v_subrev_u32_e32 v8, 28, v7
	v_bfe_u32 v6, v3, 3, 4
	v_lshlrev_b32_e32 v3, v8, v3
	v_sub_u32_e32 v7, 29, v7
	v_and_b32_e32 v3, 7, v3
	v_cmp_eq_u32_e32 vcc, 0, v6
	v_and_b32_e32 v4, 0x80000000, v4
	s_nop 0
	v_cndmask_b32_e32 v6, v6, v7, vcc
	v_cndmask_b32_e32 v3, v5, v3, vcc
	v_mov_b32_e32 v5, 0x3b800000
	v_lshlrev_b32_e32 v3, 20, v3
	v_lshl_add_u32 v5, v6, 23, v5
	v_or3_b32 v3, v4, v5, v3
	v_cvt_f64_f32_e32 v[6:7], v3
.LBB113_883:
	s_or_b64 exec, exec, s[10:11]
.LBB113_884:
	s_mov_b64 s[8:9], -1
.LBB113_885:
	s_mov_b64 s[10:11], 0
.LBB113_886:
	s_and_b64 vcc, exec, s[10:11]
	s_cbranch_vccz .LBB113_917
; %bb.887:
	s_cmp_gt_i32 s14, 22
	s_cbranch_scc0 .LBB113_899
; %bb.888:
	s_cmp_lt_i32 s14, 24
	s_cbranch_scc1 .LBB113_900
; %bb.889:
	s_cmp_gt_i32 s14, 24
	s_cbranch_scc0 .LBB113_901
; %bb.890:
	global_load_ubyte v3, v[0:1], off
	s_movk_i32 s6, 0x7f
	s_waitcnt vmcnt(0)
	v_cmp_lt_i16_e32 vcc, s6, v3
	s_mov_b64 s[6:7], 0
	s_and_saveexec_b64 s[8:9], vcc
	s_xor_b64 s[8:9], exec, s[8:9]
	s_cbranch_execz .LBB113_894
; %bb.891:
	s_movk_i32 s6, 0x80
	v_cmp_eq_u16_e32 vcc, s6, v3
	s_mov_b64 s[6:7], -1
	s_and_saveexec_b64 s[10:11], vcc
; %bb.892:
	s_xor_b64 s[6:7], exec, -1
; %bb.893:
	s_or_b64 exec, exec, s[10:11]
	s_and_b64 s[6:7], s[6:7], exec
.LBB113_894:
	s_or_saveexec_b64 s[8:9], s[8:9]
	v_bfrev_b32_e32 v6, 4
	v_mov_b32_e32 v7, 0x7ff80000
	s_xor_b64 exec, exec, s[8:9]
; %bb.895:
	v_cmp_ne_u16_e32 vcc, 0, v3
	s_andn2_b64 s[6:7], s[6:7], exec
	s_and_b64 s[10:11], vcc, exec
	v_mov_b64_e32 v[6:7], 0
	s_or_b64 s[6:7], s[6:7], s[10:11]
; %bb.896:
	s_or_b64 exec, exec, s[8:9]
	s_and_saveexec_b64 s[8:9], s[6:7]
	s_cbranch_execz .LBB113_898
; %bb.897:
	v_lshlrev_b32_e32 v4, 24, v3
	v_and_b32_e32 v3, 0xffff, v3
	v_and_b32_e32 v5, 3, v3
	v_ffbh_u32_e32 v7, v5
	v_min_u32_e32 v7, 32, v7
	v_subrev_u32_e32 v8, 29, v7
	v_bfe_u32 v6, v3, 2, 5
	v_lshlrev_b32_e32 v3, v8, v3
	v_sub_u32_e32 v7, 30, v7
	v_and_b32_e32 v3, 3, v3
	v_cmp_eq_u32_e32 vcc, 0, v6
	v_and_b32_e32 v4, 0x80000000, v4
	s_nop 0
	v_cndmask_b32_e32 v6, v6, v7, vcc
	v_cndmask_b32_e32 v3, v5, v3, vcc
	v_mov_b32_e32 v5, 0x37800000
	v_lshlrev_b32_e32 v3, 21, v3
	v_lshl_add_u32 v5, v6, 23, v5
	v_or3_b32 v3, v4, v5, v3
	v_cvt_f64_f32_e32 v[6:7], v3
.LBB113_898:
	s_or_b64 exec, exec, s[8:9]
	s_mov_b64 s[6:7], 0
	s_branch .LBB113_902
.LBB113_899:
	s_mov_b64 s[6:7], -1
                                        ; implicit-def: $vgpr6_vgpr7
	s_branch .LBB113_908
.LBB113_900:
	s_mov_b64 s[6:7], -1
                                        ; implicit-def: $vgpr6_vgpr7
	s_branch .LBB113_905
.LBB113_901:
	s_mov_b64 s[6:7], -1
                                        ; implicit-def: $vgpr6_vgpr7
.LBB113_902:
	s_and_b64 vcc, exec, s[6:7]
	s_cbranch_vccz .LBB113_904
; %bb.903:
	global_load_ubyte v3, v[0:1], off
	s_mov_b32 s6, 0x7f800000
	s_waitcnt vmcnt(0)
	v_lshlrev_b32_e32 v3, 24, v3
	v_and_b32_e32 v4, 0x7f000000, v3
	v_ffbh_u32_e32 v5, v4
	v_min_u32_e32 v5, 32, v5
	v_sub_u32_e64 v5, v5, 4 clamp
	v_lshlrev_b32_e32 v7, v5, v4
	v_lshlrev_b32_e32 v5, 23, v5
	v_lshrrev_b32_e32 v7, 4, v7
	v_add_u32_e32 v6, 0x1000000, v4
	v_sub_u32_e32 v5, v7, v5
	v_ashrrev_i32_e32 v6, 8, v6
	v_add_u32_e32 v5, 0x3c000000, v5
	v_and_or_b32 v5, v6, s6, v5
	v_cmp_ne_u32_e32 vcc, 0, v4
	s_brev_b32 s6, 1
	s_nop 0
	v_cndmask_b32_e32 v4, 0, v5, vcc
	v_and_or_b32 v3, v3, s6, v4
	v_cvt_f64_f32_e32 v[6:7], v3
.LBB113_904:
	s_mov_b64 s[6:7], 0
.LBB113_905:
	s_andn2_b64 vcc, exec, s[6:7]
	s_cbranch_vccnz .LBB113_907
; %bb.906:
	global_load_ubyte v3, v[0:1], off
	s_movk_i32 s6, 0x7f00
	s_brev_b32 s7, 16
	s_waitcnt vmcnt(0)
	v_lshlrev_b16_e32 v4, 8, v3
	v_lshlrev_b32_e32 v3, 25, v3
	v_lshrrev_b32_e32 v5, 4, v3
	v_and_or_b32 v6, v4, s6, 0.5
	v_or_b32_e32 v5, 0x70000000, v5
	v_add_f32_e32 v6, -0.5, v6
	v_mul_f32_e32 v5, 0x7800000, v5
	v_cmp_gt_u32_e32 vcc, s7, v3
	v_bfe_i32 v4, v4, 0, 16
	s_brev_b32 s6, 1
	v_cndmask_b32_e32 v3, v5, v6, vcc
	v_and_or_b32 v3, v4, s6, v3
	v_cvt_f64_f32_e32 v[6:7], v3
.LBB113_907:
	s_mov_b64 s[6:7], 0
	s_mov_b64 s[8:9], -1
.LBB113_908:
	s_andn2_b64 vcc, exec, s[6:7]
	s_mov_b64 s[6:7], 0
	s_cbranch_vccnz .LBB113_917
; %bb.909:
	s_cmp_gt_i32 s14, 14
	s_cbranch_scc0 .LBB113_912
; %bb.910:
	s_cmp_eq_u32 s14, 15
	s_cbranch_scc0 .LBB113_913
; %bb.911:
	global_load_ushort v3, v[0:1], off
	s_mov_b64 s[4:5], 0
	s_mov_b64 s[8:9], -1
	s_waitcnt vmcnt(0)
	v_lshlrev_b32_e32 v3, 16, v3
	v_cvt_f64_f32_e32 v[6:7], v3
	s_branch .LBB113_914
.LBB113_912:
	s_mov_b64 s[10:11], -1
                                        ; implicit-def: $vgpr6_vgpr7
	s_branch .LBB113_915
.LBB113_913:
	s_mov_b64 s[4:5], -1
                                        ; implicit-def: $vgpr6_vgpr7
.LBB113_914:
	s_mov_b64 s[10:11], 0
.LBB113_915:
	s_and_b64 vcc, exec, s[10:11]
	s_cbranch_vccz .LBB113_917
; %bb.916:
	s_cmp_lg_u32 s14, 11
	s_cselect_b64 s[10:11], -1, 0
	s_andn2_b64 s[4:5], s[4:5], exec
	s_and_b64 s[10:11], s[10:11], exec
	s_mov_b64 s[6:7], -1
	s_or_b64 s[4:5], s[4:5], s[10:11]
.LBB113_917:
	s_mov_b64 s[10:11], 0
.LBB113_918:
	s_andn2_b64 s[12:13], s[2:3], exec
	s_and_b64 s[4:5], s[4:5], exec
	s_and_b64 s[8:9], s[8:9], exec
	;; [unrolled: 1-line block ×4, first 2 shown]
	s_or_b64 s[12:13], s[12:13], s[4:5]
.LBB113_919:
	s_or_b64 exec, exec, s[70:71]
	s_and_b64 s[4:5], s[6:7], exec
	s_andn2_b64 s[2:3], s[2:3], exec
	s_and_b64 s[6:7], s[12:13], exec
	s_and_b64 s[8:9], s[8:9], exec
	;; [unrolled: 1-line block ×3, first 2 shown]
	s_or_b64 s[2:3], s[2:3], s[6:7]
.LBB113_920:
	s_or_b64 exec, exec, s[66:67]
	s_andn2_b64 s[6:7], s[62:63], exec
	s_and_b64 s[12:13], s[68:69], exec
	s_or_b64 s[62:63], s[6:7], s[12:13]
	s_and_b64 s[6:7], s[10:11], exec
	s_andn2_b64 s[10:11], s[60:61], exec
	s_and_b64 s[2:3], s[2:3], exec
	s_and_b64 s[8:9], s[8:9], exec
	;; [unrolled: 1-line block ×3, first 2 shown]
	s_or_b64 s[60:61], s[10:11], s[2:3]
.LBB113_921:
	s_or_b64 exec, exec, s[64:65]
	s_andn2_b64 s[2:3], s[54:55], exec
	s_and_b64 s[10:11], s[62:63], exec
	s_or_b64 s[54:55], s[2:3], s[10:11]
	s_and_b64 s[2:3], s[8:9], exec
	s_and_b64 s[8:9], s[6:7], exec
	;; [unrolled: 1-line block ×3, first 2 shown]
	s_andn2_b64 s[4:5], s[56:57], exec
	s_and_b64 s[6:7], s[60:61], exec
	s_or_b64 s[56:57], s[4:5], s[6:7]
	s_or_b64 exec, exec, s[58:59]
	s_mov_b64 s[4:5], 0
	s_and_saveexec_b64 s[6:7], s[56:57]
	s_cbranch_execz .LBB113_276
.LBB113_922:
	s_mov_b64 s[4:5], exec
	s_andn2_b64 s[62:63], s[62:63], exec
	s_trap 2
	s_or_b64 exec, exec, s[6:7]
	s_and_saveexec_b64 s[6:7], s[62:63]
	s_xor_b64 s[6:7], exec, s[6:7]
	s_cbranch_execnz .LBB113_277
.LBB113_923:
	s_or_b64 exec, exec, s[6:7]
	s_and_saveexec_b64 s[6:7], s[8:9]
	s_cbranch_execz .LBB113_969
.LBB113_924:
	s_sext_i32_i16 s8, s74
	s_cmp_lt_i32 s8, 5
	s_cbranch_scc1 .LBB113_929
; %bb.925:
	s_cmp_lt_i32 s8, 8
	s_cbranch_scc1 .LBB113_930
; %bb.926:
	;; [unrolled: 3-line block ×3, first 2 shown]
	s_cmp_gt_i32 s8, 9
	s_cbranch_scc0 .LBB113_932
; %bb.928:
	global_load_dwordx2 v[6:7], v[0:1], off
	s_mov_b64 s[8:9], 0
	s_branch .LBB113_933
.LBB113_929:
                                        ; implicit-def: $vgpr6_vgpr7
	s_branch .LBB113_950
.LBB113_930:
                                        ; implicit-def: $vgpr6_vgpr7
	s_branch .LBB113_939
.LBB113_931:
	s_mov_b64 s[8:9], -1
                                        ; implicit-def: $vgpr6_vgpr7
	s_branch .LBB113_936
.LBB113_932:
	s_mov_b64 s[8:9], -1
                                        ; implicit-def: $vgpr6_vgpr7
.LBB113_933:
	s_andn2_b64 vcc, exec, s[8:9]
	s_cbranch_vccnz .LBB113_935
; %bb.934:
	global_load_dword v3, v[0:1], off
	s_waitcnt vmcnt(0)
	v_cvt_f64_f32_e32 v[6:7], v3
.LBB113_935:
	s_mov_b64 s[8:9], 0
.LBB113_936:
	s_andn2_b64 vcc, exec, s[8:9]
	s_cbranch_vccnz .LBB113_938
; %bb.937:
	global_load_dword v3, v[0:1], off
	s_waitcnt vmcnt(0)
	v_cvt_f32_f16_e32 v3, v3
	v_cvt_f64_f32_e32 v[6:7], v3
.LBB113_938:
	s_cbranch_execnz .LBB113_949
.LBB113_939:
	s_sext_i32_i16 s8, s74
	s_cmp_lt_i32 s8, 6
	s_cbranch_scc1 .LBB113_942
; %bb.940:
	s_cmp_gt_i32 s8, 6
	s_cbranch_scc0 .LBB113_943
; %bb.941:
	global_load_dwordx2 v[6:7], v[0:1], off
	s_mov_b64 s[8:9], 0
	s_branch .LBB113_944
.LBB113_942:
	s_mov_b64 s[8:9], -1
                                        ; implicit-def: $vgpr6_vgpr7
	s_branch .LBB113_947
.LBB113_943:
	s_mov_b64 s[8:9], -1
                                        ; implicit-def: $vgpr6_vgpr7
.LBB113_944:
	s_andn2_b64 vcc, exec, s[8:9]
	s_cbranch_vccnz .LBB113_946
; %bb.945:
	global_load_dword v3, v[0:1], off
	s_waitcnt vmcnt(0)
	v_cvt_f64_f32_e32 v[6:7], v3
.LBB113_946:
	s_mov_b64 s[8:9], 0
.LBB113_947:
	s_andn2_b64 vcc, exec, s[8:9]
	s_cbranch_vccnz .LBB113_949
; %bb.948:
	global_load_ushort v3, v[0:1], off
	s_waitcnt vmcnt(0)
	v_cvt_f32_f16_e32 v3, v3
	v_cvt_f64_f32_e32 v[6:7], v3
.LBB113_949:
	s_cbranch_execnz .LBB113_968
.LBB113_950:
	s_sext_i32_i16 s8, s74
	s_cmp_lt_i32 s8, 2
	s_cbranch_scc1 .LBB113_954
; %bb.951:
	s_cmp_lt_i32 s8, 3
	s_cbranch_scc1 .LBB113_955
; %bb.952:
	s_cmp_gt_i32 s8, 3
	s_cbranch_scc0 .LBB113_956
; %bb.953:
	global_load_dwordx2 v[4:5], v[0:1], off
	s_mov_b64 s[8:9], 0
	s_waitcnt vmcnt(0)
	v_cvt_f64_i32_e32 v[6:7], v5
	v_cvt_f64_u32_e32 v[4:5], v4
	v_ldexp_f64 v[6:7], v[6:7], 32
	v_add_f64 v[6:7], v[6:7], v[4:5]
	s_branch .LBB113_957
.LBB113_954:
                                        ; implicit-def: $vgpr6_vgpr7
	s_branch .LBB113_963
.LBB113_955:
	s_mov_b64 s[8:9], -1
                                        ; implicit-def: $vgpr6_vgpr7
	s_branch .LBB113_960
.LBB113_956:
	s_mov_b64 s[8:9], -1
                                        ; implicit-def: $vgpr6_vgpr7
.LBB113_957:
	s_andn2_b64 vcc, exec, s[8:9]
	s_cbranch_vccnz .LBB113_959
; %bb.958:
	global_load_dword v3, v[0:1], off
	s_waitcnt vmcnt(0)
	v_cvt_f64_i32_e32 v[6:7], v3
.LBB113_959:
	s_mov_b64 s[8:9], 0
.LBB113_960:
	s_andn2_b64 vcc, exec, s[8:9]
	s_cbranch_vccnz .LBB113_962
; %bb.961:
	global_load_sshort v3, v[0:1], off
	s_waitcnt vmcnt(0)
	v_cvt_f64_i32_e32 v[6:7], v3
.LBB113_962:
	s_cbranch_execnz .LBB113_968
.LBB113_963:
	s_sext_i32_i16 s8, s74
	s_cmp_gt_i32 s8, 0
	s_cbranch_scc0 .LBB113_965
; %bb.964:
	global_load_sbyte v3, v[0:1], off
	s_mov_b64 s[8:9], 0
	s_waitcnt vmcnt(0)
	v_cvt_f64_i32_e32 v[6:7], v3
	s_branch .LBB113_966
.LBB113_965:
	s_mov_b64 s[8:9], -1
                                        ; implicit-def: $vgpr6_vgpr7
.LBB113_966:
	s_andn2_b64 vcc, exec, s[8:9]
	s_cbranch_vccnz .LBB113_968
; %bb.967:
	global_load_ubyte v0, v[0:1], off
	s_waitcnt vmcnt(0)
	v_cvt_f64_u32_e32 v[6:7], v0
.LBB113_968:
	s_or_b64 s[2:3], s[2:3], exec
.LBB113_969:
	s_or_b64 exec, exec, s[6:7]
	s_mov_b64 s[10:11], 0
	s_mov_b64 s[8:9], 0
                                        ; implicit-def: $sgpr16
                                        ; implicit-def: $vgpr4_vgpr5
                                        ; implicit-def: $vgpr0_vgpr1
	s_and_saveexec_b64 s[6:7], s[2:3]
	s_cbranch_execz .LBB113_1044
; %bb.970:
	s_mov_b32 s2, 0x652b82fe
	s_mov_b32 s3, 0x3ff71547
	s_waitcnt vmcnt(0)
	v_mul_f64 v[0:1], v[6:7], s[2:3]
	v_rndne_f64_e32 v[0:1], v[0:1]
	s_mov_b32 s3, 0xbfe62e42
	s_mov_b32 s2, 0xfefa39ef
	;; [unrolled: 1-line block ×3, first 2 shown]
	v_fma_f64 v[4:5], s[2:3], v[0:1], v[6:7]
	s_mov_b32 s9, 0xbc7abc9e
	v_fmac_f64_e32 v[4:5], s[8:9], v[0:1]
	s_mov_b32 s8, 0xa9d67f34
	v_mov_b32_e32 v8, 0x2a1b768b
	v_mov_b32_e32 v9, 0x3e5af4eb
	s_mov_b32 s9, 0x3e21f32e
	v_fmac_f64_e32 v[8:9], s[8:9], v[4:5]
	v_mov_b32_e32 v10, 0xe0ac05b
	v_mov_b32_e32 v11, 0x3e927e50
	v_fmac_f64_e32 v[10:11], v[4:5], v[8:9]
	v_mov_b32_e32 v8, 0x1b889c29
	v_mov_b32_e32 v9, 0x3ec71de0
	;; [unrolled: 3-line block ×8, first 2 shown]
	v_fmac_f64_e32 v[8:9], v[4:5], v[10:11]
	v_fma_f64 v[8:9], v[4:5], v[8:9], 0.5
	s_mov_b32 s8, 0
	v_mul_f64 v[8:9], v[4:5], v[8:9]
	s_mov_b32 s9, 0x40900000
	v_cvt_i32_f64_e32 v3, v[0:1]
	v_fmac_f64_e32 v[4:5], v[4:5], v[8:9]
	v_ldexp_f64 v[8:9], 1.0, v3
	v_mov_b32_e32 v3, 0x7fe00000
	v_cmp_eq_f64_e32 vcc, s[8:9], v[0:1]
	s_mov_b32 s3, 0x40862e42
	s_and_b32 s16, s73, 0xff
	v_cndmask_b32_e32 v1, v9, v3, vcc
	v_cndmask_b32_e64 v0, v8, 0, vcc
	v_add_f64 v[8:9], v[0:1], -1.0
	v_fmac_f64_e32 v[8:9], v[0:1], v[4:5]
	v_add_f64 v[0:1], v[8:9], v[8:9]
	v_cndmask_b32_e32 v0, v8, v0, vcc
	v_cndmask_b32_e32 v1, v9, v1, vcc
	v_cmp_nlt_f64_e32 vcc, s[2:3], v[6:7]
	s_mov_b32 s2, 0
	v_mov_b32_e32 v3, 0x7ff00000
	s_mov_b32 s3, 0xc0428000
	v_cndmask_b32_e32 v1, v3, v1, vcc
	v_mov_b32_e32 v3, 0xbff00000
	v_cmp_ngt_f64_e64 s[2:3], s[2:3], v[6:7]
	s_and_b64 vcc, s[2:3], vcc
	v_cndmask_b32_e32 v0, 0, v0, vcc
	v_cndmask_b32_e64 v1, v3, v1, s[2:3]
	v_mov_b32_e32 v3, 0
	s_cmp_lt_i32 s16, 11
	s_waitcnt lgkmcnt(0)
	v_lshl_add_u64 v[4:5], s[20:21], 0, v[2:3]
	s_cbranch_scc1 .LBB113_1047
; %bb.971:
	s_and_b32 s17, 0xffff, s16
	s_mov_b64 s[10:11], -1
	s_cmp_gt_i32 s17, 25
	s_mov_b64 s[2:3], s[54:55]
	s_cbranch_scc0 .LBB113_1004
; %bb.972:
	s_mov_b64 s[8:9], -1
	s_cmp_gt_i32 s17, 28
	s_mov_b64 s[2:3], s[54:55]
	s_cbranch_scc0 .LBB113_988
; %bb.973:
	s_cmp_gt_i32 s17, 43
	s_mov_b64 s[2:3], s[54:55]
	s_cbranch_scc0 .LBB113_984
; %bb.974:
	;; [unrolled: 4-line block ×3, first 2 shown]
	s_cmp_eq_u32 s17, 46
	s_mov_b64 s[2:3], -1
	s_cbranch_scc0 .LBB113_977
; %bb.976:
	v_cvt_f32_f64_e32 v2, v[0:1]
	v_bfe_u32 v3, v2, 16, 1
	s_movk_i32 s2, 0x7fff
	v_add3_u32 v3, v2, v3, s2
	v_cmp_o_f32_e32 vcc, v2, v2
	v_mov_b32_e32 v2, 0x7fc0
	s_mov_b64 s[2:3], 0
	v_cndmask_b32_sdwa v2, v2, v3, vcc dst_sel:DWORD dst_unused:UNUSED_PAD src0_sel:DWORD src1_sel:WORD_1
	global_store_dword v[4:5], v2, off
.LBB113_977:
	s_mov_b64 s[8:9], 0
.LBB113_978:
	s_and_b64 vcc, exec, s[8:9]
	s_cbranch_vccz .LBB113_983
; %bb.979:
	s_cmp_eq_u32 s17, 44
	s_mov_b64 s[2:3], -1
	s_cbranch_scc0 .LBB113_983
; %bb.980:
	v_cvt_f32_f64_e32 v2, v[0:1]
	v_bfe_u32 v3, v2, 23, 8
	s_movk_i32 s2, 0xff
	v_cmp_ne_u32_e32 vcc, s2, v3
	v_mov_b32_e32 v6, 0xff
	s_and_saveexec_b64 s[8:9], vcc
; %bb.981:
	s_mov_b32 s2, 0x3fffff
	v_lshrrev_b32_e32 v6, 23, v2
	v_and_b32_e32 v7, 0x400000, v2
	v_and_or_b32 v2, v2, s2, v3
	v_cmp_ne_u32_e32 vcc, 0, v7
	v_cmp_ne_u32_e64 s[2:3], 0, v2
	s_and_b64 s[2:3], vcc, s[2:3]
	s_nop 0
	v_cndmask_b32_e64 v2, 0, 1, s[2:3]
	v_add_u32_e32 v6, v6, v2
; %bb.982:
	s_or_b64 exec, exec, s[8:9]
	s_mov_b64 s[2:3], 0
	global_store_byte v[4:5], v6, off
.LBB113_983:
	s_mov_b64 s[8:9], 0
.LBB113_984:
	s_and_b64 vcc, exec, s[8:9]
	s_cbranch_vccz .LBB113_987
; %bb.985:
	s_cmp_eq_u32 s17, 29
	s_mov_b64 s[2:3], -1
	s_cbranch_scc0 .LBB113_987
; %bb.986:
	v_trunc_f64_e32 v[2:3], v[0:1]
	s_movk_i32 s2, 0xffe0
	v_ldexp_f64 v[6:7], v[2:3], s2
	v_floor_f64_e32 v[6:7], v[6:7]
	v_fmac_f64_e32 v[2:3], 0xc1f00000, v[6:7]
	v_cvt_u32_f64_e32 v9, v[6:7]
	v_cvt_u32_f64_e32 v8, v[2:3]
	global_store_dwordx2 v[4:5], v[8:9], off
	s_mov_b64 s[2:3], 0
.LBB113_987:
	s_mov_b64 s[8:9], 0
.LBB113_988:
	s_and_b64 vcc, exec, s[8:9]
	s_cbranch_vccz .LBB113_1003
; %bb.989:
	s_cmp_lt_i32 s17, 27
	s_mov_b64 s[8:9], -1
	s_cbranch_scc1 .LBB113_995
; %bb.990:
	s_cmp_gt_i32 s17, 27
	s_cbranch_scc0 .LBB113_992
; %bb.991:
	v_cvt_u32_f64_e32 v2, v[0:1]
	s_mov_b64 s[8:9], 0
	global_store_dword v[4:5], v2, off
.LBB113_992:
	s_andn2_b64 vcc, exec, s[8:9]
	s_cbranch_vccnz .LBB113_994
; %bb.993:
	v_cvt_u32_f64_e32 v2, v[0:1]
	global_store_short v[4:5], v2, off
.LBB113_994:
	s_mov_b64 s[8:9], 0
.LBB113_995:
	s_andn2_b64 vcc, exec, s[8:9]
	s_cbranch_vccnz .LBB113_1003
; %bb.996:
	v_cvt_f32_f64_e32 v2, v[0:1]
	v_and_b32_e32 v3, 0x7fffffff, v2
	s_mov_b32 s8, 0x43800000
	v_cmp_gt_u32_e32 vcc, s8, v3
	v_mov_b32_e32 v6, 0x80
	s_and_saveexec_b64 s[8:9], vcc
	s_cbranch_execz .LBB113_1002
; %bb.997:
	s_mov_b32 s10, 0x3bffffff
	v_cmp_lt_u32_e32 vcc, s10, v3
	s_mov_b64 s[10:11], 0
                                        ; implicit-def: $vgpr3
	s_and_saveexec_b64 s[12:13], vcc
	s_xor_b64 s[12:13], exec, s[12:13]
	s_cbranch_execz .LBB113_1160
; %bb.998:
	v_bfe_u32 v3, v2, 20, 1
	s_mov_b32 s14, 0x487ffff
	v_add3_u32 v3, v2, v3, s14
	s_mov_b64 s[10:11], exec
	v_lshrrev_b32_e32 v3, 20, v3
	s_andn2_saveexec_b64 s[12:13], s[12:13]
	s_cbranch_execnz .LBB113_1161
.LBB113_999:
	s_or_b64 exec, exec, s[12:13]
	v_mov_b32_e32 v6, 0
	s_and_saveexec_b64 s[12:13], s[10:11]
.LBB113_1000:
	v_lshrrev_b32_e32 v2, 24, v2
	s_movk_i32 s10, 0x80
	v_and_or_b32 v6, v2, s10, v3
.LBB113_1001:
	s_or_b64 exec, exec, s[12:13]
.LBB113_1002:
	s_or_b64 exec, exec, s[8:9]
	global_store_byte v[4:5], v6, off
.LBB113_1003:
	s_mov_b64 s[10:11], 0
.LBB113_1004:
	s_mov_b64 s[8:9], 0
	s_and_b64 vcc, exec, s[10:11]
	s_cbranch_vccz .LBB113_1048
; %bb.1005:
	s_cmp_gt_i32 s17, 22
	s_mov_b64 s[10:11], -1
	s_cbranch_scc0 .LBB113_1037
; %bb.1006:
	s_cmp_lt_i32 s17, 24
	s_cbranch_scc1 .LBB113_1026
; %bb.1007:
	s_cmp_gt_i32 s17, 24
	s_cbranch_scc0 .LBB113_1015
; %bb.1008:
	v_cvt_f32_f64_e32 v2, v[0:1]
	v_and_b32_e32 v3, 0x7fffffff, v2
	s_mov_b32 s10, 0x47800000
	v_cmp_gt_u32_e32 vcc, s10, v3
	v_mov_b32_e32 v6, 0x80
	s_and_saveexec_b64 s[10:11], vcc
	s_cbranch_execz .LBB113_1014
; %bb.1009:
	s_mov_b32 s12, 0x37ffffff
	v_cmp_lt_u32_e32 vcc, s12, v3
	s_mov_b64 s[12:13], 0
                                        ; implicit-def: $vgpr3
	s_and_saveexec_b64 s[14:15], vcc
	s_xor_b64 s[14:15], exec, s[14:15]
	s_cbranch_execz .LBB113_1285
; %bb.1010:
	v_bfe_u32 v3, v2, 21, 1
	s_mov_b32 s18, 0x88fffff
	v_add3_u32 v3, v2, v3, s18
	s_mov_b64 s[12:13], exec
	v_lshrrev_b32_e32 v3, 21, v3
	s_andn2_saveexec_b64 s[14:15], s[14:15]
	s_cbranch_execnz .LBB113_1286
.LBB113_1011:
	s_or_b64 exec, exec, s[14:15]
	v_mov_b32_e32 v6, 0
	s_and_saveexec_b64 s[14:15], s[12:13]
.LBB113_1012:
	v_lshrrev_b32_e32 v2, 24, v2
	s_movk_i32 s12, 0x80
	v_and_or_b32 v6, v2, s12, v3
.LBB113_1013:
	s_or_b64 exec, exec, s[14:15]
.LBB113_1014:
	s_or_b64 exec, exec, s[10:11]
	s_mov_b64 s[10:11], 0
	global_store_byte v[4:5], v6, off
.LBB113_1015:
	s_and_b64 vcc, exec, s[10:11]
	s_cbranch_vccz .LBB113_1025
; %bb.1016:
	v_cvt_f32_f64_e32 v2, v[0:1]
	v_and_b32_e32 v6, 0x7fffffff, v2
	s_mov_b32 s10, 0x43f00000
	v_cmp_gt_u32_e32 vcc, s10, v6
                                        ; implicit-def: $vgpr3
	s_and_saveexec_b64 s[10:11], vcc
	s_xor_b64 s[10:11], exec, s[10:11]
	s_cbranch_execz .LBB113_1022
; %bb.1017:
	s_mov_b32 s12, 0x3c7fffff
	v_cmp_lt_u32_e32 vcc, s12, v6
                                        ; implicit-def: $vgpr3
	s_and_saveexec_b64 s[12:13], vcc
	s_xor_b64 s[12:13], exec, s[12:13]
; %bb.1018:
	v_bfe_u32 v3, v2, 20, 1
	s_mov_b32 s14, 0x407ffff
	v_add3_u32 v3, v2, v3, s14
	v_lshrrev_b32_e32 v6, 20, v3
	v_and_b32_e32 v3, 0xff00000, v3
	s_mov_b32 s14, 0x7f00000
	v_mov_b32_e32 v7, 0x7e
	v_cmp_ne_u32_e32 vcc, s14, v3
	s_nop 1
	v_cndmask_b32_e32 v3, v7, v6, vcc
; %bb.1019:
	s_andn2_saveexec_b64 s[12:13], s[12:13]
; %bb.1020:
	s_mov_b32 s14, 0x46800000
	v_add_f32_e64 v3, |v2|, s14
; %bb.1021:
	s_or_b64 exec, exec, s[12:13]
                                        ; implicit-def: $vgpr6
.LBB113_1022:
	s_andn2_saveexec_b64 s[10:11], s[10:11]
; %bb.1023:
	s_mov_b32 s12, 0x7f800000
	v_mov_b32_e32 v3, 0x7e
	v_mov_b32_e32 v7, 0x7f
	v_cmp_lt_u32_e32 vcc, s12, v6
	s_nop 1
	v_cndmask_b32_e32 v3, v3, v7, vcc
; %bb.1024:
	s_or_b64 exec, exec, s[10:11]
	v_lshrrev_b32_e32 v2, 24, v2
	s_movk_i32 s10, 0x80
	v_and_or_b32 v2, v2, s10, v3
	global_store_byte v[4:5], v2, off
.LBB113_1025:
	s_mov_b64 s[10:11], 0
.LBB113_1026:
	s_andn2_b64 vcc, exec, s[10:11]
	s_cbranch_vccnz .LBB113_1036
; %bb.1027:
	v_cvt_f32_f64_e32 v2, v[0:1]
	v_and_b32_e32 v6, 0x7fffffff, v2
	s_mov_b32 s10, 0x47800000
	v_cmp_gt_u32_e32 vcc, s10, v6
                                        ; implicit-def: $vgpr3
	s_and_saveexec_b64 s[10:11], vcc
	s_xor_b64 s[10:11], exec, s[10:11]
	s_cbranch_execz .LBB113_1033
; %bb.1028:
	s_mov_b32 s12, 0x387fffff
	v_cmp_lt_u32_e32 vcc, s12, v6
                                        ; implicit-def: $vgpr3
	s_and_saveexec_b64 s[12:13], vcc
	s_xor_b64 s[12:13], exec, s[12:13]
; %bb.1029:
	v_bfe_u32 v3, v2, 21, 1
	s_mov_b32 s14, 0x80fffff
	v_add3_u32 v3, v2, v3, s14
	v_lshrrev_b32_e32 v3, 21, v3
; %bb.1030:
	s_andn2_saveexec_b64 s[12:13], s[12:13]
; %bb.1031:
	s_mov_b32 s14, 0x43000000
	v_add_f32_e64 v3, |v2|, s14
; %bb.1032:
	s_or_b64 exec, exec, s[12:13]
                                        ; implicit-def: $vgpr6
.LBB113_1033:
	s_andn2_saveexec_b64 s[10:11], s[10:11]
; %bb.1034:
	s_mov_b32 s12, 0x7f800000
	v_mov_b32_e32 v3, 0x7c
	v_mov_b32_e32 v7, 0x7f
	v_cmp_lt_u32_e32 vcc, s12, v6
	s_nop 1
	v_cndmask_b32_e32 v3, v3, v7, vcc
; %bb.1035:
	s_or_b64 exec, exec, s[10:11]
	v_lshrrev_b32_e32 v2, 24, v2
	s_movk_i32 s10, 0x80
	v_and_or_b32 v2, v2, s10, v3
	global_store_byte v[4:5], v2, off
.LBB113_1036:
	s_mov_b64 s[10:11], 0
.LBB113_1037:
	s_andn2_b64 vcc, exec, s[10:11]
	s_mov_b64 s[10:11], 0
	s_cbranch_vccnz .LBB113_1049
; %bb.1038:
	s_cmp_gt_i32 s17, 14
	s_mov_b64 s[12:13], -1
	s_cbranch_scc0 .LBB113_1042
; %bb.1039:
	s_cmp_eq_u32 s17, 15
	s_mov_b64 s[2:3], -1
	s_cbranch_scc0 .LBB113_1041
; %bb.1040:
	v_cvt_f32_f64_e32 v2, v[0:1]
	v_bfe_u32 v3, v2, 16, 1
	s_movk_i32 s2, 0x7fff
	v_add3_u32 v3, v2, v3, s2
	v_cmp_o_f32_e32 vcc, v2, v2
	v_mov_b32_e32 v2, 0x7fc0
	s_mov_b64 s[2:3], 0
	v_cndmask_b32_sdwa v2, v2, v3, vcc dst_sel:DWORD dst_unused:UNUSED_PAD src0_sel:DWORD src1_sel:WORD_1
	global_store_short v[4:5], v2, off
.LBB113_1041:
	s_mov_b64 s[12:13], 0
.LBB113_1042:
	s_and_b64 vcc, exec, s[12:13]
	s_cbranch_vccz .LBB113_1049
; %bb.1043:
	s_cmp_lg_u32 s17, 11
	s_cselect_b64 s[12:13], -1, 0
	s_andn2_b64 s[2:3], s[2:3], exec
	s_and_b64 s[12:13], s[12:13], exec
	s_mov_b64 s[10:11], -1
	s_or_b64 s[2:3], s[2:3], s[12:13]
	s_branch .LBB113_1049
.LBB113_1044:
	s_or_b64 exec, exec, s[6:7]
	s_and_saveexec_b64 s[2:3], s[54:55]
	s_cbranch_execnz .LBB113_1050
.LBB113_1045:
	s_or_b64 exec, exec, s[2:3]
	s_and_saveexec_b64 s[2:3], s[10:11]
	s_xor_b64 s[2:3], exec, s[2:3]
	s_cbranch_execz .LBB113_1051
.LBB113_1046:
	v_cmp_neq_f64_e32 vcc, 0, v[0:1]
	s_nop 1
	v_cndmask_b32_e64 v2, 0, 1, vcc
	s_waitcnt vmcnt(0)
	global_store_byte v[4:5], v2, off
	s_or_b64 exec, exec, s[2:3]
	s_and_saveexec_b64 s[2:3], s[8:9]
	s_xor_b64 s[2:3], exec, s[2:3]
	s_cbranch_execz .LBB113_1089
	s_branch .LBB113_1052
.LBB113_1047:
	s_mov_b64 s[8:9], -1
	s_mov_b64 s[2:3], s[54:55]
	s_branch .LBB113_1049
.LBB113_1048:
	s_mov_b64 s[10:11], 0
.LBB113_1049:
	s_andn2_b64 s[12:13], s[54:55], exec
	s_and_b64 s[2:3], s[2:3], exec
	s_and_b64 s[8:9], s[8:9], exec
	;; [unrolled: 1-line block ×3, first 2 shown]
	s_or_b64 s[54:55], s[12:13], s[2:3]
	s_or_b64 exec, exec, s[6:7]
	s_and_saveexec_b64 s[2:3], s[54:55]
	s_cbranch_execz .LBB113_1045
.LBB113_1050:
	s_or_b64 s[4:5], s[4:5], exec
	s_andn2_b64 s[10:11], s[10:11], exec
	s_trap 2
	s_or_b64 exec, exec, s[2:3]
	s_and_saveexec_b64 s[2:3], s[10:11]
	s_xor_b64 s[2:3], exec, s[2:3]
	s_cbranch_execnz .LBB113_1046
.LBB113_1051:
	s_or_b64 exec, exec, s[2:3]
	s_and_saveexec_b64 s[2:3], s[8:9]
	s_xor_b64 s[2:3], exec, s[2:3]
	s_cbranch_execz .LBB113_1089
.LBB113_1052:
	s_sext_i32_i16 s8, s16
	s_cmp_lt_i32 s8, 5
	s_mov_b64 s[6:7], -1
	s_cbranch_scc1 .LBB113_1073
; %bb.1053:
	s_cmp_lt_i32 s8, 8
	s_cbranch_scc1 .LBB113_1063
; %bb.1054:
	s_cmp_lt_i32 s8, 9
	s_cbranch_scc1 .LBB113_1060
; %bb.1055:
	s_cmp_gt_i32 s8, 9
	s_cbranch_scc0 .LBB113_1057
; %bb.1056:
	v_mov_b32_e32 v2, 0
	v_mov_b32_e32 v3, v2
	s_mov_b64 s[6:7], 0
	s_waitcnt vmcnt(0)
	global_store_dwordx4 v[4:5], v[0:3], off
.LBB113_1057:
	s_andn2_b64 vcc, exec, s[6:7]
	s_cbranch_vccnz .LBB113_1059
; %bb.1058:
	v_cvt_f32_f64_e32 v2, v[0:1]
	v_mov_b32_e32 v3, 0
	s_waitcnt vmcnt(0)
	global_store_dwordx2 v[4:5], v[2:3], off
.LBB113_1059:
	s_mov_b64 s[6:7], 0
.LBB113_1060:
	s_andn2_b64 vcc, exec, s[6:7]
	s_cbranch_vccnz .LBB113_1062
; %bb.1061:
	s_movk_i32 s6, 0x1ff
	v_and_or_b32 v2, v1, s6, v0
	v_cmp_ne_u32_e32 vcc, 0, v2
	v_lshrrev_b32_e32 v3, 8, v1
	s_movk_i32 s6, 0xffe
	v_cndmask_b32_e64 v2, 0, 1, vcc
	s_waitcnt vmcnt(0)
	v_bfe_u32 v6, v1, 20, 11
	v_and_or_b32 v2, v3, s6, v2
	v_sub_u32_e32 v7, 0x3f1, v6
	v_or_b32_e32 v3, 0x1000, v2
	v_med3_i32 v7, v7, 0, 13
	v_lshrrev_b32_e32 v8, v7, v3
	v_lshlrev_b32_e32 v7, v7, v8
	v_cmp_ne_u32_e32 vcc, v7, v3
	v_add_u32_e32 v6, 0xfffffc10, v6
	v_lshl_or_b32 v7, v6, 12, v2
	v_cndmask_b32_e64 v3, 0, 1, vcc
	v_or_b32_e32 v3, v8, v3
	v_cmp_gt_i32_e32 vcc, 1, v6
	s_movk_i32 s6, 0x40f
	s_nop 0
	v_cndmask_b32_e32 v3, v7, v3, vcc
	v_and_b32_e32 v7, 7, v3
	v_cmp_lt_i32_e32 vcc, 5, v7
	v_lshrrev_b32_e32 v3, 2, v3
	s_nop 0
	v_cndmask_b32_e64 v8, 0, 1, vcc
	v_cmp_eq_u32_e32 vcc, 3, v7
	s_nop 1
	v_cndmask_b32_e64 v7, 0, 1, vcc
	v_or_b32_e32 v7, v7, v8
	v_add_u32_e32 v3, v3, v7
	v_mov_b32_e32 v7, 0x7c00
	v_cmp_gt_i32_e32 vcc, 31, v6
	v_mov_b32_e32 v8, 0x7e00
	s_nop 0
	v_cndmask_b32_e32 v3, v7, v3, vcc
	v_cmp_ne_u32_e32 vcc, 0, v2
	s_nop 1
	v_cndmask_b32_e32 v2, v7, v8, vcc
	v_cmp_eq_u32_e32 vcc, s6, v6
	s_mov_b32 s6, 0x8000
	s_nop 0
	v_cndmask_b32_e32 v2, v3, v2, vcc
	v_and_b32_sdwa v3, v1, s6 dst_sel:DWORD dst_unused:UNUSED_PAD src0_sel:WORD_1 src1_sel:DWORD
	s_mov_b32 s6, 0xffff
	v_bitop3_b32 v2, v3, s6, v2 bitop3:0xc8
	global_store_dword v[4:5], v2, off
.LBB113_1062:
	s_mov_b64 s[6:7], 0
.LBB113_1063:
	s_andn2_b64 vcc, exec, s[6:7]
	s_cbranch_vccnz .LBB113_1072
; %bb.1064:
	s_sext_i32_i16 s8, s16
	s_cmp_lt_i32 s8, 6
	s_mov_b64 s[6:7], -1
	s_cbranch_scc1 .LBB113_1070
; %bb.1065:
	s_cmp_gt_i32 s8, 6
	s_cbranch_scc0 .LBB113_1067
; %bb.1066:
	s_mov_b64 s[6:7], 0
	s_waitcnt vmcnt(0)
	global_store_dwordx2 v[4:5], v[0:1], off
.LBB113_1067:
	s_andn2_b64 vcc, exec, s[6:7]
	s_cbranch_vccnz .LBB113_1069
; %bb.1068:
	v_cvt_f32_f64_e32 v2, v[0:1]
	s_waitcnt vmcnt(0)
	global_store_dword v[4:5], v2, off
.LBB113_1069:
	s_mov_b64 s[6:7], 0
.LBB113_1070:
	s_andn2_b64 vcc, exec, s[6:7]
	s_cbranch_vccnz .LBB113_1072
; %bb.1071:
	s_movk_i32 s6, 0x1ff
	v_and_or_b32 v2, v1, s6, v0
	v_cmp_ne_u32_e32 vcc, 0, v2
	v_lshrrev_b32_e32 v3, 8, v1
	s_movk_i32 s6, 0xffe
	v_cndmask_b32_e64 v2, 0, 1, vcc
	s_waitcnt vmcnt(0)
	v_bfe_u32 v6, v1, 20, 11
	v_and_or_b32 v2, v3, s6, v2
	v_sub_u32_e32 v7, 0x3f1, v6
	v_or_b32_e32 v3, 0x1000, v2
	v_med3_i32 v7, v7, 0, 13
	v_lshrrev_b32_e32 v8, v7, v3
	v_lshlrev_b32_e32 v7, v7, v8
	v_cmp_ne_u32_e32 vcc, v7, v3
	v_add_u32_e32 v6, 0xfffffc10, v6
	v_lshl_or_b32 v7, v6, 12, v2
	v_cndmask_b32_e64 v3, 0, 1, vcc
	v_or_b32_e32 v3, v8, v3
	v_cmp_gt_i32_e32 vcc, 1, v6
	s_movk_i32 s6, 0x40f
	s_nop 0
	v_cndmask_b32_e32 v3, v7, v3, vcc
	v_and_b32_e32 v7, 7, v3
	v_cmp_lt_i32_e32 vcc, 5, v7
	v_lshrrev_b32_e32 v3, 2, v3
	s_nop 0
	v_cndmask_b32_e64 v8, 0, 1, vcc
	v_cmp_eq_u32_e32 vcc, 3, v7
	s_nop 1
	v_cndmask_b32_e64 v7, 0, 1, vcc
	v_or_b32_e32 v7, v7, v8
	v_add_u32_e32 v3, v3, v7
	v_mov_b32_e32 v7, 0x7c00
	v_cmp_gt_i32_e32 vcc, 31, v6
	v_mov_b32_e32 v8, 0x7e00
	s_nop 0
	v_cndmask_b32_e32 v3, v7, v3, vcc
	v_cmp_ne_u32_e32 vcc, 0, v2
	s_nop 1
	v_cndmask_b32_e32 v2, v7, v8, vcc
	v_cmp_eq_u32_e32 vcc, s6, v6
	s_mov_b32 s6, 0x8000
	s_nop 0
	v_cndmask_b32_e32 v2, v3, v2, vcc
	v_lshrrev_b32_e32 v3, 16, v1
	v_and_or_b32 v2, v3, s6, v2
	global_store_short v[4:5], v2, off
.LBB113_1072:
	s_mov_b64 s[6:7], 0
.LBB113_1073:
	s_andn2_b64 vcc, exec, s[6:7]
	s_cbranch_vccnz .LBB113_1089
; %bb.1074:
	s_sext_i32_i16 s8, s16
	s_cmp_lt_i32 s8, 2
	s_mov_b64 s[6:7], -1
	s_cbranch_scc1 .LBB113_1084
; %bb.1075:
	s_cmp_lt_i32 s8, 3
	s_cbranch_scc1 .LBB113_1081
; %bb.1076:
	s_cmp_gt_i32 s8, 3
	s_cbranch_scc0 .LBB113_1078
; %bb.1077:
	v_trunc_f64_e32 v[2:3], v[0:1]
	s_movk_i32 s6, 0xffe0
	s_waitcnt vmcnt(0)
	v_ldexp_f64 v[6:7], v[2:3], s6
	v_floor_f64_e32 v[6:7], v[6:7]
	v_fmac_f64_e32 v[2:3], 0xc1f00000, v[6:7]
	v_cvt_i32_f64_e32 v9, v[6:7]
	v_cvt_u32_f64_e32 v8, v[2:3]
	s_mov_b64 s[6:7], 0
	global_store_dwordx2 v[4:5], v[8:9], off
.LBB113_1078:
	s_andn2_b64 vcc, exec, s[6:7]
	s_cbranch_vccnz .LBB113_1080
; %bb.1079:
	v_cvt_i32_f64_e32 v2, v[0:1]
	s_waitcnt vmcnt(0)
	global_store_dword v[4:5], v2, off
.LBB113_1080:
	s_mov_b64 s[6:7], 0
.LBB113_1081:
	s_andn2_b64 vcc, exec, s[6:7]
	s_cbranch_vccnz .LBB113_1083
; %bb.1082:
	v_cvt_i32_f64_e32 v2, v[0:1]
	s_waitcnt vmcnt(0)
	global_store_short v[4:5], v2, off
.LBB113_1083:
	s_mov_b64 s[6:7], 0
.LBB113_1084:
	s_andn2_b64 vcc, exec, s[6:7]
	s_cbranch_vccnz .LBB113_1089
; %bb.1085:
	s_sext_i32_i16 s6, s16
	s_cmp_gt_i32 s6, 0
	s_mov_b64 s[6:7], -1
	s_cbranch_scc0 .LBB113_1087
; %bb.1086:
	v_cvt_i32_f64_e32 v2, v[0:1]
	s_mov_b64 s[6:7], 0
	s_waitcnt vmcnt(0)
	global_store_byte v[4:5], v2, off
.LBB113_1087:
	s_andn2_b64 vcc, exec, s[6:7]
	s_cbranch_vccnz .LBB113_1089
; %bb.1088:
	v_trunc_f64_e32 v[0:1], v[0:1]
	s_movk_i32 s6, 0xffe0
	v_ldexp_f64 v[2:3], v[0:1], s6
	v_floor_f64_e32 v[2:3], v[2:3]
	v_fmac_f64_e32 v[0:1], 0xc1f00000, v[2:3]
	v_cvt_u32_f64_e32 v0, v[0:1]
	s_waitcnt vmcnt(0)
	global_store_byte v[4:5], v0, off
.LBB113_1089:
	s_or_b64 exec, exec, s[2:3]
	s_waitcnt lgkmcnt(0)
	s_and_b64 s[24:25], s[4:5], exec
                                        ; implicit-def: $vgpr16
                                        ; implicit-def: $vgpr10
.LBB113_1090:
	s_or_saveexec_b64 s[26:27], s[44:45]
	s_mov_b64 s[6:7], 0
                                        ; implicit-def: $vgpr4_vgpr5
                                        ; implicit-def: $sgpr14
                                        ; implicit-def: $vgpr0_vgpr1
	s_xor_b64 exec, exec, s[26:27]
	s_cbranch_execz .LBB113_2094
; %bb.1091:
	v_cndmask_b32_e64 v0, 0, 1, s[42:43]
	v_cmp_ne_u32_e64 s[2:3], 1, v0
	s_andn2_b64 vcc, exec, s[42:43]
	s_cbranch_vccnz .LBB113_1097
; %bb.1092:
	s_cmp_lg_u32 s33, 0
	s_mov_b32 s36, 0
	s_cbranch_scc0 .LBB113_1098
; %bb.1093:
	s_min_u32 s37, s72, 15
	s_add_i32 s37, s37, 1
	s_cmp_eq_u32 s72, 2
	s_cbranch_scc1 .LBB113_1099
; %bb.1094:
	s_and_b32 s36, s37, 28
	s_add_u32 s28, s34, 0xc4
	s_addc_u32 s29, s35, 0
	s_mov_b32 s38, 0
	v_mov_b32_e32 v2, 0
	v_mov_b32_e32 v0, 0
	s_mov_b64 s[30:31], s[34:35]
	s_waitcnt vmcnt(0)
	v_mov_b32_e32 v4, v10
.LBB113_1095:                           ; =>This Inner Loop Header: Depth=1
	s_load_dwordx8 s[12:19], s[30:31], 0x4
	s_load_dwordx4 s[20:23], s[30:31], 0x24
	s_load_dwordx8 s[4:11], s[28:29], 0x0
	s_add_u32 s30, s30, 48
	s_addc_u32 s31, s31, 0
	s_waitcnt lgkmcnt(0)
	v_mul_hi_u32 v1, s13, v4
	v_add_u32_e32 v1, v4, v1
	v_lshrrev_b32_e32 v1, s14, v1
	v_mul_lo_u32 v3, v1, s12
	v_mul_hi_u32 v5, s16, v1
	v_sub_u32_e32 v3, v4, v3
	v_add_u32_e32 v4, v1, v5
	v_lshrrev_b32_e32 v4, s17, v4
	v_mul_lo_u32 v6, v4, s15
	v_mul_hi_u32 v7, s19, v4
	v_sub_u32_e32 v1, v1, v6
	v_add_u32_e32 v6, v4, v7
	v_mul_lo_u32 v5, v3, s5
	v_mul_lo_u32 v3, v3, s4
	;; [unrolled: 1-line block ×4, first 2 shown]
	v_lshrrev_b32_e32 v6, s20, v6
	v_add3_u32 v1, v3, v2, v1
	v_mul_hi_u32 v3, s22, v6
	v_mul_lo_u32 v2, v6, s18
	v_add_u32_e32 v3, v6, v3
	v_sub_u32_e32 v2, v4, v2
	v_lshrrev_b32_e32 v4, s23, v3
	s_add_i32 s38, s38, 4
	v_mul_lo_u32 v3, v4, s21
	s_add_u32 s28, s28, 32
	v_sub_u32_e32 v3, v6, v3
	s_addc_u32 s29, s29, 0
	v_add3_u32 v0, v5, v0, v7
	v_mul_lo_u32 v5, v2, s8
	v_mul_lo_u32 v2, v2, s9
	;; [unrolled: 1-line block ×4, first 2 shown]
	s_cmp_lg_u32 s36, s38
	v_add3_u32 v0, v2, v0, v3
	v_add3_u32 v2, v5, v1, v6
	s_cbranch_scc1 .LBB113_1095
; %bb.1096:
	v_mov_b32_e32 v1, v0
	s_and_b32 s8, s37, 3
	s_cmp_eq_u32 s8, 0
	s_cbranch_scc0 .LBB113_1100
	s_branch .LBB113_1102
.LBB113_1097:
                                        ; implicit-def: $vgpr0
                                        ; implicit-def: $vgpr2
	s_branch .LBB113_1103
.LBB113_1098:
	v_mov_b32_e32 v0, 0
	v_mov_b32_e32 v2, 0
	s_branch .LBB113_1102
.LBB113_1099:
	v_mov_b32_e32 v2, 0
                                        ; implicit-def: $vgpr0
	v_mov_b32_e32 v1, v2
	s_waitcnt vmcnt(0)
	v_mov_b32_e32 v4, v10
	s_and_b32 s8, s37, 3
	s_cmp_eq_u32 s8, 0
	s_cbranch_scc1 .LBB113_1102
.LBB113_1100:
	s_lshl_b32 s4, s36, 3
	s_add_u32 s4, s34, s4
	s_addc_u32 s5, s35, 0
	s_add_u32 s4, s4, 0xc4
	s_addc_u32 s5, s5, 0
	s_mul_i32 s6, s36, 12
	s_add_u32 s6, s34, s6
	s_addc_u32 s7, s35, 0
.LBB113_1101:                           ; =>This Inner Loop Header: Depth=1
	s_load_dwordx2 s[10:11], s[6:7], 0x4
	s_load_dword s9, s[6:7], 0xc
	s_load_dwordx2 s[12:13], s[4:5], 0x0
	v_mov_b32_e32 v0, v1
	s_add_u32 s6, s6, 12
	s_waitcnt lgkmcnt(0)
	v_mul_hi_u32 v1, s11, v4
	v_add_u32_e32 v1, v4, v1
	v_lshrrev_b32_e32 v1, s9, v1
	s_addc_u32 s7, s7, 0
	v_mul_lo_u32 v3, v1, s10
	s_add_u32 s4, s4, 8
	v_sub_u32_e32 v3, v4, v3
	s_addc_u32 s5, s5, 0
	s_add_i32 s8, s8, -1
	v_mov_b32_e32 v4, v1
	v_mad_u64_u32 v[0:1], s[10:11], v3, s13, v[0:1]
	s_cmp_lg_u32 s8, 0
	v_mad_u64_u32 v[2:3], s[10:11], v3, s12, v[2:3]
	v_mov_b32_e32 v1, v0
	s_cbranch_scc1 .LBB113_1101
.LBB113_1102:
	s_cbranch_execnz .LBB113_1105
.LBB113_1103:
	s_load_dwordx4 s[4:7], s[34:35], 0x4
	s_load_dwordx2 s[8:9], s[34:35], 0xc4
	s_cmp_lt_u32 s33, 2
	s_waitcnt lgkmcnt(0)
	v_mul_hi_u32 v0, s5, v10
	v_add_u32_e32 v0, v10, v0
	v_lshrrev_b32_e32 v1, s6, v0
	v_mul_lo_u32 v0, v1, s4
	v_sub_u32_e32 v2, v10, v0
	v_mul_lo_u32 v0, v2, s9
	v_mul_lo_u32 v2, v2, s8
	s_cbranch_scc1 .LBB113_1105
; %bb.1104:
	s_load_dwordx4 s[4:7], s[34:35], 0x10
	s_load_dwordx2 s[8:9], s[34:35], 0xcc
	s_waitcnt lgkmcnt(0)
	v_mul_hi_u32 v3, s5, v1
	v_add_u32_e32 v3, v1, v3
	v_lshrrev_b32_e32 v3, s6, v3
	v_mul_lo_u32 v3, v3, s4
	v_sub_u32_e32 v1, v1, v3
	v_mad_u64_u32 v[2:3], s[4:5], v1, s8, v[2:3]
	v_mad_u64_u32 v[0:1], s[4:5], v1, s9, v[0:1]
.LBB113_1105:
	s_and_b64 vcc, exec, s[2:3]
	v_add_u32_e32 v3, 0x80, v10
	s_cbranch_vccnz .LBB113_1111
; %bb.1106:
	s_cmp_lg_u32 s33, 0
	s_mov_b32 s36, 0
	s_cbranch_scc0 .LBB113_1112
; %bb.1107:
	s_min_u32 s37, s72, 15
	s_add_i32 s37, s37, 1
	s_cmp_eq_u32 s72, 2
	s_cbranch_scc1 .LBB113_1113
; %bb.1108:
	s_and_b32 s36, s37, 28
	s_add_u32 s28, s34, 0xc4
	s_addc_u32 s29, s35, 0
	s_mov_b32 s38, 0
	v_mov_b32_e32 v8, 0
	v_mov_b32_e32 v14, 0
	s_mov_b64 s[30:31], s[34:35]
	s_waitcnt vmcnt(0)
	v_mov_b32_e32 v4, v3
.LBB113_1109:                           ; =>This Inner Loop Header: Depth=1
	s_load_dwordx8 s[12:19], s[30:31], 0x4
	s_load_dwordx4 s[20:23], s[30:31], 0x24
	s_load_dwordx8 s[4:11], s[28:29], 0x0
	s_add_u32 s30, s30, 48
	s_addc_u32 s31, s31, 0
	s_waitcnt lgkmcnt(0)
	v_mul_hi_u32 v1, s13, v4
	v_add_u32_e32 v1, v4, v1
	v_lshrrev_b32_e32 v1, s14, v1
	v_mul_lo_u32 v5, v1, s12
	v_mul_hi_u32 v6, s16, v1
	v_sub_u32_e32 v4, v4, v5
	v_add_u32_e32 v5, v1, v6
	v_lshrrev_b32_e32 v5, s17, v5
	v_mul_lo_u32 v7, v5, s15
	v_mul_hi_u32 v9, s19, v5
	v_sub_u32_e32 v1, v1, v7
	v_add_u32_e32 v7, v5, v9
	v_mul_lo_u32 v6, v4, s5
	v_mul_lo_u32 v4, v4, s4
	;; [unrolled: 1-line block ×4, first 2 shown]
	v_lshrrev_b32_e32 v7, s20, v7
	v_add3_u32 v1, v4, v8, v1
	v_mul_lo_u32 v4, v7, s18
	v_mul_hi_u32 v8, s22, v7
	v_sub_u32_e32 v4, v5, v4
	v_add_u32_e32 v5, v7, v8
	v_add3_u32 v6, v6, v14, v9
	v_mul_lo_u32 v8, v4, s8
	v_mul_lo_u32 v9, v4, s9
	v_lshrrev_b32_e32 v4, s23, v5
	s_add_i32 s38, s38, 4
	v_mul_lo_u32 v5, v4, s21
	s_add_u32 s28, s28, 32
	v_sub_u32_e32 v5, v7, v5
	s_addc_u32 s29, s29, 0
	v_mul_lo_u32 v7, v5, s10
	v_mul_lo_u32 v5, v5, s11
	s_cmp_lg_u32 s36, s38
	v_add3_u32 v14, v9, v6, v5
	v_add3_u32 v8, v8, v1, v7
	s_cbranch_scc1 .LBB113_1109
; %bb.1110:
	v_mov_b32_e32 v1, v14
	s_and_b32 s8, s37, 3
	s_cmp_eq_u32 s8, 0
	s_cbranch_scc0 .LBB113_1114
	s_branch .LBB113_1116
.LBB113_1111:
                                        ; implicit-def: $vgpr14
                                        ; implicit-def: $vgpr8
	s_branch .LBB113_1117
.LBB113_1112:
	v_mov_b32_e32 v14, 0
	v_mov_b32_e32 v8, 0
	s_branch .LBB113_1116
.LBB113_1113:
	v_mov_b32_e32 v8, 0
                                        ; implicit-def: $vgpr14
	v_mov_b32_e32 v1, v8
	s_waitcnt vmcnt(0)
	v_mov_b32_e32 v4, v3
	s_and_b32 s8, s37, 3
	s_cmp_eq_u32 s8, 0
	s_cbranch_scc1 .LBB113_1116
.LBB113_1114:
	s_lshl_b32 s4, s36, 3
	s_add_u32 s4, s34, s4
	s_addc_u32 s5, s35, 0
	s_add_u32 s4, s4, 0xc4
	s_addc_u32 s5, s5, 0
	s_mul_i32 s6, s36, 12
	s_add_u32 s6, s34, s6
	s_addc_u32 s7, s35, 0
.LBB113_1115:                           ; =>This Inner Loop Header: Depth=1
	s_load_dwordx2 s[10:11], s[6:7], 0x4
	s_load_dword s9, s[6:7], 0xc
	s_load_dwordx2 s[12:13], s[4:5], 0x0
	v_mov_b32_e32 v6, v1
	s_add_u32 s6, s6, 12
	s_waitcnt lgkmcnt(0)
	v_mul_hi_u32 v1, s11, v4
	v_add_u32_e32 v1, v4, v1
	v_lshrrev_b32_e32 v1, s9, v1
	s_addc_u32 s7, s7, 0
	v_mul_lo_u32 v5, v1, s10
	s_add_u32 s4, s4, 8
	v_sub_u32_e32 v5, v4, v5
	s_addc_u32 s5, s5, 0
	s_add_i32 s8, s8, -1
	v_mad_u64_u32 v[14:15], s[10:11], v5, s13, v[6:7]
	s_cmp_lg_u32 s8, 0
	v_mov_b32_e32 v4, v1
	v_mad_u64_u32 v[8:9], s[10:11], v5, s12, v[8:9]
	v_mov_b32_e32 v1, v14
	s_cbranch_scc1 .LBB113_1115
.LBB113_1116:
	s_cbranch_execnz .LBB113_1119
.LBB113_1117:
	s_load_dwordx4 s[4:7], s[34:35], 0x4
	s_load_dwordx2 s[8:9], s[34:35], 0xc4
	s_cmp_lt_u32 s33, 2
	s_waitcnt lgkmcnt(0)
	v_mul_hi_u32 v1, s5, v3
	v_add_u32_e32 v1, v3, v1
	v_lshrrev_b32_e32 v1, s6, v1
	s_waitcnt vmcnt(0)
	v_mul_lo_u32 v4, v1, s4
	v_sub_u32_e32 v3, v3, v4
	v_mul_lo_u32 v14, v3, s9
	v_mul_lo_u32 v8, v3, s8
	s_cbranch_scc1 .LBB113_1119
; %bb.1118:
	s_load_dwordx4 s[4:7], s[34:35], 0x10
	s_load_dwordx2 s[8:9], s[34:35], 0xcc
	s_waitcnt lgkmcnt(0)
	v_mul_hi_u32 v3, s5, v1
	v_add_u32_e32 v3, v1, v3
	v_lshrrev_b32_e32 v3, s6, v3
	v_mul_lo_u32 v3, v3, s4
	v_sub_u32_e32 v1, v1, v3
	v_mad_u64_u32 v[8:9], s[4:5], v1, s8, v[8:9]
	v_mad_u64_u32 v[14:15], s[4:5], v1, s9, v[14:15]
.LBB113_1119:
	s_and_b64 vcc, exec, s[2:3]
	v_add_u32_e32 v3, 0x100, v10
	s_cbranch_vccnz .LBB113_1125
; %bb.1120:
	s_cmp_lg_u32 s33, 0
	s_mov_b32 s36, 0
	s_cbranch_scc0 .LBB113_1126
; %bb.1121:
	s_min_u32 s37, s72, 15
	s_add_i32 s37, s37, 1
	s_cmp_eq_u32 s72, 2
	s_cbranch_scc1 .LBB113_1127
; %bb.1122:
	s_and_b32 s36, s37, 28
	s_add_u32 s28, s34, 0xc4
	s_addc_u32 s29, s35, 0
	s_mov_b32 s38, 0
	s_waitcnt vmcnt(0)
	v_mov_b32_e32 v6, 0
	v_mov_b32_e32 v12, 0
	s_mov_b64 s[30:31], s[34:35]
	v_mov_b32_e32 v4, v3
.LBB113_1123:                           ; =>This Inner Loop Header: Depth=1
	s_load_dwordx8 s[12:19], s[30:31], 0x4
	s_load_dwordx4 s[20:23], s[30:31], 0x24
	s_load_dwordx8 s[4:11], s[28:29], 0x0
	s_add_u32 s30, s30, 48
	s_addc_u32 s31, s31, 0
	s_waitcnt lgkmcnt(0)
	v_mul_hi_u32 v1, s13, v4
	v_add_u32_e32 v1, v4, v1
	v_lshrrev_b32_e32 v1, s14, v1
	v_mul_lo_u32 v5, v1, s12
	v_mul_hi_u32 v7, s16, v1
	v_sub_u32_e32 v4, v4, v5
	v_add_u32_e32 v5, v1, v7
	v_lshrrev_b32_e32 v5, s17, v5
	v_mul_lo_u32 v9, v5, s15
	v_mul_hi_u32 v10, s19, v5
	v_sub_u32_e32 v1, v1, v9
	v_add_u32_e32 v9, v5, v10
	v_mul_lo_u32 v7, v4, s5
	v_mul_lo_u32 v4, v4, s4
	;; [unrolled: 1-line block ×4, first 2 shown]
	v_lshrrev_b32_e32 v9, s20, v9
	v_add3_u32 v1, v4, v6, v1
	v_add3_u32 v6, v7, v12, v10
	v_mul_lo_u32 v4, v9, s18
	v_mul_hi_u32 v7, s22, v9
	v_sub_u32_e32 v4, v5, v4
	v_add_u32_e32 v5, v9, v7
	v_mul_lo_u32 v7, v4, s8
	v_mul_lo_u32 v10, v4, s9
	v_lshrrev_b32_e32 v4, s23, v5
	s_add_i32 s38, s38, 4
	v_mul_lo_u32 v5, v4, s21
	s_add_u32 s28, s28, 32
	v_sub_u32_e32 v5, v9, v5
	s_addc_u32 s29, s29, 0
	v_mul_lo_u32 v9, v5, s10
	v_mul_lo_u32 v5, v5, s11
	s_cmp_lg_u32 s36, s38
	v_add3_u32 v12, v10, v6, v5
	v_add3_u32 v6, v7, v1, v9
	s_cbranch_scc1 .LBB113_1123
; %bb.1124:
	v_mov_b32_e32 v1, v12
	s_and_b32 s8, s37, 3
	s_cmp_eq_u32 s8, 0
	s_cbranch_scc0 .LBB113_1128
	s_branch .LBB113_1130
.LBB113_1125:
                                        ; implicit-def: $vgpr12
                                        ; implicit-def: $vgpr6
	s_branch .LBB113_1131
.LBB113_1126:
	v_mov_b32_e32 v12, 0
	s_waitcnt vmcnt(0)
	v_mov_b32_e32 v6, 0
	s_branch .LBB113_1130
.LBB113_1127:
	s_waitcnt vmcnt(0)
	v_mov_b32_e32 v6, 0
                                        ; implicit-def: $vgpr12
	v_mov_b32_e32 v1, v6
	v_mov_b32_e32 v4, v3
	s_and_b32 s8, s37, 3
	s_cmp_eq_u32 s8, 0
	s_cbranch_scc1 .LBB113_1130
.LBB113_1128:
	s_lshl_b32 s4, s36, 3
	s_add_u32 s4, s34, s4
	s_addc_u32 s5, s35, 0
	s_add_u32 s4, s4, 0xc4
	s_addc_u32 s5, s5, 0
	s_mul_i32 s6, s36, 12
	s_add_u32 s6, s34, s6
	s_addc_u32 s7, s35, 0
.LBB113_1129:                           ; =>This Inner Loop Header: Depth=1
	s_load_dwordx2 s[10:11], s[6:7], 0x4
	s_load_dword s9, s[6:7], 0xc
	s_load_dwordx2 s[12:13], s[4:5], 0x0
	v_mov_b32_e32 v10, v1
	s_add_u32 s6, s6, 12
	s_waitcnt lgkmcnt(0)
	v_mul_hi_u32 v1, s11, v4
	v_add_u32_e32 v1, v4, v1
	v_lshrrev_b32_e32 v1, s9, v1
	s_addc_u32 s7, s7, 0
	v_mul_lo_u32 v5, v1, s10
	s_add_u32 s4, s4, 8
	v_sub_u32_e32 v5, v4, v5
	s_addc_u32 s5, s5, 0
	s_add_i32 s8, s8, -1
	v_mad_u64_u32 v[12:13], s[10:11], v5, s13, v[10:11]
	s_cmp_lg_u32 s8, 0
	v_mov_b32_e32 v4, v1
	v_mad_u64_u32 v[6:7], s[10:11], v5, s12, v[6:7]
	v_mov_b32_e32 v1, v12
	s_cbranch_scc1 .LBB113_1129
.LBB113_1130:
	s_cbranch_execnz .LBB113_1133
.LBB113_1131:
	s_load_dwordx4 s[4:7], s[34:35], 0x4
	s_load_dwordx2 s[8:9], s[34:35], 0xc4
	s_cmp_lt_u32 s33, 2
	s_waitcnt lgkmcnt(0)
	v_mul_hi_u32 v1, s5, v3
	v_add_u32_e32 v1, v3, v1
	v_lshrrev_b32_e32 v1, s6, v1
	s_waitcnt vmcnt(0)
	v_mul_lo_u32 v4, v1, s4
	v_sub_u32_e32 v3, v3, v4
	v_mul_lo_u32 v12, v3, s9
	v_mul_lo_u32 v6, v3, s8
	s_cbranch_scc1 .LBB113_1133
; %bb.1132:
	s_load_dwordx4 s[4:7], s[34:35], 0x10
	s_load_dwordx2 s[8:9], s[34:35], 0xcc
	s_waitcnt lgkmcnt(0)
	v_mul_hi_u32 v3, s5, v1
	v_add_u32_e32 v3, v1, v3
	v_lshrrev_b32_e32 v3, s6, v3
	v_mul_lo_u32 v3, v3, s4
	v_sub_u32_e32 v1, v1, v3
	v_mad_u64_u32 v[6:7], s[4:5], v1, s8, v[6:7]
	v_mad_u64_u32 v[12:13], s[4:5], v1, s9, v[12:13]
.LBB113_1133:
	s_and_b64 vcc, exec, s[2:3]
	s_cbranch_vccnz .LBB113_1139
; %bb.1134:
	s_cmp_lg_u32 s33, 0
	s_mov_b32 s30, 0
	s_cbranch_scc0 .LBB113_1140
; %bb.1135:
	s_min_u32 s31, s72, 15
	s_add_i32 s31, s31, 1
	s_cmp_eq_u32 s72, 2
	s_cbranch_scc1 .LBB113_1141
; %bb.1136:
	s_and_b32 s30, s31, 28
	s_add_u32 s2, s34, 0xc4
	s_addc_u32 s3, s35, 0
	s_mov_b32 s36, 0
	s_waitcnt vmcnt(0)
	v_mov_b32_e32 v4, 0
	v_mov_b32_e32 v10, 0
	s_mov_b64 s[28:29], s[34:35]
	v_mov_b32_e32 v3, v16
.LBB113_1137:                           ; =>This Inner Loop Header: Depth=1
	s_load_dwordx8 s[12:19], s[28:29], 0x4
	s_load_dwordx4 s[20:23], s[28:29], 0x24
	s_load_dwordx8 s[4:11], s[2:3], 0x0
	s_add_u32 s28, s28, 48
	s_addc_u32 s29, s29, 0
	s_waitcnt lgkmcnt(0)
	v_mul_hi_u32 v1, s13, v3
	v_add_u32_e32 v1, v3, v1
	v_lshrrev_b32_e32 v1, s14, v1
	v_mul_lo_u32 v5, v1, s12
	v_mul_hi_u32 v7, s16, v1
	v_sub_u32_e32 v3, v3, v5
	v_add_u32_e32 v5, v1, v7
	v_lshrrev_b32_e32 v5, s17, v5
	v_mul_lo_u32 v9, v5, s15
	v_mul_hi_u32 v11, s19, v5
	v_sub_u32_e32 v1, v1, v9
	v_add_u32_e32 v9, v5, v11
	v_mul_lo_u32 v7, v3, s5
	v_mul_lo_u32 v3, v3, s4
	;; [unrolled: 1-line block ×4, first 2 shown]
	v_lshrrev_b32_e32 v9, s20, v9
	v_add3_u32 v1, v3, v4, v1
	v_add3_u32 v4, v7, v10, v11
	v_mul_lo_u32 v3, v9, s18
	v_mul_hi_u32 v7, s22, v9
	v_sub_u32_e32 v3, v5, v3
	v_add_u32_e32 v5, v9, v7
	v_mul_lo_u32 v7, v3, s8
	v_mul_lo_u32 v10, v3, s9
	v_lshrrev_b32_e32 v3, s23, v5
	s_add_i32 s36, s36, 4
	v_mul_lo_u32 v5, v3, s21
	s_add_u32 s2, s2, 32
	v_sub_u32_e32 v5, v9, v5
	s_addc_u32 s3, s3, 0
	v_mul_lo_u32 v9, v5, s10
	v_mul_lo_u32 v5, v5, s11
	s_cmp_lg_u32 s30, s36
	v_add3_u32 v10, v10, v4, v5
	v_add3_u32 v4, v7, v1, v9
	s_cbranch_scc1 .LBB113_1137
; %bb.1138:
	v_mov_b32_e32 v1, v10
	s_and_b32 s6, s31, 3
	s_cmp_eq_u32 s6, 0
	s_cbranch_scc0 .LBB113_1142
	s_branch .LBB113_1144
.LBB113_1139:
                                        ; implicit-def: $vgpr10
                                        ; implicit-def: $vgpr4
	s_branch .LBB113_1145
.LBB113_1140:
	v_mov_b32_e32 v10, 0
	s_waitcnt vmcnt(0)
	v_mov_b32_e32 v4, 0
	s_branch .LBB113_1144
.LBB113_1141:
	s_waitcnt vmcnt(0)
	v_mov_b32_e32 v4, 0
                                        ; implicit-def: $vgpr10
	v_mov_b32_e32 v1, v4
	v_mov_b32_e32 v3, v16
	s_and_b32 s6, s31, 3
	s_cmp_eq_u32 s6, 0
	s_cbranch_scc1 .LBB113_1144
.LBB113_1142:
	s_lshl_b32 s2, s30, 3
	s_add_u32 s2, s34, s2
	s_addc_u32 s3, s35, 0
	s_add_u32 s2, s2, 0xc4
	s_addc_u32 s3, s3, 0
	s_mul_i32 s4, s30, 12
	s_add_u32 s4, s34, s4
	s_addc_u32 s5, s35, 0
.LBB113_1143:                           ; =>This Inner Loop Header: Depth=1
	s_load_dwordx2 s[8:9], s[4:5], 0x4
	s_load_dword s7, s[4:5], 0xc
	s_load_dwordx2 s[10:11], s[2:3], 0x0
	v_mov_b32_e32 v10, v1
	s_add_u32 s4, s4, 12
	s_waitcnt lgkmcnt(0)
	v_mul_hi_u32 v1, s9, v3
	v_add_u32_e32 v1, v3, v1
	v_lshrrev_b32_e32 v1, s7, v1
	s_addc_u32 s5, s5, 0
	v_mul_lo_u32 v5, v1, s8
	s_add_u32 s2, s2, 8
	v_sub_u32_e32 v5, v3, v5
	s_addc_u32 s3, s3, 0
	s_add_i32 s6, s6, -1
	v_mad_u64_u32 v[10:11], s[8:9], v5, s11, v[10:11]
	s_cmp_lg_u32 s6, 0
	v_mov_b32_e32 v3, v1
	v_mad_u64_u32 v[4:5], s[8:9], v5, s10, v[4:5]
	v_mov_b32_e32 v1, v10
	s_cbranch_scc1 .LBB113_1143
.LBB113_1144:
	s_cbranch_execnz .LBB113_1147
.LBB113_1145:
	s_load_dwordx4 s[4:7], s[34:35], 0x4
	s_load_dwordx2 s[2:3], s[34:35], 0xc4
	s_cmp_lt_u32 s33, 2
	s_waitcnt lgkmcnt(0)
	v_mul_hi_u32 v1, s5, v16
	v_add_u32_e32 v1, v16, v1
	v_lshrrev_b32_e32 v1, s6, v1
	v_mul_lo_u32 v3, v1, s4
	v_sub_u32_e32 v3, v16, v3
	v_mul_lo_u32 v10, v3, s3
	s_waitcnt vmcnt(0)
	v_mul_lo_u32 v4, v3, s2
	s_cbranch_scc1 .LBB113_1147
; %bb.1146:
	s_load_dwordx4 s[4:7], s[34:35], 0x10
	s_load_dwordx2 s[2:3], s[34:35], 0xcc
	s_waitcnt lgkmcnt(0)
	v_mul_hi_u32 v3, s5, v1
	v_add_u32_e32 v3, v1, v3
	v_lshrrev_b32_e32 v3, s6, v3
	v_mul_lo_u32 v3, v3, s4
	v_sub_u32_e32 v1, v1, v3
	v_mad_u64_u32 v[4:5], s[4:5], v1, s2, v[4:5]
	v_mad_u64_u32 v[10:11], s[2:3], v1, s3, v[10:11]
.LBB113_1147:
	s_load_dword s16, s[0:1], 0x160
	s_load_dwordx4 s[4:7], s[34:35], 0x148
	v_mov_b32_e32 v1, 0
	s_waitcnt lgkmcnt(0)
	s_bfe_u32 s14, s16, 0x80010
	s_cmp_lt_i32 s14, 11
	v_lshl_add_u64 v[16:17], s[6:7], 0, v[0:1]
	s_cbranch_scc1 .LBB113_1154
; %bb.1148:
	s_and_b32 s15, 0xffff, s14
	s_cmp_gt_i32 s15, 25
	s_mov_b64 s[8:9], 0
	s_cbranch_scc0 .LBB113_1156
; %bb.1149:
	s_cmp_gt_i32 s15, 28
	s_cbranch_scc0 .LBB113_1157
; %bb.1150:
	s_cmp_gt_i32 s15, 43
	s_cbranch_scc0 .LBB113_1158
; %bb.1151:
	s_cmp_gt_i32 s15, 45
	s_cbranch_scc0 .LBB113_1159
; %bb.1152:
	s_cmp_eq_u32 s15, 46
	s_mov_b64 s[2:3], 0
	s_cbranch_scc0 .LBB113_1162
; %bb.1153:
	global_load_dword v0, v[16:17], off
	s_mov_b64 s[0:1], 0
	s_mov_b64 s[10:11], -1
	s_waitcnt vmcnt(0)
	v_lshlrev_b32_e32 v0, 16, v0
	v_cvt_f64_f32_e32 v[0:1], v0
	s_branch .LBB113_1163
.LBB113_1154:
	s_mov_b64 s[10:11], 0
                                        ; implicit-def: $vgpr0_vgpr1
	s_mov_b64 s[2:3], s[24:25]
	s_cbranch_execnz .LBB113_1226
.LBB113_1155:
	s_andn2_b64 vcc, exec, s[10:11]
	s_cbranch_vccz .LBB113_1271
	s_branch .LBB113_2092
.LBB113_1156:
	s_mov_b64 s[10:11], 0
	s_mov_b64 s[0:1], 0
                                        ; implicit-def: $vgpr0_vgpr1
	s_cbranch_execnz .LBB113_1193
	s_branch .LBB113_1222
.LBB113_1157:
	s_mov_b64 s[2:3], -1
	s_mov_b64 s[10:11], 0
	s_mov_b64 s[0:1], 0
                                        ; implicit-def: $vgpr0_vgpr1
	s_branch .LBB113_1172
.LBB113_1158:
	s_mov_b64 s[10:11], 0
	s_mov_b64 s[0:1], 0
                                        ; implicit-def: $vgpr0_vgpr1
	s_cbranch_execnz .LBB113_1168
	s_branch .LBB113_1171
.LBB113_1159:
	s_mov_b64 s[2:3], -1
	s_mov_b64 s[10:11], 0
	s_mov_b64 s[0:1], 0
                                        ; implicit-def: $vgpr0_vgpr1
	s_branch .LBB113_1163
.LBB113_1160:
	s_andn2_saveexec_b64 s[12:13], s[12:13]
	s_cbranch_execz .LBB113_999
.LBB113_1161:
	s_mov_b32 s14, 0x46000000
	v_add_f32_e64 v3, |v2|, s14
	v_and_b32_e32 v3, 0xff, v3
	v_cmp_ne_u32_e32 vcc, 0, v3
	s_andn2_b64 s[10:11], s[10:11], exec
	s_and_b64 s[14:15], vcc, exec
	s_or_b64 s[10:11], s[10:11], s[14:15]
	s_or_b64 exec, exec, s[12:13]
	v_mov_b32_e32 v6, 0
	s_and_saveexec_b64 s[12:13], s[10:11]
	s_cbranch_execnz .LBB113_1000
	s_branch .LBB113_1001
.LBB113_1162:
	s_mov_b64 s[0:1], -1
                                        ; implicit-def: $vgpr0_vgpr1
	s_mov_b64 s[10:11], 0
.LBB113_1163:
	s_and_b64 vcc, exec, s[2:3]
	s_cbranch_vccz .LBB113_1166
; %bb.1164:
	s_cmp_eq_u32 s15, 44
	s_cbranch_scc0 .LBB113_1167
; %bb.1165:
	global_load_ubyte v3, v[16:17], off
	s_movk_i32 s2, 0xff
	s_waitcnt vmcnt(1)
	v_bfrev_b32_e32 v5, 4
	v_mov_b32_e32 v7, 0x7ff80000
	v_bfrev_b32_e32 v9, 28
	s_mov_b64 s[0:1], 0
	s_mov_b64 s[10:11], -1
	s_waitcnt vmcnt(0)
	v_lshlrev_b32_e32 v0, 23, v3
	v_cvt_f64_f32_e32 v[0:1], v0
	v_cmp_ne_u32_e32 vcc, s2, v3
	s_nop 1
	v_cndmask_b32_e32 v0, v5, v0, vcc
	v_cndmask_b32_e32 v1, v7, v1, vcc
	v_cmp_ne_u32_e32 vcc, 0, v3
	s_nop 1
	v_cndmask_b32_e32 v1, v9, v1, vcc
	v_cndmask_b32_e32 v0, 0, v0, vcc
.LBB113_1166:
	s_branch .LBB113_1171
.LBB113_1167:
	s_mov_b64 s[0:1], -1
                                        ; implicit-def: $vgpr0_vgpr1
	s_branch .LBB113_1171
.LBB113_1168:
	s_cmp_eq_u32 s15, 29
	s_cbranch_scc0 .LBB113_1170
; %bb.1169:
	global_load_dwordx2 v[0:1], v[16:17], off
	s_mov_b64 s[0:1], 0
	s_mov_b64 s[10:11], -1
	s_mov_b64 s[2:3], 0
	s_waitcnt vmcnt(0)
	v_cvt_f64_u32_e32 v[18:19], v1
	v_cvt_f64_u32_e32 v[0:1], v0
	v_ldexp_f64 v[18:19], v[18:19], 32
	v_add_f64 v[0:1], v[18:19], v[0:1]
	s_branch .LBB113_1172
.LBB113_1170:
	s_mov_b64 s[0:1], -1
                                        ; implicit-def: $vgpr0_vgpr1
.LBB113_1171:
	s_mov_b64 s[2:3], 0
.LBB113_1172:
	s_and_b64 vcc, exec, s[2:3]
	s_cbranch_vccz .LBB113_1192
; %bb.1173:
	s_cmp_lt_i32 s15, 27
	s_cbranch_scc1 .LBB113_1176
; %bb.1174:
	s_cmp_gt_i32 s15, 27
	s_cbranch_scc0 .LBB113_1177
; %bb.1175:
	global_load_dword v0, v[16:17], off
	s_mov_b64 s[2:3], 0
	s_waitcnt vmcnt(0)
	v_cvt_f64_u32_e32 v[0:1], v0
	s_branch .LBB113_1178
.LBB113_1176:
	s_mov_b64 s[2:3], -1
                                        ; implicit-def: $vgpr0_vgpr1
	s_branch .LBB113_1181
.LBB113_1177:
	s_mov_b64 s[2:3], -1
                                        ; implicit-def: $vgpr0_vgpr1
.LBB113_1178:
	s_andn2_b64 vcc, exec, s[2:3]
	s_cbranch_vccnz .LBB113_1180
; %bb.1179:
	global_load_ushort v0, v[16:17], off
	s_waitcnt vmcnt(0)
	v_cvt_f64_u32_e32 v[0:1], v0
.LBB113_1180:
	s_mov_b64 s[2:3], 0
.LBB113_1181:
	s_andn2_b64 vcc, exec, s[2:3]
	s_cbranch_vccnz .LBB113_1191
; %bb.1182:
	global_load_ubyte v3, v[16:17], off
	s_movk_i32 s2, 0x7f
	s_waitcnt vmcnt(0)
	v_cmp_lt_i16_e32 vcc, s2, v3
	s_mov_b64 s[2:3], 0
	s_and_saveexec_b64 s[10:11], vcc
	s_xor_b64 s[10:11], exec, s[10:11]
	s_cbranch_execz .LBB113_1186
; %bb.1183:
	s_movk_i32 s2, 0x80
	v_cmp_eq_u16_e32 vcc, s2, v3
	s_mov_b64 s[2:3], -1
	s_and_saveexec_b64 s[12:13], vcc
; %bb.1184:
	s_xor_b64 s[2:3], exec, -1
; %bb.1185:
	s_or_b64 exec, exec, s[12:13]
	s_and_b64 s[2:3], s[2:3], exec
.LBB113_1186:
	s_or_saveexec_b64 s[10:11], s[10:11]
	v_bfrev_b32_e32 v0, 4
	v_mov_b32_e32 v1, 0x7ff80000
	s_xor_b64 exec, exec, s[10:11]
; %bb.1187:
	v_cmp_ne_u16_e32 vcc, 0, v3
	s_andn2_b64 s[2:3], s[2:3], exec
	s_and_b64 s[12:13], vcc, exec
	v_mov_b64_e32 v[0:1], 0
	s_or_b64 s[2:3], s[2:3], s[12:13]
; %bb.1188:
	s_or_b64 exec, exec, s[10:11]
	s_and_saveexec_b64 s[10:11], s[2:3]
	s_cbranch_execz .LBB113_1190
; %bb.1189:
	v_and_b32_e32 v1, 0xffff, v3
	v_lshlrev_b32_e32 v0, 24, v3
	v_and_b32_e32 v3, 7, v1
	v_ffbh_u32_e32 v7, v3
	v_min_u32_e32 v7, 32, v7
	v_subrev_u32_e32 v9, 28, v7
	v_bfe_u32 v5, v1, 3, 4
	v_lshlrev_b32_e32 v1, v9, v1
	v_sub_u32_e32 v7, 29, v7
	v_and_b32_e32 v1, 7, v1
	v_cmp_eq_u32_e32 vcc, 0, v5
	v_and_b32_e32 v0, 0x80000000, v0
	s_nop 0
	v_cndmask_b32_e32 v5, v5, v7, vcc
	v_cndmask_b32_e32 v1, v3, v1, vcc
	v_mov_b32_e32 v3, 0x3b800000
	v_lshlrev_b32_e32 v1, 20, v1
	v_lshl_add_u32 v3, v5, 23, v3
	v_or3_b32 v0, v0, v3, v1
	v_cvt_f64_f32_e32 v[0:1], v0
.LBB113_1190:
	s_or_b64 exec, exec, s[10:11]
.LBB113_1191:
	s_mov_b64 s[10:11], -1
.LBB113_1192:
	s_branch .LBB113_1222
.LBB113_1193:
	s_cmp_gt_i32 s15, 22
	s_cbranch_scc0 .LBB113_1205
; %bb.1194:
	s_cmp_lt_i32 s15, 24
	s_cbranch_scc1 .LBB113_1206
; %bb.1195:
	s_cmp_gt_i32 s15, 24
	s_cbranch_scc0 .LBB113_1207
; %bb.1196:
	global_load_ubyte v3, v[16:17], off
	s_movk_i32 s2, 0x7f
	s_waitcnt vmcnt(0)
	v_cmp_lt_i16_e32 vcc, s2, v3
	s_mov_b64 s[2:3], 0
	s_and_saveexec_b64 s[8:9], vcc
	s_xor_b64 s[8:9], exec, s[8:9]
	s_cbranch_execz .LBB113_1200
; %bb.1197:
	s_movk_i32 s2, 0x80
	v_cmp_eq_u16_e32 vcc, s2, v3
	s_mov_b64 s[2:3], -1
	s_and_saveexec_b64 s[10:11], vcc
; %bb.1198:
	s_xor_b64 s[2:3], exec, -1
; %bb.1199:
	s_or_b64 exec, exec, s[10:11]
	s_and_b64 s[2:3], s[2:3], exec
.LBB113_1200:
	s_or_saveexec_b64 s[8:9], s[8:9]
	v_bfrev_b32_e32 v0, 4
	v_mov_b32_e32 v1, 0x7ff80000
	s_xor_b64 exec, exec, s[8:9]
; %bb.1201:
	v_cmp_ne_u16_e32 vcc, 0, v3
	s_andn2_b64 s[2:3], s[2:3], exec
	s_and_b64 s[10:11], vcc, exec
	v_mov_b64_e32 v[0:1], 0
	s_or_b64 s[2:3], s[2:3], s[10:11]
; %bb.1202:
	s_or_b64 exec, exec, s[8:9]
	s_and_saveexec_b64 s[8:9], s[2:3]
	s_cbranch_execz .LBB113_1204
; %bb.1203:
	v_and_b32_e32 v1, 0xffff, v3
	v_lshlrev_b32_e32 v0, 24, v3
	v_and_b32_e32 v3, 3, v1
	v_ffbh_u32_e32 v7, v3
	v_min_u32_e32 v7, 32, v7
	v_subrev_u32_e32 v9, 29, v7
	v_bfe_u32 v5, v1, 2, 5
	v_lshlrev_b32_e32 v1, v9, v1
	v_sub_u32_e32 v7, 30, v7
	v_and_b32_e32 v1, 3, v1
	v_cmp_eq_u32_e32 vcc, 0, v5
	v_and_b32_e32 v0, 0x80000000, v0
	s_nop 0
	v_cndmask_b32_e32 v5, v5, v7, vcc
	v_cndmask_b32_e32 v1, v3, v1, vcc
	v_mov_b32_e32 v3, 0x37800000
	v_lshlrev_b32_e32 v1, 21, v1
	v_lshl_add_u32 v3, v5, 23, v3
	v_or3_b32 v0, v0, v3, v1
	v_cvt_f64_f32_e32 v[0:1], v0
.LBB113_1204:
	s_or_b64 exec, exec, s[8:9]
	s_mov_b64 s[2:3], 0
	s_branch .LBB113_1208
.LBB113_1205:
                                        ; implicit-def: $vgpr0_vgpr1
	s_mov_b64 s[8:9], 0
	s_branch .LBB113_1214
.LBB113_1206:
	s_mov_b64 s[2:3], -1
                                        ; implicit-def: $vgpr0_vgpr1
	s_branch .LBB113_1211
.LBB113_1207:
	s_mov_b64 s[2:3], -1
                                        ; implicit-def: $vgpr0_vgpr1
.LBB113_1208:
	s_and_b64 vcc, exec, s[2:3]
	s_cbranch_vccz .LBB113_1210
; %bb.1209:
	global_load_ubyte v0, v[16:17], off
	s_mov_b32 s2, 0x7f800000
	s_waitcnt vmcnt(0)
	v_lshlrev_b32_e32 v0, 24, v0
	v_and_b32_e32 v1, 0x7f000000, v0
	v_ffbh_u32_e32 v3, v1
	v_min_u32_e32 v3, 32, v3
	v_sub_u32_e64 v3, v3, 4 clamp
	v_lshlrev_b32_e32 v7, v3, v1
	v_lshlrev_b32_e32 v3, 23, v3
	v_lshrrev_b32_e32 v7, 4, v7
	v_add_u32_e32 v5, 0x1000000, v1
	v_sub_u32_e32 v3, v7, v3
	v_ashrrev_i32_e32 v5, 8, v5
	v_add_u32_e32 v3, 0x3c000000, v3
	v_and_or_b32 v3, v5, s2, v3
	v_cmp_ne_u32_e32 vcc, 0, v1
	s_brev_b32 s2, 1
	s_nop 0
	v_cndmask_b32_e32 v1, 0, v3, vcc
	v_and_or_b32 v0, v0, s2, v1
	v_cvt_f64_f32_e32 v[0:1], v0
.LBB113_1210:
	s_mov_b64 s[2:3], 0
.LBB113_1211:
	s_andn2_b64 vcc, exec, s[2:3]
	s_cbranch_vccnz .LBB113_1213
; %bb.1212:
	global_load_ubyte v0, v[16:17], off
	s_movk_i32 s2, 0x7f00
	s_brev_b32 s3, 16
	s_waitcnt vmcnt(0)
	v_lshlrev_b16_e32 v1, 8, v0
	v_lshlrev_b32_e32 v0, 25, v0
	v_lshrrev_b32_e32 v3, 4, v0
	v_and_or_b32 v5, v1, s2, 0.5
	v_or_b32_e32 v3, 0x70000000, v3
	v_add_f32_e32 v5, -0.5, v5
	v_mul_f32_e32 v3, 0x7800000, v3
	v_cmp_gt_u32_e32 vcc, s3, v0
	v_bfe_i32 v1, v1, 0, 16
	s_brev_b32 s2, 1
	v_cndmask_b32_e32 v0, v3, v5, vcc
	v_and_or_b32 v0, v1, s2, v0
	v_cvt_f64_f32_e32 v[0:1], v0
.LBB113_1213:
	s_mov_b64 s[10:11], -1
	s_mov_b64 s[8:9], 0
	s_cbranch_execnz .LBB113_1222
.LBB113_1214:
	s_cmp_gt_i32 s15, 14
	s_cbranch_scc0 .LBB113_1217
; %bb.1215:
	s_cmp_eq_u32 s15, 15
	s_cbranch_scc0 .LBB113_1218
; %bb.1216:
	global_load_ushort v0, v[16:17], off
	s_mov_b64 s[0:1], 0
	s_mov_b64 s[10:11], -1
	s_waitcnt vmcnt(0)
	v_lshlrev_b32_e32 v0, 16, v0
	v_cvt_f64_f32_e32 v[0:1], v0
	s_branch .LBB113_1219
.LBB113_1217:
	s_mov_b64 s[2:3], -1
                                        ; implicit-def: $vgpr0_vgpr1
	s_branch .LBB113_1220
.LBB113_1218:
	s_mov_b64 s[0:1], -1
                                        ; implicit-def: $vgpr0_vgpr1
.LBB113_1219:
	s_mov_b64 s[2:3], 0
.LBB113_1220:
	s_and_b64 vcc, exec, s[2:3]
	s_cbranch_vccz .LBB113_1222
; %bb.1221:
	s_cmp_lg_u32 s15, 11
	s_mov_b64 s[8:9], -1
	s_cselect_b64 s[0:1], -1, 0
.LBB113_1222:
	s_and_b64 vcc, exec, s[0:1]
	s_mov_b64 s[2:3], s[24:25]
	s_cbranch_vccnz .LBB113_1283
; %bb.1223:
	s_andn2_b64 vcc, exec, s[8:9]
	s_cbranch_vccnz .LBB113_1225
.LBB113_1224:
	global_load_ubyte v1, v[16:17], off
	v_mov_b32_e32 v3, 0x3ff00000
	v_mov_b32_e32 v0, 0
	s_mov_b64 s[10:11], -1
	s_waitcnt vmcnt(0)
	v_cmp_ne_u16_e32 vcc, 0, v1
	s_nop 1
	v_cndmask_b32_e32 v1, 0, v3, vcc
.LBB113_1225:
	s_branch .LBB113_1155
.LBB113_1226:
	s_and_b32 s8, 0xffff, s14
	s_cmp_lt_i32 s8, 5
	s_cbranch_scc1 .LBB113_1231
; %bb.1227:
	s_cmp_lt_i32 s8, 8
	s_cbranch_scc1 .LBB113_1232
; %bb.1228:
	;; [unrolled: 3-line block ×3, first 2 shown]
	s_cmp_gt_i32 s8, 9
	s_cbranch_scc0 .LBB113_1234
; %bb.1230:
	global_load_dwordx2 v[0:1], v[16:17], off
	s_mov_b64 s[0:1], 0
	s_branch .LBB113_1235
.LBB113_1231:
                                        ; implicit-def: $vgpr0_vgpr1
	s_branch .LBB113_1252
.LBB113_1232:
                                        ; implicit-def: $vgpr0_vgpr1
	s_branch .LBB113_1241
.LBB113_1233:
	s_mov_b64 s[0:1], -1
                                        ; implicit-def: $vgpr0_vgpr1
	s_branch .LBB113_1238
.LBB113_1234:
	s_mov_b64 s[0:1], -1
                                        ; implicit-def: $vgpr0_vgpr1
.LBB113_1235:
	s_andn2_b64 vcc, exec, s[0:1]
	s_cbranch_vccnz .LBB113_1237
; %bb.1236:
	global_load_dword v0, v[16:17], off
	s_waitcnt vmcnt(0)
	v_cvt_f64_f32_e32 v[0:1], v0
.LBB113_1237:
	s_mov_b64 s[0:1], 0
.LBB113_1238:
	s_andn2_b64 vcc, exec, s[0:1]
	s_cbranch_vccnz .LBB113_1240
; %bb.1239:
	global_load_dword v0, v[16:17], off
	s_waitcnt vmcnt(0)
	v_cvt_f32_f16_e32 v0, v0
	v_cvt_f64_f32_e32 v[0:1], v0
.LBB113_1240:
	s_cbranch_execnz .LBB113_1251
.LBB113_1241:
	s_cmp_lt_i32 s8, 6
	s_cbranch_scc1 .LBB113_1244
; %bb.1242:
	s_cmp_gt_i32 s8, 6
	s_cbranch_scc0 .LBB113_1245
; %bb.1243:
	global_load_dwordx2 v[0:1], v[16:17], off
	s_mov_b64 s[0:1], 0
	s_branch .LBB113_1246
.LBB113_1244:
	s_mov_b64 s[0:1], -1
                                        ; implicit-def: $vgpr0_vgpr1
	s_branch .LBB113_1249
.LBB113_1245:
	s_mov_b64 s[0:1], -1
                                        ; implicit-def: $vgpr0_vgpr1
.LBB113_1246:
	s_andn2_b64 vcc, exec, s[0:1]
	s_cbranch_vccnz .LBB113_1248
; %bb.1247:
	global_load_dword v0, v[16:17], off
	s_waitcnt vmcnt(0)
	v_cvt_f64_f32_e32 v[0:1], v0
.LBB113_1248:
	s_mov_b64 s[0:1], 0
.LBB113_1249:
	s_andn2_b64 vcc, exec, s[0:1]
	s_cbranch_vccnz .LBB113_1251
; %bb.1250:
	global_load_ushort v0, v[16:17], off
	s_waitcnt vmcnt(0)
	v_cvt_f32_f16_e32 v0, v0
	v_cvt_f64_f32_e32 v[0:1], v0
.LBB113_1251:
	s_cbranch_execnz .LBB113_1270
.LBB113_1252:
	s_cmp_lt_i32 s8, 2
	s_cbranch_scc1 .LBB113_1256
; %bb.1253:
	s_cmp_lt_i32 s8, 3
	s_cbranch_scc1 .LBB113_1257
; %bb.1254:
	s_cmp_gt_i32 s8, 3
	s_cbranch_scc0 .LBB113_1258
; %bb.1255:
	global_load_dwordx2 v[0:1], v[16:17], off
	s_mov_b64 s[0:1], 0
	s_waitcnt vmcnt(0)
	v_cvt_f64_i32_e32 v[18:19], v1
	v_cvt_f64_u32_e32 v[0:1], v0
	v_ldexp_f64 v[18:19], v[18:19], 32
	v_add_f64 v[0:1], v[18:19], v[0:1]
	s_branch .LBB113_1259
.LBB113_1256:
                                        ; implicit-def: $vgpr0_vgpr1
	s_branch .LBB113_1265
.LBB113_1257:
	s_mov_b64 s[0:1], -1
                                        ; implicit-def: $vgpr0_vgpr1
	s_branch .LBB113_1262
.LBB113_1258:
	s_mov_b64 s[0:1], -1
                                        ; implicit-def: $vgpr0_vgpr1
.LBB113_1259:
	s_andn2_b64 vcc, exec, s[0:1]
	s_cbranch_vccnz .LBB113_1261
; %bb.1260:
	global_load_dword v0, v[16:17], off
	s_waitcnt vmcnt(0)
	v_cvt_f64_i32_e32 v[0:1], v0
.LBB113_1261:
	s_mov_b64 s[0:1], 0
.LBB113_1262:
	s_andn2_b64 vcc, exec, s[0:1]
	s_cbranch_vccnz .LBB113_1264
; %bb.1263:
	global_load_sshort v0, v[16:17], off
	s_waitcnt vmcnt(0)
	v_cvt_f64_i32_e32 v[0:1], v0
.LBB113_1264:
	s_cbranch_execnz .LBB113_1270
.LBB113_1265:
	s_cmp_gt_i32 s8, 0
	s_cbranch_scc0 .LBB113_1267
; %bb.1266:
	global_load_sbyte v0, v[16:17], off
	s_mov_b64 s[0:1], 0
	s_waitcnt vmcnt(0)
	v_cvt_f64_i32_e32 v[0:1], v0
	s_branch .LBB113_1268
.LBB113_1267:
	s_mov_b64 s[0:1], -1
                                        ; implicit-def: $vgpr0_vgpr1
.LBB113_1268:
	s_andn2_b64 vcc, exec, s[0:1]
	s_cbranch_vccnz .LBB113_1270
; %bb.1269:
	global_load_ubyte v0, v[16:17], off
	s_waitcnt vmcnt(0)
	v_cvt_f64_u32_e32 v[0:1], v0
.LBB113_1270:
.LBB113_1271:
	s_lshr_b32 s0, s16, 16
	v_mov_b32_e32 v15, 0
	s_and_b32 s17, s0, 0xff
	s_cmp_lt_i32 s17, 11
	v_lshl_add_u64 v[16:17], s[6:7], 0, v[14:15]
	s_cbranch_scc1 .LBB113_1278
; %bb.1272:
	s_and_b32 s18, 0xffff, s17
	s_cmp_gt_i32 s18, 25
	s_mov_b64 s[8:9], 0
	s_cbranch_scc0 .LBB113_1280
; %bb.1273:
	s_cmp_gt_i32 s18, 28
	s_cbranch_scc0 .LBB113_1281
; %bb.1274:
	s_cmp_gt_i32 s18, 43
	;; [unrolled: 3-line block ×3, first 2 shown]
	s_cbranch_scc0 .LBB113_1284
; %bb.1276:
	s_cmp_eq_u32 s18, 46
	s_mov_b64 s[12:13], 0
	s_cbranch_scc0 .LBB113_1287
; %bb.1277:
	global_load_dword v3, v[16:17], off
	s_mov_b64 s[0:1], 0
	s_mov_b64 s[10:11], -1
	s_waitcnt vmcnt(0)
	v_lshlrev_b32_e32 v3, 16, v3
	v_cvt_f64_f32_e32 v[14:15], v3
	s_branch .LBB113_1288
.LBB113_1278:
	s_mov_b64 s[10:11], 0
                                        ; implicit-def: $vgpr14_vgpr15
	s_cbranch_execnz .LBB113_1353
.LBB113_1279:
	s_andn2_b64 vcc, exec, s[10:11]
	s_cbranch_vccnz .LBB113_2092
	s_branch .LBB113_1400
.LBB113_1280:
	s_mov_b64 s[10:11], 0
	s_mov_b64 s[0:1], 0
                                        ; implicit-def: $vgpr14_vgpr15
	s_cbranch_execnz .LBB113_1319
	s_branch .LBB113_1349
.LBB113_1281:
	s_mov_b64 s[12:13], -1
	s_mov_b64 s[10:11], 0
	s_mov_b64 s[0:1], 0
                                        ; implicit-def: $vgpr14_vgpr15
	s_branch .LBB113_1298
.LBB113_1282:
	s_mov_b64 s[12:13], -1
	s_mov_b64 s[10:11], 0
	s_mov_b64 s[0:1], 0
                                        ; implicit-def: $vgpr14_vgpr15
	s_branch .LBB113_1293
.LBB113_1283:
	s_or_b64 s[2:3], s[24:25], exec
	s_trap 2
	s_cbranch_execz .LBB113_1224
	s_branch .LBB113_1225
.LBB113_1284:
	s_mov_b64 s[12:13], -1
	s_mov_b64 s[10:11], 0
	s_mov_b64 s[0:1], 0
                                        ; implicit-def: $vgpr14_vgpr15
	s_branch .LBB113_1288
.LBB113_1285:
	s_andn2_saveexec_b64 s[14:15], s[14:15]
	s_cbranch_execz .LBB113_1011
.LBB113_1286:
	s_mov_b32 s18, 0x42800000
	v_add_f32_e64 v3, |v2|, s18
	v_and_b32_e32 v3, 0xff, v3
	v_cmp_ne_u32_e32 vcc, 0, v3
	s_andn2_b64 s[12:13], s[12:13], exec
	s_and_b64 s[18:19], vcc, exec
	s_or_b64 s[12:13], s[12:13], s[18:19]
	s_or_b64 exec, exec, s[14:15]
	v_mov_b32_e32 v6, 0
	s_and_saveexec_b64 s[14:15], s[12:13]
	s_cbranch_execnz .LBB113_1012
	s_branch .LBB113_1013
.LBB113_1287:
	s_mov_b64 s[0:1], -1
                                        ; implicit-def: $vgpr14_vgpr15
	s_mov_b64 s[10:11], 0
.LBB113_1288:
	s_and_b64 vcc, exec, s[12:13]
	s_cbranch_vccz .LBB113_1292
; %bb.1289:
	s_cmp_eq_u32 s18, 44
	s_cbranch_scc0 .LBB113_1291
; %bb.1290:
	global_load_ubyte v3, v[16:17], off
	s_movk_i32 s10, 0xff
	s_waitcnt vmcnt(1)
	v_bfrev_b32_e32 v5, 4
	v_mov_b32_e32 v7, 0x7ff80000
	v_bfrev_b32_e32 v9, 28
	s_mov_b64 s[0:1], 0
	s_waitcnt vmcnt(0)
	v_lshlrev_b32_e32 v11, 23, v3
	v_cvt_f64_f32_e32 v[14:15], v11
	v_cmp_ne_u32_e32 vcc, s10, v3
	s_mov_b64 s[10:11], -1
	s_nop 0
	v_cndmask_b32_e32 v5, v5, v14, vcc
	v_cndmask_b32_e32 v7, v7, v15, vcc
	v_cmp_ne_u32_e32 vcc, 0, v3
	s_nop 1
	v_cndmask_b32_e32 v15, v9, v7, vcc
	v_cndmask_b32_e32 v14, 0, v5, vcc
	s_branch .LBB113_1292
.LBB113_1291:
	s_mov_b64 s[0:1], -1
                                        ; implicit-def: $vgpr14_vgpr15
.LBB113_1292:
	s_mov_b64 s[12:13], 0
.LBB113_1293:
	s_and_b64 vcc, exec, s[12:13]
	s_cbranch_vccz .LBB113_1297
; %bb.1294:
	s_cmp_eq_u32 s18, 29
	s_cbranch_scc0 .LBB113_1296
; %bb.1295:
	global_load_dwordx2 v[14:15], v[16:17], off
	s_mov_b64 s[0:1], 0
	s_mov_b64 s[10:11], -1
	s_mov_b64 s[12:13], 0
	s_waitcnt vmcnt(0)
	v_cvt_f64_u32_e32 v[18:19], v15
	v_cvt_f64_u32_e32 v[14:15], v14
	v_ldexp_f64 v[18:19], v[18:19], 32
	v_add_f64 v[14:15], v[18:19], v[14:15]
	s_branch .LBB113_1298
.LBB113_1296:
	s_mov_b64 s[0:1], -1
                                        ; implicit-def: $vgpr14_vgpr15
.LBB113_1297:
	s_mov_b64 s[12:13], 0
.LBB113_1298:
	s_and_b64 vcc, exec, s[12:13]
	s_cbranch_vccz .LBB113_1318
; %bb.1299:
	s_cmp_lt_i32 s18, 27
	s_cbranch_scc1 .LBB113_1302
; %bb.1300:
	s_cmp_gt_i32 s18, 27
	s_cbranch_scc0 .LBB113_1303
; %bb.1301:
	global_load_dword v3, v[16:17], off
	s_mov_b64 s[10:11], 0
	s_waitcnt vmcnt(0)
	v_cvt_f64_u32_e32 v[14:15], v3
	s_branch .LBB113_1304
.LBB113_1302:
	s_mov_b64 s[10:11], -1
                                        ; implicit-def: $vgpr14_vgpr15
	s_branch .LBB113_1307
.LBB113_1303:
	s_mov_b64 s[10:11], -1
                                        ; implicit-def: $vgpr14_vgpr15
.LBB113_1304:
	s_andn2_b64 vcc, exec, s[10:11]
	s_cbranch_vccnz .LBB113_1306
; %bb.1305:
	global_load_ushort v3, v[16:17], off
	s_waitcnt vmcnt(0)
	v_cvt_f64_u32_e32 v[14:15], v3
.LBB113_1306:
	s_mov_b64 s[10:11], 0
.LBB113_1307:
	s_andn2_b64 vcc, exec, s[10:11]
	s_cbranch_vccnz .LBB113_1317
; %bb.1308:
	global_load_ubyte v3, v[16:17], off
	s_movk_i32 s10, 0x7f
	s_waitcnt vmcnt(0)
	v_cmp_lt_i16_e32 vcc, s10, v3
	s_mov_b64 s[10:11], 0
	s_and_saveexec_b64 s[12:13], vcc
	s_xor_b64 s[12:13], exec, s[12:13]
	s_cbranch_execz .LBB113_1312
; %bb.1309:
	s_movk_i32 s10, 0x80
	v_cmp_eq_u16_e32 vcc, s10, v3
	s_mov_b64 s[10:11], -1
	s_and_saveexec_b64 s[14:15], vcc
; %bb.1310:
	s_xor_b64 s[10:11], exec, -1
; %bb.1311:
	s_or_b64 exec, exec, s[14:15]
	s_and_b64 s[10:11], s[10:11], exec
.LBB113_1312:
	s_or_saveexec_b64 s[12:13], s[12:13]
	v_bfrev_b32_e32 v14, 4
	v_mov_b32_e32 v15, 0x7ff80000
	s_xor_b64 exec, exec, s[12:13]
; %bb.1313:
	v_cmp_ne_u16_e32 vcc, 0, v3
	s_andn2_b64 s[10:11], s[10:11], exec
	s_and_b64 s[14:15], vcc, exec
	v_mov_b64_e32 v[14:15], 0
	s_or_b64 s[10:11], s[10:11], s[14:15]
; %bb.1314:
	s_or_b64 exec, exec, s[12:13]
	s_and_saveexec_b64 s[12:13], s[10:11]
	s_cbranch_execz .LBB113_1316
; %bb.1315:
	v_lshlrev_b32_e32 v5, 24, v3
	v_and_b32_e32 v3, 0xffff, v3
	v_and_b32_e32 v7, 7, v3
	v_ffbh_u32_e32 v11, v7
	v_min_u32_e32 v11, 32, v11
	v_subrev_u32_e32 v13, 28, v11
	v_bfe_u32 v9, v3, 3, 4
	v_lshlrev_b32_e32 v3, v13, v3
	v_sub_u32_e32 v11, 29, v11
	v_and_b32_e32 v3, 7, v3
	v_cmp_eq_u32_e32 vcc, 0, v9
	v_and_b32_e32 v5, 0x80000000, v5
	s_nop 0
	v_cndmask_b32_e32 v9, v9, v11, vcc
	v_cndmask_b32_e32 v3, v7, v3, vcc
	v_mov_b32_e32 v7, 0x3b800000
	v_lshlrev_b32_e32 v3, 20, v3
	v_lshl_add_u32 v7, v9, 23, v7
	v_or3_b32 v3, v5, v7, v3
	v_cvt_f64_f32_e32 v[14:15], v3
.LBB113_1316:
	s_or_b64 exec, exec, s[12:13]
.LBB113_1317:
	s_mov_b64 s[10:11], -1
.LBB113_1318:
	s_branch .LBB113_1349
.LBB113_1319:
	s_cmp_gt_i32 s18, 22
	s_cbranch_scc0 .LBB113_1331
; %bb.1320:
	s_cmp_lt_i32 s18, 24
	s_cbranch_scc1 .LBB113_1332
; %bb.1321:
	s_cmp_gt_i32 s18, 24
	s_cbranch_scc0 .LBB113_1333
; %bb.1322:
	global_load_ubyte v3, v[16:17], off
	s_movk_i32 s8, 0x7f
	s_waitcnt vmcnt(0)
	v_cmp_lt_i16_e32 vcc, s8, v3
	s_mov_b64 s[8:9], 0
	s_and_saveexec_b64 s[10:11], vcc
	s_xor_b64 s[10:11], exec, s[10:11]
	s_cbranch_execz .LBB113_1326
; %bb.1323:
	s_movk_i32 s8, 0x80
	v_cmp_eq_u16_e32 vcc, s8, v3
	s_mov_b64 s[8:9], -1
	s_and_saveexec_b64 s[12:13], vcc
; %bb.1324:
	s_xor_b64 s[8:9], exec, -1
; %bb.1325:
	s_or_b64 exec, exec, s[12:13]
	s_and_b64 s[8:9], s[8:9], exec
.LBB113_1326:
	s_or_saveexec_b64 s[10:11], s[10:11]
	v_bfrev_b32_e32 v14, 4
	v_mov_b32_e32 v15, 0x7ff80000
	s_xor_b64 exec, exec, s[10:11]
; %bb.1327:
	v_cmp_ne_u16_e32 vcc, 0, v3
	s_andn2_b64 s[8:9], s[8:9], exec
	s_and_b64 s[12:13], vcc, exec
	v_mov_b64_e32 v[14:15], 0
	s_or_b64 s[8:9], s[8:9], s[12:13]
; %bb.1328:
	s_or_b64 exec, exec, s[10:11]
	s_and_saveexec_b64 s[10:11], s[8:9]
	s_cbranch_execz .LBB113_1330
; %bb.1329:
	v_lshlrev_b32_e32 v5, 24, v3
	v_and_b32_e32 v3, 0xffff, v3
	v_and_b32_e32 v7, 3, v3
	v_ffbh_u32_e32 v11, v7
	v_min_u32_e32 v11, 32, v11
	v_subrev_u32_e32 v13, 29, v11
	v_bfe_u32 v9, v3, 2, 5
	v_lshlrev_b32_e32 v3, v13, v3
	v_sub_u32_e32 v11, 30, v11
	v_and_b32_e32 v3, 3, v3
	v_cmp_eq_u32_e32 vcc, 0, v9
	v_and_b32_e32 v5, 0x80000000, v5
	s_nop 0
	v_cndmask_b32_e32 v9, v9, v11, vcc
	v_cndmask_b32_e32 v3, v7, v3, vcc
	v_mov_b32_e32 v7, 0x37800000
	v_lshlrev_b32_e32 v3, 21, v3
	v_lshl_add_u32 v7, v9, 23, v7
	v_or3_b32 v3, v5, v7, v3
	v_cvt_f64_f32_e32 v[14:15], v3
.LBB113_1330:
	s_or_b64 exec, exec, s[10:11]
	s_mov_b64 s[8:9], 0
	s_branch .LBB113_1334
.LBB113_1331:
	s_mov_b64 s[8:9], -1
                                        ; implicit-def: $vgpr14_vgpr15
	s_branch .LBB113_1340
.LBB113_1332:
	s_mov_b64 s[8:9], -1
                                        ; implicit-def: $vgpr14_vgpr15
	s_branch .LBB113_1337
.LBB113_1333:
	s_mov_b64 s[8:9], -1
                                        ; implicit-def: $vgpr14_vgpr15
.LBB113_1334:
	s_and_b64 vcc, exec, s[8:9]
	s_cbranch_vccz .LBB113_1336
; %bb.1335:
	global_load_ubyte v3, v[16:17], off
	s_mov_b32 s8, 0x7f800000
	s_waitcnt vmcnt(0)
	v_lshlrev_b32_e32 v3, 24, v3
	v_and_b32_e32 v5, 0x7f000000, v3
	v_ffbh_u32_e32 v7, v5
	v_min_u32_e32 v7, 32, v7
	v_sub_u32_e64 v7, v7, 4 clamp
	v_lshlrev_b32_e32 v11, v7, v5
	v_lshlrev_b32_e32 v7, 23, v7
	v_lshrrev_b32_e32 v11, 4, v11
	v_add_u32_e32 v9, 0x1000000, v5
	v_sub_u32_e32 v7, v11, v7
	v_ashrrev_i32_e32 v9, 8, v9
	v_add_u32_e32 v7, 0x3c000000, v7
	v_and_or_b32 v7, v9, s8, v7
	v_cmp_ne_u32_e32 vcc, 0, v5
	s_brev_b32 s8, 1
	s_nop 0
	v_cndmask_b32_e32 v5, 0, v7, vcc
	v_and_or_b32 v3, v3, s8, v5
	v_cvt_f64_f32_e32 v[14:15], v3
.LBB113_1336:
	s_mov_b64 s[8:9], 0
.LBB113_1337:
	s_andn2_b64 vcc, exec, s[8:9]
	s_cbranch_vccnz .LBB113_1339
; %bb.1338:
	global_load_ubyte v3, v[16:17], off
	s_movk_i32 s8, 0x7f00
	s_brev_b32 s9, 16
	s_waitcnt vmcnt(0)
	v_lshlrev_b16_e32 v5, 8, v3
	v_lshlrev_b32_e32 v3, 25, v3
	v_lshrrev_b32_e32 v7, 4, v3
	v_and_or_b32 v9, v5, s8, 0.5
	v_or_b32_e32 v7, 0x70000000, v7
	v_add_f32_e32 v9, -0.5, v9
	v_mul_f32_e32 v7, 0x7800000, v7
	v_cmp_gt_u32_e32 vcc, s9, v3
	v_bfe_i32 v5, v5, 0, 16
	s_brev_b32 s8, 1
	v_cndmask_b32_e32 v3, v7, v9, vcc
	v_and_or_b32 v3, v5, s8, v3
	v_cvt_f64_f32_e32 v[14:15], v3
.LBB113_1339:
	s_mov_b64 s[8:9], 0
	s_mov_b64 s[10:11], -1
.LBB113_1340:
	s_andn2_b64 vcc, exec, s[8:9]
	s_mov_b64 s[8:9], 0
	s_cbranch_vccnz .LBB113_1349
; %bb.1341:
	s_cmp_gt_i32 s18, 14
	s_cbranch_scc0 .LBB113_1344
; %bb.1342:
	s_cmp_eq_u32 s18, 15
	s_cbranch_scc0 .LBB113_1345
; %bb.1343:
	global_load_ushort v3, v[16:17], off
	s_mov_b64 s[0:1], 0
	s_mov_b64 s[10:11], -1
	s_waitcnt vmcnt(0)
	v_lshlrev_b32_e32 v3, 16, v3
	v_cvt_f64_f32_e32 v[14:15], v3
	s_branch .LBB113_1346
.LBB113_1344:
	s_mov_b64 s[12:13], -1
                                        ; implicit-def: $vgpr14_vgpr15
	s_branch .LBB113_1347
.LBB113_1345:
	s_mov_b64 s[0:1], -1
                                        ; implicit-def: $vgpr14_vgpr15
.LBB113_1346:
	s_mov_b64 s[12:13], 0
.LBB113_1347:
	s_and_b64 vcc, exec, s[12:13]
	s_cbranch_vccz .LBB113_1349
; %bb.1348:
	s_cmp_lg_u32 s18, 11
	s_mov_b64 s[8:9], -1
	s_cselect_b64 s[0:1], -1, 0
.LBB113_1349:
	s_and_b64 vcc, exec, s[0:1]
	s_cbranch_vccnz .LBB113_1412
; %bb.1350:
	s_andn2_b64 vcc, exec, s[8:9]
	s_cbranch_vccnz .LBB113_1352
.LBB113_1351:
	global_load_ubyte v3, v[16:17], off
	s_waitcnt vmcnt(1)
	v_mov_b32_e32 v5, 0x3ff00000
	v_mov_b32_e32 v14, 0
	s_mov_b64 s[10:11], -1
	s_waitcnt vmcnt(0)
	v_cmp_ne_u16_e32 vcc, 0, v3
	s_nop 1
	v_cndmask_b32_e32 v15, 0, v5, vcc
.LBB113_1352:
	s_branch .LBB113_1279
.LBB113_1353:
	s_and_b32 s8, 0xffff, s17
	s_cmp_lt_i32 s8, 5
	s_cbranch_scc1 .LBB113_1358
; %bb.1354:
	s_cmp_lt_i32 s8, 8
	s_cbranch_scc1 .LBB113_1359
; %bb.1355:
	;; [unrolled: 3-line block ×3, first 2 shown]
	s_cmp_gt_i32 s8, 9
	s_cbranch_scc0 .LBB113_1361
; %bb.1357:
	global_load_dwordx2 v[14:15], v[16:17], off
	s_mov_b64 s[0:1], 0
	s_branch .LBB113_1362
.LBB113_1358:
                                        ; implicit-def: $vgpr14_vgpr15
	s_branch .LBB113_1380
.LBB113_1359:
	s_mov_b64 s[0:1], -1
                                        ; implicit-def: $vgpr14_vgpr15
	s_branch .LBB113_1368
.LBB113_1360:
	s_mov_b64 s[0:1], -1
                                        ; implicit-def: $vgpr14_vgpr15
	s_branch .LBB113_1365
.LBB113_1361:
	s_mov_b64 s[0:1], -1
                                        ; implicit-def: $vgpr14_vgpr15
.LBB113_1362:
	s_andn2_b64 vcc, exec, s[0:1]
	s_cbranch_vccnz .LBB113_1364
; %bb.1363:
	global_load_dword v3, v[16:17], off
	s_waitcnt vmcnt(0)
	v_cvt_f64_f32_e32 v[14:15], v3
.LBB113_1364:
	s_mov_b64 s[0:1], 0
.LBB113_1365:
	s_andn2_b64 vcc, exec, s[0:1]
	s_cbranch_vccnz .LBB113_1367
; %bb.1366:
	global_load_dword v3, v[16:17], off
	s_waitcnt vmcnt(0)
	v_cvt_f32_f16_e32 v3, v3
	v_cvt_f64_f32_e32 v[14:15], v3
.LBB113_1367:
	s_mov_b64 s[0:1], 0
.LBB113_1368:
	s_andn2_b64 vcc, exec, s[0:1]
	s_cbranch_vccnz .LBB113_1379
; %bb.1369:
	s_cmp_lt_i32 s8, 6
	s_cbranch_scc1 .LBB113_1372
; %bb.1370:
	s_cmp_gt_i32 s8, 6
	s_cbranch_scc0 .LBB113_1373
; %bb.1371:
	global_load_dwordx2 v[14:15], v[16:17], off
	s_mov_b64 s[0:1], 0
	s_branch .LBB113_1374
.LBB113_1372:
	s_mov_b64 s[0:1], -1
                                        ; implicit-def: $vgpr14_vgpr15
	s_branch .LBB113_1377
.LBB113_1373:
	s_mov_b64 s[0:1], -1
                                        ; implicit-def: $vgpr14_vgpr15
.LBB113_1374:
	s_andn2_b64 vcc, exec, s[0:1]
	s_cbranch_vccnz .LBB113_1376
; %bb.1375:
	global_load_dword v3, v[16:17], off
	s_waitcnt vmcnt(0)
	v_cvt_f64_f32_e32 v[14:15], v3
.LBB113_1376:
	s_mov_b64 s[0:1], 0
.LBB113_1377:
	s_andn2_b64 vcc, exec, s[0:1]
	s_cbranch_vccnz .LBB113_1379
; %bb.1378:
	global_load_ushort v3, v[16:17], off
	s_waitcnt vmcnt(0)
	v_cvt_f32_f16_e32 v3, v3
	v_cvt_f64_f32_e32 v[14:15], v3
.LBB113_1379:
	s_cbranch_execnz .LBB113_1399
.LBB113_1380:
	s_cmp_lt_i32 s8, 2
	s_cbranch_scc1 .LBB113_1384
; %bb.1381:
	s_cmp_lt_i32 s8, 3
	s_cbranch_scc1 .LBB113_1385
; %bb.1382:
	s_cmp_gt_i32 s8, 3
	s_cbranch_scc0 .LBB113_1386
; %bb.1383:
	global_load_dwordx2 v[14:15], v[16:17], off
	s_mov_b64 s[0:1], 0
	s_waitcnt vmcnt(0)
	v_cvt_f64_i32_e32 v[18:19], v15
	v_cvt_f64_u32_e32 v[14:15], v14
	v_ldexp_f64 v[18:19], v[18:19], 32
	v_add_f64 v[14:15], v[18:19], v[14:15]
	s_branch .LBB113_1387
.LBB113_1384:
	s_mov_b64 s[0:1], -1
                                        ; implicit-def: $vgpr14_vgpr15
	s_branch .LBB113_1393
.LBB113_1385:
	s_mov_b64 s[0:1], -1
                                        ; implicit-def: $vgpr14_vgpr15
	s_branch .LBB113_1390
.LBB113_1386:
	s_mov_b64 s[0:1], -1
                                        ; implicit-def: $vgpr14_vgpr15
.LBB113_1387:
	s_andn2_b64 vcc, exec, s[0:1]
	s_cbranch_vccnz .LBB113_1389
; %bb.1388:
	global_load_dword v3, v[16:17], off
	s_waitcnt vmcnt(0)
	v_cvt_f64_i32_e32 v[14:15], v3
.LBB113_1389:
	s_mov_b64 s[0:1], 0
.LBB113_1390:
	s_andn2_b64 vcc, exec, s[0:1]
	s_cbranch_vccnz .LBB113_1392
; %bb.1391:
	global_load_sshort v3, v[16:17], off
	s_waitcnt vmcnt(0)
	v_cvt_f64_i32_e32 v[14:15], v3
.LBB113_1392:
	s_mov_b64 s[0:1], 0
.LBB113_1393:
	s_andn2_b64 vcc, exec, s[0:1]
	s_cbranch_vccnz .LBB113_1399
; %bb.1394:
	s_cmp_gt_i32 s8, 0
	s_cbranch_scc0 .LBB113_1396
; %bb.1395:
	global_load_sbyte v3, v[16:17], off
	s_mov_b64 s[0:1], 0
	s_waitcnt vmcnt(0)
	v_cvt_f64_i32_e32 v[14:15], v3
	s_branch .LBB113_1397
.LBB113_1396:
	s_mov_b64 s[0:1], -1
                                        ; implicit-def: $vgpr14_vgpr15
.LBB113_1397:
	s_andn2_b64 vcc, exec, s[0:1]
	s_cbranch_vccnz .LBB113_1399
; %bb.1398:
	global_load_ubyte v3, v[16:17], off
	s_waitcnt vmcnt(0)
	v_cvt_f64_u32_e32 v[14:15], v3
.LBB113_1399:
.LBB113_1400:
	v_mov_b32_e32 v13, 0
	s_cmp_lt_i32 s17, 11
	v_lshl_add_u64 v[16:17], s[6:7], 0, v[12:13]
	s_cbranch_scc1 .LBB113_1407
; %bb.1401:
	s_and_b32 s18, 0xffff, s17
	s_cmp_gt_i32 s18, 25
	s_mov_b64 s[8:9], 0
	s_cbranch_scc0 .LBB113_1409
; %bb.1402:
	s_cmp_gt_i32 s18, 28
	s_cbranch_scc0 .LBB113_1410
; %bb.1403:
	s_cmp_gt_i32 s18, 43
	;; [unrolled: 3-line block ×3, first 2 shown]
	s_cbranch_scc0 .LBB113_1413
; %bb.1405:
	s_cmp_eq_u32 s18, 46
	s_mov_b64 s[12:13], 0
	s_cbranch_scc0 .LBB113_1414
; %bb.1406:
	global_load_dword v3, v[16:17], off
	s_mov_b64 s[0:1], 0
	s_mov_b64 s[10:11], -1
	s_waitcnt vmcnt(0)
	v_lshlrev_b32_e32 v3, 16, v3
	v_cvt_f64_f32_e32 v[12:13], v3
	s_branch .LBB113_1415
.LBB113_1407:
	s_mov_b64 s[10:11], 0
                                        ; implicit-def: $vgpr12_vgpr13
	s_cbranch_execnz .LBB113_1481
.LBB113_1408:
	s_andn2_b64 vcc, exec, s[10:11]
	s_cbranch_vccnz .LBB113_2092
	s_branch .LBB113_1529
.LBB113_1409:
	s_mov_b64 s[12:13], -1
	s_mov_b64 s[10:11], 0
	s_mov_b64 s[0:1], 0
                                        ; implicit-def: $vgpr12_vgpr13
	s_branch .LBB113_1446
.LBB113_1410:
	s_mov_b64 s[12:13], -1
	s_mov_b64 s[10:11], 0
	s_mov_b64 s[0:1], 0
                                        ; implicit-def: $vgpr12_vgpr13
	s_branch .LBB113_1425
.LBB113_1411:
	s_mov_b64 s[12:13], -1
	s_mov_b64 s[10:11], 0
	s_mov_b64 s[0:1], 0
                                        ; implicit-def: $vgpr12_vgpr13
	s_branch .LBB113_1420
.LBB113_1412:
	s_trap 2
	s_or_b64 s[2:3], s[2:3], exec
	s_cbranch_execz .LBB113_1351
	s_branch .LBB113_1352
.LBB113_1413:
	s_mov_b64 s[12:13], -1
	s_mov_b64 s[10:11], 0
	s_mov_b64 s[0:1], 0
                                        ; implicit-def: $vgpr12_vgpr13
	s_branch .LBB113_1415
.LBB113_1414:
	s_mov_b64 s[0:1], -1
                                        ; implicit-def: $vgpr12_vgpr13
	s_mov_b64 s[10:11], 0
.LBB113_1415:
	s_and_b64 vcc, exec, s[12:13]
	s_cbranch_vccz .LBB113_1419
; %bb.1416:
	s_cmp_eq_u32 s18, 44
	s_cbranch_scc0 .LBB113_1418
; %bb.1417:
	global_load_ubyte v3, v[16:17], off
	s_movk_i32 s10, 0xff
	s_waitcnt vmcnt(1)
	v_bfrev_b32_e32 v5, 4
	v_mov_b32_e32 v7, 0x7ff80000
	v_bfrev_b32_e32 v9, 28
	s_mov_b64 s[0:1], 0
	s_waitcnt vmcnt(0)
	v_lshlrev_b32_e32 v11, 23, v3
	v_cvt_f64_f32_e32 v[12:13], v11
	v_cmp_ne_u32_e32 vcc, s10, v3
	s_mov_b64 s[10:11], -1
	s_nop 0
	v_cndmask_b32_e32 v5, v5, v12, vcc
	v_cndmask_b32_e32 v7, v7, v13, vcc
	v_cmp_ne_u32_e32 vcc, 0, v3
	s_nop 1
	v_cndmask_b32_e32 v13, v9, v7, vcc
	v_cndmask_b32_e32 v12, 0, v5, vcc
	s_branch .LBB113_1419
.LBB113_1418:
	s_mov_b64 s[0:1], -1
                                        ; implicit-def: $vgpr12_vgpr13
.LBB113_1419:
	s_mov_b64 s[12:13], 0
.LBB113_1420:
	s_and_b64 vcc, exec, s[12:13]
	s_cbranch_vccz .LBB113_1424
; %bb.1421:
	s_cmp_eq_u32 s18, 29
	s_cbranch_scc0 .LBB113_1423
; %bb.1422:
	global_load_dwordx2 v[12:13], v[16:17], off
	s_mov_b64 s[0:1], 0
	s_mov_b64 s[10:11], -1
	s_mov_b64 s[12:13], 0
	s_waitcnt vmcnt(0)
	v_cvt_f64_u32_e32 v[18:19], v13
	v_cvt_f64_u32_e32 v[12:13], v12
	v_ldexp_f64 v[18:19], v[18:19], 32
	v_add_f64 v[12:13], v[18:19], v[12:13]
	s_branch .LBB113_1425
.LBB113_1423:
	s_mov_b64 s[0:1], -1
                                        ; implicit-def: $vgpr12_vgpr13
.LBB113_1424:
	s_mov_b64 s[12:13], 0
.LBB113_1425:
	s_and_b64 vcc, exec, s[12:13]
	s_cbranch_vccz .LBB113_1445
; %bb.1426:
	s_cmp_lt_i32 s18, 27
	s_cbranch_scc1 .LBB113_1429
; %bb.1427:
	s_cmp_gt_i32 s18, 27
	s_cbranch_scc0 .LBB113_1430
; %bb.1428:
	global_load_dword v3, v[16:17], off
	s_mov_b64 s[10:11], 0
	s_waitcnt vmcnt(0)
	v_cvt_f64_u32_e32 v[12:13], v3
	s_branch .LBB113_1431
.LBB113_1429:
	s_mov_b64 s[10:11], -1
                                        ; implicit-def: $vgpr12_vgpr13
	s_branch .LBB113_1434
.LBB113_1430:
	s_mov_b64 s[10:11], -1
                                        ; implicit-def: $vgpr12_vgpr13
.LBB113_1431:
	s_andn2_b64 vcc, exec, s[10:11]
	s_cbranch_vccnz .LBB113_1433
; %bb.1432:
	global_load_ushort v3, v[16:17], off
	s_waitcnt vmcnt(0)
	v_cvt_f64_u32_e32 v[12:13], v3
.LBB113_1433:
	s_mov_b64 s[10:11], 0
.LBB113_1434:
	s_andn2_b64 vcc, exec, s[10:11]
	s_cbranch_vccnz .LBB113_1444
; %bb.1435:
	global_load_ubyte v3, v[16:17], off
	s_movk_i32 s10, 0x7f
	s_waitcnt vmcnt(0)
	v_cmp_lt_i16_e32 vcc, s10, v3
	s_mov_b64 s[10:11], 0
	s_and_saveexec_b64 s[12:13], vcc
	s_xor_b64 s[12:13], exec, s[12:13]
	s_cbranch_execz .LBB113_1439
; %bb.1436:
	s_movk_i32 s10, 0x80
	v_cmp_eq_u16_e32 vcc, s10, v3
	s_mov_b64 s[10:11], -1
	s_and_saveexec_b64 s[14:15], vcc
; %bb.1437:
	s_xor_b64 s[10:11], exec, -1
; %bb.1438:
	s_or_b64 exec, exec, s[14:15]
	s_and_b64 s[10:11], s[10:11], exec
.LBB113_1439:
	s_or_saveexec_b64 s[12:13], s[12:13]
	v_bfrev_b32_e32 v12, 4
	v_mov_b32_e32 v13, 0x7ff80000
	s_xor_b64 exec, exec, s[12:13]
; %bb.1440:
	v_cmp_ne_u16_e32 vcc, 0, v3
	s_andn2_b64 s[10:11], s[10:11], exec
	s_and_b64 s[14:15], vcc, exec
	v_mov_b64_e32 v[12:13], 0
	s_or_b64 s[10:11], s[10:11], s[14:15]
; %bb.1441:
	s_or_b64 exec, exec, s[12:13]
	s_and_saveexec_b64 s[12:13], s[10:11]
	s_cbranch_execz .LBB113_1443
; %bb.1442:
	v_lshlrev_b32_e32 v5, 24, v3
	v_and_b32_e32 v3, 0xffff, v3
	v_and_b32_e32 v7, 7, v3
	v_ffbh_u32_e32 v11, v7
	v_min_u32_e32 v11, 32, v11
	v_subrev_u32_e32 v12, 28, v11
	v_bfe_u32 v9, v3, 3, 4
	v_lshlrev_b32_e32 v3, v12, v3
	v_sub_u32_e32 v11, 29, v11
	v_and_b32_e32 v3, 7, v3
	v_cmp_eq_u32_e32 vcc, 0, v9
	v_and_b32_e32 v5, 0x80000000, v5
	s_nop 0
	v_cndmask_b32_e32 v9, v9, v11, vcc
	v_cndmask_b32_e32 v3, v7, v3, vcc
	v_mov_b32_e32 v7, 0x3b800000
	v_lshlrev_b32_e32 v3, 20, v3
	v_lshl_add_u32 v7, v9, 23, v7
	v_or3_b32 v3, v5, v7, v3
	v_cvt_f64_f32_e32 v[12:13], v3
.LBB113_1443:
	s_or_b64 exec, exec, s[12:13]
.LBB113_1444:
	s_mov_b64 s[10:11], -1
.LBB113_1445:
	s_mov_b64 s[12:13], 0
.LBB113_1446:
	s_and_b64 vcc, exec, s[12:13]
	s_cbranch_vccz .LBB113_1477
; %bb.1447:
	s_cmp_gt_i32 s18, 22
	s_cbranch_scc0 .LBB113_1459
; %bb.1448:
	s_cmp_lt_i32 s18, 24
	s_cbranch_scc1 .LBB113_1460
; %bb.1449:
	s_cmp_gt_i32 s18, 24
	s_cbranch_scc0 .LBB113_1461
; %bb.1450:
	global_load_ubyte v3, v[16:17], off
	s_movk_i32 s8, 0x7f
	s_waitcnt vmcnt(0)
	v_cmp_lt_i16_e32 vcc, s8, v3
	s_mov_b64 s[8:9], 0
	s_and_saveexec_b64 s[10:11], vcc
	s_xor_b64 s[10:11], exec, s[10:11]
	s_cbranch_execz .LBB113_1454
; %bb.1451:
	s_movk_i32 s8, 0x80
	v_cmp_eq_u16_e32 vcc, s8, v3
	s_mov_b64 s[8:9], -1
	s_and_saveexec_b64 s[12:13], vcc
; %bb.1452:
	s_xor_b64 s[8:9], exec, -1
; %bb.1453:
	s_or_b64 exec, exec, s[12:13]
	s_and_b64 s[8:9], s[8:9], exec
.LBB113_1454:
	s_or_saveexec_b64 s[10:11], s[10:11]
	v_bfrev_b32_e32 v12, 4
	v_mov_b32_e32 v13, 0x7ff80000
	s_xor_b64 exec, exec, s[10:11]
; %bb.1455:
	v_cmp_ne_u16_e32 vcc, 0, v3
	s_andn2_b64 s[8:9], s[8:9], exec
	s_and_b64 s[12:13], vcc, exec
	v_mov_b64_e32 v[12:13], 0
	s_or_b64 s[8:9], s[8:9], s[12:13]
; %bb.1456:
	s_or_b64 exec, exec, s[10:11]
	s_and_saveexec_b64 s[10:11], s[8:9]
	s_cbranch_execz .LBB113_1458
; %bb.1457:
	v_lshlrev_b32_e32 v5, 24, v3
	v_and_b32_e32 v3, 0xffff, v3
	v_and_b32_e32 v7, 3, v3
	v_ffbh_u32_e32 v11, v7
	v_min_u32_e32 v11, 32, v11
	v_subrev_u32_e32 v12, 29, v11
	v_bfe_u32 v9, v3, 2, 5
	v_lshlrev_b32_e32 v3, v12, v3
	v_sub_u32_e32 v11, 30, v11
	v_and_b32_e32 v3, 3, v3
	v_cmp_eq_u32_e32 vcc, 0, v9
	v_and_b32_e32 v5, 0x80000000, v5
	s_nop 0
	v_cndmask_b32_e32 v9, v9, v11, vcc
	v_cndmask_b32_e32 v3, v7, v3, vcc
	v_mov_b32_e32 v7, 0x37800000
	v_lshlrev_b32_e32 v3, 21, v3
	v_lshl_add_u32 v7, v9, 23, v7
	v_or3_b32 v3, v5, v7, v3
	v_cvt_f64_f32_e32 v[12:13], v3
.LBB113_1458:
	s_or_b64 exec, exec, s[10:11]
	s_mov_b64 s[8:9], 0
	s_branch .LBB113_1462
.LBB113_1459:
	s_mov_b64 s[8:9], -1
                                        ; implicit-def: $vgpr12_vgpr13
	s_branch .LBB113_1468
.LBB113_1460:
	s_mov_b64 s[8:9], -1
                                        ; implicit-def: $vgpr12_vgpr13
	s_branch .LBB113_1465
.LBB113_1461:
	s_mov_b64 s[8:9], -1
                                        ; implicit-def: $vgpr12_vgpr13
.LBB113_1462:
	s_and_b64 vcc, exec, s[8:9]
	s_cbranch_vccz .LBB113_1464
; %bb.1463:
	global_load_ubyte v3, v[16:17], off
	s_mov_b32 s8, 0x7f800000
	s_waitcnt vmcnt(0)
	v_lshlrev_b32_e32 v3, 24, v3
	v_and_b32_e32 v5, 0x7f000000, v3
	v_ffbh_u32_e32 v7, v5
	v_min_u32_e32 v7, 32, v7
	v_sub_u32_e64 v7, v7, 4 clamp
	v_lshlrev_b32_e32 v11, v7, v5
	v_lshlrev_b32_e32 v7, 23, v7
	v_lshrrev_b32_e32 v11, 4, v11
	v_add_u32_e32 v9, 0x1000000, v5
	v_sub_u32_e32 v7, v11, v7
	v_ashrrev_i32_e32 v9, 8, v9
	v_add_u32_e32 v7, 0x3c000000, v7
	v_and_or_b32 v7, v9, s8, v7
	v_cmp_ne_u32_e32 vcc, 0, v5
	s_brev_b32 s8, 1
	s_nop 0
	v_cndmask_b32_e32 v5, 0, v7, vcc
	v_and_or_b32 v3, v3, s8, v5
	v_cvt_f64_f32_e32 v[12:13], v3
.LBB113_1464:
	s_mov_b64 s[8:9], 0
.LBB113_1465:
	s_andn2_b64 vcc, exec, s[8:9]
	s_cbranch_vccnz .LBB113_1467
; %bb.1466:
	global_load_ubyte v3, v[16:17], off
	s_movk_i32 s8, 0x7f00
	s_brev_b32 s9, 16
	s_waitcnt vmcnt(0)
	v_lshlrev_b16_e32 v5, 8, v3
	v_lshlrev_b32_e32 v3, 25, v3
	v_lshrrev_b32_e32 v7, 4, v3
	v_and_or_b32 v9, v5, s8, 0.5
	v_or_b32_e32 v7, 0x70000000, v7
	v_add_f32_e32 v9, -0.5, v9
	v_mul_f32_e32 v7, 0x7800000, v7
	v_cmp_gt_u32_e32 vcc, s9, v3
	v_bfe_i32 v5, v5, 0, 16
	s_brev_b32 s8, 1
	v_cndmask_b32_e32 v3, v7, v9, vcc
	v_and_or_b32 v3, v5, s8, v3
	v_cvt_f64_f32_e32 v[12:13], v3
.LBB113_1467:
	s_mov_b64 s[8:9], 0
	s_mov_b64 s[10:11], -1
.LBB113_1468:
	s_andn2_b64 vcc, exec, s[8:9]
	s_mov_b64 s[8:9], 0
	s_cbranch_vccnz .LBB113_1477
; %bb.1469:
	s_cmp_gt_i32 s18, 14
	s_cbranch_scc0 .LBB113_1472
; %bb.1470:
	s_cmp_eq_u32 s18, 15
	s_cbranch_scc0 .LBB113_1473
; %bb.1471:
	global_load_ushort v3, v[16:17], off
	s_mov_b64 s[0:1], 0
	s_mov_b64 s[10:11], -1
	s_waitcnt vmcnt(0)
	v_lshlrev_b32_e32 v3, 16, v3
	v_cvt_f64_f32_e32 v[12:13], v3
	s_branch .LBB113_1474
.LBB113_1472:
	s_mov_b64 s[12:13], -1
                                        ; implicit-def: $vgpr12_vgpr13
	s_branch .LBB113_1475
.LBB113_1473:
	s_mov_b64 s[0:1], -1
                                        ; implicit-def: $vgpr12_vgpr13
.LBB113_1474:
	s_mov_b64 s[12:13], 0
.LBB113_1475:
	s_and_b64 vcc, exec, s[12:13]
	s_cbranch_vccz .LBB113_1477
; %bb.1476:
	s_cmp_lg_u32 s18, 11
	s_mov_b64 s[8:9], -1
	s_cselect_b64 s[0:1], -1, 0
.LBB113_1477:
	s_and_b64 vcc, exec, s[0:1]
	s_cbranch_vccnz .LBB113_1540
; %bb.1478:
	s_andn2_b64 vcc, exec, s[8:9]
	s_cbranch_vccnz .LBB113_1480
.LBB113_1479:
	global_load_ubyte v3, v[16:17], off
	s_waitcnt vmcnt(1)
	v_mov_b32_e32 v5, 0x3ff00000
	v_mov_b32_e32 v12, 0
	s_mov_b64 s[10:11], -1
	s_waitcnt vmcnt(0)
	v_cmp_ne_u16_e32 vcc, 0, v3
	s_nop 1
	v_cndmask_b32_e32 v13, 0, v5, vcc
.LBB113_1480:
	s_branch .LBB113_1408
.LBB113_1481:
	s_and_b32 s8, 0xffff, s17
	s_cmp_lt_i32 s8, 5
	s_cbranch_scc1 .LBB113_1486
; %bb.1482:
	s_cmp_lt_i32 s8, 8
	s_cbranch_scc1 .LBB113_1487
; %bb.1483:
	;; [unrolled: 3-line block ×3, first 2 shown]
	s_cmp_gt_i32 s8, 9
	s_cbranch_scc0 .LBB113_1489
; %bb.1485:
	global_load_dwordx2 v[12:13], v[16:17], off
	s_mov_b64 s[0:1], 0
	s_branch .LBB113_1490
.LBB113_1486:
	s_mov_b64 s[0:1], -1
                                        ; implicit-def: $vgpr12_vgpr13
	s_branch .LBB113_1508
.LBB113_1487:
	s_mov_b64 s[0:1], -1
                                        ; implicit-def: $vgpr12_vgpr13
	s_branch .LBB113_1496
.LBB113_1488:
	s_mov_b64 s[0:1], -1
                                        ; implicit-def: $vgpr12_vgpr13
	s_branch .LBB113_1493
.LBB113_1489:
	s_mov_b64 s[0:1], -1
                                        ; implicit-def: $vgpr12_vgpr13
.LBB113_1490:
	s_andn2_b64 vcc, exec, s[0:1]
	s_cbranch_vccnz .LBB113_1492
; %bb.1491:
	global_load_dword v3, v[16:17], off
	s_waitcnt vmcnt(0)
	v_cvt_f64_f32_e32 v[12:13], v3
.LBB113_1492:
	s_mov_b64 s[0:1], 0
.LBB113_1493:
	s_andn2_b64 vcc, exec, s[0:1]
	s_cbranch_vccnz .LBB113_1495
; %bb.1494:
	global_load_dword v3, v[16:17], off
	s_waitcnt vmcnt(0)
	v_cvt_f32_f16_e32 v3, v3
	v_cvt_f64_f32_e32 v[12:13], v3
.LBB113_1495:
	s_mov_b64 s[0:1], 0
.LBB113_1496:
	s_andn2_b64 vcc, exec, s[0:1]
	s_cbranch_vccnz .LBB113_1507
; %bb.1497:
	s_cmp_lt_i32 s8, 6
	s_cbranch_scc1 .LBB113_1500
; %bb.1498:
	s_cmp_gt_i32 s8, 6
	s_cbranch_scc0 .LBB113_1501
; %bb.1499:
	global_load_dwordx2 v[12:13], v[16:17], off
	s_mov_b64 s[0:1], 0
	s_branch .LBB113_1502
.LBB113_1500:
	s_mov_b64 s[0:1], -1
                                        ; implicit-def: $vgpr12_vgpr13
	s_branch .LBB113_1505
.LBB113_1501:
	s_mov_b64 s[0:1], -1
                                        ; implicit-def: $vgpr12_vgpr13
.LBB113_1502:
	s_andn2_b64 vcc, exec, s[0:1]
	s_cbranch_vccnz .LBB113_1504
; %bb.1503:
	global_load_dword v3, v[16:17], off
	s_waitcnt vmcnt(0)
	v_cvt_f64_f32_e32 v[12:13], v3
.LBB113_1504:
	s_mov_b64 s[0:1], 0
.LBB113_1505:
	s_andn2_b64 vcc, exec, s[0:1]
	s_cbranch_vccnz .LBB113_1507
; %bb.1506:
	global_load_ushort v3, v[16:17], off
	s_waitcnt vmcnt(0)
	v_cvt_f32_f16_e32 v3, v3
	v_cvt_f64_f32_e32 v[12:13], v3
.LBB113_1507:
	s_mov_b64 s[0:1], 0
.LBB113_1508:
	s_andn2_b64 vcc, exec, s[0:1]
	s_cbranch_vccnz .LBB113_1528
; %bb.1509:
	s_cmp_lt_i32 s8, 2
	s_cbranch_scc1 .LBB113_1513
; %bb.1510:
	s_cmp_lt_i32 s8, 3
	s_cbranch_scc1 .LBB113_1514
; %bb.1511:
	s_cmp_gt_i32 s8, 3
	s_cbranch_scc0 .LBB113_1515
; %bb.1512:
	global_load_dwordx2 v[12:13], v[16:17], off
	s_mov_b64 s[0:1], 0
	s_waitcnt vmcnt(0)
	v_cvt_f64_i32_e32 v[18:19], v13
	v_cvt_f64_u32_e32 v[12:13], v12
	v_ldexp_f64 v[18:19], v[18:19], 32
	v_add_f64 v[12:13], v[18:19], v[12:13]
	s_branch .LBB113_1516
.LBB113_1513:
	s_mov_b64 s[0:1], -1
                                        ; implicit-def: $vgpr12_vgpr13
	s_branch .LBB113_1522
.LBB113_1514:
	s_mov_b64 s[0:1], -1
                                        ; implicit-def: $vgpr12_vgpr13
	s_branch .LBB113_1519
.LBB113_1515:
	s_mov_b64 s[0:1], -1
                                        ; implicit-def: $vgpr12_vgpr13
.LBB113_1516:
	s_andn2_b64 vcc, exec, s[0:1]
	s_cbranch_vccnz .LBB113_1518
; %bb.1517:
	global_load_dword v3, v[16:17], off
	s_waitcnt vmcnt(0)
	v_cvt_f64_i32_e32 v[12:13], v3
.LBB113_1518:
	s_mov_b64 s[0:1], 0
.LBB113_1519:
	s_andn2_b64 vcc, exec, s[0:1]
	s_cbranch_vccnz .LBB113_1521
; %bb.1520:
	global_load_sshort v3, v[16:17], off
	s_waitcnt vmcnt(0)
	v_cvt_f64_i32_e32 v[12:13], v3
.LBB113_1521:
	s_mov_b64 s[0:1], 0
.LBB113_1522:
	s_andn2_b64 vcc, exec, s[0:1]
	s_cbranch_vccnz .LBB113_1528
; %bb.1523:
	s_cmp_gt_i32 s8, 0
	s_cbranch_scc0 .LBB113_1525
; %bb.1524:
	global_load_sbyte v3, v[16:17], off
	s_mov_b64 s[0:1], 0
	s_waitcnt vmcnt(0)
	v_cvt_f64_i32_e32 v[12:13], v3
	s_branch .LBB113_1526
.LBB113_1525:
	s_mov_b64 s[0:1], -1
                                        ; implicit-def: $vgpr12_vgpr13
.LBB113_1526:
	s_andn2_b64 vcc, exec, s[0:1]
	s_cbranch_vccnz .LBB113_1528
; %bb.1527:
	global_load_ubyte v3, v[16:17], off
	s_waitcnt vmcnt(0)
	v_cvt_f64_u32_e32 v[12:13], v3
.LBB113_1528:
.LBB113_1529:
	v_mov_b32_e32 v11, 0
	s_cmp_lt_i32 s17, 11
	v_lshl_add_u64 v[16:17], s[6:7], 0, v[10:11]
	s_cbranch_scc1 .LBB113_1536
; %bb.1530:
	s_and_b32 s14, 0xffff, s17
	s_cmp_gt_i32 s14, 25
	s_mov_b64 s[6:7], 0
	s_cbranch_scc0 .LBB113_1537
; %bb.1531:
	s_cmp_gt_i32 s14, 28
	s_cbranch_scc0 .LBB113_1538
; %bb.1532:
	s_cmp_gt_i32 s14, 43
	s_cbranch_scc0 .LBB113_1539
; %bb.1533:
	s_cmp_gt_i32 s14, 45
	s_cbranch_scc0 .LBB113_1541
; %bb.1534:
	s_cmp_eq_u32 s14, 46
	s_mov_b64 s[10:11], 0
	s_cbranch_scc0 .LBB113_1542
; %bb.1535:
	global_load_dword v3, v[16:17], off
	s_mov_b64 s[0:1], 0
	s_mov_b64 s[8:9], -1
	s_waitcnt vmcnt(0)
	v_lshlrev_b32_e32 v3, 16, v3
	v_cvt_f64_f32_e32 v[10:11], v3
	s_branch .LBB113_1543
.LBB113_1536:
	s_mov_b64 s[0:1], -1
	s_mov_b64 s[8:9], 0
                                        ; implicit-def: $vgpr10_vgpr11
	s_branch .LBB113_1609
.LBB113_1537:
	s_mov_b64 s[10:11], -1
	s_mov_b64 s[8:9], 0
	s_mov_b64 s[0:1], 0
                                        ; implicit-def: $vgpr10_vgpr11
	s_branch .LBB113_1574
.LBB113_1538:
	s_mov_b64 s[10:11], -1
	s_mov_b64 s[8:9], 0
	s_mov_b64 s[0:1], 0
                                        ; implicit-def: $vgpr10_vgpr11
	s_branch .LBB113_1553
.LBB113_1539:
	s_mov_b64 s[10:11], -1
	s_mov_b64 s[8:9], 0
	s_mov_b64 s[0:1], 0
                                        ; implicit-def: $vgpr10_vgpr11
	s_branch .LBB113_1548
.LBB113_1540:
	s_trap 2
	s_or_b64 s[2:3], s[2:3], exec
	s_cbranch_execz .LBB113_1479
	s_branch .LBB113_1480
.LBB113_1541:
	s_mov_b64 s[10:11], -1
	s_mov_b64 s[8:9], 0
	s_mov_b64 s[0:1], 0
                                        ; implicit-def: $vgpr10_vgpr11
	s_branch .LBB113_1543
.LBB113_1542:
	s_mov_b64 s[0:1], -1
                                        ; implicit-def: $vgpr10_vgpr11
	s_mov_b64 s[8:9], 0
.LBB113_1543:
	s_and_b64 vcc, exec, s[10:11]
	s_cbranch_vccz .LBB113_1547
; %bb.1544:
	s_cmp_eq_u32 s14, 44
	s_cbranch_scc0 .LBB113_1546
; %bb.1545:
	global_load_ubyte v3, v[16:17], off
	s_movk_i32 s8, 0xff
	s_waitcnt vmcnt(1)
	v_bfrev_b32_e32 v5, 4
	v_mov_b32_e32 v7, 0x7ff80000
	v_bfrev_b32_e32 v9, 28
	s_mov_b64 s[0:1], 0
	s_waitcnt vmcnt(0)
	v_lshlrev_b32_e32 v10, 23, v3
	v_cvt_f64_f32_e32 v[10:11], v10
	v_cmp_ne_u32_e32 vcc, s8, v3
	s_mov_b64 s[8:9], -1
	s_nop 0
	v_cndmask_b32_e32 v5, v5, v10, vcc
	v_cndmask_b32_e32 v7, v7, v11, vcc
	v_cmp_ne_u32_e32 vcc, 0, v3
	s_nop 1
	v_cndmask_b32_e32 v11, v9, v7, vcc
	v_cndmask_b32_e32 v10, 0, v5, vcc
	s_branch .LBB113_1547
.LBB113_1546:
	s_mov_b64 s[0:1], -1
                                        ; implicit-def: $vgpr10_vgpr11
.LBB113_1547:
	s_mov_b64 s[10:11], 0
.LBB113_1548:
	s_and_b64 vcc, exec, s[10:11]
	s_cbranch_vccz .LBB113_1552
; %bb.1549:
	s_cmp_eq_u32 s14, 29
	s_cbranch_scc0 .LBB113_1551
; %bb.1550:
	global_load_dwordx2 v[10:11], v[16:17], off
	s_mov_b64 s[0:1], 0
	s_mov_b64 s[8:9], -1
	s_mov_b64 s[10:11], 0
	s_waitcnt vmcnt(0)
	v_cvt_f64_u32_e32 v[18:19], v11
	v_cvt_f64_u32_e32 v[10:11], v10
	v_ldexp_f64 v[18:19], v[18:19], 32
	v_add_f64 v[10:11], v[18:19], v[10:11]
	s_branch .LBB113_1553
.LBB113_1551:
	s_mov_b64 s[0:1], -1
                                        ; implicit-def: $vgpr10_vgpr11
.LBB113_1552:
	s_mov_b64 s[10:11], 0
.LBB113_1553:
	s_and_b64 vcc, exec, s[10:11]
	s_cbranch_vccz .LBB113_1573
; %bb.1554:
	s_cmp_lt_i32 s14, 27
	s_cbranch_scc1 .LBB113_1557
; %bb.1555:
	s_cmp_gt_i32 s14, 27
	s_cbranch_scc0 .LBB113_1558
; %bb.1556:
	global_load_dword v3, v[16:17], off
	s_mov_b64 s[8:9], 0
	s_waitcnt vmcnt(0)
	v_cvt_f64_u32_e32 v[10:11], v3
	s_branch .LBB113_1559
.LBB113_1557:
	s_mov_b64 s[8:9], -1
                                        ; implicit-def: $vgpr10_vgpr11
	s_branch .LBB113_1562
.LBB113_1558:
	s_mov_b64 s[8:9], -1
                                        ; implicit-def: $vgpr10_vgpr11
.LBB113_1559:
	s_andn2_b64 vcc, exec, s[8:9]
	s_cbranch_vccnz .LBB113_1561
; %bb.1560:
	global_load_ushort v3, v[16:17], off
	s_waitcnt vmcnt(0)
	v_cvt_f64_u32_e32 v[10:11], v3
.LBB113_1561:
	s_mov_b64 s[8:9], 0
.LBB113_1562:
	s_andn2_b64 vcc, exec, s[8:9]
	s_cbranch_vccnz .LBB113_1572
; %bb.1563:
	global_load_ubyte v3, v[16:17], off
	s_movk_i32 s8, 0x7f
	s_waitcnt vmcnt(0)
	v_cmp_lt_i16_e32 vcc, s8, v3
	s_mov_b64 s[8:9], 0
	s_and_saveexec_b64 s[10:11], vcc
	s_xor_b64 s[10:11], exec, s[10:11]
	s_cbranch_execz .LBB113_1567
; %bb.1564:
	s_movk_i32 s8, 0x80
	v_cmp_eq_u16_e32 vcc, s8, v3
	s_mov_b64 s[8:9], -1
	s_and_saveexec_b64 s[12:13], vcc
; %bb.1565:
	s_xor_b64 s[8:9], exec, -1
; %bb.1566:
	s_or_b64 exec, exec, s[12:13]
	s_and_b64 s[8:9], s[8:9], exec
.LBB113_1567:
	s_or_saveexec_b64 s[10:11], s[10:11]
	v_bfrev_b32_e32 v10, 4
	v_mov_b32_e32 v11, 0x7ff80000
	s_xor_b64 exec, exec, s[10:11]
; %bb.1568:
	v_cmp_ne_u16_e32 vcc, 0, v3
	s_andn2_b64 s[8:9], s[8:9], exec
	s_and_b64 s[12:13], vcc, exec
	v_mov_b64_e32 v[10:11], 0
	s_or_b64 s[8:9], s[8:9], s[12:13]
; %bb.1569:
	s_or_b64 exec, exec, s[10:11]
	s_and_saveexec_b64 s[10:11], s[8:9]
	s_cbranch_execz .LBB113_1571
; %bb.1570:
	v_lshlrev_b32_e32 v5, 24, v3
	v_and_b32_e32 v3, 0xffff, v3
	v_and_b32_e32 v7, 7, v3
	v_ffbh_u32_e32 v10, v7
	v_min_u32_e32 v10, 32, v10
	v_subrev_u32_e32 v11, 28, v10
	v_bfe_u32 v9, v3, 3, 4
	v_lshlrev_b32_e32 v3, v11, v3
	v_sub_u32_e32 v10, 29, v10
	v_and_b32_e32 v3, 7, v3
	v_cmp_eq_u32_e32 vcc, 0, v9
	v_and_b32_e32 v5, 0x80000000, v5
	s_nop 0
	v_cndmask_b32_e32 v9, v9, v10, vcc
	v_cndmask_b32_e32 v3, v7, v3, vcc
	v_mov_b32_e32 v7, 0x3b800000
	v_lshlrev_b32_e32 v3, 20, v3
	v_lshl_add_u32 v7, v9, 23, v7
	v_or3_b32 v3, v5, v7, v3
	v_cvt_f64_f32_e32 v[10:11], v3
.LBB113_1571:
	s_or_b64 exec, exec, s[10:11]
.LBB113_1572:
	s_mov_b64 s[8:9], -1
.LBB113_1573:
	s_mov_b64 s[10:11], 0
.LBB113_1574:
	s_and_b64 vcc, exec, s[10:11]
	s_cbranch_vccz .LBB113_1605
; %bb.1575:
	s_cmp_gt_i32 s14, 22
	s_cbranch_scc0 .LBB113_1587
; %bb.1576:
	s_cmp_lt_i32 s14, 24
	s_cbranch_scc1 .LBB113_1588
; %bb.1577:
	s_cmp_gt_i32 s14, 24
	s_cbranch_scc0 .LBB113_1589
; %bb.1578:
	global_load_ubyte v3, v[16:17], off
	s_movk_i32 s6, 0x7f
	s_waitcnt vmcnt(0)
	v_cmp_lt_i16_e32 vcc, s6, v3
	s_mov_b64 s[6:7], 0
	s_and_saveexec_b64 s[8:9], vcc
	s_xor_b64 s[8:9], exec, s[8:9]
	s_cbranch_execz .LBB113_1582
; %bb.1579:
	s_movk_i32 s6, 0x80
	v_cmp_eq_u16_e32 vcc, s6, v3
	s_mov_b64 s[6:7], -1
	s_and_saveexec_b64 s[10:11], vcc
; %bb.1580:
	s_xor_b64 s[6:7], exec, -1
; %bb.1581:
	s_or_b64 exec, exec, s[10:11]
	s_and_b64 s[6:7], s[6:7], exec
.LBB113_1582:
	s_or_saveexec_b64 s[8:9], s[8:9]
	v_bfrev_b32_e32 v10, 4
	v_mov_b32_e32 v11, 0x7ff80000
	s_xor_b64 exec, exec, s[8:9]
; %bb.1583:
	v_cmp_ne_u16_e32 vcc, 0, v3
	s_andn2_b64 s[6:7], s[6:7], exec
	s_and_b64 s[10:11], vcc, exec
	v_mov_b64_e32 v[10:11], 0
	s_or_b64 s[6:7], s[6:7], s[10:11]
; %bb.1584:
	s_or_b64 exec, exec, s[8:9]
	s_and_saveexec_b64 s[8:9], s[6:7]
	s_cbranch_execz .LBB113_1586
; %bb.1585:
	v_lshlrev_b32_e32 v5, 24, v3
	v_and_b32_e32 v3, 0xffff, v3
	v_and_b32_e32 v7, 3, v3
	v_ffbh_u32_e32 v10, v7
	v_min_u32_e32 v10, 32, v10
	v_subrev_u32_e32 v11, 29, v10
	v_bfe_u32 v9, v3, 2, 5
	v_lshlrev_b32_e32 v3, v11, v3
	v_sub_u32_e32 v10, 30, v10
	v_and_b32_e32 v3, 3, v3
	v_cmp_eq_u32_e32 vcc, 0, v9
	v_and_b32_e32 v5, 0x80000000, v5
	s_nop 0
	v_cndmask_b32_e32 v9, v9, v10, vcc
	v_cndmask_b32_e32 v3, v7, v3, vcc
	v_mov_b32_e32 v7, 0x37800000
	v_lshlrev_b32_e32 v3, 21, v3
	v_lshl_add_u32 v7, v9, 23, v7
	v_or3_b32 v3, v5, v7, v3
	v_cvt_f64_f32_e32 v[10:11], v3
.LBB113_1586:
	s_or_b64 exec, exec, s[8:9]
	s_mov_b64 s[6:7], 0
	s_branch .LBB113_1590
.LBB113_1587:
	s_mov_b64 s[6:7], -1
                                        ; implicit-def: $vgpr10_vgpr11
	s_branch .LBB113_1596
.LBB113_1588:
	s_mov_b64 s[6:7], -1
                                        ; implicit-def: $vgpr10_vgpr11
	s_branch .LBB113_1593
.LBB113_1589:
	s_mov_b64 s[6:7], -1
                                        ; implicit-def: $vgpr10_vgpr11
.LBB113_1590:
	s_and_b64 vcc, exec, s[6:7]
	s_cbranch_vccz .LBB113_1592
; %bb.1591:
	global_load_ubyte v3, v[16:17], off
	s_mov_b32 s6, 0x7f800000
	s_waitcnt vmcnt(0)
	v_lshlrev_b32_e32 v3, 24, v3
	v_and_b32_e32 v5, 0x7f000000, v3
	v_ffbh_u32_e32 v7, v5
	v_min_u32_e32 v7, 32, v7
	v_sub_u32_e64 v7, v7, 4 clamp
	v_lshlrev_b32_e32 v10, v7, v5
	v_lshlrev_b32_e32 v7, 23, v7
	v_lshrrev_b32_e32 v10, 4, v10
	v_add_u32_e32 v9, 0x1000000, v5
	v_sub_u32_e32 v7, v10, v7
	v_ashrrev_i32_e32 v9, 8, v9
	v_add_u32_e32 v7, 0x3c000000, v7
	v_and_or_b32 v7, v9, s6, v7
	v_cmp_ne_u32_e32 vcc, 0, v5
	s_brev_b32 s6, 1
	s_nop 0
	v_cndmask_b32_e32 v5, 0, v7, vcc
	v_and_or_b32 v3, v3, s6, v5
	v_cvt_f64_f32_e32 v[10:11], v3
.LBB113_1592:
	s_mov_b64 s[6:7], 0
.LBB113_1593:
	s_andn2_b64 vcc, exec, s[6:7]
	s_cbranch_vccnz .LBB113_1595
; %bb.1594:
	global_load_ubyte v3, v[16:17], off
	s_movk_i32 s6, 0x7f00
	s_brev_b32 s7, 16
	s_waitcnt vmcnt(0)
	v_lshlrev_b16_e32 v5, 8, v3
	v_lshlrev_b32_e32 v3, 25, v3
	v_lshrrev_b32_e32 v7, 4, v3
	v_and_or_b32 v9, v5, s6, 0.5
	v_or_b32_e32 v7, 0x70000000, v7
	v_add_f32_e32 v9, -0.5, v9
	v_mul_f32_e32 v7, 0x7800000, v7
	v_cmp_gt_u32_e32 vcc, s7, v3
	v_bfe_i32 v5, v5, 0, 16
	s_brev_b32 s6, 1
	v_cndmask_b32_e32 v3, v7, v9, vcc
	v_and_or_b32 v3, v5, s6, v3
	v_cvt_f64_f32_e32 v[10:11], v3
.LBB113_1595:
	s_mov_b64 s[6:7], 0
	s_mov_b64 s[8:9], -1
.LBB113_1596:
	s_andn2_b64 vcc, exec, s[6:7]
	s_mov_b64 s[6:7], 0
	s_cbranch_vccnz .LBB113_1605
; %bb.1597:
	s_cmp_gt_i32 s14, 14
	s_cbranch_scc0 .LBB113_1600
; %bb.1598:
	s_cmp_eq_u32 s14, 15
	s_cbranch_scc0 .LBB113_1601
; %bb.1599:
	global_load_ushort v3, v[16:17], off
	s_mov_b64 s[0:1], 0
	s_mov_b64 s[8:9], -1
	s_waitcnt vmcnt(0)
	v_lshlrev_b32_e32 v3, 16, v3
	v_cvt_f64_f32_e32 v[10:11], v3
	s_branch .LBB113_1602
.LBB113_1600:
	s_mov_b64 s[10:11], -1
                                        ; implicit-def: $vgpr10_vgpr11
	s_branch .LBB113_1603
.LBB113_1601:
	s_mov_b64 s[0:1], -1
                                        ; implicit-def: $vgpr10_vgpr11
.LBB113_1602:
	s_mov_b64 s[10:11], 0
.LBB113_1603:
	s_and_b64 vcc, exec, s[10:11]
	s_cbranch_vccz .LBB113_1605
; %bb.1604:
	s_cmp_lg_u32 s14, 11
	s_mov_b64 s[6:7], -1
	s_cselect_b64 s[0:1], -1, 0
.LBB113_1605:
	s_and_b64 vcc, exec, s[0:1]
	s_cbranch_vccnz .LBB113_2138
; %bb.1606:
	s_andn2_b64 vcc, exec, s[6:7]
	s_cbranch_vccnz .LBB113_1608
.LBB113_1607:
	global_load_ubyte v3, v[16:17], off
	s_waitcnt vmcnt(1)
	v_mov_b32_e32 v5, 0x3ff00000
	v_mov_b32_e32 v10, 0
	s_mov_b64 s[8:9], -1
	s_waitcnt vmcnt(0)
	v_cmp_ne_u16_e32 vcc, 0, v3
	s_nop 1
	v_cndmask_b32_e32 v11, 0, v5, vcc
.LBB113_1608:
	s_mov_b64 s[0:1], 0
.LBB113_1609:
	s_and_b64 vcc, exec, s[0:1]
	s_cbranch_vccz .LBB113_1658
; %bb.1610:
	s_and_b32 s6, 0xffff, s17
	s_cmp_lt_i32 s6, 5
	s_cbranch_scc1 .LBB113_1615
; %bb.1611:
	s_cmp_lt_i32 s6, 8
	s_cbranch_scc1 .LBB113_1616
; %bb.1612:
	;; [unrolled: 3-line block ×3, first 2 shown]
	s_cmp_gt_i32 s6, 9
	s_cbranch_scc0 .LBB113_1618
; %bb.1614:
	global_load_dwordx2 v[10:11], v[16:17], off
	s_mov_b64 s[0:1], 0
	s_branch .LBB113_1619
.LBB113_1615:
	s_mov_b64 s[0:1], -1
                                        ; implicit-def: $vgpr10_vgpr11
	s_branch .LBB113_1637
.LBB113_1616:
	s_mov_b64 s[0:1], -1
                                        ; implicit-def: $vgpr10_vgpr11
	s_branch .LBB113_1625
.LBB113_1617:
	s_mov_b64 s[0:1], -1
                                        ; implicit-def: $vgpr10_vgpr11
	s_branch .LBB113_1622
.LBB113_1618:
	s_mov_b64 s[0:1], -1
                                        ; implicit-def: $vgpr10_vgpr11
.LBB113_1619:
	s_andn2_b64 vcc, exec, s[0:1]
	s_cbranch_vccnz .LBB113_1621
; %bb.1620:
	global_load_dword v3, v[16:17], off
	s_waitcnt vmcnt(0)
	v_cvt_f64_f32_e32 v[10:11], v3
.LBB113_1621:
	s_mov_b64 s[0:1], 0
.LBB113_1622:
	s_andn2_b64 vcc, exec, s[0:1]
	s_cbranch_vccnz .LBB113_1624
; %bb.1623:
	global_load_dword v3, v[16:17], off
	s_waitcnt vmcnt(0)
	v_cvt_f32_f16_e32 v3, v3
	v_cvt_f64_f32_e32 v[10:11], v3
.LBB113_1624:
	s_mov_b64 s[0:1], 0
.LBB113_1625:
	s_andn2_b64 vcc, exec, s[0:1]
	s_cbranch_vccnz .LBB113_1636
; %bb.1626:
	s_cmp_lt_i32 s6, 6
	s_cbranch_scc1 .LBB113_1629
; %bb.1627:
	s_cmp_gt_i32 s6, 6
	s_cbranch_scc0 .LBB113_1630
; %bb.1628:
	global_load_dwordx2 v[10:11], v[16:17], off
	s_mov_b64 s[0:1], 0
	s_branch .LBB113_1631
.LBB113_1629:
	s_mov_b64 s[0:1], -1
                                        ; implicit-def: $vgpr10_vgpr11
	s_branch .LBB113_1634
.LBB113_1630:
	s_mov_b64 s[0:1], -1
                                        ; implicit-def: $vgpr10_vgpr11
.LBB113_1631:
	s_andn2_b64 vcc, exec, s[0:1]
	s_cbranch_vccnz .LBB113_1633
; %bb.1632:
	global_load_dword v3, v[16:17], off
	s_waitcnt vmcnt(0)
	v_cvt_f64_f32_e32 v[10:11], v3
.LBB113_1633:
	s_mov_b64 s[0:1], 0
.LBB113_1634:
	s_andn2_b64 vcc, exec, s[0:1]
	s_cbranch_vccnz .LBB113_1636
; %bb.1635:
	global_load_ushort v3, v[16:17], off
	s_waitcnt vmcnt(0)
	v_cvt_f32_f16_e32 v3, v3
	v_cvt_f64_f32_e32 v[10:11], v3
.LBB113_1636:
	s_mov_b64 s[0:1], 0
.LBB113_1637:
	s_andn2_b64 vcc, exec, s[0:1]
	s_cbranch_vccnz .LBB113_1657
; %bb.1638:
	s_cmp_lt_i32 s6, 2
	s_cbranch_scc1 .LBB113_1642
; %bb.1639:
	s_cmp_lt_i32 s6, 3
	s_cbranch_scc1 .LBB113_1643
; %bb.1640:
	s_cmp_gt_i32 s6, 3
	s_cbranch_scc0 .LBB113_1644
; %bb.1641:
	global_load_dwordx2 v[10:11], v[16:17], off
	s_mov_b64 s[0:1], 0
	s_waitcnt vmcnt(0)
	v_cvt_f64_i32_e32 v[18:19], v11
	v_cvt_f64_u32_e32 v[10:11], v10
	v_ldexp_f64 v[18:19], v[18:19], 32
	v_add_f64 v[10:11], v[18:19], v[10:11]
	s_branch .LBB113_1645
.LBB113_1642:
	s_mov_b64 s[0:1], -1
                                        ; implicit-def: $vgpr10_vgpr11
	s_branch .LBB113_1651
.LBB113_1643:
	s_mov_b64 s[0:1], -1
                                        ; implicit-def: $vgpr10_vgpr11
	s_branch .LBB113_1648
.LBB113_1644:
	s_mov_b64 s[0:1], -1
                                        ; implicit-def: $vgpr10_vgpr11
.LBB113_1645:
	s_andn2_b64 vcc, exec, s[0:1]
	s_cbranch_vccnz .LBB113_1647
; %bb.1646:
	global_load_dword v3, v[16:17], off
	s_waitcnt vmcnt(0)
	v_cvt_f64_i32_e32 v[10:11], v3
.LBB113_1647:
	s_mov_b64 s[0:1], 0
.LBB113_1648:
	s_andn2_b64 vcc, exec, s[0:1]
	s_cbranch_vccnz .LBB113_1650
; %bb.1649:
	global_load_sshort v3, v[16:17], off
	s_waitcnt vmcnt(0)
	v_cvt_f64_i32_e32 v[10:11], v3
.LBB113_1650:
	s_mov_b64 s[0:1], 0
.LBB113_1651:
	s_andn2_b64 vcc, exec, s[0:1]
	s_cbranch_vccnz .LBB113_1657
; %bb.1652:
	s_cmp_gt_i32 s6, 0
	s_cbranch_scc0 .LBB113_1654
; %bb.1653:
	global_load_sbyte v3, v[16:17], off
	s_mov_b64 s[0:1], 0
	s_waitcnt vmcnt(0)
	v_cvt_f64_i32_e32 v[10:11], v3
	s_branch .LBB113_1655
.LBB113_1654:
	s_mov_b64 s[0:1], -1
                                        ; implicit-def: $vgpr10_vgpr11
.LBB113_1655:
	s_andn2_b64 vcc, exec, s[0:1]
	s_cbranch_vccnz .LBB113_1657
; %bb.1656:
	global_load_ubyte v3, v[16:17], off
	s_waitcnt vmcnt(0)
	v_cvt_f64_u32_e32 v[10:11], v3
.LBB113_1657:
	s_mov_b64 s[8:9], -1
.LBB113_1658:
	s_andn2_b64 vcc, exec, s[8:9]
	s_cbranch_vccnz .LBB113_2092
; %bb.1659:
	s_mov_b32 s0, 0x652b82fe
	s_mov_b32 s1, 0x3ff71547
	s_waitcnt vmcnt(0)
	v_mul_f64 v[16:17], v[0:1], s[0:1]
	v_rndne_f64_e32 v[16:17], v[16:17]
	s_mov_b32 s1, 0xbfe62e42
	s_mov_b32 s0, 0xfefa39ef
	;; [unrolled: 1-line block ×3, first 2 shown]
	v_fma_f64 v[18:19], s[0:1], v[16:17], v[0:1]
	s_mov_b32 s7, 0xbc7abc9e
	v_fmac_f64_e32 v[18:19], s[6:7], v[16:17]
	s_mov_b32 s6, 0xa9d67f34
	v_mov_b32_e32 v20, 0x2a1b768b
	v_mov_b32_e32 v21, 0x3e5af4eb
	s_mov_b32 s7, 0x3e21f32e
	v_fmac_f64_e32 v[20:21], s[6:7], v[18:19]
	v_mov_b32_e32 v22, 0xe0ac05b
	v_mov_b32_e32 v23, 0x3e927e50
	v_fmac_f64_e32 v[22:23], v[18:19], v[20:21]
	v_mov_b32_e32 v20, 0x1b889c29
	v_mov_b32_e32 v21, 0x3ec71de0
	;; [unrolled: 3-line block ×8, first 2 shown]
	v_fmac_f64_e32 v[20:21], v[18:19], v[22:23]
	v_fma_f64 v[20:21], v[18:19], v[20:21], 0.5
	s_mov_b32 s6, 0
	v_mul_f64 v[20:21], v[18:19], v[20:21]
	s_mov_b32 s7, 0x40900000
	v_cvt_i32_f64_e32 v3, v[16:17]
	v_fmac_f64_e32 v[18:19], v[18:19], v[20:21]
	v_ldexp_f64 v[20:21], 1.0, v3
	v_mov_b32_e32 v3, 0x7fe00000
	v_cmp_eq_f64_e32 vcc, s[6:7], v[16:17]
	s_mov_b32 s1, 0x40862e42
	v_mov_b32_e32 v7, 0x7ff00000
	v_cndmask_b32_e32 v17, v21, v3, vcc
	v_cndmask_b32_e64 v16, v20, 0, vcc
	v_add_f64 v[20:21], v[16:17], -1.0
	v_fmac_f64_e32 v[20:21], v[16:17], v[18:19]
	v_add_f64 v[16:17], v[20:21], v[20:21]
	v_cndmask_b32_e32 v3, v20, v16, vcc
	v_cndmask_b32_e32 v5, v21, v17, vcc
	v_cmp_nlt_f64_e32 vcc, s[0:1], v[0:1]
	s_mov_b32 s0, 0
	s_mov_b32 s1, 0xc0428000
	v_cmp_ngt_f64_e64 s[0:1], s[0:1], v[0:1]
	v_cndmask_b32_e32 v5, v7, v5, vcc
	s_and_b64 vcc, s[0:1], vcc
	s_bfe_u32 s14, s16, 0x80008
	v_mov_b32_e32 v7, 0xbff00000
	v_cndmask_b32_e32 v0, 0, v3, vcc
	v_mov_b32_e32 v3, 0
	v_cndmask_b32_e64 v1, v7, v5, s[0:1]
	s_cmp_lt_i32 s14, 11
	v_lshl_add_u64 v[16:17], s[4:5], 0, v[2:3]
	s_cbranch_scc1 .LBB113_1737
; %bb.1660:
	s_and_b32 s15, 0xffff, s14
	s_mov_b64 s[10:11], -1
	s_mov_b64 s[6:7], 0
	s_cmp_gt_i32 s15, 25
	s_mov_b64 s[8:9], 0
	s_mov_b64 s[0:1], 0
	s_cbranch_scc0 .LBB113_1693
; %bb.1661:
	s_cmp_gt_i32 s15, 28
	s_cbranch_scc0 .LBB113_1676
; %bb.1662:
	s_cmp_gt_i32 s15, 43
	;; [unrolled: 3-line block ×3, first 2 shown]
	s_cbranch_scc0 .LBB113_1666
; %bb.1664:
	s_mov_b64 s[0:1], -1
	s_mov_b64 s[10:11], 0
	s_cmp_eq_u32 s15, 46
	s_cbranch_scc0 .LBB113_1666
; %bb.1665:
	v_cvt_f32_f64_e32 v2, v[0:1]
	v_bfe_u32 v3, v2, 16, 1
	s_movk_i32 s0, 0x7fff
	v_add3_u32 v3, v2, v3, s0
	v_cmp_o_f32_e32 vcc, v2, v2
	v_mov_b32_e32 v2, 0x7fc0
	s_mov_b64 s[0:1], 0
	v_cndmask_b32_sdwa v2, v2, v3, vcc dst_sel:DWORD dst_unused:UNUSED_PAD src0_sel:DWORD src1_sel:WORD_1
	global_store_dword v[16:17], v2, off
	s_mov_b64 s[8:9], -1
.LBB113_1666:
	s_and_b64 vcc, exec, s[10:11]
	s_cbranch_vccz .LBB113_1671
; %bb.1667:
	s_cmp_eq_u32 s15, 44
	s_mov_b64 s[0:1], -1
	s_cbranch_scc0 .LBB113_1671
; %bb.1668:
	v_cvt_f32_f64_e32 v2, v[0:1]
	v_bfe_u32 v3, v2, 23, 8
	s_movk_i32 s0, 0xff
	v_cmp_ne_u32_e32 vcc, s0, v3
	v_mov_b32_e32 v5, 0xff
	s_and_saveexec_b64 s[8:9], vcc
; %bb.1669:
	s_mov_b32 s0, 0x3fffff
	v_lshrrev_b32_e32 v5, 23, v2
	v_and_b32_e32 v7, 0x400000, v2
	v_and_or_b32 v2, v2, s0, v3
	v_cmp_ne_u32_e32 vcc, 0, v7
	v_cmp_ne_u32_e64 s[0:1], 0, v2
	s_and_b64 s[0:1], vcc, s[0:1]
	s_nop 0
	v_cndmask_b32_e64 v2, 0, 1, s[0:1]
	v_add_u32_e32 v5, v5, v2
; %bb.1670:
	s_or_b64 exec, exec, s[8:9]
	s_mov_b64 s[0:1], 0
	s_mov_b64 s[8:9], -1
	global_store_byte v[16:17], v5, off
.LBB113_1671:
	s_mov_b64 s[10:11], 0
.LBB113_1672:
	s_and_b64 vcc, exec, s[10:11]
	s_cbranch_vccz .LBB113_1675
; %bb.1673:
	s_cmp_eq_u32 s15, 29
	s_mov_b64 s[0:1], -1
	s_cbranch_scc0 .LBB113_1675
; %bb.1674:
	v_trunc_f64_e32 v[2:3], v[0:1]
	s_movk_i32 s0, 0xffe0
	v_ldexp_f64 v[18:19], v[2:3], s0
	v_floor_f64_e32 v[18:19], v[18:19]
	v_fmac_f64_e32 v[2:3], 0xc1f00000, v[18:19]
	v_cvt_u32_f64_e32 v21, v[18:19]
	v_cvt_u32_f64_e32 v20, v[2:3]
	global_store_dwordx2 v[16:17], v[20:21], off
	s_mov_b64 s[0:1], 0
	s_mov_b64 s[8:9], -1
.LBB113_1675:
	s_mov_b64 s[10:11], 0
.LBB113_1676:
	s_and_b64 vcc, exec, s[10:11]
	s_cbranch_vccz .LBB113_1692
; %bb.1677:
	s_cmp_lt_i32 s15, 27
	s_mov_b64 s[8:9], -1
	s_cbranch_scc1 .LBB113_1683
; %bb.1678:
	s_cmp_gt_i32 s15, 27
	v_cvt_u32_f64_e32 v2, v[0:1]
	s_cbranch_scc0 .LBB113_1680
; %bb.1679:
	s_mov_b64 s[8:9], 0
	global_store_dword v[16:17], v2, off
.LBB113_1680:
	s_andn2_b64 vcc, exec, s[8:9]
	s_cbranch_vccnz .LBB113_1682
; %bb.1681:
	global_store_short v[16:17], v2, off
.LBB113_1682:
	s_mov_b64 s[8:9], 0
.LBB113_1683:
	s_andn2_b64 vcc, exec, s[8:9]
	s_cbranch_vccnz .LBB113_1691
; %bb.1684:
	v_cvt_f32_f64_e32 v2, v[0:1]
	v_and_b32_e32 v3, 0x7fffffff, v2
	s_mov_b32 s8, 0x43800000
	v_cmp_gt_u32_e32 vcc, s8, v3
	v_mov_b32_e32 v5, 0x80
	s_and_saveexec_b64 s[8:9], vcc
	s_cbranch_execz .LBB113_1690
; %bb.1685:
	s_mov_b32 s10, 0x3bffffff
	v_cmp_lt_u32_e32 vcc, s10, v3
	s_mov_b64 s[10:11], 0
                                        ; implicit-def: $vgpr3
	s_and_saveexec_b64 s[12:13], vcc
	s_xor_b64 s[12:13], exec, s[12:13]
	s_cbranch_execz .LBB113_2139
; %bb.1686:
	v_bfe_u32 v3, v2, 20, 1
	s_mov_b32 s17, 0x487ffff
	v_add3_u32 v3, v2, v3, s17
	s_mov_b64 s[10:11], exec
	v_lshrrev_b32_e32 v3, 20, v3
	s_andn2_saveexec_b64 s[12:13], s[12:13]
	s_cbranch_execnz .LBB113_2140
.LBB113_1687:
	s_or_b64 exec, exec, s[12:13]
	v_mov_b32_e32 v5, 0
	s_and_saveexec_b64 s[12:13], s[10:11]
.LBB113_1688:
	v_lshrrev_b32_e32 v2, 24, v2
	s_movk_i32 s10, 0x80
	v_and_or_b32 v5, v2, s10, v3
.LBB113_1689:
	s_or_b64 exec, exec, s[12:13]
.LBB113_1690:
	s_or_b64 exec, exec, s[8:9]
	global_store_byte v[16:17], v5, off
.LBB113_1691:
	s_mov_b64 s[8:9], -1
.LBB113_1692:
	s_mov_b64 s[10:11], 0
.LBB113_1693:
	s_and_b64 vcc, exec, s[10:11]
	s_cbranch_vccz .LBB113_1733
; %bb.1694:
	s_cmp_gt_i32 s15, 22
	s_mov_b64 s[6:7], -1
	s_cbranch_scc0 .LBB113_1726
; %bb.1695:
	s_cmp_lt_i32 s15, 24
	s_cbranch_scc1 .LBB113_1715
; %bb.1696:
	s_cmp_gt_i32 s15, 24
	s_cbranch_scc0 .LBB113_1704
; %bb.1697:
	v_cvt_f32_f64_e32 v2, v[0:1]
	v_and_b32_e32 v3, 0x7fffffff, v2
	s_mov_b32 s6, 0x47800000
	v_cmp_gt_u32_e32 vcc, s6, v3
	v_mov_b32_e32 v5, 0x80
	s_and_saveexec_b64 s[6:7], vcc
	s_cbranch_execz .LBB113_1703
; %bb.1698:
	s_mov_b32 s8, 0x37ffffff
	v_cmp_lt_u32_e32 vcc, s8, v3
	s_mov_b64 s[8:9], 0
                                        ; implicit-def: $vgpr3
	s_and_saveexec_b64 s[10:11], vcc
	s_xor_b64 s[10:11], exec, s[10:11]
	s_cbranch_execz .LBB113_2142
; %bb.1699:
	v_bfe_u32 v3, v2, 21, 1
	s_mov_b32 s12, 0x88fffff
	v_add3_u32 v3, v2, v3, s12
	s_mov_b64 s[8:9], exec
	v_lshrrev_b32_e32 v3, 21, v3
	s_andn2_saveexec_b64 s[10:11], s[10:11]
	s_cbranch_execnz .LBB113_2143
.LBB113_1700:
	s_or_b64 exec, exec, s[10:11]
	v_mov_b32_e32 v5, 0
	s_and_saveexec_b64 s[10:11], s[8:9]
.LBB113_1701:
	v_lshrrev_b32_e32 v2, 24, v2
	s_movk_i32 s8, 0x80
	v_and_or_b32 v5, v2, s8, v3
.LBB113_1702:
	s_or_b64 exec, exec, s[10:11]
.LBB113_1703:
	s_or_b64 exec, exec, s[6:7]
	s_mov_b64 s[6:7], 0
	global_store_byte v[16:17], v5, off
.LBB113_1704:
	s_and_b64 vcc, exec, s[6:7]
	s_cbranch_vccz .LBB113_1714
; %bb.1705:
	v_cvt_f32_f64_e32 v2, v[0:1]
	v_and_b32_e32 v5, 0x7fffffff, v2
	s_mov_b32 s6, 0x43f00000
	v_cmp_gt_u32_e32 vcc, s6, v5
                                        ; implicit-def: $vgpr3
	s_and_saveexec_b64 s[6:7], vcc
	s_xor_b64 s[6:7], exec, s[6:7]
	s_cbranch_execz .LBB113_1711
; %bb.1706:
	s_mov_b32 s8, 0x3c7fffff
	v_cmp_lt_u32_e32 vcc, s8, v5
                                        ; implicit-def: $vgpr3
	s_and_saveexec_b64 s[8:9], vcc
	s_xor_b64 s[8:9], exec, s[8:9]
; %bb.1707:
	v_bfe_u32 v3, v2, 20, 1
	s_mov_b32 s10, 0x407ffff
	v_add3_u32 v3, v2, v3, s10
	v_lshrrev_b32_e32 v5, 20, v3
	v_and_b32_e32 v3, 0xff00000, v3
	s_mov_b32 s10, 0x7f00000
	v_mov_b32_e32 v7, 0x7e
	v_cmp_ne_u32_e32 vcc, s10, v3
	s_nop 1
	v_cndmask_b32_e32 v3, v7, v5, vcc
; %bb.1708:
	s_andn2_saveexec_b64 s[8:9], s[8:9]
; %bb.1709:
	s_mov_b32 s10, 0x46800000
	v_add_f32_e64 v3, |v2|, s10
; %bb.1710:
	s_or_b64 exec, exec, s[8:9]
                                        ; implicit-def: $vgpr5
.LBB113_1711:
	s_andn2_saveexec_b64 s[6:7], s[6:7]
; %bb.1712:
	s_mov_b32 s8, 0x7f800000
	v_mov_b32_e32 v3, 0x7e
	v_mov_b32_e32 v7, 0x7f
	v_cmp_lt_u32_e32 vcc, s8, v5
	s_nop 1
	v_cndmask_b32_e32 v3, v3, v7, vcc
; %bb.1713:
	s_or_b64 exec, exec, s[6:7]
	v_lshrrev_b32_e32 v2, 24, v2
	s_movk_i32 s6, 0x80
	v_and_or_b32 v2, v2, s6, v3
	global_store_byte v[16:17], v2, off
.LBB113_1714:
	s_mov_b64 s[6:7], 0
.LBB113_1715:
	s_andn2_b64 vcc, exec, s[6:7]
	s_cbranch_vccnz .LBB113_1725
; %bb.1716:
	v_cvt_f32_f64_e32 v2, v[0:1]
	v_and_b32_e32 v5, 0x7fffffff, v2
	s_mov_b32 s6, 0x47800000
	v_cmp_gt_u32_e32 vcc, s6, v5
                                        ; implicit-def: $vgpr3
	s_and_saveexec_b64 s[6:7], vcc
	s_xor_b64 s[6:7], exec, s[6:7]
	s_cbranch_execz .LBB113_1722
; %bb.1717:
	s_mov_b32 s8, 0x387fffff
	v_cmp_lt_u32_e32 vcc, s8, v5
                                        ; implicit-def: $vgpr3
	s_and_saveexec_b64 s[8:9], vcc
	s_xor_b64 s[8:9], exec, s[8:9]
; %bb.1718:
	v_bfe_u32 v3, v2, 21, 1
	s_mov_b32 s10, 0x80fffff
	v_add3_u32 v3, v2, v3, s10
	v_lshrrev_b32_e32 v3, 21, v3
; %bb.1719:
	s_andn2_saveexec_b64 s[8:9], s[8:9]
; %bb.1720:
	s_mov_b32 s10, 0x43000000
	v_add_f32_e64 v3, |v2|, s10
; %bb.1721:
	s_or_b64 exec, exec, s[8:9]
                                        ; implicit-def: $vgpr5
.LBB113_1722:
	s_andn2_saveexec_b64 s[6:7], s[6:7]
; %bb.1723:
	s_mov_b32 s8, 0x7f800000
	v_mov_b32_e32 v3, 0x7c
	v_mov_b32_e32 v7, 0x7f
	v_cmp_lt_u32_e32 vcc, s8, v5
	s_nop 1
	v_cndmask_b32_e32 v3, v3, v7, vcc
; %bb.1724:
	s_or_b64 exec, exec, s[6:7]
	v_lshrrev_b32_e32 v2, 24, v2
	s_movk_i32 s6, 0x80
	v_and_or_b32 v2, v2, s6, v3
	global_store_byte v[16:17], v2, off
.LBB113_1725:
	s_mov_b64 s[6:7], 0
	s_mov_b64 s[8:9], -1
.LBB113_1726:
	s_andn2_b64 vcc, exec, s[6:7]
	s_mov_b64 s[6:7], 0
	s_cbranch_vccnz .LBB113_1733
; %bb.1727:
	s_cmp_gt_i32 s15, 14
	s_mov_b64 s[10:11], -1
	s_cbranch_scc0 .LBB113_1731
; %bb.1728:
	s_cmp_eq_u32 s15, 15
	s_mov_b64 s[0:1], -1
	s_cbranch_scc0 .LBB113_1730
; %bb.1729:
	v_cvt_f32_f64_e32 v2, v[0:1]
	v_bfe_u32 v3, v2, 16, 1
	s_movk_i32 s0, 0x7fff
	v_add3_u32 v3, v2, v3, s0
	v_cmp_o_f32_e32 vcc, v2, v2
	v_mov_b32_e32 v2, 0x7fc0
	s_mov_b64 s[0:1], 0
	v_cndmask_b32_sdwa v2, v2, v3, vcc dst_sel:DWORD dst_unused:UNUSED_PAD src0_sel:DWORD src1_sel:WORD_1
	global_store_short v[16:17], v2, off
	s_mov_b64 s[8:9], -1
.LBB113_1730:
	s_mov_b64 s[10:11], 0
.LBB113_1731:
	s_and_b64 vcc, exec, s[10:11]
	s_cbranch_vccz .LBB113_1733
; %bb.1732:
	s_cmp_lg_u32 s15, 11
	s_mov_b64 s[6:7], -1
	s_cselect_b64 s[0:1], -1, 0
.LBB113_1733:
	s_and_b64 vcc, exec, s[0:1]
	s_cbranch_vccnz .LBB113_2141
; %bb.1734:
	s_andn2_b64 vcc, exec, s[6:7]
	s_cbranch_vccnz .LBB113_1736
.LBB113_1735:
	v_cmp_neq_f64_e32 vcc, 0, v[0:1]
	s_mov_b64 s[8:9], -1
	s_nop 0
	v_cndmask_b32_e64 v2, 0, 1, vcc
	global_store_byte v[16:17], v2, off
.LBB113_1736:
	s_mov_b64 s[0:1], 0
	s_branch .LBB113_1738
.LBB113_1737:
	s_mov_b64 s[0:1], -1
	s_mov_b64 s[8:9], 0
.LBB113_1738:
	s_and_b64 vcc, exec, s[0:1]
	s_cbranch_vccz .LBB113_1777
; %bb.1739:
	s_and_b32 s6, 0xffff, s14
	s_cmp_lt_i32 s6, 5
	s_mov_b64 s[0:1], -1
	s_cbranch_scc1 .LBB113_1760
; %bb.1740:
	s_cmp_lt_i32 s6, 8
	s_cbranch_scc1 .LBB113_1750
; %bb.1741:
	s_cmp_lt_i32 s6, 9
	s_cbranch_scc1 .LBB113_1747
; %bb.1742:
	s_cmp_gt_i32 s6, 9
	s_cbranch_scc0 .LBB113_1744
; %bb.1743:
	v_mov_b32_e32 v2, 0
	v_mov_b32_e32 v3, v2
	global_store_dwordx4 v[16:17], v[0:3], off
	s_mov_b64 s[0:1], 0
.LBB113_1744:
	s_andn2_b64 vcc, exec, s[0:1]
	s_cbranch_vccnz .LBB113_1746
; %bb.1745:
	v_cvt_f32_f64_e32 v2, v[0:1]
	v_mov_b32_e32 v3, 0
	global_store_dwordx2 v[16:17], v[2:3], off
.LBB113_1746:
	s_mov_b64 s[0:1], 0
.LBB113_1747:
	s_andn2_b64 vcc, exec, s[0:1]
	s_cbranch_vccnz .LBB113_1749
; %bb.1748:
	s_movk_i32 s0, 0x1ff
	v_and_or_b32 v2, v1, s0, v0
	v_cmp_ne_u32_e32 vcc, 0, v2
	v_lshrrev_b32_e32 v3, 8, v1
	s_movk_i32 s0, 0xffe
	v_cndmask_b32_e64 v2, 0, 1, vcc
	v_bfe_u32 v5, v1, 20, 11
	v_and_or_b32 v2, v3, s0, v2
	v_sub_u32_e32 v7, 0x3f1, v5
	v_or_b32_e32 v3, 0x1000, v2
	v_med3_i32 v7, v7, 0, 13
	v_lshrrev_b32_e32 v9, v7, v3
	v_lshlrev_b32_e32 v7, v7, v9
	v_cmp_ne_u32_e32 vcc, v7, v3
	v_add_u32_e32 v5, 0xfffffc10, v5
	v_lshl_or_b32 v7, v5, 12, v2
	v_cndmask_b32_e64 v3, 0, 1, vcc
	v_or_b32_e32 v3, v9, v3
	v_cmp_gt_i32_e32 vcc, 1, v5
	s_movk_i32 s0, 0x40f
	s_nop 0
	v_cndmask_b32_e32 v3, v7, v3, vcc
	v_and_b32_e32 v7, 7, v3
	v_cmp_lt_i32_e32 vcc, 5, v7
	v_lshrrev_b32_e32 v3, 2, v3
	s_nop 0
	v_cndmask_b32_e64 v9, 0, 1, vcc
	v_cmp_eq_u32_e32 vcc, 3, v7
	s_nop 1
	v_cndmask_b32_e64 v7, 0, 1, vcc
	v_or_b32_e32 v7, v7, v9
	v_add_u32_e32 v3, v3, v7
	v_mov_b32_e32 v7, 0x7c00
	v_cmp_gt_i32_e32 vcc, 31, v5
	v_mov_b32_e32 v9, 0x7e00
	s_nop 0
	v_cndmask_b32_e32 v3, v7, v3, vcc
	v_cmp_ne_u32_e32 vcc, 0, v2
	s_nop 1
	v_cndmask_b32_e32 v2, v7, v9, vcc
	v_cmp_eq_u32_e32 vcc, s0, v5
	s_mov_b32 s0, 0x8000
	s_nop 0
	v_cndmask_b32_e32 v2, v3, v2, vcc
	v_and_b32_sdwa v3, v1, s0 dst_sel:DWORD dst_unused:UNUSED_PAD src0_sel:WORD_1 src1_sel:DWORD
	s_mov_b32 s0, 0xffff
	v_bitop3_b32 v2, v3, s0, v2 bitop3:0xc8
	global_store_dword v[16:17], v2, off
.LBB113_1749:
	s_mov_b64 s[0:1], 0
.LBB113_1750:
	s_andn2_b64 vcc, exec, s[0:1]
	s_cbranch_vccnz .LBB113_1759
; %bb.1751:
	s_cmp_lt_i32 s6, 6
	s_mov_b64 s[0:1], -1
	s_cbranch_scc1 .LBB113_1757
; %bb.1752:
	s_cmp_gt_i32 s6, 6
	s_cbranch_scc0 .LBB113_1754
; %bb.1753:
	global_store_dwordx2 v[16:17], v[0:1], off
	s_mov_b64 s[0:1], 0
.LBB113_1754:
	s_andn2_b64 vcc, exec, s[0:1]
	s_cbranch_vccnz .LBB113_1756
; %bb.1755:
	v_cvt_f32_f64_e32 v2, v[0:1]
	global_store_dword v[16:17], v2, off
.LBB113_1756:
	s_mov_b64 s[0:1], 0
.LBB113_1757:
	s_andn2_b64 vcc, exec, s[0:1]
	s_cbranch_vccnz .LBB113_1759
; %bb.1758:
	s_movk_i32 s0, 0x1ff
	v_and_or_b32 v2, v1, s0, v0
	v_cmp_ne_u32_e32 vcc, 0, v2
	v_lshrrev_b32_e32 v3, 8, v1
	s_movk_i32 s0, 0xffe
	v_cndmask_b32_e64 v2, 0, 1, vcc
	v_bfe_u32 v5, v1, 20, 11
	v_and_or_b32 v2, v3, s0, v2
	v_sub_u32_e32 v7, 0x3f1, v5
	v_or_b32_e32 v3, 0x1000, v2
	v_med3_i32 v7, v7, 0, 13
	v_lshrrev_b32_e32 v9, v7, v3
	v_lshlrev_b32_e32 v7, v7, v9
	v_cmp_ne_u32_e32 vcc, v7, v3
	v_add_u32_e32 v5, 0xfffffc10, v5
	v_lshl_or_b32 v7, v5, 12, v2
	v_cndmask_b32_e64 v3, 0, 1, vcc
	v_or_b32_e32 v3, v9, v3
	v_cmp_gt_i32_e32 vcc, 1, v5
	s_movk_i32 s0, 0x40f
	s_nop 0
	v_cndmask_b32_e32 v3, v7, v3, vcc
	v_and_b32_e32 v7, 7, v3
	v_cmp_lt_i32_e32 vcc, 5, v7
	v_lshrrev_b32_e32 v3, 2, v3
	s_nop 0
	v_cndmask_b32_e64 v9, 0, 1, vcc
	v_cmp_eq_u32_e32 vcc, 3, v7
	s_nop 1
	v_cndmask_b32_e64 v7, 0, 1, vcc
	v_or_b32_e32 v7, v7, v9
	v_add_u32_e32 v3, v3, v7
	v_mov_b32_e32 v7, 0x7c00
	v_cmp_gt_i32_e32 vcc, 31, v5
	v_mov_b32_e32 v9, 0x7e00
	s_nop 0
	v_cndmask_b32_e32 v3, v7, v3, vcc
	v_cmp_ne_u32_e32 vcc, 0, v2
	s_nop 1
	v_cndmask_b32_e32 v2, v7, v9, vcc
	v_cmp_eq_u32_e32 vcc, s0, v5
	s_mov_b32 s0, 0x8000
	s_nop 0
	v_cndmask_b32_e32 v2, v3, v2, vcc
	v_lshrrev_b32_e32 v3, 16, v1
	v_and_or_b32 v2, v3, s0, v2
	global_store_short v[16:17], v2, off
.LBB113_1759:
	s_mov_b64 s[0:1], 0
.LBB113_1760:
	s_andn2_b64 vcc, exec, s[0:1]
	s_cbranch_vccnz .LBB113_1776
; %bb.1761:
	s_cmp_lt_i32 s6, 2
	s_mov_b64 s[0:1], -1
	s_cbranch_scc1 .LBB113_1771
; %bb.1762:
	s_cmp_lt_i32 s6, 3
	s_cbranch_scc1 .LBB113_1768
; %bb.1763:
	s_cmp_gt_i32 s6, 3
	s_cbranch_scc0 .LBB113_1765
; %bb.1764:
	v_trunc_f64_e32 v[2:3], v[0:1]
	s_movk_i32 s0, 0xffe0
	v_ldexp_f64 v[18:19], v[2:3], s0
	v_floor_f64_e32 v[18:19], v[18:19]
	v_fmac_f64_e32 v[2:3], 0xc1f00000, v[18:19]
	v_cvt_i32_f64_e32 v21, v[18:19]
	v_cvt_u32_f64_e32 v20, v[2:3]
	global_store_dwordx2 v[16:17], v[20:21], off
	s_mov_b64 s[0:1], 0
.LBB113_1765:
	s_andn2_b64 vcc, exec, s[0:1]
	s_cbranch_vccnz .LBB113_1767
; %bb.1766:
	v_cvt_i32_f64_e32 v2, v[0:1]
	global_store_dword v[16:17], v2, off
.LBB113_1767:
	s_mov_b64 s[0:1], 0
.LBB113_1768:
	s_andn2_b64 vcc, exec, s[0:1]
	s_cbranch_vccnz .LBB113_1770
; %bb.1769:
	v_cvt_i32_f64_e32 v2, v[0:1]
	global_store_short v[16:17], v2, off
.LBB113_1770:
	s_mov_b64 s[0:1], 0
.LBB113_1771:
	s_andn2_b64 vcc, exec, s[0:1]
	s_cbranch_vccnz .LBB113_1776
; %bb.1772:
	s_cmp_gt_i32 s6, 0
	s_mov_b64 s[0:1], -1
	s_cbranch_scc0 .LBB113_1774
; %bb.1773:
	v_cvt_i32_f64_e32 v2, v[0:1]
	global_store_byte v[16:17], v2, off
	s_mov_b64 s[0:1], 0
.LBB113_1774:
	s_andn2_b64 vcc, exec, s[0:1]
	s_cbranch_vccnz .LBB113_1776
; %bb.1775:
	v_trunc_f64_e32 v[0:1], v[0:1]
	s_movk_i32 s0, 0xffe0
	v_ldexp_f64 v[2:3], v[0:1], s0
	v_floor_f64_e32 v[2:3], v[2:3]
	v_fmac_f64_e32 v[0:1], 0xc1f00000, v[2:3]
	v_cvt_u32_f64_e32 v0, v[0:1]
	global_store_byte v[16:17], v0, off
.LBB113_1776:
	s_mov_b64 s[8:9], -1
.LBB113_1777:
	s_andn2_b64 vcc, exec, s[8:9]
	s_cbranch_vccnz .LBB113_2092
; %bb.1778:
	s_lshr_b32 s0, s16, 8
	s_and_b32 s14, s0, 0xff
	s_mov_b32 s0, 0x652b82fe
	s_mov_b32 s1, 0x3ff71547
	v_mul_f64 v[0:1], v[14:15], s[0:1]
	v_rndne_f64_e32 v[0:1], v[0:1]
	s_mov_b32 s1, 0xbfe62e42
	s_mov_b32 s0, 0xfefa39ef
	;; [unrolled: 1-line block ×3, first 2 shown]
	v_fma_f64 v[2:3], s[0:1], v[0:1], v[14:15]
	s_mov_b32 s7, 0xbc7abc9e
	v_fmac_f64_e32 v[2:3], s[6:7], v[0:1]
	s_mov_b32 s6, 0xa9d67f34
	v_mov_b32_e32 v16, 0x2a1b768b
	v_mov_b32_e32 v17, 0x3e5af4eb
	s_mov_b32 s7, 0x3e21f32e
	v_fmac_f64_e32 v[16:17], s[6:7], v[2:3]
	v_mov_b32_e32 v18, 0xe0ac05b
	v_mov_b32_e32 v19, 0x3e927e50
	v_fmac_f64_e32 v[18:19], v[2:3], v[16:17]
	v_mov_b32_e32 v16, 0x1b889c29
	v_mov_b32_e32 v17, 0x3ec71de0
	;; [unrolled: 3-line block ×8, first 2 shown]
	v_fmac_f64_e32 v[16:17], v[2:3], v[18:19]
	v_fma_f64 v[16:17], v[2:3], v[16:17], 0.5
	s_mov_b32 s6, 0
	v_mul_f64 v[16:17], v[2:3], v[16:17]
	s_mov_b32 s7, 0x40900000
	v_cvt_i32_f64_e32 v5, v[0:1]
	v_fmac_f64_e32 v[2:3], v[2:3], v[16:17]
	v_ldexp_f64 v[16:17], 1.0, v5
	v_mov_b32_e32 v5, 0x7fe00000
	v_cmp_eq_f64_e32 vcc, s[6:7], v[0:1]
	s_mov_b32 s1, 0x40862e42
	v_mov_b32_e32 v9, 0
	v_cndmask_b32_e32 v1, v17, v5, vcc
	v_cndmask_b32_e64 v0, v16, 0, vcc
	v_add_f64 v[16:17], v[0:1], -1.0
	v_fmac_f64_e32 v[16:17], v[0:1], v[2:3]
	v_add_f64 v[0:1], v[16:17], v[16:17]
	v_cndmask_b32_e32 v0, v16, v0, vcc
	v_cndmask_b32_e32 v1, v17, v1, vcc
	v_cmp_nlt_f64_e32 vcc, s[0:1], v[14:15]
	s_mov_b32 s0, 0
	s_mov_b32 s1, 0xc0428000
	v_mov_b32_e32 v2, 0x7ff00000
	v_cmp_ngt_f64_e64 s[0:1], s[0:1], v[14:15]
	v_cndmask_b32_e32 v1, v2, v1, vcc
	v_mov_b32_e32 v2, 0xbff00000
	s_and_b64 vcc, s[0:1], vcc
	v_cndmask_b32_e64 v1, v2, v1, s[0:1]
	v_cndmask_b32_e32 v0, 0, v0, vcc
	s_cmp_lt_i32 s14, 11
	v_lshl_add_u64 v[8:9], s[4:5], 0, v[8:9]
	s_cbranch_scc1 .LBB113_1856
; %bb.1779:
	s_and_b32 s15, 0xffff, s14
	s_mov_b64 s[10:11], -1
	s_mov_b64 s[6:7], 0
	s_cmp_gt_i32 s15, 25
	s_mov_b64 s[8:9], 0
	s_mov_b64 s[0:1], 0
	s_cbranch_scc0 .LBB113_1812
; %bb.1780:
	s_cmp_gt_i32 s15, 28
	s_cbranch_scc0 .LBB113_1795
; %bb.1781:
	s_cmp_gt_i32 s15, 43
	;; [unrolled: 3-line block ×3, first 2 shown]
	s_cbranch_scc0 .LBB113_1785
; %bb.1783:
	s_mov_b64 s[0:1], -1
	s_mov_b64 s[10:11], 0
	s_cmp_eq_u32 s15, 46
	s_cbranch_scc0 .LBB113_1785
; %bb.1784:
	v_cvt_f32_f64_e32 v2, v[0:1]
	v_bfe_u32 v3, v2, 16, 1
	s_movk_i32 s0, 0x7fff
	v_add3_u32 v3, v2, v3, s0
	v_cmp_o_f32_e32 vcc, v2, v2
	v_mov_b32_e32 v2, 0x7fc0
	s_mov_b64 s[0:1], 0
	v_cndmask_b32_sdwa v2, v2, v3, vcc dst_sel:DWORD dst_unused:UNUSED_PAD src0_sel:DWORD src1_sel:WORD_1
	global_store_dword v[8:9], v2, off
	s_mov_b64 s[8:9], -1
.LBB113_1785:
	s_and_b64 vcc, exec, s[10:11]
	s_cbranch_vccz .LBB113_1790
; %bb.1786:
	s_cmp_eq_u32 s15, 44
	s_mov_b64 s[0:1], -1
	s_cbranch_scc0 .LBB113_1790
; %bb.1787:
	v_cvt_f32_f64_e32 v2, v[0:1]
	v_bfe_u32 v3, v2, 23, 8
	s_movk_i32 s0, 0xff
	v_cmp_ne_u32_e32 vcc, s0, v3
	v_mov_b32_e32 v5, 0xff
	s_and_saveexec_b64 s[8:9], vcc
; %bb.1788:
	s_mov_b32 s0, 0x3fffff
	v_lshrrev_b32_e32 v5, 23, v2
	v_and_b32_e32 v7, 0x400000, v2
	v_and_or_b32 v2, v2, s0, v3
	v_cmp_ne_u32_e32 vcc, 0, v7
	v_cmp_ne_u32_e64 s[0:1], 0, v2
	s_and_b64 s[0:1], vcc, s[0:1]
	s_nop 0
	v_cndmask_b32_e64 v2, 0, 1, s[0:1]
	v_add_u32_e32 v5, v5, v2
; %bb.1789:
	s_or_b64 exec, exec, s[8:9]
	s_mov_b64 s[0:1], 0
	s_mov_b64 s[8:9], -1
	global_store_byte v[8:9], v5, off
.LBB113_1790:
	s_mov_b64 s[10:11], 0
.LBB113_1791:
	s_and_b64 vcc, exec, s[10:11]
	s_cbranch_vccz .LBB113_1794
; %bb.1792:
	s_cmp_eq_u32 s15, 29
	s_mov_b64 s[0:1], -1
	s_cbranch_scc0 .LBB113_1794
; %bb.1793:
	v_trunc_f64_e32 v[2:3], v[0:1]
	s_movk_i32 s0, 0xffe0
	v_ldexp_f64 v[14:15], v[2:3], s0
	v_floor_f64_e32 v[14:15], v[14:15]
	v_fmac_f64_e32 v[2:3], 0xc1f00000, v[14:15]
	v_cvt_u32_f64_e32 v17, v[14:15]
	v_cvt_u32_f64_e32 v16, v[2:3]
	global_store_dwordx2 v[8:9], v[16:17], off
	s_mov_b64 s[0:1], 0
	s_mov_b64 s[8:9], -1
.LBB113_1794:
	s_mov_b64 s[10:11], 0
.LBB113_1795:
	s_and_b64 vcc, exec, s[10:11]
	s_cbranch_vccz .LBB113_1811
; %bb.1796:
	s_cmp_lt_i32 s15, 27
	s_mov_b64 s[8:9], -1
	s_cbranch_scc1 .LBB113_1802
; %bb.1797:
	s_cmp_gt_i32 s15, 27
	s_cbranch_scc0 .LBB113_1799
; %bb.1798:
	v_cvt_u32_f64_e32 v2, v[0:1]
	s_mov_b64 s[8:9], 0
	global_store_dword v[8:9], v2, off
.LBB113_1799:
	s_andn2_b64 vcc, exec, s[8:9]
	s_cbranch_vccnz .LBB113_1801
; %bb.1800:
	v_cvt_u32_f64_e32 v2, v[0:1]
	global_store_short v[8:9], v2, off
.LBB113_1801:
	s_mov_b64 s[8:9], 0
.LBB113_1802:
	s_andn2_b64 vcc, exec, s[8:9]
	s_cbranch_vccnz .LBB113_1810
; %bb.1803:
	v_cvt_f32_f64_e32 v2, v[0:1]
	v_and_b32_e32 v3, 0x7fffffff, v2
	s_mov_b32 s8, 0x43800000
	v_cmp_gt_u32_e32 vcc, s8, v3
	v_mov_b32_e32 v5, 0x80
	s_and_saveexec_b64 s[8:9], vcc
	s_cbranch_execz .LBB113_1809
; %bb.1804:
	s_mov_b32 s10, 0x3bffffff
	v_cmp_lt_u32_e32 vcc, s10, v3
	s_mov_b64 s[10:11], 0
                                        ; implicit-def: $vgpr3
	s_and_saveexec_b64 s[12:13], vcc
	s_xor_b64 s[12:13], exec, s[12:13]
	s_cbranch_execz .LBB113_2144
; %bb.1805:
	v_bfe_u32 v3, v2, 20, 1
	s_mov_b32 s16, 0x487ffff
	v_add3_u32 v3, v2, v3, s16
	s_mov_b64 s[10:11], exec
	v_lshrrev_b32_e32 v3, 20, v3
	s_andn2_saveexec_b64 s[12:13], s[12:13]
	s_cbranch_execnz .LBB113_2145
.LBB113_1806:
	s_or_b64 exec, exec, s[12:13]
	v_mov_b32_e32 v5, 0
	s_and_saveexec_b64 s[12:13], s[10:11]
.LBB113_1807:
	v_lshrrev_b32_e32 v2, 24, v2
	s_movk_i32 s10, 0x80
	v_and_or_b32 v5, v2, s10, v3
.LBB113_1808:
	s_or_b64 exec, exec, s[12:13]
.LBB113_1809:
	s_or_b64 exec, exec, s[8:9]
	global_store_byte v[8:9], v5, off
.LBB113_1810:
	s_mov_b64 s[8:9], -1
.LBB113_1811:
	s_mov_b64 s[10:11], 0
.LBB113_1812:
	s_and_b64 vcc, exec, s[10:11]
	s_cbranch_vccz .LBB113_1852
; %bb.1813:
	s_cmp_gt_i32 s15, 22
	s_mov_b64 s[6:7], -1
	s_cbranch_scc0 .LBB113_1845
; %bb.1814:
	s_cmp_lt_i32 s15, 24
	s_cbranch_scc1 .LBB113_1834
; %bb.1815:
	s_cmp_gt_i32 s15, 24
	s_cbranch_scc0 .LBB113_1823
; %bb.1816:
	v_cvt_f32_f64_e32 v2, v[0:1]
	v_and_b32_e32 v3, 0x7fffffff, v2
	s_mov_b32 s6, 0x47800000
	v_cmp_gt_u32_e32 vcc, s6, v3
	v_mov_b32_e32 v5, 0x80
	s_and_saveexec_b64 s[6:7], vcc
	s_cbranch_execz .LBB113_1822
; %bb.1817:
	s_mov_b32 s8, 0x37ffffff
	v_cmp_lt_u32_e32 vcc, s8, v3
	s_mov_b64 s[8:9], 0
                                        ; implicit-def: $vgpr3
	s_and_saveexec_b64 s[10:11], vcc
	s_xor_b64 s[10:11], exec, s[10:11]
	s_cbranch_execz .LBB113_2147
; %bb.1818:
	v_bfe_u32 v3, v2, 21, 1
	s_mov_b32 s12, 0x88fffff
	v_add3_u32 v3, v2, v3, s12
	s_mov_b64 s[8:9], exec
	v_lshrrev_b32_e32 v3, 21, v3
	s_andn2_saveexec_b64 s[10:11], s[10:11]
	s_cbranch_execnz .LBB113_2148
.LBB113_1819:
	s_or_b64 exec, exec, s[10:11]
	v_mov_b32_e32 v5, 0
	s_and_saveexec_b64 s[10:11], s[8:9]
.LBB113_1820:
	v_lshrrev_b32_e32 v2, 24, v2
	s_movk_i32 s8, 0x80
	v_and_or_b32 v5, v2, s8, v3
.LBB113_1821:
	s_or_b64 exec, exec, s[10:11]
.LBB113_1822:
	s_or_b64 exec, exec, s[6:7]
	s_mov_b64 s[6:7], 0
	global_store_byte v[8:9], v5, off
.LBB113_1823:
	s_and_b64 vcc, exec, s[6:7]
	s_cbranch_vccz .LBB113_1833
; %bb.1824:
	v_cvt_f32_f64_e32 v2, v[0:1]
	v_and_b32_e32 v5, 0x7fffffff, v2
	s_mov_b32 s6, 0x43f00000
	v_cmp_gt_u32_e32 vcc, s6, v5
                                        ; implicit-def: $vgpr3
	s_and_saveexec_b64 s[6:7], vcc
	s_xor_b64 s[6:7], exec, s[6:7]
	s_cbranch_execz .LBB113_1830
; %bb.1825:
	s_mov_b32 s8, 0x3c7fffff
	v_cmp_lt_u32_e32 vcc, s8, v5
                                        ; implicit-def: $vgpr3
	s_and_saveexec_b64 s[8:9], vcc
	s_xor_b64 s[8:9], exec, s[8:9]
; %bb.1826:
	v_bfe_u32 v3, v2, 20, 1
	s_mov_b32 s10, 0x407ffff
	v_add3_u32 v3, v2, v3, s10
	v_lshrrev_b32_e32 v5, 20, v3
	v_and_b32_e32 v3, 0xff00000, v3
	s_mov_b32 s10, 0x7f00000
	v_mov_b32_e32 v7, 0x7e
	v_cmp_ne_u32_e32 vcc, s10, v3
	s_nop 1
	v_cndmask_b32_e32 v3, v7, v5, vcc
; %bb.1827:
	s_andn2_saveexec_b64 s[8:9], s[8:9]
; %bb.1828:
	s_mov_b32 s10, 0x46800000
	v_add_f32_e64 v3, |v2|, s10
; %bb.1829:
	s_or_b64 exec, exec, s[8:9]
                                        ; implicit-def: $vgpr5
.LBB113_1830:
	s_andn2_saveexec_b64 s[6:7], s[6:7]
; %bb.1831:
	s_mov_b32 s8, 0x7f800000
	v_mov_b32_e32 v3, 0x7e
	v_mov_b32_e32 v7, 0x7f
	v_cmp_lt_u32_e32 vcc, s8, v5
	s_nop 1
	v_cndmask_b32_e32 v3, v3, v7, vcc
; %bb.1832:
	s_or_b64 exec, exec, s[6:7]
	v_lshrrev_b32_e32 v2, 24, v2
	s_movk_i32 s6, 0x80
	v_and_or_b32 v2, v2, s6, v3
	global_store_byte v[8:9], v2, off
.LBB113_1833:
	s_mov_b64 s[6:7], 0
.LBB113_1834:
	s_andn2_b64 vcc, exec, s[6:7]
	s_cbranch_vccnz .LBB113_1844
; %bb.1835:
	v_cvt_f32_f64_e32 v2, v[0:1]
	v_and_b32_e32 v5, 0x7fffffff, v2
	s_mov_b32 s6, 0x47800000
	v_cmp_gt_u32_e32 vcc, s6, v5
                                        ; implicit-def: $vgpr3
	s_and_saveexec_b64 s[6:7], vcc
	s_xor_b64 s[6:7], exec, s[6:7]
	s_cbranch_execz .LBB113_1841
; %bb.1836:
	s_mov_b32 s8, 0x387fffff
	v_cmp_lt_u32_e32 vcc, s8, v5
                                        ; implicit-def: $vgpr3
	s_and_saveexec_b64 s[8:9], vcc
	s_xor_b64 s[8:9], exec, s[8:9]
; %bb.1837:
	v_bfe_u32 v3, v2, 21, 1
	s_mov_b32 s10, 0x80fffff
	v_add3_u32 v3, v2, v3, s10
	v_lshrrev_b32_e32 v3, 21, v3
; %bb.1838:
	s_andn2_saveexec_b64 s[8:9], s[8:9]
; %bb.1839:
	s_mov_b32 s10, 0x43000000
	v_add_f32_e64 v3, |v2|, s10
; %bb.1840:
	s_or_b64 exec, exec, s[8:9]
                                        ; implicit-def: $vgpr5
.LBB113_1841:
	s_andn2_saveexec_b64 s[6:7], s[6:7]
; %bb.1842:
	s_mov_b32 s8, 0x7f800000
	v_mov_b32_e32 v3, 0x7c
	v_mov_b32_e32 v7, 0x7f
	v_cmp_lt_u32_e32 vcc, s8, v5
	s_nop 1
	v_cndmask_b32_e32 v3, v3, v7, vcc
; %bb.1843:
	s_or_b64 exec, exec, s[6:7]
	v_lshrrev_b32_e32 v2, 24, v2
	s_movk_i32 s6, 0x80
	v_and_or_b32 v2, v2, s6, v3
	global_store_byte v[8:9], v2, off
.LBB113_1844:
	s_mov_b64 s[6:7], 0
	s_mov_b64 s[8:9], -1
.LBB113_1845:
	s_andn2_b64 vcc, exec, s[6:7]
	s_mov_b64 s[6:7], 0
	s_cbranch_vccnz .LBB113_1852
; %bb.1846:
	s_cmp_gt_i32 s15, 14
	s_mov_b64 s[10:11], -1
	s_cbranch_scc0 .LBB113_1850
; %bb.1847:
	s_cmp_eq_u32 s15, 15
	s_mov_b64 s[0:1], -1
	s_cbranch_scc0 .LBB113_1849
; %bb.1848:
	v_cvt_f32_f64_e32 v2, v[0:1]
	v_bfe_u32 v3, v2, 16, 1
	s_movk_i32 s0, 0x7fff
	v_add3_u32 v3, v2, v3, s0
	v_cmp_o_f32_e32 vcc, v2, v2
	v_mov_b32_e32 v2, 0x7fc0
	s_mov_b64 s[0:1], 0
	v_cndmask_b32_sdwa v2, v2, v3, vcc dst_sel:DWORD dst_unused:UNUSED_PAD src0_sel:DWORD src1_sel:WORD_1
	global_store_short v[8:9], v2, off
	s_mov_b64 s[8:9], -1
.LBB113_1849:
	s_mov_b64 s[10:11], 0
.LBB113_1850:
	s_and_b64 vcc, exec, s[10:11]
	s_cbranch_vccz .LBB113_1852
; %bb.1851:
	s_cmp_lg_u32 s15, 11
	s_mov_b64 s[6:7], -1
	s_cselect_b64 s[0:1], -1, 0
.LBB113_1852:
	s_and_b64 vcc, exec, s[0:1]
	s_cbranch_vccnz .LBB113_2146
; %bb.1853:
	s_andn2_b64 vcc, exec, s[6:7]
	s_cbranch_vccnz .LBB113_1855
.LBB113_1854:
	v_cmp_neq_f64_e32 vcc, 0, v[0:1]
	s_mov_b64 s[8:9], -1
	s_nop 0
	v_cndmask_b32_e64 v2, 0, 1, vcc
	global_store_byte v[8:9], v2, off
.LBB113_1855:
	s_mov_b64 s[0:1], 0
	s_branch .LBB113_1857
.LBB113_1856:
	s_mov_b64 s[0:1], -1
	s_mov_b64 s[8:9], 0
.LBB113_1857:
	s_and_b64 vcc, exec, s[0:1]
	s_cbranch_vccz .LBB113_1896
; %bb.1858:
	s_and_b32 s6, 0xffff, s14
	s_cmp_lt_i32 s6, 5
	s_mov_b64 s[0:1], -1
	s_cbranch_scc1 .LBB113_1879
; %bb.1859:
	s_cmp_lt_i32 s6, 8
	s_cbranch_scc1 .LBB113_1869
; %bb.1860:
	s_cmp_lt_i32 s6, 9
	s_cbranch_scc1 .LBB113_1866
; %bb.1861:
	s_cmp_gt_i32 s6, 9
	s_cbranch_scc0 .LBB113_1863
; %bb.1862:
	v_mov_b32_e32 v2, 0
	v_mov_b32_e32 v3, v2
	global_store_dwordx4 v[8:9], v[0:3], off
	s_mov_b64 s[0:1], 0
.LBB113_1863:
	s_andn2_b64 vcc, exec, s[0:1]
	s_cbranch_vccnz .LBB113_1865
; %bb.1864:
	v_cvt_f32_f64_e32 v2, v[0:1]
	v_mov_b32_e32 v3, 0
	global_store_dwordx2 v[8:9], v[2:3], off
.LBB113_1865:
	s_mov_b64 s[0:1], 0
.LBB113_1866:
	s_andn2_b64 vcc, exec, s[0:1]
	s_cbranch_vccnz .LBB113_1868
; %bb.1867:
	s_movk_i32 s0, 0x1ff
	v_and_or_b32 v2, v1, s0, v0
	v_cmp_ne_u32_e32 vcc, 0, v2
	v_lshrrev_b32_e32 v3, 8, v1
	s_movk_i32 s0, 0xffe
	v_cndmask_b32_e64 v2, 0, 1, vcc
	v_bfe_u32 v5, v1, 20, 11
	v_and_or_b32 v2, v3, s0, v2
	v_sub_u32_e32 v7, 0x3f1, v5
	v_or_b32_e32 v3, 0x1000, v2
	v_med3_i32 v7, v7, 0, 13
	v_lshrrev_b32_e32 v14, v7, v3
	v_lshlrev_b32_e32 v7, v7, v14
	v_cmp_ne_u32_e32 vcc, v7, v3
	v_add_u32_e32 v5, 0xfffffc10, v5
	v_lshl_or_b32 v7, v5, 12, v2
	v_cndmask_b32_e64 v3, 0, 1, vcc
	v_or_b32_e32 v3, v14, v3
	v_cmp_gt_i32_e32 vcc, 1, v5
	s_movk_i32 s0, 0x40f
	s_nop 0
	v_cndmask_b32_e32 v3, v7, v3, vcc
	v_and_b32_e32 v7, 7, v3
	v_cmp_lt_i32_e32 vcc, 5, v7
	v_lshrrev_b32_e32 v3, 2, v3
	s_nop 0
	v_cndmask_b32_e64 v14, 0, 1, vcc
	v_cmp_eq_u32_e32 vcc, 3, v7
	s_nop 1
	v_cndmask_b32_e64 v7, 0, 1, vcc
	v_or_b32_e32 v7, v7, v14
	v_add_u32_e32 v3, v3, v7
	v_mov_b32_e32 v7, 0x7c00
	v_cmp_gt_i32_e32 vcc, 31, v5
	v_mov_b32_e32 v14, 0x7e00
	s_nop 0
	v_cndmask_b32_e32 v3, v7, v3, vcc
	v_cmp_ne_u32_e32 vcc, 0, v2
	s_nop 1
	v_cndmask_b32_e32 v2, v7, v14, vcc
	v_cmp_eq_u32_e32 vcc, s0, v5
	s_mov_b32 s0, 0x8000
	s_nop 0
	v_cndmask_b32_e32 v2, v3, v2, vcc
	v_and_b32_sdwa v3, v1, s0 dst_sel:DWORD dst_unused:UNUSED_PAD src0_sel:WORD_1 src1_sel:DWORD
	s_mov_b32 s0, 0xffff
	v_bitop3_b32 v2, v3, s0, v2 bitop3:0xc8
	global_store_dword v[8:9], v2, off
.LBB113_1868:
	s_mov_b64 s[0:1], 0
.LBB113_1869:
	s_andn2_b64 vcc, exec, s[0:1]
	s_cbranch_vccnz .LBB113_1878
; %bb.1870:
	s_cmp_lt_i32 s6, 6
	s_mov_b64 s[0:1], -1
	s_cbranch_scc1 .LBB113_1876
; %bb.1871:
	s_cmp_gt_i32 s6, 6
	s_cbranch_scc0 .LBB113_1873
; %bb.1872:
	global_store_dwordx2 v[8:9], v[0:1], off
	s_mov_b64 s[0:1], 0
.LBB113_1873:
	s_andn2_b64 vcc, exec, s[0:1]
	s_cbranch_vccnz .LBB113_1875
; %bb.1874:
	v_cvt_f32_f64_e32 v2, v[0:1]
	global_store_dword v[8:9], v2, off
.LBB113_1875:
	s_mov_b64 s[0:1], 0
.LBB113_1876:
	s_andn2_b64 vcc, exec, s[0:1]
	s_cbranch_vccnz .LBB113_1878
; %bb.1877:
	s_movk_i32 s0, 0x1ff
	v_and_or_b32 v2, v1, s0, v0
	v_cmp_ne_u32_e32 vcc, 0, v2
	v_lshrrev_b32_e32 v3, 8, v1
	s_movk_i32 s0, 0xffe
	v_cndmask_b32_e64 v2, 0, 1, vcc
	v_bfe_u32 v5, v1, 20, 11
	v_and_or_b32 v2, v3, s0, v2
	v_sub_u32_e32 v7, 0x3f1, v5
	v_or_b32_e32 v3, 0x1000, v2
	v_med3_i32 v7, v7, 0, 13
	v_lshrrev_b32_e32 v14, v7, v3
	v_lshlrev_b32_e32 v7, v7, v14
	v_cmp_ne_u32_e32 vcc, v7, v3
	v_add_u32_e32 v5, 0xfffffc10, v5
	v_lshl_or_b32 v7, v5, 12, v2
	v_cndmask_b32_e64 v3, 0, 1, vcc
	v_or_b32_e32 v3, v14, v3
	v_cmp_gt_i32_e32 vcc, 1, v5
	s_movk_i32 s0, 0x40f
	s_nop 0
	v_cndmask_b32_e32 v3, v7, v3, vcc
	v_and_b32_e32 v7, 7, v3
	v_cmp_lt_i32_e32 vcc, 5, v7
	v_lshrrev_b32_e32 v3, 2, v3
	s_nop 0
	v_cndmask_b32_e64 v14, 0, 1, vcc
	v_cmp_eq_u32_e32 vcc, 3, v7
	s_nop 1
	v_cndmask_b32_e64 v7, 0, 1, vcc
	v_or_b32_e32 v7, v7, v14
	v_add_u32_e32 v3, v3, v7
	v_mov_b32_e32 v7, 0x7c00
	v_cmp_gt_i32_e32 vcc, 31, v5
	v_mov_b32_e32 v14, 0x7e00
	s_nop 0
	v_cndmask_b32_e32 v3, v7, v3, vcc
	v_cmp_ne_u32_e32 vcc, 0, v2
	s_nop 1
	v_cndmask_b32_e32 v2, v7, v14, vcc
	v_cmp_eq_u32_e32 vcc, s0, v5
	s_mov_b32 s0, 0x8000
	s_nop 0
	v_cndmask_b32_e32 v2, v3, v2, vcc
	v_lshrrev_b32_e32 v3, 16, v1
	v_and_or_b32 v2, v3, s0, v2
	global_store_short v[8:9], v2, off
.LBB113_1878:
	s_mov_b64 s[0:1], 0
.LBB113_1879:
	s_andn2_b64 vcc, exec, s[0:1]
	s_cbranch_vccnz .LBB113_1895
; %bb.1880:
	s_cmp_lt_i32 s6, 2
	s_mov_b64 s[0:1], -1
	s_cbranch_scc1 .LBB113_1890
; %bb.1881:
	s_cmp_lt_i32 s6, 3
	s_cbranch_scc1 .LBB113_1887
; %bb.1882:
	s_cmp_gt_i32 s6, 3
	s_cbranch_scc0 .LBB113_1884
; %bb.1883:
	v_trunc_f64_e32 v[2:3], v[0:1]
	s_movk_i32 s0, 0xffe0
	v_ldexp_f64 v[14:15], v[2:3], s0
	v_floor_f64_e32 v[14:15], v[14:15]
	v_fmac_f64_e32 v[2:3], 0xc1f00000, v[14:15]
	v_cvt_i32_f64_e32 v17, v[14:15]
	v_cvt_u32_f64_e32 v16, v[2:3]
	global_store_dwordx2 v[8:9], v[16:17], off
	s_mov_b64 s[0:1], 0
.LBB113_1884:
	s_andn2_b64 vcc, exec, s[0:1]
	s_cbranch_vccnz .LBB113_1886
; %bb.1885:
	v_cvt_i32_f64_e32 v2, v[0:1]
	global_store_dword v[8:9], v2, off
.LBB113_1886:
	s_mov_b64 s[0:1], 0
.LBB113_1887:
	s_andn2_b64 vcc, exec, s[0:1]
	s_cbranch_vccnz .LBB113_1889
; %bb.1888:
	v_cvt_i32_f64_e32 v2, v[0:1]
	global_store_short v[8:9], v2, off
.LBB113_1889:
	s_mov_b64 s[0:1], 0
.LBB113_1890:
	s_andn2_b64 vcc, exec, s[0:1]
	s_cbranch_vccnz .LBB113_1895
; %bb.1891:
	s_cmp_gt_i32 s6, 0
	s_mov_b64 s[0:1], -1
	s_cbranch_scc0 .LBB113_1893
; %bb.1892:
	v_cvt_i32_f64_e32 v2, v[0:1]
	global_store_byte v[8:9], v2, off
	s_mov_b64 s[0:1], 0
.LBB113_1893:
	s_andn2_b64 vcc, exec, s[0:1]
	s_cbranch_vccnz .LBB113_1895
; %bb.1894:
	v_trunc_f64_e32 v[0:1], v[0:1]
	s_movk_i32 s0, 0xffe0
	v_ldexp_f64 v[2:3], v[0:1], s0
	v_floor_f64_e32 v[2:3], v[2:3]
	v_fmac_f64_e32 v[0:1], 0xc1f00000, v[2:3]
	v_cvt_u32_f64_e32 v0, v[0:1]
	global_store_byte v[8:9], v0, off
.LBB113_1895:
	s_mov_b64 s[8:9], -1
.LBB113_1896:
	s_andn2_b64 vcc, exec, s[8:9]
	s_cbranch_vccnz .LBB113_2092
; %bb.1897:
	s_mov_b32 s0, 0x652b82fe
	s_mov_b32 s1, 0x3ff71547
	v_mul_f64 v[0:1], v[12:13], s[0:1]
	v_rndne_f64_e32 v[0:1], v[0:1]
	s_mov_b32 s1, 0xbfe62e42
	s_mov_b32 s0, 0xfefa39ef
	;; [unrolled: 1-line block ×3, first 2 shown]
	v_fma_f64 v[2:3], s[0:1], v[0:1], v[12:13]
	s_mov_b32 s7, 0xbc7abc9e
	v_fmac_f64_e32 v[2:3], s[6:7], v[0:1]
	s_mov_b32 s6, 0xa9d67f34
	v_mov_b32_e32 v8, 0x2a1b768b
	v_mov_b32_e32 v9, 0x3e5af4eb
	s_mov_b32 s7, 0x3e21f32e
	v_fmac_f64_e32 v[8:9], s[6:7], v[2:3]
	v_mov_b32_e32 v14, 0xe0ac05b
	v_mov_b32_e32 v15, 0x3e927e50
	v_fmac_f64_e32 v[14:15], v[2:3], v[8:9]
	v_mov_b32_e32 v8, 0x1b889c29
	v_mov_b32_e32 v9, 0x3ec71de0
	;; [unrolled: 3-line block ×8, first 2 shown]
	v_fmac_f64_e32 v[8:9], v[2:3], v[14:15]
	v_fma_f64 v[8:9], v[2:3], v[8:9], 0.5
	s_mov_b32 s6, 0
	v_mul_f64 v[8:9], v[2:3], v[8:9]
	s_mov_b32 s7, 0x40900000
	v_cvt_i32_f64_e32 v5, v[0:1]
	v_fmac_f64_e32 v[2:3], v[2:3], v[8:9]
	v_ldexp_f64 v[8:9], 1.0, v5
	v_mov_b32_e32 v5, 0x7fe00000
	v_cmp_eq_f64_e32 vcc, s[6:7], v[0:1]
	s_mov_b32 s1, 0x40862e42
	v_mov_b32_e32 v7, 0
	v_cndmask_b32_e32 v1, v9, v5, vcc
	v_cndmask_b32_e64 v0, v8, 0, vcc
	v_add_f64 v[8:9], v[0:1], -1.0
	v_fmac_f64_e32 v[8:9], v[0:1], v[2:3]
	v_add_f64 v[0:1], v[8:9], v[8:9]
	v_cndmask_b32_e32 v0, v8, v0, vcc
	v_cndmask_b32_e32 v1, v9, v1, vcc
	v_cmp_nlt_f64_e32 vcc, s[0:1], v[12:13]
	s_mov_b32 s0, 0
	s_mov_b32 s1, 0xc0428000
	v_mov_b32_e32 v2, 0x7ff00000
	v_cmp_ngt_f64_e64 s[0:1], s[0:1], v[12:13]
	v_cndmask_b32_e32 v1, v2, v1, vcc
	v_mov_b32_e32 v2, 0xbff00000
	s_and_b64 vcc, s[0:1], vcc
	v_cndmask_b32_e64 v1, v2, v1, s[0:1]
	v_cndmask_b32_e32 v0, 0, v0, vcc
	s_cmp_lt_i32 s14, 11
	v_lshl_add_u64 v[6:7], s[4:5], 0, v[6:7]
	s_cbranch_scc1 .LBB113_1975
; %bb.1898:
	s_and_b32 s15, 0xffff, s14
	s_mov_b64 s[10:11], -1
	s_mov_b64 s[6:7], 0
	s_cmp_gt_i32 s15, 25
	s_mov_b64 s[8:9], 0
	s_mov_b64 s[0:1], 0
	s_cbranch_scc0 .LBB113_1931
; %bb.1899:
	s_cmp_gt_i32 s15, 28
	s_cbranch_scc0 .LBB113_1914
; %bb.1900:
	s_cmp_gt_i32 s15, 43
	s_cbranch_scc0 .LBB113_1910
; %bb.1901:
	s_cmp_gt_i32 s15, 45
	s_cbranch_scc0 .LBB113_1904
; %bb.1902:
	s_mov_b64 s[0:1], -1
	s_mov_b64 s[10:11], 0
	s_cmp_eq_u32 s15, 46
	s_cbranch_scc0 .LBB113_1904
; %bb.1903:
	v_cvt_f32_f64_e32 v2, v[0:1]
	v_bfe_u32 v3, v2, 16, 1
	s_movk_i32 s0, 0x7fff
	v_add3_u32 v3, v2, v3, s0
	v_cmp_o_f32_e32 vcc, v2, v2
	v_mov_b32_e32 v2, 0x7fc0
	s_mov_b64 s[0:1], 0
	v_cndmask_b32_sdwa v2, v2, v3, vcc dst_sel:DWORD dst_unused:UNUSED_PAD src0_sel:DWORD src1_sel:WORD_1
	global_store_dword v[6:7], v2, off
	s_mov_b64 s[8:9], -1
.LBB113_1904:
	s_and_b64 vcc, exec, s[10:11]
	s_cbranch_vccz .LBB113_1909
; %bb.1905:
	s_cmp_eq_u32 s15, 44
	s_mov_b64 s[0:1], -1
	s_cbranch_scc0 .LBB113_1909
; %bb.1906:
	v_cvt_f32_f64_e32 v2, v[0:1]
	v_bfe_u32 v3, v2, 23, 8
	s_movk_i32 s0, 0xff
	v_cmp_ne_u32_e32 vcc, s0, v3
	v_mov_b32_e32 v5, 0xff
	s_and_saveexec_b64 s[8:9], vcc
; %bb.1907:
	s_mov_b32 s0, 0x3fffff
	v_lshrrev_b32_e32 v5, 23, v2
	v_and_b32_e32 v8, 0x400000, v2
	v_and_or_b32 v2, v2, s0, v3
	v_cmp_ne_u32_e32 vcc, 0, v8
	v_cmp_ne_u32_e64 s[0:1], 0, v2
	s_and_b64 s[0:1], vcc, s[0:1]
	s_nop 0
	v_cndmask_b32_e64 v2, 0, 1, s[0:1]
	v_add_u32_e32 v5, v5, v2
; %bb.1908:
	s_or_b64 exec, exec, s[8:9]
	s_mov_b64 s[0:1], 0
	s_mov_b64 s[8:9], -1
	global_store_byte v[6:7], v5, off
.LBB113_1909:
	s_mov_b64 s[10:11], 0
.LBB113_1910:
	s_and_b64 vcc, exec, s[10:11]
	s_cbranch_vccz .LBB113_1913
; %bb.1911:
	s_cmp_eq_u32 s15, 29
	s_mov_b64 s[0:1], -1
	s_cbranch_scc0 .LBB113_1913
; %bb.1912:
	v_trunc_f64_e32 v[2:3], v[0:1]
	s_movk_i32 s0, 0xffe0
	v_ldexp_f64 v[8:9], v[2:3], s0
	v_floor_f64_e32 v[8:9], v[8:9]
	v_fmac_f64_e32 v[2:3], 0xc1f00000, v[8:9]
	v_cvt_u32_f64_e32 v13, v[8:9]
	v_cvt_u32_f64_e32 v12, v[2:3]
	global_store_dwordx2 v[6:7], v[12:13], off
	s_mov_b64 s[0:1], 0
	s_mov_b64 s[8:9], -1
.LBB113_1913:
	s_mov_b64 s[10:11], 0
.LBB113_1914:
	s_and_b64 vcc, exec, s[10:11]
	s_cbranch_vccz .LBB113_1930
; %bb.1915:
	s_cmp_lt_i32 s15, 27
	s_mov_b64 s[8:9], -1
	s_cbranch_scc1 .LBB113_1921
; %bb.1916:
	s_cmp_gt_i32 s15, 27
	v_cvt_u32_f64_e32 v2, v[0:1]
	s_cbranch_scc0 .LBB113_1918
; %bb.1917:
	s_mov_b64 s[8:9], 0
	global_store_dword v[6:7], v2, off
.LBB113_1918:
	s_andn2_b64 vcc, exec, s[8:9]
	s_cbranch_vccnz .LBB113_1920
; %bb.1919:
	global_store_short v[6:7], v2, off
.LBB113_1920:
	s_mov_b64 s[8:9], 0
.LBB113_1921:
	s_andn2_b64 vcc, exec, s[8:9]
	s_cbranch_vccnz .LBB113_1929
; %bb.1922:
	v_cvt_f32_f64_e32 v2, v[0:1]
	v_and_b32_e32 v3, 0x7fffffff, v2
	s_mov_b32 s8, 0x43800000
	v_cmp_gt_u32_e32 vcc, s8, v3
	v_mov_b32_e32 v5, 0x80
	s_and_saveexec_b64 s[8:9], vcc
	s_cbranch_execz .LBB113_1928
; %bb.1923:
	s_mov_b32 s10, 0x3bffffff
	v_cmp_lt_u32_e32 vcc, s10, v3
	s_mov_b64 s[10:11], 0
                                        ; implicit-def: $vgpr3
	s_and_saveexec_b64 s[12:13], vcc
	s_xor_b64 s[12:13], exec, s[12:13]
	s_cbranch_execz .LBB113_2149
; %bb.1924:
	v_bfe_u32 v3, v2, 20, 1
	s_mov_b32 s16, 0x487ffff
	v_add3_u32 v3, v2, v3, s16
	s_mov_b64 s[10:11], exec
	v_lshrrev_b32_e32 v3, 20, v3
	s_andn2_saveexec_b64 s[12:13], s[12:13]
	s_cbranch_execnz .LBB113_2150
.LBB113_1925:
	s_or_b64 exec, exec, s[12:13]
	v_mov_b32_e32 v5, 0
	s_and_saveexec_b64 s[12:13], s[10:11]
.LBB113_1926:
	v_lshrrev_b32_e32 v2, 24, v2
	s_movk_i32 s10, 0x80
	v_and_or_b32 v5, v2, s10, v3
.LBB113_1927:
	s_or_b64 exec, exec, s[12:13]
.LBB113_1928:
	s_or_b64 exec, exec, s[8:9]
	global_store_byte v[6:7], v5, off
.LBB113_1929:
	s_mov_b64 s[8:9], -1
.LBB113_1930:
	s_mov_b64 s[10:11], 0
.LBB113_1931:
	s_and_b64 vcc, exec, s[10:11]
	s_cbranch_vccz .LBB113_1971
; %bb.1932:
	s_cmp_gt_i32 s15, 22
	s_mov_b64 s[6:7], -1
	s_cbranch_scc0 .LBB113_1964
; %bb.1933:
	s_cmp_lt_i32 s15, 24
	s_cbranch_scc1 .LBB113_1953
; %bb.1934:
	s_cmp_gt_i32 s15, 24
	s_cbranch_scc0 .LBB113_1942
; %bb.1935:
	v_cvt_f32_f64_e32 v2, v[0:1]
	v_and_b32_e32 v3, 0x7fffffff, v2
	s_mov_b32 s6, 0x47800000
	v_cmp_gt_u32_e32 vcc, s6, v3
	v_mov_b32_e32 v5, 0x80
	s_and_saveexec_b64 s[6:7], vcc
	s_cbranch_execz .LBB113_1941
; %bb.1936:
	s_mov_b32 s8, 0x37ffffff
	v_cmp_lt_u32_e32 vcc, s8, v3
	s_mov_b64 s[8:9], 0
                                        ; implicit-def: $vgpr3
	s_and_saveexec_b64 s[10:11], vcc
	s_xor_b64 s[10:11], exec, s[10:11]
	s_cbranch_execz .LBB113_2152
; %bb.1937:
	v_bfe_u32 v3, v2, 21, 1
	s_mov_b32 s12, 0x88fffff
	v_add3_u32 v3, v2, v3, s12
	s_mov_b64 s[8:9], exec
	v_lshrrev_b32_e32 v3, 21, v3
	s_andn2_saveexec_b64 s[10:11], s[10:11]
	s_cbranch_execnz .LBB113_2153
.LBB113_1938:
	s_or_b64 exec, exec, s[10:11]
	v_mov_b32_e32 v5, 0
	s_and_saveexec_b64 s[10:11], s[8:9]
.LBB113_1939:
	v_lshrrev_b32_e32 v2, 24, v2
	s_movk_i32 s8, 0x80
	v_and_or_b32 v5, v2, s8, v3
.LBB113_1940:
	s_or_b64 exec, exec, s[10:11]
.LBB113_1941:
	s_or_b64 exec, exec, s[6:7]
	s_mov_b64 s[6:7], 0
	global_store_byte v[6:7], v5, off
.LBB113_1942:
	s_and_b64 vcc, exec, s[6:7]
	s_cbranch_vccz .LBB113_1952
; %bb.1943:
	v_cvt_f32_f64_e32 v2, v[0:1]
	v_and_b32_e32 v5, 0x7fffffff, v2
	s_mov_b32 s6, 0x43f00000
	v_cmp_gt_u32_e32 vcc, s6, v5
                                        ; implicit-def: $vgpr3
	s_and_saveexec_b64 s[6:7], vcc
	s_xor_b64 s[6:7], exec, s[6:7]
	s_cbranch_execz .LBB113_1949
; %bb.1944:
	s_mov_b32 s8, 0x3c7fffff
	v_cmp_lt_u32_e32 vcc, s8, v5
                                        ; implicit-def: $vgpr3
	s_and_saveexec_b64 s[8:9], vcc
	s_xor_b64 s[8:9], exec, s[8:9]
; %bb.1945:
	v_bfe_u32 v3, v2, 20, 1
	s_mov_b32 s10, 0x407ffff
	v_add3_u32 v3, v2, v3, s10
	v_lshrrev_b32_e32 v5, 20, v3
	v_and_b32_e32 v3, 0xff00000, v3
	s_mov_b32 s10, 0x7f00000
	v_mov_b32_e32 v8, 0x7e
	v_cmp_ne_u32_e32 vcc, s10, v3
	s_nop 1
	v_cndmask_b32_e32 v3, v8, v5, vcc
; %bb.1946:
	s_andn2_saveexec_b64 s[8:9], s[8:9]
; %bb.1947:
	s_mov_b32 s10, 0x46800000
	v_add_f32_e64 v3, |v2|, s10
; %bb.1948:
	s_or_b64 exec, exec, s[8:9]
                                        ; implicit-def: $vgpr5
.LBB113_1949:
	s_andn2_saveexec_b64 s[6:7], s[6:7]
; %bb.1950:
	s_mov_b32 s8, 0x7f800000
	v_mov_b32_e32 v3, 0x7e
	v_mov_b32_e32 v8, 0x7f
	v_cmp_lt_u32_e32 vcc, s8, v5
	s_nop 1
	v_cndmask_b32_e32 v3, v3, v8, vcc
; %bb.1951:
	s_or_b64 exec, exec, s[6:7]
	v_lshrrev_b32_e32 v2, 24, v2
	s_movk_i32 s6, 0x80
	v_and_or_b32 v2, v2, s6, v3
	global_store_byte v[6:7], v2, off
.LBB113_1952:
	s_mov_b64 s[6:7], 0
.LBB113_1953:
	s_andn2_b64 vcc, exec, s[6:7]
	s_cbranch_vccnz .LBB113_1963
; %bb.1954:
	v_cvt_f32_f64_e32 v2, v[0:1]
	v_and_b32_e32 v5, 0x7fffffff, v2
	s_mov_b32 s6, 0x47800000
	v_cmp_gt_u32_e32 vcc, s6, v5
                                        ; implicit-def: $vgpr3
	s_and_saveexec_b64 s[6:7], vcc
	s_xor_b64 s[6:7], exec, s[6:7]
	s_cbranch_execz .LBB113_1960
; %bb.1955:
	s_mov_b32 s8, 0x387fffff
	v_cmp_lt_u32_e32 vcc, s8, v5
                                        ; implicit-def: $vgpr3
	s_and_saveexec_b64 s[8:9], vcc
	s_xor_b64 s[8:9], exec, s[8:9]
; %bb.1956:
	v_bfe_u32 v3, v2, 21, 1
	s_mov_b32 s10, 0x80fffff
	v_add3_u32 v3, v2, v3, s10
	v_lshrrev_b32_e32 v3, 21, v3
; %bb.1957:
	s_andn2_saveexec_b64 s[8:9], s[8:9]
; %bb.1958:
	s_mov_b32 s10, 0x43000000
	v_add_f32_e64 v3, |v2|, s10
; %bb.1959:
	s_or_b64 exec, exec, s[8:9]
                                        ; implicit-def: $vgpr5
.LBB113_1960:
	s_andn2_saveexec_b64 s[6:7], s[6:7]
; %bb.1961:
	s_mov_b32 s8, 0x7f800000
	v_mov_b32_e32 v3, 0x7c
	v_mov_b32_e32 v8, 0x7f
	v_cmp_lt_u32_e32 vcc, s8, v5
	s_nop 1
	v_cndmask_b32_e32 v3, v3, v8, vcc
; %bb.1962:
	s_or_b64 exec, exec, s[6:7]
	v_lshrrev_b32_e32 v2, 24, v2
	s_movk_i32 s6, 0x80
	v_and_or_b32 v2, v2, s6, v3
	global_store_byte v[6:7], v2, off
.LBB113_1963:
	s_mov_b64 s[6:7], 0
	s_mov_b64 s[8:9], -1
.LBB113_1964:
	s_andn2_b64 vcc, exec, s[6:7]
	s_mov_b64 s[6:7], 0
	s_cbranch_vccnz .LBB113_1971
; %bb.1965:
	s_cmp_gt_i32 s15, 14
	s_mov_b64 s[10:11], -1
	s_cbranch_scc0 .LBB113_1969
; %bb.1966:
	s_cmp_eq_u32 s15, 15
	s_mov_b64 s[0:1], -1
	s_cbranch_scc0 .LBB113_1968
; %bb.1967:
	v_cvt_f32_f64_e32 v2, v[0:1]
	v_bfe_u32 v3, v2, 16, 1
	s_movk_i32 s0, 0x7fff
	v_add3_u32 v3, v2, v3, s0
	v_cmp_o_f32_e32 vcc, v2, v2
	v_mov_b32_e32 v2, 0x7fc0
	s_mov_b64 s[0:1], 0
	v_cndmask_b32_sdwa v2, v2, v3, vcc dst_sel:DWORD dst_unused:UNUSED_PAD src0_sel:DWORD src1_sel:WORD_1
	global_store_short v[6:7], v2, off
	s_mov_b64 s[8:9], -1
.LBB113_1968:
	s_mov_b64 s[10:11], 0
.LBB113_1969:
	s_and_b64 vcc, exec, s[10:11]
	s_cbranch_vccz .LBB113_1971
; %bb.1970:
	s_cmp_lg_u32 s15, 11
	s_mov_b64 s[6:7], -1
	s_cselect_b64 s[0:1], -1, 0
.LBB113_1971:
	s_and_b64 vcc, exec, s[0:1]
	s_cbranch_vccnz .LBB113_2151
; %bb.1972:
	s_andn2_b64 vcc, exec, s[6:7]
	s_cbranch_vccnz .LBB113_1974
.LBB113_1973:
	v_cmp_neq_f64_e32 vcc, 0, v[0:1]
	s_mov_b64 s[8:9], -1
	s_nop 0
	v_cndmask_b32_e64 v2, 0, 1, vcc
	global_store_byte v[6:7], v2, off
.LBB113_1974:
	s_mov_b64 s[0:1], 0
	s_branch .LBB113_1976
.LBB113_1975:
	s_mov_b64 s[0:1], -1
	s_mov_b64 s[8:9], 0
.LBB113_1976:
	s_and_b64 vcc, exec, s[0:1]
	s_cbranch_vccz .LBB113_2015
; %bb.1977:
	s_and_b32 s6, 0xffff, s14
	s_cmp_lt_i32 s6, 5
	s_mov_b64 s[0:1], -1
	s_cbranch_scc1 .LBB113_1998
; %bb.1978:
	s_cmp_lt_i32 s6, 8
	s_cbranch_scc1 .LBB113_1988
; %bb.1979:
	s_cmp_lt_i32 s6, 9
	s_cbranch_scc1 .LBB113_1985
; %bb.1980:
	s_cmp_gt_i32 s6, 9
	s_cbranch_scc0 .LBB113_1982
; %bb.1981:
	v_mov_b32_e32 v2, 0
	v_mov_b32_e32 v3, v2
	global_store_dwordx4 v[6:7], v[0:3], off
	s_mov_b64 s[0:1], 0
.LBB113_1982:
	s_andn2_b64 vcc, exec, s[0:1]
	s_cbranch_vccnz .LBB113_1984
; %bb.1983:
	v_cvt_f32_f64_e32 v2, v[0:1]
	v_mov_b32_e32 v3, 0
	global_store_dwordx2 v[6:7], v[2:3], off
.LBB113_1984:
	s_mov_b64 s[0:1], 0
.LBB113_1985:
	s_andn2_b64 vcc, exec, s[0:1]
	s_cbranch_vccnz .LBB113_1987
; %bb.1986:
	s_movk_i32 s0, 0x1ff
	v_and_or_b32 v2, v1, s0, v0
	v_cmp_ne_u32_e32 vcc, 0, v2
	v_lshrrev_b32_e32 v3, 8, v1
	s_movk_i32 s0, 0xffe
	v_cndmask_b32_e64 v2, 0, 1, vcc
	v_bfe_u32 v5, v1, 20, 11
	v_and_or_b32 v2, v3, s0, v2
	v_sub_u32_e32 v8, 0x3f1, v5
	v_or_b32_e32 v3, 0x1000, v2
	v_med3_i32 v8, v8, 0, 13
	v_lshrrev_b32_e32 v9, v8, v3
	v_lshlrev_b32_e32 v8, v8, v9
	v_cmp_ne_u32_e32 vcc, v8, v3
	v_add_u32_e32 v5, 0xfffffc10, v5
	v_lshl_or_b32 v8, v5, 12, v2
	v_cndmask_b32_e64 v3, 0, 1, vcc
	v_or_b32_e32 v3, v9, v3
	v_cmp_gt_i32_e32 vcc, 1, v5
	s_movk_i32 s0, 0x40f
	s_nop 0
	v_cndmask_b32_e32 v3, v8, v3, vcc
	v_and_b32_e32 v8, 7, v3
	v_cmp_lt_i32_e32 vcc, 5, v8
	v_lshrrev_b32_e32 v3, 2, v3
	s_nop 0
	v_cndmask_b32_e64 v9, 0, 1, vcc
	v_cmp_eq_u32_e32 vcc, 3, v8
	s_nop 1
	v_cndmask_b32_e64 v8, 0, 1, vcc
	v_or_b32_e32 v8, v8, v9
	v_add_u32_e32 v3, v3, v8
	v_mov_b32_e32 v8, 0x7c00
	v_cmp_gt_i32_e32 vcc, 31, v5
	v_mov_b32_e32 v9, 0x7e00
	s_nop 0
	v_cndmask_b32_e32 v3, v8, v3, vcc
	v_cmp_ne_u32_e32 vcc, 0, v2
	s_nop 1
	v_cndmask_b32_e32 v2, v8, v9, vcc
	v_cmp_eq_u32_e32 vcc, s0, v5
	s_mov_b32 s0, 0x8000
	s_nop 0
	v_cndmask_b32_e32 v2, v3, v2, vcc
	v_and_b32_sdwa v3, v1, s0 dst_sel:DWORD dst_unused:UNUSED_PAD src0_sel:WORD_1 src1_sel:DWORD
	s_mov_b32 s0, 0xffff
	v_bitop3_b32 v2, v3, s0, v2 bitop3:0xc8
	global_store_dword v[6:7], v2, off
.LBB113_1987:
	s_mov_b64 s[0:1], 0
.LBB113_1988:
	s_andn2_b64 vcc, exec, s[0:1]
	s_cbranch_vccnz .LBB113_1997
; %bb.1989:
	s_cmp_lt_i32 s6, 6
	s_mov_b64 s[0:1], -1
	s_cbranch_scc1 .LBB113_1995
; %bb.1990:
	s_cmp_gt_i32 s6, 6
	s_cbranch_scc0 .LBB113_1992
; %bb.1991:
	global_store_dwordx2 v[6:7], v[0:1], off
	s_mov_b64 s[0:1], 0
.LBB113_1992:
	s_andn2_b64 vcc, exec, s[0:1]
	s_cbranch_vccnz .LBB113_1994
; %bb.1993:
	v_cvt_f32_f64_e32 v2, v[0:1]
	global_store_dword v[6:7], v2, off
.LBB113_1994:
	s_mov_b64 s[0:1], 0
.LBB113_1995:
	s_andn2_b64 vcc, exec, s[0:1]
	s_cbranch_vccnz .LBB113_1997
; %bb.1996:
	s_movk_i32 s0, 0x1ff
	v_and_or_b32 v2, v1, s0, v0
	v_cmp_ne_u32_e32 vcc, 0, v2
	v_lshrrev_b32_e32 v3, 8, v1
	s_movk_i32 s0, 0xffe
	v_cndmask_b32_e64 v2, 0, 1, vcc
	v_bfe_u32 v5, v1, 20, 11
	v_and_or_b32 v2, v3, s0, v2
	v_sub_u32_e32 v8, 0x3f1, v5
	v_or_b32_e32 v3, 0x1000, v2
	v_med3_i32 v8, v8, 0, 13
	v_lshrrev_b32_e32 v9, v8, v3
	v_lshlrev_b32_e32 v8, v8, v9
	v_cmp_ne_u32_e32 vcc, v8, v3
	v_add_u32_e32 v5, 0xfffffc10, v5
	v_lshl_or_b32 v8, v5, 12, v2
	v_cndmask_b32_e64 v3, 0, 1, vcc
	v_or_b32_e32 v3, v9, v3
	v_cmp_gt_i32_e32 vcc, 1, v5
	s_movk_i32 s0, 0x40f
	s_nop 0
	v_cndmask_b32_e32 v3, v8, v3, vcc
	v_and_b32_e32 v8, 7, v3
	v_cmp_lt_i32_e32 vcc, 5, v8
	v_lshrrev_b32_e32 v3, 2, v3
	s_nop 0
	v_cndmask_b32_e64 v9, 0, 1, vcc
	v_cmp_eq_u32_e32 vcc, 3, v8
	s_nop 1
	v_cndmask_b32_e64 v8, 0, 1, vcc
	v_or_b32_e32 v8, v8, v9
	v_add_u32_e32 v3, v3, v8
	v_mov_b32_e32 v8, 0x7c00
	v_cmp_gt_i32_e32 vcc, 31, v5
	v_mov_b32_e32 v9, 0x7e00
	s_nop 0
	v_cndmask_b32_e32 v3, v8, v3, vcc
	v_cmp_ne_u32_e32 vcc, 0, v2
	s_nop 1
	v_cndmask_b32_e32 v2, v8, v9, vcc
	v_cmp_eq_u32_e32 vcc, s0, v5
	s_mov_b32 s0, 0x8000
	s_nop 0
	v_cndmask_b32_e32 v2, v3, v2, vcc
	v_lshrrev_b32_e32 v3, 16, v1
	v_and_or_b32 v2, v3, s0, v2
	global_store_short v[6:7], v2, off
.LBB113_1997:
	s_mov_b64 s[0:1], 0
.LBB113_1998:
	s_andn2_b64 vcc, exec, s[0:1]
	s_cbranch_vccnz .LBB113_2014
; %bb.1999:
	s_cmp_lt_i32 s6, 2
	s_mov_b64 s[0:1], -1
	s_cbranch_scc1 .LBB113_2009
; %bb.2000:
	s_cmp_lt_i32 s6, 3
	s_cbranch_scc1 .LBB113_2006
; %bb.2001:
	s_cmp_gt_i32 s6, 3
	s_cbranch_scc0 .LBB113_2003
; %bb.2002:
	v_trunc_f64_e32 v[2:3], v[0:1]
	s_movk_i32 s0, 0xffe0
	v_ldexp_f64 v[8:9], v[2:3], s0
	v_floor_f64_e32 v[8:9], v[8:9]
	v_fmac_f64_e32 v[2:3], 0xc1f00000, v[8:9]
	v_cvt_i32_f64_e32 v13, v[8:9]
	v_cvt_u32_f64_e32 v12, v[2:3]
	global_store_dwordx2 v[6:7], v[12:13], off
	s_mov_b64 s[0:1], 0
.LBB113_2003:
	s_andn2_b64 vcc, exec, s[0:1]
	s_cbranch_vccnz .LBB113_2005
; %bb.2004:
	v_cvt_i32_f64_e32 v2, v[0:1]
	global_store_dword v[6:7], v2, off
.LBB113_2005:
	s_mov_b64 s[0:1], 0
.LBB113_2006:
	s_andn2_b64 vcc, exec, s[0:1]
	s_cbranch_vccnz .LBB113_2008
; %bb.2007:
	v_cvt_i32_f64_e32 v2, v[0:1]
	global_store_short v[6:7], v2, off
.LBB113_2008:
	s_mov_b64 s[0:1], 0
.LBB113_2009:
	s_andn2_b64 vcc, exec, s[0:1]
	s_cbranch_vccnz .LBB113_2014
; %bb.2010:
	s_cmp_gt_i32 s6, 0
	s_mov_b64 s[0:1], -1
	s_cbranch_scc0 .LBB113_2012
; %bb.2011:
	v_cvt_i32_f64_e32 v2, v[0:1]
	global_store_byte v[6:7], v2, off
	s_mov_b64 s[0:1], 0
.LBB113_2012:
	s_andn2_b64 vcc, exec, s[0:1]
	s_cbranch_vccnz .LBB113_2014
; %bb.2013:
	v_trunc_f64_e32 v[0:1], v[0:1]
	s_movk_i32 s0, 0xffe0
	v_ldexp_f64 v[2:3], v[0:1], s0
	v_floor_f64_e32 v[2:3], v[2:3]
	v_fmac_f64_e32 v[0:1], 0xc1f00000, v[2:3]
	v_cvt_u32_f64_e32 v0, v[0:1]
	global_store_byte v[6:7], v0, off
.LBB113_2014:
	s_mov_b64 s[8:9], -1
.LBB113_2015:
	s_andn2_b64 vcc, exec, s[8:9]
	s_cbranch_vccnz .LBB113_2092
; %bb.2016:
	s_mov_b32 s0, 0x652b82fe
	s_mov_b32 s1, 0x3ff71547
	v_mul_f64 v[0:1], v[10:11], s[0:1]
	v_rndne_f64_e32 v[0:1], v[0:1]
	s_mov_b32 s1, 0xbfe62e42
	s_mov_b32 s0, 0xfefa39ef
	;; [unrolled: 1-line block ×3, first 2 shown]
	v_fma_f64 v[2:3], s[0:1], v[0:1], v[10:11]
	s_mov_b32 s7, 0xbc7abc9e
	v_fmac_f64_e32 v[2:3], s[6:7], v[0:1]
	s_mov_b32 s6, 0xa9d67f34
	v_mov_b32_e32 v6, 0x2a1b768b
	v_mov_b32_e32 v7, 0x3e5af4eb
	s_mov_b32 s7, 0x3e21f32e
	v_fmac_f64_e32 v[6:7], s[6:7], v[2:3]
	v_mov_b32_e32 v8, 0xe0ac05b
	v_mov_b32_e32 v9, 0x3e927e50
	v_fmac_f64_e32 v[8:9], v[2:3], v[6:7]
	v_mov_b32_e32 v6, 0x1b889c29
	v_mov_b32_e32 v7, 0x3ec71de0
	;; [unrolled: 3-line block ×8, first 2 shown]
	v_fmac_f64_e32 v[6:7], v[2:3], v[8:9]
	v_fma_f64 v[6:7], v[2:3], v[6:7], 0.5
	s_mov_b32 s6, 0
	v_mul_f64 v[6:7], v[2:3], v[6:7]
	s_mov_b32 s7, 0x40900000
	v_cvt_i32_f64_e32 v5, v[0:1]
	v_fmac_f64_e32 v[2:3], v[2:3], v[6:7]
	v_ldexp_f64 v[6:7], 1.0, v5
	v_mov_b32_e32 v5, 0x7fe00000
	v_cmp_eq_f64_e32 vcc, s[6:7], v[0:1]
	s_mov_b32 s1, 0x40862e42
	s_nop 0
	v_cndmask_b32_e32 v1, v7, v5, vcc
	v_cndmask_b32_e64 v0, v6, 0, vcc
	v_add_f64 v[6:7], v[0:1], -1.0
	v_fmac_f64_e32 v[6:7], v[0:1], v[2:3]
	v_add_f64 v[0:1], v[6:7], v[6:7]
	v_cndmask_b32_e32 v0, v6, v0, vcc
	v_cndmask_b32_e32 v1, v7, v1, vcc
	v_cmp_nlt_f64_e32 vcc, s[0:1], v[10:11]
	s_mov_b32 s0, 0
	s_mov_b32 s1, 0xc0428000
	v_mov_b32_e32 v2, 0x7ff00000
	v_cmp_ngt_f64_e64 s[0:1], s[0:1], v[10:11]
	v_cndmask_b32_e32 v1, v2, v1, vcc
	v_mov_b32_e32 v2, 0xbff00000
	s_and_b64 vcc, s[0:1], vcc
	v_mov_b32_e32 v5, 0
	v_cndmask_b32_e64 v1, v2, v1, s[0:1]
	v_cndmask_b32_e32 v0, 0, v0, vcc
	s_cmp_lt_i32 s14, 11
	v_lshl_add_u64 v[4:5], s[4:5], 0, v[4:5]
	s_cbranch_scc1 .LBB113_2137
; %bb.2017:
	s_and_b32 s12, 0xffff, s14
	s_mov_b64 s[6:7], -1
	s_mov_b64 s[4:5], 0
	s_cmp_gt_i32 s12, 25
	s_mov_b64 s[0:1], 0
	s_cbranch_scc0 .LBB113_2050
; %bb.2018:
	s_cmp_gt_i32 s12, 28
	s_cbranch_scc0 .LBB113_2034
; %bb.2019:
	s_cmp_gt_i32 s12, 43
	s_cbranch_scc0 .LBB113_2030
; %bb.2020:
	s_cmp_gt_i32 s12, 45
	s_cbranch_scc0 .LBB113_2024
; %bb.2021:
	s_cmp_eq_u32 s12, 46
	s_mov_b64 s[0:1], -1
	s_cbranch_scc0 .LBB113_2023
; %bb.2022:
	v_cvt_f32_f64_e32 v2, v[0:1]
	v_bfe_u32 v3, v2, 16, 1
	s_movk_i32 s0, 0x7fff
	v_add3_u32 v3, v2, v3, s0
	v_cmp_o_f32_e32 vcc, v2, v2
	v_mov_b32_e32 v2, 0x7fc0
	s_mov_b64 s[0:1], 0
	v_cndmask_b32_sdwa v2, v2, v3, vcc dst_sel:DWORD dst_unused:UNUSED_PAD src0_sel:DWORD src1_sel:WORD_1
	global_store_dword v[4:5], v2, off
.LBB113_2023:
	s_mov_b64 s[6:7], 0
.LBB113_2024:
	s_and_b64 vcc, exec, s[6:7]
	s_cbranch_vccz .LBB113_2029
; %bb.2025:
	s_cmp_eq_u32 s12, 44
	s_mov_b64 s[0:1], -1
	s_cbranch_scc0 .LBB113_2029
; %bb.2026:
	v_cvt_f32_f64_e32 v2, v[0:1]
	v_bfe_u32 v3, v2, 23, 8
	s_movk_i32 s0, 0xff
	v_cmp_ne_u32_e32 vcc, s0, v3
	v_mov_b32_e32 v6, 0xff
	s_and_saveexec_b64 s[6:7], vcc
; %bb.2027:
	s_mov_b32 s0, 0x3fffff
	v_lshrrev_b32_e32 v6, 23, v2
	v_and_b32_e32 v7, 0x400000, v2
	v_and_or_b32 v2, v2, s0, v3
	v_cmp_ne_u32_e32 vcc, 0, v7
	v_cmp_ne_u32_e64 s[0:1], 0, v2
	s_and_b64 s[0:1], vcc, s[0:1]
	s_nop 0
	v_cndmask_b32_e64 v2, 0, 1, s[0:1]
	v_add_u32_e32 v6, v6, v2
; %bb.2028:
	s_or_b64 exec, exec, s[6:7]
	s_mov_b64 s[0:1], 0
	global_store_byte v[4:5], v6, off
.LBB113_2029:
	s_mov_b64 s[6:7], 0
.LBB113_2030:
	s_and_b64 vcc, exec, s[6:7]
	s_cbranch_vccz .LBB113_2033
; %bb.2031:
	s_cmp_eq_u32 s12, 29
	s_mov_b64 s[0:1], -1
	s_cbranch_scc0 .LBB113_2033
; %bb.2032:
	v_trunc_f64_e32 v[2:3], v[0:1]
	s_movk_i32 s0, 0xffe0
	v_ldexp_f64 v[6:7], v[2:3], s0
	v_floor_f64_e32 v[6:7], v[6:7]
	v_fmac_f64_e32 v[2:3], 0xc1f00000, v[6:7]
	v_cvt_u32_f64_e32 v9, v[6:7]
	v_cvt_u32_f64_e32 v8, v[2:3]
	global_store_dwordx2 v[4:5], v[8:9], off
	s_mov_b64 s[0:1], 0
.LBB113_2033:
	s_mov_b64 s[6:7], 0
.LBB113_2034:
	s_and_b64 vcc, exec, s[6:7]
	s_cbranch_vccz .LBB113_2049
; %bb.2035:
	s_cmp_lt_i32 s12, 27
	s_mov_b64 s[6:7], -1
	s_cbranch_scc1 .LBB113_2041
; %bb.2036:
	s_cmp_gt_i32 s12, 27
	s_cbranch_scc0 .LBB113_2038
; %bb.2037:
	v_cvt_u32_f64_e32 v2, v[0:1]
	global_store_dword v[4:5], v2, off
	s_mov_b64 s[6:7], 0
.LBB113_2038:
	s_andn2_b64 vcc, exec, s[6:7]
	s_cbranch_vccnz .LBB113_2040
; %bb.2039:
	v_cvt_u32_f64_e32 v2, v[0:1]
	global_store_short v[4:5], v2, off
.LBB113_2040:
	s_mov_b64 s[6:7], 0
.LBB113_2041:
	s_andn2_b64 vcc, exec, s[6:7]
	s_cbranch_vccnz .LBB113_2049
; %bb.2042:
	v_cvt_f32_f64_e32 v2, v[0:1]
	v_and_b32_e32 v3, 0x7fffffff, v2
	s_mov_b32 s6, 0x43800000
	v_cmp_gt_u32_e32 vcc, s6, v3
	v_mov_b32_e32 v6, 0x80
	s_and_saveexec_b64 s[6:7], vcc
	s_cbranch_execz .LBB113_2048
; %bb.2043:
	s_mov_b32 s8, 0x3bffffff
	v_cmp_lt_u32_e32 vcc, s8, v3
	s_mov_b64 s[8:9], 0
                                        ; implicit-def: $vgpr3
	s_and_saveexec_b64 s[10:11], vcc
	s_xor_b64 s[10:11], exec, s[10:11]
	s_cbranch_execz .LBB113_2154
; %bb.2044:
	v_bfe_u32 v3, v2, 20, 1
	s_mov_b32 s13, 0x487ffff
	v_add3_u32 v3, v2, v3, s13
	s_mov_b64 s[8:9], exec
	v_lshrrev_b32_e32 v3, 20, v3
	s_andn2_saveexec_b64 s[10:11], s[10:11]
	s_cbranch_execnz .LBB113_2155
.LBB113_2045:
	s_or_b64 exec, exec, s[10:11]
	v_mov_b32_e32 v6, 0
	s_and_saveexec_b64 s[10:11], s[8:9]
.LBB113_2046:
	v_lshrrev_b32_e32 v2, 24, v2
	s_movk_i32 s8, 0x80
	v_and_or_b32 v6, v2, s8, v3
.LBB113_2047:
	s_or_b64 exec, exec, s[10:11]
.LBB113_2048:
	s_or_b64 exec, exec, s[6:7]
	global_store_byte v[4:5], v6, off
.LBB113_2049:
	s_mov_b64 s[6:7], 0
.LBB113_2050:
	s_and_b64 vcc, exec, s[6:7]
	s_cbranch_vccz .LBB113_2090
; %bb.2051:
	s_cmp_gt_i32 s12, 22
	s_mov_b64 s[4:5], -1
	s_cbranch_scc0 .LBB113_2083
; %bb.2052:
	s_cmp_lt_i32 s12, 24
	s_cbranch_scc1 .LBB113_2072
; %bb.2053:
	s_cmp_gt_i32 s12, 24
	s_cbranch_scc0 .LBB113_2061
; %bb.2054:
	v_cvt_f32_f64_e32 v2, v[0:1]
	v_and_b32_e32 v3, 0x7fffffff, v2
	s_mov_b32 s4, 0x47800000
	v_cmp_gt_u32_e32 vcc, s4, v3
	v_mov_b32_e32 v6, 0x80
	s_and_saveexec_b64 s[4:5], vcc
	s_cbranch_execz .LBB113_2060
; %bb.2055:
	s_mov_b32 s6, 0x37ffffff
	v_cmp_lt_u32_e32 vcc, s6, v3
	s_mov_b64 s[6:7], 0
                                        ; implicit-def: $vgpr3
	s_and_saveexec_b64 s[8:9], vcc
	s_xor_b64 s[8:9], exec, s[8:9]
	s_cbranch_execz .LBB113_2157
; %bb.2056:
	v_bfe_u32 v3, v2, 21, 1
	s_mov_b32 s10, 0x88fffff
	v_add3_u32 v3, v2, v3, s10
	s_mov_b64 s[6:7], exec
	v_lshrrev_b32_e32 v3, 21, v3
	s_andn2_saveexec_b64 s[8:9], s[8:9]
	s_cbranch_execnz .LBB113_2158
.LBB113_2057:
	s_or_b64 exec, exec, s[8:9]
	v_mov_b32_e32 v6, 0
	s_and_saveexec_b64 s[8:9], s[6:7]
.LBB113_2058:
	v_lshrrev_b32_e32 v2, 24, v2
	s_movk_i32 s6, 0x80
	v_and_or_b32 v6, v2, s6, v3
.LBB113_2059:
	s_or_b64 exec, exec, s[8:9]
.LBB113_2060:
	s_or_b64 exec, exec, s[4:5]
	s_mov_b64 s[4:5], 0
	global_store_byte v[4:5], v6, off
.LBB113_2061:
	s_and_b64 vcc, exec, s[4:5]
	s_cbranch_vccz .LBB113_2071
; %bb.2062:
	v_cvt_f32_f64_e32 v2, v[0:1]
	v_and_b32_e32 v6, 0x7fffffff, v2
	s_mov_b32 s4, 0x43f00000
	v_cmp_gt_u32_e32 vcc, s4, v6
                                        ; implicit-def: $vgpr3
	s_and_saveexec_b64 s[4:5], vcc
	s_xor_b64 s[4:5], exec, s[4:5]
	s_cbranch_execz .LBB113_2068
; %bb.2063:
	s_mov_b32 s6, 0x3c7fffff
	v_cmp_lt_u32_e32 vcc, s6, v6
                                        ; implicit-def: $vgpr3
	s_and_saveexec_b64 s[6:7], vcc
	s_xor_b64 s[6:7], exec, s[6:7]
; %bb.2064:
	v_bfe_u32 v3, v2, 20, 1
	s_mov_b32 s8, 0x407ffff
	v_add3_u32 v3, v2, v3, s8
	v_lshrrev_b32_e32 v6, 20, v3
	v_and_b32_e32 v3, 0xff00000, v3
	s_mov_b32 s8, 0x7f00000
	v_mov_b32_e32 v7, 0x7e
	v_cmp_ne_u32_e32 vcc, s8, v3
	s_nop 1
	v_cndmask_b32_e32 v3, v7, v6, vcc
; %bb.2065:
	s_andn2_saveexec_b64 s[6:7], s[6:7]
; %bb.2066:
	s_mov_b32 s8, 0x46800000
	v_add_f32_e64 v3, |v2|, s8
; %bb.2067:
	s_or_b64 exec, exec, s[6:7]
                                        ; implicit-def: $vgpr6
.LBB113_2068:
	s_andn2_saveexec_b64 s[4:5], s[4:5]
; %bb.2069:
	s_mov_b32 s6, 0x7f800000
	v_mov_b32_e32 v3, 0x7e
	v_mov_b32_e32 v7, 0x7f
	v_cmp_lt_u32_e32 vcc, s6, v6
	s_nop 1
	v_cndmask_b32_e32 v3, v3, v7, vcc
; %bb.2070:
	s_or_b64 exec, exec, s[4:5]
	v_lshrrev_b32_e32 v2, 24, v2
	s_movk_i32 s4, 0x80
	v_and_or_b32 v2, v2, s4, v3
	global_store_byte v[4:5], v2, off
.LBB113_2071:
	s_mov_b64 s[4:5], 0
.LBB113_2072:
	s_andn2_b64 vcc, exec, s[4:5]
	s_cbranch_vccnz .LBB113_2082
; %bb.2073:
	v_cvt_f32_f64_e32 v2, v[0:1]
	v_and_b32_e32 v6, 0x7fffffff, v2
	s_mov_b32 s4, 0x47800000
	v_cmp_gt_u32_e32 vcc, s4, v6
                                        ; implicit-def: $vgpr3
	s_and_saveexec_b64 s[4:5], vcc
	s_xor_b64 s[4:5], exec, s[4:5]
	s_cbranch_execz .LBB113_2079
; %bb.2074:
	s_mov_b32 s6, 0x387fffff
	v_cmp_lt_u32_e32 vcc, s6, v6
                                        ; implicit-def: $vgpr3
	s_and_saveexec_b64 s[6:7], vcc
	s_xor_b64 s[6:7], exec, s[6:7]
; %bb.2075:
	v_bfe_u32 v3, v2, 21, 1
	s_mov_b32 s8, 0x80fffff
	v_add3_u32 v3, v2, v3, s8
	v_lshrrev_b32_e32 v3, 21, v3
; %bb.2076:
	s_andn2_saveexec_b64 s[6:7], s[6:7]
; %bb.2077:
	s_mov_b32 s8, 0x43000000
	v_add_f32_e64 v3, |v2|, s8
; %bb.2078:
	s_or_b64 exec, exec, s[6:7]
                                        ; implicit-def: $vgpr6
.LBB113_2079:
	s_andn2_saveexec_b64 s[4:5], s[4:5]
; %bb.2080:
	s_mov_b32 s6, 0x7f800000
	v_mov_b32_e32 v3, 0x7c
	v_mov_b32_e32 v7, 0x7f
	v_cmp_lt_u32_e32 vcc, s6, v6
	s_nop 1
	v_cndmask_b32_e32 v3, v3, v7, vcc
; %bb.2081:
	s_or_b64 exec, exec, s[4:5]
	v_lshrrev_b32_e32 v2, 24, v2
	s_movk_i32 s4, 0x80
	v_and_or_b32 v2, v2, s4, v3
	global_store_byte v[4:5], v2, off
.LBB113_2082:
	s_mov_b64 s[4:5], 0
.LBB113_2083:
	s_andn2_b64 vcc, exec, s[4:5]
	s_mov_b64 s[4:5], 0
	s_cbranch_vccnz .LBB113_2090
; %bb.2084:
	s_cmp_gt_i32 s12, 14
	s_mov_b64 s[6:7], -1
	s_cbranch_scc0 .LBB113_2088
; %bb.2085:
	s_cmp_eq_u32 s12, 15
	s_mov_b64 s[0:1], -1
	s_cbranch_scc0 .LBB113_2087
; %bb.2086:
	v_cvt_f32_f64_e32 v2, v[0:1]
	v_bfe_u32 v3, v2, 16, 1
	s_movk_i32 s0, 0x7fff
	v_add3_u32 v3, v2, v3, s0
	v_cmp_o_f32_e32 vcc, v2, v2
	v_mov_b32_e32 v2, 0x7fc0
	s_mov_b64 s[0:1], 0
	v_cndmask_b32_sdwa v2, v2, v3, vcc dst_sel:DWORD dst_unused:UNUSED_PAD src0_sel:DWORD src1_sel:WORD_1
	global_store_short v[4:5], v2, off
.LBB113_2087:
	s_mov_b64 s[6:7], 0
.LBB113_2088:
	s_and_b64 vcc, exec, s[6:7]
	s_cbranch_vccz .LBB113_2090
; %bb.2089:
	s_cmp_lg_u32 s12, 11
	s_mov_b64 s[4:5], -1
	s_cselect_b64 s[0:1], -1, 0
.LBB113_2090:
	s_and_b64 vcc, exec, s[0:1]
	s_cbranch_vccnz .LBB113_2156
.LBB113_2091:
	s_mov_b64 s[0:1], 0
	s_branch .LBB113_2093
.LBB113_2092:
	s_mov_b64 s[0:1], 0
	s_mov_b64 s[4:5], 0
                                        ; implicit-def: $vgpr4_vgpr5
                                        ; implicit-def: $sgpr14
                                        ; implicit-def: $vgpr0_vgpr1
.LBB113_2093:
	s_and_b64 s[6:7], s[0:1], exec
	s_andn2_b64 s[0:1], s[24:25], exec
	s_and_b64 s[2:3], s[2:3], exec
	s_and_b64 s[40:41], s[4:5], exec
	s_or_b64 s[24:25], s[0:1], s[2:3]
.LBB113_2094:
	s_or_b64 exec, exec, s[26:27]
	s_and_saveexec_b64 s[0:1], s[24:25]
	s_cbranch_execz .LBB113_2097
; %bb.2095:
	; divergent unreachable
	s_or_b64 exec, exec, s[0:1]
	s_and_saveexec_b64 s[0:1], s[40:41]
	s_xor_b64 s[0:1], exec, s[0:1]
	s_cbranch_execnz .LBB113_2098
.LBB113_2096:
	s_or_b64 exec, exec, s[0:1]
	s_and_saveexec_b64 s[0:1], s[6:7]
	s_cbranch_execnz .LBB113_2099
	s_branch .LBB113_2136
.LBB113_2097:
	s_or_b64 exec, exec, s[0:1]
	s_and_saveexec_b64 s[0:1], s[40:41]
	s_xor_b64 s[0:1], exec, s[0:1]
	s_cbranch_execz .LBB113_2096
.LBB113_2098:
	s_waitcnt vmcnt(0)
	v_cmp_neq_f64_e32 vcc, 0, v[0:1]
	s_nop 1
	v_cndmask_b32_e64 v2, 0, 1, vcc
	global_store_byte v[4:5], v2, off
	s_or_b64 exec, exec, s[0:1]
	s_and_saveexec_b64 s[0:1], s[6:7]
	s_cbranch_execz .LBB113_2136
.LBB113_2099:
	s_sext_i32_i16 s2, s14
	s_cmp_lt_i32 s2, 5
	s_mov_b64 s[0:1], -1
	s_cbranch_scc1 .LBB113_2120
; %bb.2100:
	s_cmp_lt_i32 s2, 8
	s_cbranch_scc1 .LBB113_2110
; %bb.2101:
	s_cmp_lt_i32 s2, 9
	s_cbranch_scc1 .LBB113_2107
; %bb.2102:
	s_cmp_gt_i32 s2, 9
	s_cbranch_scc0 .LBB113_2104
; %bb.2103:
	v_mov_b32_e32 v2, 0
	v_mov_b32_e32 v3, v2
	s_waitcnt vmcnt(0)
	global_store_dwordx4 v[4:5], v[0:3], off
	s_mov_b64 s[0:1], 0
.LBB113_2104:
	s_andn2_b64 vcc, exec, s[0:1]
	s_cbranch_vccnz .LBB113_2106
; %bb.2105:
	s_waitcnt vmcnt(0)
	v_cvt_f32_f64_e32 v2, v[0:1]
	v_mov_b32_e32 v3, 0
	global_store_dwordx2 v[4:5], v[2:3], off
.LBB113_2106:
	s_mov_b64 s[0:1], 0
.LBB113_2107:
	s_andn2_b64 vcc, exec, s[0:1]
	s_cbranch_vccnz .LBB113_2109
; %bb.2108:
	s_movk_i32 s0, 0x1ff
	s_waitcnt vmcnt(0)
	v_and_or_b32 v2, v1, s0, v0
	v_cmp_ne_u32_e32 vcc, 0, v2
	v_lshrrev_b32_e32 v3, 8, v1
	s_movk_i32 s0, 0xffe
	v_cndmask_b32_e64 v2, 0, 1, vcc
	v_bfe_u32 v6, v1, 20, 11
	v_and_or_b32 v2, v3, s0, v2
	v_sub_u32_e32 v7, 0x3f1, v6
	v_or_b32_e32 v3, 0x1000, v2
	v_med3_i32 v7, v7, 0, 13
	v_lshrrev_b32_e32 v8, v7, v3
	v_lshlrev_b32_e32 v7, v7, v8
	v_cmp_ne_u32_e32 vcc, v7, v3
	v_add_u32_e32 v6, 0xfffffc10, v6
	v_lshl_or_b32 v7, v6, 12, v2
	v_cndmask_b32_e64 v3, 0, 1, vcc
	v_or_b32_e32 v3, v8, v3
	v_cmp_gt_i32_e32 vcc, 1, v6
	s_movk_i32 s0, 0x40f
	s_nop 0
	v_cndmask_b32_e32 v3, v7, v3, vcc
	v_and_b32_e32 v7, 7, v3
	v_cmp_lt_i32_e32 vcc, 5, v7
	v_lshrrev_b32_e32 v3, 2, v3
	s_nop 0
	v_cndmask_b32_e64 v8, 0, 1, vcc
	v_cmp_eq_u32_e32 vcc, 3, v7
	s_nop 1
	v_cndmask_b32_e64 v7, 0, 1, vcc
	v_or_b32_e32 v7, v7, v8
	v_add_u32_e32 v3, v3, v7
	v_mov_b32_e32 v7, 0x7c00
	v_cmp_gt_i32_e32 vcc, 31, v6
	v_mov_b32_e32 v8, 0x7e00
	s_nop 0
	v_cndmask_b32_e32 v3, v7, v3, vcc
	v_cmp_ne_u32_e32 vcc, 0, v2
	s_nop 1
	v_cndmask_b32_e32 v2, v7, v8, vcc
	v_cmp_eq_u32_e32 vcc, s0, v6
	s_mov_b32 s0, 0x8000
	s_nop 0
	v_cndmask_b32_e32 v2, v3, v2, vcc
	v_and_b32_sdwa v3, v1, s0 dst_sel:DWORD dst_unused:UNUSED_PAD src0_sel:WORD_1 src1_sel:DWORD
	s_mov_b32 s0, 0xffff
	v_bitop3_b32 v2, v3, s0, v2 bitop3:0xc8
	global_store_dword v[4:5], v2, off
.LBB113_2109:
	s_mov_b64 s[0:1], 0
.LBB113_2110:
	s_andn2_b64 vcc, exec, s[0:1]
	s_cbranch_vccnz .LBB113_2119
; %bb.2111:
	s_sext_i32_i16 s2, s14
	s_cmp_lt_i32 s2, 6
	s_mov_b64 s[0:1], -1
	s_cbranch_scc1 .LBB113_2117
; %bb.2112:
	s_cmp_gt_i32 s2, 6
	s_cbranch_scc0 .LBB113_2114
; %bb.2113:
	s_waitcnt vmcnt(0)
	global_store_dwordx2 v[4:5], v[0:1], off
	s_mov_b64 s[0:1], 0
.LBB113_2114:
	s_andn2_b64 vcc, exec, s[0:1]
	s_cbranch_vccnz .LBB113_2116
; %bb.2115:
	s_waitcnt vmcnt(0)
	v_cvt_f32_f64_e32 v2, v[0:1]
	global_store_dword v[4:5], v2, off
.LBB113_2116:
	s_mov_b64 s[0:1], 0
.LBB113_2117:
	s_andn2_b64 vcc, exec, s[0:1]
	s_cbranch_vccnz .LBB113_2119
; %bb.2118:
	s_movk_i32 s0, 0x1ff
	s_waitcnt vmcnt(0)
	v_and_or_b32 v2, v1, s0, v0
	v_cmp_ne_u32_e32 vcc, 0, v2
	v_lshrrev_b32_e32 v3, 8, v1
	s_movk_i32 s0, 0xffe
	v_cndmask_b32_e64 v2, 0, 1, vcc
	v_bfe_u32 v6, v1, 20, 11
	v_and_or_b32 v2, v3, s0, v2
	v_sub_u32_e32 v7, 0x3f1, v6
	v_or_b32_e32 v3, 0x1000, v2
	v_med3_i32 v7, v7, 0, 13
	v_lshrrev_b32_e32 v8, v7, v3
	v_lshlrev_b32_e32 v7, v7, v8
	v_cmp_ne_u32_e32 vcc, v7, v3
	v_add_u32_e32 v6, 0xfffffc10, v6
	v_lshl_or_b32 v7, v6, 12, v2
	v_cndmask_b32_e64 v3, 0, 1, vcc
	v_or_b32_e32 v3, v8, v3
	v_cmp_gt_i32_e32 vcc, 1, v6
	s_movk_i32 s0, 0x40f
	s_nop 0
	v_cndmask_b32_e32 v3, v7, v3, vcc
	v_and_b32_e32 v7, 7, v3
	v_cmp_lt_i32_e32 vcc, 5, v7
	v_lshrrev_b32_e32 v3, 2, v3
	s_nop 0
	v_cndmask_b32_e64 v8, 0, 1, vcc
	v_cmp_eq_u32_e32 vcc, 3, v7
	s_nop 1
	v_cndmask_b32_e64 v7, 0, 1, vcc
	v_or_b32_e32 v7, v7, v8
	v_add_u32_e32 v3, v3, v7
	v_mov_b32_e32 v7, 0x7c00
	v_cmp_gt_i32_e32 vcc, 31, v6
	v_mov_b32_e32 v8, 0x7e00
	s_nop 0
	v_cndmask_b32_e32 v3, v7, v3, vcc
	v_cmp_ne_u32_e32 vcc, 0, v2
	s_nop 1
	v_cndmask_b32_e32 v2, v7, v8, vcc
	v_cmp_eq_u32_e32 vcc, s0, v6
	s_mov_b32 s0, 0x8000
	s_nop 0
	v_cndmask_b32_e32 v2, v3, v2, vcc
	v_lshrrev_b32_e32 v3, 16, v1
	v_and_or_b32 v2, v3, s0, v2
	global_store_short v[4:5], v2, off
.LBB113_2119:
	s_mov_b64 s[0:1], 0
.LBB113_2120:
	s_andn2_b64 vcc, exec, s[0:1]
	s_cbranch_vccnz .LBB113_2136
; %bb.2121:
	s_sext_i32_i16 s2, s14
	s_cmp_lt_i32 s2, 2
	s_mov_b64 s[0:1], -1
	s_cbranch_scc1 .LBB113_2131
; %bb.2122:
	s_cmp_lt_i32 s2, 3
	s_cbranch_scc1 .LBB113_2128
; %bb.2123:
	s_cmp_gt_i32 s2, 3
	s_cbranch_scc0 .LBB113_2125
; %bb.2124:
	s_waitcnt vmcnt(0)
	v_trunc_f64_e32 v[2:3], v[0:1]
	s_movk_i32 s0, 0xffe0
	v_ldexp_f64 v[6:7], v[2:3], s0
	v_floor_f64_e32 v[6:7], v[6:7]
	v_fmac_f64_e32 v[2:3], 0xc1f00000, v[6:7]
	v_cvt_i32_f64_e32 v9, v[6:7]
	v_cvt_u32_f64_e32 v8, v[2:3]
	global_store_dwordx2 v[4:5], v[8:9], off
	s_mov_b64 s[0:1], 0
.LBB113_2125:
	s_andn2_b64 vcc, exec, s[0:1]
	s_cbranch_vccnz .LBB113_2127
; %bb.2126:
	s_waitcnt vmcnt(0)
	v_cvt_i32_f64_e32 v2, v[0:1]
	global_store_dword v[4:5], v2, off
.LBB113_2127:
	s_mov_b64 s[0:1], 0
.LBB113_2128:
	s_andn2_b64 vcc, exec, s[0:1]
	s_cbranch_vccnz .LBB113_2130
; %bb.2129:
	s_waitcnt vmcnt(0)
	v_cvt_i32_f64_e32 v2, v[0:1]
	global_store_short v[4:5], v2, off
.LBB113_2130:
	s_mov_b64 s[0:1], 0
.LBB113_2131:
	s_andn2_b64 vcc, exec, s[0:1]
	s_cbranch_vccnz .LBB113_2136
; %bb.2132:
	s_sext_i32_i16 s0, s14
	s_cmp_gt_i32 s0, 0
	s_mov_b64 s[0:1], -1
	s_cbranch_scc0 .LBB113_2134
; %bb.2133:
	s_waitcnt vmcnt(0)
	v_cvt_i32_f64_e32 v2, v[0:1]
	global_store_byte v[4:5], v2, off
	s_mov_b64 s[0:1], 0
.LBB113_2134:
	s_andn2_b64 vcc, exec, s[0:1]
	s_cbranch_vccnz .LBB113_2136
; %bb.2135:
	s_waitcnt vmcnt(0)
	v_trunc_f64_e32 v[0:1], v[0:1]
	s_movk_i32 s0, 0xffe0
	v_ldexp_f64 v[2:3], v[0:1], s0
	v_floor_f64_e32 v[2:3], v[2:3]
	v_fmac_f64_e32 v[0:1], 0xc1f00000, v[2:3]
	v_cvt_u32_f64_e32 v0, v[0:1]
	global_store_byte v[4:5], v0, off
	s_endpgm
.LBB113_2136:
	s_endpgm
.LBB113_2137:
	s_mov_b64 s[4:5], 0
	s_mov_b64 s[0:1], -1
	s_branch .LBB113_2093
.LBB113_2138:
	s_trap 2
	s_or_b64 s[2:3], s[2:3], exec
	s_cbranch_execz .LBB113_1607
	s_branch .LBB113_1608
.LBB113_2139:
	s_andn2_saveexec_b64 s[12:13], s[12:13]
	s_cbranch_execz .LBB113_1687
.LBB113_2140:
	s_mov_b32 s17, 0x46000000
	v_add_f32_e64 v3, |v2|, s17
	v_and_b32_e32 v3, 0xff, v3
	v_cmp_ne_u32_e32 vcc, 0, v3
	s_andn2_b64 s[10:11], s[10:11], exec
	s_and_b64 s[18:19], vcc, exec
	s_or_b64 s[10:11], s[10:11], s[18:19]
	s_or_b64 exec, exec, s[12:13]
	v_mov_b32_e32 v5, 0
	s_and_saveexec_b64 s[12:13], s[10:11]
	s_cbranch_execnz .LBB113_1688
	s_branch .LBB113_1689
.LBB113_2141:
	s_trap 2
	s_or_b64 s[2:3], s[2:3], exec
	s_cbranch_execz .LBB113_1735
	s_branch .LBB113_1736
.LBB113_2142:
	s_andn2_saveexec_b64 s[10:11], s[10:11]
	s_cbranch_execz .LBB113_1700
.LBB113_2143:
	s_mov_b32 s12, 0x42800000
	v_add_f32_e64 v3, |v2|, s12
	v_and_b32_e32 v3, 0xff, v3
	v_cmp_ne_u32_e32 vcc, 0, v3
	s_andn2_b64 s[8:9], s[8:9], exec
	s_and_b64 s[12:13], vcc, exec
	s_or_b64 s[8:9], s[8:9], s[12:13]
	s_or_b64 exec, exec, s[10:11]
	v_mov_b32_e32 v5, 0
	s_and_saveexec_b64 s[10:11], s[8:9]
	s_cbranch_execnz .LBB113_1701
	s_branch .LBB113_1702
.LBB113_2144:
	s_andn2_saveexec_b64 s[12:13], s[12:13]
	s_cbranch_execz .LBB113_1806
.LBB113_2145:
	s_mov_b32 s16, 0x46000000
	v_add_f32_e64 v3, |v2|, s16
	v_and_b32_e32 v3, 0xff, v3
	v_cmp_ne_u32_e32 vcc, 0, v3
	s_andn2_b64 s[10:11], s[10:11], exec
	s_and_b64 s[16:17], vcc, exec
	s_or_b64 s[10:11], s[10:11], s[16:17]
	s_or_b64 exec, exec, s[12:13]
	v_mov_b32_e32 v5, 0
	s_and_saveexec_b64 s[12:13], s[10:11]
	s_cbranch_execnz .LBB113_1807
	s_branch .LBB113_1808
.LBB113_2146:
	s_trap 2
	s_or_b64 s[2:3], s[2:3], exec
	s_cbranch_execz .LBB113_1854
	s_branch .LBB113_1855
.LBB113_2147:
	s_andn2_saveexec_b64 s[10:11], s[10:11]
	s_cbranch_execz .LBB113_1819
.LBB113_2148:
	s_mov_b32 s12, 0x42800000
	v_add_f32_e64 v3, |v2|, s12
	v_and_b32_e32 v3, 0xff, v3
	v_cmp_ne_u32_e32 vcc, 0, v3
	s_andn2_b64 s[8:9], s[8:9], exec
	s_and_b64 s[12:13], vcc, exec
	s_or_b64 s[8:9], s[8:9], s[12:13]
	s_or_b64 exec, exec, s[10:11]
	v_mov_b32_e32 v5, 0
	s_and_saveexec_b64 s[10:11], s[8:9]
	s_cbranch_execnz .LBB113_1820
	s_branch .LBB113_1821
.LBB113_2149:
	s_andn2_saveexec_b64 s[12:13], s[12:13]
	s_cbranch_execz .LBB113_1925
.LBB113_2150:
	s_mov_b32 s16, 0x46000000
	v_add_f32_e64 v3, |v2|, s16
	v_and_b32_e32 v3, 0xff, v3
	v_cmp_ne_u32_e32 vcc, 0, v3
	s_andn2_b64 s[10:11], s[10:11], exec
	s_and_b64 s[16:17], vcc, exec
	s_or_b64 s[10:11], s[10:11], s[16:17]
	s_or_b64 exec, exec, s[12:13]
	v_mov_b32_e32 v5, 0
	s_and_saveexec_b64 s[12:13], s[10:11]
	s_cbranch_execnz .LBB113_1926
	s_branch .LBB113_1927
.LBB113_2151:
	s_trap 2
	s_or_b64 s[2:3], s[2:3], exec
	s_cbranch_execz .LBB113_1973
	s_branch .LBB113_1974
.LBB113_2152:
	s_andn2_saveexec_b64 s[10:11], s[10:11]
	s_cbranch_execz .LBB113_1938
.LBB113_2153:
	s_mov_b32 s12, 0x42800000
	v_add_f32_e64 v3, |v2|, s12
	v_and_b32_e32 v3, 0xff, v3
	v_cmp_ne_u32_e32 vcc, 0, v3
	s_andn2_b64 s[8:9], s[8:9], exec
	s_and_b64 s[12:13], vcc, exec
	s_or_b64 s[8:9], s[8:9], s[12:13]
	s_or_b64 exec, exec, s[10:11]
	v_mov_b32_e32 v5, 0
	s_and_saveexec_b64 s[10:11], s[8:9]
	s_cbranch_execnz .LBB113_1939
	s_branch .LBB113_1940
.LBB113_2154:
	s_andn2_saveexec_b64 s[10:11], s[10:11]
	s_cbranch_execz .LBB113_2045
.LBB113_2155:
	s_mov_b32 s13, 0x46000000
	v_add_f32_e64 v3, |v2|, s13
	v_and_b32_e32 v3, 0xff, v3
	v_cmp_ne_u32_e32 vcc, 0, v3
	s_andn2_b64 s[8:9], s[8:9], exec
	s_and_b64 s[16:17], vcc, exec
	s_or_b64 s[8:9], s[8:9], s[16:17]
	s_or_b64 exec, exec, s[10:11]
	v_mov_b32_e32 v6, 0
	s_and_saveexec_b64 s[10:11], s[8:9]
	s_cbranch_execnz .LBB113_2046
	s_branch .LBB113_2047
.LBB113_2156:
	s_mov_b64 s[4:5], 0
	s_or_b64 s[2:3], s[2:3], exec
	s_trap 2
	s_branch .LBB113_2091
.LBB113_2157:
	s_andn2_saveexec_b64 s[8:9], s[8:9]
	s_cbranch_execz .LBB113_2057
.LBB113_2158:
	s_mov_b32 s10, 0x42800000
	v_add_f32_e64 v3, |v2|, s10
	v_and_b32_e32 v3, 0xff, v3
	v_cmp_ne_u32_e32 vcc, 0, v3
	s_andn2_b64 s[6:7], s[6:7], exec
	s_and_b64 s[10:11], vcc, exec
	s_or_b64 s[6:7], s[6:7], s[10:11]
	s_or_b64 exec, exec, s[8:9]
	v_mov_b32_e32 v6, 0
	s_and_saveexec_b64 s[8:9], s[6:7]
	s_cbranch_execnz .LBB113_2058
	s_branch .LBB113_2059
	.section	.rodata,"a",@progbits
	.p2align	6, 0x0
	.amdhsa_kernel _ZN2at6native32elementwise_kernel_manual_unrollILi128ELi4EZNS0_15gpu_kernel_implIZZZNS0_17expm1_kernel_cudaERNS_18TensorIteratorBaseEENKUlvE_clEvENKUlvE_clEvEUldE_EEvS4_RKT_EUlibE0_EEviT1_
		.amdhsa_group_segment_fixed_size 0
		.amdhsa_private_segment_fixed_size 0
		.amdhsa_kernarg_size 360
		.amdhsa_user_sgpr_count 2
		.amdhsa_user_sgpr_dispatch_ptr 0
		.amdhsa_user_sgpr_queue_ptr 0
		.amdhsa_user_sgpr_kernarg_segment_ptr 1
		.amdhsa_user_sgpr_dispatch_id 0
		.amdhsa_user_sgpr_kernarg_preload_length 0
		.amdhsa_user_sgpr_kernarg_preload_offset 0
		.amdhsa_user_sgpr_private_segment_size 0
		.amdhsa_uses_dynamic_stack 0
		.amdhsa_enable_private_segment 0
		.amdhsa_system_sgpr_workgroup_id_x 1
		.amdhsa_system_sgpr_workgroup_id_y 0
		.amdhsa_system_sgpr_workgroup_id_z 0
		.amdhsa_system_sgpr_workgroup_info 0
		.amdhsa_system_vgpr_workitem_id 0
		.amdhsa_next_free_vgpr 24
		.amdhsa_next_free_sgpr 78
		.amdhsa_accum_offset 24
		.amdhsa_reserve_vcc 1
		.amdhsa_float_round_mode_32 0
		.amdhsa_float_round_mode_16_64 0
		.amdhsa_float_denorm_mode_32 3
		.amdhsa_float_denorm_mode_16_64 3
		.amdhsa_dx10_clamp 1
		.amdhsa_ieee_mode 1
		.amdhsa_fp16_overflow 0
		.amdhsa_tg_split 0
		.amdhsa_exception_fp_ieee_invalid_op 0
		.amdhsa_exception_fp_denorm_src 0
		.amdhsa_exception_fp_ieee_div_zero 0
		.amdhsa_exception_fp_ieee_overflow 0
		.amdhsa_exception_fp_ieee_underflow 0
		.amdhsa_exception_fp_ieee_inexact 0
		.amdhsa_exception_int_div_zero 0
	.end_amdhsa_kernel
	.section	.text._ZN2at6native32elementwise_kernel_manual_unrollILi128ELi4EZNS0_15gpu_kernel_implIZZZNS0_17expm1_kernel_cudaERNS_18TensorIteratorBaseEENKUlvE_clEvENKUlvE_clEvEUldE_EEvS4_RKT_EUlibE0_EEviT1_,"axG",@progbits,_ZN2at6native32elementwise_kernel_manual_unrollILi128ELi4EZNS0_15gpu_kernel_implIZZZNS0_17expm1_kernel_cudaERNS_18TensorIteratorBaseEENKUlvE_clEvENKUlvE_clEvEUldE_EEvS4_RKT_EUlibE0_EEviT1_,comdat
.Lfunc_end113:
	.size	_ZN2at6native32elementwise_kernel_manual_unrollILi128ELi4EZNS0_15gpu_kernel_implIZZZNS0_17expm1_kernel_cudaERNS_18TensorIteratorBaseEENKUlvE_clEvENKUlvE_clEvEUldE_EEvS4_RKT_EUlibE0_EEviT1_, .Lfunc_end113-_ZN2at6native32elementwise_kernel_manual_unrollILi128ELi4EZNS0_15gpu_kernel_implIZZZNS0_17expm1_kernel_cudaERNS_18TensorIteratorBaseEENKUlvE_clEvENKUlvE_clEvEUldE_EEvS4_RKT_EUlibE0_EEviT1_
                                        ; -- End function
	.set _ZN2at6native32elementwise_kernel_manual_unrollILi128ELi4EZNS0_15gpu_kernel_implIZZZNS0_17expm1_kernel_cudaERNS_18TensorIteratorBaseEENKUlvE_clEvENKUlvE_clEvEUldE_EEvS4_RKT_EUlibE0_EEviT1_.num_vgpr, 24
	.set _ZN2at6native32elementwise_kernel_manual_unrollILi128ELi4EZNS0_15gpu_kernel_implIZZZNS0_17expm1_kernel_cudaERNS_18TensorIteratorBaseEENKUlvE_clEvENKUlvE_clEvEUldE_EEvS4_RKT_EUlibE0_EEviT1_.num_agpr, 0
	.set _ZN2at6native32elementwise_kernel_manual_unrollILi128ELi4EZNS0_15gpu_kernel_implIZZZNS0_17expm1_kernel_cudaERNS_18TensorIteratorBaseEENKUlvE_clEvENKUlvE_clEvEUldE_EEvS4_RKT_EUlibE0_EEviT1_.numbered_sgpr, 78
	.set _ZN2at6native32elementwise_kernel_manual_unrollILi128ELi4EZNS0_15gpu_kernel_implIZZZNS0_17expm1_kernel_cudaERNS_18TensorIteratorBaseEENKUlvE_clEvENKUlvE_clEvEUldE_EEvS4_RKT_EUlibE0_EEviT1_.num_named_barrier, 0
	.set _ZN2at6native32elementwise_kernel_manual_unrollILi128ELi4EZNS0_15gpu_kernel_implIZZZNS0_17expm1_kernel_cudaERNS_18TensorIteratorBaseEENKUlvE_clEvENKUlvE_clEvEUldE_EEvS4_RKT_EUlibE0_EEviT1_.private_seg_size, 0
	.set _ZN2at6native32elementwise_kernel_manual_unrollILi128ELi4EZNS0_15gpu_kernel_implIZZZNS0_17expm1_kernel_cudaERNS_18TensorIteratorBaseEENKUlvE_clEvENKUlvE_clEvEUldE_EEvS4_RKT_EUlibE0_EEviT1_.uses_vcc, 1
	.set _ZN2at6native32elementwise_kernel_manual_unrollILi128ELi4EZNS0_15gpu_kernel_implIZZZNS0_17expm1_kernel_cudaERNS_18TensorIteratorBaseEENKUlvE_clEvENKUlvE_clEvEUldE_EEvS4_RKT_EUlibE0_EEviT1_.uses_flat_scratch, 0
	.set _ZN2at6native32elementwise_kernel_manual_unrollILi128ELi4EZNS0_15gpu_kernel_implIZZZNS0_17expm1_kernel_cudaERNS_18TensorIteratorBaseEENKUlvE_clEvENKUlvE_clEvEUldE_EEvS4_RKT_EUlibE0_EEviT1_.has_dyn_sized_stack, 0
	.set _ZN2at6native32elementwise_kernel_manual_unrollILi128ELi4EZNS0_15gpu_kernel_implIZZZNS0_17expm1_kernel_cudaERNS_18TensorIteratorBaseEENKUlvE_clEvENKUlvE_clEvEUldE_EEvS4_RKT_EUlibE0_EEviT1_.has_recursion, 0
	.set _ZN2at6native32elementwise_kernel_manual_unrollILi128ELi4EZNS0_15gpu_kernel_implIZZZNS0_17expm1_kernel_cudaERNS_18TensorIteratorBaseEENKUlvE_clEvENKUlvE_clEvEUldE_EEvS4_RKT_EUlibE0_EEviT1_.has_indirect_call, 0
	.section	.AMDGPU.csdata,"",@progbits
; Kernel info:
; codeLenInByte = 44744
; TotalNumSgprs: 84
; NumVgprs: 24
; NumAgprs: 0
; TotalNumVgprs: 24
; ScratchSize: 0
; MemoryBound: 1
; FloatMode: 240
; IeeeMode: 1
; LDSByteSize: 0 bytes/workgroup (compile time only)
; SGPRBlocks: 10
; VGPRBlocks: 2
; NumSGPRsForWavesPerEU: 84
; NumVGPRsForWavesPerEU: 24
; AccumOffset: 24
; Occupancy: 8
; WaveLimiterHint : 1
; COMPUTE_PGM_RSRC2:SCRATCH_EN: 0
; COMPUTE_PGM_RSRC2:USER_SGPR: 2
; COMPUTE_PGM_RSRC2:TRAP_HANDLER: 0
; COMPUTE_PGM_RSRC2:TGID_X_EN: 1
; COMPUTE_PGM_RSRC2:TGID_Y_EN: 0
; COMPUTE_PGM_RSRC2:TGID_Z_EN: 0
; COMPUTE_PGM_RSRC2:TIDIG_COMP_CNT: 0
; COMPUTE_PGM_RSRC3_GFX90A:ACCUM_OFFSET: 5
; COMPUTE_PGM_RSRC3_GFX90A:TG_SPLIT: 0
	.section	.text._ZN2at6native29vectorized_elementwise_kernelILi16EZZZNS0_17expm1_kernel_cudaERNS_18TensorIteratorBaseEENKUlvE_clEvENKUlvE0_clEvEUlfE_St5arrayIPcLm2EEEEviT0_T1_,"axG",@progbits,_ZN2at6native29vectorized_elementwise_kernelILi16EZZZNS0_17expm1_kernel_cudaERNS_18TensorIteratorBaseEENKUlvE_clEvENKUlvE0_clEvEUlfE_St5arrayIPcLm2EEEEviT0_T1_,comdat
	.globl	_ZN2at6native29vectorized_elementwise_kernelILi16EZZZNS0_17expm1_kernel_cudaERNS_18TensorIteratorBaseEENKUlvE_clEvENKUlvE0_clEvEUlfE_St5arrayIPcLm2EEEEviT0_T1_ ; -- Begin function _ZN2at6native29vectorized_elementwise_kernelILi16EZZZNS0_17expm1_kernel_cudaERNS_18TensorIteratorBaseEENKUlvE_clEvENKUlvE0_clEvEUlfE_St5arrayIPcLm2EEEEviT0_T1_
	.p2align	8
	.type	_ZN2at6native29vectorized_elementwise_kernelILi16EZZZNS0_17expm1_kernel_cudaERNS_18TensorIteratorBaseEENKUlvE_clEvENKUlvE0_clEvEUlfE_St5arrayIPcLm2EEEEviT0_T1_,@function
_ZN2at6native29vectorized_elementwise_kernelILi16EZZZNS0_17expm1_kernel_cudaERNS_18TensorIteratorBaseEENKUlvE_clEvENKUlvE0_clEvEUlfE_St5arrayIPcLm2EEEEviT0_T1_: ; @_ZN2at6native29vectorized_elementwise_kernelILi16EZZZNS0_17expm1_kernel_cudaERNS_18TensorIteratorBaseEENKUlvE_clEvENKUlvE0_clEvEUlfE_St5arrayIPcLm2EEEEviT0_T1_
; %bb.0:
	s_load_dword s3, s[0:1], 0x0
	s_load_dwordx4 s[8:11], s[0:1], 0x8
	s_lshl_b32 s6, s2, 10
	s_mov_b64 s[0:1], -1
	s_waitcnt lgkmcnt(0)
	s_sub_i32 s12, s3, s6
	s_cmpk_gt_i32 s12, 0x3ff
	s_cbranch_scc0 .LBB114_2
; %bb.1:
	s_ashr_i32 s7, s6, 31
	s_lshl_b64 s[0:1], s[6:7], 2
	s_add_u32 s2, s10, s0
	s_addc_u32 s3, s11, s1
	v_lshlrev_b32_e32 v1, 4, v0
	global_load_dwordx4 v[2:5], v1, s[2:3]
	s_mov_b32 s2, 0x3f317218
	s_mov_b32 s4, 0xb102e308
	;; [unrolled: 1-line block ×5, first 2 shown]
	v_mov_b64_e32 v[6:7], s[14:15]
	s_mov_b32 s18, 0x3c0887f9
	s_mov_b32 s20, 0x3d2aaa81
	;; [unrolled: 1-line block ×3, first 2 shown]
	s_add_u32 s14, s8, s0
	v_mov_b32_e32 v18, 0x7f000000
	s_addc_u32 s15, s9, s1
	s_mov_b32 s7, 0x42b17217
	v_mov_b32_e32 v22, 0x7f800000
	s_mov_b32 s13, 0xc1880000
	s_waitcnt vmcnt(0)
	v_mul_f32_e32 v8, 0x3fb8aa3b, v2
	v_mul_f32_e32 v9, 0x3fb8aa3b, v3
	;; [unrolled: 1-line block ×4, first 2 shown]
	v_rndne_f32_e32 v8, v8
	v_rndne_f32_e32 v9, v9
	;; [unrolled: 1-line block ×4, first 2 shown]
	v_pk_fma_f32 v[12:13], v[8:9], s[2:3], v[2:3] op_sel_hi:[1,0,1] neg_lo:[1,0,0] neg_hi:[1,0,0]
	v_pk_fma_f32 v[14:15], v[10:11], s[2:3], v[4:5] op_sel_hi:[1,0,1] neg_lo:[1,0,0] neg_hi:[1,0,0]
	;; [unrolled: 1-line block ×3, first 2 shown]
	v_cvt_i32_f32_e32 v19, v8
	v_cvt_i32_f32_e32 v20, v9
	v_pk_fma_f32 v[14:15], v[10:11], s[4:5], v[14:15] op_sel_hi:[1,0,1] neg_lo:[1,0,0] neg_hi:[1,0,0]
	v_pk_fma_f32 v[16:17], v[12:13], s[16:17], v[6:7] op_sel_hi:[1,0,0]
	v_cvt_i32_f32_e32 v21, v10
	v_cvt_i32_f32_e32 v23, v11
	v_pk_fma_f32 v[6:7], v[14:15], s[16:17], v[6:7] op_sel_hi:[1,0,0]
	v_pk_fma_f32 v[16:17], v[12:13], v[16:17], s[18:19] op_sel_hi:[1,1,0]
	;; [unrolled: 1-line block ×6, first 2 shown]
	v_ldexp_f32 v19, 1.0, v19
	v_ldexp_f32 v20, 1.0, v20
	v_cmp_eq_f32_e32 vcc, s5, v9
	v_cmp_eq_f32_e64 s[0:1], s5, v8
	v_pk_fma_f32 v[6:7], v[14:15], v[6:7], s[22:23] op_sel_hi:[1,1,0]
	v_pk_fma_f32 v[16:17], v[12:13], v[16:17], 0.5 op_sel_hi:[1,1,0]
	v_ldexp_f32 v21, 1.0, v21
	v_ldexp_f32 v23, 1.0, v23
	v_cndmask_b32_e32 v9, v20, v18, vcc
	v_cndmask_b32_e64 v8, v19, v18, s[0:1]
	v_cmp_eq_f32_e64 s[2:3], s5, v11
	v_cmp_eq_f32_e64 s[4:5], s5, v10
	v_pk_fma_f32 v[6:7], v[14:15], v[6:7], 0.5 op_sel_hi:[1,1,0]
	v_pk_mul_f32 v[16:17], v[12:13], v[16:17]
	v_cndmask_b32_e64 v11, v23, v18, s[2:3]
	v_cndmask_b32_e64 v10, v21, v18, s[4:5]
	v_pk_add_f32 v[18:19], v[8:9], -1.0 op_sel_hi:[1,0]
	v_pk_mul_f32 v[6:7], v[14:15], v[6:7]
	v_pk_fma_f32 v[12:13], v[12:13], v[16:17], v[12:13]
	v_pk_add_f32 v[20:21], v[10:11], -1.0 op_sel_hi:[1,0]
	v_pk_fma_f32 v[6:7], v[14:15], v[6:7], v[14:15]
	v_pk_fma_f32 v[8:9], v[8:9], v[12:13], v[18:19]
	;; [unrolled: 1-line block ×3, first 2 shown]
	v_pk_add_f32 v[10:11], v[8:9], v[8:9]
	v_pk_add_f32 v[12:13], v[6:7], v[6:7]
	v_cndmask_b32_e32 v9, v9, v11, vcc
	v_cndmask_b32_e64 v8, v8, v10, s[0:1]
	v_cmp_nlt_f32_e32 vcc, s7, v2
	v_cndmask_b32_e64 v6, v6, v12, s[4:5]
	v_cndmask_b32_e64 v7, v7, v13, s[2:3]
	v_cndmask_b32_e32 v8, v22, v8, vcc
	v_cmp_nlt_f32_e32 vcc, s7, v3
	s_mov_b64 s[0:1], 0
	s_nop 0
	v_cndmask_b32_e32 v9, v22, v9, vcc
	v_cmp_nlt_f32_e32 vcc, s7, v4
	s_nop 1
	v_cndmask_b32_e32 v6, v22, v6, vcc
	v_cmp_nlt_f32_e32 vcc, s7, v5
	s_nop 1
	v_cndmask_b32_e32 v7, v22, v7, vcc
	v_cmp_ngt_f32_e32 vcc, s13, v3
	s_nop 1
	v_cndmask_b32_e32 v3, -1.0, v9, vcc
	v_cmp_ngt_f32_e32 vcc, s13, v2
	s_nop 1
	v_cndmask_b32_e32 v2, -1.0, v8, vcc
	;; [unrolled: 3-line block ×4, first 2 shown]
	global_store_dwordx4 v1, v[2:5], s[14:15]
.LBB114_2:
	s_andn2_b64 vcc, exec, s[0:1]
	s_cbranch_vccnz .LBB114_23
; %bb.3:
	v_cmp_gt_i32_e32 vcc, s12, v0
	v_mov_b32_e32 v8, 0
	v_or_b32_e32 v6, s6, v0
	v_mov_b32_e32 v9, 0
	v_mov_b32_e32 v2, v0
	s_and_saveexec_b64 s[0:1], vcc
	s_cbranch_execz .LBB114_5
; %bb.4:
	v_mov_b32_e32 v7, 0
	v_lshl_add_u64 v[2:3], v[6:7], 2, s[10:11]
	global_load_dword v9, v[2:3], off
	v_or_b32_e32 v2, 0x100, v0
.LBB114_5:
	s_or_b64 exec, exec, s[0:1]
	v_cmp_gt_i32_e64 s[0:1], s12, v2
	s_and_saveexec_b64 s[2:3], s[0:1]
	s_cbranch_execz .LBB114_7
; %bb.6:
	v_add_u32_e32 v4, s6, v2
	v_mov_b32_e32 v5, 0
	v_lshl_add_u64 v[4:5], v[4:5], 2, s[10:11]
	global_load_dword v8, v[4:5], off
	v_add_u32_e32 v2, 0x100, v2
.LBB114_7:
	s_or_b64 exec, exec, s[2:3]
	v_cmp_gt_i32_e64 s[0:1], s12, v2
	v_mov_b32_e32 v1, 0
	v_mov_b32_e32 v7, 0
	s_and_saveexec_b64 s[2:3], s[0:1]
	s_cbranch_execz .LBB114_9
; %bb.8:
	v_add_u32_e32 v4, s6, v2
	v_mov_b32_e32 v5, 0
	v_lshl_add_u64 v[4:5], v[4:5], 2, s[10:11]
	global_load_dword v7, v[4:5], off
	v_add_u32_e32 v2, 0x100, v2
.LBB114_9:
	s_or_b64 exec, exec, s[2:3]
	v_cmp_gt_i32_e64 s[0:1], s12, v2
	s_and_saveexec_b64 s[2:3], s[0:1]
	s_cbranch_execz .LBB114_11
; %bb.10:
	v_add_u32_e32 v2, s6, v2
	v_mov_b32_e32 v3, 0
	v_lshl_add_u64 v[2:3], v[2:3], 2, s[10:11]
	global_load_dword v1, v[2:3], off
.LBB114_11:
	s_or_b64 exec, exec, s[2:3]
	v_mov_b32_e32 v2, 0
	v_mov_b32_e32 v3, v2
	;; [unrolled: 1-line block ×4, first 2 shown]
	s_and_saveexec_b64 s[2:3], vcc
	s_cbranch_execz .LBB114_13
; %bb.12:
	s_waitcnt vmcnt(0)
	v_mul_f32_e32 v3, 0x3fb8aa3b, v9
	v_rndne_f32_e32 v3, v3
	v_fmamk_f32 v4, v3, 0xbf317218, v9
	v_fmamk_f32 v4, v3, 0x3102e308, v4
	v_mov_b32_e32 v5, 0x3ab69700
	v_fmac_f32_e32 v5, 0x395133b1, v4
	v_fmaak_f32 v5, v4, v5, 0x3c0887f9
	v_fmaak_f32 v5, v4, v5, 0x3d2aaa81
	v_cvt_i32_f32_e32 v10, v3
	v_fmaak_f32 v5, v4, v5, 0x3e2aaaab
	v_fma_f32 v5, v4, v5, 0.5
	v_mul_f32_e32 v5, v4, v5
	s_mov_b32 s0, 0x43000000
	v_fmac_f32_e32 v4, v4, v5
	v_ldexp_f32 v5, 1.0, v10
	v_mov_b32_e32 v10, 0x7f000000
	v_cmp_eq_f32_e64 s[0:1], s0, v3
	v_mov_b32_e32 v11, v2
	v_mov_b32_e32 v12, v2
	v_cndmask_b32_e64 v3, v5, v10, s[0:1]
	v_add_f32_e32 v5, -1.0, v3
	v_fmac_f32_e32 v5, v3, v4
	v_add_f32_e32 v3, v5, v5
	v_cndmask_b32_e64 v3, v5, v3, s[0:1]
	s_mov_b32 s0, 0x42b17217
	v_mov_b32_e32 v4, 0x7f800000
	v_cmp_nlt_f32_e64 s[0:1], s0, v9
	v_mov_b32_e32 v13, v2
	s_nop 0
	v_cndmask_b32_e64 v3, v4, v3, s[0:1]
	s_mov_b32 s0, 0xc1880000
	v_cmp_ngt_f32_e64 s[0:1], s0, v9
	s_nop 1
	v_cndmask_b32_e64 v10, -1.0, v3, s[0:1]
	v_mov_b64_e32 v[2:3], v[10:11]
	v_mov_b64_e32 v[4:5], v[12:13]
.LBB114_13:
	s_or_b64 exec, exec, s[2:3]
	s_waitcnt vmcnt(0)
	v_or_b32_e32 v9, 0x100, v0
	v_cmp_gt_i32_e64 s[0:1], s12, v9
	s_and_saveexec_b64 s[2:3], s[0:1]
	s_cbranch_execz .LBB114_15
; %bb.14:
	v_mul_f32_e32 v3, 0x3fb8aa3b, v8
	v_rndne_f32_e32 v3, v3
	v_fmamk_f32 v10, v3, 0xbf317218, v8
	v_fmamk_f32 v10, v3, 0x3102e308, v10
	v_mov_b32_e32 v11, 0x3ab69700
	v_fmac_f32_e32 v11, 0x395133b1, v10
	v_fmaak_f32 v11, v10, v11, 0x3c0887f9
	v_fmaak_f32 v11, v10, v11, 0x3d2aaa81
	v_cvt_i32_f32_e32 v12, v3
	v_fmaak_f32 v11, v10, v11, 0x3e2aaaab
	v_fma_f32 v11, v10, v11, 0.5
	v_mul_f32_e32 v11, v10, v11
	s_mov_b32 s0, 0x43000000
	v_fmac_f32_e32 v10, v10, v11
	v_ldexp_f32 v11, 1.0, v12
	v_mov_b32_e32 v12, 0x7f000000
	v_cmp_eq_f32_e64 s[0:1], s0, v3
	s_nop 1
	v_cndmask_b32_e64 v3, v11, v12, s[0:1]
	v_add_f32_e32 v11, -1.0, v3
	v_fmac_f32_e32 v11, v3, v10
	v_add_f32_e32 v3, v11, v11
	v_cndmask_b32_e64 v3, v11, v3, s[0:1]
	s_mov_b32 s0, 0x42b17217
	v_mov_b32_e32 v10, 0x7f800000
	v_cmp_nlt_f32_e64 s[0:1], s0, v8
	s_nop 1
	v_cndmask_b32_e64 v3, v10, v3, s[0:1]
	s_mov_b32 s0, 0xc1880000
	v_cmp_ngt_f32_e64 s[0:1], s0, v8
	s_nop 1
	v_cndmask_b32_e64 v3, -1.0, v3, s[0:1]
.LBB114_15:
	s_or_b64 exec, exec, s[2:3]
	v_or_b32_e32 v8, 0x200, v0
	v_cmp_gt_i32_e64 s[0:1], s12, v8
	s_and_saveexec_b64 s[2:3], s[0:1]
	s_cbranch_execz .LBB114_17
; %bb.16:
	v_mul_f32_e32 v4, 0x3fb8aa3b, v7
	v_rndne_f32_e32 v4, v4
	v_fmamk_f32 v8, v4, 0xbf317218, v7
	v_fmamk_f32 v8, v4, 0x3102e308, v8
	v_mov_b32_e32 v10, 0x3ab69700
	v_fmac_f32_e32 v10, 0x395133b1, v8
	v_fmaak_f32 v10, v8, v10, 0x3c0887f9
	v_fmaak_f32 v10, v8, v10, 0x3d2aaa81
	v_cvt_i32_f32_e32 v11, v4
	v_fmaak_f32 v10, v8, v10, 0x3e2aaaab
	v_fma_f32 v10, v8, v10, 0.5
	v_mul_f32_e32 v10, v8, v10
	s_mov_b32 s0, 0x43000000
	v_fmac_f32_e32 v8, v8, v10
	v_ldexp_f32 v10, 1.0, v11
	v_mov_b32_e32 v11, 0x7f000000
	v_cmp_eq_f32_e64 s[0:1], s0, v4
	s_nop 1
	v_cndmask_b32_e64 v4, v10, v11, s[0:1]
	v_add_f32_e32 v10, -1.0, v4
	v_fmac_f32_e32 v10, v4, v8
	v_add_f32_e32 v4, v10, v10
	v_cndmask_b32_e64 v4, v10, v4, s[0:1]
	s_mov_b32 s0, 0x42b17217
	v_mov_b32_e32 v8, 0x7f800000
	v_cmp_nlt_f32_e64 s[0:1], s0, v7
	s_nop 1
	v_cndmask_b32_e64 v4, v8, v4, s[0:1]
	s_mov_b32 s0, 0xc1880000
	v_cmp_ngt_f32_e64 s[0:1], s0, v7
	s_nop 1
	v_cndmask_b32_e64 v4, -1.0, v4, s[0:1]
.LBB114_17:
	s_or_b64 exec, exec, s[2:3]
	v_or_b32_e32 v7, 0x300, v0
	v_cmp_gt_i32_e64 s[0:1], s12, v7
	s_and_saveexec_b64 s[2:3], s[0:1]
	s_cbranch_execnz .LBB114_24
; %bb.18:
	s_or_b64 exec, exec, s[2:3]
	s_and_saveexec_b64 s[0:1], vcc
	s_xor_b64 s[0:1], exec, s[0:1]
	s_cbranch_execnz .LBB114_25
.LBB114_19:
	s_or_b64 exec, exec, s[0:1]
	v_cmp_gt_i32_e32 vcc, s12, v0
	s_and_saveexec_b64 s[0:1], vcc
	s_cbranch_execnz .LBB114_26
.LBB114_20:
	s_or_b64 exec, exec, s[0:1]
	v_cmp_gt_i32_e32 vcc, s12, v0
	s_and_saveexec_b64 s[0:1], vcc
	s_cbranch_execnz .LBB114_27
.LBB114_21:
	s_or_b64 exec, exec, s[0:1]
	v_cmp_gt_i32_e32 vcc, s12, v0
	s_and_saveexec_b64 s[0:1], vcc
	s_cbranch_execz .LBB114_23
.LBB114_22:
	v_add_u32_e32 v0, s6, v0
	v_mov_b32_e32 v1, 0
	v_lshl_add_u64 v[0:1], v[0:1], 2, s[8:9]
	global_store_dword v[0:1], v5, off
.LBB114_23:
	s_endpgm
.LBB114_24:
	v_mul_f32_e32 v5, 0x3fb8aa3b, v1
	v_rndne_f32_e32 v5, v5
	v_fmamk_f32 v7, v5, 0xbf317218, v1
	v_fmamk_f32 v7, v5, 0x3102e308, v7
	v_mov_b32_e32 v8, 0x3ab69700
	v_fmac_f32_e32 v8, 0x395133b1, v7
	v_fmaak_f32 v8, v7, v8, 0x3c0887f9
	v_fmaak_f32 v8, v7, v8, 0x3d2aaa81
	v_cvt_i32_f32_e32 v10, v5
	v_fmaak_f32 v8, v7, v8, 0x3e2aaaab
	v_fma_f32 v8, v7, v8, 0.5
	v_mul_f32_e32 v8, v7, v8
	s_mov_b32 s0, 0x43000000
	v_fmac_f32_e32 v7, v7, v8
	v_ldexp_f32 v8, 1.0, v10
	v_mov_b32_e32 v10, 0x7f000000
	v_cmp_eq_f32_e64 s[0:1], s0, v5
	s_nop 1
	v_cndmask_b32_e64 v5, v8, v10, s[0:1]
	v_add_f32_e32 v8, -1.0, v5
	v_fmac_f32_e32 v8, v5, v7
	v_add_f32_e32 v5, v8, v8
	v_cndmask_b32_e64 v5, v8, v5, s[0:1]
	s_mov_b32 s0, 0x42b17217
	v_mov_b32_e32 v7, 0x7f800000
	v_cmp_nlt_f32_e64 s[0:1], s0, v1
	s_nop 1
	v_cndmask_b32_e64 v5, v7, v5, s[0:1]
	s_mov_b32 s0, 0xc1880000
	v_cmp_ngt_f32_e64 s[0:1], s0, v1
	s_nop 1
	v_cndmask_b32_e64 v5, -1.0, v5, s[0:1]
	s_or_b64 exec, exec, s[2:3]
	s_and_saveexec_b64 s[0:1], vcc
	s_xor_b64 s[0:1], exec, s[0:1]
	s_cbranch_execz .LBB114_19
.LBB114_25:
	v_mov_b32_e32 v7, 0
	v_lshl_add_u64 v[0:1], v[6:7], 2, s[8:9]
	global_store_dword v[0:1], v2, off
	v_mov_b32_e32 v0, v9
	s_or_b64 exec, exec, s[0:1]
	v_cmp_gt_i32_e32 vcc, s12, v0
	s_and_saveexec_b64 s[0:1], vcc
	s_cbranch_execz .LBB114_20
.LBB114_26:
	v_add_u32_e32 v6, s6, v0
	v_mov_b32_e32 v7, 0
	v_lshl_add_u64 v[6:7], v[6:7], 2, s[8:9]
	v_add_u32_e32 v0, 0x100, v0
	global_store_dword v[6:7], v3, off
	s_or_b64 exec, exec, s[0:1]
	v_cmp_gt_i32_e32 vcc, s12, v0
	s_and_saveexec_b64 s[0:1], vcc
	s_cbranch_execz .LBB114_21
.LBB114_27:
	v_add_u32_e32 v2, s6, v0
	v_mov_b32_e32 v3, 0
	v_lshl_add_u64 v[2:3], v[2:3], 2, s[8:9]
	v_add_u32_e32 v0, 0x100, v0
	global_store_dword v[2:3], v4, off
	s_or_b64 exec, exec, s[0:1]
	v_cmp_gt_i32_e32 vcc, s12, v0
	s_and_saveexec_b64 s[0:1], vcc
	s_cbranch_execnz .LBB114_22
	s_branch .LBB114_23
	.section	.rodata,"a",@progbits
	.p2align	6, 0x0
	.amdhsa_kernel _ZN2at6native29vectorized_elementwise_kernelILi16EZZZNS0_17expm1_kernel_cudaERNS_18TensorIteratorBaseEENKUlvE_clEvENKUlvE0_clEvEUlfE_St5arrayIPcLm2EEEEviT0_T1_
		.amdhsa_group_segment_fixed_size 0
		.amdhsa_private_segment_fixed_size 0
		.amdhsa_kernarg_size 24
		.amdhsa_user_sgpr_count 2
		.amdhsa_user_sgpr_dispatch_ptr 0
		.amdhsa_user_sgpr_queue_ptr 0
		.amdhsa_user_sgpr_kernarg_segment_ptr 1
		.amdhsa_user_sgpr_dispatch_id 0
		.amdhsa_user_sgpr_kernarg_preload_length 0
		.amdhsa_user_sgpr_kernarg_preload_offset 0
		.amdhsa_user_sgpr_private_segment_size 0
		.amdhsa_uses_dynamic_stack 0
		.amdhsa_enable_private_segment 0
		.amdhsa_system_sgpr_workgroup_id_x 1
		.amdhsa_system_sgpr_workgroup_id_y 0
		.amdhsa_system_sgpr_workgroup_id_z 0
		.amdhsa_system_sgpr_workgroup_info 0
		.amdhsa_system_vgpr_workitem_id 0
		.amdhsa_next_free_vgpr 24
		.amdhsa_next_free_sgpr 24
		.amdhsa_accum_offset 24
		.amdhsa_reserve_vcc 1
		.amdhsa_float_round_mode_32 0
		.amdhsa_float_round_mode_16_64 0
		.amdhsa_float_denorm_mode_32 3
		.amdhsa_float_denorm_mode_16_64 3
		.amdhsa_dx10_clamp 1
		.amdhsa_ieee_mode 1
		.amdhsa_fp16_overflow 0
		.amdhsa_tg_split 0
		.amdhsa_exception_fp_ieee_invalid_op 0
		.amdhsa_exception_fp_denorm_src 0
		.amdhsa_exception_fp_ieee_div_zero 0
		.amdhsa_exception_fp_ieee_overflow 0
		.amdhsa_exception_fp_ieee_underflow 0
		.amdhsa_exception_fp_ieee_inexact 0
		.amdhsa_exception_int_div_zero 0
	.end_amdhsa_kernel
	.section	.text._ZN2at6native29vectorized_elementwise_kernelILi16EZZZNS0_17expm1_kernel_cudaERNS_18TensorIteratorBaseEENKUlvE_clEvENKUlvE0_clEvEUlfE_St5arrayIPcLm2EEEEviT0_T1_,"axG",@progbits,_ZN2at6native29vectorized_elementwise_kernelILi16EZZZNS0_17expm1_kernel_cudaERNS_18TensorIteratorBaseEENKUlvE_clEvENKUlvE0_clEvEUlfE_St5arrayIPcLm2EEEEviT0_T1_,comdat
.Lfunc_end114:
	.size	_ZN2at6native29vectorized_elementwise_kernelILi16EZZZNS0_17expm1_kernel_cudaERNS_18TensorIteratorBaseEENKUlvE_clEvENKUlvE0_clEvEUlfE_St5arrayIPcLm2EEEEviT0_T1_, .Lfunc_end114-_ZN2at6native29vectorized_elementwise_kernelILi16EZZZNS0_17expm1_kernel_cudaERNS_18TensorIteratorBaseEENKUlvE_clEvENKUlvE0_clEvEUlfE_St5arrayIPcLm2EEEEviT0_T1_
                                        ; -- End function
	.set _ZN2at6native29vectorized_elementwise_kernelILi16EZZZNS0_17expm1_kernel_cudaERNS_18TensorIteratorBaseEENKUlvE_clEvENKUlvE0_clEvEUlfE_St5arrayIPcLm2EEEEviT0_T1_.num_vgpr, 24
	.set _ZN2at6native29vectorized_elementwise_kernelILi16EZZZNS0_17expm1_kernel_cudaERNS_18TensorIteratorBaseEENKUlvE_clEvENKUlvE0_clEvEUlfE_St5arrayIPcLm2EEEEviT0_T1_.num_agpr, 0
	.set _ZN2at6native29vectorized_elementwise_kernelILi16EZZZNS0_17expm1_kernel_cudaERNS_18TensorIteratorBaseEENKUlvE_clEvENKUlvE0_clEvEUlfE_St5arrayIPcLm2EEEEviT0_T1_.numbered_sgpr, 24
	.set _ZN2at6native29vectorized_elementwise_kernelILi16EZZZNS0_17expm1_kernel_cudaERNS_18TensorIteratorBaseEENKUlvE_clEvENKUlvE0_clEvEUlfE_St5arrayIPcLm2EEEEviT0_T1_.num_named_barrier, 0
	.set _ZN2at6native29vectorized_elementwise_kernelILi16EZZZNS0_17expm1_kernel_cudaERNS_18TensorIteratorBaseEENKUlvE_clEvENKUlvE0_clEvEUlfE_St5arrayIPcLm2EEEEviT0_T1_.private_seg_size, 0
	.set _ZN2at6native29vectorized_elementwise_kernelILi16EZZZNS0_17expm1_kernel_cudaERNS_18TensorIteratorBaseEENKUlvE_clEvENKUlvE0_clEvEUlfE_St5arrayIPcLm2EEEEviT0_T1_.uses_vcc, 1
	.set _ZN2at6native29vectorized_elementwise_kernelILi16EZZZNS0_17expm1_kernel_cudaERNS_18TensorIteratorBaseEENKUlvE_clEvENKUlvE0_clEvEUlfE_St5arrayIPcLm2EEEEviT0_T1_.uses_flat_scratch, 0
	.set _ZN2at6native29vectorized_elementwise_kernelILi16EZZZNS0_17expm1_kernel_cudaERNS_18TensorIteratorBaseEENKUlvE_clEvENKUlvE0_clEvEUlfE_St5arrayIPcLm2EEEEviT0_T1_.has_dyn_sized_stack, 0
	.set _ZN2at6native29vectorized_elementwise_kernelILi16EZZZNS0_17expm1_kernel_cudaERNS_18TensorIteratorBaseEENKUlvE_clEvENKUlvE0_clEvEUlfE_St5arrayIPcLm2EEEEviT0_T1_.has_recursion, 0
	.set _ZN2at6native29vectorized_elementwise_kernelILi16EZZZNS0_17expm1_kernel_cudaERNS_18TensorIteratorBaseEENKUlvE_clEvENKUlvE0_clEvEUlfE_St5arrayIPcLm2EEEEviT0_T1_.has_indirect_call, 0
	.section	.AMDGPU.csdata,"",@progbits
; Kernel info:
; codeLenInByte = 2124
; TotalNumSgprs: 30
; NumVgprs: 24
; NumAgprs: 0
; TotalNumVgprs: 24
; ScratchSize: 0
; MemoryBound: 0
; FloatMode: 240
; IeeeMode: 1
; LDSByteSize: 0 bytes/workgroup (compile time only)
; SGPRBlocks: 3
; VGPRBlocks: 2
; NumSGPRsForWavesPerEU: 30
; NumVGPRsForWavesPerEU: 24
; AccumOffset: 24
; Occupancy: 8
; WaveLimiterHint : 0
; COMPUTE_PGM_RSRC2:SCRATCH_EN: 0
; COMPUTE_PGM_RSRC2:USER_SGPR: 2
; COMPUTE_PGM_RSRC2:TRAP_HANDLER: 0
; COMPUTE_PGM_RSRC2:TGID_X_EN: 1
; COMPUTE_PGM_RSRC2:TGID_Y_EN: 0
; COMPUTE_PGM_RSRC2:TGID_Z_EN: 0
; COMPUTE_PGM_RSRC2:TIDIG_COMP_CNT: 0
; COMPUTE_PGM_RSRC3_GFX90A:ACCUM_OFFSET: 5
; COMPUTE_PGM_RSRC3_GFX90A:TG_SPLIT: 0
	.section	.text._ZN2at6native29vectorized_elementwise_kernelILi8EZZZNS0_17expm1_kernel_cudaERNS_18TensorIteratorBaseEENKUlvE_clEvENKUlvE0_clEvEUlfE_St5arrayIPcLm2EEEEviT0_T1_,"axG",@progbits,_ZN2at6native29vectorized_elementwise_kernelILi8EZZZNS0_17expm1_kernel_cudaERNS_18TensorIteratorBaseEENKUlvE_clEvENKUlvE0_clEvEUlfE_St5arrayIPcLm2EEEEviT0_T1_,comdat
	.globl	_ZN2at6native29vectorized_elementwise_kernelILi8EZZZNS0_17expm1_kernel_cudaERNS_18TensorIteratorBaseEENKUlvE_clEvENKUlvE0_clEvEUlfE_St5arrayIPcLm2EEEEviT0_T1_ ; -- Begin function _ZN2at6native29vectorized_elementwise_kernelILi8EZZZNS0_17expm1_kernel_cudaERNS_18TensorIteratorBaseEENKUlvE_clEvENKUlvE0_clEvEUlfE_St5arrayIPcLm2EEEEviT0_T1_
	.p2align	8
	.type	_ZN2at6native29vectorized_elementwise_kernelILi8EZZZNS0_17expm1_kernel_cudaERNS_18TensorIteratorBaseEENKUlvE_clEvENKUlvE0_clEvEUlfE_St5arrayIPcLm2EEEEviT0_T1_,@function
_ZN2at6native29vectorized_elementwise_kernelILi8EZZZNS0_17expm1_kernel_cudaERNS_18TensorIteratorBaseEENKUlvE_clEvENKUlvE0_clEvEUlfE_St5arrayIPcLm2EEEEviT0_T1_: ; @_ZN2at6native29vectorized_elementwise_kernelILi8EZZZNS0_17expm1_kernel_cudaERNS_18TensorIteratorBaseEENKUlvE_clEvENKUlvE0_clEvEUlfE_St5arrayIPcLm2EEEEviT0_T1_
; %bb.0:
	s_load_dword s3, s[0:1], 0x0
	s_load_dwordx4 s[8:11], s[0:1], 0x8
	s_lshl_b32 s6, s2, 10
	s_mov_b64 s[0:1], -1
	s_waitcnt lgkmcnt(0)
	s_sub_i32 s12, s3, s6
	s_cmpk_gt_i32 s12, 0x3ff
	s_cbranch_scc0 .LBB115_2
; %bb.1:
	s_ashr_i32 s7, s6, 31
	s_lshl_b64 s[0:1], s[6:7], 2
	s_add_u32 s2, s10, s0
	s_addc_u32 s3, s11, s1
	v_lshlrev_b32_e32 v1, 4, v0
	global_load_dwordx4 v[2:5], v1, s[2:3]
	s_mov_b32 s2, 0x3f317218
	s_mov_b32 s4, 0xb102e308
	;; [unrolled: 1-line block ×5, first 2 shown]
	v_mov_b64_e32 v[6:7], s[14:15]
	s_mov_b32 s18, 0x3c0887f9
	s_mov_b32 s20, 0x3d2aaa81
	;; [unrolled: 1-line block ×3, first 2 shown]
	s_add_u32 s14, s8, s0
	v_mov_b32_e32 v18, 0x7f000000
	s_addc_u32 s15, s9, s1
	s_mov_b32 s7, 0x42b17217
	v_mov_b32_e32 v22, 0x7f800000
	s_mov_b32 s13, 0xc1880000
	s_waitcnt vmcnt(0)
	v_mul_f32_e32 v8, 0x3fb8aa3b, v2
	v_mul_f32_e32 v9, 0x3fb8aa3b, v3
	;; [unrolled: 1-line block ×4, first 2 shown]
	v_rndne_f32_e32 v8, v8
	v_rndne_f32_e32 v9, v9
	;; [unrolled: 1-line block ×4, first 2 shown]
	v_pk_fma_f32 v[12:13], v[8:9], s[2:3], v[2:3] op_sel_hi:[1,0,1] neg_lo:[1,0,0] neg_hi:[1,0,0]
	v_pk_fma_f32 v[14:15], v[10:11], s[2:3], v[4:5] op_sel_hi:[1,0,1] neg_lo:[1,0,0] neg_hi:[1,0,0]
	;; [unrolled: 1-line block ×3, first 2 shown]
	v_cvt_i32_f32_e32 v19, v8
	v_cvt_i32_f32_e32 v20, v9
	v_pk_fma_f32 v[14:15], v[10:11], s[4:5], v[14:15] op_sel_hi:[1,0,1] neg_lo:[1,0,0] neg_hi:[1,0,0]
	v_pk_fma_f32 v[16:17], v[12:13], s[16:17], v[6:7] op_sel_hi:[1,0,0]
	v_cvt_i32_f32_e32 v21, v10
	v_cvt_i32_f32_e32 v23, v11
	v_pk_fma_f32 v[6:7], v[14:15], s[16:17], v[6:7] op_sel_hi:[1,0,0]
	v_pk_fma_f32 v[16:17], v[12:13], v[16:17], s[18:19] op_sel_hi:[1,1,0]
	;; [unrolled: 1-line block ×6, first 2 shown]
	v_ldexp_f32 v19, 1.0, v19
	v_ldexp_f32 v20, 1.0, v20
	v_cmp_eq_f32_e32 vcc, s5, v9
	v_cmp_eq_f32_e64 s[0:1], s5, v8
	v_pk_fma_f32 v[6:7], v[14:15], v[6:7], s[22:23] op_sel_hi:[1,1,0]
	v_pk_fma_f32 v[16:17], v[12:13], v[16:17], 0.5 op_sel_hi:[1,1,0]
	v_ldexp_f32 v21, 1.0, v21
	v_ldexp_f32 v23, 1.0, v23
	v_cndmask_b32_e32 v9, v20, v18, vcc
	v_cndmask_b32_e64 v8, v19, v18, s[0:1]
	v_cmp_eq_f32_e64 s[2:3], s5, v11
	v_cmp_eq_f32_e64 s[4:5], s5, v10
	v_pk_fma_f32 v[6:7], v[14:15], v[6:7], 0.5 op_sel_hi:[1,1,0]
	v_pk_mul_f32 v[16:17], v[12:13], v[16:17]
	v_cndmask_b32_e64 v11, v23, v18, s[2:3]
	v_cndmask_b32_e64 v10, v21, v18, s[4:5]
	v_pk_add_f32 v[18:19], v[8:9], -1.0 op_sel_hi:[1,0]
	v_pk_mul_f32 v[6:7], v[14:15], v[6:7]
	v_pk_fma_f32 v[12:13], v[12:13], v[16:17], v[12:13]
	v_pk_add_f32 v[20:21], v[10:11], -1.0 op_sel_hi:[1,0]
	v_pk_fma_f32 v[6:7], v[14:15], v[6:7], v[14:15]
	v_pk_fma_f32 v[8:9], v[8:9], v[12:13], v[18:19]
	;; [unrolled: 1-line block ×3, first 2 shown]
	v_pk_add_f32 v[10:11], v[8:9], v[8:9]
	v_pk_add_f32 v[12:13], v[6:7], v[6:7]
	v_cndmask_b32_e32 v9, v9, v11, vcc
	v_cndmask_b32_e64 v8, v8, v10, s[0:1]
	v_cmp_nlt_f32_e32 vcc, s7, v2
	v_cndmask_b32_e64 v6, v6, v12, s[4:5]
	v_cndmask_b32_e64 v7, v7, v13, s[2:3]
	v_cndmask_b32_e32 v8, v22, v8, vcc
	v_cmp_nlt_f32_e32 vcc, s7, v3
	s_mov_b64 s[0:1], 0
	s_nop 0
	v_cndmask_b32_e32 v9, v22, v9, vcc
	v_cmp_nlt_f32_e32 vcc, s7, v4
	s_nop 1
	v_cndmask_b32_e32 v6, v22, v6, vcc
	v_cmp_nlt_f32_e32 vcc, s7, v5
	s_nop 1
	v_cndmask_b32_e32 v7, v22, v7, vcc
	v_cmp_ngt_f32_e32 vcc, s13, v3
	s_nop 1
	v_cndmask_b32_e32 v3, -1.0, v9, vcc
	v_cmp_ngt_f32_e32 vcc, s13, v2
	s_nop 1
	v_cndmask_b32_e32 v2, -1.0, v8, vcc
	;; [unrolled: 3-line block ×4, first 2 shown]
	global_store_dwordx4 v1, v[2:5], s[14:15]
.LBB115_2:
	s_andn2_b64 vcc, exec, s[0:1]
	s_cbranch_vccnz .LBB115_23
; %bb.3:
	v_cmp_gt_i32_e32 vcc, s12, v0
	v_mov_b32_e32 v8, 0
	v_or_b32_e32 v6, s6, v0
	v_mov_b32_e32 v9, 0
	v_mov_b32_e32 v2, v0
	s_and_saveexec_b64 s[0:1], vcc
	s_cbranch_execz .LBB115_5
; %bb.4:
	v_mov_b32_e32 v7, 0
	v_lshl_add_u64 v[2:3], v[6:7], 2, s[10:11]
	global_load_dword v9, v[2:3], off
	v_or_b32_e32 v2, 0x100, v0
.LBB115_5:
	s_or_b64 exec, exec, s[0:1]
	v_cmp_gt_i32_e64 s[0:1], s12, v2
	s_and_saveexec_b64 s[2:3], s[0:1]
	s_cbranch_execz .LBB115_7
; %bb.6:
	v_add_u32_e32 v4, s6, v2
	v_mov_b32_e32 v5, 0
	v_lshl_add_u64 v[4:5], v[4:5], 2, s[10:11]
	global_load_dword v8, v[4:5], off
	v_add_u32_e32 v2, 0x100, v2
.LBB115_7:
	s_or_b64 exec, exec, s[2:3]
	v_cmp_gt_i32_e64 s[0:1], s12, v2
	v_mov_b32_e32 v1, 0
	v_mov_b32_e32 v7, 0
	s_and_saveexec_b64 s[2:3], s[0:1]
	s_cbranch_execz .LBB115_9
; %bb.8:
	v_add_u32_e32 v4, s6, v2
	v_mov_b32_e32 v5, 0
	v_lshl_add_u64 v[4:5], v[4:5], 2, s[10:11]
	global_load_dword v7, v[4:5], off
	v_add_u32_e32 v2, 0x100, v2
.LBB115_9:
	s_or_b64 exec, exec, s[2:3]
	v_cmp_gt_i32_e64 s[0:1], s12, v2
	s_and_saveexec_b64 s[2:3], s[0:1]
	s_cbranch_execz .LBB115_11
; %bb.10:
	v_add_u32_e32 v2, s6, v2
	v_mov_b32_e32 v3, 0
	v_lshl_add_u64 v[2:3], v[2:3], 2, s[10:11]
	global_load_dword v1, v[2:3], off
.LBB115_11:
	s_or_b64 exec, exec, s[2:3]
	v_mov_b32_e32 v2, 0
	v_mov_b32_e32 v3, v2
	;; [unrolled: 1-line block ×4, first 2 shown]
	s_and_saveexec_b64 s[2:3], vcc
	s_cbranch_execz .LBB115_13
; %bb.12:
	s_waitcnt vmcnt(0)
	v_mul_f32_e32 v3, 0x3fb8aa3b, v9
	v_rndne_f32_e32 v3, v3
	v_fmamk_f32 v4, v3, 0xbf317218, v9
	v_fmamk_f32 v4, v3, 0x3102e308, v4
	v_mov_b32_e32 v5, 0x3ab69700
	v_fmac_f32_e32 v5, 0x395133b1, v4
	v_fmaak_f32 v5, v4, v5, 0x3c0887f9
	v_fmaak_f32 v5, v4, v5, 0x3d2aaa81
	v_cvt_i32_f32_e32 v10, v3
	v_fmaak_f32 v5, v4, v5, 0x3e2aaaab
	v_fma_f32 v5, v4, v5, 0.5
	v_mul_f32_e32 v5, v4, v5
	s_mov_b32 s0, 0x43000000
	v_fmac_f32_e32 v4, v4, v5
	v_ldexp_f32 v5, 1.0, v10
	v_mov_b32_e32 v10, 0x7f000000
	v_cmp_eq_f32_e64 s[0:1], s0, v3
	v_mov_b32_e32 v11, v2
	v_mov_b32_e32 v12, v2
	v_cndmask_b32_e64 v3, v5, v10, s[0:1]
	v_add_f32_e32 v5, -1.0, v3
	v_fmac_f32_e32 v5, v3, v4
	v_add_f32_e32 v3, v5, v5
	v_cndmask_b32_e64 v3, v5, v3, s[0:1]
	s_mov_b32 s0, 0x42b17217
	v_mov_b32_e32 v4, 0x7f800000
	v_cmp_nlt_f32_e64 s[0:1], s0, v9
	v_mov_b32_e32 v13, v2
	s_nop 0
	v_cndmask_b32_e64 v3, v4, v3, s[0:1]
	s_mov_b32 s0, 0xc1880000
	v_cmp_ngt_f32_e64 s[0:1], s0, v9
	s_nop 1
	v_cndmask_b32_e64 v10, -1.0, v3, s[0:1]
	v_mov_b64_e32 v[2:3], v[10:11]
	v_mov_b64_e32 v[4:5], v[12:13]
.LBB115_13:
	s_or_b64 exec, exec, s[2:3]
	s_waitcnt vmcnt(0)
	v_or_b32_e32 v9, 0x100, v0
	v_cmp_gt_i32_e64 s[0:1], s12, v9
	s_and_saveexec_b64 s[2:3], s[0:1]
	s_cbranch_execz .LBB115_15
; %bb.14:
	v_mul_f32_e32 v3, 0x3fb8aa3b, v8
	v_rndne_f32_e32 v3, v3
	v_fmamk_f32 v10, v3, 0xbf317218, v8
	v_fmamk_f32 v10, v3, 0x3102e308, v10
	v_mov_b32_e32 v11, 0x3ab69700
	v_fmac_f32_e32 v11, 0x395133b1, v10
	v_fmaak_f32 v11, v10, v11, 0x3c0887f9
	v_fmaak_f32 v11, v10, v11, 0x3d2aaa81
	v_cvt_i32_f32_e32 v12, v3
	v_fmaak_f32 v11, v10, v11, 0x3e2aaaab
	v_fma_f32 v11, v10, v11, 0.5
	v_mul_f32_e32 v11, v10, v11
	s_mov_b32 s0, 0x43000000
	v_fmac_f32_e32 v10, v10, v11
	v_ldexp_f32 v11, 1.0, v12
	v_mov_b32_e32 v12, 0x7f000000
	v_cmp_eq_f32_e64 s[0:1], s0, v3
	s_nop 1
	v_cndmask_b32_e64 v3, v11, v12, s[0:1]
	v_add_f32_e32 v11, -1.0, v3
	v_fmac_f32_e32 v11, v3, v10
	v_add_f32_e32 v3, v11, v11
	v_cndmask_b32_e64 v3, v11, v3, s[0:1]
	s_mov_b32 s0, 0x42b17217
	v_mov_b32_e32 v10, 0x7f800000
	v_cmp_nlt_f32_e64 s[0:1], s0, v8
	s_nop 1
	v_cndmask_b32_e64 v3, v10, v3, s[0:1]
	s_mov_b32 s0, 0xc1880000
	v_cmp_ngt_f32_e64 s[0:1], s0, v8
	s_nop 1
	v_cndmask_b32_e64 v3, -1.0, v3, s[0:1]
.LBB115_15:
	s_or_b64 exec, exec, s[2:3]
	v_or_b32_e32 v8, 0x200, v0
	v_cmp_gt_i32_e64 s[0:1], s12, v8
	s_and_saveexec_b64 s[2:3], s[0:1]
	s_cbranch_execz .LBB115_17
; %bb.16:
	v_mul_f32_e32 v4, 0x3fb8aa3b, v7
	v_rndne_f32_e32 v4, v4
	v_fmamk_f32 v8, v4, 0xbf317218, v7
	v_fmamk_f32 v8, v4, 0x3102e308, v8
	v_mov_b32_e32 v10, 0x3ab69700
	v_fmac_f32_e32 v10, 0x395133b1, v8
	v_fmaak_f32 v10, v8, v10, 0x3c0887f9
	v_fmaak_f32 v10, v8, v10, 0x3d2aaa81
	v_cvt_i32_f32_e32 v11, v4
	v_fmaak_f32 v10, v8, v10, 0x3e2aaaab
	v_fma_f32 v10, v8, v10, 0.5
	v_mul_f32_e32 v10, v8, v10
	s_mov_b32 s0, 0x43000000
	v_fmac_f32_e32 v8, v8, v10
	v_ldexp_f32 v10, 1.0, v11
	v_mov_b32_e32 v11, 0x7f000000
	v_cmp_eq_f32_e64 s[0:1], s0, v4
	s_nop 1
	v_cndmask_b32_e64 v4, v10, v11, s[0:1]
	v_add_f32_e32 v10, -1.0, v4
	v_fmac_f32_e32 v10, v4, v8
	v_add_f32_e32 v4, v10, v10
	v_cndmask_b32_e64 v4, v10, v4, s[0:1]
	s_mov_b32 s0, 0x42b17217
	v_mov_b32_e32 v8, 0x7f800000
	v_cmp_nlt_f32_e64 s[0:1], s0, v7
	s_nop 1
	v_cndmask_b32_e64 v4, v8, v4, s[0:1]
	s_mov_b32 s0, 0xc1880000
	v_cmp_ngt_f32_e64 s[0:1], s0, v7
	s_nop 1
	v_cndmask_b32_e64 v4, -1.0, v4, s[0:1]
.LBB115_17:
	s_or_b64 exec, exec, s[2:3]
	v_or_b32_e32 v7, 0x300, v0
	v_cmp_gt_i32_e64 s[0:1], s12, v7
	s_and_saveexec_b64 s[2:3], s[0:1]
	s_cbranch_execnz .LBB115_24
; %bb.18:
	s_or_b64 exec, exec, s[2:3]
	s_and_saveexec_b64 s[0:1], vcc
	s_xor_b64 s[0:1], exec, s[0:1]
	s_cbranch_execnz .LBB115_25
.LBB115_19:
	s_or_b64 exec, exec, s[0:1]
	v_cmp_gt_i32_e32 vcc, s12, v0
	s_and_saveexec_b64 s[0:1], vcc
	s_cbranch_execnz .LBB115_26
.LBB115_20:
	s_or_b64 exec, exec, s[0:1]
	v_cmp_gt_i32_e32 vcc, s12, v0
	s_and_saveexec_b64 s[0:1], vcc
	s_cbranch_execnz .LBB115_27
.LBB115_21:
	s_or_b64 exec, exec, s[0:1]
	v_cmp_gt_i32_e32 vcc, s12, v0
	s_and_saveexec_b64 s[0:1], vcc
	s_cbranch_execz .LBB115_23
.LBB115_22:
	v_add_u32_e32 v0, s6, v0
	v_mov_b32_e32 v1, 0
	v_lshl_add_u64 v[0:1], v[0:1], 2, s[8:9]
	global_store_dword v[0:1], v5, off
.LBB115_23:
	s_endpgm
.LBB115_24:
	v_mul_f32_e32 v5, 0x3fb8aa3b, v1
	v_rndne_f32_e32 v5, v5
	v_fmamk_f32 v7, v5, 0xbf317218, v1
	v_fmamk_f32 v7, v5, 0x3102e308, v7
	v_mov_b32_e32 v8, 0x3ab69700
	v_fmac_f32_e32 v8, 0x395133b1, v7
	v_fmaak_f32 v8, v7, v8, 0x3c0887f9
	v_fmaak_f32 v8, v7, v8, 0x3d2aaa81
	v_cvt_i32_f32_e32 v10, v5
	v_fmaak_f32 v8, v7, v8, 0x3e2aaaab
	v_fma_f32 v8, v7, v8, 0.5
	v_mul_f32_e32 v8, v7, v8
	s_mov_b32 s0, 0x43000000
	v_fmac_f32_e32 v7, v7, v8
	v_ldexp_f32 v8, 1.0, v10
	v_mov_b32_e32 v10, 0x7f000000
	v_cmp_eq_f32_e64 s[0:1], s0, v5
	s_nop 1
	v_cndmask_b32_e64 v5, v8, v10, s[0:1]
	v_add_f32_e32 v8, -1.0, v5
	v_fmac_f32_e32 v8, v5, v7
	v_add_f32_e32 v5, v8, v8
	v_cndmask_b32_e64 v5, v8, v5, s[0:1]
	s_mov_b32 s0, 0x42b17217
	v_mov_b32_e32 v7, 0x7f800000
	v_cmp_nlt_f32_e64 s[0:1], s0, v1
	s_nop 1
	v_cndmask_b32_e64 v5, v7, v5, s[0:1]
	s_mov_b32 s0, 0xc1880000
	v_cmp_ngt_f32_e64 s[0:1], s0, v1
	s_nop 1
	v_cndmask_b32_e64 v5, -1.0, v5, s[0:1]
	s_or_b64 exec, exec, s[2:3]
	s_and_saveexec_b64 s[0:1], vcc
	s_xor_b64 s[0:1], exec, s[0:1]
	s_cbranch_execz .LBB115_19
.LBB115_25:
	v_mov_b32_e32 v7, 0
	v_lshl_add_u64 v[0:1], v[6:7], 2, s[8:9]
	global_store_dword v[0:1], v2, off
	v_mov_b32_e32 v0, v9
	s_or_b64 exec, exec, s[0:1]
	v_cmp_gt_i32_e32 vcc, s12, v0
	s_and_saveexec_b64 s[0:1], vcc
	s_cbranch_execz .LBB115_20
.LBB115_26:
	v_add_u32_e32 v6, s6, v0
	v_mov_b32_e32 v7, 0
	v_lshl_add_u64 v[6:7], v[6:7], 2, s[8:9]
	v_add_u32_e32 v0, 0x100, v0
	global_store_dword v[6:7], v3, off
	s_or_b64 exec, exec, s[0:1]
	v_cmp_gt_i32_e32 vcc, s12, v0
	s_and_saveexec_b64 s[0:1], vcc
	s_cbranch_execz .LBB115_21
.LBB115_27:
	v_add_u32_e32 v2, s6, v0
	v_mov_b32_e32 v3, 0
	v_lshl_add_u64 v[2:3], v[2:3], 2, s[8:9]
	v_add_u32_e32 v0, 0x100, v0
	global_store_dword v[2:3], v4, off
	s_or_b64 exec, exec, s[0:1]
	v_cmp_gt_i32_e32 vcc, s12, v0
	s_and_saveexec_b64 s[0:1], vcc
	s_cbranch_execnz .LBB115_22
	s_branch .LBB115_23
	.section	.rodata,"a",@progbits
	.p2align	6, 0x0
	.amdhsa_kernel _ZN2at6native29vectorized_elementwise_kernelILi8EZZZNS0_17expm1_kernel_cudaERNS_18TensorIteratorBaseEENKUlvE_clEvENKUlvE0_clEvEUlfE_St5arrayIPcLm2EEEEviT0_T1_
		.amdhsa_group_segment_fixed_size 0
		.amdhsa_private_segment_fixed_size 0
		.amdhsa_kernarg_size 24
		.amdhsa_user_sgpr_count 2
		.amdhsa_user_sgpr_dispatch_ptr 0
		.amdhsa_user_sgpr_queue_ptr 0
		.amdhsa_user_sgpr_kernarg_segment_ptr 1
		.amdhsa_user_sgpr_dispatch_id 0
		.amdhsa_user_sgpr_kernarg_preload_length 0
		.amdhsa_user_sgpr_kernarg_preload_offset 0
		.amdhsa_user_sgpr_private_segment_size 0
		.amdhsa_uses_dynamic_stack 0
		.amdhsa_enable_private_segment 0
		.amdhsa_system_sgpr_workgroup_id_x 1
		.amdhsa_system_sgpr_workgroup_id_y 0
		.amdhsa_system_sgpr_workgroup_id_z 0
		.amdhsa_system_sgpr_workgroup_info 0
		.amdhsa_system_vgpr_workitem_id 0
		.amdhsa_next_free_vgpr 24
		.amdhsa_next_free_sgpr 24
		.amdhsa_accum_offset 24
		.amdhsa_reserve_vcc 1
		.amdhsa_float_round_mode_32 0
		.amdhsa_float_round_mode_16_64 0
		.amdhsa_float_denorm_mode_32 3
		.amdhsa_float_denorm_mode_16_64 3
		.amdhsa_dx10_clamp 1
		.amdhsa_ieee_mode 1
		.amdhsa_fp16_overflow 0
		.amdhsa_tg_split 0
		.amdhsa_exception_fp_ieee_invalid_op 0
		.amdhsa_exception_fp_denorm_src 0
		.amdhsa_exception_fp_ieee_div_zero 0
		.amdhsa_exception_fp_ieee_overflow 0
		.amdhsa_exception_fp_ieee_underflow 0
		.amdhsa_exception_fp_ieee_inexact 0
		.amdhsa_exception_int_div_zero 0
	.end_amdhsa_kernel
	.section	.text._ZN2at6native29vectorized_elementwise_kernelILi8EZZZNS0_17expm1_kernel_cudaERNS_18TensorIteratorBaseEENKUlvE_clEvENKUlvE0_clEvEUlfE_St5arrayIPcLm2EEEEviT0_T1_,"axG",@progbits,_ZN2at6native29vectorized_elementwise_kernelILi8EZZZNS0_17expm1_kernel_cudaERNS_18TensorIteratorBaseEENKUlvE_clEvENKUlvE0_clEvEUlfE_St5arrayIPcLm2EEEEviT0_T1_,comdat
.Lfunc_end115:
	.size	_ZN2at6native29vectorized_elementwise_kernelILi8EZZZNS0_17expm1_kernel_cudaERNS_18TensorIteratorBaseEENKUlvE_clEvENKUlvE0_clEvEUlfE_St5arrayIPcLm2EEEEviT0_T1_, .Lfunc_end115-_ZN2at6native29vectorized_elementwise_kernelILi8EZZZNS0_17expm1_kernel_cudaERNS_18TensorIteratorBaseEENKUlvE_clEvENKUlvE0_clEvEUlfE_St5arrayIPcLm2EEEEviT0_T1_
                                        ; -- End function
	.set _ZN2at6native29vectorized_elementwise_kernelILi8EZZZNS0_17expm1_kernel_cudaERNS_18TensorIteratorBaseEENKUlvE_clEvENKUlvE0_clEvEUlfE_St5arrayIPcLm2EEEEviT0_T1_.num_vgpr, 24
	.set _ZN2at6native29vectorized_elementwise_kernelILi8EZZZNS0_17expm1_kernel_cudaERNS_18TensorIteratorBaseEENKUlvE_clEvENKUlvE0_clEvEUlfE_St5arrayIPcLm2EEEEviT0_T1_.num_agpr, 0
	.set _ZN2at6native29vectorized_elementwise_kernelILi8EZZZNS0_17expm1_kernel_cudaERNS_18TensorIteratorBaseEENKUlvE_clEvENKUlvE0_clEvEUlfE_St5arrayIPcLm2EEEEviT0_T1_.numbered_sgpr, 24
	.set _ZN2at6native29vectorized_elementwise_kernelILi8EZZZNS0_17expm1_kernel_cudaERNS_18TensorIteratorBaseEENKUlvE_clEvENKUlvE0_clEvEUlfE_St5arrayIPcLm2EEEEviT0_T1_.num_named_barrier, 0
	.set _ZN2at6native29vectorized_elementwise_kernelILi8EZZZNS0_17expm1_kernel_cudaERNS_18TensorIteratorBaseEENKUlvE_clEvENKUlvE0_clEvEUlfE_St5arrayIPcLm2EEEEviT0_T1_.private_seg_size, 0
	.set _ZN2at6native29vectorized_elementwise_kernelILi8EZZZNS0_17expm1_kernel_cudaERNS_18TensorIteratorBaseEENKUlvE_clEvENKUlvE0_clEvEUlfE_St5arrayIPcLm2EEEEviT0_T1_.uses_vcc, 1
	.set _ZN2at6native29vectorized_elementwise_kernelILi8EZZZNS0_17expm1_kernel_cudaERNS_18TensorIteratorBaseEENKUlvE_clEvENKUlvE0_clEvEUlfE_St5arrayIPcLm2EEEEviT0_T1_.uses_flat_scratch, 0
	.set _ZN2at6native29vectorized_elementwise_kernelILi8EZZZNS0_17expm1_kernel_cudaERNS_18TensorIteratorBaseEENKUlvE_clEvENKUlvE0_clEvEUlfE_St5arrayIPcLm2EEEEviT0_T1_.has_dyn_sized_stack, 0
	.set _ZN2at6native29vectorized_elementwise_kernelILi8EZZZNS0_17expm1_kernel_cudaERNS_18TensorIteratorBaseEENKUlvE_clEvENKUlvE0_clEvEUlfE_St5arrayIPcLm2EEEEviT0_T1_.has_recursion, 0
	.set _ZN2at6native29vectorized_elementwise_kernelILi8EZZZNS0_17expm1_kernel_cudaERNS_18TensorIteratorBaseEENKUlvE_clEvENKUlvE0_clEvEUlfE_St5arrayIPcLm2EEEEviT0_T1_.has_indirect_call, 0
	.section	.AMDGPU.csdata,"",@progbits
; Kernel info:
; codeLenInByte = 2124
; TotalNumSgprs: 30
; NumVgprs: 24
; NumAgprs: 0
; TotalNumVgprs: 24
; ScratchSize: 0
; MemoryBound: 0
; FloatMode: 240
; IeeeMode: 1
; LDSByteSize: 0 bytes/workgroup (compile time only)
; SGPRBlocks: 3
; VGPRBlocks: 2
; NumSGPRsForWavesPerEU: 30
; NumVGPRsForWavesPerEU: 24
; AccumOffset: 24
; Occupancy: 8
; WaveLimiterHint : 0
; COMPUTE_PGM_RSRC2:SCRATCH_EN: 0
; COMPUTE_PGM_RSRC2:USER_SGPR: 2
; COMPUTE_PGM_RSRC2:TRAP_HANDLER: 0
; COMPUTE_PGM_RSRC2:TGID_X_EN: 1
; COMPUTE_PGM_RSRC2:TGID_Y_EN: 0
; COMPUTE_PGM_RSRC2:TGID_Z_EN: 0
; COMPUTE_PGM_RSRC2:TIDIG_COMP_CNT: 0
; COMPUTE_PGM_RSRC3_GFX90A:ACCUM_OFFSET: 5
; COMPUTE_PGM_RSRC3_GFX90A:TG_SPLIT: 0
	.section	.text._ZN2at6native29vectorized_elementwise_kernelILi4EZZZNS0_17expm1_kernel_cudaERNS_18TensorIteratorBaseEENKUlvE_clEvENKUlvE0_clEvEUlfE_St5arrayIPcLm2EEEEviT0_T1_,"axG",@progbits,_ZN2at6native29vectorized_elementwise_kernelILi4EZZZNS0_17expm1_kernel_cudaERNS_18TensorIteratorBaseEENKUlvE_clEvENKUlvE0_clEvEUlfE_St5arrayIPcLm2EEEEviT0_T1_,comdat
	.globl	_ZN2at6native29vectorized_elementwise_kernelILi4EZZZNS0_17expm1_kernel_cudaERNS_18TensorIteratorBaseEENKUlvE_clEvENKUlvE0_clEvEUlfE_St5arrayIPcLm2EEEEviT0_T1_ ; -- Begin function _ZN2at6native29vectorized_elementwise_kernelILi4EZZZNS0_17expm1_kernel_cudaERNS_18TensorIteratorBaseEENKUlvE_clEvENKUlvE0_clEvEUlfE_St5arrayIPcLm2EEEEviT0_T1_
	.p2align	8
	.type	_ZN2at6native29vectorized_elementwise_kernelILi4EZZZNS0_17expm1_kernel_cudaERNS_18TensorIteratorBaseEENKUlvE_clEvENKUlvE0_clEvEUlfE_St5arrayIPcLm2EEEEviT0_T1_,@function
_ZN2at6native29vectorized_elementwise_kernelILi4EZZZNS0_17expm1_kernel_cudaERNS_18TensorIteratorBaseEENKUlvE_clEvENKUlvE0_clEvEUlfE_St5arrayIPcLm2EEEEviT0_T1_: ; @_ZN2at6native29vectorized_elementwise_kernelILi4EZZZNS0_17expm1_kernel_cudaERNS_18TensorIteratorBaseEENKUlvE_clEvENKUlvE0_clEvEUlfE_St5arrayIPcLm2EEEEviT0_T1_
; %bb.0:
	s_load_dword s3, s[0:1], 0x0
	s_load_dwordx4 s[8:11], s[0:1], 0x8
	s_lshl_b32 s6, s2, 10
	s_mov_b64 s[0:1], -1
	s_waitcnt lgkmcnt(0)
	s_sub_i32 s12, s3, s6
	s_cmpk_gt_i32 s12, 0x3ff
	s_cbranch_scc0 .LBB116_2
; %bb.1:
	s_ashr_i32 s7, s6, 31
	s_lshl_b64 s[0:1], s[6:7], 2
	s_add_u32 s2, s10, s0
	s_addc_u32 s3, s11, s1
	v_lshlrev_b32_e32 v1, 4, v0
	global_load_dwordx4 v[2:5], v1, s[2:3]
	s_mov_b32 s2, 0x3f317218
	s_mov_b32 s4, 0xb102e308
	;; [unrolled: 1-line block ×5, first 2 shown]
	v_mov_b64_e32 v[6:7], s[14:15]
	s_mov_b32 s18, 0x3c0887f9
	s_mov_b32 s20, 0x3d2aaa81
	;; [unrolled: 1-line block ×3, first 2 shown]
	s_add_u32 s14, s8, s0
	v_mov_b32_e32 v18, 0x7f000000
	s_addc_u32 s15, s9, s1
	s_mov_b32 s7, 0x42b17217
	v_mov_b32_e32 v22, 0x7f800000
	s_mov_b32 s13, 0xc1880000
	s_waitcnt vmcnt(0)
	v_mul_f32_e32 v8, 0x3fb8aa3b, v2
	v_mul_f32_e32 v9, 0x3fb8aa3b, v3
	;; [unrolled: 1-line block ×4, first 2 shown]
	v_rndne_f32_e32 v8, v8
	v_rndne_f32_e32 v9, v9
	;; [unrolled: 1-line block ×4, first 2 shown]
	v_pk_fma_f32 v[12:13], v[8:9], s[2:3], v[2:3] op_sel_hi:[1,0,1] neg_lo:[1,0,0] neg_hi:[1,0,0]
	v_pk_fma_f32 v[14:15], v[10:11], s[2:3], v[4:5] op_sel_hi:[1,0,1] neg_lo:[1,0,0] neg_hi:[1,0,0]
	;; [unrolled: 1-line block ×3, first 2 shown]
	v_cvt_i32_f32_e32 v19, v8
	v_cvt_i32_f32_e32 v20, v9
	v_pk_fma_f32 v[14:15], v[10:11], s[4:5], v[14:15] op_sel_hi:[1,0,1] neg_lo:[1,0,0] neg_hi:[1,0,0]
	v_pk_fma_f32 v[16:17], v[12:13], s[16:17], v[6:7] op_sel_hi:[1,0,0]
	v_cvt_i32_f32_e32 v21, v10
	v_cvt_i32_f32_e32 v23, v11
	v_pk_fma_f32 v[6:7], v[14:15], s[16:17], v[6:7] op_sel_hi:[1,0,0]
	v_pk_fma_f32 v[16:17], v[12:13], v[16:17], s[18:19] op_sel_hi:[1,1,0]
	v_pk_fma_f32 v[6:7], v[14:15], v[6:7], s[18:19] op_sel_hi:[1,1,0]
	v_pk_fma_f32 v[16:17], v[12:13], v[16:17], s[20:21] op_sel_hi:[1,1,0]
	v_pk_fma_f32 v[6:7], v[14:15], v[6:7], s[20:21] op_sel_hi:[1,1,0]
	v_pk_fma_f32 v[16:17], v[12:13], v[16:17], s[22:23] op_sel_hi:[1,1,0]
	v_ldexp_f32 v19, 1.0, v19
	v_ldexp_f32 v20, 1.0, v20
	v_cmp_eq_f32_e32 vcc, s5, v9
	v_cmp_eq_f32_e64 s[0:1], s5, v8
	v_pk_fma_f32 v[6:7], v[14:15], v[6:7], s[22:23] op_sel_hi:[1,1,0]
	v_pk_fma_f32 v[16:17], v[12:13], v[16:17], 0.5 op_sel_hi:[1,1,0]
	v_ldexp_f32 v21, 1.0, v21
	v_ldexp_f32 v23, 1.0, v23
	v_cndmask_b32_e32 v9, v20, v18, vcc
	v_cndmask_b32_e64 v8, v19, v18, s[0:1]
	v_cmp_eq_f32_e64 s[2:3], s5, v11
	v_cmp_eq_f32_e64 s[4:5], s5, v10
	v_pk_fma_f32 v[6:7], v[14:15], v[6:7], 0.5 op_sel_hi:[1,1,0]
	v_pk_mul_f32 v[16:17], v[12:13], v[16:17]
	v_cndmask_b32_e64 v11, v23, v18, s[2:3]
	v_cndmask_b32_e64 v10, v21, v18, s[4:5]
	v_pk_add_f32 v[18:19], v[8:9], -1.0 op_sel_hi:[1,0]
	v_pk_mul_f32 v[6:7], v[14:15], v[6:7]
	v_pk_fma_f32 v[12:13], v[12:13], v[16:17], v[12:13]
	v_pk_add_f32 v[20:21], v[10:11], -1.0 op_sel_hi:[1,0]
	v_pk_fma_f32 v[6:7], v[14:15], v[6:7], v[14:15]
	v_pk_fma_f32 v[8:9], v[8:9], v[12:13], v[18:19]
	;; [unrolled: 1-line block ×3, first 2 shown]
	v_pk_add_f32 v[10:11], v[8:9], v[8:9]
	v_pk_add_f32 v[12:13], v[6:7], v[6:7]
	v_cndmask_b32_e32 v9, v9, v11, vcc
	v_cndmask_b32_e64 v8, v8, v10, s[0:1]
	v_cmp_nlt_f32_e32 vcc, s7, v2
	v_cndmask_b32_e64 v6, v6, v12, s[4:5]
	v_cndmask_b32_e64 v7, v7, v13, s[2:3]
	v_cndmask_b32_e32 v8, v22, v8, vcc
	v_cmp_nlt_f32_e32 vcc, s7, v3
	s_mov_b64 s[0:1], 0
	s_nop 0
	v_cndmask_b32_e32 v9, v22, v9, vcc
	v_cmp_nlt_f32_e32 vcc, s7, v4
	s_nop 1
	v_cndmask_b32_e32 v6, v22, v6, vcc
	v_cmp_nlt_f32_e32 vcc, s7, v5
	s_nop 1
	v_cndmask_b32_e32 v7, v22, v7, vcc
	v_cmp_ngt_f32_e32 vcc, s13, v3
	s_nop 1
	v_cndmask_b32_e32 v3, -1.0, v9, vcc
	v_cmp_ngt_f32_e32 vcc, s13, v2
	s_nop 1
	v_cndmask_b32_e32 v2, -1.0, v8, vcc
	;; [unrolled: 3-line block ×4, first 2 shown]
	global_store_dwordx4 v1, v[2:5], s[14:15]
.LBB116_2:
	s_andn2_b64 vcc, exec, s[0:1]
	s_cbranch_vccnz .LBB116_23
; %bb.3:
	v_cmp_gt_i32_e32 vcc, s12, v0
	v_mov_b32_e32 v8, 0
	v_or_b32_e32 v6, s6, v0
	v_mov_b32_e32 v9, 0
	v_mov_b32_e32 v2, v0
	s_and_saveexec_b64 s[0:1], vcc
	s_cbranch_execz .LBB116_5
; %bb.4:
	v_mov_b32_e32 v7, 0
	v_lshl_add_u64 v[2:3], v[6:7], 2, s[10:11]
	global_load_dword v9, v[2:3], off
	v_or_b32_e32 v2, 0x100, v0
.LBB116_5:
	s_or_b64 exec, exec, s[0:1]
	v_cmp_gt_i32_e64 s[0:1], s12, v2
	s_and_saveexec_b64 s[2:3], s[0:1]
	s_cbranch_execz .LBB116_7
; %bb.6:
	v_add_u32_e32 v4, s6, v2
	v_mov_b32_e32 v5, 0
	v_lshl_add_u64 v[4:5], v[4:5], 2, s[10:11]
	global_load_dword v8, v[4:5], off
	v_add_u32_e32 v2, 0x100, v2
.LBB116_7:
	s_or_b64 exec, exec, s[2:3]
	v_cmp_gt_i32_e64 s[0:1], s12, v2
	v_mov_b32_e32 v1, 0
	v_mov_b32_e32 v7, 0
	s_and_saveexec_b64 s[2:3], s[0:1]
	s_cbranch_execz .LBB116_9
; %bb.8:
	v_add_u32_e32 v4, s6, v2
	v_mov_b32_e32 v5, 0
	v_lshl_add_u64 v[4:5], v[4:5], 2, s[10:11]
	global_load_dword v7, v[4:5], off
	v_add_u32_e32 v2, 0x100, v2
.LBB116_9:
	s_or_b64 exec, exec, s[2:3]
	v_cmp_gt_i32_e64 s[0:1], s12, v2
	s_and_saveexec_b64 s[2:3], s[0:1]
	s_cbranch_execz .LBB116_11
; %bb.10:
	v_add_u32_e32 v2, s6, v2
	v_mov_b32_e32 v3, 0
	v_lshl_add_u64 v[2:3], v[2:3], 2, s[10:11]
	global_load_dword v1, v[2:3], off
.LBB116_11:
	s_or_b64 exec, exec, s[2:3]
	v_mov_b32_e32 v2, 0
	v_mov_b32_e32 v3, v2
	;; [unrolled: 1-line block ×4, first 2 shown]
	s_and_saveexec_b64 s[2:3], vcc
	s_cbranch_execz .LBB116_13
; %bb.12:
	s_waitcnt vmcnt(0)
	v_mul_f32_e32 v3, 0x3fb8aa3b, v9
	v_rndne_f32_e32 v3, v3
	v_fmamk_f32 v4, v3, 0xbf317218, v9
	v_fmamk_f32 v4, v3, 0x3102e308, v4
	v_mov_b32_e32 v5, 0x3ab69700
	v_fmac_f32_e32 v5, 0x395133b1, v4
	v_fmaak_f32 v5, v4, v5, 0x3c0887f9
	v_fmaak_f32 v5, v4, v5, 0x3d2aaa81
	v_cvt_i32_f32_e32 v10, v3
	v_fmaak_f32 v5, v4, v5, 0x3e2aaaab
	v_fma_f32 v5, v4, v5, 0.5
	v_mul_f32_e32 v5, v4, v5
	s_mov_b32 s0, 0x43000000
	v_fmac_f32_e32 v4, v4, v5
	v_ldexp_f32 v5, 1.0, v10
	v_mov_b32_e32 v10, 0x7f000000
	v_cmp_eq_f32_e64 s[0:1], s0, v3
	v_mov_b32_e32 v11, v2
	v_mov_b32_e32 v12, v2
	v_cndmask_b32_e64 v3, v5, v10, s[0:1]
	v_add_f32_e32 v5, -1.0, v3
	v_fmac_f32_e32 v5, v3, v4
	v_add_f32_e32 v3, v5, v5
	v_cndmask_b32_e64 v3, v5, v3, s[0:1]
	s_mov_b32 s0, 0x42b17217
	v_mov_b32_e32 v4, 0x7f800000
	v_cmp_nlt_f32_e64 s[0:1], s0, v9
	v_mov_b32_e32 v13, v2
	s_nop 0
	v_cndmask_b32_e64 v3, v4, v3, s[0:1]
	s_mov_b32 s0, 0xc1880000
	v_cmp_ngt_f32_e64 s[0:1], s0, v9
	s_nop 1
	v_cndmask_b32_e64 v10, -1.0, v3, s[0:1]
	v_mov_b64_e32 v[2:3], v[10:11]
	v_mov_b64_e32 v[4:5], v[12:13]
.LBB116_13:
	s_or_b64 exec, exec, s[2:3]
	s_waitcnt vmcnt(0)
	v_or_b32_e32 v9, 0x100, v0
	v_cmp_gt_i32_e64 s[0:1], s12, v9
	s_and_saveexec_b64 s[2:3], s[0:1]
	s_cbranch_execz .LBB116_15
; %bb.14:
	v_mul_f32_e32 v3, 0x3fb8aa3b, v8
	v_rndne_f32_e32 v3, v3
	v_fmamk_f32 v10, v3, 0xbf317218, v8
	v_fmamk_f32 v10, v3, 0x3102e308, v10
	v_mov_b32_e32 v11, 0x3ab69700
	v_fmac_f32_e32 v11, 0x395133b1, v10
	v_fmaak_f32 v11, v10, v11, 0x3c0887f9
	v_fmaak_f32 v11, v10, v11, 0x3d2aaa81
	v_cvt_i32_f32_e32 v12, v3
	v_fmaak_f32 v11, v10, v11, 0x3e2aaaab
	v_fma_f32 v11, v10, v11, 0.5
	v_mul_f32_e32 v11, v10, v11
	s_mov_b32 s0, 0x43000000
	v_fmac_f32_e32 v10, v10, v11
	v_ldexp_f32 v11, 1.0, v12
	v_mov_b32_e32 v12, 0x7f000000
	v_cmp_eq_f32_e64 s[0:1], s0, v3
	s_nop 1
	v_cndmask_b32_e64 v3, v11, v12, s[0:1]
	v_add_f32_e32 v11, -1.0, v3
	v_fmac_f32_e32 v11, v3, v10
	v_add_f32_e32 v3, v11, v11
	v_cndmask_b32_e64 v3, v11, v3, s[0:1]
	s_mov_b32 s0, 0x42b17217
	v_mov_b32_e32 v10, 0x7f800000
	v_cmp_nlt_f32_e64 s[0:1], s0, v8
	s_nop 1
	v_cndmask_b32_e64 v3, v10, v3, s[0:1]
	s_mov_b32 s0, 0xc1880000
	v_cmp_ngt_f32_e64 s[0:1], s0, v8
	s_nop 1
	v_cndmask_b32_e64 v3, -1.0, v3, s[0:1]
.LBB116_15:
	s_or_b64 exec, exec, s[2:3]
	v_or_b32_e32 v8, 0x200, v0
	v_cmp_gt_i32_e64 s[0:1], s12, v8
	s_and_saveexec_b64 s[2:3], s[0:1]
	s_cbranch_execz .LBB116_17
; %bb.16:
	v_mul_f32_e32 v4, 0x3fb8aa3b, v7
	v_rndne_f32_e32 v4, v4
	v_fmamk_f32 v8, v4, 0xbf317218, v7
	v_fmamk_f32 v8, v4, 0x3102e308, v8
	v_mov_b32_e32 v10, 0x3ab69700
	v_fmac_f32_e32 v10, 0x395133b1, v8
	v_fmaak_f32 v10, v8, v10, 0x3c0887f9
	v_fmaak_f32 v10, v8, v10, 0x3d2aaa81
	v_cvt_i32_f32_e32 v11, v4
	v_fmaak_f32 v10, v8, v10, 0x3e2aaaab
	v_fma_f32 v10, v8, v10, 0.5
	v_mul_f32_e32 v10, v8, v10
	s_mov_b32 s0, 0x43000000
	v_fmac_f32_e32 v8, v8, v10
	v_ldexp_f32 v10, 1.0, v11
	v_mov_b32_e32 v11, 0x7f000000
	v_cmp_eq_f32_e64 s[0:1], s0, v4
	s_nop 1
	v_cndmask_b32_e64 v4, v10, v11, s[0:1]
	v_add_f32_e32 v10, -1.0, v4
	v_fmac_f32_e32 v10, v4, v8
	v_add_f32_e32 v4, v10, v10
	v_cndmask_b32_e64 v4, v10, v4, s[0:1]
	s_mov_b32 s0, 0x42b17217
	v_mov_b32_e32 v8, 0x7f800000
	v_cmp_nlt_f32_e64 s[0:1], s0, v7
	s_nop 1
	v_cndmask_b32_e64 v4, v8, v4, s[0:1]
	s_mov_b32 s0, 0xc1880000
	v_cmp_ngt_f32_e64 s[0:1], s0, v7
	s_nop 1
	v_cndmask_b32_e64 v4, -1.0, v4, s[0:1]
.LBB116_17:
	s_or_b64 exec, exec, s[2:3]
	v_or_b32_e32 v7, 0x300, v0
	v_cmp_gt_i32_e64 s[0:1], s12, v7
	s_and_saveexec_b64 s[2:3], s[0:1]
	s_cbranch_execnz .LBB116_24
; %bb.18:
	s_or_b64 exec, exec, s[2:3]
	s_and_saveexec_b64 s[0:1], vcc
	s_xor_b64 s[0:1], exec, s[0:1]
	s_cbranch_execnz .LBB116_25
.LBB116_19:
	s_or_b64 exec, exec, s[0:1]
	v_cmp_gt_i32_e32 vcc, s12, v0
	s_and_saveexec_b64 s[0:1], vcc
	s_cbranch_execnz .LBB116_26
.LBB116_20:
	s_or_b64 exec, exec, s[0:1]
	v_cmp_gt_i32_e32 vcc, s12, v0
	s_and_saveexec_b64 s[0:1], vcc
	s_cbranch_execnz .LBB116_27
.LBB116_21:
	s_or_b64 exec, exec, s[0:1]
	v_cmp_gt_i32_e32 vcc, s12, v0
	s_and_saveexec_b64 s[0:1], vcc
	s_cbranch_execz .LBB116_23
.LBB116_22:
	v_add_u32_e32 v0, s6, v0
	v_mov_b32_e32 v1, 0
	v_lshl_add_u64 v[0:1], v[0:1], 2, s[8:9]
	global_store_dword v[0:1], v5, off
.LBB116_23:
	s_endpgm
.LBB116_24:
	v_mul_f32_e32 v5, 0x3fb8aa3b, v1
	v_rndne_f32_e32 v5, v5
	v_fmamk_f32 v7, v5, 0xbf317218, v1
	v_fmamk_f32 v7, v5, 0x3102e308, v7
	v_mov_b32_e32 v8, 0x3ab69700
	v_fmac_f32_e32 v8, 0x395133b1, v7
	v_fmaak_f32 v8, v7, v8, 0x3c0887f9
	v_fmaak_f32 v8, v7, v8, 0x3d2aaa81
	v_cvt_i32_f32_e32 v10, v5
	v_fmaak_f32 v8, v7, v8, 0x3e2aaaab
	v_fma_f32 v8, v7, v8, 0.5
	v_mul_f32_e32 v8, v7, v8
	s_mov_b32 s0, 0x43000000
	v_fmac_f32_e32 v7, v7, v8
	v_ldexp_f32 v8, 1.0, v10
	v_mov_b32_e32 v10, 0x7f000000
	v_cmp_eq_f32_e64 s[0:1], s0, v5
	s_nop 1
	v_cndmask_b32_e64 v5, v8, v10, s[0:1]
	v_add_f32_e32 v8, -1.0, v5
	v_fmac_f32_e32 v8, v5, v7
	v_add_f32_e32 v5, v8, v8
	v_cndmask_b32_e64 v5, v8, v5, s[0:1]
	s_mov_b32 s0, 0x42b17217
	v_mov_b32_e32 v7, 0x7f800000
	v_cmp_nlt_f32_e64 s[0:1], s0, v1
	s_nop 1
	v_cndmask_b32_e64 v5, v7, v5, s[0:1]
	s_mov_b32 s0, 0xc1880000
	v_cmp_ngt_f32_e64 s[0:1], s0, v1
	s_nop 1
	v_cndmask_b32_e64 v5, -1.0, v5, s[0:1]
	s_or_b64 exec, exec, s[2:3]
	s_and_saveexec_b64 s[0:1], vcc
	s_xor_b64 s[0:1], exec, s[0:1]
	s_cbranch_execz .LBB116_19
.LBB116_25:
	v_mov_b32_e32 v7, 0
	v_lshl_add_u64 v[0:1], v[6:7], 2, s[8:9]
	global_store_dword v[0:1], v2, off
	v_mov_b32_e32 v0, v9
	s_or_b64 exec, exec, s[0:1]
	v_cmp_gt_i32_e32 vcc, s12, v0
	s_and_saveexec_b64 s[0:1], vcc
	s_cbranch_execz .LBB116_20
.LBB116_26:
	v_add_u32_e32 v6, s6, v0
	v_mov_b32_e32 v7, 0
	v_lshl_add_u64 v[6:7], v[6:7], 2, s[8:9]
	v_add_u32_e32 v0, 0x100, v0
	global_store_dword v[6:7], v3, off
	s_or_b64 exec, exec, s[0:1]
	v_cmp_gt_i32_e32 vcc, s12, v0
	s_and_saveexec_b64 s[0:1], vcc
	s_cbranch_execz .LBB116_21
.LBB116_27:
	v_add_u32_e32 v2, s6, v0
	v_mov_b32_e32 v3, 0
	v_lshl_add_u64 v[2:3], v[2:3], 2, s[8:9]
	v_add_u32_e32 v0, 0x100, v0
	global_store_dword v[2:3], v4, off
	s_or_b64 exec, exec, s[0:1]
	v_cmp_gt_i32_e32 vcc, s12, v0
	s_and_saveexec_b64 s[0:1], vcc
	s_cbranch_execnz .LBB116_22
	s_branch .LBB116_23
	.section	.rodata,"a",@progbits
	.p2align	6, 0x0
	.amdhsa_kernel _ZN2at6native29vectorized_elementwise_kernelILi4EZZZNS0_17expm1_kernel_cudaERNS_18TensorIteratorBaseEENKUlvE_clEvENKUlvE0_clEvEUlfE_St5arrayIPcLm2EEEEviT0_T1_
		.amdhsa_group_segment_fixed_size 0
		.amdhsa_private_segment_fixed_size 0
		.amdhsa_kernarg_size 24
		.amdhsa_user_sgpr_count 2
		.amdhsa_user_sgpr_dispatch_ptr 0
		.amdhsa_user_sgpr_queue_ptr 0
		.amdhsa_user_sgpr_kernarg_segment_ptr 1
		.amdhsa_user_sgpr_dispatch_id 0
		.amdhsa_user_sgpr_kernarg_preload_length 0
		.amdhsa_user_sgpr_kernarg_preload_offset 0
		.amdhsa_user_sgpr_private_segment_size 0
		.amdhsa_uses_dynamic_stack 0
		.amdhsa_enable_private_segment 0
		.amdhsa_system_sgpr_workgroup_id_x 1
		.amdhsa_system_sgpr_workgroup_id_y 0
		.amdhsa_system_sgpr_workgroup_id_z 0
		.amdhsa_system_sgpr_workgroup_info 0
		.amdhsa_system_vgpr_workitem_id 0
		.amdhsa_next_free_vgpr 24
		.amdhsa_next_free_sgpr 24
		.amdhsa_accum_offset 24
		.amdhsa_reserve_vcc 1
		.amdhsa_float_round_mode_32 0
		.amdhsa_float_round_mode_16_64 0
		.amdhsa_float_denorm_mode_32 3
		.amdhsa_float_denorm_mode_16_64 3
		.amdhsa_dx10_clamp 1
		.amdhsa_ieee_mode 1
		.amdhsa_fp16_overflow 0
		.amdhsa_tg_split 0
		.amdhsa_exception_fp_ieee_invalid_op 0
		.amdhsa_exception_fp_denorm_src 0
		.amdhsa_exception_fp_ieee_div_zero 0
		.amdhsa_exception_fp_ieee_overflow 0
		.amdhsa_exception_fp_ieee_underflow 0
		.amdhsa_exception_fp_ieee_inexact 0
		.amdhsa_exception_int_div_zero 0
	.end_amdhsa_kernel
	.section	.text._ZN2at6native29vectorized_elementwise_kernelILi4EZZZNS0_17expm1_kernel_cudaERNS_18TensorIteratorBaseEENKUlvE_clEvENKUlvE0_clEvEUlfE_St5arrayIPcLm2EEEEviT0_T1_,"axG",@progbits,_ZN2at6native29vectorized_elementwise_kernelILi4EZZZNS0_17expm1_kernel_cudaERNS_18TensorIteratorBaseEENKUlvE_clEvENKUlvE0_clEvEUlfE_St5arrayIPcLm2EEEEviT0_T1_,comdat
.Lfunc_end116:
	.size	_ZN2at6native29vectorized_elementwise_kernelILi4EZZZNS0_17expm1_kernel_cudaERNS_18TensorIteratorBaseEENKUlvE_clEvENKUlvE0_clEvEUlfE_St5arrayIPcLm2EEEEviT0_T1_, .Lfunc_end116-_ZN2at6native29vectorized_elementwise_kernelILi4EZZZNS0_17expm1_kernel_cudaERNS_18TensorIteratorBaseEENKUlvE_clEvENKUlvE0_clEvEUlfE_St5arrayIPcLm2EEEEviT0_T1_
                                        ; -- End function
	.set _ZN2at6native29vectorized_elementwise_kernelILi4EZZZNS0_17expm1_kernel_cudaERNS_18TensorIteratorBaseEENKUlvE_clEvENKUlvE0_clEvEUlfE_St5arrayIPcLm2EEEEviT0_T1_.num_vgpr, 24
	.set _ZN2at6native29vectorized_elementwise_kernelILi4EZZZNS0_17expm1_kernel_cudaERNS_18TensorIteratorBaseEENKUlvE_clEvENKUlvE0_clEvEUlfE_St5arrayIPcLm2EEEEviT0_T1_.num_agpr, 0
	.set _ZN2at6native29vectorized_elementwise_kernelILi4EZZZNS0_17expm1_kernel_cudaERNS_18TensorIteratorBaseEENKUlvE_clEvENKUlvE0_clEvEUlfE_St5arrayIPcLm2EEEEviT0_T1_.numbered_sgpr, 24
	.set _ZN2at6native29vectorized_elementwise_kernelILi4EZZZNS0_17expm1_kernel_cudaERNS_18TensorIteratorBaseEENKUlvE_clEvENKUlvE0_clEvEUlfE_St5arrayIPcLm2EEEEviT0_T1_.num_named_barrier, 0
	.set _ZN2at6native29vectorized_elementwise_kernelILi4EZZZNS0_17expm1_kernel_cudaERNS_18TensorIteratorBaseEENKUlvE_clEvENKUlvE0_clEvEUlfE_St5arrayIPcLm2EEEEviT0_T1_.private_seg_size, 0
	.set _ZN2at6native29vectorized_elementwise_kernelILi4EZZZNS0_17expm1_kernel_cudaERNS_18TensorIteratorBaseEENKUlvE_clEvENKUlvE0_clEvEUlfE_St5arrayIPcLm2EEEEviT0_T1_.uses_vcc, 1
	.set _ZN2at6native29vectorized_elementwise_kernelILi4EZZZNS0_17expm1_kernel_cudaERNS_18TensorIteratorBaseEENKUlvE_clEvENKUlvE0_clEvEUlfE_St5arrayIPcLm2EEEEviT0_T1_.uses_flat_scratch, 0
	.set _ZN2at6native29vectorized_elementwise_kernelILi4EZZZNS0_17expm1_kernel_cudaERNS_18TensorIteratorBaseEENKUlvE_clEvENKUlvE0_clEvEUlfE_St5arrayIPcLm2EEEEviT0_T1_.has_dyn_sized_stack, 0
	.set _ZN2at6native29vectorized_elementwise_kernelILi4EZZZNS0_17expm1_kernel_cudaERNS_18TensorIteratorBaseEENKUlvE_clEvENKUlvE0_clEvEUlfE_St5arrayIPcLm2EEEEviT0_T1_.has_recursion, 0
	.set _ZN2at6native29vectorized_elementwise_kernelILi4EZZZNS0_17expm1_kernel_cudaERNS_18TensorIteratorBaseEENKUlvE_clEvENKUlvE0_clEvEUlfE_St5arrayIPcLm2EEEEviT0_T1_.has_indirect_call, 0
	.section	.AMDGPU.csdata,"",@progbits
; Kernel info:
; codeLenInByte = 2124
; TotalNumSgprs: 30
; NumVgprs: 24
; NumAgprs: 0
; TotalNumVgprs: 24
; ScratchSize: 0
; MemoryBound: 0
; FloatMode: 240
; IeeeMode: 1
; LDSByteSize: 0 bytes/workgroup (compile time only)
; SGPRBlocks: 3
; VGPRBlocks: 2
; NumSGPRsForWavesPerEU: 30
; NumVGPRsForWavesPerEU: 24
; AccumOffset: 24
; Occupancy: 8
; WaveLimiterHint : 0
; COMPUTE_PGM_RSRC2:SCRATCH_EN: 0
; COMPUTE_PGM_RSRC2:USER_SGPR: 2
; COMPUTE_PGM_RSRC2:TRAP_HANDLER: 0
; COMPUTE_PGM_RSRC2:TGID_X_EN: 1
; COMPUTE_PGM_RSRC2:TGID_Y_EN: 0
; COMPUTE_PGM_RSRC2:TGID_Z_EN: 0
; COMPUTE_PGM_RSRC2:TIDIG_COMP_CNT: 0
; COMPUTE_PGM_RSRC3_GFX90A:ACCUM_OFFSET: 5
; COMPUTE_PGM_RSRC3_GFX90A:TG_SPLIT: 0
	.section	.text._ZN2at6native29vectorized_elementwise_kernelILi2EZZZNS0_17expm1_kernel_cudaERNS_18TensorIteratorBaseEENKUlvE_clEvENKUlvE0_clEvEUlfE_St5arrayIPcLm2EEEEviT0_T1_,"axG",@progbits,_ZN2at6native29vectorized_elementwise_kernelILi2EZZZNS0_17expm1_kernel_cudaERNS_18TensorIteratorBaseEENKUlvE_clEvENKUlvE0_clEvEUlfE_St5arrayIPcLm2EEEEviT0_T1_,comdat
	.globl	_ZN2at6native29vectorized_elementwise_kernelILi2EZZZNS0_17expm1_kernel_cudaERNS_18TensorIteratorBaseEENKUlvE_clEvENKUlvE0_clEvEUlfE_St5arrayIPcLm2EEEEviT0_T1_ ; -- Begin function _ZN2at6native29vectorized_elementwise_kernelILi2EZZZNS0_17expm1_kernel_cudaERNS_18TensorIteratorBaseEENKUlvE_clEvENKUlvE0_clEvEUlfE_St5arrayIPcLm2EEEEviT0_T1_
	.p2align	8
	.type	_ZN2at6native29vectorized_elementwise_kernelILi2EZZZNS0_17expm1_kernel_cudaERNS_18TensorIteratorBaseEENKUlvE_clEvENKUlvE0_clEvEUlfE_St5arrayIPcLm2EEEEviT0_T1_,@function
_ZN2at6native29vectorized_elementwise_kernelILi2EZZZNS0_17expm1_kernel_cudaERNS_18TensorIteratorBaseEENKUlvE_clEvENKUlvE0_clEvEUlfE_St5arrayIPcLm2EEEEviT0_T1_: ; @_ZN2at6native29vectorized_elementwise_kernelILi2EZZZNS0_17expm1_kernel_cudaERNS_18TensorIteratorBaseEENKUlvE_clEvENKUlvE0_clEvEUlfE_St5arrayIPcLm2EEEEviT0_T1_
; %bb.0:
	s_load_dword s3, s[0:1], 0x0
	s_load_dwordx4 s[8:11], s[0:1], 0x8
	s_lshl_b32 s6, s2, 10
	s_mov_b64 s[0:1], -1
	s_waitcnt lgkmcnt(0)
	s_sub_i32 s12, s3, s6
	s_cmpk_gt_i32 s12, 0x3ff
	s_cbranch_scc0 .LBB117_2
; %bb.1:
	s_ashr_i32 s7, s6, 31
	s_lshl_b64 s[0:1], s[6:7], 2
	s_add_u32 s2, s10, s0
	s_addc_u32 s3, s11, s1
	v_lshlrev_b32_e32 v1, 3, v0
	global_load_dwordx2 v[2:3], v1, s[2:3]
	global_load_dwordx2 v[4:5], v1, s[2:3] offset:2048
	s_mov_b32 s2, 0x3f317218
	s_mov_b32 s4, 0xb102e308
	;; [unrolled: 1-line block ×5, first 2 shown]
	v_mov_b64_e32 v[6:7], s[14:15]
	s_mov_b32 s18, 0x3c0887f9
	s_mov_b32 s20, 0x3d2aaa81
	;; [unrolled: 1-line block ×3, first 2 shown]
	s_add_u32 s14, s8, s0
	v_mov_b32_e32 v18, 0x7f000000
	s_addc_u32 s15, s9, s1
	s_mov_b32 s7, 0x42b17217
	v_mov_b32_e32 v22, 0x7f800000
	s_mov_b32 s13, 0xc1880000
	s_waitcnt vmcnt(1)
	v_mul_f32_e32 v8, 0x3fb8aa3b, v2
	v_mul_f32_e32 v9, 0x3fb8aa3b, v3
	s_waitcnt vmcnt(0)
	v_mul_f32_e32 v10, 0x3fb8aa3b, v4
	v_mul_f32_e32 v11, 0x3fb8aa3b, v5
	v_rndne_f32_e32 v8, v8
	v_rndne_f32_e32 v9, v9
	;; [unrolled: 1-line block ×4, first 2 shown]
	v_pk_fma_f32 v[12:13], v[8:9], s[2:3], v[2:3] op_sel_hi:[1,0,1] neg_lo:[1,0,0] neg_hi:[1,0,0]
	v_pk_fma_f32 v[14:15], v[10:11], s[2:3], v[4:5] op_sel_hi:[1,0,1] neg_lo:[1,0,0] neg_hi:[1,0,0]
	;; [unrolled: 1-line block ×3, first 2 shown]
	v_cvt_i32_f32_e32 v19, v8
	v_cvt_i32_f32_e32 v20, v9
	v_pk_fma_f32 v[14:15], v[10:11], s[4:5], v[14:15] op_sel_hi:[1,0,1] neg_lo:[1,0,0] neg_hi:[1,0,0]
	v_pk_fma_f32 v[16:17], v[12:13], s[16:17], v[6:7] op_sel_hi:[1,0,0]
	v_cvt_i32_f32_e32 v21, v10
	v_cvt_i32_f32_e32 v23, v11
	v_pk_fma_f32 v[6:7], v[14:15], s[16:17], v[6:7] op_sel_hi:[1,0,0]
	v_pk_fma_f32 v[16:17], v[12:13], v[16:17], s[18:19] op_sel_hi:[1,1,0]
	;; [unrolled: 1-line block ×6, first 2 shown]
	v_ldexp_f32 v19, 1.0, v19
	v_ldexp_f32 v20, 1.0, v20
	v_cmp_eq_f32_e32 vcc, s5, v9
	v_cmp_eq_f32_e64 s[0:1], s5, v8
	v_pk_fma_f32 v[6:7], v[14:15], v[6:7], s[22:23] op_sel_hi:[1,1,0]
	v_pk_fma_f32 v[16:17], v[12:13], v[16:17], 0.5 op_sel_hi:[1,1,0]
	v_ldexp_f32 v21, 1.0, v21
	v_ldexp_f32 v23, 1.0, v23
	v_cndmask_b32_e32 v9, v20, v18, vcc
	v_cndmask_b32_e64 v8, v19, v18, s[0:1]
	v_cmp_eq_f32_e64 s[2:3], s5, v11
	v_cmp_eq_f32_e64 s[4:5], s5, v10
	v_pk_fma_f32 v[6:7], v[14:15], v[6:7], 0.5 op_sel_hi:[1,1,0]
	v_pk_mul_f32 v[16:17], v[12:13], v[16:17]
	v_cndmask_b32_e64 v11, v23, v18, s[2:3]
	v_cndmask_b32_e64 v10, v21, v18, s[4:5]
	v_pk_add_f32 v[18:19], v[8:9], -1.0 op_sel_hi:[1,0]
	v_pk_mul_f32 v[6:7], v[14:15], v[6:7]
	v_pk_fma_f32 v[12:13], v[12:13], v[16:17], v[12:13]
	v_pk_add_f32 v[20:21], v[10:11], -1.0 op_sel_hi:[1,0]
	v_pk_fma_f32 v[6:7], v[14:15], v[6:7], v[14:15]
	v_pk_fma_f32 v[8:9], v[8:9], v[12:13], v[18:19]
	;; [unrolled: 1-line block ×3, first 2 shown]
	v_pk_add_f32 v[10:11], v[8:9], v[8:9]
	v_pk_add_f32 v[12:13], v[6:7], v[6:7]
	v_cndmask_b32_e32 v9, v9, v11, vcc
	v_cndmask_b32_e64 v8, v8, v10, s[0:1]
	v_cmp_nlt_f32_e32 vcc, s7, v2
	v_cndmask_b32_e64 v6, v6, v12, s[4:5]
	v_cndmask_b32_e64 v7, v7, v13, s[2:3]
	v_cndmask_b32_e32 v8, v22, v8, vcc
	v_cmp_nlt_f32_e32 vcc, s7, v3
	s_mov_b64 s[0:1], 0
	s_nop 0
	v_cndmask_b32_e32 v9, v22, v9, vcc
	v_cmp_nlt_f32_e32 vcc, s7, v4
	s_nop 1
	v_cndmask_b32_e32 v6, v22, v6, vcc
	v_cmp_nlt_f32_e32 vcc, s7, v5
	s_nop 1
	v_cndmask_b32_e32 v7, v22, v7, vcc
	v_cmp_ngt_f32_e32 vcc, s13, v3
	s_nop 1
	v_cndmask_b32_e32 v3, -1.0, v9, vcc
	v_cmp_ngt_f32_e32 vcc, s13, v2
	s_nop 1
	v_cndmask_b32_e32 v2, -1.0, v8, vcc
	;; [unrolled: 3-line block ×4, first 2 shown]
	global_store_dwordx2 v1, v[2:3], s[14:15]
	global_store_dwordx2 v1, v[4:5], s[14:15] offset:2048
.LBB117_2:
	s_andn2_b64 vcc, exec, s[0:1]
	s_cbranch_vccnz .LBB117_23
; %bb.3:
	v_cmp_gt_i32_e32 vcc, s12, v0
	v_mov_b32_e32 v8, 0
	v_or_b32_e32 v6, s6, v0
	v_mov_b32_e32 v9, 0
	v_mov_b32_e32 v2, v0
	s_and_saveexec_b64 s[0:1], vcc
	s_cbranch_execz .LBB117_5
; %bb.4:
	v_mov_b32_e32 v7, 0
	v_lshl_add_u64 v[2:3], v[6:7], 2, s[10:11]
	global_load_dword v9, v[2:3], off
	v_or_b32_e32 v2, 0x100, v0
.LBB117_5:
	s_or_b64 exec, exec, s[0:1]
	v_cmp_gt_i32_e64 s[0:1], s12, v2
	s_and_saveexec_b64 s[2:3], s[0:1]
	s_cbranch_execz .LBB117_7
; %bb.6:
	v_add_u32_e32 v4, s6, v2
	v_mov_b32_e32 v5, 0
	v_lshl_add_u64 v[4:5], v[4:5], 2, s[10:11]
	global_load_dword v8, v[4:5], off
	v_add_u32_e32 v2, 0x100, v2
.LBB117_7:
	s_or_b64 exec, exec, s[2:3]
	v_cmp_gt_i32_e64 s[0:1], s12, v2
	v_mov_b32_e32 v1, 0
	v_mov_b32_e32 v7, 0
	s_and_saveexec_b64 s[2:3], s[0:1]
	s_cbranch_execz .LBB117_9
; %bb.8:
	v_add_u32_e32 v4, s6, v2
	v_mov_b32_e32 v5, 0
	v_lshl_add_u64 v[4:5], v[4:5], 2, s[10:11]
	global_load_dword v7, v[4:5], off
	v_add_u32_e32 v2, 0x100, v2
.LBB117_9:
	s_or_b64 exec, exec, s[2:3]
	v_cmp_gt_i32_e64 s[0:1], s12, v2
	s_and_saveexec_b64 s[2:3], s[0:1]
	s_cbranch_execz .LBB117_11
; %bb.10:
	v_add_u32_e32 v2, s6, v2
	v_mov_b32_e32 v3, 0
	v_lshl_add_u64 v[2:3], v[2:3], 2, s[10:11]
	global_load_dword v1, v[2:3], off
.LBB117_11:
	s_or_b64 exec, exec, s[2:3]
	v_mov_b32_e32 v2, 0
	v_mov_b32_e32 v3, v2
	;; [unrolled: 1-line block ×4, first 2 shown]
	s_and_saveexec_b64 s[2:3], vcc
	s_cbranch_execz .LBB117_13
; %bb.12:
	s_waitcnt vmcnt(0)
	v_mul_f32_e32 v3, 0x3fb8aa3b, v9
	v_rndne_f32_e32 v3, v3
	v_fmamk_f32 v4, v3, 0xbf317218, v9
	v_fmamk_f32 v4, v3, 0x3102e308, v4
	v_mov_b32_e32 v5, 0x3ab69700
	v_fmac_f32_e32 v5, 0x395133b1, v4
	v_fmaak_f32 v5, v4, v5, 0x3c0887f9
	v_fmaak_f32 v5, v4, v5, 0x3d2aaa81
	v_cvt_i32_f32_e32 v10, v3
	v_fmaak_f32 v5, v4, v5, 0x3e2aaaab
	v_fma_f32 v5, v4, v5, 0.5
	v_mul_f32_e32 v5, v4, v5
	s_mov_b32 s0, 0x43000000
	v_fmac_f32_e32 v4, v4, v5
	v_ldexp_f32 v5, 1.0, v10
	v_mov_b32_e32 v10, 0x7f000000
	v_cmp_eq_f32_e64 s[0:1], s0, v3
	v_mov_b32_e32 v11, v2
	v_mov_b32_e32 v12, v2
	v_cndmask_b32_e64 v3, v5, v10, s[0:1]
	v_add_f32_e32 v5, -1.0, v3
	v_fmac_f32_e32 v5, v3, v4
	v_add_f32_e32 v3, v5, v5
	v_cndmask_b32_e64 v3, v5, v3, s[0:1]
	s_mov_b32 s0, 0x42b17217
	v_mov_b32_e32 v4, 0x7f800000
	v_cmp_nlt_f32_e64 s[0:1], s0, v9
	v_mov_b32_e32 v13, v2
	s_nop 0
	v_cndmask_b32_e64 v3, v4, v3, s[0:1]
	s_mov_b32 s0, 0xc1880000
	v_cmp_ngt_f32_e64 s[0:1], s0, v9
	s_nop 1
	v_cndmask_b32_e64 v10, -1.0, v3, s[0:1]
	v_mov_b64_e32 v[2:3], v[10:11]
	v_mov_b64_e32 v[4:5], v[12:13]
.LBB117_13:
	s_or_b64 exec, exec, s[2:3]
	s_waitcnt vmcnt(0)
	v_or_b32_e32 v9, 0x100, v0
	v_cmp_gt_i32_e64 s[0:1], s12, v9
	s_and_saveexec_b64 s[2:3], s[0:1]
	s_cbranch_execz .LBB117_15
; %bb.14:
	v_mul_f32_e32 v3, 0x3fb8aa3b, v8
	v_rndne_f32_e32 v3, v3
	v_fmamk_f32 v10, v3, 0xbf317218, v8
	v_fmamk_f32 v10, v3, 0x3102e308, v10
	v_mov_b32_e32 v11, 0x3ab69700
	v_fmac_f32_e32 v11, 0x395133b1, v10
	v_fmaak_f32 v11, v10, v11, 0x3c0887f9
	v_fmaak_f32 v11, v10, v11, 0x3d2aaa81
	v_cvt_i32_f32_e32 v12, v3
	v_fmaak_f32 v11, v10, v11, 0x3e2aaaab
	v_fma_f32 v11, v10, v11, 0.5
	v_mul_f32_e32 v11, v10, v11
	s_mov_b32 s0, 0x43000000
	v_fmac_f32_e32 v10, v10, v11
	v_ldexp_f32 v11, 1.0, v12
	v_mov_b32_e32 v12, 0x7f000000
	v_cmp_eq_f32_e64 s[0:1], s0, v3
	s_nop 1
	v_cndmask_b32_e64 v3, v11, v12, s[0:1]
	v_add_f32_e32 v11, -1.0, v3
	v_fmac_f32_e32 v11, v3, v10
	v_add_f32_e32 v3, v11, v11
	v_cndmask_b32_e64 v3, v11, v3, s[0:1]
	s_mov_b32 s0, 0x42b17217
	v_mov_b32_e32 v10, 0x7f800000
	v_cmp_nlt_f32_e64 s[0:1], s0, v8
	s_nop 1
	v_cndmask_b32_e64 v3, v10, v3, s[0:1]
	s_mov_b32 s0, 0xc1880000
	v_cmp_ngt_f32_e64 s[0:1], s0, v8
	s_nop 1
	v_cndmask_b32_e64 v3, -1.0, v3, s[0:1]
.LBB117_15:
	s_or_b64 exec, exec, s[2:3]
	v_or_b32_e32 v8, 0x200, v0
	v_cmp_gt_i32_e64 s[0:1], s12, v8
	s_and_saveexec_b64 s[2:3], s[0:1]
	s_cbranch_execz .LBB117_17
; %bb.16:
	v_mul_f32_e32 v4, 0x3fb8aa3b, v7
	v_rndne_f32_e32 v4, v4
	v_fmamk_f32 v8, v4, 0xbf317218, v7
	v_fmamk_f32 v8, v4, 0x3102e308, v8
	v_mov_b32_e32 v10, 0x3ab69700
	v_fmac_f32_e32 v10, 0x395133b1, v8
	v_fmaak_f32 v10, v8, v10, 0x3c0887f9
	v_fmaak_f32 v10, v8, v10, 0x3d2aaa81
	v_cvt_i32_f32_e32 v11, v4
	v_fmaak_f32 v10, v8, v10, 0x3e2aaaab
	v_fma_f32 v10, v8, v10, 0.5
	v_mul_f32_e32 v10, v8, v10
	s_mov_b32 s0, 0x43000000
	v_fmac_f32_e32 v8, v8, v10
	v_ldexp_f32 v10, 1.0, v11
	v_mov_b32_e32 v11, 0x7f000000
	v_cmp_eq_f32_e64 s[0:1], s0, v4
	s_nop 1
	v_cndmask_b32_e64 v4, v10, v11, s[0:1]
	v_add_f32_e32 v10, -1.0, v4
	v_fmac_f32_e32 v10, v4, v8
	v_add_f32_e32 v4, v10, v10
	v_cndmask_b32_e64 v4, v10, v4, s[0:1]
	s_mov_b32 s0, 0x42b17217
	v_mov_b32_e32 v8, 0x7f800000
	v_cmp_nlt_f32_e64 s[0:1], s0, v7
	s_nop 1
	v_cndmask_b32_e64 v4, v8, v4, s[0:1]
	s_mov_b32 s0, 0xc1880000
	v_cmp_ngt_f32_e64 s[0:1], s0, v7
	s_nop 1
	v_cndmask_b32_e64 v4, -1.0, v4, s[0:1]
.LBB117_17:
	s_or_b64 exec, exec, s[2:3]
	v_or_b32_e32 v7, 0x300, v0
	v_cmp_gt_i32_e64 s[0:1], s12, v7
	s_and_saveexec_b64 s[2:3], s[0:1]
	s_cbranch_execnz .LBB117_24
; %bb.18:
	s_or_b64 exec, exec, s[2:3]
	s_and_saveexec_b64 s[0:1], vcc
	s_xor_b64 s[0:1], exec, s[0:1]
	s_cbranch_execnz .LBB117_25
.LBB117_19:
	s_or_b64 exec, exec, s[0:1]
	v_cmp_gt_i32_e32 vcc, s12, v0
	s_and_saveexec_b64 s[0:1], vcc
	s_cbranch_execnz .LBB117_26
.LBB117_20:
	s_or_b64 exec, exec, s[0:1]
	v_cmp_gt_i32_e32 vcc, s12, v0
	s_and_saveexec_b64 s[0:1], vcc
	s_cbranch_execnz .LBB117_27
.LBB117_21:
	s_or_b64 exec, exec, s[0:1]
	v_cmp_gt_i32_e32 vcc, s12, v0
	s_and_saveexec_b64 s[0:1], vcc
	s_cbranch_execz .LBB117_23
.LBB117_22:
	v_add_u32_e32 v0, s6, v0
	v_mov_b32_e32 v1, 0
	v_lshl_add_u64 v[0:1], v[0:1], 2, s[8:9]
	global_store_dword v[0:1], v5, off
.LBB117_23:
	s_endpgm
.LBB117_24:
	v_mul_f32_e32 v5, 0x3fb8aa3b, v1
	v_rndne_f32_e32 v5, v5
	v_fmamk_f32 v7, v5, 0xbf317218, v1
	v_fmamk_f32 v7, v5, 0x3102e308, v7
	v_mov_b32_e32 v8, 0x3ab69700
	v_fmac_f32_e32 v8, 0x395133b1, v7
	v_fmaak_f32 v8, v7, v8, 0x3c0887f9
	v_fmaak_f32 v8, v7, v8, 0x3d2aaa81
	v_cvt_i32_f32_e32 v10, v5
	v_fmaak_f32 v8, v7, v8, 0x3e2aaaab
	v_fma_f32 v8, v7, v8, 0.5
	v_mul_f32_e32 v8, v7, v8
	s_mov_b32 s0, 0x43000000
	v_fmac_f32_e32 v7, v7, v8
	v_ldexp_f32 v8, 1.0, v10
	v_mov_b32_e32 v10, 0x7f000000
	v_cmp_eq_f32_e64 s[0:1], s0, v5
	s_nop 1
	v_cndmask_b32_e64 v5, v8, v10, s[0:1]
	v_add_f32_e32 v8, -1.0, v5
	v_fmac_f32_e32 v8, v5, v7
	v_add_f32_e32 v5, v8, v8
	v_cndmask_b32_e64 v5, v8, v5, s[0:1]
	s_mov_b32 s0, 0x42b17217
	v_mov_b32_e32 v7, 0x7f800000
	v_cmp_nlt_f32_e64 s[0:1], s0, v1
	s_nop 1
	v_cndmask_b32_e64 v5, v7, v5, s[0:1]
	s_mov_b32 s0, 0xc1880000
	v_cmp_ngt_f32_e64 s[0:1], s0, v1
	s_nop 1
	v_cndmask_b32_e64 v5, -1.0, v5, s[0:1]
	s_or_b64 exec, exec, s[2:3]
	s_and_saveexec_b64 s[0:1], vcc
	s_xor_b64 s[0:1], exec, s[0:1]
	s_cbranch_execz .LBB117_19
.LBB117_25:
	v_mov_b32_e32 v7, 0
	v_lshl_add_u64 v[0:1], v[6:7], 2, s[8:9]
	global_store_dword v[0:1], v2, off
	v_mov_b32_e32 v0, v9
	s_or_b64 exec, exec, s[0:1]
	v_cmp_gt_i32_e32 vcc, s12, v0
	s_and_saveexec_b64 s[0:1], vcc
	s_cbranch_execz .LBB117_20
.LBB117_26:
	v_add_u32_e32 v6, s6, v0
	v_mov_b32_e32 v7, 0
	v_lshl_add_u64 v[6:7], v[6:7], 2, s[8:9]
	v_add_u32_e32 v0, 0x100, v0
	global_store_dword v[6:7], v3, off
	s_or_b64 exec, exec, s[0:1]
	v_cmp_gt_i32_e32 vcc, s12, v0
	s_and_saveexec_b64 s[0:1], vcc
	s_cbranch_execz .LBB117_21
.LBB117_27:
	v_add_u32_e32 v2, s6, v0
	v_mov_b32_e32 v3, 0
	v_lshl_add_u64 v[2:3], v[2:3], 2, s[8:9]
	v_add_u32_e32 v0, 0x100, v0
	global_store_dword v[2:3], v4, off
	s_or_b64 exec, exec, s[0:1]
	v_cmp_gt_i32_e32 vcc, s12, v0
	s_and_saveexec_b64 s[0:1], vcc
	s_cbranch_execnz .LBB117_22
	s_branch .LBB117_23
	.section	.rodata,"a",@progbits
	.p2align	6, 0x0
	.amdhsa_kernel _ZN2at6native29vectorized_elementwise_kernelILi2EZZZNS0_17expm1_kernel_cudaERNS_18TensorIteratorBaseEENKUlvE_clEvENKUlvE0_clEvEUlfE_St5arrayIPcLm2EEEEviT0_T1_
		.amdhsa_group_segment_fixed_size 0
		.amdhsa_private_segment_fixed_size 0
		.amdhsa_kernarg_size 24
		.amdhsa_user_sgpr_count 2
		.amdhsa_user_sgpr_dispatch_ptr 0
		.amdhsa_user_sgpr_queue_ptr 0
		.amdhsa_user_sgpr_kernarg_segment_ptr 1
		.amdhsa_user_sgpr_dispatch_id 0
		.amdhsa_user_sgpr_kernarg_preload_length 0
		.amdhsa_user_sgpr_kernarg_preload_offset 0
		.amdhsa_user_sgpr_private_segment_size 0
		.amdhsa_uses_dynamic_stack 0
		.amdhsa_enable_private_segment 0
		.amdhsa_system_sgpr_workgroup_id_x 1
		.amdhsa_system_sgpr_workgroup_id_y 0
		.amdhsa_system_sgpr_workgroup_id_z 0
		.amdhsa_system_sgpr_workgroup_info 0
		.amdhsa_system_vgpr_workitem_id 0
		.amdhsa_next_free_vgpr 24
		.amdhsa_next_free_sgpr 24
		.amdhsa_accum_offset 24
		.amdhsa_reserve_vcc 1
		.amdhsa_float_round_mode_32 0
		.amdhsa_float_round_mode_16_64 0
		.amdhsa_float_denorm_mode_32 3
		.amdhsa_float_denorm_mode_16_64 3
		.amdhsa_dx10_clamp 1
		.amdhsa_ieee_mode 1
		.amdhsa_fp16_overflow 0
		.amdhsa_tg_split 0
		.amdhsa_exception_fp_ieee_invalid_op 0
		.amdhsa_exception_fp_denorm_src 0
		.amdhsa_exception_fp_ieee_div_zero 0
		.amdhsa_exception_fp_ieee_overflow 0
		.amdhsa_exception_fp_ieee_underflow 0
		.amdhsa_exception_fp_ieee_inexact 0
		.amdhsa_exception_int_div_zero 0
	.end_amdhsa_kernel
	.section	.text._ZN2at6native29vectorized_elementwise_kernelILi2EZZZNS0_17expm1_kernel_cudaERNS_18TensorIteratorBaseEENKUlvE_clEvENKUlvE0_clEvEUlfE_St5arrayIPcLm2EEEEviT0_T1_,"axG",@progbits,_ZN2at6native29vectorized_elementwise_kernelILi2EZZZNS0_17expm1_kernel_cudaERNS_18TensorIteratorBaseEENKUlvE_clEvENKUlvE0_clEvEUlfE_St5arrayIPcLm2EEEEviT0_T1_,comdat
.Lfunc_end117:
	.size	_ZN2at6native29vectorized_elementwise_kernelILi2EZZZNS0_17expm1_kernel_cudaERNS_18TensorIteratorBaseEENKUlvE_clEvENKUlvE0_clEvEUlfE_St5arrayIPcLm2EEEEviT0_T1_, .Lfunc_end117-_ZN2at6native29vectorized_elementwise_kernelILi2EZZZNS0_17expm1_kernel_cudaERNS_18TensorIteratorBaseEENKUlvE_clEvENKUlvE0_clEvEUlfE_St5arrayIPcLm2EEEEviT0_T1_
                                        ; -- End function
	.set _ZN2at6native29vectorized_elementwise_kernelILi2EZZZNS0_17expm1_kernel_cudaERNS_18TensorIteratorBaseEENKUlvE_clEvENKUlvE0_clEvEUlfE_St5arrayIPcLm2EEEEviT0_T1_.num_vgpr, 24
	.set _ZN2at6native29vectorized_elementwise_kernelILi2EZZZNS0_17expm1_kernel_cudaERNS_18TensorIteratorBaseEENKUlvE_clEvENKUlvE0_clEvEUlfE_St5arrayIPcLm2EEEEviT0_T1_.num_agpr, 0
	.set _ZN2at6native29vectorized_elementwise_kernelILi2EZZZNS0_17expm1_kernel_cudaERNS_18TensorIteratorBaseEENKUlvE_clEvENKUlvE0_clEvEUlfE_St5arrayIPcLm2EEEEviT0_T1_.numbered_sgpr, 24
	.set _ZN2at6native29vectorized_elementwise_kernelILi2EZZZNS0_17expm1_kernel_cudaERNS_18TensorIteratorBaseEENKUlvE_clEvENKUlvE0_clEvEUlfE_St5arrayIPcLm2EEEEviT0_T1_.num_named_barrier, 0
	.set _ZN2at6native29vectorized_elementwise_kernelILi2EZZZNS0_17expm1_kernel_cudaERNS_18TensorIteratorBaseEENKUlvE_clEvENKUlvE0_clEvEUlfE_St5arrayIPcLm2EEEEviT0_T1_.private_seg_size, 0
	.set _ZN2at6native29vectorized_elementwise_kernelILi2EZZZNS0_17expm1_kernel_cudaERNS_18TensorIteratorBaseEENKUlvE_clEvENKUlvE0_clEvEUlfE_St5arrayIPcLm2EEEEviT0_T1_.uses_vcc, 1
	.set _ZN2at6native29vectorized_elementwise_kernelILi2EZZZNS0_17expm1_kernel_cudaERNS_18TensorIteratorBaseEENKUlvE_clEvENKUlvE0_clEvEUlfE_St5arrayIPcLm2EEEEviT0_T1_.uses_flat_scratch, 0
	.set _ZN2at6native29vectorized_elementwise_kernelILi2EZZZNS0_17expm1_kernel_cudaERNS_18TensorIteratorBaseEENKUlvE_clEvENKUlvE0_clEvEUlfE_St5arrayIPcLm2EEEEviT0_T1_.has_dyn_sized_stack, 0
	.set _ZN2at6native29vectorized_elementwise_kernelILi2EZZZNS0_17expm1_kernel_cudaERNS_18TensorIteratorBaseEENKUlvE_clEvENKUlvE0_clEvEUlfE_St5arrayIPcLm2EEEEviT0_T1_.has_recursion, 0
	.set _ZN2at6native29vectorized_elementwise_kernelILi2EZZZNS0_17expm1_kernel_cudaERNS_18TensorIteratorBaseEENKUlvE_clEvENKUlvE0_clEvEUlfE_St5arrayIPcLm2EEEEviT0_T1_.has_indirect_call, 0
	.section	.AMDGPU.csdata,"",@progbits
; Kernel info:
; codeLenInByte = 2144
; TotalNumSgprs: 30
; NumVgprs: 24
; NumAgprs: 0
; TotalNumVgprs: 24
; ScratchSize: 0
; MemoryBound: 0
; FloatMode: 240
; IeeeMode: 1
; LDSByteSize: 0 bytes/workgroup (compile time only)
; SGPRBlocks: 3
; VGPRBlocks: 2
; NumSGPRsForWavesPerEU: 30
; NumVGPRsForWavesPerEU: 24
; AccumOffset: 24
; Occupancy: 8
; WaveLimiterHint : 1
; COMPUTE_PGM_RSRC2:SCRATCH_EN: 0
; COMPUTE_PGM_RSRC2:USER_SGPR: 2
; COMPUTE_PGM_RSRC2:TRAP_HANDLER: 0
; COMPUTE_PGM_RSRC2:TGID_X_EN: 1
; COMPUTE_PGM_RSRC2:TGID_Y_EN: 0
; COMPUTE_PGM_RSRC2:TGID_Z_EN: 0
; COMPUTE_PGM_RSRC2:TIDIG_COMP_CNT: 0
; COMPUTE_PGM_RSRC3_GFX90A:ACCUM_OFFSET: 5
; COMPUTE_PGM_RSRC3_GFX90A:TG_SPLIT: 0
	.section	.text._ZN2at6native27unrolled_elementwise_kernelIZZZNS0_17expm1_kernel_cudaERNS_18TensorIteratorBaseEENKUlvE_clEvENKUlvE0_clEvEUlfE_St5arrayIPcLm2EELi4E23TrivialOffsetCalculatorILi1EjESB_NS0_6memory15LoadWithoutCastENSC_16StoreWithoutCastEEEviT_T0_T2_T3_T4_T5_,"axG",@progbits,_ZN2at6native27unrolled_elementwise_kernelIZZZNS0_17expm1_kernel_cudaERNS_18TensorIteratorBaseEENKUlvE_clEvENKUlvE0_clEvEUlfE_St5arrayIPcLm2EELi4E23TrivialOffsetCalculatorILi1EjESB_NS0_6memory15LoadWithoutCastENSC_16StoreWithoutCastEEEviT_T0_T2_T3_T4_T5_,comdat
	.globl	_ZN2at6native27unrolled_elementwise_kernelIZZZNS0_17expm1_kernel_cudaERNS_18TensorIteratorBaseEENKUlvE_clEvENKUlvE0_clEvEUlfE_St5arrayIPcLm2EELi4E23TrivialOffsetCalculatorILi1EjESB_NS0_6memory15LoadWithoutCastENSC_16StoreWithoutCastEEEviT_T0_T2_T3_T4_T5_ ; -- Begin function _ZN2at6native27unrolled_elementwise_kernelIZZZNS0_17expm1_kernel_cudaERNS_18TensorIteratorBaseEENKUlvE_clEvENKUlvE0_clEvEUlfE_St5arrayIPcLm2EELi4E23TrivialOffsetCalculatorILi1EjESB_NS0_6memory15LoadWithoutCastENSC_16StoreWithoutCastEEEviT_T0_T2_T3_T4_T5_
	.p2align	8
	.type	_ZN2at6native27unrolled_elementwise_kernelIZZZNS0_17expm1_kernel_cudaERNS_18TensorIteratorBaseEENKUlvE_clEvENKUlvE0_clEvEUlfE_St5arrayIPcLm2EELi4E23TrivialOffsetCalculatorILi1EjESB_NS0_6memory15LoadWithoutCastENSC_16StoreWithoutCastEEEviT_T0_T2_T3_T4_T5_,@function
_ZN2at6native27unrolled_elementwise_kernelIZZZNS0_17expm1_kernel_cudaERNS_18TensorIteratorBaseEENKUlvE_clEvENKUlvE0_clEvEUlfE_St5arrayIPcLm2EELi4E23TrivialOffsetCalculatorILi1EjESB_NS0_6memory15LoadWithoutCastENSC_16StoreWithoutCastEEEviT_T0_T2_T3_T4_T5_: ; @_ZN2at6native27unrolled_elementwise_kernelIZZZNS0_17expm1_kernel_cudaERNS_18TensorIteratorBaseEENKUlvE_clEvENKUlvE0_clEvEUlfE_St5arrayIPcLm2EELi4E23TrivialOffsetCalculatorILi1EjESB_NS0_6memory15LoadWithoutCastENSC_16StoreWithoutCastEEEviT_T0_T2_T3_T4_T5_
; %bb.0:
	s_load_dword s3, s[0:1], 0x0
	s_load_dwordx4 s[4:7], s[0:1], 0x8
	s_lshl_b32 s8, s2, 10
	v_mov_b32_e32 v8, 0
	v_or_b32_e32 v6, s8, v0
	s_waitcnt lgkmcnt(0)
	s_sub_i32 s9, s3, s8
	v_cmp_gt_i32_e32 vcc, s9, v0
	v_mov_b32_e32 v9, 0
	v_mov_b32_e32 v2, v0
	s_and_saveexec_b64 s[0:1], vcc
	s_cbranch_execz .LBB118_2
; %bb.1:
	v_mov_b32_e32 v7, 0
	v_lshl_add_u64 v[2:3], v[6:7], 2, s[6:7]
	global_load_dword v9, v[2:3], off
	v_or_b32_e32 v2, 0x100, v0
.LBB118_2:
	s_or_b64 exec, exec, s[0:1]
	v_cmp_gt_i32_e64 s[0:1], s9, v2
	s_and_saveexec_b64 s[2:3], s[0:1]
	s_cbranch_execz .LBB118_4
; %bb.3:
	v_add_u32_e32 v4, s8, v2
	v_mov_b32_e32 v5, 0
	v_lshl_add_u64 v[4:5], v[4:5], 2, s[6:7]
	global_load_dword v8, v[4:5], off
	v_add_u32_e32 v2, 0x100, v2
.LBB118_4:
	s_or_b64 exec, exec, s[2:3]
	v_cmp_gt_i32_e64 s[0:1], s9, v2
	v_mov_b32_e32 v1, 0
	v_mov_b32_e32 v7, 0
	s_and_saveexec_b64 s[2:3], s[0:1]
	s_cbranch_execz .LBB118_6
; %bb.5:
	v_add_u32_e32 v4, s8, v2
	v_mov_b32_e32 v5, 0
	v_lshl_add_u64 v[4:5], v[4:5], 2, s[6:7]
	global_load_dword v7, v[4:5], off
	v_add_u32_e32 v2, 0x100, v2
.LBB118_6:
	s_or_b64 exec, exec, s[2:3]
	v_cmp_gt_i32_e64 s[0:1], s9, v2
	s_and_saveexec_b64 s[2:3], s[0:1]
	s_cbranch_execz .LBB118_8
; %bb.7:
	v_add_u32_e32 v2, s8, v2
	v_mov_b32_e32 v3, 0
	v_lshl_add_u64 v[2:3], v[2:3], 2, s[6:7]
	global_load_dword v1, v[2:3], off
.LBB118_8:
	s_or_b64 exec, exec, s[2:3]
	v_mov_b32_e32 v2, 0
	v_mov_b32_e32 v3, v2
	v_mov_b32_e32 v4, v2
	v_mov_b32_e32 v5, v2
	s_and_saveexec_b64 s[2:3], vcc
	s_cbranch_execz .LBB118_10
; %bb.9:
	s_waitcnt vmcnt(0)
	v_mul_f32_e32 v3, 0x3fb8aa3b, v9
	v_rndne_f32_e32 v3, v3
	v_fmamk_f32 v4, v3, 0xbf317218, v9
	v_fmamk_f32 v4, v3, 0x3102e308, v4
	v_mov_b32_e32 v5, 0x3ab69700
	v_fmac_f32_e32 v5, 0x395133b1, v4
	v_fmaak_f32 v5, v4, v5, 0x3c0887f9
	v_fmaak_f32 v5, v4, v5, 0x3d2aaa81
	v_cvt_i32_f32_e32 v10, v3
	v_fmaak_f32 v5, v4, v5, 0x3e2aaaab
	v_fma_f32 v5, v4, v5, 0.5
	v_mul_f32_e32 v5, v4, v5
	s_mov_b32 s0, 0x43000000
	v_fmac_f32_e32 v4, v4, v5
	v_ldexp_f32 v5, 1.0, v10
	v_mov_b32_e32 v10, 0x7f000000
	v_cmp_eq_f32_e64 s[0:1], s0, v3
	v_mov_b32_e32 v11, v2
	v_mov_b32_e32 v12, v2
	v_cndmask_b32_e64 v3, v5, v10, s[0:1]
	v_add_f32_e32 v5, -1.0, v3
	v_fmac_f32_e32 v5, v3, v4
	v_add_f32_e32 v3, v5, v5
	v_cndmask_b32_e64 v3, v5, v3, s[0:1]
	s_mov_b32 s0, 0x42b17217
	v_mov_b32_e32 v4, 0x7f800000
	v_cmp_nlt_f32_e64 s[0:1], s0, v9
	v_mov_b32_e32 v13, v2
	s_nop 0
	v_cndmask_b32_e64 v3, v4, v3, s[0:1]
	s_mov_b32 s0, 0xc1880000
	v_cmp_ngt_f32_e64 s[0:1], s0, v9
	s_nop 1
	v_cndmask_b32_e64 v10, -1.0, v3, s[0:1]
	v_mov_b64_e32 v[2:3], v[10:11]
	v_mov_b64_e32 v[4:5], v[12:13]
.LBB118_10:
	s_or_b64 exec, exec, s[2:3]
	s_waitcnt vmcnt(0)
	v_or_b32_e32 v9, 0x100, v0
	v_cmp_gt_i32_e64 s[0:1], s9, v9
	s_and_saveexec_b64 s[2:3], s[0:1]
	s_cbranch_execz .LBB118_12
; %bb.11:
	v_mul_f32_e32 v3, 0x3fb8aa3b, v8
	v_rndne_f32_e32 v3, v3
	v_fmamk_f32 v10, v3, 0xbf317218, v8
	v_fmamk_f32 v10, v3, 0x3102e308, v10
	v_mov_b32_e32 v11, 0x3ab69700
	v_fmac_f32_e32 v11, 0x395133b1, v10
	v_fmaak_f32 v11, v10, v11, 0x3c0887f9
	v_fmaak_f32 v11, v10, v11, 0x3d2aaa81
	v_cvt_i32_f32_e32 v12, v3
	v_fmaak_f32 v11, v10, v11, 0x3e2aaaab
	v_fma_f32 v11, v10, v11, 0.5
	v_mul_f32_e32 v11, v10, v11
	s_mov_b32 s0, 0x43000000
	v_fmac_f32_e32 v10, v10, v11
	v_ldexp_f32 v11, 1.0, v12
	v_mov_b32_e32 v12, 0x7f000000
	v_cmp_eq_f32_e64 s[0:1], s0, v3
	s_nop 1
	v_cndmask_b32_e64 v3, v11, v12, s[0:1]
	v_add_f32_e32 v11, -1.0, v3
	v_fmac_f32_e32 v11, v3, v10
	v_add_f32_e32 v3, v11, v11
	v_cndmask_b32_e64 v3, v11, v3, s[0:1]
	s_mov_b32 s0, 0x42b17217
	v_mov_b32_e32 v10, 0x7f800000
	v_cmp_nlt_f32_e64 s[0:1], s0, v8
	s_nop 1
	v_cndmask_b32_e64 v3, v10, v3, s[0:1]
	s_mov_b32 s0, 0xc1880000
	v_cmp_ngt_f32_e64 s[0:1], s0, v8
	s_nop 1
	v_cndmask_b32_e64 v3, -1.0, v3, s[0:1]
.LBB118_12:
	s_or_b64 exec, exec, s[2:3]
	v_or_b32_e32 v8, 0x200, v0
	v_cmp_gt_i32_e64 s[0:1], s9, v8
	s_and_saveexec_b64 s[2:3], s[0:1]
	s_cbranch_execz .LBB118_14
; %bb.13:
	v_mul_f32_e32 v4, 0x3fb8aa3b, v7
	v_rndne_f32_e32 v4, v4
	v_fmamk_f32 v8, v4, 0xbf317218, v7
	v_fmamk_f32 v8, v4, 0x3102e308, v8
	v_mov_b32_e32 v10, 0x3ab69700
	v_fmac_f32_e32 v10, 0x395133b1, v8
	v_fmaak_f32 v10, v8, v10, 0x3c0887f9
	v_fmaak_f32 v10, v8, v10, 0x3d2aaa81
	v_cvt_i32_f32_e32 v11, v4
	v_fmaak_f32 v10, v8, v10, 0x3e2aaaab
	v_fma_f32 v10, v8, v10, 0.5
	v_mul_f32_e32 v10, v8, v10
	s_mov_b32 s0, 0x43000000
	v_fmac_f32_e32 v8, v8, v10
	v_ldexp_f32 v10, 1.0, v11
	v_mov_b32_e32 v11, 0x7f000000
	v_cmp_eq_f32_e64 s[0:1], s0, v4
	s_nop 1
	v_cndmask_b32_e64 v4, v10, v11, s[0:1]
	v_add_f32_e32 v10, -1.0, v4
	v_fmac_f32_e32 v10, v4, v8
	v_add_f32_e32 v4, v10, v10
	v_cndmask_b32_e64 v4, v10, v4, s[0:1]
	s_mov_b32 s0, 0x42b17217
	v_mov_b32_e32 v8, 0x7f800000
	v_cmp_nlt_f32_e64 s[0:1], s0, v7
	s_nop 1
	v_cndmask_b32_e64 v4, v8, v4, s[0:1]
	s_mov_b32 s0, 0xc1880000
	v_cmp_ngt_f32_e64 s[0:1], s0, v7
	s_nop 1
	v_cndmask_b32_e64 v4, -1.0, v4, s[0:1]
.LBB118_14:
	s_or_b64 exec, exec, s[2:3]
	v_or_b32_e32 v7, 0x300, v0
	v_cmp_gt_i32_e64 s[0:1], s9, v7
	s_and_saveexec_b64 s[2:3], s[0:1]
	s_cbranch_execnz .LBB118_20
; %bb.15:
	s_or_b64 exec, exec, s[2:3]
	s_and_saveexec_b64 s[0:1], vcc
	s_xor_b64 s[0:1], exec, s[0:1]
	s_cbranch_execnz .LBB118_21
.LBB118_16:
	s_or_b64 exec, exec, s[0:1]
	v_cmp_gt_i32_e32 vcc, s9, v0
	s_and_saveexec_b64 s[0:1], vcc
	s_cbranch_execnz .LBB118_22
.LBB118_17:
	s_or_b64 exec, exec, s[0:1]
	v_cmp_gt_i32_e32 vcc, s9, v0
	s_and_saveexec_b64 s[0:1], vcc
	s_cbranch_execnz .LBB118_23
.LBB118_18:
	s_or_b64 exec, exec, s[0:1]
	v_cmp_gt_i32_e32 vcc, s9, v0
	s_and_saveexec_b64 s[0:1], vcc
	s_cbranch_execnz .LBB118_24
.LBB118_19:
	s_endpgm
.LBB118_20:
	v_mul_f32_e32 v5, 0x3fb8aa3b, v1
	v_rndne_f32_e32 v5, v5
	v_fmamk_f32 v7, v5, 0xbf317218, v1
	v_fmamk_f32 v7, v5, 0x3102e308, v7
	v_mov_b32_e32 v8, 0x3ab69700
	v_fmac_f32_e32 v8, 0x395133b1, v7
	v_fmaak_f32 v8, v7, v8, 0x3c0887f9
	v_fmaak_f32 v8, v7, v8, 0x3d2aaa81
	v_cvt_i32_f32_e32 v10, v5
	v_fmaak_f32 v8, v7, v8, 0x3e2aaaab
	v_fma_f32 v8, v7, v8, 0.5
	v_mul_f32_e32 v8, v7, v8
	s_mov_b32 s0, 0x43000000
	v_fmac_f32_e32 v7, v7, v8
	v_ldexp_f32 v8, 1.0, v10
	v_mov_b32_e32 v10, 0x7f000000
	v_cmp_eq_f32_e64 s[0:1], s0, v5
	s_nop 1
	v_cndmask_b32_e64 v5, v8, v10, s[0:1]
	v_add_f32_e32 v8, -1.0, v5
	v_fmac_f32_e32 v8, v5, v7
	v_add_f32_e32 v5, v8, v8
	v_cndmask_b32_e64 v5, v8, v5, s[0:1]
	s_mov_b32 s0, 0x42b17217
	v_mov_b32_e32 v7, 0x7f800000
	v_cmp_nlt_f32_e64 s[0:1], s0, v1
	s_nop 1
	v_cndmask_b32_e64 v5, v7, v5, s[0:1]
	s_mov_b32 s0, 0xc1880000
	v_cmp_ngt_f32_e64 s[0:1], s0, v1
	s_nop 1
	v_cndmask_b32_e64 v5, -1.0, v5, s[0:1]
	s_or_b64 exec, exec, s[2:3]
	s_and_saveexec_b64 s[0:1], vcc
	s_xor_b64 s[0:1], exec, s[0:1]
	s_cbranch_execz .LBB118_16
.LBB118_21:
	v_mov_b32_e32 v7, 0
	v_lshl_add_u64 v[0:1], v[6:7], 2, s[4:5]
	global_store_dword v[0:1], v2, off
	v_mov_b32_e32 v0, v9
	s_or_b64 exec, exec, s[0:1]
	v_cmp_gt_i32_e32 vcc, s9, v0
	s_and_saveexec_b64 s[0:1], vcc
	s_cbranch_execz .LBB118_17
.LBB118_22:
	v_add_u32_e32 v2, 0x100, v0
	v_add_u32_e32 v0, s8, v0
	v_mov_b32_e32 v1, 0
	v_lshl_add_u64 v[0:1], v[0:1], 2, s[4:5]
	global_store_dword v[0:1], v3, off
	v_mov_b32_e32 v0, v2
	s_or_b64 exec, exec, s[0:1]
	v_cmp_gt_i32_e32 vcc, s9, v0
	s_and_saveexec_b64 s[0:1], vcc
	s_cbranch_execz .LBB118_18
.LBB118_23:
	v_add_u32_e32 v2, 0x100, v0
	v_add_u32_e32 v0, s8, v0
	v_mov_b32_e32 v1, 0
	v_lshl_add_u64 v[0:1], v[0:1], 2, s[4:5]
	global_store_dword v[0:1], v4, off
	v_mov_b32_e32 v0, v2
	s_or_b64 exec, exec, s[0:1]
	v_cmp_gt_i32_e32 vcc, s9, v0
	s_and_saveexec_b64 s[0:1], vcc
	s_cbranch_execz .LBB118_19
.LBB118_24:
	v_add_u32_e32 v0, s8, v0
	v_mov_b32_e32 v1, 0
	v_lshl_add_u64 v[0:1], v[0:1], 2, s[4:5]
	global_store_dword v[0:1], v5, off
	s_endpgm
	.section	.rodata,"a",@progbits
	.p2align	6, 0x0
	.amdhsa_kernel _ZN2at6native27unrolled_elementwise_kernelIZZZNS0_17expm1_kernel_cudaERNS_18TensorIteratorBaseEENKUlvE_clEvENKUlvE0_clEvEUlfE_St5arrayIPcLm2EELi4E23TrivialOffsetCalculatorILi1EjESB_NS0_6memory15LoadWithoutCastENSC_16StoreWithoutCastEEEviT_T0_T2_T3_T4_T5_
		.amdhsa_group_segment_fixed_size 0
		.amdhsa_private_segment_fixed_size 0
		.amdhsa_kernarg_size 28
		.amdhsa_user_sgpr_count 2
		.amdhsa_user_sgpr_dispatch_ptr 0
		.amdhsa_user_sgpr_queue_ptr 0
		.amdhsa_user_sgpr_kernarg_segment_ptr 1
		.amdhsa_user_sgpr_dispatch_id 0
		.amdhsa_user_sgpr_kernarg_preload_length 0
		.amdhsa_user_sgpr_kernarg_preload_offset 0
		.amdhsa_user_sgpr_private_segment_size 0
		.amdhsa_uses_dynamic_stack 0
		.amdhsa_enable_private_segment 0
		.amdhsa_system_sgpr_workgroup_id_x 1
		.amdhsa_system_sgpr_workgroup_id_y 0
		.amdhsa_system_sgpr_workgroup_id_z 0
		.amdhsa_system_sgpr_workgroup_info 0
		.amdhsa_system_vgpr_workitem_id 0
		.amdhsa_next_free_vgpr 14
		.amdhsa_next_free_sgpr 10
		.amdhsa_accum_offset 16
		.amdhsa_reserve_vcc 1
		.amdhsa_float_round_mode_32 0
		.amdhsa_float_round_mode_16_64 0
		.amdhsa_float_denorm_mode_32 3
		.amdhsa_float_denorm_mode_16_64 3
		.amdhsa_dx10_clamp 1
		.amdhsa_ieee_mode 1
		.amdhsa_fp16_overflow 0
		.amdhsa_tg_split 0
		.amdhsa_exception_fp_ieee_invalid_op 0
		.amdhsa_exception_fp_denorm_src 0
		.amdhsa_exception_fp_ieee_div_zero 0
		.amdhsa_exception_fp_ieee_overflow 0
		.amdhsa_exception_fp_ieee_underflow 0
		.amdhsa_exception_fp_ieee_inexact 0
		.amdhsa_exception_int_div_zero 0
	.end_amdhsa_kernel
	.section	.text._ZN2at6native27unrolled_elementwise_kernelIZZZNS0_17expm1_kernel_cudaERNS_18TensorIteratorBaseEENKUlvE_clEvENKUlvE0_clEvEUlfE_St5arrayIPcLm2EELi4E23TrivialOffsetCalculatorILi1EjESB_NS0_6memory15LoadWithoutCastENSC_16StoreWithoutCastEEEviT_T0_T2_T3_T4_T5_,"axG",@progbits,_ZN2at6native27unrolled_elementwise_kernelIZZZNS0_17expm1_kernel_cudaERNS_18TensorIteratorBaseEENKUlvE_clEvENKUlvE0_clEvEUlfE_St5arrayIPcLm2EELi4E23TrivialOffsetCalculatorILi1EjESB_NS0_6memory15LoadWithoutCastENSC_16StoreWithoutCastEEEviT_T0_T2_T3_T4_T5_,comdat
.Lfunc_end118:
	.size	_ZN2at6native27unrolled_elementwise_kernelIZZZNS0_17expm1_kernel_cudaERNS_18TensorIteratorBaseEENKUlvE_clEvENKUlvE0_clEvEUlfE_St5arrayIPcLm2EELi4E23TrivialOffsetCalculatorILi1EjESB_NS0_6memory15LoadWithoutCastENSC_16StoreWithoutCastEEEviT_T0_T2_T3_T4_T5_, .Lfunc_end118-_ZN2at6native27unrolled_elementwise_kernelIZZZNS0_17expm1_kernel_cudaERNS_18TensorIteratorBaseEENKUlvE_clEvENKUlvE0_clEvEUlfE_St5arrayIPcLm2EELi4E23TrivialOffsetCalculatorILi1EjESB_NS0_6memory15LoadWithoutCastENSC_16StoreWithoutCastEEEviT_T0_T2_T3_T4_T5_
                                        ; -- End function
	.set _ZN2at6native27unrolled_elementwise_kernelIZZZNS0_17expm1_kernel_cudaERNS_18TensorIteratorBaseEENKUlvE_clEvENKUlvE0_clEvEUlfE_St5arrayIPcLm2EELi4E23TrivialOffsetCalculatorILi1EjESB_NS0_6memory15LoadWithoutCastENSC_16StoreWithoutCastEEEviT_T0_T2_T3_T4_T5_.num_vgpr, 14
	.set _ZN2at6native27unrolled_elementwise_kernelIZZZNS0_17expm1_kernel_cudaERNS_18TensorIteratorBaseEENKUlvE_clEvENKUlvE0_clEvEUlfE_St5arrayIPcLm2EELi4E23TrivialOffsetCalculatorILi1EjESB_NS0_6memory15LoadWithoutCastENSC_16StoreWithoutCastEEEviT_T0_T2_T3_T4_T5_.num_agpr, 0
	.set _ZN2at6native27unrolled_elementwise_kernelIZZZNS0_17expm1_kernel_cudaERNS_18TensorIteratorBaseEENKUlvE_clEvENKUlvE0_clEvEUlfE_St5arrayIPcLm2EELi4E23TrivialOffsetCalculatorILi1EjESB_NS0_6memory15LoadWithoutCastENSC_16StoreWithoutCastEEEviT_T0_T2_T3_T4_T5_.numbered_sgpr, 10
	.set _ZN2at6native27unrolled_elementwise_kernelIZZZNS0_17expm1_kernel_cudaERNS_18TensorIteratorBaseEENKUlvE_clEvENKUlvE0_clEvEUlfE_St5arrayIPcLm2EELi4E23TrivialOffsetCalculatorILi1EjESB_NS0_6memory15LoadWithoutCastENSC_16StoreWithoutCastEEEviT_T0_T2_T3_T4_T5_.num_named_barrier, 0
	.set _ZN2at6native27unrolled_elementwise_kernelIZZZNS0_17expm1_kernel_cudaERNS_18TensorIteratorBaseEENKUlvE_clEvENKUlvE0_clEvEUlfE_St5arrayIPcLm2EELi4E23TrivialOffsetCalculatorILi1EjESB_NS0_6memory15LoadWithoutCastENSC_16StoreWithoutCastEEEviT_T0_T2_T3_T4_T5_.private_seg_size, 0
	.set _ZN2at6native27unrolled_elementwise_kernelIZZZNS0_17expm1_kernel_cudaERNS_18TensorIteratorBaseEENKUlvE_clEvENKUlvE0_clEvEUlfE_St5arrayIPcLm2EELi4E23TrivialOffsetCalculatorILi1EjESB_NS0_6memory15LoadWithoutCastENSC_16StoreWithoutCastEEEviT_T0_T2_T3_T4_T5_.uses_vcc, 1
	.set _ZN2at6native27unrolled_elementwise_kernelIZZZNS0_17expm1_kernel_cudaERNS_18TensorIteratorBaseEENKUlvE_clEvENKUlvE0_clEvEUlfE_St5arrayIPcLm2EELi4E23TrivialOffsetCalculatorILi1EjESB_NS0_6memory15LoadWithoutCastENSC_16StoreWithoutCastEEEviT_T0_T2_T3_T4_T5_.uses_flat_scratch, 0
	.set _ZN2at6native27unrolled_elementwise_kernelIZZZNS0_17expm1_kernel_cudaERNS_18TensorIteratorBaseEENKUlvE_clEvENKUlvE0_clEvEUlfE_St5arrayIPcLm2EELi4E23TrivialOffsetCalculatorILi1EjESB_NS0_6memory15LoadWithoutCastENSC_16StoreWithoutCastEEEviT_T0_T2_T3_T4_T5_.has_dyn_sized_stack, 0
	.set _ZN2at6native27unrolled_elementwise_kernelIZZZNS0_17expm1_kernel_cudaERNS_18TensorIteratorBaseEENKUlvE_clEvENKUlvE0_clEvEUlfE_St5arrayIPcLm2EELi4E23TrivialOffsetCalculatorILi1EjESB_NS0_6memory15LoadWithoutCastENSC_16StoreWithoutCastEEEviT_T0_T2_T3_T4_T5_.has_recursion, 0
	.set _ZN2at6native27unrolled_elementwise_kernelIZZZNS0_17expm1_kernel_cudaERNS_18TensorIteratorBaseEENKUlvE_clEvENKUlvE0_clEvEUlfE_St5arrayIPcLm2EELi4E23TrivialOffsetCalculatorILi1EjESB_NS0_6memory15LoadWithoutCastENSC_16StoreWithoutCastEEEviT_T0_T2_T3_T4_T5_.has_indirect_call, 0
	.section	.AMDGPU.csdata,"",@progbits
; Kernel info:
; codeLenInByte = 1496
; TotalNumSgprs: 16
; NumVgprs: 14
; NumAgprs: 0
; TotalNumVgprs: 14
; ScratchSize: 0
; MemoryBound: 0
; FloatMode: 240
; IeeeMode: 1
; LDSByteSize: 0 bytes/workgroup (compile time only)
; SGPRBlocks: 1
; VGPRBlocks: 1
; NumSGPRsForWavesPerEU: 16
; NumVGPRsForWavesPerEU: 14
; AccumOffset: 16
; Occupancy: 8
; WaveLimiterHint : 0
; COMPUTE_PGM_RSRC2:SCRATCH_EN: 0
; COMPUTE_PGM_RSRC2:USER_SGPR: 2
; COMPUTE_PGM_RSRC2:TRAP_HANDLER: 0
; COMPUTE_PGM_RSRC2:TGID_X_EN: 1
; COMPUTE_PGM_RSRC2:TGID_Y_EN: 0
; COMPUTE_PGM_RSRC2:TGID_Z_EN: 0
; COMPUTE_PGM_RSRC2:TIDIG_COMP_CNT: 0
; COMPUTE_PGM_RSRC3_GFX90A:ACCUM_OFFSET: 3
; COMPUTE_PGM_RSRC3_GFX90A:TG_SPLIT: 0
	.section	.text._ZN2at6native32elementwise_kernel_manual_unrollILi128ELi4EZNS0_22gpu_kernel_impl_nocastIZZZNS0_17expm1_kernel_cudaERNS_18TensorIteratorBaseEENKUlvE_clEvENKUlvE0_clEvEUlfE_EEvS4_RKT_EUlibE_EEviT1_,"axG",@progbits,_ZN2at6native32elementwise_kernel_manual_unrollILi128ELi4EZNS0_22gpu_kernel_impl_nocastIZZZNS0_17expm1_kernel_cudaERNS_18TensorIteratorBaseEENKUlvE_clEvENKUlvE0_clEvEUlfE_EEvS4_RKT_EUlibE_EEviT1_,comdat
	.globl	_ZN2at6native32elementwise_kernel_manual_unrollILi128ELi4EZNS0_22gpu_kernel_impl_nocastIZZZNS0_17expm1_kernel_cudaERNS_18TensorIteratorBaseEENKUlvE_clEvENKUlvE0_clEvEUlfE_EEvS4_RKT_EUlibE_EEviT1_ ; -- Begin function _ZN2at6native32elementwise_kernel_manual_unrollILi128ELi4EZNS0_22gpu_kernel_impl_nocastIZZZNS0_17expm1_kernel_cudaERNS_18TensorIteratorBaseEENKUlvE_clEvENKUlvE0_clEvEUlfE_EEvS4_RKT_EUlibE_EEviT1_
	.p2align	8
	.type	_ZN2at6native32elementwise_kernel_manual_unrollILi128ELi4EZNS0_22gpu_kernel_impl_nocastIZZZNS0_17expm1_kernel_cudaERNS_18TensorIteratorBaseEENKUlvE_clEvENKUlvE0_clEvEUlfE_EEvS4_RKT_EUlibE_EEviT1_,@function
_ZN2at6native32elementwise_kernel_manual_unrollILi128ELi4EZNS0_22gpu_kernel_impl_nocastIZZZNS0_17expm1_kernel_cudaERNS_18TensorIteratorBaseEENKUlvE_clEvENKUlvE0_clEvEUlfE_EEvS4_RKT_EUlibE_EEviT1_: ; @_ZN2at6native32elementwise_kernel_manual_unrollILi128ELi4EZNS0_22gpu_kernel_impl_nocastIZZZNS0_17expm1_kernel_cudaERNS_18TensorIteratorBaseEENKUlvE_clEvENKUlvE0_clEvEUlfE_EEvS4_RKT_EUlibE_EEviT1_
; %bb.0:
	s_load_dword s55, s[0:1], 0x0
	s_load_dword s33, s[0:1], 0x8
	s_add_u32 s34, s0, 8
	s_addc_u32 s35, s1, 0
	v_lshl_or_b32 v8, s2, 9, v0
	v_or_b32_e32 v16, 0x180, v8
	s_waitcnt lgkmcnt(0)
	s_add_i32 s54, s33, -1
	s_cmp_gt_u32 s54, 1
	v_cmp_le_i32_e32 vcc, s55, v16
	s_cselect_b64 s[36:37], -1, 0
	s_and_saveexec_b64 s[0:1], vcc
	s_xor_b64 s[38:39], exec, s[0:1]
	s_cbranch_execz .LBB119_8
; %bb.1:
	s_load_dwordx4 s[24:27], s[34:35], 0x4
	s_load_dwordx2 s[40:41], s[34:35], 0x14
	s_load_dwordx4 s[20:23], s[34:35], 0xc4
	s_load_dwordx4 s[16:19], s[34:35], 0x148
	s_cmp_lg_u32 s33, 0
	s_cselect_b64 s[46:47], -1, 0
	s_add_u32 s44, s34, 0xc4
	s_addc_u32 s45, s35, 0
	s_min_u32 s56, s54, 15
	s_cmp_gt_u32 s33, 1
	s_cselect_b64 s[42:43], -1, 0
	v_cmp_gt_i32_e32 vcc, s55, v8
	s_and_saveexec_b64 s[48:49], vcc
	s_cbranch_execz .LBB119_15
; %bb.2:
	s_andn2_b64 vcc, exec, s[36:37]
	s_cbranch_vccnz .LBB119_23
; %bb.3:
	s_andn2_b64 vcc, exec, s[46:47]
	s_cbranch_vccnz .LBB119_75
; %bb.4:
	s_add_i32 s58, s56, 1
	s_cmp_eq_u32 s54, 2
	s_cbranch_scc1 .LBB119_77
; %bb.5:
	s_and_b32 s57, s58, 28
	s_mov_b32 s59, 0
	v_mov_b32_e32 v0, 0
	v_mov_b32_e32 v2, 0
	s_mov_b64 s[50:51], s[34:35]
	s_mov_b64 s[52:53], s[44:45]
	v_mov_b32_e32 v4, v8
.LBB119_6:                              ; =>This Inner Loop Header: Depth=1
	s_load_dwordx8 s[8:15], s[50:51], 0x4
	s_load_dwordx4 s[28:31], s[50:51], 0x24
	s_load_dwordx8 s[0:7], s[52:53], 0x0
	s_add_u32 s50, s50, 48
	s_addc_u32 s51, s51, 0
	s_waitcnt lgkmcnt(0)
	v_mul_hi_u32 v1, s9, v4
	v_add_u32_e32 v1, v4, v1
	v_lshrrev_b32_e32 v1, s10, v1
	v_mul_lo_u32 v3, v1, s8
	v_mul_hi_u32 v5, s12, v1
	v_sub_u32_e32 v3, v4, v3
	v_add_u32_e32 v4, v1, v5
	v_lshrrev_b32_e32 v4, s13, v4
	v_mul_lo_u32 v6, v4, s11
	v_mul_hi_u32 v7, s15, v4
	v_sub_u32_e32 v1, v1, v6
	v_add_u32_e32 v6, v4, v7
	v_mul_lo_u32 v5, v3, s1
	v_mul_lo_u32 v3, v3, s0
	;; [unrolled: 1-line block ×4, first 2 shown]
	v_lshrrev_b32_e32 v6, s28, v6
	v_add3_u32 v0, v3, v0, v1
	v_mul_hi_u32 v3, s30, v6
	v_add3_u32 v1, v5, v2, v7
	v_mul_lo_u32 v2, v6, s14
	v_add_u32_e32 v3, v6, v3
	v_sub_u32_e32 v2, v4, v2
	v_lshrrev_b32_e32 v4, s31, v3
	s_add_i32 s59, s59, 4
	v_mul_lo_u32 v3, v4, s29
	s_add_u32 s52, s52, 32
	v_sub_u32_e32 v3, v6, v3
	s_addc_u32 s53, s53, 0
	v_mul_lo_u32 v5, v2, s4
	v_mul_lo_u32 v2, v2, s5
	;; [unrolled: 1-line block ×4, first 2 shown]
	s_cmp_lg_u32 s57, s59
	v_add3_u32 v2, v2, v1, v3
	v_add3_u32 v0, v5, v0, v6
	s_cbranch_scc1 .LBB119_6
; %bb.7:
	v_mov_b32_e32 v1, v2
	s_branch .LBB119_78
.LBB119_8:
	s_andn2_saveexec_b64 s[0:1], s[38:39]
	s_cbranch_execz .LBB119_104
.LBB119_9:
	v_cndmask_b32_e64 v0, 0, 1, s[36:37]
	v_cmp_ne_u32_e64 s[0:1], 1, v0
	s_andn2_b64 vcc, exec, s[36:37]
	s_cbranch_vccnz .LBB119_22
; %bb.10:
	s_cmp_lg_u32 s33, 0
	s_waitcnt lgkmcnt(0)
	s_mov_b32 s26, 0
	s_cbranch_scc0 .LBB119_25
; %bb.11:
	s_min_u32 s27, s54, 15
	s_add_i32 s27, s27, 1
	s_cmp_eq_u32 s54, 2
	s_cbranch_scc1 .LBB119_26
; %bb.12:
	s_and_b32 s26, s27, 28
	s_add_u32 s2, s34, 0xc4
	s_addc_u32 s3, s35, 0
	s_mov_b32 s28, 0
	v_mov_b32_e32 v0, 0
	v_mov_b32_e32 v2, 0
	s_mov_b64 s[24:25], s[34:35]
	v_mov_b32_e32 v4, v8
.LBB119_13:                             ; =>This Inner Loop Header: Depth=1
	s_load_dwordx8 s[12:19], s[24:25], 0x4
	s_load_dwordx4 s[20:23], s[24:25], 0x24
	s_load_dwordx8 s[4:11], s[2:3], 0x0
	s_add_u32 s24, s24, 48
	s_addc_u32 s25, s25, 0
	s_waitcnt lgkmcnt(0)
	v_mul_hi_u32 v1, s13, v4
	v_add_u32_e32 v1, v4, v1
	v_lshrrev_b32_e32 v1, s14, v1
	v_mul_lo_u32 v3, v1, s12
	v_mul_hi_u32 v5, s16, v1
	v_sub_u32_e32 v3, v4, v3
	v_add_u32_e32 v4, v1, v5
	v_lshrrev_b32_e32 v4, s17, v4
	v_mul_lo_u32 v6, v4, s15
	v_mul_hi_u32 v7, s19, v4
	v_sub_u32_e32 v1, v1, v6
	v_add_u32_e32 v6, v4, v7
	v_mul_lo_u32 v5, v3, s5
	v_mul_lo_u32 v3, v3, s4
	v_mul_lo_u32 v7, v1, s7
	v_mul_lo_u32 v1, v1, s6
	v_lshrrev_b32_e32 v6, s20, v6
	v_add3_u32 v0, v3, v0, v1
	v_mul_hi_u32 v3, s22, v6
	v_add3_u32 v1, v5, v2, v7
	v_mul_lo_u32 v2, v6, s18
	v_add_u32_e32 v3, v6, v3
	v_sub_u32_e32 v2, v4, v2
	v_lshrrev_b32_e32 v4, s23, v3
	s_add_i32 s28, s28, 4
	v_mul_lo_u32 v3, v4, s21
	s_add_u32 s2, s2, 32
	v_sub_u32_e32 v3, v6, v3
	s_addc_u32 s3, s3, 0
	v_mul_lo_u32 v5, v2, s8
	v_mul_lo_u32 v2, v2, s9
	;; [unrolled: 1-line block ×4, first 2 shown]
	s_cmp_lg_u32 s26, s28
	v_add3_u32 v2, v2, v1, v3
	v_add3_u32 v0, v5, v0, v6
	s_cbranch_scc1 .LBB119_13
; %bb.14:
	v_mov_b32_e32 v1, v2
	s_and_b32 s6, s27, 3
	s_cmp_eq_u32 s6, 0
	s_cbranch_scc0 .LBB119_27
	s_branch .LBB119_29
.LBB119_15:
	s_or_b64 exec, exec, s[48:49]
	v_cmp_gt_i32_e32 vcc, s55, v8
	s_and_saveexec_b64 s[48:49], vcc
	s_cbranch_execz .LBB119_85
.LBB119_16:
	s_andn2_b64 vcc, exec, s[36:37]
	s_cbranch_vccnz .LBB119_24
; %bb.17:
	s_andn2_b64 vcc, exec, s[46:47]
	s_cbranch_vccnz .LBB119_76
; %bb.18:
	s_add_i32 s58, s56, 1
	s_cmp_eq_u32 s54, 2
	s_cbranch_scc1 .LBB119_94
; %bb.19:
	s_and_b32 s57, s58, 28
	s_mov_b32 s59, 0
	v_mov_b32_e32 v0, 0
	v_mov_b32_e32 v2, 0
	s_mov_b64 s[50:51], s[34:35]
	s_mov_b64 s[52:53], s[44:45]
	v_mov_b32_e32 v4, v8
.LBB119_20:                             ; =>This Inner Loop Header: Depth=1
	s_load_dwordx8 s[8:15], s[50:51], 0x4
	s_load_dwordx4 s[28:31], s[50:51], 0x24
	s_load_dwordx8 s[0:7], s[52:53], 0x0
	s_add_u32 s50, s50, 48
	s_addc_u32 s51, s51, 0
	s_waitcnt lgkmcnt(0)
	v_mul_hi_u32 v1, s9, v4
	v_add_u32_e32 v1, v4, v1
	v_lshrrev_b32_e32 v1, s10, v1
	v_mul_lo_u32 v3, v1, s8
	v_mul_hi_u32 v5, s12, v1
	v_sub_u32_e32 v3, v4, v3
	v_add_u32_e32 v4, v1, v5
	v_lshrrev_b32_e32 v4, s13, v4
	v_mul_lo_u32 v6, v4, s11
	v_mul_hi_u32 v7, s15, v4
	v_sub_u32_e32 v1, v1, v6
	v_add_u32_e32 v6, v4, v7
	v_mul_lo_u32 v5, v3, s1
	v_mul_lo_u32 v3, v3, s0
	;; [unrolled: 1-line block ×4, first 2 shown]
	v_lshrrev_b32_e32 v6, s28, v6
	v_add3_u32 v0, v3, v0, v1
	v_mul_hi_u32 v3, s30, v6
	v_add3_u32 v1, v5, v2, v7
	v_mul_lo_u32 v2, v6, s14
	v_add_u32_e32 v3, v6, v3
	v_sub_u32_e32 v2, v4, v2
	v_lshrrev_b32_e32 v4, s31, v3
	s_add_i32 s59, s59, 4
	v_mul_lo_u32 v3, v4, s29
	s_add_u32 s52, s52, 32
	v_sub_u32_e32 v3, v6, v3
	s_addc_u32 s53, s53, 0
	v_mul_lo_u32 v5, v2, s4
	v_mul_lo_u32 v2, v2, s5
	;; [unrolled: 1-line block ×4, first 2 shown]
	s_cmp_eq_u32 s57, s59
	v_add3_u32 v2, v2, v1, v3
	v_add3_u32 v0, v5, v0, v6
	s_cbranch_scc0 .LBB119_20
; %bb.21:
	v_mov_b32_e32 v1, v2
	s_branch .LBB119_95
.LBB119_22:
                                        ; implicit-def: $vgpr2
                                        ; implicit-def: $vgpr0
	s_branch .LBB119_30
.LBB119_23:
                                        ; implicit-def: $vgpr2
                                        ; implicit-def: $vgpr0
	s_branch .LBB119_82
.LBB119_24:
                                        ; implicit-def: $vgpr2
                                        ; implicit-def: $vgpr0
	s_branch .LBB119_99
.LBB119_25:
	v_mov_b32_e32 v2, 0
	v_mov_b32_e32 v0, 0
	s_branch .LBB119_29
.LBB119_26:
	v_mov_b32_e32 v0, 0
                                        ; implicit-def: $vgpr2
	v_mov_b32_e32 v1, v0
	v_mov_b32_e32 v4, v8
	s_and_b32 s6, s27, 3
	s_cmp_eq_u32 s6, 0
	s_cbranch_scc1 .LBB119_29
.LBB119_27:
	s_lshl_b32 s2, s26, 3
	s_add_u32 s2, s34, s2
	s_addc_u32 s3, s35, 0
	s_add_u32 s2, s2, 0xc4
	s_addc_u32 s3, s3, 0
	s_mul_i32 s4, s26, 12
	s_add_u32 s4, s34, s4
	s_addc_u32 s5, s35, 0
.LBB119_28:                             ; =>This Inner Loop Header: Depth=1
	s_load_dwordx2 s[8:9], s[4:5], 0x4
	s_load_dword s7, s[4:5], 0xc
	s_load_dwordx2 s[10:11], s[2:3], 0x0
	v_mov_b32_e32 v2, v1
	s_add_u32 s4, s4, 12
	s_waitcnt lgkmcnt(0)
	v_mul_hi_u32 v1, s9, v4
	v_add_u32_e32 v1, v4, v1
	v_lshrrev_b32_e32 v1, s7, v1
	s_addc_u32 s5, s5, 0
	v_mul_lo_u32 v3, v1, s8
	s_add_u32 s2, s2, 8
	v_sub_u32_e32 v5, v4, v3
	s_addc_u32 s3, s3, 0
	s_add_i32 s6, s6, -1
	v_mov_b32_e32 v4, v1
	v_mad_u64_u32 v[2:3], s[8:9], v5, s11, v[2:3]
	v_mad_u64_u32 v[0:1], s[8:9], v5, s10, v[0:1]
	s_cmp_lg_u32 s6, 0
	v_mov_b32_e32 v1, v2
	s_cbranch_scc1 .LBB119_28
.LBB119_29:
	s_cbranch_execnz .LBB119_32
.LBB119_30:
	s_load_dwordx4 s[4:7], s[34:35], 0x4
	s_load_dwordx2 s[2:3], s[34:35], 0xc4
	s_cmp_lt_u32 s33, 2
	s_waitcnt lgkmcnt(0)
	v_mul_hi_u32 v0, s5, v8
	v_add_u32_e32 v0, v8, v0
	v_lshrrev_b32_e32 v1, s6, v0
	v_mul_lo_u32 v0, v1, s4
	v_sub_u32_e32 v0, v8, v0
	v_mul_lo_u32 v2, v0, s3
	v_mul_lo_u32 v0, v0, s2
	s_cbranch_scc1 .LBB119_32
; %bb.31:
	s_load_dwordx4 s[4:7], s[34:35], 0x10
	s_load_dwordx2 s[2:3], s[34:35], 0xcc
	s_waitcnt lgkmcnt(0)
	v_mul_hi_u32 v3, s5, v1
	v_add_u32_e32 v3, v1, v3
	v_lshrrev_b32_e32 v3, s6, v3
	v_mul_lo_u32 v3, v3, s4
	v_sub_u32_e32 v3, v1, v3
	v_mad_u64_u32 v[0:1], s[4:5], v3, s2, v[0:1]
	v_mad_u64_u32 v[2:3], s[2:3], v3, s3, v[2:3]
.LBB119_32:
	s_and_b64 vcc, exec, s[0:1]
	v_add_u32_e32 v3, 0x80, v8
	s_cbranch_vccnz .LBB119_38
; %bb.33:
	s_cmp_lg_u32 s33, 0
	s_waitcnt lgkmcnt(0)
	s_mov_b32 s26, 0
	s_cbranch_scc0 .LBB119_39
; %bb.34:
	s_min_u32 s27, s54, 15
	s_add_i32 s27, s27, 1
	s_cmp_eq_u32 s54, 2
	s_cbranch_scc1 .LBB119_40
; %bb.35:
	s_and_b32 s26, s27, 28
	s_add_u32 s2, s34, 0xc4
	s_addc_u32 s3, s35, 0
	s_mov_b32 s28, 0
	v_mov_b32_e32 v4, 0
	v_mov_b32_e32 v6, 0
	s_mov_b64 s[24:25], s[34:35]
	v_mov_b32_e32 v9, v3
.LBB119_36:                             ; =>This Inner Loop Header: Depth=1
	s_load_dwordx8 s[12:19], s[24:25], 0x4
	s_load_dwordx4 s[20:23], s[24:25], 0x24
	s_load_dwordx8 s[4:11], s[2:3], 0x0
	s_add_u32 s24, s24, 48
	s_addc_u32 s25, s25, 0
	s_waitcnt lgkmcnt(0)
	v_mul_hi_u32 v1, s13, v9
	v_add_u32_e32 v1, v9, v1
	v_lshrrev_b32_e32 v1, s14, v1
	v_mul_hi_u32 v7, s16, v1
	v_add_u32_e32 v7, v1, v7
	v_lshrrev_b32_e32 v7, s17, v7
	v_mul_lo_u32 v5, v1, s12
	v_mul_lo_u32 v10, v7, s15
	v_mul_hi_u32 v11, s19, v7
	v_sub_u32_e32 v5, v9, v5
	v_sub_u32_e32 v1, v1, v10
	v_add_u32_e32 v10, v7, v11
	v_mul_lo_u32 v9, v5, s5
	v_mul_lo_u32 v5, v5, s4
	;; [unrolled: 1-line block ×4, first 2 shown]
	v_lshrrev_b32_e32 v10, s20, v10
	v_add3_u32 v1, v5, v4, v1
	v_add3_u32 v4, v9, v6, v11
	v_mul_hi_u32 v6, s22, v10
	v_add_u32_e32 v6, v10, v6
	v_lshrrev_b32_e32 v9, s23, v6
	s_add_i32 s28, s28, 4
	v_mul_lo_u32 v5, v10, s18
	v_mul_lo_u32 v6, v9, s21
	s_add_u32 s2, s2, 32
	v_sub_u32_e32 v5, v7, v5
	v_sub_u32_e32 v6, v10, v6
	s_addc_u32 s3, s3, 0
	v_mul_lo_u32 v7, v5, s8
	v_mul_lo_u32 v5, v5, s9
	;; [unrolled: 1-line block ×4, first 2 shown]
	s_cmp_lg_u32 s26, s28
	v_add3_u32 v6, v5, v4, v6
	v_add3_u32 v4, v7, v1, v10
	s_cbranch_scc1 .LBB119_36
; %bb.37:
	v_mov_b32_e32 v1, v6
	s_and_b32 s6, s27, 3
	s_cmp_eq_u32 s6, 0
	s_cbranch_scc0 .LBB119_41
	s_branch .LBB119_43
.LBB119_38:
                                        ; implicit-def: $vgpr6
                                        ; implicit-def: $vgpr4
	s_branch .LBB119_44
.LBB119_39:
	v_mov_b32_e32 v6, 0
	v_mov_b32_e32 v4, 0
	s_branch .LBB119_43
.LBB119_40:
	v_mov_b32_e32 v4, 0
                                        ; implicit-def: $vgpr6
	v_mov_b32_e32 v1, v4
	v_mov_b32_e32 v9, v3
	s_and_b32 s6, s27, 3
	s_cmp_eq_u32 s6, 0
	s_cbranch_scc1 .LBB119_43
.LBB119_41:
	s_lshl_b32 s2, s26, 3
	s_add_u32 s2, s34, s2
	s_addc_u32 s3, s35, 0
	s_add_u32 s2, s2, 0xc4
	s_addc_u32 s3, s3, 0
	s_mul_i32 s4, s26, 12
	s_add_u32 s4, s34, s4
	s_addc_u32 s5, s35, 0
.LBB119_42:                             ; =>This Inner Loop Header: Depth=1
	s_load_dwordx2 s[8:9], s[4:5], 0x4
	s_load_dword s7, s[4:5], 0xc
	s_load_dwordx2 s[10:11], s[2:3], 0x0
	v_mov_b32_e32 v6, v1
	s_add_u32 s4, s4, 12
	s_waitcnt lgkmcnt(0)
	v_mul_hi_u32 v1, s9, v9
	v_add_u32_e32 v1, v9, v1
	v_lshrrev_b32_e32 v1, s7, v1
	s_addc_u32 s5, s5, 0
	v_mul_lo_u32 v5, v1, s8
	s_add_u32 s2, s2, 8
	v_sub_u32_e32 v5, v9, v5
	s_addc_u32 s3, s3, 0
	s_add_i32 s6, s6, -1
	v_mad_u64_u32 v[6:7], s[8:9], v5, s11, v[6:7]
	s_cmp_lg_u32 s6, 0
	v_mov_b32_e32 v9, v1
	v_mad_u64_u32 v[4:5], s[8:9], v5, s10, v[4:5]
	v_mov_b32_e32 v1, v6
	s_cbranch_scc1 .LBB119_42
.LBB119_43:
	s_cbranch_execnz .LBB119_46
.LBB119_44:
	s_load_dwordx4 s[4:7], s[34:35], 0x4
	s_load_dwordx2 s[2:3], s[34:35], 0xc4
	s_cmp_lt_u32 s33, 2
	s_waitcnt lgkmcnt(0)
	v_mul_hi_u32 v1, s5, v3
	v_add_u32_e32 v1, v3, v1
	v_lshrrev_b32_e32 v1, s6, v1
	v_mul_lo_u32 v4, v1, s4
	v_sub_u32_e32 v3, v3, v4
	v_mul_lo_u32 v6, v3, s3
	v_mul_lo_u32 v4, v3, s2
	s_cbranch_scc1 .LBB119_46
; %bb.45:
	s_load_dwordx4 s[4:7], s[34:35], 0x10
	s_load_dwordx2 s[2:3], s[34:35], 0xcc
	s_waitcnt lgkmcnt(0)
	v_mul_hi_u32 v3, s5, v1
	v_add_u32_e32 v3, v1, v3
	v_lshrrev_b32_e32 v3, s6, v3
	v_mul_lo_u32 v3, v3, s4
	v_sub_u32_e32 v1, v1, v3
	v_mad_u64_u32 v[4:5], s[4:5], v1, s2, v[4:5]
	v_mad_u64_u32 v[6:7], s[2:3], v1, s3, v[6:7]
.LBB119_46:
	s_and_b64 vcc, exec, s[0:1]
	v_add_u32_e32 v3, 0x100, v8
	s_cbranch_vccnz .LBB119_52
; %bb.47:
	s_cmp_lg_u32 s33, 0
	s_waitcnt lgkmcnt(0)
	s_mov_b32 s26, 0
	s_cbranch_scc0 .LBB119_53
; %bb.48:
	s_min_u32 s27, s54, 15
	s_add_i32 s27, s27, 1
	s_cmp_eq_u32 s54, 2
	s_cbranch_scc1 .LBB119_54
; %bb.49:
	s_and_b32 s26, s27, 28
	s_add_u32 s2, s34, 0xc4
	s_addc_u32 s3, s35, 0
	s_mov_b32 s28, 0
	v_mov_b32_e32 v8, 0
	v_mov_b32_e32 v10, 0
	s_mov_b64 s[24:25], s[34:35]
	v_mov_b32_e32 v5, v3
.LBB119_50:                             ; =>This Inner Loop Header: Depth=1
	s_load_dwordx8 s[12:19], s[24:25], 0x4
	s_load_dwordx4 s[20:23], s[24:25], 0x24
	s_load_dwordx8 s[4:11], s[2:3], 0x0
	s_add_u32 s24, s24, 48
	s_addc_u32 s25, s25, 0
	s_waitcnt lgkmcnt(0)
	v_mul_hi_u32 v1, s13, v5
	v_add_u32_e32 v1, v5, v1
	v_lshrrev_b32_e32 v1, s14, v1
	v_mul_lo_u32 v7, v1, s12
	v_mul_hi_u32 v9, s16, v1
	v_sub_u32_e32 v5, v5, v7
	v_add_u32_e32 v7, v1, v9
	v_lshrrev_b32_e32 v7, s17, v7
	v_mul_lo_u32 v11, v7, s15
	v_mul_hi_u32 v12, s19, v7
	v_sub_u32_e32 v1, v1, v11
	v_add_u32_e32 v11, v7, v12
	v_mul_lo_u32 v9, v5, s5
	v_mul_lo_u32 v5, v5, s4
	;; [unrolled: 1-line block ×4, first 2 shown]
	v_lshrrev_b32_e32 v11, s20, v11
	v_add3_u32 v1, v5, v8, v1
	v_add3_u32 v8, v9, v10, v12
	v_mul_lo_u32 v5, v11, s18
	v_mul_hi_u32 v9, s22, v11
	v_sub_u32_e32 v5, v7, v5
	v_add_u32_e32 v7, v11, v9
	v_mul_lo_u32 v9, v5, s8
	v_mul_lo_u32 v10, v5, s9
	v_lshrrev_b32_e32 v5, s23, v7
	s_add_i32 s28, s28, 4
	v_mul_lo_u32 v7, v5, s21
	s_add_u32 s2, s2, 32
	v_sub_u32_e32 v7, v11, v7
	s_addc_u32 s3, s3, 0
	v_mul_lo_u32 v11, v7, s10
	v_mul_lo_u32 v7, v7, s11
	s_cmp_lg_u32 s26, s28
	v_add3_u32 v10, v10, v8, v7
	v_add3_u32 v8, v9, v1, v11
	s_cbranch_scc1 .LBB119_50
; %bb.51:
	v_mov_b32_e32 v1, v10
	s_and_b32 s6, s27, 3
	s_cmp_eq_u32 s6, 0
	s_cbranch_scc0 .LBB119_55
	s_branch .LBB119_57
.LBB119_52:
                                        ; implicit-def: $vgpr10
                                        ; implicit-def: $vgpr8
	s_branch .LBB119_58
.LBB119_53:
	v_mov_b32_e32 v10, 0
	v_mov_b32_e32 v8, 0
	s_branch .LBB119_57
.LBB119_54:
	v_mov_b32_e32 v8, 0
                                        ; implicit-def: $vgpr10
	v_mov_b32_e32 v1, v8
	v_mov_b32_e32 v5, v3
	s_and_b32 s6, s27, 3
	s_cmp_eq_u32 s6, 0
	s_cbranch_scc1 .LBB119_57
.LBB119_55:
	s_lshl_b32 s2, s26, 3
	s_add_u32 s2, s34, s2
	s_addc_u32 s3, s35, 0
	s_add_u32 s2, s2, 0xc4
	s_addc_u32 s3, s3, 0
	s_mul_i32 s4, s26, 12
	s_add_u32 s4, s34, s4
	s_addc_u32 s5, s35, 0
.LBB119_56:                             ; =>This Inner Loop Header: Depth=1
	s_load_dwordx2 s[8:9], s[4:5], 0x4
	s_load_dword s7, s[4:5], 0xc
	s_load_dwordx2 s[10:11], s[2:3], 0x0
	v_mov_b32_e32 v10, v1
	s_add_u32 s4, s4, 12
	s_waitcnt lgkmcnt(0)
	v_mul_hi_u32 v1, s9, v5
	v_add_u32_e32 v1, v5, v1
	v_lshrrev_b32_e32 v1, s7, v1
	s_addc_u32 s5, s5, 0
	v_mul_lo_u32 v7, v1, s8
	s_add_u32 s2, s2, 8
	v_sub_u32_e32 v7, v5, v7
	s_addc_u32 s3, s3, 0
	s_add_i32 s6, s6, -1
	v_mad_u64_u32 v[10:11], s[8:9], v7, s11, v[10:11]
	s_cmp_lg_u32 s6, 0
	v_mov_b32_e32 v5, v1
	v_mad_u64_u32 v[8:9], s[8:9], v7, s10, v[8:9]
	v_mov_b32_e32 v1, v10
	s_cbranch_scc1 .LBB119_56
.LBB119_57:
	s_cbranch_execnz .LBB119_60
.LBB119_58:
	s_load_dwordx4 s[4:7], s[34:35], 0x4
	s_load_dwordx2 s[2:3], s[34:35], 0xc4
	s_cmp_lt_u32 s33, 2
	s_waitcnt lgkmcnt(0)
	v_mul_hi_u32 v1, s5, v3
	v_add_u32_e32 v1, v3, v1
	v_lshrrev_b32_e32 v1, s6, v1
	v_mul_lo_u32 v5, v1, s4
	v_sub_u32_e32 v3, v3, v5
	v_mul_lo_u32 v10, v3, s3
	v_mul_lo_u32 v8, v3, s2
	s_cbranch_scc1 .LBB119_60
; %bb.59:
	s_load_dwordx4 s[4:7], s[34:35], 0x10
	s_load_dwordx2 s[2:3], s[34:35], 0xcc
	s_waitcnt lgkmcnt(0)
	v_mul_hi_u32 v3, s5, v1
	v_add_u32_e32 v3, v1, v3
	v_lshrrev_b32_e32 v3, s6, v3
	v_mul_lo_u32 v3, v3, s4
	v_sub_u32_e32 v1, v1, v3
	v_mad_u64_u32 v[8:9], s[4:5], v1, s2, v[8:9]
	v_mad_u64_u32 v[10:11], s[2:3], v1, s3, v[10:11]
.LBB119_60:
	s_and_b64 vcc, exec, s[0:1]
	s_cbranch_vccnz .LBB119_66
; %bb.61:
	s_cmp_lg_u32 s33, 0
	s_waitcnt lgkmcnt(0)
	s_mov_b32 s24, 0
	s_cbranch_scc0 .LBB119_67
; %bb.62:
	s_min_u32 s25, s54, 15
	s_add_i32 s25, s25, 1
	s_cmp_eq_u32 s54, 2
	s_cbranch_scc1 .LBB119_68
; %bb.63:
	s_and_b32 s24, s25, 28
	s_add_u32 s20, s34, 0xc4
	s_addc_u32 s21, s35, 0
	s_mov_b32 s26, 0
	v_mov_b32_e32 v12, 0
	v_mov_b32_e32 v14, 0
	s_mov_b64 s[22:23], s[34:35]
	v_mov_b32_e32 v3, v16
.LBB119_64:                             ; =>This Inner Loop Header: Depth=1
	s_load_dwordx8 s[8:15], s[22:23], 0x4
	s_load_dwordx4 s[16:19], s[22:23], 0x24
	s_load_dwordx8 s[0:7], s[20:21], 0x0
	s_add_u32 s22, s22, 48
	s_addc_u32 s23, s23, 0
	s_waitcnt lgkmcnt(0)
	v_mul_hi_u32 v1, s9, v3
	v_add_u32_e32 v1, v3, v1
	v_lshrrev_b32_e32 v1, s10, v1
	v_mul_lo_u32 v5, v1, s8
	v_mul_hi_u32 v7, s12, v1
	v_sub_u32_e32 v3, v3, v5
	v_add_u32_e32 v5, v1, v7
	v_lshrrev_b32_e32 v5, s13, v5
	v_mul_lo_u32 v9, v5, s11
	v_mul_hi_u32 v11, s15, v5
	v_sub_u32_e32 v1, v1, v9
	v_add_u32_e32 v9, v5, v11
	v_mul_lo_u32 v7, v3, s1
	v_mul_lo_u32 v3, v3, s0
	;; [unrolled: 1-line block ×4, first 2 shown]
	v_lshrrev_b32_e32 v9, s16, v9
	v_add3_u32 v1, v3, v12, v1
	v_add3_u32 v7, v7, v14, v11
	v_mul_lo_u32 v3, v9, s14
	v_mul_hi_u32 v11, s18, v9
	v_sub_u32_e32 v3, v5, v3
	v_add_u32_e32 v5, v9, v11
	v_mul_lo_u32 v11, v3, s4
	v_mul_lo_u32 v12, v3, s5
	v_lshrrev_b32_e32 v3, s19, v5
	s_add_i32 s26, s26, 4
	v_mul_lo_u32 v5, v3, s17
	s_add_u32 s20, s20, 32
	v_sub_u32_e32 v5, v9, v5
	s_addc_u32 s21, s21, 0
	v_mul_lo_u32 v9, v5, s6
	v_mul_lo_u32 v5, v5, s7
	s_cmp_lg_u32 s24, s26
	v_add3_u32 v14, v12, v7, v5
	v_add3_u32 v12, v11, v1, v9
	s_cbranch_scc1 .LBB119_64
; %bb.65:
	v_mov_b32_e32 v1, v14
	s_and_b32 s4, s25, 3
	s_cmp_eq_u32 s4, 0
	s_cbranch_scc0 .LBB119_69
	s_branch .LBB119_71
.LBB119_66:
                                        ; implicit-def: $vgpr14
                                        ; implicit-def: $vgpr12
	s_branch .LBB119_72
.LBB119_67:
	v_mov_b32_e32 v14, 0
	v_mov_b32_e32 v12, 0
	s_branch .LBB119_71
.LBB119_68:
	v_mov_b32_e32 v12, 0
                                        ; implicit-def: $vgpr14
	v_mov_b32_e32 v1, v12
	v_mov_b32_e32 v3, v16
	s_and_b32 s4, s25, 3
	s_cmp_eq_u32 s4, 0
	s_cbranch_scc1 .LBB119_71
.LBB119_69:
	s_lshl_b32 s0, s24, 3
	s_add_u32 s0, s34, s0
	s_addc_u32 s1, s35, 0
	s_add_u32 s0, s0, 0xc4
	s_addc_u32 s1, s1, 0
	s_mul_i32 s2, s24, 12
	s_add_u32 s2, s34, s2
	s_addc_u32 s3, s35, 0
.LBB119_70:                             ; =>This Inner Loop Header: Depth=1
	s_load_dwordx2 s[6:7], s[2:3], 0x4
	s_load_dword s5, s[2:3], 0xc
	s_load_dwordx2 s[8:9], s[0:1], 0x0
	v_mov_b32_e32 v14, v1
	s_add_u32 s2, s2, 12
	s_waitcnt lgkmcnt(0)
	v_mul_hi_u32 v1, s7, v3
	v_add_u32_e32 v1, v3, v1
	v_lshrrev_b32_e32 v1, s5, v1
	s_addc_u32 s3, s3, 0
	v_mul_lo_u32 v5, v1, s6
	s_add_u32 s0, s0, 8
	v_sub_u32_e32 v5, v3, v5
	s_addc_u32 s1, s1, 0
	s_add_i32 s4, s4, -1
	v_mad_u64_u32 v[14:15], s[6:7], v5, s9, v[14:15]
	s_cmp_lg_u32 s4, 0
	v_mov_b32_e32 v3, v1
	v_mad_u64_u32 v[12:13], s[6:7], v5, s8, v[12:13]
	v_mov_b32_e32 v1, v14
	s_cbranch_scc1 .LBB119_70
.LBB119_71:
	s_cbranch_execnz .LBB119_74
.LBB119_72:
	s_load_dwordx4 s[0:3], s[34:35], 0x4
	s_load_dwordx2 s[4:5], s[34:35], 0xc4
	s_cmp_lt_u32 s33, 2
	s_waitcnt lgkmcnt(0)
	v_mul_hi_u32 v1, s1, v16
	v_add_u32_e32 v1, v16, v1
	v_lshrrev_b32_e32 v1, s2, v1
	v_mul_lo_u32 v3, v1, s0
	v_sub_u32_e32 v3, v16, v3
	v_mul_lo_u32 v14, v3, s5
	v_mul_lo_u32 v12, v3, s4
	s_cbranch_scc1 .LBB119_74
; %bb.73:
	s_load_dwordx4 s[0:3], s[34:35], 0x10
	s_load_dwordx2 s[4:5], s[34:35], 0xcc
	s_waitcnt lgkmcnt(0)
	v_mul_hi_u32 v3, s1, v1
	v_add_u32_e32 v3, v1, v3
	v_lshrrev_b32_e32 v3, s2, v3
	v_mul_lo_u32 v3, v3, s0
	v_sub_u32_e32 v1, v1, v3
	v_mad_u64_u32 v[12:13], s[0:1], v1, s4, v[12:13]
	v_mad_u64_u32 v[14:15], s[0:1], v1, s5, v[14:15]
.LBB119_74:
	s_load_dwordx4 s[8:11], s[34:35], 0x148
	s_mov_b32 s4, 0x43000000
	v_mov_b32_e32 v9, 0x3d2aaa81
	v_mov_b32_e32 v11, 0x7f000000
	s_mov_b32 s6, 0x42b17217
	s_waitcnt lgkmcnt(0)
	global_load_dword v1, v2, s[10:11]
	global_load_dword v3, v6, s[10:11]
	;; [unrolled: 1-line block ×4, first 2 shown]
	v_mov_b32_e32 v2, 0x3ab69700
	v_mov_b32_e32 v6, 0x3c0887f9
	;; [unrolled: 1-line block ×4, first 2 shown]
	s_mov_b32 s7, 0xc1880000
	s_waitcnt vmcnt(3)
	v_mul_f32_e32 v14, 0x3fb8aa3b, v1
	s_waitcnt vmcnt(2)
	v_mul_f32_e32 v15, 0x3fb8aa3b, v3
	;; [unrolled: 2-line block ×4, first 2 shown]
	v_rndne_f32_e32 v14, v14
	v_rndne_f32_e32 v15, v15
	;; [unrolled: 1-line block ×4, first 2 shown]
	v_fmamk_f32 v18, v14, 0xbf317218, v1
	v_cvt_i32_f32_e32 v19, v14
	v_fmamk_f32 v20, v15, 0xbf317218, v3
	v_fmamk_f32 v22, v16, 0xbf317218, v5
	;; [unrolled: 1-line block ×3, first 2 shown]
	v_fmac_f32_e32 v18, 0x3102e308, v14
	v_cvt_i32_f32_e32 v21, v15
	v_cvt_i32_f32_e32 v23, v16
	;; [unrolled: 1-line block ×3, first 2 shown]
	v_fmac_f32_e32 v20, 0x3102e308, v15
	v_fmac_f32_e32 v22, 0x3102e308, v16
	;; [unrolled: 1-line block ×3, first 2 shown]
	v_fmamk_f32 v26, v18, 0x395133b1, v2
	v_fmamk_f32 v27, v20, 0x395133b1, v2
	;; [unrolled: 1-line block ×3, first 2 shown]
	v_fmac_f32_e32 v2, 0x395133b1, v24
	v_fmaak_f32 v26, v18, v26, 0x3c0887f9
	v_fmaak_f32 v27, v20, v27, 0x3c0887f9
	v_fmac_f32_e32 v6, v24, v2
	v_fmaak_f32 v2, v18, v26, 0x3d2aaa81
	v_fmaak_f32 v28, v22, v28, 0x3c0887f9
	v_ldexp_f32 v19, 1.0, v19
	v_fmaak_f32 v26, v20, v27, 0x3d2aaa81
	v_fmaak_f32 v2, v18, v2, 0x3e2aaaab
	v_cmp_eq_f32_e32 vcc, s4, v14
	v_ldexp_f32 v21, 1.0, v21
	v_fmaak_f32 v27, v22, v28, 0x3d2aaa81
	v_ldexp_f32 v23, 1.0, v23
	v_fmac_f32_e32 v9, v24, v6
	v_ldexp_f32 v6, 1.0, v25
	v_cndmask_b32_e32 v14, v19, v11, vcc
	v_fmaak_f32 v19, v20, v26, 0x3e2aaaab
	v_cmp_eq_f32_e64 s[0:1], s4, v15
	v_cmp_eq_f32_e64 s[2:3], s4, v16
	;; [unrolled: 1-line block ×3, first 2 shown]
	v_fma_f32 v2, v18, v2, 0.5
	v_cndmask_b32_e64 v15, v21, v11, s[0:1]
	v_fmaak_f32 v21, v22, v27, 0x3e2aaaab
	v_cndmask_b32_e64 v16, v23, v11, s[2:3]
	v_fmac_f32_e32 v10, v24, v9
	v_cndmask_b32_e64 v6, v6, v11, s[4:5]
	v_fma_f32 v11, v20, v19, 0.5
	v_mul_f32_e32 v2, v18, v2
	v_add_f32_e32 v9, -1.0, v14
	v_fma_f32 v19, v22, v21, 0.5
	v_fma_f32 v10, v24, v10, 0.5
	v_mul_f32_e32 v11, v20, v11
	v_fmac_f32_e32 v18, v18, v2
	v_add_f32_e32 v17, -1.0, v15
	v_mul_f32_e32 v19, v22, v19
	v_mul_f32_e32 v10, v24, v10
	v_fmac_f32_e32 v20, v20, v11
	v_fmac_f32_e32 v9, v14, v18
	v_add_f32_e32 v21, -1.0, v16
	v_add_f32_e32 v23, -1.0, v6
	v_fmac_f32_e32 v22, v22, v19
	v_fmac_f32_e32 v24, v24, v10
	v_fmac_f32_e32 v17, v15, v20
	v_add_f32_e32 v2, v9, v9
	v_fmac_f32_e32 v21, v16, v22
	v_fmac_f32_e32 v23, v6, v24
	v_add_f32_e32 v6, v17, v17
	v_cndmask_b32_e32 v2, v9, v2, vcc
	v_cmp_nlt_f32_e32 vcc, s6, v1
	v_add_f32_e32 v10, v21, v21
	v_cndmask_b32_e64 v6, v17, v6, s[0:1]
	v_cndmask_b32_e32 v2, v13, v2, vcc
	v_cmp_nlt_f32_e32 vcc, s6, v3
	v_cndmask_b32_e64 v9, v21, v10, s[2:3]
	v_add_f32_e32 v11, v23, v23
	v_cndmask_b32_e32 v6, v13, v6, vcc
	v_cmp_nlt_f32_e32 vcc, s6, v5
	s_nop 1
	v_cndmask_b32_e32 v9, v13, v9, vcc
	v_cmp_ngt_f32_e32 vcc, s7, v1
	s_nop 1
	v_cndmask_b32_e32 v1, -1.0, v2, vcc
	v_cmp_ngt_f32_e32 vcc, s7, v3
	s_nop 1
	v_cndmask_b32_e32 v2, -1.0, v6, vcc
	v_cmp_ngt_f32_e32 vcc, s7, v5
	v_cndmask_b32_e64 v5, v23, v11, s[4:5]
	s_nop 0
	v_cndmask_b32_e32 v3, -1.0, v9, vcc
	v_cmp_nlt_f32_e32 vcc, s6, v7
	s_nop 1
	v_cndmask_b32_e32 v5, v13, v5, vcc
	v_cmp_ngt_f32_e32 vcc, s7, v7
	s_nop 1
	v_cndmask_b32_e32 v5, -1.0, v5, vcc
	global_store_dword v0, v1, s[8:9]
	global_store_dword v4, v2, s[8:9]
	;; [unrolled: 1-line block ×4, first 2 shown]
	s_endpgm
.LBB119_75:
	v_mov_b32_e32 v2, 0
	v_mov_b32_e32 v0, 0
	s_branch .LBB119_81
.LBB119_76:
	v_mov_b32_e32 v2, 0
	v_mov_b32_e32 v0, 0
	s_branch .LBB119_98
.LBB119_77:
	v_mov_b32_e32 v0, 0
	s_mov_b32 s57, 0
	v_mov_b32_e32 v1, v0
                                        ; implicit-def: $vgpr2
	v_mov_b32_e32 v4, v8
.LBB119_78:
	s_and_b32 s4, s58, 3
	s_cmp_eq_u32 s4, 0
	s_cbranch_scc1 .LBB119_81
; %bb.79:
	s_lshl_b32 s0, s57, 3
	s_add_u32 s0, s34, s0
	s_addc_u32 s1, s35, 0
	s_add_u32 s0, s0, 0xc4
	s_addc_u32 s1, s1, 0
	s_mul_i32 s2, s57, 12
	s_add_u32 s2, s34, s2
	s_addc_u32 s3, s35, 0
.LBB119_80:                             ; =>This Inner Loop Header: Depth=1
	s_load_dwordx2 s[6:7], s[2:3], 0x4
	s_load_dword s5, s[2:3], 0xc
	s_load_dwordx2 s[8:9], s[0:1], 0x0
	v_mov_b32_e32 v2, v1
	s_add_u32 s2, s2, 12
	s_waitcnt lgkmcnt(0)
	v_mul_hi_u32 v1, s7, v4
	v_add_u32_e32 v1, v4, v1
	v_lshrrev_b32_e32 v1, s5, v1
	s_addc_u32 s3, s3, 0
	v_mul_lo_u32 v3, v1, s6
	s_add_u32 s0, s0, 8
	v_sub_u32_e32 v5, v4, v3
	s_addc_u32 s1, s1, 0
	s_add_i32 s4, s4, -1
	v_mov_b32_e32 v4, v1
	v_mad_u64_u32 v[2:3], s[6:7], v5, s9, v[2:3]
	v_mad_u64_u32 v[0:1], s[6:7], v5, s8, v[0:1]
	s_cmp_lg_u32 s4, 0
	v_mov_b32_e32 v1, v2
	s_cbranch_scc1 .LBB119_80
.LBB119_81:
	s_cbranch_execnz .LBB119_84
.LBB119_82:
	s_waitcnt lgkmcnt(0)
	v_mul_hi_u32 v0, s25, v8
	v_add_u32_e32 v0, v8, v0
	v_lshrrev_b32_e32 v1, s26, v0
	v_mul_lo_u32 v0, v1, s24
	v_sub_u32_e32 v0, v8, v0
	v_mul_lo_u32 v2, v0, s21
	s_andn2_b64 vcc, exec, s[42:43]
	v_mul_lo_u32 v0, v0, s20
	s_cbranch_vccnz .LBB119_84
; %bb.83:
	v_mul_hi_u32 v3, s40, v1
	v_add_u32_e32 v3, v1, v3
	v_lshrrev_b32_e32 v3, s41, v3
	v_mul_lo_u32 v3, v3, s27
	v_sub_u32_e32 v3, v1, v3
	v_mad_u64_u32 v[0:1], s[0:1], v3, s22, v[0:1]
	v_mad_u64_u32 v[2:3], s[0:1], v3, s23, v[2:3]
.LBB119_84:
	s_waitcnt lgkmcnt(0)
	global_load_dword v1, v2, s[18:19]
	v_mov_b32_e32 v2, 0x3ab69700
	s_mov_b32 s0, 0x43000000
	v_mov_b32_e32 v3, 0x7f000000
	s_mov_b32 s1, 0x42b17217
	v_mov_b32_e32 v4, 0x7f800000
	s_mov_b32 s2, 0xc1880000
	v_add_u32_e32 v8, 0x80, v8
	s_waitcnt vmcnt(0)
	v_mul_f32_e32 v5, 0x3fb8aa3b, v1
	v_rndne_f32_e32 v5, v5
	v_fmamk_f32 v6, v5, 0xbf317218, v1
	v_fmamk_f32 v6, v5, 0x3102e308, v6
	v_cvt_i32_f32_e32 v7, v5
	v_fmac_f32_e32 v2, 0x395133b1, v6
	v_fmaak_f32 v2, v6, v2, 0x3c0887f9
	v_fmaak_f32 v2, v6, v2, 0x3d2aaa81
	;; [unrolled: 1-line block ×3, first 2 shown]
	v_ldexp_f32 v7, 1.0, v7
	v_cmp_eq_f32_e32 vcc, s0, v5
	v_fma_f32 v2, v6, v2, 0.5
	v_mul_f32_e32 v2, v6, v2
	v_cndmask_b32_e32 v3, v7, v3, vcc
	v_add_f32_e32 v5, -1.0, v3
	v_fmac_f32_e32 v6, v6, v2
	v_fmac_f32_e32 v5, v3, v6
	v_add_f32_e32 v2, v5, v5
	v_cndmask_b32_e32 v2, v5, v2, vcc
	v_cmp_nlt_f32_e32 vcc, s1, v1
	s_nop 1
	v_cndmask_b32_e32 v2, v4, v2, vcc
	v_cmp_ngt_f32_e32 vcc, s2, v1
	s_nop 1
	v_cndmask_b32_e32 v1, -1.0, v2, vcc
	global_store_dword v0, v1, s[16:17]
	s_or_b64 exec, exec, s[48:49]
	v_cmp_gt_i32_e32 vcc, s55, v8
	s_and_saveexec_b64 s[48:49], vcc
	s_cbranch_execnz .LBB119_16
.LBB119_85:
	s_or_b64 exec, exec, s[48:49]
	v_cmp_gt_i32_e32 vcc, s55, v8
	s_and_saveexec_b64 s[48:49], vcc
	s_cbranch_execz .LBB119_102
.LBB119_86:
	s_andn2_b64 vcc, exec, s[36:37]
	s_cbranch_vccnz .LBB119_92
; %bb.87:
	s_andn2_b64 vcc, exec, s[46:47]
	s_cbranch_vccnz .LBB119_93
; %bb.88:
	s_add_i32 s58, s56, 1
	s_cmp_eq_u32 s54, 2
	s_cbranch_scc1 .LBB119_105
; %bb.89:
	s_and_b32 s57, s58, 28
	s_mov_b32 s59, 0
	v_mov_b32_e32 v0, 0
	v_mov_b32_e32 v2, 0
	s_mov_b64 s[50:51], s[34:35]
	s_mov_b64 s[52:53], s[44:45]
	v_mov_b32_e32 v4, v8
.LBB119_90:                             ; =>This Inner Loop Header: Depth=1
	s_load_dwordx8 s[8:15], s[50:51], 0x4
	s_load_dwordx4 s[28:31], s[50:51], 0x24
	s_load_dwordx8 s[0:7], s[52:53], 0x0
	s_add_u32 s50, s50, 48
	s_addc_u32 s51, s51, 0
	s_waitcnt lgkmcnt(0)
	v_mul_hi_u32 v1, s9, v4
	v_add_u32_e32 v1, v4, v1
	v_lshrrev_b32_e32 v1, s10, v1
	v_mul_lo_u32 v3, v1, s8
	v_mul_hi_u32 v5, s12, v1
	v_sub_u32_e32 v3, v4, v3
	v_add_u32_e32 v4, v1, v5
	v_lshrrev_b32_e32 v4, s13, v4
	v_mul_lo_u32 v6, v4, s11
	v_mul_hi_u32 v7, s15, v4
	v_sub_u32_e32 v1, v1, v6
	v_add_u32_e32 v6, v4, v7
	v_mul_lo_u32 v5, v3, s1
	v_mul_lo_u32 v3, v3, s0
	;; [unrolled: 1-line block ×4, first 2 shown]
	v_lshrrev_b32_e32 v6, s28, v6
	v_add3_u32 v0, v3, v0, v1
	v_mul_hi_u32 v3, s30, v6
	v_add3_u32 v1, v5, v2, v7
	v_mul_lo_u32 v2, v6, s14
	v_add_u32_e32 v3, v6, v3
	v_sub_u32_e32 v2, v4, v2
	v_lshrrev_b32_e32 v4, s31, v3
	s_add_i32 s59, s59, 4
	v_mul_lo_u32 v3, v4, s29
	s_add_u32 s52, s52, 32
	v_sub_u32_e32 v3, v6, v3
	s_addc_u32 s53, s53, 0
	v_mul_lo_u32 v5, v2, s4
	v_mul_lo_u32 v2, v2, s5
	;; [unrolled: 1-line block ×4, first 2 shown]
	s_cmp_eq_u32 s57, s59
	v_add3_u32 v2, v2, v1, v3
	v_add3_u32 v0, v5, v0, v6
	s_cbranch_scc0 .LBB119_90
; %bb.91:
	v_mov_b32_e32 v1, v2
	s_branch .LBB119_106
.LBB119_92:
                                        ; implicit-def: $vgpr2
                                        ; implicit-def: $vgpr0
	s_branch .LBB119_110
.LBB119_93:
	v_mov_b32_e32 v2, 0
	v_mov_b32_e32 v0, 0
	s_branch .LBB119_109
.LBB119_94:
	v_mov_b32_e32 v0, 0
	s_mov_b32 s57, 0
	v_mov_b32_e32 v1, v0
                                        ; implicit-def: $vgpr2
	v_mov_b32_e32 v4, v8
.LBB119_95:
	s_and_b32 s4, s58, 3
	s_cmp_eq_u32 s4, 0
	s_cbranch_scc1 .LBB119_98
; %bb.96:
	s_lshl_b32 s0, s57, 3
	s_add_u32 s0, s34, s0
	s_addc_u32 s1, s35, 0
	s_add_u32 s0, s0, 0xc4
	s_addc_u32 s1, s1, 0
	s_mul_i32 s2, s57, 12
	s_add_u32 s2, s34, s2
	s_addc_u32 s3, s35, 0
.LBB119_97:                             ; =>This Inner Loop Header: Depth=1
	s_load_dwordx2 s[6:7], s[2:3], 0x4
	s_load_dword s5, s[2:3], 0xc
	s_load_dwordx2 s[8:9], s[0:1], 0x0
	v_mov_b32_e32 v2, v1
	s_add_u32 s2, s2, 12
	s_waitcnt lgkmcnt(0)
	v_mul_hi_u32 v1, s7, v4
	v_add_u32_e32 v1, v4, v1
	v_lshrrev_b32_e32 v1, s5, v1
	s_addc_u32 s3, s3, 0
	v_mul_lo_u32 v3, v1, s6
	s_add_u32 s0, s0, 8
	v_sub_u32_e32 v5, v4, v3
	s_addc_u32 s1, s1, 0
	s_add_i32 s4, s4, -1
	v_mov_b32_e32 v4, v1
	v_mad_u64_u32 v[2:3], s[6:7], v5, s9, v[2:3]
	v_mad_u64_u32 v[0:1], s[6:7], v5, s8, v[0:1]
	s_cmp_lg_u32 s4, 0
	v_mov_b32_e32 v1, v2
	s_cbranch_scc1 .LBB119_97
.LBB119_98:
	s_cbranch_execnz .LBB119_101
.LBB119_99:
	s_waitcnt lgkmcnt(0)
	v_mul_hi_u32 v0, s25, v8
	v_add_u32_e32 v0, v8, v0
	v_lshrrev_b32_e32 v1, s26, v0
	v_mul_lo_u32 v0, v1, s24
	v_sub_u32_e32 v0, v8, v0
	v_mul_lo_u32 v2, v0, s21
	s_andn2_b64 vcc, exec, s[42:43]
	v_mul_lo_u32 v0, v0, s20
	s_cbranch_vccnz .LBB119_101
; %bb.100:
	v_mul_hi_u32 v3, s40, v1
	v_add_u32_e32 v3, v1, v3
	v_lshrrev_b32_e32 v3, s41, v3
	v_mul_lo_u32 v3, v3, s27
	v_sub_u32_e32 v3, v1, v3
	v_mad_u64_u32 v[0:1], s[0:1], v3, s22, v[0:1]
	v_mad_u64_u32 v[2:3], s[0:1], v3, s23, v[2:3]
.LBB119_101:
	s_waitcnt lgkmcnt(0)
	global_load_dword v1, v2, s[18:19]
	v_mov_b32_e32 v2, 0x3ab69700
	s_mov_b32 s0, 0x43000000
	v_mov_b32_e32 v3, 0x7f000000
	s_mov_b32 s1, 0x42b17217
	;; [unrolled: 2-line block ×3, first 2 shown]
	v_add_u32_e32 v8, 0x80, v8
	s_waitcnt vmcnt(0)
	v_mul_f32_e32 v5, 0x3fb8aa3b, v1
	v_rndne_f32_e32 v5, v5
	v_fmamk_f32 v6, v5, 0xbf317218, v1
	v_fmamk_f32 v6, v5, 0x3102e308, v6
	v_cvt_i32_f32_e32 v7, v5
	v_fmac_f32_e32 v2, 0x395133b1, v6
	v_fmaak_f32 v2, v6, v2, 0x3c0887f9
	v_fmaak_f32 v2, v6, v2, 0x3d2aaa81
	;; [unrolled: 1-line block ×3, first 2 shown]
	v_ldexp_f32 v7, 1.0, v7
	v_cmp_eq_f32_e32 vcc, s0, v5
	v_fma_f32 v2, v6, v2, 0.5
	v_mul_f32_e32 v2, v6, v2
	v_cndmask_b32_e32 v3, v7, v3, vcc
	v_add_f32_e32 v5, -1.0, v3
	v_fmac_f32_e32 v6, v6, v2
	v_fmac_f32_e32 v5, v3, v6
	v_add_f32_e32 v2, v5, v5
	v_cndmask_b32_e32 v2, v5, v2, vcc
	v_cmp_nlt_f32_e32 vcc, s1, v1
	s_nop 1
	v_cndmask_b32_e32 v2, v4, v2, vcc
	v_cmp_ngt_f32_e32 vcc, s2, v1
	s_nop 1
	v_cndmask_b32_e32 v1, -1.0, v2, vcc
	global_store_dword v0, v1, s[16:17]
	s_or_b64 exec, exec, s[48:49]
	v_cmp_gt_i32_e32 vcc, s55, v8
	s_and_saveexec_b64 s[48:49], vcc
	s_cbranch_execnz .LBB119_86
.LBB119_102:
	s_or_b64 exec, exec, s[48:49]
	v_cmp_gt_i32_e32 vcc, s55, v8
	s_and_saveexec_b64 s[48:49], vcc
	s_cbranch_execnz .LBB119_113
.LBB119_103:
	s_or_b64 exec, exec, s[48:49]
                                        ; implicit-def: $vgpr16
                                        ; implicit-def: $vgpr8
	s_andn2_saveexec_b64 s[0:1], s[38:39]
	s_cbranch_execnz .LBB119_9
.LBB119_104:
	s_endpgm
.LBB119_105:
	v_mov_b32_e32 v0, 0
	s_mov_b32 s57, 0
	v_mov_b32_e32 v1, v0
                                        ; implicit-def: $vgpr2
	v_mov_b32_e32 v4, v8
.LBB119_106:
	s_and_b32 s4, s58, 3
	s_cmp_eq_u32 s4, 0
	s_cbranch_scc1 .LBB119_109
; %bb.107:
	s_lshl_b32 s0, s57, 3
	s_add_u32 s0, s34, s0
	s_addc_u32 s1, s35, 0
	s_add_u32 s0, s0, 0xc4
	s_addc_u32 s1, s1, 0
	s_mul_i32 s2, s57, 12
	s_add_u32 s2, s34, s2
	s_addc_u32 s3, s35, 0
.LBB119_108:                            ; =>This Inner Loop Header: Depth=1
	s_load_dwordx2 s[6:7], s[2:3], 0x4
	s_load_dword s5, s[2:3], 0xc
	s_load_dwordx2 s[8:9], s[0:1], 0x0
	v_mov_b32_e32 v2, v1
	s_add_u32 s2, s2, 12
	s_waitcnt lgkmcnt(0)
	v_mul_hi_u32 v1, s7, v4
	v_add_u32_e32 v1, v4, v1
	v_lshrrev_b32_e32 v1, s5, v1
	s_addc_u32 s3, s3, 0
	v_mul_lo_u32 v3, v1, s6
	s_add_u32 s0, s0, 8
	v_sub_u32_e32 v5, v4, v3
	s_addc_u32 s1, s1, 0
	s_add_i32 s4, s4, -1
	v_mov_b32_e32 v4, v1
	v_mad_u64_u32 v[2:3], s[6:7], v5, s9, v[2:3]
	v_mad_u64_u32 v[0:1], s[6:7], v5, s8, v[0:1]
	s_cmp_lg_u32 s4, 0
	v_mov_b32_e32 v1, v2
	s_cbranch_scc1 .LBB119_108
.LBB119_109:
	s_cbranch_execnz .LBB119_112
.LBB119_110:
	s_waitcnt lgkmcnt(0)
	v_mul_hi_u32 v0, s25, v8
	v_add_u32_e32 v0, v8, v0
	v_lshrrev_b32_e32 v1, s26, v0
	v_mul_lo_u32 v0, v1, s24
	v_sub_u32_e32 v0, v8, v0
	v_mul_lo_u32 v2, v0, s21
	s_andn2_b64 vcc, exec, s[42:43]
	v_mul_lo_u32 v0, v0, s20
	s_cbranch_vccnz .LBB119_112
; %bb.111:
	v_mul_hi_u32 v3, s40, v1
	v_add_u32_e32 v3, v1, v3
	v_lshrrev_b32_e32 v3, s41, v3
	v_mul_lo_u32 v3, v3, s27
	v_sub_u32_e32 v3, v1, v3
	v_mad_u64_u32 v[0:1], s[0:1], v3, s22, v[0:1]
	v_mad_u64_u32 v[2:3], s[0:1], v3, s23, v[2:3]
.LBB119_112:
	s_waitcnt lgkmcnt(0)
	global_load_dword v1, v2, s[18:19]
	v_mov_b32_e32 v2, 0x3ab69700
	s_mov_b32 s0, 0x43000000
	v_mov_b32_e32 v3, 0x7f000000
	s_mov_b32 s1, 0x42b17217
	;; [unrolled: 2-line block ×3, first 2 shown]
	v_add_u32_e32 v8, 0x80, v8
	s_waitcnt vmcnt(0)
	v_mul_f32_e32 v5, 0x3fb8aa3b, v1
	v_rndne_f32_e32 v5, v5
	v_fmamk_f32 v6, v5, 0xbf317218, v1
	v_fmamk_f32 v6, v5, 0x3102e308, v6
	v_cvt_i32_f32_e32 v7, v5
	v_fmac_f32_e32 v2, 0x395133b1, v6
	v_fmaak_f32 v2, v6, v2, 0x3c0887f9
	v_fmaak_f32 v2, v6, v2, 0x3d2aaa81
	;; [unrolled: 1-line block ×3, first 2 shown]
	v_ldexp_f32 v7, 1.0, v7
	v_cmp_eq_f32_e32 vcc, s0, v5
	v_fma_f32 v2, v6, v2, 0.5
	v_mul_f32_e32 v2, v6, v2
	v_cndmask_b32_e32 v3, v7, v3, vcc
	v_add_f32_e32 v5, -1.0, v3
	v_fmac_f32_e32 v6, v6, v2
	v_fmac_f32_e32 v5, v3, v6
	v_add_f32_e32 v2, v5, v5
	v_cndmask_b32_e32 v2, v5, v2, vcc
	v_cmp_nlt_f32_e32 vcc, s1, v1
	s_nop 1
	v_cndmask_b32_e32 v2, v4, v2, vcc
	v_cmp_ngt_f32_e32 vcc, s2, v1
	s_nop 1
	v_cndmask_b32_e32 v1, -1.0, v2, vcc
	global_store_dword v0, v1, s[16:17]
	s_or_b64 exec, exec, s[48:49]
	v_cmp_gt_i32_e32 vcc, s55, v8
	s_and_saveexec_b64 s[48:49], vcc
	s_cbranch_execz .LBB119_103
.LBB119_113:
	s_andn2_b64 vcc, exec, s[36:37]
	s_cbranch_vccnz .LBB119_119
; %bb.114:
	s_andn2_b64 vcc, exec, s[46:47]
	s_cbranch_vccnz .LBB119_120
; %bb.115:
	s_add_i32 s56, s56, 1
	s_cmp_eq_u32 s54, 2
	s_cbranch_scc1 .LBB119_121
; %bb.116:
	s_and_b32 s50, s56, 28
	s_mov_b32 s51, 0
	v_mov_b32_e32 v0, 0
	v_mov_b32_e32 v2, 0
	s_mov_b64 s[46:47], s[34:35]
	v_mov_b32_e32 v4, v8
.LBB119_117:                            ; =>This Inner Loop Header: Depth=1
	s_load_dwordx8 s[8:15], s[46:47], 0x4
	s_load_dwordx4 s[28:31], s[46:47], 0x24
	s_load_dwordx8 s[0:7], s[44:45], 0x0
	s_add_u32 s46, s46, 48
	s_addc_u32 s47, s47, 0
	s_waitcnt lgkmcnt(0)
	v_mul_hi_u32 v1, s9, v4
	v_add_u32_e32 v1, v4, v1
	v_lshrrev_b32_e32 v1, s10, v1
	v_mul_lo_u32 v3, v1, s8
	v_mul_hi_u32 v5, s12, v1
	v_sub_u32_e32 v3, v4, v3
	v_add_u32_e32 v4, v1, v5
	v_lshrrev_b32_e32 v4, s13, v4
	v_mul_lo_u32 v6, v4, s11
	v_mul_hi_u32 v7, s15, v4
	v_sub_u32_e32 v1, v1, v6
	v_add_u32_e32 v6, v4, v7
	v_mul_lo_u32 v5, v3, s1
	v_mul_lo_u32 v3, v3, s0
	;; [unrolled: 1-line block ×4, first 2 shown]
	v_lshrrev_b32_e32 v6, s28, v6
	v_add3_u32 v0, v3, v0, v1
	v_mul_hi_u32 v3, s30, v6
	v_add3_u32 v1, v5, v2, v7
	v_mul_lo_u32 v2, v6, s14
	v_add_u32_e32 v3, v6, v3
	v_sub_u32_e32 v2, v4, v2
	v_lshrrev_b32_e32 v4, s31, v3
	s_add_i32 s51, s51, 4
	v_mul_lo_u32 v3, v4, s29
	s_add_u32 s44, s44, 32
	v_sub_u32_e32 v3, v6, v3
	s_addc_u32 s45, s45, 0
	v_mul_lo_u32 v5, v2, s4
	v_mul_lo_u32 v2, v2, s5
	;; [unrolled: 1-line block ×4, first 2 shown]
	s_cmp_eq_u32 s50, s51
	v_add3_u32 v2, v2, v1, v3
	v_add3_u32 v0, v5, v0, v6
	s_cbranch_scc0 .LBB119_117
; %bb.118:
	v_mov_b32_e32 v1, v2
	s_branch .LBB119_122
.LBB119_119:
                                        ; implicit-def: $vgpr2
                                        ; implicit-def: $vgpr0
	s_branch .LBB119_126
.LBB119_120:
	v_mov_b32_e32 v2, 0
	v_mov_b32_e32 v0, 0
	s_branch .LBB119_125
.LBB119_121:
	v_mov_b32_e32 v0, 0
	s_mov_b32 s50, 0
	v_mov_b32_e32 v1, v0
                                        ; implicit-def: $vgpr2
	v_mov_b32_e32 v4, v8
.LBB119_122:
	s_and_b32 s4, s56, 3
	s_cmp_eq_u32 s4, 0
	s_cbranch_scc1 .LBB119_125
; %bb.123:
	s_lshl_b32 s0, s50, 3
	s_add_u32 s0, s34, s0
	s_addc_u32 s1, s35, 0
	s_add_u32 s0, s0, 0xc4
	s_addc_u32 s1, s1, 0
	s_mul_i32 s2, s50, 12
	s_add_u32 s2, s34, s2
	s_addc_u32 s3, s35, 0
.LBB119_124:                            ; =>This Inner Loop Header: Depth=1
	s_load_dwordx2 s[6:7], s[2:3], 0x4
	s_load_dword s5, s[2:3], 0xc
	s_load_dwordx2 s[8:9], s[0:1], 0x0
	v_mov_b32_e32 v2, v1
	s_add_u32 s2, s2, 12
	s_waitcnt lgkmcnt(0)
	v_mul_hi_u32 v1, s7, v4
	v_add_u32_e32 v1, v4, v1
	v_lshrrev_b32_e32 v1, s5, v1
	s_addc_u32 s3, s3, 0
	v_mul_lo_u32 v3, v1, s6
	s_add_u32 s0, s0, 8
	v_sub_u32_e32 v5, v4, v3
	s_addc_u32 s1, s1, 0
	s_add_i32 s4, s4, -1
	v_mov_b32_e32 v4, v1
	v_mad_u64_u32 v[2:3], s[6:7], v5, s9, v[2:3]
	v_mad_u64_u32 v[0:1], s[6:7], v5, s8, v[0:1]
	s_cmp_lg_u32 s4, 0
	v_mov_b32_e32 v1, v2
	s_cbranch_scc1 .LBB119_124
.LBB119_125:
	s_cbranch_execnz .LBB119_128
.LBB119_126:
	s_waitcnt lgkmcnt(0)
	v_mul_hi_u32 v0, s25, v8
	v_add_u32_e32 v0, v8, v0
	v_lshrrev_b32_e32 v1, s26, v0
	v_mul_lo_u32 v0, v1, s24
	v_sub_u32_e32 v0, v8, v0
	v_mul_lo_u32 v2, v0, s21
	s_andn2_b64 vcc, exec, s[42:43]
	v_mul_lo_u32 v0, v0, s20
	s_cbranch_vccnz .LBB119_128
; %bb.127:
	v_mul_hi_u32 v3, s40, v1
	v_add_u32_e32 v3, v1, v3
	v_lshrrev_b32_e32 v3, s41, v3
	v_mul_lo_u32 v3, v3, s27
	v_sub_u32_e32 v3, v1, v3
	v_mad_u64_u32 v[0:1], s[0:1], v3, s22, v[0:1]
	v_mad_u64_u32 v[2:3], s[0:1], v3, s23, v[2:3]
.LBB119_128:
	s_waitcnt lgkmcnt(0)
	global_load_dword v1, v2, s[18:19]
	v_mov_b32_e32 v2, 0x3ab69700
	s_mov_b32 s0, 0x43000000
	v_mov_b32_e32 v3, 0x7f000000
	s_mov_b32 s1, 0x42b17217
	;; [unrolled: 2-line block ×3, first 2 shown]
	s_waitcnt vmcnt(0)
	v_mul_f32_e32 v5, 0x3fb8aa3b, v1
	v_rndne_f32_e32 v5, v5
	v_fmamk_f32 v6, v5, 0xbf317218, v1
	v_fmamk_f32 v6, v5, 0x3102e308, v6
	v_cvt_i32_f32_e32 v7, v5
	v_fmac_f32_e32 v2, 0x395133b1, v6
	v_fmaak_f32 v2, v6, v2, 0x3c0887f9
	v_fmaak_f32 v2, v6, v2, 0x3d2aaa81
	;; [unrolled: 1-line block ×3, first 2 shown]
	v_ldexp_f32 v7, 1.0, v7
	v_cmp_eq_f32_e32 vcc, s0, v5
	v_fma_f32 v2, v6, v2, 0.5
	v_mul_f32_e32 v2, v6, v2
	v_cndmask_b32_e32 v3, v7, v3, vcc
	v_add_f32_e32 v5, -1.0, v3
	v_fmac_f32_e32 v6, v6, v2
	v_fmac_f32_e32 v5, v3, v6
	v_add_f32_e32 v2, v5, v5
	v_cndmask_b32_e32 v2, v5, v2, vcc
	v_cmp_nlt_f32_e32 vcc, s1, v1
	s_nop 1
	v_cndmask_b32_e32 v2, v4, v2, vcc
	v_cmp_ngt_f32_e32 vcc, s2, v1
	s_nop 1
	v_cndmask_b32_e32 v1, -1.0, v2, vcc
	global_store_dword v0, v1, s[16:17]
	s_or_b64 exec, exec, s[48:49]
                                        ; implicit-def: $vgpr16
                                        ; implicit-def: $vgpr8
	s_andn2_saveexec_b64 s[0:1], s[38:39]
	s_cbranch_execz .LBB119_104
	s_branch .LBB119_9
	.section	.rodata,"a",@progbits
	.p2align	6, 0x0
	.amdhsa_kernel _ZN2at6native32elementwise_kernel_manual_unrollILi128ELi4EZNS0_22gpu_kernel_impl_nocastIZZZNS0_17expm1_kernel_cudaERNS_18TensorIteratorBaseEENKUlvE_clEvENKUlvE0_clEvEUlfE_EEvS4_RKT_EUlibE_EEviT1_
		.amdhsa_group_segment_fixed_size 0
		.amdhsa_private_segment_fixed_size 0
		.amdhsa_kernarg_size 360
		.amdhsa_user_sgpr_count 2
		.amdhsa_user_sgpr_dispatch_ptr 0
		.amdhsa_user_sgpr_queue_ptr 0
		.amdhsa_user_sgpr_kernarg_segment_ptr 1
		.amdhsa_user_sgpr_dispatch_id 0
		.amdhsa_user_sgpr_kernarg_preload_length 0
		.amdhsa_user_sgpr_kernarg_preload_offset 0
		.amdhsa_user_sgpr_private_segment_size 0
		.amdhsa_uses_dynamic_stack 0
		.amdhsa_enable_private_segment 0
		.amdhsa_system_sgpr_workgroup_id_x 1
		.amdhsa_system_sgpr_workgroup_id_y 0
		.amdhsa_system_sgpr_workgroup_id_z 0
		.amdhsa_system_sgpr_workgroup_info 0
		.amdhsa_system_vgpr_workitem_id 0
		.amdhsa_next_free_vgpr 29
		.amdhsa_next_free_sgpr 60
		.amdhsa_accum_offset 32
		.amdhsa_reserve_vcc 1
		.amdhsa_float_round_mode_32 0
		.amdhsa_float_round_mode_16_64 0
		.amdhsa_float_denorm_mode_32 3
		.amdhsa_float_denorm_mode_16_64 3
		.amdhsa_dx10_clamp 1
		.amdhsa_ieee_mode 1
		.amdhsa_fp16_overflow 0
		.amdhsa_tg_split 0
		.amdhsa_exception_fp_ieee_invalid_op 0
		.amdhsa_exception_fp_denorm_src 0
		.amdhsa_exception_fp_ieee_div_zero 0
		.amdhsa_exception_fp_ieee_overflow 0
		.amdhsa_exception_fp_ieee_underflow 0
		.amdhsa_exception_fp_ieee_inexact 0
		.amdhsa_exception_int_div_zero 0
	.end_amdhsa_kernel
	.section	.text._ZN2at6native32elementwise_kernel_manual_unrollILi128ELi4EZNS0_22gpu_kernel_impl_nocastIZZZNS0_17expm1_kernel_cudaERNS_18TensorIteratorBaseEENKUlvE_clEvENKUlvE0_clEvEUlfE_EEvS4_RKT_EUlibE_EEviT1_,"axG",@progbits,_ZN2at6native32elementwise_kernel_manual_unrollILi128ELi4EZNS0_22gpu_kernel_impl_nocastIZZZNS0_17expm1_kernel_cudaERNS_18TensorIteratorBaseEENKUlvE_clEvENKUlvE0_clEvEUlfE_EEvS4_RKT_EUlibE_EEviT1_,comdat
.Lfunc_end119:
	.size	_ZN2at6native32elementwise_kernel_manual_unrollILi128ELi4EZNS0_22gpu_kernel_impl_nocastIZZZNS0_17expm1_kernel_cudaERNS_18TensorIteratorBaseEENKUlvE_clEvENKUlvE0_clEvEUlfE_EEvS4_RKT_EUlibE_EEviT1_, .Lfunc_end119-_ZN2at6native32elementwise_kernel_manual_unrollILi128ELi4EZNS0_22gpu_kernel_impl_nocastIZZZNS0_17expm1_kernel_cudaERNS_18TensorIteratorBaseEENKUlvE_clEvENKUlvE0_clEvEUlfE_EEvS4_RKT_EUlibE_EEviT1_
                                        ; -- End function
	.set _ZN2at6native32elementwise_kernel_manual_unrollILi128ELi4EZNS0_22gpu_kernel_impl_nocastIZZZNS0_17expm1_kernel_cudaERNS_18TensorIteratorBaseEENKUlvE_clEvENKUlvE0_clEvEUlfE_EEvS4_RKT_EUlibE_EEviT1_.num_vgpr, 29
	.set _ZN2at6native32elementwise_kernel_manual_unrollILi128ELi4EZNS0_22gpu_kernel_impl_nocastIZZZNS0_17expm1_kernel_cudaERNS_18TensorIteratorBaseEENKUlvE_clEvENKUlvE0_clEvEUlfE_EEvS4_RKT_EUlibE_EEviT1_.num_agpr, 0
	.set _ZN2at6native32elementwise_kernel_manual_unrollILi128ELi4EZNS0_22gpu_kernel_impl_nocastIZZZNS0_17expm1_kernel_cudaERNS_18TensorIteratorBaseEENKUlvE_clEvENKUlvE0_clEvEUlfE_EEvS4_RKT_EUlibE_EEviT1_.numbered_sgpr, 60
	.set _ZN2at6native32elementwise_kernel_manual_unrollILi128ELi4EZNS0_22gpu_kernel_impl_nocastIZZZNS0_17expm1_kernel_cudaERNS_18TensorIteratorBaseEENKUlvE_clEvENKUlvE0_clEvEUlfE_EEvS4_RKT_EUlibE_EEviT1_.num_named_barrier, 0
	.set _ZN2at6native32elementwise_kernel_manual_unrollILi128ELi4EZNS0_22gpu_kernel_impl_nocastIZZZNS0_17expm1_kernel_cudaERNS_18TensorIteratorBaseEENKUlvE_clEvENKUlvE0_clEvEUlfE_EEvS4_RKT_EUlibE_EEviT1_.private_seg_size, 0
	.set _ZN2at6native32elementwise_kernel_manual_unrollILi128ELi4EZNS0_22gpu_kernel_impl_nocastIZZZNS0_17expm1_kernel_cudaERNS_18TensorIteratorBaseEENKUlvE_clEvENKUlvE0_clEvEUlfE_EEvS4_RKT_EUlibE_EEviT1_.uses_vcc, 1
	.set _ZN2at6native32elementwise_kernel_manual_unrollILi128ELi4EZNS0_22gpu_kernel_impl_nocastIZZZNS0_17expm1_kernel_cudaERNS_18TensorIteratorBaseEENKUlvE_clEvENKUlvE0_clEvEUlfE_EEvS4_RKT_EUlibE_EEviT1_.uses_flat_scratch, 0
	.set _ZN2at6native32elementwise_kernel_manual_unrollILi128ELi4EZNS0_22gpu_kernel_impl_nocastIZZZNS0_17expm1_kernel_cudaERNS_18TensorIteratorBaseEENKUlvE_clEvENKUlvE0_clEvEUlfE_EEvS4_RKT_EUlibE_EEviT1_.has_dyn_sized_stack, 0
	.set _ZN2at6native32elementwise_kernel_manual_unrollILi128ELi4EZNS0_22gpu_kernel_impl_nocastIZZZNS0_17expm1_kernel_cudaERNS_18TensorIteratorBaseEENKUlvE_clEvENKUlvE0_clEvEUlfE_EEvS4_RKT_EUlibE_EEviT1_.has_recursion, 0
	.set _ZN2at6native32elementwise_kernel_manual_unrollILi128ELi4EZNS0_22gpu_kernel_impl_nocastIZZZNS0_17expm1_kernel_cudaERNS_18TensorIteratorBaseEENKUlvE_clEvENKUlvE0_clEvEUlfE_EEvS4_RKT_EUlibE_EEviT1_.has_indirect_call, 0
	.section	.AMDGPU.csdata,"",@progbits
; Kernel info:
; codeLenInByte = 7144
; TotalNumSgprs: 66
; NumVgprs: 29
; NumAgprs: 0
; TotalNumVgprs: 29
; ScratchSize: 0
; MemoryBound: 0
; FloatMode: 240
; IeeeMode: 1
; LDSByteSize: 0 bytes/workgroup (compile time only)
; SGPRBlocks: 8
; VGPRBlocks: 3
; NumSGPRsForWavesPerEU: 66
; NumVGPRsForWavesPerEU: 29
; AccumOffset: 32
; Occupancy: 8
; WaveLimiterHint : 1
; COMPUTE_PGM_RSRC2:SCRATCH_EN: 0
; COMPUTE_PGM_RSRC2:USER_SGPR: 2
; COMPUTE_PGM_RSRC2:TRAP_HANDLER: 0
; COMPUTE_PGM_RSRC2:TGID_X_EN: 1
; COMPUTE_PGM_RSRC2:TGID_Y_EN: 0
; COMPUTE_PGM_RSRC2:TGID_Z_EN: 0
; COMPUTE_PGM_RSRC2:TIDIG_COMP_CNT: 0
; COMPUTE_PGM_RSRC3_GFX90A:ACCUM_OFFSET: 7
; COMPUTE_PGM_RSRC3_GFX90A:TG_SPLIT: 0
	.section	.text._ZN2at6native32elementwise_kernel_manual_unrollILi128ELi4EZNS0_15gpu_kernel_implIZZZNS0_17expm1_kernel_cudaERNS_18TensorIteratorBaseEENKUlvE_clEvENKUlvE0_clEvEUlfE_EEvS4_RKT_EUlibE_EEviT1_,"axG",@progbits,_ZN2at6native32elementwise_kernel_manual_unrollILi128ELi4EZNS0_15gpu_kernel_implIZZZNS0_17expm1_kernel_cudaERNS_18TensorIteratorBaseEENKUlvE_clEvENKUlvE0_clEvEUlfE_EEvS4_RKT_EUlibE_EEviT1_,comdat
	.globl	_ZN2at6native32elementwise_kernel_manual_unrollILi128ELi4EZNS0_15gpu_kernel_implIZZZNS0_17expm1_kernel_cudaERNS_18TensorIteratorBaseEENKUlvE_clEvENKUlvE0_clEvEUlfE_EEvS4_RKT_EUlibE_EEviT1_ ; -- Begin function _ZN2at6native32elementwise_kernel_manual_unrollILi128ELi4EZNS0_15gpu_kernel_implIZZZNS0_17expm1_kernel_cudaERNS_18TensorIteratorBaseEENKUlvE_clEvENKUlvE0_clEvEUlfE_EEvS4_RKT_EUlibE_EEviT1_
	.p2align	8
	.type	_ZN2at6native32elementwise_kernel_manual_unrollILi128ELi4EZNS0_15gpu_kernel_implIZZZNS0_17expm1_kernel_cudaERNS_18TensorIteratorBaseEENKUlvE_clEvENKUlvE0_clEvEUlfE_EEvS4_RKT_EUlibE_EEviT1_,@function
_ZN2at6native32elementwise_kernel_manual_unrollILi128ELi4EZNS0_15gpu_kernel_implIZZZNS0_17expm1_kernel_cudaERNS_18TensorIteratorBaseEENKUlvE_clEvENKUlvE0_clEvEUlfE_EEvS4_RKT_EUlibE_EEviT1_: ; @_ZN2at6native32elementwise_kernel_manual_unrollILi128ELi4EZNS0_15gpu_kernel_implIZZZNS0_17expm1_kernel_cudaERNS_18TensorIteratorBaseEENKUlvE_clEvENKUlvE0_clEvEUlfE_EEvS4_RKT_EUlibE_EEviT1_
; %bb.0:
	v_mov_b32_e32 v1, 0
	global_load_ushort v1, v1, s[0:1] offset:33
	s_load_dwordx4 s[4:7], s[0:1], 0x8
	s_load_dwordx2 s[8:9], s[0:1], 0x18
	s_load_dword s38, s[0:1], 0x0
	v_lshl_or_b32 v5, s2, 9, v0
	v_or_b32_e32 v0, 0x180, v5
	s_mov_b64 s[10:11], 0
	s_mov_b64 s[12:13], 0
	s_waitcnt lgkmcnt(0)
	v_cmp_le_i32_e32 vcc, s38, v0
	s_waitcnt vmcnt(0)
	v_readfirstlane_b32 s33, v1
	s_and_b32 s0, 0xffff, s33
	s_lshr_b32 s42, s0, 8
	s_and_saveexec_b64 s[0:1], vcc
	s_xor_b64 s[2:3], exec, s[0:1]
	s_cbranch_execz .LBB120_1027
; %bb.1:
	v_cmp_gt_i32_e32 vcc, s38, v5
	s_mov_b64 s[18:19], -1
	s_mov_b64 s[20:21], 0
	s_mov_b64 s[14:15], 0
	s_and_saveexec_b64 s[16:17], vcc
	s_cbranch_execz .LBB120_252
; %bb.2:
	v_mul_lo_u32 v0, v5, s9
	v_ashrrev_i32_e32 v1, 31, v0
	s_and_b32 s22, 0xffff, s42
	s_cmp_lt_i32 s22, 11
	v_lshl_add_u64 v[0:1], s[6:7], 0, v[0:1]
	s_cbranch_scc1 .LBB120_9
; %bb.3:
	s_cmp_gt_i32 s22, 25
	s_cbranch_scc0 .LBB120_18
; %bb.4:
	s_cmp_gt_i32 s22, 28
	s_cbranch_scc0 .LBB120_22
	;; [unrolled: 3-line block ×4, first 2 shown]
; %bb.7:
	s_cmp_eq_u32 s22, 46
	s_cbranch_scc0 .LBB120_28
; %bb.8:
	global_load_dword v2, v[0:1], off
	s_mov_b64 s[0:1], -1
	s_waitcnt vmcnt(0)
	v_lshlrev_b32_e32 v2, 16, v2
	s_branch .LBB120_30
.LBB120_9:
                                        ; implicit-def: $vgpr2
	s_mov_b64 s[0:1], 0
	s_cbranch_execnz .LBB120_203
.LBB120_10:
	s_andn2_b64 vcc, exec, s[0:1]
	s_cbranch_vccnz .LBB120_250
.LBB120_11:
	s_waitcnt vmcnt(0)
	v_mul_f32_e32 v0, 0x3fb8aa3b, v2
	v_rndne_f32_e32 v0, v0
	v_fmamk_f32 v1, v0, 0xbf317218, v2
	v_fmamk_f32 v1, v0, 0x3102e308, v1
	v_mov_b32_e32 v3, 0x3ab69700
	v_fmac_f32_e32 v3, 0x395133b1, v1
	v_fmaak_f32 v3, v1, v3, 0x3c0887f9
	v_fmaak_f32 v3, v1, v3, 0x3d2aaa81
	v_cvt_i32_f32_e32 v4, v0
	v_fmaak_f32 v3, v1, v3, 0x3e2aaaab
	v_fma_f32 v3, v1, v3, 0.5
	v_mul_f32_e32 v3, v1, v3
	s_mov_b32 s0, 0x43000000
	v_fmac_f32_e32 v1, v1, v3
	v_ldexp_f32 v3, 1.0, v4
	v_mov_b32_e32 v4, 0x7f000000
	v_cmp_eq_f32_e32 vcc, s0, v0
	s_mov_b32 s0, 0x42b17217
	s_and_b32 s24, s33, 0xff
	v_cndmask_b32_e32 v0, v3, v4, vcc
	v_add_f32_e32 v3, -1.0, v0
	v_fmac_f32_e32 v3, v0, v1
	v_add_f32_e32 v0, v3, v3
	v_cndmask_b32_e32 v0, v3, v0, vcc
	v_mov_b32_e32 v1, 0x7f800000
	v_cmp_nlt_f32_e32 vcc, s0, v2
	s_mov_b32 s0, 0xc1880000
	s_cmp_lt_i32 s24, 11
	v_cndmask_b32_e32 v0, v1, v0, vcc
	v_cmp_ngt_f32_e32 vcc, s0, v2
	s_nop 1
	v_cndmask_b32_e32 v2, -1.0, v0, vcc
	v_mul_lo_u32 v0, v5, s8
	v_ashrrev_i32_e32 v1, 31, v0
	v_lshl_add_u64 v[0:1], s[4:5], 0, v[0:1]
	s_cbranch_scc1 .LBB120_19
; %bb.12:
	s_and_b32 s25, 0xffff, s24
	s_cmp_gt_i32 s25, 25
	s_cbranch_scc0 .LBB120_23
; %bb.13:
	s_cmp_gt_i32 s25, 28
	s_cbranch_scc0 .LBB120_25
; %bb.14:
	;; [unrolled: 3-line block ×4, first 2 shown]
	s_mov_b64 s[18:19], 0
	s_mov_b64 s[0:1], -1
	s_cmp_eq_u32 s25, 46
	s_mov_b64 s[12:13], 0
	s_cbranch_scc0 .LBB120_34
; %bb.17:
	v_bfe_u32 v3, v2, 16, 1
	s_movk_i32 s0, 0x7fff
	v_add3_u32 v3, v2, v3, s0
	v_cmp_o_f32_e32 vcc, v2, v2
	v_mov_b32_e32 v4, 0x7fc0
	s_mov_b64 s[12:13], -1
	v_cndmask_b32_sdwa v3, v4, v3, vcc dst_sel:DWORD dst_unused:UNUSED_PAD src0_sel:DWORD src1_sel:WORD_1
	global_store_dword v[0:1], v3, off
	s_mov_b64 s[0:1], 0
	s_branch .LBB120_34
.LBB120_18:
	s_mov_b64 s[0:1], 0
                                        ; implicit-def: $vgpr2
	s_cbranch_execnz .LBB120_168
	s_branch .LBB120_202
.LBB120_19:
	s_mov_b64 s[0:1], 0
	s_mov_b64 s[12:13], 0
	s_cbranch_execnz .LBB120_103
.LBB120_20:
	s_andn2_b64 vcc, exec, s[12:13]
	s_cbranch_vccnz .LBB120_141
.LBB120_21:
	v_add_u32_e32 v5, 0x80, v5
	s_mov_b64 s[18:19], -1
	s_branch .LBB120_251
.LBB120_22:
	s_mov_b64 s[12:13], -1
	s_mov_b64 s[0:1], 0
                                        ; implicit-def: $vgpr2
	s_branch .LBB120_149
.LBB120_23:
	s_mov_b64 s[18:19], -1
	s_mov_b64 s[0:1], 0
	s_mov_b64 s[12:13], 0
	s_branch .LBB120_61
.LBB120_24:
	s_mov_b64 s[12:13], -1
	s_mov_b64 s[0:1], 0
                                        ; implicit-def: $vgpr2
	s_branch .LBB120_144
.LBB120_25:
	s_mov_b64 s[18:19], -1
	s_mov_b64 s[0:1], 0
	s_mov_b64 s[12:13], 0
	s_branch .LBB120_44
.LBB120_26:
	s_mov_b64 s[12:13], -1
	s_branch .LBB120_29
.LBB120_27:
	s_mov_b64 s[18:19], -1
	s_mov_b64 s[0:1], 0
	s_mov_b64 s[12:13], 0
	s_branch .LBB120_40
.LBB120_28:
	s_mov_b64 s[14:15], -1
.LBB120_29:
	s_mov_b64 s[0:1], 0
                                        ; implicit-def: $vgpr2
.LBB120_30:
	s_and_b64 vcc, exec, s[12:13]
	s_cbranch_vccz .LBB120_143
; %bb.31:
	s_cmp_eq_u32 s22, 44
	s_cbranch_scc0 .LBB120_142
; %bb.32:
	global_load_ubyte v2, v[0:1], off
	s_movk_i32 s12, 0xff
	v_mov_b32_e32 v3, 0x7f800001
	v_mov_b32_e32 v4, 0x400000
	s_mov_b64 s[0:1], -1
	s_mov_b64 s[14:15], 0
	s_waitcnt vmcnt(0)
	v_lshlrev_b32_e32 v6, 23, v2
	v_cmp_ne_u32_e32 vcc, s12, v2
	s_nop 1
	v_cndmask_b32_e32 v3, v3, v6, vcc
	v_cmp_ne_u32_e32 vcc, 0, v2
	s_nop 1
	v_cndmask_b32_e32 v2, v4, v3, vcc
	s_branch .LBB120_143
.LBB120_33:
	s_mov_b64 s[18:19], -1
	s_mov_b64 s[0:1], 0
	s_mov_b64 s[12:13], 0
.LBB120_34:
	s_and_b64 vcc, exec, s[18:19]
	s_cbranch_vccz .LBB120_39
; %bb.35:
	s_cmp_eq_u32 s25, 44
	s_mov_b64 s[0:1], -1
	s_cbranch_scc0 .LBB120_39
; %bb.36:
	v_bfe_u32 v3, v2, 23, 8
	s_movk_i32 s0, 0xff
	v_cmp_ne_u32_e32 vcc, s0, v3
	v_mov_b32_e32 v4, 0xff
	s_and_saveexec_b64 s[12:13], vcc
; %bb.37:
	s_mov_b32 s0, 0x3fffff
	v_and_b32_e32 v6, 0x400000, v2
	v_and_or_b32 v3, v2, s0, v3
	v_cmp_ne_u32_e32 vcc, 0, v6
	v_cmp_ne_u32_e64 s[0:1], 0, v3
	s_and_b64 s[0:1], vcc, s[0:1]
	v_lshrrev_b32_e32 v4, 23, v2
	v_cndmask_b32_e64 v3, 0, 1, s[0:1]
	v_add_u32_e32 v4, v4, v3
; %bb.38:
	s_or_b64 exec, exec, s[12:13]
	s_mov_b64 s[12:13], -1
	s_mov_b64 s[0:1], 0
	global_store_byte v[0:1], v4, off
.LBB120_39:
	s_mov_b64 s[18:19], 0
.LBB120_40:
	s_and_b64 vcc, exec, s[18:19]
	s_cbranch_vccz .LBB120_43
; %bb.41:
	s_cmp_eq_u32 s25, 29
	s_mov_b64 s[0:1], -1
	s_cbranch_scc0 .LBB120_43
; %bb.42:
	v_trunc_f32_e32 v3, v2
	v_mul_f32_e32 v4, 0x2f800000, v3
	v_floor_f32_e32 v4, v4
	v_fmamk_f32 v3, v4, 0xcf800000, v3
	v_cvt_u32_f32_e32 v7, v4
	v_cvt_u32_f32_e32 v6, v3
	s_mov_b64 s[12:13], -1
	s_mov_b64 s[0:1], 0
	s_mov_b64 s[18:19], 0
	global_store_dwordx2 v[0:1], v[6:7], off
	s_branch .LBB120_44
.LBB120_43:
	s_mov_b64 s[18:19], 0
.LBB120_44:
	s_and_b64 vcc, exec, s[18:19]
	s_cbranch_vccz .LBB120_60
; %bb.45:
	s_cmp_lt_i32 s25, 27
	s_mov_b64 s[12:13], -1
	s_cbranch_scc1 .LBB120_51
; %bb.46:
	v_cvt_u32_f32_e32 v3, v2
	s_cmp_gt_i32 s25, 27
	s_cbranch_scc0 .LBB120_48
; %bb.47:
	s_mov_b64 s[12:13], 0
	global_store_dword v[0:1], v3, off
.LBB120_48:
	s_andn2_b64 vcc, exec, s[12:13]
	s_cbranch_vccnz .LBB120_50
; %bb.49:
	global_store_short v[0:1], v3, off
.LBB120_50:
	s_mov_b64 s[12:13], 0
.LBB120_51:
	s_andn2_b64 vcc, exec, s[12:13]
	s_cbranch_vccnz .LBB120_59
; %bb.52:
	v_and_b32_e32 v3, 0x7fffffff, v2
	s_mov_b32 s12, 0x43800000
	v_cmp_gt_u32_e32 vcc, s12, v3
	v_mov_b32_e32 v4, 0x80
	s_and_saveexec_b64 s[12:13], vcc
	s_cbranch_execz .LBB120_58
; %bb.53:
	s_mov_b32 s18, 0x3bffffff
	v_cmp_lt_u32_e32 vcc, s18, v3
	s_mov_b64 s[18:19], 0
                                        ; implicit-def: $vgpr3
	s_and_saveexec_b64 s[22:23], vcc
	s_xor_b64 s[22:23], exec, s[22:23]
	s_cbranch_execz .LBB120_279
; %bb.54:
	v_bfe_u32 v3, v2, 20, 1
	s_mov_b32 s26, 0x487ffff
	v_add3_u32 v3, v2, v3, s26
	s_mov_b64 s[18:19], exec
	v_lshrrev_b32_e32 v3, 20, v3
	s_andn2_saveexec_b64 s[22:23], s[22:23]
	s_cbranch_execnz .LBB120_280
.LBB120_55:
	s_or_b64 exec, exec, s[22:23]
	v_mov_b32_e32 v4, 0
	s_and_saveexec_b64 s[22:23], s[18:19]
.LBB120_56:
	v_lshrrev_b32_e32 v4, 24, v2
	s_movk_i32 s18, 0x80
	v_and_or_b32 v4, v4, s18, v3
.LBB120_57:
	s_or_b64 exec, exec, s[22:23]
.LBB120_58:
	s_or_b64 exec, exec, s[12:13]
	global_store_byte v[0:1], v4, off
.LBB120_59:
	s_mov_b64 s[12:13], -1
.LBB120_60:
	s_mov_b64 s[18:19], 0
.LBB120_61:
	s_and_b64 vcc, exec, s[18:19]
	s_cbranch_vccz .LBB120_102
; %bb.62:
	s_cmp_gt_i32 s25, 22
	s_mov_b64 s[18:19], -1
	s_cbranch_scc0 .LBB120_94
; %bb.63:
	s_cmp_lt_i32 s25, 24
	s_mov_b64 s[12:13], -1
	s_cbranch_scc1 .LBB120_83
; %bb.64:
	s_cmp_gt_i32 s25, 24
	s_cbranch_scc0 .LBB120_72
; %bb.65:
	v_and_b32_e32 v3, 0x7fffffff, v2
	s_mov_b32 s12, 0x47800000
	v_cmp_gt_u32_e32 vcc, s12, v3
	v_mov_b32_e32 v4, 0x80
	s_and_saveexec_b64 s[12:13], vcc
	s_cbranch_execz .LBB120_71
; %bb.66:
	s_mov_b32 s18, 0x37ffffff
	v_cmp_lt_u32_e32 vcc, s18, v3
	s_mov_b64 s[18:19], 0
                                        ; implicit-def: $vgpr3
	s_and_saveexec_b64 s[22:23], vcc
	s_xor_b64 s[22:23], exec, s[22:23]
	s_cbranch_execz .LBB120_283
; %bb.67:
	v_bfe_u32 v3, v2, 21, 1
	s_mov_b32 s26, 0x88fffff
	v_add3_u32 v3, v2, v3, s26
	s_mov_b64 s[18:19], exec
	v_lshrrev_b32_e32 v3, 21, v3
	s_andn2_saveexec_b64 s[22:23], s[22:23]
	s_cbranch_execnz .LBB120_284
.LBB120_68:
	s_or_b64 exec, exec, s[22:23]
	v_mov_b32_e32 v4, 0
	s_and_saveexec_b64 s[22:23], s[18:19]
.LBB120_69:
	v_lshrrev_b32_e32 v4, 24, v2
	s_movk_i32 s18, 0x80
	v_and_or_b32 v4, v4, s18, v3
.LBB120_70:
	s_or_b64 exec, exec, s[22:23]
.LBB120_71:
	s_or_b64 exec, exec, s[12:13]
	s_mov_b64 s[12:13], 0
	global_store_byte v[0:1], v4, off
.LBB120_72:
	s_and_b64 vcc, exec, s[12:13]
	s_cbranch_vccz .LBB120_82
; %bb.73:
	v_and_b32_e32 v4, 0x7fffffff, v2
	s_mov_b32 s12, 0x43f00000
	v_cmp_gt_u32_e32 vcc, s12, v4
                                        ; implicit-def: $vgpr3
	s_and_saveexec_b64 s[12:13], vcc
	s_xor_b64 s[12:13], exec, s[12:13]
	s_cbranch_execz .LBB120_79
; %bb.74:
	s_mov_b32 s18, 0x3c7fffff
	v_cmp_lt_u32_e32 vcc, s18, v4
                                        ; implicit-def: $vgpr3
	s_and_saveexec_b64 s[18:19], vcc
	s_xor_b64 s[18:19], exec, s[18:19]
; %bb.75:
	v_bfe_u32 v3, v2, 20, 1
	s_mov_b32 s22, 0x407ffff
	v_add3_u32 v3, v2, v3, s22
	v_lshrrev_b32_e32 v4, 20, v3
	v_and_b32_e32 v3, 0xff00000, v3
	s_mov_b32 s22, 0x7f00000
	v_mov_b32_e32 v6, 0x7e
	v_cmp_ne_u32_e32 vcc, s22, v3
	s_nop 1
	v_cndmask_b32_e32 v3, v6, v4, vcc
; %bb.76:
	s_andn2_saveexec_b64 s[18:19], s[18:19]
; %bb.77:
	s_mov_b32 s22, 0x46800000
	v_add_f32_e64 v3, |v2|, s22
; %bb.78:
	s_or_b64 exec, exec, s[18:19]
                                        ; implicit-def: $vgpr4
.LBB120_79:
	s_andn2_saveexec_b64 s[12:13], s[12:13]
; %bb.80:
	s_mov_b32 s18, 0x7f800000
	v_mov_b32_e32 v3, 0x7e
	v_mov_b32_e32 v6, 0x7f
	v_cmp_lt_u32_e32 vcc, s18, v4
	s_nop 1
	v_cndmask_b32_e32 v3, v3, v6, vcc
; %bb.81:
	s_or_b64 exec, exec, s[12:13]
	v_lshrrev_b32_e32 v4, 24, v2
	s_movk_i32 s12, 0x80
	v_and_or_b32 v3, v4, s12, v3
	global_store_byte v[0:1], v3, off
.LBB120_82:
	s_mov_b64 s[12:13], 0
.LBB120_83:
	s_andn2_b64 vcc, exec, s[12:13]
	s_cbranch_vccnz .LBB120_93
; %bb.84:
	v_and_b32_e32 v4, 0x7fffffff, v2
	s_mov_b32 s12, 0x47800000
	v_cmp_gt_u32_e32 vcc, s12, v4
                                        ; implicit-def: $vgpr3
	s_and_saveexec_b64 s[12:13], vcc
	s_xor_b64 s[12:13], exec, s[12:13]
	s_cbranch_execz .LBB120_90
; %bb.85:
	s_mov_b32 s18, 0x387fffff
	v_cmp_lt_u32_e32 vcc, s18, v4
                                        ; implicit-def: $vgpr3
	s_and_saveexec_b64 s[18:19], vcc
	s_xor_b64 s[18:19], exec, s[18:19]
; %bb.86:
	v_bfe_u32 v3, v2, 21, 1
	s_mov_b32 s22, 0x80fffff
	v_add3_u32 v3, v2, v3, s22
	v_lshrrev_b32_e32 v3, 21, v3
; %bb.87:
	s_andn2_saveexec_b64 s[18:19], s[18:19]
; %bb.88:
	s_mov_b32 s22, 0x43000000
	v_add_f32_e64 v3, |v2|, s22
; %bb.89:
	s_or_b64 exec, exec, s[18:19]
                                        ; implicit-def: $vgpr4
.LBB120_90:
	s_andn2_saveexec_b64 s[12:13], s[12:13]
; %bb.91:
	s_mov_b32 s18, 0x7f800000
	v_mov_b32_e32 v3, 0x7c
	v_mov_b32_e32 v6, 0x7f
	v_cmp_lt_u32_e32 vcc, s18, v4
	s_nop 1
	v_cndmask_b32_e32 v3, v3, v6, vcc
; %bb.92:
	s_or_b64 exec, exec, s[12:13]
	v_lshrrev_b32_e32 v4, 24, v2
	s_movk_i32 s12, 0x80
	v_and_or_b32 v3, v4, s12, v3
	global_store_byte v[0:1], v3, off
.LBB120_93:
	s_mov_b64 s[18:19], 0
	s_mov_b64 s[12:13], -1
.LBB120_94:
	s_andn2_b64 vcc, exec, s[18:19]
	s_cbranch_vccnz .LBB120_102
; %bb.95:
	s_cmp_gt_i32 s25, 14
	s_mov_b64 s[18:19], -1
	s_cbranch_scc0 .LBB120_99
; %bb.96:
	s_cmp_eq_u32 s25, 15
	s_mov_b64 s[0:1], -1
	s_cbranch_scc0 .LBB120_98
; %bb.97:
	v_bfe_u32 v3, v2, 16, 1
	s_movk_i32 s0, 0x7fff
	v_add3_u32 v3, v2, v3, s0
	v_cmp_o_f32_e32 vcc, v2, v2
	v_mov_b32_e32 v4, 0x7fc0
	s_mov_b64 s[12:13], -1
	v_cndmask_b32_sdwa v3, v4, v3, vcc dst_sel:DWORD dst_unused:UNUSED_PAD src0_sel:DWORD src1_sel:WORD_1
	global_store_short v[0:1], v3, off
	s_mov_b64 s[0:1], 0
.LBB120_98:
	s_mov_b64 s[18:19], 0
.LBB120_99:
	s_and_b64 vcc, exec, s[18:19]
	s_cbranch_vccz .LBB120_102
; %bb.100:
	s_cmp_eq_u32 s25, 11
	s_mov_b64 s[0:1], -1
	s_cbranch_scc0 .LBB120_102
; %bb.101:
	v_cmp_neq_f32_e32 vcc, 0, v2
	s_mov_b64 s[12:13], -1
	s_mov_b64 s[0:1], 0
	v_cndmask_b32_e64 v3, 0, 1, vcc
	global_store_byte v[0:1], v3, off
.LBB120_102:
	s_branch .LBB120_20
.LBB120_103:
	s_and_b32 s18, 0xffff, s24
	s_cmp_lt_i32 s18, 5
	s_mov_b64 s[12:13], -1
	s_cbranch_scc1 .LBB120_124
; %bb.104:
	s_cmp_lt_i32 s18, 8
	s_cbranch_scc1 .LBB120_114
; %bb.105:
	s_cmp_lt_i32 s18, 9
	s_cbranch_scc1 .LBB120_111
; %bb.106:
	s_cmp_gt_i32 s18, 9
	s_cbranch_scc0 .LBB120_108
; %bb.107:
	v_mov_b32_e32 v8, 0
	v_cvt_f64_f32_e32 v[6:7], v2
	v_mov_b32_e32 v9, v8
	global_store_dwordx4 v[0:1], v[6:9], off
	s_mov_b64 s[12:13], 0
.LBB120_108:
	s_andn2_b64 vcc, exec, s[12:13]
	s_cbranch_vccnz .LBB120_110
; %bb.109:
	v_mov_b32_e32 v3, 0
	global_store_dwordx2 v[0:1], v[2:3], off
.LBB120_110:
	s_mov_b64 s[12:13], 0
.LBB120_111:
	s_andn2_b64 vcc, exec, s[12:13]
	s_cbranch_vccnz .LBB120_113
; %bb.112:
	v_cvt_f16_f32_e32 v3, v2
	global_store_dword v[0:1], v3, off
.LBB120_113:
	s_mov_b64 s[12:13], 0
.LBB120_114:
	s_andn2_b64 vcc, exec, s[12:13]
	s_cbranch_vccnz .LBB120_123
; %bb.115:
	s_cmp_lt_i32 s18, 6
	s_mov_b64 s[12:13], -1
	s_cbranch_scc1 .LBB120_121
; %bb.116:
	s_cmp_gt_i32 s18, 6
	s_cbranch_scc0 .LBB120_118
; %bb.117:
	v_cvt_f64_f32_e32 v[6:7], v2
	global_store_dwordx2 v[0:1], v[6:7], off
	s_mov_b64 s[12:13], 0
.LBB120_118:
	s_andn2_b64 vcc, exec, s[12:13]
	s_cbranch_vccnz .LBB120_120
; %bb.119:
	global_store_dword v[0:1], v2, off
.LBB120_120:
	s_mov_b64 s[12:13], 0
.LBB120_121:
	s_andn2_b64 vcc, exec, s[12:13]
	s_cbranch_vccnz .LBB120_123
; %bb.122:
	v_cvt_f16_f32_e32 v3, v2
	global_store_short v[0:1], v3, off
.LBB120_123:
	s_mov_b64 s[12:13], 0
.LBB120_124:
	s_andn2_b64 vcc, exec, s[12:13]
	s_cbranch_vccnz .LBB120_140
; %bb.125:
	s_cmp_lt_i32 s18, 2
	s_mov_b64 s[12:13], -1
	s_cbranch_scc1 .LBB120_135
; %bb.126:
	s_cmp_lt_i32 s18, 3
	s_cbranch_scc1 .LBB120_132
; %bb.127:
	s_cmp_gt_i32 s18, 3
	s_cbranch_scc0 .LBB120_129
; %bb.128:
	v_trunc_f32_e32 v3, v2
	s_mov_b32 s12, 0x2f800000
	v_mul_f32_e64 v4, |v3|, s12
	v_floor_f32_e32 v4, v4
	s_mov_b32 s12, 0xcf800000
	v_cvt_u32_f32_e32 v6, v4
	v_fma_f32 v4, v4, s12, |v3|
	v_cvt_u32_f32_e32 v4, v4
	v_ashrrev_i32_e32 v3, 31, v3
	v_xor_b32_e32 v7, v6, v3
	s_mov_b64 s[12:13], 0
	v_xor_b32_e32 v4, v4, v3
	v_sub_co_u32_e32 v6, vcc, v4, v3
	s_nop 1
	v_subb_co_u32_e32 v7, vcc, v7, v3, vcc
	global_store_dwordx2 v[0:1], v[6:7], off
.LBB120_129:
	s_andn2_b64 vcc, exec, s[12:13]
	s_cbranch_vccnz .LBB120_131
; %bb.130:
	v_cvt_i32_f32_e32 v3, v2
	global_store_dword v[0:1], v3, off
.LBB120_131:
	s_mov_b64 s[12:13], 0
.LBB120_132:
	s_andn2_b64 vcc, exec, s[12:13]
	s_cbranch_vccnz .LBB120_134
; %bb.133:
	v_cvt_i32_f32_e32 v3, v2
	global_store_short v[0:1], v3, off
.LBB120_134:
	s_mov_b64 s[12:13], 0
.LBB120_135:
	s_andn2_b64 vcc, exec, s[12:13]
	s_cbranch_vccnz .LBB120_140
; %bb.136:
	s_cmp_gt_i32 s18, 0
	s_mov_b64 s[12:13], -1
	s_cbranch_scc0 .LBB120_138
; %bb.137:
	v_cvt_i32_f32_e32 v3, v2
	s_mov_b64 s[12:13], 0
	global_store_byte v[0:1], v3, off
.LBB120_138:
	s_andn2_b64 vcc, exec, s[12:13]
	s_cbranch_vccnz .LBB120_140
; %bb.139:
	v_trunc_f32_e32 v2, v2
	s_mov_b32 s12, 0x2f800000
	v_mul_f32_e64 v3, |v2|, s12
	v_floor_f32_e32 v3, v3
	s_mov_b32 s12, 0xcf800000
	v_fma_f32 v3, v3, s12, |v2|
	v_cvt_u32_f32_e32 v3, v3
	v_ashrrev_i32_e32 v2, 31, v2
	v_xor_b32_e32 v3, v3, v2
	v_sub_u32_e32 v2, v3, v2
	global_store_byte v[0:1], v2, off
.LBB120_140:
	s_branch .LBB120_21
.LBB120_141:
	s_mov_b64 s[18:19], 0
                                        ; implicit-def: $vgpr5
	s_branch .LBB120_251
.LBB120_142:
	s_mov_b64 s[14:15], -1
                                        ; implicit-def: $vgpr2
.LBB120_143:
	s_mov_b64 s[12:13], 0
.LBB120_144:
	s_and_b64 vcc, exec, s[12:13]
	s_cbranch_vccz .LBB120_148
; %bb.145:
	s_cmp_eq_u32 s22, 29
	s_cbranch_scc0 .LBB120_147
; %bb.146:
	global_load_dwordx2 v[2:3], v[0:1], off
	s_mov_b64 s[0:1], -1
	s_mov_b64 s[14:15], 0
	s_mov_b64 s[12:13], 0
	s_waitcnt vmcnt(0)
	v_ffbh_u32_e32 v4, v3
	v_min_u32_e32 v4, 32, v4
	v_lshlrev_b64 v[2:3], v4, v[2:3]
	v_min_u32_e32 v2, 1, v2
	v_or_b32_e32 v2, v3, v2
	v_cvt_f32_u32_e32 v2, v2
	v_sub_u32_e32 v3, 32, v4
	v_ldexp_f32 v2, v2, v3
	s_branch .LBB120_149
.LBB120_147:
	s_mov_b64 s[14:15], -1
                                        ; implicit-def: $vgpr2
.LBB120_148:
	s_mov_b64 s[12:13], 0
.LBB120_149:
	s_and_b64 vcc, exec, s[12:13]
	s_cbranch_vccz .LBB120_167
; %bb.150:
	s_cmp_lt_i32 s22, 27
	s_cbranch_scc1 .LBB120_153
; %bb.151:
	s_cmp_gt_i32 s22, 27
	s_cbranch_scc0 .LBB120_154
; %bb.152:
	global_load_dword v2, v[0:1], off
	s_mov_b64 s[0:1], 0
	s_waitcnt vmcnt(0)
	v_cvt_f32_u32_e32 v2, v2
	s_branch .LBB120_155
.LBB120_153:
	s_mov_b64 s[0:1], -1
                                        ; implicit-def: $vgpr2
	s_branch .LBB120_158
.LBB120_154:
	s_mov_b64 s[0:1], -1
                                        ; implicit-def: $vgpr2
.LBB120_155:
	s_andn2_b64 vcc, exec, s[0:1]
	s_cbranch_vccnz .LBB120_157
; %bb.156:
	global_load_ushort v2, v[0:1], off
	s_waitcnt vmcnt(0)
	v_cvt_f32_u32_e32 v2, v2
.LBB120_157:
	s_mov_b64 s[0:1], 0
.LBB120_158:
	s_andn2_b64 vcc, exec, s[0:1]
	s_cbranch_vccnz .LBB120_166
; %bb.159:
	global_load_ubyte v3, v[0:1], off
	s_movk_i32 s0, 0x7f
	s_waitcnt vmcnt(0)
	v_cmp_lt_i16_e32 vcc, s0, v3
	s_mov_b64 s[0:1], 0
	s_and_saveexec_b64 s[12:13], vcc
	s_xor_b64 s[12:13], exec, s[12:13]
	s_cbranch_execz .LBB120_179
; %bb.160:
	s_movk_i32 s0, 0x80
	v_cmp_eq_u16_e32 vcc, s0, v3
	s_mov_b64 s[0:1], -1
	s_and_saveexec_b64 s[18:19], vcc
; %bb.161:
	s_xor_b64 s[0:1], exec, -1
; %bb.162:
	s_or_b64 exec, exec, s[18:19]
	s_and_b64 s[0:1], s[0:1], exec
	s_or_saveexec_b64 s[12:13], s[12:13]
	v_mov_b32_e32 v2, 0x7f800001
	s_xor_b64 exec, exec, s[12:13]
	s_cbranch_execnz .LBB120_180
.LBB120_163:
	s_or_b64 exec, exec, s[12:13]
	s_and_saveexec_b64 s[12:13], s[0:1]
	s_cbranch_execz .LBB120_165
.LBB120_164:
	v_lshlrev_b32_e32 v2, 24, v3
	v_and_b32_e32 v3, 0xffff, v3
	v_and_b32_e32 v4, 7, v3
	v_ffbh_u32_e32 v7, v4
	v_min_u32_e32 v7, 32, v7
	v_subrev_u32_e32 v8, 28, v7
	v_bfe_u32 v6, v3, 3, 4
	v_lshlrev_b32_e32 v3, v8, v3
	v_sub_u32_e32 v7, 29, v7
	v_and_b32_e32 v3, 7, v3
	v_cmp_eq_u32_e32 vcc, 0, v6
	v_and_b32_e32 v2, 0x80000000, v2
	s_nop 0
	v_cndmask_b32_e32 v6, v6, v7, vcc
	v_cndmask_b32_e32 v3, v4, v3, vcc
	v_mov_b32_e32 v4, 0x3b800000
	v_lshlrev_b32_e32 v3, 20, v3
	v_lshl_add_u32 v4, v6, 23, v4
	v_or3_b32 v2, v2, v4, v3
.LBB120_165:
	s_or_b64 exec, exec, s[12:13]
.LBB120_166:
	s_mov_b64 s[0:1], -1
.LBB120_167:
	s_branch .LBB120_202
.LBB120_168:
	s_cmp_gt_i32 s22, 22
	s_cbranch_scc0 .LBB120_178
; %bb.169:
	s_cmp_lt_i32 s22, 24
	s_cbranch_scc1 .LBB120_181
; %bb.170:
	s_cmp_gt_i32 s22, 24
	s_cbranch_scc0 .LBB120_182
; %bb.171:
	global_load_ubyte v3, v[0:1], off
	s_movk_i32 s0, 0x7f
	s_waitcnt vmcnt(0)
	v_cmp_lt_i16_e32 vcc, s0, v3
	s_mov_b64 s[0:1], 0
	s_and_saveexec_b64 s[12:13], vcc
	s_xor_b64 s[12:13], exec, s[12:13]
	s_cbranch_execz .LBB120_194
; %bb.172:
	s_movk_i32 s0, 0x80
	v_cmp_eq_u16_e32 vcc, s0, v3
	s_mov_b64 s[0:1], -1
	s_and_saveexec_b64 s[18:19], vcc
; %bb.173:
	s_xor_b64 s[0:1], exec, -1
; %bb.174:
	s_or_b64 exec, exec, s[18:19]
	s_and_b64 s[0:1], s[0:1], exec
	s_or_saveexec_b64 s[12:13], s[12:13]
	v_mov_b32_e32 v2, 0x7f800001
	s_xor_b64 exec, exec, s[12:13]
	s_cbranch_execnz .LBB120_195
.LBB120_175:
	s_or_b64 exec, exec, s[12:13]
	s_and_saveexec_b64 s[12:13], s[0:1]
	s_cbranch_execz .LBB120_177
.LBB120_176:
	v_lshlrev_b32_e32 v2, 24, v3
	v_and_b32_e32 v3, 0xffff, v3
	v_and_b32_e32 v4, 3, v3
	v_ffbh_u32_e32 v7, v4
	v_min_u32_e32 v7, 32, v7
	v_subrev_u32_e32 v8, 29, v7
	v_bfe_u32 v6, v3, 2, 5
	v_lshlrev_b32_e32 v3, v8, v3
	v_sub_u32_e32 v7, 30, v7
	v_and_b32_e32 v3, 3, v3
	v_cmp_eq_u32_e32 vcc, 0, v6
	v_and_b32_e32 v2, 0x80000000, v2
	s_nop 0
	v_cndmask_b32_e32 v6, v6, v7, vcc
	v_cndmask_b32_e32 v3, v4, v3, vcc
	v_mov_b32_e32 v4, 0x37800000
	v_lshlrev_b32_e32 v3, 21, v3
	v_lshl_add_u32 v4, v6, 23, v4
	v_or3_b32 v2, v2, v4, v3
.LBB120_177:
	s_or_b64 exec, exec, s[12:13]
	s_mov_b64 s[0:1], 0
	s_branch .LBB120_183
.LBB120_178:
	s_mov_b64 s[12:13], -1
                                        ; implicit-def: $vgpr2
	s_branch .LBB120_189
.LBB120_179:
	s_or_saveexec_b64 s[12:13], s[12:13]
	v_mov_b32_e32 v2, 0x7f800001
	s_xor_b64 exec, exec, s[12:13]
	s_cbranch_execz .LBB120_163
.LBB120_180:
	v_cmp_ne_u16_e32 vcc, 0, v3
	s_andn2_b64 s[0:1], s[0:1], exec
	s_and_b64 s[18:19], vcc, exec
	v_mov_b32_e32 v2, 0
	s_or_b64 s[0:1], s[0:1], s[18:19]
	s_or_b64 exec, exec, s[12:13]
	s_and_saveexec_b64 s[12:13], s[0:1]
	s_cbranch_execnz .LBB120_164
	s_branch .LBB120_165
.LBB120_181:
	s_mov_b64 s[0:1], -1
                                        ; implicit-def: $vgpr2
	s_branch .LBB120_186
.LBB120_182:
	s_mov_b64 s[0:1], -1
                                        ; implicit-def: $vgpr2
.LBB120_183:
	s_and_b64 vcc, exec, s[0:1]
	s_cbranch_vccz .LBB120_185
; %bb.184:
	global_load_ubyte v2, v[0:1], off
	s_mov_b32 s0, 0x7f800000
	s_waitcnt vmcnt(0)
	v_lshlrev_b32_e32 v2, 24, v2
	v_and_b32_e32 v3, 0x7f000000, v2
	v_ffbh_u32_e32 v4, v3
	v_min_u32_e32 v4, 32, v4
	v_sub_u32_e64 v4, v4, 4 clamp
	v_lshlrev_b32_e32 v7, v4, v3
	v_lshlrev_b32_e32 v4, 23, v4
	v_lshrrev_b32_e32 v7, 4, v7
	v_add_u32_e32 v6, 0x1000000, v3
	v_sub_u32_e32 v4, v7, v4
	v_ashrrev_i32_e32 v6, 8, v6
	v_add_u32_e32 v4, 0x3c000000, v4
	v_and_or_b32 v4, v6, s0, v4
	v_cmp_ne_u32_e32 vcc, 0, v3
	s_brev_b32 s0, 1
	s_nop 0
	v_cndmask_b32_e32 v3, 0, v4, vcc
	v_and_or_b32 v2, v2, s0, v3
.LBB120_185:
	s_mov_b64 s[0:1], 0
.LBB120_186:
	s_andn2_b64 vcc, exec, s[0:1]
	s_cbranch_vccnz .LBB120_188
; %bb.187:
	global_load_ubyte v2, v[0:1], off
	s_movk_i32 s0, 0x7f00
	s_brev_b32 s1, 16
	s_waitcnt vmcnt(0)
	v_lshlrev_b16_e32 v3, 8, v2
	v_lshlrev_b32_e32 v2, 25, v2
	v_lshrrev_b32_e32 v4, 4, v2
	v_and_or_b32 v6, v3, s0, 0.5
	v_or_b32_e32 v4, 0x70000000, v4
	v_add_f32_e32 v6, -0.5, v6
	v_mul_f32_e32 v4, 0x7800000, v4
	v_cmp_gt_u32_e32 vcc, s1, v2
	v_bfe_i32 v3, v3, 0, 16
	s_brev_b32 s0, 1
	v_cndmask_b32_e32 v2, v4, v6, vcc
	v_and_or_b32 v2, v3, s0, v2
.LBB120_188:
	s_mov_b64 s[12:13], 0
	s_mov_b64 s[0:1], -1
.LBB120_189:
	s_andn2_b64 vcc, exec, s[12:13]
	s_cbranch_vccnz .LBB120_202
; %bb.190:
	s_cmp_gt_i32 s22, 14
	s_cbranch_scc0 .LBB120_193
; %bb.191:
	s_cmp_eq_u32 s22, 15
	s_cbranch_scc0 .LBB120_196
; %bb.192:
	global_load_ushort v2, v[0:1], off
	s_mov_b64 s[0:1], -1
	s_mov_b64 s[14:15], 0
	s_waitcnt vmcnt(0)
	v_lshlrev_b32_e32 v2, 16, v2
	s_branch .LBB120_197
.LBB120_193:
	s_mov_b64 s[12:13], -1
                                        ; implicit-def: $vgpr2
	s_branch .LBB120_198
.LBB120_194:
	s_or_saveexec_b64 s[12:13], s[12:13]
	v_mov_b32_e32 v2, 0x7f800001
	s_xor_b64 exec, exec, s[12:13]
	s_cbranch_execz .LBB120_175
.LBB120_195:
	v_cmp_ne_u16_e32 vcc, 0, v3
	s_andn2_b64 s[0:1], s[0:1], exec
	s_and_b64 s[18:19], vcc, exec
	v_mov_b32_e32 v2, 0
	s_or_b64 s[0:1], s[0:1], s[18:19]
	s_or_b64 exec, exec, s[12:13]
	s_and_saveexec_b64 s[12:13], s[0:1]
	s_cbranch_execnz .LBB120_176
	s_branch .LBB120_177
.LBB120_196:
	s_mov_b64 s[14:15], -1
                                        ; implicit-def: $vgpr2
.LBB120_197:
	s_mov_b64 s[12:13], 0
.LBB120_198:
	s_and_b64 vcc, exec, s[12:13]
	s_cbranch_vccz .LBB120_202
; %bb.199:
	s_cmp_eq_u32 s22, 11
	s_cbranch_scc0 .LBB120_201
; %bb.200:
	global_load_ubyte v2, v[0:1], off
	s_mov_b64 s[0:1], -1
	s_mov_b64 s[14:15], 0
	s_waitcnt vmcnt(0)
	v_cmp_ne_u16_e32 vcc, 0, v2
	s_nop 1
	v_cndmask_b32_e64 v2, 0, 1.0, vcc
	s_branch .LBB120_202
.LBB120_201:
	s_mov_b64 s[14:15], -1
                                        ; implicit-def: $vgpr2
.LBB120_202:
	s_branch .LBB120_10
.LBB120_203:
	s_cmp_lt_i32 s22, 5
	s_cbranch_scc1 .LBB120_208
; %bb.204:
	s_cmp_lt_i32 s22, 8
	s_cbranch_scc1 .LBB120_209
; %bb.205:
	;; [unrolled: 3-line block ×3, first 2 shown]
	s_cmp_gt_i32 s22, 9
	s_cbranch_scc0 .LBB120_211
; %bb.207:
	global_load_dwordx2 v[2:3], v[0:1], off
	s_mov_b64 s[0:1], 0
	s_waitcnt vmcnt(0)
	v_cvt_f32_f64_e32 v2, v[2:3]
	s_branch .LBB120_212
.LBB120_208:
                                        ; implicit-def: $vgpr2
	s_branch .LBB120_230
.LBB120_209:
	s_mov_b64 s[0:1], -1
                                        ; implicit-def: $vgpr2
	s_branch .LBB120_218
.LBB120_210:
	s_mov_b64 s[0:1], -1
                                        ; implicit-def: $vgpr2
	s_branch .LBB120_215
.LBB120_211:
	s_mov_b64 s[0:1], -1
                                        ; implicit-def: $vgpr2
.LBB120_212:
	s_andn2_b64 vcc, exec, s[0:1]
	s_cbranch_vccnz .LBB120_214
; %bb.213:
	global_load_dword v2, v[0:1], off
.LBB120_214:
	s_mov_b64 s[0:1], 0
.LBB120_215:
	s_andn2_b64 vcc, exec, s[0:1]
	s_cbranch_vccnz .LBB120_217
; %bb.216:
	global_load_dword v2, v[0:1], off
	s_waitcnt vmcnt(0)
	v_cvt_f32_f16_e32 v2, v2
.LBB120_217:
	s_mov_b64 s[0:1], 0
.LBB120_218:
	s_andn2_b64 vcc, exec, s[0:1]
	s_cbranch_vccnz .LBB120_229
; %bb.219:
	s_cmp_lt_i32 s22, 6
	s_cbranch_scc1 .LBB120_222
; %bb.220:
	s_cmp_gt_i32 s22, 6
	s_cbranch_scc0 .LBB120_223
; %bb.221:
	global_load_dwordx2 v[2:3], v[0:1], off
	s_mov_b64 s[0:1], 0
	s_waitcnt vmcnt(0)
	v_cvt_f32_f64_e32 v2, v[2:3]
	s_branch .LBB120_224
.LBB120_222:
	s_mov_b64 s[0:1], -1
                                        ; implicit-def: $vgpr2
	s_branch .LBB120_227
.LBB120_223:
	s_mov_b64 s[0:1], -1
                                        ; implicit-def: $vgpr2
.LBB120_224:
	s_andn2_b64 vcc, exec, s[0:1]
	s_cbranch_vccnz .LBB120_226
; %bb.225:
	global_load_dword v2, v[0:1], off
.LBB120_226:
	s_mov_b64 s[0:1], 0
.LBB120_227:
	s_andn2_b64 vcc, exec, s[0:1]
	s_cbranch_vccnz .LBB120_229
; %bb.228:
	global_load_ushort v2, v[0:1], off
	s_waitcnt vmcnt(0)
	v_cvt_f32_f16_e32 v2, v2
.LBB120_229:
	s_cbranch_execnz .LBB120_249
.LBB120_230:
	s_cmp_lt_i32 s22, 2
	s_cbranch_scc1 .LBB120_234
; %bb.231:
	s_cmp_lt_i32 s22, 3
	s_cbranch_scc1 .LBB120_235
; %bb.232:
	s_cmp_gt_i32 s22, 3
	s_cbranch_scc0 .LBB120_236
; %bb.233:
	global_load_dwordx2 v[2:3], v[0:1], off
	s_mov_b64 s[0:1], 0
	s_waitcnt vmcnt(0)
	v_xor_b32_e32 v6, v2, v3
	v_ffbh_i32_e32 v4, v3
	v_ashrrev_i32_e32 v6, 31, v6
	v_add_u32_e32 v4, -1, v4
	v_add_u32_e32 v6, 32, v6
	v_min_u32_e32 v4, v4, v6
	v_lshlrev_b64 v[2:3], v4, v[2:3]
	v_min_u32_e32 v2, 1, v2
	v_or_b32_e32 v2, v3, v2
	v_cvt_f32_i32_e32 v2, v2
	v_sub_u32_e32 v3, 32, v4
	v_ldexp_f32 v2, v2, v3
	s_branch .LBB120_237
.LBB120_234:
	s_mov_b64 s[0:1], -1
                                        ; implicit-def: $vgpr2
	s_branch .LBB120_243
.LBB120_235:
	s_mov_b64 s[0:1], -1
                                        ; implicit-def: $vgpr2
	s_branch .LBB120_240
.LBB120_236:
	s_mov_b64 s[0:1], -1
                                        ; implicit-def: $vgpr2
.LBB120_237:
	s_andn2_b64 vcc, exec, s[0:1]
	s_cbranch_vccnz .LBB120_239
; %bb.238:
	global_load_dword v2, v[0:1], off
	s_waitcnt vmcnt(0)
	v_cvt_f32_i32_e32 v2, v2
.LBB120_239:
	s_mov_b64 s[0:1], 0
.LBB120_240:
	s_andn2_b64 vcc, exec, s[0:1]
	s_cbranch_vccnz .LBB120_242
; %bb.241:
	global_load_sshort v2, v[0:1], off
	s_waitcnt vmcnt(0)
	v_cvt_f32_i32_e32 v2, v2
.LBB120_242:
	s_mov_b64 s[0:1], 0
.LBB120_243:
	s_andn2_b64 vcc, exec, s[0:1]
	s_cbranch_vccnz .LBB120_249
; %bb.244:
	s_cmp_gt_i32 s22, 0
	s_cbranch_scc0 .LBB120_246
; %bb.245:
	global_load_sbyte v2, v[0:1], off
	s_mov_b64 s[0:1], 0
	s_waitcnt vmcnt(0)
	v_cvt_f32_i32_e32 v2, v2
	s_branch .LBB120_247
.LBB120_246:
	s_mov_b64 s[0:1], -1
                                        ; implicit-def: $vgpr2
.LBB120_247:
	s_andn2_b64 vcc, exec, s[0:1]
	s_cbranch_vccnz .LBB120_249
; %bb.248:
	global_load_ubyte v0, v[0:1], off
	s_waitcnt vmcnt(0)
	v_cvt_f32_ubyte0_e32 v2, v0
.LBB120_249:
	s_branch .LBB120_11
.LBB120_250:
	s_mov_b64 s[0:1], 0
                                        ; implicit-def: $vgpr5
	s_mov_b64 s[18:19], 0
.LBB120_251:
	s_and_b64 s[12:13], s[0:1], exec
	s_and_b64 s[14:15], s[14:15], exec
	s_orn2_b64 s[18:19], s[18:19], exec
.LBB120_252:
	s_or_b64 exec, exec, s[16:17]
	s_mov_b64 s[22:23], 0
	s_mov_b64 s[0:1], 0
                                        ; implicit-def: $vgpr0_vgpr1
                                        ; implicit-def: $vgpr3
	s_and_saveexec_b64 s[16:17], s[18:19]
	s_cbranch_execz .LBB120_261
; %bb.253:
	v_cmp_gt_i32_e32 vcc, s38, v5
	s_mov_b64 s[0:1], -1
	s_mov_b64 s[18:19], s[14:15]
	s_mov_b64 s[20:21], s[12:13]
	s_and_saveexec_b64 s[22:23], vcc
	s_cbranch_execz .LBB120_513
; %bb.254:
	v_mul_lo_u32 v0, v5, s9
	v_ashrrev_i32_e32 v1, 31, v0
	s_and_b32 s26, 0xffff, s42
	s_cmp_lt_i32 s26, 11
	v_lshl_add_u64 v[0:1], s[6:7], 0, v[0:1]
	s_cbranch_scc1 .LBB120_264
; %bb.255:
	s_cmp_gt_i32 s26, 25
	s_cbranch_scc0 .LBB120_273
; %bb.256:
	s_cmp_gt_i32 s26, 28
	s_cbranch_scc0 .LBB120_275
	;; [unrolled: 3-line block ×4, first 2 shown]
; %bb.259:
	s_cmp_eq_u32 s26, 46
	s_mov_b64 s[20:21], 0
	s_cbranch_scc0 .LBB120_285
; %bb.260:
	global_load_dword v2, v[0:1], off
	s_mov_b64 s[18:19], 0
	s_waitcnt vmcnt(0)
	v_lshlrev_b32_e32 v2, 16, v2
	s_branch .LBB120_286
.LBB120_261:
	s_or_b64 exec, exec, s[16:17]
	s_mov_b64 s[16:17], 0
	s_and_saveexec_b64 s[18:19], s[14:15]
	s_cbranch_execnz .LBB120_859
.LBB120_262:
	s_or_b64 exec, exec, s[18:19]
	s_and_saveexec_b64 s[14:15], s[20:21]
	s_xor_b64 s[14:15], exec, s[14:15]
	s_cbranch_execz .LBB120_860
.LBB120_263:
	global_load_ubyte v2, v[0:1], off
	s_or_b64 s[0:1], s[0:1], exec
	s_waitcnt vmcnt(0)
	v_cmp_ne_u16_e32 vcc, 0, v2
	s_nop 1
	v_cndmask_b32_e64 v3, 0, 1.0, vcc
	s_or_b64 exec, exec, s[14:15]
	s_and_saveexec_b64 s[14:15], s[22:23]
	s_cbranch_execz .LBB120_906
	s_branch .LBB120_861
.LBB120_264:
	s_mov_b64 s[0:1], 0
                                        ; implicit-def: $vgpr2
	s_mov_b64 s[18:19], s[14:15]
	s_cbranch_execnz .LBB120_463
.LBB120_265:
	s_andn2_b64 vcc, exec, s[0:1]
	s_cbranch_vccnz .LBB120_511
.LBB120_266:
	s_waitcnt vmcnt(0)
	v_mul_f32_e32 v0, 0x3fb8aa3b, v2
	v_rndne_f32_e32 v0, v0
	v_fmamk_f32 v1, v0, 0xbf317218, v2
	v_fmamk_f32 v1, v0, 0x3102e308, v1
	v_mov_b32_e32 v3, 0x3ab69700
	v_fmac_f32_e32 v3, 0x395133b1, v1
	v_fmaak_f32 v3, v1, v3, 0x3c0887f9
	v_fmaak_f32 v3, v1, v3, 0x3d2aaa81
	v_cvt_i32_f32_e32 v4, v0
	v_fmaak_f32 v3, v1, v3, 0x3e2aaaab
	v_fma_f32 v3, v1, v3, 0.5
	v_mul_f32_e32 v3, v1, v3
	s_mov_b32 s0, 0x43000000
	v_fmac_f32_e32 v1, v1, v3
	v_ldexp_f32 v3, 1.0, v4
	v_mov_b32_e32 v4, 0x7f000000
	v_cmp_eq_f32_e32 vcc, s0, v0
	s_mov_b32 s0, 0x42b17217
	s_and_b32 s28, s33, 0xff
	v_cndmask_b32_e32 v0, v3, v4, vcc
	v_add_f32_e32 v3, -1.0, v0
	v_fmac_f32_e32 v3, v0, v1
	v_add_f32_e32 v0, v3, v3
	v_cndmask_b32_e32 v0, v3, v0, vcc
	v_mov_b32_e32 v1, 0x7f800000
	v_cmp_nlt_f32_e32 vcc, s0, v2
	s_mov_b32 s0, 0xc1880000
	s_cmp_lt_i32 s28, 11
	v_cndmask_b32_e32 v0, v1, v0, vcc
	v_cmp_ngt_f32_e32 vcc, s0, v2
	s_nop 1
	v_cndmask_b32_e32 v2, -1.0, v0, vcc
	v_mul_lo_u32 v0, v5, s8
	v_ashrrev_i32_e32 v1, 31, v0
	v_lshl_add_u64 v[0:1], s[4:5], 0, v[0:1]
	s_cbranch_scc1 .LBB120_274
; %bb.267:
	s_and_b32 s29, 0xffff, s28
	s_cmp_gt_i32 s29, 25
	s_cbranch_scc0 .LBB120_276
; %bb.268:
	s_cmp_gt_i32 s29, 28
	s_cbranch_scc0 .LBB120_278
; %bb.269:
	;; [unrolled: 3-line block ×4, first 2 shown]
	s_mov_b64 s[24:25], 0
	s_mov_b64 s[0:1], -1
	s_cmp_eq_u32 s29, 46
	s_mov_b64 s[20:21], 0
	s_cbranch_scc0 .LBB120_290
; %bb.272:
	v_bfe_u32 v3, v2, 16, 1
	s_movk_i32 s0, 0x7fff
	v_add3_u32 v3, v2, v3, s0
	v_cmp_o_f32_e32 vcc, v2, v2
	v_mov_b32_e32 v4, 0x7fc0
	s_mov_b64 s[20:21], -1
	v_cndmask_b32_sdwa v3, v4, v3, vcc dst_sel:DWORD dst_unused:UNUSED_PAD src0_sel:DWORD src1_sel:WORD_1
	global_store_dword v[0:1], v3, off
	s_mov_b64 s[0:1], 0
	s_branch .LBB120_290
.LBB120_273:
	s_mov_b64 s[20:21], -1
	s_mov_b64 s[0:1], 0
	s_mov_b64 s[18:19], s[14:15]
                                        ; implicit-def: $vgpr2
	s_branch .LBB120_427
.LBB120_274:
	s_mov_b64 s[24:25], -1
	s_mov_b64 s[20:21], 0
	s_mov_b64 s[0:1], s[12:13]
	s_branch .LBB120_359
.LBB120_275:
	s_mov_b64 s[20:21], -1
	s_mov_b64 s[0:1], 0
	s_mov_b64 s[18:19], s[14:15]
                                        ; implicit-def: $vgpr2
	s_branch .LBB120_408
.LBB120_276:
	s_mov_b64 s[24:25], -1
	s_mov_b64 s[20:21], 0
	s_mov_b64 s[0:1], s[12:13]
	s_branch .LBB120_317
.LBB120_277:
	s_mov_b64 s[20:21], -1
	s_mov_b64 s[0:1], 0
	s_mov_b64 s[18:19], s[14:15]
                                        ; implicit-def: $vgpr2
	s_branch .LBB120_403
.LBB120_278:
	s_mov_b64 s[24:25], -1
	s_mov_b64 s[20:21], 0
	s_mov_b64 s[0:1], s[12:13]
	s_branch .LBB120_300
.LBB120_279:
	s_andn2_saveexec_b64 s[22:23], s[22:23]
	s_cbranch_execz .LBB120_55
.LBB120_280:
	s_mov_b32 s26, 0x46000000
	v_add_f32_e64 v3, |v2|, s26
	v_and_b32_e32 v3, 0xff, v3
	v_cmp_ne_u32_e32 vcc, 0, v3
	s_andn2_b64 s[18:19], s[18:19], exec
	s_and_b64 s[26:27], vcc, exec
	s_or_b64 s[18:19], s[18:19], s[26:27]
	s_or_b64 exec, exec, s[22:23]
	v_mov_b32_e32 v4, 0
	s_and_saveexec_b64 s[22:23], s[18:19]
	s_cbranch_execnz .LBB120_56
	s_branch .LBB120_57
.LBB120_281:
	s_mov_b64 s[20:21], -1
	s_mov_b64 s[0:1], 0
	s_mov_b64 s[18:19], s[14:15]
                                        ; implicit-def: $vgpr2
	s_branch .LBB120_286
.LBB120_282:
	s_mov_b64 s[24:25], -1
	s_mov_b64 s[20:21], 0
	s_mov_b64 s[0:1], s[12:13]
	s_branch .LBB120_296
.LBB120_283:
	s_andn2_saveexec_b64 s[22:23], s[22:23]
	s_cbranch_execz .LBB120_68
.LBB120_284:
	s_mov_b32 s26, 0x42800000
	v_add_f32_e64 v3, |v2|, s26
	v_and_b32_e32 v3, 0xff, v3
	v_cmp_ne_u32_e32 vcc, 0, v3
	s_andn2_b64 s[18:19], s[18:19], exec
	s_and_b64 s[26:27], vcc, exec
	s_or_b64 s[18:19], s[18:19], s[26:27]
	s_or_b64 exec, exec, s[22:23]
	v_mov_b32_e32 v4, 0
	s_and_saveexec_b64 s[22:23], s[18:19]
	s_cbranch_execnz .LBB120_69
	s_branch .LBB120_70
.LBB120_285:
	s_mov_b64 s[18:19], -1
                                        ; implicit-def: $vgpr2
	s_mov_b64 s[0:1], 0
.LBB120_286:
	s_and_b64 vcc, exec, s[20:21]
	s_cbranch_vccz .LBB120_402
; %bb.287:
	s_cmp_eq_u32 s26, 44
	s_cbranch_scc0 .LBB120_401
; %bb.288:
	global_load_ubyte v2, v[0:1], off
	s_movk_i32 s18, 0xff
	v_mov_b32_e32 v3, 0x7f800001
	v_mov_b32_e32 v4, 0x400000
	s_mov_b64 s[0:1], -1
	s_waitcnt vmcnt(0)
	v_lshlrev_b32_e32 v6, 23, v2
	v_cmp_ne_u32_e32 vcc, s18, v2
	s_mov_b64 s[18:19], 0
	s_nop 0
	v_cndmask_b32_e32 v3, v3, v6, vcc
	v_cmp_ne_u32_e32 vcc, 0, v2
	s_nop 1
	v_cndmask_b32_e32 v2, v4, v3, vcc
	s_branch .LBB120_402
.LBB120_289:
	s_mov_b64 s[24:25], -1
	s_mov_b64 s[20:21], 0
	s_mov_b64 s[0:1], s[12:13]
.LBB120_290:
	s_and_b64 vcc, exec, s[24:25]
	s_cbranch_vccz .LBB120_295
; %bb.291:
	s_cmp_eq_u32 s29, 44
	s_mov_b64 s[0:1], -1
	s_cbranch_scc0 .LBB120_295
; %bb.292:
	v_bfe_u32 v3, v2, 23, 8
	s_movk_i32 s0, 0xff
	v_cmp_ne_u32_e32 vcc, s0, v3
	v_mov_b32_e32 v4, 0xff
	s_and_saveexec_b64 s[20:21], vcc
; %bb.293:
	s_mov_b32 s0, 0x3fffff
	v_and_b32_e32 v6, 0x400000, v2
	v_and_or_b32 v3, v2, s0, v3
	v_cmp_ne_u32_e32 vcc, 0, v6
	v_cmp_ne_u32_e64 s[0:1], 0, v3
	s_and_b64 s[0:1], vcc, s[0:1]
	v_lshrrev_b32_e32 v4, 23, v2
	v_cndmask_b32_e64 v3, 0, 1, s[0:1]
	v_add_u32_e32 v4, v4, v3
; %bb.294:
	s_or_b64 exec, exec, s[20:21]
	s_mov_b64 s[20:21], -1
	s_mov_b64 s[0:1], 0
	global_store_byte v[0:1], v4, off
.LBB120_295:
	s_mov_b64 s[24:25], 0
.LBB120_296:
	s_and_b64 vcc, exec, s[24:25]
	s_cbranch_vccz .LBB120_299
; %bb.297:
	s_cmp_eq_u32 s29, 29
	s_mov_b64 s[0:1], -1
	s_cbranch_scc0 .LBB120_299
; %bb.298:
	v_trunc_f32_e32 v3, v2
	v_mul_f32_e32 v4, 0x2f800000, v3
	v_floor_f32_e32 v4, v4
	v_fmamk_f32 v3, v4, 0xcf800000, v3
	v_cvt_u32_f32_e32 v7, v4
	v_cvt_u32_f32_e32 v6, v3
	s_mov_b64 s[20:21], -1
	s_mov_b64 s[0:1], 0
	s_mov_b64 s[24:25], 0
	global_store_dwordx2 v[0:1], v[6:7], off
	s_branch .LBB120_300
.LBB120_299:
	s_mov_b64 s[24:25], 0
.LBB120_300:
	s_and_b64 vcc, exec, s[24:25]
	s_cbranch_vccz .LBB120_316
; %bb.301:
	s_cmp_lt_i32 s29, 27
	s_mov_b64 s[20:21], -1
	s_cbranch_scc1 .LBB120_307
; %bb.302:
	v_cvt_u32_f32_e32 v3, v2
	s_cmp_gt_i32 s29, 27
	s_cbranch_scc0 .LBB120_304
; %bb.303:
	s_mov_b64 s[20:21], 0
	global_store_dword v[0:1], v3, off
.LBB120_304:
	s_andn2_b64 vcc, exec, s[20:21]
	s_cbranch_vccnz .LBB120_306
; %bb.305:
	global_store_short v[0:1], v3, off
.LBB120_306:
	s_mov_b64 s[20:21], 0
.LBB120_307:
	s_andn2_b64 vcc, exec, s[20:21]
	s_cbranch_vccnz .LBB120_315
; %bb.308:
	v_and_b32_e32 v3, 0x7fffffff, v2
	s_mov_b32 s20, 0x43800000
	v_cmp_gt_u32_e32 vcc, s20, v3
	v_mov_b32_e32 v4, 0x80
	s_and_saveexec_b64 s[20:21], vcc
	s_cbranch_execz .LBB120_314
; %bb.309:
	s_mov_b32 s24, 0x3bffffff
	v_cmp_lt_u32_e32 vcc, s24, v3
	s_mov_b64 s[24:25], 0
                                        ; implicit-def: $vgpr3
	s_and_saveexec_b64 s[26:27], vcc
	s_xor_b64 s[26:27], exec, s[26:27]
	s_cbranch_execz .LBB120_526
; %bb.310:
	v_bfe_u32 v3, v2, 20, 1
	s_mov_b32 s30, 0x487ffff
	v_add3_u32 v3, v2, v3, s30
	s_mov_b64 s[24:25], exec
	v_lshrrev_b32_e32 v3, 20, v3
	s_andn2_saveexec_b64 s[26:27], s[26:27]
	s_cbranch_execnz .LBB120_527
.LBB120_311:
	s_or_b64 exec, exec, s[26:27]
	v_mov_b32_e32 v4, 0
	s_and_saveexec_b64 s[26:27], s[24:25]
.LBB120_312:
	v_lshrrev_b32_e32 v4, 24, v2
	s_movk_i32 s24, 0x80
	v_and_or_b32 v4, v4, s24, v3
.LBB120_313:
	s_or_b64 exec, exec, s[26:27]
.LBB120_314:
	s_or_b64 exec, exec, s[20:21]
	global_store_byte v[0:1], v4, off
.LBB120_315:
	s_mov_b64 s[20:21], -1
.LBB120_316:
	s_mov_b64 s[24:25], 0
.LBB120_317:
	s_and_b64 vcc, exec, s[24:25]
	s_cbranch_vccz .LBB120_358
; %bb.318:
	s_cmp_gt_i32 s29, 22
	s_mov_b64 s[24:25], -1
	s_cbranch_scc0 .LBB120_350
; %bb.319:
	s_cmp_lt_i32 s29, 24
	s_mov_b64 s[20:21], -1
	s_cbranch_scc1 .LBB120_339
; %bb.320:
	s_cmp_gt_i32 s29, 24
	s_cbranch_scc0 .LBB120_328
; %bb.321:
	v_and_b32_e32 v3, 0x7fffffff, v2
	s_mov_b32 s20, 0x47800000
	v_cmp_gt_u32_e32 vcc, s20, v3
	v_mov_b32_e32 v4, 0x80
	s_and_saveexec_b64 s[20:21], vcc
	s_cbranch_execz .LBB120_327
; %bb.322:
	s_mov_b32 s24, 0x37ffffff
	v_cmp_lt_u32_e32 vcc, s24, v3
	s_mov_b64 s[24:25], 0
                                        ; implicit-def: $vgpr3
	s_and_saveexec_b64 s[26:27], vcc
	s_xor_b64 s[26:27], exec, s[26:27]
	s_cbranch_execz .LBB120_529
; %bb.323:
	v_bfe_u32 v3, v2, 21, 1
	s_mov_b32 s30, 0x88fffff
	v_add3_u32 v3, v2, v3, s30
	s_mov_b64 s[24:25], exec
	v_lshrrev_b32_e32 v3, 21, v3
	s_andn2_saveexec_b64 s[26:27], s[26:27]
	s_cbranch_execnz .LBB120_530
.LBB120_324:
	s_or_b64 exec, exec, s[26:27]
	v_mov_b32_e32 v4, 0
	s_and_saveexec_b64 s[26:27], s[24:25]
.LBB120_325:
	v_lshrrev_b32_e32 v4, 24, v2
	s_movk_i32 s24, 0x80
	v_and_or_b32 v4, v4, s24, v3
.LBB120_326:
	s_or_b64 exec, exec, s[26:27]
.LBB120_327:
	s_or_b64 exec, exec, s[20:21]
	s_mov_b64 s[20:21], 0
	global_store_byte v[0:1], v4, off
.LBB120_328:
	s_and_b64 vcc, exec, s[20:21]
	s_cbranch_vccz .LBB120_338
; %bb.329:
	v_and_b32_e32 v4, 0x7fffffff, v2
	s_mov_b32 s20, 0x43f00000
	v_cmp_gt_u32_e32 vcc, s20, v4
                                        ; implicit-def: $vgpr3
	s_and_saveexec_b64 s[20:21], vcc
	s_xor_b64 s[20:21], exec, s[20:21]
	s_cbranch_execz .LBB120_335
; %bb.330:
	s_mov_b32 s24, 0x3c7fffff
	v_cmp_lt_u32_e32 vcc, s24, v4
                                        ; implicit-def: $vgpr3
	s_and_saveexec_b64 s[24:25], vcc
	s_xor_b64 s[24:25], exec, s[24:25]
; %bb.331:
	v_bfe_u32 v3, v2, 20, 1
	s_mov_b32 s26, 0x407ffff
	v_add3_u32 v3, v2, v3, s26
	v_lshrrev_b32_e32 v4, 20, v3
	v_and_b32_e32 v3, 0xff00000, v3
	s_mov_b32 s26, 0x7f00000
	v_mov_b32_e32 v6, 0x7e
	v_cmp_ne_u32_e32 vcc, s26, v3
	s_nop 1
	v_cndmask_b32_e32 v3, v6, v4, vcc
; %bb.332:
	s_andn2_saveexec_b64 s[24:25], s[24:25]
; %bb.333:
	s_mov_b32 s26, 0x46800000
	v_add_f32_e64 v3, |v2|, s26
; %bb.334:
	s_or_b64 exec, exec, s[24:25]
                                        ; implicit-def: $vgpr4
.LBB120_335:
	s_andn2_saveexec_b64 s[20:21], s[20:21]
; %bb.336:
	s_mov_b32 s24, 0x7f800000
	v_mov_b32_e32 v3, 0x7e
	v_mov_b32_e32 v6, 0x7f
	v_cmp_lt_u32_e32 vcc, s24, v4
	s_nop 1
	v_cndmask_b32_e32 v3, v3, v6, vcc
; %bb.337:
	s_or_b64 exec, exec, s[20:21]
	v_lshrrev_b32_e32 v4, 24, v2
	s_movk_i32 s20, 0x80
	v_and_or_b32 v3, v4, s20, v3
	global_store_byte v[0:1], v3, off
.LBB120_338:
	s_mov_b64 s[20:21], 0
.LBB120_339:
	s_andn2_b64 vcc, exec, s[20:21]
	s_cbranch_vccnz .LBB120_349
; %bb.340:
	v_and_b32_e32 v4, 0x7fffffff, v2
	s_mov_b32 s20, 0x47800000
	v_cmp_gt_u32_e32 vcc, s20, v4
                                        ; implicit-def: $vgpr3
	s_and_saveexec_b64 s[20:21], vcc
	s_xor_b64 s[20:21], exec, s[20:21]
	s_cbranch_execz .LBB120_346
; %bb.341:
	s_mov_b32 s24, 0x387fffff
	v_cmp_lt_u32_e32 vcc, s24, v4
                                        ; implicit-def: $vgpr3
	s_and_saveexec_b64 s[24:25], vcc
	s_xor_b64 s[24:25], exec, s[24:25]
; %bb.342:
	v_bfe_u32 v3, v2, 21, 1
	s_mov_b32 s26, 0x80fffff
	v_add3_u32 v3, v2, v3, s26
	v_lshrrev_b32_e32 v3, 21, v3
; %bb.343:
	s_andn2_saveexec_b64 s[24:25], s[24:25]
; %bb.344:
	s_mov_b32 s26, 0x43000000
	v_add_f32_e64 v3, |v2|, s26
; %bb.345:
	s_or_b64 exec, exec, s[24:25]
                                        ; implicit-def: $vgpr4
.LBB120_346:
	s_andn2_saveexec_b64 s[20:21], s[20:21]
; %bb.347:
	s_mov_b32 s24, 0x7f800000
	v_mov_b32_e32 v3, 0x7c
	v_mov_b32_e32 v6, 0x7f
	v_cmp_lt_u32_e32 vcc, s24, v4
	s_nop 1
	v_cndmask_b32_e32 v3, v3, v6, vcc
; %bb.348:
	s_or_b64 exec, exec, s[20:21]
	v_lshrrev_b32_e32 v4, 24, v2
	s_movk_i32 s20, 0x80
	v_and_or_b32 v3, v4, s20, v3
	global_store_byte v[0:1], v3, off
.LBB120_349:
	s_mov_b64 s[24:25], 0
	s_mov_b64 s[20:21], -1
.LBB120_350:
	s_andn2_b64 vcc, exec, s[24:25]
	s_cbranch_vccnz .LBB120_358
; %bb.351:
	s_cmp_gt_i32 s29, 14
	s_mov_b64 s[24:25], -1
	s_cbranch_scc0 .LBB120_355
; %bb.352:
	s_cmp_eq_u32 s29, 15
	s_mov_b64 s[0:1], -1
	s_cbranch_scc0 .LBB120_354
; %bb.353:
	v_bfe_u32 v3, v2, 16, 1
	s_movk_i32 s0, 0x7fff
	v_add3_u32 v3, v2, v3, s0
	v_cmp_o_f32_e32 vcc, v2, v2
	v_mov_b32_e32 v4, 0x7fc0
	s_mov_b64 s[20:21], -1
	v_cndmask_b32_sdwa v3, v4, v3, vcc dst_sel:DWORD dst_unused:UNUSED_PAD src0_sel:DWORD src1_sel:WORD_1
	global_store_short v[0:1], v3, off
	s_mov_b64 s[0:1], 0
.LBB120_354:
	s_mov_b64 s[24:25], 0
.LBB120_355:
	s_and_b64 vcc, exec, s[24:25]
	s_cbranch_vccz .LBB120_358
; %bb.356:
	s_cmp_eq_u32 s29, 11
	s_mov_b64 s[0:1], -1
	s_cbranch_scc0 .LBB120_358
; %bb.357:
	v_cmp_neq_f32_e32 vcc, 0, v2
	s_mov_b64 s[20:21], -1
	s_mov_b64 s[0:1], 0
	v_cndmask_b32_e64 v3, 0, 1, vcc
	global_store_byte v[0:1], v3, off
.LBB120_358:
	s_mov_b64 s[24:25], 0
.LBB120_359:
	s_and_b64 vcc, exec, s[24:25]
	s_cbranch_vccz .LBB120_398
; %bb.360:
	s_and_b32 s24, 0xffff, s28
	s_cmp_lt_i32 s24, 5
	s_mov_b64 s[20:21], -1
	s_cbranch_scc1 .LBB120_381
; %bb.361:
	s_cmp_lt_i32 s24, 8
	s_cbranch_scc1 .LBB120_371
; %bb.362:
	s_cmp_lt_i32 s24, 9
	s_cbranch_scc1 .LBB120_368
; %bb.363:
	s_cmp_gt_i32 s24, 9
	s_cbranch_scc0 .LBB120_365
; %bb.364:
	v_mov_b32_e32 v8, 0
	v_cvt_f64_f32_e32 v[6:7], v2
	v_mov_b32_e32 v9, v8
	s_mov_b64 s[20:21], 0
	global_store_dwordx4 v[0:1], v[6:9], off
.LBB120_365:
	s_andn2_b64 vcc, exec, s[20:21]
	s_cbranch_vccnz .LBB120_367
; %bb.366:
	v_mov_b32_e32 v3, 0
	global_store_dwordx2 v[0:1], v[2:3], off
.LBB120_367:
	s_mov_b64 s[20:21], 0
.LBB120_368:
	s_andn2_b64 vcc, exec, s[20:21]
	s_cbranch_vccnz .LBB120_370
; %bb.369:
	v_cvt_f16_f32_e32 v3, v2
	global_store_dword v[0:1], v3, off
.LBB120_370:
	s_mov_b64 s[20:21], 0
.LBB120_371:
	s_andn2_b64 vcc, exec, s[20:21]
	s_cbranch_vccnz .LBB120_380
; %bb.372:
	s_cmp_lt_i32 s24, 6
	s_mov_b64 s[20:21], -1
	s_cbranch_scc1 .LBB120_378
; %bb.373:
	s_cmp_gt_i32 s24, 6
	s_cbranch_scc0 .LBB120_375
; %bb.374:
	v_cvt_f64_f32_e32 v[6:7], v2
	s_mov_b64 s[20:21], 0
	global_store_dwordx2 v[0:1], v[6:7], off
.LBB120_375:
	s_andn2_b64 vcc, exec, s[20:21]
	s_cbranch_vccnz .LBB120_377
; %bb.376:
	global_store_dword v[0:1], v2, off
.LBB120_377:
	s_mov_b64 s[20:21], 0
.LBB120_378:
	s_andn2_b64 vcc, exec, s[20:21]
	s_cbranch_vccnz .LBB120_380
; %bb.379:
	v_cvt_f16_f32_e32 v3, v2
	global_store_short v[0:1], v3, off
.LBB120_380:
	s_mov_b64 s[20:21], 0
.LBB120_381:
	s_andn2_b64 vcc, exec, s[20:21]
	s_cbranch_vccnz .LBB120_397
; %bb.382:
	s_cmp_lt_i32 s24, 2
	s_mov_b64 s[20:21], -1
	s_cbranch_scc1 .LBB120_392
; %bb.383:
	s_cmp_lt_i32 s24, 3
	s_cbranch_scc1 .LBB120_389
; %bb.384:
	s_cmp_gt_i32 s24, 3
	s_cbranch_scc0 .LBB120_386
; %bb.385:
	v_trunc_f32_e32 v3, v2
	s_mov_b32 s20, 0x2f800000
	v_mul_f32_e64 v4, |v3|, s20
	v_floor_f32_e32 v4, v4
	s_mov_b32 s20, 0xcf800000
	v_cvt_u32_f32_e32 v6, v4
	v_fma_f32 v4, v4, s20, |v3|
	v_cvt_u32_f32_e32 v4, v4
	v_ashrrev_i32_e32 v3, 31, v3
	v_xor_b32_e32 v7, v6, v3
	s_mov_b64 s[20:21], 0
	v_xor_b32_e32 v4, v4, v3
	v_sub_co_u32_e32 v6, vcc, v4, v3
	s_nop 1
	v_subb_co_u32_e32 v7, vcc, v7, v3, vcc
	global_store_dwordx2 v[0:1], v[6:7], off
.LBB120_386:
	s_andn2_b64 vcc, exec, s[20:21]
	s_cbranch_vccnz .LBB120_388
; %bb.387:
	v_cvt_i32_f32_e32 v3, v2
	global_store_dword v[0:1], v3, off
.LBB120_388:
	s_mov_b64 s[20:21], 0
.LBB120_389:
	s_andn2_b64 vcc, exec, s[20:21]
	s_cbranch_vccnz .LBB120_391
; %bb.390:
	v_cvt_i32_f32_e32 v3, v2
	global_store_short v[0:1], v3, off
.LBB120_391:
	s_mov_b64 s[20:21], 0
.LBB120_392:
	s_andn2_b64 vcc, exec, s[20:21]
	s_cbranch_vccnz .LBB120_397
; %bb.393:
	s_cmp_gt_i32 s24, 0
	s_mov_b64 s[20:21], -1
	s_cbranch_scc0 .LBB120_395
; %bb.394:
	v_cvt_i32_f32_e32 v3, v2
	s_mov_b64 s[20:21], 0
	global_store_byte v[0:1], v3, off
.LBB120_395:
	s_andn2_b64 vcc, exec, s[20:21]
	s_cbranch_vccnz .LBB120_397
; %bb.396:
	v_trunc_f32_e32 v2, v2
	s_mov_b32 s20, 0x2f800000
	v_mul_f32_e64 v3, |v2|, s20
	v_floor_f32_e32 v3, v3
	s_mov_b32 s20, 0xcf800000
	v_fma_f32 v3, v3, s20, |v2|
	v_cvt_u32_f32_e32 v3, v3
	v_ashrrev_i32_e32 v2, 31, v2
	v_xor_b32_e32 v3, v3, v2
	v_sub_u32_e32 v2, v3, v2
	global_store_byte v[0:1], v2, off
.LBB120_397:
	s_mov_b64 s[20:21], -1
.LBB120_398:
	s_andn2_b64 vcc, exec, s[20:21]
	s_cbranch_vccnz .LBB120_400
; %bb.399:
	v_add_u32_e32 v5, 0x80, v5
	s_mov_b64 s[24:25], -1
	s_branch .LBB120_512
.LBB120_400:
	s_mov_b64 s[24:25], 0
                                        ; implicit-def: $vgpr5
	s_branch .LBB120_512
.LBB120_401:
	s_mov_b64 s[18:19], -1
                                        ; implicit-def: $vgpr2
.LBB120_402:
	s_mov_b64 s[20:21], 0
.LBB120_403:
	s_and_b64 vcc, exec, s[20:21]
	s_cbranch_vccz .LBB120_407
; %bb.404:
	s_cmp_eq_u32 s26, 29
	s_cbranch_scc0 .LBB120_406
; %bb.405:
	global_load_dwordx2 v[2:3], v[0:1], off
	s_mov_b64 s[0:1], -1
	s_mov_b64 s[18:19], 0
	s_mov_b64 s[20:21], 0
	s_waitcnt vmcnt(0)
	v_ffbh_u32_e32 v4, v3
	v_min_u32_e32 v4, 32, v4
	v_lshlrev_b64 v[2:3], v4, v[2:3]
	v_min_u32_e32 v2, 1, v2
	v_or_b32_e32 v2, v3, v2
	v_cvt_f32_u32_e32 v2, v2
	v_sub_u32_e32 v3, 32, v4
	v_ldexp_f32 v2, v2, v3
	s_branch .LBB120_408
.LBB120_406:
	s_mov_b64 s[18:19], -1
                                        ; implicit-def: $vgpr2
.LBB120_407:
	s_mov_b64 s[20:21], 0
.LBB120_408:
	s_and_b64 vcc, exec, s[20:21]
	s_cbranch_vccz .LBB120_426
; %bb.409:
	s_cmp_lt_i32 s26, 27
	s_cbranch_scc1 .LBB120_412
; %bb.410:
	s_cmp_gt_i32 s26, 27
	s_cbranch_scc0 .LBB120_413
; %bb.411:
	global_load_dword v2, v[0:1], off
	s_mov_b64 s[0:1], 0
	s_waitcnt vmcnt(0)
	v_cvt_f32_u32_e32 v2, v2
	s_branch .LBB120_414
.LBB120_412:
	s_mov_b64 s[0:1], -1
                                        ; implicit-def: $vgpr2
	s_branch .LBB120_417
.LBB120_413:
	s_mov_b64 s[0:1], -1
                                        ; implicit-def: $vgpr2
.LBB120_414:
	s_andn2_b64 vcc, exec, s[0:1]
	s_cbranch_vccnz .LBB120_416
; %bb.415:
	global_load_ushort v2, v[0:1], off
	s_waitcnt vmcnt(0)
	v_cvt_f32_u32_e32 v2, v2
.LBB120_416:
	s_mov_b64 s[0:1], 0
.LBB120_417:
	s_andn2_b64 vcc, exec, s[0:1]
	s_cbranch_vccnz .LBB120_425
; %bb.418:
	global_load_ubyte v3, v[0:1], off
	s_movk_i32 s0, 0x7f
	s_waitcnt vmcnt(0)
	v_cmp_lt_i16_e32 vcc, s0, v3
	s_mov_b64 s[0:1], 0
	s_and_saveexec_b64 s[20:21], vcc
	s_xor_b64 s[20:21], exec, s[20:21]
	s_cbranch_execz .LBB120_439
; %bb.419:
	s_movk_i32 s0, 0x80
	v_cmp_eq_u16_e32 vcc, s0, v3
	s_mov_b64 s[0:1], -1
	s_and_saveexec_b64 s[24:25], vcc
; %bb.420:
	s_xor_b64 s[0:1], exec, -1
; %bb.421:
	s_or_b64 exec, exec, s[24:25]
	s_and_b64 s[0:1], s[0:1], exec
	s_or_saveexec_b64 s[20:21], s[20:21]
	v_mov_b32_e32 v2, 0x7f800001
	s_xor_b64 exec, exec, s[20:21]
	s_cbranch_execnz .LBB120_440
.LBB120_422:
	s_or_b64 exec, exec, s[20:21]
	s_and_saveexec_b64 s[20:21], s[0:1]
	s_cbranch_execz .LBB120_424
.LBB120_423:
	v_lshlrev_b32_e32 v2, 24, v3
	v_and_b32_e32 v3, 0xffff, v3
	v_and_b32_e32 v4, 7, v3
	v_ffbh_u32_e32 v7, v4
	v_min_u32_e32 v7, 32, v7
	v_subrev_u32_e32 v8, 28, v7
	v_bfe_u32 v6, v3, 3, 4
	v_lshlrev_b32_e32 v3, v8, v3
	v_sub_u32_e32 v7, 29, v7
	v_and_b32_e32 v3, 7, v3
	v_cmp_eq_u32_e32 vcc, 0, v6
	v_and_b32_e32 v2, 0x80000000, v2
	s_nop 0
	v_cndmask_b32_e32 v6, v6, v7, vcc
	v_cndmask_b32_e32 v3, v4, v3, vcc
	v_mov_b32_e32 v4, 0x3b800000
	v_lshlrev_b32_e32 v3, 20, v3
	v_lshl_add_u32 v4, v6, 23, v4
	v_or3_b32 v2, v2, v4, v3
.LBB120_424:
	s_or_b64 exec, exec, s[20:21]
.LBB120_425:
	s_mov_b64 s[0:1], -1
.LBB120_426:
	s_mov_b64 s[20:21], 0
.LBB120_427:
	s_and_b64 vcc, exec, s[20:21]
	s_cbranch_vccz .LBB120_462
; %bb.428:
	s_cmp_gt_i32 s26, 22
	s_cbranch_scc0 .LBB120_438
; %bb.429:
	s_cmp_lt_i32 s26, 24
	s_cbranch_scc1 .LBB120_441
; %bb.430:
	s_cmp_gt_i32 s26, 24
	s_cbranch_scc0 .LBB120_442
; %bb.431:
	global_load_ubyte v3, v[0:1], off
	s_movk_i32 s0, 0x7f
	s_waitcnt vmcnt(0)
	v_cmp_lt_i16_e32 vcc, s0, v3
	s_mov_b64 s[0:1], 0
	s_and_saveexec_b64 s[20:21], vcc
	s_xor_b64 s[20:21], exec, s[20:21]
	s_cbranch_execz .LBB120_454
; %bb.432:
	s_movk_i32 s0, 0x80
	v_cmp_eq_u16_e32 vcc, s0, v3
	s_mov_b64 s[0:1], -1
	s_and_saveexec_b64 s[24:25], vcc
; %bb.433:
	s_xor_b64 s[0:1], exec, -1
; %bb.434:
	s_or_b64 exec, exec, s[24:25]
	s_and_b64 s[0:1], s[0:1], exec
	s_or_saveexec_b64 s[20:21], s[20:21]
	v_mov_b32_e32 v2, 0x7f800001
	s_xor_b64 exec, exec, s[20:21]
	s_cbranch_execnz .LBB120_455
.LBB120_435:
	s_or_b64 exec, exec, s[20:21]
	s_and_saveexec_b64 s[20:21], s[0:1]
	s_cbranch_execz .LBB120_437
.LBB120_436:
	v_lshlrev_b32_e32 v2, 24, v3
	v_and_b32_e32 v3, 0xffff, v3
	v_and_b32_e32 v4, 3, v3
	v_ffbh_u32_e32 v7, v4
	v_min_u32_e32 v7, 32, v7
	v_subrev_u32_e32 v8, 29, v7
	v_bfe_u32 v6, v3, 2, 5
	v_lshlrev_b32_e32 v3, v8, v3
	v_sub_u32_e32 v7, 30, v7
	v_and_b32_e32 v3, 3, v3
	v_cmp_eq_u32_e32 vcc, 0, v6
	v_and_b32_e32 v2, 0x80000000, v2
	s_nop 0
	v_cndmask_b32_e32 v6, v6, v7, vcc
	v_cndmask_b32_e32 v3, v4, v3, vcc
	v_mov_b32_e32 v4, 0x37800000
	v_lshlrev_b32_e32 v3, 21, v3
	v_lshl_add_u32 v4, v6, 23, v4
	v_or3_b32 v2, v2, v4, v3
.LBB120_437:
	s_or_b64 exec, exec, s[20:21]
	s_mov_b64 s[0:1], 0
	s_branch .LBB120_443
.LBB120_438:
	s_mov_b64 s[20:21], -1
                                        ; implicit-def: $vgpr2
	s_branch .LBB120_449
.LBB120_439:
	s_or_saveexec_b64 s[20:21], s[20:21]
	v_mov_b32_e32 v2, 0x7f800001
	s_xor_b64 exec, exec, s[20:21]
	s_cbranch_execz .LBB120_422
.LBB120_440:
	v_cmp_ne_u16_e32 vcc, 0, v3
	s_andn2_b64 s[0:1], s[0:1], exec
	s_and_b64 s[24:25], vcc, exec
	v_mov_b32_e32 v2, 0
	s_or_b64 s[0:1], s[0:1], s[24:25]
	s_or_b64 exec, exec, s[20:21]
	s_and_saveexec_b64 s[20:21], s[0:1]
	s_cbranch_execnz .LBB120_423
	s_branch .LBB120_424
.LBB120_441:
	s_mov_b64 s[0:1], -1
                                        ; implicit-def: $vgpr2
	s_branch .LBB120_446
.LBB120_442:
	s_mov_b64 s[0:1], -1
                                        ; implicit-def: $vgpr2
.LBB120_443:
	s_and_b64 vcc, exec, s[0:1]
	s_cbranch_vccz .LBB120_445
; %bb.444:
	global_load_ubyte v2, v[0:1], off
	s_mov_b32 s0, 0x7f800000
	s_waitcnt vmcnt(0)
	v_lshlrev_b32_e32 v2, 24, v2
	v_and_b32_e32 v3, 0x7f000000, v2
	v_ffbh_u32_e32 v4, v3
	v_min_u32_e32 v4, 32, v4
	v_sub_u32_e64 v4, v4, 4 clamp
	v_lshlrev_b32_e32 v7, v4, v3
	v_lshlrev_b32_e32 v4, 23, v4
	v_lshrrev_b32_e32 v7, 4, v7
	v_add_u32_e32 v6, 0x1000000, v3
	v_sub_u32_e32 v4, v7, v4
	v_ashrrev_i32_e32 v6, 8, v6
	v_add_u32_e32 v4, 0x3c000000, v4
	v_and_or_b32 v4, v6, s0, v4
	v_cmp_ne_u32_e32 vcc, 0, v3
	s_brev_b32 s0, 1
	s_nop 0
	v_cndmask_b32_e32 v3, 0, v4, vcc
	v_and_or_b32 v2, v2, s0, v3
.LBB120_445:
	s_mov_b64 s[0:1], 0
.LBB120_446:
	s_andn2_b64 vcc, exec, s[0:1]
	s_cbranch_vccnz .LBB120_448
; %bb.447:
	global_load_ubyte v2, v[0:1], off
	s_movk_i32 s0, 0x7f00
	s_brev_b32 s1, 16
	s_waitcnt vmcnt(0)
	v_lshlrev_b16_e32 v3, 8, v2
	v_lshlrev_b32_e32 v2, 25, v2
	v_lshrrev_b32_e32 v4, 4, v2
	v_and_or_b32 v6, v3, s0, 0.5
	v_or_b32_e32 v4, 0x70000000, v4
	v_add_f32_e32 v6, -0.5, v6
	v_mul_f32_e32 v4, 0x7800000, v4
	v_cmp_gt_u32_e32 vcc, s1, v2
	v_bfe_i32 v3, v3, 0, 16
	s_brev_b32 s0, 1
	v_cndmask_b32_e32 v2, v4, v6, vcc
	v_and_or_b32 v2, v3, s0, v2
.LBB120_448:
	s_mov_b64 s[20:21], 0
	s_mov_b64 s[0:1], -1
.LBB120_449:
	s_andn2_b64 vcc, exec, s[20:21]
	s_cbranch_vccnz .LBB120_462
; %bb.450:
	s_cmp_gt_i32 s26, 14
	s_cbranch_scc0 .LBB120_453
; %bb.451:
	s_cmp_eq_u32 s26, 15
	s_cbranch_scc0 .LBB120_456
; %bb.452:
	global_load_ushort v2, v[0:1], off
	s_mov_b64 s[0:1], -1
	s_mov_b64 s[18:19], 0
	s_waitcnt vmcnt(0)
	v_lshlrev_b32_e32 v2, 16, v2
	s_branch .LBB120_457
.LBB120_453:
	s_mov_b64 s[20:21], -1
                                        ; implicit-def: $vgpr2
	s_branch .LBB120_458
.LBB120_454:
	s_or_saveexec_b64 s[20:21], s[20:21]
	v_mov_b32_e32 v2, 0x7f800001
	s_xor_b64 exec, exec, s[20:21]
	s_cbranch_execz .LBB120_435
.LBB120_455:
	v_cmp_ne_u16_e32 vcc, 0, v3
	s_andn2_b64 s[0:1], s[0:1], exec
	s_and_b64 s[24:25], vcc, exec
	v_mov_b32_e32 v2, 0
	s_or_b64 s[0:1], s[0:1], s[24:25]
	s_or_b64 exec, exec, s[20:21]
	s_and_saveexec_b64 s[20:21], s[0:1]
	s_cbranch_execnz .LBB120_436
	s_branch .LBB120_437
.LBB120_456:
	s_mov_b64 s[18:19], -1
                                        ; implicit-def: $vgpr2
.LBB120_457:
	s_mov_b64 s[20:21], 0
.LBB120_458:
	s_and_b64 vcc, exec, s[20:21]
	s_cbranch_vccz .LBB120_462
; %bb.459:
	s_cmp_eq_u32 s26, 11
	s_cbranch_scc0 .LBB120_461
; %bb.460:
	global_load_ubyte v2, v[0:1], off
	s_mov_b64 s[0:1], -1
	s_mov_b64 s[18:19], 0
	s_waitcnt vmcnt(0)
	v_cmp_ne_u16_e32 vcc, 0, v2
	s_nop 1
	v_cndmask_b32_e64 v2, 0, 1.0, vcc
	s_branch .LBB120_462
.LBB120_461:
	s_mov_b64 s[18:19], -1
                                        ; implicit-def: $vgpr2
.LBB120_462:
	s_branch .LBB120_265
.LBB120_463:
	s_cmp_lt_i32 s26, 5
	s_cbranch_scc1 .LBB120_468
; %bb.464:
	s_cmp_lt_i32 s26, 8
	s_cbranch_scc1 .LBB120_469
; %bb.465:
	;; [unrolled: 3-line block ×3, first 2 shown]
	s_cmp_gt_i32 s26, 9
	s_cbranch_scc0 .LBB120_471
; %bb.467:
	global_load_dwordx2 v[2:3], v[0:1], off
	s_mov_b64 s[0:1], 0
	s_waitcnt vmcnt(0)
	v_cvt_f32_f64_e32 v2, v[2:3]
	s_branch .LBB120_472
.LBB120_468:
	s_mov_b64 s[0:1], -1
                                        ; implicit-def: $vgpr2
	s_branch .LBB120_490
.LBB120_469:
	s_mov_b64 s[0:1], -1
                                        ; implicit-def: $vgpr2
	s_branch .LBB120_478
.LBB120_470:
	s_mov_b64 s[0:1], -1
                                        ; implicit-def: $vgpr2
	s_branch .LBB120_475
.LBB120_471:
	s_mov_b64 s[0:1], -1
                                        ; implicit-def: $vgpr2
.LBB120_472:
	s_andn2_b64 vcc, exec, s[0:1]
	s_cbranch_vccnz .LBB120_474
; %bb.473:
	global_load_dword v2, v[0:1], off
.LBB120_474:
	s_mov_b64 s[0:1], 0
.LBB120_475:
	s_andn2_b64 vcc, exec, s[0:1]
	s_cbranch_vccnz .LBB120_477
; %bb.476:
	global_load_dword v2, v[0:1], off
	s_waitcnt vmcnt(0)
	v_cvt_f32_f16_e32 v2, v2
.LBB120_477:
	s_mov_b64 s[0:1], 0
.LBB120_478:
	s_andn2_b64 vcc, exec, s[0:1]
	s_cbranch_vccnz .LBB120_489
; %bb.479:
	s_cmp_lt_i32 s26, 6
	s_cbranch_scc1 .LBB120_482
; %bb.480:
	s_cmp_gt_i32 s26, 6
	s_cbranch_scc0 .LBB120_483
; %bb.481:
	global_load_dwordx2 v[2:3], v[0:1], off
	s_mov_b64 s[0:1], 0
	s_waitcnt vmcnt(0)
	v_cvt_f32_f64_e32 v2, v[2:3]
	s_branch .LBB120_484
.LBB120_482:
	s_mov_b64 s[0:1], -1
                                        ; implicit-def: $vgpr2
	s_branch .LBB120_487
.LBB120_483:
	s_mov_b64 s[0:1], -1
                                        ; implicit-def: $vgpr2
.LBB120_484:
	s_andn2_b64 vcc, exec, s[0:1]
	s_cbranch_vccnz .LBB120_486
; %bb.485:
	global_load_dword v2, v[0:1], off
.LBB120_486:
	s_mov_b64 s[0:1], 0
.LBB120_487:
	s_andn2_b64 vcc, exec, s[0:1]
	s_cbranch_vccnz .LBB120_489
; %bb.488:
	global_load_ushort v2, v[0:1], off
	s_waitcnt vmcnt(0)
	v_cvt_f32_f16_e32 v2, v2
.LBB120_489:
	s_mov_b64 s[0:1], 0
.LBB120_490:
	s_andn2_b64 vcc, exec, s[0:1]
	s_cbranch_vccnz .LBB120_510
; %bb.491:
	s_cmp_lt_i32 s26, 2
	s_cbranch_scc1 .LBB120_495
; %bb.492:
	s_cmp_lt_i32 s26, 3
	s_cbranch_scc1 .LBB120_496
; %bb.493:
	s_cmp_gt_i32 s26, 3
	s_cbranch_scc0 .LBB120_497
; %bb.494:
	global_load_dwordx2 v[2:3], v[0:1], off
	s_mov_b64 s[0:1], 0
	s_waitcnt vmcnt(0)
	v_xor_b32_e32 v6, v2, v3
	v_ffbh_i32_e32 v4, v3
	v_ashrrev_i32_e32 v6, 31, v6
	v_add_u32_e32 v4, -1, v4
	v_add_u32_e32 v6, 32, v6
	v_min_u32_e32 v4, v4, v6
	v_lshlrev_b64 v[2:3], v4, v[2:3]
	v_min_u32_e32 v2, 1, v2
	v_or_b32_e32 v2, v3, v2
	v_cvt_f32_i32_e32 v2, v2
	v_sub_u32_e32 v3, 32, v4
	v_ldexp_f32 v2, v2, v3
	s_branch .LBB120_498
.LBB120_495:
	s_mov_b64 s[0:1], -1
                                        ; implicit-def: $vgpr2
	s_branch .LBB120_504
.LBB120_496:
	s_mov_b64 s[0:1], -1
                                        ; implicit-def: $vgpr2
	s_branch .LBB120_501
.LBB120_497:
	s_mov_b64 s[0:1], -1
                                        ; implicit-def: $vgpr2
.LBB120_498:
	s_andn2_b64 vcc, exec, s[0:1]
	s_cbranch_vccnz .LBB120_500
; %bb.499:
	global_load_dword v2, v[0:1], off
	s_waitcnt vmcnt(0)
	v_cvt_f32_i32_e32 v2, v2
.LBB120_500:
	s_mov_b64 s[0:1], 0
.LBB120_501:
	s_andn2_b64 vcc, exec, s[0:1]
	s_cbranch_vccnz .LBB120_503
; %bb.502:
	global_load_sshort v2, v[0:1], off
	s_waitcnt vmcnt(0)
	v_cvt_f32_i32_e32 v2, v2
.LBB120_503:
	s_mov_b64 s[0:1], 0
.LBB120_504:
	s_andn2_b64 vcc, exec, s[0:1]
	s_cbranch_vccnz .LBB120_510
; %bb.505:
	s_cmp_gt_i32 s26, 0
	s_cbranch_scc0 .LBB120_507
; %bb.506:
	global_load_sbyte v2, v[0:1], off
	s_mov_b64 s[0:1], 0
	s_waitcnt vmcnt(0)
	v_cvt_f32_i32_e32 v2, v2
	s_branch .LBB120_508
.LBB120_507:
	s_mov_b64 s[0:1], -1
                                        ; implicit-def: $vgpr2
.LBB120_508:
	s_andn2_b64 vcc, exec, s[0:1]
	s_cbranch_vccnz .LBB120_510
; %bb.509:
	global_load_ubyte v0, v[0:1], off
	s_waitcnt vmcnt(0)
	v_cvt_f32_ubyte0_e32 v2, v0
.LBB120_510:
	s_branch .LBB120_266
.LBB120_511:
	s_mov_b64 s[24:25], 0
                                        ; implicit-def: $vgpr5
	s_mov_b64 s[0:1], s[12:13]
.LBB120_512:
	s_andn2_b64 s[20:21], s[12:13], exec
	s_and_b64 s[0:1], s[0:1], exec
	s_or_b64 s[20:21], s[20:21], s[0:1]
	s_andn2_b64 s[0:1], s[14:15], exec
	s_and_b64 s[18:19], s[18:19], exec
	s_or_b64 s[18:19], s[0:1], s[18:19]
	s_orn2_b64 s[0:1], s[24:25], exec
.LBB120_513:
	s_or_b64 exec, exec, s[22:23]
	s_mov_b64 s[24:25], 0
	s_mov_b64 s[26:27], 0
	;; [unrolled: 1-line block ×3, first 2 shown]
                                        ; implicit-def: $vgpr0_vgpr1
                                        ; implicit-def: $vgpr3
	s_and_saveexec_b64 s[22:23], s[0:1]
	s_cbranch_execz .LBB120_858
; %bb.514:
	v_cmp_gt_i32_e32 vcc, s38, v5
	s_mov_b64 s[34:35], -1
	s_mov_b64 s[0:1], s[18:19]
	s_mov_b64 s[28:29], s[20:21]
	s_and_saveexec_b64 s[24:25], vcc
	s_cbranch_execz .LBB120_772
; %bb.515:
	v_mul_lo_u32 v0, v5, s9
	v_ashrrev_i32_e32 v1, 31, v0
	s_and_b32 s34, 0xffff, s42
	s_cmp_lt_i32 s34, 11
	v_lshl_add_u64 v[0:1], s[6:7], 0, v[0:1]
	s_cbranch_scc1 .LBB120_522
; %bb.516:
	s_cmp_gt_i32 s34, 25
	s_cbranch_scc0 .LBB120_523
; %bb.517:
	s_cmp_gt_i32 s34, 28
	s_cbranch_scc0 .LBB120_524
	;; [unrolled: 3-line block ×4, first 2 shown]
; %bb.520:
	s_cmp_eq_u32 s34, 46
	s_mov_b64 s[28:29], 0
	s_cbranch_scc0 .LBB120_531
; %bb.521:
	global_load_dword v2, v[0:1], off
	s_mov_b64 s[0:1], -1
	s_waitcnt vmcnt(0)
	v_lshlrev_b32_e32 v2, 16, v2
	s_branch .LBB120_532
.LBB120_522:
	s_mov_b64 s[28:29], -1
	s_mov_b64 s[0:1], 0
                                        ; implicit-def: $vgpr2
	s_mov_b64 s[26:27], s[18:19]
	s_branch .LBB120_597
.LBB120_523:
	s_mov_b64 s[28:29], -1
	s_mov_b64 s[0:1], 0
	s_mov_b64 s[26:27], s[18:19]
                                        ; implicit-def: $vgpr2
	s_branch .LBB120_561
.LBB120_524:
	s_mov_b64 s[28:29], -1
	s_mov_b64 s[0:1], 0
	s_mov_b64 s[26:27], s[18:19]
                                        ; implicit-def: $vgpr2
	s_branch .LBB120_542
.LBB120_525:
	s_mov_b64 s[28:29], -1
	s_mov_b64 s[0:1], 0
	s_mov_b64 s[26:27], s[18:19]
                                        ; implicit-def: $vgpr2
	s_branch .LBB120_537
.LBB120_526:
	s_andn2_saveexec_b64 s[26:27], s[26:27]
	s_cbranch_execz .LBB120_311
.LBB120_527:
	s_mov_b32 s30, 0x46000000
	v_add_f32_e64 v3, |v2|, s30
	v_and_b32_e32 v3, 0xff, v3
	v_cmp_ne_u32_e32 vcc, 0, v3
	s_andn2_b64 s[24:25], s[24:25], exec
	s_and_b64 s[30:31], vcc, exec
	s_or_b64 s[24:25], s[24:25], s[30:31]
	s_or_b64 exec, exec, s[26:27]
	v_mov_b32_e32 v4, 0
	s_and_saveexec_b64 s[26:27], s[24:25]
	s_cbranch_execnz .LBB120_312
	s_branch .LBB120_313
.LBB120_528:
	s_mov_b64 s[28:29], -1
	s_mov_b64 s[0:1], 0
	s_mov_b64 s[26:27], s[18:19]
                                        ; implicit-def: $vgpr2
	s_branch .LBB120_532
.LBB120_529:
	s_andn2_saveexec_b64 s[26:27], s[26:27]
	s_cbranch_execz .LBB120_324
.LBB120_530:
	s_mov_b32 s30, 0x42800000
	v_add_f32_e64 v3, |v2|, s30
	v_and_b32_e32 v3, 0xff, v3
	v_cmp_ne_u32_e32 vcc, 0, v3
	s_andn2_b64 s[24:25], s[24:25], exec
	s_and_b64 s[30:31], vcc, exec
	s_or_b64 s[24:25], s[24:25], s[30:31]
	s_or_b64 exec, exec, s[26:27]
	v_mov_b32_e32 v4, 0
	s_and_saveexec_b64 s[26:27], s[24:25]
	s_cbranch_execnz .LBB120_325
	s_branch .LBB120_326
.LBB120_531:
	s_mov_b64 s[26:27], -1
                                        ; implicit-def: $vgpr2
	s_mov_b64 s[0:1], 0
.LBB120_532:
	s_and_b64 vcc, exec, s[28:29]
	s_cbranch_vccz .LBB120_536
; %bb.533:
	s_cmp_eq_u32 s34, 44
	s_cbranch_scc0 .LBB120_535
; %bb.534:
	global_load_ubyte v2, v[0:1], off
	s_movk_i32 s26, 0xff
	v_mov_b32_e32 v3, 0x7f800001
	v_mov_b32_e32 v4, 0x400000
	s_mov_b64 s[0:1], -1
	s_waitcnt vmcnt(0)
	v_lshlrev_b32_e32 v6, 23, v2
	v_cmp_ne_u32_e32 vcc, s26, v2
	s_mov_b64 s[26:27], 0
	s_nop 0
	v_cndmask_b32_e32 v3, v3, v6, vcc
	v_cmp_ne_u32_e32 vcc, 0, v2
	s_nop 1
	v_cndmask_b32_e32 v2, v4, v3, vcc
	s_branch .LBB120_536
.LBB120_535:
	s_mov_b64 s[26:27], -1
                                        ; implicit-def: $vgpr2
.LBB120_536:
	s_mov_b64 s[28:29], 0
.LBB120_537:
	s_and_b64 vcc, exec, s[28:29]
	s_cbranch_vccz .LBB120_541
; %bb.538:
	s_cmp_eq_u32 s34, 29
	s_cbranch_scc0 .LBB120_540
; %bb.539:
	global_load_dwordx2 v[2:3], v[0:1], off
	s_mov_b64 s[0:1], -1
	s_mov_b64 s[26:27], 0
	s_mov_b64 s[28:29], 0
	s_waitcnt vmcnt(0)
	v_ffbh_u32_e32 v4, v3
	v_min_u32_e32 v4, 32, v4
	v_lshlrev_b64 v[2:3], v4, v[2:3]
	v_min_u32_e32 v2, 1, v2
	v_or_b32_e32 v2, v3, v2
	v_cvt_f32_u32_e32 v2, v2
	v_sub_u32_e32 v3, 32, v4
	v_ldexp_f32 v2, v2, v3
	s_branch .LBB120_542
.LBB120_540:
	s_mov_b64 s[26:27], -1
                                        ; implicit-def: $vgpr2
.LBB120_541:
	s_mov_b64 s[28:29], 0
.LBB120_542:
	s_and_b64 vcc, exec, s[28:29]
	s_cbranch_vccz .LBB120_560
; %bb.543:
	s_cmp_lt_i32 s34, 27
	s_cbranch_scc1 .LBB120_546
; %bb.544:
	s_cmp_gt_i32 s34, 27
	s_cbranch_scc0 .LBB120_547
; %bb.545:
	global_load_dword v2, v[0:1], off
	s_mov_b64 s[0:1], 0
	s_waitcnt vmcnt(0)
	v_cvt_f32_u32_e32 v2, v2
	s_branch .LBB120_548
.LBB120_546:
	s_mov_b64 s[0:1], -1
                                        ; implicit-def: $vgpr2
	s_branch .LBB120_551
.LBB120_547:
	s_mov_b64 s[0:1], -1
                                        ; implicit-def: $vgpr2
.LBB120_548:
	s_andn2_b64 vcc, exec, s[0:1]
	s_cbranch_vccnz .LBB120_550
; %bb.549:
	global_load_ushort v2, v[0:1], off
	s_waitcnt vmcnt(0)
	v_cvt_f32_u32_e32 v2, v2
.LBB120_550:
	s_mov_b64 s[0:1], 0
.LBB120_551:
	s_andn2_b64 vcc, exec, s[0:1]
	s_cbranch_vccnz .LBB120_559
; %bb.552:
	global_load_ubyte v3, v[0:1], off
	s_movk_i32 s0, 0x7f
	s_waitcnt vmcnt(0)
	v_cmp_lt_i16_e32 vcc, s0, v3
	s_mov_b64 s[0:1], 0
	s_and_saveexec_b64 s[28:29], vcc
	s_xor_b64 s[28:29], exec, s[28:29]
	s_cbranch_execz .LBB120_573
; %bb.553:
	s_movk_i32 s0, 0x80
	v_cmp_eq_u16_e32 vcc, s0, v3
	s_mov_b64 s[0:1], -1
	s_and_saveexec_b64 s[30:31], vcc
; %bb.554:
	s_xor_b64 s[0:1], exec, -1
; %bb.555:
	s_or_b64 exec, exec, s[30:31]
	s_and_b64 s[0:1], s[0:1], exec
	s_or_saveexec_b64 s[28:29], s[28:29]
	v_mov_b32_e32 v2, 0x7f800001
	s_xor_b64 exec, exec, s[28:29]
	s_cbranch_execnz .LBB120_574
.LBB120_556:
	s_or_b64 exec, exec, s[28:29]
	s_and_saveexec_b64 s[28:29], s[0:1]
	s_cbranch_execz .LBB120_558
.LBB120_557:
	v_lshlrev_b32_e32 v2, 24, v3
	v_and_b32_e32 v3, 0xffff, v3
	v_and_b32_e32 v4, 7, v3
	v_ffbh_u32_e32 v7, v4
	v_min_u32_e32 v7, 32, v7
	v_subrev_u32_e32 v8, 28, v7
	v_bfe_u32 v6, v3, 3, 4
	v_lshlrev_b32_e32 v3, v8, v3
	v_sub_u32_e32 v7, 29, v7
	v_and_b32_e32 v3, 7, v3
	v_cmp_eq_u32_e32 vcc, 0, v6
	v_and_b32_e32 v2, 0x80000000, v2
	s_nop 0
	v_cndmask_b32_e32 v6, v6, v7, vcc
	v_cndmask_b32_e32 v3, v4, v3, vcc
	v_mov_b32_e32 v4, 0x3b800000
	v_lshlrev_b32_e32 v3, 20, v3
	v_lshl_add_u32 v4, v6, 23, v4
	v_or3_b32 v2, v2, v4, v3
.LBB120_558:
	s_or_b64 exec, exec, s[28:29]
.LBB120_559:
	s_mov_b64 s[0:1], -1
.LBB120_560:
	s_mov_b64 s[28:29], 0
.LBB120_561:
	s_and_b64 vcc, exec, s[28:29]
	s_cbranch_vccz .LBB120_596
; %bb.562:
	s_cmp_gt_i32 s34, 22
	s_cbranch_scc0 .LBB120_572
; %bb.563:
	s_cmp_lt_i32 s34, 24
	s_cbranch_scc1 .LBB120_575
; %bb.564:
	s_cmp_gt_i32 s34, 24
	s_cbranch_scc0 .LBB120_576
; %bb.565:
	global_load_ubyte v3, v[0:1], off
	s_movk_i32 s0, 0x7f
	s_waitcnt vmcnt(0)
	v_cmp_lt_i16_e32 vcc, s0, v3
	s_mov_b64 s[0:1], 0
	s_and_saveexec_b64 s[28:29], vcc
	s_xor_b64 s[28:29], exec, s[28:29]
	s_cbranch_execz .LBB120_588
; %bb.566:
	s_movk_i32 s0, 0x80
	v_cmp_eq_u16_e32 vcc, s0, v3
	s_mov_b64 s[0:1], -1
	s_and_saveexec_b64 s[30:31], vcc
; %bb.567:
	s_xor_b64 s[0:1], exec, -1
; %bb.568:
	s_or_b64 exec, exec, s[30:31]
	s_and_b64 s[0:1], s[0:1], exec
	s_or_saveexec_b64 s[28:29], s[28:29]
	v_mov_b32_e32 v2, 0x7f800001
	s_xor_b64 exec, exec, s[28:29]
	s_cbranch_execnz .LBB120_589
.LBB120_569:
	s_or_b64 exec, exec, s[28:29]
	s_and_saveexec_b64 s[28:29], s[0:1]
	s_cbranch_execz .LBB120_571
.LBB120_570:
	v_lshlrev_b32_e32 v2, 24, v3
	v_and_b32_e32 v3, 0xffff, v3
	v_and_b32_e32 v4, 3, v3
	v_ffbh_u32_e32 v7, v4
	v_min_u32_e32 v7, 32, v7
	v_subrev_u32_e32 v8, 29, v7
	v_bfe_u32 v6, v3, 2, 5
	v_lshlrev_b32_e32 v3, v8, v3
	v_sub_u32_e32 v7, 30, v7
	v_and_b32_e32 v3, 3, v3
	v_cmp_eq_u32_e32 vcc, 0, v6
	v_and_b32_e32 v2, 0x80000000, v2
	s_nop 0
	v_cndmask_b32_e32 v6, v6, v7, vcc
	v_cndmask_b32_e32 v3, v4, v3, vcc
	v_mov_b32_e32 v4, 0x37800000
	v_lshlrev_b32_e32 v3, 21, v3
	v_lshl_add_u32 v4, v6, 23, v4
	v_or3_b32 v2, v2, v4, v3
.LBB120_571:
	s_or_b64 exec, exec, s[28:29]
	s_mov_b64 s[0:1], 0
	s_branch .LBB120_577
.LBB120_572:
	s_mov_b64 s[28:29], -1
                                        ; implicit-def: $vgpr2
	s_branch .LBB120_583
.LBB120_573:
	s_or_saveexec_b64 s[28:29], s[28:29]
	v_mov_b32_e32 v2, 0x7f800001
	s_xor_b64 exec, exec, s[28:29]
	s_cbranch_execz .LBB120_556
.LBB120_574:
	v_cmp_ne_u16_e32 vcc, 0, v3
	s_andn2_b64 s[0:1], s[0:1], exec
	s_and_b64 s[30:31], vcc, exec
	v_mov_b32_e32 v2, 0
	s_or_b64 s[0:1], s[0:1], s[30:31]
	s_or_b64 exec, exec, s[28:29]
	s_and_saveexec_b64 s[28:29], s[0:1]
	s_cbranch_execnz .LBB120_557
	s_branch .LBB120_558
.LBB120_575:
	s_mov_b64 s[0:1], -1
                                        ; implicit-def: $vgpr2
	s_branch .LBB120_580
.LBB120_576:
	s_mov_b64 s[0:1], -1
                                        ; implicit-def: $vgpr2
.LBB120_577:
	s_and_b64 vcc, exec, s[0:1]
	s_cbranch_vccz .LBB120_579
; %bb.578:
	global_load_ubyte v2, v[0:1], off
	s_mov_b32 s0, 0x7f800000
	s_waitcnt vmcnt(0)
	v_lshlrev_b32_e32 v2, 24, v2
	v_and_b32_e32 v3, 0x7f000000, v2
	v_ffbh_u32_e32 v4, v3
	v_min_u32_e32 v4, 32, v4
	v_sub_u32_e64 v4, v4, 4 clamp
	v_lshlrev_b32_e32 v7, v4, v3
	v_lshlrev_b32_e32 v4, 23, v4
	v_lshrrev_b32_e32 v7, 4, v7
	v_add_u32_e32 v6, 0x1000000, v3
	v_sub_u32_e32 v4, v7, v4
	v_ashrrev_i32_e32 v6, 8, v6
	v_add_u32_e32 v4, 0x3c000000, v4
	v_and_or_b32 v4, v6, s0, v4
	v_cmp_ne_u32_e32 vcc, 0, v3
	s_brev_b32 s0, 1
	s_nop 0
	v_cndmask_b32_e32 v3, 0, v4, vcc
	v_and_or_b32 v2, v2, s0, v3
.LBB120_579:
	s_mov_b64 s[0:1], 0
.LBB120_580:
	s_andn2_b64 vcc, exec, s[0:1]
	s_cbranch_vccnz .LBB120_582
; %bb.581:
	global_load_ubyte v2, v[0:1], off
	s_movk_i32 s0, 0x7f00
	s_brev_b32 s1, 16
	s_waitcnt vmcnt(0)
	v_lshlrev_b16_e32 v3, 8, v2
	v_lshlrev_b32_e32 v2, 25, v2
	v_lshrrev_b32_e32 v4, 4, v2
	v_and_or_b32 v6, v3, s0, 0.5
	v_or_b32_e32 v4, 0x70000000, v4
	v_add_f32_e32 v6, -0.5, v6
	v_mul_f32_e32 v4, 0x7800000, v4
	v_cmp_gt_u32_e32 vcc, s1, v2
	v_bfe_i32 v3, v3, 0, 16
	s_brev_b32 s0, 1
	v_cndmask_b32_e32 v2, v4, v6, vcc
	v_and_or_b32 v2, v3, s0, v2
.LBB120_582:
	s_mov_b64 s[28:29], 0
	s_mov_b64 s[0:1], -1
.LBB120_583:
	s_andn2_b64 vcc, exec, s[28:29]
	s_cbranch_vccnz .LBB120_596
; %bb.584:
	s_cmp_gt_i32 s34, 14
	s_cbranch_scc0 .LBB120_587
; %bb.585:
	s_cmp_eq_u32 s34, 15
	s_cbranch_scc0 .LBB120_590
; %bb.586:
	global_load_ushort v2, v[0:1], off
	s_mov_b64 s[0:1], -1
	s_mov_b64 s[26:27], 0
	s_waitcnt vmcnt(0)
	v_lshlrev_b32_e32 v2, 16, v2
	s_branch .LBB120_591
.LBB120_587:
	s_mov_b64 s[28:29], -1
                                        ; implicit-def: $vgpr2
	s_branch .LBB120_592
.LBB120_588:
	s_or_saveexec_b64 s[28:29], s[28:29]
	v_mov_b32_e32 v2, 0x7f800001
	s_xor_b64 exec, exec, s[28:29]
	s_cbranch_execz .LBB120_569
.LBB120_589:
	v_cmp_ne_u16_e32 vcc, 0, v3
	s_andn2_b64 s[0:1], s[0:1], exec
	s_and_b64 s[30:31], vcc, exec
	v_mov_b32_e32 v2, 0
	s_or_b64 s[0:1], s[0:1], s[30:31]
	s_or_b64 exec, exec, s[28:29]
	s_and_saveexec_b64 s[28:29], s[0:1]
	s_cbranch_execnz .LBB120_570
	s_branch .LBB120_571
.LBB120_590:
	s_mov_b64 s[26:27], -1
                                        ; implicit-def: $vgpr2
.LBB120_591:
	s_mov_b64 s[28:29], 0
.LBB120_592:
	s_and_b64 vcc, exec, s[28:29]
	s_cbranch_vccz .LBB120_596
; %bb.593:
	s_cmp_eq_u32 s34, 11
	s_cbranch_scc0 .LBB120_595
; %bb.594:
	global_load_ubyte v2, v[0:1], off
	s_mov_b64 s[0:1], -1
	s_mov_b64 s[26:27], 0
	s_waitcnt vmcnt(0)
	v_cmp_ne_u16_e32 vcc, 0, v2
	s_nop 1
	v_cndmask_b32_e64 v2, 0, 1.0, vcc
	s_branch .LBB120_596
.LBB120_595:
	s_mov_b64 s[26:27], -1
                                        ; implicit-def: $vgpr2
.LBB120_596:
	s_mov_b64 s[28:29], 0
.LBB120_597:
	s_and_b64 vcc, exec, s[28:29]
	s_cbranch_vccz .LBB120_646
; %bb.598:
	s_cmp_lt_i32 s34, 5
	s_cbranch_scc1 .LBB120_603
; %bb.599:
	s_cmp_lt_i32 s34, 8
	s_cbranch_scc1 .LBB120_604
	;; [unrolled: 3-line block ×3, first 2 shown]
; %bb.601:
	s_cmp_gt_i32 s34, 9
	s_cbranch_scc0 .LBB120_606
; %bb.602:
	global_load_dwordx2 v[2:3], v[0:1], off
	s_mov_b64 s[0:1], 0
	s_waitcnt vmcnt(0)
	v_cvt_f32_f64_e32 v2, v[2:3]
	s_branch .LBB120_607
.LBB120_603:
	s_mov_b64 s[0:1], -1
                                        ; implicit-def: $vgpr2
	s_branch .LBB120_625
.LBB120_604:
	s_mov_b64 s[0:1], -1
                                        ; implicit-def: $vgpr2
	s_branch .LBB120_613
.LBB120_605:
	s_mov_b64 s[0:1], -1
                                        ; implicit-def: $vgpr2
	s_branch .LBB120_610
.LBB120_606:
	s_mov_b64 s[0:1], -1
                                        ; implicit-def: $vgpr2
.LBB120_607:
	s_andn2_b64 vcc, exec, s[0:1]
	s_cbranch_vccnz .LBB120_609
; %bb.608:
	global_load_dword v2, v[0:1], off
.LBB120_609:
	s_mov_b64 s[0:1], 0
.LBB120_610:
	s_andn2_b64 vcc, exec, s[0:1]
	s_cbranch_vccnz .LBB120_612
; %bb.611:
	global_load_dword v2, v[0:1], off
	s_waitcnt vmcnt(0)
	v_cvt_f32_f16_e32 v2, v2
.LBB120_612:
	s_mov_b64 s[0:1], 0
.LBB120_613:
	s_andn2_b64 vcc, exec, s[0:1]
	s_cbranch_vccnz .LBB120_624
; %bb.614:
	s_cmp_lt_i32 s34, 6
	s_cbranch_scc1 .LBB120_617
; %bb.615:
	s_cmp_gt_i32 s34, 6
	s_cbranch_scc0 .LBB120_618
; %bb.616:
	global_load_dwordx2 v[2:3], v[0:1], off
	s_mov_b64 s[0:1], 0
	s_waitcnt vmcnt(0)
	v_cvt_f32_f64_e32 v2, v[2:3]
	s_branch .LBB120_619
.LBB120_617:
	s_mov_b64 s[0:1], -1
                                        ; implicit-def: $vgpr2
	s_branch .LBB120_622
.LBB120_618:
	s_mov_b64 s[0:1], -1
                                        ; implicit-def: $vgpr2
.LBB120_619:
	s_andn2_b64 vcc, exec, s[0:1]
	s_cbranch_vccnz .LBB120_621
; %bb.620:
	global_load_dword v2, v[0:1], off
.LBB120_621:
	s_mov_b64 s[0:1], 0
.LBB120_622:
	s_andn2_b64 vcc, exec, s[0:1]
	s_cbranch_vccnz .LBB120_624
; %bb.623:
	global_load_ushort v2, v[0:1], off
	s_waitcnt vmcnt(0)
	v_cvt_f32_f16_e32 v2, v2
.LBB120_624:
	s_mov_b64 s[0:1], 0
.LBB120_625:
	s_andn2_b64 vcc, exec, s[0:1]
	s_cbranch_vccnz .LBB120_645
; %bb.626:
	s_cmp_lt_i32 s34, 2
	s_cbranch_scc1 .LBB120_630
; %bb.627:
	s_cmp_lt_i32 s34, 3
	s_cbranch_scc1 .LBB120_631
; %bb.628:
	s_cmp_gt_i32 s34, 3
	s_cbranch_scc0 .LBB120_632
; %bb.629:
	global_load_dwordx2 v[2:3], v[0:1], off
	s_mov_b64 s[0:1], 0
	s_waitcnt vmcnt(0)
	v_xor_b32_e32 v6, v2, v3
	v_ffbh_i32_e32 v4, v3
	v_ashrrev_i32_e32 v6, 31, v6
	v_add_u32_e32 v4, -1, v4
	v_add_u32_e32 v6, 32, v6
	v_min_u32_e32 v4, v4, v6
	v_lshlrev_b64 v[2:3], v4, v[2:3]
	v_min_u32_e32 v2, 1, v2
	v_or_b32_e32 v2, v3, v2
	v_cvt_f32_i32_e32 v2, v2
	v_sub_u32_e32 v3, 32, v4
	v_ldexp_f32 v2, v2, v3
	s_branch .LBB120_633
.LBB120_630:
	s_mov_b64 s[0:1], -1
                                        ; implicit-def: $vgpr2
	s_branch .LBB120_639
.LBB120_631:
	s_mov_b64 s[0:1], -1
                                        ; implicit-def: $vgpr2
	s_branch .LBB120_636
.LBB120_632:
	s_mov_b64 s[0:1], -1
                                        ; implicit-def: $vgpr2
.LBB120_633:
	s_andn2_b64 vcc, exec, s[0:1]
	s_cbranch_vccnz .LBB120_635
; %bb.634:
	global_load_dword v2, v[0:1], off
	s_waitcnt vmcnt(0)
	v_cvt_f32_i32_e32 v2, v2
.LBB120_635:
	s_mov_b64 s[0:1], 0
.LBB120_636:
	s_andn2_b64 vcc, exec, s[0:1]
	s_cbranch_vccnz .LBB120_638
; %bb.637:
	global_load_sshort v2, v[0:1], off
	s_waitcnt vmcnt(0)
	v_cvt_f32_i32_e32 v2, v2
.LBB120_638:
	s_mov_b64 s[0:1], 0
.LBB120_639:
	s_andn2_b64 vcc, exec, s[0:1]
	s_cbranch_vccnz .LBB120_645
; %bb.640:
	s_cmp_gt_i32 s34, 0
	s_cbranch_scc0 .LBB120_642
; %bb.641:
	global_load_sbyte v2, v[0:1], off
	s_mov_b64 s[0:1], 0
	s_waitcnt vmcnt(0)
	v_cvt_f32_i32_e32 v2, v2
	s_branch .LBB120_643
.LBB120_642:
	s_mov_b64 s[0:1], -1
                                        ; implicit-def: $vgpr2
.LBB120_643:
	s_andn2_b64 vcc, exec, s[0:1]
	s_cbranch_vccnz .LBB120_645
; %bb.644:
	global_load_ubyte v0, v[0:1], off
	s_waitcnt vmcnt(0)
	v_cvt_f32_ubyte0_e32 v2, v0
.LBB120_645:
	s_mov_b64 s[0:1], -1
.LBB120_646:
	s_andn2_b64 vcc, exec, s[0:1]
	s_cbranch_vccnz .LBB120_654
; %bb.647:
	s_waitcnt vmcnt(0)
	v_mul_f32_e32 v0, 0x3fb8aa3b, v2
	v_rndne_f32_e32 v0, v0
	v_fmamk_f32 v1, v0, 0xbf317218, v2
	v_fmamk_f32 v1, v0, 0x3102e308, v1
	v_mov_b32_e32 v3, 0x3ab69700
	v_fmac_f32_e32 v3, 0x395133b1, v1
	v_fmaak_f32 v3, v1, v3, 0x3c0887f9
	v_fmaak_f32 v3, v1, v3, 0x3d2aaa81
	v_cvt_i32_f32_e32 v4, v0
	v_fmaak_f32 v3, v1, v3, 0x3e2aaaab
	v_fma_f32 v3, v1, v3, 0.5
	v_mul_f32_e32 v3, v1, v3
	s_mov_b32 s0, 0x43000000
	v_fmac_f32_e32 v1, v1, v3
	v_ldexp_f32 v3, 1.0, v4
	v_mov_b32_e32 v4, 0x7f000000
	v_cmp_eq_f32_e32 vcc, s0, v0
	s_mov_b32 s0, 0x42b17217
	s_and_b32 s36, s33, 0xff
	v_cndmask_b32_e32 v0, v3, v4, vcc
	v_add_f32_e32 v3, -1.0, v0
	v_fmac_f32_e32 v3, v0, v1
	v_add_f32_e32 v0, v3, v3
	v_cndmask_b32_e32 v0, v3, v0, vcc
	v_mov_b32_e32 v1, 0x7f800000
	v_cmp_nlt_f32_e32 vcc, s0, v2
	s_mov_b32 s0, 0xc1880000
	s_cmp_lt_i32 s36, 11
	v_cndmask_b32_e32 v0, v1, v0, vcc
	v_cmp_ngt_f32_e32 vcc, s0, v2
	s_nop 1
	v_cndmask_b32_e32 v2, -1.0, v0, vcc
	v_mul_lo_u32 v0, v5, s8
	v_ashrrev_i32_e32 v1, 31, v0
	v_lshl_add_u64 v[0:1], s[4:5], 0, v[0:1]
	s_cbranch_scc1 .LBB120_655
; %bb.648:
	s_and_b32 s37, 0xffff, s36
	s_cmp_gt_i32 s37, 25
	s_cbranch_scc0 .LBB120_656
; %bb.649:
	s_cmp_gt_i32 s37, 28
	s_cbranch_scc0 .LBB120_657
; %bb.650:
	;; [unrolled: 3-line block ×4, first 2 shown]
	s_mov_b64 s[30:31], 0
	s_mov_b64 s[0:1], -1
	s_cmp_eq_u32 s37, 46
	s_mov_b64 s[28:29], 0
	s_cbranch_scc0 .LBB120_660
; %bb.653:
	v_bfe_u32 v3, v2, 16, 1
	s_movk_i32 s0, 0x7fff
	v_add3_u32 v3, v2, v3, s0
	v_cmp_o_f32_e32 vcc, v2, v2
	v_mov_b32_e32 v4, 0x7fc0
	s_mov_b64 s[28:29], -1
	v_cndmask_b32_sdwa v3, v4, v3, vcc dst_sel:DWORD dst_unused:UNUSED_PAD src0_sel:DWORD src1_sel:WORD_1
	global_store_dword v[0:1], v3, off
	s_mov_b64 s[0:1], 0
	s_branch .LBB120_660
.LBB120_654:
	s_mov_b64 s[30:31], 0
                                        ; implicit-def: $vgpr5
	s_mov_b64 s[0:1], s[20:21]
	s_branch .LBB120_771
.LBB120_655:
	s_mov_b64 s[30:31], -1
	s_mov_b64 s[28:29], 0
	s_mov_b64 s[0:1], s[20:21]
	s_branch .LBB120_729
.LBB120_656:
	s_mov_b64 s[30:31], -1
	s_mov_b64 s[28:29], 0
	s_mov_b64 s[0:1], s[20:21]
	s_branch .LBB120_687
.LBB120_657:
	s_mov_b64 s[30:31], -1
	s_mov_b64 s[28:29], 0
	s_mov_b64 s[0:1], s[20:21]
	s_branch .LBB120_670
.LBB120_658:
	s_mov_b64 s[30:31], -1
	s_mov_b64 s[28:29], 0
	s_mov_b64 s[0:1], s[20:21]
	s_branch .LBB120_666
.LBB120_659:
	s_mov_b64 s[30:31], -1
	s_mov_b64 s[28:29], 0
	s_mov_b64 s[0:1], s[20:21]
.LBB120_660:
	s_and_b64 vcc, exec, s[30:31]
	s_cbranch_vccz .LBB120_665
; %bb.661:
	s_cmp_eq_u32 s37, 44
	s_mov_b64 s[0:1], -1
	s_cbranch_scc0 .LBB120_665
; %bb.662:
	v_bfe_u32 v3, v2, 23, 8
	s_movk_i32 s0, 0xff
	v_cmp_ne_u32_e32 vcc, s0, v3
	v_mov_b32_e32 v4, 0xff
	s_and_saveexec_b64 s[28:29], vcc
; %bb.663:
	s_mov_b32 s0, 0x3fffff
	v_and_b32_e32 v6, 0x400000, v2
	v_and_or_b32 v3, v2, s0, v3
	v_cmp_ne_u32_e32 vcc, 0, v6
	v_cmp_ne_u32_e64 s[0:1], 0, v3
	s_and_b64 s[0:1], vcc, s[0:1]
	v_lshrrev_b32_e32 v4, 23, v2
	v_cndmask_b32_e64 v3, 0, 1, s[0:1]
	v_add_u32_e32 v4, v4, v3
; %bb.664:
	s_or_b64 exec, exec, s[28:29]
	s_mov_b64 s[28:29], -1
	s_mov_b64 s[0:1], 0
	global_store_byte v[0:1], v4, off
.LBB120_665:
	s_mov_b64 s[30:31], 0
.LBB120_666:
	s_and_b64 vcc, exec, s[30:31]
	s_cbranch_vccz .LBB120_669
; %bb.667:
	s_cmp_eq_u32 s37, 29
	s_mov_b64 s[0:1], -1
	s_cbranch_scc0 .LBB120_669
; %bb.668:
	v_trunc_f32_e32 v3, v2
	v_mul_f32_e32 v4, 0x2f800000, v3
	v_floor_f32_e32 v4, v4
	v_fmamk_f32 v3, v4, 0xcf800000, v3
	v_cvt_u32_f32_e32 v7, v4
	v_cvt_u32_f32_e32 v6, v3
	s_mov_b64 s[28:29], -1
	s_mov_b64 s[0:1], 0
	s_mov_b64 s[30:31], 0
	global_store_dwordx2 v[0:1], v[6:7], off
	s_branch .LBB120_670
.LBB120_669:
	s_mov_b64 s[30:31], 0
.LBB120_670:
	s_and_b64 vcc, exec, s[30:31]
	s_cbranch_vccz .LBB120_686
; %bb.671:
	s_cmp_lt_i32 s37, 27
	s_mov_b64 s[28:29], -1
	s_cbranch_scc1 .LBB120_677
; %bb.672:
	v_cvt_u32_f32_e32 v3, v2
	s_cmp_gt_i32 s37, 27
	s_cbranch_scc0 .LBB120_674
; %bb.673:
	s_mov_b64 s[28:29], 0
	global_store_dword v[0:1], v3, off
.LBB120_674:
	s_andn2_b64 vcc, exec, s[28:29]
	s_cbranch_vccnz .LBB120_676
; %bb.675:
	global_store_short v[0:1], v3, off
.LBB120_676:
	s_mov_b64 s[28:29], 0
.LBB120_677:
	s_andn2_b64 vcc, exec, s[28:29]
	s_cbranch_vccnz .LBB120_685
; %bb.678:
	v_and_b32_e32 v3, 0x7fffffff, v2
	s_mov_b32 s28, 0x43800000
	v_cmp_gt_u32_e32 vcc, s28, v3
	v_mov_b32_e32 v4, 0x80
	s_and_saveexec_b64 s[28:29], vcc
	s_cbranch_execz .LBB120_684
; %bb.679:
	s_mov_b32 s30, 0x3bffffff
	v_cmp_lt_u32_e32 vcc, s30, v3
	s_mov_b64 s[30:31], 0
                                        ; implicit-def: $vgpr3
	s_and_saveexec_b64 s[34:35], vcc
	s_xor_b64 s[34:35], exec, s[34:35]
	s_cbranch_execz .LBB120_785
; %bb.680:
	v_bfe_u32 v3, v2, 20, 1
	s_mov_b32 s39, 0x487ffff
	v_add3_u32 v3, v2, v3, s39
	s_mov_b64 s[30:31], exec
	v_lshrrev_b32_e32 v3, 20, v3
	s_andn2_saveexec_b64 s[34:35], s[34:35]
	s_cbranch_execnz .LBB120_786
.LBB120_681:
	s_or_b64 exec, exec, s[34:35]
	v_mov_b32_e32 v4, 0
	s_and_saveexec_b64 s[34:35], s[30:31]
.LBB120_682:
	v_lshrrev_b32_e32 v4, 24, v2
	s_movk_i32 s30, 0x80
	v_and_or_b32 v4, v4, s30, v3
.LBB120_683:
	s_or_b64 exec, exec, s[34:35]
.LBB120_684:
	s_or_b64 exec, exec, s[28:29]
	global_store_byte v[0:1], v4, off
.LBB120_685:
	s_mov_b64 s[28:29], -1
.LBB120_686:
	s_mov_b64 s[30:31], 0
.LBB120_687:
	s_and_b64 vcc, exec, s[30:31]
	s_cbranch_vccz .LBB120_728
; %bb.688:
	s_cmp_gt_i32 s37, 22
	s_mov_b64 s[30:31], -1
	s_cbranch_scc0 .LBB120_720
; %bb.689:
	s_cmp_lt_i32 s37, 24
	s_mov_b64 s[28:29], -1
	s_cbranch_scc1 .LBB120_709
; %bb.690:
	s_cmp_gt_i32 s37, 24
	s_cbranch_scc0 .LBB120_698
; %bb.691:
	v_and_b32_e32 v3, 0x7fffffff, v2
	s_mov_b32 s28, 0x47800000
	v_cmp_gt_u32_e32 vcc, s28, v3
	v_mov_b32_e32 v4, 0x80
	s_and_saveexec_b64 s[28:29], vcc
	s_cbranch_execz .LBB120_697
; %bb.692:
	s_mov_b32 s30, 0x37ffffff
	v_cmp_lt_u32_e32 vcc, s30, v3
	s_mov_b64 s[30:31], 0
                                        ; implicit-def: $vgpr3
	s_and_saveexec_b64 s[34:35], vcc
	s_xor_b64 s[34:35], exec, s[34:35]
	s_cbranch_execz .LBB120_788
; %bb.693:
	v_bfe_u32 v3, v2, 21, 1
	s_mov_b32 s39, 0x88fffff
	v_add3_u32 v3, v2, v3, s39
	s_mov_b64 s[30:31], exec
	v_lshrrev_b32_e32 v3, 21, v3
	s_andn2_saveexec_b64 s[34:35], s[34:35]
	s_cbranch_execnz .LBB120_789
.LBB120_694:
	s_or_b64 exec, exec, s[34:35]
	v_mov_b32_e32 v4, 0
	s_and_saveexec_b64 s[34:35], s[30:31]
.LBB120_695:
	v_lshrrev_b32_e32 v4, 24, v2
	s_movk_i32 s30, 0x80
	v_and_or_b32 v4, v4, s30, v3
.LBB120_696:
	s_or_b64 exec, exec, s[34:35]
.LBB120_697:
	s_or_b64 exec, exec, s[28:29]
	s_mov_b64 s[28:29], 0
	global_store_byte v[0:1], v4, off
.LBB120_698:
	s_and_b64 vcc, exec, s[28:29]
	s_cbranch_vccz .LBB120_708
; %bb.699:
	v_and_b32_e32 v4, 0x7fffffff, v2
	s_mov_b32 s28, 0x43f00000
	v_cmp_gt_u32_e32 vcc, s28, v4
                                        ; implicit-def: $vgpr3
	s_and_saveexec_b64 s[28:29], vcc
	s_xor_b64 s[28:29], exec, s[28:29]
	s_cbranch_execz .LBB120_705
; %bb.700:
	s_mov_b32 s30, 0x3c7fffff
	v_cmp_lt_u32_e32 vcc, s30, v4
                                        ; implicit-def: $vgpr3
	s_and_saveexec_b64 s[30:31], vcc
	s_xor_b64 s[30:31], exec, s[30:31]
; %bb.701:
	v_bfe_u32 v3, v2, 20, 1
	s_mov_b32 s34, 0x407ffff
	v_add3_u32 v3, v2, v3, s34
	v_lshrrev_b32_e32 v4, 20, v3
	v_and_b32_e32 v3, 0xff00000, v3
	s_mov_b32 s34, 0x7f00000
	v_mov_b32_e32 v6, 0x7e
	v_cmp_ne_u32_e32 vcc, s34, v3
	s_nop 1
	v_cndmask_b32_e32 v3, v6, v4, vcc
; %bb.702:
	s_andn2_saveexec_b64 s[30:31], s[30:31]
; %bb.703:
	s_mov_b32 s34, 0x46800000
	v_add_f32_e64 v3, |v2|, s34
; %bb.704:
	s_or_b64 exec, exec, s[30:31]
                                        ; implicit-def: $vgpr4
.LBB120_705:
	s_andn2_saveexec_b64 s[28:29], s[28:29]
; %bb.706:
	s_mov_b32 s30, 0x7f800000
	v_mov_b32_e32 v3, 0x7e
	v_mov_b32_e32 v6, 0x7f
	v_cmp_lt_u32_e32 vcc, s30, v4
	s_nop 1
	v_cndmask_b32_e32 v3, v3, v6, vcc
; %bb.707:
	s_or_b64 exec, exec, s[28:29]
	v_lshrrev_b32_e32 v4, 24, v2
	s_movk_i32 s28, 0x80
	v_and_or_b32 v3, v4, s28, v3
	global_store_byte v[0:1], v3, off
.LBB120_708:
	s_mov_b64 s[28:29], 0
.LBB120_709:
	s_andn2_b64 vcc, exec, s[28:29]
	s_cbranch_vccnz .LBB120_719
; %bb.710:
	v_and_b32_e32 v4, 0x7fffffff, v2
	s_mov_b32 s28, 0x47800000
	v_cmp_gt_u32_e32 vcc, s28, v4
                                        ; implicit-def: $vgpr3
	s_and_saveexec_b64 s[28:29], vcc
	s_xor_b64 s[28:29], exec, s[28:29]
	s_cbranch_execz .LBB120_716
; %bb.711:
	s_mov_b32 s30, 0x387fffff
	v_cmp_lt_u32_e32 vcc, s30, v4
                                        ; implicit-def: $vgpr3
	s_and_saveexec_b64 s[30:31], vcc
	s_xor_b64 s[30:31], exec, s[30:31]
; %bb.712:
	v_bfe_u32 v3, v2, 21, 1
	s_mov_b32 s34, 0x80fffff
	v_add3_u32 v3, v2, v3, s34
	v_lshrrev_b32_e32 v3, 21, v3
; %bb.713:
	s_andn2_saveexec_b64 s[30:31], s[30:31]
; %bb.714:
	s_mov_b32 s34, 0x43000000
	v_add_f32_e64 v3, |v2|, s34
; %bb.715:
	s_or_b64 exec, exec, s[30:31]
                                        ; implicit-def: $vgpr4
.LBB120_716:
	s_andn2_saveexec_b64 s[28:29], s[28:29]
; %bb.717:
	s_mov_b32 s30, 0x7f800000
	v_mov_b32_e32 v3, 0x7c
	v_mov_b32_e32 v6, 0x7f
	v_cmp_lt_u32_e32 vcc, s30, v4
	s_nop 1
	v_cndmask_b32_e32 v3, v3, v6, vcc
; %bb.718:
	s_or_b64 exec, exec, s[28:29]
	v_lshrrev_b32_e32 v4, 24, v2
	s_movk_i32 s28, 0x80
	v_and_or_b32 v3, v4, s28, v3
	global_store_byte v[0:1], v3, off
.LBB120_719:
	s_mov_b64 s[30:31], 0
	s_mov_b64 s[28:29], -1
.LBB120_720:
	s_andn2_b64 vcc, exec, s[30:31]
	s_cbranch_vccnz .LBB120_728
; %bb.721:
	s_cmp_gt_i32 s37, 14
	s_mov_b64 s[30:31], -1
	s_cbranch_scc0 .LBB120_725
; %bb.722:
	s_cmp_eq_u32 s37, 15
	s_mov_b64 s[0:1], -1
	s_cbranch_scc0 .LBB120_724
; %bb.723:
	v_bfe_u32 v3, v2, 16, 1
	s_movk_i32 s0, 0x7fff
	v_add3_u32 v3, v2, v3, s0
	v_cmp_o_f32_e32 vcc, v2, v2
	v_mov_b32_e32 v4, 0x7fc0
	s_mov_b64 s[28:29], -1
	v_cndmask_b32_sdwa v3, v4, v3, vcc dst_sel:DWORD dst_unused:UNUSED_PAD src0_sel:DWORD src1_sel:WORD_1
	global_store_short v[0:1], v3, off
	s_mov_b64 s[0:1], 0
.LBB120_724:
	s_mov_b64 s[30:31], 0
.LBB120_725:
	s_and_b64 vcc, exec, s[30:31]
	s_cbranch_vccz .LBB120_728
; %bb.726:
	s_cmp_eq_u32 s37, 11
	s_mov_b64 s[0:1], -1
	s_cbranch_scc0 .LBB120_728
; %bb.727:
	v_cmp_neq_f32_e32 vcc, 0, v2
	s_mov_b64 s[28:29], -1
	s_mov_b64 s[0:1], 0
	v_cndmask_b32_e64 v3, 0, 1, vcc
	global_store_byte v[0:1], v3, off
.LBB120_728:
	s_mov_b64 s[30:31], 0
.LBB120_729:
	s_and_b64 vcc, exec, s[30:31]
	s_cbranch_vccz .LBB120_768
; %bb.730:
	s_and_b32 s30, 0xffff, s36
	s_cmp_lt_i32 s30, 5
	s_mov_b64 s[28:29], -1
	s_cbranch_scc1 .LBB120_751
; %bb.731:
	s_cmp_lt_i32 s30, 8
	s_cbranch_scc1 .LBB120_741
; %bb.732:
	s_cmp_lt_i32 s30, 9
	s_cbranch_scc1 .LBB120_738
; %bb.733:
	s_cmp_gt_i32 s30, 9
	s_cbranch_scc0 .LBB120_735
; %bb.734:
	v_mov_b32_e32 v8, 0
	v_cvt_f64_f32_e32 v[6:7], v2
	v_mov_b32_e32 v9, v8
	s_mov_b64 s[28:29], 0
	global_store_dwordx4 v[0:1], v[6:9], off
.LBB120_735:
	s_andn2_b64 vcc, exec, s[28:29]
	s_cbranch_vccnz .LBB120_737
; %bb.736:
	v_mov_b32_e32 v3, 0
	global_store_dwordx2 v[0:1], v[2:3], off
.LBB120_737:
	s_mov_b64 s[28:29], 0
.LBB120_738:
	s_andn2_b64 vcc, exec, s[28:29]
	s_cbranch_vccnz .LBB120_740
; %bb.739:
	v_cvt_f16_f32_e32 v3, v2
	global_store_dword v[0:1], v3, off
.LBB120_740:
	s_mov_b64 s[28:29], 0
.LBB120_741:
	s_andn2_b64 vcc, exec, s[28:29]
	s_cbranch_vccnz .LBB120_750
; %bb.742:
	s_cmp_lt_i32 s30, 6
	s_mov_b64 s[28:29], -1
	s_cbranch_scc1 .LBB120_748
; %bb.743:
	s_cmp_gt_i32 s30, 6
	s_cbranch_scc0 .LBB120_745
; %bb.744:
	v_cvt_f64_f32_e32 v[6:7], v2
	s_mov_b64 s[28:29], 0
	global_store_dwordx2 v[0:1], v[6:7], off
.LBB120_745:
	s_andn2_b64 vcc, exec, s[28:29]
	s_cbranch_vccnz .LBB120_747
; %bb.746:
	global_store_dword v[0:1], v2, off
.LBB120_747:
	s_mov_b64 s[28:29], 0
.LBB120_748:
	s_andn2_b64 vcc, exec, s[28:29]
	s_cbranch_vccnz .LBB120_750
; %bb.749:
	v_cvt_f16_f32_e32 v3, v2
	global_store_short v[0:1], v3, off
.LBB120_750:
	s_mov_b64 s[28:29], 0
.LBB120_751:
	s_andn2_b64 vcc, exec, s[28:29]
	s_cbranch_vccnz .LBB120_767
; %bb.752:
	s_cmp_lt_i32 s30, 2
	s_mov_b64 s[28:29], -1
	s_cbranch_scc1 .LBB120_762
; %bb.753:
	s_cmp_lt_i32 s30, 3
	s_cbranch_scc1 .LBB120_759
; %bb.754:
	s_cmp_gt_i32 s30, 3
	s_cbranch_scc0 .LBB120_756
; %bb.755:
	v_trunc_f32_e32 v3, v2
	s_mov_b32 s28, 0x2f800000
	v_mul_f32_e64 v4, |v3|, s28
	v_floor_f32_e32 v4, v4
	s_mov_b32 s28, 0xcf800000
	v_cvt_u32_f32_e32 v6, v4
	v_fma_f32 v4, v4, s28, |v3|
	v_cvt_u32_f32_e32 v4, v4
	v_ashrrev_i32_e32 v3, 31, v3
	v_xor_b32_e32 v7, v6, v3
	s_mov_b64 s[28:29], 0
	v_xor_b32_e32 v4, v4, v3
	v_sub_co_u32_e32 v6, vcc, v4, v3
	s_nop 1
	v_subb_co_u32_e32 v7, vcc, v7, v3, vcc
	global_store_dwordx2 v[0:1], v[6:7], off
.LBB120_756:
	s_andn2_b64 vcc, exec, s[28:29]
	s_cbranch_vccnz .LBB120_758
; %bb.757:
	v_cvt_i32_f32_e32 v3, v2
	global_store_dword v[0:1], v3, off
.LBB120_758:
	s_mov_b64 s[28:29], 0
.LBB120_759:
	s_andn2_b64 vcc, exec, s[28:29]
	s_cbranch_vccnz .LBB120_761
; %bb.760:
	v_cvt_i32_f32_e32 v3, v2
	global_store_short v[0:1], v3, off
.LBB120_761:
	s_mov_b64 s[28:29], 0
.LBB120_762:
	s_andn2_b64 vcc, exec, s[28:29]
	s_cbranch_vccnz .LBB120_767
; %bb.763:
	s_cmp_gt_i32 s30, 0
	s_mov_b64 s[28:29], -1
	s_cbranch_scc0 .LBB120_765
; %bb.764:
	v_cvt_i32_f32_e32 v3, v2
	s_mov_b64 s[28:29], 0
	global_store_byte v[0:1], v3, off
.LBB120_765:
	s_andn2_b64 vcc, exec, s[28:29]
	s_cbranch_vccnz .LBB120_767
; %bb.766:
	v_trunc_f32_e32 v2, v2
	s_mov_b32 s28, 0x2f800000
	v_mul_f32_e64 v3, |v2|, s28
	v_floor_f32_e32 v3, v3
	s_mov_b32 s28, 0xcf800000
	v_fma_f32 v3, v3, s28, |v2|
	v_cvt_u32_f32_e32 v3, v3
	v_ashrrev_i32_e32 v2, 31, v2
	v_xor_b32_e32 v3, v3, v2
	v_sub_u32_e32 v2, v3, v2
	global_store_byte v[0:1], v2, off
.LBB120_767:
	s_mov_b64 s[28:29], -1
.LBB120_768:
	s_andn2_b64 vcc, exec, s[28:29]
	s_cbranch_vccnz .LBB120_770
; %bb.769:
	v_add_u32_e32 v5, 0x80, v5
	s_mov_b64 s[30:31], -1
	s_branch .LBB120_771
.LBB120_770:
	s_mov_b64 s[30:31], 0
                                        ; implicit-def: $vgpr5
.LBB120_771:
	s_andn2_b64 s[28:29], s[20:21], exec
	s_and_b64 s[0:1], s[0:1], exec
	s_or_b64 s[28:29], s[28:29], s[0:1]
	s_andn2_b64 s[0:1], s[18:19], exec
	s_and_b64 s[26:27], s[26:27], exec
	s_or_b64 s[0:1], s[0:1], s[26:27]
	s_orn2_b64 s[34:35], s[30:31], exec
.LBB120_772:
	s_or_b64 exec, exec, s[24:25]
	s_mov_b64 s[30:31], 0
	s_mov_b64 s[26:27], 0
	;; [unrolled: 1-line block ×3, first 2 shown]
                                        ; implicit-def: $vgpr0_vgpr1
                                        ; implicit-def: $vgpr3
	s_and_saveexec_b64 s[24:25], s[34:35]
	s_cbranch_execz .LBB120_857
; %bb.773:
	v_cmp_gt_i32_e32 vcc, s38, v5
	s_mov_b64 s[34:35], 0
	s_mov_b64 s[38:39], s[0:1]
	;; [unrolled: 1-line block ×3, first 2 shown]
                                        ; implicit-def: $vgpr0_vgpr1
                                        ; implicit-def: $vgpr3
	s_and_saveexec_b64 s[26:27], vcc
	s_cbranch_execz .LBB120_856
; %bb.774:
	v_mul_lo_u32 v0, v5, s9
	v_ashrrev_i32_e32 v1, 31, v0
	s_and_b32 s43, 0xffff, s42
	s_cmp_lt_i32 s43, 11
	v_lshl_add_u64 v[0:1], s[6:7], 0, v[0:1]
	s_cbranch_scc1 .LBB120_781
; %bb.775:
	s_cmp_gt_i32 s43, 25
	s_cbranch_scc0 .LBB120_782
; %bb.776:
	s_cmp_gt_i32 s43, 28
	s_cbranch_scc0 .LBB120_783
	;; [unrolled: 3-line block ×4, first 2 shown]
; %bb.779:
	s_cmp_eq_u32 s43, 46
	s_mov_b64 s[38:39], 0
	s_cbranch_scc0 .LBB120_790
; %bb.780:
	global_load_dword v2, v[0:1], off
	s_mov_b64 s[36:37], -1
	s_waitcnt vmcnt(0)
	v_lshlrev_b32_e32 v3, 16, v2
	s_branch .LBB120_792
.LBB120_781:
	s_mov_b64 s[38:39], -1
                                        ; implicit-def: $vgpr3
	s_mov_b64 s[30:31], s[0:1]
	s_branch .LBB120_855
.LBB120_782:
	s_mov_b64 s[38:39], -1
	s_mov_b64 s[30:31], s[0:1]
                                        ; implicit-def: $vgpr3
	s_branch .LBB120_821
.LBB120_783:
	s_mov_b64 s[38:39], -1
	s_mov_b64 s[30:31], s[0:1]
                                        ; implicit-def: $vgpr3
	s_branch .LBB120_802
.LBB120_784:
	s_mov_b64 s[38:39], -1
	s_mov_b64 s[30:31], s[0:1]
                                        ; implicit-def: $vgpr3
	s_branch .LBB120_797
.LBB120_785:
	s_andn2_saveexec_b64 s[34:35], s[34:35]
	s_cbranch_execz .LBB120_681
.LBB120_786:
	s_mov_b32 s39, 0x46000000
	v_add_f32_e64 v3, |v2|, s39
	v_and_b32_e32 v3, 0xff, v3
	v_cmp_ne_u32_e32 vcc, 0, v3
	s_andn2_b64 s[30:31], s[30:31], exec
	s_and_b64 s[40:41], vcc, exec
	s_or_b64 s[30:31], s[30:31], s[40:41]
	s_or_b64 exec, exec, s[34:35]
	v_mov_b32_e32 v4, 0
	s_and_saveexec_b64 s[34:35], s[30:31]
	s_cbranch_execnz .LBB120_682
	s_branch .LBB120_683
.LBB120_787:
	s_mov_b64 s[38:39], -1
	s_mov_b64 s[30:31], s[0:1]
	s_branch .LBB120_791
.LBB120_788:
	s_andn2_saveexec_b64 s[34:35], s[34:35]
	s_cbranch_execz .LBB120_694
.LBB120_789:
	s_mov_b32 s39, 0x42800000
	v_add_f32_e64 v3, |v2|, s39
	v_and_b32_e32 v3, 0xff, v3
	v_cmp_ne_u32_e32 vcc, 0, v3
	s_andn2_b64 s[30:31], s[30:31], exec
	s_and_b64 s[40:41], vcc, exec
	s_or_b64 s[30:31], s[30:31], s[40:41]
	s_or_b64 exec, exec, s[34:35]
	v_mov_b32_e32 v4, 0
	s_and_saveexec_b64 s[34:35], s[30:31]
	s_cbranch_execnz .LBB120_695
	s_branch .LBB120_696
.LBB120_790:
	s_mov_b64 s[30:31], -1
.LBB120_791:
                                        ; implicit-def: $vgpr3
.LBB120_792:
	s_and_b64 vcc, exec, s[38:39]
	s_cbranch_vccz .LBB120_796
; %bb.793:
	s_cmp_eq_u32 s43, 44
	s_cbranch_scc0 .LBB120_795
; %bb.794:
	global_load_ubyte v2, v[0:1], off
	s_movk_i32 s36, 0xff
	v_mov_b32_e32 v3, 0x7f800001
	v_mov_b32_e32 v4, 0x400000
	s_mov_b64 s[30:31], 0
	s_waitcnt vmcnt(0)
	v_lshlrev_b32_e32 v6, 23, v2
	v_cmp_ne_u32_e32 vcc, s36, v2
	s_mov_b64 s[36:37], -1
	s_nop 0
	v_cndmask_b32_e32 v3, v3, v6, vcc
	v_cmp_ne_u32_e32 vcc, 0, v2
	s_nop 1
	v_cndmask_b32_e32 v3, v4, v3, vcc
	s_branch .LBB120_796
.LBB120_795:
	s_mov_b64 s[30:31], -1
                                        ; implicit-def: $vgpr3
.LBB120_796:
	s_mov_b64 s[38:39], 0
.LBB120_797:
	s_and_b64 vcc, exec, s[38:39]
	s_cbranch_vccz .LBB120_801
; %bb.798:
	s_cmp_eq_u32 s43, 29
	s_cbranch_scc0 .LBB120_800
; %bb.799:
	global_load_dwordx2 v[2:3], v[0:1], off
	s_mov_b64 s[30:31], 0
	s_mov_b64 s[36:37], -1
	s_mov_b64 s[38:39], 0
	s_waitcnt vmcnt(0)
	v_ffbh_u32_e32 v4, v3
	v_min_u32_e32 v4, 32, v4
	v_lshlrev_b64 v[2:3], v4, v[2:3]
	v_min_u32_e32 v2, 1, v2
	v_or_b32_e32 v2, v3, v2
	v_cvt_f32_u32_e32 v2, v2
	v_sub_u32_e32 v3, 32, v4
	v_ldexp_f32 v3, v2, v3
	s_branch .LBB120_802
.LBB120_800:
	s_mov_b64 s[30:31], -1
                                        ; implicit-def: $vgpr3
.LBB120_801:
	s_mov_b64 s[38:39], 0
.LBB120_802:
	s_and_b64 vcc, exec, s[38:39]
	s_cbranch_vccz .LBB120_820
; %bb.803:
	s_cmp_lt_i32 s43, 27
	s_cbranch_scc1 .LBB120_806
; %bb.804:
	s_cmp_gt_i32 s43, 27
	s_cbranch_scc0 .LBB120_807
; %bb.805:
	global_load_dword v2, v[0:1], off
	s_mov_b64 s[36:37], 0
	s_waitcnt vmcnt(0)
	v_cvt_f32_u32_e32 v3, v2
	s_branch .LBB120_808
.LBB120_806:
	s_mov_b64 s[36:37], -1
                                        ; implicit-def: $vgpr3
	s_branch .LBB120_811
.LBB120_807:
	s_mov_b64 s[36:37], -1
                                        ; implicit-def: $vgpr3
.LBB120_808:
	s_andn2_b64 vcc, exec, s[36:37]
	s_cbranch_vccnz .LBB120_810
; %bb.809:
	global_load_ushort v2, v[0:1], off
	s_waitcnt vmcnt(0)
	v_cvt_f32_u32_e32 v3, v2
.LBB120_810:
	s_mov_b64 s[36:37], 0
.LBB120_811:
	s_andn2_b64 vcc, exec, s[36:37]
	s_cbranch_vccnz .LBB120_819
; %bb.812:
	global_load_ubyte v2, v[0:1], off
	s_movk_i32 s36, 0x7f
	s_waitcnt vmcnt(0)
	v_cmp_lt_i16_e32 vcc, s36, v2
	s_mov_b64 s[36:37], 0
	s_and_saveexec_b64 s[38:39], vcc
	s_xor_b64 s[38:39], exec, s[38:39]
	s_cbranch_execz .LBB120_833
; %bb.813:
	s_movk_i32 s36, 0x80
	v_cmp_eq_u16_e32 vcc, s36, v2
	s_mov_b64 s[36:37], -1
	s_and_saveexec_b64 s[40:41], vcc
; %bb.814:
	s_xor_b64 s[36:37], exec, -1
; %bb.815:
	s_or_b64 exec, exec, s[40:41]
	s_and_b64 s[36:37], s[36:37], exec
	s_or_saveexec_b64 s[38:39], s[38:39]
	v_mov_b32_e32 v3, 0x7f800001
	s_xor_b64 exec, exec, s[38:39]
	s_cbranch_execnz .LBB120_834
.LBB120_816:
	s_or_b64 exec, exec, s[38:39]
	s_and_saveexec_b64 s[38:39], s[36:37]
	s_cbranch_execz .LBB120_818
.LBB120_817:
	v_lshlrev_b32_e32 v3, 24, v2
	v_and_b32_e32 v2, 0xffff, v2
	v_and_b32_e32 v4, 7, v2
	v_ffbh_u32_e32 v7, v4
	v_min_u32_e32 v7, 32, v7
	v_subrev_u32_e32 v8, 28, v7
	v_bfe_u32 v6, v2, 3, 4
	v_lshlrev_b32_e32 v2, v8, v2
	v_sub_u32_e32 v7, 29, v7
	v_and_b32_e32 v2, 7, v2
	v_cmp_eq_u32_e32 vcc, 0, v6
	v_and_b32_e32 v3, 0x80000000, v3
	s_nop 0
	v_cndmask_b32_e32 v6, v6, v7, vcc
	v_cndmask_b32_e32 v2, v4, v2, vcc
	v_mov_b32_e32 v4, 0x3b800000
	v_lshlrev_b32_e32 v2, 20, v2
	v_lshl_add_u32 v4, v6, 23, v4
	v_or3_b32 v3, v3, v4, v2
.LBB120_818:
	s_or_b64 exec, exec, s[38:39]
.LBB120_819:
	s_mov_b64 s[36:37], -1
.LBB120_820:
	s_mov_b64 s[38:39], 0
.LBB120_821:
	s_and_b64 vcc, exec, s[38:39]
	s_cbranch_vccz .LBB120_854
; %bb.822:
	s_cmp_gt_i32 s43, 22
	s_cbranch_scc0 .LBB120_832
; %bb.823:
	s_cmp_lt_i32 s43, 24
	s_cbranch_scc1 .LBB120_835
; %bb.824:
	s_cmp_gt_i32 s43, 24
	s_cbranch_scc0 .LBB120_836
; %bb.825:
	global_load_ubyte v2, v[0:1], off
	s_movk_i32 s34, 0x7f
	s_waitcnt vmcnt(0)
	v_cmp_lt_i16_e32 vcc, s34, v2
	s_mov_b64 s[34:35], 0
	s_and_saveexec_b64 s[36:37], vcc
	s_xor_b64 s[36:37], exec, s[36:37]
	s_cbranch_execz .LBB120_848
; %bb.826:
	s_movk_i32 s34, 0x80
	v_cmp_eq_u16_e32 vcc, s34, v2
	s_mov_b64 s[34:35], -1
	s_and_saveexec_b64 s[38:39], vcc
; %bb.827:
	s_xor_b64 s[34:35], exec, -1
; %bb.828:
	s_or_b64 exec, exec, s[38:39]
	s_and_b64 s[34:35], s[34:35], exec
	s_or_saveexec_b64 s[36:37], s[36:37]
	v_mov_b32_e32 v3, 0x7f800001
	s_xor_b64 exec, exec, s[36:37]
	s_cbranch_execnz .LBB120_849
.LBB120_829:
	s_or_b64 exec, exec, s[36:37]
	s_and_saveexec_b64 s[36:37], s[34:35]
	s_cbranch_execz .LBB120_831
.LBB120_830:
	v_lshlrev_b32_e32 v3, 24, v2
	v_and_b32_e32 v2, 0xffff, v2
	v_and_b32_e32 v4, 3, v2
	v_ffbh_u32_e32 v7, v4
	v_min_u32_e32 v7, 32, v7
	v_subrev_u32_e32 v8, 29, v7
	v_bfe_u32 v6, v2, 2, 5
	v_lshlrev_b32_e32 v2, v8, v2
	v_sub_u32_e32 v7, 30, v7
	v_and_b32_e32 v2, 3, v2
	v_cmp_eq_u32_e32 vcc, 0, v6
	v_and_b32_e32 v3, 0x80000000, v3
	s_nop 0
	v_cndmask_b32_e32 v6, v6, v7, vcc
	v_cndmask_b32_e32 v2, v4, v2, vcc
	v_mov_b32_e32 v4, 0x37800000
	v_lshlrev_b32_e32 v2, 21, v2
	v_lshl_add_u32 v4, v6, 23, v4
	v_or3_b32 v3, v3, v4, v2
.LBB120_831:
	s_or_b64 exec, exec, s[36:37]
	s_mov_b64 s[34:35], 0
	s_branch .LBB120_837
.LBB120_832:
	s_mov_b64 s[34:35], -1
                                        ; implicit-def: $vgpr3
	s_branch .LBB120_843
.LBB120_833:
	s_or_saveexec_b64 s[38:39], s[38:39]
	v_mov_b32_e32 v3, 0x7f800001
	s_xor_b64 exec, exec, s[38:39]
	s_cbranch_execz .LBB120_816
.LBB120_834:
	v_cmp_ne_u16_e32 vcc, 0, v2
	s_andn2_b64 s[36:37], s[36:37], exec
	s_and_b64 s[40:41], vcc, exec
	v_mov_b32_e32 v3, 0
	s_or_b64 s[36:37], s[36:37], s[40:41]
	s_or_b64 exec, exec, s[38:39]
	s_and_saveexec_b64 s[38:39], s[36:37]
	s_cbranch_execnz .LBB120_817
	s_branch .LBB120_818
.LBB120_835:
	s_mov_b64 s[34:35], -1
                                        ; implicit-def: $vgpr3
	s_branch .LBB120_840
.LBB120_836:
	s_mov_b64 s[34:35], -1
                                        ; implicit-def: $vgpr3
.LBB120_837:
	s_and_b64 vcc, exec, s[34:35]
	s_cbranch_vccz .LBB120_839
; %bb.838:
	global_load_ubyte v2, v[0:1], off
	s_mov_b32 s34, 0x7f800000
	s_waitcnt vmcnt(0)
	v_lshlrev_b32_e32 v2, 24, v2
	v_and_b32_e32 v3, 0x7f000000, v2
	v_ffbh_u32_e32 v4, v3
	v_min_u32_e32 v4, 32, v4
	v_sub_u32_e64 v4, v4, 4 clamp
	v_lshlrev_b32_e32 v7, v4, v3
	v_lshlrev_b32_e32 v4, 23, v4
	v_lshrrev_b32_e32 v7, 4, v7
	v_add_u32_e32 v6, 0x1000000, v3
	v_sub_u32_e32 v4, v7, v4
	v_ashrrev_i32_e32 v6, 8, v6
	v_add_u32_e32 v4, 0x3c000000, v4
	v_and_or_b32 v4, v6, s34, v4
	v_cmp_ne_u32_e32 vcc, 0, v3
	s_brev_b32 s34, 1
	s_nop 0
	v_cndmask_b32_e32 v3, 0, v4, vcc
	v_and_or_b32 v3, v2, s34, v3
.LBB120_839:
	s_mov_b64 s[34:35], 0
.LBB120_840:
	s_andn2_b64 vcc, exec, s[34:35]
	s_cbranch_vccnz .LBB120_842
; %bb.841:
	global_load_ubyte v2, v[0:1], off
	s_movk_i32 s34, 0x7f00
	s_brev_b32 s35, 16
	s_waitcnt vmcnt(0)
	v_lshlrev_b16_e32 v3, 8, v2
	v_lshlrev_b32_e32 v2, 25, v2
	v_lshrrev_b32_e32 v4, 4, v2
	v_and_or_b32 v6, v3, s34, 0.5
	v_or_b32_e32 v4, 0x70000000, v4
	v_add_f32_e32 v6, -0.5, v6
	v_mul_f32_e32 v4, 0x7800000, v4
	v_cmp_gt_u32_e32 vcc, s35, v2
	v_bfe_i32 v3, v3, 0, 16
	s_brev_b32 s34, 1
	v_cndmask_b32_e32 v2, v4, v6, vcc
	v_and_or_b32 v3, v3, s34, v2
.LBB120_842:
	s_mov_b64 s[34:35], 0
	s_mov_b64 s[36:37], -1
.LBB120_843:
	s_andn2_b64 vcc, exec, s[34:35]
	s_mov_b64 s[34:35], 0
	s_cbranch_vccnz .LBB120_854
; %bb.844:
	s_cmp_gt_i32 s43, 14
	s_cbranch_scc0 .LBB120_847
; %bb.845:
	s_cmp_eq_u32 s43, 15
	s_cbranch_scc0 .LBB120_850
; %bb.846:
	global_load_ushort v2, v[0:1], off
	s_mov_b64 s[30:31], 0
	s_mov_b64 s[36:37], -1
	s_waitcnt vmcnt(0)
	v_lshlrev_b32_e32 v3, 16, v2
	s_branch .LBB120_851
.LBB120_847:
	s_mov_b64 s[38:39], -1
                                        ; implicit-def: $vgpr3
	s_branch .LBB120_852
.LBB120_848:
	s_or_saveexec_b64 s[36:37], s[36:37]
	v_mov_b32_e32 v3, 0x7f800001
	s_xor_b64 exec, exec, s[36:37]
	s_cbranch_execz .LBB120_829
.LBB120_849:
	v_cmp_ne_u16_e32 vcc, 0, v2
	s_andn2_b64 s[34:35], s[34:35], exec
	s_and_b64 s[38:39], vcc, exec
	v_mov_b32_e32 v3, 0
	s_or_b64 s[34:35], s[34:35], s[38:39]
	s_or_b64 exec, exec, s[36:37]
	s_and_saveexec_b64 s[36:37], s[34:35]
	s_cbranch_execnz .LBB120_830
	s_branch .LBB120_831
.LBB120_850:
	s_mov_b64 s[30:31], -1
                                        ; implicit-def: $vgpr3
.LBB120_851:
	s_mov_b64 s[38:39], 0
.LBB120_852:
	s_and_b64 vcc, exec, s[38:39]
	s_cbranch_vccz .LBB120_854
; %bb.853:
	s_cmp_lg_u32 s43, 11
	s_cselect_b64 s[38:39], -1, 0
	s_andn2_b64 s[30:31], s[30:31], exec
	s_and_b64 s[38:39], s[38:39], exec
	s_mov_b64 s[34:35], -1
	s_or_b64 s[30:31], s[30:31], s[38:39]
.LBB120_854:
	s_mov_b64 s[38:39], 0
.LBB120_855:
	s_and_b64 s[40:41], s[38:39], exec
	s_andn2_b64 s[38:39], s[0:1], exec
	s_and_b64 s[30:31], s[30:31], exec
	s_and_b64 s[36:37], s[36:37], exec
	s_and_b64 s[34:35], s[34:35], exec
	s_or_b64 s[38:39], s[38:39], s[30:31]
.LBB120_856:
	s_or_b64 exec, exec, s[26:27]
	s_and_b64 s[30:31], s[34:35], exec
	s_andn2_b64 s[0:1], s[0:1], exec
	s_and_b64 s[34:35], s[38:39], exec
	s_and_b64 s[36:37], s[36:37], exec
	;; [unrolled: 1-line block ×3, first 2 shown]
	s_or_b64 s[0:1], s[0:1], s[34:35]
.LBB120_857:
	s_or_b64 exec, exec, s[24:25]
	s_andn2_b64 s[20:21], s[20:21], exec
	s_and_b64 s[24:25], s[28:29], exec
	s_andn2_b64 s[18:19], s[18:19], exec
	s_and_b64 s[0:1], s[0:1], exec
	s_or_b64 s[20:21], s[20:21], s[24:25]
	s_and_b64 s[28:29], s[36:37], exec
	s_and_b64 s[26:27], s[26:27], exec
	;; [unrolled: 1-line block ×3, first 2 shown]
	s_or_b64 s[18:19], s[18:19], s[0:1]
.LBB120_858:
	s_or_b64 exec, exec, s[22:23]
	s_andn2_b64 s[0:1], s[12:13], exec
	s_and_b64 s[12:13], s[20:21], exec
	s_andn2_b64 s[14:15], s[14:15], exec
	s_and_b64 s[18:19], s[18:19], exec
	s_or_b64 s[12:13], s[0:1], s[12:13]
	s_and_b64 s[0:1], s[28:29], exec
	s_and_b64 s[22:23], s[26:27], exec
	;; [unrolled: 1-line block ×3, first 2 shown]
	s_or_b64 s[14:15], s[14:15], s[18:19]
	s_or_b64 exec, exec, s[16:17]
	s_mov_b64 s[16:17], 0
	s_and_saveexec_b64 s[18:19], s[14:15]
	s_cbranch_execz .LBB120_262
.LBB120_859:
	s_mov_b64 s[16:17], exec
	s_andn2_b64 s[20:21], s[20:21], exec
	s_trap 2
	s_or_b64 exec, exec, s[18:19]
	s_and_saveexec_b64 s[14:15], s[20:21]
	s_xor_b64 s[14:15], exec, s[14:15]
	s_cbranch_execnz .LBB120_263
.LBB120_860:
	s_or_b64 exec, exec, s[14:15]
	s_and_saveexec_b64 s[14:15], s[22:23]
	s_cbranch_execz .LBB120_906
.LBB120_861:
	s_sext_i32_i16 s18, s42
	s_cmp_lt_i32 s18, 5
	s_cbranch_scc1 .LBB120_866
; %bb.862:
	s_cmp_lt_i32 s18, 8
	s_cbranch_scc1 .LBB120_867
; %bb.863:
	;; [unrolled: 3-line block ×3, first 2 shown]
	s_cmp_gt_i32 s18, 9
	s_cbranch_scc0 .LBB120_869
; %bb.865:
	global_load_dwordx2 v[2:3], v[0:1], off
	s_mov_b64 s[18:19], 0
	s_waitcnt vmcnt(0)
	v_cvt_f32_f64_e32 v3, v[2:3]
	s_branch .LBB120_870
.LBB120_866:
                                        ; implicit-def: $vgpr3
	s_branch .LBB120_887
.LBB120_867:
                                        ; implicit-def: $vgpr3
	s_branch .LBB120_876
.LBB120_868:
	s_mov_b64 s[18:19], -1
                                        ; implicit-def: $vgpr3
	s_branch .LBB120_873
.LBB120_869:
	s_mov_b64 s[18:19], -1
                                        ; implicit-def: $vgpr3
.LBB120_870:
	s_andn2_b64 vcc, exec, s[18:19]
	s_cbranch_vccnz .LBB120_872
; %bb.871:
	global_load_dword v3, v[0:1], off
.LBB120_872:
	s_mov_b64 s[18:19], 0
.LBB120_873:
	s_andn2_b64 vcc, exec, s[18:19]
	s_cbranch_vccnz .LBB120_875
; %bb.874:
	global_load_dword v2, v[0:1], off
	s_waitcnt vmcnt(0)
	v_cvt_f32_f16_e32 v3, v2
.LBB120_875:
	s_cbranch_execnz .LBB120_886
.LBB120_876:
	s_sext_i32_i16 s18, s42
	s_cmp_lt_i32 s18, 6
	s_cbranch_scc1 .LBB120_879
; %bb.877:
	s_cmp_gt_i32 s18, 6
	s_cbranch_scc0 .LBB120_880
; %bb.878:
	global_load_dwordx2 v[2:3], v[0:1], off
	s_mov_b64 s[18:19], 0
	s_waitcnt vmcnt(0)
	v_cvt_f32_f64_e32 v3, v[2:3]
	s_branch .LBB120_881
.LBB120_879:
	s_mov_b64 s[18:19], -1
                                        ; implicit-def: $vgpr3
	s_branch .LBB120_884
.LBB120_880:
	s_mov_b64 s[18:19], -1
                                        ; implicit-def: $vgpr3
.LBB120_881:
	s_andn2_b64 vcc, exec, s[18:19]
	s_cbranch_vccnz .LBB120_883
; %bb.882:
	global_load_dword v3, v[0:1], off
.LBB120_883:
	s_mov_b64 s[18:19], 0
.LBB120_884:
	s_andn2_b64 vcc, exec, s[18:19]
	s_cbranch_vccnz .LBB120_886
; %bb.885:
	global_load_ushort v2, v[0:1], off
	s_waitcnt vmcnt(0)
	v_cvt_f32_f16_e32 v3, v2
.LBB120_886:
	s_cbranch_execnz .LBB120_905
.LBB120_887:
	s_sext_i32_i16 s18, s42
	s_cmp_lt_i32 s18, 2
	s_cbranch_scc1 .LBB120_891
; %bb.888:
	s_cmp_lt_i32 s18, 3
	s_cbranch_scc1 .LBB120_892
; %bb.889:
	s_cmp_gt_i32 s18, 3
	s_cbranch_scc0 .LBB120_893
; %bb.890:
	global_load_dwordx2 v[2:3], v[0:1], off
	s_mov_b64 s[18:19], 0
	s_waitcnt vmcnt(0)
	v_xor_b32_e32 v6, v2, v3
	v_ffbh_i32_e32 v4, v3
	v_ashrrev_i32_e32 v6, 31, v6
	v_add_u32_e32 v4, -1, v4
	v_add_u32_e32 v6, 32, v6
	v_min_u32_e32 v4, v4, v6
	v_lshlrev_b64 v[2:3], v4, v[2:3]
	v_min_u32_e32 v2, 1, v2
	v_or_b32_e32 v2, v3, v2
	v_cvt_f32_i32_e32 v2, v2
	v_sub_u32_e32 v3, 32, v4
	v_ldexp_f32 v3, v2, v3
	s_branch .LBB120_894
.LBB120_891:
                                        ; implicit-def: $vgpr3
	s_branch .LBB120_900
.LBB120_892:
	s_mov_b64 s[18:19], -1
                                        ; implicit-def: $vgpr3
	s_branch .LBB120_897
.LBB120_893:
	s_mov_b64 s[18:19], -1
                                        ; implicit-def: $vgpr3
.LBB120_894:
	s_andn2_b64 vcc, exec, s[18:19]
	s_cbranch_vccnz .LBB120_896
; %bb.895:
	global_load_dword v2, v[0:1], off
	s_waitcnt vmcnt(0)
	v_cvt_f32_i32_e32 v3, v2
.LBB120_896:
	s_mov_b64 s[18:19], 0
.LBB120_897:
	s_andn2_b64 vcc, exec, s[18:19]
	s_cbranch_vccnz .LBB120_899
; %bb.898:
	global_load_sshort v2, v[0:1], off
	s_waitcnt vmcnt(0)
	v_cvt_f32_i32_e32 v3, v2
.LBB120_899:
	s_cbranch_execnz .LBB120_905
.LBB120_900:
	s_sext_i32_i16 s18, s42
	s_cmp_gt_i32 s18, 0
	s_cbranch_scc0 .LBB120_902
; %bb.901:
	global_load_sbyte v2, v[0:1], off
	s_mov_b64 s[18:19], 0
	s_waitcnt vmcnt(0)
	v_cvt_f32_i32_e32 v3, v2
	s_branch .LBB120_903
.LBB120_902:
	s_mov_b64 s[18:19], -1
                                        ; implicit-def: $vgpr3
.LBB120_903:
	s_andn2_b64 vcc, exec, s[18:19]
	s_cbranch_vccnz .LBB120_905
; %bb.904:
	global_load_ubyte v0, v[0:1], off
	s_waitcnt vmcnt(0)
	v_cvt_f32_ubyte0_e32 v3, v0
.LBB120_905:
	s_or_b64 s[0:1], s[0:1], exec
.LBB120_906:
	s_or_b64 exec, exec, s[14:15]
	s_mov_b64 s[20:21], 0
	s_mov_b64 s[18:19], 0
                                        ; implicit-def: $sgpr26
                                        ; implicit-def: $vgpr0_vgpr1
                                        ; implicit-def: $vgpr2
	s_and_saveexec_b64 s[14:15], s[0:1]
	s_cbranch_execz .LBB120_924
; %bb.907:
	s_waitcnt vmcnt(0)
	v_mul_f32_e32 v0, 0x3fb8aa3b, v3
	v_rndne_f32_e32 v0, v0
	v_fmamk_f32 v1, v0, 0xbf317218, v3
	v_fmamk_f32 v1, v0, 0x3102e308, v1
	v_mov_b32_e32 v2, 0x3ab69700
	v_fmac_f32_e32 v2, 0x395133b1, v1
	v_fmaak_f32 v2, v1, v2, 0x3c0887f9
	v_fmaak_f32 v2, v1, v2, 0x3d2aaa81
	v_cvt_i32_f32_e32 v4, v0
	v_fmaak_f32 v2, v1, v2, 0x3e2aaaab
	v_fma_f32 v2, v1, v2, 0.5
	v_mul_f32_e32 v2, v1, v2
	s_mov_b32 s0, 0x43000000
	v_fmac_f32_e32 v1, v1, v2
	v_ldexp_f32 v2, 1.0, v4
	v_mov_b32_e32 v4, 0x7f000000
	v_cmp_eq_f32_e32 vcc, s0, v0
	s_mov_b32 s0, 0x42b17217
	s_and_b32 s26, s33, 0xff
	v_cndmask_b32_e32 v0, v2, v4, vcc
	v_add_f32_e32 v2, -1.0, v0
	v_fmac_f32_e32 v2, v0, v1
	v_add_f32_e32 v0, v2, v2
	v_cndmask_b32_e32 v0, v2, v0, vcc
	v_mov_b32_e32 v1, 0x7f800000
	v_cmp_nlt_f32_e32 vcc, s0, v3
	s_mov_b32 s0, 0xc1880000
	s_cmp_lt_i32 s26, 11
	v_cndmask_b32_e32 v0, v1, v0, vcc
	v_cmp_ngt_f32_e32 vcc, s0, v3
	s_nop 1
	v_cndmask_b32_e32 v2, -1.0, v0, vcc
	v_mul_lo_u32 v0, v5, s8
	v_ashrrev_i32_e32 v1, 31, v0
	v_lshl_add_u64 v[0:1], s[4:5], 0, v[0:1]
	s_cbranch_scc1 .LBB120_927
; %bb.908:
	s_and_b32 s27, 0xffff, s26
	s_mov_b64 s[20:21], -1
	s_cmp_gt_i32 s27, 25
	s_mov_b64 s[0:1], s[12:13]
	s_cbranch_scc0 .LBB120_945
; %bb.909:
	s_mov_b64 s[18:19], -1
	s_cmp_gt_i32 s27, 28
	s_mov_b64 s[0:1], s[12:13]
	s_cbranch_scc0 .LBB120_929
; %bb.910:
	s_cmp_gt_i32 s27, 43
	s_mov_b64 s[0:1], s[12:13]
	s_cbranch_scc0 .LBB120_921
; %bb.911:
	;; [unrolled: 4-line block ×3, first 2 shown]
	s_cmp_eq_u32 s27, 46
	s_mov_b64 s[0:1], -1
	s_cbranch_scc0 .LBB120_914
; %bb.913:
	v_bfe_u32 v3, v2, 16, 1
	s_movk_i32 s0, 0x7fff
	v_add3_u32 v3, v2, v3, s0
	v_cmp_o_f32_e32 vcc, v2, v2
	v_mov_b32_e32 v4, 0x7fc0
	s_mov_b64 s[0:1], 0
	v_cndmask_b32_sdwa v3, v4, v3, vcc dst_sel:DWORD dst_unused:UNUSED_PAD src0_sel:DWORD src1_sel:WORD_1
	global_store_dword v[0:1], v3, off
.LBB120_914:
	s_mov_b64 s[18:19], 0
.LBB120_915:
	s_and_b64 vcc, exec, s[18:19]
	s_cbranch_vccz .LBB120_920
; %bb.916:
	s_cmp_eq_u32 s27, 44
	s_mov_b64 s[0:1], -1
	s_cbranch_scc0 .LBB120_920
; %bb.917:
	v_bfe_u32 v3, v2, 23, 8
	s_movk_i32 s0, 0xff
	v_cmp_ne_u32_e32 vcc, s0, v3
	v_mov_b32_e32 v4, 0xff
	s_and_saveexec_b64 s[18:19], vcc
; %bb.918:
	s_mov_b32 s0, 0x3fffff
	v_and_b32_e32 v5, 0x400000, v2
	v_and_or_b32 v3, v2, s0, v3
	v_cmp_ne_u32_e32 vcc, 0, v5
	v_cmp_ne_u32_e64 s[0:1], 0, v3
	s_and_b64 s[0:1], vcc, s[0:1]
	v_lshrrev_b32_e32 v4, 23, v2
	v_cndmask_b32_e64 v3, 0, 1, s[0:1]
	v_add_u32_e32 v4, v4, v3
; %bb.919:
	s_or_b64 exec, exec, s[18:19]
	s_mov_b64 s[0:1], 0
	global_store_byte v[0:1], v4, off
.LBB120_920:
	s_mov_b64 s[18:19], 0
.LBB120_921:
	s_and_b64 vcc, exec, s[18:19]
	s_cbranch_vccz .LBB120_928
; %bb.922:
	s_cmp_eq_u32 s27, 29
	s_mov_b64 s[0:1], -1
	s_cbranch_scc0 .LBB120_928
; %bb.923:
	v_trunc_f32_e32 v3, v2
	v_mul_f32_e32 v4, 0x2f800000, v3
	v_floor_f32_e32 v4, v4
	v_fmamk_f32 v3, v4, 0xcf800000, v3
	v_cvt_u32_f32_e32 v5, v4
	v_cvt_u32_f32_e32 v4, v3
	s_mov_b64 s[0:1], 0
	s_mov_b64 s[18:19], 0
	global_store_dwordx2 v[0:1], v[4:5], off
	s_branch .LBB120_929
.LBB120_924:
	s_or_b64 exec, exec, s[14:15]
	s_and_saveexec_b64 s[0:1], s[12:13]
	s_cbranch_execnz .LBB120_987
.LBB120_925:
	s_or_b64 exec, exec, s[0:1]
	s_and_saveexec_b64 s[0:1], s[20:21]
	s_xor_b64 s[0:1], exec, s[0:1]
	s_cbranch_execz .LBB120_988
.LBB120_926:
	s_waitcnt vmcnt(0)
	v_cmp_neq_f32_e32 vcc, 0, v2
	s_nop 1
	v_cndmask_b32_e64 v3, 0, 1, vcc
	global_store_byte v[0:1], v3, off
	s_or_b64 exec, exec, s[0:1]
	s_and_saveexec_b64 s[0:1], s[18:19]
	s_xor_b64 s[0:1], exec, s[0:1]
	s_cbranch_execz .LBB120_1026
	s_branch .LBB120_989
.LBB120_927:
	s_mov_b64 s[18:19], -1
	s_mov_b64 s[0:1], s[12:13]
	s_branch .LBB120_986
.LBB120_928:
	s_mov_b64 s[18:19], 0
.LBB120_929:
	s_and_b64 vcc, exec, s[18:19]
	s_cbranch_vccz .LBB120_944
; %bb.930:
	s_cmp_lt_i32 s27, 27
	s_mov_b64 s[18:19], -1
	s_cbranch_scc1 .LBB120_936
; %bb.931:
	v_cvt_u32_f32_e32 v3, v2
	s_cmp_gt_i32 s27, 27
	s_cbranch_scc0 .LBB120_933
; %bb.932:
	s_mov_b64 s[18:19], 0
	global_store_dword v[0:1], v3, off
.LBB120_933:
	s_andn2_b64 vcc, exec, s[18:19]
	s_cbranch_vccnz .LBB120_935
; %bb.934:
	global_store_short v[0:1], v3, off
.LBB120_935:
	s_mov_b64 s[18:19], 0
.LBB120_936:
	s_andn2_b64 vcc, exec, s[18:19]
	s_cbranch_vccnz .LBB120_944
; %bb.937:
	v_and_b32_e32 v3, 0x7fffffff, v2
	s_mov_b32 s18, 0x43800000
	v_cmp_gt_u32_e32 vcc, s18, v3
	v_mov_b32_e32 v4, 0x80
	s_and_saveexec_b64 s[18:19], vcc
	s_cbranch_execz .LBB120_943
; %bb.938:
	s_mov_b32 s20, 0x3bffffff
	v_cmp_lt_u32_e32 vcc, s20, v3
	s_mov_b64 s[20:21], 0
                                        ; implicit-def: $vgpr3
	s_and_saveexec_b64 s[22:23], vcc
	s_xor_b64 s[22:23], exec, s[22:23]
	s_cbranch_execz .LBB120_1041
; %bb.939:
	v_bfe_u32 v3, v2, 20, 1
	s_mov_b32 s24, 0x487ffff
	v_add3_u32 v3, v2, v3, s24
	s_mov_b64 s[20:21], exec
	v_lshrrev_b32_e32 v3, 20, v3
	s_andn2_saveexec_b64 s[22:23], s[22:23]
	s_cbranch_execnz .LBB120_1042
.LBB120_940:
	s_or_b64 exec, exec, s[22:23]
	v_mov_b32_e32 v4, 0
	s_and_saveexec_b64 s[22:23], s[20:21]
.LBB120_941:
	v_lshrrev_b32_e32 v4, 24, v2
	s_movk_i32 s20, 0x80
	v_and_or_b32 v4, v4, s20, v3
.LBB120_942:
	s_or_b64 exec, exec, s[22:23]
.LBB120_943:
	s_or_b64 exec, exec, s[18:19]
	global_store_byte v[0:1], v4, off
.LBB120_944:
	s_mov_b64 s[20:21], 0
.LBB120_945:
	s_mov_b64 s[18:19], 0
	s_and_b64 vcc, exec, s[20:21]
	s_cbranch_vccz .LBB120_985
; %bb.946:
	s_cmp_gt_i32 s27, 22
	s_mov_b64 s[20:21], -1
	s_cbranch_scc0 .LBB120_978
; %bb.947:
	s_cmp_lt_i32 s27, 24
	s_cbranch_scc1 .LBB120_967
; %bb.948:
	s_cmp_gt_i32 s27, 24
	s_cbranch_scc0 .LBB120_956
; %bb.949:
	v_and_b32_e32 v3, 0x7fffffff, v2
	s_mov_b32 s20, 0x47800000
	v_cmp_gt_u32_e32 vcc, s20, v3
	v_mov_b32_e32 v4, 0x80
	s_and_saveexec_b64 s[20:21], vcc
	s_cbranch_execz .LBB120_955
; %bb.950:
	s_mov_b32 s22, 0x37ffffff
	v_cmp_lt_u32_e32 vcc, s22, v3
	s_mov_b64 s[22:23], 0
                                        ; implicit-def: $vgpr3
	s_and_saveexec_b64 s[24:25], vcc
	s_xor_b64 s[24:25], exec, s[24:25]
	s_cbranch_execz .LBB120_1166
; %bb.951:
	v_bfe_u32 v3, v2, 21, 1
	s_mov_b32 s28, 0x88fffff
	v_add3_u32 v3, v2, v3, s28
	s_mov_b64 s[22:23], exec
	v_lshrrev_b32_e32 v3, 21, v3
	s_andn2_saveexec_b64 s[24:25], s[24:25]
	s_cbranch_execnz .LBB120_1167
.LBB120_952:
	s_or_b64 exec, exec, s[24:25]
	v_mov_b32_e32 v4, 0
	s_and_saveexec_b64 s[24:25], s[22:23]
.LBB120_953:
	v_lshrrev_b32_e32 v4, 24, v2
	s_movk_i32 s22, 0x80
	v_and_or_b32 v4, v4, s22, v3
.LBB120_954:
	s_or_b64 exec, exec, s[24:25]
.LBB120_955:
	s_or_b64 exec, exec, s[20:21]
	s_mov_b64 s[20:21], 0
	global_store_byte v[0:1], v4, off
.LBB120_956:
	s_and_b64 vcc, exec, s[20:21]
	s_cbranch_vccz .LBB120_966
; %bb.957:
	v_and_b32_e32 v4, 0x7fffffff, v2
	s_mov_b32 s20, 0x43f00000
	v_cmp_gt_u32_e32 vcc, s20, v4
                                        ; implicit-def: $vgpr3
	s_and_saveexec_b64 s[20:21], vcc
	s_xor_b64 s[20:21], exec, s[20:21]
	s_cbranch_execz .LBB120_963
; %bb.958:
	s_mov_b32 s22, 0x3c7fffff
	v_cmp_lt_u32_e32 vcc, s22, v4
                                        ; implicit-def: $vgpr3
	s_and_saveexec_b64 s[22:23], vcc
	s_xor_b64 s[22:23], exec, s[22:23]
; %bb.959:
	v_bfe_u32 v3, v2, 20, 1
	s_mov_b32 s24, 0x407ffff
	v_add3_u32 v3, v2, v3, s24
	v_lshrrev_b32_e32 v4, 20, v3
	v_and_b32_e32 v3, 0xff00000, v3
	s_mov_b32 s24, 0x7f00000
	v_mov_b32_e32 v5, 0x7e
	v_cmp_ne_u32_e32 vcc, s24, v3
	s_nop 1
	v_cndmask_b32_e32 v3, v5, v4, vcc
; %bb.960:
	s_andn2_saveexec_b64 s[22:23], s[22:23]
; %bb.961:
	s_mov_b32 s24, 0x46800000
	v_add_f32_e64 v3, |v2|, s24
; %bb.962:
	s_or_b64 exec, exec, s[22:23]
                                        ; implicit-def: $vgpr4
.LBB120_963:
	s_andn2_saveexec_b64 s[20:21], s[20:21]
; %bb.964:
	s_mov_b32 s22, 0x7f800000
	v_mov_b32_e32 v3, 0x7e
	v_mov_b32_e32 v5, 0x7f
	v_cmp_lt_u32_e32 vcc, s22, v4
	s_nop 1
	v_cndmask_b32_e32 v3, v3, v5, vcc
; %bb.965:
	s_or_b64 exec, exec, s[20:21]
	v_lshrrev_b32_e32 v4, 24, v2
	s_movk_i32 s20, 0x80
	v_and_or_b32 v3, v4, s20, v3
	global_store_byte v[0:1], v3, off
.LBB120_966:
	s_mov_b64 s[20:21], 0
.LBB120_967:
	s_andn2_b64 vcc, exec, s[20:21]
	s_cbranch_vccnz .LBB120_977
; %bb.968:
	v_and_b32_e32 v4, 0x7fffffff, v2
	s_mov_b32 s20, 0x47800000
	v_cmp_gt_u32_e32 vcc, s20, v4
                                        ; implicit-def: $vgpr3
	s_and_saveexec_b64 s[20:21], vcc
	s_xor_b64 s[20:21], exec, s[20:21]
	s_cbranch_execz .LBB120_974
; %bb.969:
	s_mov_b32 s22, 0x387fffff
	v_cmp_lt_u32_e32 vcc, s22, v4
                                        ; implicit-def: $vgpr3
	s_and_saveexec_b64 s[22:23], vcc
	s_xor_b64 s[22:23], exec, s[22:23]
; %bb.970:
	v_bfe_u32 v3, v2, 21, 1
	s_mov_b32 s24, 0x80fffff
	v_add3_u32 v3, v2, v3, s24
	v_lshrrev_b32_e32 v3, 21, v3
; %bb.971:
	s_andn2_saveexec_b64 s[22:23], s[22:23]
; %bb.972:
	s_mov_b32 s24, 0x43000000
	v_add_f32_e64 v3, |v2|, s24
; %bb.973:
	s_or_b64 exec, exec, s[22:23]
                                        ; implicit-def: $vgpr4
.LBB120_974:
	s_andn2_saveexec_b64 s[20:21], s[20:21]
; %bb.975:
	s_mov_b32 s22, 0x7f800000
	v_mov_b32_e32 v3, 0x7c
	v_mov_b32_e32 v5, 0x7f
	v_cmp_lt_u32_e32 vcc, s22, v4
	s_nop 1
	v_cndmask_b32_e32 v3, v3, v5, vcc
; %bb.976:
	s_or_b64 exec, exec, s[20:21]
	v_lshrrev_b32_e32 v4, 24, v2
	s_movk_i32 s20, 0x80
	v_and_or_b32 v3, v4, s20, v3
	global_store_byte v[0:1], v3, off
.LBB120_977:
	s_mov_b64 s[20:21], 0
.LBB120_978:
	s_andn2_b64 vcc, exec, s[20:21]
	s_mov_b64 s[20:21], 0
	s_cbranch_vccnz .LBB120_986
; %bb.979:
	s_cmp_gt_i32 s27, 14
	s_mov_b64 s[22:23], -1
	s_cbranch_scc0 .LBB120_983
; %bb.980:
	s_cmp_eq_u32 s27, 15
	s_mov_b64 s[0:1], -1
	s_cbranch_scc0 .LBB120_982
; %bb.981:
	v_bfe_u32 v3, v2, 16, 1
	s_movk_i32 s0, 0x7fff
	v_add3_u32 v3, v2, v3, s0
	v_cmp_o_f32_e32 vcc, v2, v2
	v_mov_b32_e32 v4, 0x7fc0
	s_mov_b64 s[0:1], 0
	v_cndmask_b32_sdwa v3, v4, v3, vcc dst_sel:DWORD dst_unused:UNUSED_PAD src0_sel:DWORD src1_sel:WORD_1
	global_store_short v[0:1], v3, off
.LBB120_982:
	s_mov_b64 s[22:23], 0
.LBB120_983:
	s_and_b64 vcc, exec, s[22:23]
	s_cbranch_vccz .LBB120_986
; %bb.984:
	s_cmp_lg_u32 s27, 11
	s_cselect_b64 s[22:23], -1, 0
	s_andn2_b64 s[0:1], s[0:1], exec
	s_and_b64 s[22:23], s[22:23], exec
	s_mov_b64 s[20:21], -1
	s_or_b64 s[0:1], s[0:1], s[22:23]
	s_branch .LBB120_986
.LBB120_985:
	s_mov_b64 s[20:21], 0
.LBB120_986:
	s_andn2_b64 s[12:13], s[12:13], exec
	s_and_b64 s[0:1], s[0:1], exec
	s_and_b64 s[18:19], s[18:19], exec
	;; [unrolled: 1-line block ×3, first 2 shown]
	s_or_b64 s[12:13], s[12:13], s[0:1]
	s_or_b64 exec, exec, s[14:15]
	s_and_saveexec_b64 s[0:1], s[12:13]
	s_cbranch_execz .LBB120_925
.LBB120_987:
	s_or_b64 s[16:17], s[16:17], exec
	s_andn2_b64 s[20:21], s[20:21], exec
	s_trap 2
	s_or_b64 exec, exec, s[0:1]
	s_and_saveexec_b64 s[0:1], s[20:21]
	s_xor_b64 s[0:1], exec, s[0:1]
	s_cbranch_execnz .LBB120_926
.LBB120_988:
	s_or_b64 exec, exec, s[0:1]
	s_and_saveexec_b64 s[0:1], s[18:19]
	s_xor_b64 s[0:1], exec, s[0:1]
	s_cbranch_execz .LBB120_1026
.LBB120_989:
	s_sext_i32_i16 s14, s26
	s_cmp_lt_i32 s14, 5
	s_mov_b64 s[12:13], -1
	s_cbranch_scc1 .LBB120_1010
; %bb.990:
	s_cmp_lt_i32 s14, 8
	s_cbranch_scc1 .LBB120_1000
; %bb.991:
	s_cmp_lt_i32 s14, 9
	s_cbranch_scc1 .LBB120_997
; %bb.992:
	s_cmp_gt_i32 s14, 9
	s_cbranch_scc0 .LBB120_994
; %bb.993:
	v_mov_b32_e32 v6, 0
	s_waitcnt vmcnt(0)
	v_cvt_f64_f32_e32 v[4:5], v2
	v_mov_b32_e32 v7, v6
	s_mov_b64 s[12:13], 0
	global_store_dwordx4 v[0:1], v[4:7], off
.LBB120_994:
	s_andn2_b64 vcc, exec, s[12:13]
	s_cbranch_vccnz .LBB120_996
; %bb.995:
	s_waitcnt vmcnt(0)
	v_mov_b32_e32 v3, 0
	global_store_dwordx2 v[0:1], v[2:3], off
.LBB120_996:
	s_mov_b64 s[12:13], 0
.LBB120_997:
	s_andn2_b64 vcc, exec, s[12:13]
	s_cbranch_vccnz .LBB120_999
; %bb.998:
	s_waitcnt vmcnt(0)
	v_cvt_f16_f32_e32 v3, v2
	global_store_dword v[0:1], v3, off
.LBB120_999:
	s_mov_b64 s[12:13], 0
.LBB120_1000:
	s_andn2_b64 vcc, exec, s[12:13]
	s_cbranch_vccnz .LBB120_1009
; %bb.1001:
	s_sext_i32_i16 s14, s26
	s_cmp_lt_i32 s14, 6
	s_mov_b64 s[12:13], -1
	s_cbranch_scc1 .LBB120_1007
; %bb.1002:
	s_cmp_gt_i32 s14, 6
	s_cbranch_scc0 .LBB120_1004
; %bb.1003:
	s_waitcnt vmcnt(0)
	v_cvt_f64_f32_e32 v[4:5], v2
	s_mov_b64 s[12:13], 0
	global_store_dwordx2 v[0:1], v[4:5], off
.LBB120_1004:
	s_andn2_b64 vcc, exec, s[12:13]
	s_cbranch_vccnz .LBB120_1006
; %bb.1005:
	s_waitcnt vmcnt(0)
	global_store_dword v[0:1], v2, off
.LBB120_1006:
	s_mov_b64 s[12:13], 0
.LBB120_1007:
	s_andn2_b64 vcc, exec, s[12:13]
	s_cbranch_vccnz .LBB120_1009
; %bb.1008:
	s_waitcnt vmcnt(0)
	v_cvt_f16_f32_e32 v3, v2
	global_store_short v[0:1], v3, off
.LBB120_1009:
	s_mov_b64 s[12:13], 0
.LBB120_1010:
	s_andn2_b64 vcc, exec, s[12:13]
	s_cbranch_vccnz .LBB120_1026
; %bb.1011:
	s_sext_i32_i16 s14, s26
	s_cmp_lt_i32 s14, 2
	s_mov_b64 s[12:13], -1
	s_cbranch_scc1 .LBB120_1021
; %bb.1012:
	s_cmp_lt_i32 s14, 3
	s_cbranch_scc1 .LBB120_1018
; %bb.1013:
	s_cmp_gt_i32 s14, 3
	s_cbranch_scc0 .LBB120_1015
; %bb.1014:
	s_waitcnt vmcnt(0)
	v_trunc_f32_e32 v3, v2
	s_mov_b32 s12, 0x2f800000
	v_mul_f32_e64 v4, |v3|, s12
	v_floor_f32_e32 v4, v4
	s_mov_b32 s12, 0xcf800000
	v_cvt_u32_f32_e32 v5, v4
	v_fma_f32 v4, v4, s12, |v3|
	v_cvt_u32_f32_e32 v4, v4
	v_ashrrev_i32_e32 v3, 31, v3
	v_xor_b32_e32 v5, v5, v3
	s_mov_b64 s[12:13], 0
	v_xor_b32_e32 v4, v4, v3
	v_sub_co_u32_e32 v4, vcc, v4, v3
	s_nop 1
	v_subb_co_u32_e32 v5, vcc, v5, v3, vcc
	global_store_dwordx2 v[0:1], v[4:5], off
.LBB120_1015:
	s_andn2_b64 vcc, exec, s[12:13]
	s_cbranch_vccnz .LBB120_1017
; %bb.1016:
	s_waitcnt vmcnt(0)
	v_cvt_i32_f32_e32 v3, v2
	global_store_dword v[0:1], v3, off
.LBB120_1017:
	s_mov_b64 s[12:13], 0
.LBB120_1018:
	s_andn2_b64 vcc, exec, s[12:13]
	s_cbranch_vccnz .LBB120_1020
; %bb.1019:
	s_waitcnt vmcnt(0)
	v_cvt_i32_f32_e32 v3, v2
	global_store_short v[0:1], v3, off
.LBB120_1020:
	s_mov_b64 s[12:13], 0
.LBB120_1021:
	s_andn2_b64 vcc, exec, s[12:13]
	s_cbranch_vccnz .LBB120_1026
; %bb.1022:
	s_sext_i32_i16 s12, s26
	s_cmp_gt_i32 s12, 0
	s_mov_b64 s[12:13], -1
	s_cbranch_scc0 .LBB120_1024
; %bb.1023:
	s_waitcnt vmcnt(0)
	v_cvt_i32_f32_e32 v3, v2
	s_mov_b64 s[12:13], 0
	global_store_byte v[0:1], v3, off
.LBB120_1024:
	s_andn2_b64 vcc, exec, s[12:13]
	s_cbranch_vccnz .LBB120_1026
; %bb.1025:
	s_waitcnt vmcnt(0)
	v_trunc_f32_e32 v2, v2
	s_mov_b32 s12, 0x2f800000
	v_mul_f32_e64 v3, |v2|, s12
	v_floor_f32_e32 v3, v3
	s_mov_b32 s12, 0xcf800000
	v_fma_f32 v3, v3, s12, |v2|
	v_cvt_u32_f32_e32 v3, v3
	v_ashrrev_i32_e32 v2, 31, v2
	v_xor_b32_e32 v3, v3, v2
	v_sub_u32_e32 v2, v3, v2
	global_store_byte v[0:1], v2, off
.LBB120_1026:
	s_or_b64 exec, exec, s[0:1]
	s_and_b64 s[12:13], s[16:17], exec
                                        ; implicit-def: $vgpr5
.LBB120_1027:
	s_or_saveexec_b64 s[2:3], s[2:3]
	s_mov_b64 s[0:1], 0
                                        ; implicit-def: $sgpr20
                                        ; implicit-def: $vgpr0_vgpr1
                                        ; implicit-def: $vgpr2
	s_xor_b64 exec, exec, s[2:3]
	s_cbranch_execz .LBB120_1975
; %bb.1028:
	v_mul_lo_u32 v0, s9, v5
	v_ashrrev_i32_e32 v1, 31, v0
	s_and_b32 s22, 0xffff, s42
	s_cmp_lt_i32 s22, 11
	s_waitcnt vmcnt(0)
	v_lshl_add_u64 v[2:3], s[6:7], 0, v[0:1]
	s_cbranch_scc1 .LBB120_1035
; %bb.1029:
	s_cmp_gt_i32 s22, 25
	s_cbranch_scc0 .LBB120_1037
; %bb.1030:
	s_cmp_gt_i32 s22, 28
	s_cbranch_scc0 .LBB120_1038
	;; [unrolled: 3-line block ×4, first 2 shown]
; %bb.1033:
	s_cmp_eq_u32 s22, 46
	s_mov_b64 s[14:15], 0
	s_cbranch_scc0 .LBB120_1043
; %bb.1034:
	global_load_dword v1, v[2:3], off
	s_mov_b64 s[16:17], -1
	s_waitcnt vmcnt(0)
	v_lshlrev_b32_e32 v4, 16, v1
	s_branch .LBB120_1044
.LBB120_1035:
	s_mov_b64 s[16:17], 0
                                        ; implicit-def: $vgpr4
	s_mov_b64 s[14:15], s[12:13]
	s_cbranch_execnz .LBB120_1107
.LBB120_1036:
	s_andn2_b64 vcc, exec, s[16:17]
	s_cbranch_vccz .LBB120_1152
	s_branch .LBB120_1973
.LBB120_1037:
	s_mov_b64 s[16:17], 0
                                        ; implicit-def: $vgpr4
	s_cbranch_execnz .LBB120_1072
	s_branch .LBB120_1103
.LBB120_1038:
	s_mov_b64 s[14:15], -1
	s_mov_b64 s[16:17], 0
                                        ; implicit-def: $vgpr4
	s_branch .LBB120_1053
.LBB120_1039:
	s_mov_b64 s[16:17], 0
                                        ; implicit-def: $vgpr4
	s_cbranch_execnz .LBB120_1049
	s_branch .LBB120_1052
.LBB120_1040:
	s_mov_b64 s[14:15], -1
	s_mov_b64 s[16:17], 0
                                        ; implicit-def: $vgpr4
	s_branch .LBB120_1044
.LBB120_1041:
	s_andn2_saveexec_b64 s[22:23], s[22:23]
	s_cbranch_execz .LBB120_940
.LBB120_1042:
	s_mov_b32 s24, 0x46000000
	v_add_f32_e64 v3, |v2|, s24
	v_and_b32_e32 v3, 0xff, v3
	v_cmp_ne_u32_e32 vcc, 0, v3
	s_andn2_b64 s[20:21], s[20:21], exec
	s_and_b64 s[24:25], vcc, exec
	s_or_b64 s[20:21], s[20:21], s[24:25]
	s_or_b64 exec, exec, s[22:23]
	v_mov_b32_e32 v4, 0
	s_and_saveexec_b64 s[22:23], s[20:21]
	s_cbranch_execnz .LBB120_941
	s_branch .LBB120_942
.LBB120_1043:
	s_mov_b64 s[0:1], -1
                                        ; implicit-def: $vgpr4
	s_mov_b64 s[16:17], 0
.LBB120_1044:
	s_and_b64 vcc, exec, s[14:15]
	s_cbranch_vccz .LBB120_1047
; %bb.1045:
	s_cmp_eq_u32 s22, 44
	s_cbranch_scc0 .LBB120_1048
; %bb.1046:
	global_load_ubyte v1, v[2:3], off
	s_movk_i32 s14, 0xff
	v_mov_b32_e32 v4, 0x7f800001
	v_mov_b32_e32 v6, 0x400000
	s_mov_b64 s[0:1], 0
	s_mov_b64 s[16:17], -1
	s_waitcnt vmcnt(0)
	v_lshlrev_b32_e32 v7, 23, v1
	v_cmp_ne_u32_e32 vcc, s14, v1
	s_nop 1
	v_cndmask_b32_e32 v4, v4, v7, vcc
	v_cmp_ne_u32_e32 vcc, 0, v1
	s_nop 1
	v_cndmask_b32_e32 v4, v6, v4, vcc
.LBB120_1047:
	s_branch .LBB120_1052
.LBB120_1048:
	s_mov_b64 s[0:1], -1
                                        ; implicit-def: $vgpr4
	s_branch .LBB120_1052
.LBB120_1049:
	s_cmp_eq_u32 s22, 29
	s_cbranch_scc0 .LBB120_1051
; %bb.1050:
	global_load_dwordx2 v[6:7], v[2:3], off
	s_mov_b64 s[0:1], 0
	s_mov_b64 s[16:17], -1
	s_mov_b64 s[14:15], 0
	s_waitcnt vmcnt(0)
	v_ffbh_u32_e32 v1, v7
	v_min_u32_e32 v1, 32, v1
	v_lshlrev_b64 v[6:7], v1, v[6:7]
	v_min_u32_e32 v4, 1, v6
	v_or_b32_e32 v4, v7, v4
	v_cvt_f32_u32_e32 v4, v4
	v_sub_u32_e32 v1, 32, v1
	v_ldexp_f32 v4, v4, v1
	s_branch .LBB120_1053
.LBB120_1051:
	s_mov_b64 s[0:1], -1
                                        ; implicit-def: $vgpr4
.LBB120_1052:
	s_mov_b64 s[14:15], 0
.LBB120_1053:
	s_and_b64 vcc, exec, s[14:15]
	s_cbranch_vccz .LBB120_1071
; %bb.1054:
	s_cmp_lt_i32 s22, 27
	s_cbranch_scc1 .LBB120_1057
; %bb.1055:
	s_cmp_gt_i32 s22, 27
	s_cbranch_scc0 .LBB120_1058
; %bb.1056:
	global_load_dword v1, v[2:3], off
	s_mov_b64 s[14:15], 0
	s_waitcnt vmcnt(0)
	v_cvt_f32_u32_e32 v4, v1
	s_branch .LBB120_1059
.LBB120_1057:
	s_mov_b64 s[14:15], -1
                                        ; implicit-def: $vgpr4
	s_branch .LBB120_1062
.LBB120_1058:
	s_mov_b64 s[14:15], -1
                                        ; implicit-def: $vgpr4
.LBB120_1059:
	s_andn2_b64 vcc, exec, s[14:15]
	s_cbranch_vccnz .LBB120_1061
; %bb.1060:
	global_load_ushort v1, v[2:3], off
	s_waitcnt vmcnt(0)
	v_cvt_f32_u32_e32 v4, v1
.LBB120_1061:
	s_mov_b64 s[14:15], 0
.LBB120_1062:
	s_andn2_b64 vcc, exec, s[14:15]
	s_cbranch_vccnz .LBB120_1070
; %bb.1063:
	global_load_ubyte v1, v[2:3], off
	s_movk_i32 s14, 0x7f
	s_waitcnt vmcnt(0)
	v_cmp_lt_i16_e32 vcc, s14, v1
	s_mov_b64 s[14:15], 0
	s_and_saveexec_b64 s[16:17], vcc
	s_xor_b64 s[16:17], exec, s[16:17]
	s_cbranch_execz .LBB120_1083
; %bb.1064:
	s_movk_i32 s14, 0x80
	v_cmp_eq_u16_e32 vcc, s14, v1
	s_mov_b64 s[14:15], -1
	s_and_saveexec_b64 s[18:19], vcc
; %bb.1065:
	s_xor_b64 s[14:15], exec, -1
; %bb.1066:
	s_or_b64 exec, exec, s[18:19]
	s_and_b64 s[14:15], s[14:15], exec
	s_or_saveexec_b64 s[16:17], s[16:17]
	v_mov_b32_e32 v4, 0x7f800001
	s_xor_b64 exec, exec, s[16:17]
	s_cbranch_execnz .LBB120_1084
.LBB120_1067:
	s_or_b64 exec, exec, s[16:17]
	s_and_saveexec_b64 s[16:17], s[14:15]
	s_cbranch_execz .LBB120_1069
.LBB120_1068:
	v_lshlrev_b32_e32 v4, 24, v1
	v_and_b32_e32 v1, 0xffff, v1
	v_and_b32_e32 v6, 7, v1
	v_ffbh_u32_e32 v8, v6
	v_min_u32_e32 v8, 32, v8
	v_subrev_u32_e32 v9, 28, v8
	v_bfe_u32 v7, v1, 3, 4
	v_lshlrev_b32_e32 v1, v9, v1
	v_sub_u32_e32 v8, 29, v8
	v_and_b32_e32 v1, 7, v1
	v_cmp_eq_u32_e32 vcc, 0, v7
	v_and_b32_e32 v4, 0x80000000, v4
	s_nop 0
	v_cndmask_b32_e32 v7, v7, v8, vcc
	v_cndmask_b32_e32 v1, v6, v1, vcc
	v_mov_b32_e32 v6, 0x3b800000
	v_lshlrev_b32_e32 v1, 20, v1
	v_lshl_add_u32 v6, v7, 23, v6
	v_or3_b32 v4, v4, v6, v1
.LBB120_1069:
	s_or_b64 exec, exec, s[16:17]
.LBB120_1070:
	s_mov_b64 s[16:17], -1
.LBB120_1071:
	s_branch .LBB120_1103
.LBB120_1072:
	s_cmp_gt_i32 s22, 22
	s_cbranch_scc0 .LBB120_1082
; %bb.1073:
	s_cmp_lt_i32 s22, 24
	s_cbranch_scc1 .LBB120_1085
; %bb.1074:
	s_cmp_gt_i32 s22, 24
	s_cbranch_scc0 .LBB120_1086
; %bb.1075:
	global_load_ubyte v1, v[2:3], off
	s_movk_i32 s10, 0x7f
	s_waitcnt vmcnt(0)
	v_cmp_lt_i16_e32 vcc, s10, v1
	s_mov_b64 s[10:11], 0
	s_and_saveexec_b64 s[14:15], vcc
	s_xor_b64 s[14:15], exec, s[14:15]
	s_cbranch_execz .LBB120_1097
; %bb.1076:
	s_movk_i32 s10, 0x80
	v_cmp_eq_u16_e32 vcc, s10, v1
	s_mov_b64 s[10:11], -1
	s_and_saveexec_b64 s[16:17], vcc
; %bb.1077:
	s_xor_b64 s[10:11], exec, -1
; %bb.1078:
	s_or_b64 exec, exec, s[16:17]
	s_and_b64 s[10:11], s[10:11], exec
	s_or_saveexec_b64 s[14:15], s[14:15]
	v_mov_b32_e32 v4, 0x7f800001
	s_xor_b64 exec, exec, s[14:15]
	s_cbranch_execnz .LBB120_1098
.LBB120_1079:
	s_or_b64 exec, exec, s[14:15]
	s_and_saveexec_b64 s[14:15], s[10:11]
	s_cbranch_execz .LBB120_1081
.LBB120_1080:
	v_lshlrev_b32_e32 v4, 24, v1
	v_and_b32_e32 v1, 0xffff, v1
	v_and_b32_e32 v6, 3, v1
	v_ffbh_u32_e32 v8, v6
	v_min_u32_e32 v8, 32, v8
	v_subrev_u32_e32 v9, 29, v8
	v_bfe_u32 v7, v1, 2, 5
	v_lshlrev_b32_e32 v1, v9, v1
	v_sub_u32_e32 v8, 30, v8
	v_and_b32_e32 v1, 3, v1
	v_cmp_eq_u32_e32 vcc, 0, v7
	v_and_b32_e32 v4, 0x80000000, v4
	s_nop 0
	v_cndmask_b32_e32 v7, v7, v8, vcc
	v_cndmask_b32_e32 v1, v6, v1, vcc
	v_mov_b32_e32 v6, 0x37800000
	v_lshlrev_b32_e32 v1, 21, v1
	v_lshl_add_u32 v6, v7, 23, v6
	v_or3_b32 v4, v4, v6, v1
.LBB120_1081:
	s_or_b64 exec, exec, s[14:15]
	s_mov_b64 s[10:11], 0
	s_branch .LBB120_1087
.LBB120_1082:
                                        ; implicit-def: $vgpr4
	s_mov_b64 s[10:11], 0
	s_branch .LBB120_1093
.LBB120_1083:
	s_or_saveexec_b64 s[16:17], s[16:17]
	v_mov_b32_e32 v4, 0x7f800001
	s_xor_b64 exec, exec, s[16:17]
	s_cbranch_execz .LBB120_1067
.LBB120_1084:
	v_cmp_ne_u16_e32 vcc, 0, v1
	s_andn2_b64 s[14:15], s[14:15], exec
	s_and_b64 s[18:19], vcc, exec
	v_mov_b32_e32 v4, 0
	s_or_b64 s[14:15], s[14:15], s[18:19]
	s_or_b64 exec, exec, s[16:17]
	s_and_saveexec_b64 s[16:17], s[14:15]
	s_cbranch_execnz .LBB120_1068
	s_branch .LBB120_1069
.LBB120_1085:
	s_mov_b64 s[10:11], -1
                                        ; implicit-def: $vgpr4
	s_branch .LBB120_1090
.LBB120_1086:
	s_mov_b64 s[10:11], -1
                                        ; implicit-def: $vgpr4
.LBB120_1087:
	s_and_b64 vcc, exec, s[10:11]
	s_cbranch_vccz .LBB120_1089
; %bb.1088:
	global_load_ubyte v1, v[2:3], off
	s_mov_b32 s10, 0x7f800000
	s_waitcnt vmcnt(0)
	v_lshlrev_b32_e32 v1, 24, v1
	v_and_b32_e32 v4, 0x7f000000, v1
	v_ffbh_u32_e32 v6, v4
	v_min_u32_e32 v6, 32, v6
	v_sub_u32_e64 v6, v6, 4 clamp
	v_lshlrev_b32_e32 v8, v6, v4
	v_lshlrev_b32_e32 v6, 23, v6
	v_lshrrev_b32_e32 v8, 4, v8
	v_add_u32_e32 v7, 0x1000000, v4
	v_sub_u32_e32 v6, v8, v6
	v_ashrrev_i32_e32 v7, 8, v7
	v_add_u32_e32 v6, 0x3c000000, v6
	v_and_or_b32 v6, v7, s10, v6
	v_cmp_ne_u32_e32 vcc, 0, v4
	s_brev_b32 s10, 1
	s_nop 0
	v_cndmask_b32_e32 v4, 0, v6, vcc
	v_and_or_b32 v4, v1, s10, v4
.LBB120_1089:
	s_mov_b64 s[10:11], 0
.LBB120_1090:
	s_andn2_b64 vcc, exec, s[10:11]
	s_cbranch_vccnz .LBB120_1092
; %bb.1091:
	global_load_ubyte v1, v[2:3], off
	s_movk_i32 s10, 0x7f00
	s_brev_b32 s11, 16
	s_waitcnt vmcnt(0)
	v_lshlrev_b16_e32 v4, 8, v1
	v_lshlrev_b32_e32 v1, 25, v1
	v_lshrrev_b32_e32 v6, 4, v1
	v_and_or_b32 v7, v4, s10, 0.5
	v_or_b32_e32 v6, 0x70000000, v6
	v_add_f32_e32 v7, -0.5, v7
	v_mul_f32_e32 v6, 0x7800000, v6
	v_cmp_gt_u32_e32 vcc, s11, v1
	v_bfe_i32 v4, v4, 0, 16
	s_brev_b32 s10, 1
	v_cndmask_b32_e32 v1, v6, v7, vcc
	v_and_or_b32 v4, v4, s10, v1
.LBB120_1092:
	s_mov_b64 s[16:17], -1
	s_mov_b64 s[10:11], 0
	s_cbranch_execnz .LBB120_1103
.LBB120_1093:
	s_cmp_gt_i32 s22, 14
	s_cbranch_scc0 .LBB120_1096
; %bb.1094:
	s_cmp_eq_u32 s22, 15
	s_cbranch_scc0 .LBB120_1099
; %bb.1095:
	global_load_ushort v1, v[2:3], off
	s_mov_b64 s[0:1], 0
	s_mov_b64 s[16:17], -1
	s_waitcnt vmcnt(0)
	v_lshlrev_b32_e32 v4, 16, v1
	s_branch .LBB120_1100
.LBB120_1096:
	s_mov_b64 s[14:15], -1
                                        ; implicit-def: $vgpr4
	s_branch .LBB120_1101
.LBB120_1097:
	s_or_saveexec_b64 s[14:15], s[14:15]
	v_mov_b32_e32 v4, 0x7f800001
	s_xor_b64 exec, exec, s[14:15]
	s_cbranch_execz .LBB120_1079
.LBB120_1098:
	v_cmp_ne_u16_e32 vcc, 0, v1
	s_andn2_b64 s[10:11], s[10:11], exec
	s_and_b64 s[16:17], vcc, exec
	v_mov_b32_e32 v4, 0
	s_or_b64 s[10:11], s[10:11], s[16:17]
	s_or_b64 exec, exec, s[14:15]
	s_and_saveexec_b64 s[14:15], s[10:11]
	s_cbranch_execnz .LBB120_1080
	s_branch .LBB120_1081
.LBB120_1099:
	s_mov_b64 s[0:1], -1
                                        ; implicit-def: $vgpr4
.LBB120_1100:
	s_mov_b64 s[14:15], 0
.LBB120_1101:
	s_and_b64 vcc, exec, s[14:15]
	s_cbranch_vccz .LBB120_1103
; %bb.1102:
	s_cmp_lg_u32 s22, 11
	s_mov_b64 s[10:11], -1
	s_cselect_b64 s[0:1], -1, 0
.LBB120_1103:
	s_and_b64 vcc, exec, s[0:1]
	s_mov_b64 s[14:15], s[12:13]
	s_cbranch_vccnz .LBB120_1164
; %bb.1104:
	s_andn2_b64 vcc, exec, s[10:11]
	s_cbranch_vccnz .LBB120_1106
.LBB120_1105:
	global_load_ubyte v1, v[2:3], off
	s_mov_b64 s[16:17], -1
	s_waitcnt vmcnt(0)
	v_cmp_ne_u16_e32 vcc, 0, v1
	s_nop 1
	v_cndmask_b32_e64 v4, 0, 1.0, vcc
.LBB120_1106:
	s_branch .LBB120_1036
.LBB120_1107:
	s_cmp_lt_i32 s22, 5
	s_cbranch_scc1 .LBB120_1112
; %bb.1108:
	s_cmp_lt_i32 s22, 8
	s_cbranch_scc1 .LBB120_1113
; %bb.1109:
	;; [unrolled: 3-line block ×3, first 2 shown]
	s_cmp_gt_i32 s22, 9
	s_cbranch_scc0 .LBB120_1115
; %bb.1111:
	global_load_dwordx2 v[6:7], v[2:3], off
	s_mov_b64 s[0:1], 0
	s_waitcnt vmcnt(0)
	v_cvt_f32_f64_e32 v4, v[6:7]
	s_branch .LBB120_1116
.LBB120_1112:
                                        ; implicit-def: $vgpr4
	s_branch .LBB120_1133
.LBB120_1113:
                                        ; implicit-def: $vgpr4
	s_branch .LBB120_1122
.LBB120_1114:
	s_mov_b64 s[0:1], -1
                                        ; implicit-def: $vgpr4
	s_branch .LBB120_1119
.LBB120_1115:
	s_mov_b64 s[0:1], -1
                                        ; implicit-def: $vgpr4
.LBB120_1116:
	s_andn2_b64 vcc, exec, s[0:1]
	s_cbranch_vccnz .LBB120_1118
; %bb.1117:
	global_load_dword v4, v[2:3], off
.LBB120_1118:
	s_mov_b64 s[0:1], 0
.LBB120_1119:
	s_andn2_b64 vcc, exec, s[0:1]
	s_cbranch_vccnz .LBB120_1121
; %bb.1120:
	global_load_dword v1, v[2:3], off
	s_waitcnt vmcnt(0)
	v_cvt_f32_f16_e32 v4, v1
.LBB120_1121:
	s_cbranch_execnz .LBB120_1132
.LBB120_1122:
	s_cmp_lt_i32 s22, 6
	s_cbranch_scc1 .LBB120_1125
; %bb.1123:
	s_cmp_gt_i32 s22, 6
	s_cbranch_scc0 .LBB120_1126
; %bb.1124:
	global_load_dwordx2 v[6:7], v[2:3], off
	s_mov_b64 s[0:1], 0
	s_waitcnt vmcnt(0)
	v_cvt_f32_f64_e32 v4, v[6:7]
	s_branch .LBB120_1127
.LBB120_1125:
	s_mov_b64 s[0:1], -1
                                        ; implicit-def: $vgpr4
	s_branch .LBB120_1130
.LBB120_1126:
	s_mov_b64 s[0:1], -1
                                        ; implicit-def: $vgpr4
.LBB120_1127:
	s_andn2_b64 vcc, exec, s[0:1]
	s_cbranch_vccnz .LBB120_1129
; %bb.1128:
	global_load_dword v4, v[2:3], off
.LBB120_1129:
	s_mov_b64 s[0:1], 0
.LBB120_1130:
	s_andn2_b64 vcc, exec, s[0:1]
	s_cbranch_vccnz .LBB120_1132
; %bb.1131:
	global_load_ushort v1, v[2:3], off
	s_waitcnt vmcnt(0)
	v_cvt_f32_f16_e32 v4, v1
.LBB120_1132:
	s_cbranch_execnz .LBB120_1151
.LBB120_1133:
	s_cmp_lt_i32 s22, 2
	s_cbranch_scc1 .LBB120_1137
; %bb.1134:
	s_cmp_lt_i32 s22, 3
	s_cbranch_scc1 .LBB120_1138
; %bb.1135:
	s_cmp_gt_i32 s22, 3
	s_cbranch_scc0 .LBB120_1139
; %bb.1136:
	global_load_dwordx2 v[6:7], v[2:3], off
	s_mov_b64 s[0:1], 0
	s_waitcnt vmcnt(0)
	v_xor_b32_e32 v4, v6, v7
	v_ffbh_i32_e32 v1, v7
	v_ashrrev_i32_e32 v4, 31, v4
	v_add_u32_e32 v1, -1, v1
	v_add_u32_e32 v4, 32, v4
	v_min_u32_e32 v1, v1, v4
	v_lshlrev_b64 v[6:7], v1, v[6:7]
	v_min_u32_e32 v4, 1, v6
	v_or_b32_e32 v4, v7, v4
	v_cvt_f32_i32_e32 v4, v4
	v_sub_u32_e32 v1, 32, v1
	v_ldexp_f32 v4, v4, v1
	s_branch .LBB120_1140
.LBB120_1137:
                                        ; implicit-def: $vgpr4
	s_branch .LBB120_1146
.LBB120_1138:
	s_mov_b64 s[0:1], -1
                                        ; implicit-def: $vgpr4
	s_branch .LBB120_1143
.LBB120_1139:
	s_mov_b64 s[0:1], -1
                                        ; implicit-def: $vgpr4
.LBB120_1140:
	s_andn2_b64 vcc, exec, s[0:1]
	s_cbranch_vccnz .LBB120_1142
; %bb.1141:
	global_load_dword v1, v[2:3], off
	s_waitcnt vmcnt(0)
	v_cvt_f32_i32_e32 v4, v1
.LBB120_1142:
	s_mov_b64 s[0:1], 0
.LBB120_1143:
	s_andn2_b64 vcc, exec, s[0:1]
	s_cbranch_vccnz .LBB120_1145
; %bb.1144:
	global_load_sshort v1, v[2:3], off
	s_waitcnt vmcnt(0)
	v_cvt_f32_i32_e32 v4, v1
.LBB120_1145:
	s_cbranch_execnz .LBB120_1151
.LBB120_1146:
	s_cmp_gt_i32 s22, 0
	s_cbranch_scc0 .LBB120_1148
; %bb.1147:
	global_load_sbyte v1, v[2:3], off
	s_mov_b64 s[0:1], 0
	s_waitcnt vmcnt(0)
	v_cvt_f32_i32_e32 v4, v1
	s_branch .LBB120_1149
.LBB120_1148:
	s_mov_b64 s[0:1], -1
                                        ; implicit-def: $vgpr4
.LBB120_1149:
	s_andn2_b64 vcc, exec, s[0:1]
	s_cbranch_vccnz .LBB120_1151
; %bb.1150:
	global_load_ubyte v1, v[2:3], off
	s_waitcnt vmcnt(0)
	v_cvt_f32_ubyte0_e32 v4, v1
.LBB120_1151:
.LBB120_1152:
	s_lshl_b32 s9, s9, 7
	v_add_u32_e32 v0, s9, v0
	v_ashrrev_i32_e32 v1, 31, v0
	s_cmp_lt_i32 s22, 11
	v_lshl_add_u64 v[2:3], s[6:7], 0, v[0:1]
	s_cbranch_scc1 .LBB120_1159
; %bb.1153:
	s_cmp_gt_i32 s22, 25
	s_mov_b64 s[10:11], 0
	s_cbranch_scc0 .LBB120_1161
; %bb.1154:
	s_cmp_gt_i32 s22, 28
	s_cbranch_scc0 .LBB120_1162
; %bb.1155:
	s_cmp_gt_i32 s22, 43
	s_cbranch_scc0 .LBB120_1163
; %bb.1156:
	s_cmp_gt_i32 s22, 45
	s_cbranch_scc0 .LBB120_1165
; %bb.1157:
	s_cmp_eq_u32 s22, 46
	s_mov_b64 s[18:19], 0
	s_cbranch_scc0 .LBB120_1168
; %bb.1158:
	global_load_dword v1, v[2:3], off
	s_mov_b64 s[0:1], 0
	s_mov_b64 s[16:17], -1
	s_waitcnt vmcnt(0)
	v_lshlrev_b32_e32 v8, 16, v1
	s_branch .LBB120_1169
.LBB120_1159:
	s_mov_b64 s[16:17], 0
                                        ; implicit-def: $vgpr8
	s_cbranch_execnz .LBB120_1234
.LBB120_1160:
	s_andn2_b64 vcc, exec, s[16:17]
	s_cbranch_vccnz .LBB120_1973
	s_branch .LBB120_1281
.LBB120_1161:
	s_mov_b64 s[16:17], 0
	s_mov_b64 s[0:1], 0
                                        ; implicit-def: $vgpr8
	s_cbranch_execnz .LBB120_1198
	s_branch .LBB120_1230
.LBB120_1162:
	s_mov_b64 s[18:19], -1
	s_mov_b64 s[16:17], 0
	s_mov_b64 s[0:1], 0
                                        ; implicit-def: $vgpr8
	s_branch .LBB120_1179
.LBB120_1163:
	s_mov_b64 s[18:19], -1
	s_mov_b64 s[16:17], 0
	s_mov_b64 s[0:1], 0
                                        ; implicit-def: $vgpr8
	s_branch .LBB120_1174
.LBB120_1164:
	s_or_b64 s[14:15], s[12:13], exec
	s_trap 2
	s_cbranch_execz .LBB120_1105
	s_branch .LBB120_1106
.LBB120_1165:
	s_mov_b64 s[18:19], -1
	s_mov_b64 s[16:17], 0
	s_mov_b64 s[0:1], 0
                                        ; implicit-def: $vgpr8
	s_branch .LBB120_1169
.LBB120_1166:
	s_andn2_saveexec_b64 s[24:25], s[24:25]
	s_cbranch_execz .LBB120_952
.LBB120_1167:
	s_mov_b32 s28, 0x42800000
	v_add_f32_e64 v3, |v2|, s28
	v_and_b32_e32 v3, 0xff, v3
	v_cmp_ne_u32_e32 vcc, 0, v3
	s_andn2_b64 s[22:23], s[22:23], exec
	s_and_b64 s[28:29], vcc, exec
	s_or_b64 s[22:23], s[22:23], s[28:29]
	s_or_b64 exec, exec, s[24:25]
	v_mov_b32_e32 v4, 0
	s_and_saveexec_b64 s[24:25], s[22:23]
	s_cbranch_execnz .LBB120_953
	s_branch .LBB120_954
.LBB120_1168:
	s_mov_b64 s[0:1], -1
                                        ; implicit-def: $vgpr8
	s_mov_b64 s[16:17], 0
.LBB120_1169:
	s_and_b64 vcc, exec, s[18:19]
	s_cbranch_vccz .LBB120_1173
; %bb.1170:
	s_cmp_eq_u32 s22, 44
	s_cbranch_scc0 .LBB120_1172
; %bb.1171:
	global_load_ubyte v1, v[2:3], off
	s_movk_i32 s16, 0xff
	v_mov_b32_e32 v6, 0x7f800001
	v_mov_b32_e32 v7, 0x400000
	s_mov_b64 s[0:1], 0
	s_waitcnt vmcnt(0)
	v_lshlrev_b32_e32 v8, 23, v1
	v_cmp_ne_u32_e32 vcc, s16, v1
	s_mov_b64 s[16:17], -1
	s_nop 0
	v_cndmask_b32_e32 v6, v6, v8, vcc
	v_cmp_ne_u32_e32 vcc, 0, v1
	s_nop 1
	v_cndmask_b32_e32 v8, v7, v6, vcc
	s_branch .LBB120_1173
.LBB120_1172:
	s_mov_b64 s[0:1], -1
                                        ; implicit-def: $vgpr8
.LBB120_1173:
	s_mov_b64 s[18:19], 0
.LBB120_1174:
	s_and_b64 vcc, exec, s[18:19]
	s_cbranch_vccz .LBB120_1178
; %bb.1175:
	s_cmp_eq_u32 s22, 29
	s_cbranch_scc0 .LBB120_1177
; %bb.1176:
	global_load_dwordx2 v[6:7], v[2:3], off
	s_mov_b64 s[0:1], 0
	s_mov_b64 s[16:17], -1
	s_mov_b64 s[18:19], 0
	s_waitcnt vmcnt(0)
	v_ffbh_u32_e32 v1, v7
	v_min_u32_e32 v1, 32, v1
	v_lshlrev_b64 v[6:7], v1, v[6:7]
	v_min_u32_e32 v6, 1, v6
	v_or_b32_e32 v6, v7, v6
	v_cvt_f32_u32_e32 v6, v6
	v_sub_u32_e32 v1, 32, v1
	v_ldexp_f32 v8, v6, v1
	s_branch .LBB120_1179
.LBB120_1177:
	s_mov_b64 s[0:1], -1
                                        ; implicit-def: $vgpr8
.LBB120_1178:
	s_mov_b64 s[18:19], 0
.LBB120_1179:
	s_and_b64 vcc, exec, s[18:19]
	s_cbranch_vccz .LBB120_1197
; %bb.1180:
	s_cmp_lt_i32 s22, 27
	s_cbranch_scc1 .LBB120_1183
; %bb.1181:
	s_cmp_gt_i32 s22, 27
	s_cbranch_scc0 .LBB120_1184
; %bb.1182:
	global_load_dword v1, v[2:3], off
	s_mov_b64 s[16:17], 0
	s_waitcnt vmcnt(0)
	v_cvt_f32_u32_e32 v8, v1
	s_branch .LBB120_1185
.LBB120_1183:
	s_mov_b64 s[16:17], -1
                                        ; implicit-def: $vgpr8
	s_branch .LBB120_1188
.LBB120_1184:
	s_mov_b64 s[16:17], -1
                                        ; implicit-def: $vgpr8
.LBB120_1185:
	s_andn2_b64 vcc, exec, s[16:17]
	s_cbranch_vccnz .LBB120_1187
; %bb.1186:
	global_load_ushort v1, v[2:3], off
	s_waitcnt vmcnt(0)
	v_cvt_f32_u32_e32 v8, v1
.LBB120_1187:
	s_mov_b64 s[16:17], 0
.LBB120_1188:
	s_andn2_b64 vcc, exec, s[16:17]
	s_cbranch_vccnz .LBB120_1196
; %bb.1189:
	global_load_ubyte v1, v[2:3], off
	s_movk_i32 s16, 0x7f
	s_waitcnt vmcnt(0)
	v_cmp_lt_i16_e32 vcc, s16, v1
	s_mov_b64 s[16:17], 0
	s_and_saveexec_b64 s[18:19], vcc
	s_xor_b64 s[18:19], exec, s[18:19]
	s_cbranch_execz .LBB120_1209
; %bb.1190:
	s_movk_i32 s16, 0x80
	v_cmp_eq_u16_e32 vcc, s16, v1
	s_mov_b64 s[16:17], -1
	s_and_saveexec_b64 s[20:21], vcc
; %bb.1191:
	s_xor_b64 s[16:17], exec, -1
; %bb.1192:
	s_or_b64 exec, exec, s[20:21]
	s_and_b64 s[16:17], s[16:17], exec
	s_or_saveexec_b64 s[18:19], s[18:19]
	v_mov_b32_e32 v8, 0x7f800001
	s_xor_b64 exec, exec, s[18:19]
	s_cbranch_execnz .LBB120_1210
.LBB120_1193:
	s_or_b64 exec, exec, s[18:19]
	s_and_saveexec_b64 s[18:19], s[16:17]
	s_cbranch_execz .LBB120_1195
.LBB120_1194:
	v_lshlrev_b32_e32 v6, 24, v1
	v_and_b32_e32 v1, 0xffff, v1
	v_and_b32_e32 v7, 7, v1
	v_ffbh_u32_e32 v9, v7
	v_min_u32_e32 v9, 32, v9
	v_subrev_u32_e32 v10, 28, v9
	v_bfe_u32 v8, v1, 3, 4
	v_lshlrev_b32_e32 v1, v10, v1
	v_sub_u32_e32 v9, 29, v9
	v_and_b32_e32 v1, 7, v1
	v_cmp_eq_u32_e32 vcc, 0, v8
	v_and_b32_e32 v6, 0x80000000, v6
	s_nop 0
	v_cndmask_b32_e32 v8, v8, v9, vcc
	v_cndmask_b32_e32 v1, v7, v1, vcc
	v_mov_b32_e32 v7, 0x3b800000
	v_lshlrev_b32_e32 v1, 20, v1
	v_lshl_add_u32 v7, v8, 23, v7
	v_or3_b32 v8, v6, v7, v1
.LBB120_1195:
	s_or_b64 exec, exec, s[18:19]
.LBB120_1196:
	s_mov_b64 s[16:17], -1
.LBB120_1197:
	s_branch .LBB120_1230
.LBB120_1198:
	s_cmp_gt_i32 s22, 22
	s_cbranch_scc0 .LBB120_1208
; %bb.1199:
	s_cmp_lt_i32 s22, 24
	s_cbranch_scc1 .LBB120_1211
; %bb.1200:
	s_cmp_gt_i32 s22, 24
	s_cbranch_scc0 .LBB120_1212
; %bb.1201:
	global_load_ubyte v1, v[2:3], off
	s_movk_i32 s10, 0x7f
	s_waitcnt vmcnt(0)
	v_cmp_lt_i16_e32 vcc, s10, v1
	s_mov_b64 s[10:11], 0
	s_and_saveexec_b64 s[16:17], vcc
	s_xor_b64 s[16:17], exec, s[16:17]
	s_cbranch_execz .LBB120_1224
; %bb.1202:
	s_movk_i32 s10, 0x80
	v_cmp_eq_u16_e32 vcc, s10, v1
	s_mov_b64 s[10:11], -1
	s_and_saveexec_b64 s[18:19], vcc
; %bb.1203:
	s_xor_b64 s[10:11], exec, -1
; %bb.1204:
	s_or_b64 exec, exec, s[18:19]
	s_and_b64 s[10:11], s[10:11], exec
	s_or_saveexec_b64 s[16:17], s[16:17]
	v_mov_b32_e32 v8, 0x7f800001
	s_xor_b64 exec, exec, s[16:17]
	s_cbranch_execnz .LBB120_1225
.LBB120_1205:
	s_or_b64 exec, exec, s[16:17]
	s_and_saveexec_b64 s[16:17], s[10:11]
	s_cbranch_execz .LBB120_1207
.LBB120_1206:
	v_lshlrev_b32_e32 v6, 24, v1
	v_and_b32_e32 v1, 0xffff, v1
	v_and_b32_e32 v7, 3, v1
	v_ffbh_u32_e32 v9, v7
	v_min_u32_e32 v9, 32, v9
	v_subrev_u32_e32 v10, 29, v9
	v_bfe_u32 v8, v1, 2, 5
	v_lshlrev_b32_e32 v1, v10, v1
	v_sub_u32_e32 v9, 30, v9
	v_and_b32_e32 v1, 3, v1
	v_cmp_eq_u32_e32 vcc, 0, v8
	v_and_b32_e32 v6, 0x80000000, v6
	s_nop 0
	v_cndmask_b32_e32 v8, v8, v9, vcc
	v_cndmask_b32_e32 v1, v7, v1, vcc
	v_mov_b32_e32 v7, 0x37800000
	v_lshlrev_b32_e32 v1, 21, v1
	v_lshl_add_u32 v7, v8, 23, v7
	v_or3_b32 v8, v6, v7, v1
.LBB120_1207:
	s_or_b64 exec, exec, s[16:17]
	s_mov_b64 s[10:11], 0
	s_branch .LBB120_1213
.LBB120_1208:
	s_mov_b64 s[10:11], -1
                                        ; implicit-def: $vgpr8
	s_branch .LBB120_1219
.LBB120_1209:
	s_or_saveexec_b64 s[18:19], s[18:19]
	v_mov_b32_e32 v8, 0x7f800001
	s_xor_b64 exec, exec, s[18:19]
	s_cbranch_execz .LBB120_1193
.LBB120_1210:
	v_cmp_ne_u16_e32 vcc, 0, v1
	s_andn2_b64 s[16:17], s[16:17], exec
	s_and_b64 s[20:21], vcc, exec
	v_mov_b32_e32 v8, 0
	s_or_b64 s[16:17], s[16:17], s[20:21]
	s_or_b64 exec, exec, s[18:19]
	s_and_saveexec_b64 s[18:19], s[16:17]
	s_cbranch_execnz .LBB120_1194
	s_branch .LBB120_1195
.LBB120_1211:
	s_mov_b64 s[10:11], -1
                                        ; implicit-def: $vgpr8
	s_branch .LBB120_1216
.LBB120_1212:
	s_mov_b64 s[10:11], -1
                                        ; implicit-def: $vgpr8
.LBB120_1213:
	s_and_b64 vcc, exec, s[10:11]
	s_cbranch_vccz .LBB120_1215
; %bb.1214:
	global_load_ubyte v1, v[2:3], off
	s_mov_b32 s10, 0x7f800000
	s_waitcnt vmcnt(0)
	v_lshlrev_b32_e32 v1, 24, v1
	v_and_b32_e32 v6, 0x7f000000, v1
	v_ffbh_u32_e32 v7, v6
	v_min_u32_e32 v7, 32, v7
	v_sub_u32_e64 v7, v7, 4 clamp
	v_lshlrev_b32_e32 v9, v7, v6
	v_lshlrev_b32_e32 v7, 23, v7
	v_lshrrev_b32_e32 v9, 4, v9
	v_add_u32_e32 v8, 0x1000000, v6
	v_sub_u32_e32 v7, v9, v7
	v_ashrrev_i32_e32 v8, 8, v8
	v_add_u32_e32 v7, 0x3c000000, v7
	v_and_or_b32 v7, v8, s10, v7
	v_cmp_ne_u32_e32 vcc, 0, v6
	s_brev_b32 s10, 1
	s_nop 0
	v_cndmask_b32_e32 v6, 0, v7, vcc
	v_and_or_b32 v8, v1, s10, v6
.LBB120_1215:
	s_mov_b64 s[10:11], 0
.LBB120_1216:
	s_andn2_b64 vcc, exec, s[10:11]
	s_cbranch_vccnz .LBB120_1218
; %bb.1217:
	global_load_ubyte v1, v[2:3], off
	s_movk_i32 s10, 0x7f00
	s_brev_b32 s11, 16
	s_waitcnt vmcnt(0)
	v_lshlrev_b16_e32 v6, 8, v1
	v_lshlrev_b32_e32 v1, 25, v1
	v_lshrrev_b32_e32 v7, 4, v1
	v_and_or_b32 v8, v6, s10, 0.5
	v_or_b32_e32 v7, 0x70000000, v7
	v_add_f32_e32 v8, -0.5, v8
	v_mul_f32_e32 v7, 0x7800000, v7
	v_cmp_gt_u32_e32 vcc, s11, v1
	v_bfe_i32 v6, v6, 0, 16
	s_brev_b32 s10, 1
	v_cndmask_b32_e32 v1, v7, v8, vcc
	v_and_or_b32 v8, v6, s10, v1
.LBB120_1218:
	s_mov_b64 s[10:11], 0
	s_mov_b64 s[16:17], -1
.LBB120_1219:
	s_andn2_b64 vcc, exec, s[10:11]
	s_mov_b64 s[10:11], 0
	s_cbranch_vccnz .LBB120_1230
; %bb.1220:
	s_cmp_gt_i32 s22, 14
	s_cbranch_scc0 .LBB120_1223
; %bb.1221:
	s_cmp_eq_u32 s22, 15
	s_cbranch_scc0 .LBB120_1226
; %bb.1222:
	global_load_ushort v1, v[2:3], off
	s_mov_b64 s[0:1], 0
	s_mov_b64 s[16:17], -1
	s_waitcnt vmcnt(0)
	v_lshlrev_b32_e32 v8, 16, v1
	s_branch .LBB120_1227
.LBB120_1223:
	s_mov_b64 s[18:19], -1
                                        ; implicit-def: $vgpr8
	s_branch .LBB120_1228
.LBB120_1224:
	s_or_saveexec_b64 s[16:17], s[16:17]
	v_mov_b32_e32 v8, 0x7f800001
	s_xor_b64 exec, exec, s[16:17]
	s_cbranch_execz .LBB120_1205
.LBB120_1225:
	v_cmp_ne_u16_e32 vcc, 0, v1
	s_andn2_b64 s[10:11], s[10:11], exec
	s_and_b64 s[18:19], vcc, exec
	v_mov_b32_e32 v8, 0
	s_or_b64 s[10:11], s[10:11], s[18:19]
	s_or_b64 exec, exec, s[16:17]
	s_and_saveexec_b64 s[16:17], s[10:11]
	s_cbranch_execnz .LBB120_1206
	s_branch .LBB120_1207
.LBB120_1226:
	s_mov_b64 s[0:1], -1
                                        ; implicit-def: $vgpr8
.LBB120_1227:
	s_mov_b64 s[18:19], 0
.LBB120_1228:
	s_and_b64 vcc, exec, s[18:19]
	s_cbranch_vccz .LBB120_1230
; %bb.1229:
	s_cmp_lg_u32 s22, 11
	s_mov_b64 s[10:11], -1
	s_cselect_b64 s[0:1], -1, 0
.LBB120_1230:
	s_and_b64 vcc, exec, s[0:1]
	s_cbranch_vccnz .LBB120_1293
; %bb.1231:
	s_andn2_b64 vcc, exec, s[10:11]
	s_cbranch_vccnz .LBB120_1233
.LBB120_1232:
	global_load_ubyte v1, v[2:3], off
	s_mov_b64 s[16:17], -1
	s_waitcnt vmcnt(0)
	v_cmp_ne_u16_e32 vcc, 0, v1
	s_nop 1
	v_cndmask_b32_e64 v8, 0, 1.0, vcc
.LBB120_1233:
	s_branch .LBB120_1160
.LBB120_1234:
	s_cmp_lt_i32 s22, 5
	s_cbranch_scc1 .LBB120_1239
; %bb.1235:
	s_cmp_lt_i32 s22, 8
	s_cbranch_scc1 .LBB120_1240
; %bb.1236:
	;; [unrolled: 3-line block ×3, first 2 shown]
	s_cmp_gt_i32 s22, 9
	s_cbranch_scc0 .LBB120_1242
; %bb.1238:
	global_load_dwordx2 v[6:7], v[2:3], off
	s_mov_b64 s[0:1], 0
	s_waitcnt vmcnt(0)
	v_cvt_f32_f64_e32 v8, v[6:7]
	s_branch .LBB120_1243
.LBB120_1239:
                                        ; implicit-def: $vgpr8
	s_branch .LBB120_1261
.LBB120_1240:
	s_mov_b64 s[0:1], -1
                                        ; implicit-def: $vgpr8
	s_branch .LBB120_1249
.LBB120_1241:
	s_mov_b64 s[0:1], -1
                                        ; implicit-def: $vgpr8
	s_branch .LBB120_1246
.LBB120_1242:
	s_mov_b64 s[0:1], -1
                                        ; implicit-def: $vgpr8
.LBB120_1243:
	s_andn2_b64 vcc, exec, s[0:1]
	s_cbranch_vccnz .LBB120_1245
; %bb.1244:
	global_load_dword v8, v[2:3], off
.LBB120_1245:
	s_mov_b64 s[0:1], 0
.LBB120_1246:
	s_andn2_b64 vcc, exec, s[0:1]
	s_cbranch_vccnz .LBB120_1248
; %bb.1247:
	global_load_dword v1, v[2:3], off
	s_waitcnt vmcnt(0)
	v_cvt_f32_f16_e32 v8, v1
.LBB120_1248:
	s_mov_b64 s[0:1], 0
.LBB120_1249:
	s_andn2_b64 vcc, exec, s[0:1]
	s_cbranch_vccnz .LBB120_1260
; %bb.1250:
	s_cmp_lt_i32 s22, 6
	s_cbranch_scc1 .LBB120_1253
; %bb.1251:
	s_cmp_gt_i32 s22, 6
	s_cbranch_scc0 .LBB120_1254
; %bb.1252:
	global_load_dwordx2 v[6:7], v[2:3], off
	s_mov_b64 s[0:1], 0
	s_waitcnt vmcnt(0)
	v_cvt_f32_f64_e32 v8, v[6:7]
	s_branch .LBB120_1255
.LBB120_1253:
	s_mov_b64 s[0:1], -1
                                        ; implicit-def: $vgpr8
	s_branch .LBB120_1258
.LBB120_1254:
	s_mov_b64 s[0:1], -1
                                        ; implicit-def: $vgpr8
.LBB120_1255:
	s_andn2_b64 vcc, exec, s[0:1]
	s_cbranch_vccnz .LBB120_1257
; %bb.1256:
	global_load_dword v8, v[2:3], off
.LBB120_1257:
	s_mov_b64 s[0:1], 0
.LBB120_1258:
	s_andn2_b64 vcc, exec, s[0:1]
	s_cbranch_vccnz .LBB120_1260
; %bb.1259:
	global_load_ushort v1, v[2:3], off
	s_waitcnt vmcnt(0)
	v_cvt_f32_f16_e32 v8, v1
.LBB120_1260:
	s_cbranch_execnz .LBB120_1280
.LBB120_1261:
	s_cmp_lt_i32 s22, 2
	s_cbranch_scc1 .LBB120_1265
; %bb.1262:
	s_cmp_lt_i32 s22, 3
	s_cbranch_scc1 .LBB120_1266
; %bb.1263:
	s_cmp_gt_i32 s22, 3
	s_cbranch_scc0 .LBB120_1267
; %bb.1264:
	global_load_dwordx2 v[6:7], v[2:3], off
	s_mov_b64 s[0:1], 0
	s_waitcnt vmcnt(0)
	v_xor_b32_e32 v8, v6, v7
	v_ffbh_i32_e32 v1, v7
	v_ashrrev_i32_e32 v8, 31, v8
	v_add_u32_e32 v1, -1, v1
	v_add_u32_e32 v8, 32, v8
	v_min_u32_e32 v1, v1, v8
	v_lshlrev_b64 v[6:7], v1, v[6:7]
	v_min_u32_e32 v6, 1, v6
	v_or_b32_e32 v6, v7, v6
	v_cvt_f32_i32_e32 v6, v6
	v_sub_u32_e32 v1, 32, v1
	v_ldexp_f32 v8, v6, v1
	s_branch .LBB120_1268
.LBB120_1265:
	s_mov_b64 s[0:1], -1
                                        ; implicit-def: $vgpr8
	s_branch .LBB120_1274
.LBB120_1266:
	s_mov_b64 s[0:1], -1
                                        ; implicit-def: $vgpr8
	s_branch .LBB120_1271
.LBB120_1267:
	s_mov_b64 s[0:1], -1
                                        ; implicit-def: $vgpr8
.LBB120_1268:
	s_andn2_b64 vcc, exec, s[0:1]
	s_cbranch_vccnz .LBB120_1270
; %bb.1269:
	global_load_dword v1, v[2:3], off
	s_waitcnt vmcnt(0)
	v_cvt_f32_i32_e32 v8, v1
.LBB120_1270:
	s_mov_b64 s[0:1], 0
.LBB120_1271:
	s_andn2_b64 vcc, exec, s[0:1]
	s_cbranch_vccnz .LBB120_1273
; %bb.1272:
	global_load_sshort v1, v[2:3], off
	s_waitcnt vmcnt(0)
	v_cvt_f32_i32_e32 v8, v1
.LBB120_1273:
	s_mov_b64 s[0:1], 0
.LBB120_1274:
	s_andn2_b64 vcc, exec, s[0:1]
	s_cbranch_vccnz .LBB120_1280
; %bb.1275:
	s_cmp_gt_i32 s22, 0
	s_cbranch_scc0 .LBB120_1277
; %bb.1276:
	global_load_sbyte v1, v[2:3], off
	s_mov_b64 s[0:1], 0
	s_waitcnt vmcnt(0)
	v_cvt_f32_i32_e32 v8, v1
	s_branch .LBB120_1278
.LBB120_1277:
	s_mov_b64 s[0:1], -1
                                        ; implicit-def: $vgpr8
.LBB120_1278:
	s_andn2_b64 vcc, exec, s[0:1]
	s_cbranch_vccnz .LBB120_1280
; %bb.1279:
	global_load_ubyte v1, v[2:3], off
	s_waitcnt vmcnt(0)
	v_cvt_f32_ubyte0_e32 v8, v1
.LBB120_1280:
.LBB120_1281:
	v_add_u32_e32 v0, s9, v0
	v_ashrrev_i32_e32 v1, 31, v0
	s_cmp_lt_i32 s22, 11
	v_lshl_add_u64 v[2:3], s[6:7], 0, v[0:1]
	s_cbranch_scc1 .LBB120_1288
; %bb.1282:
	s_cmp_gt_i32 s22, 25
	s_mov_b64 s[10:11], 0
	s_cbranch_scc0 .LBB120_1290
; %bb.1283:
	s_cmp_gt_i32 s22, 28
	s_cbranch_scc0 .LBB120_1291
; %bb.1284:
	s_cmp_gt_i32 s22, 43
	;; [unrolled: 3-line block ×3, first 2 shown]
	s_cbranch_scc0 .LBB120_1294
; %bb.1286:
	s_cmp_eq_u32 s22, 46
	s_mov_b64 s[18:19], 0
	s_cbranch_scc0 .LBB120_1295
; %bb.1287:
	global_load_dword v1, v[2:3], off
	s_mov_b64 s[0:1], 0
	s_mov_b64 s[16:17], -1
	s_waitcnt vmcnt(0)
	v_lshlrev_b32_e32 v7, 16, v1
	s_branch .LBB120_1296
.LBB120_1288:
	s_mov_b64 s[16:17], 0
                                        ; implicit-def: $vgpr7
	s_cbranch_execnz .LBB120_1362
.LBB120_1289:
	s_andn2_b64 vcc, exec, s[16:17]
	s_cbranch_vccnz .LBB120_1973
	s_branch .LBB120_1410
.LBB120_1290:
	s_mov_b64 s[18:19], -1
	s_mov_b64 s[16:17], 0
	s_mov_b64 s[0:1], 0
                                        ; implicit-def: $vgpr7
	s_branch .LBB120_1325
.LBB120_1291:
	s_mov_b64 s[18:19], -1
	s_mov_b64 s[16:17], 0
	s_mov_b64 s[0:1], 0
                                        ; implicit-def: $vgpr7
	s_branch .LBB120_1306
.LBB120_1292:
	s_mov_b64 s[18:19], -1
	s_mov_b64 s[16:17], 0
	s_mov_b64 s[0:1], 0
                                        ; implicit-def: $vgpr7
	s_branch .LBB120_1301
.LBB120_1293:
	s_trap 2
	s_or_b64 s[14:15], s[14:15], exec
	s_cbranch_execz .LBB120_1232
	s_branch .LBB120_1233
.LBB120_1294:
	s_mov_b64 s[18:19], -1
	s_mov_b64 s[16:17], 0
	s_mov_b64 s[0:1], 0
                                        ; implicit-def: $vgpr7
	s_branch .LBB120_1296
.LBB120_1295:
	s_mov_b64 s[0:1], -1
                                        ; implicit-def: $vgpr7
	s_mov_b64 s[16:17], 0
.LBB120_1296:
	s_and_b64 vcc, exec, s[18:19]
	s_cbranch_vccz .LBB120_1300
; %bb.1297:
	s_cmp_eq_u32 s22, 44
	s_cbranch_scc0 .LBB120_1299
; %bb.1298:
	global_load_ubyte v1, v[2:3], off
	s_movk_i32 s16, 0xff
	v_mov_b32_e32 v6, 0x7f800001
	v_mov_b32_e32 v7, 0x400000
	s_mov_b64 s[0:1], 0
	s_waitcnt vmcnt(0)
	v_lshlrev_b32_e32 v9, 23, v1
	v_cmp_ne_u32_e32 vcc, s16, v1
	s_mov_b64 s[16:17], -1
	s_nop 0
	v_cndmask_b32_e32 v6, v6, v9, vcc
	v_cmp_ne_u32_e32 vcc, 0, v1
	s_nop 1
	v_cndmask_b32_e32 v7, v7, v6, vcc
	s_branch .LBB120_1300
.LBB120_1299:
	s_mov_b64 s[0:1], -1
                                        ; implicit-def: $vgpr7
.LBB120_1300:
	s_mov_b64 s[18:19], 0
.LBB120_1301:
	s_and_b64 vcc, exec, s[18:19]
	s_cbranch_vccz .LBB120_1305
; %bb.1302:
	s_cmp_eq_u32 s22, 29
	s_cbranch_scc0 .LBB120_1304
; %bb.1303:
	global_load_dwordx2 v[6:7], v[2:3], off
	s_mov_b64 s[0:1], 0
	s_mov_b64 s[16:17], -1
	s_mov_b64 s[18:19], 0
	s_waitcnt vmcnt(0)
	v_ffbh_u32_e32 v1, v7
	v_min_u32_e32 v1, 32, v1
	v_lshlrev_b64 v[6:7], v1, v[6:7]
	v_min_u32_e32 v6, 1, v6
	v_or_b32_e32 v6, v7, v6
	v_cvt_f32_u32_e32 v6, v6
	v_sub_u32_e32 v1, 32, v1
	v_ldexp_f32 v7, v6, v1
	s_branch .LBB120_1306
.LBB120_1304:
	s_mov_b64 s[0:1], -1
                                        ; implicit-def: $vgpr7
.LBB120_1305:
	s_mov_b64 s[18:19], 0
.LBB120_1306:
	s_and_b64 vcc, exec, s[18:19]
	s_cbranch_vccz .LBB120_1324
; %bb.1307:
	s_cmp_lt_i32 s22, 27
	s_cbranch_scc1 .LBB120_1310
; %bb.1308:
	s_cmp_gt_i32 s22, 27
	s_cbranch_scc0 .LBB120_1311
; %bb.1309:
	global_load_dword v1, v[2:3], off
	s_mov_b64 s[16:17], 0
	s_waitcnt vmcnt(0)
	v_cvt_f32_u32_e32 v7, v1
	s_branch .LBB120_1312
.LBB120_1310:
	s_mov_b64 s[16:17], -1
                                        ; implicit-def: $vgpr7
	s_branch .LBB120_1315
.LBB120_1311:
	s_mov_b64 s[16:17], -1
                                        ; implicit-def: $vgpr7
.LBB120_1312:
	s_andn2_b64 vcc, exec, s[16:17]
	s_cbranch_vccnz .LBB120_1314
; %bb.1313:
	global_load_ushort v1, v[2:3], off
	s_waitcnt vmcnt(0)
	v_cvt_f32_u32_e32 v7, v1
.LBB120_1314:
	s_mov_b64 s[16:17], 0
.LBB120_1315:
	s_andn2_b64 vcc, exec, s[16:17]
	s_cbranch_vccnz .LBB120_1323
; %bb.1316:
	global_load_ubyte v1, v[2:3], off
	s_movk_i32 s16, 0x7f
	s_waitcnt vmcnt(0)
	v_cmp_lt_i16_e32 vcc, s16, v1
	s_mov_b64 s[16:17], 0
	s_and_saveexec_b64 s[18:19], vcc
	s_xor_b64 s[18:19], exec, s[18:19]
	s_cbranch_execz .LBB120_1337
; %bb.1317:
	s_movk_i32 s16, 0x80
	v_cmp_eq_u16_e32 vcc, s16, v1
	s_mov_b64 s[16:17], -1
	s_and_saveexec_b64 s[20:21], vcc
; %bb.1318:
	s_xor_b64 s[16:17], exec, -1
; %bb.1319:
	s_or_b64 exec, exec, s[20:21]
	s_and_b64 s[16:17], s[16:17], exec
	s_or_saveexec_b64 s[18:19], s[18:19]
	v_mov_b32_e32 v7, 0x7f800001
	s_xor_b64 exec, exec, s[18:19]
	s_cbranch_execnz .LBB120_1338
.LBB120_1320:
	s_or_b64 exec, exec, s[18:19]
	s_and_saveexec_b64 s[18:19], s[16:17]
	s_cbranch_execz .LBB120_1322
.LBB120_1321:
	v_lshlrev_b32_e32 v6, 24, v1
	v_and_b32_e32 v1, 0xffff, v1
	v_and_b32_e32 v7, 7, v1
	v_ffbh_u32_e32 v10, v7
	v_min_u32_e32 v10, 32, v10
	v_subrev_u32_e32 v11, 28, v10
	v_bfe_u32 v9, v1, 3, 4
	v_lshlrev_b32_e32 v1, v11, v1
	v_sub_u32_e32 v10, 29, v10
	v_and_b32_e32 v1, 7, v1
	v_cmp_eq_u32_e32 vcc, 0, v9
	v_and_b32_e32 v6, 0x80000000, v6
	s_nop 0
	v_cndmask_b32_e32 v9, v9, v10, vcc
	v_cndmask_b32_e32 v1, v7, v1, vcc
	v_mov_b32_e32 v7, 0x3b800000
	v_lshlrev_b32_e32 v1, 20, v1
	v_lshl_add_u32 v7, v9, 23, v7
	v_or3_b32 v7, v6, v7, v1
.LBB120_1322:
	s_or_b64 exec, exec, s[18:19]
.LBB120_1323:
	s_mov_b64 s[16:17], -1
.LBB120_1324:
	s_mov_b64 s[18:19], 0
.LBB120_1325:
	s_and_b64 vcc, exec, s[18:19]
	s_cbranch_vccz .LBB120_1358
; %bb.1326:
	s_cmp_gt_i32 s22, 22
	s_cbranch_scc0 .LBB120_1336
; %bb.1327:
	s_cmp_lt_i32 s22, 24
	s_cbranch_scc1 .LBB120_1339
; %bb.1328:
	s_cmp_gt_i32 s22, 24
	s_cbranch_scc0 .LBB120_1340
; %bb.1329:
	global_load_ubyte v1, v[2:3], off
	s_movk_i32 s10, 0x7f
	s_waitcnt vmcnt(0)
	v_cmp_lt_i16_e32 vcc, s10, v1
	s_mov_b64 s[10:11], 0
	s_and_saveexec_b64 s[16:17], vcc
	s_xor_b64 s[16:17], exec, s[16:17]
	s_cbranch_execz .LBB120_1352
; %bb.1330:
	s_movk_i32 s10, 0x80
	v_cmp_eq_u16_e32 vcc, s10, v1
	s_mov_b64 s[10:11], -1
	s_and_saveexec_b64 s[18:19], vcc
; %bb.1331:
	s_xor_b64 s[10:11], exec, -1
; %bb.1332:
	s_or_b64 exec, exec, s[18:19]
	s_and_b64 s[10:11], s[10:11], exec
	s_or_saveexec_b64 s[16:17], s[16:17]
	v_mov_b32_e32 v7, 0x7f800001
	s_xor_b64 exec, exec, s[16:17]
	s_cbranch_execnz .LBB120_1353
.LBB120_1333:
	s_or_b64 exec, exec, s[16:17]
	s_and_saveexec_b64 s[16:17], s[10:11]
	s_cbranch_execz .LBB120_1335
.LBB120_1334:
	v_lshlrev_b32_e32 v6, 24, v1
	v_and_b32_e32 v1, 0xffff, v1
	v_and_b32_e32 v7, 3, v1
	v_ffbh_u32_e32 v10, v7
	v_min_u32_e32 v10, 32, v10
	v_subrev_u32_e32 v11, 29, v10
	v_bfe_u32 v9, v1, 2, 5
	v_lshlrev_b32_e32 v1, v11, v1
	v_sub_u32_e32 v10, 30, v10
	v_and_b32_e32 v1, 3, v1
	v_cmp_eq_u32_e32 vcc, 0, v9
	v_and_b32_e32 v6, 0x80000000, v6
	s_nop 0
	v_cndmask_b32_e32 v9, v9, v10, vcc
	v_cndmask_b32_e32 v1, v7, v1, vcc
	v_mov_b32_e32 v7, 0x37800000
	v_lshlrev_b32_e32 v1, 21, v1
	v_lshl_add_u32 v7, v9, 23, v7
	v_or3_b32 v7, v6, v7, v1
.LBB120_1335:
	s_or_b64 exec, exec, s[16:17]
	s_mov_b64 s[10:11], 0
	s_branch .LBB120_1341
.LBB120_1336:
	s_mov_b64 s[10:11], -1
                                        ; implicit-def: $vgpr7
	s_branch .LBB120_1347
.LBB120_1337:
	s_or_saveexec_b64 s[18:19], s[18:19]
	v_mov_b32_e32 v7, 0x7f800001
	s_xor_b64 exec, exec, s[18:19]
	s_cbranch_execz .LBB120_1320
.LBB120_1338:
	v_cmp_ne_u16_e32 vcc, 0, v1
	s_andn2_b64 s[16:17], s[16:17], exec
	s_and_b64 s[20:21], vcc, exec
	v_mov_b32_e32 v7, 0
	s_or_b64 s[16:17], s[16:17], s[20:21]
	s_or_b64 exec, exec, s[18:19]
	s_and_saveexec_b64 s[18:19], s[16:17]
	s_cbranch_execnz .LBB120_1321
	s_branch .LBB120_1322
.LBB120_1339:
	s_mov_b64 s[10:11], -1
                                        ; implicit-def: $vgpr7
	s_branch .LBB120_1344
.LBB120_1340:
	s_mov_b64 s[10:11], -1
                                        ; implicit-def: $vgpr7
.LBB120_1341:
	s_and_b64 vcc, exec, s[10:11]
	s_cbranch_vccz .LBB120_1343
; %bb.1342:
	global_load_ubyte v1, v[2:3], off
	s_mov_b32 s10, 0x7f800000
	s_waitcnt vmcnt(0)
	v_lshlrev_b32_e32 v1, 24, v1
	v_and_b32_e32 v6, 0x7f000000, v1
	v_ffbh_u32_e32 v7, v6
	v_min_u32_e32 v7, 32, v7
	v_sub_u32_e64 v7, v7, 4 clamp
	v_lshlrev_b32_e32 v10, v7, v6
	v_lshlrev_b32_e32 v7, 23, v7
	v_lshrrev_b32_e32 v10, 4, v10
	v_add_u32_e32 v9, 0x1000000, v6
	v_sub_u32_e32 v7, v10, v7
	v_ashrrev_i32_e32 v9, 8, v9
	v_add_u32_e32 v7, 0x3c000000, v7
	v_and_or_b32 v7, v9, s10, v7
	v_cmp_ne_u32_e32 vcc, 0, v6
	s_brev_b32 s10, 1
	s_nop 0
	v_cndmask_b32_e32 v6, 0, v7, vcc
	v_and_or_b32 v7, v1, s10, v6
.LBB120_1343:
	s_mov_b64 s[10:11], 0
.LBB120_1344:
	s_andn2_b64 vcc, exec, s[10:11]
	s_cbranch_vccnz .LBB120_1346
; %bb.1345:
	global_load_ubyte v1, v[2:3], off
	s_movk_i32 s10, 0x7f00
	s_brev_b32 s11, 16
	s_waitcnt vmcnt(0)
	v_lshlrev_b16_e32 v6, 8, v1
	v_lshlrev_b32_e32 v1, 25, v1
	v_lshrrev_b32_e32 v7, 4, v1
	v_and_or_b32 v9, v6, s10, 0.5
	v_or_b32_e32 v7, 0x70000000, v7
	v_add_f32_e32 v9, -0.5, v9
	v_mul_f32_e32 v7, 0x7800000, v7
	v_cmp_gt_u32_e32 vcc, s11, v1
	v_bfe_i32 v6, v6, 0, 16
	s_brev_b32 s10, 1
	v_cndmask_b32_e32 v1, v7, v9, vcc
	v_and_or_b32 v7, v6, s10, v1
.LBB120_1346:
	s_mov_b64 s[10:11], 0
	s_mov_b64 s[16:17], -1
.LBB120_1347:
	s_andn2_b64 vcc, exec, s[10:11]
	s_mov_b64 s[10:11], 0
	s_cbranch_vccnz .LBB120_1358
; %bb.1348:
	s_cmp_gt_i32 s22, 14
	s_cbranch_scc0 .LBB120_1351
; %bb.1349:
	s_cmp_eq_u32 s22, 15
	s_cbranch_scc0 .LBB120_1354
; %bb.1350:
	global_load_ushort v1, v[2:3], off
	s_mov_b64 s[0:1], 0
	s_mov_b64 s[16:17], -1
	s_waitcnt vmcnt(0)
	v_lshlrev_b32_e32 v7, 16, v1
	s_branch .LBB120_1355
.LBB120_1351:
	s_mov_b64 s[18:19], -1
                                        ; implicit-def: $vgpr7
	s_branch .LBB120_1356
.LBB120_1352:
	s_or_saveexec_b64 s[16:17], s[16:17]
	v_mov_b32_e32 v7, 0x7f800001
	s_xor_b64 exec, exec, s[16:17]
	s_cbranch_execz .LBB120_1333
.LBB120_1353:
	v_cmp_ne_u16_e32 vcc, 0, v1
	s_andn2_b64 s[10:11], s[10:11], exec
	s_and_b64 s[18:19], vcc, exec
	v_mov_b32_e32 v7, 0
	s_or_b64 s[10:11], s[10:11], s[18:19]
	s_or_b64 exec, exec, s[16:17]
	s_and_saveexec_b64 s[16:17], s[10:11]
	s_cbranch_execnz .LBB120_1334
	s_branch .LBB120_1335
.LBB120_1354:
	s_mov_b64 s[0:1], -1
                                        ; implicit-def: $vgpr7
.LBB120_1355:
	s_mov_b64 s[18:19], 0
.LBB120_1356:
	s_and_b64 vcc, exec, s[18:19]
	s_cbranch_vccz .LBB120_1358
; %bb.1357:
	s_cmp_lg_u32 s22, 11
	s_mov_b64 s[10:11], -1
	s_cselect_b64 s[0:1], -1, 0
.LBB120_1358:
	s_and_b64 vcc, exec, s[0:1]
	s_cbranch_vccnz .LBB120_1421
; %bb.1359:
	s_andn2_b64 vcc, exec, s[10:11]
	s_cbranch_vccnz .LBB120_1361
.LBB120_1360:
	global_load_ubyte v1, v[2:3], off
	s_mov_b64 s[16:17], -1
	s_waitcnt vmcnt(0)
	v_cmp_ne_u16_e32 vcc, 0, v1
	s_nop 1
	v_cndmask_b32_e64 v7, 0, 1.0, vcc
.LBB120_1361:
	s_branch .LBB120_1289
.LBB120_1362:
	s_cmp_lt_i32 s22, 5
	s_cbranch_scc1 .LBB120_1367
; %bb.1363:
	s_cmp_lt_i32 s22, 8
	s_cbranch_scc1 .LBB120_1368
; %bb.1364:
	;; [unrolled: 3-line block ×3, first 2 shown]
	s_cmp_gt_i32 s22, 9
	s_cbranch_scc0 .LBB120_1370
; %bb.1366:
	global_load_dwordx2 v[6:7], v[2:3], off
	s_mov_b64 s[0:1], 0
	s_waitcnt vmcnt(0)
	v_cvt_f32_f64_e32 v7, v[6:7]
	s_branch .LBB120_1371
.LBB120_1367:
	s_mov_b64 s[0:1], -1
                                        ; implicit-def: $vgpr7
	s_branch .LBB120_1389
.LBB120_1368:
	s_mov_b64 s[0:1], -1
                                        ; implicit-def: $vgpr7
	s_branch .LBB120_1377
.LBB120_1369:
	s_mov_b64 s[0:1], -1
                                        ; implicit-def: $vgpr7
	s_branch .LBB120_1374
.LBB120_1370:
	s_mov_b64 s[0:1], -1
                                        ; implicit-def: $vgpr7
.LBB120_1371:
	s_andn2_b64 vcc, exec, s[0:1]
	s_cbranch_vccnz .LBB120_1373
; %bb.1372:
	global_load_dword v7, v[2:3], off
.LBB120_1373:
	s_mov_b64 s[0:1], 0
.LBB120_1374:
	s_andn2_b64 vcc, exec, s[0:1]
	s_cbranch_vccnz .LBB120_1376
; %bb.1375:
	global_load_dword v1, v[2:3], off
	s_waitcnt vmcnt(0)
	v_cvt_f32_f16_e32 v7, v1
.LBB120_1376:
	s_mov_b64 s[0:1], 0
.LBB120_1377:
	s_andn2_b64 vcc, exec, s[0:1]
	s_cbranch_vccnz .LBB120_1388
; %bb.1378:
	s_cmp_lt_i32 s22, 6
	s_cbranch_scc1 .LBB120_1381
; %bb.1379:
	s_cmp_gt_i32 s22, 6
	s_cbranch_scc0 .LBB120_1382
; %bb.1380:
	global_load_dwordx2 v[6:7], v[2:3], off
	s_mov_b64 s[0:1], 0
	s_waitcnt vmcnt(0)
	v_cvt_f32_f64_e32 v7, v[6:7]
	s_branch .LBB120_1383
.LBB120_1381:
	s_mov_b64 s[0:1], -1
                                        ; implicit-def: $vgpr7
	s_branch .LBB120_1386
.LBB120_1382:
	s_mov_b64 s[0:1], -1
                                        ; implicit-def: $vgpr7
.LBB120_1383:
	s_andn2_b64 vcc, exec, s[0:1]
	s_cbranch_vccnz .LBB120_1385
; %bb.1384:
	global_load_dword v7, v[2:3], off
.LBB120_1385:
	s_mov_b64 s[0:1], 0
.LBB120_1386:
	s_andn2_b64 vcc, exec, s[0:1]
	s_cbranch_vccnz .LBB120_1388
; %bb.1387:
	global_load_ushort v1, v[2:3], off
	s_waitcnt vmcnt(0)
	v_cvt_f32_f16_e32 v7, v1
.LBB120_1388:
	s_mov_b64 s[0:1], 0
.LBB120_1389:
	s_andn2_b64 vcc, exec, s[0:1]
	s_cbranch_vccnz .LBB120_1409
; %bb.1390:
	s_cmp_lt_i32 s22, 2
	s_cbranch_scc1 .LBB120_1394
; %bb.1391:
	s_cmp_lt_i32 s22, 3
	s_cbranch_scc1 .LBB120_1395
; %bb.1392:
	s_cmp_gt_i32 s22, 3
	s_cbranch_scc0 .LBB120_1396
; %bb.1393:
	global_load_dwordx2 v[6:7], v[2:3], off
	s_mov_b64 s[0:1], 0
	s_waitcnt vmcnt(0)
	v_xor_b32_e32 v9, v6, v7
	v_ffbh_i32_e32 v1, v7
	v_ashrrev_i32_e32 v9, 31, v9
	v_add_u32_e32 v1, -1, v1
	v_add_u32_e32 v9, 32, v9
	v_min_u32_e32 v1, v1, v9
	v_lshlrev_b64 v[6:7], v1, v[6:7]
	v_min_u32_e32 v6, 1, v6
	v_or_b32_e32 v6, v7, v6
	v_cvt_f32_i32_e32 v6, v6
	v_sub_u32_e32 v1, 32, v1
	v_ldexp_f32 v7, v6, v1
	s_branch .LBB120_1397
.LBB120_1394:
	s_mov_b64 s[0:1], -1
                                        ; implicit-def: $vgpr7
	s_branch .LBB120_1403
.LBB120_1395:
	s_mov_b64 s[0:1], -1
                                        ; implicit-def: $vgpr7
	s_branch .LBB120_1400
.LBB120_1396:
	s_mov_b64 s[0:1], -1
                                        ; implicit-def: $vgpr7
.LBB120_1397:
	s_andn2_b64 vcc, exec, s[0:1]
	s_cbranch_vccnz .LBB120_1399
; %bb.1398:
	global_load_dword v1, v[2:3], off
	s_waitcnt vmcnt(0)
	v_cvt_f32_i32_e32 v7, v1
.LBB120_1399:
	s_mov_b64 s[0:1], 0
.LBB120_1400:
	s_andn2_b64 vcc, exec, s[0:1]
	s_cbranch_vccnz .LBB120_1402
; %bb.1401:
	global_load_sshort v1, v[2:3], off
	s_waitcnt vmcnt(0)
	v_cvt_f32_i32_e32 v7, v1
.LBB120_1402:
	s_mov_b64 s[0:1], 0
.LBB120_1403:
	s_andn2_b64 vcc, exec, s[0:1]
	s_cbranch_vccnz .LBB120_1409
; %bb.1404:
	s_cmp_gt_i32 s22, 0
	s_cbranch_scc0 .LBB120_1406
; %bb.1405:
	global_load_sbyte v1, v[2:3], off
	s_mov_b64 s[0:1], 0
	s_waitcnt vmcnt(0)
	v_cvt_f32_i32_e32 v7, v1
	s_branch .LBB120_1407
.LBB120_1406:
	s_mov_b64 s[0:1], -1
                                        ; implicit-def: $vgpr7
.LBB120_1407:
	s_andn2_b64 vcc, exec, s[0:1]
	s_cbranch_vccnz .LBB120_1409
; %bb.1408:
	global_load_ubyte v1, v[2:3], off
	s_waitcnt vmcnt(0)
	v_cvt_f32_ubyte0_e32 v7, v1
.LBB120_1409:
.LBB120_1410:
	v_add_u32_e32 v0, s9, v0
	v_ashrrev_i32_e32 v1, 31, v0
	s_cmp_lt_i32 s22, 11
	v_lshl_add_u64 v[0:1], s[6:7], 0, v[0:1]
	s_cbranch_scc1 .LBB120_1417
; %bb.1411:
	s_cmp_gt_i32 s22, 25
	s_mov_b64 s[6:7], 0
	s_cbranch_scc0 .LBB120_1418
; %bb.1412:
	s_cmp_gt_i32 s22, 28
	s_cbranch_scc0 .LBB120_1419
; %bb.1413:
	s_cmp_gt_i32 s22, 43
	;; [unrolled: 3-line block ×3, first 2 shown]
	s_cbranch_scc0 .LBB120_1422
; %bb.1415:
	s_cmp_eq_u32 s22, 46
	s_mov_b64 s[16:17], 0
	s_cbranch_scc0 .LBB120_1423
; %bb.1416:
	global_load_dword v2, v[0:1], off
	s_mov_b64 s[0:1], 0
	s_mov_b64 s[10:11], -1
	s_waitcnt vmcnt(0)
	v_lshlrev_b32_e32 v6, 16, v2
	s_branch .LBB120_1424
.LBB120_1417:
	s_mov_b64 s[0:1], -1
	s_mov_b64 s[10:11], 0
                                        ; implicit-def: $vgpr6
	s_branch .LBB120_1490
.LBB120_1418:
	s_mov_b64 s[16:17], -1
	s_mov_b64 s[10:11], 0
	s_mov_b64 s[0:1], 0
                                        ; implicit-def: $vgpr6
	s_branch .LBB120_1453
.LBB120_1419:
	s_mov_b64 s[16:17], -1
	s_mov_b64 s[10:11], 0
	s_mov_b64 s[0:1], 0
                                        ; implicit-def: $vgpr6
	s_branch .LBB120_1434
.LBB120_1420:
	s_mov_b64 s[16:17], -1
	s_mov_b64 s[10:11], 0
	s_mov_b64 s[0:1], 0
                                        ; implicit-def: $vgpr6
	s_branch .LBB120_1429
.LBB120_1421:
	s_trap 2
	s_or_b64 s[14:15], s[14:15], exec
	s_cbranch_execz .LBB120_1360
	s_branch .LBB120_1361
.LBB120_1422:
	s_mov_b64 s[16:17], -1
	s_mov_b64 s[10:11], 0
	s_mov_b64 s[0:1], 0
                                        ; implicit-def: $vgpr6
	s_branch .LBB120_1424
.LBB120_1423:
	s_mov_b64 s[0:1], -1
                                        ; implicit-def: $vgpr6
	s_mov_b64 s[10:11], 0
.LBB120_1424:
	s_and_b64 vcc, exec, s[16:17]
	s_cbranch_vccz .LBB120_1428
; %bb.1425:
	s_cmp_eq_u32 s22, 44
	s_cbranch_scc0 .LBB120_1427
; %bb.1426:
	global_load_ubyte v2, v[0:1], off
	s_movk_i32 s9, 0xff
	v_mov_b32_e32 v3, 0x7f800001
	v_mov_b32_e32 v6, 0x400000
	s_mov_b64 s[0:1], 0
	s_mov_b64 s[10:11], -1
	s_waitcnt vmcnt(0)
	v_lshlrev_b32_e32 v9, 23, v2
	v_cmp_ne_u32_e32 vcc, s9, v2
	s_nop 1
	v_cndmask_b32_e32 v3, v3, v9, vcc
	v_cmp_ne_u32_e32 vcc, 0, v2
	s_nop 1
	v_cndmask_b32_e32 v6, v6, v3, vcc
	s_branch .LBB120_1428
.LBB120_1427:
	s_mov_b64 s[0:1], -1
                                        ; implicit-def: $vgpr6
.LBB120_1428:
	s_mov_b64 s[16:17], 0
.LBB120_1429:
	s_and_b64 vcc, exec, s[16:17]
	s_cbranch_vccz .LBB120_1433
; %bb.1430:
	s_cmp_eq_u32 s22, 29
	s_cbranch_scc0 .LBB120_1432
; %bb.1431:
	global_load_dwordx2 v[2:3], v[0:1], off
	s_mov_b64 s[0:1], 0
	s_mov_b64 s[10:11], -1
	s_mov_b64 s[16:17], 0
	s_waitcnt vmcnt(0)
	v_ffbh_u32_e32 v6, v3
	v_min_u32_e32 v6, 32, v6
	v_lshlrev_b64 v[2:3], v6, v[2:3]
	v_min_u32_e32 v2, 1, v2
	v_or_b32_e32 v2, v3, v2
	v_cvt_f32_u32_e32 v2, v2
	v_sub_u32_e32 v3, 32, v6
	v_ldexp_f32 v6, v2, v3
	s_branch .LBB120_1434
.LBB120_1432:
	s_mov_b64 s[0:1], -1
                                        ; implicit-def: $vgpr6
.LBB120_1433:
	s_mov_b64 s[16:17], 0
.LBB120_1434:
	s_and_b64 vcc, exec, s[16:17]
	s_cbranch_vccz .LBB120_1452
; %bb.1435:
	s_cmp_lt_i32 s22, 27
	s_cbranch_scc1 .LBB120_1438
; %bb.1436:
	s_cmp_gt_i32 s22, 27
	s_cbranch_scc0 .LBB120_1439
; %bb.1437:
	global_load_dword v2, v[0:1], off
	s_mov_b64 s[10:11], 0
	s_waitcnt vmcnt(0)
	v_cvt_f32_u32_e32 v6, v2
	s_branch .LBB120_1440
.LBB120_1438:
	s_mov_b64 s[10:11], -1
                                        ; implicit-def: $vgpr6
	s_branch .LBB120_1443
.LBB120_1439:
	s_mov_b64 s[10:11], -1
                                        ; implicit-def: $vgpr6
.LBB120_1440:
	s_andn2_b64 vcc, exec, s[10:11]
	s_cbranch_vccnz .LBB120_1442
; %bb.1441:
	global_load_ushort v2, v[0:1], off
	s_waitcnt vmcnt(0)
	v_cvt_f32_u32_e32 v6, v2
.LBB120_1442:
	s_mov_b64 s[10:11], 0
.LBB120_1443:
	s_andn2_b64 vcc, exec, s[10:11]
	s_cbranch_vccnz .LBB120_1451
; %bb.1444:
	global_load_ubyte v2, v[0:1], off
	s_movk_i32 s9, 0x7f
	s_mov_b64 s[10:11], 0
	s_waitcnt vmcnt(0)
	v_cmp_lt_i16_e32 vcc, s9, v2
	s_and_saveexec_b64 s[16:17], vcc
	s_xor_b64 s[16:17], exec, s[16:17]
	s_cbranch_execz .LBB120_1465
; %bb.1445:
	s_movk_i32 s9, 0x80
	v_cmp_eq_u16_e32 vcc, s9, v2
	s_mov_b64 s[10:11], -1
	s_and_saveexec_b64 s[18:19], vcc
; %bb.1446:
	s_xor_b64 s[10:11], exec, -1
; %bb.1447:
	s_or_b64 exec, exec, s[18:19]
	s_and_b64 s[10:11], s[10:11], exec
	s_or_saveexec_b64 s[16:17], s[16:17]
	v_mov_b32_e32 v6, 0x7f800001
	s_xor_b64 exec, exec, s[16:17]
	s_cbranch_execnz .LBB120_1466
.LBB120_1448:
	s_or_b64 exec, exec, s[16:17]
	s_and_saveexec_b64 s[16:17], s[10:11]
	s_cbranch_execz .LBB120_1450
.LBB120_1449:
	v_lshlrev_b32_e32 v3, 24, v2
	v_and_b32_e32 v2, 0xffff, v2
	v_and_b32_e32 v6, 7, v2
	v_ffbh_u32_e32 v10, v6
	v_min_u32_e32 v10, 32, v10
	v_subrev_u32_e32 v11, 28, v10
	v_bfe_u32 v9, v2, 3, 4
	v_lshlrev_b32_e32 v2, v11, v2
	v_sub_u32_e32 v10, 29, v10
	v_and_b32_e32 v2, 7, v2
	v_cmp_eq_u32_e32 vcc, 0, v9
	v_and_b32_e32 v3, 0x80000000, v3
	s_nop 0
	v_cndmask_b32_e32 v9, v9, v10, vcc
	v_cndmask_b32_e32 v2, v6, v2, vcc
	v_mov_b32_e32 v6, 0x3b800000
	v_lshlrev_b32_e32 v2, 20, v2
	v_lshl_add_u32 v6, v9, 23, v6
	v_or3_b32 v6, v3, v6, v2
.LBB120_1450:
	s_or_b64 exec, exec, s[16:17]
.LBB120_1451:
	s_mov_b64 s[10:11], -1
.LBB120_1452:
	s_mov_b64 s[16:17], 0
.LBB120_1453:
	s_and_b64 vcc, exec, s[16:17]
	s_cbranch_vccz .LBB120_1486
; %bb.1454:
	s_cmp_gt_i32 s22, 22
	s_cbranch_scc0 .LBB120_1464
; %bb.1455:
	s_cmp_lt_i32 s22, 24
	s_cbranch_scc1 .LBB120_1467
; %bb.1456:
	s_cmp_gt_i32 s22, 24
	s_cbranch_scc0 .LBB120_1468
; %bb.1457:
	global_load_ubyte v2, v[0:1], off
	s_movk_i32 s6, 0x7f
	s_waitcnt vmcnt(0)
	v_cmp_lt_i16_e32 vcc, s6, v2
	s_mov_b64 s[6:7], 0
	s_and_saveexec_b64 s[10:11], vcc
	s_xor_b64 s[10:11], exec, s[10:11]
	s_cbranch_execz .LBB120_1480
; %bb.1458:
	s_movk_i32 s6, 0x80
	v_cmp_eq_u16_e32 vcc, s6, v2
	s_mov_b64 s[6:7], -1
	s_and_saveexec_b64 s[16:17], vcc
; %bb.1459:
	s_xor_b64 s[6:7], exec, -1
; %bb.1460:
	s_or_b64 exec, exec, s[16:17]
	s_and_b64 s[6:7], s[6:7], exec
	s_or_saveexec_b64 s[10:11], s[10:11]
	v_mov_b32_e32 v6, 0x7f800001
	s_xor_b64 exec, exec, s[10:11]
	s_cbranch_execnz .LBB120_1481
.LBB120_1461:
	s_or_b64 exec, exec, s[10:11]
	s_and_saveexec_b64 s[10:11], s[6:7]
	s_cbranch_execz .LBB120_1463
.LBB120_1462:
	v_lshlrev_b32_e32 v3, 24, v2
	v_and_b32_e32 v2, 0xffff, v2
	v_and_b32_e32 v6, 3, v2
	v_ffbh_u32_e32 v10, v6
	v_min_u32_e32 v10, 32, v10
	v_subrev_u32_e32 v11, 29, v10
	v_bfe_u32 v9, v2, 2, 5
	v_lshlrev_b32_e32 v2, v11, v2
	v_sub_u32_e32 v10, 30, v10
	v_and_b32_e32 v2, 3, v2
	v_cmp_eq_u32_e32 vcc, 0, v9
	v_and_b32_e32 v3, 0x80000000, v3
	s_nop 0
	v_cndmask_b32_e32 v9, v9, v10, vcc
	v_cndmask_b32_e32 v2, v6, v2, vcc
	v_mov_b32_e32 v6, 0x37800000
	v_lshlrev_b32_e32 v2, 21, v2
	v_lshl_add_u32 v6, v9, 23, v6
	v_or3_b32 v6, v3, v6, v2
.LBB120_1463:
	s_or_b64 exec, exec, s[10:11]
	s_mov_b64 s[6:7], 0
	s_branch .LBB120_1469
.LBB120_1464:
	s_mov_b64 s[6:7], -1
                                        ; implicit-def: $vgpr6
	s_branch .LBB120_1475
.LBB120_1465:
	s_or_saveexec_b64 s[16:17], s[16:17]
	v_mov_b32_e32 v6, 0x7f800001
	s_xor_b64 exec, exec, s[16:17]
	s_cbranch_execz .LBB120_1448
.LBB120_1466:
	v_cmp_ne_u16_e32 vcc, 0, v2
	s_andn2_b64 s[10:11], s[10:11], exec
	s_and_b64 s[18:19], vcc, exec
	v_mov_b32_e32 v6, 0
	s_or_b64 s[10:11], s[10:11], s[18:19]
	s_or_b64 exec, exec, s[16:17]
	s_and_saveexec_b64 s[16:17], s[10:11]
	s_cbranch_execnz .LBB120_1449
	s_branch .LBB120_1450
.LBB120_1467:
	s_mov_b64 s[6:7], -1
                                        ; implicit-def: $vgpr6
	s_branch .LBB120_1472
.LBB120_1468:
	s_mov_b64 s[6:7], -1
                                        ; implicit-def: $vgpr6
.LBB120_1469:
	s_and_b64 vcc, exec, s[6:7]
	s_cbranch_vccz .LBB120_1471
; %bb.1470:
	global_load_ubyte v2, v[0:1], off
	s_mov_b32 s6, 0x7f800000
	s_waitcnt vmcnt(0)
	v_lshlrev_b32_e32 v2, 24, v2
	v_and_b32_e32 v3, 0x7f000000, v2
	v_ffbh_u32_e32 v6, v3
	v_min_u32_e32 v6, 32, v6
	v_sub_u32_e64 v6, v6, 4 clamp
	v_lshlrev_b32_e32 v10, v6, v3
	v_lshlrev_b32_e32 v6, 23, v6
	v_lshrrev_b32_e32 v10, 4, v10
	v_add_u32_e32 v9, 0x1000000, v3
	v_sub_u32_e32 v6, v10, v6
	v_ashrrev_i32_e32 v9, 8, v9
	v_add_u32_e32 v6, 0x3c000000, v6
	v_and_or_b32 v6, v9, s6, v6
	v_cmp_ne_u32_e32 vcc, 0, v3
	s_brev_b32 s6, 1
	s_nop 0
	v_cndmask_b32_e32 v3, 0, v6, vcc
	v_and_or_b32 v6, v2, s6, v3
.LBB120_1471:
	s_mov_b64 s[6:7], 0
.LBB120_1472:
	s_andn2_b64 vcc, exec, s[6:7]
	s_cbranch_vccnz .LBB120_1474
; %bb.1473:
	global_load_ubyte v2, v[0:1], off
	s_movk_i32 s6, 0x7f00
	s_brev_b32 s7, 16
	s_waitcnt vmcnt(0)
	v_lshlrev_b16_e32 v3, 8, v2
	v_lshlrev_b32_e32 v2, 25, v2
	v_lshrrev_b32_e32 v6, 4, v2
	v_and_or_b32 v9, v3, s6, 0.5
	v_or_b32_e32 v6, 0x70000000, v6
	v_add_f32_e32 v9, -0.5, v9
	v_mul_f32_e32 v6, 0x7800000, v6
	v_cmp_gt_u32_e32 vcc, s7, v2
	v_bfe_i32 v3, v3, 0, 16
	s_brev_b32 s6, 1
	v_cndmask_b32_e32 v2, v6, v9, vcc
	v_and_or_b32 v6, v3, s6, v2
.LBB120_1474:
	s_mov_b64 s[6:7], 0
	s_mov_b64 s[10:11], -1
.LBB120_1475:
	s_andn2_b64 vcc, exec, s[6:7]
	s_mov_b64 s[6:7], 0
	s_cbranch_vccnz .LBB120_1486
; %bb.1476:
	s_cmp_gt_i32 s22, 14
	s_cbranch_scc0 .LBB120_1479
; %bb.1477:
	s_cmp_eq_u32 s22, 15
	s_cbranch_scc0 .LBB120_1482
; %bb.1478:
	global_load_ushort v2, v[0:1], off
	s_mov_b64 s[0:1], 0
	s_mov_b64 s[10:11], -1
	s_waitcnt vmcnt(0)
	v_lshlrev_b32_e32 v6, 16, v2
	s_branch .LBB120_1483
.LBB120_1479:
	s_mov_b64 s[16:17], -1
                                        ; implicit-def: $vgpr6
	s_branch .LBB120_1484
.LBB120_1480:
	s_or_saveexec_b64 s[10:11], s[10:11]
	v_mov_b32_e32 v6, 0x7f800001
	s_xor_b64 exec, exec, s[10:11]
	s_cbranch_execz .LBB120_1461
.LBB120_1481:
	v_cmp_ne_u16_e32 vcc, 0, v2
	s_andn2_b64 s[6:7], s[6:7], exec
	s_and_b64 s[16:17], vcc, exec
	v_mov_b32_e32 v6, 0
	s_or_b64 s[6:7], s[6:7], s[16:17]
	s_or_b64 exec, exec, s[10:11]
	s_and_saveexec_b64 s[10:11], s[6:7]
	s_cbranch_execnz .LBB120_1462
	s_branch .LBB120_1463
.LBB120_1482:
	s_mov_b64 s[0:1], -1
                                        ; implicit-def: $vgpr6
.LBB120_1483:
	s_mov_b64 s[16:17], 0
.LBB120_1484:
	s_and_b64 vcc, exec, s[16:17]
	s_cbranch_vccz .LBB120_1486
; %bb.1485:
	s_cmp_lg_u32 s22, 11
	s_mov_b64 s[6:7], -1
	s_cselect_b64 s[0:1], -1, 0
.LBB120_1486:
	s_and_b64 vcc, exec, s[0:1]
	s_cbranch_vccnz .LBB120_2019
; %bb.1487:
	s_andn2_b64 vcc, exec, s[6:7]
	s_cbranch_vccnz .LBB120_1489
.LBB120_1488:
	global_load_ubyte v2, v[0:1], off
	s_mov_b64 s[10:11], -1
	s_waitcnt vmcnt(0)
	v_cmp_ne_u16_e32 vcc, 0, v2
	s_nop 1
	v_cndmask_b32_e64 v6, 0, 1.0, vcc
.LBB120_1489:
	s_mov_b64 s[0:1], 0
.LBB120_1490:
	s_and_b64 vcc, exec, s[0:1]
	s_cbranch_vccz .LBB120_1539
; %bb.1491:
	s_cmp_lt_i32 s22, 5
	s_cbranch_scc1 .LBB120_1496
; %bb.1492:
	s_cmp_lt_i32 s22, 8
	s_cbranch_scc1 .LBB120_1497
	;; [unrolled: 3-line block ×3, first 2 shown]
; %bb.1494:
	s_cmp_gt_i32 s22, 9
	s_cbranch_scc0 .LBB120_1499
; %bb.1495:
	global_load_dwordx2 v[2:3], v[0:1], off
	s_mov_b64 s[0:1], 0
	s_waitcnt vmcnt(0)
	v_cvt_f32_f64_e32 v6, v[2:3]
	s_branch .LBB120_1500
.LBB120_1496:
	s_mov_b64 s[0:1], -1
                                        ; implicit-def: $vgpr6
	s_branch .LBB120_1518
.LBB120_1497:
	s_mov_b64 s[0:1], -1
                                        ; implicit-def: $vgpr6
	s_branch .LBB120_1506
.LBB120_1498:
	s_mov_b64 s[0:1], -1
                                        ; implicit-def: $vgpr6
	s_branch .LBB120_1503
.LBB120_1499:
	s_mov_b64 s[0:1], -1
                                        ; implicit-def: $vgpr6
.LBB120_1500:
	s_andn2_b64 vcc, exec, s[0:1]
	s_cbranch_vccnz .LBB120_1502
; %bb.1501:
	global_load_dword v6, v[0:1], off
.LBB120_1502:
	s_mov_b64 s[0:1], 0
.LBB120_1503:
	s_andn2_b64 vcc, exec, s[0:1]
	s_cbranch_vccnz .LBB120_1505
; %bb.1504:
	global_load_dword v2, v[0:1], off
	s_waitcnt vmcnt(0)
	v_cvt_f32_f16_e32 v6, v2
.LBB120_1505:
	s_mov_b64 s[0:1], 0
.LBB120_1506:
	s_andn2_b64 vcc, exec, s[0:1]
	s_cbranch_vccnz .LBB120_1517
; %bb.1507:
	s_cmp_lt_i32 s22, 6
	s_cbranch_scc1 .LBB120_1510
; %bb.1508:
	s_cmp_gt_i32 s22, 6
	s_cbranch_scc0 .LBB120_1511
; %bb.1509:
	global_load_dwordx2 v[2:3], v[0:1], off
	s_mov_b64 s[0:1], 0
	s_waitcnt vmcnt(0)
	v_cvt_f32_f64_e32 v6, v[2:3]
	s_branch .LBB120_1512
.LBB120_1510:
	s_mov_b64 s[0:1], -1
                                        ; implicit-def: $vgpr6
	s_branch .LBB120_1515
.LBB120_1511:
	s_mov_b64 s[0:1], -1
                                        ; implicit-def: $vgpr6
.LBB120_1512:
	s_andn2_b64 vcc, exec, s[0:1]
	s_cbranch_vccnz .LBB120_1514
; %bb.1513:
	global_load_dword v6, v[0:1], off
.LBB120_1514:
	s_mov_b64 s[0:1], 0
.LBB120_1515:
	s_andn2_b64 vcc, exec, s[0:1]
	s_cbranch_vccnz .LBB120_1517
; %bb.1516:
	global_load_ushort v2, v[0:1], off
	s_waitcnt vmcnt(0)
	v_cvt_f32_f16_e32 v6, v2
.LBB120_1517:
	s_mov_b64 s[0:1], 0
.LBB120_1518:
	s_andn2_b64 vcc, exec, s[0:1]
	s_cbranch_vccnz .LBB120_1538
; %bb.1519:
	s_cmp_lt_i32 s22, 2
	s_cbranch_scc1 .LBB120_1523
; %bb.1520:
	s_cmp_lt_i32 s22, 3
	s_cbranch_scc1 .LBB120_1524
; %bb.1521:
	s_cmp_gt_i32 s22, 3
	s_cbranch_scc0 .LBB120_1525
; %bb.1522:
	global_load_dwordx2 v[2:3], v[0:1], off
	s_mov_b64 s[0:1], 0
	s_waitcnt vmcnt(0)
	v_xor_b32_e32 v9, v2, v3
	v_ffbh_i32_e32 v6, v3
	v_ashrrev_i32_e32 v9, 31, v9
	v_add_u32_e32 v6, -1, v6
	v_add_u32_e32 v9, 32, v9
	v_min_u32_e32 v6, v6, v9
	v_lshlrev_b64 v[2:3], v6, v[2:3]
	v_min_u32_e32 v2, 1, v2
	v_or_b32_e32 v2, v3, v2
	v_cvt_f32_i32_e32 v2, v2
	v_sub_u32_e32 v3, 32, v6
	v_ldexp_f32 v6, v2, v3
	s_branch .LBB120_1526
.LBB120_1523:
	s_mov_b64 s[0:1], -1
                                        ; implicit-def: $vgpr6
	s_branch .LBB120_1532
.LBB120_1524:
	s_mov_b64 s[0:1], -1
                                        ; implicit-def: $vgpr6
	s_branch .LBB120_1529
.LBB120_1525:
	s_mov_b64 s[0:1], -1
                                        ; implicit-def: $vgpr6
.LBB120_1526:
	s_andn2_b64 vcc, exec, s[0:1]
	s_cbranch_vccnz .LBB120_1528
; %bb.1527:
	global_load_dword v2, v[0:1], off
	s_waitcnt vmcnt(0)
	v_cvt_f32_i32_e32 v6, v2
.LBB120_1528:
	s_mov_b64 s[0:1], 0
.LBB120_1529:
	s_andn2_b64 vcc, exec, s[0:1]
	s_cbranch_vccnz .LBB120_1531
; %bb.1530:
	global_load_sshort v2, v[0:1], off
	s_waitcnt vmcnt(0)
	v_cvt_f32_i32_e32 v6, v2
.LBB120_1531:
	s_mov_b64 s[0:1], 0
.LBB120_1532:
	s_andn2_b64 vcc, exec, s[0:1]
	s_cbranch_vccnz .LBB120_1538
; %bb.1533:
	s_cmp_gt_i32 s22, 0
	s_cbranch_scc0 .LBB120_1535
; %bb.1534:
	global_load_sbyte v2, v[0:1], off
	s_mov_b64 s[0:1], 0
	s_waitcnt vmcnt(0)
	v_cvt_f32_i32_e32 v6, v2
	s_branch .LBB120_1536
.LBB120_1535:
	s_mov_b64 s[0:1], -1
                                        ; implicit-def: $vgpr6
.LBB120_1536:
	s_andn2_b64 vcc, exec, s[0:1]
	s_cbranch_vccnz .LBB120_1538
; %bb.1537:
	global_load_ubyte v0, v[0:1], off
	s_waitcnt vmcnt(0)
	v_cvt_f32_ubyte0_e32 v6, v0
.LBB120_1538:
	s_mov_b64 s[10:11], -1
.LBB120_1539:
	s_andn2_b64 vcc, exec, s[10:11]
	s_cbranch_vccnz .LBB120_1973
; %bb.1540:
	s_waitcnt vmcnt(0)
	v_mul_f32_e32 v0, 0x3fb8aa3b, v4
	v_rndne_f32_e32 v0, v0
	v_fmamk_f32 v1, v0, 0xbf317218, v4
	v_fmamk_f32 v1, v0, 0x3102e308, v1
	v_mov_b32_e32 v2, 0x3ab69700
	v_fmac_f32_e32 v2, 0x395133b1, v1
	v_fmaak_f32 v2, v1, v2, 0x3c0887f9
	v_fmaak_f32 v2, v1, v2, 0x3d2aaa81
	v_cvt_i32_f32_e32 v3, v0
	v_fmaak_f32 v2, v1, v2, 0x3e2aaaab
	v_fma_f32 v2, v1, v2, 0.5
	v_mul_f32_e32 v2, v1, v2
	s_mov_b32 s0, 0x43000000
	v_fmac_f32_e32 v1, v1, v2
	v_ldexp_f32 v2, 1.0, v3
	v_mov_b32_e32 v3, 0x7f000000
	v_cmp_eq_f32_e32 vcc, s0, v0
	s_mov_b32 s0, 0x42b17217
	s_and_b32 s20, s33, 0xff
	v_cndmask_b32_e32 v0, v2, v3, vcc
	v_add_f32_e32 v2, -1.0, v0
	v_fmac_f32_e32 v2, v0, v1
	v_add_f32_e32 v0, v2, v2
	v_cndmask_b32_e32 v0, v2, v0, vcc
	v_mov_b32_e32 v1, 0x7f800000
	v_cmp_nlt_f32_e32 vcc, s0, v4
	s_mov_b32 s0, 0xc1880000
	s_cmp_lt_i32 s20, 11
	v_cndmask_b32_e32 v0, v1, v0, vcc
	v_cmp_ngt_f32_e32 vcc, s0, v4
	s_nop 1
	v_cndmask_b32_e32 v4, -1.0, v0, vcc
	v_mul_lo_u32 v0, s8, v5
	v_ashrrev_i32_e32 v1, 31, v0
	v_lshl_add_u64 v[2:3], s[4:5], 0, v[0:1]
	s_cbranch_scc1 .LBB120_1618
; %bb.1541:
	s_and_b32 s9, 0xffff, s20
	s_mov_b64 s[16:17], -1
	s_mov_b64 s[6:7], 0
	s_cmp_gt_i32 s9, 25
	s_mov_b64 s[10:11], 0
	s_mov_b64 s[0:1], 0
	s_cbranch_scc0 .LBB120_1574
; %bb.1542:
	s_cmp_gt_i32 s9, 28
	s_cbranch_scc0 .LBB120_1557
; %bb.1543:
	s_cmp_gt_i32 s9, 43
	;; [unrolled: 3-line block ×3, first 2 shown]
	s_cbranch_scc0 .LBB120_1547
; %bb.1545:
	s_mov_b64 s[0:1], -1
	s_mov_b64 s[16:17], 0
	s_cmp_eq_u32 s9, 46
	s_cbranch_scc0 .LBB120_1547
; %bb.1546:
	v_bfe_u32 v1, v4, 16, 1
	s_movk_i32 s0, 0x7fff
	v_add3_u32 v1, v4, v1, s0
	v_cmp_o_f32_e32 vcc, v4, v4
	v_mov_b32_e32 v5, 0x7fc0
	s_mov_b64 s[0:1], 0
	v_cndmask_b32_sdwa v1, v5, v1, vcc dst_sel:DWORD dst_unused:UNUSED_PAD src0_sel:DWORD src1_sel:WORD_1
	global_store_dword v[2:3], v1, off
	s_mov_b64 s[10:11], -1
.LBB120_1547:
	s_and_b64 vcc, exec, s[16:17]
	s_cbranch_vccz .LBB120_1552
; %bb.1548:
	s_cmp_eq_u32 s9, 44
	s_mov_b64 s[0:1], -1
	s_cbranch_scc0 .LBB120_1552
; %bb.1549:
	v_bfe_u32 v1, v4, 23, 8
	s_movk_i32 s0, 0xff
	v_cmp_ne_u32_e32 vcc, s0, v1
	v_mov_b32_e32 v5, 0xff
	s_and_saveexec_b64 s[10:11], vcc
; %bb.1550:
	s_mov_b32 s0, 0x3fffff
	v_and_b32_e32 v9, 0x400000, v4
	v_and_or_b32 v1, v4, s0, v1
	v_cmp_ne_u32_e32 vcc, 0, v9
	v_cmp_ne_u32_e64 s[0:1], 0, v1
	s_and_b64 s[0:1], vcc, s[0:1]
	v_lshrrev_b32_e32 v5, 23, v4
	v_cndmask_b32_e64 v1, 0, 1, s[0:1]
	v_add_u32_e32 v5, v5, v1
; %bb.1551:
	s_or_b64 exec, exec, s[10:11]
	s_mov_b64 s[0:1], 0
	s_mov_b64 s[10:11], -1
	global_store_byte v[2:3], v5, off
.LBB120_1552:
	s_mov_b64 s[16:17], 0
.LBB120_1553:
	s_and_b64 vcc, exec, s[16:17]
	s_cbranch_vccz .LBB120_1556
; %bb.1554:
	s_cmp_eq_u32 s9, 29
	s_mov_b64 s[0:1], -1
	s_cbranch_scc0 .LBB120_1556
; %bb.1555:
	v_trunc_f32_e32 v1, v4
	v_mul_f32_e32 v5, 0x2f800000, v1
	v_floor_f32_e32 v5, v5
	v_fmamk_f32 v1, v5, 0xcf800000, v1
	v_cvt_u32_f32_e32 v11, v5
	v_cvt_u32_f32_e32 v10, v1
	s_mov_b64 s[0:1], 0
	s_mov_b64 s[10:11], -1
	global_store_dwordx2 v[2:3], v[10:11], off
.LBB120_1556:
	s_mov_b64 s[16:17], 0
.LBB120_1557:
	s_and_b64 vcc, exec, s[16:17]
	s_cbranch_vccz .LBB120_1573
; %bb.1558:
	s_cmp_lt_i32 s9, 27
	s_mov_b64 s[10:11], -1
	s_cbranch_scc1 .LBB120_1564
; %bb.1559:
	v_cvt_u32_f32_e32 v1, v4
	s_cmp_gt_i32 s9, 27
	s_cbranch_scc0 .LBB120_1561
; %bb.1560:
	s_mov_b64 s[10:11], 0
	global_store_dword v[2:3], v1, off
.LBB120_1561:
	s_andn2_b64 vcc, exec, s[10:11]
	s_cbranch_vccnz .LBB120_1563
; %bb.1562:
	global_store_short v[2:3], v1, off
.LBB120_1563:
	s_mov_b64 s[10:11], 0
.LBB120_1564:
	s_andn2_b64 vcc, exec, s[10:11]
	s_cbranch_vccnz .LBB120_1572
; %bb.1565:
	v_and_b32_e32 v1, 0x7fffffff, v4
	s_mov_b32 s10, 0x43800000
	v_cmp_gt_u32_e32 vcc, s10, v1
	v_mov_b32_e32 v5, 0x80
	s_and_saveexec_b64 s[10:11], vcc
	s_cbranch_execz .LBB120_1571
; %bb.1566:
	s_mov_b32 s16, 0x3bffffff
	v_cmp_lt_u32_e32 vcc, s16, v1
	s_mov_b64 s[16:17], 0
                                        ; implicit-def: $vgpr1
	s_and_saveexec_b64 s[18:19], vcc
	s_xor_b64 s[18:19], exec, s[18:19]
	s_cbranch_execz .LBB120_2020
; %bb.1567:
	v_bfe_u32 v1, v4, 20, 1
	s_mov_b32 s21, 0x487ffff
	v_add3_u32 v1, v4, v1, s21
	s_mov_b64 s[16:17], exec
	v_lshrrev_b32_e32 v1, 20, v1
	s_andn2_saveexec_b64 s[18:19], s[18:19]
	s_cbranch_execnz .LBB120_2021
.LBB120_1568:
	s_or_b64 exec, exec, s[18:19]
	v_mov_b32_e32 v5, 0
	s_and_saveexec_b64 s[18:19], s[16:17]
.LBB120_1569:
	v_lshrrev_b32_e32 v5, 24, v4
	s_movk_i32 s16, 0x80
	v_and_or_b32 v5, v5, s16, v1
.LBB120_1570:
	s_or_b64 exec, exec, s[18:19]
.LBB120_1571:
	s_or_b64 exec, exec, s[10:11]
	global_store_byte v[2:3], v5, off
.LBB120_1572:
	s_mov_b64 s[10:11], -1
.LBB120_1573:
	s_mov_b64 s[16:17], 0
.LBB120_1574:
	s_and_b64 vcc, exec, s[16:17]
	s_cbranch_vccz .LBB120_1614
; %bb.1575:
	s_cmp_gt_i32 s9, 22
	s_mov_b64 s[6:7], -1
	s_cbranch_scc0 .LBB120_1607
; %bb.1576:
	s_cmp_lt_i32 s9, 24
	s_cbranch_scc1 .LBB120_1596
; %bb.1577:
	s_cmp_gt_i32 s9, 24
	s_cbranch_scc0 .LBB120_1585
; %bb.1578:
	v_and_b32_e32 v1, 0x7fffffff, v4
	s_mov_b32 s6, 0x47800000
	v_cmp_gt_u32_e32 vcc, s6, v1
	v_mov_b32_e32 v5, 0x80
	s_and_saveexec_b64 s[6:7], vcc
	s_cbranch_execz .LBB120_1584
; %bb.1579:
	s_mov_b32 s10, 0x37ffffff
	v_cmp_lt_u32_e32 vcc, s10, v1
	s_mov_b64 s[10:11], 0
                                        ; implicit-def: $vgpr1
	s_and_saveexec_b64 s[16:17], vcc
	s_xor_b64 s[16:17], exec, s[16:17]
	s_cbranch_execz .LBB120_2023
; %bb.1580:
	v_bfe_u32 v1, v4, 21, 1
	s_mov_b32 s18, 0x88fffff
	v_add3_u32 v1, v4, v1, s18
	s_mov_b64 s[10:11], exec
	v_lshrrev_b32_e32 v1, 21, v1
	s_andn2_saveexec_b64 s[16:17], s[16:17]
	s_cbranch_execnz .LBB120_2024
.LBB120_1581:
	s_or_b64 exec, exec, s[16:17]
	v_mov_b32_e32 v5, 0
	s_and_saveexec_b64 s[16:17], s[10:11]
.LBB120_1582:
	v_lshrrev_b32_e32 v5, 24, v4
	s_movk_i32 s10, 0x80
	v_and_or_b32 v5, v5, s10, v1
.LBB120_1583:
	s_or_b64 exec, exec, s[16:17]
.LBB120_1584:
	s_or_b64 exec, exec, s[6:7]
	s_mov_b64 s[6:7], 0
	global_store_byte v[2:3], v5, off
.LBB120_1585:
	s_and_b64 vcc, exec, s[6:7]
	s_cbranch_vccz .LBB120_1595
; %bb.1586:
	v_and_b32_e32 v5, 0x7fffffff, v4
	s_mov_b32 s6, 0x43f00000
	v_cmp_gt_u32_e32 vcc, s6, v5
                                        ; implicit-def: $vgpr1
	s_and_saveexec_b64 s[6:7], vcc
	s_xor_b64 s[6:7], exec, s[6:7]
	s_cbranch_execz .LBB120_1592
; %bb.1587:
	s_mov_b32 s10, 0x3c7fffff
	v_cmp_lt_u32_e32 vcc, s10, v5
                                        ; implicit-def: $vgpr1
	s_and_saveexec_b64 s[10:11], vcc
	s_xor_b64 s[10:11], exec, s[10:11]
; %bb.1588:
	v_bfe_u32 v1, v4, 20, 1
	s_mov_b32 s16, 0x407ffff
	v_add3_u32 v1, v4, v1, s16
	v_lshrrev_b32_e32 v5, 20, v1
	v_and_b32_e32 v1, 0xff00000, v1
	s_mov_b32 s16, 0x7f00000
	v_mov_b32_e32 v9, 0x7e
	v_cmp_ne_u32_e32 vcc, s16, v1
	s_nop 1
	v_cndmask_b32_e32 v1, v9, v5, vcc
; %bb.1589:
	s_andn2_saveexec_b64 s[10:11], s[10:11]
; %bb.1590:
	s_mov_b32 s16, 0x46800000
	v_add_f32_e64 v1, |v4|, s16
; %bb.1591:
	s_or_b64 exec, exec, s[10:11]
                                        ; implicit-def: $vgpr5
.LBB120_1592:
	s_andn2_saveexec_b64 s[6:7], s[6:7]
; %bb.1593:
	s_mov_b32 s10, 0x7f800000
	v_mov_b32_e32 v1, 0x7e
	v_mov_b32_e32 v9, 0x7f
	v_cmp_lt_u32_e32 vcc, s10, v5
	s_nop 1
	v_cndmask_b32_e32 v1, v1, v9, vcc
; %bb.1594:
	s_or_b64 exec, exec, s[6:7]
	v_lshrrev_b32_e32 v5, 24, v4
	s_movk_i32 s6, 0x80
	v_and_or_b32 v1, v5, s6, v1
	global_store_byte v[2:3], v1, off
.LBB120_1595:
	s_mov_b64 s[6:7], 0
.LBB120_1596:
	s_andn2_b64 vcc, exec, s[6:7]
	s_cbranch_vccnz .LBB120_1606
; %bb.1597:
	v_and_b32_e32 v5, 0x7fffffff, v4
	s_mov_b32 s6, 0x47800000
	v_cmp_gt_u32_e32 vcc, s6, v5
                                        ; implicit-def: $vgpr1
	s_and_saveexec_b64 s[6:7], vcc
	s_xor_b64 s[6:7], exec, s[6:7]
	s_cbranch_execz .LBB120_1603
; %bb.1598:
	s_mov_b32 s10, 0x387fffff
	v_cmp_lt_u32_e32 vcc, s10, v5
                                        ; implicit-def: $vgpr1
	s_and_saveexec_b64 s[10:11], vcc
	s_xor_b64 s[10:11], exec, s[10:11]
; %bb.1599:
	v_bfe_u32 v1, v4, 21, 1
	s_mov_b32 s16, 0x80fffff
	v_add3_u32 v1, v4, v1, s16
	v_lshrrev_b32_e32 v1, 21, v1
; %bb.1600:
	s_andn2_saveexec_b64 s[10:11], s[10:11]
; %bb.1601:
	s_mov_b32 s16, 0x43000000
	v_add_f32_e64 v1, |v4|, s16
; %bb.1602:
	s_or_b64 exec, exec, s[10:11]
                                        ; implicit-def: $vgpr5
.LBB120_1603:
	s_andn2_saveexec_b64 s[6:7], s[6:7]
; %bb.1604:
	s_mov_b32 s10, 0x7f800000
	v_mov_b32_e32 v1, 0x7c
	v_mov_b32_e32 v9, 0x7f
	v_cmp_lt_u32_e32 vcc, s10, v5
	s_nop 1
	v_cndmask_b32_e32 v1, v1, v9, vcc
; %bb.1605:
	s_or_b64 exec, exec, s[6:7]
	v_lshrrev_b32_e32 v5, 24, v4
	s_movk_i32 s6, 0x80
	v_and_or_b32 v1, v5, s6, v1
	global_store_byte v[2:3], v1, off
.LBB120_1606:
	s_mov_b64 s[6:7], 0
	s_mov_b64 s[10:11], -1
.LBB120_1607:
	s_andn2_b64 vcc, exec, s[6:7]
	s_mov_b64 s[6:7], 0
	s_cbranch_vccnz .LBB120_1614
; %bb.1608:
	s_cmp_gt_i32 s9, 14
	s_mov_b64 s[16:17], -1
	s_cbranch_scc0 .LBB120_1612
; %bb.1609:
	s_cmp_eq_u32 s9, 15
	s_mov_b64 s[0:1], -1
	s_cbranch_scc0 .LBB120_1611
; %bb.1610:
	v_bfe_u32 v1, v4, 16, 1
	s_movk_i32 s0, 0x7fff
	v_add3_u32 v1, v4, v1, s0
	v_cmp_o_f32_e32 vcc, v4, v4
	v_mov_b32_e32 v5, 0x7fc0
	s_mov_b64 s[0:1], 0
	v_cndmask_b32_sdwa v1, v5, v1, vcc dst_sel:DWORD dst_unused:UNUSED_PAD src0_sel:DWORD src1_sel:WORD_1
	global_store_short v[2:3], v1, off
	s_mov_b64 s[10:11], -1
.LBB120_1611:
	s_mov_b64 s[16:17], 0
.LBB120_1612:
	s_and_b64 vcc, exec, s[16:17]
	s_cbranch_vccz .LBB120_1614
; %bb.1613:
	s_cmp_lg_u32 s9, 11
	s_mov_b64 s[6:7], -1
	s_cselect_b64 s[0:1], -1, 0
.LBB120_1614:
	s_and_b64 vcc, exec, s[0:1]
	s_cbranch_vccnz .LBB120_2022
; %bb.1615:
	s_andn2_b64 vcc, exec, s[6:7]
	s_cbranch_vccnz .LBB120_1617
.LBB120_1616:
	v_cmp_neq_f32_e32 vcc, 0, v4
	s_mov_b64 s[10:11], -1
	s_nop 0
	v_cndmask_b32_e64 v1, 0, 1, vcc
	global_store_byte v[2:3], v1, off
.LBB120_1617:
	s_mov_b64 s[0:1], 0
	s_branch .LBB120_1619
.LBB120_1618:
	s_mov_b64 s[0:1], -1
	s_mov_b64 s[10:11], 0
.LBB120_1619:
	s_and_b64 vcc, exec, s[0:1]
	s_cbranch_vccz .LBB120_1658
; %bb.1620:
	s_and_b32 s6, 0xffff, s20
	s_cmp_lt_i32 s6, 5
	s_mov_b64 s[0:1], -1
	s_cbranch_scc1 .LBB120_1641
; %bb.1621:
	s_cmp_lt_i32 s6, 8
	s_cbranch_scc1 .LBB120_1631
; %bb.1622:
	s_cmp_lt_i32 s6, 9
	s_cbranch_scc1 .LBB120_1628
; %bb.1623:
	s_cmp_gt_i32 s6, 9
	s_cbranch_scc0 .LBB120_1625
; %bb.1624:
	v_mov_b32_e32 v12, 0
	v_cvt_f64_f32_e32 v[10:11], v4
	v_mov_b32_e32 v13, v12
	global_store_dwordx4 v[2:3], v[10:13], off
	s_mov_b64 s[0:1], 0
.LBB120_1625:
	s_andn2_b64 vcc, exec, s[0:1]
	s_cbranch_vccnz .LBB120_1627
; %bb.1626:
	v_mov_b32_e32 v5, 0
	global_store_dwordx2 v[2:3], v[4:5], off
.LBB120_1627:
	s_mov_b64 s[0:1], 0
.LBB120_1628:
	s_andn2_b64 vcc, exec, s[0:1]
	s_cbranch_vccnz .LBB120_1630
; %bb.1629:
	v_cvt_f16_f32_e32 v1, v4
	global_store_dword v[2:3], v1, off
.LBB120_1630:
	s_mov_b64 s[0:1], 0
.LBB120_1631:
	s_andn2_b64 vcc, exec, s[0:1]
	s_cbranch_vccnz .LBB120_1640
; %bb.1632:
	s_cmp_lt_i32 s6, 6
	s_mov_b64 s[0:1], -1
	s_cbranch_scc1 .LBB120_1638
; %bb.1633:
	s_cmp_gt_i32 s6, 6
	s_cbranch_scc0 .LBB120_1635
; %bb.1634:
	v_cvt_f64_f32_e32 v[10:11], v4
	global_store_dwordx2 v[2:3], v[10:11], off
	s_mov_b64 s[0:1], 0
.LBB120_1635:
	s_andn2_b64 vcc, exec, s[0:1]
	s_cbranch_vccnz .LBB120_1637
; %bb.1636:
	global_store_dword v[2:3], v4, off
.LBB120_1637:
	s_mov_b64 s[0:1], 0
.LBB120_1638:
	s_andn2_b64 vcc, exec, s[0:1]
	s_cbranch_vccnz .LBB120_1640
; %bb.1639:
	v_cvt_f16_f32_e32 v1, v4
	global_store_short v[2:3], v1, off
.LBB120_1640:
	s_mov_b64 s[0:1], 0
.LBB120_1641:
	s_andn2_b64 vcc, exec, s[0:1]
	s_cbranch_vccnz .LBB120_1657
; %bb.1642:
	s_cmp_lt_i32 s6, 2
	s_mov_b64 s[0:1], -1
	s_cbranch_scc1 .LBB120_1652
; %bb.1643:
	s_cmp_lt_i32 s6, 3
	s_cbranch_scc1 .LBB120_1649
; %bb.1644:
	s_cmp_gt_i32 s6, 3
	s_cbranch_scc0 .LBB120_1646
; %bb.1645:
	v_trunc_f32_e32 v1, v4
	s_mov_b32 s0, 0x2f800000
	v_mul_f32_e64 v5, |v1|, s0
	v_floor_f32_e32 v5, v5
	s_mov_b32 s0, 0xcf800000
	v_cvt_u32_f32_e32 v9, v5
	v_fma_f32 v5, v5, s0, |v1|
	v_cvt_u32_f32_e32 v5, v5
	v_ashrrev_i32_e32 v1, 31, v1
	v_xor_b32_e32 v9, v9, v1
	s_mov_b64 s[0:1], 0
	v_xor_b32_e32 v5, v5, v1
	v_sub_co_u32_e32 v10, vcc, v5, v1
	s_nop 1
	v_subb_co_u32_e32 v11, vcc, v9, v1, vcc
	global_store_dwordx2 v[2:3], v[10:11], off
.LBB120_1646:
	s_andn2_b64 vcc, exec, s[0:1]
	s_cbranch_vccnz .LBB120_1648
; %bb.1647:
	v_cvt_i32_f32_e32 v1, v4
	global_store_dword v[2:3], v1, off
.LBB120_1648:
	s_mov_b64 s[0:1], 0
.LBB120_1649:
	s_andn2_b64 vcc, exec, s[0:1]
	s_cbranch_vccnz .LBB120_1651
; %bb.1650:
	v_cvt_i32_f32_e32 v1, v4
	global_store_short v[2:3], v1, off
.LBB120_1651:
	s_mov_b64 s[0:1], 0
.LBB120_1652:
	s_andn2_b64 vcc, exec, s[0:1]
	s_cbranch_vccnz .LBB120_1657
; %bb.1653:
	s_cmp_gt_i32 s6, 0
	s_mov_b64 s[0:1], -1
	s_cbranch_scc0 .LBB120_1655
; %bb.1654:
	v_cvt_i32_f32_e32 v1, v4
	s_mov_b64 s[0:1], 0
	global_store_byte v[2:3], v1, off
.LBB120_1655:
	s_andn2_b64 vcc, exec, s[0:1]
	s_cbranch_vccnz .LBB120_1657
; %bb.1656:
	v_trunc_f32_e32 v1, v4
	s_mov_b32 s0, 0x2f800000
	v_mul_f32_e64 v4, |v1|, s0
	v_floor_f32_e32 v4, v4
	s_mov_b32 s0, 0xcf800000
	v_fma_f32 v4, v4, s0, |v1|
	v_cvt_u32_f32_e32 v4, v4
	v_ashrrev_i32_e32 v1, 31, v1
	v_xor_b32_e32 v4, v4, v1
	v_sub_u32_e32 v1, v4, v1
	global_store_byte v[2:3], v1, off
.LBB120_1657:
	s_mov_b64 s[10:11], -1
.LBB120_1658:
	s_andn2_b64 vcc, exec, s[10:11]
	s_cbranch_vccnz .LBB120_1973
; %bb.1659:
	v_mul_f32_e32 v1, 0x3fb8aa3b, v8
	v_rndne_f32_e32 v1, v1
	v_fmamk_f32 v2, v1, 0xbf317218, v8
	v_fmamk_f32 v2, v1, 0x3102e308, v2
	v_mov_b32_e32 v3, 0x3ab69700
	v_fmac_f32_e32 v3, 0x395133b1, v2
	v_fmaak_f32 v3, v2, v3, 0x3c0887f9
	v_fmaak_f32 v3, v2, v3, 0x3d2aaa81
	v_cvt_i32_f32_e32 v4, v1
	v_fmaak_f32 v3, v2, v3, 0x3e2aaaab
	v_fma_f32 v3, v2, v3, 0.5
	v_mul_f32_e32 v3, v2, v3
	s_mov_b32 s0, 0x43000000
	v_fmac_f32_e32 v2, v2, v3
	v_ldexp_f32 v3, 1.0, v4
	v_mov_b32_e32 v4, 0x7f000000
	v_cmp_eq_f32_e32 vcc, s0, v1
	s_mov_b32 s0, 0x42b17217
	s_lshl_b32 s18, s8, 7
	v_cndmask_b32_e32 v1, v3, v4, vcc
	v_add_f32_e32 v3, -1.0, v1
	v_fmac_f32_e32 v3, v1, v2
	v_add_f32_e32 v1, v3, v3
	v_cndmask_b32_e32 v1, v3, v1, vcc
	v_mov_b32_e32 v2, 0x7f800000
	v_cmp_nlt_f32_e32 vcc, s0, v8
	s_mov_b32 s0, 0xc1880000
	v_add_u32_e32 v0, s18, v0
	v_cndmask_b32_e32 v1, v2, v1, vcc
	v_cmp_ngt_f32_e32 vcc, s0, v8
	s_cmp_lt_i32 s20, 11
	s_nop 0
	v_cndmask_b32_e32 v4, -1.0, v1, vcc
	v_ashrrev_i32_e32 v1, 31, v0
	v_lshl_add_u64 v[2:3], s[4:5], 0, v[0:1]
	s_cbranch_scc1 .LBB120_1737
; %bb.1660:
	s_and_b32 s19, 0xffff, s20
	s_mov_b64 s[10:11], -1
	s_mov_b64 s[6:7], 0
	s_cmp_gt_i32 s19, 25
	s_mov_b64 s[8:9], 0
	s_mov_b64 s[0:1], 0
	s_cbranch_scc0 .LBB120_1693
; %bb.1661:
	s_cmp_gt_i32 s19, 28
	s_cbranch_scc0 .LBB120_1676
; %bb.1662:
	s_cmp_gt_i32 s19, 43
	;; [unrolled: 3-line block ×3, first 2 shown]
	s_cbranch_scc0 .LBB120_1666
; %bb.1664:
	s_mov_b64 s[0:1], -1
	s_mov_b64 s[10:11], 0
	s_cmp_eq_u32 s19, 46
	s_cbranch_scc0 .LBB120_1666
; %bb.1665:
	v_bfe_u32 v1, v4, 16, 1
	s_movk_i32 s0, 0x7fff
	v_add3_u32 v1, v4, v1, s0
	v_cmp_o_f32_e32 vcc, v4, v4
	v_mov_b32_e32 v5, 0x7fc0
	s_mov_b64 s[0:1], 0
	v_cndmask_b32_sdwa v1, v5, v1, vcc dst_sel:DWORD dst_unused:UNUSED_PAD src0_sel:DWORD src1_sel:WORD_1
	global_store_dword v[2:3], v1, off
	s_mov_b64 s[8:9], -1
.LBB120_1666:
	s_and_b64 vcc, exec, s[10:11]
	s_cbranch_vccz .LBB120_1671
; %bb.1667:
	s_cmp_eq_u32 s19, 44
	s_mov_b64 s[0:1], -1
	s_cbranch_scc0 .LBB120_1671
; %bb.1668:
	v_bfe_u32 v1, v4, 23, 8
	s_movk_i32 s0, 0xff
	v_cmp_ne_u32_e32 vcc, s0, v1
	v_mov_b32_e32 v5, 0xff
	s_and_saveexec_b64 s[8:9], vcc
; %bb.1669:
	s_mov_b32 s0, 0x3fffff
	v_and_b32_e32 v8, 0x400000, v4
	v_and_or_b32 v1, v4, s0, v1
	v_cmp_ne_u32_e32 vcc, 0, v8
	v_cmp_ne_u32_e64 s[0:1], 0, v1
	s_and_b64 s[0:1], vcc, s[0:1]
	v_lshrrev_b32_e32 v5, 23, v4
	v_cndmask_b32_e64 v1, 0, 1, s[0:1]
	v_add_u32_e32 v5, v5, v1
; %bb.1670:
	s_or_b64 exec, exec, s[8:9]
	s_mov_b64 s[0:1], 0
	s_mov_b64 s[8:9], -1
	global_store_byte v[2:3], v5, off
.LBB120_1671:
	s_mov_b64 s[10:11], 0
.LBB120_1672:
	s_and_b64 vcc, exec, s[10:11]
	s_cbranch_vccz .LBB120_1675
; %bb.1673:
	s_cmp_eq_u32 s19, 29
	s_mov_b64 s[0:1], -1
	s_cbranch_scc0 .LBB120_1675
; %bb.1674:
	v_trunc_f32_e32 v1, v4
	v_mul_f32_e32 v5, 0x2f800000, v1
	v_floor_f32_e32 v5, v5
	v_fmamk_f32 v1, v5, 0xcf800000, v1
	v_cvt_u32_f32_e32 v9, v5
	v_cvt_u32_f32_e32 v8, v1
	s_mov_b64 s[0:1], 0
	s_mov_b64 s[8:9], -1
	global_store_dwordx2 v[2:3], v[8:9], off
.LBB120_1675:
	s_mov_b64 s[10:11], 0
.LBB120_1676:
	s_and_b64 vcc, exec, s[10:11]
	s_cbranch_vccz .LBB120_1692
; %bb.1677:
	s_cmp_lt_i32 s19, 27
	s_mov_b64 s[8:9], -1
	s_cbranch_scc1 .LBB120_1683
; %bb.1678:
	v_cvt_u32_f32_e32 v1, v4
	s_cmp_gt_i32 s19, 27
	s_cbranch_scc0 .LBB120_1680
; %bb.1679:
	s_mov_b64 s[8:9], 0
	global_store_dword v[2:3], v1, off
.LBB120_1680:
	s_andn2_b64 vcc, exec, s[8:9]
	s_cbranch_vccnz .LBB120_1682
; %bb.1681:
	global_store_short v[2:3], v1, off
.LBB120_1682:
	s_mov_b64 s[8:9], 0
.LBB120_1683:
	s_andn2_b64 vcc, exec, s[8:9]
	s_cbranch_vccnz .LBB120_1691
; %bb.1684:
	v_and_b32_e32 v1, 0x7fffffff, v4
	s_mov_b32 s8, 0x43800000
	v_cmp_gt_u32_e32 vcc, s8, v1
	v_mov_b32_e32 v5, 0x80
	s_and_saveexec_b64 s[8:9], vcc
	s_cbranch_execz .LBB120_1690
; %bb.1685:
	s_mov_b32 s10, 0x3bffffff
	v_cmp_lt_u32_e32 vcc, s10, v1
	s_mov_b64 s[10:11], 0
                                        ; implicit-def: $vgpr1
	s_and_saveexec_b64 s[16:17], vcc
	s_xor_b64 s[16:17], exec, s[16:17]
	s_cbranch_execz .LBB120_2025
; %bb.1686:
	v_bfe_u32 v1, v4, 20, 1
	s_mov_b32 s21, 0x487ffff
	v_add3_u32 v1, v4, v1, s21
	s_mov_b64 s[10:11], exec
	v_lshrrev_b32_e32 v1, 20, v1
	s_andn2_saveexec_b64 s[16:17], s[16:17]
	s_cbranch_execnz .LBB120_2026
.LBB120_1687:
	s_or_b64 exec, exec, s[16:17]
	v_mov_b32_e32 v5, 0
	s_and_saveexec_b64 s[16:17], s[10:11]
.LBB120_1688:
	v_lshrrev_b32_e32 v5, 24, v4
	s_movk_i32 s10, 0x80
	v_and_or_b32 v5, v5, s10, v1
.LBB120_1689:
	s_or_b64 exec, exec, s[16:17]
.LBB120_1690:
	s_or_b64 exec, exec, s[8:9]
	global_store_byte v[2:3], v5, off
.LBB120_1691:
	s_mov_b64 s[8:9], -1
.LBB120_1692:
	s_mov_b64 s[10:11], 0
.LBB120_1693:
	s_and_b64 vcc, exec, s[10:11]
	s_cbranch_vccz .LBB120_1733
; %bb.1694:
	s_cmp_gt_i32 s19, 22
	s_mov_b64 s[6:7], -1
	s_cbranch_scc0 .LBB120_1726
; %bb.1695:
	s_cmp_lt_i32 s19, 24
	s_cbranch_scc1 .LBB120_1715
; %bb.1696:
	s_cmp_gt_i32 s19, 24
	s_cbranch_scc0 .LBB120_1704
; %bb.1697:
	v_and_b32_e32 v1, 0x7fffffff, v4
	s_mov_b32 s6, 0x47800000
	v_cmp_gt_u32_e32 vcc, s6, v1
	v_mov_b32_e32 v5, 0x80
	s_and_saveexec_b64 s[6:7], vcc
	s_cbranch_execz .LBB120_1703
; %bb.1698:
	s_mov_b32 s8, 0x37ffffff
	v_cmp_lt_u32_e32 vcc, s8, v1
	s_mov_b64 s[8:9], 0
                                        ; implicit-def: $vgpr1
	s_and_saveexec_b64 s[10:11], vcc
	s_xor_b64 s[10:11], exec, s[10:11]
	s_cbranch_execz .LBB120_2028
; %bb.1699:
	v_bfe_u32 v1, v4, 21, 1
	s_mov_b32 s16, 0x88fffff
	v_add3_u32 v1, v4, v1, s16
	s_mov_b64 s[8:9], exec
	v_lshrrev_b32_e32 v1, 21, v1
	s_andn2_saveexec_b64 s[10:11], s[10:11]
	s_cbranch_execnz .LBB120_2029
.LBB120_1700:
	s_or_b64 exec, exec, s[10:11]
	v_mov_b32_e32 v5, 0
	s_and_saveexec_b64 s[10:11], s[8:9]
.LBB120_1701:
	v_lshrrev_b32_e32 v5, 24, v4
	s_movk_i32 s8, 0x80
	v_and_or_b32 v5, v5, s8, v1
.LBB120_1702:
	s_or_b64 exec, exec, s[10:11]
.LBB120_1703:
	s_or_b64 exec, exec, s[6:7]
	s_mov_b64 s[6:7], 0
	global_store_byte v[2:3], v5, off
.LBB120_1704:
	s_and_b64 vcc, exec, s[6:7]
	s_cbranch_vccz .LBB120_1714
; %bb.1705:
	v_and_b32_e32 v5, 0x7fffffff, v4
	s_mov_b32 s6, 0x43f00000
	v_cmp_gt_u32_e32 vcc, s6, v5
                                        ; implicit-def: $vgpr1
	s_and_saveexec_b64 s[6:7], vcc
	s_xor_b64 s[6:7], exec, s[6:7]
	s_cbranch_execz .LBB120_1711
; %bb.1706:
	s_mov_b32 s8, 0x3c7fffff
	v_cmp_lt_u32_e32 vcc, s8, v5
                                        ; implicit-def: $vgpr1
	s_and_saveexec_b64 s[8:9], vcc
	s_xor_b64 s[8:9], exec, s[8:9]
; %bb.1707:
	v_bfe_u32 v1, v4, 20, 1
	s_mov_b32 s10, 0x407ffff
	v_add3_u32 v1, v4, v1, s10
	v_lshrrev_b32_e32 v5, 20, v1
	v_and_b32_e32 v1, 0xff00000, v1
	s_mov_b32 s10, 0x7f00000
	v_mov_b32_e32 v8, 0x7e
	v_cmp_ne_u32_e32 vcc, s10, v1
	s_nop 1
	v_cndmask_b32_e32 v1, v8, v5, vcc
; %bb.1708:
	s_andn2_saveexec_b64 s[8:9], s[8:9]
; %bb.1709:
	s_mov_b32 s10, 0x46800000
	v_add_f32_e64 v1, |v4|, s10
; %bb.1710:
	s_or_b64 exec, exec, s[8:9]
                                        ; implicit-def: $vgpr5
.LBB120_1711:
	s_andn2_saveexec_b64 s[6:7], s[6:7]
; %bb.1712:
	s_mov_b32 s8, 0x7f800000
	v_mov_b32_e32 v1, 0x7e
	v_mov_b32_e32 v8, 0x7f
	v_cmp_lt_u32_e32 vcc, s8, v5
	s_nop 1
	v_cndmask_b32_e32 v1, v1, v8, vcc
; %bb.1713:
	s_or_b64 exec, exec, s[6:7]
	v_lshrrev_b32_e32 v5, 24, v4
	s_movk_i32 s6, 0x80
	v_and_or_b32 v1, v5, s6, v1
	global_store_byte v[2:3], v1, off
.LBB120_1714:
	s_mov_b64 s[6:7], 0
.LBB120_1715:
	s_andn2_b64 vcc, exec, s[6:7]
	s_cbranch_vccnz .LBB120_1725
; %bb.1716:
	v_and_b32_e32 v5, 0x7fffffff, v4
	s_mov_b32 s6, 0x47800000
	v_cmp_gt_u32_e32 vcc, s6, v5
                                        ; implicit-def: $vgpr1
	s_and_saveexec_b64 s[6:7], vcc
	s_xor_b64 s[6:7], exec, s[6:7]
	s_cbranch_execz .LBB120_1722
; %bb.1717:
	s_mov_b32 s8, 0x387fffff
	v_cmp_lt_u32_e32 vcc, s8, v5
                                        ; implicit-def: $vgpr1
	s_and_saveexec_b64 s[8:9], vcc
	s_xor_b64 s[8:9], exec, s[8:9]
; %bb.1718:
	v_bfe_u32 v1, v4, 21, 1
	s_mov_b32 s10, 0x80fffff
	v_add3_u32 v1, v4, v1, s10
	v_lshrrev_b32_e32 v1, 21, v1
; %bb.1719:
	s_andn2_saveexec_b64 s[8:9], s[8:9]
; %bb.1720:
	s_mov_b32 s10, 0x43000000
	v_add_f32_e64 v1, |v4|, s10
; %bb.1721:
	s_or_b64 exec, exec, s[8:9]
                                        ; implicit-def: $vgpr5
.LBB120_1722:
	s_andn2_saveexec_b64 s[6:7], s[6:7]
; %bb.1723:
	s_mov_b32 s8, 0x7f800000
	v_mov_b32_e32 v1, 0x7c
	v_mov_b32_e32 v8, 0x7f
	v_cmp_lt_u32_e32 vcc, s8, v5
	s_nop 1
	v_cndmask_b32_e32 v1, v1, v8, vcc
; %bb.1724:
	s_or_b64 exec, exec, s[6:7]
	v_lshrrev_b32_e32 v5, 24, v4
	s_movk_i32 s6, 0x80
	v_and_or_b32 v1, v5, s6, v1
	global_store_byte v[2:3], v1, off
.LBB120_1725:
	s_mov_b64 s[6:7], 0
	s_mov_b64 s[8:9], -1
.LBB120_1726:
	s_andn2_b64 vcc, exec, s[6:7]
	s_mov_b64 s[6:7], 0
	s_cbranch_vccnz .LBB120_1733
; %bb.1727:
	s_cmp_gt_i32 s19, 14
	s_mov_b64 s[10:11], -1
	s_cbranch_scc0 .LBB120_1731
; %bb.1728:
	s_cmp_eq_u32 s19, 15
	s_mov_b64 s[0:1], -1
	s_cbranch_scc0 .LBB120_1730
; %bb.1729:
	v_bfe_u32 v1, v4, 16, 1
	s_movk_i32 s0, 0x7fff
	v_add3_u32 v1, v4, v1, s0
	v_cmp_o_f32_e32 vcc, v4, v4
	v_mov_b32_e32 v5, 0x7fc0
	s_mov_b64 s[0:1], 0
	v_cndmask_b32_sdwa v1, v5, v1, vcc dst_sel:DWORD dst_unused:UNUSED_PAD src0_sel:DWORD src1_sel:WORD_1
	global_store_short v[2:3], v1, off
	s_mov_b64 s[8:9], -1
.LBB120_1730:
	s_mov_b64 s[10:11], 0
.LBB120_1731:
	s_and_b64 vcc, exec, s[10:11]
	s_cbranch_vccz .LBB120_1733
; %bb.1732:
	s_cmp_lg_u32 s19, 11
	s_mov_b64 s[6:7], -1
	s_cselect_b64 s[0:1], -1, 0
.LBB120_1733:
	s_and_b64 vcc, exec, s[0:1]
	s_cbranch_vccnz .LBB120_2027
; %bb.1734:
	s_andn2_b64 vcc, exec, s[6:7]
	s_cbranch_vccnz .LBB120_1736
.LBB120_1735:
	v_cmp_neq_f32_e32 vcc, 0, v4
	s_mov_b64 s[8:9], -1
	s_nop 0
	v_cndmask_b32_e64 v1, 0, 1, vcc
	global_store_byte v[2:3], v1, off
.LBB120_1736:
	s_mov_b64 s[0:1], 0
	s_branch .LBB120_1738
.LBB120_1737:
	s_mov_b64 s[0:1], -1
	s_mov_b64 s[8:9], 0
.LBB120_1738:
	s_and_b64 vcc, exec, s[0:1]
	s_cbranch_vccz .LBB120_1777
; %bb.1739:
	s_and_b32 s6, 0xffff, s20
	s_cmp_lt_i32 s6, 5
	s_mov_b64 s[0:1], -1
	s_cbranch_scc1 .LBB120_1760
; %bb.1740:
	s_cmp_lt_i32 s6, 8
	s_cbranch_scc1 .LBB120_1750
; %bb.1741:
	s_cmp_lt_i32 s6, 9
	s_cbranch_scc1 .LBB120_1747
; %bb.1742:
	s_cmp_gt_i32 s6, 9
	s_cbranch_scc0 .LBB120_1744
; %bb.1743:
	v_mov_b32_e32 v10, 0
	v_cvt_f64_f32_e32 v[8:9], v4
	v_mov_b32_e32 v11, v10
	global_store_dwordx4 v[2:3], v[8:11], off
	s_mov_b64 s[0:1], 0
.LBB120_1744:
	s_andn2_b64 vcc, exec, s[0:1]
	s_cbranch_vccnz .LBB120_1746
; %bb.1745:
	v_mov_b32_e32 v5, 0
	global_store_dwordx2 v[2:3], v[4:5], off
.LBB120_1746:
	s_mov_b64 s[0:1], 0
.LBB120_1747:
	s_andn2_b64 vcc, exec, s[0:1]
	s_cbranch_vccnz .LBB120_1749
; %bb.1748:
	v_cvt_f16_f32_e32 v1, v4
	global_store_dword v[2:3], v1, off
.LBB120_1749:
	s_mov_b64 s[0:1], 0
.LBB120_1750:
	s_andn2_b64 vcc, exec, s[0:1]
	s_cbranch_vccnz .LBB120_1759
; %bb.1751:
	s_cmp_lt_i32 s6, 6
	s_mov_b64 s[0:1], -1
	s_cbranch_scc1 .LBB120_1757
; %bb.1752:
	s_cmp_gt_i32 s6, 6
	s_cbranch_scc0 .LBB120_1754
; %bb.1753:
	v_cvt_f64_f32_e32 v[8:9], v4
	global_store_dwordx2 v[2:3], v[8:9], off
	s_mov_b64 s[0:1], 0
.LBB120_1754:
	s_andn2_b64 vcc, exec, s[0:1]
	s_cbranch_vccnz .LBB120_1756
; %bb.1755:
	global_store_dword v[2:3], v4, off
.LBB120_1756:
	s_mov_b64 s[0:1], 0
.LBB120_1757:
	s_andn2_b64 vcc, exec, s[0:1]
	s_cbranch_vccnz .LBB120_1759
; %bb.1758:
	v_cvt_f16_f32_e32 v1, v4
	global_store_short v[2:3], v1, off
.LBB120_1759:
	s_mov_b64 s[0:1], 0
.LBB120_1760:
	s_andn2_b64 vcc, exec, s[0:1]
	s_cbranch_vccnz .LBB120_1776
; %bb.1761:
	s_cmp_lt_i32 s6, 2
	s_mov_b64 s[0:1], -1
	s_cbranch_scc1 .LBB120_1771
; %bb.1762:
	s_cmp_lt_i32 s6, 3
	s_cbranch_scc1 .LBB120_1768
; %bb.1763:
	s_cmp_gt_i32 s6, 3
	s_cbranch_scc0 .LBB120_1765
; %bb.1764:
	v_trunc_f32_e32 v1, v4
	s_mov_b32 s0, 0x2f800000
	v_mul_f32_e64 v5, |v1|, s0
	v_floor_f32_e32 v5, v5
	s_mov_b32 s0, 0xcf800000
	v_cvt_u32_f32_e32 v8, v5
	v_fma_f32 v5, v5, s0, |v1|
	v_cvt_u32_f32_e32 v5, v5
	v_ashrrev_i32_e32 v1, 31, v1
	v_xor_b32_e32 v9, v8, v1
	s_mov_b64 s[0:1], 0
	v_xor_b32_e32 v5, v5, v1
	v_sub_co_u32_e32 v8, vcc, v5, v1
	s_nop 1
	v_subb_co_u32_e32 v9, vcc, v9, v1, vcc
	global_store_dwordx2 v[2:3], v[8:9], off
.LBB120_1765:
	s_andn2_b64 vcc, exec, s[0:1]
	s_cbranch_vccnz .LBB120_1767
; %bb.1766:
	v_cvt_i32_f32_e32 v1, v4
	global_store_dword v[2:3], v1, off
.LBB120_1767:
	s_mov_b64 s[0:1], 0
.LBB120_1768:
	s_andn2_b64 vcc, exec, s[0:1]
	s_cbranch_vccnz .LBB120_1770
; %bb.1769:
	v_cvt_i32_f32_e32 v1, v4
	global_store_short v[2:3], v1, off
.LBB120_1770:
	s_mov_b64 s[0:1], 0
.LBB120_1771:
	s_andn2_b64 vcc, exec, s[0:1]
	s_cbranch_vccnz .LBB120_1776
; %bb.1772:
	s_cmp_gt_i32 s6, 0
	s_mov_b64 s[0:1], -1
	s_cbranch_scc0 .LBB120_1774
; %bb.1773:
	v_cvt_i32_f32_e32 v1, v4
	s_mov_b64 s[0:1], 0
	global_store_byte v[2:3], v1, off
.LBB120_1774:
	s_andn2_b64 vcc, exec, s[0:1]
	s_cbranch_vccnz .LBB120_1776
; %bb.1775:
	v_trunc_f32_e32 v1, v4
	s_mov_b32 s0, 0x2f800000
	v_mul_f32_e64 v4, |v1|, s0
	v_floor_f32_e32 v4, v4
	s_mov_b32 s0, 0xcf800000
	v_fma_f32 v4, v4, s0, |v1|
	v_cvt_u32_f32_e32 v4, v4
	v_ashrrev_i32_e32 v1, 31, v1
	v_xor_b32_e32 v4, v4, v1
	v_sub_u32_e32 v1, v4, v1
	global_store_byte v[2:3], v1, off
.LBB120_1776:
	s_mov_b64 s[8:9], -1
.LBB120_1777:
	s_andn2_b64 vcc, exec, s[8:9]
	s_cbranch_vccnz .LBB120_1973
; %bb.1778:
	v_mul_f32_e32 v1, 0x3fb8aa3b, v7
	v_rndne_f32_e32 v1, v1
	v_fmamk_f32 v2, v1, 0xbf317218, v7
	v_fmamk_f32 v2, v1, 0x3102e308, v2
	v_mov_b32_e32 v3, 0x3ab69700
	v_fmac_f32_e32 v3, 0x395133b1, v2
	v_fmaak_f32 v3, v2, v3, 0x3c0887f9
	v_fmaak_f32 v3, v2, v3, 0x3d2aaa81
	v_cvt_i32_f32_e32 v4, v1
	v_fmaak_f32 v3, v2, v3, 0x3e2aaaab
	v_fma_f32 v3, v2, v3, 0.5
	v_mul_f32_e32 v3, v2, v3
	s_mov_b32 s0, 0x43000000
	v_fmac_f32_e32 v2, v2, v3
	v_ldexp_f32 v3, 1.0, v4
	v_mov_b32_e32 v4, 0x7f000000
	v_cmp_eq_f32_e32 vcc, s0, v1
	s_mov_b32 s0, 0x42b17217
	v_add_u32_e32 v0, s18, v0
	v_cndmask_b32_e32 v1, v3, v4, vcc
	v_add_f32_e32 v3, -1.0, v1
	v_fmac_f32_e32 v3, v1, v2
	v_add_f32_e32 v1, v3, v3
	v_cndmask_b32_e32 v1, v3, v1, vcc
	v_mov_b32_e32 v2, 0x7f800000
	v_cmp_nlt_f32_e32 vcc, s0, v7
	s_mov_b32 s0, 0xc1880000
	s_cmp_lt_i32 s20, 11
	v_cndmask_b32_e32 v1, v2, v1, vcc
	v_cmp_ngt_f32_e32 vcc, s0, v7
	s_nop 1
	v_cndmask_b32_e32 v4, -1.0, v1, vcc
	v_ashrrev_i32_e32 v1, 31, v0
	v_lshl_add_u64 v[2:3], s[4:5], 0, v[0:1]
	s_cbranch_scc1 .LBB120_1856
; %bb.1779:
	s_and_b32 s19, 0xffff, s20
	s_mov_b64 s[10:11], -1
	s_mov_b64 s[6:7], 0
	s_cmp_gt_i32 s19, 25
	s_mov_b64 s[8:9], 0
	s_mov_b64 s[0:1], 0
	s_cbranch_scc0 .LBB120_1812
; %bb.1780:
	s_cmp_gt_i32 s19, 28
	s_cbranch_scc0 .LBB120_1795
; %bb.1781:
	s_cmp_gt_i32 s19, 43
	;; [unrolled: 3-line block ×3, first 2 shown]
	s_cbranch_scc0 .LBB120_1785
; %bb.1783:
	s_mov_b64 s[0:1], -1
	s_mov_b64 s[10:11], 0
	s_cmp_eq_u32 s19, 46
	s_cbranch_scc0 .LBB120_1785
; %bb.1784:
	v_bfe_u32 v1, v4, 16, 1
	s_movk_i32 s0, 0x7fff
	v_add3_u32 v1, v4, v1, s0
	v_cmp_o_f32_e32 vcc, v4, v4
	v_mov_b32_e32 v5, 0x7fc0
	s_mov_b64 s[0:1], 0
	v_cndmask_b32_sdwa v1, v5, v1, vcc dst_sel:DWORD dst_unused:UNUSED_PAD src0_sel:DWORD src1_sel:WORD_1
	global_store_dword v[2:3], v1, off
	s_mov_b64 s[8:9], -1
.LBB120_1785:
	s_and_b64 vcc, exec, s[10:11]
	s_cbranch_vccz .LBB120_1790
; %bb.1786:
	s_cmp_eq_u32 s19, 44
	s_mov_b64 s[0:1], -1
	s_cbranch_scc0 .LBB120_1790
; %bb.1787:
	v_bfe_u32 v1, v4, 23, 8
	s_movk_i32 s0, 0xff
	v_cmp_ne_u32_e32 vcc, s0, v1
	v_mov_b32_e32 v5, 0xff
	s_and_saveexec_b64 s[8:9], vcc
; %bb.1788:
	s_mov_b32 s0, 0x3fffff
	v_and_b32_e32 v7, 0x400000, v4
	v_and_or_b32 v1, v4, s0, v1
	v_cmp_ne_u32_e32 vcc, 0, v7
	v_cmp_ne_u32_e64 s[0:1], 0, v1
	s_and_b64 s[0:1], vcc, s[0:1]
	v_lshrrev_b32_e32 v5, 23, v4
	v_cndmask_b32_e64 v1, 0, 1, s[0:1]
	v_add_u32_e32 v5, v5, v1
; %bb.1789:
	s_or_b64 exec, exec, s[8:9]
	s_mov_b64 s[0:1], 0
	s_mov_b64 s[8:9], -1
	global_store_byte v[2:3], v5, off
.LBB120_1790:
	s_mov_b64 s[10:11], 0
.LBB120_1791:
	s_and_b64 vcc, exec, s[10:11]
	s_cbranch_vccz .LBB120_1794
; %bb.1792:
	s_cmp_eq_u32 s19, 29
	s_mov_b64 s[0:1], -1
	s_cbranch_scc0 .LBB120_1794
; %bb.1793:
	v_trunc_f32_e32 v1, v4
	v_mul_f32_e32 v5, 0x2f800000, v1
	v_floor_f32_e32 v5, v5
	v_fmamk_f32 v1, v5, 0xcf800000, v1
	v_cvt_u32_f32_e32 v9, v5
	v_cvt_u32_f32_e32 v8, v1
	s_mov_b64 s[0:1], 0
	s_mov_b64 s[8:9], -1
	global_store_dwordx2 v[2:3], v[8:9], off
.LBB120_1794:
	s_mov_b64 s[10:11], 0
.LBB120_1795:
	s_and_b64 vcc, exec, s[10:11]
	s_cbranch_vccz .LBB120_1811
; %bb.1796:
	s_cmp_lt_i32 s19, 27
	s_mov_b64 s[8:9], -1
	s_cbranch_scc1 .LBB120_1802
; %bb.1797:
	v_cvt_u32_f32_e32 v1, v4
	s_cmp_gt_i32 s19, 27
	s_cbranch_scc0 .LBB120_1799
; %bb.1798:
	s_mov_b64 s[8:9], 0
	global_store_dword v[2:3], v1, off
.LBB120_1799:
	s_andn2_b64 vcc, exec, s[8:9]
	s_cbranch_vccnz .LBB120_1801
; %bb.1800:
	global_store_short v[2:3], v1, off
.LBB120_1801:
	s_mov_b64 s[8:9], 0
.LBB120_1802:
	s_andn2_b64 vcc, exec, s[8:9]
	s_cbranch_vccnz .LBB120_1810
; %bb.1803:
	v_and_b32_e32 v1, 0x7fffffff, v4
	s_mov_b32 s8, 0x43800000
	v_cmp_gt_u32_e32 vcc, s8, v1
	v_mov_b32_e32 v5, 0x80
	s_and_saveexec_b64 s[8:9], vcc
	s_cbranch_execz .LBB120_1809
; %bb.1804:
	s_mov_b32 s10, 0x3bffffff
	v_cmp_lt_u32_e32 vcc, s10, v1
	s_mov_b64 s[10:11], 0
                                        ; implicit-def: $vgpr1
	s_and_saveexec_b64 s[16:17], vcc
	s_xor_b64 s[16:17], exec, s[16:17]
	s_cbranch_execz .LBB120_2030
; %bb.1805:
	v_bfe_u32 v1, v4, 20, 1
	s_mov_b32 s21, 0x487ffff
	v_add3_u32 v1, v4, v1, s21
	s_mov_b64 s[10:11], exec
	v_lshrrev_b32_e32 v1, 20, v1
	s_andn2_saveexec_b64 s[16:17], s[16:17]
	s_cbranch_execnz .LBB120_2031
.LBB120_1806:
	s_or_b64 exec, exec, s[16:17]
	v_mov_b32_e32 v5, 0
	s_and_saveexec_b64 s[16:17], s[10:11]
.LBB120_1807:
	v_lshrrev_b32_e32 v5, 24, v4
	s_movk_i32 s10, 0x80
	v_and_or_b32 v5, v5, s10, v1
.LBB120_1808:
	s_or_b64 exec, exec, s[16:17]
.LBB120_1809:
	s_or_b64 exec, exec, s[8:9]
	global_store_byte v[2:3], v5, off
.LBB120_1810:
	s_mov_b64 s[8:9], -1
.LBB120_1811:
	s_mov_b64 s[10:11], 0
.LBB120_1812:
	s_and_b64 vcc, exec, s[10:11]
	s_cbranch_vccz .LBB120_1852
; %bb.1813:
	s_cmp_gt_i32 s19, 22
	s_mov_b64 s[6:7], -1
	s_cbranch_scc0 .LBB120_1845
; %bb.1814:
	s_cmp_lt_i32 s19, 24
	s_cbranch_scc1 .LBB120_1834
; %bb.1815:
	s_cmp_gt_i32 s19, 24
	s_cbranch_scc0 .LBB120_1823
; %bb.1816:
	v_and_b32_e32 v1, 0x7fffffff, v4
	s_mov_b32 s6, 0x47800000
	v_cmp_gt_u32_e32 vcc, s6, v1
	v_mov_b32_e32 v5, 0x80
	s_and_saveexec_b64 s[6:7], vcc
	s_cbranch_execz .LBB120_1822
; %bb.1817:
	s_mov_b32 s8, 0x37ffffff
	v_cmp_lt_u32_e32 vcc, s8, v1
	s_mov_b64 s[8:9], 0
                                        ; implicit-def: $vgpr1
	s_and_saveexec_b64 s[10:11], vcc
	s_xor_b64 s[10:11], exec, s[10:11]
	s_cbranch_execz .LBB120_2033
; %bb.1818:
	v_bfe_u32 v1, v4, 21, 1
	s_mov_b32 s16, 0x88fffff
	v_add3_u32 v1, v4, v1, s16
	s_mov_b64 s[8:9], exec
	v_lshrrev_b32_e32 v1, 21, v1
	s_andn2_saveexec_b64 s[10:11], s[10:11]
	s_cbranch_execnz .LBB120_2034
.LBB120_1819:
	s_or_b64 exec, exec, s[10:11]
	v_mov_b32_e32 v5, 0
	s_and_saveexec_b64 s[10:11], s[8:9]
.LBB120_1820:
	v_lshrrev_b32_e32 v5, 24, v4
	s_movk_i32 s8, 0x80
	v_and_or_b32 v5, v5, s8, v1
.LBB120_1821:
	s_or_b64 exec, exec, s[10:11]
.LBB120_1822:
	s_or_b64 exec, exec, s[6:7]
	s_mov_b64 s[6:7], 0
	global_store_byte v[2:3], v5, off
.LBB120_1823:
	s_and_b64 vcc, exec, s[6:7]
	s_cbranch_vccz .LBB120_1833
; %bb.1824:
	v_and_b32_e32 v5, 0x7fffffff, v4
	s_mov_b32 s6, 0x43f00000
	v_cmp_gt_u32_e32 vcc, s6, v5
                                        ; implicit-def: $vgpr1
	s_and_saveexec_b64 s[6:7], vcc
	s_xor_b64 s[6:7], exec, s[6:7]
	s_cbranch_execz .LBB120_1830
; %bb.1825:
	s_mov_b32 s8, 0x3c7fffff
	v_cmp_lt_u32_e32 vcc, s8, v5
                                        ; implicit-def: $vgpr1
	s_and_saveexec_b64 s[8:9], vcc
	s_xor_b64 s[8:9], exec, s[8:9]
; %bb.1826:
	v_bfe_u32 v1, v4, 20, 1
	s_mov_b32 s10, 0x407ffff
	v_add3_u32 v1, v4, v1, s10
	v_lshrrev_b32_e32 v5, 20, v1
	v_and_b32_e32 v1, 0xff00000, v1
	s_mov_b32 s10, 0x7f00000
	v_mov_b32_e32 v7, 0x7e
	v_cmp_ne_u32_e32 vcc, s10, v1
	s_nop 1
	v_cndmask_b32_e32 v1, v7, v5, vcc
; %bb.1827:
	s_andn2_saveexec_b64 s[8:9], s[8:9]
; %bb.1828:
	s_mov_b32 s10, 0x46800000
	v_add_f32_e64 v1, |v4|, s10
; %bb.1829:
	s_or_b64 exec, exec, s[8:9]
                                        ; implicit-def: $vgpr5
.LBB120_1830:
	s_andn2_saveexec_b64 s[6:7], s[6:7]
; %bb.1831:
	s_mov_b32 s8, 0x7f800000
	v_mov_b32_e32 v1, 0x7e
	v_mov_b32_e32 v7, 0x7f
	v_cmp_lt_u32_e32 vcc, s8, v5
	s_nop 1
	v_cndmask_b32_e32 v1, v1, v7, vcc
; %bb.1832:
	s_or_b64 exec, exec, s[6:7]
	v_lshrrev_b32_e32 v5, 24, v4
	s_movk_i32 s6, 0x80
	v_and_or_b32 v1, v5, s6, v1
	global_store_byte v[2:3], v1, off
.LBB120_1833:
	s_mov_b64 s[6:7], 0
.LBB120_1834:
	s_andn2_b64 vcc, exec, s[6:7]
	s_cbranch_vccnz .LBB120_1844
; %bb.1835:
	v_and_b32_e32 v5, 0x7fffffff, v4
	s_mov_b32 s6, 0x47800000
	v_cmp_gt_u32_e32 vcc, s6, v5
                                        ; implicit-def: $vgpr1
	s_and_saveexec_b64 s[6:7], vcc
	s_xor_b64 s[6:7], exec, s[6:7]
	s_cbranch_execz .LBB120_1841
; %bb.1836:
	s_mov_b32 s8, 0x387fffff
	v_cmp_lt_u32_e32 vcc, s8, v5
                                        ; implicit-def: $vgpr1
	s_and_saveexec_b64 s[8:9], vcc
	s_xor_b64 s[8:9], exec, s[8:9]
; %bb.1837:
	v_bfe_u32 v1, v4, 21, 1
	s_mov_b32 s10, 0x80fffff
	v_add3_u32 v1, v4, v1, s10
	v_lshrrev_b32_e32 v1, 21, v1
; %bb.1838:
	s_andn2_saveexec_b64 s[8:9], s[8:9]
; %bb.1839:
	s_mov_b32 s10, 0x43000000
	v_add_f32_e64 v1, |v4|, s10
; %bb.1840:
	s_or_b64 exec, exec, s[8:9]
                                        ; implicit-def: $vgpr5
.LBB120_1841:
	s_andn2_saveexec_b64 s[6:7], s[6:7]
; %bb.1842:
	s_mov_b32 s8, 0x7f800000
	v_mov_b32_e32 v1, 0x7c
	v_mov_b32_e32 v7, 0x7f
	v_cmp_lt_u32_e32 vcc, s8, v5
	s_nop 1
	v_cndmask_b32_e32 v1, v1, v7, vcc
; %bb.1843:
	s_or_b64 exec, exec, s[6:7]
	v_lshrrev_b32_e32 v5, 24, v4
	s_movk_i32 s6, 0x80
	v_and_or_b32 v1, v5, s6, v1
	global_store_byte v[2:3], v1, off
.LBB120_1844:
	s_mov_b64 s[6:7], 0
	s_mov_b64 s[8:9], -1
.LBB120_1845:
	s_andn2_b64 vcc, exec, s[6:7]
	s_mov_b64 s[6:7], 0
	s_cbranch_vccnz .LBB120_1852
; %bb.1846:
	s_cmp_gt_i32 s19, 14
	s_mov_b64 s[10:11], -1
	s_cbranch_scc0 .LBB120_1850
; %bb.1847:
	s_cmp_eq_u32 s19, 15
	s_mov_b64 s[0:1], -1
	s_cbranch_scc0 .LBB120_1849
; %bb.1848:
	v_bfe_u32 v1, v4, 16, 1
	s_movk_i32 s0, 0x7fff
	v_add3_u32 v1, v4, v1, s0
	v_cmp_o_f32_e32 vcc, v4, v4
	v_mov_b32_e32 v5, 0x7fc0
	s_mov_b64 s[0:1], 0
	v_cndmask_b32_sdwa v1, v5, v1, vcc dst_sel:DWORD dst_unused:UNUSED_PAD src0_sel:DWORD src1_sel:WORD_1
	global_store_short v[2:3], v1, off
	s_mov_b64 s[8:9], -1
.LBB120_1849:
	s_mov_b64 s[10:11], 0
.LBB120_1850:
	s_and_b64 vcc, exec, s[10:11]
	s_cbranch_vccz .LBB120_1852
; %bb.1851:
	s_cmp_lg_u32 s19, 11
	s_mov_b64 s[6:7], -1
	s_cselect_b64 s[0:1], -1, 0
.LBB120_1852:
	s_and_b64 vcc, exec, s[0:1]
	s_cbranch_vccnz .LBB120_2032
; %bb.1853:
	s_andn2_b64 vcc, exec, s[6:7]
	s_cbranch_vccnz .LBB120_1855
.LBB120_1854:
	v_cmp_neq_f32_e32 vcc, 0, v4
	s_mov_b64 s[8:9], -1
	s_nop 0
	v_cndmask_b32_e64 v1, 0, 1, vcc
	global_store_byte v[2:3], v1, off
.LBB120_1855:
	s_mov_b64 s[0:1], 0
	s_branch .LBB120_1857
.LBB120_1856:
	s_mov_b64 s[0:1], -1
	s_mov_b64 s[8:9], 0
.LBB120_1857:
	s_and_b64 vcc, exec, s[0:1]
	s_cbranch_vccz .LBB120_1896
; %bb.1858:
	s_and_b32 s6, 0xffff, s20
	s_cmp_lt_i32 s6, 5
	s_mov_b64 s[0:1], -1
	s_cbranch_scc1 .LBB120_1879
; %bb.1859:
	s_cmp_lt_i32 s6, 8
	s_cbranch_scc1 .LBB120_1869
; %bb.1860:
	s_cmp_lt_i32 s6, 9
	s_cbranch_scc1 .LBB120_1866
; %bb.1861:
	s_cmp_gt_i32 s6, 9
	s_cbranch_scc0 .LBB120_1863
; %bb.1862:
	v_mov_b32_e32 v10, 0
	v_cvt_f64_f32_e32 v[8:9], v4
	v_mov_b32_e32 v11, v10
	global_store_dwordx4 v[2:3], v[8:11], off
	s_mov_b64 s[0:1], 0
.LBB120_1863:
	s_andn2_b64 vcc, exec, s[0:1]
	s_cbranch_vccnz .LBB120_1865
; %bb.1864:
	v_mov_b32_e32 v5, 0
	global_store_dwordx2 v[2:3], v[4:5], off
.LBB120_1865:
	s_mov_b64 s[0:1], 0
.LBB120_1866:
	s_andn2_b64 vcc, exec, s[0:1]
	s_cbranch_vccnz .LBB120_1868
; %bb.1867:
	v_cvt_f16_f32_e32 v1, v4
	global_store_dword v[2:3], v1, off
.LBB120_1868:
	s_mov_b64 s[0:1], 0
.LBB120_1869:
	s_andn2_b64 vcc, exec, s[0:1]
	s_cbranch_vccnz .LBB120_1878
; %bb.1870:
	s_cmp_lt_i32 s6, 6
	s_mov_b64 s[0:1], -1
	s_cbranch_scc1 .LBB120_1876
; %bb.1871:
	s_cmp_gt_i32 s6, 6
	s_cbranch_scc0 .LBB120_1873
; %bb.1872:
	v_cvt_f64_f32_e32 v[8:9], v4
	global_store_dwordx2 v[2:3], v[8:9], off
	s_mov_b64 s[0:1], 0
.LBB120_1873:
	s_andn2_b64 vcc, exec, s[0:1]
	s_cbranch_vccnz .LBB120_1875
; %bb.1874:
	global_store_dword v[2:3], v4, off
.LBB120_1875:
	s_mov_b64 s[0:1], 0
.LBB120_1876:
	s_andn2_b64 vcc, exec, s[0:1]
	s_cbranch_vccnz .LBB120_1878
; %bb.1877:
	v_cvt_f16_f32_e32 v1, v4
	global_store_short v[2:3], v1, off
.LBB120_1878:
	s_mov_b64 s[0:1], 0
.LBB120_1879:
	s_andn2_b64 vcc, exec, s[0:1]
	s_cbranch_vccnz .LBB120_1895
; %bb.1880:
	s_cmp_lt_i32 s6, 2
	s_mov_b64 s[0:1], -1
	s_cbranch_scc1 .LBB120_1890
; %bb.1881:
	s_cmp_lt_i32 s6, 3
	s_cbranch_scc1 .LBB120_1887
; %bb.1882:
	s_cmp_gt_i32 s6, 3
	s_cbranch_scc0 .LBB120_1884
; %bb.1883:
	v_trunc_f32_e32 v1, v4
	s_mov_b32 s0, 0x2f800000
	v_mul_f32_e64 v5, |v1|, s0
	v_floor_f32_e32 v5, v5
	s_mov_b32 s0, 0xcf800000
	v_cvt_u32_f32_e32 v7, v5
	v_fma_f32 v5, v5, s0, |v1|
	v_cvt_u32_f32_e32 v5, v5
	v_ashrrev_i32_e32 v1, 31, v1
	v_xor_b32_e32 v7, v7, v1
	s_mov_b64 s[0:1], 0
	v_xor_b32_e32 v5, v5, v1
	v_sub_co_u32_e32 v8, vcc, v5, v1
	s_nop 1
	v_subb_co_u32_e32 v9, vcc, v7, v1, vcc
	global_store_dwordx2 v[2:3], v[8:9], off
.LBB120_1884:
	s_andn2_b64 vcc, exec, s[0:1]
	s_cbranch_vccnz .LBB120_1886
; %bb.1885:
	v_cvt_i32_f32_e32 v1, v4
	global_store_dword v[2:3], v1, off
.LBB120_1886:
	s_mov_b64 s[0:1], 0
.LBB120_1887:
	s_andn2_b64 vcc, exec, s[0:1]
	s_cbranch_vccnz .LBB120_1889
; %bb.1888:
	v_cvt_i32_f32_e32 v1, v4
	global_store_short v[2:3], v1, off
.LBB120_1889:
	s_mov_b64 s[0:1], 0
.LBB120_1890:
	s_andn2_b64 vcc, exec, s[0:1]
	s_cbranch_vccnz .LBB120_1895
; %bb.1891:
	s_cmp_gt_i32 s6, 0
	s_mov_b64 s[0:1], -1
	s_cbranch_scc0 .LBB120_1893
; %bb.1892:
	v_cvt_i32_f32_e32 v1, v4
	s_mov_b64 s[0:1], 0
	global_store_byte v[2:3], v1, off
.LBB120_1893:
	s_andn2_b64 vcc, exec, s[0:1]
	s_cbranch_vccnz .LBB120_1895
; %bb.1894:
	v_trunc_f32_e32 v1, v4
	s_mov_b32 s0, 0x2f800000
	v_mul_f32_e64 v4, |v1|, s0
	v_floor_f32_e32 v4, v4
	s_mov_b32 s0, 0xcf800000
	v_fma_f32 v4, v4, s0, |v1|
	v_cvt_u32_f32_e32 v4, v4
	v_ashrrev_i32_e32 v1, 31, v1
	v_xor_b32_e32 v4, v4, v1
	v_sub_u32_e32 v1, v4, v1
	global_store_byte v[2:3], v1, off
.LBB120_1895:
	s_mov_b64 s[8:9], -1
.LBB120_1896:
	s_andn2_b64 vcc, exec, s[8:9]
	s_cbranch_vccnz .LBB120_1973
; %bb.1897:
	v_mul_f32_e32 v1, 0x3fb8aa3b, v6
	v_rndne_f32_e32 v1, v1
	v_fmamk_f32 v2, v1, 0xbf317218, v6
	v_fmamk_f32 v2, v1, 0x3102e308, v2
	v_mov_b32_e32 v3, 0x3ab69700
	v_fmac_f32_e32 v3, 0x395133b1, v2
	v_fmaak_f32 v3, v2, v3, 0x3c0887f9
	v_fmaak_f32 v3, v2, v3, 0x3d2aaa81
	v_cvt_i32_f32_e32 v4, v1
	v_fmaak_f32 v3, v2, v3, 0x3e2aaaab
	v_fma_f32 v3, v2, v3, 0.5
	v_mul_f32_e32 v3, v2, v3
	s_mov_b32 s0, 0x43000000
	v_fmac_f32_e32 v2, v2, v3
	v_ldexp_f32 v3, 1.0, v4
	v_mov_b32_e32 v4, 0x7f000000
	v_cmp_eq_f32_e32 vcc, s0, v1
	s_mov_b32 s0, 0x42b17217
	v_add_u32_e32 v0, s18, v0
	v_cndmask_b32_e32 v1, v3, v4, vcc
	v_add_f32_e32 v3, -1.0, v1
	v_fmac_f32_e32 v3, v1, v2
	v_add_f32_e32 v1, v3, v3
	v_cndmask_b32_e32 v1, v3, v1, vcc
	v_mov_b32_e32 v2, 0x7f800000
	v_cmp_nlt_f32_e32 vcc, s0, v6
	s_mov_b32 s0, 0xc1880000
	s_cmp_lt_i32 s20, 11
	v_cndmask_b32_e32 v1, v2, v1, vcc
	v_cmp_ngt_f32_e32 vcc, s0, v6
	s_nop 1
	v_cndmask_b32_e32 v2, -1.0, v1, vcc
	v_ashrrev_i32_e32 v1, 31, v0
	v_lshl_add_u64 v[0:1], s[4:5], 0, v[0:1]
	s_cbranch_scc1 .LBB120_2018
; %bb.1898:
	s_and_b32 s16, 0xffff, s20
	s_mov_b64 s[6:7], -1
	s_mov_b64 s[4:5], 0
	s_cmp_gt_i32 s16, 25
	s_mov_b64 s[0:1], 0
	s_cbranch_scc0 .LBB120_1931
; %bb.1899:
	s_cmp_gt_i32 s16, 28
	s_cbranch_scc0 .LBB120_1915
; %bb.1900:
	s_cmp_gt_i32 s16, 43
	;; [unrolled: 3-line block ×3, first 2 shown]
	s_cbranch_scc0 .LBB120_1905
; %bb.1902:
	s_cmp_eq_u32 s16, 46
	s_mov_b64 s[0:1], -1
	s_cbranch_scc0 .LBB120_1904
; %bb.1903:
	v_bfe_u32 v3, v2, 16, 1
	s_movk_i32 s0, 0x7fff
	v_add3_u32 v3, v2, v3, s0
	v_cmp_o_f32_e32 vcc, v2, v2
	v_mov_b32_e32 v4, 0x7fc0
	s_mov_b64 s[0:1], 0
	v_cndmask_b32_sdwa v3, v4, v3, vcc dst_sel:DWORD dst_unused:UNUSED_PAD src0_sel:DWORD src1_sel:WORD_1
	global_store_dword v[0:1], v3, off
.LBB120_1904:
	s_mov_b64 s[6:7], 0
.LBB120_1905:
	s_and_b64 vcc, exec, s[6:7]
	s_cbranch_vccz .LBB120_1910
; %bb.1906:
	s_cmp_eq_u32 s16, 44
	s_mov_b64 s[0:1], -1
	s_cbranch_scc0 .LBB120_1910
; %bb.1907:
	v_bfe_u32 v3, v2, 23, 8
	s_movk_i32 s0, 0xff
	v_cmp_ne_u32_e32 vcc, s0, v3
	v_mov_b32_e32 v4, 0xff
	s_and_saveexec_b64 s[6:7], vcc
; %bb.1908:
	s_mov_b32 s0, 0x3fffff
	v_and_b32_e32 v5, 0x400000, v2
	v_and_or_b32 v3, v2, s0, v3
	v_cmp_ne_u32_e32 vcc, 0, v5
	v_cmp_ne_u32_e64 s[0:1], 0, v3
	s_and_b64 s[0:1], vcc, s[0:1]
	v_lshrrev_b32_e32 v4, 23, v2
	v_cndmask_b32_e64 v3, 0, 1, s[0:1]
	v_add_u32_e32 v4, v4, v3
; %bb.1909:
	s_or_b64 exec, exec, s[6:7]
	s_mov_b64 s[0:1], 0
	global_store_byte v[0:1], v4, off
.LBB120_1910:
	s_mov_b64 s[6:7], 0
.LBB120_1911:
	s_and_b64 vcc, exec, s[6:7]
	s_cbranch_vccz .LBB120_1914
; %bb.1912:
	s_cmp_eq_u32 s16, 29
	s_mov_b64 s[0:1], -1
	s_cbranch_scc0 .LBB120_1914
; %bb.1913:
	v_trunc_f32_e32 v3, v2
	v_mul_f32_e32 v4, 0x2f800000, v3
	v_floor_f32_e32 v4, v4
	v_fmamk_f32 v3, v4, 0xcf800000, v3
	v_cvt_u32_f32_e32 v5, v4
	v_cvt_u32_f32_e32 v4, v3
	s_mov_b64 s[0:1], 0
	global_store_dwordx2 v[0:1], v[4:5], off
.LBB120_1914:
	s_mov_b64 s[6:7], 0
.LBB120_1915:
	s_and_b64 vcc, exec, s[6:7]
	s_cbranch_vccz .LBB120_1930
; %bb.1916:
	s_cmp_lt_i32 s16, 27
	s_mov_b64 s[6:7], -1
	s_cbranch_scc1 .LBB120_1922
; %bb.1917:
	v_cvt_u32_f32_e32 v3, v2
	s_cmp_gt_i32 s16, 27
	s_cbranch_scc0 .LBB120_1919
; %bb.1918:
	global_store_dword v[0:1], v3, off
	s_mov_b64 s[6:7], 0
.LBB120_1919:
	s_andn2_b64 vcc, exec, s[6:7]
	s_cbranch_vccnz .LBB120_1921
; %bb.1920:
	global_store_short v[0:1], v3, off
.LBB120_1921:
	s_mov_b64 s[6:7], 0
.LBB120_1922:
	s_andn2_b64 vcc, exec, s[6:7]
	s_cbranch_vccnz .LBB120_1930
; %bb.1923:
	v_and_b32_e32 v3, 0x7fffffff, v2
	s_mov_b32 s6, 0x43800000
	v_cmp_gt_u32_e32 vcc, s6, v3
	v_mov_b32_e32 v4, 0x80
	s_and_saveexec_b64 s[6:7], vcc
	s_cbranch_execz .LBB120_1929
; %bb.1924:
	s_mov_b32 s8, 0x3bffffff
	v_cmp_lt_u32_e32 vcc, s8, v3
	s_mov_b64 s[8:9], 0
                                        ; implicit-def: $vgpr3
	s_and_saveexec_b64 s[10:11], vcc
	s_xor_b64 s[10:11], exec, s[10:11]
	s_cbranch_execz .LBB120_2035
; %bb.1925:
	v_bfe_u32 v3, v2, 20, 1
	s_mov_b32 s17, 0x487ffff
	v_add3_u32 v3, v2, v3, s17
	s_mov_b64 s[8:9], exec
	v_lshrrev_b32_e32 v3, 20, v3
	s_andn2_saveexec_b64 s[10:11], s[10:11]
	s_cbranch_execnz .LBB120_2036
.LBB120_1926:
	s_or_b64 exec, exec, s[10:11]
	v_mov_b32_e32 v4, 0
	s_and_saveexec_b64 s[10:11], s[8:9]
.LBB120_1927:
	v_lshrrev_b32_e32 v4, 24, v2
	s_movk_i32 s8, 0x80
	v_and_or_b32 v4, v4, s8, v3
.LBB120_1928:
	s_or_b64 exec, exec, s[10:11]
.LBB120_1929:
	s_or_b64 exec, exec, s[6:7]
	global_store_byte v[0:1], v4, off
.LBB120_1930:
	s_mov_b64 s[6:7], 0
.LBB120_1931:
	s_and_b64 vcc, exec, s[6:7]
	s_cbranch_vccz .LBB120_1971
; %bb.1932:
	s_cmp_gt_i32 s16, 22
	s_mov_b64 s[4:5], -1
	s_cbranch_scc0 .LBB120_1964
; %bb.1933:
	s_cmp_lt_i32 s16, 24
	s_cbranch_scc1 .LBB120_1953
; %bb.1934:
	s_cmp_gt_i32 s16, 24
	s_cbranch_scc0 .LBB120_1942
; %bb.1935:
	v_and_b32_e32 v3, 0x7fffffff, v2
	s_mov_b32 s4, 0x47800000
	v_cmp_gt_u32_e32 vcc, s4, v3
	v_mov_b32_e32 v4, 0x80
	s_and_saveexec_b64 s[4:5], vcc
	s_cbranch_execz .LBB120_1941
; %bb.1936:
	s_mov_b32 s6, 0x37ffffff
	v_cmp_lt_u32_e32 vcc, s6, v3
	s_mov_b64 s[6:7], 0
                                        ; implicit-def: $vgpr3
	s_and_saveexec_b64 s[8:9], vcc
	s_xor_b64 s[8:9], exec, s[8:9]
	s_cbranch_execz .LBB120_2038
; %bb.1937:
	v_bfe_u32 v3, v2, 21, 1
	s_mov_b32 s10, 0x88fffff
	v_add3_u32 v3, v2, v3, s10
	s_mov_b64 s[6:7], exec
	v_lshrrev_b32_e32 v3, 21, v3
	s_andn2_saveexec_b64 s[8:9], s[8:9]
	s_cbranch_execnz .LBB120_2039
.LBB120_1938:
	s_or_b64 exec, exec, s[8:9]
	v_mov_b32_e32 v4, 0
	s_and_saveexec_b64 s[8:9], s[6:7]
.LBB120_1939:
	v_lshrrev_b32_e32 v4, 24, v2
	s_movk_i32 s6, 0x80
	v_and_or_b32 v4, v4, s6, v3
.LBB120_1940:
	s_or_b64 exec, exec, s[8:9]
.LBB120_1941:
	s_or_b64 exec, exec, s[4:5]
	s_mov_b64 s[4:5], 0
	global_store_byte v[0:1], v4, off
.LBB120_1942:
	s_and_b64 vcc, exec, s[4:5]
	s_cbranch_vccz .LBB120_1952
; %bb.1943:
	v_and_b32_e32 v4, 0x7fffffff, v2
	s_mov_b32 s4, 0x43f00000
	v_cmp_gt_u32_e32 vcc, s4, v4
                                        ; implicit-def: $vgpr3
	s_and_saveexec_b64 s[4:5], vcc
	s_xor_b64 s[4:5], exec, s[4:5]
	s_cbranch_execz .LBB120_1949
; %bb.1944:
	s_mov_b32 s6, 0x3c7fffff
	v_cmp_lt_u32_e32 vcc, s6, v4
                                        ; implicit-def: $vgpr3
	s_and_saveexec_b64 s[6:7], vcc
	s_xor_b64 s[6:7], exec, s[6:7]
; %bb.1945:
	v_bfe_u32 v3, v2, 20, 1
	s_mov_b32 s8, 0x407ffff
	v_add3_u32 v3, v2, v3, s8
	v_lshrrev_b32_e32 v4, 20, v3
	v_and_b32_e32 v3, 0xff00000, v3
	s_mov_b32 s8, 0x7f00000
	v_mov_b32_e32 v5, 0x7e
	v_cmp_ne_u32_e32 vcc, s8, v3
	s_nop 1
	v_cndmask_b32_e32 v3, v5, v4, vcc
; %bb.1946:
	s_andn2_saveexec_b64 s[6:7], s[6:7]
; %bb.1947:
	s_mov_b32 s8, 0x46800000
	v_add_f32_e64 v3, |v2|, s8
; %bb.1948:
	s_or_b64 exec, exec, s[6:7]
                                        ; implicit-def: $vgpr4
.LBB120_1949:
	s_andn2_saveexec_b64 s[4:5], s[4:5]
; %bb.1950:
	s_mov_b32 s6, 0x7f800000
	v_mov_b32_e32 v3, 0x7e
	v_mov_b32_e32 v5, 0x7f
	v_cmp_lt_u32_e32 vcc, s6, v4
	s_nop 1
	v_cndmask_b32_e32 v3, v3, v5, vcc
; %bb.1951:
	s_or_b64 exec, exec, s[4:5]
	v_lshrrev_b32_e32 v4, 24, v2
	s_movk_i32 s4, 0x80
	v_and_or_b32 v3, v4, s4, v3
	global_store_byte v[0:1], v3, off
.LBB120_1952:
	s_mov_b64 s[4:5], 0
.LBB120_1953:
	s_andn2_b64 vcc, exec, s[4:5]
	s_cbranch_vccnz .LBB120_1963
; %bb.1954:
	v_and_b32_e32 v4, 0x7fffffff, v2
	s_mov_b32 s4, 0x47800000
	v_cmp_gt_u32_e32 vcc, s4, v4
                                        ; implicit-def: $vgpr3
	s_and_saveexec_b64 s[4:5], vcc
	s_xor_b64 s[4:5], exec, s[4:5]
	s_cbranch_execz .LBB120_1960
; %bb.1955:
	s_mov_b32 s6, 0x387fffff
	v_cmp_lt_u32_e32 vcc, s6, v4
                                        ; implicit-def: $vgpr3
	s_and_saveexec_b64 s[6:7], vcc
	s_xor_b64 s[6:7], exec, s[6:7]
; %bb.1956:
	v_bfe_u32 v3, v2, 21, 1
	s_mov_b32 s8, 0x80fffff
	v_add3_u32 v3, v2, v3, s8
	v_lshrrev_b32_e32 v3, 21, v3
; %bb.1957:
	s_andn2_saveexec_b64 s[6:7], s[6:7]
; %bb.1958:
	s_mov_b32 s8, 0x43000000
	v_add_f32_e64 v3, |v2|, s8
; %bb.1959:
	s_or_b64 exec, exec, s[6:7]
                                        ; implicit-def: $vgpr4
.LBB120_1960:
	s_andn2_saveexec_b64 s[4:5], s[4:5]
; %bb.1961:
	s_mov_b32 s6, 0x7f800000
	v_mov_b32_e32 v3, 0x7c
	v_mov_b32_e32 v5, 0x7f
	v_cmp_lt_u32_e32 vcc, s6, v4
	s_nop 1
	v_cndmask_b32_e32 v3, v3, v5, vcc
; %bb.1962:
	s_or_b64 exec, exec, s[4:5]
	v_lshrrev_b32_e32 v4, 24, v2
	s_movk_i32 s4, 0x80
	v_and_or_b32 v3, v4, s4, v3
	global_store_byte v[0:1], v3, off
.LBB120_1963:
	s_mov_b64 s[4:5], 0
.LBB120_1964:
	s_andn2_b64 vcc, exec, s[4:5]
	s_mov_b64 s[4:5], 0
	s_cbranch_vccnz .LBB120_1971
; %bb.1965:
	s_cmp_gt_i32 s16, 14
	s_mov_b64 s[6:7], -1
	s_cbranch_scc0 .LBB120_1969
; %bb.1966:
	s_cmp_eq_u32 s16, 15
	s_mov_b64 s[0:1], -1
	s_cbranch_scc0 .LBB120_1968
; %bb.1967:
	v_bfe_u32 v3, v2, 16, 1
	s_movk_i32 s0, 0x7fff
	v_add3_u32 v3, v2, v3, s0
	v_cmp_o_f32_e32 vcc, v2, v2
	v_mov_b32_e32 v4, 0x7fc0
	s_mov_b64 s[0:1], 0
	v_cndmask_b32_sdwa v3, v4, v3, vcc dst_sel:DWORD dst_unused:UNUSED_PAD src0_sel:DWORD src1_sel:WORD_1
	global_store_short v[0:1], v3, off
.LBB120_1968:
	s_mov_b64 s[6:7], 0
.LBB120_1969:
	s_and_b64 vcc, exec, s[6:7]
	s_cbranch_vccz .LBB120_1971
; %bb.1970:
	s_cmp_lg_u32 s16, 11
	s_mov_b64 s[4:5], -1
	s_cselect_b64 s[0:1], -1, 0
.LBB120_1971:
	s_and_b64 vcc, exec, s[0:1]
	s_cbranch_vccnz .LBB120_2037
.LBB120_1972:
	s_mov_b64 s[0:1], 0
	s_branch .LBB120_1974
.LBB120_1973:
	s_mov_b64 s[0:1], 0
	s_mov_b64 s[4:5], 0
                                        ; implicit-def: $sgpr20
                                        ; implicit-def: $vgpr0_vgpr1
                                        ; implicit-def: $vgpr2
.LBB120_1974:
	s_and_b64 s[10:11], s[4:5], exec
	s_andn2_b64 s[4:5], s[12:13], exec
	s_and_b64 s[6:7], s[14:15], exec
	s_and_b64 s[0:1], s[0:1], exec
	s_or_b64 s[12:13], s[4:5], s[6:7]
.LBB120_1975:
	s_or_b64 exec, exec, s[2:3]
	s_and_saveexec_b64 s[2:3], s[12:13]
	s_cbranch_execz .LBB120_1978
; %bb.1976:
	; divergent unreachable
	s_or_b64 exec, exec, s[2:3]
	s_and_saveexec_b64 s[2:3], s[10:11]
	s_xor_b64 s[2:3], exec, s[2:3]
	s_cbranch_execnz .LBB120_1979
.LBB120_1977:
	s_or_b64 exec, exec, s[2:3]
	s_and_saveexec_b64 s[2:3], s[0:1]
	s_cbranch_execnz .LBB120_1980
	s_branch .LBB120_2017
.LBB120_1978:
	s_or_b64 exec, exec, s[2:3]
	s_and_saveexec_b64 s[2:3], s[10:11]
	s_xor_b64 s[2:3], exec, s[2:3]
	s_cbranch_execz .LBB120_1977
.LBB120_1979:
	s_waitcnt vmcnt(0)
	v_cmp_neq_f32_e32 vcc, 0, v2
	s_nop 1
	v_cndmask_b32_e64 v3, 0, 1, vcc
	global_store_byte v[0:1], v3, off
	s_or_b64 exec, exec, s[2:3]
	s_and_saveexec_b64 s[2:3], s[0:1]
	s_cbranch_execz .LBB120_2017
.LBB120_1980:
	s_sext_i32_i16 s2, s20
	s_cmp_lt_i32 s2, 5
	s_mov_b64 s[0:1], -1
	s_cbranch_scc1 .LBB120_2001
; %bb.1981:
	s_cmp_lt_i32 s2, 8
	s_cbranch_scc1 .LBB120_1991
; %bb.1982:
	s_cmp_lt_i32 s2, 9
	s_cbranch_scc1 .LBB120_1988
; %bb.1983:
	s_cmp_gt_i32 s2, 9
	s_cbranch_scc0 .LBB120_1985
; %bb.1984:
	s_waitcnt vmcnt(0)
	v_mov_b32_e32 v6, 0
	v_cvt_f64_f32_e32 v[4:5], v2
	v_mov_b32_e32 v7, v6
	global_store_dwordx4 v[0:1], v[4:7], off
	s_mov_b64 s[0:1], 0
.LBB120_1985:
	s_andn2_b64 vcc, exec, s[0:1]
	s_cbranch_vccnz .LBB120_1987
; %bb.1986:
	s_waitcnt vmcnt(0)
	v_mov_b32_e32 v3, 0
	global_store_dwordx2 v[0:1], v[2:3], off
.LBB120_1987:
	s_mov_b64 s[0:1], 0
.LBB120_1988:
	s_andn2_b64 vcc, exec, s[0:1]
	s_cbranch_vccnz .LBB120_1990
; %bb.1989:
	s_waitcnt vmcnt(0)
	v_cvt_f16_f32_e32 v3, v2
	global_store_dword v[0:1], v3, off
.LBB120_1990:
	s_mov_b64 s[0:1], 0
.LBB120_1991:
	s_andn2_b64 vcc, exec, s[0:1]
	s_cbranch_vccnz .LBB120_2000
; %bb.1992:
	s_sext_i32_i16 s2, s20
	s_cmp_lt_i32 s2, 6
	s_mov_b64 s[0:1], -1
	s_cbranch_scc1 .LBB120_1998
; %bb.1993:
	s_cmp_gt_i32 s2, 6
	s_cbranch_scc0 .LBB120_1995
; %bb.1994:
	s_waitcnt vmcnt(0)
	v_cvt_f64_f32_e32 v[4:5], v2
	global_store_dwordx2 v[0:1], v[4:5], off
	s_mov_b64 s[0:1], 0
.LBB120_1995:
	s_andn2_b64 vcc, exec, s[0:1]
	s_cbranch_vccnz .LBB120_1997
; %bb.1996:
	s_waitcnt vmcnt(0)
	global_store_dword v[0:1], v2, off
.LBB120_1997:
	s_mov_b64 s[0:1], 0
.LBB120_1998:
	s_andn2_b64 vcc, exec, s[0:1]
	s_cbranch_vccnz .LBB120_2000
; %bb.1999:
	s_waitcnt vmcnt(0)
	v_cvt_f16_f32_e32 v3, v2
	global_store_short v[0:1], v3, off
.LBB120_2000:
	s_mov_b64 s[0:1], 0
.LBB120_2001:
	s_andn2_b64 vcc, exec, s[0:1]
	s_cbranch_vccnz .LBB120_2017
; %bb.2002:
	s_sext_i32_i16 s2, s20
	s_cmp_lt_i32 s2, 2
	s_mov_b64 s[0:1], -1
	s_cbranch_scc1 .LBB120_2012
; %bb.2003:
	s_cmp_lt_i32 s2, 3
	s_cbranch_scc1 .LBB120_2009
; %bb.2004:
	s_cmp_gt_i32 s2, 3
	s_cbranch_scc0 .LBB120_2006
; %bb.2005:
	s_waitcnt vmcnt(0)
	v_trunc_f32_e32 v3, v2
	s_mov_b32 s0, 0x2f800000
	v_mul_f32_e64 v4, |v3|, s0
	v_floor_f32_e32 v4, v4
	s_mov_b32 s0, 0xcf800000
	v_cvt_u32_f32_e32 v5, v4
	v_fma_f32 v4, v4, s0, |v3|
	v_cvt_u32_f32_e32 v4, v4
	v_ashrrev_i32_e32 v3, 31, v3
	v_xor_b32_e32 v5, v5, v3
	s_mov_b64 s[0:1], 0
	v_xor_b32_e32 v4, v4, v3
	v_sub_co_u32_e32 v4, vcc, v4, v3
	s_nop 1
	v_subb_co_u32_e32 v5, vcc, v5, v3, vcc
	global_store_dwordx2 v[0:1], v[4:5], off
.LBB120_2006:
	s_andn2_b64 vcc, exec, s[0:1]
	s_cbranch_vccnz .LBB120_2008
; %bb.2007:
	s_waitcnt vmcnt(0)
	v_cvt_i32_f32_e32 v3, v2
	global_store_dword v[0:1], v3, off
.LBB120_2008:
	s_mov_b64 s[0:1], 0
.LBB120_2009:
	s_andn2_b64 vcc, exec, s[0:1]
	s_cbranch_vccnz .LBB120_2011
; %bb.2010:
	s_waitcnt vmcnt(0)
	v_cvt_i32_f32_e32 v3, v2
	global_store_short v[0:1], v3, off
.LBB120_2011:
	s_mov_b64 s[0:1], 0
.LBB120_2012:
	s_andn2_b64 vcc, exec, s[0:1]
	s_cbranch_vccnz .LBB120_2017
; %bb.2013:
	s_sext_i32_i16 s0, s20
	s_cmp_gt_i32 s0, 0
	s_mov_b64 s[0:1], -1
	s_cbranch_scc0 .LBB120_2015
; %bb.2014:
	s_waitcnt vmcnt(0)
	v_cvt_i32_f32_e32 v3, v2
	s_mov_b64 s[0:1], 0
	global_store_byte v[0:1], v3, off
.LBB120_2015:
	s_andn2_b64 vcc, exec, s[0:1]
	s_cbranch_vccnz .LBB120_2017
; %bb.2016:
	s_waitcnt vmcnt(0)
	v_trunc_f32_e32 v2, v2
	s_mov_b32 s0, 0x2f800000
	v_mul_f32_e64 v3, |v2|, s0
	v_floor_f32_e32 v3, v3
	s_mov_b32 s0, 0xcf800000
	v_fma_f32 v3, v3, s0, |v2|
	v_cvt_u32_f32_e32 v3, v3
	v_ashrrev_i32_e32 v2, 31, v2
	v_xor_b32_e32 v3, v3, v2
	v_sub_u32_e32 v2, v3, v2
	global_store_byte v[0:1], v2, off
	s_endpgm
.LBB120_2017:
	s_endpgm
.LBB120_2018:
	s_mov_b64 s[4:5], 0
	s_mov_b64 s[0:1], -1
	s_branch .LBB120_1974
.LBB120_2019:
	s_trap 2
	s_or_b64 s[14:15], s[14:15], exec
	s_cbranch_execz .LBB120_1488
	s_branch .LBB120_1489
.LBB120_2020:
	s_andn2_saveexec_b64 s[18:19], s[18:19]
	s_cbranch_execz .LBB120_1568
.LBB120_2021:
	s_mov_b32 s21, 0x46000000
	v_add_f32_e64 v1, |v4|, s21
	v_and_b32_e32 v1, 0xff, v1
	v_cmp_ne_u32_e32 vcc, 0, v1
	s_andn2_b64 s[16:17], s[16:17], exec
	s_and_b64 s[22:23], vcc, exec
	s_or_b64 s[16:17], s[16:17], s[22:23]
	s_or_b64 exec, exec, s[18:19]
	v_mov_b32_e32 v5, 0
	s_and_saveexec_b64 s[18:19], s[16:17]
	s_cbranch_execnz .LBB120_1569
	s_branch .LBB120_1570
.LBB120_2022:
	s_trap 2
	s_or_b64 s[14:15], s[14:15], exec
	s_cbranch_execz .LBB120_1616
	s_branch .LBB120_1617
.LBB120_2023:
	s_andn2_saveexec_b64 s[16:17], s[16:17]
	s_cbranch_execz .LBB120_1581
.LBB120_2024:
	s_mov_b32 s18, 0x42800000
	v_add_f32_e64 v1, |v4|, s18
	v_and_b32_e32 v1, 0xff, v1
	v_cmp_ne_u32_e32 vcc, 0, v1
	s_andn2_b64 s[10:11], s[10:11], exec
	s_and_b64 s[18:19], vcc, exec
	s_or_b64 s[10:11], s[10:11], s[18:19]
	s_or_b64 exec, exec, s[16:17]
	v_mov_b32_e32 v5, 0
	s_and_saveexec_b64 s[16:17], s[10:11]
	s_cbranch_execnz .LBB120_1582
	s_branch .LBB120_1583
.LBB120_2025:
	s_andn2_saveexec_b64 s[16:17], s[16:17]
	s_cbranch_execz .LBB120_1687
.LBB120_2026:
	s_mov_b32 s21, 0x46000000
	v_add_f32_e64 v1, |v4|, s21
	v_and_b32_e32 v1, 0xff, v1
	v_cmp_ne_u32_e32 vcc, 0, v1
	s_andn2_b64 s[10:11], s[10:11], exec
	s_and_b64 s[22:23], vcc, exec
	s_or_b64 s[10:11], s[10:11], s[22:23]
	s_or_b64 exec, exec, s[16:17]
	v_mov_b32_e32 v5, 0
	s_and_saveexec_b64 s[16:17], s[10:11]
	s_cbranch_execnz .LBB120_1688
	s_branch .LBB120_1689
.LBB120_2027:
	s_trap 2
	s_or_b64 s[14:15], s[14:15], exec
	s_cbranch_execz .LBB120_1735
	s_branch .LBB120_1736
.LBB120_2028:
	s_andn2_saveexec_b64 s[10:11], s[10:11]
	s_cbranch_execz .LBB120_1700
.LBB120_2029:
	s_mov_b32 s16, 0x42800000
	v_add_f32_e64 v1, |v4|, s16
	v_and_b32_e32 v1, 0xff, v1
	v_cmp_ne_u32_e32 vcc, 0, v1
	s_andn2_b64 s[8:9], s[8:9], exec
	s_and_b64 s[16:17], vcc, exec
	s_or_b64 s[8:9], s[8:9], s[16:17]
	s_or_b64 exec, exec, s[10:11]
	v_mov_b32_e32 v5, 0
	s_and_saveexec_b64 s[10:11], s[8:9]
	s_cbranch_execnz .LBB120_1701
	s_branch .LBB120_1702
.LBB120_2030:
	s_andn2_saveexec_b64 s[16:17], s[16:17]
	s_cbranch_execz .LBB120_1806
.LBB120_2031:
	s_mov_b32 s21, 0x46000000
	v_add_f32_e64 v1, |v4|, s21
	v_and_b32_e32 v1, 0xff, v1
	v_cmp_ne_u32_e32 vcc, 0, v1
	s_andn2_b64 s[10:11], s[10:11], exec
	s_and_b64 s[22:23], vcc, exec
	s_or_b64 s[10:11], s[10:11], s[22:23]
	s_or_b64 exec, exec, s[16:17]
	v_mov_b32_e32 v5, 0
	s_and_saveexec_b64 s[16:17], s[10:11]
	s_cbranch_execnz .LBB120_1807
	s_branch .LBB120_1808
.LBB120_2032:
	s_trap 2
	s_or_b64 s[14:15], s[14:15], exec
	s_cbranch_execz .LBB120_1854
	s_branch .LBB120_1855
.LBB120_2033:
	s_andn2_saveexec_b64 s[10:11], s[10:11]
	s_cbranch_execz .LBB120_1819
.LBB120_2034:
	s_mov_b32 s16, 0x42800000
	v_add_f32_e64 v1, |v4|, s16
	v_and_b32_e32 v1, 0xff, v1
	v_cmp_ne_u32_e32 vcc, 0, v1
	s_andn2_b64 s[8:9], s[8:9], exec
	s_and_b64 s[16:17], vcc, exec
	s_or_b64 s[8:9], s[8:9], s[16:17]
	s_or_b64 exec, exec, s[10:11]
	v_mov_b32_e32 v5, 0
	s_and_saveexec_b64 s[10:11], s[8:9]
	s_cbranch_execnz .LBB120_1820
	s_branch .LBB120_1821
.LBB120_2035:
	s_andn2_saveexec_b64 s[10:11], s[10:11]
	s_cbranch_execz .LBB120_1926
.LBB120_2036:
	s_mov_b32 s17, 0x46000000
	v_add_f32_e64 v3, |v2|, s17
	v_and_b32_e32 v3, 0xff, v3
	v_cmp_ne_u32_e32 vcc, 0, v3
	s_andn2_b64 s[8:9], s[8:9], exec
	s_and_b64 s[18:19], vcc, exec
	s_or_b64 s[8:9], s[8:9], s[18:19]
	s_or_b64 exec, exec, s[10:11]
	v_mov_b32_e32 v4, 0
	s_and_saveexec_b64 s[10:11], s[8:9]
	s_cbranch_execnz .LBB120_1927
	s_branch .LBB120_1928
.LBB120_2037:
	s_mov_b64 s[4:5], 0
	s_or_b64 s[14:15], s[14:15], exec
	s_trap 2
	s_branch .LBB120_1972
.LBB120_2038:
	s_andn2_saveexec_b64 s[8:9], s[8:9]
	s_cbranch_execz .LBB120_1938
.LBB120_2039:
	s_mov_b32 s10, 0x42800000
	v_add_f32_e64 v3, |v2|, s10
	v_and_b32_e32 v3, 0xff, v3
	v_cmp_ne_u32_e32 vcc, 0, v3
	s_andn2_b64 s[6:7], s[6:7], exec
	s_and_b64 s[10:11], vcc, exec
	s_or_b64 s[6:7], s[6:7], s[10:11]
	s_or_b64 exec, exec, s[8:9]
	v_mov_b32_e32 v4, 0
	s_and_saveexec_b64 s[8:9], s[6:7]
	s_cbranch_execnz .LBB120_1939
	s_branch .LBB120_1940
	.section	.rodata,"a",@progbits
	.p2align	6, 0x0
	.amdhsa_kernel _ZN2at6native32elementwise_kernel_manual_unrollILi128ELi4EZNS0_15gpu_kernel_implIZZZNS0_17expm1_kernel_cudaERNS_18TensorIteratorBaseEENKUlvE_clEvENKUlvE0_clEvEUlfE_EEvS4_RKT_EUlibE_EEviT1_
		.amdhsa_group_segment_fixed_size 0
		.amdhsa_private_segment_fixed_size 0
		.amdhsa_kernarg_size 40
		.amdhsa_user_sgpr_count 2
		.amdhsa_user_sgpr_dispatch_ptr 0
		.amdhsa_user_sgpr_queue_ptr 0
		.amdhsa_user_sgpr_kernarg_segment_ptr 1
		.amdhsa_user_sgpr_dispatch_id 0
		.amdhsa_user_sgpr_kernarg_preload_length 0
		.amdhsa_user_sgpr_kernarg_preload_offset 0
		.amdhsa_user_sgpr_private_segment_size 0
		.amdhsa_uses_dynamic_stack 0
		.amdhsa_enable_private_segment 0
		.amdhsa_system_sgpr_workgroup_id_x 1
		.amdhsa_system_sgpr_workgroup_id_y 0
		.amdhsa_system_sgpr_workgroup_id_z 0
		.amdhsa_system_sgpr_workgroup_info 0
		.amdhsa_system_vgpr_workitem_id 0
		.amdhsa_next_free_vgpr 14
		.amdhsa_next_free_sgpr 44
		.amdhsa_accum_offset 16
		.amdhsa_reserve_vcc 1
		.amdhsa_float_round_mode_32 0
		.amdhsa_float_round_mode_16_64 0
		.amdhsa_float_denorm_mode_32 3
		.amdhsa_float_denorm_mode_16_64 3
		.amdhsa_dx10_clamp 1
		.amdhsa_ieee_mode 1
		.amdhsa_fp16_overflow 0
		.amdhsa_tg_split 0
		.amdhsa_exception_fp_ieee_invalid_op 0
		.amdhsa_exception_fp_denorm_src 0
		.amdhsa_exception_fp_ieee_div_zero 0
		.amdhsa_exception_fp_ieee_overflow 0
		.amdhsa_exception_fp_ieee_underflow 0
		.amdhsa_exception_fp_ieee_inexact 0
		.amdhsa_exception_int_div_zero 0
	.end_amdhsa_kernel
	.section	.text._ZN2at6native32elementwise_kernel_manual_unrollILi128ELi4EZNS0_15gpu_kernel_implIZZZNS0_17expm1_kernel_cudaERNS_18TensorIteratorBaseEENKUlvE_clEvENKUlvE0_clEvEUlfE_EEvS4_RKT_EUlibE_EEviT1_,"axG",@progbits,_ZN2at6native32elementwise_kernel_manual_unrollILi128ELi4EZNS0_15gpu_kernel_implIZZZNS0_17expm1_kernel_cudaERNS_18TensorIteratorBaseEENKUlvE_clEvENKUlvE0_clEvEUlfE_EEvS4_RKT_EUlibE_EEviT1_,comdat
.Lfunc_end120:
	.size	_ZN2at6native32elementwise_kernel_manual_unrollILi128ELi4EZNS0_15gpu_kernel_implIZZZNS0_17expm1_kernel_cudaERNS_18TensorIteratorBaseEENKUlvE_clEvENKUlvE0_clEvEUlfE_EEvS4_RKT_EUlibE_EEviT1_, .Lfunc_end120-_ZN2at6native32elementwise_kernel_manual_unrollILi128ELi4EZNS0_15gpu_kernel_implIZZZNS0_17expm1_kernel_cudaERNS_18TensorIteratorBaseEENKUlvE_clEvENKUlvE0_clEvEUlfE_EEvS4_RKT_EUlibE_EEviT1_
                                        ; -- End function
	.set _ZN2at6native32elementwise_kernel_manual_unrollILi128ELi4EZNS0_15gpu_kernel_implIZZZNS0_17expm1_kernel_cudaERNS_18TensorIteratorBaseEENKUlvE_clEvENKUlvE0_clEvEUlfE_EEvS4_RKT_EUlibE_EEviT1_.num_vgpr, 14
	.set _ZN2at6native32elementwise_kernel_manual_unrollILi128ELi4EZNS0_15gpu_kernel_implIZZZNS0_17expm1_kernel_cudaERNS_18TensorIteratorBaseEENKUlvE_clEvENKUlvE0_clEvEUlfE_EEvS4_RKT_EUlibE_EEviT1_.num_agpr, 0
	.set _ZN2at6native32elementwise_kernel_manual_unrollILi128ELi4EZNS0_15gpu_kernel_implIZZZNS0_17expm1_kernel_cudaERNS_18TensorIteratorBaseEENKUlvE_clEvENKUlvE0_clEvEUlfE_EEvS4_RKT_EUlibE_EEviT1_.numbered_sgpr, 44
	.set _ZN2at6native32elementwise_kernel_manual_unrollILi128ELi4EZNS0_15gpu_kernel_implIZZZNS0_17expm1_kernel_cudaERNS_18TensorIteratorBaseEENKUlvE_clEvENKUlvE0_clEvEUlfE_EEvS4_RKT_EUlibE_EEviT1_.num_named_barrier, 0
	.set _ZN2at6native32elementwise_kernel_manual_unrollILi128ELi4EZNS0_15gpu_kernel_implIZZZNS0_17expm1_kernel_cudaERNS_18TensorIteratorBaseEENKUlvE_clEvENKUlvE0_clEvEUlfE_EEvS4_RKT_EUlibE_EEviT1_.private_seg_size, 0
	.set _ZN2at6native32elementwise_kernel_manual_unrollILi128ELi4EZNS0_15gpu_kernel_implIZZZNS0_17expm1_kernel_cudaERNS_18TensorIteratorBaseEENKUlvE_clEvENKUlvE0_clEvEUlfE_EEvS4_RKT_EUlibE_EEviT1_.uses_vcc, 1
	.set _ZN2at6native32elementwise_kernel_manual_unrollILi128ELi4EZNS0_15gpu_kernel_implIZZZNS0_17expm1_kernel_cudaERNS_18TensorIteratorBaseEENKUlvE_clEvENKUlvE0_clEvEUlfE_EEvS4_RKT_EUlibE_EEviT1_.uses_flat_scratch, 0
	.set _ZN2at6native32elementwise_kernel_manual_unrollILi128ELi4EZNS0_15gpu_kernel_implIZZZNS0_17expm1_kernel_cudaERNS_18TensorIteratorBaseEENKUlvE_clEvENKUlvE0_clEvEUlfE_EEvS4_RKT_EUlibE_EEviT1_.has_dyn_sized_stack, 0
	.set _ZN2at6native32elementwise_kernel_manual_unrollILi128ELi4EZNS0_15gpu_kernel_implIZZZNS0_17expm1_kernel_cudaERNS_18TensorIteratorBaseEENKUlvE_clEvENKUlvE0_clEvEUlfE_EEvS4_RKT_EUlibE_EEviT1_.has_recursion, 0
	.set _ZN2at6native32elementwise_kernel_manual_unrollILi128ELi4EZNS0_15gpu_kernel_implIZZZNS0_17expm1_kernel_cudaERNS_18TensorIteratorBaseEENKUlvE_clEvENKUlvE0_clEvEUlfE_EEvS4_RKT_EUlibE_EEviT1_.has_indirect_call, 0
	.section	.AMDGPU.csdata,"",@progbits
; Kernel info:
; codeLenInByte = 33892
; TotalNumSgprs: 50
; NumVgprs: 14
; NumAgprs: 0
; TotalNumVgprs: 14
; ScratchSize: 0
; MemoryBound: 1
; FloatMode: 240
; IeeeMode: 1
; LDSByteSize: 0 bytes/workgroup (compile time only)
; SGPRBlocks: 6
; VGPRBlocks: 1
; NumSGPRsForWavesPerEU: 50
; NumVGPRsForWavesPerEU: 14
; AccumOffset: 16
; Occupancy: 8
; WaveLimiterHint : 0
; COMPUTE_PGM_RSRC2:SCRATCH_EN: 0
; COMPUTE_PGM_RSRC2:USER_SGPR: 2
; COMPUTE_PGM_RSRC2:TRAP_HANDLER: 0
; COMPUTE_PGM_RSRC2:TGID_X_EN: 1
; COMPUTE_PGM_RSRC2:TGID_Y_EN: 0
; COMPUTE_PGM_RSRC2:TGID_Z_EN: 0
; COMPUTE_PGM_RSRC2:TIDIG_COMP_CNT: 0
; COMPUTE_PGM_RSRC3_GFX90A:ACCUM_OFFSET: 3
; COMPUTE_PGM_RSRC3_GFX90A:TG_SPLIT: 0
	.section	.text._ZN2at6native32elementwise_kernel_manual_unrollILi128ELi4EZNS0_15gpu_kernel_implIZZZNS0_17expm1_kernel_cudaERNS_18TensorIteratorBaseEENKUlvE_clEvENKUlvE0_clEvEUlfE_EEvS4_RKT_EUlibE0_EEviT1_,"axG",@progbits,_ZN2at6native32elementwise_kernel_manual_unrollILi128ELi4EZNS0_15gpu_kernel_implIZZZNS0_17expm1_kernel_cudaERNS_18TensorIteratorBaseEENKUlvE_clEvENKUlvE0_clEvEUlfE_EEvS4_RKT_EUlibE0_EEviT1_,comdat
	.globl	_ZN2at6native32elementwise_kernel_manual_unrollILi128ELi4EZNS0_15gpu_kernel_implIZZZNS0_17expm1_kernel_cudaERNS_18TensorIteratorBaseEENKUlvE_clEvENKUlvE0_clEvEUlfE_EEvS4_RKT_EUlibE0_EEviT1_ ; -- Begin function _ZN2at6native32elementwise_kernel_manual_unrollILi128ELi4EZNS0_15gpu_kernel_implIZZZNS0_17expm1_kernel_cudaERNS_18TensorIteratorBaseEENKUlvE_clEvENKUlvE0_clEvEUlfE_EEvS4_RKT_EUlibE0_EEviT1_
	.p2align	8
	.type	_ZN2at6native32elementwise_kernel_manual_unrollILi128ELi4EZNS0_15gpu_kernel_implIZZZNS0_17expm1_kernel_cudaERNS_18TensorIteratorBaseEENKUlvE_clEvENKUlvE0_clEvEUlfE_EEvS4_RKT_EUlibE0_EEviT1_,@function
_ZN2at6native32elementwise_kernel_manual_unrollILi128ELi4EZNS0_15gpu_kernel_implIZZZNS0_17expm1_kernel_cudaERNS_18TensorIteratorBaseEENKUlvE_clEvENKUlvE0_clEvEUlfE_EEvS4_RKT_EUlibE0_EEviT1_: ; @_ZN2at6native32elementwise_kernel_manual_unrollILi128ELi4EZNS0_15gpu_kernel_implIZZZNS0_17expm1_kernel_cudaERNS_18TensorIteratorBaseEENKUlvE_clEvENKUlvE0_clEvEUlfE_EEvS4_RKT_EUlibE0_EEviT1_
; %bb.0:
	s_load_dword s70, s[0:1], 0x0
	s_load_dword s33, s[0:1], 0x8
	s_add_u32 s34, s0, 8
	s_addc_u32 s35, s1, 0
	v_lshl_or_b32 v8, s2, 9, v0
	v_or_b32_e32 v16, 0x180, v8
	s_waitcnt lgkmcnt(0)
	s_add_i32 s72, s33, -1
	s_cmp_gt_u32 s72, 1
	v_cmp_le_i32_e32 vcc, s70, v16
	s_cselect_b64 s[42:43], -1, 0
	s_mov_b64 s[40:41], 0
	s_mov_b64 s[24:25], 0
	s_and_saveexec_b64 s[2:3], vcc
	s_xor_b64 s[44:45], exec, s[2:3]
	s_cbranch_execz .LBB121_1090
; %bb.1:
	v_mov_b32_e32 v0, 0
	global_load_ushort v0, v0, s[34:35] offset:345
	s_load_dwordx4 s[28:31], s[34:35], 0x4
	s_load_dwordx2 s[46:47], s[34:35], 0x14
	s_load_dwordx4 s[24:27], s[34:35], 0xc4
	s_load_dwordx4 s[20:23], s[34:35], 0x148
	s_cmp_lg_u32 s33, 0
	s_cselect_b64 s[52:53], -1, 0
	s_add_u32 s50, s34, 0xc4
	s_addc_u32 s51, s35, 0
	s_min_u32 s75, s72, 15
	s_cmp_gt_u32 s33, 1
	s_cselect_b64 s[48:49], -1, 0
	v_cmp_gt_i32_e32 vcc, s70, v8
	s_mov_b64 s[4:5], -1
	s_mov_b64 s[62:63], 0
	s_mov_b64 s[56:57], 0
	;; [unrolled: 1-line block ×3, first 2 shown]
	s_waitcnt vmcnt(0)
	v_readfirstlane_b32 s73, v0
	s_and_b32 s2, 0xffff, s73
	s_lshr_b32 s74, s2, 8
	s_and_saveexec_b64 s[58:59], vcc
	s_cbranch_execz .LBB121_267
; %bb.2:
	s_andn2_b64 vcc, exec, s[42:43]
	s_cbranch_vccnz .LBB121_8
; %bb.3:
	s_andn2_b64 vcc, exec, s[52:53]
	s_cbranch_vccnz .LBB121_9
; %bb.4:
	s_add_i32 s57, s75, 1
	s_cmp_eq_u32 s72, 2
	s_cbranch_scc1 .LBB121_10
; %bb.5:
	s_and_b32 s56, s57, 28
	s_mov_b32 s60, 0
	v_mov_b32_e32 v0, 0
	v_mov_b32_e32 v2, 0
	s_mov_b64 s[2:3], s[34:35]
	s_mov_b64 s[54:55], s[50:51]
	v_mov_b32_e32 v4, v8
.LBB121_6:                              ; =>This Inner Loop Header: Depth=1
	s_load_dwordx8 s[12:19], s[2:3], 0x4
	s_load_dwordx4 s[36:39], s[2:3], 0x24
	s_load_dwordx8 s[4:11], s[54:55], 0x0
	s_add_u32 s2, s2, 48
	s_addc_u32 s3, s3, 0
	s_waitcnt lgkmcnt(0)
	v_mul_hi_u32 v1, s13, v4
	v_add_u32_e32 v1, v4, v1
	v_lshrrev_b32_e32 v1, s14, v1
	v_mul_lo_u32 v3, v1, s12
	v_mul_hi_u32 v5, s16, v1
	v_sub_u32_e32 v3, v4, v3
	v_add_u32_e32 v4, v1, v5
	v_lshrrev_b32_e32 v4, s17, v4
	v_mul_lo_u32 v6, v4, s15
	v_mul_hi_u32 v7, s19, v4
	v_sub_u32_e32 v1, v1, v6
	v_add_u32_e32 v6, v4, v7
	v_mul_lo_u32 v5, v3, s5
	v_mul_lo_u32 v3, v3, s4
	;; [unrolled: 1-line block ×4, first 2 shown]
	v_lshrrev_b32_e32 v6, s36, v6
	v_add3_u32 v0, v3, v0, v1
	v_mul_hi_u32 v3, s38, v6
	v_add3_u32 v1, v5, v2, v7
	v_mul_lo_u32 v2, v6, s18
	v_add_u32_e32 v3, v6, v3
	v_sub_u32_e32 v2, v4, v2
	v_lshrrev_b32_e32 v4, s39, v3
	s_add_i32 s60, s60, 4
	v_mul_lo_u32 v3, v4, s37
	s_add_u32 s54, s54, 32
	v_sub_u32_e32 v3, v6, v3
	s_addc_u32 s55, s55, 0
	v_mul_lo_u32 v5, v2, s8
	v_mul_lo_u32 v2, v2, s9
	;; [unrolled: 1-line block ×4, first 2 shown]
	s_cmp_lg_u32 s56, s60
	v_add3_u32 v2, v2, v1, v3
	v_add3_u32 v0, v5, v0, v6
	s_cbranch_scc1 .LBB121_6
; %bb.7:
	v_mov_b32_e32 v1, v2
	s_branch .LBB121_11
.LBB121_8:
                                        ; implicit-def: $vgpr2
                                        ; implicit-def: $vgpr0
	s_branch .LBB121_15
.LBB121_9:
	v_mov_b32_e32 v2, 0
	v_mov_b32_e32 v0, 0
	s_branch .LBB121_14
.LBB121_10:
	v_mov_b32_e32 v0, 0
	s_mov_b32 s56, 0
	v_mov_b32_e32 v1, v0
                                        ; implicit-def: $vgpr2
	v_mov_b32_e32 v4, v8
.LBB121_11:
	s_and_b32 s6, s57, 3
	s_cmp_eq_u32 s6, 0
	s_cbranch_scc1 .LBB121_14
; %bb.12:
	s_lshl_b32 s2, s56, 3
	s_add_u32 s2, s34, s2
	s_addc_u32 s3, s35, 0
	s_add_u32 s2, s2, 0xc4
	s_addc_u32 s3, s3, 0
	s_mul_i32 s4, s56, 12
	s_add_u32 s4, s34, s4
	s_addc_u32 s5, s35, 0
.LBB121_13:                             ; =>This Inner Loop Header: Depth=1
	s_load_dwordx2 s[8:9], s[4:5], 0x4
	s_load_dword s7, s[4:5], 0xc
	s_load_dwordx2 s[10:11], s[2:3], 0x0
	v_mov_b32_e32 v2, v1
	s_add_u32 s4, s4, 12
	s_waitcnt lgkmcnt(0)
	v_mul_hi_u32 v1, s9, v4
	v_add_u32_e32 v1, v4, v1
	v_lshrrev_b32_e32 v1, s7, v1
	s_addc_u32 s5, s5, 0
	v_mul_lo_u32 v3, v1, s8
	s_add_u32 s2, s2, 8
	v_sub_u32_e32 v5, v4, v3
	s_addc_u32 s3, s3, 0
	s_add_i32 s6, s6, -1
	v_mov_b32_e32 v4, v1
	v_mad_u64_u32 v[2:3], s[8:9], v5, s11, v[2:3]
	v_mad_u64_u32 v[0:1], s[8:9], v5, s10, v[0:1]
	s_cmp_lg_u32 s6, 0
	v_mov_b32_e32 v1, v2
	s_cbranch_scc1 .LBB121_13
.LBB121_14:
	s_cbranch_execnz .LBB121_17
.LBB121_15:
	s_waitcnt lgkmcnt(0)
	v_mul_hi_u32 v0, s29, v8
	v_add_u32_e32 v0, v8, v0
	v_lshrrev_b32_e32 v1, s30, v0
	v_mul_lo_u32 v0, v1, s28
	v_sub_u32_e32 v0, v8, v0
	v_mul_lo_u32 v2, v0, s25
	s_andn2_b64 vcc, exec, s[48:49]
	v_mul_lo_u32 v0, v0, s24
	s_cbranch_vccnz .LBB121_17
; %bb.16:
	v_mul_hi_u32 v3, s46, v1
	v_add_u32_e32 v3, v1, v3
	v_lshrrev_b32_e32 v3, s47, v3
	v_mul_lo_u32 v3, v3, s31
	v_sub_u32_e32 v3, v1, v3
	v_mad_u64_u32 v[0:1], s[2:3], v3, s26, v[0:1]
	v_mad_u64_u32 v[2:3], s[2:3], v3, s27, v[2:3]
.LBB121_17:
	v_mov_b32_e32 v3, 0
	s_and_b32 s10, 0xffff, s74
	s_cmp_lt_i32 s10, 11
	s_waitcnt lgkmcnt(0)
	v_lshl_add_u64 v[2:3], s[22:23], 0, v[2:3]
	s_cbranch_scc1 .LBB121_24
; %bb.18:
	s_cmp_gt_i32 s10, 25
	s_cbranch_scc0 .LBB121_33
; %bb.19:
	s_cmp_gt_i32 s10, 28
	s_cbranch_scc0 .LBB121_36
	;; [unrolled: 3-line block ×4, first 2 shown]
; %bb.22:
	s_cmp_eq_u32 s10, 46
	s_mov_b64 s[6:7], 0
	s_cbranch_scc0 .LBB121_42
; %bb.23:
	global_load_dword v1, v[2:3], off
	s_mov_b64 s[2:3], -1
	s_mov_b64 s[4:5], 0
	s_waitcnt vmcnt(0)
	v_lshlrev_b32_e32 v1, 16, v1
	s_branch .LBB121_44
.LBB121_24:
	s_mov_b64 s[4:5], 0
                                        ; implicit-def: $vgpr1
	s_mov_b64 s[2:3], 0
	s_cbranch_execnz .LBB121_217
.LBB121_25:
	s_andn2_b64 vcc, exec, s[2:3]
	s_cbranch_vccnz .LBB121_264
.LBB121_26:
	s_waitcnt vmcnt(0)
	v_mul_f32_e32 v2, 0x3fb8aa3b, v1
	v_rndne_f32_e32 v2, v2
	v_fmamk_f32 v3, v2, 0xbf317218, v1
	v_fmamk_f32 v3, v2, 0x3102e308, v3
	v_mov_b32_e32 v4, 0x3ab69700
	v_fmac_f32_e32 v4, 0x395133b1, v3
	v_fmaak_f32 v4, v3, v4, 0x3c0887f9
	v_fmaak_f32 v4, v3, v4, 0x3d2aaa81
	v_cvt_i32_f32_e32 v5, v2
	v_fmaak_f32 v4, v3, v4, 0x3e2aaaab
	v_fma_f32 v4, v3, v4, 0.5
	v_mul_f32_e32 v4, v3, v4
	s_mov_b32 s2, 0x43000000
	v_fmac_f32_e32 v3, v3, v4
	v_ldexp_f32 v4, 1.0, v5
	v_mov_b32_e32 v5, 0x7f000000
	v_cmp_eq_f32_e32 vcc, s2, v2
	s_mov_b32 s2, 0x42b17217
	s_and_b32 s12, s73, 0xff
	v_cndmask_b32_e32 v2, v4, v5, vcc
	v_add_f32_e32 v4, -1.0, v2
	v_fmac_f32_e32 v4, v2, v3
	v_add_f32_e32 v2, v4, v4
	v_cndmask_b32_e32 v2, v4, v2, vcc
	v_mov_b32_e32 v3, 0x7f800000
	v_cmp_nlt_f32_e32 vcc, s2, v1
	s_mov_b32 s2, 0xc1880000
	s_cmp_lt_i32 s12, 11
	v_cndmask_b32_e32 v2, v3, v2, vcc
	v_cmp_ngt_f32_e32 vcc, s2, v1
	v_mov_b32_e32 v1, 0
	v_lshl_add_u64 v[0:1], s[20:21], 0, v[0:1]
	v_cndmask_b32_e32 v2, -1.0, v2, vcc
	s_cbranch_scc1 .LBB121_34
; %bb.27:
	s_and_b32 s13, 0xffff, s12
	s_cmp_gt_i32 s13, 25
	s_cbranch_scc0 .LBB121_37
; %bb.28:
	s_cmp_gt_i32 s13, 28
	s_cbranch_scc0 .LBB121_39
; %bb.29:
	;; [unrolled: 3-line block ×4, first 2 shown]
	s_mov_b64 s[8:9], 0
	s_mov_b64 s[2:3], -1
	s_cmp_eq_u32 s13, 46
	s_mov_b64 s[6:7], 0
	s_cbranch_scc0 .LBB121_48
; %bb.32:
	v_bfe_u32 v3, v2, 16, 1
	s_movk_i32 s2, 0x7fff
	v_add3_u32 v3, v2, v3, s2
	v_cmp_o_f32_e32 vcc, v2, v2
	v_mov_b32_e32 v4, 0x7fc0
	s_mov_b64 s[6:7], -1
	v_cndmask_b32_sdwa v3, v4, v3, vcc dst_sel:DWORD dst_unused:UNUSED_PAD src0_sel:DWORD src1_sel:WORD_1
	global_store_dword v[0:1], v3, off
	s_mov_b64 s[2:3], 0
	s_branch .LBB121_48
.LBB121_33:
	s_mov_b64 s[4:5], 0
	s_mov_b64 s[2:3], 0
                                        ; implicit-def: $vgpr1
	s_cbranch_execnz .LBB121_182
	s_branch .LBB121_216
.LBB121_34:
	s_mov_b64 s[2:3], 0
	s_mov_b64 s[6:7], 0
	s_cbranch_execnz .LBB121_117
.LBB121_35:
	s_andn2_b64 vcc, exec, s[6:7]
	s_cbranch_vccnz .LBB121_265
	s_branch .LBB121_155
.LBB121_36:
	s_mov_b64 s[6:7], -1
	s_mov_b64 s[4:5], 0
	s_mov_b64 s[2:3], 0
                                        ; implicit-def: $vgpr1
	s_branch .LBB121_163
.LBB121_37:
	s_mov_b64 s[8:9], -1
	s_mov_b64 s[2:3], 0
	s_mov_b64 s[6:7], 0
	s_branch .LBB121_75
.LBB121_38:
	s_mov_b64 s[6:7], -1
	s_mov_b64 s[4:5], 0
	s_mov_b64 s[2:3], 0
                                        ; implicit-def: $vgpr1
	s_branch .LBB121_158
.LBB121_39:
	s_mov_b64 s[8:9], -1
	s_mov_b64 s[2:3], 0
	s_mov_b64 s[6:7], 0
	s_branch .LBB121_58
.LBB121_40:
	s_mov_b64 s[6:7], -1
	s_mov_b64 s[4:5], 0
	s_branch .LBB121_43
.LBB121_41:
	s_mov_b64 s[8:9], -1
	s_mov_b64 s[2:3], 0
	s_mov_b64 s[6:7], 0
	s_branch .LBB121_54
.LBB121_42:
	s_mov_b64 s[4:5], -1
.LBB121_43:
	s_mov_b64 s[2:3], 0
                                        ; implicit-def: $vgpr1
.LBB121_44:
	s_and_b64 vcc, exec, s[6:7]
	s_cbranch_vccz .LBB121_157
; %bb.45:
	s_cmp_eq_u32 s10, 44
	s_cbranch_scc0 .LBB121_156
; %bb.46:
	global_load_ubyte v1, v[2:3], off
	s_movk_i32 s4, 0xff
	v_mov_b32_e32 v4, 0x7f800001
	v_mov_b32_e32 v5, 0x400000
	s_mov_b64 s[2:3], -1
	s_waitcnt vmcnt(0)
	v_lshlrev_b32_e32 v6, 23, v1
	v_cmp_ne_u32_e32 vcc, s4, v1
	s_mov_b64 s[4:5], 0
	s_nop 0
	v_cndmask_b32_e32 v4, v4, v6, vcc
	v_cmp_ne_u32_e32 vcc, 0, v1
	s_nop 1
	v_cndmask_b32_e32 v1, v5, v4, vcc
	s_branch .LBB121_157
.LBB121_47:
	s_mov_b64 s[8:9], -1
	s_mov_b64 s[2:3], 0
	s_mov_b64 s[6:7], 0
.LBB121_48:
	s_and_b64 vcc, exec, s[8:9]
	s_cbranch_vccz .LBB121_53
; %bb.49:
	s_cmp_eq_u32 s13, 44
	s_mov_b64 s[2:3], -1
	s_cbranch_scc0 .LBB121_53
; %bb.50:
	v_bfe_u32 v3, v2, 23, 8
	s_movk_i32 s2, 0xff
	v_cmp_ne_u32_e32 vcc, s2, v3
	v_mov_b32_e32 v4, 0xff
	s_and_saveexec_b64 s[6:7], vcc
; %bb.51:
	s_mov_b32 s2, 0x3fffff
	v_and_b32_e32 v5, 0x400000, v2
	v_and_or_b32 v3, v2, s2, v3
	v_cmp_ne_u32_e32 vcc, 0, v5
	v_cmp_ne_u32_e64 s[2:3], 0, v3
	s_and_b64 s[2:3], vcc, s[2:3]
	v_lshrrev_b32_e32 v4, 23, v2
	v_cndmask_b32_e64 v3, 0, 1, s[2:3]
	v_add_u32_e32 v4, v4, v3
; %bb.52:
	s_or_b64 exec, exec, s[6:7]
	s_mov_b64 s[6:7], -1
	s_mov_b64 s[2:3], 0
	global_store_byte v[0:1], v4, off
.LBB121_53:
	s_mov_b64 s[8:9], 0
.LBB121_54:
	s_and_b64 vcc, exec, s[8:9]
	s_cbranch_vccz .LBB121_57
; %bb.55:
	s_cmp_eq_u32 s13, 29
	s_mov_b64 s[2:3], -1
	s_cbranch_scc0 .LBB121_57
; %bb.56:
	v_trunc_f32_e32 v3, v2
	v_mul_f32_e32 v4, 0x2f800000, v3
	v_floor_f32_e32 v4, v4
	v_fmamk_f32 v3, v4, 0xcf800000, v3
	v_cvt_u32_f32_e32 v5, v4
	v_cvt_u32_f32_e32 v4, v3
	s_mov_b64 s[6:7], -1
	s_mov_b64 s[2:3], 0
	s_mov_b64 s[8:9], 0
	global_store_dwordx2 v[0:1], v[4:5], off
	s_branch .LBB121_58
.LBB121_57:
	s_mov_b64 s[8:9], 0
.LBB121_58:
	s_and_b64 vcc, exec, s[8:9]
	s_cbranch_vccz .LBB121_74
; %bb.59:
	s_cmp_lt_i32 s13, 27
	s_mov_b64 s[6:7], -1
	s_cbranch_scc1 .LBB121_65
; %bb.60:
	v_cvt_u32_f32_e32 v3, v2
	s_cmp_gt_i32 s13, 27
	s_cbranch_scc0 .LBB121_62
; %bb.61:
	s_mov_b64 s[6:7], 0
	global_store_dword v[0:1], v3, off
.LBB121_62:
	s_andn2_b64 vcc, exec, s[6:7]
	s_cbranch_vccnz .LBB121_64
; %bb.63:
	global_store_short v[0:1], v3, off
.LBB121_64:
	s_mov_b64 s[6:7], 0
.LBB121_65:
	s_andn2_b64 vcc, exec, s[6:7]
	s_cbranch_vccnz .LBB121_73
; %bb.66:
	v_and_b32_e32 v3, 0x7fffffff, v2
	s_mov_b32 s6, 0x43800000
	v_cmp_gt_u32_e32 vcc, s6, v3
	v_mov_b32_e32 v4, 0x80
	s_and_saveexec_b64 s[6:7], vcc
	s_cbranch_execz .LBB121_72
; %bb.67:
	s_mov_b32 s8, 0x3bffffff
	v_cmp_lt_u32_e32 vcc, s8, v3
	s_mov_b64 s[8:9], 0
                                        ; implicit-def: $vgpr3
	s_and_saveexec_b64 s[10:11], vcc
	s_xor_b64 s[10:11], exec, s[10:11]
	s_cbranch_execz .LBB121_309
; %bb.68:
	v_bfe_u32 v3, v2, 20, 1
	s_mov_b32 s14, 0x487ffff
	v_add3_u32 v3, v2, v3, s14
	s_mov_b64 s[8:9], exec
	v_lshrrev_b32_e32 v3, 20, v3
	s_andn2_saveexec_b64 s[10:11], s[10:11]
	s_cbranch_execnz .LBB121_310
.LBB121_69:
	s_or_b64 exec, exec, s[10:11]
	v_mov_b32_e32 v4, 0
	s_and_saveexec_b64 s[10:11], s[8:9]
.LBB121_70:
	v_lshrrev_b32_e32 v4, 24, v2
	s_movk_i32 s8, 0x80
	v_and_or_b32 v4, v4, s8, v3
.LBB121_71:
	s_or_b64 exec, exec, s[10:11]
.LBB121_72:
	s_or_b64 exec, exec, s[6:7]
	global_store_byte v[0:1], v4, off
.LBB121_73:
	s_mov_b64 s[6:7], -1
.LBB121_74:
	s_mov_b64 s[8:9], 0
.LBB121_75:
	s_and_b64 vcc, exec, s[8:9]
	s_cbranch_vccz .LBB121_116
; %bb.76:
	s_cmp_gt_i32 s13, 22
	s_mov_b64 s[8:9], -1
	s_cbranch_scc0 .LBB121_108
; %bb.77:
	s_cmp_lt_i32 s13, 24
	s_mov_b64 s[6:7], -1
	s_cbranch_scc1 .LBB121_97
; %bb.78:
	s_cmp_gt_i32 s13, 24
	s_cbranch_scc0 .LBB121_86
; %bb.79:
	v_and_b32_e32 v3, 0x7fffffff, v2
	s_mov_b32 s6, 0x47800000
	v_cmp_gt_u32_e32 vcc, s6, v3
	v_mov_b32_e32 v4, 0x80
	s_and_saveexec_b64 s[6:7], vcc
	s_cbranch_execz .LBB121_85
; %bb.80:
	s_mov_b32 s8, 0x37ffffff
	v_cmp_lt_u32_e32 vcc, s8, v3
	s_mov_b64 s[8:9], 0
                                        ; implicit-def: $vgpr3
	s_and_saveexec_b64 s[10:11], vcc
	s_xor_b64 s[10:11], exec, s[10:11]
	s_cbranch_execz .LBB121_313
; %bb.81:
	v_bfe_u32 v3, v2, 21, 1
	s_mov_b32 s14, 0x88fffff
	v_add3_u32 v3, v2, v3, s14
	s_mov_b64 s[8:9], exec
	v_lshrrev_b32_e32 v3, 21, v3
	s_andn2_saveexec_b64 s[10:11], s[10:11]
	s_cbranch_execnz .LBB121_314
.LBB121_82:
	s_or_b64 exec, exec, s[10:11]
	v_mov_b32_e32 v4, 0
	s_and_saveexec_b64 s[10:11], s[8:9]
.LBB121_83:
	v_lshrrev_b32_e32 v4, 24, v2
	s_movk_i32 s8, 0x80
	v_and_or_b32 v4, v4, s8, v3
.LBB121_84:
	s_or_b64 exec, exec, s[10:11]
.LBB121_85:
	s_or_b64 exec, exec, s[6:7]
	s_mov_b64 s[6:7], 0
	global_store_byte v[0:1], v4, off
.LBB121_86:
	s_and_b64 vcc, exec, s[6:7]
	s_cbranch_vccz .LBB121_96
; %bb.87:
	v_and_b32_e32 v4, 0x7fffffff, v2
	s_mov_b32 s6, 0x43f00000
	v_cmp_gt_u32_e32 vcc, s6, v4
                                        ; implicit-def: $vgpr3
	s_and_saveexec_b64 s[6:7], vcc
	s_xor_b64 s[6:7], exec, s[6:7]
	s_cbranch_execz .LBB121_93
; %bb.88:
	s_mov_b32 s8, 0x3c7fffff
	v_cmp_lt_u32_e32 vcc, s8, v4
                                        ; implicit-def: $vgpr3
	s_and_saveexec_b64 s[8:9], vcc
	s_xor_b64 s[8:9], exec, s[8:9]
; %bb.89:
	v_bfe_u32 v3, v2, 20, 1
	s_mov_b32 s10, 0x407ffff
	v_add3_u32 v3, v2, v3, s10
	v_lshrrev_b32_e32 v4, 20, v3
	v_and_b32_e32 v3, 0xff00000, v3
	s_mov_b32 s10, 0x7f00000
	v_mov_b32_e32 v5, 0x7e
	v_cmp_ne_u32_e32 vcc, s10, v3
	s_nop 1
	v_cndmask_b32_e32 v3, v5, v4, vcc
; %bb.90:
	s_andn2_saveexec_b64 s[8:9], s[8:9]
; %bb.91:
	s_mov_b32 s10, 0x46800000
	v_add_f32_e64 v3, |v2|, s10
; %bb.92:
	s_or_b64 exec, exec, s[8:9]
                                        ; implicit-def: $vgpr4
.LBB121_93:
	s_andn2_saveexec_b64 s[6:7], s[6:7]
; %bb.94:
	s_mov_b32 s8, 0x7f800000
	v_mov_b32_e32 v3, 0x7e
	v_mov_b32_e32 v5, 0x7f
	v_cmp_lt_u32_e32 vcc, s8, v4
	s_nop 1
	v_cndmask_b32_e32 v3, v3, v5, vcc
; %bb.95:
	s_or_b64 exec, exec, s[6:7]
	v_lshrrev_b32_e32 v4, 24, v2
	s_movk_i32 s6, 0x80
	v_and_or_b32 v3, v4, s6, v3
	global_store_byte v[0:1], v3, off
.LBB121_96:
	s_mov_b64 s[6:7], 0
.LBB121_97:
	s_andn2_b64 vcc, exec, s[6:7]
	s_cbranch_vccnz .LBB121_107
; %bb.98:
	v_and_b32_e32 v4, 0x7fffffff, v2
	s_mov_b32 s6, 0x47800000
	v_cmp_gt_u32_e32 vcc, s6, v4
                                        ; implicit-def: $vgpr3
	s_and_saveexec_b64 s[6:7], vcc
	s_xor_b64 s[6:7], exec, s[6:7]
	s_cbranch_execz .LBB121_104
; %bb.99:
	s_mov_b32 s8, 0x387fffff
	v_cmp_lt_u32_e32 vcc, s8, v4
                                        ; implicit-def: $vgpr3
	s_and_saveexec_b64 s[8:9], vcc
	s_xor_b64 s[8:9], exec, s[8:9]
; %bb.100:
	v_bfe_u32 v3, v2, 21, 1
	s_mov_b32 s10, 0x80fffff
	v_add3_u32 v3, v2, v3, s10
	v_lshrrev_b32_e32 v3, 21, v3
; %bb.101:
	s_andn2_saveexec_b64 s[8:9], s[8:9]
; %bb.102:
	s_mov_b32 s10, 0x43000000
	v_add_f32_e64 v3, |v2|, s10
; %bb.103:
	s_or_b64 exec, exec, s[8:9]
                                        ; implicit-def: $vgpr4
.LBB121_104:
	s_andn2_saveexec_b64 s[6:7], s[6:7]
; %bb.105:
	s_mov_b32 s8, 0x7f800000
	v_mov_b32_e32 v3, 0x7c
	v_mov_b32_e32 v5, 0x7f
	v_cmp_lt_u32_e32 vcc, s8, v4
	s_nop 1
	v_cndmask_b32_e32 v3, v3, v5, vcc
; %bb.106:
	s_or_b64 exec, exec, s[6:7]
	v_lshrrev_b32_e32 v4, 24, v2
	s_movk_i32 s6, 0x80
	v_and_or_b32 v3, v4, s6, v3
	global_store_byte v[0:1], v3, off
.LBB121_107:
	s_mov_b64 s[8:9], 0
	s_mov_b64 s[6:7], -1
.LBB121_108:
	s_andn2_b64 vcc, exec, s[8:9]
	s_cbranch_vccnz .LBB121_116
; %bb.109:
	s_cmp_gt_i32 s13, 14
	s_mov_b64 s[8:9], -1
	s_cbranch_scc0 .LBB121_113
; %bb.110:
	s_cmp_eq_u32 s13, 15
	s_mov_b64 s[2:3], -1
	s_cbranch_scc0 .LBB121_112
; %bb.111:
	v_bfe_u32 v3, v2, 16, 1
	s_movk_i32 s2, 0x7fff
	v_add3_u32 v3, v2, v3, s2
	v_cmp_o_f32_e32 vcc, v2, v2
	v_mov_b32_e32 v4, 0x7fc0
	s_mov_b64 s[6:7], -1
	v_cndmask_b32_sdwa v3, v4, v3, vcc dst_sel:DWORD dst_unused:UNUSED_PAD src0_sel:DWORD src1_sel:WORD_1
	global_store_short v[0:1], v3, off
	s_mov_b64 s[2:3], 0
.LBB121_112:
	s_mov_b64 s[8:9], 0
.LBB121_113:
	s_and_b64 vcc, exec, s[8:9]
	s_cbranch_vccz .LBB121_116
; %bb.114:
	s_cmp_eq_u32 s13, 11
	s_mov_b64 s[2:3], -1
	s_cbranch_scc0 .LBB121_116
; %bb.115:
	v_cmp_neq_f32_e32 vcc, 0, v2
	s_mov_b64 s[6:7], -1
	s_mov_b64 s[2:3], 0
	v_cndmask_b32_e64 v3, 0, 1, vcc
	global_store_byte v[0:1], v3, off
.LBB121_116:
	s_branch .LBB121_35
.LBB121_117:
	s_and_b32 s8, 0xffff, s12
	s_cmp_lt_i32 s8, 5
	s_mov_b64 s[6:7], -1
	s_cbranch_scc1 .LBB121_138
; %bb.118:
	s_cmp_lt_i32 s8, 8
	s_cbranch_scc1 .LBB121_128
; %bb.119:
	s_cmp_lt_i32 s8, 9
	s_cbranch_scc1 .LBB121_125
; %bb.120:
	s_cmp_gt_i32 s8, 9
	s_cbranch_scc0 .LBB121_122
; %bb.121:
	v_mov_b32_e32 v6, 0
	v_cvt_f64_f32_e32 v[4:5], v2
	v_mov_b32_e32 v7, v6
	global_store_dwordx4 v[0:1], v[4:7], off
	s_mov_b64 s[6:7], 0
.LBB121_122:
	s_andn2_b64 vcc, exec, s[6:7]
	s_cbranch_vccnz .LBB121_124
; %bb.123:
	v_mov_b32_e32 v3, 0
	global_store_dwordx2 v[0:1], v[2:3], off
.LBB121_124:
	s_mov_b64 s[6:7], 0
.LBB121_125:
	s_andn2_b64 vcc, exec, s[6:7]
	s_cbranch_vccnz .LBB121_127
; %bb.126:
	v_cvt_f16_f32_e32 v3, v2
	global_store_dword v[0:1], v3, off
.LBB121_127:
	s_mov_b64 s[6:7], 0
.LBB121_128:
	s_andn2_b64 vcc, exec, s[6:7]
	s_cbranch_vccnz .LBB121_137
; %bb.129:
	s_cmp_lt_i32 s8, 6
	s_mov_b64 s[6:7], -1
	s_cbranch_scc1 .LBB121_135
; %bb.130:
	s_cmp_gt_i32 s8, 6
	s_cbranch_scc0 .LBB121_132
; %bb.131:
	v_cvt_f64_f32_e32 v[4:5], v2
	global_store_dwordx2 v[0:1], v[4:5], off
	s_mov_b64 s[6:7], 0
.LBB121_132:
	s_andn2_b64 vcc, exec, s[6:7]
	s_cbranch_vccnz .LBB121_134
; %bb.133:
	global_store_dword v[0:1], v2, off
.LBB121_134:
	s_mov_b64 s[6:7], 0
.LBB121_135:
	s_andn2_b64 vcc, exec, s[6:7]
	s_cbranch_vccnz .LBB121_137
; %bb.136:
	v_cvt_f16_f32_e32 v3, v2
	global_store_short v[0:1], v3, off
.LBB121_137:
	s_mov_b64 s[6:7], 0
.LBB121_138:
	s_andn2_b64 vcc, exec, s[6:7]
	s_cbranch_vccnz .LBB121_154
; %bb.139:
	s_cmp_lt_i32 s8, 2
	s_mov_b64 s[6:7], -1
	s_cbranch_scc1 .LBB121_149
; %bb.140:
	s_cmp_lt_i32 s8, 3
	s_cbranch_scc1 .LBB121_146
; %bb.141:
	s_cmp_gt_i32 s8, 3
	s_cbranch_scc0 .LBB121_143
; %bb.142:
	v_trunc_f32_e32 v3, v2
	s_mov_b32 s6, 0x2f800000
	v_mul_f32_e64 v4, |v3|, s6
	v_floor_f32_e32 v4, v4
	s_mov_b32 s6, 0xcf800000
	v_cvt_u32_f32_e32 v5, v4
	v_fma_f32 v4, v4, s6, |v3|
	v_cvt_u32_f32_e32 v4, v4
	v_ashrrev_i32_e32 v3, 31, v3
	v_xor_b32_e32 v5, v5, v3
	s_mov_b64 s[6:7], 0
	v_xor_b32_e32 v4, v4, v3
	v_sub_co_u32_e32 v4, vcc, v4, v3
	s_nop 1
	v_subb_co_u32_e32 v5, vcc, v5, v3, vcc
	global_store_dwordx2 v[0:1], v[4:5], off
.LBB121_143:
	s_andn2_b64 vcc, exec, s[6:7]
	s_cbranch_vccnz .LBB121_145
; %bb.144:
	v_cvt_i32_f32_e32 v3, v2
	global_store_dword v[0:1], v3, off
.LBB121_145:
	s_mov_b64 s[6:7], 0
.LBB121_146:
	s_andn2_b64 vcc, exec, s[6:7]
	s_cbranch_vccnz .LBB121_148
; %bb.147:
	v_cvt_i32_f32_e32 v3, v2
	global_store_short v[0:1], v3, off
.LBB121_148:
	s_mov_b64 s[6:7], 0
.LBB121_149:
	s_andn2_b64 vcc, exec, s[6:7]
	s_cbranch_vccnz .LBB121_154
; %bb.150:
	s_cmp_gt_i32 s8, 0
	s_mov_b64 s[6:7], -1
	s_cbranch_scc0 .LBB121_152
; %bb.151:
	v_cvt_i32_f32_e32 v3, v2
	s_mov_b64 s[6:7], 0
	global_store_byte v[0:1], v3, off
.LBB121_152:
	s_andn2_b64 vcc, exec, s[6:7]
	s_cbranch_vccnz .LBB121_154
; %bb.153:
	v_trunc_f32_e32 v2, v2
	s_mov_b32 s6, 0x2f800000
	v_mul_f32_e64 v3, |v2|, s6
	v_floor_f32_e32 v3, v3
	s_mov_b32 s6, 0xcf800000
	v_fma_f32 v3, v3, s6, |v2|
	v_cvt_u32_f32_e32 v3, v3
	v_ashrrev_i32_e32 v2, 31, v2
	v_xor_b32_e32 v3, v3, v2
	v_sub_u32_e32 v2, v3, v2
	global_store_byte v[0:1], v2, off
.LBB121_154:
.LBB121_155:
	v_add_u32_e32 v8, 0x80, v8
	s_mov_b64 s[6:7], -1
	s_branch .LBB121_266
.LBB121_156:
	s_mov_b64 s[4:5], -1
                                        ; implicit-def: $vgpr1
.LBB121_157:
	s_mov_b64 s[6:7], 0
.LBB121_158:
	s_and_b64 vcc, exec, s[6:7]
	s_cbranch_vccz .LBB121_162
; %bb.159:
	s_cmp_eq_u32 s10, 29
	s_cbranch_scc0 .LBB121_161
; %bb.160:
	global_load_dwordx2 v[4:5], v[2:3], off
	s_mov_b64 s[2:3], -1
	s_mov_b64 s[4:5], 0
	s_mov_b64 s[6:7], 0
	s_waitcnt vmcnt(0)
	v_ffbh_u32_e32 v1, v5
	v_min_u32_e32 v1, 32, v1
	v_lshlrev_b64 v[4:5], v1, v[4:5]
	v_min_u32_e32 v4, 1, v4
	v_or_b32_e32 v4, v5, v4
	v_cvt_f32_u32_e32 v4, v4
	v_sub_u32_e32 v1, 32, v1
	v_ldexp_f32 v1, v4, v1
	s_branch .LBB121_163
.LBB121_161:
	s_mov_b64 s[4:5], -1
                                        ; implicit-def: $vgpr1
.LBB121_162:
	s_mov_b64 s[6:7], 0
.LBB121_163:
	s_and_b64 vcc, exec, s[6:7]
	s_cbranch_vccz .LBB121_181
; %bb.164:
	s_cmp_lt_i32 s10, 27
	s_cbranch_scc1 .LBB121_167
; %bb.165:
	s_cmp_gt_i32 s10, 27
	s_cbranch_scc0 .LBB121_168
; %bb.166:
	global_load_dword v1, v[2:3], off
	s_mov_b64 s[2:3], 0
	s_waitcnt vmcnt(0)
	v_cvt_f32_u32_e32 v1, v1
	s_branch .LBB121_169
.LBB121_167:
	s_mov_b64 s[2:3], -1
                                        ; implicit-def: $vgpr1
	s_branch .LBB121_172
.LBB121_168:
	s_mov_b64 s[2:3], -1
                                        ; implicit-def: $vgpr1
.LBB121_169:
	s_andn2_b64 vcc, exec, s[2:3]
	s_cbranch_vccnz .LBB121_171
; %bb.170:
	global_load_ushort v1, v[2:3], off
	s_waitcnt vmcnt(0)
	v_cvt_f32_u32_e32 v1, v1
.LBB121_171:
	s_mov_b64 s[2:3], 0
.LBB121_172:
	s_andn2_b64 vcc, exec, s[2:3]
	s_cbranch_vccnz .LBB121_180
; %bb.173:
	global_load_ubyte v4, v[2:3], off
	s_movk_i32 s2, 0x7f
	s_waitcnt vmcnt(0)
	v_cmp_lt_i16_e32 vcc, s2, v4
	s_mov_b64 s[2:3], 0
	s_and_saveexec_b64 s[6:7], vcc
	s_xor_b64 s[6:7], exec, s[6:7]
	s_cbranch_execz .LBB121_193
; %bb.174:
	s_movk_i32 s2, 0x80
	v_cmp_eq_u16_e32 vcc, s2, v4
	s_mov_b64 s[2:3], -1
	s_and_saveexec_b64 s[8:9], vcc
; %bb.175:
	s_xor_b64 s[2:3], exec, -1
; %bb.176:
	s_or_b64 exec, exec, s[8:9]
	s_and_b64 s[2:3], s[2:3], exec
	s_or_saveexec_b64 s[6:7], s[6:7]
	v_mov_b32_e32 v1, 0x7f800001
	s_xor_b64 exec, exec, s[6:7]
	s_cbranch_execnz .LBB121_194
.LBB121_177:
	s_or_b64 exec, exec, s[6:7]
	s_and_saveexec_b64 s[6:7], s[2:3]
	s_cbranch_execz .LBB121_179
.LBB121_178:
	v_lshlrev_b32_e32 v1, 24, v4
	v_and_b32_e32 v4, 0xffff, v4
	v_and_b32_e32 v5, 7, v4
	v_ffbh_u32_e32 v7, v5
	v_min_u32_e32 v7, 32, v7
	v_subrev_u32_e32 v9, 28, v7
	v_bfe_u32 v6, v4, 3, 4
	v_lshlrev_b32_e32 v4, v9, v4
	v_sub_u32_e32 v7, 29, v7
	v_and_b32_e32 v4, 7, v4
	v_cmp_eq_u32_e32 vcc, 0, v6
	v_and_b32_e32 v1, 0x80000000, v1
	s_nop 0
	v_cndmask_b32_e32 v6, v6, v7, vcc
	v_cndmask_b32_e32 v4, v5, v4, vcc
	v_mov_b32_e32 v5, 0x3b800000
	v_lshlrev_b32_e32 v4, 20, v4
	v_lshl_add_u32 v5, v6, 23, v5
	v_or3_b32 v1, v1, v5, v4
.LBB121_179:
	s_or_b64 exec, exec, s[6:7]
.LBB121_180:
	s_mov_b64 s[2:3], -1
.LBB121_181:
	s_branch .LBB121_216
.LBB121_182:
	s_cmp_gt_i32 s10, 22
	s_cbranch_scc0 .LBB121_192
; %bb.183:
	s_cmp_lt_i32 s10, 24
	s_cbranch_scc1 .LBB121_195
; %bb.184:
	s_cmp_gt_i32 s10, 24
	s_cbranch_scc0 .LBB121_196
; %bb.185:
	global_load_ubyte v4, v[2:3], off
	s_movk_i32 s2, 0x7f
	s_waitcnt vmcnt(0)
	v_cmp_lt_i16_e32 vcc, s2, v4
	s_mov_b64 s[2:3], 0
	s_and_saveexec_b64 s[6:7], vcc
	s_xor_b64 s[6:7], exec, s[6:7]
	s_cbranch_execz .LBB121_208
; %bb.186:
	s_movk_i32 s2, 0x80
	v_cmp_eq_u16_e32 vcc, s2, v4
	s_mov_b64 s[2:3], -1
	s_and_saveexec_b64 s[8:9], vcc
; %bb.187:
	s_xor_b64 s[2:3], exec, -1
; %bb.188:
	s_or_b64 exec, exec, s[8:9]
	s_and_b64 s[2:3], s[2:3], exec
	s_or_saveexec_b64 s[6:7], s[6:7]
	v_mov_b32_e32 v1, 0x7f800001
	s_xor_b64 exec, exec, s[6:7]
	s_cbranch_execnz .LBB121_209
.LBB121_189:
	s_or_b64 exec, exec, s[6:7]
	s_and_saveexec_b64 s[6:7], s[2:3]
	s_cbranch_execz .LBB121_191
.LBB121_190:
	v_lshlrev_b32_e32 v1, 24, v4
	v_and_b32_e32 v4, 0xffff, v4
	v_and_b32_e32 v5, 3, v4
	v_ffbh_u32_e32 v7, v5
	v_min_u32_e32 v7, 32, v7
	v_subrev_u32_e32 v9, 29, v7
	v_bfe_u32 v6, v4, 2, 5
	v_lshlrev_b32_e32 v4, v9, v4
	v_sub_u32_e32 v7, 30, v7
	v_and_b32_e32 v4, 3, v4
	v_cmp_eq_u32_e32 vcc, 0, v6
	v_and_b32_e32 v1, 0x80000000, v1
	s_nop 0
	v_cndmask_b32_e32 v6, v6, v7, vcc
	v_cndmask_b32_e32 v4, v5, v4, vcc
	v_mov_b32_e32 v5, 0x37800000
	v_lshlrev_b32_e32 v4, 21, v4
	v_lshl_add_u32 v5, v6, 23, v5
	v_or3_b32 v1, v1, v5, v4
.LBB121_191:
	s_or_b64 exec, exec, s[6:7]
	s_mov_b64 s[2:3], 0
	s_branch .LBB121_197
.LBB121_192:
	s_mov_b64 s[6:7], -1
                                        ; implicit-def: $vgpr1
	s_branch .LBB121_203
.LBB121_193:
	s_or_saveexec_b64 s[6:7], s[6:7]
	v_mov_b32_e32 v1, 0x7f800001
	s_xor_b64 exec, exec, s[6:7]
	s_cbranch_execz .LBB121_177
.LBB121_194:
	v_cmp_ne_u16_e32 vcc, 0, v4
	s_andn2_b64 s[2:3], s[2:3], exec
	s_and_b64 s[8:9], vcc, exec
	v_mov_b32_e32 v1, 0
	s_or_b64 s[2:3], s[2:3], s[8:9]
	s_or_b64 exec, exec, s[6:7]
	s_and_saveexec_b64 s[6:7], s[2:3]
	s_cbranch_execnz .LBB121_178
	s_branch .LBB121_179
.LBB121_195:
	s_mov_b64 s[2:3], -1
                                        ; implicit-def: $vgpr1
	s_branch .LBB121_200
.LBB121_196:
	s_mov_b64 s[2:3], -1
                                        ; implicit-def: $vgpr1
.LBB121_197:
	s_and_b64 vcc, exec, s[2:3]
	s_cbranch_vccz .LBB121_199
; %bb.198:
	global_load_ubyte v1, v[2:3], off
	s_mov_b32 s2, 0x7f800000
	s_waitcnt vmcnt(0)
	v_lshlrev_b32_e32 v1, 24, v1
	v_and_b32_e32 v4, 0x7f000000, v1
	v_ffbh_u32_e32 v5, v4
	v_min_u32_e32 v5, 32, v5
	v_sub_u32_e64 v5, v5, 4 clamp
	v_lshlrev_b32_e32 v7, v5, v4
	v_lshlrev_b32_e32 v5, 23, v5
	v_lshrrev_b32_e32 v7, 4, v7
	v_add_u32_e32 v6, 0x1000000, v4
	v_sub_u32_e32 v5, v7, v5
	v_ashrrev_i32_e32 v6, 8, v6
	v_add_u32_e32 v5, 0x3c000000, v5
	v_and_or_b32 v5, v6, s2, v5
	v_cmp_ne_u32_e32 vcc, 0, v4
	s_brev_b32 s2, 1
	s_nop 0
	v_cndmask_b32_e32 v4, 0, v5, vcc
	v_and_or_b32 v1, v1, s2, v4
.LBB121_199:
	s_mov_b64 s[2:3], 0
.LBB121_200:
	s_andn2_b64 vcc, exec, s[2:3]
	s_cbranch_vccnz .LBB121_202
; %bb.201:
	global_load_ubyte v1, v[2:3], off
	s_movk_i32 s2, 0x7f00
	s_brev_b32 s3, 16
	s_waitcnt vmcnt(0)
	v_lshlrev_b16_e32 v4, 8, v1
	v_lshlrev_b32_e32 v1, 25, v1
	v_lshrrev_b32_e32 v5, 4, v1
	v_and_or_b32 v6, v4, s2, 0.5
	v_or_b32_e32 v5, 0x70000000, v5
	v_add_f32_e32 v6, -0.5, v6
	v_mul_f32_e32 v5, 0x7800000, v5
	v_cmp_gt_u32_e32 vcc, s3, v1
	v_bfe_i32 v4, v4, 0, 16
	s_brev_b32 s2, 1
	v_cndmask_b32_e32 v1, v5, v6, vcc
	v_and_or_b32 v1, v4, s2, v1
.LBB121_202:
	s_mov_b64 s[6:7], 0
	s_mov_b64 s[2:3], -1
.LBB121_203:
	s_andn2_b64 vcc, exec, s[6:7]
	s_cbranch_vccnz .LBB121_216
; %bb.204:
	s_cmp_gt_i32 s10, 14
	s_cbranch_scc0 .LBB121_207
; %bb.205:
	s_cmp_eq_u32 s10, 15
	s_cbranch_scc0 .LBB121_210
; %bb.206:
	global_load_ushort v1, v[2:3], off
	s_mov_b64 s[2:3], -1
	s_mov_b64 s[4:5], 0
	s_waitcnt vmcnt(0)
	v_lshlrev_b32_e32 v1, 16, v1
	s_branch .LBB121_211
.LBB121_207:
	s_mov_b64 s[6:7], -1
                                        ; implicit-def: $vgpr1
	s_branch .LBB121_212
.LBB121_208:
	s_or_saveexec_b64 s[6:7], s[6:7]
	v_mov_b32_e32 v1, 0x7f800001
	s_xor_b64 exec, exec, s[6:7]
	s_cbranch_execz .LBB121_189
.LBB121_209:
	v_cmp_ne_u16_e32 vcc, 0, v4
	s_andn2_b64 s[2:3], s[2:3], exec
	s_and_b64 s[8:9], vcc, exec
	v_mov_b32_e32 v1, 0
	s_or_b64 s[2:3], s[2:3], s[8:9]
	s_or_b64 exec, exec, s[6:7]
	s_and_saveexec_b64 s[6:7], s[2:3]
	s_cbranch_execnz .LBB121_190
	s_branch .LBB121_191
.LBB121_210:
	s_mov_b64 s[4:5], -1
                                        ; implicit-def: $vgpr1
.LBB121_211:
	s_mov_b64 s[6:7], 0
.LBB121_212:
	s_and_b64 vcc, exec, s[6:7]
	s_cbranch_vccz .LBB121_216
; %bb.213:
	s_cmp_eq_u32 s10, 11
	s_cbranch_scc0 .LBB121_215
; %bb.214:
	global_load_ubyte v1, v[2:3], off
	s_mov_b64 s[2:3], -1
	s_mov_b64 s[4:5], 0
	s_waitcnt vmcnt(0)
	v_cmp_ne_u16_e32 vcc, 0, v1
	s_nop 1
	v_cndmask_b32_e64 v1, 0, 1.0, vcc
	s_branch .LBB121_216
.LBB121_215:
	s_mov_b64 s[4:5], -1
                                        ; implicit-def: $vgpr1
.LBB121_216:
	s_branch .LBB121_25
.LBB121_217:
	s_cmp_lt_i32 s10, 5
	s_cbranch_scc1 .LBB121_222
; %bb.218:
	s_cmp_lt_i32 s10, 8
	s_cbranch_scc1 .LBB121_223
; %bb.219:
	s_cmp_lt_i32 s10, 9
	s_cbranch_scc1 .LBB121_224
; %bb.220:
	s_cmp_gt_i32 s10, 9
	s_cbranch_scc0 .LBB121_225
; %bb.221:
	global_load_dwordx2 v[4:5], v[2:3], off
	s_mov_b64 s[2:3], 0
	s_waitcnt vmcnt(0)
	v_cvt_f32_f64_e32 v1, v[4:5]
	s_branch .LBB121_226
.LBB121_222:
                                        ; implicit-def: $vgpr1
	s_branch .LBB121_244
.LBB121_223:
	s_mov_b64 s[2:3], -1
                                        ; implicit-def: $vgpr1
	s_branch .LBB121_232
.LBB121_224:
	s_mov_b64 s[2:3], -1
                                        ; implicit-def: $vgpr1
	s_branch .LBB121_229
.LBB121_225:
	s_mov_b64 s[2:3], -1
                                        ; implicit-def: $vgpr1
.LBB121_226:
	s_andn2_b64 vcc, exec, s[2:3]
	s_cbranch_vccnz .LBB121_228
; %bb.227:
	global_load_dword v1, v[2:3], off
.LBB121_228:
	s_mov_b64 s[2:3], 0
.LBB121_229:
	s_andn2_b64 vcc, exec, s[2:3]
	s_cbranch_vccnz .LBB121_231
; %bb.230:
	global_load_dword v1, v[2:3], off
	s_waitcnt vmcnt(0)
	v_cvt_f32_f16_e32 v1, v1
.LBB121_231:
	s_mov_b64 s[2:3], 0
.LBB121_232:
	s_andn2_b64 vcc, exec, s[2:3]
	s_cbranch_vccnz .LBB121_243
; %bb.233:
	s_cmp_lt_i32 s10, 6
	s_cbranch_scc1 .LBB121_236
; %bb.234:
	s_cmp_gt_i32 s10, 6
	s_cbranch_scc0 .LBB121_237
; %bb.235:
	global_load_dwordx2 v[4:5], v[2:3], off
	s_mov_b64 s[2:3], 0
	s_waitcnt vmcnt(0)
	v_cvt_f32_f64_e32 v1, v[4:5]
	s_branch .LBB121_238
.LBB121_236:
	s_mov_b64 s[2:3], -1
                                        ; implicit-def: $vgpr1
	s_branch .LBB121_241
.LBB121_237:
	s_mov_b64 s[2:3], -1
                                        ; implicit-def: $vgpr1
.LBB121_238:
	s_andn2_b64 vcc, exec, s[2:3]
	s_cbranch_vccnz .LBB121_240
; %bb.239:
	global_load_dword v1, v[2:3], off
.LBB121_240:
	s_mov_b64 s[2:3], 0
.LBB121_241:
	s_andn2_b64 vcc, exec, s[2:3]
	s_cbranch_vccnz .LBB121_243
; %bb.242:
	global_load_ushort v1, v[2:3], off
	s_waitcnt vmcnt(0)
	v_cvt_f32_f16_e32 v1, v1
.LBB121_243:
	s_cbranch_execnz .LBB121_263
.LBB121_244:
	s_cmp_lt_i32 s10, 2
	s_cbranch_scc1 .LBB121_248
; %bb.245:
	s_cmp_lt_i32 s10, 3
	s_cbranch_scc1 .LBB121_249
; %bb.246:
	s_cmp_gt_i32 s10, 3
	s_cbranch_scc0 .LBB121_250
; %bb.247:
	global_load_dwordx2 v[4:5], v[2:3], off
	s_mov_b64 s[2:3], 0
	s_waitcnt vmcnt(0)
	v_xor_b32_e32 v6, v4, v5
	v_ffbh_i32_e32 v1, v5
	v_ashrrev_i32_e32 v6, 31, v6
	v_add_u32_e32 v1, -1, v1
	v_add_u32_e32 v6, 32, v6
	v_min_u32_e32 v1, v1, v6
	v_lshlrev_b64 v[4:5], v1, v[4:5]
	v_min_u32_e32 v4, 1, v4
	v_or_b32_e32 v4, v5, v4
	v_cvt_f32_i32_e32 v4, v4
	v_sub_u32_e32 v1, 32, v1
	v_ldexp_f32 v1, v4, v1
	s_branch .LBB121_251
.LBB121_248:
	s_mov_b64 s[2:3], -1
                                        ; implicit-def: $vgpr1
	s_branch .LBB121_257
.LBB121_249:
	s_mov_b64 s[2:3], -1
                                        ; implicit-def: $vgpr1
	s_branch .LBB121_254
.LBB121_250:
	s_mov_b64 s[2:3], -1
                                        ; implicit-def: $vgpr1
.LBB121_251:
	s_andn2_b64 vcc, exec, s[2:3]
	s_cbranch_vccnz .LBB121_253
; %bb.252:
	global_load_dword v1, v[2:3], off
	s_waitcnt vmcnt(0)
	v_cvt_f32_i32_e32 v1, v1
.LBB121_253:
	s_mov_b64 s[2:3], 0
.LBB121_254:
	s_andn2_b64 vcc, exec, s[2:3]
	s_cbranch_vccnz .LBB121_256
; %bb.255:
	global_load_sshort v1, v[2:3], off
	s_waitcnt vmcnt(0)
	v_cvt_f32_i32_e32 v1, v1
.LBB121_256:
	s_mov_b64 s[2:3], 0
.LBB121_257:
	s_andn2_b64 vcc, exec, s[2:3]
	s_cbranch_vccnz .LBB121_263
; %bb.258:
	s_cmp_gt_i32 s10, 0
	s_cbranch_scc0 .LBB121_260
; %bb.259:
	global_load_sbyte v1, v[2:3], off
	s_mov_b64 s[2:3], 0
	s_waitcnt vmcnt(0)
	v_cvt_f32_i32_e32 v1, v1
	s_branch .LBB121_261
.LBB121_260:
	s_mov_b64 s[2:3], -1
                                        ; implicit-def: $vgpr1
.LBB121_261:
	s_andn2_b64 vcc, exec, s[2:3]
	s_cbranch_vccnz .LBB121_263
; %bb.262:
	global_load_ubyte v1, v[2:3], off
	s_waitcnt vmcnt(0)
	v_cvt_f32_ubyte0_e32 v1, v1
.LBB121_263:
	s_branch .LBB121_26
.LBB121_264:
	s_mov_b64 s[2:3], 0
.LBB121_265:
	s_mov_b64 s[6:7], 0
                                        ; implicit-def: $vgpr8
.LBB121_266:
	s_and_b64 s[54:55], s[2:3], exec
	s_and_b64 s[56:57], s[4:5], exec
	s_orn2_b64 s[4:5], s[6:7], exec
.LBB121_267:
	s_or_b64 exec, exec, s[58:59]
	s_mov_b64 s[8:9], 0
	s_mov_b64 s[2:3], 0
                                        ; implicit-def: $vgpr2_vgpr3
                                        ; implicit-def: $vgpr0
                                        ; implicit-def: $vgpr1
	s_and_saveexec_b64 s[58:59], s[4:5]
	s_cbranch_execz .LBB121_275
; %bb.268:
	v_cmp_gt_i32_e32 vcc, s70, v8
	s_mov_b64 s[2:3], -1
	s_mov_b64 s[60:61], s[56:57]
	s_mov_b64 s[62:63], s[54:55]
	s_and_saveexec_b64 s[64:65], vcc
	s_cbranch_execz .LBB121_544
; %bb.269:
	s_andn2_b64 vcc, exec, s[42:43]
	s_cbranch_vccnz .LBB121_278
; %bb.270:
	s_andn2_b64 vcc, exec, s[52:53]
	s_cbranch_vccnz .LBB121_279
; %bb.271:
	s_add_i32 s63, s75, 1
	s_cmp_eq_u32 s72, 2
	s_cbranch_scc1 .LBB121_280
; %bb.272:
	s_and_b32 s62, s63, 28
	s_mov_b32 s66, 0
	v_mov_b32_e32 v0, 0
	v_mov_b32_e32 v2, 0
	s_mov_b64 s[2:3], s[34:35]
	s_mov_b64 s[60:61], s[50:51]
	v_mov_b32_e32 v4, v8
.LBB121_273:                            ; =>This Inner Loop Header: Depth=1
	s_load_dwordx8 s[12:19], s[2:3], 0x4
	s_load_dwordx4 s[36:39], s[2:3], 0x24
	s_load_dwordx8 s[4:11], s[60:61], 0x0
	s_add_u32 s2, s2, 48
	s_addc_u32 s3, s3, 0
	s_waitcnt vmcnt(0) lgkmcnt(0)
	v_mul_hi_u32 v1, s13, v4
	v_add_u32_e32 v1, v4, v1
	v_lshrrev_b32_e32 v1, s14, v1
	v_mul_lo_u32 v3, v1, s12
	v_mul_hi_u32 v5, s16, v1
	v_sub_u32_e32 v3, v4, v3
	v_add_u32_e32 v4, v1, v5
	v_lshrrev_b32_e32 v4, s17, v4
	v_mul_lo_u32 v6, v4, s15
	v_mul_hi_u32 v7, s19, v4
	v_sub_u32_e32 v1, v1, v6
	v_add_u32_e32 v6, v4, v7
	v_mul_lo_u32 v5, v3, s5
	v_mul_lo_u32 v3, v3, s4
	;; [unrolled: 1-line block ×4, first 2 shown]
	v_lshrrev_b32_e32 v6, s36, v6
	v_add3_u32 v0, v3, v0, v1
	v_mul_hi_u32 v3, s38, v6
	v_add3_u32 v1, v5, v2, v7
	v_mul_lo_u32 v2, v6, s18
	v_add_u32_e32 v3, v6, v3
	v_sub_u32_e32 v2, v4, v2
	v_lshrrev_b32_e32 v4, s39, v3
	s_add_i32 s66, s66, 4
	v_mul_lo_u32 v3, v4, s37
	s_add_u32 s60, s60, 32
	v_sub_u32_e32 v3, v6, v3
	s_addc_u32 s61, s61, 0
	v_mul_lo_u32 v5, v2, s8
	v_mul_lo_u32 v2, v2, s9
	;; [unrolled: 1-line block ×4, first 2 shown]
	s_cmp_eq_u32 s62, s66
	v_add3_u32 v2, v2, v1, v3
	v_add3_u32 v0, v5, v0, v6
	s_cbranch_scc0 .LBB121_273
; %bb.274:
	v_mov_b32_e32 v1, v2
	s_branch .LBB121_281
.LBB121_275:
	s_or_b64 exec, exec, s[58:59]
	s_mov_b64 s[4:5], 0
	s_and_saveexec_b64 s[6:7], s[56:57]
	s_cbranch_execnz .LBB121_922
.LBB121_276:
	s_or_b64 exec, exec, s[6:7]
	s_and_saveexec_b64 s[6:7], s[62:63]
	s_xor_b64 s[6:7], exec, s[6:7]
	s_cbranch_execz .LBB121_923
.LBB121_277:
	global_load_ubyte v1, v[2:3], off
	s_or_b64 s[2:3], s[2:3], exec
	s_waitcnt vmcnt(0)
	v_cmp_ne_u16_e32 vcc, 0, v1
	s_nop 1
	v_cndmask_b32_e64 v1, 0, 1.0, vcc
	s_or_b64 exec, exec, s[6:7]
	s_and_saveexec_b64 s[6:7], s[8:9]
	s_cbranch_execz .LBB121_969
	s_branch .LBB121_924
.LBB121_278:
                                        ; implicit-def: $vgpr2
                                        ; implicit-def: $vgpr0
	s_andn2_b64 vcc, exec, s[2:3]
	s_cbranch_vccz .LBB121_285
	s_branch .LBB121_287
.LBB121_279:
	v_mov_b32_e32 v2, 0
	v_mov_b32_e32 v0, 0
	s_branch .LBB121_284
.LBB121_280:
	v_mov_b32_e32 v0, 0
	s_mov_b32 s62, 0
	s_waitcnt vmcnt(0)
	v_mov_b32_e32 v1, v0
                                        ; implicit-def: $vgpr2
	v_mov_b32_e32 v4, v8
.LBB121_281:
	s_and_b32 s6, s63, 3
	s_cmp_eq_u32 s6, 0
	s_cbranch_scc1 .LBB121_284
; %bb.282:
	s_lshl_b32 s2, s62, 3
	s_add_u32 s2, s34, s2
	s_addc_u32 s3, s35, 0
	s_add_u32 s2, s2, 0xc4
	s_addc_u32 s3, s3, 0
	s_mul_i32 s4, s62, 12
	s_add_u32 s4, s34, s4
	s_addc_u32 s5, s35, 0
.LBB121_283:                            ; =>This Inner Loop Header: Depth=1
	s_load_dwordx2 s[8:9], s[4:5], 0x4
	s_load_dword s7, s[4:5], 0xc
	s_load_dwordx2 s[10:11], s[2:3], 0x0
	v_mov_b32_e32 v2, v1
	s_add_u32 s4, s4, 12
	s_waitcnt lgkmcnt(0)
	v_mul_hi_u32 v1, s9, v4
	v_add_u32_e32 v1, v4, v1
	v_lshrrev_b32_e32 v1, s7, v1
	s_addc_u32 s5, s5, 0
	v_mul_lo_u32 v3, v1, s8
	s_add_u32 s2, s2, 8
	v_sub_u32_e32 v5, v4, v3
	s_addc_u32 s3, s3, 0
	s_add_i32 s6, s6, -1
	v_mov_b32_e32 v4, v1
	v_mad_u64_u32 v[2:3], s[8:9], v5, s11, v[2:3]
	v_mad_u64_u32 v[0:1], s[8:9], v5, s10, v[0:1]
	s_cmp_lg_u32 s6, 0
	v_mov_b32_e32 v1, v2
	s_cbranch_scc1 .LBB121_283
.LBB121_284:
	s_cbranch_execnz .LBB121_287
.LBB121_285:
	s_waitcnt lgkmcnt(0)
	v_mul_hi_u32 v0, s29, v8
	v_add_u32_e32 v0, v8, v0
	s_waitcnt vmcnt(0)
	v_lshrrev_b32_e32 v1, s30, v0
	v_mul_lo_u32 v0, v1, s28
	v_sub_u32_e32 v0, v8, v0
	v_mul_lo_u32 v2, v0, s25
	s_andn2_b64 vcc, exec, s[48:49]
	v_mul_lo_u32 v0, v0, s24
	s_cbranch_vccnz .LBB121_287
; %bb.286:
	v_mul_hi_u32 v3, s46, v1
	v_add_u32_e32 v3, v1, v3
	v_lshrrev_b32_e32 v3, s47, v3
	v_mul_lo_u32 v3, v3, s31
	v_sub_u32_e32 v3, v1, v3
	v_mad_u64_u32 v[0:1], s[2:3], v3, s26, v[0:1]
	v_mad_u64_u32 v[2:3], s[2:3], v3, s27, v[2:3]
.LBB121_287:
	v_mov_b32_e32 v3, 0
	s_and_b32 s10, 0xffff, s74
	s_cmp_lt_i32 s10, 11
	s_waitcnt lgkmcnt(0)
	v_lshl_add_u64 v[2:3], s[22:23], 0, v[2:3]
	s_cbranch_scc1 .LBB121_294
; %bb.288:
	s_cmp_gt_i32 s10, 25
	s_cbranch_scc0 .LBB121_303
; %bb.289:
	s_cmp_gt_i32 s10, 28
	s_cbranch_scc0 .LBB121_305
	;; [unrolled: 3-line block ×4, first 2 shown]
; %bb.292:
	s_cmp_eq_u32 s10, 46
	s_mov_b64 s[6:7], 0
	s_cbranch_scc0 .LBB121_315
; %bb.293:
	global_load_dword v1, v[2:3], off
	s_mov_b64 s[2:3], -1
	s_mov_b64 s[4:5], 0
	s_waitcnt vmcnt(0)
	v_lshlrev_b32_e32 v1, 16, v1
	s_branch .LBB121_316
.LBB121_294:
	s_mov_b64 s[2:3], 0
                                        ; implicit-def: $vgpr1
	s_mov_b64 s[4:5], s[56:57]
	s_cbranch_execnz .LBB121_493
.LBB121_295:
	s_andn2_b64 vcc, exec, s[2:3]
	s_cbranch_vccnz .LBB121_541
.LBB121_296:
	s_waitcnt vmcnt(0)
	v_mul_f32_e32 v2, 0x3fb8aa3b, v1
	v_rndne_f32_e32 v2, v2
	v_fmamk_f32 v3, v2, 0xbf317218, v1
	v_fmamk_f32 v3, v2, 0x3102e308, v3
	v_mov_b32_e32 v4, 0x3ab69700
	v_fmac_f32_e32 v4, 0x395133b1, v3
	v_fmaak_f32 v4, v3, v4, 0x3c0887f9
	v_fmaak_f32 v4, v3, v4, 0x3d2aaa81
	v_cvt_i32_f32_e32 v5, v2
	v_fmaak_f32 v4, v3, v4, 0x3e2aaaab
	v_fma_f32 v4, v3, v4, 0.5
	v_mul_f32_e32 v4, v3, v4
	s_mov_b32 s2, 0x43000000
	v_fmac_f32_e32 v3, v3, v4
	v_ldexp_f32 v4, 1.0, v5
	v_mov_b32_e32 v5, 0x7f000000
	v_cmp_eq_f32_e32 vcc, s2, v2
	s_mov_b32 s2, 0x42b17217
	s_and_b32 s12, s73, 0xff
	v_cndmask_b32_e32 v2, v4, v5, vcc
	v_add_f32_e32 v4, -1.0, v2
	v_fmac_f32_e32 v4, v2, v3
	v_add_f32_e32 v2, v4, v4
	v_cndmask_b32_e32 v2, v4, v2, vcc
	v_mov_b32_e32 v3, 0x7f800000
	v_cmp_nlt_f32_e32 vcc, s2, v1
	s_mov_b32 s2, 0xc1880000
	s_cmp_lt_i32 s12, 11
	v_cndmask_b32_e32 v2, v3, v2, vcc
	v_cmp_ngt_f32_e32 vcc, s2, v1
	v_mov_b32_e32 v1, 0
	v_lshl_add_u64 v[0:1], s[20:21], 0, v[0:1]
	v_cndmask_b32_e32 v2, -1.0, v2, vcc
	s_cbranch_scc1 .LBB121_304
; %bb.297:
	s_and_b32 s13, 0xffff, s12
	s_cmp_gt_i32 s13, 25
	s_cbranch_scc0 .LBB121_306
; %bb.298:
	s_cmp_gt_i32 s13, 28
	s_cbranch_scc0 .LBB121_308
; %bb.299:
	;; [unrolled: 3-line block ×4, first 2 shown]
	s_mov_b64 s[8:9], 0
	s_mov_b64 s[2:3], -1
	s_cmp_eq_u32 s13, 46
	s_mov_b64 s[6:7], 0
	s_cbranch_scc0 .LBB121_320
; %bb.302:
	v_bfe_u32 v3, v2, 16, 1
	s_movk_i32 s2, 0x7fff
	v_add3_u32 v3, v2, v3, s2
	v_cmp_o_f32_e32 vcc, v2, v2
	v_mov_b32_e32 v4, 0x7fc0
	s_mov_b64 s[6:7], -1
	v_cndmask_b32_sdwa v3, v4, v3, vcc dst_sel:DWORD dst_unused:UNUSED_PAD src0_sel:DWORD src1_sel:WORD_1
	global_store_dword v[0:1], v3, off
	s_mov_b64 s[2:3], 0
	s_branch .LBB121_320
.LBB121_303:
	s_mov_b64 s[6:7], -1
	s_mov_b64 s[2:3], 0
	s_mov_b64 s[4:5], s[56:57]
                                        ; implicit-def: $vgpr1
	s_branch .LBB121_457
.LBB121_304:
	s_mov_b64 s[8:9], -1
	s_mov_b64 s[6:7], 0
	s_mov_b64 s[2:3], s[54:55]
	s_branch .LBB121_389
.LBB121_305:
	s_mov_b64 s[6:7], -1
	s_mov_b64 s[2:3], 0
	s_mov_b64 s[4:5], s[56:57]
                                        ; implicit-def: $vgpr1
	s_branch .LBB121_438
.LBB121_306:
	s_mov_b64 s[8:9], -1
	s_mov_b64 s[6:7], 0
	s_mov_b64 s[2:3], s[54:55]
	s_branch .LBB121_347
.LBB121_307:
	s_mov_b64 s[6:7], -1
	s_mov_b64 s[2:3], 0
	s_mov_b64 s[4:5], s[56:57]
                                        ; implicit-def: $vgpr1
	s_branch .LBB121_433
.LBB121_308:
	s_mov_b64 s[8:9], -1
	s_mov_b64 s[6:7], 0
	s_mov_b64 s[2:3], s[54:55]
	s_branch .LBB121_330
.LBB121_309:
	s_andn2_saveexec_b64 s[10:11], s[10:11]
	s_cbranch_execz .LBB121_69
.LBB121_310:
	s_mov_b32 s14, 0x46000000
	v_add_f32_e64 v3, |v2|, s14
	v_and_b32_e32 v3, 0xff, v3
	v_cmp_ne_u32_e32 vcc, 0, v3
	s_andn2_b64 s[8:9], s[8:9], exec
	s_and_b64 s[14:15], vcc, exec
	s_or_b64 s[8:9], s[8:9], s[14:15]
	s_or_b64 exec, exec, s[10:11]
	v_mov_b32_e32 v4, 0
	s_and_saveexec_b64 s[10:11], s[8:9]
	s_cbranch_execnz .LBB121_70
	s_branch .LBB121_71
.LBB121_311:
	s_mov_b64 s[6:7], -1
	s_mov_b64 s[2:3], 0
	s_mov_b64 s[4:5], s[56:57]
                                        ; implicit-def: $vgpr1
	s_branch .LBB121_316
.LBB121_312:
	s_mov_b64 s[8:9], -1
	s_mov_b64 s[6:7], 0
	s_mov_b64 s[2:3], s[54:55]
	s_branch .LBB121_326
.LBB121_313:
	s_andn2_saveexec_b64 s[10:11], s[10:11]
	s_cbranch_execz .LBB121_82
.LBB121_314:
	s_mov_b32 s14, 0x42800000
	v_add_f32_e64 v3, |v2|, s14
	v_and_b32_e32 v3, 0xff, v3
	v_cmp_ne_u32_e32 vcc, 0, v3
	s_andn2_b64 s[8:9], s[8:9], exec
	s_and_b64 s[14:15], vcc, exec
	s_or_b64 s[8:9], s[8:9], s[14:15]
	s_or_b64 exec, exec, s[10:11]
	v_mov_b32_e32 v4, 0
	s_and_saveexec_b64 s[10:11], s[8:9]
	s_cbranch_execnz .LBB121_83
	s_branch .LBB121_84
.LBB121_315:
	s_mov_b64 s[4:5], -1
                                        ; implicit-def: $vgpr1
	s_mov_b64 s[2:3], 0
.LBB121_316:
	s_and_b64 vcc, exec, s[6:7]
	s_cbranch_vccz .LBB121_432
; %bb.317:
	s_cmp_eq_u32 s10, 44
	s_cbranch_scc0 .LBB121_431
; %bb.318:
	global_load_ubyte v1, v[2:3], off
	s_movk_i32 s4, 0xff
	v_mov_b32_e32 v4, 0x7f800001
	v_mov_b32_e32 v5, 0x400000
	s_mov_b64 s[2:3], -1
	s_waitcnt vmcnt(0)
	v_lshlrev_b32_e32 v6, 23, v1
	v_cmp_ne_u32_e32 vcc, s4, v1
	s_mov_b64 s[4:5], 0
	s_nop 0
	v_cndmask_b32_e32 v4, v4, v6, vcc
	v_cmp_ne_u32_e32 vcc, 0, v1
	s_nop 1
	v_cndmask_b32_e32 v1, v5, v4, vcc
	s_branch .LBB121_432
.LBB121_319:
	s_mov_b64 s[8:9], -1
	s_mov_b64 s[6:7], 0
	s_mov_b64 s[2:3], s[54:55]
.LBB121_320:
	s_and_b64 vcc, exec, s[8:9]
	s_cbranch_vccz .LBB121_325
; %bb.321:
	s_cmp_eq_u32 s13, 44
	s_mov_b64 s[2:3], -1
	s_cbranch_scc0 .LBB121_325
; %bb.322:
	v_bfe_u32 v3, v2, 23, 8
	s_movk_i32 s2, 0xff
	v_cmp_ne_u32_e32 vcc, s2, v3
	v_mov_b32_e32 v4, 0xff
	s_and_saveexec_b64 s[6:7], vcc
; %bb.323:
	s_mov_b32 s2, 0x3fffff
	v_and_b32_e32 v5, 0x400000, v2
	v_and_or_b32 v3, v2, s2, v3
	v_cmp_ne_u32_e32 vcc, 0, v5
	v_cmp_ne_u32_e64 s[2:3], 0, v3
	s_and_b64 s[2:3], vcc, s[2:3]
	v_lshrrev_b32_e32 v4, 23, v2
	v_cndmask_b32_e64 v3, 0, 1, s[2:3]
	v_add_u32_e32 v4, v4, v3
; %bb.324:
	s_or_b64 exec, exec, s[6:7]
	s_mov_b64 s[6:7], -1
	s_mov_b64 s[2:3], 0
	global_store_byte v[0:1], v4, off
.LBB121_325:
	s_mov_b64 s[8:9], 0
.LBB121_326:
	s_and_b64 vcc, exec, s[8:9]
	s_cbranch_vccz .LBB121_329
; %bb.327:
	s_cmp_eq_u32 s13, 29
	s_mov_b64 s[2:3], -1
	s_cbranch_scc0 .LBB121_329
; %bb.328:
	v_trunc_f32_e32 v3, v2
	v_mul_f32_e32 v4, 0x2f800000, v3
	v_floor_f32_e32 v4, v4
	v_fmamk_f32 v3, v4, 0xcf800000, v3
	v_cvt_u32_f32_e32 v5, v4
	v_cvt_u32_f32_e32 v4, v3
	s_mov_b64 s[6:7], -1
	s_mov_b64 s[2:3], 0
	s_mov_b64 s[8:9], 0
	global_store_dwordx2 v[0:1], v[4:5], off
	s_branch .LBB121_330
.LBB121_329:
	s_mov_b64 s[8:9], 0
.LBB121_330:
	s_and_b64 vcc, exec, s[8:9]
	s_cbranch_vccz .LBB121_346
; %bb.331:
	s_cmp_lt_i32 s13, 27
	s_mov_b64 s[6:7], -1
	s_cbranch_scc1 .LBB121_337
; %bb.332:
	v_cvt_u32_f32_e32 v3, v2
	s_cmp_gt_i32 s13, 27
	s_cbranch_scc0 .LBB121_334
; %bb.333:
	s_mov_b64 s[6:7], 0
	global_store_dword v[0:1], v3, off
.LBB121_334:
	s_andn2_b64 vcc, exec, s[6:7]
	s_cbranch_vccnz .LBB121_336
; %bb.335:
	global_store_short v[0:1], v3, off
.LBB121_336:
	s_mov_b64 s[6:7], 0
.LBB121_337:
	s_andn2_b64 vcc, exec, s[6:7]
	s_cbranch_vccnz .LBB121_345
; %bb.338:
	v_and_b32_e32 v3, 0x7fffffff, v2
	s_mov_b32 s6, 0x43800000
	v_cmp_gt_u32_e32 vcc, s6, v3
	v_mov_b32_e32 v4, 0x80
	s_and_saveexec_b64 s[6:7], vcc
	s_cbranch_execz .LBB121_344
; %bb.339:
	s_mov_b32 s8, 0x3bffffff
	v_cmp_lt_u32_e32 vcc, s8, v3
	s_mov_b64 s[8:9], 0
                                        ; implicit-def: $vgpr3
	s_and_saveexec_b64 s[10:11], vcc
	s_xor_b64 s[10:11], exec, s[10:11]
	s_cbranch_execz .LBB121_573
; %bb.340:
	v_bfe_u32 v3, v2, 20, 1
	s_mov_b32 s14, 0x487ffff
	v_add3_u32 v3, v2, v3, s14
	s_mov_b64 s[8:9], exec
	v_lshrrev_b32_e32 v3, 20, v3
	s_andn2_saveexec_b64 s[10:11], s[10:11]
	s_cbranch_execnz .LBB121_574
.LBB121_341:
	s_or_b64 exec, exec, s[10:11]
	v_mov_b32_e32 v4, 0
	s_and_saveexec_b64 s[10:11], s[8:9]
.LBB121_342:
	v_lshrrev_b32_e32 v4, 24, v2
	s_movk_i32 s8, 0x80
	v_and_or_b32 v4, v4, s8, v3
.LBB121_343:
	s_or_b64 exec, exec, s[10:11]
.LBB121_344:
	s_or_b64 exec, exec, s[6:7]
	global_store_byte v[0:1], v4, off
.LBB121_345:
	s_mov_b64 s[6:7], -1
.LBB121_346:
	s_mov_b64 s[8:9], 0
.LBB121_347:
	s_and_b64 vcc, exec, s[8:9]
	s_cbranch_vccz .LBB121_388
; %bb.348:
	s_cmp_gt_i32 s13, 22
	s_mov_b64 s[8:9], -1
	s_cbranch_scc0 .LBB121_380
; %bb.349:
	s_cmp_lt_i32 s13, 24
	s_mov_b64 s[6:7], -1
	s_cbranch_scc1 .LBB121_369
; %bb.350:
	s_cmp_gt_i32 s13, 24
	s_cbranch_scc0 .LBB121_358
; %bb.351:
	v_and_b32_e32 v3, 0x7fffffff, v2
	s_mov_b32 s6, 0x47800000
	v_cmp_gt_u32_e32 vcc, s6, v3
	v_mov_b32_e32 v4, 0x80
	s_and_saveexec_b64 s[6:7], vcc
	s_cbranch_execz .LBB121_357
; %bb.352:
	s_mov_b32 s8, 0x37ffffff
	v_cmp_lt_u32_e32 vcc, s8, v3
	s_mov_b64 s[8:9], 0
                                        ; implicit-def: $vgpr3
	s_and_saveexec_b64 s[10:11], vcc
	s_xor_b64 s[10:11], exec, s[10:11]
	s_cbranch_execz .LBB121_576
; %bb.353:
	v_bfe_u32 v3, v2, 21, 1
	s_mov_b32 s14, 0x88fffff
	v_add3_u32 v3, v2, v3, s14
	s_mov_b64 s[8:9], exec
	v_lshrrev_b32_e32 v3, 21, v3
	s_andn2_saveexec_b64 s[10:11], s[10:11]
	s_cbranch_execnz .LBB121_577
.LBB121_354:
	s_or_b64 exec, exec, s[10:11]
	v_mov_b32_e32 v4, 0
	s_and_saveexec_b64 s[10:11], s[8:9]
.LBB121_355:
	v_lshrrev_b32_e32 v4, 24, v2
	s_movk_i32 s8, 0x80
	v_and_or_b32 v4, v4, s8, v3
.LBB121_356:
	s_or_b64 exec, exec, s[10:11]
.LBB121_357:
	s_or_b64 exec, exec, s[6:7]
	s_mov_b64 s[6:7], 0
	global_store_byte v[0:1], v4, off
.LBB121_358:
	s_and_b64 vcc, exec, s[6:7]
	s_cbranch_vccz .LBB121_368
; %bb.359:
	v_and_b32_e32 v4, 0x7fffffff, v2
	s_mov_b32 s6, 0x43f00000
	v_cmp_gt_u32_e32 vcc, s6, v4
                                        ; implicit-def: $vgpr3
	s_and_saveexec_b64 s[6:7], vcc
	s_xor_b64 s[6:7], exec, s[6:7]
	s_cbranch_execz .LBB121_365
; %bb.360:
	s_mov_b32 s8, 0x3c7fffff
	v_cmp_lt_u32_e32 vcc, s8, v4
                                        ; implicit-def: $vgpr3
	s_and_saveexec_b64 s[8:9], vcc
	s_xor_b64 s[8:9], exec, s[8:9]
; %bb.361:
	v_bfe_u32 v3, v2, 20, 1
	s_mov_b32 s10, 0x407ffff
	v_add3_u32 v3, v2, v3, s10
	v_lshrrev_b32_e32 v4, 20, v3
	v_and_b32_e32 v3, 0xff00000, v3
	s_mov_b32 s10, 0x7f00000
	v_mov_b32_e32 v5, 0x7e
	v_cmp_ne_u32_e32 vcc, s10, v3
	s_nop 1
	v_cndmask_b32_e32 v3, v5, v4, vcc
; %bb.362:
	s_andn2_saveexec_b64 s[8:9], s[8:9]
; %bb.363:
	s_mov_b32 s10, 0x46800000
	v_add_f32_e64 v3, |v2|, s10
; %bb.364:
	s_or_b64 exec, exec, s[8:9]
                                        ; implicit-def: $vgpr4
.LBB121_365:
	s_andn2_saveexec_b64 s[6:7], s[6:7]
; %bb.366:
	s_mov_b32 s8, 0x7f800000
	v_mov_b32_e32 v3, 0x7e
	v_mov_b32_e32 v5, 0x7f
	v_cmp_lt_u32_e32 vcc, s8, v4
	s_nop 1
	v_cndmask_b32_e32 v3, v3, v5, vcc
; %bb.367:
	s_or_b64 exec, exec, s[6:7]
	v_lshrrev_b32_e32 v4, 24, v2
	s_movk_i32 s6, 0x80
	v_and_or_b32 v3, v4, s6, v3
	global_store_byte v[0:1], v3, off
.LBB121_368:
	s_mov_b64 s[6:7], 0
.LBB121_369:
	s_andn2_b64 vcc, exec, s[6:7]
	s_cbranch_vccnz .LBB121_379
; %bb.370:
	v_and_b32_e32 v4, 0x7fffffff, v2
	s_mov_b32 s6, 0x47800000
	v_cmp_gt_u32_e32 vcc, s6, v4
                                        ; implicit-def: $vgpr3
	s_and_saveexec_b64 s[6:7], vcc
	s_xor_b64 s[6:7], exec, s[6:7]
	s_cbranch_execz .LBB121_376
; %bb.371:
	s_mov_b32 s8, 0x387fffff
	v_cmp_lt_u32_e32 vcc, s8, v4
                                        ; implicit-def: $vgpr3
	s_and_saveexec_b64 s[8:9], vcc
	s_xor_b64 s[8:9], exec, s[8:9]
; %bb.372:
	v_bfe_u32 v3, v2, 21, 1
	s_mov_b32 s10, 0x80fffff
	v_add3_u32 v3, v2, v3, s10
	v_lshrrev_b32_e32 v3, 21, v3
; %bb.373:
	s_andn2_saveexec_b64 s[8:9], s[8:9]
; %bb.374:
	s_mov_b32 s10, 0x43000000
	v_add_f32_e64 v3, |v2|, s10
; %bb.375:
	s_or_b64 exec, exec, s[8:9]
                                        ; implicit-def: $vgpr4
.LBB121_376:
	s_andn2_saveexec_b64 s[6:7], s[6:7]
; %bb.377:
	s_mov_b32 s8, 0x7f800000
	v_mov_b32_e32 v3, 0x7c
	v_mov_b32_e32 v5, 0x7f
	v_cmp_lt_u32_e32 vcc, s8, v4
	s_nop 1
	v_cndmask_b32_e32 v3, v3, v5, vcc
; %bb.378:
	s_or_b64 exec, exec, s[6:7]
	v_lshrrev_b32_e32 v4, 24, v2
	s_movk_i32 s6, 0x80
	v_and_or_b32 v3, v4, s6, v3
	global_store_byte v[0:1], v3, off
.LBB121_379:
	s_mov_b64 s[8:9], 0
	s_mov_b64 s[6:7], -1
.LBB121_380:
	s_andn2_b64 vcc, exec, s[8:9]
	s_cbranch_vccnz .LBB121_388
; %bb.381:
	s_cmp_gt_i32 s13, 14
	s_mov_b64 s[8:9], -1
	s_cbranch_scc0 .LBB121_385
; %bb.382:
	s_cmp_eq_u32 s13, 15
	s_mov_b64 s[2:3], -1
	s_cbranch_scc0 .LBB121_384
; %bb.383:
	v_bfe_u32 v3, v2, 16, 1
	s_movk_i32 s2, 0x7fff
	v_add3_u32 v3, v2, v3, s2
	v_cmp_o_f32_e32 vcc, v2, v2
	v_mov_b32_e32 v4, 0x7fc0
	s_mov_b64 s[6:7], -1
	v_cndmask_b32_sdwa v3, v4, v3, vcc dst_sel:DWORD dst_unused:UNUSED_PAD src0_sel:DWORD src1_sel:WORD_1
	global_store_short v[0:1], v3, off
	s_mov_b64 s[2:3], 0
.LBB121_384:
	s_mov_b64 s[8:9], 0
.LBB121_385:
	s_and_b64 vcc, exec, s[8:9]
	s_cbranch_vccz .LBB121_388
; %bb.386:
	s_cmp_eq_u32 s13, 11
	s_mov_b64 s[2:3], -1
	s_cbranch_scc0 .LBB121_388
; %bb.387:
	v_cmp_neq_f32_e32 vcc, 0, v2
	s_mov_b64 s[6:7], -1
	s_mov_b64 s[2:3], 0
	v_cndmask_b32_e64 v3, 0, 1, vcc
	global_store_byte v[0:1], v3, off
.LBB121_388:
	s_mov_b64 s[8:9], 0
.LBB121_389:
	s_and_b64 vcc, exec, s[8:9]
	s_cbranch_vccz .LBB121_428
; %bb.390:
	s_and_b32 s8, 0xffff, s12
	s_cmp_lt_i32 s8, 5
	s_mov_b64 s[6:7], -1
	s_cbranch_scc1 .LBB121_411
; %bb.391:
	s_cmp_lt_i32 s8, 8
	s_cbranch_scc1 .LBB121_401
; %bb.392:
	s_cmp_lt_i32 s8, 9
	s_cbranch_scc1 .LBB121_398
; %bb.393:
	s_cmp_gt_i32 s8, 9
	s_cbranch_scc0 .LBB121_395
; %bb.394:
	v_mov_b32_e32 v6, 0
	v_cvt_f64_f32_e32 v[4:5], v2
	v_mov_b32_e32 v7, v6
	s_mov_b64 s[6:7], 0
	global_store_dwordx4 v[0:1], v[4:7], off
.LBB121_395:
	s_andn2_b64 vcc, exec, s[6:7]
	s_cbranch_vccnz .LBB121_397
; %bb.396:
	v_mov_b32_e32 v3, 0
	global_store_dwordx2 v[0:1], v[2:3], off
.LBB121_397:
	s_mov_b64 s[6:7], 0
.LBB121_398:
	s_andn2_b64 vcc, exec, s[6:7]
	s_cbranch_vccnz .LBB121_400
; %bb.399:
	v_cvt_f16_f32_e32 v3, v2
	global_store_dword v[0:1], v3, off
.LBB121_400:
	s_mov_b64 s[6:7], 0
.LBB121_401:
	s_andn2_b64 vcc, exec, s[6:7]
	s_cbranch_vccnz .LBB121_410
; %bb.402:
	s_cmp_lt_i32 s8, 6
	s_mov_b64 s[6:7], -1
	s_cbranch_scc1 .LBB121_408
; %bb.403:
	s_cmp_gt_i32 s8, 6
	s_cbranch_scc0 .LBB121_405
; %bb.404:
	v_cvt_f64_f32_e32 v[4:5], v2
	s_mov_b64 s[6:7], 0
	global_store_dwordx2 v[0:1], v[4:5], off
.LBB121_405:
	s_andn2_b64 vcc, exec, s[6:7]
	s_cbranch_vccnz .LBB121_407
; %bb.406:
	global_store_dword v[0:1], v2, off
.LBB121_407:
	s_mov_b64 s[6:7], 0
.LBB121_408:
	s_andn2_b64 vcc, exec, s[6:7]
	s_cbranch_vccnz .LBB121_410
; %bb.409:
	v_cvt_f16_f32_e32 v3, v2
	global_store_short v[0:1], v3, off
.LBB121_410:
	s_mov_b64 s[6:7], 0
.LBB121_411:
	s_andn2_b64 vcc, exec, s[6:7]
	s_cbranch_vccnz .LBB121_427
; %bb.412:
	s_cmp_lt_i32 s8, 2
	s_mov_b64 s[6:7], -1
	s_cbranch_scc1 .LBB121_422
; %bb.413:
	s_cmp_lt_i32 s8, 3
	s_cbranch_scc1 .LBB121_419
; %bb.414:
	s_cmp_gt_i32 s8, 3
	s_cbranch_scc0 .LBB121_416
; %bb.415:
	v_trunc_f32_e32 v3, v2
	s_mov_b32 s6, 0x2f800000
	v_mul_f32_e64 v4, |v3|, s6
	v_floor_f32_e32 v4, v4
	s_mov_b32 s6, 0xcf800000
	v_cvt_u32_f32_e32 v5, v4
	v_fma_f32 v4, v4, s6, |v3|
	v_cvt_u32_f32_e32 v4, v4
	v_ashrrev_i32_e32 v3, 31, v3
	v_xor_b32_e32 v5, v5, v3
	s_mov_b64 s[6:7], 0
	v_xor_b32_e32 v4, v4, v3
	v_sub_co_u32_e32 v4, vcc, v4, v3
	s_nop 1
	v_subb_co_u32_e32 v5, vcc, v5, v3, vcc
	global_store_dwordx2 v[0:1], v[4:5], off
.LBB121_416:
	s_andn2_b64 vcc, exec, s[6:7]
	s_cbranch_vccnz .LBB121_418
; %bb.417:
	v_cvt_i32_f32_e32 v3, v2
	global_store_dword v[0:1], v3, off
.LBB121_418:
	s_mov_b64 s[6:7], 0
.LBB121_419:
	s_andn2_b64 vcc, exec, s[6:7]
	s_cbranch_vccnz .LBB121_421
; %bb.420:
	v_cvt_i32_f32_e32 v3, v2
	global_store_short v[0:1], v3, off
.LBB121_421:
	s_mov_b64 s[6:7], 0
.LBB121_422:
	s_andn2_b64 vcc, exec, s[6:7]
	s_cbranch_vccnz .LBB121_427
; %bb.423:
	s_cmp_gt_i32 s8, 0
	s_mov_b64 s[6:7], -1
	s_cbranch_scc0 .LBB121_425
; %bb.424:
	v_cvt_i32_f32_e32 v3, v2
	s_mov_b64 s[6:7], 0
	global_store_byte v[0:1], v3, off
.LBB121_425:
	s_andn2_b64 vcc, exec, s[6:7]
	s_cbranch_vccnz .LBB121_427
; %bb.426:
	v_trunc_f32_e32 v2, v2
	s_mov_b32 s6, 0x2f800000
	v_mul_f32_e64 v3, |v2|, s6
	v_floor_f32_e32 v3, v3
	s_mov_b32 s6, 0xcf800000
	v_fma_f32 v3, v3, s6, |v2|
	v_cvt_u32_f32_e32 v3, v3
	v_ashrrev_i32_e32 v2, 31, v2
	v_xor_b32_e32 v3, v3, v2
	v_sub_u32_e32 v2, v3, v2
	global_store_byte v[0:1], v2, off
.LBB121_427:
	s_mov_b64 s[6:7], -1
.LBB121_428:
	s_andn2_b64 vcc, exec, s[6:7]
	s_cbranch_vccnz .LBB121_430
; %bb.429:
	v_add_u32_e32 v8, 0x80, v8
	s_mov_b64 s[6:7], -1
	s_branch .LBB121_543
.LBB121_430:
	s_mov_b64 s[6:7], 0
	s_branch .LBB121_542
.LBB121_431:
	s_mov_b64 s[4:5], -1
                                        ; implicit-def: $vgpr1
.LBB121_432:
	s_mov_b64 s[6:7], 0
.LBB121_433:
	s_and_b64 vcc, exec, s[6:7]
	s_cbranch_vccz .LBB121_437
; %bb.434:
	s_cmp_eq_u32 s10, 29
	s_cbranch_scc0 .LBB121_436
; %bb.435:
	global_load_dwordx2 v[4:5], v[2:3], off
	s_mov_b64 s[2:3], -1
	s_mov_b64 s[4:5], 0
	s_mov_b64 s[6:7], 0
	s_waitcnt vmcnt(0)
	v_ffbh_u32_e32 v1, v5
	v_min_u32_e32 v1, 32, v1
	v_lshlrev_b64 v[4:5], v1, v[4:5]
	v_min_u32_e32 v4, 1, v4
	v_or_b32_e32 v4, v5, v4
	v_cvt_f32_u32_e32 v4, v4
	v_sub_u32_e32 v1, 32, v1
	v_ldexp_f32 v1, v4, v1
	s_branch .LBB121_438
.LBB121_436:
	s_mov_b64 s[4:5], -1
                                        ; implicit-def: $vgpr1
.LBB121_437:
	s_mov_b64 s[6:7], 0
.LBB121_438:
	s_and_b64 vcc, exec, s[6:7]
	s_cbranch_vccz .LBB121_456
; %bb.439:
	s_cmp_lt_i32 s10, 27
	s_cbranch_scc1 .LBB121_442
; %bb.440:
	s_cmp_gt_i32 s10, 27
	s_cbranch_scc0 .LBB121_443
; %bb.441:
	global_load_dword v1, v[2:3], off
	s_mov_b64 s[2:3], 0
	s_waitcnt vmcnt(0)
	v_cvt_f32_u32_e32 v1, v1
	s_branch .LBB121_444
.LBB121_442:
	s_mov_b64 s[2:3], -1
                                        ; implicit-def: $vgpr1
	s_branch .LBB121_447
.LBB121_443:
	s_mov_b64 s[2:3], -1
                                        ; implicit-def: $vgpr1
.LBB121_444:
	s_andn2_b64 vcc, exec, s[2:3]
	s_cbranch_vccnz .LBB121_446
; %bb.445:
	global_load_ushort v1, v[2:3], off
	s_waitcnt vmcnt(0)
	v_cvt_f32_u32_e32 v1, v1
.LBB121_446:
	s_mov_b64 s[2:3], 0
.LBB121_447:
	s_andn2_b64 vcc, exec, s[2:3]
	s_cbranch_vccnz .LBB121_455
; %bb.448:
	global_load_ubyte v4, v[2:3], off
	s_movk_i32 s2, 0x7f
	s_waitcnt vmcnt(0)
	v_cmp_lt_i16_e32 vcc, s2, v4
	s_mov_b64 s[2:3], 0
	s_and_saveexec_b64 s[6:7], vcc
	s_xor_b64 s[6:7], exec, s[6:7]
	s_cbranch_execz .LBB121_469
; %bb.449:
	s_movk_i32 s2, 0x80
	v_cmp_eq_u16_e32 vcc, s2, v4
	s_mov_b64 s[2:3], -1
	s_and_saveexec_b64 s[8:9], vcc
; %bb.450:
	s_xor_b64 s[2:3], exec, -1
; %bb.451:
	s_or_b64 exec, exec, s[8:9]
	s_and_b64 s[2:3], s[2:3], exec
	s_or_saveexec_b64 s[6:7], s[6:7]
	v_mov_b32_e32 v1, 0x7f800001
	s_xor_b64 exec, exec, s[6:7]
	s_cbranch_execnz .LBB121_470
.LBB121_452:
	s_or_b64 exec, exec, s[6:7]
	s_and_saveexec_b64 s[6:7], s[2:3]
	s_cbranch_execz .LBB121_454
.LBB121_453:
	v_lshlrev_b32_e32 v1, 24, v4
	v_and_b32_e32 v4, 0xffff, v4
	v_and_b32_e32 v5, 7, v4
	v_ffbh_u32_e32 v7, v5
	v_min_u32_e32 v7, 32, v7
	v_subrev_u32_e32 v9, 28, v7
	v_bfe_u32 v6, v4, 3, 4
	v_lshlrev_b32_e32 v4, v9, v4
	v_sub_u32_e32 v7, 29, v7
	v_and_b32_e32 v4, 7, v4
	v_cmp_eq_u32_e32 vcc, 0, v6
	v_and_b32_e32 v1, 0x80000000, v1
	s_nop 0
	v_cndmask_b32_e32 v6, v6, v7, vcc
	v_cndmask_b32_e32 v4, v5, v4, vcc
	v_mov_b32_e32 v5, 0x3b800000
	v_lshlrev_b32_e32 v4, 20, v4
	v_lshl_add_u32 v5, v6, 23, v5
	v_or3_b32 v1, v1, v5, v4
.LBB121_454:
	s_or_b64 exec, exec, s[6:7]
.LBB121_455:
	s_mov_b64 s[2:3], -1
.LBB121_456:
	s_mov_b64 s[6:7], 0
.LBB121_457:
	s_and_b64 vcc, exec, s[6:7]
	s_cbranch_vccz .LBB121_492
; %bb.458:
	s_cmp_gt_i32 s10, 22
	s_cbranch_scc0 .LBB121_468
; %bb.459:
	s_cmp_lt_i32 s10, 24
	s_cbranch_scc1 .LBB121_471
; %bb.460:
	s_cmp_gt_i32 s10, 24
	s_cbranch_scc0 .LBB121_472
; %bb.461:
	global_load_ubyte v4, v[2:3], off
	s_movk_i32 s2, 0x7f
	s_waitcnt vmcnt(0)
	v_cmp_lt_i16_e32 vcc, s2, v4
	s_mov_b64 s[2:3], 0
	s_and_saveexec_b64 s[6:7], vcc
	s_xor_b64 s[6:7], exec, s[6:7]
	s_cbranch_execz .LBB121_484
; %bb.462:
	s_movk_i32 s2, 0x80
	v_cmp_eq_u16_e32 vcc, s2, v4
	s_mov_b64 s[2:3], -1
	s_and_saveexec_b64 s[8:9], vcc
; %bb.463:
	s_xor_b64 s[2:3], exec, -1
; %bb.464:
	s_or_b64 exec, exec, s[8:9]
	s_and_b64 s[2:3], s[2:3], exec
	s_or_saveexec_b64 s[6:7], s[6:7]
	v_mov_b32_e32 v1, 0x7f800001
	s_xor_b64 exec, exec, s[6:7]
	s_cbranch_execnz .LBB121_485
.LBB121_465:
	s_or_b64 exec, exec, s[6:7]
	s_and_saveexec_b64 s[6:7], s[2:3]
	s_cbranch_execz .LBB121_467
.LBB121_466:
	v_lshlrev_b32_e32 v1, 24, v4
	v_and_b32_e32 v4, 0xffff, v4
	v_and_b32_e32 v5, 3, v4
	v_ffbh_u32_e32 v7, v5
	v_min_u32_e32 v7, 32, v7
	v_subrev_u32_e32 v9, 29, v7
	v_bfe_u32 v6, v4, 2, 5
	v_lshlrev_b32_e32 v4, v9, v4
	v_sub_u32_e32 v7, 30, v7
	v_and_b32_e32 v4, 3, v4
	v_cmp_eq_u32_e32 vcc, 0, v6
	v_and_b32_e32 v1, 0x80000000, v1
	s_nop 0
	v_cndmask_b32_e32 v6, v6, v7, vcc
	v_cndmask_b32_e32 v4, v5, v4, vcc
	v_mov_b32_e32 v5, 0x37800000
	v_lshlrev_b32_e32 v4, 21, v4
	v_lshl_add_u32 v5, v6, 23, v5
	v_or3_b32 v1, v1, v5, v4
.LBB121_467:
	s_or_b64 exec, exec, s[6:7]
	s_mov_b64 s[2:3], 0
	s_branch .LBB121_473
.LBB121_468:
	s_mov_b64 s[6:7], -1
                                        ; implicit-def: $vgpr1
	s_branch .LBB121_479
.LBB121_469:
	s_or_saveexec_b64 s[6:7], s[6:7]
	v_mov_b32_e32 v1, 0x7f800001
	s_xor_b64 exec, exec, s[6:7]
	s_cbranch_execz .LBB121_452
.LBB121_470:
	v_cmp_ne_u16_e32 vcc, 0, v4
	s_andn2_b64 s[2:3], s[2:3], exec
	s_and_b64 s[8:9], vcc, exec
	v_mov_b32_e32 v1, 0
	s_or_b64 s[2:3], s[2:3], s[8:9]
	s_or_b64 exec, exec, s[6:7]
	s_and_saveexec_b64 s[6:7], s[2:3]
	s_cbranch_execnz .LBB121_453
	s_branch .LBB121_454
.LBB121_471:
	s_mov_b64 s[2:3], -1
                                        ; implicit-def: $vgpr1
	s_branch .LBB121_476
.LBB121_472:
	s_mov_b64 s[2:3], -1
                                        ; implicit-def: $vgpr1
.LBB121_473:
	s_and_b64 vcc, exec, s[2:3]
	s_cbranch_vccz .LBB121_475
; %bb.474:
	global_load_ubyte v1, v[2:3], off
	s_mov_b32 s2, 0x7f800000
	s_waitcnt vmcnt(0)
	v_lshlrev_b32_e32 v1, 24, v1
	v_and_b32_e32 v4, 0x7f000000, v1
	v_ffbh_u32_e32 v5, v4
	v_min_u32_e32 v5, 32, v5
	v_sub_u32_e64 v5, v5, 4 clamp
	v_lshlrev_b32_e32 v7, v5, v4
	v_lshlrev_b32_e32 v5, 23, v5
	v_lshrrev_b32_e32 v7, 4, v7
	v_add_u32_e32 v6, 0x1000000, v4
	v_sub_u32_e32 v5, v7, v5
	v_ashrrev_i32_e32 v6, 8, v6
	v_add_u32_e32 v5, 0x3c000000, v5
	v_and_or_b32 v5, v6, s2, v5
	v_cmp_ne_u32_e32 vcc, 0, v4
	s_brev_b32 s2, 1
	s_nop 0
	v_cndmask_b32_e32 v4, 0, v5, vcc
	v_and_or_b32 v1, v1, s2, v4
.LBB121_475:
	s_mov_b64 s[2:3], 0
.LBB121_476:
	s_andn2_b64 vcc, exec, s[2:3]
	s_cbranch_vccnz .LBB121_478
; %bb.477:
	global_load_ubyte v1, v[2:3], off
	s_movk_i32 s2, 0x7f00
	s_brev_b32 s3, 16
	s_waitcnt vmcnt(0)
	v_lshlrev_b16_e32 v4, 8, v1
	v_lshlrev_b32_e32 v1, 25, v1
	v_lshrrev_b32_e32 v5, 4, v1
	v_and_or_b32 v6, v4, s2, 0.5
	v_or_b32_e32 v5, 0x70000000, v5
	v_add_f32_e32 v6, -0.5, v6
	v_mul_f32_e32 v5, 0x7800000, v5
	v_cmp_gt_u32_e32 vcc, s3, v1
	v_bfe_i32 v4, v4, 0, 16
	s_brev_b32 s2, 1
	v_cndmask_b32_e32 v1, v5, v6, vcc
	v_and_or_b32 v1, v4, s2, v1
.LBB121_478:
	s_mov_b64 s[6:7], 0
	s_mov_b64 s[2:3], -1
.LBB121_479:
	s_andn2_b64 vcc, exec, s[6:7]
	s_cbranch_vccnz .LBB121_492
; %bb.480:
	s_cmp_gt_i32 s10, 14
	s_cbranch_scc0 .LBB121_483
; %bb.481:
	s_cmp_eq_u32 s10, 15
	s_cbranch_scc0 .LBB121_486
; %bb.482:
	global_load_ushort v1, v[2:3], off
	s_mov_b64 s[2:3], -1
	s_mov_b64 s[4:5], 0
	s_waitcnt vmcnt(0)
	v_lshlrev_b32_e32 v1, 16, v1
	s_branch .LBB121_487
.LBB121_483:
	s_mov_b64 s[6:7], -1
                                        ; implicit-def: $vgpr1
	s_branch .LBB121_488
.LBB121_484:
	s_or_saveexec_b64 s[6:7], s[6:7]
	v_mov_b32_e32 v1, 0x7f800001
	s_xor_b64 exec, exec, s[6:7]
	s_cbranch_execz .LBB121_465
.LBB121_485:
	v_cmp_ne_u16_e32 vcc, 0, v4
	s_andn2_b64 s[2:3], s[2:3], exec
	s_and_b64 s[8:9], vcc, exec
	v_mov_b32_e32 v1, 0
	s_or_b64 s[2:3], s[2:3], s[8:9]
	s_or_b64 exec, exec, s[6:7]
	s_and_saveexec_b64 s[6:7], s[2:3]
	s_cbranch_execnz .LBB121_466
	s_branch .LBB121_467
.LBB121_486:
	s_mov_b64 s[4:5], -1
                                        ; implicit-def: $vgpr1
.LBB121_487:
	s_mov_b64 s[6:7], 0
.LBB121_488:
	s_and_b64 vcc, exec, s[6:7]
	s_cbranch_vccz .LBB121_492
; %bb.489:
	s_cmp_eq_u32 s10, 11
	s_cbranch_scc0 .LBB121_491
; %bb.490:
	global_load_ubyte v1, v[2:3], off
	s_mov_b64 s[2:3], -1
	s_mov_b64 s[4:5], 0
	s_waitcnt vmcnt(0)
	v_cmp_ne_u16_e32 vcc, 0, v1
	s_nop 1
	v_cndmask_b32_e64 v1, 0, 1.0, vcc
	s_branch .LBB121_492
.LBB121_491:
	s_mov_b64 s[4:5], -1
                                        ; implicit-def: $vgpr1
.LBB121_492:
	s_branch .LBB121_295
.LBB121_493:
	s_cmp_lt_i32 s10, 5
	s_cbranch_scc1 .LBB121_498
; %bb.494:
	s_cmp_lt_i32 s10, 8
	s_cbranch_scc1 .LBB121_499
; %bb.495:
	;; [unrolled: 3-line block ×3, first 2 shown]
	s_cmp_gt_i32 s10, 9
	s_cbranch_scc0 .LBB121_501
; %bb.497:
	global_load_dwordx2 v[4:5], v[2:3], off
	s_mov_b64 s[2:3], 0
	s_waitcnt vmcnt(0)
	v_cvt_f32_f64_e32 v1, v[4:5]
	s_branch .LBB121_502
.LBB121_498:
	s_mov_b64 s[2:3], -1
                                        ; implicit-def: $vgpr1
	s_branch .LBB121_520
.LBB121_499:
	s_mov_b64 s[2:3], -1
                                        ; implicit-def: $vgpr1
	s_branch .LBB121_508
.LBB121_500:
	s_mov_b64 s[2:3], -1
                                        ; implicit-def: $vgpr1
	s_branch .LBB121_505
.LBB121_501:
	s_mov_b64 s[2:3], -1
                                        ; implicit-def: $vgpr1
.LBB121_502:
	s_andn2_b64 vcc, exec, s[2:3]
	s_cbranch_vccnz .LBB121_504
; %bb.503:
	global_load_dword v1, v[2:3], off
.LBB121_504:
	s_mov_b64 s[2:3], 0
.LBB121_505:
	s_andn2_b64 vcc, exec, s[2:3]
	s_cbranch_vccnz .LBB121_507
; %bb.506:
	global_load_dword v1, v[2:3], off
	s_waitcnt vmcnt(0)
	v_cvt_f32_f16_e32 v1, v1
.LBB121_507:
	s_mov_b64 s[2:3], 0
.LBB121_508:
	s_andn2_b64 vcc, exec, s[2:3]
	s_cbranch_vccnz .LBB121_519
; %bb.509:
	s_cmp_lt_i32 s10, 6
	s_cbranch_scc1 .LBB121_512
; %bb.510:
	s_cmp_gt_i32 s10, 6
	s_cbranch_scc0 .LBB121_513
; %bb.511:
	global_load_dwordx2 v[4:5], v[2:3], off
	s_mov_b64 s[2:3], 0
	s_waitcnt vmcnt(0)
	v_cvt_f32_f64_e32 v1, v[4:5]
	s_branch .LBB121_514
.LBB121_512:
	s_mov_b64 s[2:3], -1
                                        ; implicit-def: $vgpr1
	s_branch .LBB121_517
.LBB121_513:
	s_mov_b64 s[2:3], -1
                                        ; implicit-def: $vgpr1
.LBB121_514:
	s_andn2_b64 vcc, exec, s[2:3]
	s_cbranch_vccnz .LBB121_516
; %bb.515:
	global_load_dword v1, v[2:3], off
.LBB121_516:
	s_mov_b64 s[2:3], 0
.LBB121_517:
	s_andn2_b64 vcc, exec, s[2:3]
	s_cbranch_vccnz .LBB121_519
; %bb.518:
	global_load_ushort v1, v[2:3], off
	s_waitcnt vmcnt(0)
	v_cvt_f32_f16_e32 v1, v1
.LBB121_519:
	s_mov_b64 s[2:3], 0
.LBB121_520:
	s_andn2_b64 vcc, exec, s[2:3]
	s_cbranch_vccnz .LBB121_540
; %bb.521:
	s_cmp_lt_i32 s10, 2
	s_cbranch_scc1 .LBB121_525
; %bb.522:
	s_cmp_lt_i32 s10, 3
	s_cbranch_scc1 .LBB121_526
; %bb.523:
	s_cmp_gt_i32 s10, 3
	s_cbranch_scc0 .LBB121_527
; %bb.524:
	global_load_dwordx2 v[4:5], v[2:3], off
	s_mov_b64 s[2:3], 0
	s_waitcnt vmcnt(0)
	v_xor_b32_e32 v6, v4, v5
	v_ffbh_i32_e32 v1, v5
	v_ashrrev_i32_e32 v6, 31, v6
	v_add_u32_e32 v1, -1, v1
	v_add_u32_e32 v6, 32, v6
	v_min_u32_e32 v1, v1, v6
	v_lshlrev_b64 v[4:5], v1, v[4:5]
	v_min_u32_e32 v4, 1, v4
	v_or_b32_e32 v4, v5, v4
	v_cvt_f32_i32_e32 v4, v4
	v_sub_u32_e32 v1, 32, v1
	v_ldexp_f32 v1, v4, v1
	s_branch .LBB121_528
.LBB121_525:
	s_mov_b64 s[2:3], -1
                                        ; implicit-def: $vgpr1
	s_branch .LBB121_534
.LBB121_526:
	s_mov_b64 s[2:3], -1
                                        ; implicit-def: $vgpr1
	s_branch .LBB121_531
.LBB121_527:
	s_mov_b64 s[2:3], -1
                                        ; implicit-def: $vgpr1
.LBB121_528:
	s_andn2_b64 vcc, exec, s[2:3]
	s_cbranch_vccnz .LBB121_530
; %bb.529:
	global_load_dword v1, v[2:3], off
	s_waitcnt vmcnt(0)
	v_cvt_f32_i32_e32 v1, v1
.LBB121_530:
	s_mov_b64 s[2:3], 0
.LBB121_531:
	s_andn2_b64 vcc, exec, s[2:3]
	s_cbranch_vccnz .LBB121_533
; %bb.532:
	global_load_sshort v1, v[2:3], off
	s_waitcnt vmcnt(0)
	v_cvt_f32_i32_e32 v1, v1
.LBB121_533:
	s_mov_b64 s[2:3], 0
.LBB121_534:
	s_andn2_b64 vcc, exec, s[2:3]
	s_cbranch_vccnz .LBB121_540
; %bb.535:
	s_cmp_gt_i32 s10, 0
	s_cbranch_scc0 .LBB121_537
; %bb.536:
	global_load_sbyte v1, v[2:3], off
	s_mov_b64 s[2:3], 0
	s_waitcnt vmcnt(0)
	v_cvt_f32_i32_e32 v1, v1
	s_branch .LBB121_538
.LBB121_537:
	s_mov_b64 s[2:3], -1
                                        ; implicit-def: $vgpr1
.LBB121_538:
	s_andn2_b64 vcc, exec, s[2:3]
	s_cbranch_vccnz .LBB121_540
; %bb.539:
	global_load_ubyte v1, v[2:3], off
	s_waitcnt vmcnt(0)
	v_cvt_f32_ubyte0_e32 v1, v1
.LBB121_540:
	s_branch .LBB121_296
.LBB121_541:
	s_mov_b64 s[6:7], 0
	s_mov_b64 s[2:3], s[54:55]
.LBB121_542:
                                        ; implicit-def: $vgpr8
.LBB121_543:
	s_andn2_b64 s[8:9], s[54:55], exec
	s_and_b64 s[2:3], s[2:3], exec
	s_or_b64 s[62:63], s[8:9], s[2:3]
	s_andn2_b64 s[2:3], s[56:57], exec
	s_and_b64 s[4:5], s[4:5], exec
	s_or_b64 s[60:61], s[2:3], s[4:5]
	s_orn2_b64 s[2:3], s[6:7], exec
.LBB121_544:
	s_or_b64 exec, exec, s[64:65]
	s_mov_b64 s[4:5], 0
	s_mov_b64 s[6:7], 0
	;; [unrolled: 1-line block ×3, first 2 shown]
                                        ; implicit-def: $vgpr2_vgpr3
                                        ; implicit-def: $vgpr0
                                        ; implicit-def: $vgpr1
	s_and_saveexec_b64 s[64:65], s[2:3]
	s_cbranch_execz .LBB121_921
; %bb.545:
	v_cmp_gt_i32_e32 vcc, s70, v8
	s_mov_b64 s[6:7], -1
	s_mov_b64 s[2:3], s[60:61]
	s_mov_b64 s[68:69], s[62:63]
	s_and_saveexec_b64 s[66:67], vcc
	s_cbranch_execz .LBB121_820
; %bb.546:
	s_andn2_b64 vcc, exec, s[42:43]
	s_cbranch_vccnz .LBB121_552
; %bb.547:
	s_andn2_b64 vcc, exec, s[52:53]
	s_cbranch_vccnz .LBB121_553
; %bb.548:
	s_add_i32 s76, s75, 1
	s_cmp_eq_u32 s72, 2
	s_cbranch_scc1 .LBB121_554
; %bb.549:
	s_and_b32 s71, s76, 28
	s_mov_b32 s77, 0
	v_mov_b32_e32 v0, 0
	v_mov_b32_e32 v2, 0
	s_mov_b64 s[2:3], s[34:35]
	s_mov_b64 s[68:69], s[50:51]
	v_mov_b32_e32 v4, v8
.LBB121_550:                            ; =>This Inner Loop Header: Depth=1
	s_load_dwordx8 s[12:19], s[2:3], 0x4
	s_load_dwordx4 s[36:39], s[2:3], 0x24
	s_load_dwordx8 s[4:11], s[68:69], 0x0
	s_add_u32 s2, s2, 48
	s_addc_u32 s3, s3, 0
	s_waitcnt vmcnt(0) lgkmcnt(0)
	v_mul_hi_u32 v1, s13, v4
	v_add_u32_e32 v1, v4, v1
	v_lshrrev_b32_e32 v1, s14, v1
	v_mul_lo_u32 v3, v1, s12
	v_mul_hi_u32 v5, s16, v1
	v_sub_u32_e32 v3, v4, v3
	v_add_u32_e32 v4, v1, v5
	v_lshrrev_b32_e32 v4, s17, v4
	v_mul_lo_u32 v6, v4, s15
	v_mul_hi_u32 v7, s19, v4
	v_sub_u32_e32 v1, v1, v6
	v_add_u32_e32 v6, v4, v7
	v_mul_lo_u32 v5, v3, s5
	v_mul_lo_u32 v3, v3, s4
	;; [unrolled: 1-line block ×4, first 2 shown]
	v_lshrrev_b32_e32 v6, s36, v6
	v_add3_u32 v0, v3, v0, v1
	v_mul_hi_u32 v3, s38, v6
	v_add3_u32 v1, v5, v2, v7
	v_mul_lo_u32 v2, v6, s18
	v_add_u32_e32 v3, v6, v3
	v_sub_u32_e32 v2, v4, v2
	v_lshrrev_b32_e32 v4, s39, v3
	s_add_i32 s77, s77, 4
	v_mul_lo_u32 v3, v4, s37
	s_add_u32 s68, s68, 32
	v_sub_u32_e32 v3, v6, v3
	s_addc_u32 s69, s69, 0
	v_mul_lo_u32 v5, v2, s8
	v_mul_lo_u32 v2, v2, s9
	;; [unrolled: 1-line block ×4, first 2 shown]
	s_cmp_eq_u32 s71, s77
	v_add3_u32 v2, v2, v1, v3
	v_add3_u32 v0, v5, v0, v6
	s_cbranch_scc0 .LBB121_550
; %bb.551:
	v_mov_b32_e32 v1, v2
	s_branch .LBB121_555
.LBB121_552:
	s_mov_b64 s[2:3], -1
                                        ; implicit-def: $vgpr2
                                        ; implicit-def: $vgpr0
	s_branch .LBB121_559
.LBB121_553:
	v_mov_b32_e32 v2, 0
	v_mov_b32_e32 v0, 0
	s_branch .LBB121_558
.LBB121_554:
	v_mov_b32_e32 v0, 0
	s_mov_b32 s71, 0
	s_waitcnt vmcnt(0)
	v_mov_b32_e32 v1, v0
                                        ; implicit-def: $vgpr2
	v_mov_b32_e32 v4, v8
.LBB121_555:
	s_and_b32 s6, s76, 3
	s_cmp_eq_u32 s6, 0
	s_cbranch_scc1 .LBB121_558
; %bb.556:
	s_lshl_b32 s2, s71, 3
	s_add_u32 s2, s34, s2
	s_addc_u32 s3, s35, 0
	s_add_u32 s2, s2, 0xc4
	s_addc_u32 s3, s3, 0
	s_mul_i32 s4, s71, 12
	s_add_u32 s4, s34, s4
	s_addc_u32 s5, s35, 0
.LBB121_557:                            ; =>This Inner Loop Header: Depth=1
	s_load_dwordx2 s[8:9], s[4:5], 0x4
	s_load_dword s7, s[4:5], 0xc
	s_load_dwordx2 s[10:11], s[2:3], 0x0
	v_mov_b32_e32 v2, v1
	s_add_u32 s4, s4, 12
	s_waitcnt lgkmcnt(0)
	v_mul_hi_u32 v1, s9, v4
	v_add_u32_e32 v1, v4, v1
	v_lshrrev_b32_e32 v1, s7, v1
	s_addc_u32 s5, s5, 0
	v_mul_lo_u32 v3, v1, s8
	s_add_u32 s2, s2, 8
	v_sub_u32_e32 v5, v4, v3
	s_addc_u32 s3, s3, 0
	s_add_i32 s6, s6, -1
	v_mov_b32_e32 v4, v1
	v_mad_u64_u32 v[2:3], s[8:9], v5, s11, v[2:3]
	v_mad_u64_u32 v[0:1], s[8:9], v5, s10, v[0:1]
	s_cmp_lg_u32 s6, 0
	v_mov_b32_e32 v1, v2
	s_cbranch_scc1 .LBB121_557
.LBB121_558:
	s_mov_b64 s[2:3], 0
.LBB121_559:
	s_andn2_b64 vcc, exec, s[2:3]
	s_cbranch_vccnz .LBB121_562
; %bb.560:
	s_waitcnt lgkmcnt(0)
	v_mul_hi_u32 v0, s29, v8
	v_add_u32_e32 v0, v8, v0
	s_waitcnt vmcnt(0)
	v_lshrrev_b32_e32 v1, s30, v0
	v_mul_lo_u32 v0, v1, s28
	v_sub_u32_e32 v0, v8, v0
	v_mul_lo_u32 v2, v0, s25
	s_andn2_b64 vcc, exec, s[48:49]
	v_mul_lo_u32 v0, v0, s24
	s_cbranch_vccnz .LBB121_562
; %bb.561:
	v_mul_hi_u32 v3, s46, v1
	v_add_u32_e32 v3, v1, v3
	v_lshrrev_b32_e32 v3, s47, v3
	v_mul_lo_u32 v3, v3, s31
	v_sub_u32_e32 v3, v1, v3
	v_mad_u64_u32 v[0:1], s[2:3], v3, s26, v[0:1]
	v_mad_u64_u32 v[2:3], s[2:3], v3, s27, v[2:3]
.LBB121_562:
	v_mov_b32_e32 v3, 0
	s_and_b32 s10, 0xffff, s74
	s_cmp_lt_i32 s10, 11
	s_waitcnt lgkmcnt(0)
	v_lshl_add_u64 v[2:3], s[22:23], 0, v[2:3]
	s_cbranch_scc1 .LBB121_569
; %bb.563:
	s_cmp_gt_i32 s10, 25
	s_cbranch_scc0 .LBB121_570
; %bb.564:
	s_cmp_gt_i32 s10, 28
	s_cbranch_scc0 .LBB121_571
	;; [unrolled: 3-line block ×4, first 2 shown]
; %bb.567:
	s_cmp_eq_u32 s10, 46
	s_mov_b64 s[6:7], 0
	s_cbranch_scc0 .LBB121_578
; %bb.568:
	global_load_dword v1, v[2:3], off
	s_mov_b64 s[2:3], -1
	s_mov_b64 s[4:5], 0
	s_waitcnt vmcnt(0)
	v_lshlrev_b32_e32 v1, 16, v1
	s_branch .LBB121_579
.LBB121_569:
	s_mov_b64 s[6:7], -1
	s_mov_b64 s[2:3], 0
                                        ; implicit-def: $vgpr1
	s_mov_b64 s[4:5], s[60:61]
	s_branch .LBB121_644
.LBB121_570:
	s_mov_b64 s[6:7], -1
	s_mov_b64 s[2:3], 0
	s_mov_b64 s[4:5], s[60:61]
                                        ; implicit-def: $vgpr1
	s_branch .LBB121_608
.LBB121_571:
	s_mov_b64 s[6:7], -1
	s_mov_b64 s[2:3], 0
	s_mov_b64 s[4:5], s[60:61]
                                        ; implicit-def: $vgpr1
	s_branch .LBB121_589
.LBB121_572:
	s_mov_b64 s[6:7], -1
	s_mov_b64 s[2:3], 0
	s_mov_b64 s[4:5], s[60:61]
                                        ; implicit-def: $vgpr1
	s_branch .LBB121_584
.LBB121_573:
	s_andn2_saveexec_b64 s[10:11], s[10:11]
	s_cbranch_execz .LBB121_341
.LBB121_574:
	s_mov_b32 s14, 0x46000000
	v_add_f32_e64 v3, |v2|, s14
	v_and_b32_e32 v3, 0xff, v3
	v_cmp_ne_u32_e32 vcc, 0, v3
	s_andn2_b64 s[8:9], s[8:9], exec
	s_and_b64 s[14:15], vcc, exec
	s_or_b64 s[8:9], s[8:9], s[14:15]
	s_or_b64 exec, exec, s[10:11]
	v_mov_b32_e32 v4, 0
	s_and_saveexec_b64 s[10:11], s[8:9]
	s_cbranch_execnz .LBB121_342
	s_branch .LBB121_343
.LBB121_575:
	s_mov_b64 s[6:7], -1
	s_mov_b64 s[2:3], 0
	s_mov_b64 s[4:5], s[60:61]
                                        ; implicit-def: $vgpr1
	s_branch .LBB121_579
.LBB121_576:
	s_andn2_saveexec_b64 s[10:11], s[10:11]
	s_cbranch_execz .LBB121_354
.LBB121_577:
	s_mov_b32 s14, 0x42800000
	v_add_f32_e64 v3, |v2|, s14
	v_and_b32_e32 v3, 0xff, v3
	v_cmp_ne_u32_e32 vcc, 0, v3
	s_andn2_b64 s[8:9], s[8:9], exec
	s_and_b64 s[14:15], vcc, exec
	s_or_b64 s[8:9], s[8:9], s[14:15]
	s_or_b64 exec, exec, s[10:11]
	v_mov_b32_e32 v4, 0
	s_and_saveexec_b64 s[10:11], s[8:9]
	s_cbranch_execnz .LBB121_355
	s_branch .LBB121_356
.LBB121_578:
	s_mov_b64 s[4:5], -1
                                        ; implicit-def: $vgpr1
	s_mov_b64 s[2:3], 0
.LBB121_579:
	s_and_b64 vcc, exec, s[6:7]
	s_cbranch_vccz .LBB121_583
; %bb.580:
	s_cmp_eq_u32 s10, 44
	s_cbranch_scc0 .LBB121_582
; %bb.581:
	global_load_ubyte v1, v[2:3], off
	s_movk_i32 s4, 0xff
	v_mov_b32_e32 v4, 0x7f800001
	v_mov_b32_e32 v5, 0x400000
	s_mov_b64 s[2:3], -1
	s_waitcnt vmcnt(0)
	v_lshlrev_b32_e32 v6, 23, v1
	v_cmp_ne_u32_e32 vcc, s4, v1
	s_mov_b64 s[4:5], 0
	s_nop 0
	v_cndmask_b32_e32 v4, v4, v6, vcc
	v_cmp_ne_u32_e32 vcc, 0, v1
	s_nop 1
	v_cndmask_b32_e32 v1, v5, v4, vcc
	s_branch .LBB121_583
.LBB121_582:
	s_mov_b64 s[4:5], -1
                                        ; implicit-def: $vgpr1
.LBB121_583:
	s_mov_b64 s[6:7], 0
.LBB121_584:
	s_and_b64 vcc, exec, s[6:7]
	s_cbranch_vccz .LBB121_588
; %bb.585:
	s_cmp_eq_u32 s10, 29
	s_cbranch_scc0 .LBB121_587
; %bb.586:
	global_load_dwordx2 v[4:5], v[2:3], off
	s_mov_b64 s[2:3], -1
	s_mov_b64 s[4:5], 0
	s_mov_b64 s[6:7], 0
	s_waitcnt vmcnt(0)
	v_ffbh_u32_e32 v1, v5
	v_min_u32_e32 v1, 32, v1
	v_lshlrev_b64 v[4:5], v1, v[4:5]
	v_min_u32_e32 v4, 1, v4
	v_or_b32_e32 v4, v5, v4
	v_cvt_f32_u32_e32 v4, v4
	v_sub_u32_e32 v1, 32, v1
	v_ldexp_f32 v1, v4, v1
	s_branch .LBB121_589
.LBB121_587:
	s_mov_b64 s[4:5], -1
                                        ; implicit-def: $vgpr1
.LBB121_588:
	s_mov_b64 s[6:7], 0
.LBB121_589:
	s_and_b64 vcc, exec, s[6:7]
	s_cbranch_vccz .LBB121_607
; %bb.590:
	s_cmp_lt_i32 s10, 27
	s_cbranch_scc1 .LBB121_593
; %bb.591:
	s_cmp_gt_i32 s10, 27
	s_cbranch_scc0 .LBB121_594
; %bb.592:
	global_load_dword v1, v[2:3], off
	s_mov_b64 s[2:3], 0
	s_waitcnt vmcnt(0)
	v_cvt_f32_u32_e32 v1, v1
	s_branch .LBB121_595
.LBB121_593:
	s_mov_b64 s[2:3], -1
                                        ; implicit-def: $vgpr1
	s_branch .LBB121_598
.LBB121_594:
	s_mov_b64 s[2:3], -1
                                        ; implicit-def: $vgpr1
.LBB121_595:
	s_andn2_b64 vcc, exec, s[2:3]
	s_cbranch_vccnz .LBB121_597
; %bb.596:
	global_load_ushort v1, v[2:3], off
	s_waitcnt vmcnt(0)
	v_cvt_f32_u32_e32 v1, v1
.LBB121_597:
	s_mov_b64 s[2:3], 0
.LBB121_598:
	s_andn2_b64 vcc, exec, s[2:3]
	s_cbranch_vccnz .LBB121_606
; %bb.599:
	global_load_ubyte v4, v[2:3], off
	s_movk_i32 s2, 0x7f
	s_waitcnt vmcnt(0)
	v_cmp_lt_i16_e32 vcc, s2, v4
	s_mov_b64 s[2:3], 0
	s_and_saveexec_b64 s[6:7], vcc
	s_xor_b64 s[6:7], exec, s[6:7]
	s_cbranch_execz .LBB121_620
; %bb.600:
	s_movk_i32 s2, 0x80
	v_cmp_eq_u16_e32 vcc, s2, v4
	s_mov_b64 s[2:3], -1
	s_and_saveexec_b64 s[8:9], vcc
; %bb.601:
	s_xor_b64 s[2:3], exec, -1
; %bb.602:
	s_or_b64 exec, exec, s[8:9]
	s_and_b64 s[2:3], s[2:3], exec
	s_or_saveexec_b64 s[6:7], s[6:7]
	v_mov_b32_e32 v1, 0x7f800001
	s_xor_b64 exec, exec, s[6:7]
	s_cbranch_execnz .LBB121_621
.LBB121_603:
	s_or_b64 exec, exec, s[6:7]
	s_and_saveexec_b64 s[6:7], s[2:3]
	s_cbranch_execz .LBB121_605
.LBB121_604:
	v_lshlrev_b32_e32 v1, 24, v4
	v_and_b32_e32 v4, 0xffff, v4
	v_and_b32_e32 v5, 7, v4
	v_ffbh_u32_e32 v7, v5
	v_min_u32_e32 v7, 32, v7
	v_subrev_u32_e32 v9, 28, v7
	v_bfe_u32 v6, v4, 3, 4
	v_lshlrev_b32_e32 v4, v9, v4
	v_sub_u32_e32 v7, 29, v7
	v_and_b32_e32 v4, 7, v4
	v_cmp_eq_u32_e32 vcc, 0, v6
	v_and_b32_e32 v1, 0x80000000, v1
	s_nop 0
	v_cndmask_b32_e32 v6, v6, v7, vcc
	v_cndmask_b32_e32 v4, v5, v4, vcc
	v_mov_b32_e32 v5, 0x3b800000
	v_lshlrev_b32_e32 v4, 20, v4
	v_lshl_add_u32 v5, v6, 23, v5
	v_or3_b32 v1, v1, v5, v4
.LBB121_605:
	s_or_b64 exec, exec, s[6:7]
.LBB121_606:
	s_mov_b64 s[2:3], -1
.LBB121_607:
	s_mov_b64 s[6:7], 0
.LBB121_608:
	s_and_b64 vcc, exec, s[6:7]
	s_cbranch_vccz .LBB121_643
; %bb.609:
	s_cmp_gt_i32 s10, 22
	s_cbranch_scc0 .LBB121_619
; %bb.610:
	s_cmp_lt_i32 s10, 24
	s_cbranch_scc1 .LBB121_622
; %bb.611:
	s_cmp_gt_i32 s10, 24
	s_cbranch_scc0 .LBB121_623
; %bb.612:
	global_load_ubyte v4, v[2:3], off
	s_movk_i32 s2, 0x7f
	s_waitcnt vmcnt(0)
	v_cmp_lt_i16_e32 vcc, s2, v4
	s_mov_b64 s[2:3], 0
	s_and_saveexec_b64 s[6:7], vcc
	s_xor_b64 s[6:7], exec, s[6:7]
	s_cbranch_execz .LBB121_635
; %bb.613:
	s_movk_i32 s2, 0x80
	v_cmp_eq_u16_e32 vcc, s2, v4
	s_mov_b64 s[2:3], -1
	s_and_saveexec_b64 s[8:9], vcc
; %bb.614:
	s_xor_b64 s[2:3], exec, -1
; %bb.615:
	s_or_b64 exec, exec, s[8:9]
	s_and_b64 s[2:3], s[2:3], exec
	s_or_saveexec_b64 s[6:7], s[6:7]
	v_mov_b32_e32 v1, 0x7f800001
	s_xor_b64 exec, exec, s[6:7]
	s_cbranch_execnz .LBB121_636
.LBB121_616:
	s_or_b64 exec, exec, s[6:7]
	s_and_saveexec_b64 s[6:7], s[2:3]
	s_cbranch_execz .LBB121_618
.LBB121_617:
	v_lshlrev_b32_e32 v1, 24, v4
	v_and_b32_e32 v4, 0xffff, v4
	v_and_b32_e32 v5, 3, v4
	v_ffbh_u32_e32 v7, v5
	v_min_u32_e32 v7, 32, v7
	v_subrev_u32_e32 v9, 29, v7
	v_bfe_u32 v6, v4, 2, 5
	v_lshlrev_b32_e32 v4, v9, v4
	v_sub_u32_e32 v7, 30, v7
	v_and_b32_e32 v4, 3, v4
	v_cmp_eq_u32_e32 vcc, 0, v6
	v_and_b32_e32 v1, 0x80000000, v1
	s_nop 0
	v_cndmask_b32_e32 v6, v6, v7, vcc
	v_cndmask_b32_e32 v4, v5, v4, vcc
	v_mov_b32_e32 v5, 0x37800000
	v_lshlrev_b32_e32 v4, 21, v4
	v_lshl_add_u32 v5, v6, 23, v5
	v_or3_b32 v1, v1, v5, v4
.LBB121_618:
	s_or_b64 exec, exec, s[6:7]
	s_mov_b64 s[2:3], 0
	s_branch .LBB121_624
.LBB121_619:
	s_mov_b64 s[6:7], -1
                                        ; implicit-def: $vgpr1
	s_branch .LBB121_630
.LBB121_620:
	s_or_saveexec_b64 s[6:7], s[6:7]
	v_mov_b32_e32 v1, 0x7f800001
	s_xor_b64 exec, exec, s[6:7]
	s_cbranch_execz .LBB121_603
.LBB121_621:
	v_cmp_ne_u16_e32 vcc, 0, v4
	s_andn2_b64 s[2:3], s[2:3], exec
	s_and_b64 s[8:9], vcc, exec
	v_mov_b32_e32 v1, 0
	s_or_b64 s[2:3], s[2:3], s[8:9]
	s_or_b64 exec, exec, s[6:7]
	s_and_saveexec_b64 s[6:7], s[2:3]
	s_cbranch_execnz .LBB121_604
	s_branch .LBB121_605
.LBB121_622:
	s_mov_b64 s[2:3], -1
                                        ; implicit-def: $vgpr1
	s_branch .LBB121_627
.LBB121_623:
	s_mov_b64 s[2:3], -1
                                        ; implicit-def: $vgpr1
.LBB121_624:
	s_and_b64 vcc, exec, s[2:3]
	s_cbranch_vccz .LBB121_626
; %bb.625:
	global_load_ubyte v1, v[2:3], off
	s_mov_b32 s2, 0x7f800000
	s_waitcnt vmcnt(0)
	v_lshlrev_b32_e32 v1, 24, v1
	v_and_b32_e32 v4, 0x7f000000, v1
	v_ffbh_u32_e32 v5, v4
	v_min_u32_e32 v5, 32, v5
	v_sub_u32_e64 v5, v5, 4 clamp
	v_lshlrev_b32_e32 v7, v5, v4
	v_lshlrev_b32_e32 v5, 23, v5
	v_lshrrev_b32_e32 v7, 4, v7
	v_add_u32_e32 v6, 0x1000000, v4
	v_sub_u32_e32 v5, v7, v5
	v_ashrrev_i32_e32 v6, 8, v6
	v_add_u32_e32 v5, 0x3c000000, v5
	v_and_or_b32 v5, v6, s2, v5
	v_cmp_ne_u32_e32 vcc, 0, v4
	s_brev_b32 s2, 1
	s_nop 0
	v_cndmask_b32_e32 v4, 0, v5, vcc
	v_and_or_b32 v1, v1, s2, v4
.LBB121_626:
	s_mov_b64 s[2:3], 0
.LBB121_627:
	s_andn2_b64 vcc, exec, s[2:3]
	s_cbranch_vccnz .LBB121_629
; %bb.628:
	global_load_ubyte v1, v[2:3], off
	s_movk_i32 s2, 0x7f00
	s_brev_b32 s3, 16
	s_waitcnt vmcnt(0)
	v_lshlrev_b16_e32 v4, 8, v1
	v_lshlrev_b32_e32 v1, 25, v1
	v_lshrrev_b32_e32 v5, 4, v1
	v_and_or_b32 v6, v4, s2, 0.5
	v_or_b32_e32 v5, 0x70000000, v5
	v_add_f32_e32 v6, -0.5, v6
	v_mul_f32_e32 v5, 0x7800000, v5
	v_cmp_gt_u32_e32 vcc, s3, v1
	v_bfe_i32 v4, v4, 0, 16
	s_brev_b32 s2, 1
	v_cndmask_b32_e32 v1, v5, v6, vcc
	v_and_or_b32 v1, v4, s2, v1
.LBB121_629:
	s_mov_b64 s[6:7], 0
	s_mov_b64 s[2:3], -1
.LBB121_630:
	s_andn2_b64 vcc, exec, s[6:7]
	s_cbranch_vccnz .LBB121_643
; %bb.631:
	s_cmp_gt_i32 s10, 14
	s_cbranch_scc0 .LBB121_634
; %bb.632:
	s_cmp_eq_u32 s10, 15
	s_cbranch_scc0 .LBB121_637
; %bb.633:
	global_load_ushort v1, v[2:3], off
	s_mov_b64 s[2:3], -1
	s_mov_b64 s[4:5], 0
	s_waitcnt vmcnt(0)
	v_lshlrev_b32_e32 v1, 16, v1
	s_branch .LBB121_638
.LBB121_634:
	s_mov_b64 s[6:7], -1
                                        ; implicit-def: $vgpr1
	s_branch .LBB121_639
.LBB121_635:
	s_or_saveexec_b64 s[6:7], s[6:7]
	v_mov_b32_e32 v1, 0x7f800001
	s_xor_b64 exec, exec, s[6:7]
	s_cbranch_execz .LBB121_616
.LBB121_636:
	v_cmp_ne_u16_e32 vcc, 0, v4
	s_andn2_b64 s[2:3], s[2:3], exec
	s_and_b64 s[8:9], vcc, exec
	v_mov_b32_e32 v1, 0
	s_or_b64 s[2:3], s[2:3], s[8:9]
	s_or_b64 exec, exec, s[6:7]
	s_and_saveexec_b64 s[6:7], s[2:3]
	s_cbranch_execnz .LBB121_617
	s_branch .LBB121_618
.LBB121_637:
	s_mov_b64 s[4:5], -1
                                        ; implicit-def: $vgpr1
.LBB121_638:
	s_mov_b64 s[6:7], 0
.LBB121_639:
	s_and_b64 vcc, exec, s[6:7]
	s_cbranch_vccz .LBB121_643
; %bb.640:
	s_cmp_eq_u32 s10, 11
	s_cbranch_scc0 .LBB121_642
; %bb.641:
	global_load_ubyte v1, v[2:3], off
	s_mov_b64 s[2:3], -1
	s_mov_b64 s[4:5], 0
	s_waitcnt vmcnt(0)
	v_cmp_ne_u16_e32 vcc, 0, v1
	s_nop 1
	v_cndmask_b32_e64 v1, 0, 1.0, vcc
	s_branch .LBB121_643
.LBB121_642:
	s_mov_b64 s[4:5], -1
                                        ; implicit-def: $vgpr1
.LBB121_643:
	s_mov_b64 s[6:7], 0
.LBB121_644:
	s_and_b64 vcc, exec, s[6:7]
	s_cbranch_vccz .LBB121_693
; %bb.645:
	s_cmp_lt_i32 s10, 5
	s_cbranch_scc1 .LBB121_650
; %bb.646:
	s_cmp_lt_i32 s10, 8
	s_cbranch_scc1 .LBB121_651
	;; [unrolled: 3-line block ×3, first 2 shown]
; %bb.648:
	s_cmp_gt_i32 s10, 9
	s_cbranch_scc0 .LBB121_653
; %bb.649:
	global_load_dwordx2 v[4:5], v[2:3], off
	s_mov_b64 s[2:3], 0
	s_waitcnt vmcnt(0)
	v_cvt_f32_f64_e32 v1, v[4:5]
	s_branch .LBB121_654
.LBB121_650:
	s_mov_b64 s[2:3], -1
                                        ; implicit-def: $vgpr1
	s_branch .LBB121_672
.LBB121_651:
	s_mov_b64 s[2:3], -1
                                        ; implicit-def: $vgpr1
	s_branch .LBB121_660
.LBB121_652:
	s_mov_b64 s[2:3], -1
                                        ; implicit-def: $vgpr1
	s_branch .LBB121_657
.LBB121_653:
	s_mov_b64 s[2:3], -1
                                        ; implicit-def: $vgpr1
.LBB121_654:
	s_andn2_b64 vcc, exec, s[2:3]
	s_cbranch_vccnz .LBB121_656
; %bb.655:
	global_load_dword v1, v[2:3], off
.LBB121_656:
	s_mov_b64 s[2:3], 0
.LBB121_657:
	s_andn2_b64 vcc, exec, s[2:3]
	s_cbranch_vccnz .LBB121_659
; %bb.658:
	global_load_dword v1, v[2:3], off
	s_waitcnt vmcnt(0)
	v_cvt_f32_f16_e32 v1, v1
.LBB121_659:
	s_mov_b64 s[2:3], 0
.LBB121_660:
	s_andn2_b64 vcc, exec, s[2:3]
	s_cbranch_vccnz .LBB121_671
; %bb.661:
	s_cmp_lt_i32 s10, 6
	s_cbranch_scc1 .LBB121_664
; %bb.662:
	s_cmp_gt_i32 s10, 6
	s_cbranch_scc0 .LBB121_665
; %bb.663:
	global_load_dwordx2 v[4:5], v[2:3], off
	s_mov_b64 s[2:3], 0
	s_waitcnt vmcnt(0)
	v_cvt_f32_f64_e32 v1, v[4:5]
	s_branch .LBB121_666
.LBB121_664:
	s_mov_b64 s[2:3], -1
                                        ; implicit-def: $vgpr1
	s_branch .LBB121_669
.LBB121_665:
	s_mov_b64 s[2:3], -1
                                        ; implicit-def: $vgpr1
.LBB121_666:
	s_andn2_b64 vcc, exec, s[2:3]
	s_cbranch_vccnz .LBB121_668
; %bb.667:
	global_load_dword v1, v[2:3], off
.LBB121_668:
	s_mov_b64 s[2:3], 0
.LBB121_669:
	s_andn2_b64 vcc, exec, s[2:3]
	s_cbranch_vccnz .LBB121_671
; %bb.670:
	global_load_ushort v1, v[2:3], off
	s_waitcnt vmcnt(0)
	v_cvt_f32_f16_e32 v1, v1
.LBB121_671:
	s_mov_b64 s[2:3], 0
.LBB121_672:
	s_andn2_b64 vcc, exec, s[2:3]
	s_cbranch_vccnz .LBB121_692
; %bb.673:
	s_cmp_lt_i32 s10, 2
	s_cbranch_scc1 .LBB121_677
; %bb.674:
	s_cmp_lt_i32 s10, 3
	s_cbranch_scc1 .LBB121_678
; %bb.675:
	s_cmp_gt_i32 s10, 3
	s_cbranch_scc0 .LBB121_679
; %bb.676:
	global_load_dwordx2 v[4:5], v[2:3], off
	s_mov_b64 s[2:3], 0
	s_waitcnt vmcnt(0)
	v_xor_b32_e32 v6, v4, v5
	v_ffbh_i32_e32 v1, v5
	v_ashrrev_i32_e32 v6, 31, v6
	v_add_u32_e32 v1, -1, v1
	v_add_u32_e32 v6, 32, v6
	v_min_u32_e32 v1, v1, v6
	v_lshlrev_b64 v[4:5], v1, v[4:5]
	v_min_u32_e32 v4, 1, v4
	v_or_b32_e32 v4, v5, v4
	v_cvt_f32_i32_e32 v4, v4
	v_sub_u32_e32 v1, 32, v1
	v_ldexp_f32 v1, v4, v1
	s_branch .LBB121_680
.LBB121_677:
	s_mov_b64 s[2:3], -1
                                        ; implicit-def: $vgpr1
	s_branch .LBB121_686
.LBB121_678:
	s_mov_b64 s[2:3], -1
                                        ; implicit-def: $vgpr1
	s_branch .LBB121_683
.LBB121_679:
	s_mov_b64 s[2:3], -1
                                        ; implicit-def: $vgpr1
.LBB121_680:
	s_andn2_b64 vcc, exec, s[2:3]
	s_cbranch_vccnz .LBB121_682
; %bb.681:
	global_load_dword v1, v[2:3], off
	s_waitcnt vmcnt(0)
	v_cvt_f32_i32_e32 v1, v1
.LBB121_682:
	s_mov_b64 s[2:3], 0
.LBB121_683:
	s_andn2_b64 vcc, exec, s[2:3]
	s_cbranch_vccnz .LBB121_685
; %bb.684:
	global_load_sshort v1, v[2:3], off
	s_waitcnt vmcnt(0)
	v_cvt_f32_i32_e32 v1, v1
.LBB121_685:
	s_mov_b64 s[2:3], 0
.LBB121_686:
	s_andn2_b64 vcc, exec, s[2:3]
	s_cbranch_vccnz .LBB121_692
; %bb.687:
	s_cmp_gt_i32 s10, 0
	s_cbranch_scc0 .LBB121_689
; %bb.688:
	global_load_sbyte v1, v[2:3], off
	s_mov_b64 s[2:3], 0
	s_waitcnt vmcnt(0)
	v_cvt_f32_i32_e32 v1, v1
	s_branch .LBB121_690
.LBB121_689:
	s_mov_b64 s[2:3], -1
                                        ; implicit-def: $vgpr1
.LBB121_690:
	s_andn2_b64 vcc, exec, s[2:3]
	s_cbranch_vccnz .LBB121_692
; %bb.691:
	global_load_ubyte v1, v[2:3], off
	s_waitcnt vmcnt(0)
	v_cvt_f32_ubyte0_e32 v1, v1
.LBB121_692:
	s_mov_b64 s[2:3], -1
.LBB121_693:
	s_andn2_b64 vcc, exec, s[2:3]
	s_cbranch_vccnz .LBB121_701
; %bb.694:
	s_waitcnt vmcnt(0)
	v_mul_f32_e32 v2, 0x3fb8aa3b, v1
	v_rndne_f32_e32 v2, v2
	v_fmamk_f32 v3, v2, 0xbf317218, v1
	v_fmamk_f32 v3, v2, 0x3102e308, v3
	v_mov_b32_e32 v4, 0x3ab69700
	v_fmac_f32_e32 v4, 0x395133b1, v3
	v_fmaak_f32 v4, v3, v4, 0x3c0887f9
	v_fmaak_f32 v4, v3, v4, 0x3d2aaa81
	v_cvt_i32_f32_e32 v5, v2
	v_fmaak_f32 v4, v3, v4, 0x3e2aaaab
	v_fma_f32 v4, v3, v4, 0.5
	v_mul_f32_e32 v4, v3, v4
	s_mov_b32 s2, 0x43000000
	v_fmac_f32_e32 v3, v3, v4
	v_ldexp_f32 v4, 1.0, v5
	v_mov_b32_e32 v5, 0x7f000000
	v_cmp_eq_f32_e32 vcc, s2, v2
	s_mov_b32 s2, 0x42b17217
	s_and_b32 s12, s73, 0xff
	v_cndmask_b32_e32 v2, v4, v5, vcc
	v_add_f32_e32 v4, -1.0, v2
	v_fmac_f32_e32 v4, v2, v3
	v_add_f32_e32 v2, v4, v4
	v_cndmask_b32_e32 v2, v4, v2, vcc
	v_mov_b32_e32 v3, 0x7f800000
	v_cmp_nlt_f32_e32 vcc, s2, v1
	s_mov_b32 s2, 0xc1880000
	s_cmp_lt_i32 s12, 11
	v_cndmask_b32_e32 v2, v3, v2, vcc
	v_cmp_ngt_f32_e32 vcc, s2, v1
	v_mov_b32_e32 v1, 0
	v_lshl_add_u64 v[0:1], s[20:21], 0, v[0:1]
	v_cndmask_b32_e32 v2, -1.0, v2, vcc
	s_cbranch_scc1 .LBB121_702
; %bb.695:
	s_and_b32 s13, 0xffff, s12
	s_cmp_gt_i32 s13, 25
	s_cbranch_scc0 .LBB121_703
; %bb.696:
	s_cmp_gt_i32 s13, 28
	s_cbranch_scc0 .LBB121_704
; %bb.697:
	;; [unrolled: 3-line block ×4, first 2 shown]
	s_mov_b64 s[8:9], 0
	s_mov_b64 s[2:3], -1
	s_cmp_eq_u32 s13, 46
	s_mov_b64 s[6:7], 0
	s_cbranch_scc0 .LBB121_707
; %bb.700:
	v_bfe_u32 v3, v2, 16, 1
	s_movk_i32 s2, 0x7fff
	v_add3_u32 v3, v2, v3, s2
	v_cmp_o_f32_e32 vcc, v2, v2
	v_mov_b32_e32 v4, 0x7fc0
	s_mov_b64 s[6:7], -1
	v_cndmask_b32_sdwa v3, v4, v3, vcc dst_sel:DWORD dst_unused:UNUSED_PAD src0_sel:DWORD src1_sel:WORD_1
	global_store_dword v[0:1], v3, off
	s_mov_b64 s[2:3], 0
	s_branch .LBB121_707
.LBB121_701:
	s_mov_b64 s[6:7], 0
	s_mov_b64 s[2:3], s[62:63]
	s_branch .LBB121_818
.LBB121_702:
	s_mov_b64 s[8:9], -1
	s_mov_b64 s[6:7], 0
	s_mov_b64 s[2:3], s[62:63]
	s_branch .LBB121_776
.LBB121_703:
	s_mov_b64 s[8:9], -1
	s_mov_b64 s[6:7], 0
	s_mov_b64 s[2:3], s[62:63]
	s_branch .LBB121_734
.LBB121_704:
	s_mov_b64 s[8:9], -1
	s_mov_b64 s[6:7], 0
	s_mov_b64 s[2:3], s[62:63]
	s_branch .LBB121_717
.LBB121_705:
	s_mov_b64 s[8:9], -1
	s_mov_b64 s[6:7], 0
	s_mov_b64 s[2:3], s[62:63]
	s_branch .LBB121_713
.LBB121_706:
	s_mov_b64 s[8:9], -1
	s_mov_b64 s[6:7], 0
	s_mov_b64 s[2:3], s[62:63]
.LBB121_707:
	s_and_b64 vcc, exec, s[8:9]
	s_cbranch_vccz .LBB121_712
; %bb.708:
	s_cmp_eq_u32 s13, 44
	s_mov_b64 s[2:3], -1
	s_cbranch_scc0 .LBB121_712
; %bb.709:
	v_bfe_u32 v3, v2, 23, 8
	s_movk_i32 s2, 0xff
	v_cmp_ne_u32_e32 vcc, s2, v3
	v_mov_b32_e32 v4, 0xff
	s_and_saveexec_b64 s[6:7], vcc
; %bb.710:
	s_mov_b32 s2, 0x3fffff
	v_and_b32_e32 v5, 0x400000, v2
	v_and_or_b32 v3, v2, s2, v3
	v_cmp_ne_u32_e32 vcc, 0, v5
	v_cmp_ne_u32_e64 s[2:3], 0, v3
	s_and_b64 s[2:3], vcc, s[2:3]
	v_lshrrev_b32_e32 v4, 23, v2
	v_cndmask_b32_e64 v3, 0, 1, s[2:3]
	v_add_u32_e32 v4, v4, v3
; %bb.711:
	s_or_b64 exec, exec, s[6:7]
	s_mov_b64 s[6:7], -1
	s_mov_b64 s[2:3], 0
	global_store_byte v[0:1], v4, off
.LBB121_712:
	s_mov_b64 s[8:9], 0
.LBB121_713:
	s_and_b64 vcc, exec, s[8:9]
	s_cbranch_vccz .LBB121_716
; %bb.714:
	s_cmp_eq_u32 s13, 29
	s_mov_b64 s[2:3], -1
	s_cbranch_scc0 .LBB121_716
; %bb.715:
	v_trunc_f32_e32 v3, v2
	v_mul_f32_e32 v4, 0x2f800000, v3
	v_floor_f32_e32 v4, v4
	v_fmamk_f32 v3, v4, 0xcf800000, v3
	v_cvt_u32_f32_e32 v5, v4
	v_cvt_u32_f32_e32 v4, v3
	s_mov_b64 s[6:7], -1
	s_mov_b64 s[2:3], 0
	s_mov_b64 s[8:9], 0
	global_store_dwordx2 v[0:1], v[4:5], off
	s_branch .LBB121_717
.LBB121_716:
	s_mov_b64 s[8:9], 0
.LBB121_717:
	s_and_b64 vcc, exec, s[8:9]
	s_cbranch_vccz .LBB121_733
; %bb.718:
	s_cmp_lt_i32 s13, 27
	s_mov_b64 s[6:7], -1
	s_cbranch_scc1 .LBB121_724
; %bb.719:
	v_cvt_u32_f32_e32 v3, v2
	s_cmp_gt_i32 s13, 27
	s_cbranch_scc0 .LBB121_721
; %bb.720:
	s_mov_b64 s[6:7], 0
	global_store_dword v[0:1], v3, off
.LBB121_721:
	s_andn2_b64 vcc, exec, s[6:7]
	s_cbranch_vccnz .LBB121_723
; %bb.722:
	global_store_short v[0:1], v3, off
.LBB121_723:
	s_mov_b64 s[6:7], 0
.LBB121_724:
	s_andn2_b64 vcc, exec, s[6:7]
	s_cbranch_vccnz .LBB121_732
; %bb.725:
	v_and_b32_e32 v3, 0x7fffffff, v2
	s_mov_b32 s6, 0x43800000
	v_cmp_gt_u32_e32 vcc, s6, v3
	v_mov_b32_e32 v4, 0x80
	s_and_saveexec_b64 s[6:7], vcc
	s_cbranch_execz .LBB121_731
; %bb.726:
	s_mov_b32 s8, 0x3bffffff
	v_cmp_lt_u32_e32 vcc, s8, v3
	s_mov_b64 s[8:9], 0
                                        ; implicit-def: $vgpr3
	s_and_saveexec_b64 s[10:11], vcc
	s_xor_b64 s[10:11], exec, s[10:11]
	s_cbranch_execz .LBB121_849
; %bb.727:
	v_bfe_u32 v3, v2, 20, 1
	s_mov_b32 s14, 0x487ffff
	v_add3_u32 v3, v2, v3, s14
	s_mov_b64 s[8:9], exec
	v_lshrrev_b32_e32 v3, 20, v3
	s_andn2_saveexec_b64 s[10:11], s[10:11]
	s_cbranch_execnz .LBB121_850
.LBB121_728:
	s_or_b64 exec, exec, s[10:11]
	v_mov_b32_e32 v4, 0
	s_and_saveexec_b64 s[10:11], s[8:9]
.LBB121_729:
	v_lshrrev_b32_e32 v4, 24, v2
	s_movk_i32 s8, 0x80
	v_and_or_b32 v4, v4, s8, v3
.LBB121_730:
	s_or_b64 exec, exec, s[10:11]
.LBB121_731:
	s_or_b64 exec, exec, s[6:7]
	global_store_byte v[0:1], v4, off
.LBB121_732:
	s_mov_b64 s[6:7], -1
.LBB121_733:
	s_mov_b64 s[8:9], 0
.LBB121_734:
	s_and_b64 vcc, exec, s[8:9]
	s_cbranch_vccz .LBB121_775
; %bb.735:
	s_cmp_gt_i32 s13, 22
	s_mov_b64 s[8:9], -1
	s_cbranch_scc0 .LBB121_767
; %bb.736:
	s_cmp_lt_i32 s13, 24
	s_mov_b64 s[6:7], -1
	s_cbranch_scc1 .LBB121_756
; %bb.737:
	s_cmp_gt_i32 s13, 24
	s_cbranch_scc0 .LBB121_745
; %bb.738:
	v_and_b32_e32 v3, 0x7fffffff, v2
	s_mov_b32 s6, 0x47800000
	v_cmp_gt_u32_e32 vcc, s6, v3
	v_mov_b32_e32 v4, 0x80
	s_and_saveexec_b64 s[6:7], vcc
	s_cbranch_execz .LBB121_744
; %bb.739:
	s_mov_b32 s8, 0x37ffffff
	v_cmp_lt_u32_e32 vcc, s8, v3
	s_mov_b64 s[8:9], 0
                                        ; implicit-def: $vgpr3
	s_and_saveexec_b64 s[10:11], vcc
	s_xor_b64 s[10:11], exec, s[10:11]
	s_cbranch_execz .LBB121_852
; %bb.740:
	v_bfe_u32 v3, v2, 21, 1
	s_mov_b32 s14, 0x88fffff
	v_add3_u32 v3, v2, v3, s14
	s_mov_b64 s[8:9], exec
	v_lshrrev_b32_e32 v3, 21, v3
	s_andn2_saveexec_b64 s[10:11], s[10:11]
	s_cbranch_execnz .LBB121_853
.LBB121_741:
	s_or_b64 exec, exec, s[10:11]
	v_mov_b32_e32 v4, 0
	s_and_saveexec_b64 s[10:11], s[8:9]
.LBB121_742:
	v_lshrrev_b32_e32 v4, 24, v2
	s_movk_i32 s8, 0x80
	v_and_or_b32 v4, v4, s8, v3
.LBB121_743:
	s_or_b64 exec, exec, s[10:11]
.LBB121_744:
	s_or_b64 exec, exec, s[6:7]
	s_mov_b64 s[6:7], 0
	global_store_byte v[0:1], v4, off
.LBB121_745:
	s_and_b64 vcc, exec, s[6:7]
	s_cbranch_vccz .LBB121_755
; %bb.746:
	v_and_b32_e32 v4, 0x7fffffff, v2
	s_mov_b32 s6, 0x43f00000
	v_cmp_gt_u32_e32 vcc, s6, v4
                                        ; implicit-def: $vgpr3
	s_and_saveexec_b64 s[6:7], vcc
	s_xor_b64 s[6:7], exec, s[6:7]
	s_cbranch_execz .LBB121_752
; %bb.747:
	s_mov_b32 s8, 0x3c7fffff
	v_cmp_lt_u32_e32 vcc, s8, v4
                                        ; implicit-def: $vgpr3
	s_and_saveexec_b64 s[8:9], vcc
	s_xor_b64 s[8:9], exec, s[8:9]
; %bb.748:
	v_bfe_u32 v3, v2, 20, 1
	s_mov_b32 s10, 0x407ffff
	v_add3_u32 v3, v2, v3, s10
	v_lshrrev_b32_e32 v4, 20, v3
	v_and_b32_e32 v3, 0xff00000, v3
	s_mov_b32 s10, 0x7f00000
	v_mov_b32_e32 v5, 0x7e
	v_cmp_ne_u32_e32 vcc, s10, v3
	s_nop 1
	v_cndmask_b32_e32 v3, v5, v4, vcc
; %bb.749:
	s_andn2_saveexec_b64 s[8:9], s[8:9]
; %bb.750:
	s_mov_b32 s10, 0x46800000
	v_add_f32_e64 v3, |v2|, s10
; %bb.751:
	s_or_b64 exec, exec, s[8:9]
                                        ; implicit-def: $vgpr4
.LBB121_752:
	s_andn2_saveexec_b64 s[6:7], s[6:7]
; %bb.753:
	s_mov_b32 s8, 0x7f800000
	v_mov_b32_e32 v3, 0x7e
	v_mov_b32_e32 v5, 0x7f
	v_cmp_lt_u32_e32 vcc, s8, v4
	s_nop 1
	v_cndmask_b32_e32 v3, v3, v5, vcc
; %bb.754:
	s_or_b64 exec, exec, s[6:7]
	v_lshrrev_b32_e32 v4, 24, v2
	s_movk_i32 s6, 0x80
	v_and_or_b32 v3, v4, s6, v3
	global_store_byte v[0:1], v3, off
.LBB121_755:
	s_mov_b64 s[6:7], 0
.LBB121_756:
	s_andn2_b64 vcc, exec, s[6:7]
	s_cbranch_vccnz .LBB121_766
; %bb.757:
	v_and_b32_e32 v4, 0x7fffffff, v2
	s_mov_b32 s6, 0x47800000
	v_cmp_gt_u32_e32 vcc, s6, v4
                                        ; implicit-def: $vgpr3
	s_and_saveexec_b64 s[6:7], vcc
	s_xor_b64 s[6:7], exec, s[6:7]
	s_cbranch_execz .LBB121_763
; %bb.758:
	s_mov_b32 s8, 0x387fffff
	v_cmp_lt_u32_e32 vcc, s8, v4
                                        ; implicit-def: $vgpr3
	s_and_saveexec_b64 s[8:9], vcc
	s_xor_b64 s[8:9], exec, s[8:9]
; %bb.759:
	v_bfe_u32 v3, v2, 21, 1
	s_mov_b32 s10, 0x80fffff
	v_add3_u32 v3, v2, v3, s10
	v_lshrrev_b32_e32 v3, 21, v3
; %bb.760:
	s_andn2_saveexec_b64 s[8:9], s[8:9]
; %bb.761:
	s_mov_b32 s10, 0x43000000
	v_add_f32_e64 v3, |v2|, s10
; %bb.762:
	s_or_b64 exec, exec, s[8:9]
                                        ; implicit-def: $vgpr4
.LBB121_763:
	s_andn2_saveexec_b64 s[6:7], s[6:7]
; %bb.764:
	s_mov_b32 s8, 0x7f800000
	v_mov_b32_e32 v3, 0x7c
	v_mov_b32_e32 v5, 0x7f
	v_cmp_lt_u32_e32 vcc, s8, v4
	s_nop 1
	v_cndmask_b32_e32 v3, v3, v5, vcc
; %bb.765:
	s_or_b64 exec, exec, s[6:7]
	v_lshrrev_b32_e32 v4, 24, v2
	s_movk_i32 s6, 0x80
	v_and_or_b32 v3, v4, s6, v3
	global_store_byte v[0:1], v3, off
.LBB121_766:
	s_mov_b64 s[8:9], 0
	s_mov_b64 s[6:7], -1
.LBB121_767:
	s_andn2_b64 vcc, exec, s[8:9]
	s_cbranch_vccnz .LBB121_775
; %bb.768:
	s_cmp_gt_i32 s13, 14
	s_mov_b64 s[8:9], -1
	s_cbranch_scc0 .LBB121_772
; %bb.769:
	s_cmp_eq_u32 s13, 15
	s_mov_b64 s[2:3], -1
	s_cbranch_scc0 .LBB121_771
; %bb.770:
	v_bfe_u32 v3, v2, 16, 1
	s_movk_i32 s2, 0x7fff
	v_add3_u32 v3, v2, v3, s2
	v_cmp_o_f32_e32 vcc, v2, v2
	v_mov_b32_e32 v4, 0x7fc0
	s_mov_b64 s[6:7], -1
	v_cndmask_b32_sdwa v3, v4, v3, vcc dst_sel:DWORD dst_unused:UNUSED_PAD src0_sel:DWORD src1_sel:WORD_1
	global_store_short v[0:1], v3, off
	s_mov_b64 s[2:3], 0
.LBB121_771:
	s_mov_b64 s[8:9], 0
.LBB121_772:
	s_and_b64 vcc, exec, s[8:9]
	s_cbranch_vccz .LBB121_775
; %bb.773:
	s_cmp_eq_u32 s13, 11
	s_mov_b64 s[2:3], -1
	s_cbranch_scc0 .LBB121_775
; %bb.774:
	v_cmp_neq_f32_e32 vcc, 0, v2
	s_mov_b64 s[6:7], -1
	s_mov_b64 s[2:3], 0
	v_cndmask_b32_e64 v3, 0, 1, vcc
	global_store_byte v[0:1], v3, off
.LBB121_775:
	s_mov_b64 s[8:9], 0
.LBB121_776:
	s_and_b64 vcc, exec, s[8:9]
	s_cbranch_vccz .LBB121_815
; %bb.777:
	s_and_b32 s8, 0xffff, s12
	s_cmp_lt_i32 s8, 5
	s_mov_b64 s[6:7], -1
	s_cbranch_scc1 .LBB121_798
; %bb.778:
	s_cmp_lt_i32 s8, 8
	s_cbranch_scc1 .LBB121_788
; %bb.779:
	s_cmp_lt_i32 s8, 9
	s_cbranch_scc1 .LBB121_785
; %bb.780:
	s_cmp_gt_i32 s8, 9
	s_cbranch_scc0 .LBB121_782
; %bb.781:
	v_mov_b32_e32 v6, 0
	v_cvt_f64_f32_e32 v[4:5], v2
	v_mov_b32_e32 v7, v6
	s_mov_b64 s[6:7], 0
	global_store_dwordx4 v[0:1], v[4:7], off
.LBB121_782:
	s_andn2_b64 vcc, exec, s[6:7]
	s_cbranch_vccnz .LBB121_784
; %bb.783:
	v_mov_b32_e32 v3, 0
	global_store_dwordx2 v[0:1], v[2:3], off
.LBB121_784:
	s_mov_b64 s[6:7], 0
.LBB121_785:
	s_andn2_b64 vcc, exec, s[6:7]
	s_cbranch_vccnz .LBB121_787
; %bb.786:
	v_cvt_f16_f32_e32 v3, v2
	global_store_dword v[0:1], v3, off
.LBB121_787:
	s_mov_b64 s[6:7], 0
.LBB121_788:
	s_andn2_b64 vcc, exec, s[6:7]
	s_cbranch_vccnz .LBB121_797
; %bb.789:
	s_cmp_lt_i32 s8, 6
	s_mov_b64 s[6:7], -1
	s_cbranch_scc1 .LBB121_795
; %bb.790:
	s_cmp_gt_i32 s8, 6
	s_cbranch_scc0 .LBB121_792
; %bb.791:
	v_cvt_f64_f32_e32 v[4:5], v2
	s_mov_b64 s[6:7], 0
	global_store_dwordx2 v[0:1], v[4:5], off
.LBB121_792:
	s_andn2_b64 vcc, exec, s[6:7]
	s_cbranch_vccnz .LBB121_794
; %bb.793:
	global_store_dword v[0:1], v2, off
.LBB121_794:
	s_mov_b64 s[6:7], 0
.LBB121_795:
	s_andn2_b64 vcc, exec, s[6:7]
	s_cbranch_vccnz .LBB121_797
; %bb.796:
	v_cvt_f16_f32_e32 v3, v2
	global_store_short v[0:1], v3, off
.LBB121_797:
	s_mov_b64 s[6:7], 0
.LBB121_798:
	s_andn2_b64 vcc, exec, s[6:7]
	s_cbranch_vccnz .LBB121_814
; %bb.799:
	s_cmp_lt_i32 s8, 2
	s_mov_b64 s[6:7], -1
	s_cbranch_scc1 .LBB121_809
; %bb.800:
	s_cmp_lt_i32 s8, 3
	s_cbranch_scc1 .LBB121_806
; %bb.801:
	s_cmp_gt_i32 s8, 3
	s_cbranch_scc0 .LBB121_803
; %bb.802:
	v_trunc_f32_e32 v3, v2
	s_mov_b32 s6, 0x2f800000
	v_mul_f32_e64 v4, |v3|, s6
	v_floor_f32_e32 v4, v4
	s_mov_b32 s6, 0xcf800000
	v_cvt_u32_f32_e32 v5, v4
	v_fma_f32 v4, v4, s6, |v3|
	v_cvt_u32_f32_e32 v4, v4
	v_ashrrev_i32_e32 v3, 31, v3
	v_xor_b32_e32 v5, v5, v3
	s_mov_b64 s[6:7], 0
	v_xor_b32_e32 v4, v4, v3
	v_sub_co_u32_e32 v4, vcc, v4, v3
	s_nop 1
	v_subb_co_u32_e32 v5, vcc, v5, v3, vcc
	global_store_dwordx2 v[0:1], v[4:5], off
.LBB121_803:
	s_andn2_b64 vcc, exec, s[6:7]
	s_cbranch_vccnz .LBB121_805
; %bb.804:
	v_cvt_i32_f32_e32 v3, v2
	global_store_dword v[0:1], v3, off
.LBB121_805:
	s_mov_b64 s[6:7], 0
.LBB121_806:
	s_andn2_b64 vcc, exec, s[6:7]
	s_cbranch_vccnz .LBB121_808
; %bb.807:
	v_cvt_i32_f32_e32 v3, v2
	global_store_short v[0:1], v3, off
.LBB121_808:
	s_mov_b64 s[6:7], 0
.LBB121_809:
	s_andn2_b64 vcc, exec, s[6:7]
	s_cbranch_vccnz .LBB121_814
; %bb.810:
	s_cmp_gt_i32 s8, 0
	s_mov_b64 s[6:7], -1
	s_cbranch_scc0 .LBB121_812
; %bb.811:
	v_cvt_i32_f32_e32 v3, v2
	s_mov_b64 s[6:7], 0
	global_store_byte v[0:1], v3, off
.LBB121_812:
	s_andn2_b64 vcc, exec, s[6:7]
	s_cbranch_vccnz .LBB121_814
; %bb.813:
	v_trunc_f32_e32 v2, v2
	s_mov_b32 s6, 0x2f800000
	v_mul_f32_e64 v3, |v2|, s6
	v_floor_f32_e32 v3, v3
	s_mov_b32 s6, 0xcf800000
	v_fma_f32 v3, v3, s6, |v2|
	v_cvt_u32_f32_e32 v3, v3
	v_ashrrev_i32_e32 v2, 31, v2
	v_xor_b32_e32 v3, v3, v2
	v_sub_u32_e32 v2, v3, v2
	global_store_byte v[0:1], v2, off
.LBB121_814:
	s_mov_b64 s[6:7], -1
.LBB121_815:
	s_andn2_b64 vcc, exec, s[6:7]
	s_cbranch_vccnz .LBB121_817
; %bb.816:
	v_add_u32_e32 v8, 0x80, v8
	s_mov_b64 s[6:7], -1
	s_branch .LBB121_819
.LBB121_817:
	s_mov_b64 s[6:7], 0
.LBB121_818:
                                        ; implicit-def: $vgpr8
.LBB121_819:
	s_andn2_b64 s[8:9], s[62:63], exec
	s_and_b64 s[2:3], s[2:3], exec
	s_or_b64 s[68:69], s[8:9], s[2:3]
	s_andn2_b64 s[2:3], s[60:61], exec
	s_and_b64 s[4:5], s[4:5], exec
	s_or_b64 s[2:3], s[2:3], s[4:5]
	s_orn2_b64 s[6:7], s[6:7], exec
.LBB121_820:
	s_or_b64 exec, exec, s[66:67]
	s_mov_b64 s[4:5], 0
	s_mov_b64 s[10:11], 0
	s_mov_b64 s[8:9], 0
                                        ; implicit-def: $vgpr2_vgpr3
                                        ; implicit-def: $vgpr0
                                        ; implicit-def: $vgpr1
	s_and_saveexec_b64 s[66:67], s[6:7]
	s_cbranch_execz .LBB121_920
; %bb.821:
	v_cmp_gt_i32_e32 vcc, s70, v8
	s_mov_b64 s[6:7], 0
	s_mov_b64 s[12:13], s[2:3]
                                        ; implicit-def: $vgpr2_vgpr3
                                        ; implicit-def: $vgpr0
                                        ; implicit-def: $vgpr1
	s_and_saveexec_b64 s[70:71], vcc
	s_cbranch_execz .LBB121_919
; %bb.822:
	s_andn2_b64 vcc, exec, s[42:43]
	s_cbranch_vccnz .LBB121_828
; %bb.823:
	s_andn2_b64 vcc, exec, s[52:53]
	s_cbranch_vccnz .LBB121_829
; %bb.824:
	s_add_i32 s76, s75, 1
	s_cmp_eq_u32 s72, 2
	s_cbranch_scc1 .LBB121_830
; %bb.825:
	s_and_b32 s75, s76, 28
	s_mov_b32 s77, 0
	v_mov_b32_e32 v0, 0
	v_mov_b32_e32 v2, 0
	s_mov_b64 s[52:53], s[34:35]
	v_mov_b32_e32 v4, v8
.LBB121_826:                            ; =>This Inner Loop Header: Depth=1
	s_load_dwordx8 s[12:19], s[52:53], 0x4
	s_load_dwordx4 s[36:39], s[52:53], 0x24
	s_load_dwordx8 s[4:11], s[50:51], 0x0
	s_add_u32 s52, s52, 48
	s_addc_u32 s53, s53, 0
	s_waitcnt vmcnt(0) lgkmcnt(0)
	v_mul_hi_u32 v1, s13, v4
	v_add_u32_e32 v1, v4, v1
	v_lshrrev_b32_e32 v1, s14, v1
	v_mul_lo_u32 v3, v1, s12
	v_mul_hi_u32 v5, s16, v1
	v_sub_u32_e32 v3, v4, v3
	v_add_u32_e32 v4, v1, v5
	v_lshrrev_b32_e32 v4, s17, v4
	v_mul_lo_u32 v6, v4, s15
	v_mul_hi_u32 v7, s19, v4
	v_sub_u32_e32 v1, v1, v6
	v_add_u32_e32 v6, v4, v7
	v_mul_lo_u32 v5, v3, s5
	v_mul_lo_u32 v3, v3, s4
	;; [unrolled: 1-line block ×4, first 2 shown]
	v_lshrrev_b32_e32 v6, s36, v6
	v_add3_u32 v0, v3, v0, v1
	v_mul_hi_u32 v3, s38, v6
	v_add3_u32 v1, v5, v2, v7
	v_mul_lo_u32 v2, v6, s18
	v_add_u32_e32 v3, v6, v3
	v_sub_u32_e32 v2, v4, v2
	v_lshrrev_b32_e32 v4, s39, v3
	s_add_i32 s77, s77, 4
	v_mul_lo_u32 v3, v4, s37
	s_add_u32 s50, s50, 32
	v_sub_u32_e32 v3, v6, v3
	s_addc_u32 s51, s51, 0
	v_mul_lo_u32 v5, v2, s8
	v_mul_lo_u32 v2, v2, s9
	;; [unrolled: 1-line block ×4, first 2 shown]
	s_cmp_eq_u32 s75, s77
	v_add3_u32 v2, v2, v1, v3
	v_add3_u32 v0, v5, v0, v6
	s_cbranch_scc0 .LBB121_826
; %bb.827:
	v_mov_b32_e32 v1, v2
	s_branch .LBB121_831
.LBB121_828:
	s_mov_b64 s[4:5], -1
                                        ; implicit-def: $vgpr2
                                        ; implicit-def: $vgpr0
	s_branch .LBB121_835
.LBB121_829:
	v_mov_b32_e32 v2, 0
	v_mov_b32_e32 v0, 0
	s_branch .LBB121_834
.LBB121_830:
	v_mov_b32_e32 v0, 0
	s_mov_b32 s75, 0
	s_waitcnt vmcnt(0)
	v_mov_b32_e32 v1, v0
                                        ; implicit-def: $vgpr2
	v_mov_b32_e32 v4, v8
.LBB121_831:
	s_and_b32 s8, s76, 3
	s_cmp_eq_u32 s8, 0
	s_cbranch_scc1 .LBB121_834
; %bb.832:
	s_lshl_b32 s4, s75, 3
	s_add_u32 s4, s34, s4
	s_addc_u32 s5, s35, 0
	s_add_u32 s4, s4, 0xc4
	s_addc_u32 s5, s5, 0
	s_mul_i32 s6, s75, 12
	s_add_u32 s6, s34, s6
	s_addc_u32 s7, s35, 0
.LBB121_833:                            ; =>This Inner Loop Header: Depth=1
	s_load_dwordx2 s[10:11], s[6:7], 0x4
	s_load_dword s9, s[6:7], 0xc
	s_load_dwordx2 s[12:13], s[4:5], 0x0
	v_mov_b32_e32 v2, v1
	s_add_u32 s6, s6, 12
	s_waitcnt lgkmcnt(0)
	v_mul_hi_u32 v1, s11, v4
	v_add_u32_e32 v1, v4, v1
	v_lshrrev_b32_e32 v1, s9, v1
	s_addc_u32 s7, s7, 0
	v_mul_lo_u32 v3, v1, s10
	s_add_u32 s4, s4, 8
	v_sub_u32_e32 v5, v4, v3
	s_addc_u32 s5, s5, 0
	s_add_i32 s8, s8, -1
	v_mov_b32_e32 v4, v1
	v_mad_u64_u32 v[2:3], s[10:11], v5, s13, v[2:3]
	v_mad_u64_u32 v[0:1], s[10:11], v5, s12, v[0:1]
	s_cmp_lg_u32 s8, 0
	v_mov_b32_e32 v1, v2
	s_cbranch_scc1 .LBB121_833
.LBB121_834:
	s_mov_b64 s[4:5], 0
.LBB121_835:
	s_andn2_b64 vcc, exec, s[4:5]
	s_cbranch_vccnz .LBB121_838
; %bb.836:
	s_waitcnt lgkmcnt(0)
	v_mul_hi_u32 v0, s29, v8
	v_add_u32_e32 v0, v8, v0
	s_waitcnt vmcnt(0)
	v_lshrrev_b32_e32 v1, s30, v0
	v_mul_lo_u32 v0, v1, s28
	v_sub_u32_e32 v0, v8, v0
	v_mul_lo_u32 v2, v0, s25
	s_andn2_b64 vcc, exec, s[48:49]
	v_mul_lo_u32 v0, v0, s24
	s_cbranch_vccnz .LBB121_838
; %bb.837:
	v_mul_hi_u32 v3, s46, v1
	v_add_u32_e32 v3, v1, v3
	v_lshrrev_b32_e32 v3, s47, v3
	v_mul_lo_u32 v3, v3, s31
	v_sub_u32_e32 v3, v1, v3
	v_mad_u64_u32 v[0:1], s[4:5], v3, s26, v[0:1]
	v_mad_u64_u32 v[2:3], s[4:5], v3, s27, v[2:3]
.LBB121_838:
	v_mov_b32_e32 v3, 0
	s_and_b32 s14, 0xffff, s74
	s_cmp_lt_i32 s14, 11
	s_waitcnt lgkmcnt(0)
	v_lshl_add_u64 v[2:3], s[22:23], 0, v[2:3]
	s_cbranch_scc1 .LBB121_845
; %bb.839:
	s_cmp_gt_i32 s14, 25
	s_mov_b64 s[6:7], 0
	s_cbranch_scc0 .LBB121_846
; %bb.840:
	s_cmp_gt_i32 s14, 28
	s_cbranch_scc0 .LBB121_847
; %bb.841:
	s_cmp_gt_i32 s14, 43
	;; [unrolled: 3-line block ×3, first 2 shown]
	s_cbranch_scc0 .LBB121_851
; %bb.843:
	s_cmp_eq_u32 s14, 46
	s_mov_b64 s[10:11], 0
	s_cbranch_scc0 .LBB121_854
; %bb.844:
	global_load_dword v1, v[2:3], off
	s_mov_b64 s[4:5], 0
	s_mov_b64 s[8:9], -1
	s_waitcnt vmcnt(0)
	v_lshlrev_b32_e32 v1, 16, v1
	s_branch .LBB121_855
.LBB121_845:
	s_mov_b64 s[10:11], -1
	s_mov_b64 s[8:9], 0
	s_mov_b64 s[6:7], 0
	;; [unrolled: 1-line block ×3, first 2 shown]
                                        ; implicit-def: $vgpr1
	s_branch .LBB121_918
.LBB121_846:
	s_mov_b64 s[10:11], -1
	s_mov_b64 s[8:9], 0
	s_mov_b64 s[4:5], s[2:3]
                                        ; implicit-def: $vgpr1
	s_branch .LBB121_884
.LBB121_847:
	s_mov_b64 s[10:11], -1
	s_mov_b64 s[8:9], 0
	s_mov_b64 s[4:5], s[2:3]
                                        ; implicit-def: $vgpr1
	s_branch .LBB121_865
.LBB121_848:
	s_mov_b64 s[10:11], -1
	s_mov_b64 s[8:9], 0
	s_mov_b64 s[4:5], s[2:3]
                                        ; implicit-def: $vgpr1
	s_branch .LBB121_860
.LBB121_849:
	s_andn2_saveexec_b64 s[10:11], s[10:11]
	s_cbranch_execz .LBB121_728
.LBB121_850:
	s_mov_b32 s14, 0x46000000
	v_add_f32_e64 v3, |v2|, s14
	v_and_b32_e32 v3, 0xff, v3
	v_cmp_ne_u32_e32 vcc, 0, v3
	s_andn2_b64 s[8:9], s[8:9], exec
	s_and_b64 s[14:15], vcc, exec
	s_or_b64 s[8:9], s[8:9], s[14:15]
	s_or_b64 exec, exec, s[10:11]
	v_mov_b32_e32 v4, 0
	s_and_saveexec_b64 s[10:11], s[8:9]
	s_cbranch_execnz .LBB121_729
	s_branch .LBB121_730
.LBB121_851:
	s_mov_b64 s[10:11], -1
	s_mov_b64 s[8:9], 0
	s_mov_b64 s[4:5], s[2:3]
                                        ; implicit-def: $vgpr1
	s_branch .LBB121_855
.LBB121_852:
	s_andn2_saveexec_b64 s[10:11], s[10:11]
	s_cbranch_execz .LBB121_741
.LBB121_853:
	s_mov_b32 s14, 0x42800000
	v_add_f32_e64 v3, |v2|, s14
	v_and_b32_e32 v3, 0xff, v3
	v_cmp_ne_u32_e32 vcc, 0, v3
	s_andn2_b64 s[8:9], s[8:9], exec
	s_and_b64 s[14:15], vcc, exec
	s_or_b64 s[8:9], s[8:9], s[14:15]
	s_or_b64 exec, exec, s[10:11]
	v_mov_b32_e32 v4, 0
	s_and_saveexec_b64 s[10:11], s[8:9]
	s_cbranch_execnz .LBB121_742
	s_branch .LBB121_743
.LBB121_854:
	s_mov_b64 s[4:5], -1
                                        ; implicit-def: $vgpr1
	s_mov_b64 s[8:9], 0
.LBB121_855:
	s_and_b64 vcc, exec, s[10:11]
	s_cbranch_vccz .LBB121_859
; %bb.856:
	s_cmp_eq_u32 s14, 44
	s_cbranch_scc0 .LBB121_858
; %bb.857:
	global_load_ubyte v1, v[2:3], off
	s_movk_i32 s8, 0xff
	v_mov_b32_e32 v4, 0x7f800001
	v_mov_b32_e32 v5, 0x400000
	s_mov_b64 s[4:5], 0
	s_waitcnt vmcnt(0)
	v_lshlrev_b32_e32 v6, 23, v1
	v_cmp_ne_u32_e32 vcc, s8, v1
	s_mov_b64 s[8:9], -1
	s_nop 0
	v_cndmask_b32_e32 v4, v4, v6, vcc
	v_cmp_ne_u32_e32 vcc, 0, v1
	s_nop 1
	v_cndmask_b32_e32 v1, v5, v4, vcc
	s_branch .LBB121_859
.LBB121_858:
	s_mov_b64 s[4:5], -1
                                        ; implicit-def: $vgpr1
.LBB121_859:
	s_mov_b64 s[10:11], 0
.LBB121_860:
	s_and_b64 vcc, exec, s[10:11]
	s_cbranch_vccz .LBB121_864
; %bb.861:
	s_cmp_eq_u32 s14, 29
	s_cbranch_scc0 .LBB121_863
; %bb.862:
	global_load_dwordx2 v[4:5], v[2:3], off
	s_mov_b64 s[4:5], 0
	s_mov_b64 s[8:9], -1
	s_mov_b64 s[10:11], 0
	s_waitcnt vmcnt(0)
	v_ffbh_u32_e32 v1, v5
	v_min_u32_e32 v1, 32, v1
	v_lshlrev_b64 v[4:5], v1, v[4:5]
	v_min_u32_e32 v4, 1, v4
	v_or_b32_e32 v4, v5, v4
	v_cvt_f32_u32_e32 v4, v4
	v_sub_u32_e32 v1, 32, v1
	v_ldexp_f32 v1, v4, v1
	s_branch .LBB121_865
.LBB121_863:
	s_mov_b64 s[4:5], -1
                                        ; implicit-def: $vgpr1
.LBB121_864:
	s_mov_b64 s[10:11], 0
.LBB121_865:
	s_and_b64 vcc, exec, s[10:11]
	s_cbranch_vccz .LBB121_883
; %bb.866:
	s_cmp_lt_i32 s14, 27
	s_cbranch_scc1 .LBB121_869
; %bb.867:
	s_cmp_gt_i32 s14, 27
	s_cbranch_scc0 .LBB121_870
; %bb.868:
	global_load_dword v1, v[2:3], off
	s_mov_b64 s[8:9], 0
	s_waitcnt vmcnt(0)
	v_cvt_f32_u32_e32 v1, v1
	s_branch .LBB121_871
.LBB121_869:
	s_mov_b64 s[8:9], -1
                                        ; implicit-def: $vgpr1
	s_branch .LBB121_874
.LBB121_870:
	s_mov_b64 s[8:9], -1
                                        ; implicit-def: $vgpr1
.LBB121_871:
	s_andn2_b64 vcc, exec, s[8:9]
	s_cbranch_vccnz .LBB121_873
; %bb.872:
	global_load_ushort v1, v[2:3], off
	s_waitcnt vmcnt(0)
	v_cvt_f32_u32_e32 v1, v1
.LBB121_873:
	s_mov_b64 s[8:9], 0
.LBB121_874:
	s_andn2_b64 vcc, exec, s[8:9]
	s_cbranch_vccnz .LBB121_882
; %bb.875:
	global_load_ubyte v4, v[2:3], off
	s_movk_i32 s8, 0x7f
	s_waitcnt vmcnt(0)
	v_cmp_lt_i16_e32 vcc, s8, v4
	s_mov_b64 s[8:9], 0
	s_and_saveexec_b64 s[10:11], vcc
	s_xor_b64 s[10:11], exec, s[10:11]
	s_cbranch_execz .LBB121_896
; %bb.876:
	s_movk_i32 s8, 0x80
	v_cmp_eq_u16_e32 vcc, s8, v4
	s_mov_b64 s[8:9], -1
	s_and_saveexec_b64 s[12:13], vcc
; %bb.877:
	s_xor_b64 s[8:9], exec, -1
; %bb.878:
	s_or_b64 exec, exec, s[12:13]
	s_and_b64 s[8:9], s[8:9], exec
	s_or_saveexec_b64 s[10:11], s[10:11]
	v_mov_b32_e32 v1, 0x7f800001
	s_xor_b64 exec, exec, s[10:11]
	s_cbranch_execnz .LBB121_897
.LBB121_879:
	s_or_b64 exec, exec, s[10:11]
	s_and_saveexec_b64 s[10:11], s[8:9]
	s_cbranch_execz .LBB121_881
.LBB121_880:
	v_lshlrev_b32_e32 v1, 24, v4
	v_and_b32_e32 v4, 0xffff, v4
	v_and_b32_e32 v5, 7, v4
	v_ffbh_u32_e32 v7, v5
	v_min_u32_e32 v7, 32, v7
	v_subrev_u32_e32 v8, 28, v7
	v_bfe_u32 v6, v4, 3, 4
	v_lshlrev_b32_e32 v4, v8, v4
	v_sub_u32_e32 v7, 29, v7
	v_and_b32_e32 v4, 7, v4
	v_cmp_eq_u32_e32 vcc, 0, v6
	v_and_b32_e32 v1, 0x80000000, v1
	s_nop 0
	v_cndmask_b32_e32 v6, v6, v7, vcc
	v_cndmask_b32_e32 v4, v5, v4, vcc
	v_mov_b32_e32 v5, 0x3b800000
	v_lshlrev_b32_e32 v4, 20, v4
	v_lshl_add_u32 v5, v6, 23, v5
	v_or3_b32 v1, v1, v5, v4
.LBB121_881:
	s_or_b64 exec, exec, s[10:11]
.LBB121_882:
	s_mov_b64 s[8:9], -1
.LBB121_883:
	s_mov_b64 s[10:11], 0
.LBB121_884:
	s_and_b64 vcc, exec, s[10:11]
	s_cbranch_vccz .LBB121_917
; %bb.885:
	s_cmp_gt_i32 s14, 22
	s_cbranch_scc0 .LBB121_895
; %bb.886:
	s_cmp_lt_i32 s14, 24
	s_cbranch_scc1 .LBB121_898
; %bb.887:
	s_cmp_gt_i32 s14, 24
	s_cbranch_scc0 .LBB121_899
; %bb.888:
	global_load_ubyte v4, v[2:3], off
	s_movk_i32 s6, 0x7f
	s_waitcnt vmcnt(0)
	v_cmp_lt_i16_e32 vcc, s6, v4
	s_mov_b64 s[6:7], 0
	s_and_saveexec_b64 s[8:9], vcc
	s_xor_b64 s[8:9], exec, s[8:9]
	s_cbranch_execz .LBB121_911
; %bb.889:
	s_movk_i32 s6, 0x80
	v_cmp_eq_u16_e32 vcc, s6, v4
	s_mov_b64 s[6:7], -1
	s_and_saveexec_b64 s[10:11], vcc
; %bb.890:
	s_xor_b64 s[6:7], exec, -1
; %bb.891:
	s_or_b64 exec, exec, s[10:11]
	s_and_b64 s[6:7], s[6:7], exec
	s_or_saveexec_b64 s[8:9], s[8:9]
	v_mov_b32_e32 v1, 0x7f800001
	s_xor_b64 exec, exec, s[8:9]
	s_cbranch_execnz .LBB121_912
.LBB121_892:
	s_or_b64 exec, exec, s[8:9]
	s_and_saveexec_b64 s[8:9], s[6:7]
	s_cbranch_execz .LBB121_894
.LBB121_893:
	v_lshlrev_b32_e32 v1, 24, v4
	v_and_b32_e32 v4, 0xffff, v4
	v_and_b32_e32 v5, 3, v4
	v_ffbh_u32_e32 v7, v5
	v_min_u32_e32 v7, 32, v7
	v_subrev_u32_e32 v8, 29, v7
	v_bfe_u32 v6, v4, 2, 5
	v_lshlrev_b32_e32 v4, v8, v4
	v_sub_u32_e32 v7, 30, v7
	v_and_b32_e32 v4, 3, v4
	v_cmp_eq_u32_e32 vcc, 0, v6
	v_and_b32_e32 v1, 0x80000000, v1
	s_nop 0
	v_cndmask_b32_e32 v6, v6, v7, vcc
	v_cndmask_b32_e32 v4, v5, v4, vcc
	v_mov_b32_e32 v5, 0x37800000
	v_lshlrev_b32_e32 v4, 21, v4
	v_lshl_add_u32 v5, v6, 23, v5
	v_or3_b32 v1, v1, v5, v4
.LBB121_894:
	s_or_b64 exec, exec, s[8:9]
	s_mov_b64 s[6:7], 0
	s_branch .LBB121_900
.LBB121_895:
	s_mov_b64 s[6:7], -1
                                        ; implicit-def: $vgpr1
	s_branch .LBB121_906
.LBB121_896:
	s_or_saveexec_b64 s[10:11], s[10:11]
	v_mov_b32_e32 v1, 0x7f800001
	s_xor_b64 exec, exec, s[10:11]
	s_cbranch_execz .LBB121_879
.LBB121_897:
	v_cmp_ne_u16_e32 vcc, 0, v4
	s_andn2_b64 s[8:9], s[8:9], exec
	s_and_b64 s[12:13], vcc, exec
	v_mov_b32_e32 v1, 0
	s_or_b64 s[8:9], s[8:9], s[12:13]
	s_or_b64 exec, exec, s[10:11]
	s_and_saveexec_b64 s[10:11], s[8:9]
	s_cbranch_execnz .LBB121_880
	s_branch .LBB121_881
.LBB121_898:
	s_mov_b64 s[6:7], -1
                                        ; implicit-def: $vgpr1
	s_branch .LBB121_903
.LBB121_899:
	s_mov_b64 s[6:7], -1
                                        ; implicit-def: $vgpr1
.LBB121_900:
	s_and_b64 vcc, exec, s[6:7]
	s_cbranch_vccz .LBB121_902
; %bb.901:
	global_load_ubyte v1, v[2:3], off
	s_mov_b32 s6, 0x7f800000
	s_waitcnt vmcnt(0)
	v_lshlrev_b32_e32 v1, 24, v1
	v_and_b32_e32 v4, 0x7f000000, v1
	v_ffbh_u32_e32 v5, v4
	v_min_u32_e32 v5, 32, v5
	v_sub_u32_e64 v5, v5, 4 clamp
	v_lshlrev_b32_e32 v7, v5, v4
	v_lshlrev_b32_e32 v5, 23, v5
	v_lshrrev_b32_e32 v7, 4, v7
	v_add_u32_e32 v6, 0x1000000, v4
	v_sub_u32_e32 v5, v7, v5
	v_ashrrev_i32_e32 v6, 8, v6
	v_add_u32_e32 v5, 0x3c000000, v5
	v_and_or_b32 v5, v6, s6, v5
	v_cmp_ne_u32_e32 vcc, 0, v4
	s_brev_b32 s6, 1
	s_nop 0
	v_cndmask_b32_e32 v4, 0, v5, vcc
	v_and_or_b32 v1, v1, s6, v4
.LBB121_902:
	s_mov_b64 s[6:7], 0
.LBB121_903:
	s_andn2_b64 vcc, exec, s[6:7]
	s_cbranch_vccnz .LBB121_905
; %bb.904:
	global_load_ubyte v1, v[2:3], off
	s_movk_i32 s6, 0x7f00
	s_brev_b32 s7, 16
	s_waitcnt vmcnt(0)
	v_lshlrev_b16_e32 v4, 8, v1
	v_lshlrev_b32_e32 v1, 25, v1
	v_lshrrev_b32_e32 v5, 4, v1
	v_and_or_b32 v6, v4, s6, 0.5
	v_or_b32_e32 v5, 0x70000000, v5
	v_add_f32_e32 v6, -0.5, v6
	v_mul_f32_e32 v5, 0x7800000, v5
	v_cmp_gt_u32_e32 vcc, s7, v1
	v_bfe_i32 v4, v4, 0, 16
	s_brev_b32 s6, 1
	v_cndmask_b32_e32 v1, v5, v6, vcc
	v_and_or_b32 v1, v4, s6, v1
.LBB121_905:
	s_mov_b64 s[6:7], 0
	s_mov_b64 s[8:9], -1
.LBB121_906:
	s_andn2_b64 vcc, exec, s[6:7]
	s_mov_b64 s[6:7], 0
	s_cbranch_vccnz .LBB121_917
; %bb.907:
	s_cmp_gt_i32 s14, 14
	s_cbranch_scc0 .LBB121_910
; %bb.908:
	s_cmp_eq_u32 s14, 15
	s_cbranch_scc0 .LBB121_913
; %bb.909:
	global_load_ushort v1, v[2:3], off
	s_mov_b64 s[4:5], 0
	s_mov_b64 s[8:9], -1
	s_waitcnt vmcnt(0)
	v_lshlrev_b32_e32 v1, 16, v1
	s_branch .LBB121_914
.LBB121_910:
	s_mov_b64 s[10:11], -1
                                        ; implicit-def: $vgpr1
	s_branch .LBB121_915
.LBB121_911:
	s_or_saveexec_b64 s[8:9], s[8:9]
	v_mov_b32_e32 v1, 0x7f800001
	s_xor_b64 exec, exec, s[8:9]
	s_cbranch_execz .LBB121_892
.LBB121_912:
	v_cmp_ne_u16_e32 vcc, 0, v4
	s_andn2_b64 s[6:7], s[6:7], exec
	s_and_b64 s[10:11], vcc, exec
	v_mov_b32_e32 v1, 0
	s_or_b64 s[6:7], s[6:7], s[10:11]
	s_or_b64 exec, exec, s[8:9]
	s_and_saveexec_b64 s[8:9], s[6:7]
	s_cbranch_execnz .LBB121_893
	s_branch .LBB121_894
.LBB121_913:
	s_mov_b64 s[4:5], -1
                                        ; implicit-def: $vgpr1
.LBB121_914:
	s_mov_b64 s[10:11], 0
.LBB121_915:
	s_and_b64 vcc, exec, s[10:11]
	s_cbranch_vccz .LBB121_917
; %bb.916:
	s_cmp_lg_u32 s14, 11
	s_cselect_b64 s[10:11], -1, 0
	s_andn2_b64 s[4:5], s[4:5], exec
	s_and_b64 s[10:11], s[10:11], exec
	s_mov_b64 s[6:7], -1
	s_or_b64 s[4:5], s[4:5], s[10:11]
.LBB121_917:
	s_mov_b64 s[10:11], 0
.LBB121_918:
	s_andn2_b64 s[12:13], s[2:3], exec
	s_and_b64 s[4:5], s[4:5], exec
	s_and_b64 s[8:9], s[8:9], exec
	;; [unrolled: 1-line block ×4, first 2 shown]
	s_or_b64 s[12:13], s[12:13], s[4:5]
.LBB121_919:
	s_or_b64 exec, exec, s[70:71]
	s_and_b64 s[4:5], s[6:7], exec
	s_andn2_b64 s[2:3], s[2:3], exec
	s_and_b64 s[6:7], s[12:13], exec
	s_and_b64 s[8:9], s[8:9], exec
	s_and_b64 s[10:11], s[10:11], exec
	s_or_b64 s[2:3], s[2:3], s[6:7]
.LBB121_920:
	s_or_b64 exec, exec, s[66:67]
	s_andn2_b64 s[6:7], s[62:63], exec
	s_and_b64 s[12:13], s[68:69], exec
	s_or_b64 s[62:63], s[6:7], s[12:13]
	s_and_b64 s[6:7], s[10:11], exec
	s_andn2_b64 s[10:11], s[60:61], exec
	s_and_b64 s[2:3], s[2:3], exec
	s_and_b64 s[8:9], s[8:9], exec
	;; [unrolled: 1-line block ×3, first 2 shown]
	s_or_b64 s[60:61], s[10:11], s[2:3]
.LBB121_921:
	s_or_b64 exec, exec, s[64:65]
	s_andn2_b64 s[2:3], s[54:55], exec
	s_and_b64 s[10:11], s[62:63], exec
	s_or_b64 s[54:55], s[2:3], s[10:11]
	s_and_b64 s[2:3], s[8:9], exec
	s_and_b64 s[8:9], s[6:7], exec
	;; [unrolled: 1-line block ×3, first 2 shown]
	s_andn2_b64 s[4:5], s[56:57], exec
	s_and_b64 s[6:7], s[60:61], exec
	s_or_b64 s[56:57], s[4:5], s[6:7]
	s_or_b64 exec, exec, s[58:59]
	s_mov_b64 s[4:5], 0
	s_and_saveexec_b64 s[6:7], s[56:57]
	s_cbranch_execz .LBB121_276
.LBB121_922:
	s_mov_b64 s[4:5], exec
	s_andn2_b64 s[62:63], s[62:63], exec
	s_trap 2
	s_or_b64 exec, exec, s[6:7]
	s_and_saveexec_b64 s[6:7], s[62:63]
	s_xor_b64 s[6:7], exec, s[6:7]
	s_cbranch_execnz .LBB121_277
.LBB121_923:
	s_or_b64 exec, exec, s[6:7]
	s_and_saveexec_b64 s[6:7], s[8:9]
	s_cbranch_execz .LBB121_969
.LBB121_924:
	s_sext_i32_i16 s8, s74
	s_cmp_lt_i32 s8, 5
	s_cbranch_scc1 .LBB121_929
; %bb.925:
	s_cmp_lt_i32 s8, 8
	s_cbranch_scc1 .LBB121_930
; %bb.926:
	;; [unrolled: 3-line block ×3, first 2 shown]
	s_cmp_gt_i32 s8, 9
	s_cbranch_scc0 .LBB121_932
; %bb.928:
	global_load_dwordx2 v[4:5], v[2:3], off
	s_mov_b64 s[8:9], 0
	s_waitcnt vmcnt(0)
	v_cvt_f32_f64_e32 v1, v[4:5]
	s_branch .LBB121_933
.LBB121_929:
                                        ; implicit-def: $vgpr1
	s_branch .LBB121_950
.LBB121_930:
                                        ; implicit-def: $vgpr1
	s_branch .LBB121_939
.LBB121_931:
	s_mov_b64 s[8:9], -1
                                        ; implicit-def: $vgpr1
	s_branch .LBB121_936
.LBB121_932:
	s_mov_b64 s[8:9], -1
                                        ; implicit-def: $vgpr1
.LBB121_933:
	s_andn2_b64 vcc, exec, s[8:9]
	s_cbranch_vccnz .LBB121_935
; %bb.934:
	global_load_dword v1, v[2:3], off
.LBB121_935:
	s_mov_b64 s[8:9], 0
.LBB121_936:
	s_andn2_b64 vcc, exec, s[8:9]
	s_cbranch_vccnz .LBB121_938
; %bb.937:
	global_load_dword v1, v[2:3], off
	s_waitcnt vmcnt(0)
	v_cvt_f32_f16_e32 v1, v1
.LBB121_938:
	s_cbranch_execnz .LBB121_949
.LBB121_939:
	s_sext_i32_i16 s8, s74
	s_cmp_lt_i32 s8, 6
	s_cbranch_scc1 .LBB121_942
; %bb.940:
	s_cmp_gt_i32 s8, 6
	s_cbranch_scc0 .LBB121_943
; %bb.941:
	global_load_dwordx2 v[4:5], v[2:3], off
	s_mov_b64 s[8:9], 0
	s_waitcnt vmcnt(0)
	v_cvt_f32_f64_e32 v1, v[4:5]
	s_branch .LBB121_944
.LBB121_942:
	s_mov_b64 s[8:9], -1
                                        ; implicit-def: $vgpr1
	s_branch .LBB121_947
.LBB121_943:
	s_mov_b64 s[8:9], -1
                                        ; implicit-def: $vgpr1
.LBB121_944:
	s_andn2_b64 vcc, exec, s[8:9]
	s_cbranch_vccnz .LBB121_946
; %bb.945:
	global_load_dword v1, v[2:3], off
.LBB121_946:
	s_mov_b64 s[8:9], 0
.LBB121_947:
	s_andn2_b64 vcc, exec, s[8:9]
	s_cbranch_vccnz .LBB121_949
; %bb.948:
	global_load_ushort v1, v[2:3], off
	s_waitcnt vmcnt(0)
	v_cvt_f32_f16_e32 v1, v1
.LBB121_949:
	s_cbranch_execnz .LBB121_968
.LBB121_950:
	s_sext_i32_i16 s8, s74
	s_cmp_lt_i32 s8, 2
	s_cbranch_scc1 .LBB121_954
; %bb.951:
	s_cmp_lt_i32 s8, 3
	s_cbranch_scc1 .LBB121_955
; %bb.952:
	s_cmp_gt_i32 s8, 3
	s_cbranch_scc0 .LBB121_956
; %bb.953:
	global_load_dwordx2 v[4:5], v[2:3], off
	s_mov_b64 s[8:9], 0
	s_waitcnt vmcnt(0)
	v_xor_b32_e32 v6, v4, v5
	v_ffbh_i32_e32 v1, v5
	v_ashrrev_i32_e32 v6, 31, v6
	v_add_u32_e32 v1, -1, v1
	v_add_u32_e32 v6, 32, v6
	v_min_u32_e32 v1, v1, v6
	v_lshlrev_b64 v[4:5], v1, v[4:5]
	v_min_u32_e32 v4, 1, v4
	v_or_b32_e32 v4, v5, v4
	v_cvt_f32_i32_e32 v4, v4
	v_sub_u32_e32 v1, 32, v1
	v_ldexp_f32 v1, v4, v1
	s_branch .LBB121_957
.LBB121_954:
                                        ; implicit-def: $vgpr1
	s_branch .LBB121_963
.LBB121_955:
	s_mov_b64 s[8:9], -1
                                        ; implicit-def: $vgpr1
	s_branch .LBB121_960
.LBB121_956:
	s_mov_b64 s[8:9], -1
                                        ; implicit-def: $vgpr1
.LBB121_957:
	s_andn2_b64 vcc, exec, s[8:9]
	s_cbranch_vccnz .LBB121_959
; %bb.958:
	global_load_dword v1, v[2:3], off
	s_waitcnt vmcnt(0)
	v_cvt_f32_i32_e32 v1, v1
.LBB121_959:
	s_mov_b64 s[8:9], 0
.LBB121_960:
	s_andn2_b64 vcc, exec, s[8:9]
	s_cbranch_vccnz .LBB121_962
; %bb.961:
	global_load_sshort v1, v[2:3], off
	s_waitcnt vmcnt(0)
	v_cvt_f32_i32_e32 v1, v1
.LBB121_962:
	s_cbranch_execnz .LBB121_968
.LBB121_963:
	s_sext_i32_i16 s8, s74
	s_cmp_gt_i32 s8, 0
	s_cbranch_scc0 .LBB121_965
; %bb.964:
	global_load_sbyte v1, v[2:3], off
	s_mov_b64 s[8:9], 0
	s_waitcnt vmcnt(0)
	v_cvt_f32_i32_e32 v1, v1
	s_branch .LBB121_966
.LBB121_965:
	s_mov_b64 s[8:9], -1
                                        ; implicit-def: $vgpr1
.LBB121_966:
	s_andn2_b64 vcc, exec, s[8:9]
	s_cbranch_vccnz .LBB121_968
; %bb.967:
	global_load_ubyte v1, v[2:3], off
	s_waitcnt vmcnt(0)
	v_cvt_f32_ubyte0_e32 v1, v1
.LBB121_968:
	s_or_b64 s[2:3], s[2:3], exec
.LBB121_969:
	s_or_b64 exec, exec, s[6:7]
	s_mov_b64 s[10:11], 0
	s_mov_b64 s[8:9], 0
                                        ; implicit-def: $sgpr16
                                        ; implicit-def: $vgpr2_vgpr3
                                        ; implicit-def: $vgpr4
	s_and_saveexec_b64 s[6:7], s[2:3]
	s_cbranch_execz .LBB121_987
; %bb.970:
	s_waitcnt vmcnt(0)
	v_mul_f32_e32 v2, 0x3fb8aa3b, v1
	v_rndne_f32_e32 v2, v2
	v_fmamk_f32 v3, v2, 0xbf317218, v1
	v_fmamk_f32 v3, v2, 0x3102e308, v3
	v_mov_b32_e32 v4, 0x3ab69700
	v_fmac_f32_e32 v4, 0x395133b1, v3
	v_fmaak_f32 v4, v3, v4, 0x3c0887f9
	v_fmaak_f32 v4, v3, v4, 0x3d2aaa81
	v_cvt_i32_f32_e32 v5, v2
	v_fmaak_f32 v4, v3, v4, 0x3e2aaaab
	v_fma_f32 v4, v3, v4, 0.5
	v_mul_f32_e32 v4, v3, v4
	s_mov_b32 s2, 0x43000000
	v_fmac_f32_e32 v3, v3, v4
	v_ldexp_f32 v4, 1.0, v5
	v_mov_b32_e32 v5, 0x7f000000
	v_cmp_eq_f32_e32 vcc, s2, v2
	s_mov_b32 s2, 0x42b17217
	s_and_b32 s16, s73, 0xff
	v_cndmask_b32_e32 v2, v4, v5, vcc
	v_add_f32_e32 v4, -1.0, v2
	v_fmac_f32_e32 v4, v2, v3
	v_add_f32_e32 v2, v4, v4
	v_cndmask_b32_e32 v2, v4, v2, vcc
	v_mov_b32_e32 v3, 0x7f800000
	v_cmp_nlt_f32_e32 vcc, s2, v1
	s_mov_b32 s2, 0xc1880000
	s_cmp_lt_i32 s16, 11
	v_cndmask_b32_e32 v2, v3, v2, vcc
	v_cmp_ngt_f32_e32 vcc, s2, v1
	v_mov_b32_e32 v1, 0
	s_nop 0
	v_cndmask_b32_e32 v4, -1.0, v2, vcc
	s_waitcnt lgkmcnt(0)
	v_lshl_add_u64 v[2:3], s[20:21], 0, v[0:1]
	s_cbranch_scc1 .LBB121_990
; %bb.971:
	s_and_b32 s17, 0xffff, s16
	s_mov_b64 s[10:11], -1
	s_cmp_gt_i32 s17, 25
	s_mov_b64 s[2:3], s[54:55]
	s_cbranch_scc0 .LBB121_1008
; %bb.972:
	s_mov_b64 s[8:9], -1
	s_cmp_gt_i32 s17, 28
	s_mov_b64 s[2:3], s[54:55]
	s_cbranch_scc0 .LBB121_992
; %bb.973:
	s_cmp_gt_i32 s17, 43
	s_mov_b64 s[2:3], s[54:55]
	s_cbranch_scc0 .LBB121_984
; %bb.974:
	;; [unrolled: 4-line block ×3, first 2 shown]
	s_cmp_eq_u32 s17, 46
	s_mov_b64 s[2:3], -1
	s_cbranch_scc0 .LBB121_977
; %bb.976:
	v_bfe_u32 v0, v4, 16, 1
	s_movk_i32 s2, 0x7fff
	v_add3_u32 v0, v4, v0, s2
	v_cmp_o_f32_e32 vcc, v4, v4
	v_mov_b32_e32 v1, 0x7fc0
	s_mov_b64 s[2:3], 0
	v_cndmask_b32_sdwa v0, v1, v0, vcc dst_sel:DWORD dst_unused:UNUSED_PAD src0_sel:DWORD src1_sel:WORD_1
	global_store_dword v[2:3], v0, off
.LBB121_977:
	s_mov_b64 s[8:9], 0
.LBB121_978:
	s_and_b64 vcc, exec, s[8:9]
	s_cbranch_vccz .LBB121_983
; %bb.979:
	s_cmp_eq_u32 s17, 44
	s_mov_b64 s[2:3], -1
	s_cbranch_scc0 .LBB121_983
; %bb.980:
	v_bfe_u32 v0, v4, 23, 8
	s_movk_i32 s2, 0xff
	v_cmp_ne_u32_e32 vcc, s2, v0
	v_mov_b32_e32 v1, 0xff
	s_and_saveexec_b64 s[8:9], vcc
; %bb.981:
	s_mov_b32 s2, 0x3fffff
	v_and_b32_e32 v5, 0x400000, v4
	v_and_or_b32 v0, v4, s2, v0
	v_cmp_ne_u32_e32 vcc, 0, v5
	v_cmp_ne_u32_e64 s[2:3], 0, v0
	s_and_b64 s[2:3], vcc, s[2:3]
	v_lshrrev_b32_e32 v1, 23, v4
	v_cndmask_b32_e64 v0, 0, 1, s[2:3]
	v_add_u32_e32 v1, v1, v0
; %bb.982:
	s_or_b64 exec, exec, s[8:9]
	s_mov_b64 s[2:3], 0
	global_store_byte v[2:3], v1, off
.LBB121_983:
	s_mov_b64 s[8:9], 0
.LBB121_984:
	s_and_b64 vcc, exec, s[8:9]
	s_cbranch_vccz .LBB121_991
; %bb.985:
	s_cmp_eq_u32 s17, 29
	s_mov_b64 s[2:3], -1
	s_cbranch_scc0 .LBB121_991
; %bb.986:
	v_trunc_f32_e32 v0, v4
	v_mul_f32_e32 v1, 0x2f800000, v0
	v_floor_f32_e32 v5, v1
	v_fmamk_f32 v0, v5, 0xcf800000, v0
	v_cvt_u32_f32_e32 v1, v5
	v_cvt_u32_f32_e32 v0, v0
	s_mov_b64 s[2:3], 0
	s_mov_b64 s[8:9], 0
	global_store_dwordx2 v[2:3], v[0:1], off
	s_branch .LBB121_992
.LBB121_987:
	s_or_b64 exec, exec, s[6:7]
	s_and_saveexec_b64 s[2:3], s[54:55]
	s_cbranch_execnz .LBB121_1050
.LBB121_988:
	s_or_b64 exec, exec, s[2:3]
	s_and_saveexec_b64 s[2:3], s[10:11]
	s_xor_b64 s[2:3], exec, s[2:3]
	s_cbranch_execz .LBB121_1051
.LBB121_989:
	v_cmp_neq_f32_e32 vcc, 0, v4
	s_nop 1
	v_cndmask_b32_e64 v0, 0, 1, vcc
	global_store_byte v[2:3], v0, off
	s_or_b64 exec, exec, s[2:3]
	s_and_saveexec_b64 s[2:3], s[8:9]
	s_xor_b64 s[2:3], exec, s[2:3]
	s_cbranch_execz .LBB121_1089
	s_branch .LBB121_1052
.LBB121_990:
	s_mov_b64 s[8:9], -1
	s_mov_b64 s[2:3], s[54:55]
	s_branch .LBB121_1049
.LBB121_991:
	s_mov_b64 s[8:9], 0
.LBB121_992:
	s_and_b64 vcc, exec, s[8:9]
	s_cbranch_vccz .LBB121_1007
; %bb.993:
	s_cmp_lt_i32 s17, 27
	s_mov_b64 s[8:9], -1
	s_cbranch_scc1 .LBB121_999
; %bb.994:
	s_cmp_gt_i32 s17, 27
	s_cbranch_scc0 .LBB121_996
; %bb.995:
	v_cvt_u32_f32_e32 v0, v4
	s_mov_b64 s[8:9], 0
	global_store_dword v[2:3], v0, off
.LBB121_996:
	s_andn2_b64 vcc, exec, s[8:9]
	s_cbranch_vccnz .LBB121_998
; %bb.997:
	v_cvt_u32_f32_e32 v0, v4
	global_store_short v[2:3], v0, off
.LBB121_998:
	s_mov_b64 s[8:9], 0
.LBB121_999:
	s_andn2_b64 vcc, exec, s[8:9]
	s_cbranch_vccnz .LBB121_1007
; %bb.1000:
	v_and_b32_e32 v0, 0x7fffffff, v4
	s_mov_b32 s8, 0x43800000
	v_cmp_gt_u32_e32 vcc, s8, v0
	v_mov_b32_e32 v1, 0x80
	s_and_saveexec_b64 s[8:9], vcc
	s_cbranch_execz .LBB121_1006
; %bb.1001:
	s_mov_b32 s10, 0x3bffffff
	v_cmp_lt_u32_e32 vcc, s10, v0
	s_mov_b64 s[10:11], 0
                                        ; implicit-def: $vgpr0
	s_and_saveexec_b64 s[12:13], vcc
	s_xor_b64 s[12:13], exec, s[12:13]
	s_cbranch_execz .LBB121_1160
; %bb.1002:
	v_bfe_u32 v0, v4, 20, 1
	s_mov_b32 s14, 0x487ffff
	v_add3_u32 v0, v4, v0, s14
	s_mov_b64 s[10:11], exec
	v_lshrrev_b32_e32 v0, 20, v0
	s_andn2_saveexec_b64 s[12:13], s[12:13]
	s_cbranch_execnz .LBB121_1161
.LBB121_1003:
	s_or_b64 exec, exec, s[12:13]
	v_mov_b32_e32 v1, 0
	s_and_saveexec_b64 s[12:13], s[10:11]
.LBB121_1004:
	v_lshrrev_b32_e32 v1, 24, v4
	s_movk_i32 s10, 0x80
	v_and_or_b32 v1, v1, s10, v0
.LBB121_1005:
	s_or_b64 exec, exec, s[12:13]
.LBB121_1006:
	s_or_b64 exec, exec, s[8:9]
	global_store_byte v[2:3], v1, off
.LBB121_1007:
	s_mov_b64 s[10:11], 0
.LBB121_1008:
	s_mov_b64 s[8:9], 0
	s_and_b64 vcc, exec, s[10:11]
	s_cbranch_vccz .LBB121_1048
; %bb.1009:
	s_cmp_gt_i32 s17, 22
	s_mov_b64 s[10:11], -1
	s_cbranch_scc0 .LBB121_1041
; %bb.1010:
	s_cmp_lt_i32 s17, 24
	s_cbranch_scc1 .LBB121_1030
; %bb.1011:
	s_cmp_gt_i32 s17, 24
	s_cbranch_scc0 .LBB121_1019
; %bb.1012:
	v_and_b32_e32 v0, 0x7fffffff, v4
	s_mov_b32 s10, 0x47800000
	v_cmp_gt_u32_e32 vcc, s10, v0
	v_mov_b32_e32 v1, 0x80
	s_and_saveexec_b64 s[10:11], vcc
	s_cbranch_execz .LBB121_1018
; %bb.1013:
	s_mov_b32 s12, 0x37ffffff
	v_cmp_lt_u32_e32 vcc, s12, v0
	s_mov_b64 s[12:13], 0
                                        ; implicit-def: $vgpr0
	s_and_saveexec_b64 s[14:15], vcc
	s_xor_b64 s[14:15], exec, s[14:15]
	s_cbranch_execz .LBB121_1285
; %bb.1014:
	v_bfe_u32 v0, v4, 21, 1
	s_mov_b32 s18, 0x88fffff
	v_add3_u32 v0, v4, v0, s18
	s_mov_b64 s[12:13], exec
	v_lshrrev_b32_e32 v0, 21, v0
	s_andn2_saveexec_b64 s[14:15], s[14:15]
	s_cbranch_execnz .LBB121_1286
.LBB121_1015:
	s_or_b64 exec, exec, s[14:15]
	v_mov_b32_e32 v1, 0
	s_and_saveexec_b64 s[14:15], s[12:13]
.LBB121_1016:
	v_lshrrev_b32_e32 v1, 24, v4
	s_movk_i32 s12, 0x80
	v_and_or_b32 v1, v1, s12, v0
.LBB121_1017:
	s_or_b64 exec, exec, s[14:15]
.LBB121_1018:
	s_or_b64 exec, exec, s[10:11]
	s_mov_b64 s[10:11], 0
	global_store_byte v[2:3], v1, off
.LBB121_1019:
	s_and_b64 vcc, exec, s[10:11]
	s_cbranch_vccz .LBB121_1029
; %bb.1020:
	v_and_b32_e32 v1, 0x7fffffff, v4
	s_mov_b32 s10, 0x43f00000
	v_cmp_gt_u32_e32 vcc, s10, v1
                                        ; implicit-def: $vgpr0
	s_and_saveexec_b64 s[10:11], vcc
	s_xor_b64 s[10:11], exec, s[10:11]
	s_cbranch_execz .LBB121_1026
; %bb.1021:
	s_mov_b32 s12, 0x3c7fffff
	v_cmp_lt_u32_e32 vcc, s12, v1
                                        ; implicit-def: $vgpr0
	s_and_saveexec_b64 s[12:13], vcc
	s_xor_b64 s[12:13], exec, s[12:13]
; %bb.1022:
	v_bfe_u32 v0, v4, 20, 1
	s_mov_b32 s14, 0x407ffff
	v_add3_u32 v0, v4, v0, s14
	v_lshrrev_b32_e32 v1, 20, v0
	v_and_b32_e32 v0, 0xff00000, v0
	s_mov_b32 s14, 0x7f00000
	v_mov_b32_e32 v5, 0x7e
	v_cmp_ne_u32_e32 vcc, s14, v0
	s_nop 1
	v_cndmask_b32_e32 v0, v5, v1, vcc
; %bb.1023:
	s_andn2_saveexec_b64 s[12:13], s[12:13]
; %bb.1024:
	s_mov_b32 s14, 0x46800000
	v_add_f32_e64 v0, |v4|, s14
; %bb.1025:
	s_or_b64 exec, exec, s[12:13]
                                        ; implicit-def: $vgpr1
.LBB121_1026:
	s_andn2_saveexec_b64 s[10:11], s[10:11]
; %bb.1027:
	s_mov_b32 s12, 0x7f800000
	v_mov_b32_e32 v0, 0x7e
	v_mov_b32_e32 v5, 0x7f
	v_cmp_lt_u32_e32 vcc, s12, v1
	s_nop 1
	v_cndmask_b32_e32 v0, v0, v5, vcc
; %bb.1028:
	s_or_b64 exec, exec, s[10:11]
	v_lshrrev_b32_e32 v1, 24, v4
	s_movk_i32 s10, 0x80
	v_and_or_b32 v0, v1, s10, v0
	global_store_byte v[2:3], v0, off
.LBB121_1029:
	s_mov_b64 s[10:11], 0
.LBB121_1030:
	s_andn2_b64 vcc, exec, s[10:11]
	s_cbranch_vccnz .LBB121_1040
; %bb.1031:
	v_and_b32_e32 v1, 0x7fffffff, v4
	s_mov_b32 s10, 0x47800000
	v_cmp_gt_u32_e32 vcc, s10, v1
                                        ; implicit-def: $vgpr0
	s_and_saveexec_b64 s[10:11], vcc
	s_xor_b64 s[10:11], exec, s[10:11]
	s_cbranch_execz .LBB121_1037
; %bb.1032:
	s_mov_b32 s12, 0x387fffff
	v_cmp_lt_u32_e32 vcc, s12, v1
                                        ; implicit-def: $vgpr0
	s_and_saveexec_b64 s[12:13], vcc
	s_xor_b64 s[12:13], exec, s[12:13]
; %bb.1033:
	v_bfe_u32 v0, v4, 21, 1
	s_mov_b32 s14, 0x80fffff
	v_add3_u32 v0, v4, v0, s14
	v_lshrrev_b32_e32 v0, 21, v0
; %bb.1034:
	s_andn2_saveexec_b64 s[12:13], s[12:13]
; %bb.1035:
	s_mov_b32 s14, 0x43000000
	v_add_f32_e64 v0, |v4|, s14
; %bb.1036:
	s_or_b64 exec, exec, s[12:13]
                                        ; implicit-def: $vgpr1
.LBB121_1037:
	s_andn2_saveexec_b64 s[10:11], s[10:11]
; %bb.1038:
	s_mov_b32 s12, 0x7f800000
	v_mov_b32_e32 v0, 0x7c
	v_mov_b32_e32 v5, 0x7f
	v_cmp_lt_u32_e32 vcc, s12, v1
	s_nop 1
	v_cndmask_b32_e32 v0, v0, v5, vcc
; %bb.1039:
	s_or_b64 exec, exec, s[10:11]
	v_lshrrev_b32_e32 v1, 24, v4
	s_movk_i32 s10, 0x80
	v_and_or_b32 v0, v1, s10, v0
	global_store_byte v[2:3], v0, off
.LBB121_1040:
	s_mov_b64 s[10:11], 0
.LBB121_1041:
	s_andn2_b64 vcc, exec, s[10:11]
	s_mov_b64 s[10:11], 0
	s_cbranch_vccnz .LBB121_1049
; %bb.1042:
	s_cmp_gt_i32 s17, 14
	s_mov_b64 s[12:13], -1
	s_cbranch_scc0 .LBB121_1046
; %bb.1043:
	s_cmp_eq_u32 s17, 15
	s_mov_b64 s[2:3], -1
	s_cbranch_scc0 .LBB121_1045
; %bb.1044:
	v_bfe_u32 v0, v4, 16, 1
	s_movk_i32 s2, 0x7fff
	v_add3_u32 v0, v4, v0, s2
	v_cmp_o_f32_e32 vcc, v4, v4
	v_mov_b32_e32 v1, 0x7fc0
	s_mov_b64 s[2:3], 0
	v_cndmask_b32_sdwa v0, v1, v0, vcc dst_sel:DWORD dst_unused:UNUSED_PAD src0_sel:DWORD src1_sel:WORD_1
	global_store_short v[2:3], v0, off
.LBB121_1045:
	s_mov_b64 s[12:13], 0
.LBB121_1046:
	s_and_b64 vcc, exec, s[12:13]
	s_cbranch_vccz .LBB121_1049
; %bb.1047:
	s_cmp_lg_u32 s17, 11
	s_cselect_b64 s[12:13], -1, 0
	s_andn2_b64 s[2:3], s[2:3], exec
	s_and_b64 s[12:13], s[12:13], exec
	s_mov_b64 s[10:11], -1
	s_or_b64 s[2:3], s[2:3], s[12:13]
	s_branch .LBB121_1049
.LBB121_1048:
	s_mov_b64 s[10:11], 0
.LBB121_1049:
	s_andn2_b64 s[12:13], s[54:55], exec
	s_and_b64 s[2:3], s[2:3], exec
	s_and_b64 s[8:9], s[8:9], exec
	;; [unrolled: 1-line block ×3, first 2 shown]
	s_or_b64 s[54:55], s[12:13], s[2:3]
	s_or_b64 exec, exec, s[6:7]
	s_and_saveexec_b64 s[2:3], s[54:55]
	s_cbranch_execz .LBB121_988
.LBB121_1050:
	s_or_b64 s[4:5], s[4:5], exec
	s_andn2_b64 s[10:11], s[10:11], exec
	s_trap 2
	s_or_b64 exec, exec, s[2:3]
	s_and_saveexec_b64 s[2:3], s[10:11]
	s_xor_b64 s[2:3], exec, s[2:3]
	s_cbranch_execnz .LBB121_989
.LBB121_1051:
	s_or_b64 exec, exec, s[2:3]
	s_and_saveexec_b64 s[2:3], s[8:9]
	s_xor_b64 s[2:3], exec, s[2:3]
	s_cbranch_execz .LBB121_1089
.LBB121_1052:
	s_sext_i32_i16 s8, s16
	s_cmp_lt_i32 s8, 5
	s_mov_b64 s[6:7], -1
	s_cbranch_scc1 .LBB121_1073
; %bb.1053:
	s_cmp_lt_i32 s8, 8
	s_cbranch_scc1 .LBB121_1063
; %bb.1054:
	s_cmp_lt_i32 s8, 9
	s_cbranch_scc1 .LBB121_1060
; %bb.1055:
	s_cmp_gt_i32 s8, 9
	s_cbranch_scc0 .LBB121_1057
; %bb.1056:
	v_mov_b32_e32 v8, 0
	v_cvt_f64_f32_e32 v[6:7], v4
	v_mov_b32_e32 v9, v8
	s_mov_b64 s[6:7], 0
	global_store_dwordx4 v[2:3], v[6:9], off
.LBB121_1057:
	s_andn2_b64 vcc, exec, s[6:7]
	s_cbranch_vccnz .LBB121_1059
; %bb.1058:
	v_mov_b32_e32 v5, 0
	global_store_dwordx2 v[2:3], v[4:5], off
.LBB121_1059:
	s_mov_b64 s[6:7], 0
.LBB121_1060:
	s_andn2_b64 vcc, exec, s[6:7]
	s_cbranch_vccnz .LBB121_1062
; %bb.1061:
	v_cvt_f16_f32_e32 v0, v4
	global_store_dword v[2:3], v0, off
.LBB121_1062:
	s_mov_b64 s[6:7], 0
.LBB121_1063:
	s_andn2_b64 vcc, exec, s[6:7]
	s_cbranch_vccnz .LBB121_1072
; %bb.1064:
	s_sext_i32_i16 s8, s16
	s_cmp_lt_i32 s8, 6
	s_mov_b64 s[6:7], -1
	s_cbranch_scc1 .LBB121_1070
; %bb.1065:
	s_cmp_gt_i32 s8, 6
	s_cbranch_scc0 .LBB121_1067
; %bb.1066:
	s_waitcnt vmcnt(0)
	v_cvt_f64_f32_e32 v[0:1], v4
	s_mov_b64 s[6:7], 0
	global_store_dwordx2 v[2:3], v[0:1], off
.LBB121_1067:
	s_andn2_b64 vcc, exec, s[6:7]
	s_cbranch_vccnz .LBB121_1069
; %bb.1068:
	global_store_dword v[2:3], v4, off
.LBB121_1069:
	s_mov_b64 s[6:7], 0
.LBB121_1070:
	s_andn2_b64 vcc, exec, s[6:7]
	s_cbranch_vccnz .LBB121_1072
; %bb.1071:
	v_cvt_f16_f32_e32 v0, v4
	global_store_short v[2:3], v0, off
.LBB121_1072:
	s_mov_b64 s[6:7], 0
.LBB121_1073:
	s_andn2_b64 vcc, exec, s[6:7]
	s_cbranch_vccnz .LBB121_1089
; %bb.1074:
	s_sext_i32_i16 s8, s16
	s_cmp_lt_i32 s8, 2
	s_mov_b64 s[6:7], -1
	s_cbranch_scc1 .LBB121_1084
; %bb.1075:
	s_cmp_lt_i32 s8, 3
	s_cbranch_scc1 .LBB121_1081
; %bb.1076:
	s_cmp_gt_i32 s8, 3
	s_cbranch_scc0 .LBB121_1078
; %bb.1077:
	v_trunc_f32_e32 v0, v4
	s_mov_b32 s6, 0x2f800000
	s_waitcnt vmcnt(0)
	v_mul_f32_e64 v1, |v0|, s6
	v_floor_f32_e32 v1, v1
	s_mov_b32 s6, 0xcf800000
	v_cvt_u32_f32_e32 v5, v1
	v_fma_f32 v1, v1, s6, |v0|
	v_cvt_u32_f32_e32 v1, v1
	v_ashrrev_i32_e32 v6, 31, v0
	v_xor_b32_e32 v5, v5, v6
	s_mov_b64 s[6:7], 0
	v_xor_b32_e32 v0, v1, v6
	v_sub_co_u32_e32 v0, vcc, v0, v6
	s_nop 1
	v_subb_co_u32_e32 v1, vcc, v5, v6, vcc
	global_store_dwordx2 v[2:3], v[0:1], off
.LBB121_1078:
	s_andn2_b64 vcc, exec, s[6:7]
	s_cbranch_vccnz .LBB121_1080
; %bb.1079:
	v_cvt_i32_f32_e32 v0, v4
	global_store_dword v[2:3], v0, off
.LBB121_1080:
	s_mov_b64 s[6:7], 0
.LBB121_1081:
	s_andn2_b64 vcc, exec, s[6:7]
	s_cbranch_vccnz .LBB121_1083
; %bb.1082:
	v_cvt_i32_f32_e32 v0, v4
	global_store_short v[2:3], v0, off
.LBB121_1083:
	s_mov_b64 s[6:7], 0
.LBB121_1084:
	s_andn2_b64 vcc, exec, s[6:7]
	s_cbranch_vccnz .LBB121_1089
; %bb.1085:
	s_sext_i32_i16 s6, s16
	s_cmp_gt_i32 s6, 0
	s_mov_b64 s[6:7], -1
	s_cbranch_scc0 .LBB121_1087
; %bb.1086:
	v_cvt_i32_f32_e32 v0, v4
	s_mov_b64 s[6:7], 0
	global_store_byte v[2:3], v0, off
.LBB121_1087:
	s_andn2_b64 vcc, exec, s[6:7]
	s_cbranch_vccnz .LBB121_1089
; %bb.1088:
	v_trunc_f32_e32 v0, v4
	s_mov_b32 s6, 0x2f800000
	s_waitcnt vmcnt(0)
	v_mul_f32_e64 v1, |v0|, s6
	v_floor_f32_e32 v1, v1
	s_mov_b32 s6, 0xcf800000
	v_fma_f32 v1, v1, s6, |v0|
	v_cvt_u32_f32_e32 v1, v1
	v_ashrrev_i32_e32 v0, 31, v0
	v_xor_b32_e32 v1, v1, v0
	v_sub_u32_e32 v0, v1, v0
	global_store_byte v[2:3], v0, off
.LBB121_1089:
	s_or_b64 exec, exec, s[2:3]
	s_waitcnt lgkmcnt(0)
	s_and_b64 s[24:25], s[4:5], exec
                                        ; implicit-def: $vgpr16
                                        ; implicit-def: $vgpr8
.LBB121_1090:
	s_or_saveexec_b64 s[26:27], s[44:45]
	s_mov_b64 s[6:7], 0
                                        ; implicit-def: $vgpr0_vgpr1
                                        ; implicit-def: $sgpr14
                                        ; implicit-def: $vgpr2
	s_xor_b64 exec, exec, s[26:27]
	s_cbranch_execz .LBB121_2094
; %bb.1091:
	v_cndmask_b32_e64 v0, 0, 1, s[42:43]
	v_cmp_ne_u32_e64 s[2:3], 1, v0
	s_andn2_b64 vcc, exec, s[42:43]
	s_cbranch_vccnz .LBB121_1097
; %bb.1092:
	s_cmp_lg_u32 s33, 0
	s_mov_b32 s36, 0
	s_cbranch_scc0 .LBB121_1098
; %bb.1093:
	s_min_u32 s37, s72, 15
	s_add_i32 s37, s37, 1
	s_cmp_eq_u32 s72, 2
	s_cbranch_scc1 .LBB121_1099
; %bb.1094:
	s_and_b32 s36, s37, 28
	s_add_u32 s28, s34, 0xc4
	s_addc_u32 s29, s35, 0
	s_mov_b32 s38, 0
	v_mov_b32_e32 v6, 0
	v_mov_b32_e32 v14, 0
	s_mov_b64 s[30:31], s[34:35]
	v_mov_b32_e32 v0, v8
.LBB121_1095:                           ; =>This Inner Loop Header: Depth=1
	s_load_dwordx8 s[12:19], s[30:31], 0x4
	s_load_dwordx4 s[20:23], s[30:31], 0x24
	s_load_dwordx8 s[4:11], s[28:29], 0x0
	s_add_u32 s30, s30, 48
	s_addc_u32 s31, s31, 0
	s_waitcnt vmcnt(0) lgkmcnt(0)
	v_mul_hi_u32 v1, s13, v0
	v_add_u32_e32 v1, v0, v1
	v_lshrrev_b32_e32 v1, s14, v1
	v_mul_lo_u32 v2, v1, s12
	v_mul_hi_u32 v3, s16, v1
	v_sub_u32_e32 v0, v0, v2
	v_add_u32_e32 v2, v1, v3
	v_lshrrev_b32_e32 v2, s17, v2
	v_mul_lo_u32 v4, v2, s15
	v_mul_hi_u32 v5, s19, v2
	v_sub_u32_e32 v1, v1, v4
	v_add_u32_e32 v4, v2, v5
	v_mul_lo_u32 v3, v0, s5
	v_mul_lo_u32 v0, v0, s4
	;; [unrolled: 1-line block ×4, first 2 shown]
	v_lshrrev_b32_e32 v4, s20, v4
	v_add3_u32 v1, v0, v6, v1
	v_add3_u32 v3, v3, v14, v5
	v_mul_lo_u32 v0, v4, s18
	v_mul_hi_u32 v5, s22, v4
	v_sub_u32_e32 v0, v2, v0
	v_add_u32_e32 v2, v4, v5
	v_mul_lo_u32 v5, v0, s8
	v_mul_lo_u32 v6, v0, s9
	v_lshrrev_b32_e32 v0, s23, v2
	s_add_i32 s38, s38, 4
	v_mul_lo_u32 v2, v0, s21
	s_add_u32 s28, s28, 32
	v_sub_u32_e32 v2, v4, v2
	s_addc_u32 s29, s29, 0
	v_mul_lo_u32 v4, v2, s10
	v_mul_lo_u32 v2, v2, s11
	s_cmp_lg_u32 s36, s38
	v_add3_u32 v14, v6, v3, v2
	v_add3_u32 v6, v5, v1, v4
	s_cbranch_scc1 .LBB121_1095
; %bb.1096:
	v_mov_b32_e32 v1, v14
	s_and_b32 s8, s37, 3
	s_cmp_eq_u32 s8, 0
	s_cbranch_scc0 .LBB121_1100
	s_branch .LBB121_1102
.LBB121_1097:
                                        ; implicit-def: $vgpr14
                                        ; implicit-def: $vgpr6
	s_branch .LBB121_1103
.LBB121_1098:
	v_mov_b32_e32 v14, 0
	v_mov_b32_e32 v6, 0
	s_branch .LBB121_1102
.LBB121_1099:
	v_mov_b32_e32 v6, 0
                                        ; implicit-def: $vgpr14
	s_waitcnt vmcnt(0)
	v_mov_b32_e32 v1, v6
	v_mov_b32_e32 v0, v8
	s_and_b32 s8, s37, 3
	s_cmp_eq_u32 s8, 0
	s_cbranch_scc1 .LBB121_1102
.LBB121_1100:
	s_lshl_b32 s4, s36, 3
	s_add_u32 s4, s34, s4
	s_addc_u32 s5, s35, 0
	s_add_u32 s4, s4, 0xc4
	s_addc_u32 s5, s5, 0
	s_mul_i32 s6, s36, 12
	s_add_u32 s6, s34, s6
	s_addc_u32 s7, s35, 0
.LBB121_1101:                           ; =>This Inner Loop Header: Depth=1
	s_load_dwordx2 s[10:11], s[6:7], 0x4
	s_load_dword s9, s[6:7], 0xc
	s_load_dwordx2 s[12:13], s[4:5], 0x0
	v_mov_b32_e32 v2, v1
	s_add_u32 s6, s6, 12
	s_waitcnt lgkmcnt(0)
	v_mul_hi_u32 v1, s11, v0
	v_add_u32_e32 v1, v0, v1
	v_lshrrev_b32_e32 v1, s9, v1
	s_addc_u32 s7, s7, 0
	v_mul_lo_u32 v3, v1, s10
	s_add_u32 s4, s4, 8
	v_sub_u32_e32 v3, v0, v3
	s_addc_u32 s5, s5, 0
	s_add_i32 s8, s8, -1
	v_mad_u64_u32 v[14:15], s[10:11], v3, s13, v[2:3]
	s_cmp_lg_u32 s8, 0
	v_mov_b32_e32 v0, v1
	v_mad_u64_u32 v[6:7], s[10:11], v3, s12, v[6:7]
	v_mov_b32_e32 v1, v14
	s_cbranch_scc1 .LBB121_1101
.LBB121_1102:
	s_cbranch_execnz .LBB121_1105
.LBB121_1103:
	s_load_dwordx4 s[4:7], s[34:35], 0x4
	s_load_dwordx2 s[8:9], s[34:35], 0xc4
	s_cmp_lt_u32 s33, 2
	s_waitcnt lgkmcnt(0)
	v_mul_hi_u32 v0, s5, v8
	v_add_u32_e32 v0, v8, v0
	v_lshrrev_b32_e32 v0, s6, v0
	s_waitcnt vmcnt(0)
	v_mul_lo_u32 v1, v0, s4
	v_sub_u32_e32 v1, v8, v1
	v_mul_lo_u32 v14, v1, s9
	v_mul_lo_u32 v6, v1, s8
	s_cbranch_scc1 .LBB121_1105
; %bb.1104:
	s_load_dwordx4 s[4:7], s[34:35], 0x10
	s_load_dwordx2 s[8:9], s[34:35], 0xcc
	s_waitcnt lgkmcnt(0)
	v_mul_hi_u32 v1, s5, v0
	v_add_u32_e32 v1, v0, v1
	v_lshrrev_b32_e32 v1, s6, v1
	v_mul_lo_u32 v1, v1, s4
	v_sub_u32_e32 v0, v0, v1
	v_mad_u64_u32 v[6:7], s[4:5], v0, s8, v[6:7]
	v_mad_u64_u32 v[14:15], s[4:5], v0, s9, v[14:15]
.LBB121_1105:
	s_and_b64 vcc, exec, s[2:3]
	v_add_u32_e32 v0, 0x80, v8
	s_cbranch_vccnz .LBB121_1111
; %bb.1106:
	s_cmp_lg_u32 s33, 0
	s_mov_b32 s36, 0
	s_cbranch_scc0 .LBB121_1112
; %bb.1107:
	s_min_u32 s37, s72, 15
	s_add_i32 s37, s37, 1
	s_cmp_eq_u32 s72, 2
	s_cbranch_scc1 .LBB121_1113
; %bb.1108:
	s_and_b32 s36, s37, 28
	s_add_u32 s28, s34, 0xc4
	s_addc_u32 s29, s35, 0
	s_mov_b32 s38, 0
	v_mov_b32_e32 v4, 0
	v_mov_b32_e32 v12, 0
	s_mov_b64 s[30:31], s[34:35]
	v_mov_b32_e32 v2, v0
.LBB121_1109:                           ; =>This Inner Loop Header: Depth=1
	s_load_dwordx8 s[12:19], s[30:31], 0x4
	s_load_dwordx4 s[20:23], s[30:31], 0x24
	s_load_dwordx8 s[4:11], s[28:29], 0x0
	s_add_u32 s30, s30, 48
	s_addc_u32 s31, s31, 0
	s_waitcnt vmcnt(0) lgkmcnt(0)
	v_mul_hi_u32 v1, s13, v2
	v_add_u32_e32 v1, v2, v1
	v_lshrrev_b32_e32 v1, s14, v1
	v_mul_lo_u32 v3, v1, s12
	v_mul_hi_u32 v5, s16, v1
	v_sub_u32_e32 v2, v2, v3
	v_add_u32_e32 v3, v1, v5
	v_lshrrev_b32_e32 v3, s17, v3
	v_mul_lo_u32 v7, v3, s15
	v_mul_hi_u32 v9, s19, v3
	v_sub_u32_e32 v1, v1, v7
	v_add_u32_e32 v7, v3, v9
	v_mul_lo_u32 v5, v2, s5
	v_mul_lo_u32 v2, v2, s4
	;; [unrolled: 1-line block ×4, first 2 shown]
	v_lshrrev_b32_e32 v7, s20, v7
	v_add3_u32 v1, v2, v4, v1
	v_add3_u32 v4, v5, v12, v9
	v_mul_lo_u32 v2, v7, s18
	v_mul_hi_u32 v5, s22, v7
	v_sub_u32_e32 v2, v3, v2
	v_add_u32_e32 v3, v7, v5
	v_mul_lo_u32 v5, v2, s8
	v_mul_lo_u32 v9, v2, s9
	v_lshrrev_b32_e32 v2, s23, v3
	s_add_i32 s38, s38, 4
	v_mul_lo_u32 v3, v2, s21
	s_add_u32 s28, s28, 32
	v_sub_u32_e32 v3, v7, v3
	s_addc_u32 s29, s29, 0
	v_mul_lo_u32 v7, v3, s10
	v_mul_lo_u32 v3, v3, s11
	s_cmp_lg_u32 s36, s38
	v_add3_u32 v12, v9, v4, v3
	v_add3_u32 v4, v5, v1, v7
	s_cbranch_scc1 .LBB121_1109
; %bb.1110:
	v_mov_b32_e32 v1, v12
	s_and_b32 s8, s37, 3
	s_cmp_eq_u32 s8, 0
	s_cbranch_scc0 .LBB121_1114
	s_branch .LBB121_1116
.LBB121_1111:
                                        ; implicit-def: $vgpr12
                                        ; implicit-def: $vgpr4
	s_branch .LBB121_1117
.LBB121_1112:
	v_mov_b32_e32 v12, 0
	v_mov_b32_e32 v4, 0
	s_branch .LBB121_1116
.LBB121_1113:
	v_mov_b32_e32 v4, 0
                                        ; implicit-def: $vgpr12
	s_waitcnt vmcnt(0)
	v_mov_b32_e32 v1, v4
	v_mov_b32_e32 v2, v0
	s_and_b32 s8, s37, 3
	s_cmp_eq_u32 s8, 0
	s_cbranch_scc1 .LBB121_1116
.LBB121_1114:
	s_lshl_b32 s4, s36, 3
	s_add_u32 s4, s34, s4
	s_addc_u32 s5, s35, 0
	s_add_u32 s4, s4, 0xc4
	s_addc_u32 s5, s5, 0
	s_mul_i32 s6, s36, 12
	s_add_u32 s6, s34, s6
	s_addc_u32 s7, s35, 0
.LBB121_1115:                           ; =>This Inner Loop Header: Depth=1
	s_load_dwordx2 s[10:11], s[6:7], 0x4
	s_load_dword s9, s[6:7], 0xc
	s_load_dwordx2 s[12:13], s[4:5], 0x0
	v_mov_b32_e32 v10, v1
	s_add_u32 s6, s6, 12
	s_waitcnt lgkmcnt(0)
	v_mul_hi_u32 v1, s11, v2
	v_add_u32_e32 v1, v2, v1
	v_lshrrev_b32_e32 v1, s9, v1
	s_addc_u32 s7, s7, 0
	v_mul_lo_u32 v3, v1, s10
	s_add_u32 s4, s4, 8
	v_sub_u32_e32 v3, v2, v3
	s_addc_u32 s5, s5, 0
	s_add_i32 s8, s8, -1
	v_mad_u64_u32 v[12:13], s[10:11], v3, s13, v[10:11]
	s_cmp_lg_u32 s8, 0
	v_mov_b32_e32 v2, v1
	v_mad_u64_u32 v[4:5], s[10:11], v3, s12, v[4:5]
	v_mov_b32_e32 v1, v12
	s_cbranch_scc1 .LBB121_1115
.LBB121_1116:
	s_cbranch_execnz .LBB121_1119
.LBB121_1117:
	s_load_dwordx4 s[4:7], s[34:35], 0x4
	s_load_dwordx2 s[8:9], s[34:35], 0xc4
	s_cmp_lt_u32 s33, 2
	s_waitcnt vmcnt(0) lgkmcnt(0)
	v_mul_hi_u32 v1, s5, v0
	v_add_u32_e32 v1, v0, v1
	v_lshrrev_b32_e32 v1, s6, v1
	v_mul_lo_u32 v2, v1, s4
	v_sub_u32_e32 v0, v0, v2
	v_mul_lo_u32 v12, v0, s9
	v_mul_lo_u32 v4, v0, s8
	s_cbranch_scc1 .LBB121_1119
; %bb.1118:
	s_load_dwordx4 s[4:7], s[34:35], 0x10
	s_load_dwordx2 s[8:9], s[34:35], 0xcc
	s_waitcnt lgkmcnt(0)
	v_mul_hi_u32 v0, s5, v1
	v_add_u32_e32 v0, v1, v0
	v_lshrrev_b32_e32 v0, s6, v0
	v_mul_lo_u32 v0, v0, s4
	v_sub_u32_e32 v0, v1, v0
	v_mad_u64_u32 v[4:5], s[4:5], v0, s8, v[4:5]
	v_mad_u64_u32 v[12:13], s[4:5], v0, s9, v[12:13]
.LBB121_1119:
	s_and_b64 vcc, exec, s[2:3]
	v_add_u32_e32 v0, 0x100, v8
	s_cbranch_vccnz .LBB121_1125
; %bb.1120:
	s_cmp_lg_u32 s33, 0
	s_mov_b32 s36, 0
	s_cbranch_scc0 .LBB121_1126
; %bb.1121:
	s_min_u32 s37, s72, 15
	s_add_i32 s37, s37, 1
	s_cmp_eq_u32 s72, 2
	s_cbranch_scc1 .LBB121_1127
; %bb.1122:
	s_and_b32 s36, s37, 28
	s_add_u32 s28, s34, 0xc4
	s_addc_u32 s29, s35, 0
	s_mov_b32 s38, 0
	v_mov_b32_e32 v2, 0
	v_mov_b32_e32 v10, 0
	s_mov_b64 s[30:31], s[34:35]
	v_mov_b32_e32 v5, v0
.LBB121_1123:                           ; =>This Inner Loop Header: Depth=1
	s_load_dwordx8 s[12:19], s[30:31], 0x4
	s_load_dwordx4 s[20:23], s[30:31], 0x24
	s_load_dwordx8 s[4:11], s[28:29], 0x0
	s_add_u32 s30, s30, 48
	s_addc_u32 s31, s31, 0
	s_waitcnt vmcnt(0) lgkmcnt(0)
	v_mul_hi_u32 v1, s13, v5
	v_add_u32_e32 v1, v5, v1
	v_lshrrev_b32_e32 v1, s14, v1
	v_mul_lo_u32 v3, v1, s12
	v_mul_hi_u32 v7, s16, v1
	v_sub_u32_e32 v3, v5, v3
	v_add_u32_e32 v5, v1, v7
	v_lshrrev_b32_e32 v5, s17, v5
	v_mul_lo_u32 v8, v5, s15
	v_mul_hi_u32 v9, s19, v5
	v_sub_u32_e32 v1, v1, v8
	v_add_u32_e32 v8, v5, v9
	v_mul_lo_u32 v7, v3, s5
	v_mul_lo_u32 v3, v3, s4
	v_mul_lo_u32 v9, v1, s7
	v_mul_lo_u32 v1, v1, s6
	v_lshrrev_b32_e32 v8, s20, v8
	v_add3_u32 v1, v3, v2, v1
	v_add3_u32 v2, v7, v10, v9
	v_mul_lo_u32 v3, v8, s18
	v_mul_hi_u32 v7, s22, v8
	v_sub_u32_e32 v3, v5, v3
	v_add_u32_e32 v5, v8, v7
	v_lshrrev_b32_e32 v5, s23, v5
	s_add_i32 s38, s38, 4
	v_mul_lo_u32 v9, v5, s21
	s_add_u32 s28, s28, 32
	v_sub_u32_e32 v8, v8, v9
	s_addc_u32 s29, s29, 0
	v_mul_lo_u32 v7, v3, s8
	v_mul_lo_u32 v3, v3, s9
	;; [unrolled: 1-line block ×4, first 2 shown]
	s_cmp_lg_u32 s36, s38
	v_add3_u32 v10, v3, v2, v8
	v_add3_u32 v2, v7, v1, v9
	s_cbranch_scc1 .LBB121_1123
; %bb.1124:
	v_mov_b32_e32 v1, v10
	s_and_b32 s8, s37, 3
	s_cmp_eq_u32 s8, 0
	s_cbranch_scc0 .LBB121_1128
	s_branch .LBB121_1130
.LBB121_1125:
                                        ; implicit-def: $vgpr10
                                        ; implicit-def: $vgpr2
	s_branch .LBB121_1131
.LBB121_1126:
	v_mov_b32_e32 v10, 0
	v_mov_b32_e32 v2, 0
	s_branch .LBB121_1130
.LBB121_1127:
	v_mov_b32_e32 v2, 0
                                        ; implicit-def: $vgpr10
	s_waitcnt vmcnt(0)
	v_mov_b32_e32 v1, v2
	v_mov_b32_e32 v5, v0
	s_and_b32 s8, s37, 3
	s_cmp_eq_u32 s8, 0
	s_cbranch_scc1 .LBB121_1130
.LBB121_1128:
	s_lshl_b32 s4, s36, 3
	s_add_u32 s4, s34, s4
	s_addc_u32 s5, s35, 0
	s_add_u32 s4, s4, 0xc4
	s_addc_u32 s5, s5, 0
	s_mul_i32 s6, s36, 12
	s_add_u32 s6, s34, s6
	s_addc_u32 s7, s35, 0
.LBB121_1129:                           ; =>This Inner Loop Header: Depth=1
	s_load_dwordx2 s[10:11], s[6:7], 0x4
	s_load_dword s9, s[6:7], 0xc
	s_load_dwordx2 s[12:13], s[4:5], 0x0
	v_mov_b32_e32 v8, v1
	s_add_u32 s6, s6, 12
	s_waitcnt lgkmcnt(0)
	v_mul_hi_u32 v1, s11, v5
	v_add_u32_e32 v1, v5, v1
	v_lshrrev_b32_e32 v1, s9, v1
	s_addc_u32 s7, s7, 0
	v_mul_lo_u32 v3, v1, s10
	s_add_u32 s4, s4, 8
	v_sub_u32_e32 v3, v5, v3
	s_addc_u32 s5, s5, 0
	s_add_i32 s8, s8, -1
	v_mad_u64_u32 v[10:11], s[10:11], v3, s13, v[8:9]
	s_cmp_lg_u32 s8, 0
	v_mov_b32_e32 v5, v1
	v_mad_u64_u32 v[2:3], s[10:11], v3, s12, v[2:3]
	v_mov_b32_e32 v1, v10
	s_cbranch_scc1 .LBB121_1129
.LBB121_1130:
	s_cbranch_execnz .LBB121_1133
.LBB121_1131:
	s_load_dwordx4 s[4:7], s[34:35], 0x4
	s_load_dwordx2 s[8:9], s[34:35], 0xc4
	s_cmp_lt_u32 s33, 2
	s_waitcnt vmcnt(0) lgkmcnt(0)
	v_mul_hi_u32 v1, s5, v0
	v_add_u32_e32 v1, v0, v1
	v_lshrrev_b32_e32 v1, s6, v1
	v_mul_lo_u32 v2, v1, s4
	v_sub_u32_e32 v0, v0, v2
	v_mul_lo_u32 v10, v0, s9
	v_mul_lo_u32 v2, v0, s8
	s_cbranch_scc1 .LBB121_1133
; %bb.1132:
	s_load_dwordx4 s[4:7], s[34:35], 0x10
	s_load_dwordx2 s[8:9], s[34:35], 0xcc
	s_waitcnt lgkmcnt(0)
	v_mul_hi_u32 v0, s5, v1
	v_add_u32_e32 v0, v1, v0
	v_lshrrev_b32_e32 v0, s6, v0
	v_mul_lo_u32 v0, v0, s4
	v_sub_u32_e32 v0, v1, v0
	v_mad_u64_u32 v[2:3], s[4:5], v0, s8, v[2:3]
	v_mad_u64_u32 v[10:11], s[4:5], v0, s9, v[10:11]
.LBB121_1133:
	s_and_b64 vcc, exec, s[2:3]
	s_cbranch_vccnz .LBB121_1139
; %bb.1134:
	s_cmp_lg_u32 s33, 0
	s_mov_b32 s30, 0
	s_cbranch_scc0 .LBB121_1140
; %bb.1135:
	s_min_u32 s31, s72, 15
	s_add_i32 s31, s31, 1
	s_cmp_eq_u32 s72, 2
	s_cbranch_scc1 .LBB121_1141
; %bb.1136:
	s_and_b32 s30, s31, 28
	s_add_u32 s2, s34, 0xc4
	s_addc_u32 s3, s35, 0
	s_mov_b32 s36, 0
	v_mov_b32_e32 v0, 0
	v_mov_b32_e32 v8, 0
	s_mov_b64 s[28:29], s[34:35]
	v_mov_b32_e32 v3, v16
.LBB121_1137:                           ; =>This Inner Loop Header: Depth=1
	s_load_dwordx8 s[12:19], s[28:29], 0x4
	s_load_dwordx4 s[20:23], s[28:29], 0x24
	s_load_dwordx8 s[4:11], s[2:3], 0x0
	s_add_u32 s28, s28, 48
	s_addc_u32 s29, s29, 0
	s_waitcnt vmcnt(0) lgkmcnt(0)
	v_mul_hi_u32 v1, s13, v3
	v_add_u32_e32 v1, v3, v1
	v_lshrrev_b32_e32 v1, s14, v1
	v_mul_lo_u32 v5, v1, s12
	v_mul_hi_u32 v7, s16, v1
	v_sub_u32_e32 v3, v3, v5
	v_add_u32_e32 v5, v1, v7
	v_lshrrev_b32_e32 v5, s17, v5
	v_mul_lo_u32 v9, v5, s15
	v_mul_hi_u32 v11, s19, v5
	v_sub_u32_e32 v1, v1, v9
	v_add_u32_e32 v9, v5, v11
	v_mul_lo_u32 v7, v3, s5
	v_mul_lo_u32 v3, v3, s4
	;; [unrolled: 1-line block ×4, first 2 shown]
	v_lshrrev_b32_e32 v9, s20, v9
	v_add3_u32 v0, v3, v0, v1
	v_add3_u32 v1, v7, v8, v11
	v_mul_lo_u32 v3, v9, s18
	v_mul_hi_u32 v7, s22, v9
	v_sub_u32_e32 v3, v5, v3
	v_add_u32_e32 v5, v9, v7
	v_mul_lo_u32 v7, v3, s8
	v_mul_lo_u32 v8, v3, s9
	v_lshrrev_b32_e32 v3, s23, v5
	s_add_i32 s36, s36, 4
	v_mul_lo_u32 v5, v3, s21
	s_add_u32 s2, s2, 32
	v_sub_u32_e32 v5, v9, v5
	s_addc_u32 s3, s3, 0
	v_mul_lo_u32 v9, v5, s10
	v_mul_lo_u32 v5, v5, s11
	s_cmp_lg_u32 s30, s36
	v_add3_u32 v8, v8, v1, v5
	v_add3_u32 v0, v7, v0, v9
	s_cbranch_scc1 .LBB121_1137
; %bb.1138:
	v_mov_b32_e32 v1, v8
	s_and_b32 s6, s31, 3
	s_cmp_eq_u32 s6, 0
	s_cbranch_scc0 .LBB121_1142
	s_branch .LBB121_1144
.LBB121_1139:
                                        ; implicit-def: $vgpr8
                                        ; implicit-def: $vgpr0
	s_branch .LBB121_1145
.LBB121_1140:
	v_mov_b32_e32 v8, 0
	v_mov_b32_e32 v0, 0
	s_branch .LBB121_1144
.LBB121_1141:
	v_mov_b32_e32 v0, 0
                                        ; implicit-def: $vgpr8
	s_waitcnt vmcnt(0)
	v_mov_b32_e32 v1, v0
	v_mov_b32_e32 v3, v16
	s_and_b32 s6, s31, 3
	s_cmp_eq_u32 s6, 0
	s_cbranch_scc1 .LBB121_1144
.LBB121_1142:
	s_lshl_b32 s2, s30, 3
	s_add_u32 s2, s34, s2
	s_addc_u32 s3, s35, 0
	s_add_u32 s2, s2, 0xc4
	s_addc_u32 s3, s3, 0
	s_mul_i32 s4, s30, 12
	s_add_u32 s4, s34, s4
	s_addc_u32 s5, s35, 0
.LBB121_1143:                           ; =>This Inner Loop Header: Depth=1
	s_load_dwordx2 s[8:9], s[4:5], 0x4
	s_load_dword s7, s[4:5], 0xc
	s_load_dwordx2 s[10:11], s[2:3], 0x0
	v_mov_b32_e32 v8, v1
	s_add_u32 s4, s4, 12
	s_waitcnt lgkmcnt(0)
	v_mul_hi_u32 v1, s9, v3
	v_add_u32_e32 v1, v3, v1
	v_lshrrev_b32_e32 v1, s7, v1
	s_addc_u32 s5, s5, 0
	v_mul_lo_u32 v5, v1, s8
	s_add_u32 s2, s2, 8
	v_sub_u32_e32 v5, v3, v5
	s_addc_u32 s3, s3, 0
	s_add_i32 s6, s6, -1
	v_mov_b32_e32 v3, v1
	v_mad_u64_u32 v[8:9], s[8:9], v5, s11, v[8:9]
	v_mad_u64_u32 v[0:1], s[8:9], v5, s10, v[0:1]
	s_cmp_lg_u32 s6, 0
	v_mov_b32_e32 v1, v8
	s_cbranch_scc1 .LBB121_1143
.LBB121_1144:
	s_cbranch_execnz .LBB121_1147
.LBB121_1145:
	s_load_dwordx4 s[4:7], s[34:35], 0x4
	s_load_dwordx2 s[2:3], s[34:35], 0xc4
	s_cmp_lt_u32 s33, 2
	s_waitcnt lgkmcnt(0)
	v_mul_hi_u32 v0, s5, v16
	v_add_u32_e32 v0, v16, v0
	s_waitcnt vmcnt(0)
	v_lshrrev_b32_e32 v1, s6, v0
	v_mul_lo_u32 v0, v1, s4
	v_sub_u32_e32 v0, v16, v0
	v_mul_lo_u32 v8, v0, s3
	v_mul_lo_u32 v0, v0, s2
	s_cbranch_scc1 .LBB121_1147
; %bb.1146:
	s_load_dwordx4 s[4:7], s[34:35], 0x10
	s_load_dwordx2 s[2:3], s[34:35], 0xcc
	s_waitcnt lgkmcnt(0)
	v_mul_hi_u32 v3, s5, v1
	v_add_u32_e32 v3, v1, v3
	v_lshrrev_b32_e32 v3, s6, v3
	v_mul_lo_u32 v3, v3, s4
	v_sub_u32_e32 v3, v1, v3
	v_mad_u64_u32 v[0:1], s[4:5], v3, s2, v[0:1]
	v_mad_u64_u32 v[8:9], s[2:3], v3, s3, v[8:9]
.LBB121_1147:
	s_load_dword s16, s[0:1], 0x160
	s_load_dwordx4 s[4:7], s[34:35], 0x148
	v_mov_b32_e32 v15, 0
	s_waitcnt lgkmcnt(0)
	s_bfe_u32 s14, s16, 0x80010
	s_cmp_lt_i32 s14, 11
	v_lshl_add_u64 v[14:15], s[6:7], 0, v[14:15]
	s_cbranch_scc1 .LBB121_1154
; %bb.1148:
	s_and_b32 s15, 0xffff, s14
	s_cmp_gt_i32 s15, 25
	s_mov_b64 s[8:9], 0
	s_cbranch_scc0 .LBB121_1156
; %bb.1149:
	s_cmp_gt_i32 s15, 28
	s_cbranch_scc0 .LBB121_1157
; %bb.1150:
	s_cmp_gt_i32 s15, 43
	;; [unrolled: 3-line block ×3, first 2 shown]
	s_cbranch_scc0 .LBB121_1159
; %bb.1152:
	s_cmp_eq_u32 s15, 46
	s_mov_b64 s[2:3], 0
	s_cbranch_scc0 .LBB121_1162
; %bb.1153:
	global_load_dword v1, v[14:15], off
	s_mov_b64 s[0:1], 0
	s_mov_b64 s[10:11], -1
	s_waitcnt vmcnt(0)
	v_lshlrev_b32_e32 v7, 16, v1
	s_branch .LBB121_1163
.LBB121_1154:
	s_mov_b64 s[10:11], 0
                                        ; implicit-def: $vgpr7
	s_mov_b64 s[2:3], s[24:25]
	s_cbranch_execnz .LBB121_1226
.LBB121_1155:
	s_andn2_b64 vcc, exec, s[10:11]
	s_cbranch_vccz .LBB121_1271
	s_branch .LBB121_2092
.LBB121_1156:
	s_mov_b64 s[10:11], 0
	s_mov_b64 s[0:1], 0
                                        ; implicit-def: $vgpr7
	s_cbranch_execnz .LBB121_1191
	s_branch .LBB121_1222
.LBB121_1157:
	s_mov_b64 s[2:3], -1
	s_mov_b64 s[10:11], 0
	s_mov_b64 s[0:1], 0
                                        ; implicit-def: $vgpr7
	s_branch .LBB121_1172
.LBB121_1158:
	s_mov_b64 s[10:11], 0
	s_mov_b64 s[0:1], 0
                                        ; implicit-def: $vgpr7
	s_cbranch_execnz .LBB121_1168
	s_branch .LBB121_1171
.LBB121_1159:
	s_mov_b64 s[2:3], -1
	s_mov_b64 s[10:11], 0
	s_mov_b64 s[0:1], 0
                                        ; implicit-def: $vgpr7
	s_branch .LBB121_1163
.LBB121_1160:
	s_andn2_saveexec_b64 s[12:13], s[12:13]
	s_cbranch_execz .LBB121_1003
.LBB121_1161:
	s_mov_b32 s14, 0x46000000
	v_add_f32_e64 v0, |v4|, s14
	v_and_b32_e32 v0, 0xff, v0
	v_cmp_ne_u32_e32 vcc, 0, v0
	s_andn2_b64 s[10:11], s[10:11], exec
	s_and_b64 s[14:15], vcc, exec
	s_or_b64 s[10:11], s[10:11], s[14:15]
	s_or_b64 exec, exec, s[12:13]
	v_mov_b32_e32 v1, 0
	s_and_saveexec_b64 s[12:13], s[10:11]
	s_cbranch_execnz .LBB121_1004
	s_branch .LBB121_1005
.LBB121_1162:
	s_mov_b64 s[0:1], -1
                                        ; implicit-def: $vgpr7
	s_mov_b64 s[10:11], 0
.LBB121_1163:
	s_and_b64 vcc, exec, s[2:3]
	s_cbranch_vccz .LBB121_1166
; %bb.1164:
	s_cmp_eq_u32 s15, 44
	s_cbranch_scc0 .LBB121_1167
; %bb.1165:
	global_load_ubyte v1, v[14:15], off
	s_movk_i32 s2, 0xff
	v_mov_b32_e32 v3, 0x7f800001
	v_mov_b32_e32 v5, 0x400000
	s_mov_b64 s[0:1], 0
	s_mov_b64 s[10:11], -1
	s_waitcnt vmcnt(0)
	v_lshlrev_b32_e32 v7, 23, v1
	v_cmp_ne_u32_e32 vcc, s2, v1
	s_nop 1
	v_cndmask_b32_e32 v3, v3, v7, vcc
	v_cmp_ne_u32_e32 vcc, 0, v1
	s_nop 1
	v_cndmask_b32_e32 v7, v5, v3, vcc
.LBB121_1166:
	s_branch .LBB121_1171
.LBB121_1167:
	s_mov_b64 s[0:1], -1
                                        ; implicit-def: $vgpr7
	s_branch .LBB121_1171
.LBB121_1168:
	s_cmp_eq_u32 s15, 29
	s_cbranch_scc0 .LBB121_1170
; %bb.1169:
	global_load_dwordx2 v[16:17], v[14:15], off
	s_mov_b64 s[0:1], 0
	s_mov_b64 s[10:11], -1
	s_mov_b64 s[2:3], 0
	s_waitcnt vmcnt(0)
	v_ffbh_u32_e32 v1, v17
	v_min_u32_e32 v1, 32, v1
	v_lshlrev_b64 v[16:17], v1, v[16:17]
	v_min_u32_e32 v3, 1, v16
	v_or_b32_e32 v3, v17, v3
	v_cvt_f32_u32_e32 v3, v3
	v_sub_u32_e32 v1, 32, v1
	v_ldexp_f32 v7, v3, v1
	s_branch .LBB121_1172
.LBB121_1170:
	s_mov_b64 s[0:1], -1
                                        ; implicit-def: $vgpr7
.LBB121_1171:
	s_mov_b64 s[2:3], 0
.LBB121_1172:
	s_and_b64 vcc, exec, s[2:3]
	s_cbranch_vccz .LBB121_1190
; %bb.1173:
	s_cmp_lt_i32 s15, 27
	s_cbranch_scc1 .LBB121_1176
; %bb.1174:
	s_cmp_gt_i32 s15, 27
	s_cbranch_scc0 .LBB121_1177
; %bb.1175:
	global_load_dword v1, v[14:15], off
	s_mov_b64 s[2:3], 0
	s_waitcnt vmcnt(0)
	v_cvt_f32_u32_e32 v7, v1
	s_branch .LBB121_1178
.LBB121_1176:
	s_mov_b64 s[2:3], -1
                                        ; implicit-def: $vgpr7
	s_branch .LBB121_1181
.LBB121_1177:
	s_mov_b64 s[2:3], -1
                                        ; implicit-def: $vgpr7
.LBB121_1178:
	s_andn2_b64 vcc, exec, s[2:3]
	s_cbranch_vccnz .LBB121_1180
; %bb.1179:
	global_load_ushort v1, v[14:15], off
	s_waitcnt vmcnt(0)
	v_cvt_f32_u32_e32 v7, v1
.LBB121_1180:
	s_mov_b64 s[2:3], 0
.LBB121_1181:
	s_andn2_b64 vcc, exec, s[2:3]
	s_cbranch_vccnz .LBB121_1189
; %bb.1182:
	global_load_ubyte v1, v[14:15], off
	s_movk_i32 s2, 0x7f
	s_waitcnt vmcnt(0)
	v_cmp_lt_i16_e32 vcc, s2, v1
	s_mov_b64 s[2:3], 0
	s_and_saveexec_b64 s[10:11], vcc
	s_xor_b64 s[10:11], exec, s[10:11]
	s_cbranch_execz .LBB121_1202
; %bb.1183:
	s_movk_i32 s2, 0x80
	v_cmp_eq_u16_e32 vcc, s2, v1
	s_mov_b64 s[2:3], -1
	s_and_saveexec_b64 s[12:13], vcc
; %bb.1184:
	s_xor_b64 s[2:3], exec, -1
; %bb.1185:
	s_or_b64 exec, exec, s[12:13]
	s_and_b64 s[2:3], s[2:3], exec
	s_or_saveexec_b64 s[10:11], s[10:11]
	v_mov_b32_e32 v7, 0x7f800001
	s_xor_b64 exec, exec, s[10:11]
	s_cbranch_execnz .LBB121_1203
.LBB121_1186:
	s_or_b64 exec, exec, s[10:11]
	s_and_saveexec_b64 s[10:11], s[2:3]
	s_cbranch_execz .LBB121_1188
.LBB121_1187:
	v_lshlrev_b32_e32 v3, 24, v1
	v_and_b32_e32 v1, 0xffff, v1
	v_and_b32_e32 v5, 7, v1
	v_ffbh_u32_e32 v9, v5
	v_min_u32_e32 v9, 32, v9
	v_subrev_u32_e32 v11, 28, v9
	v_bfe_u32 v7, v1, 3, 4
	v_lshlrev_b32_e32 v1, v11, v1
	v_sub_u32_e32 v9, 29, v9
	v_and_b32_e32 v1, 7, v1
	v_cmp_eq_u32_e32 vcc, 0, v7
	v_and_b32_e32 v3, 0x80000000, v3
	s_nop 0
	v_cndmask_b32_e32 v7, v7, v9, vcc
	v_cndmask_b32_e32 v1, v5, v1, vcc
	v_mov_b32_e32 v5, 0x3b800000
	v_lshlrev_b32_e32 v1, 20, v1
	v_lshl_add_u32 v5, v7, 23, v5
	v_or3_b32 v7, v3, v5, v1
.LBB121_1188:
	s_or_b64 exec, exec, s[10:11]
.LBB121_1189:
	s_mov_b64 s[10:11], -1
.LBB121_1190:
	s_branch .LBB121_1222
.LBB121_1191:
	s_cmp_gt_i32 s15, 22
	s_cbranch_scc0 .LBB121_1201
; %bb.1192:
	s_cmp_lt_i32 s15, 24
	s_cbranch_scc1 .LBB121_1204
; %bb.1193:
	s_cmp_gt_i32 s15, 24
	s_cbranch_scc0 .LBB121_1205
; %bb.1194:
	global_load_ubyte v1, v[14:15], off
	s_movk_i32 s2, 0x7f
	s_waitcnt vmcnt(0)
	v_cmp_lt_i16_e32 vcc, s2, v1
	s_mov_b64 s[2:3], 0
	s_and_saveexec_b64 s[8:9], vcc
	s_xor_b64 s[8:9], exec, s[8:9]
	s_cbranch_execz .LBB121_1216
; %bb.1195:
	s_movk_i32 s2, 0x80
	v_cmp_eq_u16_e32 vcc, s2, v1
	s_mov_b64 s[2:3], -1
	s_and_saveexec_b64 s[10:11], vcc
; %bb.1196:
	s_xor_b64 s[2:3], exec, -1
; %bb.1197:
	s_or_b64 exec, exec, s[10:11]
	s_and_b64 s[2:3], s[2:3], exec
	s_or_saveexec_b64 s[8:9], s[8:9]
	v_mov_b32_e32 v7, 0x7f800001
	s_xor_b64 exec, exec, s[8:9]
	s_cbranch_execnz .LBB121_1217
.LBB121_1198:
	s_or_b64 exec, exec, s[8:9]
	s_and_saveexec_b64 s[8:9], s[2:3]
	s_cbranch_execz .LBB121_1200
.LBB121_1199:
	v_lshlrev_b32_e32 v3, 24, v1
	v_and_b32_e32 v1, 0xffff, v1
	v_and_b32_e32 v5, 3, v1
	v_ffbh_u32_e32 v9, v5
	v_min_u32_e32 v9, 32, v9
	v_subrev_u32_e32 v11, 29, v9
	v_bfe_u32 v7, v1, 2, 5
	v_lshlrev_b32_e32 v1, v11, v1
	v_sub_u32_e32 v9, 30, v9
	v_and_b32_e32 v1, 3, v1
	v_cmp_eq_u32_e32 vcc, 0, v7
	v_and_b32_e32 v3, 0x80000000, v3
	s_nop 0
	v_cndmask_b32_e32 v7, v7, v9, vcc
	v_cndmask_b32_e32 v1, v5, v1, vcc
	v_mov_b32_e32 v5, 0x37800000
	v_lshlrev_b32_e32 v1, 21, v1
	v_lshl_add_u32 v5, v7, 23, v5
	v_or3_b32 v7, v3, v5, v1
.LBB121_1200:
	s_or_b64 exec, exec, s[8:9]
	s_mov_b64 s[2:3], 0
	s_branch .LBB121_1206
.LBB121_1201:
                                        ; implicit-def: $vgpr7
	s_mov_b64 s[8:9], 0
	s_branch .LBB121_1212
.LBB121_1202:
	s_or_saveexec_b64 s[10:11], s[10:11]
	v_mov_b32_e32 v7, 0x7f800001
	s_xor_b64 exec, exec, s[10:11]
	s_cbranch_execz .LBB121_1186
.LBB121_1203:
	v_cmp_ne_u16_e32 vcc, 0, v1
	s_andn2_b64 s[2:3], s[2:3], exec
	s_and_b64 s[12:13], vcc, exec
	v_mov_b32_e32 v7, 0
	s_or_b64 s[2:3], s[2:3], s[12:13]
	s_or_b64 exec, exec, s[10:11]
	s_and_saveexec_b64 s[10:11], s[2:3]
	s_cbranch_execnz .LBB121_1187
	s_branch .LBB121_1188
.LBB121_1204:
	s_mov_b64 s[2:3], -1
                                        ; implicit-def: $vgpr7
	s_branch .LBB121_1209
.LBB121_1205:
	s_mov_b64 s[2:3], -1
                                        ; implicit-def: $vgpr7
.LBB121_1206:
	s_and_b64 vcc, exec, s[2:3]
	s_cbranch_vccz .LBB121_1208
; %bb.1207:
	global_load_ubyte v1, v[14:15], off
	s_mov_b32 s2, 0x7f800000
	s_waitcnt vmcnt(0)
	v_lshlrev_b32_e32 v1, 24, v1
	v_and_b32_e32 v3, 0x7f000000, v1
	v_ffbh_u32_e32 v5, v3
	v_min_u32_e32 v5, 32, v5
	v_sub_u32_e64 v5, v5, 4 clamp
	v_lshlrev_b32_e32 v9, v5, v3
	v_lshlrev_b32_e32 v5, 23, v5
	v_lshrrev_b32_e32 v9, 4, v9
	v_add_u32_e32 v7, 0x1000000, v3
	v_sub_u32_e32 v5, v9, v5
	v_ashrrev_i32_e32 v7, 8, v7
	v_add_u32_e32 v5, 0x3c000000, v5
	v_and_or_b32 v5, v7, s2, v5
	v_cmp_ne_u32_e32 vcc, 0, v3
	s_brev_b32 s2, 1
	s_nop 0
	v_cndmask_b32_e32 v3, 0, v5, vcc
	v_and_or_b32 v7, v1, s2, v3
.LBB121_1208:
	s_mov_b64 s[2:3], 0
.LBB121_1209:
	s_andn2_b64 vcc, exec, s[2:3]
	s_cbranch_vccnz .LBB121_1211
; %bb.1210:
	global_load_ubyte v1, v[14:15], off
	s_movk_i32 s2, 0x7f00
	s_brev_b32 s3, 16
	s_waitcnt vmcnt(0)
	v_lshlrev_b16_e32 v3, 8, v1
	v_lshlrev_b32_e32 v1, 25, v1
	v_lshrrev_b32_e32 v5, 4, v1
	v_and_or_b32 v7, v3, s2, 0.5
	v_or_b32_e32 v5, 0x70000000, v5
	v_add_f32_e32 v7, -0.5, v7
	v_mul_f32_e32 v5, 0x7800000, v5
	v_cmp_gt_u32_e32 vcc, s3, v1
	v_bfe_i32 v3, v3, 0, 16
	s_brev_b32 s2, 1
	v_cndmask_b32_e32 v1, v5, v7, vcc
	v_and_or_b32 v7, v3, s2, v1
.LBB121_1211:
	s_mov_b64 s[10:11], -1
	s_mov_b64 s[8:9], 0
	s_cbranch_execnz .LBB121_1222
.LBB121_1212:
	s_cmp_gt_i32 s15, 14
	s_cbranch_scc0 .LBB121_1215
; %bb.1213:
	s_cmp_eq_u32 s15, 15
	s_cbranch_scc0 .LBB121_1218
; %bb.1214:
	global_load_ushort v1, v[14:15], off
	s_mov_b64 s[0:1], 0
	s_mov_b64 s[10:11], -1
	s_waitcnt vmcnt(0)
	v_lshlrev_b32_e32 v7, 16, v1
	s_branch .LBB121_1219
.LBB121_1215:
	s_mov_b64 s[2:3], -1
                                        ; implicit-def: $vgpr7
	s_branch .LBB121_1220
.LBB121_1216:
	s_or_saveexec_b64 s[8:9], s[8:9]
	v_mov_b32_e32 v7, 0x7f800001
	s_xor_b64 exec, exec, s[8:9]
	s_cbranch_execz .LBB121_1198
.LBB121_1217:
	v_cmp_ne_u16_e32 vcc, 0, v1
	s_andn2_b64 s[2:3], s[2:3], exec
	s_and_b64 s[10:11], vcc, exec
	v_mov_b32_e32 v7, 0
	s_or_b64 s[2:3], s[2:3], s[10:11]
	s_or_b64 exec, exec, s[8:9]
	s_and_saveexec_b64 s[8:9], s[2:3]
	s_cbranch_execnz .LBB121_1199
	s_branch .LBB121_1200
.LBB121_1218:
	s_mov_b64 s[0:1], -1
                                        ; implicit-def: $vgpr7
.LBB121_1219:
	s_mov_b64 s[2:3], 0
.LBB121_1220:
	s_and_b64 vcc, exec, s[2:3]
	s_cbranch_vccz .LBB121_1222
; %bb.1221:
	s_cmp_lg_u32 s15, 11
	s_mov_b64 s[8:9], -1
	s_cselect_b64 s[0:1], -1, 0
.LBB121_1222:
	s_and_b64 vcc, exec, s[0:1]
	s_mov_b64 s[2:3], s[24:25]
	s_cbranch_vccnz .LBB121_1283
; %bb.1223:
	s_andn2_b64 vcc, exec, s[8:9]
	s_cbranch_vccnz .LBB121_1225
.LBB121_1224:
	global_load_ubyte v1, v[14:15], off
	s_mov_b64 s[10:11], -1
	s_waitcnt vmcnt(0)
	v_cmp_ne_u16_e32 vcc, 0, v1
	s_nop 1
	v_cndmask_b32_e64 v7, 0, 1.0, vcc
.LBB121_1225:
	s_branch .LBB121_1155
.LBB121_1226:
	s_and_b32 s8, 0xffff, s14
	s_cmp_lt_i32 s8, 5
	s_cbranch_scc1 .LBB121_1231
; %bb.1227:
	s_cmp_lt_i32 s8, 8
	s_cbranch_scc1 .LBB121_1232
; %bb.1228:
	;; [unrolled: 3-line block ×3, first 2 shown]
	s_cmp_gt_i32 s8, 9
	s_cbranch_scc0 .LBB121_1234
; %bb.1230:
	global_load_dwordx2 v[16:17], v[14:15], off
	s_mov_b64 s[0:1], 0
	s_waitcnt vmcnt(0)
	v_cvt_f32_f64_e32 v7, v[16:17]
	s_branch .LBB121_1235
.LBB121_1231:
                                        ; implicit-def: $vgpr7
	s_branch .LBB121_1252
.LBB121_1232:
                                        ; implicit-def: $vgpr7
	s_branch .LBB121_1241
.LBB121_1233:
	s_mov_b64 s[0:1], -1
                                        ; implicit-def: $vgpr7
	s_branch .LBB121_1238
.LBB121_1234:
	s_mov_b64 s[0:1], -1
                                        ; implicit-def: $vgpr7
.LBB121_1235:
	s_andn2_b64 vcc, exec, s[0:1]
	s_cbranch_vccnz .LBB121_1237
; %bb.1236:
	global_load_dword v7, v[14:15], off
.LBB121_1237:
	s_mov_b64 s[0:1], 0
.LBB121_1238:
	s_andn2_b64 vcc, exec, s[0:1]
	s_cbranch_vccnz .LBB121_1240
; %bb.1239:
	global_load_dword v1, v[14:15], off
	s_waitcnt vmcnt(0)
	v_cvt_f32_f16_e32 v7, v1
.LBB121_1240:
	s_cbranch_execnz .LBB121_1251
.LBB121_1241:
	s_cmp_lt_i32 s8, 6
	s_cbranch_scc1 .LBB121_1244
; %bb.1242:
	s_cmp_gt_i32 s8, 6
	s_cbranch_scc0 .LBB121_1245
; %bb.1243:
	global_load_dwordx2 v[16:17], v[14:15], off
	s_mov_b64 s[0:1], 0
	s_waitcnt vmcnt(0)
	v_cvt_f32_f64_e32 v7, v[16:17]
	s_branch .LBB121_1246
.LBB121_1244:
	s_mov_b64 s[0:1], -1
                                        ; implicit-def: $vgpr7
	s_branch .LBB121_1249
.LBB121_1245:
	s_mov_b64 s[0:1], -1
                                        ; implicit-def: $vgpr7
.LBB121_1246:
	s_andn2_b64 vcc, exec, s[0:1]
	s_cbranch_vccnz .LBB121_1248
; %bb.1247:
	global_load_dword v7, v[14:15], off
.LBB121_1248:
	s_mov_b64 s[0:1], 0
.LBB121_1249:
	s_andn2_b64 vcc, exec, s[0:1]
	s_cbranch_vccnz .LBB121_1251
; %bb.1250:
	global_load_ushort v1, v[14:15], off
	s_waitcnt vmcnt(0)
	v_cvt_f32_f16_e32 v7, v1
.LBB121_1251:
	s_cbranch_execnz .LBB121_1270
.LBB121_1252:
	s_cmp_lt_i32 s8, 2
	s_cbranch_scc1 .LBB121_1256
; %bb.1253:
	s_cmp_lt_i32 s8, 3
	s_cbranch_scc1 .LBB121_1257
; %bb.1254:
	s_cmp_gt_i32 s8, 3
	s_cbranch_scc0 .LBB121_1258
; %bb.1255:
	global_load_dwordx2 v[16:17], v[14:15], off
	s_mov_b64 s[0:1], 0
	s_waitcnt vmcnt(0)
	v_xor_b32_e32 v3, v16, v17
	v_ffbh_i32_e32 v1, v17
	v_ashrrev_i32_e32 v3, 31, v3
	v_add_u32_e32 v1, -1, v1
	v_add_u32_e32 v3, 32, v3
	v_min_u32_e32 v1, v1, v3
	v_lshlrev_b64 v[16:17], v1, v[16:17]
	v_min_u32_e32 v3, 1, v16
	v_or_b32_e32 v3, v17, v3
	v_cvt_f32_i32_e32 v3, v3
	v_sub_u32_e32 v1, 32, v1
	v_ldexp_f32 v7, v3, v1
	s_branch .LBB121_1259
.LBB121_1256:
                                        ; implicit-def: $vgpr7
	s_branch .LBB121_1265
.LBB121_1257:
	s_mov_b64 s[0:1], -1
                                        ; implicit-def: $vgpr7
	s_branch .LBB121_1262
.LBB121_1258:
	s_mov_b64 s[0:1], -1
                                        ; implicit-def: $vgpr7
.LBB121_1259:
	s_andn2_b64 vcc, exec, s[0:1]
	s_cbranch_vccnz .LBB121_1261
; %bb.1260:
	global_load_dword v1, v[14:15], off
	s_waitcnt vmcnt(0)
	v_cvt_f32_i32_e32 v7, v1
.LBB121_1261:
	s_mov_b64 s[0:1], 0
.LBB121_1262:
	s_andn2_b64 vcc, exec, s[0:1]
	s_cbranch_vccnz .LBB121_1264
; %bb.1263:
	global_load_sshort v1, v[14:15], off
	s_waitcnt vmcnt(0)
	v_cvt_f32_i32_e32 v7, v1
.LBB121_1264:
	s_cbranch_execnz .LBB121_1270
.LBB121_1265:
	s_cmp_gt_i32 s8, 0
	s_cbranch_scc0 .LBB121_1267
; %bb.1266:
	global_load_sbyte v1, v[14:15], off
	s_mov_b64 s[0:1], 0
	s_waitcnt vmcnt(0)
	v_cvt_f32_i32_e32 v7, v1
	s_branch .LBB121_1268
.LBB121_1267:
	s_mov_b64 s[0:1], -1
                                        ; implicit-def: $vgpr7
.LBB121_1268:
	s_andn2_b64 vcc, exec, s[0:1]
	s_cbranch_vccnz .LBB121_1270
; %bb.1269:
	global_load_ubyte v1, v[14:15], off
	s_waitcnt vmcnt(0)
	v_cvt_f32_ubyte0_e32 v7, v1
.LBB121_1270:
.LBB121_1271:
	s_lshr_b32 s0, s16, 16
	v_mov_b32_e32 v13, 0
	s_and_b32 s17, s0, 0xff
	s_cmp_lt_i32 s17, 11
	v_lshl_add_u64 v[12:13], s[6:7], 0, v[12:13]
	s_cbranch_scc1 .LBB121_1278
; %bb.1272:
	s_and_b32 s18, 0xffff, s17
	s_cmp_gt_i32 s18, 25
	s_mov_b64 s[8:9], 0
	s_cbranch_scc0 .LBB121_1280
; %bb.1273:
	s_cmp_gt_i32 s18, 28
	s_cbranch_scc0 .LBB121_1281
; %bb.1274:
	s_cmp_gt_i32 s18, 43
	s_cbranch_scc0 .LBB121_1282
; %bb.1275:
	s_cmp_gt_i32 s18, 45
	s_cbranch_scc0 .LBB121_1284
; %bb.1276:
	s_cmp_eq_u32 s18, 46
	s_mov_b64 s[12:13], 0
	s_cbranch_scc0 .LBB121_1287
; %bb.1277:
	global_load_dword v1, v[12:13], off
	s_mov_b64 s[0:1], 0
	s_mov_b64 s[10:11], -1
	s_waitcnt vmcnt(0)
	v_lshlrev_b32_e32 v5, 16, v1
	s_branch .LBB121_1288
.LBB121_1278:
	s_mov_b64 s[10:11], 0
                                        ; implicit-def: $vgpr5
	s_cbranch_execnz .LBB121_1353
.LBB121_1279:
	s_andn2_b64 vcc, exec, s[10:11]
	s_cbranch_vccnz .LBB121_2092
	s_branch .LBB121_1400
.LBB121_1280:
	s_mov_b64 s[10:11], 0
	s_mov_b64 s[0:1], 0
                                        ; implicit-def: $vgpr5
	s_cbranch_execnz .LBB121_1317
	s_branch .LBB121_1349
.LBB121_1281:
	s_mov_b64 s[12:13], -1
	s_mov_b64 s[10:11], 0
	s_mov_b64 s[0:1], 0
                                        ; implicit-def: $vgpr5
	s_branch .LBB121_1298
.LBB121_1282:
	s_mov_b64 s[12:13], -1
	s_mov_b64 s[10:11], 0
	s_mov_b64 s[0:1], 0
                                        ; implicit-def: $vgpr5
	s_branch .LBB121_1293
.LBB121_1283:
	s_or_b64 s[2:3], s[24:25], exec
	s_trap 2
	s_cbranch_execz .LBB121_1224
	s_branch .LBB121_1225
.LBB121_1284:
	s_mov_b64 s[12:13], -1
	s_mov_b64 s[10:11], 0
	s_mov_b64 s[0:1], 0
                                        ; implicit-def: $vgpr5
	s_branch .LBB121_1288
.LBB121_1285:
	s_andn2_saveexec_b64 s[14:15], s[14:15]
	s_cbranch_execz .LBB121_1015
.LBB121_1286:
	s_mov_b32 s18, 0x42800000
	v_add_f32_e64 v0, |v4|, s18
	v_and_b32_e32 v0, 0xff, v0
	v_cmp_ne_u32_e32 vcc, 0, v0
	s_andn2_b64 s[12:13], s[12:13], exec
	s_and_b64 s[18:19], vcc, exec
	s_or_b64 s[12:13], s[12:13], s[18:19]
	s_or_b64 exec, exec, s[14:15]
	v_mov_b32_e32 v1, 0
	s_and_saveexec_b64 s[14:15], s[12:13]
	s_cbranch_execnz .LBB121_1016
	s_branch .LBB121_1017
.LBB121_1287:
	s_mov_b64 s[0:1], -1
                                        ; implicit-def: $vgpr5
	s_mov_b64 s[10:11], 0
.LBB121_1288:
	s_and_b64 vcc, exec, s[12:13]
	s_cbranch_vccz .LBB121_1292
; %bb.1289:
	s_cmp_eq_u32 s18, 44
	s_cbranch_scc0 .LBB121_1291
; %bb.1290:
	global_load_ubyte v1, v[12:13], off
	s_movk_i32 s10, 0xff
	v_mov_b32_e32 v3, 0x7f800001
	v_mov_b32_e32 v5, 0x400000
	s_mov_b64 s[0:1], 0
	s_waitcnt vmcnt(0)
	v_lshlrev_b32_e32 v9, 23, v1
	v_cmp_ne_u32_e32 vcc, s10, v1
	s_mov_b64 s[10:11], -1
	s_nop 0
	v_cndmask_b32_e32 v3, v3, v9, vcc
	v_cmp_ne_u32_e32 vcc, 0, v1
	s_nop 1
	v_cndmask_b32_e32 v5, v5, v3, vcc
	s_branch .LBB121_1292
.LBB121_1291:
	s_mov_b64 s[0:1], -1
                                        ; implicit-def: $vgpr5
.LBB121_1292:
	s_mov_b64 s[12:13], 0
.LBB121_1293:
	s_and_b64 vcc, exec, s[12:13]
	s_cbranch_vccz .LBB121_1297
; %bb.1294:
	s_cmp_eq_u32 s18, 29
	s_cbranch_scc0 .LBB121_1296
; %bb.1295:
	global_load_dwordx2 v[14:15], v[12:13], off
	s_mov_b64 s[0:1], 0
	s_mov_b64 s[10:11], -1
	s_mov_b64 s[12:13], 0
	s_waitcnt vmcnt(0)
	v_ffbh_u32_e32 v1, v15
	v_min_u32_e32 v1, 32, v1
	v_lshlrev_b64 v[14:15], v1, v[14:15]
	v_min_u32_e32 v3, 1, v14
	v_or_b32_e32 v3, v15, v3
	v_cvt_f32_u32_e32 v3, v3
	v_sub_u32_e32 v1, 32, v1
	v_ldexp_f32 v5, v3, v1
	s_branch .LBB121_1298
.LBB121_1296:
	s_mov_b64 s[0:1], -1
                                        ; implicit-def: $vgpr5
.LBB121_1297:
	s_mov_b64 s[12:13], 0
.LBB121_1298:
	s_and_b64 vcc, exec, s[12:13]
	s_cbranch_vccz .LBB121_1316
; %bb.1299:
	s_cmp_lt_i32 s18, 27
	s_cbranch_scc1 .LBB121_1302
; %bb.1300:
	s_cmp_gt_i32 s18, 27
	s_cbranch_scc0 .LBB121_1303
; %bb.1301:
	global_load_dword v1, v[12:13], off
	s_mov_b64 s[10:11], 0
	s_waitcnt vmcnt(0)
	v_cvt_f32_u32_e32 v5, v1
	s_branch .LBB121_1304
.LBB121_1302:
	s_mov_b64 s[10:11], -1
                                        ; implicit-def: $vgpr5
	s_branch .LBB121_1307
.LBB121_1303:
	s_mov_b64 s[10:11], -1
                                        ; implicit-def: $vgpr5
.LBB121_1304:
	s_andn2_b64 vcc, exec, s[10:11]
	s_cbranch_vccnz .LBB121_1306
; %bb.1305:
	global_load_ushort v1, v[12:13], off
	s_waitcnt vmcnt(0)
	v_cvt_f32_u32_e32 v5, v1
.LBB121_1306:
	s_mov_b64 s[10:11], 0
.LBB121_1307:
	s_andn2_b64 vcc, exec, s[10:11]
	s_cbranch_vccnz .LBB121_1315
; %bb.1308:
	global_load_ubyte v1, v[12:13], off
	s_movk_i32 s10, 0x7f
	s_waitcnt vmcnt(0)
	v_cmp_lt_i16_e32 vcc, s10, v1
	s_mov_b64 s[10:11], 0
	s_and_saveexec_b64 s[12:13], vcc
	s_xor_b64 s[12:13], exec, s[12:13]
	s_cbranch_execz .LBB121_1328
; %bb.1309:
	s_movk_i32 s10, 0x80
	v_cmp_eq_u16_e32 vcc, s10, v1
	s_mov_b64 s[10:11], -1
	s_and_saveexec_b64 s[14:15], vcc
; %bb.1310:
	s_xor_b64 s[10:11], exec, -1
; %bb.1311:
	s_or_b64 exec, exec, s[14:15]
	s_and_b64 s[10:11], s[10:11], exec
	s_or_saveexec_b64 s[12:13], s[12:13]
	v_mov_b32_e32 v5, 0x7f800001
	s_xor_b64 exec, exec, s[12:13]
	s_cbranch_execnz .LBB121_1329
.LBB121_1312:
	s_or_b64 exec, exec, s[12:13]
	s_and_saveexec_b64 s[12:13], s[10:11]
	s_cbranch_execz .LBB121_1314
.LBB121_1313:
	v_lshlrev_b32_e32 v3, 24, v1
	v_and_b32_e32 v1, 0xffff, v1
	v_and_b32_e32 v5, 7, v1
	v_ffbh_u32_e32 v11, v5
	v_min_u32_e32 v11, 32, v11
	v_subrev_u32_e32 v14, 28, v11
	v_bfe_u32 v9, v1, 3, 4
	v_lshlrev_b32_e32 v1, v14, v1
	v_sub_u32_e32 v11, 29, v11
	v_and_b32_e32 v1, 7, v1
	v_cmp_eq_u32_e32 vcc, 0, v9
	v_and_b32_e32 v3, 0x80000000, v3
	s_nop 0
	v_cndmask_b32_e32 v9, v9, v11, vcc
	v_cndmask_b32_e32 v1, v5, v1, vcc
	v_mov_b32_e32 v5, 0x3b800000
	v_lshlrev_b32_e32 v1, 20, v1
	v_lshl_add_u32 v5, v9, 23, v5
	v_or3_b32 v5, v3, v5, v1
.LBB121_1314:
	s_or_b64 exec, exec, s[12:13]
.LBB121_1315:
	s_mov_b64 s[10:11], -1
.LBB121_1316:
	s_branch .LBB121_1349
.LBB121_1317:
	s_cmp_gt_i32 s18, 22
	s_cbranch_scc0 .LBB121_1327
; %bb.1318:
	s_cmp_lt_i32 s18, 24
	s_cbranch_scc1 .LBB121_1330
; %bb.1319:
	s_cmp_gt_i32 s18, 24
	s_cbranch_scc0 .LBB121_1331
; %bb.1320:
	global_load_ubyte v1, v[12:13], off
	s_movk_i32 s8, 0x7f
	s_waitcnt vmcnt(0)
	v_cmp_lt_i16_e32 vcc, s8, v1
	s_mov_b64 s[8:9], 0
	s_and_saveexec_b64 s[10:11], vcc
	s_xor_b64 s[10:11], exec, s[10:11]
	s_cbranch_execz .LBB121_1343
; %bb.1321:
	s_movk_i32 s8, 0x80
	v_cmp_eq_u16_e32 vcc, s8, v1
	s_mov_b64 s[8:9], -1
	s_and_saveexec_b64 s[12:13], vcc
; %bb.1322:
	s_xor_b64 s[8:9], exec, -1
; %bb.1323:
	s_or_b64 exec, exec, s[12:13]
	s_and_b64 s[8:9], s[8:9], exec
	s_or_saveexec_b64 s[10:11], s[10:11]
	v_mov_b32_e32 v5, 0x7f800001
	s_xor_b64 exec, exec, s[10:11]
	s_cbranch_execnz .LBB121_1344
.LBB121_1324:
	s_or_b64 exec, exec, s[10:11]
	s_and_saveexec_b64 s[10:11], s[8:9]
	s_cbranch_execz .LBB121_1326
.LBB121_1325:
	v_lshlrev_b32_e32 v3, 24, v1
	v_and_b32_e32 v1, 0xffff, v1
	v_and_b32_e32 v5, 3, v1
	v_ffbh_u32_e32 v11, v5
	v_min_u32_e32 v11, 32, v11
	v_subrev_u32_e32 v14, 29, v11
	v_bfe_u32 v9, v1, 2, 5
	v_lshlrev_b32_e32 v1, v14, v1
	v_sub_u32_e32 v11, 30, v11
	v_and_b32_e32 v1, 3, v1
	v_cmp_eq_u32_e32 vcc, 0, v9
	v_and_b32_e32 v3, 0x80000000, v3
	s_nop 0
	v_cndmask_b32_e32 v9, v9, v11, vcc
	v_cndmask_b32_e32 v1, v5, v1, vcc
	v_mov_b32_e32 v5, 0x37800000
	v_lshlrev_b32_e32 v1, 21, v1
	v_lshl_add_u32 v5, v9, 23, v5
	v_or3_b32 v5, v3, v5, v1
.LBB121_1326:
	s_or_b64 exec, exec, s[10:11]
	s_mov_b64 s[8:9], 0
	s_branch .LBB121_1332
.LBB121_1327:
	s_mov_b64 s[8:9], -1
                                        ; implicit-def: $vgpr5
	s_branch .LBB121_1338
.LBB121_1328:
	s_or_saveexec_b64 s[12:13], s[12:13]
	v_mov_b32_e32 v5, 0x7f800001
	s_xor_b64 exec, exec, s[12:13]
	s_cbranch_execz .LBB121_1312
.LBB121_1329:
	v_cmp_ne_u16_e32 vcc, 0, v1
	s_andn2_b64 s[10:11], s[10:11], exec
	s_and_b64 s[14:15], vcc, exec
	v_mov_b32_e32 v5, 0
	s_or_b64 s[10:11], s[10:11], s[14:15]
	s_or_b64 exec, exec, s[12:13]
	s_and_saveexec_b64 s[12:13], s[10:11]
	s_cbranch_execnz .LBB121_1313
	s_branch .LBB121_1314
.LBB121_1330:
	s_mov_b64 s[8:9], -1
                                        ; implicit-def: $vgpr5
	s_branch .LBB121_1335
.LBB121_1331:
	s_mov_b64 s[8:9], -1
                                        ; implicit-def: $vgpr5
.LBB121_1332:
	s_and_b64 vcc, exec, s[8:9]
	s_cbranch_vccz .LBB121_1334
; %bb.1333:
	global_load_ubyte v1, v[12:13], off
	s_mov_b32 s8, 0x7f800000
	s_waitcnt vmcnt(0)
	v_lshlrev_b32_e32 v1, 24, v1
	v_and_b32_e32 v3, 0x7f000000, v1
	v_ffbh_u32_e32 v5, v3
	v_min_u32_e32 v5, 32, v5
	v_sub_u32_e64 v5, v5, 4 clamp
	v_lshlrev_b32_e32 v11, v5, v3
	v_lshlrev_b32_e32 v5, 23, v5
	v_lshrrev_b32_e32 v11, 4, v11
	v_add_u32_e32 v9, 0x1000000, v3
	v_sub_u32_e32 v5, v11, v5
	v_ashrrev_i32_e32 v9, 8, v9
	v_add_u32_e32 v5, 0x3c000000, v5
	v_and_or_b32 v5, v9, s8, v5
	v_cmp_ne_u32_e32 vcc, 0, v3
	s_brev_b32 s8, 1
	s_nop 0
	v_cndmask_b32_e32 v3, 0, v5, vcc
	v_and_or_b32 v5, v1, s8, v3
.LBB121_1334:
	s_mov_b64 s[8:9], 0
.LBB121_1335:
	s_andn2_b64 vcc, exec, s[8:9]
	s_cbranch_vccnz .LBB121_1337
; %bb.1336:
	global_load_ubyte v1, v[12:13], off
	s_movk_i32 s8, 0x7f00
	s_brev_b32 s9, 16
	s_waitcnt vmcnt(0)
	v_lshlrev_b16_e32 v3, 8, v1
	v_lshlrev_b32_e32 v1, 25, v1
	v_lshrrev_b32_e32 v5, 4, v1
	v_and_or_b32 v9, v3, s8, 0.5
	v_or_b32_e32 v5, 0x70000000, v5
	v_add_f32_e32 v9, -0.5, v9
	v_mul_f32_e32 v5, 0x7800000, v5
	v_cmp_gt_u32_e32 vcc, s9, v1
	v_bfe_i32 v3, v3, 0, 16
	s_brev_b32 s8, 1
	v_cndmask_b32_e32 v1, v5, v9, vcc
	v_and_or_b32 v5, v3, s8, v1
.LBB121_1337:
	s_mov_b64 s[8:9], 0
	s_mov_b64 s[10:11], -1
.LBB121_1338:
	s_andn2_b64 vcc, exec, s[8:9]
	s_mov_b64 s[8:9], 0
	s_cbranch_vccnz .LBB121_1349
; %bb.1339:
	s_cmp_gt_i32 s18, 14
	s_cbranch_scc0 .LBB121_1342
; %bb.1340:
	s_cmp_eq_u32 s18, 15
	s_cbranch_scc0 .LBB121_1345
; %bb.1341:
	global_load_ushort v1, v[12:13], off
	s_mov_b64 s[0:1], 0
	s_mov_b64 s[10:11], -1
	s_waitcnt vmcnt(0)
	v_lshlrev_b32_e32 v5, 16, v1
	s_branch .LBB121_1346
.LBB121_1342:
	s_mov_b64 s[12:13], -1
                                        ; implicit-def: $vgpr5
	s_branch .LBB121_1347
.LBB121_1343:
	s_or_saveexec_b64 s[10:11], s[10:11]
	v_mov_b32_e32 v5, 0x7f800001
	s_xor_b64 exec, exec, s[10:11]
	s_cbranch_execz .LBB121_1324
.LBB121_1344:
	v_cmp_ne_u16_e32 vcc, 0, v1
	s_andn2_b64 s[8:9], s[8:9], exec
	s_and_b64 s[12:13], vcc, exec
	v_mov_b32_e32 v5, 0
	s_or_b64 s[8:9], s[8:9], s[12:13]
	s_or_b64 exec, exec, s[10:11]
	s_and_saveexec_b64 s[10:11], s[8:9]
	s_cbranch_execnz .LBB121_1325
	s_branch .LBB121_1326
.LBB121_1345:
	s_mov_b64 s[0:1], -1
                                        ; implicit-def: $vgpr5
.LBB121_1346:
	s_mov_b64 s[12:13], 0
.LBB121_1347:
	s_and_b64 vcc, exec, s[12:13]
	s_cbranch_vccz .LBB121_1349
; %bb.1348:
	s_cmp_lg_u32 s18, 11
	s_mov_b64 s[8:9], -1
	s_cselect_b64 s[0:1], -1, 0
.LBB121_1349:
	s_and_b64 vcc, exec, s[0:1]
	s_cbranch_vccnz .LBB121_1412
; %bb.1350:
	s_andn2_b64 vcc, exec, s[8:9]
	s_cbranch_vccnz .LBB121_1352
.LBB121_1351:
	global_load_ubyte v1, v[12:13], off
	s_mov_b64 s[10:11], -1
	s_waitcnt vmcnt(0)
	v_cmp_ne_u16_e32 vcc, 0, v1
	s_nop 1
	v_cndmask_b32_e64 v5, 0, 1.0, vcc
.LBB121_1352:
	s_branch .LBB121_1279
.LBB121_1353:
	s_and_b32 s8, 0xffff, s17
	s_cmp_lt_i32 s8, 5
	s_cbranch_scc1 .LBB121_1358
; %bb.1354:
	s_cmp_lt_i32 s8, 8
	s_cbranch_scc1 .LBB121_1359
; %bb.1355:
	;; [unrolled: 3-line block ×3, first 2 shown]
	s_cmp_gt_i32 s8, 9
	s_cbranch_scc0 .LBB121_1361
; %bb.1357:
	global_load_dwordx2 v[14:15], v[12:13], off
	s_mov_b64 s[0:1], 0
	s_waitcnt vmcnt(0)
	v_cvt_f32_f64_e32 v5, v[14:15]
	s_branch .LBB121_1362
.LBB121_1358:
                                        ; implicit-def: $vgpr5
	s_branch .LBB121_1380
.LBB121_1359:
	s_mov_b64 s[0:1], -1
                                        ; implicit-def: $vgpr5
	s_branch .LBB121_1368
.LBB121_1360:
	s_mov_b64 s[0:1], -1
                                        ; implicit-def: $vgpr5
	s_branch .LBB121_1365
.LBB121_1361:
	s_mov_b64 s[0:1], -1
                                        ; implicit-def: $vgpr5
.LBB121_1362:
	s_andn2_b64 vcc, exec, s[0:1]
	s_cbranch_vccnz .LBB121_1364
; %bb.1363:
	global_load_dword v5, v[12:13], off
.LBB121_1364:
	s_mov_b64 s[0:1], 0
.LBB121_1365:
	s_andn2_b64 vcc, exec, s[0:1]
	s_cbranch_vccnz .LBB121_1367
; %bb.1366:
	global_load_dword v1, v[12:13], off
	s_waitcnt vmcnt(0)
	v_cvt_f32_f16_e32 v5, v1
.LBB121_1367:
	s_mov_b64 s[0:1], 0
.LBB121_1368:
	s_andn2_b64 vcc, exec, s[0:1]
	s_cbranch_vccnz .LBB121_1379
; %bb.1369:
	s_cmp_lt_i32 s8, 6
	s_cbranch_scc1 .LBB121_1372
; %bb.1370:
	s_cmp_gt_i32 s8, 6
	s_cbranch_scc0 .LBB121_1373
; %bb.1371:
	global_load_dwordx2 v[14:15], v[12:13], off
	s_mov_b64 s[0:1], 0
	s_waitcnt vmcnt(0)
	v_cvt_f32_f64_e32 v5, v[14:15]
	s_branch .LBB121_1374
.LBB121_1372:
	s_mov_b64 s[0:1], -1
                                        ; implicit-def: $vgpr5
	s_branch .LBB121_1377
.LBB121_1373:
	s_mov_b64 s[0:1], -1
                                        ; implicit-def: $vgpr5
.LBB121_1374:
	s_andn2_b64 vcc, exec, s[0:1]
	s_cbranch_vccnz .LBB121_1376
; %bb.1375:
	global_load_dword v5, v[12:13], off
.LBB121_1376:
	s_mov_b64 s[0:1], 0
.LBB121_1377:
	s_andn2_b64 vcc, exec, s[0:1]
	s_cbranch_vccnz .LBB121_1379
; %bb.1378:
	global_load_ushort v1, v[12:13], off
	s_waitcnt vmcnt(0)
	v_cvt_f32_f16_e32 v5, v1
.LBB121_1379:
	s_cbranch_execnz .LBB121_1399
.LBB121_1380:
	s_cmp_lt_i32 s8, 2
	s_cbranch_scc1 .LBB121_1384
; %bb.1381:
	s_cmp_lt_i32 s8, 3
	s_cbranch_scc1 .LBB121_1385
; %bb.1382:
	s_cmp_gt_i32 s8, 3
	s_cbranch_scc0 .LBB121_1386
; %bb.1383:
	global_load_dwordx2 v[14:15], v[12:13], off
	s_mov_b64 s[0:1], 0
	s_waitcnt vmcnt(0)
	v_xor_b32_e32 v3, v14, v15
	v_ffbh_i32_e32 v1, v15
	v_ashrrev_i32_e32 v3, 31, v3
	v_add_u32_e32 v1, -1, v1
	v_add_u32_e32 v3, 32, v3
	v_min_u32_e32 v1, v1, v3
	v_lshlrev_b64 v[14:15], v1, v[14:15]
	v_min_u32_e32 v3, 1, v14
	v_or_b32_e32 v3, v15, v3
	v_cvt_f32_i32_e32 v3, v3
	v_sub_u32_e32 v1, 32, v1
	v_ldexp_f32 v5, v3, v1
	s_branch .LBB121_1387
.LBB121_1384:
	s_mov_b64 s[0:1], -1
                                        ; implicit-def: $vgpr5
	s_branch .LBB121_1393
.LBB121_1385:
	s_mov_b64 s[0:1], -1
                                        ; implicit-def: $vgpr5
	s_branch .LBB121_1390
.LBB121_1386:
	s_mov_b64 s[0:1], -1
                                        ; implicit-def: $vgpr5
.LBB121_1387:
	s_andn2_b64 vcc, exec, s[0:1]
	s_cbranch_vccnz .LBB121_1389
; %bb.1388:
	global_load_dword v1, v[12:13], off
	s_waitcnt vmcnt(0)
	v_cvt_f32_i32_e32 v5, v1
.LBB121_1389:
	s_mov_b64 s[0:1], 0
.LBB121_1390:
	s_andn2_b64 vcc, exec, s[0:1]
	s_cbranch_vccnz .LBB121_1392
; %bb.1391:
	global_load_sshort v1, v[12:13], off
	s_waitcnt vmcnt(0)
	v_cvt_f32_i32_e32 v5, v1
.LBB121_1392:
	s_mov_b64 s[0:1], 0
.LBB121_1393:
	s_andn2_b64 vcc, exec, s[0:1]
	s_cbranch_vccnz .LBB121_1399
; %bb.1394:
	s_cmp_gt_i32 s8, 0
	s_cbranch_scc0 .LBB121_1396
; %bb.1395:
	global_load_sbyte v1, v[12:13], off
	s_mov_b64 s[0:1], 0
	s_waitcnt vmcnt(0)
	v_cvt_f32_i32_e32 v5, v1
	s_branch .LBB121_1397
.LBB121_1396:
	s_mov_b64 s[0:1], -1
                                        ; implicit-def: $vgpr5
.LBB121_1397:
	s_andn2_b64 vcc, exec, s[0:1]
	s_cbranch_vccnz .LBB121_1399
; %bb.1398:
	global_load_ubyte v1, v[12:13], off
	s_waitcnt vmcnt(0)
	v_cvt_f32_ubyte0_e32 v5, v1
.LBB121_1399:
.LBB121_1400:
	v_mov_b32_e32 v11, 0
	s_cmp_lt_i32 s17, 11
	v_lshl_add_u64 v[10:11], s[6:7], 0, v[10:11]
	s_cbranch_scc1 .LBB121_1407
; %bb.1401:
	s_and_b32 s18, 0xffff, s17
	s_cmp_gt_i32 s18, 25
	s_mov_b64 s[8:9], 0
	s_cbranch_scc0 .LBB121_1409
; %bb.1402:
	s_cmp_gt_i32 s18, 28
	s_cbranch_scc0 .LBB121_1410
; %bb.1403:
	s_cmp_gt_i32 s18, 43
	s_cbranch_scc0 .LBB121_1411
; %bb.1404:
	s_cmp_gt_i32 s18, 45
	s_cbranch_scc0 .LBB121_1413
; %bb.1405:
	s_cmp_eq_u32 s18, 46
	s_mov_b64 s[12:13], 0
	s_cbranch_scc0 .LBB121_1414
; %bb.1406:
	global_load_dword v1, v[10:11], off
	s_mov_b64 s[0:1], 0
	s_mov_b64 s[10:11], -1
	s_waitcnt vmcnt(0)
	v_lshlrev_b32_e32 v3, 16, v1
	s_branch .LBB121_1415
.LBB121_1407:
	s_mov_b64 s[10:11], 0
                                        ; implicit-def: $vgpr3
	s_cbranch_execnz .LBB121_1481
.LBB121_1408:
	s_andn2_b64 vcc, exec, s[10:11]
	s_cbranch_vccnz .LBB121_2092
	s_branch .LBB121_1529
.LBB121_1409:
	s_mov_b64 s[12:13], -1
	s_mov_b64 s[10:11], 0
	s_mov_b64 s[0:1], 0
                                        ; implicit-def: $vgpr3
	s_branch .LBB121_1444
.LBB121_1410:
	s_mov_b64 s[12:13], -1
	s_mov_b64 s[10:11], 0
	s_mov_b64 s[0:1], 0
                                        ; implicit-def: $vgpr3
	s_branch .LBB121_1425
.LBB121_1411:
	s_mov_b64 s[12:13], -1
	s_mov_b64 s[10:11], 0
	s_mov_b64 s[0:1], 0
                                        ; implicit-def: $vgpr3
	s_branch .LBB121_1420
.LBB121_1412:
	s_trap 2
	s_or_b64 s[2:3], s[2:3], exec
	s_cbranch_execz .LBB121_1351
	s_branch .LBB121_1352
.LBB121_1413:
	s_mov_b64 s[12:13], -1
	s_mov_b64 s[10:11], 0
	s_mov_b64 s[0:1], 0
                                        ; implicit-def: $vgpr3
	s_branch .LBB121_1415
.LBB121_1414:
	s_mov_b64 s[0:1], -1
                                        ; implicit-def: $vgpr3
	s_mov_b64 s[10:11], 0
.LBB121_1415:
	s_and_b64 vcc, exec, s[12:13]
	s_cbranch_vccz .LBB121_1419
; %bb.1416:
	s_cmp_eq_u32 s18, 44
	s_cbranch_scc0 .LBB121_1418
; %bb.1417:
	global_load_ubyte v1, v[10:11], off
	s_movk_i32 s10, 0xff
	v_mov_b32_e32 v3, 0x7f800001
	v_mov_b32_e32 v9, 0x400000
	s_mov_b64 s[0:1], 0
	s_waitcnt vmcnt(0)
	v_lshlrev_b32_e32 v12, 23, v1
	v_cmp_ne_u32_e32 vcc, s10, v1
	s_mov_b64 s[10:11], -1
	s_nop 0
	v_cndmask_b32_e32 v3, v3, v12, vcc
	v_cmp_ne_u32_e32 vcc, 0, v1
	s_nop 1
	v_cndmask_b32_e32 v3, v9, v3, vcc
	s_branch .LBB121_1419
.LBB121_1418:
	s_mov_b64 s[0:1], -1
                                        ; implicit-def: $vgpr3
.LBB121_1419:
	s_mov_b64 s[12:13], 0
.LBB121_1420:
	s_and_b64 vcc, exec, s[12:13]
	s_cbranch_vccz .LBB121_1424
; %bb.1421:
	s_cmp_eq_u32 s18, 29
	s_cbranch_scc0 .LBB121_1423
; %bb.1422:
	global_load_dwordx2 v[12:13], v[10:11], off
	s_mov_b64 s[0:1], 0
	s_mov_b64 s[10:11], -1
	s_mov_b64 s[12:13], 0
	s_waitcnt vmcnt(0)
	v_ffbh_u32_e32 v1, v13
	v_min_u32_e32 v1, 32, v1
	v_lshlrev_b64 v[12:13], v1, v[12:13]
	v_min_u32_e32 v3, 1, v12
	v_or_b32_e32 v3, v13, v3
	v_cvt_f32_u32_e32 v3, v3
	v_sub_u32_e32 v1, 32, v1
	v_ldexp_f32 v3, v3, v1
	s_branch .LBB121_1425
.LBB121_1423:
	s_mov_b64 s[0:1], -1
                                        ; implicit-def: $vgpr3
.LBB121_1424:
	s_mov_b64 s[12:13], 0
.LBB121_1425:
	s_and_b64 vcc, exec, s[12:13]
	s_cbranch_vccz .LBB121_1443
; %bb.1426:
	s_cmp_lt_i32 s18, 27
	s_cbranch_scc1 .LBB121_1429
; %bb.1427:
	s_cmp_gt_i32 s18, 27
	s_cbranch_scc0 .LBB121_1430
; %bb.1428:
	global_load_dword v1, v[10:11], off
	s_mov_b64 s[10:11], 0
	s_waitcnt vmcnt(0)
	v_cvt_f32_u32_e32 v3, v1
	s_branch .LBB121_1431
.LBB121_1429:
	s_mov_b64 s[10:11], -1
                                        ; implicit-def: $vgpr3
	s_branch .LBB121_1434
.LBB121_1430:
	s_mov_b64 s[10:11], -1
                                        ; implicit-def: $vgpr3
.LBB121_1431:
	s_andn2_b64 vcc, exec, s[10:11]
	s_cbranch_vccnz .LBB121_1433
; %bb.1432:
	global_load_ushort v1, v[10:11], off
	s_waitcnt vmcnt(0)
	v_cvt_f32_u32_e32 v3, v1
.LBB121_1433:
	s_mov_b64 s[10:11], 0
.LBB121_1434:
	s_andn2_b64 vcc, exec, s[10:11]
	s_cbranch_vccnz .LBB121_1442
; %bb.1435:
	global_load_ubyte v1, v[10:11], off
	s_movk_i32 s10, 0x7f
	s_waitcnt vmcnt(0)
	v_cmp_lt_i16_e32 vcc, s10, v1
	s_mov_b64 s[10:11], 0
	s_and_saveexec_b64 s[12:13], vcc
	s_xor_b64 s[12:13], exec, s[12:13]
	s_cbranch_execz .LBB121_1456
; %bb.1436:
	s_movk_i32 s10, 0x80
	v_cmp_eq_u16_e32 vcc, s10, v1
	s_mov_b64 s[10:11], -1
	s_and_saveexec_b64 s[14:15], vcc
; %bb.1437:
	s_xor_b64 s[10:11], exec, -1
; %bb.1438:
	s_or_b64 exec, exec, s[14:15]
	s_and_b64 s[10:11], s[10:11], exec
	s_or_saveexec_b64 s[12:13], s[12:13]
	v_mov_b32_e32 v3, 0x7f800001
	s_xor_b64 exec, exec, s[12:13]
	s_cbranch_execnz .LBB121_1457
.LBB121_1439:
	s_or_b64 exec, exec, s[12:13]
	s_and_saveexec_b64 s[12:13], s[10:11]
	s_cbranch_execz .LBB121_1441
.LBB121_1440:
	v_lshlrev_b32_e32 v3, 24, v1
	v_and_b32_e32 v1, 0xffff, v1
	v_and_b32_e32 v9, 7, v1
	v_ffbh_u32_e32 v13, v9
	v_min_u32_e32 v13, 32, v13
	v_subrev_u32_e32 v14, 28, v13
	v_bfe_u32 v12, v1, 3, 4
	v_lshlrev_b32_e32 v1, v14, v1
	v_sub_u32_e32 v13, 29, v13
	v_and_b32_e32 v1, 7, v1
	v_cmp_eq_u32_e32 vcc, 0, v12
	v_and_b32_e32 v3, 0x80000000, v3
	s_nop 0
	v_cndmask_b32_e32 v12, v12, v13, vcc
	v_cndmask_b32_e32 v1, v9, v1, vcc
	v_mov_b32_e32 v9, 0x3b800000
	v_lshlrev_b32_e32 v1, 20, v1
	v_lshl_add_u32 v9, v12, 23, v9
	v_or3_b32 v3, v3, v9, v1
.LBB121_1441:
	s_or_b64 exec, exec, s[12:13]
.LBB121_1442:
	s_mov_b64 s[10:11], -1
.LBB121_1443:
	s_mov_b64 s[12:13], 0
.LBB121_1444:
	s_and_b64 vcc, exec, s[12:13]
	s_cbranch_vccz .LBB121_1477
; %bb.1445:
	s_cmp_gt_i32 s18, 22
	s_cbranch_scc0 .LBB121_1455
; %bb.1446:
	s_cmp_lt_i32 s18, 24
	s_cbranch_scc1 .LBB121_1458
; %bb.1447:
	s_cmp_gt_i32 s18, 24
	s_cbranch_scc0 .LBB121_1459
; %bb.1448:
	global_load_ubyte v1, v[10:11], off
	s_movk_i32 s8, 0x7f
	s_waitcnt vmcnt(0)
	v_cmp_lt_i16_e32 vcc, s8, v1
	s_mov_b64 s[8:9], 0
	s_and_saveexec_b64 s[10:11], vcc
	s_xor_b64 s[10:11], exec, s[10:11]
	s_cbranch_execz .LBB121_1471
; %bb.1449:
	s_movk_i32 s8, 0x80
	v_cmp_eq_u16_e32 vcc, s8, v1
	s_mov_b64 s[8:9], -1
	s_and_saveexec_b64 s[12:13], vcc
; %bb.1450:
	s_xor_b64 s[8:9], exec, -1
; %bb.1451:
	s_or_b64 exec, exec, s[12:13]
	s_and_b64 s[8:9], s[8:9], exec
	s_or_saveexec_b64 s[10:11], s[10:11]
	v_mov_b32_e32 v3, 0x7f800001
	s_xor_b64 exec, exec, s[10:11]
	s_cbranch_execnz .LBB121_1472
.LBB121_1452:
	s_or_b64 exec, exec, s[10:11]
	s_and_saveexec_b64 s[10:11], s[8:9]
	s_cbranch_execz .LBB121_1454
.LBB121_1453:
	v_lshlrev_b32_e32 v3, 24, v1
	v_and_b32_e32 v1, 0xffff, v1
	v_and_b32_e32 v9, 3, v1
	v_ffbh_u32_e32 v13, v9
	v_min_u32_e32 v13, 32, v13
	v_subrev_u32_e32 v14, 29, v13
	v_bfe_u32 v12, v1, 2, 5
	v_lshlrev_b32_e32 v1, v14, v1
	v_sub_u32_e32 v13, 30, v13
	v_and_b32_e32 v1, 3, v1
	v_cmp_eq_u32_e32 vcc, 0, v12
	v_and_b32_e32 v3, 0x80000000, v3
	s_nop 0
	v_cndmask_b32_e32 v12, v12, v13, vcc
	v_cndmask_b32_e32 v1, v9, v1, vcc
	v_mov_b32_e32 v9, 0x37800000
	v_lshlrev_b32_e32 v1, 21, v1
	v_lshl_add_u32 v9, v12, 23, v9
	v_or3_b32 v3, v3, v9, v1
.LBB121_1454:
	s_or_b64 exec, exec, s[10:11]
	s_mov_b64 s[8:9], 0
	s_branch .LBB121_1460
.LBB121_1455:
	s_mov_b64 s[8:9], -1
                                        ; implicit-def: $vgpr3
	s_branch .LBB121_1466
.LBB121_1456:
	s_or_saveexec_b64 s[12:13], s[12:13]
	v_mov_b32_e32 v3, 0x7f800001
	s_xor_b64 exec, exec, s[12:13]
	s_cbranch_execz .LBB121_1439
.LBB121_1457:
	v_cmp_ne_u16_e32 vcc, 0, v1
	s_andn2_b64 s[10:11], s[10:11], exec
	s_and_b64 s[14:15], vcc, exec
	v_mov_b32_e32 v3, 0
	s_or_b64 s[10:11], s[10:11], s[14:15]
	s_or_b64 exec, exec, s[12:13]
	s_and_saveexec_b64 s[12:13], s[10:11]
	s_cbranch_execnz .LBB121_1440
	s_branch .LBB121_1441
.LBB121_1458:
	s_mov_b64 s[8:9], -1
                                        ; implicit-def: $vgpr3
	s_branch .LBB121_1463
.LBB121_1459:
	s_mov_b64 s[8:9], -1
                                        ; implicit-def: $vgpr3
.LBB121_1460:
	s_and_b64 vcc, exec, s[8:9]
	s_cbranch_vccz .LBB121_1462
; %bb.1461:
	global_load_ubyte v1, v[10:11], off
	s_mov_b32 s8, 0x7f800000
	s_waitcnt vmcnt(0)
	v_lshlrev_b32_e32 v1, 24, v1
	v_and_b32_e32 v3, 0x7f000000, v1
	v_ffbh_u32_e32 v9, v3
	v_min_u32_e32 v9, 32, v9
	v_sub_u32_e64 v9, v9, 4 clamp
	v_lshlrev_b32_e32 v13, v9, v3
	v_lshlrev_b32_e32 v9, 23, v9
	v_lshrrev_b32_e32 v13, 4, v13
	v_add_u32_e32 v12, 0x1000000, v3
	v_sub_u32_e32 v9, v13, v9
	v_ashrrev_i32_e32 v12, 8, v12
	v_add_u32_e32 v9, 0x3c000000, v9
	v_and_or_b32 v9, v12, s8, v9
	v_cmp_ne_u32_e32 vcc, 0, v3
	s_brev_b32 s8, 1
	s_nop 0
	v_cndmask_b32_e32 v3, 0, v9, vcc
	v_and_or_b32 v3, v1, s8, v3
.LBB121_1462:
	s_mov_b64 s[8:9], 0
.LBB121_1463:
	s_andn2_b64 vcc, exec, s[8:9]
	s_cbranch_vccnz .LBB121_1465
; %bb.1464:
	global_load_ubyte v1, v[10:11], off
	s_movk_i32 s8, 0x7f00
	s_brev_b32 s9, 16
	s_waitcnt vmcnt(0)
	v_lshlrev_b16_e32 v3, 8, v1
	v_lshlrev_b32_e32 v1, 25, v1
	v_lshrrev_b32_e32 v9, 4, v1
	v_and_or_b32 v12, v3, s8, 0.5
	v_or_b32_e32 v9, 0x70000000, v9
	v_add_f32_e32 v12, -0.5, v12
	v_mul_f32_e32 v9, 0x7800000, v9
	v_cmp_gt_u32_e32 vcc, s9, v1
	v_bfe_i32 v3, v3, 0, 16
	s_brev_b32 s8, 1
	v_cndmask_b32_e32 v1, v9, v12, vcc
	v_and_or_b32 v3, v3, s8, v1
.LBB121_1465:
	s_mov_b64 s[8:9], 0
	s_mov_b64 s[10:11], -1
.LBB121_1466:
	s_andn2_b64 vcc, exec, s[8:9]
	s_mov_b64 s[8:9], 0
	s_cbranch_vccnz .LBB121_1477
; %bb.1467:
	s_cmp_gt_i32 s18, 14
	s_cbranch_scc0 .LBB121_1470
; %bb.1468:
	s_cmp_eq_u32 s18, 15
	s_cbranch_scc0 .LBB121_1473
; %bb.1469:
	global_load_ushort v1, v[10:11], off
	s_mov_b64 s[0:1], 0
	s_mov_b64 s[10:11], -1
	s_waitcnt vmcnt(0)
	v_lshlrev_b32_e32 v3, 16, v1
	s_branch .LBB121_1474
.LBB121_1470:
	s_mov_b64 s[12:13], -1
                                        ; implicit-def: $vgpr3
	s_branch .LBB121_1475
.LBB121_1471:
	s_or_saveexec_b64 s[10:11], s[10:11]
	v_mov_b32_e32 v3, 0x7f800001
	s_xor_b64 exec, exec, s[10:11]
	s_cbranch_execz .LBB121_1452
.LBB121_1472:
	v_cmp_ne_u16_e32 vcc, 0, v1
	s_andn2_b64 s[8:9], s[8:9], exec
	s_and_b64 s[12:13], vcc, exec
	v_mov_b32_e32 v3, 0
	s_or_b64 s[8:9], s[8:9], s[12:13]
	s_or_b64 exec, exec, s[10:11]
	s_and_saveexec_b64 s[10:11], s[8:9]
	s_cbranch_execnz .LBB121_1453
	s_branch .LBB121_1454
.LBB121_1473:
	s_mov_b64 s[0:1], -1
                                        ; implicit-def: $vgpr3
.LBB121_1474:
	s_mov_b64 s[12:13], 0
.LBB121_1475:
	s_and_b64 vcc, exec, s[12:13]
	s_cbranch_vccz .LBB121_1477
; %bb.1476:
	s_cmp_lg_u32 s18, 11
	s_mov_b64 s[8:9], -1
	s_cselect_b64 s[0:1], -1, 0
.LBB121_1477:
	s_and_b64 vcc, exec, s[0:1]
	s_cbranch_vccnz .LBB121_1540
; %bb.1478:
	s_andn2_b64 vcc, exec, s[8:9]
	s_cbranch_vccnz .LBB121_1480
.LBB121_1479:
	global_load_ubyte v1, v[10:11], off
	s_mov_b64 s[10:11], -1
	s_waitcnt vmcnt(0)
	v_cmp_ne_u16_e32 vcc, 0, v1
	s_nop 1
	v_cndmask_b32_e64 v3, 0, 1.0, vcc
.LBB121_1480:
	s_branch .LBB121_1408
.LBB121_1481:
	s_and_b32 s8, 0xffff, s17
	s_cmp_lt_i32 s8, 5
	s_cbranch_scc1 .LBB121_1486
; %bb.1482:
	s_cmp_lt_i32 s8, 8
	s_cbranch_scc1 .LBB121_1487
; %bb.1483:
	;; [unrolled: 3-line block ×3, first 2 shown]
	s_cmp_gt_i32 s8, 9
	s_cbranch_scc0 .LBB121_1489
; %bb.1485:
	global_load_dwordx2 v[12:13], v[10:11], off
	s_mov_b64 s[0:1], 0
	s_waitcnt vmcnt(0)
	v_cvt_f32_f64_e32 v3, v[12:13]
	s_branch .LBB121_1490
.LBB121_1486:
	s_mov_b64 s[0:1], -1
                                        ; implicit-def: $vgpr3
	s_branch .LBB121_1508
.LBB121_1487:
	s_mov_b64 s[0:1], -1
                                        ; implicit-def: $vgpr3
	s_branch .LBB121_1496
.LBB121_1488:
	s_mov_b64 s[0:1], -1
                                        ; implicit-def: $vgpr3
	s_branch .LBB121_1493
.LBB121_1489:
	s_mov_b64 s[0:1], -1
                                        ; implicit-def: $vgpr3
.LBB121_1490:
	s_andn2_b64 vcc, exec, s[0:1]
	s_cbranch_vccnz .LBB121_1492
; %bb.1491:
	global_load_dword v3, v[10:11], off
.LBB121_1492:
	s_mov_b64 s[0:1], 0
.LBB121_1493:
	s_andn2_b64 vcc, exec, s[0:1]
	s_cbranch_vccnz .LBB121_1495
; %bb.1494:
	global_load_dword v1, v[10:11], off
	s_waitcnt vmcnt(0)
	v_cvt_f32_f16_e32 v3, v1
.LBB121_1495:
	s_mov_b64 s[0:1], 0
.LBB121_1496:
	s_andn2_b64 vcc, exec, s[0:1]
	s_cbranch_vccnz .LBB121_1507
; %bb.1497:
	s_cmp_lt_i32 s8, 6
	s_cbranch_scc1 .LBB121_1500
; %bb.1498:
	s_cmp_gt_i32 s8, 6
	s_cbranch_scc0 .LBB121_1501
; %bb.1499:
	global_load_dwordx2 v[12:13], v[10:11], off
	s_mov_b64 s[0:1], 0
	s_waitcnt vmcnt(0)
	v_cvt_f32_f64_e32 v3, v[12:13]
	s_branch .LBB121_1502
.LBB121_1500:
	s_mov_b64 s[0:1], -1
                                        ; implicit-def: $vgpr3
	s_branch .LBB121_1505
.LBB121_1501:
	s_mov_b64 s[0:1], -1
                                        ; implicit-def: $vgpr3
.LBB121_1502:
	s_andn2_b64 vcc, exec, s[0:1]
	s_cbranch_vccnz .LBB121_1504
; %bb.1503:
	global_load_dword v3, v[10:11], off
.LBB121_1504:
	s_mov_b64 s[0:1], 0
.LBB121_1505:
	s_andn2_b64 vcc, exec, s[0:1]
	s_cbranch_vccnz .LBB121_1507
; %bb.1506:
	global_load_ushort v1, v[10:11], off
	s_waitcnt vmcnt(0)
	v_cvt_f32_f16_e32 v3, v1
.LBB121_1507:
	s_mov_b64 s[0:1], 0
.LBB121_1508:
	s_andn2_b64 vcc, exec, s[0:1]
	s_cbranch_vccnz .LBB121_1528
; %bb.1509:
	s_cmp_lt_i32 s8, 2
	s_cbranch_scc1 .LBB121_1513
; %bb.1510:
	s_cmp_lt_i32 s8, 3
	s_cbranch_scc1 .LBB121_1514
; %bb.1511:
	s_cmp_gt_i32 s8, 3
	s_cbranch_scc0 .LBB121_1515
; %bb.1512:
	global_load_dwordx2 v[12:13], v[10:11], off
	s_mov_b64 s[0:1], 0
	s_waitcnt vmcnt(0)
	v_xor_b32_e32 v3, v12, v13
	v_ffbh_i32_e32 v1, v13
	v_ashrrev_i32_e32 v3, 31, v3
	v_add_u32_e32 v1, -1, v1
	v_add_u32_e32 v3, 32, v3
	v_min_u32_e32 v1, v1, v3
	v_lshlrev_b64 v[12:13], v1, v[12:13]
	v_min_u32_e32 v3, 1, v12
	v_or_b32_e32 v3, v13, v3
	v_cvt_f32_i32_e32 v3, v3
	v_sub_u32_e32 v1, 32, v1
	v_ldexp_f32 v3, v3, v1
	s_branch .LBB121_1516
.LBB121_1513:
	s_mov_b64 s[0:1], -1
                                        ; implicit-def: $vgpr3
	s_branch .LBB121_1522
.LBB121_1514:
	s_mov_b64 s[0:1], -1
                                        ; implicit-def: $vgpr3
	s_branch .LBB121_1519
.LBB121_1515:
	s_mov_b64 s[0:1], -1
                                        ; implicit-def: $vgpr3
.LBB121_1516:
	s_andn2_b64 vcc, exec, s[0:1]
	s_cbranch_vccnz .LBB121_1518
; %bb.1517:
	global_load_dword v1, v[10:11], off
	s_waitcnt vmcnt(0)
	v_cvt_f32_i32_e32 v3, v1
.LBB121_1518:
	s_mov_b64 s[0:1], 0
.LBB121_1519:
	s_andn2_b64 vcc, exec, s[0:1]
	s_cbranch_vccnz .LBB121_1521
; %bb.1520:
	global_load_sshort v1, v[10:11], off
	s_waitcnt vmcnt(0)
	v_cvt_f32_i32_e32 v3, v1
.LBB121_1521:
	s_mov_b64 s[0:1], 0
.LBB121_1522:
	s_andn2_b64 vcc, exec, s[0:1]
	s_cbranch_vccnz .LBB121_1528
; %bb.1523:
	s_cmp_gt_i32 s8, 0
	s_cbranch_scc0 .LBB121_1525
; %bb.1524:
	global_load_sbyte v1, v[10:11], off
	s_mov_b64 s[0:1], 0
	s_waitcnt vmcnt(0)
	v_cvt_f32_i32_e32 v3, v1
	s_branch .LBB121_1526
.LBB121_1525:
	s_mov_b64 s[0:1], -1
                                        ; implicit-def: $vgpr3
.LBB121_1526:
	s_andn2_b64 vcc, exec, s[0:1]
	s_cbranch_vccnz .LBB121_1528
; %bb.1527:
	global_load_ubyte v1, v[10:11], off
	s_waitcnt vmcnt(0)
	v_cvt_f32_ubyte0_e32 v3, v1
.LBB121_1528:
.LBB121_1529:
	v_mov_b32_e32 v9, 0
	s_cmp_lt_i32 s17, 11
	v_lshl_add_u64 v[8:9], s[6:7], 0, v[8:9]
	s_cbranch_scc1 .LBB121_1536
; %bb.1530:
	s_and_b32 s14, 0xffff, s17
	s_cmp_gt_i32 s14, 25
	s_mov_b64 s[6:7], 0
	s_cbranch_scc0 .LBB121_1537
; %bb.1531:
	s_cmp_gt_i32 s14, 28
	s_cbranch_scc0 .LBB121_1538
; %bb.1532:
	s_cmp_gt_i32 s14, 43
	;; [unrolled: 3-line block ×3, first 2 shown]
	s_cbranch_scc0 .LBB121_1541
; %bb.1534:
	s_cmp_eq_u32 s14, 46
	s_mov_b64 s[10:11], 0
	s_cbranch_scc0 .LBB121_1542
; %bb.1535:
	global_load_dword v1, v[8:9], off
	s_mov_b64 s[0:1], 0
	s_mov_b64 s[8:9], -1
	s_waitcnt vmcnt(0)
	v_lshlrev_b32_e32 v1, 16, v1
	s_branch .LBB121_1543
.LBB121_1536:
	s_mov_b64 s[0:1], -1
	s_mov_b64 s[8:9], 0
                                        ; implicit-def: $vgpr1
	s_branch .LBB121_1609
.LBB121_1537:
	s_mov_b64 s[10:11], -1
	s_mov_b64 s[8:9], 0
	s_mov_b64 s[0:1], 0
                                        ; implicit-def: $vgpr1
	s_branch .LBB121_1572
.LBB121_1538:
	s_mov_b64 s[10:11], -1
	s_mov_b64 s[8:9], 0
	s_mov_b64 s[0:1], 0
                                        ; implicit-def: $vgpr1
	s_branch .LBB121_1553
.LBB121_1539:
	s_mov_b64 s[10:11], -1
	s_mov_b64 s[8:9], 0
	s_mov_b64 s[0:1], 0
                                        ; implicit-def: $vgpr1
	s_branch .LBB121_1548
.LBB121_1540:
	s_trap 2
	s_or_b64 s[2:3], s[2:3], exec
	s_cbranch_execz .LBB121_1479
	s_branch .LBB121_1480
.LBB121_1541:
	s_mov_b64 s[10:11], -1
	s_mov_b64 s[8:9], 0
	s_mov_b64 s[0:1], 0
                                        ; implicit-def: $vgpr1
	s_branch .LBB121_1543
.LBB121_1542:
	s_mov_b64 s[0:1], -1
                                        ; implicit-def: $vgpr1
	s_mov_b64 s[8:9], 0
.LBB121_1543:
	s_and_b64 vcc, exec, s[10:11]
	s_cbranch_vccz .LBB121_1547
; %bb.1544:
	s_cmp_eq_u32 s14, 44
	s_cbranch_scc0 .LBB121_1546
; %bb.1545:
	global_load_ubyte v1, v[8:9], off
	s_movk_i32 s8, 0xff
	v_mov_b32_e32 v10, 0x7f800001
	v_mov_b32_e32 v11, 0x400000
	s_mov_b64 s[0:1], 0
	s_waitcnt vmcnt(0)
	v_lshlrev_b32_e32 v12, 23, v1
	v_cmp_ne_u32_e32 vcc, s8, v1
	s_mov_b64 s[8:9], -1
	s_nop 0
	v_cndmask_b32_e32 v10, v10, v12, vcc
	v_cmp_ne_u32_e32 vcc, 0, v1
	s_nop 1
	v_cndmask_b32_e32 v1, v11, v10, vcc
	s_branch .LBB121_1547
.LBB121_1546:
	s_mov_b64 s[0:1], -1
                                        ; implicit-def: $vgpr1
.LBB121_1547:
	s_mov_b64 s[10:11], 0
.LBB121_1548:
	s_and_b64 vcc, exec, s[10:11]
	s_cbranch_vccz .LBB121_1552
; %bb.1549:
	s_cmp_eq_u32 s14, 29
	s_cbranch_scc0 .LBB121_1551
; %bb.1550:
	global_load_dwordx2 v[10:11], v[8:9], off
	s_mov_b64 s[0:1], 0
	s_mov_b64 s[8:9], -1
	s_mov_b64 s[10:11], 0
	s_waitcnt vmcnt(0)
	v_ffbh_u32_e32 v1, v11
	v_min_u32_e32 v1, 32, v1
	v_lshlrev_b64 v[10:11], v1, v[10:11]
	v_min_u32_e32 v10, 1, v10
	v_or_b32_e32 v10, v11, v10
	v_cvt_f32_u32_e32 v10, v10
	v_sub_u32_e32 v1, 32, v1
	v_ldexp_f32 v1, v10, v1
	s_branch .LBB121_1553
.LBB121_1551:
	s_mov_b64 s[0:1], -1
                                        ; implicit-def: $vgpr1
.LBB121_1552:
	s_mov_b64 s[10:11], 0
.LBB121_1553:
	s_and_b64 vcc, exec, s[10:11]
	s_cbranch_vccz .LBB121_1571
; %bb.1554:
	s_cmp_lt_i32 s14, 27
	s_cbranch_scc1 .LBB121_1557
; %bb.1555:
	s_cmp_gt_i32 s14, 27
	s_cbranch_scc0 .LBB121_1558
; %bb.1556:
	global_load_dword v1, v[8:9], off
	s_mov_b64 s[8:9], 0
	s_waitcnt vmcnt(0)
	v_cvt_f32_u32_e32 v1, v1
	s_branch .LBB121_1559
.LBB121_1557:
	s_mov_b64 s[8:9], -1
                                        ; implicit-def: $vgpr1
	s_branch .LBB121_1562
.LBB121_1558:
	s_mov_b64 s[8:9], -1
                                        ; implicit-def: $vgpr1
.LBB121_1559:
	s_andn2_b64 vcc, exec, s[8:9]
	s_cbranch_vccnz .LBB121_1561
; %bb.1560:
	global_load_ushort v1, v[8:9], off
	s_waitcnt vmcnt(0)
	v_cvt_f32_u32_e32 v1, v1
.LBB121_1561:
	s_mov_b64 s[8:9], 0
.LBB121_1562:
	s_andn2_b64 vcc, exec, s[8:9]
	s_cbranch_vccnz .LBB121_1570
; %bb.1563:
	global_load_ubyte v10, v[8:9], off
	s_movk_i32 s8, 0x7f
	s_waitcnt vmcnt(0)
	v_cmp_lt_i16_e32 vcc, s8, v10
	s_mov_b64 s[8:9], 0
	s_and_saveexec_b64 s[10:11], vcc
	s_xor_b64 s[10:11], exec, s[10:11]
	s_cbranch_execz .LBB121_1584
; %bb.1564:
	s_movk_i32 s8, 0x80
	v_cmp_eq_u16_e32 vcc, s8, v10
	s_mov_b64 s[8:9], -1
	s_and_saveexec_b64 s[12:13], vcc
; %bb.1565:
	s_xor_b64 s[8:9], exec, -1
; %bb.1566:
	s_or_b64 exec, exec, s[12:13]
	s_and_b64 s[8:9], s[8:9], exec
	s_or_saveexec_b64 s[10:11], s[10:11]
	v_mov_b32_e32 v1, 0x7f800001
	s_xor_b64 exec, exec, s[10:11]
	s_cbranch_execnz .LBB121_1585
.LBB121_1567:
	s_or_b64 exec, exec, s[10:11]
	s_and_saveexec_b64 s[10:11], s[8:9]
	s_cbranch_execz .LBB121_1569
.LBB121_1568:
	v_lshlrev_b32_e32 v1, 24, v10
	v_and_b32_e32 v10, 0xffff, v10
	v_and_b32_e32 v11, 7, v10
	v_ffbh_u32_e32 v13, v11
	v_min_u32_e32 v13, 32, v13
	v_subrev_u32_e32 v14, 28, v13
	v_bfe_u32 v12, v10, 3, 4
	v_lshlrev_b32_e32 v10, v14, v10
	v_sub_u32_e32 v13, 29, v13
	v_and_b32_e32 v10, 7, v10
	v_cmp_eq_u32_e32 vcc, 0, v12
	v_and_b32_e32 v1, 0x80000000, v1
	s_nop 0
	v_cndmask_b32_e32 v12, v12, v13, vcc
	v_cndmask_b32_e32 v10, v11, v10, vcc
	v_mov_b32_e32 v11, 0x3b800000
	v_lshlrev_b32_e32 v10, 20, v10
	v_lshl_add_u32 v11, v12, 23, v11
	v_or3_b32 v1, v1, v11, v10
.LBB121_1569:
	s_or_b64 exec, exec, s[10:11]
.LBB121_1570:
	s_mov_b64 s[8:9], -1
.LBB121_1571:
	s_mov_b64 s[10:11], 0
.LBB121_1572:
	s_and_b64 vcc, exec, s[10:11]
	s_cbranch_vccz .LBB121_1605
; %bb.1573:
	s_cmp_gt_i32 s14, 22
	s_cbranch_scc0 .LBB121_1583
; %bb.1574:
	s_cmp_lt_i32 s14, 24
	s_cbranch_scc1 .LBB121_1586
; %bb.1575:
	s_cmp_gt_i32 s14, 24
	s_cbranch_scc0 .LBB121_1587
; %bb.1576:
	global_load_ubyte v10, v[8:9], off
	s_movk_i32 s6, 0x7f
	s_waitcnt vmcnt(0)
	v_cmp_lt_i16_e32 vcc, s6, v10
	s_mov_b64 s[6:7], 0
	s_and_saveexec_b64 s[8:9], vcc
	s_xor_b64 s[8:9], exec, s[8:9]
	s_cbranch_execz .LBB121_1599
; %bb.1577:
	s_movk_i32 s6, 0x80
	v_cmp_eq_u16_e32 vcc, s6, v10
	s_mov_b64 s[6:7], -1
	s_and_saveexec_b64 s[10:11], vcc
; %bb.1578:
	s_xor_b64 s[6:7], exec, -1
; %bb.1579:
	s_or_b64 exec, exec, s[10:11]
	s_and_b64 s[6:7], s[6:7], exec
	s_or_saveexec_b64 s[8:9], s[8:9]
	v_mov_b32_e32 v1, 0x7f800001
	s_xor_b64 exec, exec, s[8:9]
	s_cbranch_execnz .LBB121_1600
.LBB121_1580:
	s_or_b64 exec, exec, s[8:9]
	s_and_saveexec_b64 s[8:9], s[6:7]
	s_cbranch_execz .LBB121_1582
.LBB121_1581:
	v_lshlrev_b32_e32 v1, 24, v10
	v_and_b32_e32 v10, 0xffff, v10
	v_and_b32_e32 v11, 3, v10
	v_ffbh_u32_e32 v13, v11
	v_min_u32_e32 v13, 32, v13
	v_subrev_u32_e32 v14, 29, v13
	v_bfe_u32 v12, v10, 2, 5
	v_lshlrev_b32_e32 v10, v14, v10
	v_sub_u32_e32 v13, 30, v13
	v_and_b32_e32 v10, 3, v10
	v_cmp_eq_u32_e32 vcc, 0, v12
	v_and_b32_e32 v1, 0x80000000, v1
	s_nop 0
	v_cndmask_b32_e32 v12, v12, v13, vcc
	v_cndmask_b32_e32 v10, v11, v10, vcc
	v_mov_b32_e32 v11, 0x37800000
	v_lshlrev_b32_e32 v10, 21, v10
	v_lshl_add_u32 v11, v12, 23, v11
	v_or3_b32 v1, v1, v11, v10
.LBB121_1582:
	s_or_b64 exec, exec, s[8:9]
	s_mov_b64 s[6:7], 0
	s_branch .LBB121_1588
.LBB121_1583:
	s_mov_b64 s[6:7], -1
                                        ; implicit-def: $vgpr1
	s_branch .LBB121_1594
.LBB121_1584:
	s_or_saveexec_b64 s[10:11], s[10:11]
	v_mov_b32_e32 v1, 0x7f800001
	s_xor_b64 exec, exec, s[10:11]
	s_cbranch_execz .LBB121_1567
.LBB121_1585:
	v_cmp_ne_u16_e32 vcc, 0, v10
	s_andn2_b64 s[8:9], s[8:9], exec
	s_and_b64 s[12:13], vcc, exec
	v_mov_b32_e32 v1, 0
	s_or_b64 s[8:9], s[8:9], s[12:13]
	s_or_b64 exec, exec, s[10:11]
	s_and_saveexec_b64 s[10:11], s[8:9]
	s_cbranch_execnz .LBB121_1568
	s_branch .LBB121_1569
.LBB121_1586:
	s_mov_b64 s[6:7], -1
                                        ; implicit-def: $vgpr1
	s_branch .LBB121_1591
.LBB121_1587:
	s_mov_b64 s[6:7], -1
                                        ; implicit-def: $vgpr1
.LBB121_1588:
	s_and_b64 vcc, exec, s[6:7]
	s_cbranch_vccz .LBB121_1590
; %bb.1589:
	global_load_ubyte v1, v[8:9], off
	s_mov_b32 s6, 0x7f800000
	s_waitcnt vmcnt(0)
	v_lshlrev_b32_e32 v1, 24, v1
	v_and_b32_e32 v10, 0x7f000000, v1
	v_ffbh_u32_e32 v11, v10
	v_min_u32_e32 v11, 32, v11
	v_sub_u32_e64 v11, v11, 4 clamp
	v_lshlrev_b32_e32 v13, v11, v10
	v_lshlrev_b32_e32 v11, 23, v11
	v_lshrrev_b32_e32 v13, 4, v13
	v_add_u32_e32 v12, 0x1000000, v10
	v_sub_u32_e32 v11, v13, v11
	v_ashrrev_i32_e32 v12, 8, v12
	v_add_u32_e32 v11, 0x3c000000, v11
	v_and_or_b32 v11, v12, s6, v11
	v_cmp_ne_u32_e32 vcc, 0, v10
	s_brev_b32 s6, 1
	s_nop 0
	v_cndmask_b32_e32 v10, 0, v11, vcc
	v_and_or_b32 v1, v1, s6, v10
.LBB121_1590:
	s_mov_b64 s[6:7], 0
.LBB121_1591:
	s_andn2_b64 vcc, exec, s[6:7]
	s_cbranch_vccnz .LBB121_1593
; %bb.1592:
	global_load_ubyte v1, v[8:9], off
	s_movk_i32 s6, 0x7f00
	s_brev_b32 s7, 16
	s_waitcnt vmcnt(0)
	v_lshlrev_b16_e32 v10, 8, v1
	v_lshlrev_b32_e32 v1, 25, v1
	v_lshrrev_b32_e32 v11, 4, v1
	v_and_or_b32 v12, v10, s6, 0.5
	v_or_b32_e32 v11, 0x70000000, v11
	v_add_f32_e32 v12, -0.5, v12
	v_mul_f32_e32 v11, 0x7800000, v11
	v_cmp_gt_u32_e32 vcc, s7, v1
	v_bfe_i32 v10, v10, 0, 16
	s_brev_b32 s6, 1
	v_cndmask_b32_e32 v1, v11, v12, vcc
	v_and_or_b32 v1, v10, s6, v1
.LBB121_1593:
	s_mov_b64 s[6:7], 0
	s_mov_b64 s[8:9], -1
.LBB121_1594:
	s_andn2_b64 vcc, exec, s[6:7]
	s_mov_b64 s[6:7], 0
	s_cbranch_vccnz .LBB121_1605
; %bb.1595:
	s_cmp_gt_i32 s14, 14
	s_cbranch_scc0 .LBB121_1598
; %bb.1596:
	s_cmp_eq_u32 s14, 15
	s_cbranch_scc0 .LBB121_1601
; %bb.1597:
	global_load_ushort v1, v[8:9], off
	s_mov_b64 s[0:1], 0
	s_mov_b64 s[8:9], -1
	s_waitcnt vmcnt(0)
	v_lshlrev_b32_e32 v1, 16, v1
	s_branch .LBB121_1602
.LBB121_1598:
	s_mov_b64 s[10:11], -1
                                        ; implicit-def: $vgpr1
	s_branch .LBB121_1603
.LBB121_1599:
	s_or_saveexec_b64 s[8:9], s[8:9]
	v_mov_b32_e32 v1, 0x7f800001
	s_xor_b64 exec, exec, s[8:9]
	s_cbranch_execz .LBB121_1580
.LBB121_1600:
	v_cmp_ne_u16_e32 vcc, 0, v10
	s_andn2_b64 s[6:7], s[6:7], exec
	s_and_b64 s[10:11], vcc, exec
	v_mov_b32_e32 v1, 0
	s_or_b64 s[6:7], s[6:7], s[10:11]
	s_or_b64 exec, exec, s[8:9]
	s_and_saveexec_b64 s[8:9], s[6:7]
	s_cbranch_execnz .LBB121_1581
	s_branch .LBB121_1582
.LBB121_1601:
	s_mov_b64 s[0:1], -1
                                        ; implicit-def: $vgpr1
.LBB121_1602:
	s_mov_b64 s[10:11], 0
.LBB121_1603:
	s_and_b64 vcc, exec, s[10:11]
	s_cbranch_vccz .LBB121_1605
; %bb.1604:
	s_cmp_lg_u32 s14, 11
	s_mov_b64 s[6:7], -1
	s_cselect_b64 s[0:1], -1, 0
.LBB121_1605:
	s_and_b64 vcc, exec, s[0:1]
	s_cbranch_vccnz .LBB121_2138
; %bb.1606:
	s_andn2_b64 vcc, exec, s[6:7]
	s_cbranch_vccnz .LBB121_1608
.LBB121_1607:
	global_load_ubyte v1, v[8:9], off
	s_mov_b64 s[8:9], -1
	s_waitcnt vmcnt(0)
	v_cmp_ne_u16_e32 vcc, 0, v1
	s_nop 1
	v_cndmask_b32_e64 v1, 0, 1.0, vcc
.LBB121_1608:
	s_mov_b64 s[0:1], 0
.LBB121_1609:
	s_and_b64 vcc, exec, s[0:1]
	s_cbranch_vccz .LBB121_1658
; %bb.1610:
	s_and_b32 s6, 0xffff, s17
	s_cmp_lt_i32 s6, 5
	s_cbranch_scc1 .LBB121_1615
; %bb.1611:
	s_cmp_lt_i32 s6, 8
	s_cbranch_scc1 .LBB121_1616
; %bb.1612:
	;; [unrolled: 3-line block ×3, first 2 shown]
	s_cmp_gt_i32 s6, 9
	s_cbranch_scc0 .LBB121_1618
; %bb.1614:
	global_load_dwordx2 v[10:11], v[8:9], off
	s_mov_b64 s[0:1], 0
	s_waitcnt vmcnt(0)
	v_cvt_f32_f64_e32 v1, v[10:11]
	s_branch .LBB121_1619
.LBB121_1615:
	s_mov_b64 s[0:1], -1
                                        ; implicit-def: $vgpr1
	s_branch .LBB121_1637
.LBB121_1616:
	s_mov_b64 s[0:1], -1
                                        ; implicit-def: $vgpr1
	s_branch .LBB121_1625
.LBB121_1617:
	s_mov_b64 s[0:1], -1
                                        ; implicit-def: $vgpr1
	s_branch .LBB121_1622
.LBB121_1618:
	s_mov_b64 s[0:1], -1
                                        ; implicit-def: $vgpr1
.LBB121_1619:
	s_andn2_b64 vcc, exec, s[0:1]
	s_cbranch_vccnz .LBB121_1621
; %bb.1620:
	global_load_dword v1, v[8:9], off
.LBB121_1621:
	s_mov_b64 s[0:1], 0
.LBB121_1622:
	s_andn2_b64 vcc, exec, s[0:1]
	s_cbranch_vccnz .LBB121_1624
; %bb.1623:
	global_load_dword v1, v[8:9], off
	s_waitcnt vmcnt(0)
	v_cvt_f32_f16_e32 v1, v1
.LBB121_1624:
	s_mov_b64 s[0:1], 0
.LBB121_1625:
	s_andn2_b64 vcc, exec, s[0:1]
	s_cbranch_vccnz .LBB121_1636
; %bb.1626:
	s_cmp_lt_i32 s6, 6
	s_cbranch_scc1 .LBB121_1629
; %bb.1627:
	s_cmp_gt_i32 s6, 6
	s_cbranch_scc0 .LBB121_1630
; %bb.1628:
	global_load_dwordx2 v[10:11], v[8:9], off
	s_mov_b64 s[0:1], 0
	s_waitcnt vmcnt(0)
	v_cvt_f32_f64_e32 v1, v[10:11]
	s_branch .LBB121_1631
.LBB121_1629:
	s_mov_b64 s[0:1], -1
                                        ; implicit-def: $vgpr1
	s_branch .LBB121_1634
.LBB121_1630:
	s_mov_b64 s[0:1], -1
                                        ; implicit-def: $vgpr1
.LBB121_1631:
	s_andn2_b64 vcc, exec, s[0:1]
	s_cbranch_vccnz .LBB121_1633
; %bb.1632:
	global_load_dword v1, v[8:9], off
.LBB121_1633:
	s_mov_b64 s[0:1], 0
.LBB121_1634:
	s_andn2_b64 vcc, exec, s[0:1]
	s_cbranch_vccnz .LBB121_1636
; %bb.1635:
	global_load_ushort v1, v[8:9], off
	s_waitcnt vmcnt(0)
	v_cvt_f32_f16_e32 v1, v1
.LBB121_1636:
	s_mov_b64 s[0:1], 0
.LBB121_1637:
	s_andn2_b64 vcc, exec, s[0:1]
	s_cbranch_vccnz .LBB121_1657
; %bb.1638:
	s_cmp_lt_i32 s6, 2
	s_cbranch_scc1 .LBB121_1642
; %bb.1639:
	s_cmp_lt_i32 s6, 3
	s_cbranch_scc1 .LBB121_1643
; %bb.1640:
	s_cmp_gt_i32 s6, 3
	s_cbranch_scc0 .LBB121_1644
; %bb.1641:
	global_load_dwordx2 v[10:11], v[8:9], off
	s_mov_b64 s[0:1], 0
	s_waitcnt vmcnt(0)
	v_xor_b32_e32 v12, v10, v11
	v_ffbh_i32_e32 v1, v11
	v_ashrrev_i32_e32 v12, 31, v12
	v_add_u32_e32 v1, -1, v1
	v_add_u32_e32 v12, 32, v12
	v_min_u32_e32 v1, v1, v12
	v_lshlrev_b64 v[10:11], v1, v[10:11]
	v_min_u32_e32 v10, 1, v10
	v_or_b32_e32 v10, v11, v10
	v_cvt_f32_i32_e32 v10, v10
	v_sub_u32_e32 v1, 32, v1
	v_ldexp_f32 v1, v10, v1
	s_branch .LBB121_1645
.LBB121_1642:
	s_mov_b64 s[0:1], -1
                                        ; implicit-def: $vgpr1
	s_branch .LBB121_1651
.LBB121_1643:
	s_mov_b64 s[0:1], -1
                                        ; implicit-def: $vgpr1
	s_branch .LBB121_1648
.LBB121_1644:
	s_mov_b64 s[0:1], -1
                                        ; implicit-def: $vgpr1
.LBB121_1645:
	s_andn2_b64 vcc, exec, s[0:1]
	s_cbranch_vccnz .LBB121_1647
; %bb.1646:
	global_load_dword v1, v[8:9], off
	s_waitcnt vmcnt(0)
	v_cvt_f32_i32_e32 v1, v1
.LBB121_1647:
	s_mov_b64 s[0:1], 0
.LBB121_1648:
	s_andn2_b64 vcc, exec, s[0:1]
	s_cbranch_vccnz .LBB121_1650
; %bb.1649:
	global_load_sshort v1, v[8:9], off
	s_waitcnt vmcnt(0)
	v_cvt_f32_i32_e32 v1, v1
.LBB121_1650:
	s_mov_b64 s[0:1], 0
.LBB121_1651:
	s_andn2_b64 vcc, exec, s[0:1]
	s_cbranch_vccnz .LBB121_1657
; %bb.1652:
	s_cmp_gt_i32 s6, 0
	s_cbranch_scc0 .LBB121_1654
; %bb.1653:
	global_load_sbyte v1, v[8:9], off
	s_mov_b64 s[0:1], 0
	s_waitcnt vmcnt(0)
	v_cvt_f32_i32_e32 v1, v1
	s_branch .LBB121_1655
.LBB121_1654:
	s_mov_b64 s[0:1], -1
                                        ; implicit-def: $vgpr1
.LBB121_1655:
	s_andn2_b64 vcc, exec, s[0:1]
	s_cbranch_vccnz .LBB121_1657
; %bb.1656:
	global_load_ubyte v1, v[8:9], off
	s_waitcnt vmcnt(0)
	v_cvt_f32_ubyte0_e32 v1, v1
.LBB121_1657:
	s_mov_b64 s[8:9], -1
.LBB121_1658:
	s_andn2_b64 vcc, exec, s[8:9]
	s_cbranch_vccnz .LBB121_2092
; %bb.1659:
	s_waitcnt vmcnt(0)
	v_mul_f32_e32 v8, 0x3fb8aa3b, v7
	v_rndne_f32_e32 v8, v8
	v_fmamk_f32 v9, v8, 0xbf317218, v7
	v_fmamk_f32 v9, v8, 0x3102e308, v9
	v_mov_b32_e32 v10, 0x3ab69700
	v_fmac_f32_e32 v10, 0x395133b1, v9
	v_fmaak_f32 v10, v9, v10, 0x3c0887f9
	v_fmaak_f32 v10, v9, v10, 0x3d2aaa81
	v_cvt_i32_f32_e32 v11, v8
	v_fmaak_f32 v10, v9, v10, 0x3e2aaaab
	v_fma_f32 v10, v9, v10, 0.5
	v_mul_f32_e32 v10, v9, v10
	s_mov_b32 s0, 0x43000000
	v_fmac_f32_e32 v9, v9, v10
	v_ldexp_f32 v10, 1.0, v11
	v_mov_b32_e32 v11, 0x7f000000
	v_cmp_eq_f32_e32 vcc, s0, v8
	s_mov_b32 s0, 0x42b17217
	s_bfe_u32 s14, s16, 0x80008
	v_cndmask_b32_e32 v8, v10, v11, vcc
	v_add_f32_e32 v10, -1.0, v8
	v_fmac_f32_e32 v10, v8, v9
	v_add_f32_e32 v8, v10, v10
	v_cndmask_b32_e32 v8, v10, v8, vcc
	v_mov_b32_e32 v9, 0x7f800000
	v_cmp_nlt_f32_e32 vcc, s0, v7
	s_mov_b32 s0, 0xc1880000
	s_cmp_lt_i32 s14, 11
	v_cndmask_b32_e32 v8, v9, v8, vcc
	v_cmp_ngt_f32_e32 vcc, s0, v7
	v_mov_b32_e32 v7, 0
	v_lshl_add_u64 v[6:7], s[4:5], 0, v[6:7]
	v_cndmask_b32_e32 v8, -1.0, v8, vcc
	s_cbranch_scc1 .LBB121_1737
; %bb.1660:
	s_and_b32 s15, 0xffff, s14
	s_mov_b64 s[10:11], -1
	s_mov_b64 s[6:7], 0
	s_cmp_gt_i32 s15, 25
	s_mov_b64 s[8:9], 0
	s_mov_b64 s[0:1], 0
	s_cbranch_scc0 .LBB121_1693
; %bb.1661:
	s_cmp_gt_i32 s15, 28
	s_cbranch_scc0 .LBB121_1676
; %bb.1662:
	s_cmp_gt_i32 s15, 43
	;; [unrolled: 3-line block ×3, first 2 shown]
	s_cbranch_scc0 .LBB121_1666
; %bb.1664:
	s_mov_b64 s[0:1], -1
	s_mov_b64 s[10:11], 0
	s_cmp_eq_u32 s15, 46
	s_cbranch_scc0 .LBB121_1666
; %bb.1665:
	v_bfe_u32 v9, v8, 16, 1
	s_movk_i32 s0, 0x7fff
	v_add3_u32 v9, v8, v9, s0
	v_cmp_o_f32_e32 vcc, v8, v8
	v_mov_b32_e32 v10, 0x7fc0
	s_mov_b64 s[0:1], 0
	v_cndmask_b32_sdwa v9, v10, v9, vcc dst_sel:DWORD dst_unused:UNUSED_PAD src0_sel:DWORD src1_sel:WORD_1
	global_store_dword v[6:7], v9, off
	s_mov_b64 s[8:9], -1
.LBB121_1666:
	s_and_b64 vcc, exec, s[10:11]
	s_cbranch_vccz .LBB121_1671
; %bb.1667:
	s_cmp_eq_u32 s15, 44
	s_mov_b64 s[0:1], -1
	s_cbranch_scc0 .LBB121_1671
; %bb.1668:
	v_bfe_u32 v9, v8, 23, 8
	s_movk_i32 s0, 0xff
	v_cmp_ne_u32_e32 vcc, s0, v9
	v_mov_b32_e32 v10, 0xff
	s_and_saveexec_b64 s[8:9], vcc
; %bb.1669:
	s_mov_b32 s0, 0x3fffff
	v_and_b32_e32 v11, 0x400000, v8
	v_and_or_b32 v9, v8, s0, v9
	v_cmp_ne_u32_e32 vcc, 0, v11
	v_cmp_ne_u32_e64 s[0:1], 0, v9
	s_and_b64 s[0:1], vcc, s[0:1]
	v_lshrrev_b32_e32 v10, 23, v8
	v_cndmask_b32_e64 v9, 0, 1, s[0:1]
	v_add_u32_e32 v10, v10, v9
; %bb.1670:
	s_or_b64 exec, exec, s[8:9]
	s_mov_b64 s[0:1], 0
	s_mov_b64 s[8:9], -1
	global_store_byte v[6:7], v10, off
.LBB121_1671:
	s_mov_b64 s[10:11], 0
.LBB121_1672:
	s_and_b64 vcc, exec, s[10:11]
	s_cbranch_vccz .LBB121_1675
; %bb.1673:
	s_cmp_eq_u32 s15, 29
	s_mov_b64 s[0:1], -1
	s_cbranch_scc0 .LBB121_1675
; %bb.1674:
	v_trunc_f32_e32 v9, v8
	v_mul_f32_e32 v10, 0x2f800000, v9
	v_floor_f32_e32 v10, v10
	v_fmamk_f32 v9, v10, 0xcf800000, v9
	v_cvt_u32_f32_e32 v11, v10
	v_cvt_u32_f32_e32 v10, v9
	s_mov_b64 s[0:1], 0
	s_mov_b64 s[8:9], -1
	global_store_dwordx2 v[6:7], v[10:11], off
.LBB121_1675:
	s_mov_b64 s[10:11], 0
.LBB121_1676:
	s_and_b64 vcc, exec, s[10:11]
	s_cbranch_vccz .LBB121_1692
; %bb.1677:
	s_cmp_lt_i32 s15, 27
	s_mov_b64 s[8:9], -1
	s_cbranch_scc1 .LBB121_1683
; %bb.1678:
	v_cvt_u32_f32_e32 v9, v8
	s_cmp_gt_i32 s15, 27
	s_cbranch_scc0 .LBB121_1680
; %bb.1679:
	s_mov_b64 s[8:9], 0
	global_store_dword v[6:7], v9, off
.LBB121_1680:
	s_andn2_b64 vcc, exec, s[8:9]
	s_cbranch_vccnz .LBB121_1682
; %bb.1681:
	global_store_short v[6:7], v9, off
.LBB121_1682:
	s_mov_b64 s[8:9], 0
.LBB121_1683:
	s_andn2_b64 vcc, exec, s[8:9]
	s_cbranch_vccnz .LBB121_1691
; %bb.1684:
	v_and_b32_e32 v9, 0x7fffffff, v8
	s_mov_b32 s8, 0x43800000
	v_cmp_gt_u32_e32 vcc, s8, v9
	v_mov_b32_e32 v10, 0x80
	s_and_saveexec_b64 s[8:9], vcc
	s_cbranch_execz .LBB121_1690
; %bb.1685:
	s_mov_b32 s10, 0x3bffffff
	v_cmp_lt_u32_e32 vcc, s10, v9
	s_mov_b64 s[10:11], 0
                                        ; implicit-def: $vgpr9
	s_and_saveexec_b64 s[12:13], vcc
	s_xor_b64 s[12:13], exec, s[12:13]
	s_cbranch_execz .LBB121_2139
; %bb.1686:
	v_bfe_u32 v9, v8, 20, 1
	s_mov_b32 s17, 0x487ffff
	v_add3_u32 v9, v8, v9, s17
	s_mov_b64 s[10:11], exec
	v_lshrrev_b32_e32 v9, 20, v9
	s_andn2_saveexec_b64 s[12:13], s[12:13]
	s_cbranch_execnz .LBB121_2140
.LBB121_1687:
	s_or_b64 exec, exec, s[12:13]
	v_mov_b32_e32 v10, 0
	s_and_saveexec_b64 s[12:13], s[10:11]
.LBB121_1688:
	v_lshrrev_b32_e32 v10, 24, v8
	s_movk_i32 s10, 0x80
	v_and_or_b32 v10, v10, s10, v9
.LBB121_1689:
	s_or_b64 exec, exec, s[12:13]
.LBB121_1690:
	s_or_b64 exec, exec, s[8:9]
	global_store_byte v[6:7], v10, off
.LBB121_1691:
	s_mov_b64 s[8:9], -1
.LBB121_1692:
	s_mov_b64 s[10:11], 0
.LBB121_1693:
	s_and_b64 vcc, exec, s[10:11]
	s_cbranch_vccz .LBB121_1733
; %bb.1694:
	s_cmp_gt_i32 s15, 22
	s_mov_b64 s[6:7], -1
	s_cbranch_scc0 .LBB121_1726
; %bb.1695:
	s_cmp_lt_i32 s15, 24
	s_cbranch_scc1 .LBB121_1715
; %bb.1696:
	s_cmp_gt_i32 s15, 24
	s_cbranch_scc0 .LBB121_1704
; %bb.1697:
	v_and_b32_e32 v9, 0x7fffffff, v8
	s_mov_b32 s6, 0x47800000
	v_cmp_gt_u32_e32 vcc, s6, v9
	v_mov_b32_e32 v10, 0x80
	s_and_saveexec_b64 s[6:7], vcc
	s_cbranch_execz .LBB121_1703
; %bb.1698:
	s_mov_b32 s8, 0x37ffffff
	v_cmp_lt_u32_e32 vcc, s8, v9
	s_mov_b64 s[8:9], 0
                                        ; implicit-def: $vgpr9
	s_and_saveexec_b64 s[10:11], vcc
	s_xor_b64 s[10:11], exec, s[10:11]
	s_cbranch_execz .LBB121_2142
; %bb.1699:
	v_bfe_u32 v9, v8, 21, 1
	s_mov_b32 s12, 0x88fffff
	v_add3_u32 v9, v8, v9, s12
	s_mov_b64 s[8:9], exec
	v_lshrrev_b32_e32 v9, 21, v9
	s_andn2_saveexec_b64 s[10:11], s[10:11]
	s_cbranch_execnz .LBB121_2143
.LBB121_1700:
	s_or_b64 exec, exec, s[10:11]
	v_mov_b32_e32 v10, 0
	s_and_saveexec_b64 s[10:11], s[8:9]
.LBB121_1701:
	v_lshrrev_b32_e32 v10, 24, v8
	s_movk_i32 s8, 0x80
	v_and_or_b32 v10, v10, s8, v9
.LBB121_1702:
	s_or_b64 exec, exec, s[10:11]
.LBB121_1703:
	s_or_b64 exec, exec, s[6:7]
	s_mov_b64 s[6:7], 0
	global_store_byte v[6:7], v10, off
.LBB121_1704:
	s_and_b64 vcc, exec, s[6:7]
	s_cbranch_vccz .LBB121_1714
; %bb.1705:
	v_and_b32_e32 v10, 0x7fffffff, v8
	s_mov_b32 s6, 0x43f00000
	v_cmp_gt_u32_e32 vcc, s6, v10
                                        ; implicit-def: $vgpr9
	s_and_saveexec_b64 s[6:7], vcc
	s_xor_b64 s[6:7], exec, s[6:7]
	s_cbranch_execz .LBB121_1711
; %bb.1706:
	s_mov_b32 s8, 0x3c7fffff
	v_cmp_lt_u32_e32 vcc, s8, v10
                                        ; implicit-def: $vgpr9
	s_and_saveexec_b64 s[8:9], vcc
	s_xor_b64 s[8:9], exec, s[8:9]
; %bb.1707:
	v_bfe_u32 v9, v8, 20, 1
	s_mov_b32 s10, 0x407ffff
	v_add3_u32 v9, v8, v9, s10
	v_lshrrev_b32_e32 v10, 20, v9
	v_and_b32_e32 v9, 0xff00000, v9
	s_mov_b32 s10, 0x7f00000
	v_mov_b32_e32 v11, 0x7e
	v_cmp_ne_u32_e32 vcc, s10, v9
	s_nop 1
	v_cndmask_b32_e32 v9, v11, v10, vcc
; %bb.1708:
	s_andn2_saveexec_b64 s[8:9], s[8:9]
; %bb.1709:
	s_mov_b32 s10, 0x46800000
	v_add_f32_e64 v9, |v8|, s10
; %bb.1710:
	s_or_b64 exec, exec, s[8:9]
                                        ; implicit-def: $vgpr10
.LBB121_1711:
	s_andn2_saveexec_b64 s[6:7], s[6:7]
; %bb.1712:
	s_mov_b32 s8, 0x7f800000
	v_mov_b32_e32 v9, 0x7e
	v_mov_b32_e32 v11, 0x7f
	v_cmp_lt_u32_e32 vcc, s8, v10
	s_nop 1
	v_cndmask_b32_e32 v9, v9, v11, vcc
; %bb.1713:
	s_or_b64 exec, exec, s[6:7]
	v_lshrrev_b32_e32 v10, 24, v8
	s_movk_i32 s6, 0x80
	v_and_or_b32 v9, v10, s6, v9
	global_store_byte v[6:7], v9, off
.LBB121_1714:
	s_mov_b64 s[6:7], 0
.LBB121_1715:
	s_andn2_b64 vcc, exec, s[6:7]
	s_cbranch_vccnz .LBB121_1725
; %bb.1716:
	v_and_b32_e32 v10, 0x7fffffff, v8
	s_mov_b32 s6, 0x47800000
	v_cmp_gt_u32_e32 vcc, s6, v10
                                        ; implicit-def: $vgpr9
	s_and_saveexec_b64 s[6:7], vcc
	s_xor_b64 s[6:7], exec, s[6:7]
	s_cbranch_execz .LBB121_1722
; %bb.1717:
	s_mov_b32 s8, 0x387fffff
	v_cmp_lt_u32_e32 vcc, s8, v10
                                        ; implicit-def: $vgpr9
	s_and_saveexec_b64 s[8:9], vcc
	s_xor_b64 s[8:9], exec, s[8:9]
; %bb.1718:
	v_bfe_u32 v9, v8, 21, 1
	s_mov_b32 s10, 0x80fffff
	v_add3_u32 v9, v8, v9, s10
	v_lshrrev_b32_e32 v9, 21, v9
; %bb.1719:
	s_andn2_saveexec_b64 s[8:9], s[8:9]
; %bb.1720:
	s_mov_b32 s10, 0x43000000
	v_add_f32_e64 v9, |v8|, s10
; %bb.1721:
	s_or_b64 exec, exec, s[8:9]
                                        ; implicit-def: $vgpr10
.LBB121_1722:
	s_andn2_saveexec_b64 s[6:7], s[6:7]
; %bb.1723:
	s_mov_b32 s8, 0x7f800000
	v_mov_b32_e32 v9, 0x7c
	v_mov_b32_e32 v11, 0x7f
	v_cmp_lt_u32_e32 vcc, s8, v10
	s_nop 1
	v_cndmask_b32_e32 v9, v9, v11, vcc
; %bb.1724:
	s_or_b64 exec, exec, s[6:7]
	v_lshrrev_b32_e32 v10, 24, v8
	s_movk_i32 s6, 0x80
	v_and_or_b32 v9, v10, s6, v9
	global_store_byte v[6:7], v9, off
.LBB121_1725:
	s_mov_b64 s[6:7], 0
	s_mov_b64 s[8:9], -1
.LBB121_1726:
	s_andn2_b64 vcc, exec, s[6:7]
	s_mov_b64 s[6:7], 0
	s_cbranch_vccnz .LBB121_1733
; %bb.1727:
	s_cmp_gt_i32 s15, 14
	s_mov_b64 s[10:11], -1
	s_cbranch_scc0 .LBB121_1731
; %bb.1728:
	s_cmp_eq_u32 s15, 15
	s_mov_b64 s[0:1], -1
	s_cbranch_scc0 .LBB121_1730
; %bb.1729:
	v_bfe_u32 v9, v8, 16, 1
	s_movk_i32 s0, 0x7fff
	v_add3_u32 v9, v8, v9, s0
	v_cmp_o_f32_e32 vcc, v8, v8
	v_mov_b32_e32 v10, 0x7fc0
	s_mov_b64 s[0:1], 0
	v_cndmask_b32_sdwa v9, v10, v9, vcc dst_sel:DWORD dst_unused:UNUSED_PAD src0_sel:DWORD src1_sel:WORD_1
	global_store_short v[6:7], v9, off
	s_mov_b64 s[8:9], -1
.LBB121_1730:
	s_mov_b64 s[10:11], 0
.LBB121_1731:
	s_and_b64 vcc, exec, s[10:11]
	s_cbranch_vccz .LBB121_1733
; %bb.1732:
	s_cmp_lg_u32 s15, 11
	s_mov_b64 s[6:7], -1
	s_cselect_b64 s[0:1], -1, 0
.LBB121_1733:
	s_and_b64 vcc, exec, s[0:1]
	s_cbranch_vccnz .LBB121_2141
; %bb.1734:
	s_andn2_b64 vcc, exec, s[6:7]
	s_cbranch_vccnz .LBB121_1736
.LBB121_1735:
	v_cmp_neq_f32_e32 vcc, 0, v8
	s_mov_b64 s[8:9], -1
	s_nop 0
	v_cndmask_b32_e64 v9, 0, 1, vcc
	global_store_byte v[6:7], v9, off
.LBB121_1736:
	s_mov_b64 s[0:1], 0
	s_branch .LBB121_1738
.LBB121_1737:
	s_mov_b64 s[0:1], -1
	s_mov_b64 s[8:9], 0
.LBB121_1738:
	s_and_b64 vcc, exec, s[0:1]
	s_cbranch_vccz .LBB121_1777
; %bb.1739:
	s_and_b32 s6, 0xffff, s14
	s_cmp_lt_i32 s6, 5
	s_mov_b64 s[0:1], -1
	s_cbranch_scc1 .LBB121_1760
; %bb.1740:
	s_cmp_lt_i32 s6, 8
	s_cbranch_scc1 .LBB121_1750
; %bb.1741:
	s_cmp_lt_i32 s6, 9
	s_cbranch_scc1 .LBB121_1747
; %bb.1742:
	s_cmp_gt_i32 s6, 9
	s_cbranch_scc0 .LBB121_1744
; %bb.1743:
	v_mov_b32_e32 v12, 0
	v_cvt_f64_f32_e32 v[10:11], v8
	v_mov_b32_e32 v13, v12
	global_store_dwordx4 v[6:7], v[10:13], off
	s_mov_b64 s[0:1], 0
.LBB121_1744:
	s_andn2_b64 vcc, exec, s[0:1]
	s_cbranch_vccnz .LBB121_1746
; %bb.1745:
	v_mov_b32_e32 v9, 0
	global_store_dwordx2 v[6:7], v[8:9], off
.LBB121_1746:
	s_mov_b64 s[0:1], 0
.LBB121_1747:
	s_andn2_b64 vcc, exec, s[0:1]
	s_cbranch_vccnz .LBB121_1749
; %bb.1748:
	v_cvt_f16_f32_e32 v9, v8
	global_store_dword v[6:7], v9, off
.LBB121_1749:
	s_mov_b64 s[0:1], 0
.LBB121_1750:
	s_andn2_b64 vcc, exec, s[0:1]
	s_cbranch_vccnz .LBB121_1759
; %bb.1751:
	s_cmp_lt_i32 s6, 6
	s_mov_b64 s[0:1], -1
	s_cbranch_scc1 .LBB121_1757
; %bb.1752:
	s_cmp_gt_i32 s6, 6
	s_cbranch_scc0 .LBB121_1754
; %bb.1753:
	v_cvt_f64_f32_e32 v[10:11], v8
	global_store_dwordx2 v[6:7], v[10:11], off
	s_mov_b64 s[0:1], 0
.LBB121_1754:
	s_andn2_b64 vcc, exec, s[0:1]
	s_cbranch_vccnz .LBB121_1756
; %bb.1755:
	global_store_dword v[6:7], v8, off
.LBB121_1756:
	s_mov_b64 s[0:1], 0
.LBB121_1757:
	s_andn2_b64 vcc, exec, s[0:1]
	s_cbranch_vccnz .LBB121_1759
; %bb.1758:
	v_cvt_f16_f32_e32 v9, v8
	global_store_short v[6:7], v9, off
.LBB121_1759:
	s_mov_b64 s[0:1], 0
.LBB121_1760:
	s_andn2_b64 vcc, exec, s[0:1]
	s_cbranch_vccnz .LBB121_1776
; %bb.1761:
	s_cmp_lt_i32 s6, 2
	s_mov_b64 s[0:1], -1
	s_cbranch_scc1 .LBB121_1771
; %bb.1762:
	s_cmp_lt_i32 s6, 3
	s_cbranch_scc1 .LBB121_1768
; %bb.1763:
	s_cmp_gt_i32 s6, 3
	s_cbranch_scc0 .LBB121_1765
; %bb.1764:
	v_trunc_f32_e32 v9, v8
	s_mov_b32 s0, 0x2f800000
	v_mul_f32_e64 v10, |v9|, s0
	v_floor_f32_e32 v10, v10
	s_mov_b32 s0, 0xcf800000
	v_cvt_u32_f32_e32 v11, v10
	v_fma_f32 v10, v10, s0, |v9|
	v_cvt_u32_f32_e32 v10, v10
	v_ashrrev_i32_e32 v9, 31, v9
	v_xor_b32_e32 v11, v11, v9
	s_mov_b64 s[0:1], 0
	v_xor_b32_e32 v10, v10, v9
	v_sub_co_u32_e32 v10, vcc, v10, v9
	s_nop 1
	v_subb_co_u32_e32 v11, vcc, v11, v9, vcc
	global_store_dwordx2 v[6:7], v[10:11], off
.LBB121_1765:
	s_andn2_b64 vcc, exec, s[0:1]
	s_cbranch_vccnz .LBB121_1767
; %bb.1766:
	v_cvt_i32_f32_e32 v9, v8
	global_store_dword v[6:7], v9, off
.LBB121_1767:
	s_mov_b64 s[0:1], 0
.LBB121_1768:
	s_andn2_b64 vcc, exec, s[0:1]
	s_cbranch_vccnz .LBB121_1770
; %bb.1769:
	v_cvt_i32_f32_e32 v9, v8
	global_store_short v[6:7], v9, off
.LBB121_1770:
	s_mov_b64 s[0:1], 0
.LBB121_1771:
	s_andn2_b64 vcc, exec, s[0:1]
	s_cbranch_vccnz .LBB121_1776
; %bb.1772:
	s_cmp_gt_i32 s6, 0
	s_mov_b64 s[0:1], -1
	s_cbranch_scc0 .LBB121_1774
; %bb.1773:
	v_cvt_i32_f32_e32 v9, v8
	s_mov_b64 s[0:1], 0
	global_store_byte v[6:7], v9, off
.LBB121_1774:
	s_andn2_b64 vcc, exec, s[0:1]
	s_cbranch_vccnz .LBB121_1776
; %bb.1775:
	v_trunc_f32_e32 v8, v8
	s_mov_b32 s0, 0x2f800000
	v_mul_f32_e64 v9, |v8|, s0
	v_floor_f32_e32 v9, v9
	s_mov_b32 s0, 0xcf800000
	v_fma_f32 v9, v9, s0, |v8|
	v_cvt_u32_f32_e32 v9, v9
	v_ashrrev_i32_e32 v8, 31, v8
	v_xor_b32_e32 v9, v9, v8
	v_sub_u32_e32 v8, v9, v8
	global_store_byte v[6:7], v8, off
.LBB121_1776:
	s_mov_b64 s[8:9], -1
.LBB121_1777:
	s_andn2_b64 vcc, exec, s[8:9]
	s_cbranch_vccnz .LBB121_2092
; %bb.1778:
	v_mul_f32_e32 v6, 0x3fb8aa3b, v5
	v_rndne_f32_e32 v6, v6
	v_fmamk_f32 v7, v6, 0xbf317218, v5
	v_fmamk_f32 v7, v6, 0x3102e308, v7
	v_mov_b32_e32 v8, 0x3ab69700
	v_fmac_f32_e32 v8, 0x395133b1, v7
	v_fmaak_f32 v8, v7, v8, 0x3c0887f9
	v_fmaak_f32 v8, v7, v8, 0x3d2aaa81
	v_cvt_i32_f32_e32 v9, v6
	v_fmaak_f32 v8, v7, v8, 0x3e2aaaab
	s_lshr_b32 s0, s16, 8
	v_fma_f32 v8, v7, v8, 0.5
	s_and_b32 s14, s0, 0xff
	v_mul_f32_e32 v8, v7, v8
	s_mov_b32 s0, 0x43000000
	v_fmac_f32_e32 v7, v7, v8
	v_ldexp_f32 v8, 1.0, v9
	v_mov_b32_e32 v9, 0x7f000000
	v_cmp_eq_f32_e32 vcc, s0, v6
	s_mov_b32 s0, 0x42b17217
	s_cmp_lt_i32 s14, 11
	v_cndmask_b32_e32 v6, v8, v9, vcc
	v_add_f32_e32 v8, -1.0, v6
	v_fmac_f32_e32 v8, v6, v7
	v_add_f32_e32 v6, v8, v8
	v_cndmask_b32_e32 v6, v8, v6, vcc
	v_mov_b32_e32 v7, 0x7f800000
	v_cmp_nlt_f32_e32 vcc, s0, v5
	s_mov_b32 s0, 0xc1880000
	s_nop 0
	v_cndmask_b32_e32 v6, v7, v6, vcc
	v_cmp_ngt_f32_e32 vcc, s0, v5
	v_mov_b32_e32 v5, 0
	v_lshl_add_u64 v[4:5], s[4:5], 0, v[4:5]
	v_cndmask_b32_e32 v6, -1.0, v6, vcc
	s_cbranch_scc1 .LBB121_1856
; %bb.1779:
	s_and_b32 s15, 0xffff, s14
	s_mov_b64 s[10:11], -1
	s_mov_b64 s[6:7], 0
	s_cmp_gt_i32 s15, 25
	s_mov_b64 s[8:9], 0
	s_mov_b64 s[0:1], 0
	s_cbranch_scc0 .LBB121_1812
; %bb.1780:
	s_cmp_gt_i32 s15, 28
	s_cbranch_scc0 .LBB121_1795
; %bb.1781:
	s_cmp_gt_i32 s15, 43
	;; [unrolled: 3-line block ×3, first 2 shown]
	s_cbranch_scc0 .LBB121_1785
; %bb.1783:
	s_mov_b64 s[0:1], -1
	s_mov_b64 s[10:11], 0
	s_cmp_eq_u32 s15, 46
	s_cbranch_scc0 .LBB121_1785
; %bb.1784:
	v_bfe_u32 v7, v6, 16, 1
	s_movk_i32 s0, 0x7fff
	v_add3_u32 v7, v6, v7, s0
	v_cmp_o_f32_e32 vcc, v6, v6
	v_mov_b32_e32 v8, 0x7fc0
	s_mov_b64 s[0:1], 0
	v_cndmask_b32_sdwa v7, v8, v7, vcc dst_sel:DWORD dst_unused:UNUSED_PAD src0_sel:DWORD src1_sel:WORD_1
	global_store_dword v[4:5], v7, off
	s_mov_b64 s[8:9], -1
.LBB121_1785:
	s_and_b64 vcc, exec, s[10:11]
	s_cbranch_vccz .LBB121_1790
; %bb.1786:
	s_cmp_eq_u32 s15, 44
	s_mov_b64 s[0:1], -1
	s_cbranch_scc0 .LBB121_1790
; %bb.1787:
	v_bfe_u32 v7, v6, 23, 8
	s_movk_i32 s0, 0xff
	v_cmp_ne_u32_e32 vcc, s0, v7
	v_mov_b32_e32 v8, 0xff
	s_and_saveexec_b64 s[8:9], vcc
; %bb.1788:
	s_mov_b32 s0, 0x3fffff
	v_and_b32_e32 v9, 0x400000, v6
	v_and_or_b32 v7, v6, s0, v7
	v_cmp_ne_u32_e32 vcc, 0, v9
	v_cmp_ne_u32_e64 s[0:1], 0, v7
	s_and_b64 s[0:1], vcc, s[0:1]
	v_lshrrev_b32_e32 v8, 23, v6
	v_cndmask_b32_e64 v7, 0, 1, s[0:1]
	v_add_u32_e32 v8, v8, v7
; %bb.1789:
	s_or_b64 exec, exec, s[8:9]
	s_mov_b64 s[0:1], 0
	s_mov_b64 s[8:9], -1
	global_store_byte v[4:5], v8, off
.LBB121_1790:
	s_mov_b64 s[10:11], 0
.LBB121_1791:
	s_and_b64 vcc, exec, s[10:11]
	s_cbranch_vccz .LBB121_1794
; %bb.1792:
	s_cmp_eq_u32 s15, 29
	s_mov_b64 s[0:1], -1
	s_cbranch_scc0 .LBB121_1794
; %bb.1793:
	v_trunc_f32_e32 v7, v6
	v_mul_f32_e32 v8, 0x2f800000, v7
	v_floor_f32_e32 v8, v8
	v_fmamk_f32 v7, v8, 0xcf800000, v7
	v_cvt_u32_f32_e32 v9, v8
	v_cvt_u32_f32_e32 v8, v7
	s_mov_b64 s[0:1], 0
	s_mov_b64 s[8:9], -1
	global_store_dwordx2 v[4:5], v[8:9], off
.LBB121_1794:
	s_mov_b64 s[10:11], 0
.LBB121_1795:
	s_and_b64 vcc, exec, s[10:11]
	s_cbranch_vccz .LBB121_1811
; %bb.1796:
	s_cmp_lt_i32 s15, 27
	s_mov_b64 s[8:9], -1
	s_cbranch_scc1 .LBB121_1802
; %bb.1797:
	s_cmp_gt_i32 s15, 27
	s_cbranch_scc0 .LBB121_1799
; %bb.1798:
	v_cvt_u32_f32_e32 v7, v6
	s_mov_b64 s[8:9], 0
	global_store_dword v[4:5], v7, off
.LBB121_1799:
	s_andn2_b64 vcc, exec, s[8:9]
	s_cbranch_vccnz .LBB121_1801
; %bb.1800:
	v_cvt_u32_f32_e32 v7, v6
	global_store_short v[4:5], v7, off
.LBB121_1801:
	s_mov_b64 s[8:9], 0
.LBB121_1802:
	s_andn2_b64 vcc, exec, s[8:9]
	s_cbranch_vccnz .LBB121_1810
; %bb.1803:
	v_and_b32_e32 v7, 0x7fffffff, v6
	s_mov_b32 s8, 0x43800000
	v_cmp_gt_u32_e32 vcc, s8, v7
	v_mov_b32_e32 v8, 0x80
	s_and_saveexec_b64 s[8:9], vcc
	s_cbranch_execz .LBB121_1809
; %bb.1804:
	s_mov_b32 s10, 0x3bffffff
	v_cmp_lt_u32_e32 vcc, s10, v7
	s_mov_b64 s[10:11], 0
                                        ; implicit-def: $vgpr7
	s_and_saveexec_b64 s[12:13], vcc
	s_xor_b64 s[12:13], exec, s[12:13]
	s_cbranch_execz .LBB121_2144
; %bb.1805:
	v_bfe_u32 v7, v6, 20, 1
	s_mov_b32 s16, 0x487ffff
	v_add3_u32 v7, v6, v7, s16
	s_mov_b64 s[10:11], exec
	v_lshrrev_b32_e32 v7, 20, v7
	s_andn2_saveexec_b64 s[12:13], s[12:13]
	s_cbranch_execnz .LBB121_2145
.LBB121_1806:
	s_or_b64 exec, exec, s[12:13]
	v_mov_b32_e32 v8, 0
	s_and_saveexec_b64 s[12:13], s[10:11]
.LBB121_1807:
	v_lshrrev_b32_e32 v8, 24, v6
	s_movk_i32 s10, 0x80
	v_and_or_b32 v8, v8, s10, v7
.LBB121_1808:
	s_or_b64 exec, exec, s[12:13]
.LBB121_1809:
	s_or_b64 exec, exec, s[8:9]
	global_store_byte v[4:5], v8, off
.LBB121_1810:
	s_mov_b64 s[8:9], -1
.LBB121_1811:
	s_mov_b64 s[10:11], 0
.LBB121_1812:
	s_and_b64 vcc, exec, s[10:11]
	s_cbranch_vccz .LBB121_1852
; %bb.1813:
	s_cmp_gt_i32 s15, 22
	s_mov_b64 s[6:7], -1
	s_cbranch_scc0 .LBB121_1845
; %bb.1814:
	s_cmp_lt_i32 s15, 24
	s_cbranch_scc1 .LBB121_1834
; %bb.1815:
	s_cmp_gt_i32 s15, 24
	s_cbranch_scc0 .LBB121_1823
; %bb.1816:
	v_and_b32_e32 v7, 0x7fffffff, v6
	s_mov_b32 s6, 0x47800000
	v_cmp_gt_u32_e32 vcc, s6, v7
	v_mov_b32_e32 v8, 0x80
	s_and_saveexec_b64 s[6:7], vcc
	s_cbranch_execz .LBB121_1822
; %bb.1817:
	s_mov_b32 s8, 0x37ffffff
	v_cmp_lt_u32_e32 vcc, s8, v7
	s_mov_b64 s[8:9], 0
                                        ; implicit-def: $vgpr7
	s_and_saveexec_b64 s[10:11], vcc
	s_xor_b64 s[10:11], exec, s[10:11]
	s_cbranch_execz .LBB121_2147
; %bb.1818:
	v_bfe_u32 v7, v6, 21, 1
	s_mov_b32 s12, 0x88fffff
	v_add3_u32 v7, v6, v7, s12
	s_mov_b64 s[8:9], exec
	v_lshrrev_b32_e32 v7, 21, v7
	s_andn2_saveexec_b64 s[10:11], s[10:11]
	s_cbranch_execnz .LBB121_2148
.LBB121_1819:
	s_or_b64 exec, exec, s[10:11]
	v_mov_b32_e32 v8, 0
	s_and_saveexec_b64 s[10:11], s[8:9]
.LBB121_1820:
	v_lshrrev_b32_e32 v8, 24, v6
	s_movk_i32 s8, 0x80
	v_and_or_b32 v8, v8, s8, v7
.LBB121_1821:
	s_or_b64 exec, exec, s[10:11]
.LBB121_1822:
	s_or_b64 exec, exec, s[6:7]
	s_mov_b64 s[6:7], 0
	global_store_byte v[4:5], v8, off
.LBB121_1823:
	s_and_b64 vcc, exec, s[6:7]
	s_cbranch_vccz .LBB121_1833
; %bb.1824:
	v_and_b32_e32 v8, 0x7fffffff, v6
	s_mov_b32 s6, 0x43f00000
	v_cmp_gt_u32_e32 vcc, s6, v8
                                        ; implicit-def: $vgpr7
	s_and_saveexec_b64 s[6:7], vcc
	s_xor_b64 s[6:7], exec, s[6:7]
	s_cbranch_execz .LBB121_1830
; %bb.1825:
	s_mov_b32 s8, 0x3c7fffff
	v_cmp_lt_u32_e32 vcc, s8, v8
                                        ; implicit-def: $vgpr7
	s_and_saveexec_b64 s[8:9], vcc
	s_xor_b64 s[8:9], exec, s[8:9]
; %bb.1826:
	v_bfe_u32 v7, v6, 20, 1
	s_mov_b32 s10, 0x407ffff
	v_add3_u32 v7, v6, v7, s10
	v_lshrrev_b32_e32 v8, 20, v7
	v_and_b32_e32 v7, 0xff00000, v7
	s_mov_b32 s10, 0x7f00000
	v_mov_b32_e32 v9, 0x7e
	v_cmp_ne_u32_e32 vcc, s10, v7
	s_nop 1
	v_cndmask_b32_e32 v7, v9, v8, vcc
; %bb.1827:
	s_andn2_saveexec_b64 s[8:9], s[8:9]
; %bb.1828:
	s_mov_b32 s10, 0x46800000
	v_add_f32_e64 v7, |v6|, s10
; %bb.1829:
	s_or_b64 exec, exec, s[8:9]
                                        ; implicit-def: $vgpr8
.LBB121_1830:
	s_andn2_saveexec_b64 s[6:7], s[6:7]
; %bb.1831:
	s_mov_b32 s8, 0x7f800000
	v_mov_b32_e32 v7, 0x7e
	v_mov_b32_e32 v9, 0x7f
	v_cmp_lt_u32_e32 vcc, s8, v8
	s_nop 1
	v_cndmask_b32_e32 v7, v7, v9, vcc
; %bb.1832:
	s_or_b64 exec, exec, s[6:7]
	v_lshrrev_b32_e32 v8, 24, v6
	s_movk_i32 s6, 0x80
	v_and_or_b32 v7, v8, s6, v7
	global_store_byte v[4:5], v7, off
.LBB121_1833:
	s_mov_b64 s[6:7], 0
.LBB121_1834:
	s_andn2_b64 vcc, exec, s[6:7]
	s_cbranch_vccnz .LBB121_1844
; %bb.1835:
	v_and_b32_e32 v8, 0x7fffffff, v6
	s_mov_b32 s6, 0x47800000
	v_cmp_gt_u32_e32 vcc, s6, v8
                                        ; implicit-def: $vgpr7
	s_and_saveexec_b64 s[6:7], vcc
	s_xor_b64 s[6:7], exec, s[6:7]
	s_cbranch_execz .LBB121_1841
; %bb.1836:
	s_mov_b32 s8, 0x387fffff
	v_cmp_lt_u32_e32 vcc, s8, v8
                                        ; implicit-def: $vgpr7
	s_and_saveexec_b64 s[8:9], vcc
	s_xor_b64 s[8:9], exec, s[8:9]
; %bb.1837:
	v_bfe_u32 v7, v6, 21, 1
	s_mov_b32 s10, 0x80fffff
	v_add3_u32 v7, v6, v7, s10
	v_lshrrev_b32_e32 v7, 21, v7
; %bb.1838:
	s_andn2_saveexec_b64 s[8:9], s[8:9]
; %bb.1839:
	s_mov_b32 s10, 0x43000000
	v_add_f32_e64 v7, |v6|, s10
; %bb.1840:
	s_or_b64 exec, exec, s[8:9]
                                        ; implicit-def: $vgpr8
.LBB121_1841:
	s_andn2_saveexec_b64 s[6:7], s[6:7]
; %bb.1842:
	s_mov_b32 s8, 0x7f800000
	v_mov_b32_e32 v7, 0x7c
	v_mov_b32_e32 v9, 0x7f
	v_cmp_lt_u32_e32 vcc, s8, v8
	s_nop 1
	v_cndmask_b32_e32 v7, v7, v9, vcc
; %bb.1843:
	s_or_b64 exec, exec, s[6:7]
	v_lshrrev_b32_e32 v8, 24, v6
	s_movk_i32 s6, 0x80
	v_and_or_b32 v7, v8, s6, v7
	global_store_byte v[4:5], v7, off
.LBB121_1844:
	s_mov_b64 s[6:7], 0
	s_mov_b64 s[8:9], -1
.LBB121_1845:
	s_andn2_b64 vcc, exec, s[6:7]
	s_mov_b64 s[6:7], 0
	s_cbranch_vccnz .LBB121_1852
; %bb.1846:
	s_cmp_gt_i32 s15, 14
	s_mov_b64 s[10:11], -1
	s_cbranch_scc0 .LBB121_1850
; %bb.1847:
	s_cmp_eq_u32 s15, 15
	s_mov_b64 s[0:1], -1
	s_cbranch_scc0 .LBB121_1849
; %bb.1848:
	v_bfe_u32 v7, v6, 16, 1
	s_movk_i32 s0, 0x7fff
	v_add3_u32 v7, v6, v7, s0
	v_cmp_o_f32_e32 vcc, v6, v6
	v_mov_b32_e32 v8, 0x7fc0
	s_mov_b64 s[0:1], 0
	v_cndmask_b32_sdwa v7, v8, v7, vcc dst_sel:DWORD dst_unused:UNUSED_PAD src0_sel:DWORD src1_sel:WORD_1
	global_store_short v[4:5], v7, off
	s_mov_b64 s[8:9], -1
.LBB121_1849:
	s_mov_b64 s[10:11], 0
.LBB121_1850:
	s_and_b64 vcc, exec, s[10:11]
	s_cbranch_vccz .LBB121_1852
; %bb.1851:
	s_cmp_lg_u32 s15, 11
	s_mov_b64 s[6:7], -1
	s_cselect_b64 s[0:1], -1, 0
.LBB121_1852:
	s_and_b64 vcc, exec, s[0:1]
	s_cbranch_vccnz .LBB121_2146
; %bb.1853:
	s_andn2_b64 vcc, exec, s[6:7]
	s_cbranch_vccnz .LBB121_1855
.LBB121_1854:
	v_cmp_neq_f32_e32 vcc, 0, v6
	s_mov_b64 s[8:9], -1
	s_nop 0
	v_cndmask_b32_e64 v7, 0, 1, vcc
	global_store_byte v[4:5], v7, off
.LBB121_1855:
	s_mov_b64 s[0:1], 0
	s_branch .LBB121_1857
.LBB121_1856:
	s_mov_b64 s[0:1], -1
	s_mov_b64 s[8:9], 0
.LBB121_1857:
	s_and_b64 vcc, exec, s[0:1]
	s_cbranch_vccz .LBB121_1896
; %bb.1858:
	s_and_b32 s6, 0xffff, s14
	s_cmp_lt_i32 s6, 5
	s_mov_b64 s[0:1], -1
	s_cbranch_scc1 .LBB121_1879
; %bb.1859:
	s_cmp_lt_i32 s6, 8
	s_cbranch_scc1 .LBB121_1869
; %bb.1860:
	s_cmp_lt_i32 s6, 9
	s_cbranch_scc1 .LBB121_1866
; %bb.1861:
	s_cmp_gt_i32 s6, 9
	s_cbranch_scc0 .LBB121_1863
; %bb.1862:
	v_mov_b32_e32 v10, 0
	v_cvt_f64_f32_e32 v[8:9], v6
	v_mov_b32_e32 v11, v10
	global_store_dwordx4 v[4:5], v[8:11], off
	s_mov_b64 s[0:1], 0
.LBB121_1863:
	s_andn2_b64 vcc, exec, s[0:1]
	s_cbranch_vccnz .LBB121_1865
; %bb.1864:
	v_mov_b32_e32 v7, 0
	global_store_dwordx2 v[4:5], v[6:7], off
.LBB121_1865:
	s_mov_b64 s[0:1], 0
.LBB121_1866:
	s_andn2_b64 vcc, exec, s[0:1]
	s_cbranch_vccnz .LBB121_1868
; %bb.1867:
	v_cvt_f16_f32_e32 v7, v6
	global_store_dword v[4:5], v7, off
.LBB121_1868:
	s_mov_b64 s[0:1], 0
.LBB121_1869:
	s_andn2_b64 vcc, exec, s[0:1]
	s_cbranch_vccnz .LBB121_1878
; %bb.1870:
	s_cmp_lt_i32 s6, 6
	s_mov_b64 s[0:1], -1
	s_cbranch_scc1 .LBB121_1876
; %bb.1871:
	s_cmp_gt_i32 s6, 6
	s_cbranch_scc0 .LBB121_1873
; %bb.1872:
	v_cvt_f64_f32_e32 v[8:9], v6
	global_store_dwordx2 v[4:5], v[8:9], off
	s_mov_b64 s[0:1], 0
.LBB121_1873:
	s_andn2_b64 vcc, exec, s[0:1]
	s_cbranch_vccnz .LBB121_1875
; %bb.1874:
	global_store_dword v[4:5], v6, off
.LBB121_1875:
	s_mov_b64 s[0:1], 0
.LBB121_1876:
	s_andn2_b64 vcc, exec, s[0:1]
	s_cbranch_vccnz .LBB121_1878
; %bb.1877:
	v_cvt_f16_f32_e32 v7, v6
	global_store_short v[4:5], v7, off
.LBB121_1878:
	s_mov_b64 s[0:1], 0
.LBB121_1879:
	s_andn2_b64 vcc, exec, s[0:1]
	s_cbranch_vccnz .LBB121_1895
; %bb.1880:
	s_cmp_lt_i32 s6, 2
	s_mov_b64 s[0:1], -1
	s_cbranch_scc1 .LBB121_1890
; %bb.1881:
	s_cmp_lt_i32 s6, 3
	s_cbranch_scc1 .LBB121_1887
; %bb.1882:
	s_cmp_gt_i32 s6, 3
	s_cbranch_scc0 .LBB121_1884
; %bb.1883:
	v_trunc_f32_e32 v7, v6
	s_mov_b32 s0, 0x2f800000
	v_mul_f32_e64 v8, |v7|, s0
	v_floor_f32_e32 v8, v8
	s_mov_b32 s0, 0xcf800000
	v_cvt_u32_f32_e32 v9, v8
	v_fma_f32 v8, v8, s0, |v7|
	v_cvt_u32_f32_e32 v8, v8
	v_ashrrev_i32_e32 v7, 31, v7
	v_xor_b32_e32 v9, v9, v7
	s_mov_b64 s[0:1], 0
	v_xor_b32_e32 v8, v8, v7
	v_sub_co_u32_e32 v8, vcc, v8, v7
	s_nop 1
	v_subb_co_u32_e32 v9, vcc, v9, v7, vcc
	global_store_dwordx2 v[4:5], v[8:9], off
.LBB121_1884:
	s_andn2_b64 vcc, exec, s[0:1]
	s_cbranch_vccnz .LBB121_1886
; %bb.1885:
	v_cvt_i32_f32_e32 v7, v6
	global_store_dword v[4:5], v7, off
.LBB121_1886:
	s_mov_b64 s[0:1], 0
.LBB121_1887:
	s_andn2_b64 vcc, exec, s[0:1]
	s_cbranch_vccnz .LBB121_1889
; %bb.1888:
	v_cvt_i32_f32_e32 v7, v6
	global_store_short v[4:5], v7, off
.LBB121_1889:
	s_mov_b64 s[0:1], 0
.LBB121_1890:
	s_andn2_b64 vcc, exec, s[0:1]
	s_cbranch_vccnz .LBB121_1895
; %bb.1891:
	s_cmp_gt_i32 s6, 0
	s_mov_b64 s[0:1], -1
	s_cbranch_scc0 .LBB121_1893
; %bb.1892:
	v_cvt_i32_f32_e32 v7, v6
	s_mov_b64 s[0:1], 0
	global_store_byte v[4:5], v7, off
.LBB121_1893:
	s_andn2_b64 vcc, exec, s[0:1]
	s_cbranch_vccnz .LBB121_1895
; %bb.1894:
	v_trunc_f32_e32 v6, v6
	s_mov_b32 s0, 0x2f800000
	v_mul_f32_e64 v7, |v6|, s0
	v_floor_f32_e32 v7, v7
	s_mov_b32 s0, 0xcf800000
	v_fma_f32 v7, v7, s0, |v6|
	v_cvt_u32_f32_e32 v7, v7
	v_ashrrev_i32_e32 v6, 31, v6
	v_xor_b32_e32 v7, v7, v6
	v_sub_u32_e32 v6, v7, v6
	global_store_byte v[4:5], v6, off
.LBB121_1895:
	s_mov_b64 s[8:9], -1
.LBB121_1896:
	s_andn2_b64 vcc, exec, s[8:9]
	s_cbranch_vccnz .LBB121_2092
; %bb.1897:
	v_mul_f32_e32 v4, 0x3fb8aa3b, v3
	v_rndne_f32_e32 v4, v4
	v_fmamk_f32 v5, v4, 0xbf317218, v3
	v_fmamk_f32 v5, v4, 0x3102e308, v5
	v_mov_b32_e32 v6, 0x3ab69700
	v_fmac_f32_e32 v6, 0x395133b1, v5
	v_fmaak_f32 v6, v5, v6, 0x3c0887f9
	v_fmaak_f32 v6, v5, v6, 0x3d2aaa81
	v_cvt_i32_f32_e32 v7, v4
	v_fmaak_f32 v6, v5, v6, 0x3e2aaaab
	v_fma_f32 v6, v5, v6, 0.5
	v_mul_f32_e32 v6, v5, v6
	s_mov_b32 s0, 0x43000000
	v_fmac_f32_e32 v5, v5, v6
	v_ldexp_f32 v6, 1.0, v7
	v_mov_b32_e32 v7, 0x7f000000
	v_cmp_eq_f32_e32 vcc, s0, v4
	s_mov_b32 s0, 0x42b17217
	s_cmp_lt_i32 s14, 11
	v_cndmask_b32_e32 v4, v6, v7, vcc
	v_add_f32_e32 v6, -1.0, v4
	v_fmac_f32_e32 v6, v4, v5
	v_add_f32_e32 v4, v6, v6
	v_cndmask_b32_e32 v4, v6, v4, vcc
	v_mov_b32_e32 v5, 0x7f800000
	v_cmp_nlt_f32_e32 vcc, s0, v3
	s_mov_b32 s0, 0xc1880000
	s_nop 0
	v_cndmask_b32_e32 v4, v5, v4, vcc
	v_cmp_ngt_f32_e32 vcc, s0, v3
	v_mov_b32_e32 v3, 0
	v_lshl_add_u64 v[2:3], s[4:5], 0, v[2:3]
	v_cndmask_b32_e32 v4, -1.0, v4, vcc
	s_cbranch_scc1 .LBB121_1975
; %bb.1898:
	s_and_b32 s15, 0xffff, s14
	s_mov_b64 s[10:11], -1
	s_mov_b64 s[6:7], 0
	s_cmp_gt_i32 s15, 25
	s_mov_b64 s[8:9], 0
	s_mov_b64 s[0:1], 0
	s_cbranch_scc0 .LBB121_1931
; %bb.1899:
	s_cmp_gt_i32 s15, 28
	s_cbranch_scc0 .LBB121_1914
; %bb.1900:
	s_cmp_gt_i32 s15, 43
	;; [unrolled: 3-line block ×3, first 2 shown]
	s_cbranch_scc0 .LBB121_1904
; %bb.1902:
	s_mov_b64 s[0:1], -1
	s_mov_b64 s[10:11], 0
	s_cmp_eq_u32 s15, 46
	s_cbranch_scc0 .LBB121_1904
; %bb.1903:
	v_bfe_u32 v5, v4, 16, 1
	s_movk_i32 s0, 0x7fff
	v_add3_u32 v5, v4, v5, s0
	v_cmp_o_f32_e32 vcc, v4, v4
	v_mov_b32_e32 v6, 0x7fc0
	s_mov_b64 s[0:1], 0
	v_cndmask_b32_sdwa v5, v6, v5, vcc dst_sel:DWORD dst_unused:UNUSED_PAD src0_sel:DWORD src1_sel:WORD_1
	global_store_dword v[2:3], v5, off
	s_mov_b64 s[8:9], -1
.LBB121_1904:
	s_and_b64 vcc, exec, s[10:11]
	s_cbranch_vccz .LBB121_1909
; %bb.1905:
	s_cmp_eq_u32 s15, 44
	s_mov_b64 s[0:1], -1
	s_cbranch_scc0 .LBB121_1909
; %bb.1906:
	v_bfe_u32 v5, v4, 23, 8
	s_movk_i32 s0, 0xff
	v_cmp_ne_u32_e32 vcc, s0, v5
	v_mov_b32_e32 v6, 0xff
	s_and_saveexec_b64 s[8:9], vcc
; %bb.1907:
	s_mov_b32 s0, 0x3fffff
	v_and_b32_e32 v7, 0x400000, v4
	v_and_or_b32 v5, v4, s0, v5
	v_cmp_ne_u32_e32 vcc, 0, v7
	v_cmp_ne_u32_e64 s[0:1], 0, v5
	s_and_b64 s[0:1], vcc, s[0:1]
	v_lshrrev_b32_e32 v6, 23, v4
	v_cndmask_b32_e64 v5, 0, 1, s[0:1]
	v_add_u32_e32 v6, v6, v5
; %bb.1908:
	s_or_b64 exec, exec, s[8:9]
	s_mov_b64 s[0:1], 0
	s_mov_b64 s[8:9], -1
	global_store_byte v[2:3], v6, off
.LBB121_1909:
	s_mov_b64 s[10:11], 0
.LBB121_1910:
	s_and_b64 vcc, exec, s[10:11]
	s_cbranch_vccz .LBB121_1913
; %bb.1911:
	s_cmp_eq_u32 s15, 29
	s_mov_b64 s[0:1], -1
	s_cbranch_scc0 .LBB121_1913
; %bb.1912:
	v_trunc_f32_e32 v5, v4
	v_mul_f32_e32 v6, 0x2f800000, v5
	v_floor_f32_e32 v6, v6
	v_fmamk_f32 v5, v6, 0xcf800000, v5
	v_cvt_u32_f32_e32 v7, v6
	v_cvt_u32_f32_e32 v6, v5
	s_mov_b64 s[0:1], 0
	s_mov_b64 s[8:9], -1
	global_store_dwordx2 v[2:3], v[6:7], off
.LBB121_1913:
	s_mov_b64 s[10:11], 0
.LBB121_1914:
	s_and_b64 vcc, exec, s[10:11]
	s_cbranch_vccz .LBB121_1930
; %bb.1915:
	s_cmp_lt_i32 s15, 27
	s_mov_b64 s[8:9], -1
	s_cbranch_scc1 .LBB121_1921
; %bb.1916:
	v_cvt_u32_f32_e32 v5, v4
	s_cmp_gt_i32 s15, 27
	s_cbranch_scc0 .LBB121_1918
; %bb.1917:
	s_mov_b64 s[8:9], 0
	global_store_dword v[2:3], v5, off
.LBB121_1918:
	s_andn2_b64 vcc, exec, s[8:9]
	s_cbranch_vccnz .LBB121_1920
; %bb.1919:
	global_store_short v[2:3], v5, off
.LBB121_1920:
	s_mov_b64 s[8:9], 0
.LBB121_1921:
	s_andn2_b64 vcc, exec, s[8:9]
	s_cbranch_vccnz .LBB121_1929
; %bb.1922:
	v_and_b32_e32 v5, 0x7fffffff, v4
	s_mov_b32 s8, 0x43800000
	v_cmp_gt_u32_e32 vcc, s8, v5
	v_mov_b32_e32 v6, 0x80
	s_and_saveexec_b64 s[8:9], vcc
	s_cbranch_execz .LBB121_1928
; %bb.1923:
	s_mov_b32 s10, 0x3bffffff
	v_cmp_lt_u32_e32 vcc, s10, v5
	s_mov_b64 s[10:11], 0
                                        ; implicit-def: $vgpr5
	s_and_saveexec_b64 s[12:13], vcc
	s_xor_b64 s[12:13], exec, s[12:13]
	s_cbranch_execz .LBB121_2149
; %bb.1924:
	v_bfe_u32 v5, v4, 20, 1
	s_mov_b32 s16, 0x487ffff
	v_add3_u32 v5, v4, v5, s16
	s_mov_b64 s[10:11], exec
	v_lshrrev_b32_e32 v5, 20, v5
	s_andn2_saveexec_b64 s[12:13], s[12:13]
	s_cbranch_execnz .LBB121_2150
.LBB121_1925:
	s_or_b64 exec, exec, s[12:13]
	v_mov_b32_e32 v6, 0
	s_and_saveexec_b64 s[12:13], s[10:11]
.LBB121_1926:
	v_lshrrev_b32_e32 v6, 24, v4
	s_movk_i32 s10, 0x80
	v_and_or_b32 v6, v6, s10, v5
.LBB121_1927:
	s_or_b64 exec, exec, s[12:13]
.LBB121_1928:
	s_or_b64 exec, exec, s[8:9]
	global_store_byte v[2:3], v6, off
.LBB121_1929:
	s_mov_b64 s[8:9], -1
.LBB121_1930:
	s_mov_b64 s[10:11], 0
.LBB121_1931:
	s_and_b64 vcc, exec, s[10:11]
	s_cbranch_vccz .LBB121_1971
; %bb.1932:
	s_cmp_gt_i32 s15, 22
	s_mov_b64 s[6:7], -1
	s_cbranch_scc0 .LBB121_1964
; %bb.1933:
	s_cmp_lt_i32 s15, 24
	s_cbranch_scc1 .LBB121_1953
; %bb.1934:
	s_cmp_gt_i32 s15, 24
	s_cbranch_scc0 .LBB121_1942
; %bb.1935:
	v_and_b32_e32 v5, 0x7fffffff, v4
	s_mov_b32 s6, 0x47800000
	v_cmp_gt_u32_e32 vcc, s6, v5
	v_mov_b32_e32 v6, 0x80
	s_and_saveexec_b64 s[6:7], vcc
	s_cbranch_execz .LBB121_1941
; %bb.1936:
	s_mov_b32 s8, 0x37ffffff
	v_cmp_lt_u32_e32 vcc, s8, v5
	s_mov_b64 s[8:9], 0
                                        ; implicit-def: $vgpr5
	s_and_saveexec_b64 s[10:11], vcc
	s_xor_b64 s[10:11], exec, s[10:11]
	s_cbranch_execz .LBB121_2152
; %bb.1937:
	v_bfe_u32 v5, v4, 21, 1
	s_mov_b32 s12, 0x88fffff
	v_add3_u32 v5, v4, v5, s12
	s_mov_b64 s[8:9], exec
	v_lshrrev_b32_e32 v5, 21, v5
	s_andn2_saveexec_b64 s[10:11], s[10:11]
	s_cbranch_execnz .LBB121_2153
.LBB121_1938:
	s_or_b64 exec, exec, s[10:11]
	v_mov_b32_e32 v6, 0
	s_and_saveexec_b64 s[10:11], s[8:9]
.LBB121_1939:
	v_lshrrev_b32_e32 v6, 24, v4
	s_movk_i32 s8, 0x80
	v_and_or_b32 v6, v6, s8, v5
.LBB121_1940:
	s_or_b64 exec, exec, s[10:11]
.LBB121_1941:
	s_or_b64 exec, exec, s[6:7]
	s_mov_b64 s[6:7], 0
	global_store_byte v[2:3], v6, off
.LBB121_1942:
	s_and_b64 vcc, exec, s[6:7]
	s_cbranch_vccz .LBB121_1952
; %bb.1943:
	v_and_b32_e32 v6, 0x7fffffff, v4
	s_mov_b32 s6, 0x43f00000
	v_cmp_gt_u32_e32 vcc, s6, v6
                                        ; implicit-def: $vgpr5
	s_and_saveexec_b64 s[6:7], vcc
	s_xor_b64 s[6:7], exec, s[6:7]
	s_cbranch_execz .LBB121_1949
; %bb.1944:
	s_mov_b32 s8, 0x3c7fffff
	v_cmp_lt_u32_e32 vcc, s8, v6
                                        ; implicit-def: $vgpr5
	s_and_saveexec_b64 s[8:9], vcc
	s_xor_b64 s[8:9], exec, s[8:9]
; %bb.1945:
	v_bfe_u32 v5, v4, 20, 1
	s_mov_b32 s10, 0x407ffff
	v_add3_u32 v5, v4, v5, s10
	v_lshrrev_b32_e32 v6, 20, v5
	v_and_b32_e32 v5, 0xff00000, v5
	s_mov_b32 s10, 0x7f00000
	v_mov_b32_e32 v7, 0x7e
	v_cmp_ne_u32_e32 vcc, s10, v5
	s_nop 1
	v_cndmask_b32_e32 v5, v7, v6, vcc
; %bb.1946:
	s_andn2_saveexec_b64 s[8:9], s[8:9]
; %bb.1947:
	s_mov_b32 s10, 0x46800000
	v_add_f32_e64 v5, |v4|, s10
; %bb.1948:
	s_or_b64 exec, exec, s[8:9]
                                        ; implicit-def: $vgpr6
.LBB121_1949:
	s_andn2_saveexec_b64 s[6:7], s[6:7]
; %bb.1950:
	s_mov_b32 s8, 0x7f800000
	v_mov_b32_e32 v5, 0x7e
	v_mov_b32_e32 v7, 0x7f
	v_cmp_lt_u32_e32 vcc, s8, v6
	s_nop 1
	v_cndmask_b32_e32 v5, v5, v7, vcc
; %bb.1951:
	s_or_b64 exec, exec, s[6:7]
	v_lshrrev_b32_e32 v6, 24, v4
	s_movk_i32 s6, 0x80
	v_and_or_b32 v5, v6, s6, v5
	global_store_byte v[2:3], v5, off
.LBB121_1952:
	s_mov_b64 s[6:7], 0
.LBB121_1953:
	s_andn2_b64 vcc, exec, s[6:7]
	s_cbranch_vccnz .LBB121_1963
; %bb.1954:
	v_and_b32_e32 v6, 0x7fffffff, v4
	s_mov_b32 s6, 0x47800000
	v_cmp_gt_u32_e32 vcc, s6, v6
                                        ; implicit-def: $vgpr5
	s_and_saveexec_b64 s[6:7], vcc
	s_xor_b64 s[6:7], exec, s[6:7]
	s_cbranch_execz .LBB121_1960
; %bb.1955:
	s_mov_b32 s8, 0x387fffff
	v_cmp_lt_u32_e32 vcc, s8, v6
                                        ; implicit-def: $vgpr5
	s_and_saveexec_b64 s[8:9], vcc
	s_xor_b64 s[8:9], exec, s[8:9]
; %bb.1956:
	v_bfe_u32 v5, v4, 21, 1
	s_mov_b32 s10, 0x80fffff
	v_add3_u32 v5, v4, v5, s10
	v_lshrrev_b32_e32 v5, 21, v5
; %bb.1957:
	s_andn2_saveexec_b64 s[8:9], s[8:9]
; %bb.1958:
	s_mov_b32 s10, 0x43000000
	v_add_f32_e64 v5, |v4|, s10
; %bb.1959:
	s_or_b64 exec, exec, s[8:9]
                                        ; implicit-def: $vgpr6
.LBB121_1960:
	s_andn2_saveexec_b64 s[6:7], s[6:7]
; %bb.1961:
	s_mov_b32 s8, 0x7f800000
	v_mov_b32_e32 v5, 0x7c
	v_mov_b32_e32 v7, 0x7f
	v_cmp_lt_u32_e32 vcc, s8, v6
	s_nop 1
	v_cndmask_b32_e32 v5, v5, v7, vcc
; %bb.1962:
	s_or_b64 exec, exec, s[6:7]
	v_lshrrev_b32_e32 v6, 24, v4
	s_movk_i32 s6, 0x80
	v_and_or_b32 v5, v6, s6, v5
	global_store_byte v[2:3], v5, off
.LBB121_1963:
	s_mov_b64 s[6:7], 0
	s_mov_b64 s[8:9], -1
.LBB121_1964:
	s_andn2_b64 vcc, exec, s[6:7]
	s_mov_b64 s[6:7], 0
	s_cbranch_vccnz .LBB121_1971
; %bb.1965:
	s_cmp_gt_i32 s15, 14
	s_mov_b64 s[10:11], -1
	s_cbranch_scc0 .LBB121_1969
; %bb.1966:
	s_cmp_eq_u32 s15, 15
	s_mov_b64 s[0:1], -1
	s_cbranch_scc0 .LBB121_1968
; %bb.1967:
	v_bfe_u32 v5, v4, 16, 1
	s_movk_i32 s0, 0x7fff
	v_add3_u32 v5, v4, v5, s0
	v_cmp_o_f32_e32 vcc, v4, v4
	v_mov_b32_e32 v6, 0x7fc0
	s_mov_b64 s[0:1], 0
	v_cndmask_b32_sdwa v5, v6, v5, vcc dst_sel:DWORD dst_unused:UNUSED_PAD src0_sel:DWORD src1_sel:WORD_1
	global_store_short v[2:3], v5, off
	s_mov_b64 s[8:9], -1
.LBB121_1968:
	s_mov_b64 s[10:11], 0
.LBB121_1969:
	s_and_b64 vcc, exec, s[10:11]
	s_cbranch_vccz .LBB121_1971
; %bb.1970:
	s_cmp_lg_u32 s15, 11
	s_mov_b64 s[6:7], -1
	s_cselect_b64 s[0:1], -1, 0
.LBB121_1971:
	s_and_b64 vcc, exec, s[0:1]
	s_cbranch_vccnz .LBB121_2151
; %bb.1972:
	s_andn2_b64 vcc, exec, s[6:7]
	s_cbranch_vccnz .LBB121_1974
.LBB121_1973:
	v_cmp_neq_f32_e32 vcc, 0, v4
	s_mov_b64 s[8:9], -1
	s_nop 0
	v_cndmask_b32_e64 v5, 0, 1, vcc
	global_store_byte v[2:3], v5, off
.LBB121_1974:
	s_mov_b64 s[0:1], 0
	s_branch .LBB121_1976
.LBB121_1975:
	s_mov_b64 s[0:1], -1
	s_mov_b64 s[8:9], 0
.LBB121_1976:
	s_and_b64 vcc, exec, s[0:1]
	s_cbranch_vccz .LBB121_2015
; %bb.1977:
	s_and_b32 s6, 0xffff, s14
	s_cmp_lt_i32 s6, 5
	s_mov_b64 s[0:1], -1
	s_cbranch_scc1 .LBB121_1998
; %bb.1978:
	s_cmp_lt_i32 s6, 8
	s_cbranch_scc1 .LBB121_1988
; %bb.1979:
	s_cmp_lt_i32 s6, 9
	s_cbranch_scc1 .LBB121_1985
; %bb.1980:
	s_cmp_gt_i32 s6, 9
	s_cbranch_scc0 .LBB121_1982
; %bb.1981:
	v_mov_b32_e32 v8, 0
	v_cvt_f64_f32_e32 v[6:7], v4
	v_mov_b32_e32 v9, v8
	global_store_dwordx4 v[2:3], v[6:9], off
	s_mov_b64 s[0:1], 0
.LBB121_1982:
	s_andn2_b64 vcc, exec, s[0:1]
	s_cbranch_vccnz .LBB121_1984
; %bb.1983:
	v_mov_b32_e32 v5, 0
	global_store_dwordx2 v[2:3], v[4:5], off
.LBB121_1984:
	s_mov_b64 s[0:1], 0
.LBB121_1985:
	s_andn2_b64 vcc, exec, s[0:1]
	s_cbranch_vccnz .LBB121_1987
; %bb.1986:
	v_cvt_f16_f32_e32 v5, v4
	global_store_dword v[2:3], v5, off
.LBB121_1987:
	s_mov_b64 s[0:1], 0
.LBB121_1988:
	s_andn2_b64 vcc, exec, s[0:1]
	s_cbranch_vccnz .LBB121_1997
; %bb.1989:
	s_cmp_lt_i32 s6, 6
	s_mov_b64 s[0:1], -1
	s_cbranch_scc1 .LBB121_1995
; %bb.1990:
	s_cmp_gt_i32 s6, 6
	s_cbranch_scc0 .LBB121_1992
; %bb.1991:
	v_cvt_f64_f32_e32 v[6:7], v4
	global_store_dwordx2 v[2:3], v[6:7], off
	s_mov_b64 s[0:1], 0
.LBB121_1992:
	s_andn2_b64 vcc, exec, s[0:1]
	s_cbranch_vccnz .LBB121_1994
; %bb.1993:
	global_store_dword v[2:3], v4, off
.LBB121_1994:
	s_mov_b64 s[0:1], 0
.LBB121_1995:
	s_andn2_b64 vcc, exec, s[0:1]
	s_cbranch_vccnz .LBB121_1997
; %bb.1996:
	v_cvt_f16_f32_e32 v5, v4
	global_store_short v[2:3], v5, off
.LBB121_1997:
	s_mov_b64 s[0:1], 0
.LBB121_1998:
	s_andn2_b64 vcc, exec, s[0:1]
	s_cbranch_vccnz .LBB121_2014
; %bb.1999:
	s_cmp_lt_i32 s6, 2
	s_mov_b64 s[0:1], -1
	s_cbranch_scc1 .LBB121_2009
; %bb.2000:
	s_cmp_lt_i32 s6, 3
	s_cbranch_scc1 .LBB121_2006
; %bb.2001:
	s_cmp_gt_i32 s6, 3
	s_cbranch_scc0 .LBB121_2003
; %bb.2002:
	v_trunc_f32_e32 v5, v4
	s_mov_b32 s0, 0x2f800000
	v_mul_f32_e64 v6, |v5|, s0
	v_floor_f32_e32 v6, v6
	s_mov_b32 s0, 0xcf800000
	v_cvt_u32_f32_e32 v7, v6
	v_fma_f32 v6, v6, s0, |v5|
	v_cvt_u32_f32_e32 v6, v6
	v_ashrrev_i32_e32 v5, 31, v5
	v_xor_b32_e32 v7, v7, v5
	s_mov_b64 s[0:1], 0
	v_xor_b32_e32 v6, v6, v5
	v_sub_co_u32_e32 v6, vcc, v6, v5
	s_nop 1
	v_subb_co_u32_e32 v7, vcc, v7, v5, vcc
	global_store_dwordx2 v[2:3], v[6:7], off
.LBB121_2003:
	s_andn2_b64 vcc, exec, s[0:1]
	s_cbranch_vccnz .LBB121_2005
; %bb.2004:
	v_cvt_i32_f32_e32 v5, v4
	global_store_dword v[2:3], v5, off
.LBB121_2005:
	s_mov_b64 s[0:1], 0
.LBB121_2006:
	s_andn2_b64 vcc, exec, s[0:1]
	s_cbranch_vccnz .LBB121_2008
; %bb.2007:
	v_cvt_i32_f32_e32 v5, v4
	global_store_short v[2:3], v5, off
.LBB121_2008:
	s_mov_b64 s[0:1], 0
.LBB121_2009:
	s_andn2_b64 vcc, exec, s[0:1]
	s_cbranch_vccnz .LBB121_2014
; %bb.2010:
	s_cmp_gt_i32 s6, 0
	s_mov_b64 s[0:1], -1
	s_cbranch_scc0 .LBB121_2012
; %bb.2011:
	v_cvt_i32_f32_e32 v5, v4
	s_mov_b64 s[0:1], 0
	global_store_byte v[2:3], v5, off
.LBB121_2012:
	s_andn2_b64 vcc, exec, s[0:1]
	s_cbranch_vccnz .LBB121_2014
; %bb.2013:
	v_trunc_f32_e32 v4, v4
	s_mov_b32 s0, 0x2f800000
	v_mul_f32_e64 v5, |v4|, s0
	v_floor_f32_e32 v5, v5
	s_mov_b32 s0, 0xcf800000
	v_fma_f32 v5, v5, s0, |v4|
	v_cvt_u32_f32_e32 v5, v5
	v_ashrrev_i32_e32 v4, 31, v4
	v_xor_b32_e32 v5, v5, v4
	v_sub_u32_e32 v4, v5, v4
	global_store_byte v[2:3], v4, off
.LBB121_2014:
	s_mov_b64 s[8:9], -1
.LBB121_2015:
	s_andn2_b64 vcc, exec, s[8:9]
	s_cbranch_vccnz .LBB121_2092
; %bb.2016:
	v_mul_f32_e32 v2, 0x3fb8aa3b, v1
	v_rndne_f32_e32 v2, v2
	v_fmamk_f32 v3, v2, 0xbf317218, v1
	v_fmamk_f32 v3, v2, 0x3102e308, v3
	v_mov_b32_e32 v4, 0x3ab69700
	v_fmac_f32_e32 v4, 0x395133b1, v3
	v_fmaak_f32 v4, v3, v4, 0x3c0887f9
	v_fmaak_f32 v4, v3, v4, 0x3d2aaa81
	v_cvt_i32_f32_e32 v5, v2
	v_fmaak_f32 v4, v3, v4, 0x3e2aaaab
	v_fma_f32 v4, v3, v4, 0.5
	v_mul_f32_e32 v4, v3, v4
	s_mov_b32 s0, 0x43000000
	v_fmac_f32_e32 v3, v3, v4
	v_ldexp_f32 v4, 1.0, v5
	v_mov_b32_e32 v5, 0x7f000000
	v_cmp_eq_f32_e32 vcc, s0, v2
	s_mov_b32 s0, 0x42b17217
	s_cmp_lt_i32 s14, 11
	v_cndmask_b32_e32 v2, v4, v5, vcc
	v_add_f32_e32 v4, -1.0, v2
	v_fmac_f32_e32 v4, v2, v3
	v_add_f32_e32 v2, v4, v4
	v_cndmask_b32_e32 v2, v4, v2, vcc
	v_mov_b32_e32 v3, 0x7f800000
	v_cmp_nlt_f32_e32 vcc, s0, v1
	s_mov_b32 s0, 0xc1880000
	s_nop 0
	v_cndmask_b32_e32 v2, v3, v2, vcc
	v_cmp_ngt_f32_e32 vcc, s0, v1
	v_mov_b32_e32 v1, 0
	v_lshl_add_u64 v[0:1], s[4:5], 0, v[0:1]
	v_cndmask_b32_e32 v2, -1.0, v2, vcc
	s_cbranch_scc1 .LBB121_2137
; %bb.2017:
	s_and_b32 s12, 0xffff, s14
	s_mov_b64 s[6:7], -1
	s_mov_b64 s[4:5], 0
	s_cmp_gt_i32 s12, 25
	s_mov_b64 s[0:1], 0
	s_cbranch_scc0 .LBB121_2050
; %bb.2018:
	s_cmp_gt_i32 s12, 28
	s_cbranch_scc0 .LBB121_2034
; %bb.2019:
	s_cmp_gt_i32 s12, 43
	;; [unrolled: 3-line block ×3, first 2 shown]
	s_cbranch_scc0 .LBB121_2024
; %bb.2021:
	s_cmp_eq_u32 s12, 46
	s_mov_b64 s[0:1], -1
	s_cbranch_scc0 .LBB121_2023
; %bb.2022:
	v_bfe_u32 v3, v2, 16, 1
	s_movk_i32 s0, 0x7fff
	v_add3_u32 v3, v2, v3, s0
	v_cmp_o_f32_e32 vcc, v2, v2
	v_mov_b32_e32 v4, 0x7fc0
	s_mov_b64 s[0:1], 0
	v_cndmask_b32_sdwa v3, v4, v3, vcc dst_sel:DWORD dst_unused:UNUSED_PAD src0_sel:DWORD src1_sel:WORD_1
	global_store_dword v[0:1], v3, off
.LBB121_2023:
	s_mov_b64 s[6:7], 0
.LBB121_2024:
	s_and_b64 vcc, exec, s[6:7]
	s_cbranch_vccz .LBB121_2029
; %bb.2025:
	s_cmp_eq_u32 s12, 44
	s_mov_b64 s[0:1], -1
	s_cbranch_scc0 .LBB121_2029
; %bb.2026:
	v_bfe_u32 v3, v2, 23, 8
	s_movk_i32 s0, 0xff
	v_cmp_ne_u32_e32 vcc, s0, v3
	v_mov_b32_e32 v4, 0xff
	s_and_saveexec_b64 s[6:7], vcc
; %bb.2027:
	s_mov_b32 s0, 0x3fffff
	v_and_b32_e32 v5, 0x400000, v2
	v_and_or_b32 v3, v2, s0, v3
	v_cmp_ne_u32_e32 vcc, 0, v5
	v_cmp_ne_u32_e64 s[0:1], 0, v3
	s_and_b64 s[0:1], vcc, s[0:1]
	v_lshrrev_b32_e32 v4, 23, v2
	v_cndmask_b32_e64 v3, 0, 1, s[0:1]
	v_add_u32_e32 v4, v4, v3
; %bb.2028:
	s_or_b64 exec, exec, s[6:7]
	s_mov_b64 s[0:1], 0
	global_store_byte v[0:1], v4, off
.LBB121_2029:
	s_mov_b64 s[6:7], 0
.LBB121_2030:
	s_and_b64 vcc, exec, s[6:7]
	s_cbranch_vccz .LBB121_2033
; %bb.2031:
	s_cmp_eq_u32 s12, 29
	s_mov_b64 s[0:1], -1
	s_cbranch_scc0 .LBB121_2033
; %bb.2032:
	v_trunc_f32_e32 v3, v2
	v_mul_f32_e32 v4, 0x2f800000, v3
	v_floor_f32_e32 v4, v4
	v_fmamk_f32 v3, v4, 0xcf800000, v3
	v_cvt_u32_f32_e32 v5, v4
	v_cvt_u32_f32_e32 v4, v3
	s_mov_b64 s[0:1], 0
	global_store_dwordx2 v[0:1], v[4:5], off
.LBB121_2033:
	s_mov_b64 s[6:7], 0
.LBB121_2034:
	s_and_b64 vcc, exec, s[6:7]
	s_cbranch_vccz .LBB121_2049
; %bb.2035:
	s_cmp_lt_i32 s12, 27
	s_mov_b64 s[6:7], -1
	s_cbranch_scc1 .LBB121_2041
; %bb.2036:
	s_cmp_gt_i32 s12, 27
	s_cbranch_scc0 .LBB121_2038
; %bb.2037:
	v_cvt_u32_f32_e32 v3, v2
	s_mov_b64 s[6:7], 0
	global_store_dword v[0:1], v3, off
.LBB121_2038:
	s_andn2_b64 vcc, exec, s[6:7]
	s_cbranch_vccnz .LBB121_2040
; %bb.2039:
	v_cvt_u32_f32_e32 v3, v2
	global_store_short v[0:1], v3, off
.LBB121_2040:
	s_mov_b64 s[6:7], 0
.LBB121_2041:
	s_andn2_b64 vcc, exec, s[6:7]
	s_cbranch_vccnz .LBB121_2049
; %bb.2042:
	v_and_b32_e32 v3, 0x7fffffff, v2
	s_mov_b32 s6, 0x43800000
	v_cmp_gt_u32_e32 vcc, s6, v3
	v_mov_b32_e32 v4, 0x80
	s_and_saveexec_b64 s[6:7], vcc
	s_cbranch_execz .LBB121_2048
; %bb.2043:
	s_mov_b32 s8, 0x3bffffff
	v_cmp_lt_u32_e32 vcc, s8, v3
	s_mov_b64 s[8:9], 0
                                        ; implicit-def: $vgpr3
	s_and_saveexec_b64 s[10:11], vcc
	s_xor_b64 s[10:11], exec, s[10:11]
	s_cbranch_execz .LBB121_2154
; %bb.2044:
	v_bfe_u32 v3, v2, 20, 1
	s_mov_b32 s13, 0x487ffff
	v_add3_u32 v3, v2, v3, s13
	s_mov_b64 s[8:9], exec
	v_lshrrev_b32_e32 v3, 20, v3
	s_andn2_saveexec_b64 s[10:11], s[10:11]
	s_cbranch_execnz .LBB121_2155
.LBB121_2045:
	s_or_b64 exec, exec, s[10:11]
	v_mov_b32_e32 v4, 0
	s_and_saveexec_b64 s[10:11], s[8:9]
.LBB121_2046:
	v_lshrrev_b32_e32 v4, 24, v2
	s_movk_i32 s8, 0x80
	v_and_or_b32 v4, v4, s8, v3
.LBB121_2047:
	s_or_b64 exec, exec, s[10:11]
.LBB121_2048:
	s_or_b64 exec, exec, s[6:7]
	global_store_byte v[0:1], v4, off
.LBB121_2049:
	s_mov_b64 s[6:7], 0
.LBB121_2050:
	s_and_b64 vcc, exec, s[6:7]
	s_cbranch_vccz .LBB121_2090
; %bb.2051:
	s_cmp_gt_i32 s12, 22
	s_mov_b64 s[4:5], -1
	s_cbranch_scc0 .LBB121_2083
; %bb.2052:
	s_cmp_lt_i32 s12, 24
	s_cbranch_scc1 .LBB121_2072
; %bb.2053:
	s_cmp_gt_i32 s12, 24
	s_cbranch_scc0 .LBB121_2061
; %bb.2054:
	v_and_b32_e32 v3, 0x7fffffff, v2
	s_mov_b32 s4, 0x47800000
	v_cmp_gt_u32_e32 vcc, s4, v3
	v_mov_b32_e32 v4, 0x80
	s_and_saveexec_b64 s[4:5], vcc
	s_cbranch_execz .LBB121_2060
; %bb.2055:
	s_mov_b32 s6, 0x37ffffff
	v_cmp_lt_u32_e32 vcc, s6, v3
	s_mov_b64 s[6:7], 0
                                        ; implicit-def: $vgpr3
	s_and_saveexec_b64 s[8:9], vcc
	s_xor_b64 s[8:9], exec, s[8:9]
	s_cbranch_execz .LBB121_2157
; %bb.2056:
	v_bfe_u32 v3, v2, 21, 1
	s_mov_b32 s10, 0x88fffff
	v_add3_u32 v3, v2, v3, s10
	s_mov_b64 s[6:7], exec
	v_lshrrev_b32_e32 v3, 21, v3
	s_andn2_saveexec_b64 s[8:9], s[8:9]
	s_cbranch_execnz .LBB121_2158
.LBB121_2057:
	s_or_b64 exec, exec, s[8:9]
	v_mov_b32_e32 v4, 0
	s_and_saveexec_b64 s[8:9], s[6:7]
.LBB121_2058:
	v_lshrrev_b32_e32 v4, 24, v2
	s_movk_i32 s6, 0x80
	v_and_or_b32 v4, v4, s6, v3
.LBB121_2059:
	s_or_b64 exec, exec, s[8:9]
.LBB121_2060:
	s_or_b64 exec, exec, s[4:5]
	s_mov_b64 s[4:5], 0
	global_store_byte v[0:1], v4, off
.LBB121_2061:
	s_and_b64 vcc, exec, s[4:5]
	s_cbranch_vccz .LBB121_2071
; %bb.2062:
	v_and_b32_e32 v4, 0x7fffffff, v2
	s_mov_b32 s4, 0x43f00000
	v_cmp_gt_u32_e32 vcc, s4, v4
                                        ; implicit-def: $vgpr3
	s_and_saveexec_b64 s[4:5], vcc
	s_xor_b64 s[4:5], exec, s[4:5]
	s_cbranch_execz .LBB121_2068
; %bb.2063:
	s_mov_b32 s6, 0x3c7fffff
	v_cmp_lt_u32_e32 vcc, s6, v4
                                        ; implicit-def: $vgpr3
	s_and_saveexec_b64 s[6:7], vcc
	s_xor_b64 s[6:7], exec, s[6:7]
; %bb.2064:
	v_bfe_u32 v3, v2, 20, 1
	s_mov_b32 s8, 0x407ffff
	v_add3_u32 v3, v2, v3, s8
	v_lshrrev_b32_e32 v4, 20, v3
	v_and_b32_e32 v3, 0xff00000, v3
	s_mov_b32 s8, 0x7f00000
	v_mov_b32_e32 v5, 0x7e
	v_cmp_ne_u32_e32 vcc, s8, v3
	s_nop 1
	v_cndmask_b32_e32 v3, v5, v4, vcc
; %bb.2065:
	s_andn2_saveexec_b64 s[6:7], s[6:7]
; %bb.2066:
	s_mov_b32 s8, 0x46800000
	v_add_f32_e64 v3, |v2|, s8
; %bb.2067:
	s_or_b64 exec, exec, s[6:7]
                                        ; implicit-def: $vgpr4
.LBB121_2068:
	s_andn2_saveexec_b64 s[4:5], s[4:5]
; %bb.2069:
	s_mov_b32 s6, 0x7f800000
	v_mov_b32_e32 v3, 0x7e
	v_mov_b32_e32 v5, 0x7f
	v_cmp_lt_u32_e32 vcc, s6, v4
	s_nop 1
	v_cndmask_b32_e32 v3, v3, v5, vcc
; %bb.2070:
	s_or_b64 exec, exec, s[4:5]
	v_lshrrev_b32_e32 v4, 24, v2
	s_movk_i32 s4, 0x80
	v_and_or_b32 v3, v4, s4, v3
	global_store_byte v[0:1], v3, off
.LBB121_2071:
	s_mov_b64 s[4:5], 0
.LBB121_2072:
	s_andn2_b64 vcc, exec, s[4:5]
	s_cbranch_vccnz .LBB121_2082
; %bb.2073:
	v_and_b32_e32 v4, 0x7fffffff, v2
	s_mov_b32 s4, 0x47800000
	v_cmp_gt_u32_e32 vcc, s4, v4
                                        ; implicit-def: $vgpr3
	s_and_saveexec_b64 s[4:5], vcc
	s_xor_b64 s[4:5], exec, s[4:5]
	s_cbranch_execz .LBB121_2079
; %bb.2074:
	s_mov_b32 s6, 0x387fffff
	v_cmp_lt_u32_e32 vcc, s6, v4
                                        ; implicit-def: $vgpr3
	s_and_saveexec_b64 s[6:7], vcc
	s_xor_b64 s[6:7], exec, s[6:7]
; %bb.2075:
	v_bfe_u32 v3, v2, 21, 1
	s_mov_b32 s8, 0x80fffff
	v_add3_u32 v3, v2, v3, s8
	v_lshrrev_b32_e32 v3, 21, v3
; %bb.2076:
	s_andn2_saveexec_b64 s[6:7], s[6:7]
; %bb.2077:
	s_mov_b32 s8, 0x43000000
	v_add_f32_e64 v3, |v2|, s8
; %bb.2078:
	s_or_b64 exec, exec, s[6:7]
                                        ; implicit-def: $vgpr4
.LBB121_2079:
	s_andn2_saveexec_b64 s[4:5], s[4:5]
; %bb.2080:
	s_mov_b32 s6, 0x7f800000
	v_mov_b32_e32 v3, 0x7c
	v_mov_b32_e32 v5, 0x7f
	v_cmp_lt_u32_e32 vcc, s6, v4
	s_nop 1
	v_cndmask_b32_e32 v3, v3, v5, vcc
; %bb.2081:
	s_or_b64 exec, exec, s[4:5]
	v_lshrrev_b32_e32 v4, 24, v2
	s_movk_i32 s4, 0x80
	v_and_or_b32 v3, v4, s4, v3
	global_store_byte v[0:1], v3, off
.LBB121_2082:
	s_mov_b64 s[4:5], 0
.LBB121_2083:
	s_andn2_b64 vcc, exec, s[4:5]
	s_mov_b64 s[4:5], 0
	s_cbranch_vccnz .LBB121_2090
; %bb.2084:
	s_cmp_gt_i32 s12, 14
	s_mov_b64 s[6:7], -1
	s_cbranch_scc0 .LBB121_2088
; %bb.2085:
	s_cmp_eq_u32 s12, 15
	s_mov_b64 s[0:1], -1
	s_cbranch_scc0 .LBB121_2087
; %bb.2086:
	v_bfe_u32 v3, v2, 16, 1
	s_movk_i32 s0, 0x7fff
	v_add3_u32 v3, v2, v3, s0
	v_cmp_o_f32_e32 vcc, v2, v2
	v_mov_b32_e32 v4, 0x7fc0
	s_mov_b64 s[0:1], 0
	v_cndmask_b32_sdwa v3, v4, v3, vcc dst_sel:DWORD dst_unused:UNUSED_PAD src0_sel:DWORD src1_sel:WORD_1
	global_store_short v[0:1], v3, off
.LBB121_2087:
	s_mov_b64 s[6:7], 0
.LBB121_2088:
	s_and_b64 vcc, exec, s[6:7]
	s_cbranch_vccz .LBB121_2090
; %bb.2089:
	s_cmp_lg_u32 s12, 11
	s_mov_b64 s[4:5], -1
	s_cselect_b64 s[0:1], -1, 0
.LBB121_2090:
	s_and_b64 vcc, exec, s[0:1]
	s_cbranch_vccnz .LBB121_2156
.LBB121_2091:
	s_mov_b64 s[0:1], 0
	s_branch .LBB121_2093
.LBB121_2092:
	s_mov_b64 s[0:1], 0
	s_mov_b64 s[4:5], 0
                                        ; implicit-def: $vgpr0_vgpr1
                                        ; implicit-def: $sgpr14
                                        ; implicit-def: $vgpr2
.LBB121_2093:
	s_and_b64 s[6:7], s[0:1], exec
	s_andn2_b64 s[0:1], s[24:25], exec
	s_and_b64 s[2:3], s[2:3], exec
	s_and_b64 s[40:41], s[4:5], exec
	s_or_b64 s[24:25], s[0:1], s[2:3]
.LBB121_2094:
	s_or_b64 exec, exec, s[26:27]
	s_and_saveexec_b64 s[0:1], s[24:25]
	s_cbranch_execz .LBB121_2097
; %bb.2095:
	; divergent unreachable
	s_or_b64 exec, exec, s[0:1]
	s_and_saveexec_b64 s[0:1], s[40:41]
	s_xor_b64 s[0:1], exec, s[0:1]
	s_cbranch_execnz .LBB121_2098
.LBB121_2096:
	s_or_b64 exec, exec, s[0:1]
	s_and_saveexec_b64 s[0:1], s[6:7]
	s_cbranch_execnz .LBB121_2099
	s_branch .LBB121_2136
.LBB121_2097:
	s_or_b64 exec, exec, s[0:1]
	s_and_saveexec_b64 s[0:1], s[40:41]
	s_xor_b64 s[0:1], exec, s[0:1]
	s_cbranch_execz .LBB121_2096
.LBB121_2098:
	v_cmp_neq_f32_e32 vcc, 0, v2
	s_waitcnt vmcnt(0)
	s_nop 0
	v_cndmask_b32_e64 v3, 0, 1, vcc
	global_store_byte v[0:1], v3, off
	s_or_b64 exec, exec, s[0:1]
	s_and_saveexec_b64 s[0:1], s[6:7]
	s_cbranch_execz .LBB121_2136
.LBB121_2099:
	s_sext_i32_i16 s2, s14
	s_cmp_lt_i32 s2, 5
	s_mov_b64 s[0:1], -1
	s_cbranch_scc1 .LBB121_2120
; %bb.2100:
	s_cmp_lt_i32 s2, 8
	s_cbranch_scc1 .LBB121_2110
; %bb.2101:
	s_cmp_lt_i32 s2, 9
	s_cbranch_scc1 .LBB121_2107
; %bb.2102:
	s_cmp_gt_i32 s2, 9
	s_cbranch_scc0 .LBB121_2104
; %bb.2103:
	v_mov_b32_e32 v6, 0
	s_waitcnt vmcnt(0)
	v_cvt_f64_f32_e32 v[4:5], v2
	v_mov_b32_e32 v7, v6
	global_store_dwordx4 v[0:1], v[4:7], off
	s_mov_b64 s[0:1], 0
.LBB121_2104:
	s_andn2_b64 vcc, exec, s[0:1]
	s_cbranch_vccnz .LBB121_2106
; %bb.2105:
	s_waitcnt vmcnt(0)
	v_mov_b32_e32 v3, 0
	global_store_dwordx2 v[0:1], v[2:3], off
.LBB121_2106:
	s_mov_b64 s[0:1], 0
.LBB121_2107:
	s_andn2_b64 vcc, exec, s[0:1]
	s_cbranch_vccnz .LBB121_2109
; %bb.2108:
	s_waitcnt vmcnt(0)
	v_cvt_f16_f32_e32 v3, v2
	global_store_dword v[0:1], v3, off
.LBB121_2109:
	s_mov_b64 s[0:1], 0
.LBB121_2110:
	s_andn2_b64 vcc, exec, s[0:1]
	s_cbranch_vccnz .LBB121_2119
; %bb.2111:
	s_sext_i32_i16 s2, s14
	s_cmp_lt_i32 s2, 6
	s_mov_b64 s[0:1], -1
	s_cbranch_scc1 .LBB121_2117
; %bb.2112:
	s_cmp_gt_i32 s2, 6
	s_cbranch_scc0 .LBB121_2114
; %bb.2113:
	s_waitcnt vmcnt(0)
	v_cvt_f64_f32_e32 v[4:5], v2
	global_store_dwordx2 v[0:1], v[4:5], off
	s_mov_b64 s[0:1], 0
.LBB121_2114:
	s_andn2_b64 vcc, exec, s[0:1]
	s_cbranch_vccnz .LBB121_2116
; %bb.2115:
	s_waitcnt vmcnt(0)
	global_store_dword v[0:1], v2, off
.LBB121_2116:
	s_mov_b64 s[0:1], 0
.LBB121_2117:
	s_andn2_b64 vcc, exec, s[0:1]
	s_cbranch_vccnz .LBB121_2119
; %bb.2118:
	s_waitcnt vmcnt(0)
	v_cvt_f16_f32_e32 v3, v2
	global_store_short v[0:1], v3, off
.LBB121_2119:
	s_mov_b64 s[0:1], 0
.LBB121_2120:
	s_andn2_b64 vcc, exec, s[0:1]
	s_cbranch_vccnz .LBB121_2136
; %bb.2121:
	s_sext_i32_i16 s2, s14
	s_cmp_lt_i32 s2, 2
	s_mov_b64 s[0:1], -1
	s_cbranch_scc1 .LBB121_2131
; %bb.2122:
	s_cmp_lt_i32 s2, 3
	s_cbranch_scc1 .LBB121_2128
; %bb.2123:
	s_cmp_gt_i32 s2, 3
	s_cbranch_scc0 .LBB121_2125
; %bb.2124:
	s_waitcnt vmcnt(0)
	v_trunc_f32_e32 v3, v2
	s_mov_b32 s0, 0x2f800000
	v_mul_f32_e64 v4, |v3|, s0
	v_floor_f32_e32 v4, v4
	s_mov_b32 s0, 0xcf800000
	v_cvt_u32_f32_e32 v5, v4
	v_fma_f32 v4, v4, s0, |v3|
	v_cvt_u32_f32_e32 v4, v4
	v_ashrrev_i32_e32 v3, 31, v3
	v_xor_b32_e32 v5, v5, v3
	s_mov_b64 s[0:1], 0
	v_xor_b32_e32 v4, v4, v3
	v_sub_co_u32_e32 v4, vcc, v4, v3
	s_nop 1
	v_subb_co_u32_e32 v5, vcc, v5, v3, vcc
	global_store_dwordx2 v[0:1], v[4:5], off
.LBB121_2125:
	s_andn2_b64 vcc, exec, s[0:1]
	s_cbranch_vccnz .LBB121_2127
; %bb.2126:
	s_waitcnt vmcnt(0)
	v_cvt_i32_f32_e32 v3, v2
	global_store_dword v[0:1], v3, off
.LBB121_2127:
	s_mov_b64 s[0:1], 0
.LBB121_2128:
	s_andn2_b64 vcc, exec, s[0:1]
	s_cbranch_vccnz .LBB121_2130
; %bb.2129:
	s_waitcnt vmcnt(0)
	v_cvt_i32_f32_e32 v3, v2
	global_store_short v[0:1], v3, off
.LBB121_2130:
	s_mov_b64 s[0:1], 0
.LBB121_2131:
	s_andn2_b64 vcc, exec, s[0:1]
	s_cbranch_vccnz .LBB121_2136
; %bb.2132:
	s_sext_i32_i16 s0, s14
	s_cmp_gt_i32 s0, 0
	s_mov_b64 s[0:1], -1
	s_cbranch_scc0 .LBB121_2134
; %bb.2133:
	s_waitcnt vmcnt(0)
	v_cvt_i32_f32_e32 v3, v2
	s_mov_b64 s[0:1], 0
	global_store_byte v[0:1], v3, off
.LBB121_2134:
	s_andn2_b64 vcc, exec, s[0:1]
	s_cbranch_vccnz .LBB121_2136
; %bb.2135:
	v_trunc_f32_e32 v2, v2
	s_mov_b32 s0, 0x2f800000
	s_waitcnt vmcnt(0)
	v_mul_f32_e64 v3, |v2|, s0
	v_floor_f32_e32 v3, v3
	s_mov_b32 s0, 0xcf800000
	v_fma_f32 v3, v3, s0, |v2|
	v_cvt_u32_f32_e32 v3, v3
	v_ashrrev_i32_e32 v2, 31, v2
	v_xor_b32_e32 v3, v3, v2
	v_sub_u32_e32 v2, v3, v2
	global_store_byte v[0:1], v2, off
	s_endpgm
.LBB121_2136:
	s_endpgm
.LBB121_2137:
	s_mov_b64 s[4:5], 0
	s_mov_b64 s[0:1], -1
	s_branch .LBB121_2093
.LBB121_2138:
	s_trap 2
	s_or_b64 s[2:3], s[2:3], exec
	s_cbranch_execz .LBB121_1607
	s_branch .LBB121_1608
.LBB121_2139:
	s_andn2_saveexec_b64 s[12:13], s[12:13]
	s_cbranch_execz .LBB121_1687
.LBB121_2140:
	s_mov_b32 s17, 0x46000000
	v_add_f32_e64 v9, |v8|, s17
	v_and_b32_e32 v9, 0xff, v9
	v_cmp_ne_u32_e32 vcc, 0, v9
	s_andn2_b64 s[10:11], s[10:11], exec
	s_and_b64 s[18:19], vcc, exec
	s_or_b64 s[10:11], s[10:11], s[18:19]
	s_or_b64 exec, exec, s[12:13]
	v_mov_b32_e32 v10, 0
	s_and_saveexec_b64 s[12:13], s[10:11]
	s_cbranch_execnz .LBB121_1688
	s_branch .LBB121_1689
.LBB121_2141:
	s_trap 2
	s_or_b64 s[2:3], s[2:3], exec
	s_cbranch_execz .LBB121_1735
	s_branch .LBB121_1736
.LBB121_2142:
	s_andn2_saveexec_b64 s[10:11], s[10:11]
	s_cbranch_execz .LBB121_1700
.LBB121_2143:
	s_mov_b32 s12, 0x42800000
	v_add_f32_e64 v9, |v8|, s12
	v_and_b32_e32 v9, 0xff, v9
	v_cmp_ne_u32_e32 vcc, 0, v9
	s_andn2_b64 s[8:9], s[8:9], exec
	s_and_b64 s[12:13], vcc, exec
	s_or_b64 s[8:9], s[8:9], s[12:13]
	s_or_b64 exec, exec, s[10:11]
	v_mov_b32_e32 v10, 0
	s_and_saveexec_b64 s[10:11], s[8:9]
	s_cbranch_execnz .LBB121_1701
	s_branch .LBB121_1702
.LBB121_2144:
	s_andn2_saveexec_b64 s[12:13], s[12:13]
	s_cbranch_execz .LBB121_1806
.LBB121_2145:
	s_mov_b32 s16, 0x46000000
	v_add_f32_e64 v7, |v6|, s16
	v_and_b32_e32 v7, 0xff, v7
	v_cmp_ne_u32_e32 vcc, 0, v7
	s_andn2_b64 s[10:11], s[10:11], exec
	s_and_b64 s[16:17], vcc, exec
	s_or_b64 s[10:11], s[10:11], s[16:17]
	s_or_b64 exec, exec, s[12:13]
	v_mov_b32_e32 v8, 0
	s_and_saveexec_b64 s[12:13], s[10:11]
	s_cbranch_execnz .LBB121_1807
	s_branch .LBB121_1808
.LBB121_2146:
	s_trap 2
	s_or_b64 s[2:3], s[2:3], exec
	s_cbranch_execz .LBB121_1854
	s_branch .LBB121_1855
.LBB121_2147:
	s_andn2_saveexec_b64 s[10:11], s[10:11]
	s_cbranch_execz .LBB121_1819
.LBB121_2148:
	s_mov_b32 s12, 0x42800000
	v_add_f32_e64 v7, |v6|, s12
	v_and_b32_e32 v7, 0xff, v7
	v_cmp_ne_u32_e32 vcc, 0, v7
	s_andn2_b64 s[8:9], s[8:9], exec
	s_and_b64 s[12:13], vcc, exec
	s_or_b64 s[8:9], s[8:9], s[12:13]
	s_or_b64 exec, exec, s[10:11]
	v_mov_b32_e32 v8, 0
	s_and_saveexec_b64 s[10:11], s[8:9]
	s_cbranch_execnz .LBB121_1820
	s_branch .LBB121_1821
.LBB121_2149:
	s_andn2_saveexec_b64 s[12:13], s[12:13]
	s_cbranch_execz .LBB121_1925
.LBB121_2150:
	s_mov_b32 s16, 0x46000000
	v_add_f32_e64 v5, |v4|, s16
	v_and_b32_e32 v5, 0xff, v5
	v_cmp_ne_u32_e32 vcc, 0, v5
	s_andn2_b64 s[10:11], s[10:11], exec
	s_and_b64 s[16:17], vcc, exec
	s_or_b64 s[10:11], s[10:11], s[16:17]
	s_or_b64 exec, exec, s[12:13]
	v_mov_b32_e32 v6, 0
	s_and_saveexec_b64 s[12:13], s[10:11]
	s_cbranch_execnz .LBB121_1926
	s_branch .LBB121_1927
.LBB121_2151:
	s_trap 2
	s_or_b64 s[2:3], s[2:3], exec
	s_cbranch_execz .LBB121_1973
	s_branch .LBB121_1974
.LBB121_2152:
	s_andn2_saveexec_b64 s[10:11], s[10:11]
	s_cbranch_execz .LBB121_1938
.LBB121_2153:
	s_mov_b32 s12, 0x42800000
	v_add_f32_e64 v5, |v4|, s12
	v_and_b32_e32 v5, 0xff, v5
	v_cmp_ne_u32_e32 vcc, 0, v5
	s_andn2_b64 s[8:9], s[8:9], exec
	s_and_b64 s[12:13], vcc, exec
	s_or_b64 s[8:9], s[8:9], s[12:13]
	s_or_b64 exec, exec, s[10:11]
	v_mov_b32_e32 v6, 0
	s_and_saveexec_b64 s[10:11], s[8:9]
	s_cbranch_execnz .LBB121_1939
	s_branch .LBB121_1940
.LBB121_2154:
	s_andn2_saveexec_b64 s[10:11], s[10:11]
	s_cbranch_execz .LBB121_2045
.LBB121_2155:
	s_mov_b32 s13, 0x46000000
	v_add_f32_e64 v3, |v2|, s13
	v_and_b32_e32 v3, 0xff, v3
	v_cmp_ne_u32_e32 vcc, 0, v3
	s_andn2_b64 s[8:9], s[8:9], exec
	s_and_b64 s[16:17], vcc, exec
	s_or_b64 s[8:9], s[8:9], s[16:17]
	s_or_b64 exec, exec, s[10:11]
	v_mov_b32_e32 v4, 0
	s_and_saveexec_b64 s[10:11], s[8:9]
	s_cbranch_execnz .LBB121_2046
	s_branch .LBB121_2047
.LBB121_2156:
	s_mov_b64 s[4:5], 0
	s_or_b64 s[2:3], s[2:3], exec
	s_trap 2
	s_branch .LBB121_2091
.LBB121_2157:
	s_andn2_saveexec_b64 s[8:9], s[8:9]
	s_cbranch_execz .LBB121_2057
.LBB121_2158:
	s_mov_b32 s10, 0x42800000
	v_add_f32_e64 v3, |v2|, s10
	v_and_b32_e32 v3, 0xff, v3
	v_cmp_ne_u32_e32 vcc, 0, v3
	s_andn2_b64 s[6:7], s[6:7], exec
	s_and_b64 s[10:11], vcc, exec
	s_or_b64 s[6:7], s[6:7], s[10:11]
	s_or_b64 exec, exec, s[8:9]
	v_mov_b32_e32 v4, 0
	s_and_saveexec_b64 s[8:9], s[6:7]
	s_cbranch_execnz .LBB121_2058
	s_branch .LBB121_2059
	.section	.rodata,"a",@progbits
	.p2align	6, 0x0
	.amdhsa_kernel _ZN2at6native32elementwise_kernel_manual_unrollILi128ELi4EZNS0_15gpu_kernel_implIZZZNS0_17expm1_kernel_cudaERNS_18TensorIteratorBaseEENKUlvE_clEvENKUlvE0_clEvEUlfE_EEvS4_RKT_EUlibE0_EEviT1_
		.amdhsa_group_segment_fixed_size 0
		.amdhsa_private_segment_fixed_size 0
		.amdhsa_kernarg_size 360
		.amdhsa_user_sgpr_count 2
		.amdhsa_user_sgpr_dispatch_ptr 0
		.amdhsa_user_sgpr_queue_ptr 0
		.amdhsa_user_sgpr_kernarg_segment_ptr 1
		.amdhsa_user_sgpr_dispatch_id 0
		.amdhsa_user_sgpr_kernarg_preload_length 0
		.amdhsa_user_sgpr_kernarg_preload_offset 0
		.amdhsa_user_sgpr_private_segment_size 0
		.amdhsa_uses_dynamic_stack 0
		.amdhsa_enable_private_segment 0
		.amdhsa_system_sgpr_workgroup_id_x 1
		.amdhsa_system_sgpr_workgroup_id_y 0
		.amdhsa_system_sgpr_workgroup_id_z 0
		.amdhsa_system_sgpr_workgroup_info 0
		.amdhsa_system_vgpr_workitem_id 0
		.amdhsa_next_free_vgpr 18
		.amdhsa_next_free_sgpr 78
		.amdhsa_accum_offset 20
		.amdhsa_reserve_vcc 1
		.amdhsa_float_round_mode_32 0
		.amdhsa_float_round_mode_16_64 0
		.amdhsa_float_denorm_mode_32 3
		.amdhsa_float_denorm_mode_16_64 3
		.amdhsa_dx10_clamp 1
		.amdhsa_ieee_mode 1
		.amdhsa_fp16_overflow 0
		.amdhsa_tg_split 0
		.amdhsa_exception_fp_ieee_invalid_op 0
		.amdhsa_exception_fp_denorm_src 0
		.amdhsa_exception_fp_ieee_div_zero 0
		.amdhsa_exception_fp_ieee_overflow 0
		.amdhsa_exception_fp_ieee_underflow 0
		.amdhsa_exception_fp_ieee_inexact 0
		.amdhsa_exception_int_div_zero 0
	.end_amdhsa_kernel
	.section	.text._ZN2at6native32elementwise_kernel_manual_unrollILi128ELi4EZNS0_15gpu_kernel_implIZZZNS0_17expm1_kernel_cudaERNS_18TensorIteratorBaseEENKUlvE_clEvENKUlvE0_clEvEUlfE_EEvS4_RKT_EUlibE0_EEviT1_,"axG",@progbits,_ZN2at6native32elementwise_kernel_manual_unrollILi128ELi4EZNS0_15gpu_kernel_implIZZZNS0_17expm1_kernel_cudaERNS_18TensorIteratorBaseEENKUlvE_clEvENKUlvE0_clEvEUlfE_EEvS4_RKT_EUlibE0_EEviT1_,comdat
.Lfunc_end121:
	.size	_ZN2at6native32elementwise_kernel_manual_unrollILi128ELi4EZNS0_15gpu_kernel_implIZZZNS0_17expm1_kernel_cudaERNS_18TensorIteratorBaseEENKUlvE_clEvENKUlvE0_clEvEUlfE_EEvS4_RKT_EUlibE0_EEviT1_, .Lfunc_end121-_ZN2at6native32elementwise_kernel_manual_unrollILi128ELi4EZNS0_15gpu_kernel_implIZZZNS0_17expm1_kernel_cudaERNS_18TensorIteratorBaseEENKUlvE_clEvENKUlvE0_clEvEUlfE_EEvS4_RKT_EUlibE0_EEviT1_
                                        ; -- End function
	.set _ZN2at6native32elementwise_kernel_manual_unrollILi128ELi4EZNS0_15gpu_kernel_implIZZZNS0_17expm1_kernel_cudaERNS_18TensorIteratorBaseEENKUlvE_clEvENKUlvE0_clEvEUlfE_EEvS4_RKT_EUlibE0_EEviT1_.num_vgpr, 18
	.set _ZN2at6native32elementwise_kernel_manual_unrollILi128ELi4EZNS0_15gpu_kernel_implIZZZNS0_17expm1_kernel_cudaERNS_18TensorIteratorBaseEENKUlvE_clEvENKUlvE0_clEvEUlfE_EEvS4_RKT_EUlibE0_EEviT1_.num_agpr, 0
	.set _ZN2at6native32elementwise_kernel_manual_unrollILi128ELi4EZNS0_15gpu_kernel_implIZZZNS0_17expm1_kernel_cudaERNS_18TensorIteratorBaseEENKUlvE_clEvENKUlvE0_clEvEUlfE_EEvS4_RKT_EUlibE0_EEviT1_.numbered_sgpr, 78
	.set _ZN2at6native32elementwise_kernel_manual_unrollILi128ELi4EZNS0_15gpu_kernel_implIZZZNS0_17expm1_kernel_cudaERNS_18TensorIteratorBaseEENKUlvE_clEvENKUlvE0_clEvEUlfE_EEvS4_RKT_EUlibE0_EEviT1_.num_named_barrier, 0
	.set _ZN2at6native32elementwise_kernel_manual_unrollILi128ELi4EZNS0_15gpu_kernel_implIZZZNS0_17expm1_kernel_cudaERNS_18TensorIteratorBaseEENKUlvE_clEvENKUlvE0_clEvEUlfE_EEvS4_RKT_EUlibE0_EEviT1_.private_seg_size, 0
	.set _ZN2at6native32elementwise_kernel_manual_unrollILi128ELi4EZNS0_15gpu_kernel_implIZZZNS0_17expm1_kernel_cudaERNS_18TensorIteratorBaseEENKUlvE_clEvENKUlvE0_clEvEUlfE_EEvS4_RKT_EUlibE0_EEviT1_.uses_vcc, 1
	.set _ZN2at6native32elementwise_kernel_manual_unrollILi128ELi4EZNS0_15gpu_kernel_implIZZZNS0_17expm1_kernel_cudaERNS_18TensorIteratorBaseEENKUlvE_clEvENKUlvE0_clEvEUlfE_EEvS4_RKT_EUlibE0_EEviT1_.uses_flat_scratch, 0
	.set _ZN2at6native32elementwise_kernel_manual_unrollILi128ELi4EZNS0_15gpu_kernel_implIZZZNS0_17expm1_kernel_cudaERNS_18TensorIteratorBaseEENKUlvE_clEvENKUlvE0_clEvEUlfE_EEvS4_RKT_EUlibE0_EEviT1_.has_dyn_sized_stack, 0
	.set _ZN2at6native32elementwise_kernel_manual_unrollILi128ELi4EZNS0_15gpu_kernel_implIZZZNS0_17expm1_kernel_cudaERNS_18TensorIteratorBaseEENKUlvE_clEvENKUlvE0_clEvEUlfE_EEvS4_RKT_EUlibE0_EEviT1_.has_recursion, 0
	.set _ZN2at6native32elementwise_kernel_manual_unrollILi128ELi4EZNS0_15gpu_kernel_implIZZZNS0_17expm1_kernel_cudaERNS_18TensorIteratorBaseEENKUlvE_clEvENKUlvE0_clEvEUlfE_EEvS4_RKT_EUlibE0_EEviT1_.has_indirect_call, 0
	.section	.AMDGPU.csdata,"",@progbits
; Kernel info:
; codeLenInByte = 39372
; TotalNumSgprs: 84
; NumVgprs: 18
; NumAgprs: 0
; TotalNumVgprs: 18
; ScratchSize: 0
; MemoryBound: 1
; FloatMode: 240
; IeeeMode: 1
; LDSByteSize: 0 bytes/workgroup (compile time only)
; SGPRBlocks: 10
; VGPRBlocks: 2
; NumSGPRsForWavesPerEU: 84
; NumVGPRsForWavesPerEU: 18
; AccumOffset: 20
; Occupancy: 8
; WaveLimiterHint : 1
; COMPUTE_PGM_RSRC2:SCRATCH_EN: 0
; COMPUTE_PGM_RSRC2:USER_SGPR: 2
; COMPUTE_PGM_RSRC2:TRAP_HANDLER: 0
; COMPUTE_PGM_RSRC2:TGID_X_EN: 1
; COMPUTE_PGM_RSRC2:TGID_Y_EN: 0
; COMPUTE_PGM_RSRC2:TGID_Z_EN: 0
; COMPUTE_PGM_RSRC2:TIDIG_COMP_CNT: 0
; COMPUTE_PGM_RSRC3_GFX90A:ACCUM_OFFSET: 4
; COMPUTE_PGM_RSRC3_GFX90A:TG_SPLIT: 0
	.text
	.p2align	2                               ; -- Begin function _ZN2at6native25elementwise_kernel_helperILb0EZZZNS0_17expm1_kernel_cudaERNS_18TensorIteratorBaseEENKUlvE_clEvENKUlvE1_clEvEUlN3c107complexIdEEE_NS0_6memory8policies11unroll_baseILi256ESt5arrayIPcLm2EE23TrivialOffsetCalculatorILi1EjESH_NSA_15LoadWithoutCastENSA_16StoreWithoutCastELi4ELi1EEEEEvT0_T1_
	.type	_ZN2at6native25elementwise_kernel_helperILb0EZZZNS0_17expm1_kernel_cudaERNS_18TensorIteratorBaseEENKUlvE_clEvENKUlvE1_clEvEUlN3c107complexIdEEE_NS0_6memory8policies11unroll_baseILi256ESt5arrayIPcLm2EE23TrivialOffsetCalculatorILi1EjESH_NSA_15LoadWithoutCastENSA_16StoreWithoutCastELi4ELi1EEEEEvT0_T1_,@function
_ZN2at6native25elementwise_kernel_helperILb0EZZZNS0_17expm1_kernel_cudaERNS_18TensorIteratorBaseEENKUlvE_clEvENKUlvE1_clEvEUlN3c107complexIdEEE_NS0_6memory8policies11unroll_baseILi256ESt5arrayIPcLm2EE23TrivialOffsetCalculatorILi1EjESH_NSA_15LoadWithoutCastENSA_16StoreWithoutCastELi4ELi1EEEEEvT0_T1_: ; @_ZN2at6native25elementwise_kernel_helperILb0EZZZNS0_17expm1_kernel_cudaERNS_18TensorIteratorBaseEENKUlvE_clEvENKUlvE1_clEvEUlN3c107complexIdEEE_NS0_6memory8policies11unroll_baseILi256ESt5arrayIPcLm2EE23TrivialOffsetCalculatorILi1EjESH_NSA_15LoadWithoutCastENSA_16StoreWithoutCastELi4ELi1EEEEEvT0_T1_
; %bb.0:
	s_waitcnt vmcnt(0) expcnt(0) lgkmcnt(0)
	v_and_b32_e32 v5, 0x3ff, v31
	s_lshl_b32 s22, s12, 10
	v_cmp_lt_i32_e32 vcc, v5, v4
	v_mov_b64_e32 v[18:19], 0
	v_or_b32_e32 v26, s22, v5
	v_mov_b64_e32 v[22:23], 0
	v_mov_b64_e32 v[24:25], 0
	v_mov_b32_e32 v10, v5
	s_and_saveexec_b64 s[0:1], vcc
	s_cbranch_execz .LBB122_2
; %bb.1:
	v_mov_b32_e32 v27, 0
	v_lshl_add_u64 v[6:7], v[26:27], 4, v[2:3]
	flat_load_dwordx4 v[22:25], v[6:7]
	v_add_u32_e32 v10, 0x100, v5
.LBB122_2:
	s_or_b64 exec, exec, s[0:1]
	v_cmp_lt_i32_e64 s[0:1], v10, v4
	v_mov_b64_e32 v[20:21], 0
	s_and_saveexec_b64 s[2:3], s[0:1]
	s_cbranch_execz .LBB122_4
; %bb.3:
	v_add_u32_e32 v6, s22, v10
	v_mov_b32_e32 v7, 0
	v_lshl_add_u64 v[6:7], v[6:7], 4, v[2:3]
	flat_load_dwordx4 v[18:21], v[6:7]
	v_add_u32_e32 v10, 0x100, v10
.LBB122_4:
	s_or_b64 exec, exec, s[2:3]
	v_cmp_lt_i32_e64 s[0:1], v10, v4
	v_mov_b64_e32 v[6:7], 0
	v_mov_b64_e32 v[14:15], 0
	;; [unrolled: 1-line block ×3, first 2 shown]
	s_and_saveexec_b64 s[2:3], s[0:1]
	s_cbranch_execz .LBB122_6
; %bb.5:
	v_add_u32_e32 v8, s22, v10
	v_mov_b32_e32 v9, 0
	v_lshl_add_u64 v[8:9], v[8:9], 4, v[2:3]
	flat_load_dwordx4 v[14:17], v[8:9]
	v_add_u32_e32 v10, 0x100, v10
.LBB122_6:
	s_or_b64 exec, exec, s[2:3]
	v_cmp_lt_i32_e64 s[0:1], v10, v4
	v_mov_b64_e32 v[8:9], 0
	s_and_saveexec_b64 s[2:3], s[0:1]
	s_cbranch_execz .LBB122_8
; %bb.7:
	v_add_u32_e32 v6, s22, v10
	v_mov_b32_e32 v7, 0
	v_lshl_add_u64 v[2:3], v[6:7], 4, v[2:3]
	flat_load_dwordx4 v[6:9], v[2:3]
.LBB122_8:
	s_or_b64 exec, exec, s[2:3]
	v_mov_b64_e32 v[10:11], 0
	v_mov_b64_e32 v[12:13], 0
	s_and_saveexec_b64 s[4:5], vcc
	s_cbranch_execz .LBB122_22
; %bb.9:
	s_mov_b32 s0, 0
	s_waitcnt vmcnt(0) lgkmcnt(0)
	v_mul_f64 v[2:3], v[24:25], 0.5
	s_mov_b32 s1, 0x41d00000
	v_cmp_nlt_f64_e64 s[0:1], |v[2:3]|, s[0:1]
                                        ; implicit-def: $vgpr27
                                        ; implicit-def: $vgpr10_vgpr11
                                        ; implicit-def: $vgpr12_vgpr13
	s_and_saveexec_b64 s[2:3], s[0:1]
	s_xor_b64 s[6:7], exec, s[2:3]
	s_cbranch_execz .LBB122_11
; %bb.10:
	s_mov_b32 s0, 0
	s_mov_b32 s1, 0x7b000000
	s_movk_i32 s2, 0xff80
	v_and_b32_e32 v27, 0x7fffffff, v3
	v_ldexp_f64 v[28:29], |v[2:3]|, s2
	v_cmp_ge_f64_e64 s[0:1], |v[2:3]|, s[0:1]
	v_trig_preop_f64 v[10:11], |v[2:3]|, 0
	v_trig_preop_f64 v[12:13], |v[2:3]|, 1
	v_cndmask_b32_e64 v29, v27, v29, s[0:1]
	v_cndmask_b32_e64 v28, v2, v28, s[0:1]
	v_mul_f64 v[32:33], v[10:11], v[28:29]
	v_mul_f64 v[30:31], v[12:13], v[28:29]
	v_fma_f64 v[10:11], v[10:11], v[28:29], -v[32:33]
	v_add_f64 v[34:35], v[30:31], v[10:11]
	v_add_f64 v[50:51], v[34:35], -v[30:31]
	v_add_f64 v[10:11], v[10:11], -v[50:51]
	;; [unrolled: 1-line block ×4, first 2 shown]
	v_fma_f64 v[12:13], v[12:13], v[28:29], -v[30:31]
	v_trig_preop_f64 v[30:31], |v[2:3]|, 2
	v_add_f64 v[10:11], v[10:11], v[50:51]
	v_mul_f64 v[50:51], v[30:31], v[28:29]
	v_add_f64 v[52:53], v[50:51], v[12:13]
	v_add_f64 v[36:37], v[32:33], v[34:35]
	;; [unrolled: 1-line block ×3, first 2 shown]
	v_ldexp_f64 v[38:39], v[36:37], -2
	v_add_f64 v[32:33], v[36:37], -v[32:33]
	v_add_f64 v[36:37], v[54:55], -v[52:53]
	;; [unrolled: 1-line block ×5, first 2 shown]
	v_add_f64 v[10:11], v[10:11], v[36:37]
	v_add_f64 v[36:37], v[52:53], -v[50:51]
	v_add_f64 v[12:13], v[12:13], -v[36:37]
	v_add_f64 v[36:37], v[52:53], -v[36:37]
	v_add_f64 v[36:37], v[50:51], -v[36:37]
	v_add_f64 v[12:13], v[12:13], v[36:37]
	s_mov_b32 s0, 0
	v_fract_f64_e32 v[48:49], v[38:39]
	v_add_f64 v[10:11], v[12:13], v[10:11]
	v_fma_f64 v[12:13], v[30:31], v[28:29], -v[50:51]
	s_mov_b32 s1, 0x7ff00000
	v_add_f64 v[32:33], v[34:35], -v[32:33]
	v_add_f64 v[10:11], v[12:13], v[10:11]
	v_ldexp_f64 v[12:13], v[48:49], 2
	v_cmp_neq_f64_e64 s[0:1], |v[38:39]|, s[0:1]
	v_add_f64 v[34:35], v[32:33], v[54:55]
	v_mov_b32_e32 v27, 0x40100000
	v_cndmask_b32_e64 v13, 0, v13, s[0:1]
	v_cndmask_b32_e64 v12, 0, v12, s[0:1]
	v_add_f64 v[28:29], v[34:35], v[12:13]
	v_cmp_gt_f64_e64 s[0:1], 0, v[28:29]
	v_mov_b32_e32 v28, 0
	v_add_f64 v[32:33], v[34:35], -v[32:33]
	v_cndmask_b32_e64 v29, 0, v27, s[0:1]
	v_add_f64 v[12:13], v[12:13], v[28:29]
	v_add_f64 v[30:31], v[34:35], v[12:13]
	v_cvt_i32_f64_e32 v27, v[30:31]
	v_cvt_f64_i32_e32 v[30:31], v27
	v_add_f64 v[12:13], v[12:13], -v[30:31]
	v_add_f64 v[30:31], v[34:35], v[12:13]
	v_add_f64 v[32:33], v[54:55], -v[32:33]
	v_add_f64 v[12:13], v[30:31], -v[12:13]
	v_add_f64 v[10:11], v[32:33], v[10:11]
	v_add_f64 v[12:13], v[34:35], -v[12:13]
	v_add_f64 v[10:11], v[10:11], v[12:13]
	v_cmp_le_f64_e64 s[0:1], 0.5, v[30:31]
	v_mov_b32_e32 v12, 0x3ff00000
	s_nop 0
	v_cndmask_b32_e64 v29, 0, v12, s[0:1]
	v_add_f64 v[12:13], v[30:31], -v[28:29]
	v_addc_co_u32_e64 v27, s[2:3], 0, v27, s[0:1]
	v_add_f64 v[28:29], v[12:13], v[10:11]
	s_mov_b32 s0, 0x54442d18
	v_add_f64 v[12:13], v[28:29], -v[12:13]
	s_mov_b32 s1, 0x3ff921fb
	v_add_f64 v[10:11], v[10:11], -v[12:13]
	v_mul_f64 v[12:13], v[28:29], s[0:1]
	s_mov_b32 s2, 0x33145c07
	v_fma_f64 v[30:31], v[28:29], s[0:1], -v[12:13]
	s_mov_b32 s3, 0x3c91a626
	v_fmac_f64_e32 v[30:31], s[2:3], v[28:29]
	v_fmac_f64_e32 v[30:31], s[0:1], v[10:11]
	v_add_f64 v[10:11], v[12:13], v[30:31]
	v_add_f64 v[12:13], v[10:11], -v[12:13]
	v_add_f64 v[12:13], v[30:31], -v[12:13]
.LBB122_11:
	s_andn2_saveexec_b64 s[0:1], s[6:7]
	s_cbranch_execz .LBB122_13
; %bb.12:
	s_mov_b32 s2, 0x6dc9c883
	s_mov_b32 s3, 0x3fe45f30
	v_mul_f64 v[10:11], |v[2:3]|, s[2:3]
	s_mov_b32 s2, 0x54442d18
	v_rndne_f64_e32 v[28:29], v[10:11]
	s_mov_b32 s3, 0xbff921fb
	v_fma_f64 v[10:11], v[28:29], s[2:3], |v[2:3]|
	s_mov_b32 s3, 0xbc91a626
	s_mov_b32 s2, 0x33145c00
	v_mul_f64 v[30:31], v[28:29], s[2:3]
	v_add_f64 v[34:35], v[10:11], v[30:31]
	v_fma_f64 v[12:13], s[2:3], v[28:29], v[10:11]
	s_mov_b32 s3, 0x3c91a626
	v_add_f64 v[10:11], v[10:11], -v[34:35]
	v_fma_f64 v[32:33], s[2:3], v[28:29], v[30:31]
	v_add_f64 v[10:11], v[10:11], v[30:31]
	v_add_f64 v[30:31], v[34:35], -v[12:13]
	v_add_f64 v[10:11], v[30:31], v[10:11]
	s_mov_b32 s2, 0x252049c0
	v_add_f64 v[30:31], v[10:11], -v[32:33]
	s_mov_b32 s3, 0xb97b839a
	v_fmac_f64_e32 v[30:31], s[2:3], v[28:29]
	v_add_f64 v[10:11], v[12:13], v[30:31]
	v_add_f64 v[12:13], v[10:11], -v[12:13]
	v_add_f64 v[12:13], v[30:31], -v[12:13]
	v_cvt_i32_f64_e32 v27, v[28:29]
.LBB122_13:
	s_or_b64 exec, exec, s[0:1]
	s_mov_b32 s0, 0
	s_mov_b32 s1, 0x41d00000
	v_cmp_nlt_f64_e64 s[6:7], |v[24:25]|, s[0:1]
	v_trig_preop_f64 v[48:49], |v[24:25]|, 0
	v_trig_preop_f64 v[38:39], |v[24:25]|, 1
	;; [unrolled: 1-line block ×3, first 2 shown]
                                        ; implicit-def: $vgpr50
                                        ; implicit-def: $vgpr28_vgpr29
                                        ; implicit-def: $vgpr30_vgpr31
	s_and_saveexec_b64 s[0:1], s[6:7]
	s_xor_b64 s[8:9], exec, s[0:1]
	s_cbranch_execz .LBB122_15
; %bb.14:
	s_mov_b32 s0, 0
	s_mov_b32 s1, 0x7b000000
	s_movk_i32 s2, 0xff80
	v_and_b32_e32 v30, 0x7fffffff, v25
	v_ldexp_f64 v[28:29], |v[24:25]|, s2
	v_cmp_ge_f64_e64 s[0:1], |v[24:25]|, s[0:1]
	s_nop 1
	v_cndmask_b32_e64 v29, v30, v29, s[0:1]
	v_cndmask_b32_e64 v28, v24, v28, s[0:1]
	v_mul_f64 v[32:33], v[48:49], v[28:29]
	v_mul_f64 v[30:31], v[38:39], v[28:29]
	v_fma_f64 v[34:35], v[48:49], v[28:29], -v[32:33]
	v_add_f64 v[50:51], v[30:31], v[34:35]
	v_add_f64 v[66:67], v[50:51], -v[30:31]
	v_add_f64 v[34:35], v[34:35], -v[66:67]
	;; [unrolled: 1-line block ×4, first 2 shown]
	v_add_f64 v[34:35], v[34:35], v[66:67]
	v_fma_f64 v[30:31], v[38:39], v[28:29], -v[30:31]
	v_mul_f64 v[66:67], v[36:37], v[28:29]
	v_add_f64 v[68:69], v[66:67], v[30:31]
	v_add_f64 v[52:53], v[32:33], v[50:51]
	v_add_f64 v[70:71], v[68:69], v[34:35]
	v_ldexp_f64 v[54:55], v[52:53], -2
	v_add_f64 v[32:33], v[52:53], -v[32:33]
	v_add_f64 v[52:53], v[70:71], -v[68:69]
	;; [unrolled: 1-line block ×5, first 2 shown]
	v_add_f64 v[34:35], v[34:35], v[52:53]
	v_add_f64 v[52:53], v[68:69], -v[66:67]
	v_add_f64 v[30:31], v[30:31], -v[52:53]
	v_add_f64 v[52:53], v[68:69], -v[52:53]
	v_add_f64 v[52:53], v[66:67], -v[52:53]
	v_add_f64 v[32:33], v[50:51], -v[32:33]
	v_add_f64 v[30:31], v[30:31], v[52:53]
	s_mov_b32 s0, 0
	v_fract_f64_e32 v[64:65], v[54:55]
	v_add_f64 v[50:51], v[32:33], v[70:71]
	v_add_f64 v[30:31], v[30:31], v[34:35]
	v_fma_f64 v[28:29], v[36:37], v[28:29], -v[66:67]
	s_mov_b32 s1, 0x7ff00000
	v_add_f64 v[32:33], v[50:51], -v[32:33]
	v_add_f64 v[28:29], v[28:29], v[30:31]
	v_ldexp_f64 v[30:31], v[64:65], 2
	v_cmp_neq_f64_e64 s[0:1], |v[54:55]|, s[0:1]
	v_add_f64 v[32:33], v[70:71], -v[32:33]
	v_add_f64 v[28:29], v[32:33], v[28:29]
	v_cndmask_b32_e64 v31, 0, v31, s[0:1]
	v_cndmask_b32_e64 v30, 0, v30, s[0:1]
	v_add_f64 v[32:33], v[50:51], v[30:31]
	v_mov_b32_e32 v34, 0x40100000
	v_cmp_gt_f64_e64 s[0:1], 0, v[32:33]
	v_mov_b32_e32 v32, 0
	s_nop 0
	v_cndmask_b32_e64 v33, 0, v34, s[0:1]
	v_add_f64 v[30:31], v[30:31], v[32:33]
	v_add_f64 v[34:35], v[50:51], v[30:31]
	v_cvt_i32_f64_e32 v33, v[34:35]
	v_cvt_f64_i32_e32 v[34:35], v33
	v_add_f64 v[30:31], v[30:31], -v[34:35]
	v_add_f64 v[34:35], v[50:51], v[30:31]
	v_add_f64 v[30:31], v[34:35], -v[30:31]
	v_add_f64 v[30:31], v[50:51], -v[30:31]
	v_add_f64 v[28:29], v[28:29], v[30:31]
	v_cmp_le_f64_e64 s[0:1], 0.5, v[34:35]
	v_mov_b32_e32 v30, 0x3ff00000
	s_nop 0
	v_addc_co_u32_e64 v50, s[2:3], 0, v33, s[0:1]
	v_cndmask_b32_e64 v33, 0, v30, s[0:1]
	v_add_f64 v[30:31], v[34:35], -v[32:33]
	v_add_f64 v[32:33], v[30:31], v[28:29]
	s_mov_b32 s0, 0x54442d18
	v_add_f64 v[30:31], v[32:33], -v[30:31]
	s_mov_b32 s1, 0x3ff921fb
	v_add_f64 v[28:29], v[28:29], -v[30:31]
	v_mul_f64 v[30:31], v[32:33], s[0:1]
	s_mov_b32 s2, 0x33145c07
	v_fma_f64 v[34:35], v[32:33], s[0:1], -v[30:31]
	s_mov_b32 s3, 0x3c91a626
	v_fmac_f64_e32 v[34:35], s[2:3], v[32:33]
	v_fmac_f64_e32 v[34:35], s[0:1], v[28:29]
	v_add_f64 v[28:29], v[30:31], v[34:35]
	v_add_f64 v[30:31], v[28:29], -v[30:31]
	v_add_f64 v[30:31], v[34:35], -v[30:31]
	s_andn2_saveexec_b64 s[0:1], s[8:9]
	s_cbranch_execz .LBB122_17
	s_branch .LBB122_16
.LBB122_15:
	s_andn2_saveexec_b64 s[0:1], s[8:9]
	s_cbranch_execz .LBB122_17
.LBB122_16:
	s_mov_b32 s2, 0x6dc9c883
	s_mov_b32 s3, 0x3fe45f30
	v_mul_f64 v[28:29], |v[24:25]|, s[2:3]
	s_mov_b32 s2, 0x54442d18
	v_rndne_f64_e32 v[32:33], v[28:29]
	s_mov_b32 s3, 0xbff921fb
	v_fma_f64 v[28:29], v[32:33], s[2:3], |v[24:25]|
	s_mov_b32 s3, 0xbc91a626
	s_mov_b32 s2, 0x33145c00
	v_mul_f64 v[34:35], v[32:33], s[2:3]
	v_add_f64 v[52:53], v[28:29], v[34:35]
	v_fma_f64 v[30:31], s[2:3], v[32:33], v[28:29]
	s_mov_b32 s3, 0x3c91a626
	v_add_f64 v[28:29], v[28:29], -v[52:53]
	v_fma_f64 v[50:51], s[2:3], v[32:33], v[34:35]
	v_add_f64 v[28:29], v[28:29], v[34:35]
	v_add_f64 v[34:35], v[52:53], -v[30:31]
	v_add_f64 v[28:29], v[34:35], v[28:29]
	s_mov_b32 s2, 0x252049c0
	v_add_f64 v[34:35], v[28:29], -v[50:51]
	s_mov_b32 s3, 0xb97b839a
	v_fmac_f64_e32 v[34:35], s[2:3], v[32:33]
	v_add_f64 v[28:29], v[30:31], v[34:35]
	v_add_f64 v[30:31], v[28:29], -v[30:31]
	v_add_f64 v[30:31], v[34:35], -v[30:31]
	v_cvt_i32_f64_e32 v50, v[32:33]
.LBB122_17:
	s_or_b64 exec, exec, s[0:1]
                                        ; implicit-def: $vgpr51
                                        ; implicit-def: $vgpr32_vgpr33
                                        ; implicit-def: $vgpr34_vgpr35
	s_and_saveexec_b64 s[0:1], s[6:7]
	s_xor_b64 s[6:7], exec, s[0:1]
	s_cbranch_execz .LBB122_19
; %bb.18:
	s_mov_b32 s0, 0
	s_mov_b32 s1, 0x7b000000
	s_movk_i32 s2, 0xff80
	v_and_b32_e32 v34, 0x7fffffff, v25
	v_ldexp_f64 v[32:33], |v[24:25]|, s2
	v_cmp_ge_f64_e64 s[0:1], |v[24:25]|, s[0:1]
	s_nop 1
	v_cndmask_b32_e64 v33, v34, v33, s[0:1]
	v_cndmask_b32_e64 v32, v24, v32, s[0:1]
	v_mul_f64 v[52:53], v[48:49], v[32:33]
	v_mul_f64 v[34:35], v[38:39], v[32:33]
	v_fma_f64 v[48:49], v[48:49], v[32:33], -v[52:53]
	v_add_f64 v[54:55], v[34:35], v[48:49]
	v_add_f64 v[70:71], v[54:55], -v[34:35]
	v_add_f64 v[48:49], v[48:49], -v[70:71]
	;; [unrolled: 1-line block ×4, first 2 shown]
	v_fma_f64 v[34:35], v[38:39], v[32:33], -v[34:35]
	v_mul_f64 v[38:39], v[36:37], v[32:33]
	v_add_f64 v[48:49], v[48:49], v[70:71]
	v_add_f64 v[70:71], v[38:39], v[34:35]
	;; [unrolled: 1-line block ×4, first 2 shown]
	v_ldexp_f64 v[66:67], v[64:65], -2
	v_add_f64 v[52:53], v[64:65], -v[52:53]
	v_add_f64 v[64:65], v[80:81], -v[70:71]
	;; [unrolled: 1-line block ×5, first 2 shown]
	v_add_f64 v[48:49], v[48:49], v[64:65]
	v_add_f64 v[64:65], v[70:71], -v[38:39]
	v_add_f64 v[34:35], v[34:35], -v[64:65]
	;; [unrolled: 1-line block ×4, first 2 shown]
	v_add_f64 v[34:35], v[34:35], v[64:65]
	s_mov_b32 s0, 0
	v_fract_f64_e32 v[68:69], v[66:67]
	v_add_f64 v[34:35], v[34:35], v[48:49]
	v_fma_f64 v[32:33], v[36:37], v[32:33], -v[38:39]
	s_mov_b32 s1, 0x7ff00000
	v_add_f64 v[52:53], v[54:55], -v[52:53]
	v_add_f64 v[32:33], v[32:33], v[34:35]
	v_ldexp_f64 v[34:35], v[68:69], 2
	v_cmp_neq_f64_e64 s[0:1], |v[66:67]|, s[0:1]
	v_add_f64 v[54:55], v[52:53], v[80:81]
	v_mov_b32_e32 v38, 0x40100000
	v_cndmask_b32_e64 v35, 0, v35, s[0:1]
	v_cndmask_b32_e64 v34, 0, v34, s[0:1]
	v_add_f64 v[36:37], v[54:55], v[34:35]
	v_cmp_gt_f64_e64 s[0:1], 0, v[36:37]
	v_mov_b32_e32 v36, 0
	v_add_f64 v[52:53], v[54:55], -v[52:53]
	v_cndmask_b32_e64 v37, 0, v38, s[0:1]
	v_add_f64 v[34:35], v[34:35], v[36:37]
	v_add_f64 v[38:39], v[54:55], v[34:35]
	v_cvt_i32_f64_e32 v37, v[38:39]
	v_cvt_f64_i32_e32 v[38:39], v37
	v_add_f64 v[34:35], v[34:35], -v[38:39]
	v_add_f64 v[38:39], v[54:55], v[34:35]
	v_add_f64 v[52:53], v[80:81], -v[52:53]
	v_add_f64 v[34:35], v[38:39], -v[34:35]
	v_add_f64 v[32:33], v[52:53], v[32:33]
	v_add_f64 v[34:35], v[54:55], -v[34:35]
	v_add_f64 v[32:33], v[32:33], v[34:35]
	v_cmp_le_f64_e64 s[0:1], 0.5, v[38:39]
	v_mov_b32_e32 v34, 0x3ff00000
	s_nop 0
	v_addc_co_u32_e64 v51, s[2:3], 0, v37, s[0:1]
	v_cndmask_b32_e64 v37, 0, v34, s[0:1]
	v_add_f64 v[34:35], v[38:39], -v[36:37]
	v_add_f64 v[36:37], v[34:35], v[32:33]
	s_mov_b32 s0, 0x54442d18
	v_add_f64 v[34:35], v[36:37], -v[34:35]
	s_mov_b32 s1, 0x3ff921fb
	v_add_f64 v[32:33], v[32:33], -v[34:35]
	v_mul_f64 v[34:35], v[36:37], s[0:1]
	s_mov_b32 s2, 0x33145c07
	v_fma_f64 v[38:39], v[36:37], s[0:1], -v[34:35]
	s_mov_b32 s3, 0x3c91a626
	v_fmac_f64_e32 v[38:39], s[2:3], v[36:37]
	v_fmac_f64_e32 v[38:39], s[0:1], v[32:33]
	v_add_f64 v[32:33], v[34:35], v[38:39]
	v_add_f64 v[34:35], v[32:33], -v[34:35]
	v_add_f64 v[34:35], v[38:39], -v[34:35]
	s_andn2_saveexec_b64 s[0:1], s[6:7]
	s_cbranch_execnz .LBB122_20
	s_branch .LBB122_21
.LBB122_19:
	s_andn2_saveexec_b64 s[0:1], s[6:7]
	s_cbranch_execz .LBB122_21
.LBB122_20:
	s_mov_b32 s2, 0x6dc9c883
	s_mov_b32 s3, 0x3fe45f30
	v_mul_f64 v[32:33], |v[24:25]|, s[2:3]
	s_mov_b32 s2, 0x54442d18
	v_rndne_f64_e32 v[36:37], v[32:33]
	s_mov_b32 s3, 0xbff921fb
	v_fma_f64 v[32:33], v[36:37], s[2:3], |v[24:25]|
	s_mov_b32 s3, 0xbc91a626
	s_mov_b32 s2, 0x33145c00
	v_mul_f64 v[38:39], v[36:37], s[2:3]
	v_add_f64 v[52:53], v[32:33], v[38:39]
	v_fma_f64 v[34:35], s[2:3], v[36:37], v[32:33]
	s_mov_b32 s3, 0x3c91a626
	v_add_f64 v[32:33], v[32:33], -v[52:53]
	v_fma_f64 v[48:49], s[2:3], v[36:37], v[38:39]
	v_add_f64 v[32:33], v[32:33], v[38:39]
	v_add_f64 v[38:39], v[52:53], -v[34:35]
	v_add_f64 v[32:33], v[38:39], v[32:33]
	s_mov_b32 s2, 0x252049c0
	v_add_f64 v[38:39], v[32:33], -v[48:49]
	s_mov_b32 s3, 0xb97b839a
	v_fmac_f64_e32 v[38:39], s[2:3], v[36:37]
	v_add_f64 v[32:33], v[34:35], v[38:39]
	v_add_f64 v[34:35], v[32:33], -v[34:35]
	v_add_f64 v[34:35], v[38:39], -v[34:35]
	v_cvt_i32_f64_e32 v51, v[36:37]
.LBB122_21:
	s_or_b64 exec, exec, s[0:1]
	s_mov_b32 s0, 0x652b82fe
	s_mov_b32 s1, 0x3ff71547
	v_mul_f64 v[36:37], v[22:23], s[0:1]
	v_rndne_f64_e32 v[38:39], v[36:37]
	s_mov_b32 s13, 0xbfe62e42
	s_mov_b32 s12, 0xfefa39ef
	;; [unrolled: 1-line block ×3, first 2 shown]
	v_fma_f64 v[48:49], s[12:13], v[38:39], v[22:23]
	s_mov_b32 s1, 0xbc7abc9e
	v_fmac_f64_e32 v[48:49], s[0:1], v[38:39]
	s_mov_b32 s0, 0x6a5dcb37
	v_mov_b32_e32 v36, 0xfca7ab0c
	v_mov_b32_e32 v37, 0x3e928af3
	s_mov_b32 s1, 0x3e5ade15
	v_fmac_f64_e32 v[36:37], s[0:1], v[48:49]
	v_mov_b32_e32 v52, 0x623fde64
	v_mov_b32_e32 v53, 0x3ec71dee
	v_fmac_f64_e32 v[52:53], v[48:49], v[36:37]
	v_mov_b32_e32 v36, 0x7c89e6b0
	v_mov_b32_e32 v37, 0x3efa0199
	;; [unrolled: 3-line block ×3, first 2 shown]
	v_mov_b64_e32 v[54:55], v[52:53]
	v_mov_b32_e32 v64, 0x1852b7b0
	v_mov_b32_e32 v65, 0x3f56c16c
	v_fmac_f64_e32 v[54:55], v[48:49], v[36:37]
	v_mov_b64_e32 v[36:37], v[64:65]
	v_fmac_f64_e32 v[36:37], v[48:49], v[54:55]
	v_mov_b32_e32 v54, 0x11122322
	v_mov_b32_e32 v55, 0x3f811111
	v_mov_b64_e32 v[66:67], v[54:55]
	v_mov_b32_e32 v68, 0x555502a1
	v_mov_b32_e32 v69, 0x3fa55555
	v_fmac_f64_e32 v[66:67], v[48:49], v[36:37]
	v_mov_b64_e32 v[36:37], v[68:69]
	v_fmac_f64_e32 v[36:37], v[48:49], v[66:67]
	v_mov_b32_e32 v66, 0x55555511
	v_mov_b32_e32 v67, 0x3fc55555
	v_mov_b64_e32 v[70:71], v[66:67]
	v_fmac_f64_e32 v[70:71], v[48:49], v[36:37]
	v_mov_b32_e32 v36, 11
	v_mov_b32_e32 v37, 0x3fe00000
	v_fmac_f64_e32 v[36:37], v[48:49], v[70:71]
	v_fma_f64 v[36:37], v[48:49], v[36:37], 1.0
	s_mov_b32 s10, 0
	s_mov_b32 s2, 0
	v_fma_f64 v[36:37], v[48:49], v[36:37], 1.0
	v_cvt_i32_f64_e32 v52, v[38:39]
	s_mov_b32 s11, 0x40900000
	s_mov_b32 s3, 0xc090cc00
	v_ldexp_f64 v[36:37], v[36:37], v52
	v_mov_b32_e32 v82, 0x7ff00000
	v_cmp_nlt_f64_e64 s[0:1], s[10:11], v[22:23]
	v_cmp_ngt_f64_e64 s[2:3], s[2:3], v[22:23]
	v_ldexp_f64 v[70:71], 1.0, v52
	v_cndmask_b32_e64 v37, v82, v37, s[0:1]
	s_and_b64 s[0:1], s[2:3], s[0:1]
	v_cndmask_b32_e64 v37, 0, v37, s[2:3]
	v_cndmask_b32_e64 v36, 0, v36, s[0:1]
	v_mov_b32_e32 v52, 0x7fe00000
	v_cmp_eq_f64_e64 s[0:1], s[10:11], v[38:39]
	s_mov_b32 s2, 0xa9d67f34
	s_mov_b32 s3, 0x3e21f32e
	v_cndmask_b32_e64 v39, v71, v52, s[0:1]
	v_cndmask_b32_e64 v38, v70, 0, s[0:1]
	v_mov_b32_e32 v70, 0x2a1b768b
	v_mov_b32_e32 v71, 0x3e5af4eb
	v_fmac_f64_e32 v[70:71], s[2:3], v[48:49]
	v_mov_b32_e32 v80, 0xe0ac05b
	v_mov_b32_e32 v81, 0x3e927e50
	v_fmac_f64_e32 v[80:81], v[48:49], v[70:71]
	;; [unrolled: 3-line block ×4, first 2 shown]
	v_mov_b32_e32 v52, 0x1ac1a723
	v_fmac_f64_e32 v[52:53], v[48:49], v[80:81]
	v_mov_b32_e32 v64, 0x16c18931
	v_fmac_f64_e32 v[64:65], v[48:49], v[52:53]
	;; [unrolled: 2-line block ×5, first 2 shown]
	v_fma_f64 v[52:53], v[48:49], v[66:67], 0.5
	v_mul_f64 v[52:53], v[48:49], v[52:53]
	v_fmac_f64_e32 v[48:49], v[48:49], v[52:53]
	v_add_f64 v[52:53], v[38:39], -1.0
	v_fmac_f64_e32 v[52:53], v[38:39], v[48:49]
	s_mov_b32 s2, 0
	v_add_f64 v[38:39], v[52:53], v[52:53]
	s_mov_b32 s13, 0x40862e42
	s_mov_b32 s3, 0xc0428000
	v_cndmask_b32_e64 v38, v52, v38, s[0:1]
	v_cndmask_b32_e64 v39, v53, v39, s[0:1]
	v_cmp_nlt_f64_e64 s[0:1], s[12:13], v[22:23]
	v_cmp_ngt_f64_e64 s[2:3], s[2:3], v[22:23]
	v_mov_b32_e32 v48, 0xbff00000
	v_cndmask_b32_e64 v39, v82, v39, s[0:1]
	s_and_b64 s[0:1], s[2:3], s[0:1]
	v_cndmask_b32_e64 v22, 0, v38, s[0:1]
	s_mov_b32 s0, 0x9037ab78
	s_mov_b32 s1, 0x3e21eeb6
	;; [unrolled: 1-line block ×3, first 2 shown]
	v_cndmask_b32_e64 v23, v48, v39, s[2:3]
	v_mul_f64 v[38:39], v[28:29], v[28:29]
	s_mov_b32 s13, 0xbda907db
	v_mov_b64_e32 v[64:65], s[0:1]
	s_mov_b32 s14, 0xa17f65f6
	s_mov_b32 s10, 0x19f4ec90
	v_mul_f64 v[48:49], v[38:39], 0.5
	v_fma_f64 v[66:67], s[12:13], v[38:39], v[64:65]
	s_mov_b32 s15, 0xbe927e4f
	s_mov_b32 s11, 0x3efa01a0
	v_add_f64 v[52:53], -v[48:49], 1.0
	v_fma_f64 v[66:67], v[38:39], v[66:67], s[14:15]
	s_mov_b32 s16, 0x16c16967
	s_mov_b32 s8, 0x55555555
	v_fma_f64 v[66:67], v[38:39], v[66:67], s[10:11]
	s_mov_b32 s17, 0xbf56c16c
	v_add_f64 v[68:69], -v[52:53], 1.0
	s_mov_b32 s9, 0x3fa55555
	v_fma_f64 v[66:67], v[38:39], v[66:67], s[16:17]
	v_add_f64 v[48:49], v[68:69], -v[48:49]
	s_mov_b32 s0, 0xb42fdfa7
	v_mul_f64 v[54:55], v[38:39], v[38:39]
	v_fma_f64 v[66:67], v[38:39], v[66:67], s[8:9]
	v_fma_f64 v[48:49], v[28:29], -v[30:31], v[48:49]
	s_mov_b32 s1, 0xbe5ae600
	s_mov_b32 s18, 0xf9a43bb8
	v_fmac_f64_e32 v[48:49], v[54:55], v[66:67]
	s_mov_b32 s19, 0x3de5e0b2
	v_mov_b64_e32 v[54:55], s[0:1]
	s_mov_b32 s20, 0x796cde01
	v_fma_f64 v[66:67], s[18:19], v[38:39], v[54:55]
	s_mov_b32 s21, 0x3ec71de3
	s_mov_b32 s24, 0x19e83e5c
	;; [unrolled: 1-line block ×3, first 2 shown]
	v_fma_f64 v[66:67], v[38:39], v[66:67], s[20:21]
	s_mov_b32 s25, 0xbf2a01a0
	s_mov_b32 s7, 0x3f811111
	v_fma_f64 v[66:67], v[38:39], v[66:67], s[24:25]
	v_add_f64 v[48:49], v[52:53], v[48:49]
	v_mul_f64 v[52:53], v[28:29], -v[38:39]
	v_fma_f64 v[66:67], v[38:39], v[66:67], s[6:7]
	v_mul_f64 v[68:69], v[30:31], 0.5
	v_fmac_f64_e32 v[68:69], v[52:53], v[66:67]
	v_fma_f64 v[30:31], v[38:39], v[68:69], -v[30:31]
	s_mov_b32 s27, 0xbfc55555
	s_mov_b32 s26, s8
	v_fmac_f64_e32 v[30:31], s[26:27], v[52:53]
	v_and_b32_e32 v70, 1, v50
	v_add_f64 v[28:29], v[28:29], -v[30:31]
	v_xor_b32_e32 v29, 0x80000000, v29
	v_cmp_eq_u32_e64 s[0:1], 0, v70
	s_brev_b32 s28, 1
	v_lshlrev_b32_e32 v30, 30, v50
	v_cndmask_b32_e64 v29, v29, v49, s[0:1]
	v_bitop3_b32 v29, v29, v30, s28 bitop3:0x78
	v_mul_f64 v[30:31], v[10:11], v[10:11]
	v_cndmask_b32_e64 v28, v28, v48, s[0:1]
	v_fma_f64 v[48:49], s[18:19], v[30:31], v[54:55]
	v_fma_f64 v[48:49], v[30:31], v[48:49], s[20:21]
	;; [unrolled: 1-line block ×3, first 2 shown]
	v_mul_f64 v[38:39], v[10:11], -v[30:31]
	v_fma_f64 v[48:49], v[30:31], v[48:49], s[6:7]
	v_mul_f64 v[52:53], v[12:13], 0.5
	v_fmac_f64_e32 v[52:53], v[38:39], v[48:49]
	v_fma_f64 v[48:49], v[30:31], v[52:53], -v[12:13]
	v_fma_f64 v[68:69], s[12:13], v[30:31], v[64:65]
	v_fmac_f64_e32 v[48:49], s[26:27], v[38:39]
	v_fma_f64 v[68:69], v[30:31], v[68:69], s[14:15]
	v_add_f64 v[38:39], v[10:11], -v[48:49]
	v_mul_f64 v[48:49], v[30:31], 0.5
	v_fma_f64 v[68:69], v[30:31], v[68:69], s[10:11]
	v_add_f64 v[52:53], -v[48:49], 1.0
	v_fma_f64 v[68:69], v[30:31], v[68:69], s[16:17]
	v_mul_f64 v[66:67], v[30:31], v[30:31]
	v_fma_f64 v[30:31], v[30:31], v[68:69], s[8:9]
	v_add_f64 v[68:69], -v[52:53], 1.0
	v_add_f64 v[48:49], v[68:69], -v[48:49]
	v_fma_f64 v[10:11], v[10:11], -v[12:13], v[48:49]
	v_and_b32_e32 v50, 1, v27
	v_fmac_f64_e32 v[10:11], v[66:67], v[30:31]
	v_add_f64 v[10:11], v[52:53], v[10:11]
	v_cmp_eq_u32_e64 s[2:3], 0, v50
	v_lshlrev_b32_e32 v12, 30, v27
	s_movk_i32 s23, 0x1f8
	v_cndmask_b32_e64 v11, v11, v39, s[2:3]
	v_xor_b32_e32 v12, v12, v3
	v_cmp_class_f64_e64 s[0:1], v[24:25], s23
	v_mov_b32_e32 v24, 0x7ff80000
	v_cndmask_b32_e64 v10, v10, v38, s[2:3]
	v_bitop3_b32 v11, v11, v12, s28 bitop3:0x78
	v_cmp_class_f64_e64 s[2:3], v[2:3], s23
	v_cndmask_b32_e64 v28, 0, v28, s[0:1]
	v_cndmask_b32_e64 v29, v24, v29, s[0:1]
	;; [unrolled: 1-line block ×4, first 2 shown]
	v_add_f64 v[10:11], v[2:3], v[2:3]
	v_mul_f64 v[2:3], v[10:11], v[2:3]
	v_fma_f64 v[10:11], v[22:23], v[28:29], -v[2:3]
	v_mul_f64 v[2:3], v[32:33], v[32:33]
	v_mul_f64 v[12:13], v[2:3], 0.5
	v_fmac_f64_e32 v[64:65], s[12:13], v[2:3]
	v_add_f64 v[22:23], -v[12:13], 1.0
	v_fma_f64 v[30:31], v[2:3], v[64:65], s[14:15]
	v_add_f64 v[28:29], -v[22:23], 1.0
	v_fma_f64 v[30:31], v[2:3], v[30:31], s[10:11]
	v_add_f64 v[12:13], v[28:29], -v[12:13]
	v_fma_f64 v[30:31], v[2:3], v[30:31], s[16:17]
	v_mul_f64 v[28:29], v[2:3], v[2:3]
	v_fma_f64 v[30:31], v[2:3], v[30:31], s[8:9]
	v_fma_f64 v[12:13], v[32:33], -v[34:35], v[12:13]
	v_fmac_f64_e32 v[12:13], v[28:29], v[30:31]
	v_fmac_f64_e32 v[54:55], s[18:19], v[2:3]
	v_add_f64 v[12:13], v[22:23], v[12:13]
	v_fma_f64 v[22:23], v[2:3], v[54:55], s[20:21]
	v_fma_f64 v[22:23], v[2:3], v[22:23], s[24:25]
	;; [unrolled: 1-line block ×3, first 2 shown]
	v_mul_f64 v[28:29], v[32:33], -v[2:3]
	v_mul_f64 v[30:31], v[34:35], 0.5
	v_fmac_f64_e32 v[30:31], v[28:29], v[22:23]
	v_fma_f64 v[2:3], v[2:3], v[30:31], -v[34:35]
	v_fmac_f64_e32 v[2:3], s[26:27], v[28:29]
	v_and_b32_e32 v22, 1, v51
	v_add_f64 v[2:3], v[32:33], -v[2:3]
	v_cmp_eq_u32_e64 s[2:3], 0, v22
	s_nop 1
	v_cndmask_b32_e64 v2, v12, v2, s[2:3]
	v_lshlrev_b32_e32 v12, 30, v51
	v_cndmask_b32_e64 v3, v13, v3, s[2:3]
	v_xor_b32_e32 v12, v12, v25
	v_bitop3_b32 v3, v3, v12, s28 bitop3:0x78
	v_cndmask_b32_e64 v2, 0, v2, s[0:1]
	v_cndmask_b32_e64 v3, v24, v3, s[0:1]
	v_mul_f64 v[12:13], v[36:37], v[2:3]
.LBB122_22:
	s_or_b64 exec, exec, s[4:5]
	v_add_u32_e32 v50, 0x100, v5
	v_cmp_lt_i32_e64 s[0:1], v50, v4
	s_waitcnt vmcnt(0) lgkmcnt(0)
	v_mov_b64_e32 v[22:23], 0
	v_mov_b64_e32 v[24:25], 0
	s_and_saveexec_b64 s[4:5], s[0:1]
	s_cbranch_execz .LBB122_36
; %bb.23:
	s_mov_b32 s0, 0
	v_mul_f64 v[2:3], v[20:21], 0.5
	s_mov_b32 s1, 0x41d00000
	v_cmp_nlt_f64_e64 s[0:1], |v[2:3]|, s[0:1]
                                        ; implicit-def: $vgpr27
                                        ; implicit-def: $vgpr22_vgpr23
                                        ; implicit-def: $vgpr24_vgpr25
	s_and_saveexec_b64 s[2:3], s[0:1]
	s_xor_b64 s[6:7], exec, s[2:3]
	s_cbranch_execz .LBB122_25
; %bb.24:
	s_mov_b32 s0, 0
	s_mov_b32 s1, 0x7b000000
	s_movk_i32 s2, 0xff80
	v_and_b32_e32 v27, 0x7fffffff, v3
	v_ldexp_f64 v[28:29], |v[2:3]|, s2
	v_cmp_ge_f64_e64 s[0:1], |v[2:3]|, s[0:1]
	v_trig_preop_f64 v[22:23], |v[2:3]|, 0
	v_trig_preop_f64 v[24:25], |v[2:3]|, 1
	v_cndmask_b32_e64 v29, v27, v29, s[0:1]
	v_cndmask_b32_e64 v28, v2, v28, s[0:1]
	v_mul_f64 v[32:33], v[22:23], v[28:29]
	v_mul_f64 v[30:31], v[24:25], v[28:29]
	v_fma_f64 v[22:23], v[22:23], v[28:29], -v[32:33]
	v_add_f64 v[34:35], v[30:31], v[22:23]
	v_add_f64 v[52:53], v[34:35], -v[30:31]
	v_add_f64 v[22:23], v[22:23], -v[52:53]
	;; [unrolled: 1-line block ×4, first 2 shown]
	v_fma_f64 v[24:25], v[24:25], v[28:29], -v[30:31]
	v_trig_preop_f64 v[30:31], |v[2:3]|, 2
	v_add_f64 v[22:23], v[22:23], v[52:53]
	v_mul_f64 v[52:53], v[30:31], v[28:29]
	v_add_f64 v[54:55], v[52:53], v[24:25]
	v_add_f64 v[36:37], v[32:33], v[34:35]
	v_add_f64 v[64:65], v[54:55], v[22:23]
	v_ldexp_f64 v[38:39], v[36:37], -2
	v_add_f64 v[32:33], v[36:37], -v[32:33]
	v_add_f64 v[36:37], v[64:65], -v[54:55]
	;; [unrolled: 1-line block ×5, first 2 shown]
	v_add_f64 v[22:23], v[22:23], v[36:37]
	v_add_f64 v[36:37], v[54:55], -v[52:53]
	v_add_f64 v[24:25], v[24:25], -v[36:37]
	;; [unrolled: 1-line block ×4, first 2 shown]
	v_add_f64 v[24:25], v[24:25], v[36:37]
	s_mov_b32 s0, 0
	v_fract_f64_e32 v[48:49], v[38:39]
	v_add_f64 v[22:23], v[24:25], v[22:23]
	v_fma_f64 v[24:25], v[30:31], v[28:29], -v[52:53]
	s_mov_b32 s1, 0x7ff00000
	v_add_f64 v[32:33], v[34:35], -v[32:33]
	v_add_f64 v[22:23], v[24:25], v[22:23]
	v_ldexp_f64 v[24:25], v[48:49], 2
	v_cmp_neq_f64_e64 s[0:1], |v[38:39]|, s[0:1]
	v_add_f64 v[34:35], v[32:33], v[64:65]
	v_mov_b32_e32 v27, 0x40100000
	v_cndmask_b32_e64 v25, 0, v25, s[0:1]
	v_cndmask_b32_e64 v24, 0, v24, s[0:1]
	v_add_f64 v[28:29], v[34:35], v[24:25]
	v_cmp_gt_f64_e64 s[0:1], 0, v[28:29]
	v_mov_b32_e32 v28, 0
	v_add_f64 v[32:33], v[34:35], -v[32:33]
	v_cndmask_b32_e64 v29, 0, v27, s[0:1]
	v_add_f64 v[24:25], v[24:25], v[28:29]
	v_add_f64 v[30:31], v[34:35], v[24:25]
	v_cvt_i32_f64_e32 v27, v[30:31]
	v_cvt_f64_i32_e32 v[30:31], v27
	v_add_f64 v[24:25], v[24:25], -v[30:31]
	v_add_f64 v[30:31], v[34:35], v[24:25]
	v_add_f64 v[32:33], v[64:65], -v[32:33]
	v_add_f64 v[24:25], v[30:31], -v[24:25]
	v_add_f64 v[22:23], v[32:33], v[22:23]
	v_add_f64 v[24:25], v[34:35], -v[24:25]
	v_add_f64 v[22:23], v[22:23], v[24:25]
	v_cmp_le_f64_e64 s[0:1], 0.5, v[30:31]
	v_mov_b32_e32 v24, 0x3ff00000
	s_nop 0
	v_cndmask_b32_e64 v29, 0, v24, s[0:1]
	v_add_f64 v[24:25], v[30:31], -v[28:29]
	v_addc_co_u32_e64 v27, s[2:3], 0, v27, s[0:1]
	v_add_f64 v[28:29], v[24:25], v[22:23]
	s_mov_b32 s0, 0x54442d18
	v_add_f64 v[24:25], v[28:29], -v[24:25]
	s_mov_b32 s1, 0x3ff921fb
	v_add_f64 v[22:23], v[22:23], -v[24:25]
	v_mul_f64 v[24:25], v[28:29], s[0:1]
	s_mov_b32 s2, 0x33145c07
	v_fma_f64 v[30:31], v[28:29], s[0:1], -v[24:25]
	s_mov_b32 s3, 0x3c91a626
	v_fmac_f64_e32 v[30:31], s[2:3], v[28:29]
	v_fmac_f64_e32 v[30:31], s[0:1], v[22:23]
	v_add_f64 v[22:23], v[24:25], v[30:31]
	v_add_f64 v[24:25], v[22:23], -v[24:25]
	v_add_f64 v[24:25], v[30:31], -v[24:25]
.LBB122_25:
	s_andn2_saveexec_b64 s[0:1], s[6:7]
	s_cbranch_execz .LBB122_27
; %bb.26:
	s_mov_b32 s2, 0x6dc9c883
	s_mov_b32 s3, 0x3fe45f30
	v_mul_f64 v[22:23], |v[2:3]|, s[2:3]
	s_mov_b32 s2, 0x54442d18
	v_rndne_f64_e32 v[28:29], v[22:23]
	s_mov_b32 s3, 0xbff921fb
	v_fma_f64 v[22:23], v[28:29], s[2:3], |v[2:3]|
	s_mov_b32 s3, 0xbc91a626
	s_mov_b32 s2, 0x33145c00
	v_mul_f64 v[30:31], v[28:29], s[2:3]
	v_add_f64 v[34:35], v[22:23], v[30:31]
	v_fma_f64 v[24:25], s[2:3], v[28:29], v[22:23]
	s_mov_b32 s3, 0x3c91a626
	v_add_f64 v[22:23], v[22:23], -v[34:35]
	v_fma_f64 v[32:33], s[2:3], v[28:29], v[30:31]
	v_add_f64 v[22:23], v[22:23], v[30:31]
	v_add_f64 v[30:31], v[34:35], -v[24:25]
	v_add_f64 v[22:23], v[30:31], v[22:23]
	s_mov_b32 s2, 0x252049c0
	v_add_f64 v[30:31], v[22:23], -v[32:33]
	s_mov_b32 s3, 0xb97b839a
	v_fmac_f64_e32 v[30:31], s[2:3], v[28:29]
	v_add_f64 v[22:23], v[24:25], v[30:31]
	v_add_f64 v[24:25], v[22:23], -v[24:25]
	v_add_f64 v[24:25], v[30:31], -v[24:25]
	v_cvt_i32_f64_e32 v27, v[28:29]
.LBB122_27:
	s_or_b64 exec, exec, s[0:1]
	s_mov_b32 s0, 0
	s_mov_b32 s1, 0x41d00000
	v_cmp_nlt_f64_e64 s[6:7], |v[20:21]|, s[0:1]
	v_trig_preop_f64 v[48:49], |v[20:21]|, 0
	v_trig_preop_f64 v[38:39], |v[20:21]|, 1
	;; [unrolled: 1-line block ×3, first 2 shown]
                                        ; implicit-def: $vgpr51
                                        ; implicit-def: $vgpr28_vgpr29
                                        ; implicit-def: $vgpr30_vgpr31
	s_and_saveexec_b64 s[0:1], s[6:7]
	s_xor_b64 s[8:9], exec, s[0:1]
	s_cbranch_execz .LBB122_29
; %bb.28:
	s_mov_b32 s0, 0
	s_mov_b32 s1, 0x7b000000
	s_movk_i32 s2, 0xff80
	v_and_b32_e32 v30, 0x7fffffff, v21
	v_ldexp_f64 v[28:29], |v[20:21]|, s2
	v_cmp_ge_f64_e64 s[0:1], |v[20:21]|, s[0:1]
	s_nop 1
	v_cndmask_b32_e64 v29, v30, v29, s[0:1]
	v_cndmask_b32_e64 v28, v20, v28, s[0:1]
	v_mul_f64 v[32:33], v[48:49], v[28:29]
	v_mul_f64 v[30:31], v[38:39], v[28:29]
	v_fma_f64 v[34:35], v[48:49], v[28:29], -v[32:33]
	v_add_f64 v[52:53], v[30:31], v[34:35]
	v_add_f64 v[68:69], v[52:53], -v[30:31]
	v_add_f64 v[34:35], v[34:35], -v[68:69]
	;; [unrolled: 1-line block ×4, first 2 shown]
	v_add_f64 v[34:35], v[34:35], v[68:69]
	v_fma_f64 v[30:31], v[38:39], v[28:29], -v[30:31]
	v_mul_f64 v[68:69], v[36:37], v[28:29]
	v_add_f64 v[70:71], v[68:69], v[30:31]
	v_add_f64 v[54:55], v[32:33], v[52:53]
	;; [unrolled: 1-line block ×3, first 2 shown]
	v_ldexp_f64 v[64:65], v[54:55], -2
	v_add_f64 v[32:33], v[54:55], -v[32:33]
	v_add_f64 v[54:55], v[80:81], -v[70:71]
	;; [unrolled: 1-line block ×5, first 2 shown]
	v_add_f64 v[34:35], v[34:35], v[54:55]
	v_add_f64 v[54:55], v[70:71], -v[68:69]
	v_add_f64 v[30:31], v[30:31], -v[54:55]
	;; [unrolled: 1-line block ×5, first 2 shown]
	v_add_f64 v[30:31], v[30:31], v[54:55]
	s_mov_b32 s0, 0
	v_fract_f64_e32 v[66:67], v[64:65]
	v_add_f64 v[52:53], v[32:33], v[80:81]
	v_add_f64 v[30:31], v[30:31], v[34:35]
	v_fma_f64 v[28:29], v[36:37], v[28:29], -v[68:69]
	s_mov_b32 s1, 0x7ff00000
	v_add_f64 v[32:33], v[52:53], -v[32:33]
	v_add_f64 v[28:29], v[28:29], v[30:31]
	v_ldexp_f64 v[30:31], v[66:67], 2
	v_cmp_neq_f64_e64 s[0:1], |v[64:65]|, s[0:1]
	v_add_f64 v[32:33], v[80:81], -v[32:33]
	v_add_f64 v[28:29], v[32:33], v[28:29]
	v_cndmask_b32_e64 v31, 0, v31, s[0:1]
	v_cndmask_b32_e64 v30, 0, v30, s[0:1]
	v_add_f64 v[32:33], v[52:53], v[30:31]
	v_mov_b32_e32 v34, 0x40100000
	v_cmp_gt_f64_e64 s[0:1], 0, v[32:33]
	v_mov_b32_e32 v32, 0
	s_nop 0
	v_cndmask_b32_e64 v33, 0, v34, s[0:1]
	v_add_f64 v[30:31], v[30:31], v[32:33]
	v_add_f64 v[34:35], v[52:53], v[30:31]
	v_cvt_i32_f64_e32 v33, v[34:35]
	v_cvt_f64_i32_e32 v[34:35], v33
	v_add_f64 v[30:31], v[30:31], -v[34:35]
	v_add_f64 v[34:35], v[52:53], v[30:31]
	v_add_f64 v[30:31], v[34:35], -v[30:31]
	v_add_f64 v[30:31], v[52:53], -v[30:31]
	v_add_f64 v[28:29], v[28:29], v[30:31]
	v_cmp_le_f64_e64 s[0:1], 0.5, v[34:35]
	v_mov_b32_e32 v30, 0x3ff00000
	s_nop 0
	v_addc_co_u32_e64 v51, s[2:3], 0, v33, s[0:1]
	v_cndmask_b32_e64 v33, 0, v30, s[0:1]
	v_add_f64 v[30:31], v[34:35], -v[32:33]
	v_add_f64 v[32:33], v[30:31], v[28:29]
	s_mov_b32 s0, 0x54442d18
	v_add_f64 v[30:31], v[32:33], -v[30:31]
	s_mov_b32 s1, 0x3ff921fb
	v_add_f64 v[28:29], v[28:29], -v[30:31]
	v_mul_f64 v[30:31], v[32:33], s[0:1]
	s_mov_b32 s2, 0x33145c07
	v_fma_f64 v[34:35], v[32:33], s[0:1], -v[30:31]
	s_mov_b32 s3, 0x3c91a626
	v_fmac_f64_e32 v[34:35], s[2:3], v[32:33]
	v_fmac_f64_e32 v[34:35], s[0:1], v[28:29]
	v_add_f64 v[28:29], v[30:31], v[34:35]
	v_add_f64 v[30:31], v[28:29], -v[30:31]
	v_add_f64 v[30:31], v[34:35], -v[30:31]
	s_andn2_saveexec_b64 s[0:1], s[8:9]
	s_cbranch_execz .LBB122_31
	s_branch .LBB122_30
.LBB122_29:
	s_andn2_saveexec_b64 s[0:1], s[8:9]
	s_cbranch_execz .LBB122_31
.LBB122_30:
	s_mov_b32 s2, 0x6dc9c883
	s_mov_b32 s3, 0x3fe45f30
	v_mul_f64 v[28:29], |v[20:21]|, s[2:3]
	s_mov_b32 s2, 0x54442d18
	v_rndne_f64_e32 v[32:33], v[28:29]
	s_mov_b32 s3, 0xbff921fb
	v_fma_f64 v[28:29], v[32:33], s[2:3], |v[20:21]|
	s_mov_b32 s3, 0xbc91a626
	s_mov_b32 s2, 0x33145c00
	v_mul_f64 v[34:35], v[32:33], s[2:3]
	v_add_f64 v[54:55], v[28:29], v[34:35]
	v_fma_f64 v[30:31], s[2:3], v[32:33], v[28:29]
	s_mov_b32 s3, 0x3c91a626
	v_add_f64 v[28:29], v[28:29], -v[54:55]
	v_fma_f64 v[52:53], s[2:3], v[32:33], v[34:35]
	v_add_f64 v[28:29], v[28:29], v[34:35]
	v_add_f64 v[34:35], v[54:55], -v[30:31]
	v_add_f64 v[28:29], v[34:35], v[28:29]
	s_mov_b32 s2, 0x252049c0
	v_add_f64 v[34:35], v[28:29], -v[52:53]
	s_mov_b32 s3, 0xb97b839a
	v_fmac_f64_e32 v[34:35], s[2:3], v[32:33]
	v_add_f64 v[28:29], v[30:31], v[34:35]
	v_add_f64 v[30:31], v[28:29], -v[30:31]
	v_add_f64 v[30:31], v[34:35], -v[30:31]
	v_cvt_i32_f64_e32 v51, v[32:33]
.LBB122_31:
	s_or_b64 exec, exec, s[0:1]
                                        ; implicit-def: $vgpr52
                                        ; implicit-def: $vgpr32_vgpr33
                                        ; implicit-def: $vgpr34_vgpr35
	s_and_saveexec_b64 s[0:1], s[6:7]
	s_xor_b64 s[6:7], exec, s[0:1]
	s_cbranch_execz .LBB122_33
; %bb.32:
	s_mov_b32 s0, 0
	s_mov_b32 s1, 0x7b000000
	s_movk_i32 s2, 0xff80
	v_and_b32_e32 v34, 0x7fffffff, v21
	v_ldexp_f64 v[32:33], |v[20:21]|, s2
	v_cmp_ge_f64_e64 s[0:1], |v[20:21]|, s[0:1]
	s_nop 1
	v_cndmask_b32_e64 v33, v34, v33, s[0:1]
	v_cndmask_b32_e64 v32, v20, v32, s[0:1]
	v_mul_f64 v[52:53], v[48:49], v[32:33]
	v_mul_f64 v[34:35], v[38:39], v[32:33]
	v_fma_f64 v[48:49], v[48:49], v[32:33], -v[52:53]
	v_add_f64 v[54:55], v[34:35], v[48:49]
	v_add_f64 v[70:71], v[54:55], -v[34:35]
	v_add_f64 v[48:49], v[48:49], -v[70:71]
	v_add_f64 v[70:71], v[54:55], -v[70:71]
	v_add_f64 v[70:71], v[34:35], -v[70:71]
	v_fma_f64 v[34:35], v[38:39], v[32:33], -v[34:35]
	v_mul_f64 v[38:39], v[36:37], v[32:33]
	v_add_f64 v[48:49], v[48:49], v[70:71]
	v_add_f64 v[70:71], v[38:39], v[34:35]
	;; [unrolled: 1-line block ×4, first 2 shown]
	v_ldexp_f64 v[66:67], v[64:65], -2
	v_add_f64 v[52:53], v[64:65], -v[52:53]
	v_add_f64 v[64:65], v[80:81], -v[70:71]
	;; [unrolled: 1-line block ×5, first 2 shown]
	v_add_f64 v[48:49], v[48:49], v[64:65]
	v_add_f64 v[64:65], v[70:71], -v[38:39]
	v_add_f64 v[34:35], v[34:35], -v[64:65]
	;; [unrolled: 1-line block ×4, first 2 shown]
	v_add_f64 v[34:35], v[34:35], v[64:65]
	s_mov_b32 s0, 0
	v_fract_f64_e32 v[68:69], v[66:67]
	v_add_f64 v[34:35], v[34:35], v[48:49]
	v_fma_f64 v[32:33], v[36:37], v[32:33], -v[38:39]
	s_mov_b32 s1, 0x7ff00000
	v_add_f64 v[52:53], v[54:55], -v[52:53]
	v_add_f64 v[32:33], v[32:33], v[34:35]
	v_ldexp_f64 v[34:35], v[68:69], 2
	v_cmp_neq_f64_e64 s[0:1], |v[66:67]|, s[0:1]
	v_add_f64 v[54:55], v[52:53], v[80:81]
	v_mov_b32_e32 v38, 0x40100000
	v_cndmask_b32_e64 v35, 0, v35, s[0:1]
	v_cndmask_b32_e64 v34, 0, v34, s[0:1]
	v_add_f64 v[36:37], v[54:55], v[34:35]
	v_cmp_gt_f64_e64 s[0:1], 0, v[36:37]
	v_mov_b32_e32 v36, 0
	v_add_f64 v[52:53], v[54:55], -v[52:53]
	v_cndmask_b32_e64 v37, 0, v38, s[0:1]
	v_add_f64 v[34:35], v[34:35], v[36:37]
	v_add_f64 v[38:39], v[54:55], v[34:35]
	v_cvt_i32_f64_e32 v37, v[38:39]
	v_cvt_f64_i32_e32 v[38:39], v37
	v_add_f64 v[34:35], v[34:35], -v[38:39]
	v_add_f64 v[38:39], v[54:55], v[34:35]
	v_add_f64 v[52:53], v[80:81], -v[52:53]
	v_add_f64 v[34:35], v[38:39], -v[34:35]
	v_add_f64 v[32:33], v[52:53], v[32:33]
	v_add_f64 v[34:35], v[54:55], -v[34:35]
	v_add_f64 v[32:33], v[32:33], v[34:35]
	v_cmp_le_f64_e64 s[0:1], 0.5, v[38:39]
	v_mov_b32_e32 v34, 0x3ff00000
	s_nop 0
	v_addc_co_u32_e64 v52, s[2:3], 0, v37, s[0:1]
	v_cndmask_b32_e64 v37, 0, v34, s[0:1]
	v_add_f64 v[34:35], v[38:39], -v[36:37]
	v_add_f64 v[36:37], v[34:35], v[32:33]
	s_mov_b32 s0, 0x54442d18
	v_add_f64 v[34:35], v[36:37], -v[34:35]
	s_mov_b32 s1, 0x3ff921fb
	v_add_f64 v[32:33], v[32:33], -v[34:35]
	v_mul_f64 v[34:35], v[36:37], s[0:1]
	s_mov_b32 s2, 0x33145c07
	v_fma_f64 v[38:39], v[36:37], s[0:1], -v[34:35]
	s_mov_b32 s3, 0x3c91a626
	v_fmac_f64_e32 v[38:39], s[2:3], v[36:37]
	v_fmac_f64_e32 v[38:39], s[0:1], v[32:33]
	v_add_f64 v[32:33], v[34:35], v[38:39]
	v_add_f64 v[34:35], v[32:33], -v[34:35]
	v_add_f64 v[34:35], v[38:39], -v[34:35]
	s_andn2_saveexec_b64 s[0:1], s[6:7]
	s_cbranch_execnz .LBB122_34
	s_branch .LBB122_35
.LBB122_33:
	s_andn2_saveexec_b64 s[0:1], s[6:7]
	s_cbranch_execz .LBB122_35
.LBB122_34:
	s_mov_b32 s2, 0x6dc9c883
	s_mov_b32 s3, 0x3fe45f30
	v_mul_f64 v[32:33], |v[20:21]|, s[2:3]
	s_mov_b32 s2, 0x54442d18
	v_rndne_f64_e32 v[36:37], v[32:33]
	s_mov_b32 s3, 0xbff921fb
	v_fma_f64 v[32:33], v[36:37], s[2:3], |v[20:21]|
	s_mov_b32 s3, 0xbc91a626
	s_mov_b32 s2, 0x33145c00
	v_mul_f64 v[38:39], v[36:37], s[2:3]
	v_add_f64 v[52:53], v[32:33], v[38:39]
	v_fma_f64 v[34:35], s[2:3], v[36:37], v[32:33]
	s_mov_b32 s3, 0x3c91a626
	v_add_f64 v[32:33], v[32:33], -v[52:53]
	v_fma_f64 v[48:49], s[2:3], v[36:37], v[38:39]
	v_add_f64 v[32:33], v[32:33], v[38:39]
	v_add_f64 v[38:39], v[52:53], -v[34:35]
	v_add_f64 v[32:33], v[38:39], v[32:33]
	s_mov_b32 s2, 0x252049c0
	v_add_f64 v[38:39], v[32:33], -v[48:49]
	s_mov_b32 s3, 0xb97b839a
	v_fmac_f64_e32 v[38:39], s[2:3], v[36:37]
	v_add_f64 v[32:33], v[34:35], v[38:39]
	v_add_f64 v[34:35], v[32:33], -v[34:35]
	v_add_f64 v[34:35], v[38:39], -v[34:35]
	v_cvt_i32_f64_e32 v52, v[36:37]
.LBB122_35:
	s_or_b64 exec, exec, s[0:1]
	s_mov_b32 s0, 0x652b82fe
	s_mov_b32 s1, 0x3ff71547
	v_mul_f64 v[36:37], v[18:19], s[0:1]
	v_rndne_f64_e32 v[38:39], v[36:37]
	s_mov_b32 s13, 0xbfe62e42
	s_mov_b32 s12, 0xfefa39ef
	;; [unrolled: 1-line block ×3, first 2 shown]
	v_fma_f64 v[48:49], s[12:13], v[38:39], v[18:19]
	s_mov_b32 s1, 0xbc7abc9e
	v_fmac_f64_e32 v[48:49], s[0:1], v[38:39]
	s_mov_b32 s0, 0x6a5dcb37
	v_mov_b32_e32 v36, 0xfca7ab0c
	v_mov_b32_e32 v37, 0x3e928af3
	s_mov_b32 s1, 0x3e5ade15
	v_fmac_f64_e32 v[36:37], s[0:1], v[48:49]
	v_mov_b32_e32 v54, 0x623fde64
	v_mov_b32_e32 v55, 0x3ec71dee
	v_fmac_f64_e32 v[54:55], v[48:49], v[36:37]
	v_mov_b32_e32 v36, 0x7c89e6b0
	v_mov_b32_e32 v37, 0x3efa0199
	;; [unrolled: 3-line block ×3, first 2 shown]
	v_mov_b64_e32 v[64:65], v[54:55]
	v_mov_b32_e32 v66, 0x1852b7b0
	v_mov_b32_e32 v67, 0x3f56c16c
	v_fmac_f64_e32 v[64:65], v[48:49], v[36:37]
	v_mov_b64_e32 v[36:37], v[66:67]
	v_fmac_f64_e32 v[36:37], v[48:49], v[64:65]
	v_mov_b32_e32 v64, 0x11122322
	v_mov_b32_e32 v65, 0x3f811111
	v_mov_b64_e32 v[68:69], v[64:65]
	v_mov_b32_e32 v70, 0x555502a1
	v_mov_b32_e32 v71, 0x3fa55555
	v_fmac_f64_e32 v[68:69], v[48:49], v[36:37]
	v_mov_b64_e32 v[36:37], v[70:71]
	v_fmac_f64_e32 v[36:37], v[48:49], v[68:69]
	v_mov_b32_e32 v68, 0x55555511
	v_mov_b32_e32 v69, 0x3fc55555
	v_mov_b64_e32 v[80:81], v[68:69]
	v_fmac_f64_e32 v[80:81], v[48:49], v[36:37]
	v_mov_b32_e32 v36, 11
	v_mov_b32_e32 v37, 0x3fe00000
	v_fmac_f64_e32 v[36:37], v[48:49], v[80:81]
	v_fma_f64 v[36:37], v[48:49], v[36:37], 1.0
	s_mov_b32 s10, 0
	s_mov_b32 s2, 0
	v_fma_f64 v[36:37], v[48:49], v[36:37], 1.0
	v_cvt_i32_f64_e32 v53, v[38:39]
	s_mov_b32 s11, 0x40900000
	s_mov_b32 s3, 0xc090cc00
	v_ldexp_f64 v[36:37], v[36:37], v53
	v_mov_b32_e32 v84, 0x7ff00000
	v_cmp_nlt_f64_e64 s[0:1], s[10:11], v[18:19]
	v_cmp_ngt_f64_e64 s[2:3], s[2:3], v[18:19]
	v_ldexp_f64 v[80:81], 1.0, v53
	v_cndmask_b32_e64 v37, v84, v37, s[0:1]
	s_and_b64 s[0:1], s[2:3], s[0:1]
	v_cndmask_b32_e64 v37, 0, v37, s[2:3]
	v_cndmask_b32_e64 v36, 0, v36, s[0:1]
	v_mov_b32_e32 v53, 0x7fe00000
	v_cmp_eq_f64_e64 s[0:1], s[10:11], v[38:39]
	s_mov_b32 s2, 0xa9d67f34
	s_mov_b32 s3, 0x3e21f32e
	v_cndmask_b32_e64 v39, v81, v53, s[0:1]
	v_cndmask_b32_e64 v38, v80, 0, s[0:1]
	v_mov_b32_e32 v80, 0x2a1b768b
	v_mov_b32_e32 v81, 0x3e5af4eb
	v_fmac_f64_e32 v[80:81], s[2:3], v[48:49]
	v_mov_b32_e32 v82, 0xe0ac05b
	v_mov_b32_e32 v83, 0x3e927e50
	v_fmac_f64_e32 v[82:83], v[48:49], v[80:81]
	;; [unrolled: 3-line block ×4, first 2 shown]
	v_mov_b32_e32 v54, 0x1ac1a723
	v_fmac_f64_e32 v[54:55], v[48:49], v[82:83]
	v_mov_b32_e32 v66, 0x16c18931
	v_fmac_f64_e32 v[66:67], v[48:49], v[54:55]
	;; [unrolled: 2-line block ×5, first 2 shown]
	v_fma_f64 v[54:55], v[48:49], v[68:69], 0.5
	v_mul_f64 v[54:55], v[48:49], v[54:55]
	v_fmac_f64_e32 v[48:49], v[48:49], v[54:55]
	v_add_f64 v[54:55], v[38:39], -1.0
	v_fmac_f64_e32 v[54:55], v[38:39], v[48:49]
	s_mov_b32 s2, 0
	v_add_f64 v[38:39], v[54:55], v[54:55]
	s_mov_b32 s13, 0x40862e42
	s_mov_b32 s3, 0xc0428000
	v_cndmask_b32_e64 v38, v54, v38, s[0:1]
	v_cndmask_b32_e64 v39, v55, v39, s[0:1]
	v_cmp_nlt_f64_e64 s[0:1], s[12:13], v[18:19]
	v_cmp_ngt_f64_e64 s[2:3], s[2:3], v[18:19]
	v_mov_b32_e32 v48, 0xbff00000
	v_cndmask_b32_e64 v39, v84, v39, s[0:1]
	s_and_b64 s[0:1], s[2:3], s[0:1]
	v_cndmask_b32_e64 v18, 0, v38, s[0:1]
	s_mov_b32 s0, 0x9037ab78
	s_mov_b32 s1, 0x3e21eeb6
	;; [unrolled: 1-line block ×3, first 2 shown]
	v_cndmask_b32_e64 v19, v48, v39, s[2:3]
	v_mul_f64 v[38:39], v[28:29], v[28:29]
	s_mov_b32 s13, 0xbda907db
	v_mov_b64_e32 v[66:67], s[0:1]
	s_mov_b32 s14, 0xa17f65f6
	s_mov_b32 s10, 0x19f4ec90
	v_mul_f64 v[48:49], v[38:39], 0.5
	v_fma_f64 v[68:69], s[12:13], v[38:39], v[66:67]
	s_mov_b32 s15, 0xbe927e4f
	s_mov_b32 s11, 0x3efa01a0
	v_add_f64 v[54:55], -v[48:49], 1.0
	v_fma_f64 v[68:69], v[38:39], v[68:69], s[14:15]
	s_mov_b32 s16, 0x16c16967
	s_mov_b32 s8, 0x55555555
	v_fma_f64 v[68:69], v[38:39], v[68:69], s[10:11]
	s_mov_b32 s17, 0xbf56c16c
	v_add_f64 v[70:71], -v[54:55], 1.0
	s_mov_b32 s9, 0x3fa55555
	v_fma_f64 v[68:69], v[38:39], v[68:69], s[16:17]
	v_add_f64 v[48:49], v[70:71], -v[48:49]
	s_mov_b32 s0, 0xb42fdfa7
	v_mul_f64 v[64:65], v[38:39], v[38:39]
	v_fma_f64 v[68:69], v[38:39], v[68:69], s[8:9]
	v_fma_f64 v[48:49], v[28:29], -v[30:31], v[48:49]
	s_mov_b32 s1, 0xbe5ae600
	s_mov_b32 s18, 0xf9a43bb8
	v_fmac_f64_e32 v[48:49], v[64:65], v[68:69]
	s_mov_b32 s19, 0x3de5e0b2
	v_mov_b64_e32 v[64:65], s[0:1]
	s_mov_b32 s20, 0x796cde01
	v_fma_f64 v[68:69], s[18:19], v[38:39], v[64:65]
	s_mov_b32 s21, 0x3ec71de3
	s_mov_b32 s24, 0x19e83e5c
	;; [unrolled: 1-line block ×3, first 2 shown]
	v_fma_f64 v[68:69], v[38:39], v[68:69], s[20:21]
	s_mov_b32 s25, 0xbf2a01a0
	s_mov_b32 s7, 0x3f811111
	v_fma_f64 v[68:69], v[38:39], v[68:69], s[24:25]
	v_add_f64 v[48:49], v[54:55], v[48:49]
	v_mul_f64 v[54:55], v[28:29], -v[38:39]
	v_fma_f64 v[68:69], v[38:39], v[68:69], s[6:7]
	v_mul_f64 v[70:71], v[30:31], 0.5
	v_fmac_f64_e32 v[70:71], v[54:55], v[68:69]
	v_fma_f64 v[30:31], v[38:39], v[70:71], -v[30:31]
	s_mov_b32 s27, 0xbfc55555
	s_mov_b32 s26, s8
	v_fmac_f64_e32 v[30:31], s[26:27], v[54:55]
	v_and_b32_e32 v53, 1, v51
	v_add_f64 v[28:29], v[28:29], -v[30:31]
	v_xor_b32_e32 v29, 0x80000000, v29
	v_cmp_eq_u32_e64 s[0:1], 0, v53
	s_brev_b32 s28, 1
	v_lshlrev_b32_e32 v30, 30, v51
	v_cndmask_b32_e64 v29, v29, v49, s[0:1]
	v_bitop3_b32 v29, v29, v30, s28 bitop3:0x78
	v_mul_f64 v[30:31], v[22:23], v[22:23]
	v_cndmask_b32_e64 v28, v28, v48, s[0:1]
	v_fma_f64 v[48:49], s[18:19], v[30:31], v[64:65]
	v_fma_f64 v[48:49], v[30:31], v[48:49], s[20:21]
	;; [unrolled: 1-line block ×3, first 2 shown]
	v_mul_f64 v[38:39], v[22:23], -v[30:31]
	v_fma_f64 v[48:49], v[30:31], v[48:49], s[6:7]
	v_mul_f64 v[54:55], v[24:25], 0.5
	v_fmac_f64_e32 v[54:55], v[38:39], v[48:49]
	v_fma_f64 v[48:49], v[30:31], v[54:55], -v[24:25]
	v_fma_f64 v[70:71], s[12:13], v[30:31], v[66:67]
	v_fmac_f64_e32 v[48:49], s[26:27], v[38:39]
	v_fma_f64 v[70:71], v[30:31], v[70:71], s[14:15]
	v_add_f64 v[38:39], v[22:23], -v[48:49]
	v_mul_f64 v[48:49], v[30:31], 0.5
	v_fma_f64 v[70:71], v[30:31], v[70:71], s[10:11]
	v_add_f64 v[54:55], -v[48:49], 1.0
	v_fma_f64 v[70:71], v[30:31], v[70:71], s[16:17]
	v_mul_f64 v[68:69], v[30:31], v[30:31]
	v_fma_f64 v[30:31], v[30:31], v[70:71], s[8:9]
	v_add_f64 v[70:71], -v[54:55], 1.0
	v_add_f64 v[48:49], v[70:71], -v[48:49]
	v_fma_f64 v[22:23], v[22:23], -v[24:25], v[48:49]
	v_and_b32_e32 v51, 1, v27
	v_fmac_f64_e32 v[22:23], v[68:69], v[30:31]
	v_add_f64 v[22:23], v[54:55], v[22:23]
	v_cmp_eq_u32_e64 s[2:3], 0, v51
	v_lshlrev_b32_e32 v24, 30, v27
	s_movk_i32 s23, 0x1f8
	v_cndmask_b32_e64 v23, v23, v39, s[2:3]
	v_xor_b32_e32 v24, v24, v3
	v_cmp_class_f64_e64 s[0:1], v[20:21], s23
	v_mov_b32_e32 v20, 0x7ff80000
	v_cndmask_b32_e64 v22, v22, v38, s[2:3]
	v_bitop3_b32 v23, v23, v24, s28 bitop3:0x78
	v_cmp_class_f64_e64 s[2:3], v[2:3], s23
	v_cndmask_b32_e64 v28, 0, v28, s[0:1]
	v_cndmask_b32_e64 v29, v20, v29, s[0:1]
	;; [unrolled: 1-line block ×4, first 2 shown]
	v_add_f64 v[22:23], v[2:3], v[2:3]
	v_mul_f64 v[2:3], v[22:23], v[2:3]
	v_fma_f64 v[22:23], v[18:19], v[28:29], -v[2:3]
	v_mul_f64 v[2:3], v[32:33], v[32:33]
	v_mul_f64 v[18:19], v[2:3], 0.5
	v_fmac_f64_e32 v[66:67], s[12:13], v[2:3]
	v_add_f64 v[24:25], -v[18:19], 1.0
	v_fma_f64 v[30:31], v[2:3], v[66:67], s[14:15]
	v_add_f64 v[28:29], -v[24:25], 1.0
	v_fma_f64 v[30:31], v[2:3], v[30:31], s[10:11]
	v_add_f64 v[18:19], v[28:29], -v[18:19]
	v_fma_f64 v[30:31], v[2:3], v[30:31], s[16:17]
	v_mul_f64 v[28:29], v[2:3], v[2:3]
	v_fma_f64 v[30:31], v[2:3], v[30:31], s[8:9]
	v_fma_f64 v[18:19], v[32:33], -v[34:35], v[18:19]
	v_fmac_f64_e32 v[18:19], v[28:29], v[30:31]
	v_fmac_f64_e32 v[64:65], s[18:19], v[2:3]
	v_add_f64 v[18:19], v[24:25], v[18:19]
	v_fma_f64 v[24:25], v[2:3], v[64:65], s[20:21]
	v_fma_f64 v[24:25], v[2:3], v[24:25], s[24:25]
	;; [unrolled: 1-line block ×3, first 2 shown]
	v_mul_f64 v[28:29], v[32:33], -v[2:3]
	v_mul_f64 v[30:31], v[34:35], 0.5
	v_fmac_f64_e32 v[30:31], v[28:29], v[24:25]
	v_fma_f64 v[2:3], v[2:3], v[30:31], -v[34:35]
	v_fmac_f64_e32 v[2:3], s[26:27], v[28:29]
	v_and_b32_e32 v24, 1, v52
	v_add_f64 v[2:3], v[32:33], -v[2:3]
	v_cmp_eq_u32_e64 s[2:3], 0, v24
	s_nop 1
	v_cndmask_b32_e64 v2, v18, v2, s[2:3]
	v_lshlrev_b32_e32 v18, 30, v52
	v_cndmask_b32_e64 v3, v19, v3, s[2:3]
	v_xor_b32_e32 v18, v18, v21
	v_bitop3_b32 v3, v3, v18, s28 bitop3:0x78
	v_cndmask_b32_e64 v2, 0, v2, s[0:1]
	v_cndmask_b32_e64 v3, v20, v3, s[0:1]
	v_mul_f64 v[24:25], v[36:37], v[2:3]
.LBB122_36:
	s_or_b64 exec, exec, s[4:5]
	v_add_u32_e32 v2, 0x200, v5
	v_cmp_lt_i32_e64 s[0:1], v2, v4
	v_mov_b64_e32 v[18:19], 0
	v_mov_b64_e32 v[20:21], 0
	s_and_saveexec_b64 s[4:5], s[0:1]
	s_cbranch_execz .LBB122_50
; %bb.37:
	s_mov_b32 s0, 0
	v_mul_f64 v[2:3], v[16:17], 0.5
	s_mov_b32 s1, 0x41d00000
	v_cmp_nlt_f64_e64 s[0:1], |v[2:3]|, s[0:1]
                                        ; implicit-def: $vgpr27
                                        ; implicit-def: $vgpr18_vgpr19
                                        ; implicit-def: $vgpr20_vgpr21
	s_and_saveexec_b64 s[2:3], s[0:1]
	s_xor_b64 s[6:7], exec, s[2:3]
	s_cbranch_execz .LBB122_39
; %bb.38:
	s_mov_b32 s0, 0
	s_mov_b32 s1, 0x7b000000
	s_movk_i32 s2, 0xff80
	v_and_b32_e32 v27, 0x7fffffff, v3
	v_ldexp_f64 v[28:29], |v[2:3]|, s2
	v_cmp_ge_f64_e64 s[0:1], |v[2:3]|, s[0:1]
	v_trig_preop_f64 v[18:19], |v[2:3]|, 0
	v_trig_preop_f64 v[20:21], |v[2:3]|, 1
	v_cndmask_b32_e64 v29, v27, v29, s[0:1]
	v_cndmask_b32_e64 v28, v2, v28, s[0:1]
	v_mul_f64 v[32:33], v[18:19], v[28:29]
	v_mul_f64 v[30:31], v[20:21], v[28:29]
	v_fma_f64 v[18:19], v[18:19], v[28:29], -v[32:33]
	v_add_f64 v[34:35], v[30:31], v[18:19]
	v_add_f64 v[52:53], v[34:35], -v[30:31]
	v_add_f64 v[18:19], v[18:19], -v[52:53]
	;; [unrolled: 1-line block ×4, first 2 shown]
	v_fma_f64 v[20:21], v[20:21], v[28:29], -v[30:31]
	v_trig_preop_f64 v[30:31], |v[2:3]|, 2
	v_add_f64 v[18:19], v[18:19], v[52:53]
	v_mul_f64 v[52:53], v[30:31], v[28:29]
	v_add_f64 v[54:55], v[52:53], v[20:21]
	v_add_f64 v[36:37], v[32:33], v[34:35]
	v_add_f64 v[64:65], v[54:55], v[18:19]
	v_ldexp_f64 v[38:39], v[36:37], -2
	v_add_f64 v[32:33], v[36:37], -v[32:33]
	v_add_f64 v[36:37], v[64:65], -v[54:55]
	;; [unrolled: 1-line block ×5, first 2 shown]
	v_add_f64 v[18:19], v[18:19], v[36:37]
	v_add_f64 v[36:37], v[54:55], -v[52:53]
	v_add_f64 v[20:21], v[20:21], -v[36:37]
	;; [unrolled: 1-line block ×4, first 2 shown]
	v_add_f64 v[20:21], v[20:21], v[36:37]
	s_mov_b32 s0, 0
	v_fract_f64_e32 v[48:49], v[38:39]
	v_add_f64 v[18:19], v[20:21], v[18:19]
	v_fma_f64 v[20:21], v[30:31], v[28:29], -v[52:53]
	s_mov_b32 s1, 0x7ff00000
	v_add_f64 v[32:33], v[34:35], -v[32:33]
	v_add_f64 v[18:19], v[20:21], v[18:19]
	v_ldexp_f64 v[20:21], v[48:49], 2
	v_cmp_neq_f64_e64 s[0:1], |v[38:39]|, s[0:1]
	v_add_f64 v[34:35], v[32:33], v[64:65]
	v_mov_b32_e32 v27, 0x40100000
	v_cndmask_b32_e64 v21, 0, v21, s[0:1]
	v_cndmask_b32_e64 v20, 0, v20, s[0:1]
	v_add_f64 v[28:29], v[34:35], v[20:21]
	v_cmp_gt_f64_e64 s[0:1], 0, v[28:29]
	v_mov_b32_e32 v28, 0
	v_add_f64 v[32:33], v[34:35], -v[32:33]
	v_cndmask_b32_e64 v29, 0, v27, s[0:1]
	v_add_f64 v[20:21], v[20:21], v[28:29]
	v_add_f64 v[30:31], v[34:35], v[20:21]
	v_cvt_i32_f64_e32 v27, v[30:31]
	v_cvt_f64_i32_e32 v[30:31], v27
	v_add_f64 v[20:21], v[20:21], -v[30:31]
	v_add_f64 v[30:31], v[34:35], v[20:21]
	v_add_f64 v[32:33], v[64:65], -v[32:33]
	v_add_f64 v[20:21], v[30:31], -v[20:21]
	v_add_f64 v[18:19], v[32:33], v[18:19]
	v_add_f64 v[20:21], v[34:35], -v[20:21]
	v_add_f64 v[18:19], v[18:19], v[20:21]
	v_cmp_le_f64_e64 s[0:1], 0.5, v[30:31]
	v_mov_b32_e32 v20, 0x3ff00000
	s_nop 0
	v_cndmask_b32_e64 v29, 0, v20, s[0:1]
	v_add_f64 v[20:21], v[30:31], -v[28:29]
	v_addc_co_u32_e64 v27, s[2:3], 0, v27, s[0:1]
	v_add_f64 v[28:29], v[20:21], v[18:19]
	s_mov_b32 s0, 0x54442d18
	v_add_f64 v[20:21], v[28:29], -v[20:21]
	s_mov_b32 s1, 0x3ff921fb
	v_add_f64 v[18:19], v[18:19], -v[20:21]
	v_mul_f64 v[20:21], v[28:29], s[0:1]
	s_mov_b32 s2, 0x33145c07
	v_fma_f64 v[30:31], v[28:29], s[0:1], -v[20:21]
	s_mov_b32 s3, 0x3c91a626
	v_fmac_f64_e32 v[30:31], s[2:3], v[28:29]
	v_fmac_f64_e32 v[30:31], s[0:1], v[18:19]
	v_add_f64 v[18:19], v[20:21], v[30:31]
	v_add_f64 v[20:21], v[18:19], -v[20:21]
	v_add_f64 v[20:21], v[30:31], -v[20:21]
.LBB122_39:
	s_andn2_saveexec_b64 s[0:1], s[6:7]
	s_cbranch_execz .LBB122_41
; %bb.40:
	s_mov_b32 s2, 0x6dc9c883
	s_mov_b32 s3, 0x3fe45f30
	v_mul_f64 v[18:19], |v[2:3]|, s[2:3]
	s_mov_b32 s2, 0x54442d18
	v_rndne_f64_e32 v[28:29], v[18:19]
	s_mov_b32 s3, 0xbff921fb
	v_fma_f64 v[18:19], v[28:29], s[2:3], |v[2:3]|
	s_mov_b32 s3, 0xbc91a626
	s_mov_b32 s2, 0x33145c00
	v_mul_f64 v[30:31], v[28:29], s[2:3]
	v_add_f64 v[34:35], v[18:19], v[30:31]
	v_fma_f64 v[20:21], s[2:3], v[28:29], v[18:19]
	s_mov_b32 s3, 0x3c91a626
	v_add_f64 v[18:19], v[18:19], -v[34:35]
	v_fma_f64 v[32:33], s[2:3], v[28:29], v[30:31]
	v_add_f64 v[18:19], v[18:19], v[30:31]
	v_add_f64 v[30:31], v[34:35], -v[20:21]
	v_add_f64 v[18:19], v[30:31], v[18:19]
	s_mov_b32 s2, 0x252049c0
	v_add_f64 v[30:31], v[18:19], -v[32:33]
	s_mov_b32 s3, 0xb97b839a
	v_fmac_f64_e32 v[30:31], s[2:3], v[28:29]
	v_add_f64 v[18:19], v[20:21], v[30:31]
	v_add_f64 v[20:21], v[18:19], -v[20:21]
	v_add_f64 v[20:21], v[30:31], -v[20:21]
	v_cvt_i32_f64_e32 v27, v[28:29]
.LBB122_41:
	s_or_b64 exec, exec, s[0:1]
	s_mov_b32 s0, 0
	s_mov_b32 s1, 0x41d00000
	v_cmp_nlt_f64_e64 s[6:7], |v[16:17]|, s[0:1]
	v_trig_preop_f64 v[48:49], |v[16:17]|, 0
	v_trig_preop_f64 v[38:39], |v[16:17]|, 1
	;; [unrolled: 1-line block ×3, first 2 shown]
                                        ; implicit-def: $vgpr51
                                        ; implicit-def: $vgpr28_vgpr29
                                        ; implicit-def: $vgpr30_vgpr31
	s_and_saveexec_b64 s[0:1], s[6:7]
	s_xor_b64 s[8:9], exec, s[0:1]
	s_cbranch_execz .LBB122_43
; %bb.42:
	s_mov_b32 s0, 0
	s_mov_b32 s1, 0x7b000000
	s_movk_i32 s2, 0xff80
	v_and_b32_e32 v30, 0x7fffffff, v17
	v_ldexp_f64 v[28:29], |v[16:17]|, s2
	v_cmp_ge_f64_e64 s[0:1], |v[16:17]|, s[0:1]
	s_nop 1
	v_cndmask_b32_e64 v29, v30, v29, s[0:1]
	v_cndmask_b32_e64 v28, v16, v28, s[0:1]
	v_mul_f64 v[32:33], v[48:49], v[28:29]
	v_mul_f64 v[30:31], v[38:39], v[28:29]
	v_fma_f64 v[34:35], v[48:49], v[28:29], -v[32:33]
	v_add_f64 v[52:53], v[30:31], v[34:35]
	v_add_f64 v[68:69], v[52:53], -v[30:31]
	v_add_f64 v[34:35], v[34:35], -v[68:69]
	;; [unrolled: 1-line block ×4, first 2 shown]
	v_add_f64 v[34:35], v[34:35], v[68:69]
	v_fma_f64 v[30:31], v[38:39], v[28:29], -v[30:31]
	v_mul_f64 v[68:69], v[36:37], v[28:29]
	v_add_f64 v[70:71], v[68:69], v[30:31]
	v_add_f64 v[54:55], v[32:33], v[52:53]
	;; [unrolled: 1-line block ×3, first 2 shown]
	v_ldexp_f64 v[64:65], v[54:55], -2
	v_add_f64 v[32:33], v[54:55], -v[32:33]
	v_add_f64 v[54:55], v[80:81], -v[70:71]
	;; [unrolled: 1-line block ×5, first 2 shown]
	v_add_f64 v[34:35], v[34:35], v[54:55]
	v_add_f64 v[54:55], v[70:71], -v[68:69]
	v_add_f64 v[30:31], v[30:31], -v[54:55]
	;; [unrolled: 1-line block ×5, first 2 shown]
	v_add_f64 v[30:31], v[30:31], v[54:55]
	s_mov_b32 s0, 0
	v_fract_f64_e32 v[66:67], v[64:65]
	v_add_f64 v[52:53], v[32:33], v[80:81]
	v_add_f64 v[30:31], v[30:31], v[34:35]
	v_fma_f64 v[28:29], v[36:37], v[28:29], -v[68:69]
	s_mov_b32 s1, 0x7ff00000
	v_add_f64 v[32:33], v[52:53], -v[32:33]
	v_add_f64 v[28:29], v[28:29], v[30:31]
	v_ldexp_f64 v[30:31], v[66:67], 2
	v_cmp_neq_f64_e64 s[0:1], |v[64:65]|, s[0:1]
	v_add_f64 v[32:33], v[80:81], -v[32:33]
	v_add_f64 v[28:29], v[32:33], v[28:29]
	v_cndmask_b32_e64 v31, 0, v31, s[0:1]
	v_cndmask_b32_e64 v30, 0, v30, s[0:1]
	v_add_f64 v[32:33], v[52:53], v[30:31]
	v_mov_b32_e32 v34, 0x40100000
	v_cmp_gt_f64_e64 s[0:1], 0, v[32:33]
	v_mov_b32_e32 v32, 0
	s_nop 0
	v_cndmask_b32_e64 v33, 0, v34, s[0:1]
	v_add_f64 v[30:31], v[30:31], v[32:33]
	v_add_f64 v[34:35], v[52:53], v[30:31]
	v_cvt_i32_f64_e32 v33, v[34:35]
	v_cvt_f64_i32_e32 v[34:35], v33
	v_add_f64 v[30:31], v[30:31], -v[34:35]
	v_add_f64 v[34:35], v[52:53], v[30:31]
	v_add_f64 v[30:31], v[34:35], -v[30:31]
	v_add_f64 v[30:31], v[52:53], -v[30:31]
	v_add_f64 v[28:29], v[28:29], v[30:31]
	v_cmp_le_f64_e64 s[0:1], 0.5, v[34:35]
	v_mov_b32_e32 v30, 0x3ff00000
	s_nop 0
	v_addc_co_u32_e64 v51, s[2:3], 0, v33, s[0:1]
	v_cndmask_b32_e64 v33, 0, v30, s[0:1]
	v_add_f64 v[30:31], v[34:35], -v[32:33]
	v_add_f64 v[32:33], v[30:31], v[28:29]
	s_mov_b32 s0, 0x54442d18
	v_add_f64 v[30:31], v[32:33], -v[30:31]
	s_mov_b32 s1, 0x3ff921fb
	v_add_f64 v[28:29], v[28:29], -v[30:31]
	v_mul_f64 v[30:31], v[32:33], s[0:1]
	s_mov_b32 s2, 0x33145c07
	v_fma_f64 v[34:35], v[32:33], s[0:1], -v[30:31]
	s_mov_b32 s3, 0x3c91a626
	v_fmac_f64_e32 v[34:35], s[2:3], v[32:33]
	v_fmac_f64_e32 v[34:35], s[0:1], v[28:29]
	v_add_f64 v[28:29], v[30:31], v[34:35]
	v_add_f64 v[30:31], v[28:29], -v[30:31]
	v_add_f64 v[30:31], v[34:35], -v[30:31]
	s_andn2_saveexec_b64 s[0:1], s[8:9]
	s_cbranch_execz .LBB122_45
	s_branch .LBB122_44
.LBB122_43:
	s_andn2_saveexec_b64 s[0:1], s[8:9]
	s_cbranch_execz .LBB122_45
.LBB122_44:
	s_mov_b32 s2, 0x6dc9c883
	s_mov_b32 s3, 0x3fe45f30
	v_mul_f64 v[28:29], |v[16:17]|, s[2:3]
	s_mov_b32 s2, 0x54442d18
	v_rndne_f64_e32 v[32:33], v[28:29]
	s_mov_b32 s3, 0xbff921fb
	v_fma_f64 v[28:29], v[32:33], s[2:3], |v[16:17]|
	s_mov_b32 s3, 0xbc91a626
	s_mov_b32 s2, 0x33145c00
	v_mul_f64 v[34:35], v[32:33], s[2:3]
	v_add_f64 v[54:55], v[28:29], v[34:35]
	v_fma_f64 v[30:31], s[2:3], v[32:33], v[28:29]
	s_mov_b32 s3, 0x3c91a626
	v_add_f64 v[28:29], v[28:29], -v[54:55]
	v_fma_f64 v[52:53], s[2:3], v[32:33], v[34:35]
	v_add_f64 v[28:29], v[28:29], v[34:35]
	v_add_f64 v[34:35], v[54:55], -v[30:31]
	v_add_f64 v[28:29], v[34:35], v[28:29]
	s_mov_b32 s2, 0x252049c0
	v_add_f64 v[34:35], v[28:29], -v[52:53]
	s_mov_b32 s3, 0xb97b839a
	v_fmac_f64_e32 v[34:35], s[2:3], v[32:33]
	v_add_f64 v[28:29], v[30:31], v[34:35]
	v_add_f64 v[30:31], v[28:29], -v[30:31]
	v_add_f64 v[30:31], v[34:35], -v[30:31]
	v_cvt_i32_f64_e32 v51, v[32:33]
.LBB122_45:
	s_or_b64 exec, exec, s[0:1]
                                        ; implicit-def: $vgpr52
                                        ; implicit-def: $vgpr32_vgpr33
                                        ; implicit-def: $vgpr34_vgpr35
	s_and_saveexec_b64 s[0:1], s[6:7]
	s_xor_b64 s[6:7], exec, s[0:1]
	s_cbranch_execz .LBB122_47
; %bb.46:
	s_mov_b32 s0, 0
	s_mov_b32 s1, 0x7b000000
	s_movk_i32 s2, 0xff80
	v_and_b32_e32 v34, 0x7fffffff, v17
	v_ldexp_f64 v[32:33], |v[16:17]|, s2
	v_cmp_ge_f64_e64 s[0:1], |v[16:17]|, s[0:1]
	s_nop 1
	v_cndmask_b32_e64 v33, v34, v33, s[0:1]
	v_cndmask_b32_e64 v32, v16, v32, s[0:1]
	v_mul_f64 v[52:53], v[48:49], v[32:33]
	v_mul_f64 v[34:35], v[38:39], v[32:33]
	v_fma_f64 v[48:49], v[48:49], v[32:33], -v[52:53]
	v_add_f64 v[54:55], v[34:35], v[48:49]
	v_add_f64 v[70:71], v[54:55], -v[34:35]
	v_add_f64 v[48:49], v[48:49], -v[70:71]
	;; [unrolled: 1-line block ×4, first 2 shown]
	v_fma_f64 v[34:35], v[38:39], v[32:33], -v[34:35]
	v_mul_f64 v[38:39], v[36:37], v[32:33]
	v_add_f64 v[48:49], v[48:49], v[70:71]
	v_add_f64 v[70:71], v[38:39], v[34:35]
	v_add_f64 v[64:65], v[52:53], v[54:55]
	v_add_f64 v[80:81], v[70:71], v[48:49]
	v_ldexp_f64 v[66:67], v[64:65], -2
	v_add_f64 v[52:53], v[64:65], -v[52:53]
	v_add_f64 v[64:65], v[80:81], -v[70:71]
	;; [unrolled: 1-line block ×5, first 2 shown]
	v_add_f64 v[48:49], v[48:49], v[64:65]
	v_add_f64 v[64:65], v[70:71], -v[38:39]
	v_add_f64 v[34:35], v[34:35], -v[64:65]
	;; [unrolled: 1-line block ×4, first 2 shown]
	v_add_f64 v[34:35], v[34:35], v[64:65]
	s_mov_b32 s0, 0
	v_fract_f64_e32 v[68:69], v[66:67]
	v_add_f64 v[34:35], v[34:35], v[48:49]
	v_fma_f64 v[32:33], v[36:37], v[32:33], -v[38:39]
	s_mov_b32 s1, 0x7ff00000
	v_add_f64 v[52:53], v[54:55], -v[52:53]
	v_add_f64 v[32:33], v[32:33], v[34:35]
	v_ldexp_f64 v[34:35], v[68:69], 2
	v_cmp_neq_f64_e64 s[0:1], |v[66:67]|, s[0:1]
	v_add_f64 v[54:55], v[52:53], v[80:81]
	v_mov_b32_e32 v38, 0x40100000
	v_cndmask_b32_e64 v35, 0, v35, s[0:1]
	v_cndmask_b32_e64 v34, 0, v34, s[0:1]
	v_add_f64 v[36:37], v[54:55], v[34:35]
	v_cmp_gt_f64_e64 s[0:1], 0, v[36:37]
	v_mov_b32_e32 v36, 0
	v_add_f64 v[52:53], v[54:55], -v[52:53]
	v_cndmask_b32_e64 v37, 0, v38, s[0:1]
	v_add_f64 v[34:35], v[34:35], v[36:37]
	v_add_f64 v[38:39], v[54:55], v[34:35]
	v_cvt_i32_f64_e32 v37, v[38:39]
	v_cvt_f64_i32_e32 v[38:39], v37
	v_add_f64 v[34:35], v[34:35], -v[38:39]
	v_add_f64 v[38:39], v[54:55], v[34:35]
	v_add_f64 v[52:53], v[80:81], -v[52:53]
	v_add_f64 v[34:35], v[38:39], -v[34:35]
	v_add_f64 v[32:33], v[52:53], v[32:33]
	v_add_f64 v[34:35], v[54:55], -v[34:35]
	v_add_f64 v[32:33], v[32:33], v[34:35]
	v_cmp_le_f64_e64 s[0:1], 0.5, v[38:39]
	v_mov_b32_e32 v34, 0x3ff00000
	s_nop 0
	v_addc_co_u32_e64 v52, s[2:3], 0, v37, s[0:1]
	v_cndmask_b32_e64 v37, 0, v34, s[0:1]
	v_add_f64 v[34:35], v[38:39], -v[36:37]
	v_add_f64 v[36:37], v[34:35], v[32:33]
	s_mov_b32 s0, 0x54442d18
	v_add_f64 v[34:35], v[36:37], -v[34:35]
	s_mov_b32 s1, 0x3ff921fb
	v_add_f64 v[32:33], v[32:33], -v[34:35]
	v_mul_f64 v[34:35], v[36:37], s[0:1]
	s_mov_b32 s2, 0x33145c07
	v_fma_f64 v[38:39], v[36:37], s[0:1], -v[34:35]
	s_mov_b32 s3, 0x3c91a626
	v_fmac_f64_e32 v[38:39], s[2:3], v[36:37]
	v_fmac_f64_e32 v[38:39], s[0:1], v[32:33]
	v_add_f64 v[32:33], v[34:35], v[38:39]
	v_add_f64 v[34:35], v[32:33], -v[34:35]
	v_add_f64 v[34:35], v[38:39], -v[34:35]
	s_andn2_saveexec_b64 s[0:1], s[6:7]
	s_cbranch_execnz .LBB122_48
	s_branch .LBB122_49
.LBB122_47:
	s_andn2_saveexec_b64 s[0:1], s[6:7]
	s_cbranch_execz .LBB122_49
.LBB122_48:
	s_mov_b32 s2, 0x6dc9c883
	s_mov_b32 s3, 0x3fe45f30
	v_mul_f64 v[32:33], |v[16:17]|, s[2:3]
	s_mov_b32 s2, 0x54442d18
	v_rndne_f64_e32 v[36:37], v[32:33]
	s_mov_b32 s3, 0xbff921fb
	v_fma_f64 v[32:33], v[36:37], s[2:3], |v[16:17]|
	s_mov_b32 s3, 0xbc91a626
	s_mov_b32 s2, 0x33145c00
	v_mul_f64 v[38:39], v[36:37], s[2:3]
	v_add_f64 v[52:53], v[32:33], v[38:39]
	v_fma_f64 v[34:35], s[2:3], v[36:37], v[32:33]
	s_mov_b32 s3, 0x3c91a626
	v_add_f64 v[32:33], v[32:33], -v[52:53]
	v_fma_f64 v[48:49], s[2:3], v[36:37], v[38:39]
	v_add_f64 v[32:33], v[32:33], v[38:39]
	v_add_f64 v[38:39], v[52:53], -v[34:35]
	v_add_f64 v[32:33], v[38:39], v[32:33]
	s_mov_b32 s2, 0x252049c0
	v_add_f64 v[38:39], v[32:33], -v[48:49]
	s_mov_b32 s3, 0xb97b839a
	v_fmac_f64_e32 v[38:39], s[2:3], v[36:37]
	v_add_f64 v[32:33], v[34:35], v[38:39]
	v_add_f64 v[34:35], v[32:33], -v[34:35]
	v_add_f64 v[34:35], v[38:39], -v[34:35]
	v_cvt_i32_f64_e32 v52, v[36:37]
.LBB122_49:
	s_or_b64 exec, exec, s[0:1]
	s_mov_b32 s0, 0x652b82fe
	s_mov_b32 s1, 0x3ff71547
	v_mul_f64 v[36:37], v[14:15], s[0:1]
	v_rndne_f64_e32 v[38:39], v[36:37]
	s_mov_b32 s13, 0xbfe62e42
	s_mov_b32 s12, 0xfefa39ef
	;; [unrolled: 1-line block ×3, first 2 shown]
	v_fma_f64 v[48:49], s[12:13], v[38:39], v[14:15]
	s_mov_b32 s1, 0xbc7abc9e
	v_fmac_f64_e32 v[48:49], s[0:1], v[38:39]
	s_mov_b32 s0, 0x6a5dcb37
	v_mov_b32_e32 v36, 0xfca7ab0c
	v_mov_b32_e32 v37, 0x3e928af3
	s_mov_b32 s1, 0x3e5ade15
	v_fmac_f64_e32 v[36:37], s[0:1], v[48:49]
	v_mov_b32_e32 v54, 0x623fde64
	v_mov_b32_e32 v55, 0x3ec71dee
	v_fmac_f64_e32 v[54:55], v[48:49], v[36:37]
	v_mov_b32_e32 v36, 0x7c89e6b0
	v_mov_b32_e32 v37, 0x3efa0199
	v_fmac_f64_e32 v[36:37], v[48:49], v[54:55]
	v_mov_b32_e32 v54, 0x14761f6e
	v_mov_b32_e32 v55, 0x3f2a01a0
	v_mov_b64_e32 v[64:65], v[54:55]
	v_mov_b32_e32 v66, 0x1852b7b0
	v_mov_b32_e32 v67, 0x3f56c16c
	v_fmac_f64_e32 v[64:65], v[48:49], v[36:37]
	v_mov_b64_e32 v[36:37], v[66:67]
	v_fmac_f64_e32 v[36:37], v[48:49], v[64:65]
	v_mov_b32_e32 v64, 0x11122322
	v_mov_b32_e32 v65, 0x3f811111
	v_mov_b64_e32 v[68:69], v[64:65]
	v_mov_b32_e32 v70, 0x555502a1
	v_mov_b32_e32 v71, 0x3fa55555
	v_fmac_f64_e32 v[68:69], v[48:49], v[36:37]
	v_mov_b64_e32 v[36:37], v[70:71]
	v_fmac_f64_e32 v[36:37], v[48:49], v[68:69]
	v_mov_b32_e32 v68, 0x55555511
	v_mov_b32_e32 v69, 0x3fc55555
	v_mov_b64_e32 v[80:81], v[68:69]
	v_fmac_f64_e32 v[80:81], v[48:49], v[36:37]
	v_mov_b32_e32 v36, 11
	v_mov_b32_e32 v37, 0x3fe00000
	v_fmac_f64_e32 v[36:37], v[48:49], v[80:81]
	v_fma_f64 v[36:37], v[48:49], v[36:37], 1.0
	s_mov_b32 s10, 0
	s_mov_b32 s2, 0
	v_fma_f64 v[36:37], v[48:49], v[36:37], 1.0
	v_cvt_i32_f64_e32 v53, v[38:39]
	s_mov_b32 s11, 0x40900000
	s_mov_b32 s3, 0xc090cc00
	v_ldexp_f64 v[36:37], v[36:37], v53
	v_mov_b32_e32 v84, 0x7ff00000
	v_cmp_nlt_f64_e64 s[0:1], s[10:11], v[14:15]
	v_cmp_ngt_f64_e64 s[2:3], s[2:3], v[14:15]
	v_ldexp_f64 v[80:81], 1.0, v53
	v_cndmask_b32_e64 v37, v84, v37, s[0:1]
	s_and_b64 s[0:1], s[2:3], s[0:1]
	v_cndmask_b32_e64 v37, 0, v37, s[2:3]
	v_cndmask_b32_e64 v36, 0, v36, s[0:1]
	v_mov_b32_e32 v53, 0x7fe00000
	v_cmp_eq_f64_e64 s[0:1], s[10:11], v[38:39]
	s_mov_b32 s2, 0xa9d67f34
	s_mov_b32 s3, 0x3e21f32e
	v_cndmask_b32_e64 v39, v81, v53, s[0:1]
	v_cndmask_b32_e64 v38, v80, 0, s[0:1]
	v_mov_b32_e32 v80, 0x2a1b768b
	v_mov_b32_e32 v81, 0x3e5af4eb
	v_fmac_f64_e32 v[80:81], s[2:3], v[48:49]
	v_mov_b32_e32 v82, 0xe0ac05b
	v_mov_b32_e32 v83, 0x3e927e50
	v_fmac_f64_e32 v[82:83], v[48:49], v[80:81]
	;; [unrolled: 3-line block ×4, first 2 shown]
	v_mov_b32_e32 v54, 0x1ac1a723
	v_fmac_f64_e32 v[54:55], v[48:49], v[82:83]
	v_mov_b32_e32 v66, 0x16c18931
	v_fmac_f64_e32 v[66:67], v[48:49], v[54:55]
	v_mov_b32_e32 v64, 0x11110056
	v_fmac_f64_e32 v[64:65], v[48:49], v[66:67]
	v_mov_b32_e32 v70, 0x55555552
	v_fmac_f64_e32 v[70:71], v[48:49], v[64:65]
	v_mov_b32_e32 v68, 0x55555557
	v_fmac_f64_e32 v[68:69], v[48:49], v[70:71]
	v_fma_f64 v[54:55], v[48:49], v[68:69], 0.5
	v_mul_f64 v[54:55], v[48:49], v[54:55]
	v_fmac_f64_e32 v[48:49], v[48:49], v[54:55]
	v_add_f64 v[54:55], v[38:39], -1.0
	v_fmac_f64_e32 v[54:55], v[38:39], v[48:49]
	s_mov_b32 s2, 0
	v_add_f64 v[38:39], v[54:55], v[54:55]
	s_mov_b32 s13, 0x40862e42
	s_mov_b32 s3, 0xc0428000
	v_cndmask_b32_e64 v38, v54, v38, s[0:1]
	v_cndmask_b32_e64 v39, v55, v39, s[0:1]
	v_cmp_nlt_f64_e64 s[0:1], s[12:13], v[14:15]
	v_cmp_ngt_f64_e64 s[2:3], s[2:3], v[14:15]
	v_mov_b32_e32 v48, 0xbff00000
	v_cndmask_b32_e64 v39, v84, v39, s[0:1]
	s_and_b64 s[0:1], s[2:3], s[0:1]
	v_cndmask_b32_e64 v14, 0, v38, s[0:1]
	s_mov_b32 s0, 0x9037ab78
	s_mov_b32 s1, 0x3e21eeb6
	;; [unrolled: 1-line block ×3, first 2 shown]
	v_cndmask_b32_e64 v15, v48, v39, s[2:3]
	v_mul_f64 v[38:39], v[28:29], v[28:29]
	s_mov_b32 s13, 0xbda907db
	v_mov_b64_e32 v[66:67], s[0:1]
	s_mov_b32 s14, 0xa17f65f6
	s_mov_b32 s10, 0x19f4ec90
	v_mul_f64 v[48:49], v[38:39], 0.5
	v_fma_f64 v[68:69], s[12:13], v[38:39], v[66:67]
	s_mov_b32 s15, 0xbe927e4f
	s_mov_b32 s11, 0x3efa01a0
	v_add_f64 v[54:55], -v[48:49], 1.0
	v_fma_f64 v[68:69], v[38:39], v[68:69], s[14:15]
	s_mov_b32 s16, 0x16c16967
	s_mov_b32 s8, 0x55555555
	v_fma_f64 v[68:69], v[38:39], v[68:69], s[10:11]
	s_mov_b32 s17, 0xbf56c16c
	v_add_f64 v[70:71], -v[54:55], 1.0
	s_mov_b32 s9, 0x3fa55555
	v_fma_f64 v[68:69], v[38:39], v[68:69], s[16:17]
	v_add_f64 v[48:49], v[70:71], -v[48:49]
	s_mov_b32 s0, 0xb42fdfa7
	v_mul_f64 v[64:65], v[38:39], v[38:39]
	v_fma_f64 v[68:69], v[38:39], v[68:69], s[8:9]
	v_fma_f64 v[48:49], v[28:29], -v[30:31], v[48:49]
	s_mov_b32 s1, 0xbe5ae600
	s_mov_b32 s18, 0xf9a43bb8
	v_fmac_f64_e32 v[48:49], v[64:65], v[68:69]
	s_mov_b32 s19, 0x3de5e0b2
	v_mov_b64_e32 v[64:65], s[0:1]
	s_mov_b32 s20, 0x796cde01
	v_fma_f64 v[68:69], s[18:19], v[38:39], v[64:65]
	s_mov_b32 s21, 0x3ec71de3
	s_mov_b32 s24, 0x19e83e5c
	s_mov_b32 s6, 0x11110bb3
	v_fma_f64 v[68:69], v[38:39], v[68:69], s[20:21]
	s_mov_b32 s25, 0xbf2a01a0
	s_mov_b32 s7, 0x3f811111
	v_fma_f64 v[68:69], v[38:39], v[68:69], s[24:25]
	v_add_f64 v[48:49], v[54:55], v[48:49]
	v_mul_f64 v[54:55], v[28:29], -v[38:39]
	v_fma_f64 v[68:69], v[38:39], v[68:69], s[6:7]
	v_mul_f64 v[70:71], v[30:31], 0.5
	v_fmac_f64_e32 v[70:71], v[54:55], v[68:69]
	v_fma_f64 v[30:31], v[38:39], v[70:71], -v[30:31]
	s_mov_b32 s27, 0xbfc55555
	s_mov_b32 s26, s8
	v_fmac_f64_e32 v[30:31], s[26:27], v[54:55]
	v_and_b32_e32 v53, 1, v51
	v_add_f64 v[28:29], v[28:29], -v[30:31]
	v_xor_b32_e32 v29, 0x80000000, v29
	v_cmp_eq_u32_e64 s[0:1], 0, v53
	s_brev_b32 s28, 1
	v_lshlrev_b32_e32 v30, 30, v51
	v_cndmask_b32_e64 v29, v29, v49, s[0:1]
	v_bitop3_b32 v29, v29, v30, s28 bitop3:0x78
	v_mul_f64 v[30:31], v[18:19], v[18:19]
	v_cndmask_b32_e64 v28, v28, v48, s[0:1]
	v_fma_f64 v[48:49], s[18:19], v[30:31], v[64:65]
	v_fma_f64 v[48:49], v[30:31], v[48:49], s[20:21]
	;; [unrolled: 1-line block ×3, first 2 shown]
	v_mul_f64 v[38:39], v[18:19], -v[30:31]
	v_fma_f64 v[48:49], v[30:31], v[48:49], s[6:7]
	v_mul_f64 v[54:55], v[20:21], 0.5
	v_fmac_f64_e32 v[54:55], v[38:39], v[48:49]
	v_fma_f64 v[48:49], v[30:31], v[54:55], -v[20:21]
	v_fma_f64 v[70:71], s[12:13], v[30:31], v[66:67]
	v_fmac_f64_e32 v[48:49], s[26:27], v[38:39]
	v_fma_f64 v[70:71], v[30:31], v[70:71], s[14:15]
	v_add_f64 v[38:39], v[18:19], -v[48:49]
	v_mul_f64 v[48:49], v[30:31], 0.5
	v_fma_f64 v[70:71], v[30:31], v[70:71], s[10:11]
	v_add_f64 v[54:55], -v[48:49], 1.0
	v_fma_f64 v[70:71], v[30:31], v[70:71], s[16:17]
	v_mul_f64 v[68:69], v[30:31], v[30:31]
	v_fma_f64 v[30:31], v[30:31], v[70:71], s[8:9]
	v_add_f64 v[70:71], -v[54:55], 1.0
	v_add_f64 v[48:49], v[70:71], -v[48:49]
	v_fma_f64 v[18:19], v[18:19], -v[20:21], v[48:49]
	v_and_b32_e32 v51, 1, v27
	v_fmac_f64_e32 v[18:19], v[68:69], v[30:31]
	v_add_f64 v[18:19], v[54:55], v[18:19]
	v_cmp_eq_u32_e64 s[2:3], 0, v51
	v_lshlrev_b32_e32 v20, 30, v27
	s_movk_i32 s23, 0x1f8
	v_cndmask_b32_e64 v19, v19, v39, s[2:3]
	v_xor_b32_e32 v20, v20, v3
	v_cmp_class_f64_e64 s[0:1], v[16:17], s23
	v_mov_b32_e32 v16, 0x7ff80000
	v_cndmask_b32_e64 v18, v18, v38, s[2:3]
	v_bitop3_b32 v19, v19, v20, s28 bitop3:0x78
	v_cmp_class_f64_e64 s[2:3], v[2:3], s23
	v_cndmask_b32_e64 v28, 0, v28, s[0:1]
	v_cndmask_b32_e64 v29, v16, v29, s[0:1]
	;; [unrolled: 1-line block ×4, first 2 shown]
	v_add_f64 v[18:19], v[2:3], v[2:3]
	v_mul_f64 v[2:3], v[18:19], v[2:3]
	v_fma_f64 v[18:19], v[14:15], v[28:29], -v[2:3]
	v_mul_f64 v[2:3], v[32:33], v[32:33]
	v_mul_f64 v[14:15], v[2:3], 0.5
	v_fmac_f64_e32 v[66:67], s[12:13], v[2:3]
	v_add_f64 v[20:21], -v[14:15], 1.0
	v_fma_f64 v[30:31], v[2:3], v[66:67], s[14:15]
	v_add_f64 v[28:29], -v[20:21], 1.0
	v_fma_f64 v[30:31], v[2:3], v[30:31], s[10:11]
	v_add_f64 v[14:15], v[28:29], -v[14:15]
	v_fma_f64 v[30:31], v[2:3], v[30:31], s[16:17]
	v_mul_f64 v[28:29], v[2:3], v[2:3]
	v_fma_f64 v[30:31], v[2:3], v[30:31], s[8:9]
	v_fma_f64 v[14:15], v[32:33], -v[34:35], v[14:15]
	v_fmac_f64_e32 v[14:15], v[28:29], v[30:31]
	v_fmac_f64_e32 v[64:65], s[18:19], v[2:3]
	v_add_f64 v[14:15], v[20:21], v[14:15]
	v_fma_f64 v[20:21], v[2:3], v[64:65], s[20:21]
	v_fma_f64 v[20:21], v[2:3], v[20:21], s[24:25]
	;; [unrolled: 1-line block ×3, first 2 shown]
	v_mul_f64 v[28:29], v[32:33], -v[2:3]
	v_mul_f64 v[30:31], v[34:35], 0.5
	v_fmac_f64_e32 v[30:31], v[28:29], v[20:21]
	v_fma_f64 v[2:3], v[2:3], v[30:31], -v[34:35]
	v_fmac_f64_e32 v[2:3], s[26:27], v[28:29]
	v_and_b32_e32 v20, 1, v52
	v_add_f64 v[2:3], v[32:33], -v[2:3]
	v_cmp_eq_u32_e64 s[2:3], 0, v20
	s_nop 1
	v_cndmask_b32_e64 v2, v14, v2, s[2:3]
	v_lshlrev_b32_e32 v14, 30, v52
	v_cndmask_b32_e64 v3, v15, v3, s[2:3]
	v_xor_b32_e32 v14, v14, v17
	v_bitop3_b32 v3, v3, v14, s28 bitop3:0x78
	v_cndmask_b32_e64 v2, 0, v2, s[0:1]
	v_cndmask_b32_e64 v3, v16, v3, s[0:1]
	v_mul_f64 v[20:21], v[36:37], v[2:3]
.LBB122_50:
	s_or_b64 exec, exec, s[4:5]
	v_add_u32_e32 v2, 0x300, v5
	v_cmp_lt_i32_e64 s[0:1], v2, v4
	v_mov_b64_e32 v[14:15], 0
	v_mov_b64_e32 v[16:17], 0
	s_and_saveexec_b64 s[4:5], s[0:1]
	s_cbranch_execz .LBB122_57
; %bb.51:
	s_mov_b32 s0, 0
	v_mul_f64 v[2:3], v[8:9], 0.5
	s_mov_b32 s1, 0x41d00000
	v_cmp_nlt_f64_e64 s[0:1], |v[2:3]|, s[0:1]
                                        ; implicit-def: $vgpr27
                                        ; implicit-def: $vgpr14_vgpr15
                                        ; implicit-def: $vgpr16_vgpr17
	s_and_saveexec_b64 s[2:3], s[0:1]
	s_xor_b64 s[6:7], exec, s[2:3]
	s_cbranch_execz .LBB122_53
; %bb.52:
	s_mov_b32 s0, 0
	s_mov_b32 s1, 0x7b000000
	s_movk_i32 s2, 0xff80
	v_and_b32_e32 v27, 0x7fffffff, v3
	v_ldexp_f64 v[28:29], |v[2:3]|, s2
	v_cmp_ge_f64_e64 s[0:1], |v[2:3]|, s[0:1]
	v_trig_preop_f64 v[14:15], |v[2:3]|, 0
	v_trig_preop_f64 v[16:17], |v[2:3]|, 1
	v_cndmask_b32_e64 v29, v27, v29, s[0:1]
	v_cndmask_b32_e64 v28, v2, v28, s[0:1]
	v_mul_f64 v[32:33], v[14:15], v[28:29]
	v_mul_f64 v[30:31], v[16:17], v[28:29]
	v_fma_f64 v[14:15], v[14:15], v[28:29], -v[32:33]
	v_add_f64 v[34:35], v[30:31], v[14:15]
	v_add_f64 v[52:53], v[34:35], -v[30:31]
	v_add_f64 v[14:15], v[14:15], -v[52:53]
	;; [unrolled: 1-line block ×4, first 2 shown]
	v_fma_f64 v[16:17], v[16:17], v[28:29], -v[30:31]
	v_trig_preop_f64 v[30:31], |v[2:3]|, 2
	v_add_f64 v[14:15], v[14:15], v[52:53]
	v_mul_f64 v[52:53], v[30:31], v[28:29]
	v_add_f64 v[54:55], v[52:53], v[16:17]
	v_add_f64 v[36:37], v[32:33], v[34:35]
	;; [unrolled: 1-line block ×3, first 2 shown]
	v_ldexp_f64 v[38:39], v[36:37], -2
	v_add_f64 v[32:33], v[36:37], -v[32:33]
	v_add_f64 v[36:37], v[64:65], -v[54:55]
	;; [unrolled: 1-line block ×5, first 2 shown]
	v_add_f64 v[14:15], v[14:15], v[36:37]
	v_add_f64 v[36:37], v[54:55], -v[52:53]
	v_add_f64 v[16:17], v[16:17], -v[36:37]
	v_add_f64 v[36:37], v[54:55], -v[36:37]
	v_add_f64 v[36:37], v[52:53], -v[36:37]
	v_add_f64 v[16:17], v[16:17], v[36:37]
	s_mov_b32 s0, 0
	v_fract_f64_e32 v[48:49], v[38:39]
	v_add_f64 v[14:15], v[16:17], v[14:15]
	v_fma_f64 v[16:17], v[30:31], v[28:29], -v[52:53]
	s_mov_b32 s1, 0x7ff00000
	v_add_f64 v[32:33], v[34:35], -v[32:33]
	v_add_f64 v[14:15], v[16:17], v[14:15]
	v_ldexp_f64 v[16:17], v[48:49], 2
	v_cmp_neq_f64_e64 s[0:1], |v[38:39]|, s[0:1]
	v_add_f64 v[34:35], v[32:33], v[64:65]
	v_mov_b32_e32 v27, 0x40100000
	v_cndmask_b32_e64 v17, 0, v17, s[0:1]
	v_cndmask_b32_e64 v16, 0, v16, s[0:1]
	v_add_f64 v[28:29], v[34:35], v[16:17]
	v_cmp_gt_f64_e64 s[0:1], 0, v[28:29]
	v_mov_b32_e32 v28, 0
	v_add_f64 v[32:33], v[34:35], -v[32:33]
	v_cndmask_b32_e64 v29, 0, v27, s[0:1]
	v_add_f64 v[16:17], v[16:17], v[28:29]
	v_add_f64 v[30:31], v[34:35], v[16:17]
	v_cvt_i32_f64_e32 v27, v[30:31]
	v_cvt_f64_i32_e32 v[30:31], v27
	v_add_f64 v[16:17], v[16:17], -v[30:31]
	v_add_f64 v[30:31], v[34:35], v[16:17]
	v_add_f64 v[32:33], v[64:65], -v[32:33]
	v_add_f64 v[16:17], v[30:31], -v[16:17]
	v_add_f64 v[14:15], v[32:33], v[14:15]
	v_add_f64 v[16:17], v[34:35], -v[16:17]
	v_add_f64 v[14:15], v[14:15], v[16:17]
	v_cmp_le_f64_e64 s[0:1], 0.5, v[30:31]
	v_mov_b32_e32 v16, 0x3ff00000
	s_nop 0
	v_cndmask_b32_e64 v29, 0, v16, s[0:1]
	v_add_f64 v[16:17], v[30:31], -v[28:29]
	v_addc_co_u32_e64 v27, s[2:3], 0, v27, s[0:1]
	v_add_f64 v[28:29], v[16:17], v[14:15]
	s_mov_b32 s0, 0x54442d18
	v_add_f64 v[16:17], v[28:29], -v[16:17]
	s_mov_b32 s1, 0x3ff921fb
	v_add_f64 v[14:15], v[14:15], -v[16:17]
	v_mul_f64 v[16:17], v[28:29], s[0:1]
	s_mov_b32 s2, 0x33145c07
	v_fma_f64 v[30:31], v[28:29], s[0:1], -v[16:17]
	s_mov_b32 s3, 0x3c91a626
	v_fmac_f64_e32 v[30:31], s[2:3], v[28:29]
	v_fmac_f64_e32 v[30:31], s[0:1], v[14:15]
	v_add_f64 v[14:15], v[16:17], v[30:31]
	v_add_f64 v[16:17], v[14:15], -v[16:17]
	v_add_f64 v[16:17], v[30:31], -v[16:17]
.LBB122_53:
	s_andn2_saveexec_b64 s[0:1], s[6:7]
	s_cbranch_execz .LBB122_55
; %bb.54:
	s_mov_b32 s2, 0x6dc9c883
	s_mov_b32 s3, 0x3fe45f30
	v_mul_f64 v[14:15], |v[2:3]|, s[2:3]
	s_mov_b32 s2, 0x54442d18
	v_rndne_f64_e32 v[28:29], v[14:15]
	s_mov_b32 s3, 0xbff921fb
	v_fma_f64 v[14:15], v[28:29], s[2:3], |v[2:3]|
	s_mov_b32 s3, 0xbc91a626
	s_mov_b32 s2, 0x33145c00
	v_mul_f64 v[30:31], v[28:29], s[2:3]
	v_add_f64 v[34:35], v[14:15], v[30:31]
	v_fma_f64 v[16:17], s[2:3], v[28:29], v[14:15]
	s_mov_b32 s3, 0x3c91a626
	v_add_f64 v[14:15], v[14:15], -v[34:35]
	v_fma_f64 v[32:33], s[2:3], v[28:29], v[30:31]
	v_add_f64 v[14:15], v[14:15], v[30:31]
	v_add_f64 v[30:31], v[34:35], -v[16:17]
	v_add_f64 v[14:15], v[30:31], v[14:15]
	s_mov_b32 s2, 0x252049c0
	v_add_f64 v[30:31], v[14:15], -v[32:33]
	s_mov_b32 s3, 0xb97b839a
	v_fmac_f64_e32 v[30:31], s[2:3], v[28:29]
	v_add_f64 v[14:15], v[16:17], v[30:31]
	v_add_f64 v[16:17], v[14:15], -v[16:17]
	v_add_f64 v[16:17], v[30:31], -v[16:17]
	v_cvt_i32_f64_e32 v27, v[28:29]
.LBB122_55:
	s_or_b64 exec, exec, s[0:1]
	s_mov_b32 s0, 0
	s_mov_b32 s1, 0x41d00000
	v_cmp_nlt_f64_e64 s[6:7], |v[8:9]|, s[0:1]
	v_trig_preop_f64 v[48:49], |v[8:9]|, 0
	v_trig_preop_f64 v[38:39], |v[8:9]|, 1
	;; [unrolled: 1-line block ×3, first 2 shown]
                                        ; implicit-def: $vgpr51
                                        ; implicit-def: $vgpr28_vgpr29
                                        ; implicit-def: $vgpr30_vgpr31
	s_and_saveexec_b64 s[0:1], s[6:7]
	s_xor_b64 s[8:9], exec, s[0:1]
	s_cbranch_execz .LBB122_62
; %bb.56:
	s_mov_b32 s0, 0
	s_mov_b32 s1, 0x7b000000
	s_movk_i32 s2, 0xff80
	v_and_b32_e32 v30, 0x7fffffff, v9
	v_ldexp_f64 v[28:29], |v[8:9]|, s2
	v_cmp_ge_f64_e64 s[0:1], |v[8:9]|, s[0:1]
	s_nop 1
	v_cndmask_b32_e64 v29, v30, v29, s[0:1]
	v_cndmask_b32_e64 v28, v8, v28, s[0:1]
	v_mul_f64 v[32:33], v[48:49], v[28:29]
	v_mul_f64 v[30:31], v[38:39], v[28:29]
	v_fma_f64 v[34:35], v[48:49], v[28:29], -v[32:33]
	v_add_f64 v[52:53], v[30:31], v[34:35]
	v_add_f64 v[68:69], v[52:53], -v[30:31]
	v_add_f64 v[34:35], v[34:35], -v[68:69]
	;; [unrolled: 1-line block ×4, first 2 shown]
	v_add_f64 v[34:35], v[34:35], v[68:69]
	v_fma_f64 v[30:31], v[38:39], v[28:29], -v[30:31]
	v_mul_f64 v[68:69], v[36:37], v[28:29]
	v_add_f64 v[70:71], v[68:69], v[30:31]
	v_add_f64 v[54:55], v[32:33], v[52:53]
	;; [unrolled: 1-line block ×3, first 2 shown]
	v_ldexp_f64 v[64:65], v[54:55], -2
	v_add_f64 v[32:33], v[54:55], -v[32:33]
	v_add_f64 v[54:55], v[80:81], -v[70:71]
	;; [unrolled: 1-line block ×5, first 2 shown]
	v_add_f64 v[34:35], v[34:35], v[54:55]
	v_add_f64 v[54:55], v[70:71], -v[68:69]
	v_add_f64 v[30:31], v[30:31], -v[54:55]
	;; [unrolled: 1-line block ×5, first 2 shown]
	v_add_f64 v[30:31], v[30:31], v[54:55]
	s_mov_b32 s0, 0
	v_fract_f64_e32 v[66:67], v[64:65]
	v_add_f64 v[52:53], v[32:33], v[80:81]
	v_add_f64 v[30:31], v[30:31], v[34:35]
	v_fma_f64 v[28:29], v[36:37], v[28:29], -v[68:69]
	s_mov_b32 s1, 0x7ff00000
	v_add_f64 v[32:33], v[52:53], -v[32:33]
	v_add_f64 v[28:29], v[28:29], v[30:31]
	v_ldexp_f64 v[30:31], v[66:67], 2
	v_cmp_neq_f64_e64 s[0:1], |v[64:65]|, s[0:1]
	v_add_f64 v[32:33], v[80:81], -v[32:33]
	v_add_f64 v[28:29], v[32:33], v[28:29]
	v_cndmask_b32_e64 v31, 0, v31, s[0:1]
	v_cndmask_b32_e64 v30, 0, v30, s[0:1]
	v_add_f64 v[32:33], v[52:53], v[30:31]
	v_mov_b32_e32 v34, 0x40100000
	v_cmp_gt_f64_e64 s[0:1], 0, v[32:33]
	v_mov_b32_e32 v32, 0
	s_nop 0
	v_cndmask_b32_e64 v33, 0, v34, s[0:1]
	v_add_f64 v[30:31], v[30:31], v[32:33]
	v_add_f64 v[34:35], v[52:53], v[30:31]
	v_cvt_i32_f64_e32 v33, v[34:35]
	v_cvt_f64_i32_e32 v[34:35], v33
	v_add_f64 v[30:31], v[30:31], -v[34:35]
	v_add_f64 v[34:35], v[52:53], v[30:31]
	v_add_f64 v[30:31], v[34:35], -v[30:31]
	v_add_f64 v[30:31], v[52:53], -v[30:31]
	v_add_f64 v[28:29], v[28:29], v[30:31]
	v_cmp_le_f64_e64 s[0:1], 0.5, v[34:35]
	v_mov_b32_e32 v30, 0x3ff00000
	s_nop 0
	v_addc_co_u32_e64 v51, s[2:3], 0, v33, s[0:1]
	v_cndmask_b32_e64 v33, 0, v30, s[0:1]
	v_add_f64 v[30:31], v[34:35], -v[32:33]
	v_add_f64 v[32:33], v[30:31], v[28:29]
	s_mov_b32 s0, 0x54442d18
	v_add_f64 v[30:31], v[32:33], -v[30:31]
	s_mov_b32 s1, 0x3ff921fb
	v_add_f64 v[28:29], v[28:29], -v[30:31]
	v_mul_f64 v[30:31], v[32:33], s[0:1]
	s_mov_b32 s2, 0x33145c07
	v_fma_f64 v[34:35], v[32:33], s[0:1], -v[30:31]
	s_mov_b32 s3, 0x3c91a626
	v_fmac_f64_e32 v[34:35], s[2:3], v[32:33]
	v_fmac_f64_e32 v[34:35], s[0:1], v[28:29]
	v_add_f64 v[28:29], v[30:31], v[34:35]
	v_add_f64 v[30:31], v[28:29], -v[30:31]
	v_add_f64 v[30:31], v[34:35], -v[30:31]
	s_andn2_saveexec_b64 s[0:1], s[8:9]
	s_cbranch_execz .LBB122_64
	s_branch .LBB122_63
.LBB122_57:
	s_or_b64 exec, exec, s[4:5]
	s_and_saveexec_b64 s[0:1], vcc
	s_xor_b64 s[0:1], exec, s[0:1]
	s_cbranch_execz .LBB122_69
.LBB122_58:
	v_mov_b32_e32 v27, 0
	v_lshl_add_u64 v[2:3], v[26:27], 4, v[0:1]
	v_mov_b32_e32 v5, v50
	flat_store_dwordx4 v[2:3], v[10:13]
	s_or_b64 exec, exec, s[0:1]
	v_cmp_lt_i32_e32 vcc, v5, v4
	s_and_saveexec_b64 s[0:1], vcc
	s_cbranch_execnz .LBB122_70
.LBB122_59:
	s_or_b64 exec, exec, s[0:1]
	v_cmp_lt_i32_e32 vcc, v5, v4
	s_and_saveexec_b64 s[0:1], vcc
	s_cbranch_execz .LBB122_71
.LBB122_60:
	v_add_u32_e32 v2, s22, v5
	v_mov_b32_e32 v3, 0
	v_lshl_add_u64 v[2:3], v[2:3], 4, v[0:1]
	v_add_u32_e32 v5, 0x100, v5
	flat_store_dwordx4 v[2:3], v[18:21]
	s_or_b64 exec, exec, s[0:1]
	v_cmp_lt_i32_e32 vcc, v5, v4
	s_and_saveexec_b64 s[0:1], vcc
	s_cbranch_execnz .LBB122_72
.LBB122_61:
	s_or_b64 exec, exec, s[0:1]
	s_waitcnt vmcnt(0) lgkmcnt(0)
	s_setpc_b64 s[30:31]
.LBB122_62:
	s_andn2_saveexec_b64 s[0:1], s[8:9]
	s_cbranch_execz .LBB122_64
.LBB122_63:
	s_mov_b32 s2, 0x6dc9c883
	s_mov_b32 s3, 0x3fe45f30
	v_mul_f64 v[28:29], |v[8:9]|, s[2:3]
	s_mov_b32 s2, 0x54442d18
	v_rndne_f64_e32 v[32:33], v[28:29]
	s_mov_b32 s3, 0xbff921fb
	v_fma_f64 v[28:29], v[32:33], s[2:3], |v[8:9]|
	s_mov_b32 s3, 0xbc91a626
	s_mov_b32 s2, 0x33145c00
	v_mul_f64 v[34:35], v[32:33], s[2:3]
	v_add_f64 v[54:55], v[28:29], v[34:35]
	v_fma_f64 v[30:31], s[2:3], v[32:33], v[28:29]
	s_mov_b32 s3, 0x3c91a626
	v_add_f64 v[28:29], v[28:29], -v[54:55]
	v_fma_f64 v[52:53], s[2:3], v[32:33], v[34:35]
	v_add_f64 v[28:29], v[28:29], v[34:35]
	v_add_f64 v[34:35], v[54:55], -v[30:31]
	v_add_f64 v[28:29], v[34:35], v[28:29]
	s_mov_b32 s2, 0x252049c0
	v_add_f64 v[34:35], v[28:29], -v[52:53]
	s_mov_b32 s3, 0xb97b839a
	v_fmac_f64_e32 v[34:35], s[2:3], v[32:33]
	v_add_f64 v[28:29], v[30:31], v[34:35]
	v_add_f64 v[30:31], v[28:29], -v[30:31]
	v_add_f64 v[30:31], v[34:35], -v[30:31]
	v_cvt_i32_f64_e32 v51, v[32:33]
.LBB122_64:
	s_or_b64 exec, exec, s[0:1]
                                        ; implicit-def: $vgpr52
                                        ; implicit-def: $vgpr32_vgpr33
                                        ; implicit-def: $vgpr34_vgpr35
	s_and_saveexec_b64 s[0:1], s[6:7]
	s_xor_b64 s[6:7], exec, s[0:1]
	s_cbranch_execz .LBB122_66
; %bb.65:
	s_mov_b32 s0, 0
	s_mov_b32 s1, 0x7b000000
	s_movk_i32 s2, 0xff80
	v_and_b32_e32 v34, 0x7fffffff, v9
	v_ldexp_f64 v[32:33], |v[8:9]|, s2
	v_cmp_ge_f64_e64 s[0:1], |v[8:9]|, s[0:1]
	s_nop 1
	v_cndmask_b32_e64 v33, v34, v33, s[0:1]
	v_cndmask_b32_e64 v32, v8, v32, s[0:1]
	v_mul_f64 v[52:53], v[48:49], v[32:33]
	v_mul_f64 v[34:35], v[38:39], v[32:33]
	v_fma_f64 v[48:49], v[48:49], v[32:33], -v[52:53]
	v_add_f64 v[54:55], v[34:35], v[48:49]
	v_add_f64 v[70:71], v[54:55], -v[34:35]
	v_add_f64 v[48:49], v[48:49], -v[70:71]
	;; [unrolled: 1-line block ×4, first 2 shown]
	v_fma_f64 v[34:35], v[38:39], v[32:33], -v[34:35]
	v_mul_f64 v[38:39], v[36:37], v[32:33]
	v_add_f64 v[48:49], v[48:49], v[70:71]
	v_add_f64 v[70:71], v[38:39], v[34:35]
	;; [unrolled: 1-line block ×4, first 2 shown]
	v_ldexp_f64 v[66:67], v[64:65], -2
	v_add_f64 v[52:53], v[64:65], -v[52:53]
	v_add_f64 v[64:65], v[80:81], -v[70:71]
	;; [unrolled: 1-line block ×5, first 2 shown]
	v_add_f64 v[48:49], v[48:49], v[64:65]
	v_add_f64 v[64:65], v[70:71], -v[38:39]
	v_add_f64 v[34:35], v[34:35], -v[64:65]
	;; [unrolled: 1-line block ×4, first 2 shown]
	v_add_f64 v[34:35], v[34:35], v[64:65]
	s_mov_b32 s0, 0
	v_fract_f64_e32 v[68:69], v[66:67]
	v_add_f64 v[34:35], v[34:35], v[48:49]
	v_fma_f64 v[32:33], v[36:37], v[32:33], -v[38:39]
	s_mov_b32 s1, 0x7ff00000
	v_add_f64 v[52:53], v[54:55], -v[52:53]
	v_add_f64 v[32:33], v[32:33], v[34:35]
	v_ldexp_f64 v[34:35], v[68:69], 2
	v_cmp_neq_f64_e64 s[0:1], |v[66:67]|, s[0:1]
	v_add_f64 v[54:55], v[52:53], v[80:81]
	v_mov_b32_e32 v38, 0x40100000
	v_cndmask_b32_e64 v35, 0, v35, s[0:1]
	v_cndmask_b32_e64 v34, 0, v34, s[0:1]
	v_add_f64 v[36:37], v[54:55], v[34:35]
	v_cmp_gt_f64_e64 s[0:1], 0, v[36:37]
	v_mov_b32_e32 v36, 0
	v_add_f64 v[52:53], v[54:55], -v[52:53]
	v_cndmask_b32_e64 v37, 0, v38, s[0:1]
	v_add_f64 v[34:35], v[34:35], v[36:37]
	v_add_f64 v[38:39], v[54:55], v[34:35]
	v_cvt_i32_f64_e32 v37, v[38:39]
	v_cvt_f64_i32_e32 v[38:39], v37
	v_add_f64 v[34:35], v[34:35], -v[38:39]
	v_add_f64 v[38:39], v[54:55], v[34:35]
	v_add_f64 v[52:53], v[80:81], -v[52:53]
	v_add_f64 v[34:35], v[38:39], -v[34:35]
	v_add_f64 v[32:33], v[52:53], v[32:33]
	v_add_f64 v[34:35], v[54:55], -v[34:35]
	v_add_f64 v[32:33], v[32:33], v[34:35]
	v_cmp_le_f64_e64 s[0:1], 0.5, v[38:39]
	v_mov_b32_e32 v34, 0x3ff00000
	s_nop 0
	v_addc_co_u32_e64 v52, s[2:3], 0, v37, s[0:1]
	v_cndmask_b32_e64 v37, 0, v34, s[0:1]
	v_add_f64 v[34:35], v[38:39], -v[36:37]
	v_add_f64 v[36:37], v[34:35], v[32:33]
	s_mov_b32 s0, 0x54442d18
	v_add_f64 v[34:35], v[36:37], -v[34:35]
	s_mov_b32 s1, 0x3ff921fb
	v_add_f64 v[32:33], v[32:33], -v[34:35]
	v_mul_f64 v[34:35], v[36:37], s[0:1]
	s_mov_b32 s2, 0x33145c07
	v_fma_f64 v[38:39], v[36:37], s[0:1], -v[34:35]
	s_mov_b32 s3, 0x3c91a626
	v_fmac_f64_e32 v[38:39], s[2:3], v[36:37]
	v_fmac_f64_e32 v[38:39], s[0:1], v[32:33]
	v_add_f64 v[32:33], v[34:35], v[38:39]
	v_add_f64 v[34:35], v[32:33], -v[34:35]
	v_add_f64 v[34:35], v[38:39], -v[34:35]
	s_andn2_saveexec_b64 s[0:1], s[6:7]
	s_cbranch_execnz .LBB122_67
	s_branch .LBB122_68
.LBB122_66:
	s_andn2_saveexec_b64 s[0:1], s[6:7]
	s_cbranch_execz .LBB122_68
.LBB122_67:
	s_mov_b32 s2, 0x6dc9c883
	s_mov_b32 s3, 0x3fe45f30
	v_mul_f64 v[32:33], |v[8:9]|, s[2:3]
	s_mov_b32 s2, 0x54442d18
	v_rndne_f64_e32 v[36:37], v[32:33]
	s_mov_b32 s3, 0xbff921fb
	v_fma_f64 v[32:33], v[36:37], s[2:3], |v[8:9]|
	s_mov_b32 s3, 0xbc91a626
	s_mov_b32 s2, 0x33145c00
	v_mul_f64 v[38:39], v[36:37], s[2:3]
	v_add_f64 v[52:53], v[32:33], v[38:39]
	v_fma_f64 v[34:35], s[2:3], v[36:37], v[32:33]
	s_mov_b32 s3, 0x3c91a626
	v_add_f64 v[32:33], v[32:33], -v[52:53]
	v_fma_f64 v[48:49], s[2:3], v[36:37], v[38:39]
	v_add_f64 v[32:33], v[32:33], v[38:39]
	v_add_f64 v[38:39], v[52:53], -v[34:35]
	v_add_f64 v[32:33], v[38:39], v[32:33]
	s_mov_b32 s2, 0x252049c0
	v_add_f64 v[38:39], v[32:33], -v[48:49]
	s_mov_b32 s3, 0xb97b839a
	v_fmac_f64_e32 v[38:39], s[2:3], v[36:37]
	v_add_f64 v[32:33], v[34:35], v[38:39]
	v_add_f64 v[34:35], v[32:33], -v[34:35]
	v_add_f64 v[34:35], v[38:39], -v[34:35]
	v_cvt_i32_f64_e32 v52, v[36:37]
.LBB122_68:
	s_or_b64 exec, exec, s[0:1]
	s_mov_b32 s0, 0x652b82fe
	s_mov_b32 s1, 0x3ff71547
	v_mul_f64 v[36:37], v[6:7], s[0:1]
	v_rndne_f64_e32 v[38:39], v[36:37]
	s_mov_b32 s13, 0xbfe62e42
	s_mov_b32 s12, 0xfefa39ef
	;; [unrolled: 1-line block ×3, first 2 shown]
	v_fma_f64 v[48:49], s[12:13], v[38:39], v[6:7]
	s_mov_b32 s1, 0xbc7abc9e
	v_fmac_f64_e32 v[48:49], s[0:1], v[38:39]
	s_mov_b32 s0, 0x6a5dcb37
	v_mov_b32_e32 v36, 0xfca7ab0c
	v_mov_b32_e32 v37, 0x3e928af3
	s_mov_b32 s1, 0x3e5ade15
	v_fmac_f64_e32 v[36:37], s[0:1], v[48:49]
	v_mov_b32_e32 v54, 0x623fde64
	v_mov_b32_e32 v55, 0x3ec71dee
	v_fmac_f64_e32 v[54:55], v[48:49], v[36:37]
	v_mov_b32_e32 v36, 0x7c89e6b0
	v_mov_b32_e32 v37, 0x3efa0199
	;; [unrolled: 3-line block ×3, first 2 shown]
	v_mov_b64_e32 v[64:65], v[54:55]
	v_mov_b32_e32 v66, 0x1852b7b0
	v_mov_b32_e32 v67, 0x3f56c16c
	v_fmac_f64_e32 v[64:65], v[48:49], v[36:37]
	v_mov_b64_e32 v[36:37], v[66:67]
	v_fmac_f64_e32 v[36:37], v[48:49], v[64:65]
	v_mov_b32_e32 v64, 0x11122322
	v_mov_b32_e32 v65, 0x3f811111
	v_mov_b64_e32 v[68:69], v[64:65]
	v_mov_b32_e32 v70, 0x555502a1
	v_mov_b32_e32 v71, 0x3fa55555
	v_fmac_f64_e32 v[68:69], v[48:49], v[36:37]
	v_mov_b64_e32 v[36:37], v[70:71]
	v_fmac_f64_e32 v[36:37], v[48:49], v[68:69]
	v_mov_b32_e32 v68, 0x55555511
	v_mov_b32_e32 v69, 0x3fc55555
	v_mov_b64_e32 v[80:81], v[68:69]
	v_fmac_f64_e32 v[80:81], v[48:49], v[36:37]
	v_mov_b32_e32 v36, 11
	v_mov_b32_e32 v37, 0x3fe00000
	v_fmac_f64_e32 v[36:37], v[48:49], v[80:81]
	v_fma_f64 v[36:37], v[48:49], v[36:37], 1.0
	s_mov_b32 s10, 0
	s_mov_b32 s2, 0
	v_fma_f64 v[36:37], v[48:49], v[36:37], 1.0
	v_cvt_i32_f64_e32 v53, v[38:39]
	s_mov_b32 s11, 0x40900000
	s_mov_b32 s3, 0xc090cc00
	v_ldexp_f64 v[36:37], v[36:37], v53
	v_mov_b32_e32 v84, 0x7ff00000
	v_cmp_nlt_f64_e64 s[0:1], s[10:11], v[6:7]
	v_cmp_ngt_f64_e64 s[2:3], s[2:3], v[6:7]
	v_ldexp_f64 v[80:81], 1.0, v53
	v_cndmask_b32_e64 v37, v84, v37, s[0:1]
	s_and_b64 s[0:1], s[2:3], s[0:1]
	v_cndmask_b32_e64 v37, 0, v37, s[2:3]
	v_cndmask_b32_e64 v36, 0, v36, s[0:1]
	v_mov_b32_e32 v53, 0x7fe00000
	v_cmp_eq_f64_e64 s[0:1], s[10:11], v[38:39]
	s_mov_b32 s2, 0xa9d67f34
	s_mov_b32 s3, 0x3e21f32e
	v_cndmask_b32_e64 v39, v81, v53, s[0:1]
	v_cndmask_b32_e64 v38, v80, 0, s[0:1]
	v_mov_b32_e32 v80, 0x2a1b768b
	v_mov_b32_e32 v81, 0x3e5af4eb
	v_fmac_f64_e32 v[80:81], s[2:3], v[48:49]
	v_mov_b32_e32 v82, 0xe0ac05b
	v_mov_b32_e32 v83, 0x3e927e50
	v_fmac_f64_e32 v[82:83], v[48:49], v[80:81]
	;; [unrolled: 3-line block ×4, first 2 shown]
	v_mov_b32_e32 v54, 0x1ac1a723
	v_fmac_f64_e32 v[54:55], v[48:49], v[82:83]
	v_mov_b32_e32 v66, 0x16c18931
	v_fmac_f64_e32 v[66:67], v[48:49], v[54:55]
	;; [unrolled: 2-line block ×5, first 2 shown]
	v_fma_f64 v[54:55], v[48:49], v[68:69], 0.5
	v_mul_f64 v[54:55], v[48:49], v[54:55]
	v_fmac_f64_e32 v[48:49], v[48:49], v[54:55]
	v_add_f64 v[54:55], v[38:39], -1.0
	v_fmac_f64_e32 v[54:55], v[38:39], v[48:49]
	s_mov_b32 s2, 0
	v_add_f64 v[38:39], v[54:55], v[54:55]
	s_mov_b32 s13, 0x40862e42
	s_mov_b32 s3, 0xc0428000
	v_cndmask_b32_e64 v38, v54, v38, s[0:1]
	v_cndmask_b32_e64 v39, v55, v39, s[0:1]
	v_cmp_nlt_f64_e64 s[0:1], s[12:13], v[6:7]
	v_cmp_ngt_f64_e64 s[2:3], s[2:3], v[6:7]
	v_mov_b32_e32 v48, 0xbff00000
	v_cndmask_b32_e64 v39, v84, v39, s[0:1]
	s_and_b64 s[0:1], s[2:3], s[0:1]
	v_cndmask_b32_e64 v6, 0, v38, s[0:1]
	s_mov_b32 s0, 0x9037ab78
	s_mov_b32 s1, 0x3e21eeb6
	;; [unrolled: 1-line block ×3, first 2 shown]
	v_cndmask_b32_e64 v7, v48, v39, s[2:3]
	v_mul_f64 v[38:39], v[28:29], v[28:29]
	s_mov_b32 s13, 0xbda907db
	v_mov_b64_e32 v[66:67], s[0:1]
	s_mov_b32 s14, 0xa17f65f6
	s_mov_b32 s10, 0x19f4ec90
	v_mul_f64 v[48:49], v[38:39], 0.5
	v_fma_f64 v[68:69], s[12:13], v[38:39], v[66:67]
	s_mov_b32 s15, 0xbe927e4f
	s_mov_b32 s11, 0x3efa01a0
	v_add_f64 v[54:55], -v[48:49], 1.0
	v_fma_f64 v[68:69], v[38:39], v[68:69], s[14:15]
	s_mov_b32 s16, 0x16c16967
	s_mov_b32 s8, 0x55555555
	v_fma_f64 v[68:69], v[38:39], v[68:69], s[10:11]
	s_mov_b32 s17, 0xbf56c16c
	v_add_f64 v[70:71], -v[54:55], 1.0
	s_mov_b32 s9, 0x3fa55555
	v_fma_f64 v[68:69], v[38:39], v[68:69], s[16:17]
	v_add_f64 v[48:49], v[70:71], -v[48:49]
	s_mov_b32 s0, 0xb42fdfa7
	v_mul_f64 v[64:65], v[38:39], v[38:39]
	v_fma_f64 v[68:69], v[38:39], v[68:69], s[8:9]
	v_fma_f64 v[48:49], v[28:29], -v[30:31], v[48:49]
	s_mov_b32 s1, 0xbe5ae600
	s_mov_b32 s18, 0xf9a43bb8
	v_fmac_f64_e32 v[48:49], v[64:65], v[68:69]
	s_mov_b32 s19, 0x3de5e0b2
	v_mov_b64_e32 v[64:65], s[0:1]
	s_mov_b32 s20, 0x796cde01
	v_fma_f64 v[68:69], s[18:19], v[38:39], v[64:65]
	s_mov_b32 s21, 0x3ec71de3
	s_mov_b32 s24, 0x19e83e5c
	;; [unrolled: 1-line block ×3, first 2 shown]
	v_fma_f64 v[68:69], v[38:39], v[68:69], s[20:21]
	s_mov_b32 s25, 0xbf2a01a0
	s_mov_b32 s7, 0x3f811111
	v_fma_f64 v[68:69], v[38:39], v[68:69], s[24:25]
	v_add_f64 v[48:49], v[54:55], v[48:49]
	v_mul_f64 v[54:55], v[28:29], -v[38:39]
	v_fma_f64 v[68:69], v[38:39], v[68:69], s[6:7]
	v_mul_f64 v[70:71], v[30:31], 0.5
	v_fmac_f64_e32 v[70:71], v[54:55], v[68:69]
	v_fma_f64 v[30:31], v[38:39], v[70:71], -v[30:31]
	s_mov_b32 s27, 0xbfc55555
	s_mov_b32 s26, s8
	v_fmac_f64_e32 v[30:31], s[26:27], v[54:55]
	v_and_b32_e32 v53, 1, v51
	v_add_f64 v[28:29], v[28:29], -v[30:31]
	v_xor_b32_e32 v29, 0x80000000, v29
	v_cmp_eq_u32_e64 s[0:1], 0, v53
	s_brev_b32 s28, 1
	v_lshlrev_b32_e32 v30, 30, v51
	v_cndmask_b32_e64 v29, v29, v49, s[0:1]
	v_bitop3_b32 v29, v29, v30, s28 bitop3:0x78
	v_mul_f64 v[30:31], v[14:15], v[14:15]
	v_cndmask_b32_e64 v28, v28, v48, s[0:1]
	v_fma_f64 v[48:49], s[18:19], v[30:31], v[64:65]
	v_fma_f64 v[48:49], v[30:31], v[48:49], s[20:21]
	;; [unrolled: 1-line block ×3, first 2 shown]
	v_mul_f64 v[38:39], v[14:15], -v[30:31]
	v_fma_f64 v[48:49], v[30:31], v[48:49], s[6:7]
	v_mul_f64 v[54:55], v[16:17], 0.5
	v_fmac_f64_e32 v[54:55], v[38:39], v[48:49]
	v_fma_f64 v[48:49], v[30:31], v[54:55], -v[16:17]
	v_fma_f64 v[70:71], s[12:13], v[30:31], v[66:67]
	v_fmac_f64_e32 v[48:49], s[26:27], v[38:39]
	v_fma_f64 v[70:71], v[30:31], v[70:71], s[14:15]
	v_add_f64 v[38:39], v[14:15], -v[48:49]
	v_mul_f64 v[48:49], v[30:31], 0.5
	v_fma_f64 v[70:71], v[30:31], v[70:71], s[10:11]
	v_add_f64 v[54:55], -v[48:49], 1.0
	v_fma_f64 v[70:71], v[30:31], v[70:71], s[16:17]
	v_mul_f64 v[68:69], v[30:31], v[30:31]
	v_fma_f64 v[30:31], v[30:31], v[70:71], s[8:9]
	v_add_f64 v[70:71], -v[54:55], 1.0
	v_add_f64 v[48:49], v[70:71], -v[48:49]
	v_fma_f64 v[14:15], v[14:15], -v[16:17], v[48:49]
	v_and_b32_e32 v51, 1, v27
	v_fmac_f64_e32 v[14:15], v[68:69], v[30:31]
	v_add_f64 v[14:15], v[54:55], v[14:15]
	v_cmp_eq_u32_e64 s[2:3], 0, v51
	v_lshlrev_b32_e32 v16, 30, v27
	s_movk_i32 s23, 0x1f8
	v_cndmask_b32_e64 v15, v15, v39, s[2:3]
	v_xor_b32_e32 v16, v16, v3
	v_cmp_class_f64_e64 s[0:1], v[8:9], s23
	v_mov_b32_e32 v8, 0x7ff80000
	v_cndmask_b32_e64 v14, v14, v38, s[2:3]
	v_bitop3_b32 v15, v15, v16, s28 bitop3:0x78
	v_cmp_class_f64_e64 s[2:3], v[2:3], s23
	v_cndmask_b32_e64 v28, 0, v28, s[0:1]
	v_cndmask_b32_e64 v29, v8, v29, s[0:1]
	;; [unrolled: 1-line block ×4, first 2 shown]
	v_add_f64 v[14:15], v[2:3], v[2:3]
	v_mul_f64 v[2:3], v[14:15], v[2:3]
	v_fma_f64 v[14:15], v[6:7], v[28:29], -v[2:3]
	v_mul_f64 v[2:3], v[32:33], v[32:33]
	v_mul_f64 v[6:7], v[2:3], 0.5
	v_fmac_f64_e32 v[66:67], s[12:13], v[2:3]
	v_add_f64 v[16:17], -v[6:7], 1.0
	v_fma_f64 v[30:31], v[2:3], v[66:67], s[14:15]
	v_add_f64 v[28:29], -v[16:17], 1.0
	v_fma_f64 v[30:31], v[2:3], v[30:31], s[10:11]
	v_add_f64 v[6:7], v[28:29], -v[6:7]
	v_fma_f64 v[30:31], v[2:3], v[30:31], s[16:17]
	v_mul_f64 v[28:29], v[2:3], v[2:3]
	v_fma_f64 v[30:31], v[2:3], v[30:31], s[8:9]
	v_fma_f64 v[6:7], v[32:33], -v[34:35], v[6:7]
	v_fmac_f64_e32 v[6:7], v[28:29], v[30:31]
	v_fmac_f64_e32 v[64:65], s[18:19], v[2:3]
	v_add_f64 v[6:7], v[16:17], v[6:7]
	v_fma_f64 v[16:17], v[2:3], v[64:65], s[20:21]
	v_fma_f64 v[16:17], v[2:3], v[16:17], s[24:25]
	;; [unrolled: 1-line block ×3, first 2 shown]
	v_mul_f64 v[28:29], v[32:33], -v[2:3]
	v_mul_f64 v[30:31], v[34:35], 0.5
	v_fmac_f64_e32 v[30:31], v[28:29], v[16:17]
	v_fma_f64 v[2:3], v[2:3], v[30:31], -v[34:35]
	v_fmac_f64_e32 v[2:3], s[26:27], v[28:29]
	v_and_b32_e32 v16, 1, v52
	v_add_f64 v[2:3], v[32:33], -v[2:3]
	v_cmp_eq_u32_e64 s[2:3], 0, v16
	s_nop 1
	v_cndmask_b32_e64 v2, v6, v2, s[2:3]
	v_lshlrev_b32_e32 v6, 30, v52
	v_cndmask_b32_e64 v3, v7, v3, s[2:3]
	v_xor_b32_e32 v6, v6, v9
	v_bitop3_b32 v3, v3, v6, s28 bitop3:0x78
	v_cndmask_b32_e64 v2, 0, v2, s[0:1]
	v_cndmask_b32_e64 v3, v8, v3, s[0:1]
	v_mul_f64 v[16:17], v[36:37], v[2:3]
	s_or_b64 exec, exec, s[4:5]
	s_and_saveexec_b64 s[0:1], vcc
	s_xor_b64 s[0:1], exec, s[0:1]
	s_cbranch_execnz .LBB122_58
.LBB122_69:
	s_or_b64 exec, exec, s[0:1]
	v_cmp_lt_i32_e32 vcc, v5, v4
	s_and_saveexec_b64 s[0:1], vcc
	s_cbranch_execz .LBB122_59
.LBB122_70:
	v_add_u32_e32 v2, s22, v5
	v_mov_b32_e32 v3, 0
	v_lshl_add_u64 v[2:3], v[2:3], 4, v[0:1]
	v_add_u32_e32 v5, 0x100, v5
	flat_store_dwordx4 v[2:3], v[22:25]
	s_or_b64 exec, exec, s[0:1]
	v_cmp_lt_i32_e32 vcc, v5, v4
	s_and_saveexec_b64 s[0:1], vcc
	s_cbranch_execnz .LBB122_60
.LBB122_71:
	s_or_b64 exec, exec, s[0:1]
	v_cmp_lt_i32_e32 vcc, v5, v4
	s_and_saveexec_b64 s[0:1], vcc
	s_cbranch_execz .LBB122_61
.LBB122_72:
	v_add_u32_e32 v2, s22, v5
	v_mov_b32_e32 v3, 0
	v_lshl_add_u64 v[0:1], v[2:3], 4, v[0:1]
	flat_store_dwordx4 v[0:1], v[14:17]
	s_or_b64 exec, exec, s[0:1]
	s_waitcnt vmcnt(0) lgkmcnt(0)
	s_setpc_b64 s[30:31]
.Lfunc_end122:
	.size	_ZN2at6native25elementwise_kernel_helperILb0EZZZNS0_17expm1_kernel_cudaERNS_18TensorIteratorBaseEENKUlvE_clEvENKUlvE1_clEvEUlN3c107complexIdEEE_NS0_6memory8policies11unroll_baseILi256ESt5arrayIPcLm2EE23TrivialOffsetCalculatorILi1EjESH_NSA_15LoadWithoutCastENSA_16StoreWithoutCastELi4ELi1EEEEEvT0_T1_, .Lfunc_end122-_ZN2at6native25elementwise_kernel_helperILb0EZZZNS0_17expm1_kernel_cudaERNS_18TensorIteratorBaseEENKUlvE_clEvENKUlvE1_clEvEUlN3c107complexIdEEE_NS0_6memory8policies11unroll_baseILi256ESt5arrayIPcLm2EE23TrivialOffsetCalculatorILi1EjESH_NSA_15LoadWithoutCastENSA_16StoreWithoutCastELi4ELi1EEEEEvT0_T1_
                                        ; -- End function
	.set .L_ZN2at6native25elementwise_kernel_helperILb0EZZZNS0_17expm1_kernel_cudaERNS_18TensorIteratorBaseEENKUlvE_clEvENKUlvE1_clEvEUlN3c107complexIdEEE_NS0_6memory8policies11unroll_baseILi256ESt5arrayIPcLm2EE23TrivialOffsetCalculatorILi1EjESH_NSA_15LoadWithoutCastENSA_16StoreWithoutCastELi4ELi1EEEEEvT0_T1_.num_vgpr, 85
	.set .L_ZN2at6native25elementwise_kernel_helperILb0EZZZNS0_17expm1_kernel_cudaERNS_18TensorIteratorBaseEENKUlvE_clEvENKUlvE1_clEvEUlN3c107complexIdEEE_NS0_6memory8policies11unroll_baseILi256ESt5arrayIPcLm2EE23TrivialOffsetCalculatorILi1EjESH_NSA_15LoadWithoutCastENSA_16StoreWithoutCastELi4ELi1EEEEEvT0_T1_.num_agpr, 0
	.set .L_ZN2at6native25elementwise_kernel_helperILb0EZZZNS0_17expm1_kernel_cudaERNS_18TensorIteratorBaseEENKUlvE_clEvENKUlvE1_clEvEUlN3c107complexIdEEE_NS0_6memory8policies11unroll_baseILi256ESt5arrayIPcLm2EE23TrivialOffsetCalculatorILi1EjESH_NSA_15LoadWithoutCastENSA_16StoreWithoutCastELi4ELi1EEEEEvT0_T1_.numbered_sgpr, 32
	.set .L_ZN2at6native25elementwise_kernel_helperILb0EZZZNS0_17expm1_kernel_cudaERNS_18TensorIteratorBaseEENKUlvE_clEvENKUlvE1_clEvEUlN3c107complexIdEEE_NS0_6memory8policies11unroll_baseILi256ESt5arrayIPcLm2EE23TrivialOffsetCalculatorILi1EjESH_NSA_15LoadWithoutCastENSA_16StoreWithoutCastELi4ELi1EEEEEvT0_T1_.num_named_barrier, 0
	.set .L_ZN2at6native25elementwise_kernel_helperILb0EZZZNS0_17expm1_kernel_cudaERNS_18TensorIteratorBaseEENKUlvE_clEvENKUlvE1_clEvEUlN3c107complexIdEEE_NS0_6memory8policies11unroll_baseILi256ESt5arrayIPcLm2EE23TrivialOffsetCalculatorILi1EjESH_NSA_15LoadWithoutCastENSA_16StoreWithoutCastELi4ELi1EEEEEvT0_T1_.private_seg_size, 0
	.set .L_ZN2at6native25elementwise_kernel_helperILb0EZZZNS0_17expm1_kernel_cudaERNS_18TensorIteratorBaseEENKUlvE_clEvENKUlvE1_clEvEUlN3c107complexIdEEE_NS0_6memory8policies11unroll_baseILi256ESt5arrayIPcLm2EE23TrivialOffsetCalculatorILi1EjESH_NSA_15LoadWithoutCastENSA_16StoreWithoutCastELi4ELi1EEEEEvT0_T1_.uses_vcc, 1
	.set .L_ZN2at6native25elementwise_kernel_helperILb0EZZZNS0_17expm1_kernel_cudaERNS_18TensorIteratorBaseEENKUlvE_clEvENKUlvE1_clEvEUlN3c107complexIdEEE_NS0_6memory8policies11unroll_baseILi256ESt5arrayIPcLm2EE23TrivialOffsetCalculatorILi1EjESH_NSA_15LoadWithoutCastENSA_16StoreWithoutCastELi4ELi1EEEEEvT0_T1_.uses_flat_scratch, 0
	.set .L_ZN2at6native25elementwise_kernel_helperILb0EZZZNS0_17expm1_kernel_cudaERNS_18TensorIteratorBaseEENKUlvE_clEvENKUlvE1_clEvEUlN3c107complexIdEEE_NS0_6memory8policies11unroll_baseILi256ESt5arrayIPcLm2EE23TrivialOffsetCalculatorILi1EjESH_NSA_15LoadWithoutCastENSA_16StoreWithoutCastELi4ELi1EEEEEvT0_T1_.has_dyn_sized_stack, 0
	.set .L_ZN2at6native25elementwise_kernel_helperILb0EZZZNS0_17expm1_kernel_cudaERNS_18TensorIteratorBaseEENKUlvE_clEvENKUlvE1_clEvEUlN3c107complexIdEEE_NS0_6memory8policies11unroll_baseILi256ESt5arrayIPcLm2EE23TrivialOffsetCalculatorILi1EjESH_NSA_15LoadWithoutCastENSA_16StoreWithoutCastELi4ELi1EEEEEvT0_T1_.has_recursion, 0
	.set .L_ZN2at6native25elementwise_kernel_helperILb0EZZZNS0_17expm1_kernel_cudaERNS_18TensorIteratorBaseEENKUlvE_clEvENKUlvE1_clEvEUlN3c107complexIdEEE_NS0_6memory8policies11unroll_baseILi256ESt5arrayIPcLm2EE23TrivialOffsetCalculatorILi1EjESH_NSA_15LoadWithoutCastENSA_16StoreWithoutCastELi4ELi1EEEEEvT0_T1_.has_indirect_call, 0
	.section	.AMDGPU.csdata,"",@progbits
; Function info:
; codeLenInByte = 18068
; TotalNumSgprs: 38
; NumVgprs: 85
; NumAgprs: 0
; TotalNumVgprs: 85
; ScratchSize: 0
; MemoryBound: 1
	.text
	.p2align	2                               ; -- Begin function _ZN2at6native25elementwise_kernel_helperILb0EZZZNS0_17expm1_kernel_cudaERNS_18TensorIteratorBaseEENKUlvE_clEvENKUlvE1_clEvEUlN3c107complexIdEEE_NS0_6memory8policies10vectorizedILi4ESt5arrayIPcLm2EELi4EEEEEvT0_T1_
	.type	_ZN2at6native25elementwise_kernel_helperILb0EZZZNS0_17expm1_kernel_cudaERNS_18TensorIteratorBaseEENKUlvE_clEvENKUlvE1_clEvEUlN3c107complexIdEEE_NS0_6memory8policies10vectorizedILi4ESt5arrayIPcLm2EELi4EEEEEvT0_T1_,@function
_ZN2at6native25elementwise_kernel_helperILb0EZZZNS0_17expm1_kernel_cudaERNS_18TensorIteratorBaseEENKUlvE_clEvENKUlvE1_clEvEUlN3c107complexIdEEE_NS0_6memory8policies10vectorizedILi4ESt5arrayIPcLm2EELi4EEEEEvT0_T1_: ; @_ZN2at6native25elementwise_kernel_helperILb0EZZZNS0_17expm1_kernel_cudaERNS_18TensorIteratorBaseEENKUlvE_clEvENKUlvE1_clEvEUlN3c107complexIdEEE_NS0_6memory8policies10vectorizedILi4ESt5arrayIPcLm2EELi4EEEEEvT0_T1_
; %bb.0:
	s_waitcnt vmcnt(0) expcnt(0) lgkmcnt(0)
	s_or_saveexec_b64 s[0:1], -1
	scratch_store_dword off, v40, s32       ; 4-byte Folded Spill
	s_mov_b64 exec, s[0:1]
	v_writelane_b32 v40, s34, 0
	v_writelane_b32 v40, s35, 1
	;; [unrolled: 1-line block ×15, first 2 shown]
	s_nop 1
	v_writelane_b32 v40, s31, 15
	s_lshl_b32 s4, s12, 10
	s_ashr_i32 s5, s4, 31
	v_and_b32_e32 v4, 0x3ff, v31
	v_lshl_add_u64 v[2:3], s[4:5], 4, v[2:3]
	v_mov_b32_e32 v19, 0
	v_lshlrev_b32_e32 v18, 6, v4
	v_lshl_add_u64 v[20:21], v[2:3], 0, v[18:19]
	flat_load_dwordx4 v[6:9], v[20:21]
	flat_load_dwordx4 v[10:13], v[20:21] offset:16
	flat_load_dwordx4 v[14:17], v[20:21] offset:32
	flat_load_dwordx4 v[2:5], v[20:21] offset:48
	s_mov_b32 s0, 0
	s_mov_b32 s1, 0x41d00000
                                        ; implicit-def: $vgpr130
                                        ; implicit-def: $vgpr22_vgpr23
                                        ; implicit-def: $vgpr24_vgpr25
	s_waitcnt vmcnt(0) lgkmcnt(0)
	v_mul_f64 v[20:21], v[8:9], 0.5
	v_cmp_nlt_f64_e64 s[0:1], |v[20:21]|, s[0:1]
	s_and_saveexec_b64 s[2:3], s[0:1]
	s_xor_b64 s[2:3], exec, s[2:3]
	s_cbranch_execz .LBB123_2
; %bb.1:
	s_mov_b32 s0, 0
	s_mov_b32 s1, 0x7b000000
	s_movk_i32 s6, 0xff80
	v_and_b32_e32 v28, 0x7fffffff, v21
	v_ldexp_f64 v[26:27], |v[20:21]|, s6
	v_cmp_ge_f64_e64 vcc, |v[20:21]|, s[0:1]
	v_trig_preop_f64 v[22:23], |v[20:21]|, 0
	v_trig_preop_f64 v[24:25], |v[20:21]|, 1
	v_cndmask_b32_e32 v27, v28, v27, vcc
	v_cndmask_b32_e32 v26, v20, v26, vcc
	v_mul_f64 v[30:31], v[22:23], v[26:27]
	v_mul_f64 v[28:29], v[24:25], v[26:27]
	v_fma_f64 v[22:23], v[22:23], v[26:27], -v[30:31]
	v_add_f64 v[32:33], v[28:29], v[22:23]
	v_add_f64 v[48:49], v[32:33], -v[28:29]
	v_add_f64 v[22:23], v[22:23], -v[48:49]
	;; [unrolled: 1-line block ×4, first 2 shown]
	v_fma_f64 v[24:25], v[24:25], v[26:27], -v[28:29]
	v_trig_preop_f64 v[28:29], |v[20:21]|, 2
	v_add_f64 v[22:23], v[22:23], v[48:49]
	v_mul_f64 v[48:49], v[28:29], v[26:27]
	v_add_f64 v[50:51], v[48:49], v[24:25]
	v_add_f64 v[34:35], v[30:31], v[32:33]
	;; [unrolled: 1-line block ×3, first 2 shown]
	v_ldexp_f64 v[36:37], v[34:35], -2
	v_add_f64 v[30:31], v[34:35], -v[30:31]
	v_add_f64 v[34:35], v[52:53], -v[50:51]
	;; [unrolled: 1-line block ×5, first 2 shown]
	v_add_f64 v[22:23], v[22:23], v[34:35]
	v_add_f64 v[34:35], v[50:51], -v[48:49]
	v_add_f64 v[24:25], v[24:25], -v[34:35]
	;; [unrolled: 1-line block ×4, first 2 shown]
	v_add_f64 v[24:25], v[24:25], v[34:35]
	s_mov_b32 s0, 0
	v_fract_f64_e32 v[38:39], v[36:37]
	v_add_f64 v[22:23], v[24:25], v[22:23]
	v_fma_f64 v[24:25], v[28:29], v[26:27], -v[48:49]
	s_mov_b32 s1, 0x7ff00000
	v_add_f64 v[30:31], v[32:33], -v[30:31]
	v_add_f64 v[22:23], v[24:25], v[22:23]
	v_ldexp_f64 v[24:25], v[38:39], 2
	v_cmp_neq_f64_e64 vcc, |v[36:37]|, s[0:1]
	v_add_f64 v[32:33], v[30:31], v[52:53]
	v_mov_b32_e32 v28, 0x40100000
	v_cndmask_b32_e32 v25, 0, v25, vcc
	v_cndmask_b32_e32 v24, 0, v24, vcc
	v_add_f64 v[26:27], v[32:33], v[24:25]
	v_cmp_gt_f64_e32 vcc, 0, v[26:27]
	v_mov_b32_e32 v26, v19
	v_add_f64 v[30:31], v[32:33], -v[30:31]
	v_cndmask_b32_e32 v27, 0, v28, vcc
	v_add_f64 v[24:25], v[24:25], v[26:27]
	v_add_f64 v[26:27], v[32:33], v[24:25]
	v_cvt_i32_f64_e32 v28, v[26:27]
	v_cvt_f64_i32_e32 v[26:27], v28
	v_add_f64 v[24:25], v[24:25], -v[26:27]
	v_add_f64 v[26:27], v[32:33], v[24:25]
	v_add_f64 v[30:31], v[52:53], -v[30:31]
	v_add_f64 v[24:25], v[26:27], -v[24:25]
	v_add_f64 v[22:23], v[30:31], v[22:23]
	v_add_f64 v[24:25], v[32:33], -v[24:25]
	v_add_f64 v[22:23], v[22:23], v[24:25]
	v_cmp_le_f64_e32 vcc, 0.5, v[26:27]
	v_mov_b32_e32 v24, 0x3ff00000
	s_mov_b32 s6, 0x33145c07
	v_cndmask_b32_e32 v25, 0, v24, vcc
	v_mov_b32_e32 v24, v19
	v_addc_co_u32_e64 v130, s[0:1], 0, v28, vcc
	v_add_f64 v[24:25], v[26:27], -v[24:25]
	v_add_f64 v[26:27], v[24:25], v[22:23]
	s_mov_b32 s0, 0x54442d18
	v_add_f64 v[24:25], v[26:27], -v[24:25]
	s_mov_b32 s1, 0x3ff921fb
	v_add_f64 v[22:23], v[22:23], -v[24:25]
	v_mul_f64 v[24:25], v[26:27], s[0:1]
	v_fma_f64 v[28:29], v[26:27], s[0:1], -v[24:25]
	s_mov_b32 s7, 0x3c91a626
	v_fmac_f64_e32 v[28:29], s[6:7], v[26:27]
	v_fmac_f64_e32 v[28:29], s[0:1], v[22:23]
	v_add_f64 v[22:23], v[24:25], v[28:29]
	v_add_f64 v[24:25], v[22:23], -v[24:25]
	v_add_f64 v[24:25], v[28:29], -v[24:25]
.LBB123_2:
	s_andn2_saveexec_b64 s[0:1], s[2:3]
	s_cbranch_execz .LBB123_4
; %bb.3:
	s_mov_b32 s2, 0x6dc9c883
	s_mov_b32 s3, 0x3fe45f30
	v_mul_f64 v[22:23], |v[20:21]|, s[2:3]
	s_mov_b32 s2, 0x54442d18
	v_rndne_f64_e32 v[26:27], v[22:23]
	s_mov_b32 s3, 0xbff921fb
	v_fma_f64 v[22:23], v[26:27], s[2:3], |v[20:21]|
	s_mov_b32 s3, 0xbc91a626
	s_mov_b32 s2, 0x33145c00
	v_mul_f64 v[28:29], v[26:27], s[2:3]
	v_add_f64 v[32:33], v[22:23], v[28:29]
	v_fma_f64 v[24:25], s[2:3], v[26:27], v[22:23]
	s_mov_b32 s3, 0x3c91a626
	v_add_f64 v[22:23], v[22:23], -v[32:33]
	v_fma_f64 v[30:31], s[2:3], v[26:27], v[28:29]
	v_add_f64 v[22:23], v[22:23], v[28:29]
	v_add_f64 v[28:29], v[32:33], -v[24:25]
	v_add_f64 v[22:23], v[28:29], v[22:23]
	s_mov_b32 s2, 0x252049c0
	v_add_f64 v[28:29], v[22:23], -v[30:31]
	s_mov_b32 s3, 0xb97b839a
	v_fmac_f64_e32 v[28:29], s[2:3], v[26:27]
	v_add_f64 v[22:23], v[24:25], v[28:29]
	v_add_f64 v[24:25], v[22:23], -v[24:25]
	v_add_f64 v[24:25], v[28:29], -v[24:25]
	v_cvt_i32_f64_e32 v130, v[26:27]
.LBB123_4:
	s_or_b64 exec, exec, s[0:1]
	s_mov_b32 s0, 0
	s_mov_b32 s1, 0x41d00000
	v_cmp_nlt_f64_e64 s[2:3], |v[8:9]|, s[0:1]
	v_trig_preop_f64 v[38:39], |v[8:9]|, 0
	v_trig_preop_f64 v[36:37], |v[8:9]|, 1
	v_trig_preop_f64 v[34:35], |v[8:9]|, 2
                                        ; implicit-def: $vgpr19
                                        ; implicit-def: $vgpr26_vgpr27
                                        ; implicit-def: $vgpr28_vgpr29
	s_and_saveexec_b64 s[0:1], s[2:3]
	s_xor_b64 s[6:7], exec, s[0:1]
	s_cbranch_execz .LBB123_6
; %bb.5:
	s_mov_b32 s0, 0
	s_mov_b32 s1, 0x7b000000
	s_movk_i32 s8, 0xff80
	v_and_b32_e32 v19, 0x7fffffff, v9
	v_ldexp_f64 v[26:27], |v[8:9]|, s8
	v_cmp_ge_f64_e64 vcc, |v[8:9]|, s[0:1]
	s_mov_b32 s0, 0
	s_mov_b32 s1, 0x7ff00000
	v_cndmask_b32_e32 v27, v19, v27, vcc
	v_cndmask_b32_e32 v26, v8, v26, vcc
	v_mul_f64 v[30:31], v[38:39], v[26:27]
	v_mul_f64 v[28:29], v[36:37], v[26:27]
	v_fma_f64 v[32:33], v[38:39], v[26:27], -v[30:31]
	v_add_f64 v[48:49], v[28:29], v[32:33]
	v_add_f64 v[64:65], v[48:49], -v[28:29]
	v_add_f64 v[32:33], v[32:33], -v[64:65]
	;; [unrolled: 1-line block ×4, first 2 shown]
	v_add_f64 v[32:33], v[32:33], v[64:65]
	v_fma_f64 v[28:29], v[36:37], v[26:27], -v[28:29]
	v_mul_f64 v[64:65], v[34:35], v[26:27]
	v_add_f64 v[66:67], v[64:65], v[28:29]
	v_add_f64 v[50:51], v[30:31], v[48:49]
	;; [unrolled: 1-line block ×3, first 2 shown]
	v_ldexp_f64 v[52:53], v[50:51], -2
	v_add_f64 v[30:31], v[50:51], -v[30:31]
	v_add_f64 v[50:51], v[68:69], -v[66:67]
	;; [unrolled: 1-line block ×5, first 2 shown]
	v_add_f64 v[32:33], v[32:33], v[50:51]
	v_add_f64 v[50:51], v[66:67], -v[64:65]
	v_add_f64 v[28:29], v[28:29], -v[50:51]
	;; [unrolled: 1-line block ×5, first 2 shown]
	v_add_f64 v[28:29], v[28:29], v[50:51]
	v_fract_f64_e32 v[54:55], v[52:53]
	v_add_f64 v[48:49], v[30:31], v[68:69]
	v_add_f64 v[28:29], v[28:29], v[32:33]
	v_fma_f64 v[26:27], v[34:35], v[26:27], -v[64:65]
	v_add_f64 v[30:31], v[48:49], -v[30:31]
	v_add_f64 v[26:27], v[26:27], v[28:29]
	v_ldexp_f64 v[28:29], v[54:55], 2
	v_cmp_neq_f64_e64 vcc, |v[52:53]|, s[0:1]
	v_add_f64 v[30:31], v[68:69], -v[30:31]
	v_add_f64 v[26:27], v[30:31], v[26:27]
	v_cndmask_b32_e32 v29, 0, v29, vcc
	v_cndmask_b32_e32 v28, 0, v28, vcc
	v_add_f64 v[30:31], v[48:49], v[28:29]
	v_mov_b32_e32 v19, 0x40100000
	v_cmp_gt_f64_e32 vcc, 0, v[30:31]
	v_mov_b32_e32 v30, 0
	s_mov_b32 s8, 0x33145c07
	v_cndmask_b32_e32 v31, 0, v19, vcc
	v_add_f64 v[28:29], v[28:29], v[30:31]
	v_add_f64 v[32:33], v[48:49], v[28:29]
	v_cvt_i32_f64_e32 v19, v[32:33]
	v_cvt_f64_i32_e32 v[32:33], v19
	v_add_f64 v[28:29], v[28:29], -v[32:33]
	v_add_f64 v[32:33], v[48:49], v[28:29]
	v_add_f64 v[28:29], v[32:33], -v[28:29]
	v_add_f64 v[28:29], v[48:49], -v[28:29]
	v_add_f64 v[26:27], v[26:27], v[28:29]
	v_cmp_le_f64_e32 vcc, 0.5, v[32:33]
	v_mov_b32_e32 v28, 0x3ff00000
	s_mov_b32 s9, 0x3c91a626
	v_cndmask_b32_e32 v31, 0, v28, vcc
	v_addc_co_u32_e64 v19, s[0:1], 0, v19, vcc
	v_add_f64 v[28:29], v[32:33], -v[30:31]
	v_add_f64 v[30:31], v[28:29], v[26:27]
	s_mov_b32 s0, 0x54442d18
	v_add_f64 v[28:29], v[30:31], -v[28:29]
	s_mov_b32 s1, 0x3ff921fb
	v_add_f64 v[26:27], v[26:27], -v[28:29]
	v_mul_f64 v[28:29], v[30:31], s[0:1]
	v_fma_f64 v[32:33], v[30:31], s[0:1], -v[28:29]
	v_fmac_f64_e32 v[32:33], s[8:9], v[30:31]
	v_fmac_f64_e32 v[32:33], s[0:1], v[26:27]
	v_add_f64 v[26:27], v[28:29], v[32:33]
	v_add_f64 v[28:29], v[26:27], -v[28:29]
	v_add_f64 v[28:29], v[32:33], -v[28:29]
	s_andn2_saveexec_b64 s[0:1], s[6:7]
	s_cbranch_execz .LBB123_8
	s_branch .LBB123_7
.LBB123_6:
	s_andn2_saveexec_b64 s[0:1], s[6:7]
	s_cbranch_execz .LBB123_8
.LBB123_7:
	s_mov_b32 s6, 0x6dc9c883
	s_mov_b32 s7, 0x3fe45f30
	v_mul_f64 v[26:27], |v[8:9]|, s[6:7]
	s_mov_b32 s6, 0x54442d18
	v_rndne_f64_e32 v[30:31], v[26:27]
	s_mov_b32 s7, 0xbff921fb
	v_fma_f64 v[26:27], v[30:31], s[6:7], |v[8:9]|
	s_mov_b32 s7, 0xbc91a626
	s_mov_b32 s6, 0x33145c00
	v_mul_f64 v[32:33], v[30:31], s[6:7]
	v_add_f64 v[50:51], v[26:27], v[32:33]
	v_fma_f64 v[28:29], s[6:7], v[30:31], v[26:27]
	s_mov_b32 s7, 0x3c91a626
	v_add_f64 v[26:27], v[26:27], -v[50:51]
	v_fma_f64 v[48:49], s[6:7], v[30:31], v[32:33]
	v_add_f64 v[26:27], v[26:27], v[32:33]
	v_add_f64 v[32:33], v[50:51], -v[28:29]
	v_add_f64 v[26:27], v[32:33], v[26:27]
	s_mov_b32 s6, 0x252049c0
	v_add_f64 v[32:33], v[26:27], -v[48:49]
	s_mov_b32 s7, 0xb97b839a
	v_fmac_f64_e32 v[32:33], s[6:7], v[30:31]
	v_add_f64 v[26:27], v[28:29], v[32:33]
	v_add_f64 v[28:29], v[26:27], -v[28:29]
	v_add_f64 v[28:29], v[32:33], -v[28:29]
	v_cvt_i32_f64_e32 v19, v[30:31]
.LBB123_8:
	s_or_b64 exec, exec, s[0:1]
                                        ; implicit-def: $vgpr131
                                        ; implicit-def: $vgpr30_vgpr31
                                        ; implicit-def: $vgpr32_vgpr33
	s_and_saveexec_b64 s[0:1], s[2:3]
	s_xor_b64 s[2:3], exec, s[0:1]
	s_cbranch_execz .LBB123_10
; %bb.9:
	s_mov_b32 s0, 0
	s_mov_b32 s1, 0x7b000000
	s_movk_i32 s6, 0xff80
	v_and_b32_e32 v32, 0x7fffffff, v9
	v_ldexp_f64 v[30:31], |v[8:9]|, s6
	v_cmp_ge_f64_e64 vcc, |v[8:9]|, s[0:1]
	s_mov_b32 s0, 0
	s_mov_b32 s1, 0x7ff00000
	v_cndmask_b32_e32 v31, v32, v31, vcc
	v_cndmask_b32_e32 v30, v8, v30, vcc
	v_mul_f64 v[48:49], v[38:39], v[30:31]
	v_mul_f64 v[32:33], v[36:37], v[30:31]
	v_fma_f64 v[38:39], v[38:39], v[30:31], -v[48:49]
	v_add_f64 v[50:51], v[32:33], v[38:39]
	v_add_f64 v[66:67], v[50:51], -v[32:33]
	v_add_f64 v[38:39], v[38:39], -v[66:67]
	;; [unrolled: 1-line block ×4, first 2 shown]
	v_fma_f64 v[32:33], v[36:37], v[30:31], -v[32:33]
	v_mul_f64 v[36:37], v[34:35], v[30:31]
	v_add_f64 v[38:39], v[38:39], v[66:67]
	v_add_f64 v[66:67], v[36:37], v[32:33]
	;; [unrolled: 1-line block ×4, first 2 shown]
	v_ldexp_f64 v[54:55], v[52:53], -2
	v_add_f64 v[48:49], v[52:53], -v[48:49]
	v_add_f64 v[52:53], v[68:69], -v[66:67]
	;; [unrolled: 1-line block ×5, first 2 shown]
	v_add_f64 v[38:39], v[38:39], v[52:53]
	v_add_f64 v[52:53], v[66:67], -v[36:37]
	v_add_f64 v[32:33], v[32:33], -v[52:53]
	;; [unrolled: 1-line block ×4, first 2 shown]
	v_add_f64 v[32:33], v[32:33], v[52:53]
	v_fract_f64_e32 v[64:65], v[54:55]
	v_add_f64 v[32:33], v[32:33], v[38:39]
	v_fma_f64 v[30:31], v[34:35], v[30:31], -v[36:37]
	v_add_f64 v[48:49], v[50:51], -v[48:49]
	v_add_f64 v[30:31], v[30:31], v[32:33]
	v_ldexp_f64 v[32:33], v[64:65], 2
	v_cmp_neq_f64_e64 vcc, |v[54:55]|, s[0:1]
	v_add_f64 v[50:51], v[48:49], v[68:69]
	v_mov_b32_e32 v36, 0x40100000
	v_cndmask_b32_e32 v33, 0, v33, vcc
	v_cndmask_b32_e32 v32, 0, v32, vcc
	v_add_f64 v[34:35], v[50:51], v[32:33]
	v_cmp_gt_f64_e32 vcc, 0, v[34:35]
	v_mov_b32_e32 v34, 0
	v_add_f64 v[48:49], v[50:51], -v[48:49]
	v_cndmask_b32_e32 v35, 0, v36, vcc
	v_add_f64 v[32:33], v[32:33], v[34:35]
	v_add_f64 v[36:37], v[50:51], v[32:33]
	v_cvt_i32_f64_e32 v35, v[36:37]
	v_cvt_f64_i32_e32 v[36:37], v35
	v_add_f64 v[32:33], v[32:33], -v[36:37]
	v_add_f64 v[36:37], v[50:51], v[32:33]
	v_add_f64 v[48:49], v[68:69], -v[48:49]
	v_add_f64 v[32:33], v[36:37], -v[32:33]
	v_add_f64 v[30:31], v[48:49], v[30:31]
	v_add_f64 v[32:33], v[50:51], -v[32:33]
	v_add_f64 v[30:31], v[30:31], v[32:33]
	v_cmp_le_f64_e32 vcc, 0.5, v[36:37]
	v_mov_b32_e32 v32, 0x3ff00000
	s_mov_b32 s6, 0x33145c07
	v_addc_co_u32_e64 v131, s[0:1], 0, v35, vcc
	v_cndmask_b32_e32 v35, 0, v32, vcc
	v_add_f64 v[32:33], v[36:37], -v[34:35]
	v_add_f64 v[34:35], v[32:33], v[30:31]
	s_mov_b32 s0, 0x54442d18
	v_add_f64 v[32:33], v[34:35], -v[32:33]
	s_mov_b32 s1, 0x3ff921fb
	v_add_f64 v[30:31], v[30:31], -v[32:33]
	v_mul_f64 v[32:33], v[34:35], s[0:1]
	v_fma_f64 v[36:37], v[34:35], s[0:1], -v[32:33]
	s_mov_b32 s7, 0x3c91a626
	v_fmac_f64_e32 v[36:37], s[6:7], v[34:35]
	v_fmac_f64_e32 v[36:37], s[0:1], v[30:31]
	v_add_f64 v[30:31], v[32:33], v[36:37]
	v_add_f64 v[32:33], v[30:31], -v[32:33]
	v_add_f64 v[32:33], v[36:37], -v[32:33]
	s_andn2_saveexec_b64 s[0:1], s[2:3]
	s_cbranch_execnz .LBB123_11
	s_branch .LBB123_12
.LBB123_10:
	s_andn2_saveexec_b64 s[0:1], s[2:3]
	s_cbranch_execz .LBB123_12
.LBB123_11:
	s_mov_b32 s2, 0x6dc9c883
	s_mov_b32 s3, 0x3fe45f30
	v_mul_f64 v[30:31], |v[8:9]|, s[2:3]
	s_mov_b32 s2, 0x54442d18
	v_rndne_f64_e32 v[34:35], v[30:31]
	s_mov_b32 s3, 0xbff921fb
	v_fma_f64 v[30:31], v[34:35], s[2:3], |v[8:9]|
	s_mov_b32 s3, 0xbc91a626
	s_mov_b32 s2, 0x33145c00
	v_mul_f64 v[36:37], v[34:35], s[2:3]
	v_add_f64 v[48:49], v[30:31], v[36:37]
	v_fma_f64 v[32:33], s[2:3], v[34:35], v[30:31]
	s_mov_b32 s3, 0x3c91a626
	v_add_f64 v[30:31], v[30:31], -v[48:49]
	v_fma_f64 v[38:39], s[2:3], v[34:35], v[36:37]
	v_add_f64 v[30:31], v[30:31], v[36:37]
	v_add_f64 v[36:37], v[48:49], -v[32:33]
	v_add_f64 v[30:31], v[36:37], v[30:31]
	s_mov_b32 s2, 0x252049c0
	v_add_f64 v[36:37], v[30:31], -v[38:39]
	s_mov_b32 s3, 0xb97b839a
	v_fmac_f64_e32 v[36:37], s[2:3], v[34:35]
	v_add_f64 v[30:31], v[32:33], v[36:37]
	v_add_f64 v[32:33], v[30:31], -v[32:33]
	v_add_f64 v[32:33], v[36:37], -v[32:33]
	v_cvt_i32_f64_e32 v131, v[34:35]
.LBB123_12:
	s_or_b64 exec, exec, s[0:1]
	s_mov_b32 s0, 0
	v_mul_f64 v[34:35], v[12:13], 0.5
	s_mov_b32 s1, 0x41d00000
	v_cmp_nlt_f64_e64 s[0:1], |v[34:35]|, s[0:1]
                                        ; implicit-def: $vgpr132
                                        ; implicit-def: $vgpr36_vgpr37
                                        ; implicit-def: $vgpr38_vgpr39
	s_and_saveexec_b64 s[2:3], s[0:1]
	s_xor_b64 s[2:3], exec, s[2:3]
	s_cbranch_execz .LBB123_14
; %bb.13:
	s_mov_b32 s0, 0
	s_mov_b32 s1, 0x7b000000
	s_movk_i32 s6, 0xff80
	v_and_b32_e32 v50, 0x7fffffff, v35
	v_ldexp_f64 v[48:49], |v[34:35]|, s6
	v_cmp_ge_f64_e64 vcc, |v[34:35]|, s[0:1]
	v_trig_preop_f64 v[36:37], |v[34:35]|, 0
	v_trig_preop_f64 v[38:39], |v[34:35]|, 1
	v_cndmask_b32_e32 v49, v50, v49, vcc
	v_cndmask_b32_e32 v48, v34, v48, vcc
	v_mul_f64 v[52:53], v[36:37], v[48:49]
	v_mul_f64 v[50:51], v[38:39], v[48:49]
	v_fma_f64 v[36:37], v[36:37], v[48:49], -v[52:53]
	v_add_f64 v[54:55], v[50:51], v[36:37]
	v_add_f64 v[70:71], v[54:55], -v[50:51]
	v_add_f64 v[36:37], v[36:37], -v[70:71]
	v_add_f64 v[70:71], v[54:55], -v[70:71]
	v_add_f64 v[70:71], v[50:51], -v[70:71]
	v_fma_f64 v[38:39], v[38:39], v[48:49], -v[50:51]
	v_trig_preop_f64 v[50:51], |v[34:35]|, 2
	v_add_f64 v[36:37], v[36:37], v[70:71]
	v_mul_f64 v[70:71], v[50:51], v[48:49]
	v_add_f64 v[80:81], v[70:71], v[38:39]
	v_add_f64 v[64:65], v[52:53], v[54:55]
	;; [unrolled: 1-line block ×3, first 2 shown]
	v_ldexp_f64 v[66:67], v[64:65], -2
	v_add_f64 v[52:53], v[64:65], -v[52:53]
	v_add_f64 v[64:65], v[82:83], -v[80:81]
	;; [unrolled: 1-line block ×5, first 2 shown]
	v_add_f64 v[36:37], v[36:37], v[64:65]
	v_add_f64 v[64:65], v[80:81], -v[70:71]
	v_add_f64 v[38:39], v[38:39], -v[64:65]
	;; [unrolled: 1-line block ×4, first 2 shown]
	v_add_f64 v[38:39], v[38:39], v[64:65]
	s_mov_b32 s0, 0
	v_fract_f64_e32 v[68:69], v[66:67]
	v_add_f64 v[36:37], v[38:39], v[36:37]
	v_fma_f64 v[38:39], v[50:51], v[48:49], -v[70:71]
	s_mov_b32 s1, 0x7ff00000
	v_add_f64 v[52:53], v[54:55], -v[52:53]
	v_add_f64 v[36:37], v[38:39], v[36:37]
	v_ldexp_f64 v[38:39], v[68:69], 2
	v_cmp_neq_f64_e64 vcc, |v[66:67]|, s[0:1]
	v_add_f64 v[54:55], v[52:53], v[82:83]
	v_mov_b32_e32 v50, 0x40100000
	v_cndmask_b32_e32 v39, 0, v39, vcc
	v_cndmask_b32_e32 v38, 0, v38, vcc
	v_add_f64 v[48:49], v[54:55], v[38:39]
	v_cmp_gt_f64_e32 vcc, 0, v[48:49]
	v_mov_b32_e32 v48, 0
	v_add_f64 v[52:53], v[54:55], -v[52:53]
	v_cndmask_b32_e32 v49, 0, v50, vcc
	v_add_f64 v[38:39], v[38:39], v[48:49]
	v_add_f64 v[50:51], v[54:55], v[38:39]
	v_cvt_i32_f64_e32 v49, v[50:51]
	v_cvt_f64_i32_e32 v[50:51], v49
	v_add_f64 v[38:39], v[38:39], -v[50:51]
	v_add_f64 v[50:51], v[54:55], v[38:39]
	v_add_f64 v[52:53], v[82:83], -v[52:53]
	v_add_f64 v[38:39], v[50:51], -v[38:39]
	v_add_f64 v[36:37], v[52:53], v[36:37]
	v_add_f64 v[38:39], v[54:55], -v[38:39]
	v_add_f64 v[36:37], v[36:37], v[38:39]
	v_cmp_le_f64_e32 vcc, 0.5, v[50:51]
	v_mov_b32_e32 v38, 0x3ff00000
	s_mov_b32 s6, 0x33145c07
	v_addc_co_u32_e64 v132, s[0:1], 0, v49, vcc
	v_cndmask_b32_e32 v49, 0, v38, vcc
	v_add_f64 v[38:39], v[50:51], -v[48:49]
	v_add_f64 v[48:49], v[38:39], v[36:37]
	s_mov_b32 s0, 0x54442d18
	v_add_f64 v[38:39], v[48:49], -v[38:39]
	s_mov_b32 s1, 0x3ff921fb
	v_add_f64 v[36:37], v[36:37], -v[38:39]
	v_mul_f64 v[38:39], v[48:49], s[0:1]
	v_fma_f64 v[50:51], v[48:49], s[0:1], -v[38:39]
	s_mov_b32 s7, 0x3c91a626
	v_fmac_f64_e32 v[50:51], s[6:7], v[48:49]
	v_fmac_f64_e32 v[50:51], s[0:1], v[36:37]
	v_add_f64 v[36:37], v[38:39], v[50:51]
	v_add_f64 v[38:39], v[36:37], -v[38:39]
	v_add_f64 v[38:39], v[50:51], -v[38:39]
.LBB123_14:
	s_andn2_saveexec_b64 s[0:1], s[2:3]
	s_cbranch_execz .LBB123_16
; %bb.15:
	s_mov_b32 s2, 0x6dc9c883
	s_mov_b32 s3, 0x3fe45f30
	v_mul_f64 v[36:37], |v[34:35]|, s[2:3]
	s_mov_b32 s2, 0x54442d18
	v_rndne_f64_e32 v[48:49], v[36:37]
	s_mov_b32 s3, 0xbff921fb
	v_fma_f64 v[36:37], v[48:49], s[2:3], |v[34:35]|
	s_mov_b32 s3, 0xbc91a626
	s_mov_b32 s2, 0x33145c00
	v_mul_f64 v[50:51], v[48:49], s[2:3]
	v_add_f64 v[54:55], v[36:37], v[50:51]
	v_fma_f64 v[38:39], s[2:3], v[48:49], v[36:37]
	s_mov_b32 s3, 0x3c91a626
	v_add_f64 v[36:37], v[36:37], -v[54:55]
	v_fma_f64 v[52:53], s[2:3], v[48:49], v[50:51]
	v_add_f64 v[36:37], v[36:37], v[50:51]
	v_add_f64 v[50:51], v[54:55], -v[38:39]
	v_add_f64 v[36:37], v[50:51], v[36:37]
	s_mov_b32 s2, 0x252049c0
	v_add_f64 v[50:51], v[36:37], -v[52:53]
	s_mov_b32 s3, 0xb97b839a
	v_fmac_f64_e32 v[50:51], s[2:3], v[48:49]
	v_add_f64 v[36:37], v[38:39], v[50:51]
	v_add_f64 v[38:39], v[36:37], -v[38:39]
	v_add_f64 v[38:39], v[50:51], -v[38:39]
	v_cvt_i32_f64_e32 v132, v[48:49]
.LBB123_16:
	s_or_b64 exec, exec, s[0:1]
	s_mov_b32 s0, 0
	s_mov_b32 s1, 0x41d00000
	v_cmp_nlt_f64_e64 s[2:3], |v[12:13]|, s[0:1]
	v_trig_preop_f64 v[68:69], |v[12:13]|, 0
	v_trig_preop_f64 v[66:67], |v[12:13]|, 1
	;; [unrolled: 1-line block ×3, first 2 shown]
                                        ; implicit-def: $vgpr133
                                        ; implicit-def: $vgpr48_vgpr49
                                        ; implicit-def: $vgpr50_vgpr51
	s_and_saveexec_b64 s[0:1], s[2:3]
	s_xor_b64 s[6:7], exec, s[0:1]
	s_cbranch_execz .LBB123_18
; %bb.17:
	s_mov_b32 s0, 0
	s_mov_b32 s1, 0x7b000000
	s_movk_i32 s8, 0xff80
	v_and_b32_e32 v50, 0x7fffffff, v13
	v_ldexp_f64 v[48:49], |v[12:13]|, s8
	v_cmp_ge_f64_e64 vcc, |v[12:13]|, s[0:1]
	s_mov_b32 s0, 0
	s_mov_b32 s1, 0x7ff00000
	v_cndmask_b32_e32 v49, v50, v49, vcc
	v_cndmask_b32_e32 v48, v12, v48, vcc
	v_mul_f64 v[52:53], v[68:69], v[48:49]
	v_mul_f64 v[50:51], v[66:67], v[48:49]
	v_fma_f64 v[54:55], v[68:69], v[48:49], -v[52:53]
	v_add_f64 v[70:71], v[50:51], v[54:55]
	v_add_f64 v[86:87], v[70:71], -v[50:51]
	v_add_f64 v[54:55], v[54:55], -v[86:87]
	;; [unrolled: 1-line block ×4, first 2 shown]
	v_add_f64 v[54:55], v[54:55], v[86:87]
	v_fma_f64 v[50:51], v[66:67], v[48:49], -v[50:51]
	v_mul_f64 v[86:87], v[64:65], v[48:49]
	v_add_f64 v[96:97], v[86:87], v[50:51]
	v_add_f64 v[80:81], v[52:53], v[70:71]
	;; [unrolled: 1-line block ×3, first 2 shown]
	v_ldexp_f64 v[82:83], v[80:81], -2
	v_add_f64 v[52:53], v[80:81], -v[52:53]
	v_add_f64 v[80:81], v[98:99], -v[96:97]
	;; [unrolled: 1-line block ×5, first 2 shown]
	v_add_f64 v[54:55], v[54:55], v[80:81]
	v_add_f64 v[80:81], v[96:97], -v[86:87]
	v_add_f64 v[50:51], v[50:51], -v[80:81]
	;; [unrolled: 1-line block ×5, first 2 shown]
	v_add_f64 v[50:51], v[50:51], v[80:81]
	v_fract_f64_e32 v[84:85], v[82:83]
	v_add_f64 v[70:71], v[52:53], v[98:99]
	v_add_f64 v[50:51], v[50:51], v[54:55]
	v_fma_f64 v[48:49], v[64:65], v[48:49], -v[86:87]
	v_add_f64 v[52:53], v[70:71], -v[52:53]
	v_add_f64 v[48:49], v[48:49], v[50:51]
	v_ldexp_f64 v[50:51], v[84:85], 2
	v_cmp_neq_f64_e64 vcc, |v[82:83]|, s[0:1]
	v_add_f64 v[52:53], v[98:99], -v[52:53]
	v_add_f64 v[48:49], v[52:53], v[48:49]
	v_cndmask_b32_e32 v51, 0, v51, vcc
	v_cndmask_b32_e32 v50, 0, v50, vcc
	v_add_f64 v[52:53], v[70:71], v[50:51]
	v_mov_b32_e32 v54, 0x40100000
	v_cmp_gt_f64_e32 vcc, 0, v[52:53]
	v_mov_b32_e32 v52, 0
	s_mov_b32 s8, 0x33145c07
	v_cndmask_b32_e32 v53, 0, v54, vcc
	v_add_f64 v[50:51], v[50:51], v[52:53]
	v_add_f64 v[54:55], v[70:71], v[50:51]
	v_cvt_i32_f64_e32 v53, v[54:55]
	v_cvt_f64_i32_e32 v[54:55], v53
	v_add_f64 v[50:51], v[50:51], -v[54:55]
	v_add_f64 v[54:55], v[70:71], v[50:51]
	v_add_f64 v[50:51], v[54:55], -v[50:51]
	v_add_f64 v[50:51], v[70:71], -v[50:51]
	v_add_f64 v[48:49], v[48:49], v[50:51]
	v_cmp_le_f64_e32 vcc, 0.5, v[54:55]
	v_mov_b32_e32 v50, 0x3ff00000
	s_mov_b32 s9, 0x3c91a626
	v_addc_co_u32_e64 v133, s[0:1], 0, v53, vcc
	v_cndmask_b32_e32 v53, 0, v50, vcc
	v_add_f64 v[50:51], v[54:55], -v[52:53]
	v_add_f64 v[52:53], v[50:51], v[48:49]
	s_mov_b32 s0, 0x54442d18
	v_add_f64 v[50:51], v[52:53], -v[50:51]
	s_mov_b32 s1, 0x3ff921fb
	v_add_f64 v[48:49], v[48:49], -v[50:51]
	v_mul_f64 v[50:51], v[52:53], s[0:1]
	v_fma_f64 v[54:55], v[52:53], s[0:1], -v[50:51]
	v_fmac_f64_e32 v[54:55], s[8:9], v[52:53]
	v_fmac_f64_e32 v[54:55], s[0:1], v[48:49]
	v_add_f64 v[48:49], v[50:51], v[54:55]
	v_add_f64 v[50:51], v[48:49], -v[50:51]
	v_add_f64 v[50:51], v[54:55], -v[50:51]
	s_andn2_saveexec_b64 s[0:1], s[6:7]
	s_cbranch_execz .LBB123_20
	s_branch .LBB123_19
.LBB123_18:
	s_andn2_saveexec_b64 s[0:1], s[6:7]
	s_cbranch_execz .LBB123_20
.LBB123_19:
	s_mov_b32 s6, 0x6dc9c883
	s_mov_b32 s7, 0x3fe45f30
	v_mul_f64 v[48:49], |v[12:13]|, s[6:7]
	s_mov_b32 s6, 0x54442d18
	v_rndne_f64_e32 v[52:53], v[48:49]
	s_mov_b32 s7, 0xbff921fb
	v_fma_f64 v[48:49], v[52:53], s[6:7], |v[12:13]|
	s_mov_b32 s7, 0xbc91a626
	s_mov_b32 s6, 0x33145c00
	v_mul_f64 v[54:55], v[52:53], s[6:7]
	v_add_f64 v[80:81], v[48:49], v[54:55]
	v_fma_f64 v[50:51], s[6:7], v[52:53], v[48:49]
	s_mov_b32 s7, 0x3c91a626
	v_add_f64 v[48:49], v[48:49], -v[80:81]
	v_fma_f64 v[70:71], s[6:7], v[52:53], v[54:55]
	v_add_f64 v[48:49], v[48:49], v[54:55]
	v_add_f64 v[54:55], v[80:81], -v[50:51]
	v_add_f64 v[48:49], v[54:55], v[48:49]
	s_mov_b32 s6, 0x252049c0
	v_add_f64 v[54:55], v[48:49], -v[70:71]
	s_mov_b32 s7, 0xb97b839a
	v_fmac_f64_e32 v[54:55], s[6:7], v[52:53]
	v_add_f64 v[48:49], v[50:51], v[54:55]
	v_add_f64 v[50:51], v[48:49], -v[50:51]
	v_add_f64 v[50:51], v[54:55], -v[50:51]
	v_cvt_i32_f64_e32 v133, v[52:53]
.LBB123_20:
	s_or_b64 exec, exec, s[0:1]
                                        ; implicit-def: $vgpr134
                                        ; implicit-def: $vgpr52_vgpr53
                                        ; implicit-def: $vgpr54_vgpr55
	s_and_saveexec_b64 s[0:1], s[2:3]
	s_xor_b64 s[2:3], exec, s[0:1]
	s_cbranch_execz .LBB123_22
; %bb.21:
	s_mov_b32 s0, 0
	s_mov_b32 s1, 0x7b000000
	s_movk_i32 s6, 0xff80
	v_and_b32_e32 v54, 0x7fffffff, v13
	v_ldexp_f64 v[52:53], |v[12:13]|, s6
	v_cmp_ge_f64_e64 vcc, |v[12:13]|, s[0:1]
	s_mov_b32 s0, 0
	s_mov_b32 s1, 0x7ff00000
	v_cndmask_b32_e32 v53, v54, v53, vcc
	v_cndmask_b32_e32 v52, v12, v52, vcc
	v_mul_f64 v[70:71], v[68:69], v[52:53]
	v_mul_f64 v[54:55], v[66:67], v[52:53]
	v_fma_f64 v[68:69], v[68:69], v[52:53], -v[70:71]
	v_add_f64 v[80:81], v[54:55], v[68:69]
	v_add_f64 v[96:97], v[80:81], -v[54:55]
	v_add_f64 v[68:69], v[68:69], -v[96:97]
	;; [unrolled: 1-line block ×4, first 2 shown]
	v_fma_f64 v[54:55], v[66:67], v[52:53], -v[54:55]
	v_mul_f64 v[66:67], v[64:65], v[52:53]
	v_add_f64 v[68:69], v[68:69], v[96:97]
	v_add_f64 v[96:97], v[66:67], v[54:55]
	;; [unrolled: 1-line block ×4, first 2 shown]
	v_ldexp_f64 v[84:85], v[82:83], -2
	v_add_f64 v[70:71], v[82:83], -v[70:71]
	v_add_f64 v[82:83], v[98:99], -v[96:97]
	;; [unrolled: 1-line block ×5, first 2 shown]
	v_add_f64 v[68:69], v[68:69], v[82:83]
	v_add_f64 v[82:83], v[96:97], -v[66:67]
	v_add_f64 v[54:55], v[54:55], -v[82:83]
	;; [unrolled: 1-line block ×4, first 2 shown]
	v_add_f64 v[54:55], v[54:55], v[82:83]
	v_fract_f64_e32 v[86:87], v[84:85]
	v_add_f64 v[54:55], v[54:55], v[68:69]
	v_fma_f64 v[52:53], v[64:65], v[52:53], -v[66:67]
	v_add_f64 v[70:71], v[80:81], -v[70:71]
	v_add_f64 v[52:53], v[52:53], v[54:55]
	v_ldexp_f64 v[54:55], v[86:87], 2
	v_cmp_neq_f64_e64 vcc, |v[84:85]|, s[0:1]
	v_add_f64 v[80:81], v[70:71], v[98:99]
	v_mov_b32_e32 v66, 0x40100000
	v_cndmask_b32_e32 v55, 0, v55, vcc
	v_cndmask_b32_e32 v54, 0, v54, vcc
	v_add_f64 v[64:65], v[80:81], v[54:55]
	v_cmp_gt_f64_e32 vcc, 0, v[64:65]
	v_mov_b32_e32 v64, 0
	v_add_f64 v[70:71], v[80:81], -v[70:71]
	v_cndmask_b32_e32 v65, 0, v66, vcc
	v_add_f64 v[54:55], v[54:55], v[64:65]
	v_add_f64 v[66:67], v[80:81], v[54:55]
	v_cvt_i32_f64_e32 v65, v[66:67]
	v_cvt_f64_i32_e32 v[66:67], v65
	v_add_f64 v[54:55], v[54:55], -v[66:67]
	v_add_f64 v[66:67], v[80:81], v[54:55]
	v_add_f64 v[70:71], v[98:99], -v[70:71]
	v_add_f64 v[54:55], v[66:67], -v[54:55]
	v_add_f64 v[52:53], v[70:71], v[52:53]
	v_add_f64 v[54:55], v[80:81], -v[54:55]
	v_add_f64 v[52:53], v[52:53], v[54:55]
	v_cmp_le_f64_e32 vcc, 0.5, v[66:67]
	v_mov_b32_e32 v54, 0x3ff00000
	s_mov_b32 s6, 0x33145c07
	v_addc_co_u32_e64 v134, s[0:1], 0, v65, vcc
	v_cndmask_b32_e32 v65, 0, v54, vcc
	v_add_f64 v[54:55], v[66:67], -v[64:65]
	v_add_f64 v[64:65], v[54:55], v[52:53]
	s_mov_b32 s0, 0x54442d18
	v_add_f64 v[54:55], v[64:65], -v[54:55]
	s_mov_b32 s1, 0x3ff921fb
	v_add_f64 v[52:53], v[52:53], -v[54:55]
	v_mul_f64 v[54:55], v[64:65], s[0:1]
	v_fma_f64 v[66:67], v[64:65], s[0:1], -v[54:55]
	s_mov_b32 s7, 0x3c91a626
	v_fmac_f64_e32 v[66:67], s[6:7], v[64:65]
	v_fmac_f64_e32 v[66:67], s[0:1], v[52:53]
	v_add_f64 v[52:53], v[54:55], v[66:67]
	v_add_f64 v[54:55], v[52:53], -v[54:55]
	v_add_f64 v[54:55], v[66:67], -v[54:55]
	s_andn2_saveexec_b64 s[0:1], s[2:3]
	s_cbranch_execnz .LBB123_23
	s_branch .LBB123_24
.LBB123_22:
	s_andn2_saveexec_b64 s[0:1], s[2:3]
	s_cbranch_execz .LBB123_24
.LBB123_23:
	s_mov_b32 s2, 0x6dc9c883
	s_mov_b32 s3, 0x3fe45f30
	v_mul_f64 v[52:53], |v[12:13]|, s[2:3]
	s_mov_b32 s2, 0x54442d18
	v_rndne_f64_e32 v[64:65], v[52:53]
	s_mov_b32 s3, 0xbff921fb
	v_fma_f64 v[52:53], v[64:65], s[2:3], |v[12:13]|
	s_mov_b32 s3, 0xbc91a626
	s_mov_b32 s2, 0x33145c00
	v_mul_f64 v[66:67], v[64:65], s[2:3]
	v_add_f64 v[70:71], v[52:53], v[66:67]
	v_fma_f64 v[54:55], s[2:3], v[64:65], v[52:53]
	s_mov_b32 s3, 0x3c91a626
	v_add_f64 v[52:53], v[52:53], -v[70:71]
	v_fma_f64 v[68:69], s[2:3], v[64:65], v[66:67]
	v_add_f64 v[52:53], v[52:53], v[66:67]
	v_add_f64 v[66:67], v[70:71], -v[54:55]
	v_add_f64 v[52:53], v[66:67], v[52:53]
	s_mov_b32 s2, 0x252049c0
	v_add_f64 v[66:67], v[52:53], -v[68:69]
	s_mov_b32 s3, 0xb97b839a
	v_fmac_f64_e32 v[66:67], s[2:3], v[64:65]
	v_add_f64 v[52:53], v[54:55], v[66:67]
	v_add_f64 v[54:55], v[52:53], -v[54:55]
	v_add_f64 v[54:55], v[66:67], -v[54:55]
	v_cvt_i32_f64_e32 v134, v[64:65]
.LBB123_24:
	s_or_b64 exec, exec, s[0:1]
	s_mov_b32 s0, 0
	v_mul_f64 v[64:65], v[16:17], 0.5
	s_mov_b32 s1, 0x41d00000
	v_cmp_nlt_f64_e64 s[0:1], |v[64:65]|, s[0:1]
                                        ; implicit-def: $vgpr135
                                        ; implicit-def: $vgpr68_vgpr69
                                        ; implicit-def: $vgpr80_vgpr81
	s_and_saveexec_b64 s[2:3], s[0:1]
	s_xor_b64 s[2:3], exec, s[2:3]
	s_cbranch_execz .LBB123_26
; %bb.25:
	s_mov_b32 s0, 0
	s_mov_b32 s1, 0x7b000000
	s_movk_i32 s6, 0xff80
	v_and_b32_e32 v80, 0x7fffffff, v65
	v_ldexp_f64 v[70:71], |v[64:65]|, s6
	v_cmp_ge_f64_e64 vcc, |v[64:65]|, s[0:1]
	v_trig_preop_f64 v[66:67], |v[64:65]|, 0
	v_trig_preop_f64 v[68:69], |v[64:65]|, 1
	v_cndmask_b32_e32 v71, v80, v71, vcc
	v_cndmask_b32_e32 v70, v64, v70, vcc
	v_mul_f64 v[82:83], v[66:67], v[70:71]
	v_mul_f64 v[80:81], v[68:69], v[70:71]
	v_fma_f64 v[66:67], v[66:67], v[70:71], -v[82:83]
	v_add_f64 v[84:85], v[80:81], v[66:67]
	v_add_f64 v[100:101], v[84:85], -v[80:81]
	v_add_f64 v[66:67], v[66:67], -v[100:101]
	v_add_f64 v[100:101], v[84:85], -v[100:101]
	v_add_f64 v[100:101], v[80:81], -v[100:101]
	v_fma_f64 v[68:69], v[68:69], v[70:71], -v[80:81]
	v_trig_preop_f64 v[80:81], |v[64:65]|, 2
	v_add_f64 v[66:67], v[66:67], v[100:101]
	v_mul_f64 v[100:101], v[80:81], v[70:71]
	v_add_f64 v[102:103], v[100:101], v[68:69]
	v_add_f64 v[86:87], v[82:83], v[84:85]
	;; [unrolled: 1-line block ×3, first 2 shown]
	v_ldexp_f64 v[96:97], v[86:87], -2
	v_add_f64 v[82:83], v[86:87], -v[82:83]
	v_add_f64 v[86:87], v[112:113], -v[102:103]
	;; [unrolled: 1-line block ×5, first 2 shown]
	v_add_f64 v[66:67], v[66:67], v[86:87]
	v_add_f64 v[86:87], v[102:103], -v[100:101]
	v_add_f64 v[68:69], v[68:69], -v[86:87]
	;; [unrolled: 1-line block ×4, first 2 shown]
	v_add_f64 v[68:69], v[68:69], v[86:87]
	s_mov_b32 s0, 0
	v_fract_f64_e32 v[98:99], v[96:97]
	v_add_f64 v[66:67], v[68:69], v[66:67]
	v_fma_f64 v[68:69], v[80:81], v[70:71], -v[100:101]
	s_mov_b32 s1, 0x7ff00000
	v_add_f64 v[82:83], v[84:85], -v[82:83]
	v_add_f64 v[66:67], v[68:69], v[66:67]
	v_ldexp_f64 v[68:69], v[98:99], 2
	v_cmp_neq_f64_e64 vcc, |v[96:97]|, s[0:1]
	v_add_f64 v[84:85], v[82:83], v[112:113]
	v_mov_b32_e32 v80, 0x40100000
	v_cndmask_b32_e32 v69, 0, v69, vcc
	v_cndmask_b32_e32 v68, 0, v68, vcc
	v_add_f64 v[70:71], v[84:85], v[68:69]
	v_cmp_gt_f64_e32 vcc, 0, v[70:71]
	v_mov_b32_e32 v70, 0
	v_add_f64 v[82:83], v[84:85], -v[82:83]
	v_cndmask_b32_e32 v71, 0, v80, vcc
	v_add_f64 v[68:69], v[68:69], v[70:71]
	v_add_f64 v[80:81], v[84:85], v[68:69]
	v_cvt_i32_f64_e32 v71, v[80:81]
	v_cvt_f64_i32_e32 v[80:81], v71
	v_add_f64 v[68:69], v[68:69], -v[80:81]
	v_add_f64 v[80:81], v[84:85], v[68:69]
	v_add_f64 v[82:83], v[112:113], -v[82:83]
	v_add_f64 v[68:69], v[80:81], -v[68:69]
	v_add_f64 v[66:67], v[82:83], v[66:67]
	v_add_f64 v[68:69], v[84:85], -v[68:69]
	v_add_f64 v[66:67], v[66:67], v[68:69]
	v_cmp_le_f64_e32 vcc, 0.5, v[80:81]
	v_mov_b32_e32 v68, 0x3ff00000
	s_mov_b32 s6, 0x33145c07
	v_addc_co_u32_e64 v135, s[0:1], 0, v71, vcc
	v_cndmask_b32_e32 v71, 0, v68, vcc
	v_add_f64 v[68:69], v[80:81], -v[70:71]
	s_mov_b32 s0, 0x54442d18
	v_add_f64 v[70:71], v[68:69], v[66:67]
	s_mov_b32 s1, 0x3ff921fb
	v_mul_f64 v[80:81], v[70:71], s[0:1]
	v_add_f64 v[68:69], v[70:71], -v[68:69]
	v_fma_f64 v[82:83], v[70:71], s[0:1], -v[80:81]
	s_mov_b32 s7, 0x3c91a626
	v_add_f64 v[66:67], v[66:67], -v[68:69]
	v_fmac_f64_e32 v[82:83], s[6:7], v[70:71]
	v_fmac_f64_e32 v[82:83], s[0:1], v[66:67]
	v_add_f64 v[68:69], v[80:81], v[82:83]
	v_add_f64 v[66:67], v[68:69], -v[80:81]
	v_add_f64 v[80:81], v[82:83], -v[66:67]
.LBB123_26:
	s_andn2_saveexec_b64 s[0:1], s[2:3]
	s_cbranch_execz .LBB123_28
; %bb.27:
	s_mov_b32 s2, 0x6dc9c883
	s_mov_b32 s3, 0x3fe45f30
	v_mul_f64 v[66:67], |v[64:65]|, s[2:3]
	s_mov_b32 s2, 0x54442d18
	v_rndne_f64_e32 v[66:67], v[66:67]
	s_mov_b32 s3, 0xbff921fb
	v_fma_f64 v[68:69], v[66:67], s[2:3], |v[64:65]|
	s_mov_b32 s3, 0xbc91a626
	s_mov_b32 s2, 0x33145c00
	v_mul_f64 v[80:81], v[66:67], s[2:3]
	v_add_f64 v[84:85], v[68:69], v[80:81]
	v_fma_f64 v[70:71], s[2:3], v[66:67], v[68:69]
	s_mov_b32 s3, 0x3c91a626
	v_add_f64 v[68:69], v[68:69], -v[84:85]
	v_fma_f64 v[82:83], s[2:3], v[66:67], v[80:81]
	v_add_f64 v[68:69], v[68:69], v[80:81]
	v_add_f64 v[80:81], v[84:85], -v[70:71]
	v_add_f64 v[68:69], v[80:81], v[68:69]
	s_mov_b32 s2, 0x252049c0
	v_add_f64 v[80:81], v[68:69], -v[82:83]
	s_mov_b32 s3, 0xb97b839a
	v_fmac_f64_e32 v[80:81], s[2:3], v[66:67]
	v_add_f64 v[68:69], v[70:71], v[80:81]
	v_add_f64 v[70:71], v[68:69], -v[70:71]
	v_add_f64 v[80:81], v[80:81], -v[70:71]
	v_cvt_i32_f64_e32 v135, v[66:67]
.LBB123_28:
	s_or_b64 exec, exec, s[0:1]
	s_mov_b32 s0, 0
	s_mov_b32 s1, 0x41d00000
	v_cmp_nlt_f64_e64 s[2:3], |v[16:17]|, s[0:1]
	v_trig_preop_f64 v[82:83], |v[16:17]|, 0
	v_trig_preop_f64 v[70:71], |v[16:17]|, 1
	;; [unrolled: 1-line block ×3, first 2 shown]
                                        ; implicit-def: $vgpr145
                                        ; implicit-def: $vgpr84_vgpr85
                                        ; implicit-def: $vgpr96_vgpr97
	s_and_saveexec_b64 s[0:1], s[2:3]
	s_xor_b64 s[6:7], exec, s[0:1]
	s_cbranch_execz .LBB123_30
; %bb.29:
	s_mov_b32 s0, 0
	s_mov_b32 s1, 0x7b000000
	s_movk_i32 s8, 0xff80
	v_and_b32_e32 v86, 0x7fffffff, v17
	v_ldexp_f64 v[84:85], |v[16:17]|, s8
	v_cmp_ge_f64_e64 vcc, |v[16:17]|, s[0:1]
	s_mov_b32 s0, 0
	s_mov_b32 s1, 0x7ff00000
	v_cndmask_b32_e32 v85, v86, v85, vcc
	v_cndmask_b32_e32 v84, v16, v84, vcc
	v_mul_f64 v[96:97], v[82:83], v[84:85]
	v_mul_f64 v[86:87], v[70:71], v[84:85]
	v_fma_f64 v[98:99], v[82:83], v[84:85], -v[96:97]
	v_add_f64 v[100:101], v[86:87], v[98:99]
	v_add_f64 v[116:117], v[100:101], -v[86:87]
	v_add_f64 v[98:99], v[98:99], -v[116:117]
	;; [unrolled: 1-line block ×4, first 2 shown]
	v_add_f64 v[98:99], v[98:99], v[116:117]
	v_fma_f64 v[86:87], v[70:71], v[84:85], -v[86:87]
	v_mul_f64 v[116:117], v[66:67], v[84:85]
	v_add_f64 v[118:119], v[116:117], v[86:87]
	v_add_f64 v[102:103], v[96:97], v[100:101]
	;; [unrolled: 1-line block ×3, first 2 shown]
	v_ldexp_f64 v[112:113], v[102:103], -2
	v_add_f64 v[96:97], v[102:103], -v[96:97]
	v_add_f64 v[102:103], v[128:129], -v[118:119]
	;; [unrolled: 1-line block ×5, first 2 shown]
	v_add_f64 v[98:99], v[98:99], v[102:103]
	v_add_f64 v[102:103], v[118:119], -v[116:117]
	v_add_f64 v[86:87], v[86:87], -v[102:103]
	;; [unrolled: 1-line block ×5, first 2 shown]
	v_add_f64 v[86:87], v[86:87], v[102:103]
	v_fract_f64_e32 v[114:115], v[112:113]
	v_add_f64 v[100:101], v[96:97], v[128:129]
	v_add_f64 v[86:87], v[86:87], v[98:99]
	v_fma_f64 v[84:85], v[66:67], v[84:85], -v[116:117]
	v_add_f64 v[96:97], v[100:101], -v[96:97]
	v_add_f64 v[84:85], v[84:85], v[86:87]
	v_ldexp_f64 v[86:87], v[114:115], 2
	v_cmp_neq_f64_e64 vcc, |v[112:113]|, s[0:1]
	v_add_f64 v[96:97], v[128:129], -v[96:97]
	v_add_f64 v[84:85], v[96:97], v[84:85]
	v_cndmask_b32_e32 v87, 0, v87, vcc
	v_cndmask_b32_e32 v86, 0, v86, vcc
	v_add_f64 v[96:97], v[100:101], v[86:87]
	v_mov_b32_e32 v98, 0x40100000
	v_cmp_gt_f64_e32 vcc, 0, v[96:97]
	v_mov_b32_e32 v96, 0
	s_mov_b32 s8, 0x33145c07
	v_cndmask_b32_e32 v97, 0, v98, vcc
	v_add_f64 v[86:87], v[86:87], v[96:97]
	v_add_f64 v[98:99], v[100:101], v[86:87]
	v_cvt_i32_f64_e32 v97, v[98:99]
	v_cvt_f64_i32_e32 v[98:99], v97
	v_add_f64 v[86:87], v[86:87], -v[98:99]
	v_add_f64 v[98:99], v[100:101], v[86:87]
	v_add_f64 v[86:87], v[98:99], -v[86:87]
	v_add_f64 v[86:87], v[100:101], -v[86:87]
	v_add_f64 v[84:85], v[84:85], v[86:87]
	v_cmp_le_f64_e32 vcc, 0.5, v[98:99]
	v_mov_b32_e32 v86, 0x3ff00000
	s_mov_b32 s9, 0x3c91a626
	v_addc_co_u32_e64 v145, s[0:1], 0, v97, vcc
	v_cndmask_b32_e32 v97, 0, v86, vcc
	v_add_f64 v[86:87], v[98:99], -v[96:97]
	v_add_f64 v[96:97], v[86:87], v[84:85]
	s_mov_b32 s0, 0x54442d18
	v_add_f64 v[86:87], v[96:97], -v[86:87]
	s_mov_b32 s1, 0x3ff921fb
	v_add_f64 v[84:85], v[84:85], -v[86:87]
	v_mul_f64 v[86:87], v[96:97], s[0:1]
	v_fma_f64 v[98:99], v[96:97], s[0:1], -v[86:87]
	v_fmac_f64_e32 v[98:99], s[8:9], v[96:97]
	v_fmac_f64_e32 v[98:99], s[0:1], v[84:85]
	v_add_f64 v[84:85], v[86:87], v[98:99]
	v_add_f64 v[86:87], v[84:85], -v[86:87]
	v_add_f64 v[96:97], v[98:99], -v[86:87]
	s_andn2_saveexec_b64 s[0:1], s[6:7]
	s_cbranch_execz .LBB123_32
	s_branch .LBB123_31
.LBB123_30:
	s_andn2_saveexec_b64 s[0:1], s[6:7]
	s_cbranch_execz .LBB123_32
.LBB123_31:
	s_mov_b32 s6, 0x6dc9c883
	s_mov_b32 s7, 0x3fe45f30
	v_mul_f64 v[84:85], |v[16:17]|, s[6:7]
	s_mov_b32 s6, 0x54442d18
	v_rndne_f64_e32 v[86:87], v[84:85]
	s_mov_b32 s7, 0xbff921fb
	v_fma_f64 v[84:85], v[86:87], s[6:7], |v[16:17]|
	s_mov_b32 s7, 0xbc91a626
	s_mov_b32 s6, 0x33145c00
	v_mul_f64 v[98:99], v[86:87], s[6:7]
	v_add_f64 v[102:103], v[84:85], v[98:99]
	v_fma_f64 v[96:97], s[6:7], v[86:87], v[84:85]
	s_mov_b32 s7, 0x3c91a626
	v_add_f64 v[84:85], v[84:85], -v[102:103]
	v_fma_f64 v[100:101], s[6:7], v[86:87], v[98:99]
	v_add_f64 v[84:85], v[84:85], v[98:99]
	v_add_f64 v[98:99], v[102:103], -v[96:97]
	v_add_f64 v[84:85], v[98:99], v[84:85]
	s_mov_b32 s6, 0x252049c0
	v_add_f64 v[98:99], v[84:85], -v[100:101]
	s_mov_b32 s7, 0xb97b839a
	v_fmac_f64_e32 v[98:99], s[6:7], v[86:87]
	v_add_f64 v[84:85], v[96:97], v[98:99]
	v_add_f64 v[96:97], v[84:85], -v[96:97]
	v_add_f64 v[96:97], v[98:99], -v[96:97]
	v_cvt_i32_f64_e32 v145, v[86:87]
.LBB123_32:
	s_or_b64 exec, exec, s[0:1]
                                        ; implicit-def: $vgpr148
                                        ; implicit-def: $vgpr114_vgpr115
                                        ; implicit-def: $vgpr116_vgpr117
	s_and_saveexec_b64 s[0:1], s[2:3]
	s_xor_b64 s[2:3], exec, s[0:1]
	s_cbranch_execz .LBB123_34
; %bb.33:
	s_mov_b32 s0, 0
	s_mov_b32 s1, 0x7b000000
	s_movk_i32 s6, 0xff80
	v_and_b32_e32 v98, 0x7fffffff, v17
	v_ldexp_f64 v[86:87], |v[16:17]|, s6
	v_cmp_ge_f64_e64 vcc, |v[16:17]|, s[0:1]
	s_mov_b32 s0, 0
	s_mov_b32 s1, 0x7ff00000
	v_cndmask_b32_e32 v87, v98, v87, vcc
	v_cndmask_b32_e32 v86, v16, v86, vcc
	v_mul_f64 v[100:101], v[82:83], v[86:87]
	v_mul_f64 v[98:99], v[70:71], v[86:87]
	v_fma_f64 v[82:83], v[82:83], v[86:87], -v[100:101]
	v_add_f64 v[102:103], v[98:99], v[82:83]
	v_add_f64 v[118:119], v[102:103], -v[98:99]
	v_add_f64 v[82:83], v[82:83], -v[118:119]
	;; [unrolled: 1-line block ×4, first 2 shown]
	v_fma_f64 v[70:71], v[70:71], v[86:87], -v[98:99]
	v_mul_f64 v[98:99], v[66:67], v[86:87]
	v_add_f64 v[82:83], v[82:83], v[118:119]
	v_add_f64 v[118:119], v[98:99], v[70:71]
	;; [unrolled: 1-line block ×4, first 2 shown]
	v_ldexp_f64 v[114:115], v[112:113], -2
	v_add_f64 v[100:101], v[112:113], -v[100:101]
	v_add_f64 v[112:113], v[128:129], -v[118:119]
	;; [unrolled: 1-line block ×5, first 2 shown]
	v_add_f64 v[82:83], v[82:83], v[112:113]
	v_add_f64 v[112:113], v[118:119], -v[98:99]
	v_add_f64 v[70:71], v[70:71], -v[112:113]
	;; [unrolled: 1-line block ×4, first 2 shown]
	v_add_f64 v[70:71], v[70:71], v[112:113]
	v_fract_f64_e32 v[116:117], v[114:115]
	v_add_f64 v[70:71], v[70:71], v[82:83]
	v_fma_f64 v[66:67], v[66:67], v[86:87], -v[98:99]
	v_add_f64 v[100:101], v[102:103], -v[100:101]
	v_add_f64 v[66:67], v[66:67], v[70:71]
	v_ldexp_f64 v[70:71], v[116:117], 2
	v_cmp_neq_f64_e64 vcc, |v[114:115]|, s[0:1]
	v_add_f64 v[102:103], v[100:101], v[128:129]
	v_mov_b32_e32 v86, 0x40100000
	v_cndmask_b32_e32 v71, 0, v71, vcc
	v_cndmask_b32_e32 v70, 0, v70, vcc
	v_add_f64 v[82:83], v[102:103], v[70:71]
	v_cmp_gt_f64_e32 vcc, 0, v[82:83]
	v_mov_b32_e32 v82, 0
	v_add_f64 v[100:101], v[102:103], -v[100:101]
	v_cndmask_b32_e32 v83, 0, v86, vcc
	v_add_f64 v[70:71], v[70:71], v[82:83]
	v_add_f64 v[86:87], v[102:103], v[70:71]
	v_cvt_i32_f64_e32 v83, v[86:87]
	v_cvt_f64_i32_e32 v[86:87], v83
	v_add_f64 v[70:71], v[70:71], -v[86:87]
	v_add_f64 v[86:87], v[102:103], v[70:71]
	v_add_f64 v[100:101], v[128:129], -v[100:101]
	v_add_f64 v[70:71], v[86:87], -v[70:71]
	v_add_f64 v[66:67], v[100:101], v[66:67]
	v_add_f64 v[70:71], v[102:103], -v[70:71]
	v_add_f64 v[66:67], v[66:67], v[70:71]
	v_cmp_le_f64_e32 vcc, 0.5, v[86:87]
	v_mov_b32_e32 v70, 0x3ff00000
	s_mov_b32 s6, 0x33145c07
	v_addc_co_u32_e64 v148, s[0:1], 0, v83, vcc
	v_cndmask_b32_e32 v83, 0, v70, vcc
	v_add_f64 v[70:71], v[86:87], -v[82:83]
	v_add_f64 v[82:83], v[70:71], v[66:67]
	s_mov_b32 s0, 0x54442d18
	v_add_f64 v[70:71], v[82:83], -v[70:71]
	s_mov_b32 s1, 0x3ff921fb
	v_add_f64 v[66:67], v[66:67], -v[70:71]
	v_mul_f64 v[70:71], v[82:83], s[0:1]
	v_fma_f64 v[86:87], v[82:83], s[0:1], -v[70:71]
	s_mov_b32 s7, 0x3c91a626
	v_fmac_f64_e32 v[86:87], s[6:7], v[82:83]
	v_fmac_f64_e32 v[86:87], s[0:1], v[66:67]
	v_add_f64 v[114:115], v[70:71], v[86:87]
	v_add_f64 v[66:67], v[114:115], -v[70:71]
	v_add_f64 v[116:117], v[86:87], -v[66:67]
	s_andn2_saveexec_b64 s[0:1], s[2:3]
	s_cbranch_execnz .LBB123_35
	s_branch .LBB123_36
.LBB123_34:
	s_andn2_saveexec_b64 s[0:1], s[2:3]
	s_cbranch_execz .LBB123_36
.LBB123_35:
	s_mov_b32 s2, 0x6dc9c883
	s_mov_b32 s3, 0x3fe45f30
	v_mul_f64 v[66:67], |v[16:17]|, s[2:3]
	s_mov_b32 s2, 0x54442d18
	v_rndne_f64_e32 v[66:67], v[66:67]
	s_mov_b32 s3, 0xbff921fb
	v_fma_f64 v[70:71], v[66:67], s[2:3], |v[16:17]|
	s_mov_b32 s3, 0xbc91a626
	s_mov_b32 s2, 0x33145c00
	v_mul_f64 v[86:87], v[66:67], s[2:3]
	v_add_f64 v[100:101], v[70:71], v[86:87]
	v_fma_f64 v[82:83], s[2:3], v[66:67], v[70:71]
	s_mov_b32 s3, 0x3c91a626
	v_add_f64 v[70:71], v[70:71], -v[100:101]
	v_fma_f64 v[98:99], s[2:3], v[66:67], v[86:87]
	v_add_f64 v[70:71], v[70:71], v[86:87]
	v_add_f64 v[86:87], v[100:101], -v[82:83]
	v_add_f64 v[70:71], v[86:87], v[70:71]
	s_mov_b32 s2, 0x252049c0
	v_add_f64 v[70:71], v[70:71], -v[98:99]
	s_mov_b32 s3, 0xb97b839a
	v_fmac_f64_e32 v[70:71], s[2:3], v[66:67]
	v_add_f64 v[114:115], v[82:83], v[70:71]
	v_add_f64 v[82:83], v[114:115], -v[82:83]
	v_add_f64 v[116:117], v[70:71], -v[82:83]
	v_cvt_i32_f64_e32 v148, v[66:67]
.LBB123_36:
	s_or_b64 exec, exec, s[0:1]
	s_mov_b32 s0, 0
	v_mul_f64 v[66:67], v[4:5], 0.5
	s_mov_b32 s1, 0x41d00000
	v_cmp_nlt_f64_e64 s[0:1], |v[66:67]|, s[0:1]
                                        ; implicit-def: $vgpr144
                                        ; implicit-def: $vgpr70_vgpr71
                                        ; implicit-def: $vgpr82_vgpr83
	s_and_saveexec_b64 s[2:3], s[0:1]
	s_xor_b64 s[2:3], exec, s[2:3]
	s_cbranch_execz .LBB123_38
; %bb.37:
	s_mov_b32 s0, 0
	s_mov_b32 s1, 0x7b000000
	s_movk_i32 s6, 0xff80
	v_and_b32_e32 v98, 0x7fffffff, v67
	v_ldexp_f64 v[86:87], |v[66:67]|, s6
	v_cmp_ge_f64_e64 vcc, |v[66:67]|, s[0:1]
	v_trig_preop_f64 v[70:71], |v[66:67]|, 0
	v_trig_preop_f64 v[82:83], |v[66:67]|, 1
	v_cndmask_b32_e32 v87, v98, v87, vcc
	v_cndmask_b32_e32 v86, v66, v86, vcc
	v_mul_f64 v[100:101], v[70:71], v[86:87]
	v_mul_f64 v[98:99], v[82:83], v[86:87]
	v_fma_f64 v[70:71], v[70:71], v[86:87], -v[100:101]
	v_add_f64 v[102:103], v[98:99], v[70:71]
	v_add_f64 v[146:147], v[102:103], -v[98:99]
	v_add_f64 v[70:71], v[70:71], -v[146:147]
	;; [unrolled: 1-line block ×4, first 2 shown]
	v_fma_f64 v[82:83], v[82:83], v[86:87], -v[98:99]
	v_trig_preop_f64 v[98:99], |v[66:67]|, 2
	v_add_f64 v[70:71], v[70:71], v[146:147]
	v_mul_f64 v[146:147], v[98:99], v[86:87]
	v_add_f64 v[150:151], v[146:147], v[82:83]
	v_add_f64 v[112:113], v[100:101], v[102:103]
	;; [unrolled: 1-line block ×3, first 2 shown]
	v_ldexp_f64 v[118:119], v[112:113], -2
	v_add_f64 v[100:101], v[112:113], -v[100:101]
	v_add_f64 v[112:113], v[160:161], -v[150:151]
	v_add_f64 v[70:71], v[70:71], -v[112:113]
	v_add_f64 v[112:113], v[160:161], -v[112:113]
	v_add_f64 v[112:113], v[150:151], -v[112:113]
	v_add_f64 v[70:71], v[70:71], v[112:113]
	v_add_f64 v[112:113], v[150:151], -v[146:147]
	v_add_f64 v[82:83], v[82:83], -v[112:113]
	;; [unrolled: 1-line block ×4, first 2 shown]
	v_add_f64 v[82:83], v[82:83], v[112:113]
	s_mov_b32 s0, 0
	v_fract_f64_e32 v[128:129], v[118:119]
	v_add_f64 v[70:71], v[82:83], v[70:71]
	v_fma_f64 v[82:83], v[98:99], v[86:87], -v[146:147]
	s_mov_b32 s1, 0x7ff00000
	v_add_f64 v[100:101], v[102:103], -v[100:101]
	v_add_f64 v[70:71], v[82:83], v[70:71]
	v_ldexp_f64 v[82:83], v[128:129], 2
	v_cmp_neq_f64_e64 vcc, |v[118:119]|, s[0:1]
	v_add_f64 v[102:103], v[100:101], v[160:161]
	v_mov_b32_e32 v98, 0x40100000
	v_cndmask_b32_e32 v83, 0, v83, vcc
	v_cndmask_b32_e32 v82, 0, v82, vcc
	v_add_f64 v[86:87], v[102:103], v[82:83]
	v_cmp_gt_f64_e32 vcc, 0, v[86:87]
	v_mov_b32_e32 v86, 0
	v_add_f64 v[100:101], v[102:103], -v[100:101]
	v_cndmask_b32_e32 v87, 0, v98, vcc
	v_add_f64 v[82:83], v[82:83], v[86:87]
	v_add_f64 v[98:99], v[102:103], v[82:83]
	v_cvt_i32_f64_e32 v87, v[98:99]
	v_cvt_f64_i32_e32 v[98:99], v87
	v_add_f64 v[82:83], v[82:83], -v[98:99]
	v_add_f64 v[98:99], v[102:103], v[82:83]
	v_add_f64 v[100:101], v[160:161], -v[100:101]
	v_add_f64 v[82:83], v[98:99], -v[82:83]
	v_add_f64 v[70:71], v[100:101], v[70:71]
	v_add_f64 v[82:83], v[102:103], -v[82:83]
	v_add_f64 v[70:71], v[70:71], v[82:83]
	v_cmp_le_f64_e32 vcc, 0.5, v[98:99]
	v_mov_b32_e32 v82, 0x3ff00000
	s_mov_b32 s6, 0x33145c07
	v_addc_co_u32_e64 v144, s[0:1], 0, v87, vcc
	v_cndmask_b32_e32 v87, 0, v82, vcc
	v_add_f64 v[82:83], v[98:99], -v[86:87]
	v_add_f64 v[86:87], v[82:83], v[70:71]
	s_mov_b32 s0, 0x54442d18
	v_add_f64 v[82:83], v[86:87], -v[82:83]
	s_mov_b32 s1, 0x3ff921fb
	v_add_f64 v[70:71], v[70:71], -v[82:83]
	v_mul_f64 v[82:83], v[86:87], s[0:1]
	v_fma_f64 v[98:99], v[86:87], s[0:1], -v[82:83]
	s_mov_b32 s7, 0x3c91a626
	v_fmac_f64_e32 v[98:99], s[6:7], v[86:87]
	v_fmac_f64_e32 v[98:99], s[0:1], v[70:71]
	v_add_f64 v[70:71], v[82:83], v[98:99]
	v_add_f64 v[82:83], v[70:71], -v[82:83]
	v_add_f64 v[82:83], v[98:99], -v[82:83]
.LBB123_38:
	s_andn2_saveexec_b64 s[0:1], s[2:3]
	s_cbranch_execz .LBB123_40
; %bb.39:
	s_mov_b32 s2, 0x6dc9c883
	s_mov_b32 s3, 0x3fe45f30
	v_mul_f64 v[70:71], |v[66:67]|, s[2:3]
	s_mov_b32 s2, 0x54442d18
	v_rndne_f64_e32 v[86:87], v[70:71]
	s_mov_b32 s3, 0xbff921fb
	v_fma_f64 v[70:71], v[86:87], s[2:3], |v[66:67]|
	s_mov_b32 s3, 0xbc91a626
	s_mov_b32 s2, 0x33145c00
	v_mul_f64 v[98:99], v[86:87], s[2:3]
	v_add_f64 v[102:103], v[70:71], v[98:99]
	v_fma_f64 v[82:83], s[2:3], v[86:87], v[70:71]
	s_mov_b32 s3, 0x3c91a626
	v_add_f64 v[70:71], v[70:71], -v[102:103]
	v_fma_f64 v[100:101], s[2:3], v[86:87], v[98:99]
	v_add_f64 v[70:71], v[70:71], v[98:99]
	v_add_f64 v[98:99], v[102:103], -v[82:83]
	v_add_f64 v[70:71], v[98:99], v[70:71]
	s_mov_b32 s2, 0x252049c0
	v_add_f64 v[98:99], v[70:71], -v[100:101]
	s_mov_b32 s3, 0xb97b839a
	v_fmac_f64_e32 v[98:99], s[2:3], v[86:87]
	v_add_f64 v[70:71], v[82:83], v[98:99]
	v_add_f64 v[82:83], v[70:71], -v[82:83]
	v_add_f64 v[82:83], v[98:99], -v[82:83]
	v_cvt_i32_f64_e32 v144, v[86:87]
.LBB123_40:
	s_or_b64 exec, exec, s[0:1]
	s_mov_b32 s0, 0
	s_mov_b32 s1, 0x41d00000
	v_cmp_nlt_f64_e64 s[2:3], |v[4:5]|, s[0:1]
	v_trig_preop_f64 v[128:129], |v[4:5]|, 0
	v_trig_preop_f64 v[118:119], |v[4:5]|, 1
	;; [unrolled: 1-line block ×3, first 2 shown]
                                        ; implicit-def: $vgpr146
                                        ; implicit-def: $vgpr86_vgpr87
                                        ; implicit-def: $vgpr98_vgpr99
	s_and_saveexec_b64 s[0:1], s[2:3]
	s_xor_b64 s[6:7], exec, s[0:1]
	s_cbranch_execz .LBB123_42
; %bb.41:
	s_mov_b32 s0, 0
	s_mov_b32 s1, 0x7b000000
	s_movk_i32 s8, 0xff80
	v_and_b32_e32 v98, 0x7fffffff, v5
	v_ldexp_f64 v[86:87], |v[4:5]|, s8
	v_cmp_ge_f64_e64 vcc, |v[4:5]|, s[0:1]
	s_mov_b32 s0, 0
	s_mov_b32 s1, 0x7ff00000
	v_cndmask_b32_e32 v87, v98, v87, vcc
	v_cndmask_b32_e32 v86, v4, v86, vcc
	v_mul_f64 v[100:101], v[128:129], v[86:87]
	v_mul_f64 v[98:99], v[118:119], v[86:87]
	v_fma_f64 v[102:103], v[128:129], v[86:87], -v[100:101]
	v_add_f64 v[146:147], v[98:99], v[102:103]
	v_add_f64 v[164:165], v[146:147], -v[98:99]
	v_add_f64 v[102:103], v[102:103], -v[164:165]
	;; [unrolled: 1-line block ×4, first 2 shown]
	v_add_f64 v[102:103], v[102:103], v[164:165]
	v_fma_f64 v[98:99], v[118:119], v[86:87], -v[98:99]
	v_mul_f64 v[164:165], v[112:113], v[86:87]
	v_add_f64 v[166:167], v[164:165], v[98:99]
	v_add_f64 v[150:151], v[100:101], v[146:147]
	;; [unrolled: 1-line block ×3, first 2 shown]
	v_ldexp_f64 v[160:161], v[150:151], -2
	v_add_f64 v[100:101], v[150:151], -v[100:101]
	v_add_f64 v[150:151], v[176:177], -v[166:167]
	;; [unrolled: 1-line block ×5, first 2 shown]
	v_add_f64 v[102:103], v[102:103], v[150:151]
	v_add_f64 v[150:151], v[166:167], -v[164:165]
	v_add_f64 v[98:99], v[98:99], -v[150:151]
	;; [unrolled: 1-line block ×5, first 2 shown]
	v_add_f64 v[98:99], v[98:99], v[150:151]
	v_fract_f64_e32 v[162:163], v[160:161]
	v_add_f64 v[146:147], v[100:101], v[176:177]
	v_add_f64 v[98:99], v[98:99], v[102:103]
	v_fma_f64 v[86:87], v[112:113], v[86:87], -v[164:165]
	v_add_f64 v[100:101], v[146:147], -v[100:101]
	v_add_f64 v[86:87], v[86:87], v[98:99]
	v_ldexp_f64 v[98:99], v[162:163], 2
	v_cmp_neq_f64_e64 vcc, |v[160:161]|, s[0:1]
	v_add_f64 v[100:101], v[176:177], -v[100:101]
	v_add_f64 v[86:87], v[100:101], v[86:87]
	v_cndmask_b32_e32 v99, 0, v99, vcc
	v_cndmask_b32_e32 v98, 0, v98, vcc
	v_add_f64 v[100:101], v[146:147], v[98:99]
	v_mov_b32_e32 v102, 0x40100000
	v_cmp_gt_f64_e32 vcc, 0, v[100:101]
	v_mov_b32_e32 v100, 0
	s_mov_b32 s8, 0x33145c07
	v_cndmask_b32_e32 v101, 0, v102, vcc
	v_add_f64 v[98:99], v[98:99], v[100:101]
	v_add_f64 v[102:103], v[146:147], v[98:99]
	v_cvt_i32_f64_e32 v101, v[102:103]
	v_cvt_f64_i32_e32 v[102:103], v101
	v_add_f64 v[98:99], v[98:99], -v[102:103]
	v_add_f64 v[102:103], v[146:147], v[98:99]
	v_add_f64 v[98:99], v[102:103], -v[98:99]
	v_add_f64 v[98:99], v[146:147], -v[98:99]
	v_add_f64 v[86:87], v[86:87], v[98:99]
	v_cmp_le_f64_e32 vcc, 0.5, v[102:103]
	v_mov_b32_e32 v98, 0x3ff00000
	s_mov_b32 s9, 0x3c91a626
	v_addc_co_u32_e64 v146, s[0:1], 0, v101, vcc
	v_cndmask_b32_e32 v101, 0, v98, vcc
	v_add_f64 v[98:99], v[102:103], -v[100:101]
	v_add_f64 v[100:101], v[98:99], v[86:87]
	s_mov_b32 s0, 0x54442d18
	v_add_f64 v[98:99], v[100:101], -v[98:99]
	s_mov_b32 s1, 0x3ff921fb
	v_add_f64 v[86:87], v[86:87], -v[98:99]
	v_mul_f64 v[98:99], v[100:101], s[0:1]
	v_fma_f64 v[102:103], v[100:101], s[0:1], -v[98:99]
	v_fmac_f64_e32 v[102:103], s[8:9], v[100:101]
	v_fmac_f64_e32 v[102:103], s[0:1], v[86:87]
	v_add_f64 v[86:87], v[98:99], v[102:103]
	v_add_f64 v[98:99], v[86:87], -v[98:99]
	v_add_f64 v[98:99], v[102:103], -v[98:99]
	s_andn2_saveexec_b64 s[0:1], s[6:7]
	s_cbranch_execz .LBB123_44
	s_branch .LBB123_43
.LBB123_42:
	s_andn2_saveexec_b64 s[0:1], s[6:7]
	s_cbranch_execz .LBB123_44
.LBB123_43:
	s_mov_b32 s6, 0x6dc9c883
	s_mov_b32 s7, 0x3fe45f30
	v_mul_f64 v[86:87], |v[4:5]|, s[6:7]
	s_mov_b32 s6, 0x54442d18
	v_rndne_f64_e32 v[100:101], v[86:87]
	s_mov_b32 s7, 0xbff921fb
	v_fma_f64 v[86:87], v[100:101], s[6:7], |v[4:5]|
	s_mov_b32 s7, 0xbc91a626
	s_mov_b32 s6, 0x33145c00
	v_mul_f64 v[102:103], v[100:101], s[6:7]
	v_add_f64 v[150:151], v[86:87], v[102:103]
	v_fma_f64 v[98:99], s[6:7], v[100:101], v[86:87]
	s_mov_b32 s7, 0x3c91a626
	v_add_f64 v[86:87], v[86:87], -v[150:151]
	v_fma_f64 v[146:147], s[6:7], v[100:101], v[102:103]
	v_add_f64 v[86:87], v[86:87], v[102:103]
	v_add_f64 v[102:103], v[150:151], -v[98:99]
	v_add_f64 v[86:87], v[102:103], v[86:87]
	s_mov_b32 s6, 0x252049c0
	v_add_f64 v[102:103], v[86:87], -v[146:147]
	s_mov_b32 s7, 0xb97b839a
	v_fmac_f64_e32 v[102:103], s[6:7], v[100:101]
	v_add_f64 v[86:87], v[98:99], v[102:103]
	v_add_f64 v[98:99], v[86:87], -v[98:99]
	v_add_f64 v[98:99], v[102:103], -v[98:99]
	v_cvt_i32_f64_e32 v146, v[100:101]
.LBB123_44:
	s_or_b64 exec, exec, s[0:1]
                                        ; implicit-def: $vgpr147
                                        ; implicit-def: $vgpr100_vgpr101
                                        ; implicit-def: $vgpr102_vgpr103
	s_and_saveexec_b64 s[0:1], s[2:3]
	s_xor_b64 s[2:3], exec, s[0:1]
	s_cbranch_execz .LBB123_46
; %bb.45:
	s_mov_b32 s0, 0
	s_mov_b32 s1, 0x7b000000
	s_movk_i32 s6, 0xff80
	v_and_b32_e32 v102, 0x7fffffff, v5
	v_ldexp_f64 v[100:101], |v[4:5]|, s6
	v_cmp_ge_f64_e64 vcc, |v[4:5]|, s[0:1]
	s_mov_b32 s0, 0
	s_mov_b32 s1, 0x7ff00000
	v_cndmask_b32_e32 v101, v102, v101, vcc
	v_cndmask_b32_e32 v100, v4, v100, vcc
	v_mul_f64 v[150:151], v[128:129], v[100:101]
	v_mul_f64 v[102:103], v[118:119], v[100:101]
	v_fma_f64 v[128:129], v[128:129], v[100:101], -v[150:151]
	v_add_f64 v[160:161], v[102:103], v[128:129]
	v_add_f64 v[176:177], v[160:161], -v[102:103]
	v_add_f64 v[128:129], v[128:129], -v[176:177]
	;; [unrolled: 1-line block ×4, first 2 shown]
	v_fma_f64 v[102:103], v[118:119], v[100:101], -v[102:103]
	v_mul_f64 v[118:119], v[112:113], v[100:101]
	v_add_f64 v[128:129], v[128:129], v[176:177]
	v_add_f64 v[176:177], v[118:119], v[102:103]
	;; [unrolled: 1-line block ×4, first 2 shown]
	v_ldexp_f64 v[164:165], v[162:163], -2
	v_add_f64 v[150:151], v[162:163], -v[150:151]
	v_add_f64 v[162:163], v[178:179], -v[176:177]
	;; [unrolled: 1-line block ×5, first 2 shown]
	v_add_f64 v[128:129], v[128:129], v[162:163]
	v_add_f64 v[162:163], v[176:177], -v[118:119]
	v_add_f64 v[102:103], v[102:103], -v[162:163]
	v_add_f64 v[162:163], v[176:177], -v[162:163]
	v_add_f64 v[162:163], v[118:119], -v[162:163]
	v_add_f64 v[102:103], v[102:103], v[162:163]
	v_fract_f64_e32 v[166:167], v[164:165]
	v_add_f64 v[102:103], v[102:103], v[128:129]
	v_fma_f64 v[100:101], v[112:113], v[100:101], -v[118:119]
	v_add_f64 v[150:151], v[160:161], -v[150:151]
	v_add_f64 v[100:101], v[100:101], v[102:103]
	v_ldexp_f64 v[102:103], v[166:167], 2
	v_cmp_neq_f64_e64 vcc, |v[164:165]|, s[0:1]
	v_add_f64 v[160:161], v[150:151], v[178:179]
	v_mov_b32_e32 v118, 0x40100000
	v_cndmask_b32_e32 v103, 0, v103, vcc
	v_cndmask_b32_e32 v102, 0, v102, vcc
	v_add_f64 v[112:113], v[160:161], v[102:103]
	v_cmp_gt_f64_e32 vcc, 0, v[112:113]
	v_mov_b32_e32 v112, 0
	v_add_f64 v[150:151], v[160:161], -v[150:151]
	v_cndmask_b32_e32 v113, 0, v118, vcc
	v_add_f64 v[102:103], v[102:103], v[112:113]
	v_add_f64 v[118:119], v[160:161], v[102:103]
	v_cvt_i32_f64_e32 v113, v[118:119]
	v_cvt_f64_i32_e32 v[118:119], v113
	v_add_f64 v[102:103], v[102:103], -v[118:119]
	v_add_f64 v[118:119], v[160:161], v[102:103]
	v_add_f64 v[150:151], v[178:179], -v[150:151]
	v_add_f64 v[102:103], v[118:119], -v[102:103]
	v_add_f64 v[100:101], v[150:151], v[100:101]
	v_add_f64 v[102:103], v[160:161], -v[102:103]
	v_add_f64 v[100:101], v[100:101], v[102:103]
	v_cmp_le_f64_e32 vcc, 0.5, v[118:119]
	v_mov_b32_e32 v102, 0x3ff00000
	s_mov_b32 s6, 0x33145c07
	v_addc_co_u32_e64 v147, s[0:1], 0, v113, vcc
	v_cndmask_b32_e32 v113, 0, v102, vcc
	v_add_f64 v[102:103], v[118:119], -v[112:113]
	v_add_f64 v[112:113], v[102:103], v[100:101]
	s_mov_b32 s0, 0x54442d18
	v_add_f64 v[102:103], v[112:113], -v[102:103]
	s_mov_b32 s1, 0x3ff921fb
	v_add_f64 v[100:101], v[100:101], -v[102:103]
	v_mul_f64 v[102:103], v[112:113], s[0:1]
	v_fma_f64 v[118:119], v[112:113], s[0:1], -v[102:103]
	s_mov_b32 s7, 0x3c91a626
	v_fmac_f64_e32 v[118:119], s[6:7], v[112:113]
	v_fmac_f64_e32 v[118:119], s[0:1], v[100:101]
	v_add_f64 v[100:101], v[102:103], v[118:119]
	v_add_f64 v[102:103], v[100:101], -v[102:103]
	v_add_f64 v[102:103], v[118:119], -v[102:103]
	s_andn2_saveexec_b64 s[0:1], s[2:3]
	s_cbranch_execnz .LBB123_47
	s_branch .LBB123_48
.LBB123_46:
	s_andn2_saveexec_b64 s[0:1], s[2:3]
	s_cbranch_execz .LBB123_48
.LBB123_47:
	s_mov_b32 s2, 0x6dc9c883
	s_mov_b32 s3, 0x3fe45f30
	v_mul_f64 v[100:101], |v[4:5]|, s[2:3]
	s_mov_b32 s2, 0x54442d18
	v_rndne_f64_e32 v[112:113], v[100:101]
	s_mov_b32 s3, 0xbff921fb
	v_fma_f64 v[100:101], v[112:113], s[2:3], |v[4:5]|
	s_mov_b32 s3, 0xbc91a626
	s_mov_b32 s2, 0x33145c00
	v_mul_f64 v[118:119], v[112:113], s[2:3]
	v_add_f64 v[150:151], v[100:101], v[118:119]
	v_fma_f64 v[102:103], s[2:3], v[112:113], v[100:101]
	s_mov_b32 s3, 0x3c91a626
	v_add_f64 v[100:101], v[100:101], -v[150:151]
	v_fma_f64 v[128:129], s[2:3], v[112:113], v[118:119]
	v_add_f64 v[100:101], v[100:101], v[118:119]
	v_add_f64 v[118:119], v[150:151], -v[102:103]
	v_add_f64 v[100:101], v[118:119], v[100:101]
	s_mov_b32 s2, 0x252049c0
	v_add_f64 v[118:119], v[100:101], -v[128:129]
	s_mov_b32 s3, 0xb97b839a
	v_fmac_f64_e32 v[118:119], s[2:3], v[112:113]
	v_add_f64 v[100:101], v[102:103], v[118:119]
	v_add_f64 v[102:103], v[100:101], -v[102:103]
	v_add_f64 v[102:103], v[118:119], -v[102:103]
	v_cvt_i32_f64_e32 v147, v[112:113]
.LBB123_48:
	s_or_b64 exec, exec, s[0:1]
	s_mov_b32 s16, 0x652b82fe
	s_mov_b32 s17, 0x3ff71547
	v_mul_f64 v[112:113], v[14:15], s[16:17]
	s_mov_b32 s22, 0xfefa39ef
	v_rndne_f64_e32 v[150:151], v[112:113]
	s_mov_b32 s23, 0xbfe62e42
	s_mov_b32 s26, 0x3b39803f
	;; [unrolled: 1-line block ×3, first 2 shown]
	v_fma_f64 v[160:161], s[22:23], v[150:151], v[14:15]
	s_mov_b32 s27, 0xbc7abc9e
	s_mov_b32 s1, 0x3e928af3
	;; [unrolled: 1-line block ×3, first 2 shown]
	v_fmac_f64_e32 v[160:161], s[26:27], v[150:151]
	s_mov_b32 s41, 0x3e5ade15
	v_mov_b64_e32 v[128:129], s[0:1]
	s_mov_b32 s44, 0x623fde64
	v_fma_f64 v[112:113], s[40:41], v[160:161], v[128:129]
	s_mov_b32 s45, 0x3ec71dee
	s_mov_b32 s46, 0x7c89e6b0
	v_fma_f64 v[112:113], v[160:161], v[112:113], s[44:45]
	s_mov_b32 s47, 0x3efa0199
	s_mov_b32 s56, 0x14761f6e
	v_fma_f64 v[112:113], v[160:161], v[112:113], s[46:47]
	s_mov_b32 s57, 0x3f2a01a0
	s_mov_b32 s58, 0x1852b7b0
	v_fma_f64 v[112:113], v[160:161], v[112:113], s[56:57]
	s_mov_b32 s59, 0x3f56c16c
	s_mov_b32 s60, 0x11122322
	v_fma_f64 v[112:113], v[160:161], v[112:113], s[58:59]
	s_mov_b32 s61, 0x3f811111
	s_mov_b32 s62, 0x555502a1
	v_fma_f64 v[112:113], v[160:161], v[112:113], s[60:61]
	s_mov_b32 s63, 0x3fa55555
	s_mov_b32 s74, 0x55555511
	v_fma_f64 v[112:113], v[160:161], v[112:113], s[62:63]
	s_mov_b32 s75, 0x3fc55555
	s_mov_b32 s76, 11
	v_fma_f64 v[112:113], v[160:161], v[112:113], s[74:75]
	s_mov_b32 s77, 0x3fe00000
	v_fma_f64 v[112:113], v[160:161], v[112:113], s[76:77]
	v_fma_f64 v[112:113], v[160:161], v[112:113], 1.0
	s_mov_b32 s72, 0
	v_fma_f64 v[112:113], v[160:161], v[112:113], 1.0
	v_cvt_i32_f64_e32 v192, v[150:151]
	s_mov_b32 s73, 0x40900000
	s_mov_b32 s78, 0
	v_ldexp_f64 v[112:113], v[112:113], v192
	v_mov_b32_e32 v149, 0x7ff00000
	v_cmp_nlt_f64_e32 vcc, s[72:73], v[14:15]
	s_mov_b32 s79, 0xc090cc00
	v_cmp_ngt_f64_e64 s[0:1], s[78:79], v[14:15]
	v_cndmask_b32_e32 v113, v149, v113, vcc
	s_and_b64 vcc, s[0:1], vcc
	v_cndmask_b32_e64 v163, 0, v113, s[0:1]
	s_mov_b32 s0, 0xb42fdfa7
	s_mov_b32 s1, 0xbe5ae600
	;; [unrolled: 1-line block ×3, first 2 shown]
	v_cndmask_b32_e32 v162, 0, v112, vcc
	v_mul_f64 v[164:165], v[114:115], v[114:115]
	s_mov_b32 s7, 0x3de5e0b2
	v_mov_b64_e32 v[112:113], s[0:1]
	s_mov_b32 s8, 0x796cde01
	v_fma_f64 v[166:167], s[6:7], v[164:165], v[112:113]
	s_mov_b32 s9, 0x3ec71de3
	s_mov_b32 s10, 0x19e83e5c
	v_fma_f64 v[166:167], v[164:165], v[166:167], s[8:9]
	s_mov_b32 s11, 0xbf2a01a0
	v_fma_f64 v[166:167], v[164:165], v[166:167], s[10:11]
	s_mov_b32 s12, 0x11110bb3
	s_mov_b32 s13, s61
	v_mul_f64 v[118:119], v[114:115], -v[164:165]
	v_fma_f64 v[166:167], v[164:165], v[166:167], s[12:13]
	v_mul_f64 v[176:177], v[116:117], 0.5
	v_fmac_f64_e32 v[176:177], v[118:119], v[166:167]
	s_mov_b32 s14, 0x55555555
	s_mov_b32 s0, 0x9037ab78
	v_fma_f64 v[166:167], v[164:165], v[176:177], -v[116:117]
	s_mov_b32 s15, 0xbfc55555
	s_mov_b32 s1, 0x3e21eeb6
	;; [unrolled: 1-line block ×3, first 2 shown]
	v_fmac_f64_e32 v[166:167], s[14:15], v[118:119]
	s_mov_b32 s19, 0xbda907db
	v_mov_b64_e32 v[118:119], s[0:1]
	s_mov_b32 s20, 0xa17f65f6
	v_fma_f64 v[182:183], s[18:19], v[164:165], v[118:119]
	s_mov_b32 s21, 0xbe927e4f
	s_mov_b32 s24, 0x19f4ec90
	v_fma_f64 v[182:183], v[164:165], v[182:183], s[20:21]
	s_mov_b32 s25, 0x3efa01a0
	s_mov_b32 s28, 0x16c16967
	v_mul_f64 v[176:177], v[164:165], 0.5
	v_fma_f64 v[182:183], v[164:165], v[182:183], s[24:25]
	s_mov_b32 s29, 0xbf56c16c
	v_add_f64 v[178:179], -v[176:177], 1.0
	v_fma_f64 v[182:183], v[164:165], v[182:183], s[28:29]
	s_mov_b32 s42, s14
	s_mov_b32 s43, s63
	v_mul_f64 v[180:181], v[164:165], v[164:165]
	v_fma_f64 v[164:165], v[164:165], v[182:183], s[42:43]
	v_add_f64 v[182:183], -v[178:179], 1.0
	v_add_f64 v[176:177], v[182:183], -v[176:177]
	v_add_f64 v[166:167], v[114:115], -v[166:167]
	v_fma_f64 v[114:115], v[114:115], -v[116:117], v[176:177]
	v_and_b32_e32 v193, 1, v148
	v_fmac_f64_e32 v[114:115], v[180:181], v[164:165]
	v_add_f64 v[114:115], v[178:179], v[114:115]
	v_cmp_eq_u32_e32 vcc, 0, v193
	v_lshlrev_b32_e32 v116, 30, v148
	s_movk_i32 s54, 0x1f8
	v_cndmask_b32_e32 v115, v115, v167, vcc
	v_xor_b32_e32 v116, v116, v17
	s_brev_b32 s55, 1
	v_cndmask_b32_e32 v114, v114, v166, vcc
	v_bitop3_b32 v115, v115, v116, s55 bitop3:0x78
	v_cmp_class_f64_e64 vcc, v[16:17], s54
	v_mov_b32_e32 v116, 0x7ff80000
	s_mov_b32 s2, 0x2a1b768b
	v_cndmask_b32_e32 v16, 0, v114, vcc
	v_cndmask_b32_e32 v17, v116, v115, vcc
	v_ldexp_f64 v[114:115], 1.0, v192
	v_mov_b32_e32 v117, 0x7fe00000
	v_cmp_eq_f64_e64 s[0:1], s[72:73], v[150:151]
	s_mov_b32 s3, 0x3e5af4eb
	s_mov_b32 s88, 0xa9d67f34
	v_cndmask_b32_e64 v151, v115, v117, s[0:1]
	v_cndmask_b32_e64 v150, v114, 0, s[0:1]
	s_mov_b32 s89, 0x3e21f32e
	v_mov_b64_e32 v[114:115], s[2:3]
	s_mov_b32 s90, 0xe0ac05b
	v_mul_f64 v[16:17], v[162:163], v[16:17]
	v_fma_f64 v[162:163], s[88:89], v[160:161], v[114:115]
	s_mov_b32 s91, 0x3e927e50
	s_mov_b32 s92, 0x1b889c29
	v_fma_f64 v[162:163], v[160:161], v[162:163], s[90:91]
	s_mov_b32 s93, 0x3ec71de0
	v_fma_f64 v[162:163], v[160:161], v[162:163], s[92:93]
	s_mov_b32 s94, 0x197bcfd8
	s_mov_b32 s95, s25
	v_fma_f64 v[162:163], v[160:161], v[162:163], s[94:95]
	s_mov_b32 s30, 0x1ac1a723
	;; [unrolled: 3-line block ×6, first 2 shown]
	s_mov_b32 s49, s75
	v_fma_f64 v[162:163], v[160:161], v[162:163], s[48:49]
	v_fma_f64 v[162:163], v[160:161], v[162:163], 0.5
	v_mul_f64 v[162:163], v[160:161], v[162:163]
	v_fmac_f64_e32 v[160:161], v[160:161], v[162:163]
	v_add_f64 v[162:163], v[150:151], -1.0
	v_fmac_f64_e32 v[162:163], v[150:151], v[160:161]
	s_mov_b32 s52, 0
	v_add_f64 v[150:151], v[162:163], v[162:163]
	s_mov_b32 s51, 0x40862e42
	s_mov_b32 s50, s22
	s_mov_b32 s53, 0xc0428000
	v_cndmask_b32_e64 v150, v162, v150, s[0:1]
	v_cndmask_b32_e64 v148, v163, v151, s[0:1]
	v_cmp_nlt_f64_e64 s[0:1], s[50:51], v[14:15]
	v_cmp_ngt_f64_e64 s[2:3], s[52:53], v[14:15]
	v_and_b32_e32 v178, 1, v145
	v_cndmask_b32_e64 v151, v149, v148, s[0:1]
	v_mov_b32_e32 v148, 0xbff00000
	s_and_b64 s[0:1], s[2:3], s[0:1]
	v_cndmask_b32_e64 v15, v148, v151, s[2:3]
	v_cndmask_b32_e64 v14, 0, v150, s[0:1]
	v_mul_f64 v[150:151], v[84:85], v[84:85]
	v_mul_f64 v[160:161], v[150:151], 0.5
	v_fma_f64 v[166:167], s[18:19], v[150:151], v[118:119]
	v_add_f64 v[162:163], -v[160:161], 1.0
	v_fma_f64 v[166:167], v[150:151], v[166:167], s[20:21]
	v_fma_f64 v[166:167], v[150:151], v[166:167], s[24:25]
	v_add_f64 v[176:177], -v[162:163], 1.0
	v_fma_f64 v[166:167], v[150:151], v[166:167], s[28:29]
	v_add_f64 v[160:161], v[176:177], -v[160:161]
	v_mul_f64 v[164:165], v[150:151], v[150:151]
	v_fma_f64 v[166:167], v[150:151], v[166:167], s[42:43]
	v_fma_f64 v[160:161], v[84:85], -v[96:97], v[160:161]
	v_fmac_f64_e32 v[160:161], v[164:165], v[166:167]
	v_fma_f64 v[164:165], s[6:7], v[150:151], v[112:113]
	v_fma_f64 v[164:165], v[150:151], v[164:165], s[8:9]
	;; [unrolled: 1-line block ×3, first 2 shown]
	v_add_f64 v[160:161], v[162:163], v[160:161]
	v_mul_f64 v[162:163], v[84:85], -v[150:151]
	v_fma_f64 v[164:165], v[150:151], v[164:165], s[12:13]
	v_mul_f64 v[166:167], v[96:97], 0.5
	v_fmac_f64_e32 v[166:167], v[162:163], v[164:165]
	v_fma_f64 v[96:97], v[150:151], v[166:167], -v[96:97]
	v_fmac_f64_e32 v[96:97], s[14:15], v[162:163]
	v_add_f64 v[84:85], v[84:85], -v[96:97]
	v_xor_b32_e32 v85, 0x80000000, v85
	v_cmp_eq_u32_e64 s[0:1], 0, v178
	v_lshlrev_b32_e32 v96, 30, v145
	v_mul_f64 v[162:163], v[80:81], 0.5
	v_cndmask_b32_e64 v85, v85, v161, s[0:1]
	v_bitop3_b32 v85, v85, v96, s55 bitop3:0x78
	v_mul_f64 v[96:97], v[68:69], v[68:69]
	v_cndmask_b32_e64 v84, v84, v160, s[0:1]
	v_fma_f64 v[160:161], s[6:7], v[96:97], v[112:113]
	v_fma_f64 v[160:161], v[96:97], v[160:161], s[8:9]
	;; [unrolled: 1-line block ×3, first 2 shown]
	v_mul_f64 v[150:151], v[68:69], -v[96:97]
	v_fma_f64 v[160:161], v[96:97], v[160:161], s[12:13]
	v_fmac_f64_e32 v[162:163], v[150:151], v[160:161]
	v_fma_f64 v[160:161], v[96:97], v[162:163], -v[80:81]
	v_fma_f64 v[166:167], s[18:19], v[96:97], v[118:119]
	v_fmac_f64_e32 v[160:161], s[14:15], v[150:151]
	v_fma_f64 v[166:167], v[96:97], v[166:167], s[20:21]
	v_add_f64 v[150:151], v[68:69], -v[160:161]
	v_mul_f64 v[160:161], v[96:97], 0.5
	v_fma_f64 v[166:167], v[96:97], v[166:167], s[24:25]
	v_add_f64 v[162:163], -v[160:161], 1.0
	v_fma_f64 v[166:167], v[96:97], v[166:167], s[28:29]
	v_mul_f64 v[164:165], v[96:97], v[96:97]
	v_fma_f64 v[96:97], v[96:97], v[166:167], s[42:43]
	v_add_f64 v[166:167], -v[162:163], 1.0
	v_add_f64 v[160:161], v[166:167], -v[160:161]
	v_fma_f64 v[68:69], v[68:69], -v[80:81], v[160:161]
	v_and_b32_e32 v145, 1, v135
	v_fmac_f64_e32 v[68:69], v[164:165], v[96:97]
	v_cndmask_b32_e32 v84, 0, v84, vcc
	v_cndmask_b32_e32 v85, v116, v85, vcc
	v_add_f64 v[68:69], v[162:163], v[68:69]
	v_cmp_eq_u32_e32 vcc, 0, v145
	v_lshlrev_b32_e32 v80, 30, v135
	v_xor_b32_e32 v80, v80, v65
	v_cndmask_b32_e32 v69, v69, v151, vcc
	v_cndmask_b32_e32 v68, v68, v150, vcc
	v_bitop3_b32 v69, v69, v80, s55 bitop3:0x78
	v_cmp_class_f64_e64 vcc, v[64:65], s54
	v_mul_f64 v[160:161], v[54:55], 0.5
	v_cmp_ngt_f64_e64 s[0:1], s[78:79], v[10:11]
	v_cndmask_b32_e32 v64, 0, v68, vcc
	v_cndmask_b32_e32 v65, v116, v69, vcc
	v_add_f64 v[68:69], v[64:65], v[64:65]
	v_mul_f64 v[64:65], v[68:69], v[64:65]
	v_fma_f64 v[14:15], v[14:15], v[84:85], -v[64:65]
	v_mul_f64 v[64:65], v[10:11], s[16:17]
	v_rndne_f64_e32 v[64:65], v[64:65]
	v_fma_f64 v[68:69], s[22:23], v[64:65], v[10:11]
	v_fmac_f64_e32 v[68:69], s[26:27], v[64:65]
	v_mul_f64 v[84:85], v[52:53], v[52:53]
	v_fma_f64 v[80:81], s[40:41], v[68:69], v[128:129]
	v_fma_f64 v[150:151], s[6:7], v[84:85], v[112:113]
	;; [unrolled: 1-line block ×7, first 2 shown]
	v_mul_f64 v[96:97], v[52:53], -v[84:85]
	v_fma_f64 v[150:151], v[84:85], v[150:151], s[12:13]
	v_fma_f64 v[80:81], v[68:69], v[80:81], s[58:59]
	v_fmac_f64_e32 v[160:161], v[96:97], v[150:151]
	v_fma_f64 v[80:81], v[68:69], v[80:81], s[60:61]
	v_fma_f64 v[150:151], v[84:85], v[160:161], -v[54:55]
	v_fma_f64 v[164:165], s[18:19], v[84:85], v[118:119]
	v_fma_f64 v[80:81], v[68:69], v[80:81], s[62:63]
	v_fmac_f64_e32 v[150:151], s[14:15], v[96:97]
	v_fma_f64 v[164:165], v[84:85], v[164:165], s[20:21]
	v_fma_f64 v[80:81], v[68:69], v[80:81], s[74:75]
	v_add_f64 v[96:97], v[52:53], -v[150:151]
	v_mul_f64 v[150:151], v[84:85], 0.5
	v_fma_f64 v[164:165], v[84:85], v[164:165], s[24:25]
	v_fma_f64 v[80:81], v[68:69], v[80:81], s[76:77]
	v_add_f64 v[160:161], -v[150:151], 1.0
	v_fma_f64 v[164:165], v[84:85], v[164:165], s[28:29]
	v_fma_f64 v[80:81], v[68:69], v[80:81], 1.0
	v_mul_f64 v[162:163], v[84:85], v[84:85]
	v_fma_f64 v[84:85], v[84:85], v[164:165], s[42:43]
	v_add_f64 v[164:165], -v[160:161], 1.0
	v_fma_f64 v[80:81], v[68:69], v[80:81], 1.0
	v_cvt_i32_f64_e32 v135, v[64:65]
	v_add_f64 v[150:151], v[164:165], -v[150:151]
	v_ldexp_f64 v[80:81], v[80:81], v135
	v_cmp_nlt_f64_e32 vcc, s[72:73], v[10:11]
	v_fma_f64 v[52:53], v[52:53], -v[54:55], v[150:151]
	v_and_b32_e32 v145, 1, v134
	v_cndmask_b32_e32 v81, v149, v81, vcc
	s_and_b64 vcc, s[0:1], vcc
	v_fmac_f64_e32 v[52:53], v[162:163], v[84:85]
	v_cndmask_b32_e32 v80, 0, v80, vcc
	v_add_f64 v[52:53], v[160:161], v[52:53]
	v_cmp_eq_u32_e32 vcc, 0, v145
	v_lshlrev_b32_e32 v54, 30, v134
	v_xor_b32_e32 v54, v54, v13
	v_cndmask_b32_e32 v53, v53, v97, vcc
	v_bitop3_b32 v53, v53, v54, s55 bitop3:0x78
	v_fma_f64 v[54:55], s[88:89], v[68:69], v[114:115]
	v_fma_f64 v[54:55], v[68:69], v[54:55], s[90:91]
	;; [unrolled: 1-line block ×8, first 2 shown]
	v_cndmask_b32_e32 v52, v52, v96, vcc
	v_cmp_class_f64_e64 vcc, v[12:13], s54
	v_fma_f64 v[54:55], v[68:69], v[54:55], s[48:49]
	v_cndmask_b32_e64 v81, 0, v81, s[0:1]
	v_cndmask_b32_e32 v12, 0, v52, vcc
	v_cndmask_b32_e32 v13, v116, v53, vcc
	v_ldexp_f64 v[52:53], 1.0, v135
	v_cmp_eq_f64_e64 s[0:1], s[72:73], v[64:65]
	v_fma_f64 v[54:55], v[68:69], v[54:55], 0.5
	v_mul_f64 v[54:55], v[68:69], v[54:55]
	v_cndmask_b32_e64 v53, v53, v117, s[0:1]
	v_cndmask_b32_e64 v52, v52, 0, s[0:1]
	v_fmac_f64_e32 v[68:69], v[68:69], v[54:55]
	v_add_f64 v[54:55], v[52:53], -1.0
	v_fmac_f64_e32 v[54:55], v[52:53], v[68:69]
	v_add_f64 v[52:53], v[54:55], v[54:55]
	v_cndmask_b32_e64 v52, v54, v52, s[0:1]
	v_cndmask_b32_e64 v53, v55, v53, s[0:1]
	v_cmp_nlt_f64_e64 s[0:1], s[50:51], v[10:11]
	v_cmp_ngt_f64_e64 s[2:3], s[52:53], v[10:11]
	v_mul_f64 v[12:13], v[80:81], v[12:13]
	v_cndmask_b32_e64 v53, v149, v53, s[0:1]
	s_and_b64 s[0:1], s[2:3], s[0:1]
	v_cndmask_b32_e64 v11, v148, v53, s[2:3]
	v_cndmask_b32_e64 v10, 0, v52, s[0:1]
	v_mul_f64 v[52:53], v[48:49], v[48:49]
	v_mul_f64 v[54:55], v[52:53], 0.5
	v_fma_f64 v[80:81], s[18:19], v[52:53], v[118:119]
	v_add_f64 v[64:65], -v[54:55], 1.0
	v_fma_f64 v[80:81], v[52:53], v[80:81], s[20:21]
	v_fma_f64 v[80:81], v[52:53], v[80:81], s[24:25]
	v_add_f64 v[84:85], -v[64:65], 1.0
	v_fma_f64 v[80:81], v[52:53], v[80:81], s[28:29]
	v_add_f64 v[54:55], v[84:85], -v[54:55]
	v_mul_f64 v[68:69], v[52:53], v[52:53]
	v_fma_f64 v[80:81], v[52:53], v[80:81], s[42:43]
	v_fma_f64 v[54:55], v[48:49], -v[50:51], v[54:55]
	v_fmac_f64_e32 v[54:55], v[68:69], v[80:81]
	v_fma_f64 v[68:69], s[6:7], v[52:53], v[112:113]
	v_fma_f64 v[68:69], v[52:53], v[68:69], s[8:9]
	;; [unrolled: 1-line block ×3, first 2 shown]
	v_add_f64 v[54:55], v[64:65], v[54:55]
	v_mul_f64 v[64:65], v[48:49], -v[52:53]
	v_fma_f64 v[68:69], v[52:53], v[68:69], s[12:13]
	v_mul_f64 v[80:81], v[50:51], 0.5
	v_fmac_f64_e32 v[80:81], v[64:65], v[68:69]
	v_fma_f64 v[50:51], v[52:53], v[80:81], -v[50:51]
	v_fmac_f64_e32 v[50:51], s[14:15], v[64:65]
	v_and_b32_e32 v96, 1, v133
	v_add_f64 v[48:49], v[48:49], -v[50:51]
	v_xor_b32_e32 v49, 0x80000000, v49
	v_cmp_eq_u32_e64 s[0:1], 0, v96
	v_lshlrev_b32_e32 v50, 30, v133
	v_mul_f64 v[64:65], v[38:39], 0.5
	v_cndmask_b32_e64 v49, v49, v55, s[0:1]
	v_bitop3_b32 v49, v49, v50, s55 bitop3:0x78
	v_mul_f64 v[50:51], v[36:37], v[36:37]
	v_cndmask_b32_e64 v48, v48, v54, s[0:1]
	v_fma_f64 v[54:55], s[6:7], v[50:51], v[112:113]
	v_fma_f64 v[54:55], v[50:51], v[54:55], s[8:9]
	;; [unrolled: 1-line block ×3, first 2 shown]
	v_mul_f64 v[52:53], v[36:37], -v[50:51]
	v_fma_f64 v[54:55], v[50:51], v[54:55], s[12:13]
	v_fmac_f64_e32 v[64:65], v[52:53], v[54:55]
	v_fma_f64 v[54:55], v[50:51], v[64:65], -v[38:39]
	v_fma_f64 v[80:81], s[18:19], v[50:51], v[118:119]
	v_fmac_f64_e32 v[54:55], s[14:15], v[52:53]
	v_fma_f64 v[80:81], v[50:51], v[80:81], s[20:21]
	v_add_f64 v[52:53], v[36:37], -v[54:55]
	v_mul_f64 v[54:55], v[50:51], 0.5
	v_fma_f64 v[80:81], v[50:51], v[80:81], s[24:25]
	v_add_f64 v[64:65], -v[54:55], 1.0
	v_fma_f64 v[80:81], v[50:51], v[80:81], s[28:29]
	v_mul_f64 v[68:69], v[50:51], v[50:51]
	v_fma_f64 v[50:51], v[50:51], v[80:81], s[42:43]
	v_add_f64 v[80:81], -v[64:65], 1.0
	v_add_f64 v[54:55], v[80:81], -v[54:55]
	v_fma_f64 v[36:37], v[36:37], -v[38:39], v[54:55]
	v_and_b32_e32 v84, 1, v132
	v_fmac_f64_e32 v[36:37], v[68:69], v[50:51]
	v_cndmask_b32_e32 v48, 0, v48, vcc
	v_cndmask_b32_e32 v49, v116, v49, vcc
	v_add_f64 v[36:37], v[64:65], v[36:37]
	v_cmp_eq_u32_e32 vcc, 0, v84
	v_lshlrev_b32_e32 v38, 30, v132
	v_xor_b32_e32 v38, v38, v35
	v_cndmask_b32_e32 v37, v37, v53, vcc
	v_cndmask_b32_e32 v36, v36, v52, vcc
	v_bitop3_b32 v37, v37, v38, s55 bitop3:0x78
	v_cmp_class_f64_e64 vcc, v[34:35], s54
	v_mul_f64 v[54:55], v[32:33], 0.5
	v_cmp_ngt_f64_e64 s[0:1], s[78:79], v[6:7]
	v_cndmask_b32_e32 v34, 0, v36, vcc
	v_cndmask_b32_e32 v35, v116, v37, vcc
	v_add_f64 v[36:37], v[34:35], v[34:35]
	v_mul_f64 v[34:35], v[36:37], v[34:35]
	v_fma_f64 v[10:11], v[10:11], v[48:49], -v[34:35]
	v_mul_f64 v[34:35], v[6:7], s[16:17]
	v_rndne_f64_e32 v[34:35], v[34:35]
	v_fma_f64 v[36:37], s[22:23], v[34:35], v[6:7]
	v_fmac_f64_e32 v[36:37], s[26:27], v[34:35]
	v_mul_f64 v[48:49], v[30:31], v[30:31]
	v_fma_f64 v[38:39], s[40:41], v[36:37], v[128:129]
	v_fma_f64 v[52:53], s[6:7], v[48:49], v[112:113]
	;; [unrolled: 1-line block ×7, first 2 shown]
	v_mul_f64 v[50:51], v[30:31], -v[48:49]
	v_fma_f64 v[52:53], v[48:49], v[52:53], s[12:13]
	v_fma_f64 v[38:39], v[36:37], v[38:39], s[58:59]
	v_fmac_f64_e32 v[54:55], v[50:51], v[52:53]
	v_fma_f64 v[38:39], v[36:37], v[38:39], s[60:61]
	v_fma_f64 v[52:53], v[48:49], v[54:55], -v[32:33]
	v_fma_f64 v[68:69], s[18:19], v[48:49], v[118:119]
	v_fma_f64 v[38:39], v[36:37], v[38:39], s[62:63]
	v_fmac_f64_e32 v[52:53], s[14:15], v[50:51]
	v_fma_f64 v[68:69], v[48:49], v[68:69], s[20:21]
	v_fma_f64 v[38:39], v[36:37], v[38:39], s[74:75]
	v_add_f64 v[50:51], v[30:31], -v[52:53]
	v_mul_f64 v[52:53], v[48:49], 0.5
	v_fma_f64 v[68:69], v[48:49], v[68:69], s[24:25]
	v_fma_f64 v[38:39], v[36:37], v[38:39], s[76:77]
	v_add_f64 v[54:55], -v[52:53], 1.0
	v_fma_f64 v[68:69], v[48:49], v[68:69], s[28:29]
	v_fma_f64 v[38:39], v[36:37], v[38:39], 1.0
	v_mul_f64 v[64:65], v[48:49], v[48:49]
	v_fma_f64 v[48:49], v[48:49], v[68:69], s[42:43]
	v_add_f64 v[68:69], -v[54:55], 1.0
	v_fma_f64 v[38:39], v[36:37], v[38:39], 1.0
	v_cvt_i32_f64_e32 v80, v[34:35]
	v_add_f64 v[52:53], v[68:69], -v[52:53]
	v_ldexp_f64 v[38:39], v[38:39], v80
	v_cmp_nlt_f64_e32 vcc, s[72:73], v[6:7]
	v_fma_f64 v[30:31], v[30:31], -v[32:33], v[52:53]
	v_and_b32_e32 v81, 1, v131
	v_cndmask_b32_e32 v39, v149, v39, vcc
	s_and_b64 vcc, s[0:1], vcc
	v_fmac_f64_e32 v[30:31], v[64:65], v[48:49]
	v_cndmask_b32_e32 v38, 0, v38, vcc
	v_add_f64 v[30:31], v[54:55], v[30:31]
	v_cmp_eq_u32_e32 vcc, 0, v81
	v_lshlrev_b32_e32 v32, 30, v131
	v_xor_b32_e32 v32, v32, v9
	v_cndmask_b32_e32 v31, v31, v51, vcc
	v_bitop3_b32 v31, v31, v32, s55 bitop3:0x78
	v_fma_f64 v[32:33], s[88:89], v[36:37], v[114:115]
	v_fma_f64 v[32:33], v[36:37], v[32:33], s[90:91]
	;; [unrolled: 1-line block ×8, first 2 shown]
	v_cndmask_b32_e32 v30, v30, v50, vcc
	v_cmp_class_f64_e64 vcc, v[8:9], s54
	v_fma_f64 v[32:33], v[36:37], v[32:33], s[48:49]
	v_cndmask_b32_e64 v39, 0, v39, s[0:1]
	v_cndmask_b32_e32 v8, 0, v30, vcc
	v_cndmask_b32_e32 v9, v116, v31, vcc
	v_ldexp_f64 v[30:31], 1.0, v80
	v_cmp_eq_f64_e64 s[0:1], s[72:73], v[34:35]
	v_fma_f64 v[32:33], v[36:37], v[32:33], 0.5
	v_mul_f64 v[32:33], v[36:37], v[32:33]
	v_cndmask_b32_e64 v31, v31, v117, s[0:1]
	v_cndmask_b32_e64 v30, v30, 0, s[0:1]
	v_fmac_f64_e32 v[36:37], v[36:37], v[32:33]
	v_add_f64 v[32:33], v[30:31], -1.0
	v_fmac_f64_e32 v[32:33], v[30:31], v[36:37]
	v_add_f64 v[30:31], v[32:33], v[32:33]
	v_cndmask_b32_e64 v30, v32, v30, s[0:1]
	v_cndmask_b32_e64 v31, v33, v31, s[0:1]
	v_cmp_nlt_f64_e64 s[0:1], s[50:51], v[6:7]
	v_cmp_ngt_f64_e64 s[2:3], s[52:53], v[6:7]
	v_mul_f64 v[8:9], v[38:39], v[8:9]
	v_cndmask_b32_e64 v31, v149, v31, s[0:1]
	s_and_b64 s[0:1], s[2:3], s[0:1]
	v_cndmask_b32_e64 v7, v148, v31, s[2:3]
	v_cndmask_b32_e64 v6, 0, v30, s[0:1]
	v_mul_f64 v[30:31], v[26:27], v[26:27]
	v_mul_f64 v[32:33], v[30:31], 0.5
	v_fma_f64 v[38:39], s[18:19], v[30:31], v[118:119]
	v_add_f64 v[34:35], -v[32:33], 1.0
	v_fma_f64 v[38:39], v[30:31], v[38:39], s[20:21]
	v_fma_f64 v[38:39], v[30:31], v[38:39], s[24:25]
	v_add_f64 v[48:49], -v[34:35], 1.0
	v_fma_f64 v[38:39], v[30:31], v[38:39], s[28:29]
	v_add_f64 v[32:33], v[48:49], -v[32:33]
	v_mul_f64 v[36:37], v[30:31], v[30:31]
	v_fma_f64 v[38:39], v[30:31], v[38:39], s[42:43]
	v_fma_f64 v[32:33], v[26:27], -v[28:29], v[32:33]
	v_fmac_f64_e32 v[32:33], v[36:37], v[38:39]
	v_fma_f64 v[36:37], s[6:7], v[30:31], v[112:113]
	v_fma_f64 v[36:37], v[30:31], v[36:37], s[8:9]
	;; [unrolled: 1-line block ×3, first 2 shown]
	v_add_f64 v[32:33], v[34:35], v[32:33]
	v_mul_f64 v[34:35], v[26:27], -v[30:31]
	v_fma_f64 v[36:37], v[30:31], v[36:37], s[12:13]
	v_mul_f64 v[38:39], v[28:29], 0.5
	v_fmac_f64_e32 v[38:39], v[34:35], v[36:37]
	v_fma_f64 v[28:29], v[30:31], v[38:39], -v[28:29]
	v_fmac_f64_e32 v[28:29], s[14:15], v[34:35]
	v_and_b32_e32 v50, 1, v19
	v_add_f64 v[26:27], v[26:27], -v[28:29]
	v_xor_b32_e32 v27, 0x80000000, v27
	v_cmp_eq_u32_e64 s[0:1], 0, v50
	v_mul_f64 v[28:29], v[22:23], v[22:23]
	v_mul_f64 v[30:31], v[22:23], -v[28:29]
	v_cndmask_b32_e64 v26, v26, v32, s[0:1]
	v_cndmask_b32_e64 v27, v27, v33, s[0:1]
	v_fma_f64 v[32:33], s[6:7], v[28:29], v[112:113]
	v_fma_f64 v[32:33], v[28:29], v[32:33], s[8:9]
	;; [unrolled: 1-line block ×4, first 2 shown]
	v_mul_f64 v[34:35], v[24:25], 0.5
	v_fmac_f64_e32 v[34:35], v[30:31], v[32:33]
	v_fma_f64 v[32:33], v[28:29], v[34:35], -v[24:25]
	v_fma_f64 v[38:39], s[18:19], v[28:29], v[118:119]
	v_fmac_f64_e32 v[32:33], s[14:15], v[30:31]
	v_fma_f64 v[38:39], v[28:29], v[38:39], s[20:21]
	v_add_f64 v[30:31], v[22:23], -v[32:33]
	v_mul_f64 v[32:33], v[28:29], 0.5
	v_fma_f64 v[38:39], v[28:29], v[38:39], s[24:25]
	v_add_f64 v[34:35], -v[32:33], 1.0
	v_fma_f64 v[38:39], v[28:29], v[38:39], s[28:29]
	v_mul_f64 v[36:37], v[28:29], v[28:29]
	v_fma_f64 v[28:29], v[28:29], v[38:39], s[42:43]
	v_add_f64 v[38:39], -v[34:35], 1.0
	v_lshlrev_b32_e32 v19, 30, v19
	v_add_f64 v[32:33], v[38:39], -v[32:33]
	v_bitop3_b32 v19, v27, v19, s55 bitop3:0x78
	v_fma_f64 v[22:23], v[22:23], -v[24:25], v[32:33]
	v_cndmask_b32_e32 v27, v116, v19, vcc
	v_and_b32_e32 v19, 1, v130
	v_fmac_f64_e32 v[22:23], v[36:37], v[28:29]
	v_cndmask_b32_e32 v26, 0, v26, vcc
	v_add_f64 v[22:23], v[34:35], v[22:23]
	v_cmp_eq_u32_e32 vcc, 0, v19
	v_cmp_ngt_f64_e64 s[0:1], s[78:79], v[2:3]
	v_lshl_add_u64 v[0:1], s[4:5], 4, v[0:1]
	v_cndmask_b32_e32 v19, v22, v30, vcc
	v_cndmask_b32_e32 v22, v23, v31, vcc
	v_lshlrev_b32_e32 v23, 30, v130
	v_xor_b32_e32 v23, v23, v21
	v_bitop3_b32 v22, v22, v23, s55 bitop3:0x78
	v_cmp_class_f64_e64 vcc, v[20:21], s54
	s_nop 1
	v_cndmask_b32_e32 v20, 0, v19, vcc
	v_cndmask_b32_e32 v21, v116, v22, vcc
	v_add_f64 v[22:23], v[20:21], v[20:21]
	v_mul_f64 v[20:21], v[22:23], v[20:21]
	v_fma_f64 v[6:7], v[6:7], v[26:27], -v[20:21]
	v_mul_f64 v[20:21], v[2:3], s[16:17]
	v_rndne_f64_e32 v[20:21], v[20:21]
	v_fma_f64 v[22:23], s[22:23], v[20:21], v[2:3]
	v_fmac_f64_e32 v[22:23], s[26:27], v[20:21]
	v_fmac_f64_e32 v[128:129], s[40:41], v[22:23]
	v_fma_f64 v[24:25], v[22:23], v[128:129], s[44:45]
	v_fma_f64 v[24:25], v[22:23], v[24:25], s[46:47]
	;; [unrolled: 1-line block ×8, first 2 shown]
	v_fma_f64 v[24:25], v[22:23], v[24:25], 1.0
	v_fma_f64 v[24:25], v[22:23], v[24:25], 1.0
	v_cvt_i32_f64_e32 v19, v[20:21]
	v_ldexp_f64 v[24:25], v[24:25], v19
	v_cmp_nlt_f64_e32 vcc, s[72:73], v[2:3]
	v_ldexp_f64 v[26:27], 1.0, v19
	v_fmac_f64_e32 v[114:115], s[88:89], v[22:23]
	v_cndmask_b32_e32 v25, v149, v25, vcc
	s_and_b64 vcc, s[0:1], vcc
	v_cndmask_b32_e32 v24, 0, v24, vcc
	v_cmp_eq_f64_e32 vcc, s[72:73], v[20:21]
	v_cndmask_b32_e64 v25, 0, v25, s[0:1]
	v_cmp_ngt_f64_e64 s[0:1], s[52:53], v[2:3]
	v_cndmask_b32_e32 v21, v27, v117, vcc
	v_cndmask_b32_e64 v20, v26, 0, vcc
	v_fma_f64 v[26:27], v[22:23], v[114:115], s[90:91]
	v_fma_f64 v[26:27], v[22:23], v[26:27], s[92:93]
	;; [unrolled: 1-line block ×8, first 2 shown]
	v_fma_f64 v[26:27], v[22:23], v[26:27], 0.5
	v_mul_f64 v[26:27], v[22:23], v[26:27]
	v_fmac_f64_e32 v[22:23], v[22:23], v[26:27]
	v_add_f64 v[26:27], v[20:21], -1.0
	v_fmac_f64_e32 v[26:27], v[20:21], v[22:23]
	v_add_f64 v[20:21], v[26:27], v[26:27]
	v_cndmask_b32_e32 v19, v26, v20, vcc
	v_cndmask_b32_e32 v20, v27, v21, vcc
	v_cmp_nlt_f64_e32 vcc, s[50:51], v[2:3]
	v_readlane_b32 s30, v40, 14
	v_readlane_b32 s31, v40, 15
	v_cndmask_b32_e32 v20, v149, v20, vcc
	v_cndmask_b32_e64 v3, v148, v20, s[0:1]
	v_mul_f64 v[20:21], v[86:87], v[86:87]
	v_mul_f64 v[22:23], v[20:21], 0.5
	v_fma_f64 v[30:31], s[18:19], v[20:21], v[118:119]
	v_add_f64 v[26:27], -v[22:23], 1.0
	v_fma_f64 v[30:31], v[20:21], v[30:31], s[20:21]
	v_fma_f64 v[30:31], v[20:21], v[30:31], s[24:25]
	v_add_f64 v[32:33], -v[26:27], 1.0
	v_fma_f64 v[30:31], v[20:21], v[30:31], s[28:29]
	v_add_f64 v[22:23], v[32:33], -v[22:23]
	v_mul_f64 v[28:29], v[20:21], v[20:21]
	v_fma_f64 v[30:31], v[20:21], v[30:31], s[42:43]
	v_fma_f64 v[22:23], v[86:87], -v[98:99], v[22:23]
	v_fmac_f64_e32 v[22:23], v[28:29], v[30:31]
	v_fma_f64 v[28:29], s[6:7], v[20:21], v[112:113]
	v_fma_f64 v[28:29], v[20:21], v[28:29], s[8:9]
	;; [unrolled: 1-line block ×3, first 2 shown]
	v_add_f64 v[22:23], v[26:27], v[22:23]
	v_mul_f64 v[26:27], v[86:87], -v[20:21]
	v_fma_f64 v[28:29], v[20:21], v[28:29], s[12:13]
	v_mul_f64 v[30:31], v[98:99], 0.5
	v_fmac_f64_e32 v[30:31], v[26:27], v[28:29]
	v_fma_f64 v[20:21], v[20:21], v[30:31], -v[98:99]
	s_and_b64 vcc, s[0:1], vcc
	v_fmac_f64_e32 v[20:21], s[14:15], v[26:27]
	v_cndmask_b32_e32 v2, 0, v19, vcc
	v_and_b32_e32 v19, 1, v146
	v_add_f64 v[20:21], v[86:87], -v[20:21]
	v_xor_b32_e32 v21, 0x80000000, v21
	v_cmp_eq_u32_e32 vcc, 0, v19
	v_mul_f64 v[30:31], v[82:83], 0.5
	v_readlane_b32 s53, v40, 11
	v_cndmask_b32_e32 v19, v20, v22, vcc
	v_cndmask_b32_e32 v20, v21, v23, vcc
	v_mul_f64 v[22:23], v[70:71], v[70:71]
	v_fma_f64 v[28:29], s[6:7], v[22:23], v[112:113]
	v_fma_f64 v[28:29], v[22:23], v[28:29], s[8:9]
	;; [unrolled: 1-line block ×3, first 2 shown]
	v_mul_f64 v[26:27], v[70:71], -v[22:23]
	v_fma_f64 v[28:29], v[22:23], v[28:29], s[12:13]
	v_fmac_f64_e32 v[30:31], v[26:27], v[28:29]
	v_fma_f64 v[28:29], v[22:23], v[30:31], -v[82:83]
	v_fma_f64 v[34:35], s[18:19], v[22:23], v[118:119]
	v_fmac_f64_e32 v[28:29], s[14:15], v[26:27]
	v_fma_f64 v[34:35], v[22:23], v[34:35], s[20:21]
	v_add_f64 v[26:27], v[70:71], -v[28:29]
	v_mul_f64 v[28:29], v[22:23], 0.5
	v_fma_f64 v[34:35], v[22:23], v[34:35], s[24:25]
	v_add_f64 v[30:31], -v[28:29], 1.0
	v_fma_f64 v[34:35], v[22:23], v[34:35], s[28:29]
	v_mul_f64 v[32:33], v[22:23], v[22:23]
	v_fma_f64 v[22:23], v[22:23], v[34:35], s[42:43]
	v_add_f64 v[34:35], -v[30:31], 1.0
	v_add_f64 v[28:29], v[34:35], -v[28:29]
	v_fma_f64 v[28:29], v[70:71], -v[82:83], v[28:29]
	v_cmp_class_f64_e64 vcc, v[4:5], s54
	v_and_b32_e32 v4, 1, v144
	v_fmac_f64_e32 v[28:29], v[32:33], v[22:23]
	v_add_f64 v[22:23], v[30:31], v[28:29]
	v_cmp_eq_u32_e64 s[0:1], 0, v4
	v_lshlrev_b32_e32 v21, 30, v146
	v_bitop3_b32 v21, v20, v21, s55 bitop3:0x78
	v_cndmask_b32_e64 v4, v22, v26, s[0:1]
	v_lshlrev_b32_e32 v22, 30, v144
	v_cndmask_b32_e32 v20, 0, v19, vcc
	v_cndmask_b32_e64 v19, v23, v27, s[0:1]
	v_xor_b32_e32 v22, v22, v67
	v_bitop3_b32 v19, v19, v22, s55 bitop3:0x78
	v_cmp_class_f64_e64 s[0:1], v[66:67], s54
	v_cndmask_b32_e32 v21, v116, v21, vcc
	v_readlane_b32 s54, v40, 12
	v_cndmask_b32_e64 v22, 0, v4, s[0:1]
	v_cndmask_b32_e64 v23, v116, v19, s[0:1]
	v_add_f64 v[26:27], v[22:23], v[22:23]
	v_mul_f64 v[22:23], v[26:27], v[22:23]
	v_fma_f64 v[2:3], v[2:3], v[20:21], -v[22:23]
	v_mul_f64 v[20:21], v[100:101], v[100:101]
	v_mul_f64 v[22:23], v[20:21], 0.5
	v_fmac_f64_e32 v[118:119], s[18:19], v[20:21]
	v_add_f64 v[26:27], -v[22:23], 1.0
	v_fma_f64 v[30:31], v[20:21], v[118:119], s[20:21]
	v_add_f64 v[28:29], -v[26:27], 1.0
	v_fma_f64 v[30:31], v[20:21], v[30:31], s[24:25]
	v_add_f64 v[22:23], v[28:29], -v[22:23]
	v_fma_f64 v[30:31], v[20:21], v[30:31], s[28:29]
	v_mul_f64 v[28:29], v[20:21], v[20:21]
	v_fma_f64 v[30:31], v[20:21], v[30:31], s[42:43]
	v_fma_f64 v[22:23], v[100:101], -v[102:103], v[22:23]
	v_fmac_f64_e32 v[22:23], v[28:29], v[30:31]
	v_fmac_f64_e32 v[112:113], s[6:7], v[20:21]
	v_add_f64 v[22:23], v[26:27], v[22:23]
	v_fma_f64 v[26:27], v[20:21], v[112:113], s[8:9]
	v_fma_f64 v[26:27], v[20:21], v[26:27], s[10:11]
	;; [unrolled: 1-line block ×3, first 2 shown]
	v_mul_f64 v[28:29], v[100:101], -v[20:21]
	v_mul_f64 v[30:31], v[102:103], 0.5
	v_fmac_f64_e32 v[30:31], v[28:29], v[26:27]
	v_fma_f64 v[20:21], v[20:21], v[30:31], -v[102:103]
	v_fmac_f64_e32 v[20:21], s[14:15], v[28:29]
	v_and_b32_e32 v4, 1, v147
	v_add_f64 v[20:21], v[100:101], -v[20:21]
	v_cmp_eq_u32_e64 s[0:1], 0, v4
	v_readlane_b32 s52, v40, 10
	v_readlane_b32 s51, v40, 9
	v_cndmask_b32_e64 v4, v22, v20, s[0:1]
	v_lshlrev_b32_e32 v20, 30, v147
	v_cndmask_b32_e64 v19, v23, v21, s[0:1]
	v_xor_b32_e32 v5, v20, v5
	v_bitop3_b32 v5, v19, v5, s55 bitop3:0x78
	v_mov_b32_e32 v19, 0
	v_cndmask_b32_e32 v4, 0, v4, vcc
	v_cndmask_b32_e32 v5, v116, v5, vcc
	v_lshl_add_u64 v[0:1], v[0:1], 0, v[18:19]
	v_mul_f64 v[4:5], v[24:25], v[4:5]
	flat_store_dwordx4 v[0:1], v[6:9]
	flat_store_dwordx4 v[0:1], v[10:13] offset:16
	flat_store_dwordx4 v[0:1], v[14:17] offset:32
	;; [unrolled: 1-line block ×3, first 2 shown]
	v_readlane_b32 s55, v40, 13
	v_readlane_b32 s50, v40, 8
	;; [unrolled: 1-line block ×10, first 2 shown]
	s_or_saveexec_b64 s[0:1], -1
	scratch_load_dword v40, off, s32        ; 4-byte Folded Reload
	s_mov_b64 exec, s[0:1]
	s_waitcnt vmcnt(0) lgkmcnt(0)
	s_setpc_b64 s[30:31]
.Lfunc_end123:
	.size	_ZN2at6native25elementwise_kernel_helperILb0EZZZNS0_17expm1_kernel_cudaERNS_18TensorIteratorBaseEENKUlvE_clEvENKUlvE1_clEvEUlN3c107complexIdEEE_NS0_6memory8policies10vectorizedILi4ESt5arrayIPcLm2EELi4EEEEEvT0_T1_, .Lfunc_end123-_ZN2at6native25elementwise_kernel_helperILb0EZZZNS0_17expm1_kernel_cudaERNS_18TensorIteratorBaseEENKUlvE_clEvENKUlvE1_clEvEUlN3c107complexIdEEE_NS0_6memory8policies10vectorizedILi4ESt5arrayIPcLm2EELi4EEEEEvT0_T1_
                                        ; -- End function
	.set .L_ZN2at6native25elementwise_kernel_helperILb0EZZZNS0_17expm1_kernel_cudaERNS_18TensorIteratorBaseEENKUlvE_clEvENKUlvE1_clEvEUlN3c107complexIdEEE_NS0_6memory8policies10vectorizedILi4ESt5arrayIPcLm2EELi4EEEEEvT0_T1_.num_vgpr, 194
	.set .L_ZN2at6native25elementwise_kernel_helperILb0EZZZNS0_17expm1_kernel_cudaERNS_18TensorIteratorBaseEENKUlvE_clEvENKUlvE1_clEvEUlN3c107complexIdEEE_NS0_6memory8policies10vectorizedILi4ESt5arrayIPcLm2EELi4EEEEEvT0_T1_.num_agpr, 0
	.set .L_ZN2at6native25elementwise_kernel_helperILb0EZZZNS0_17expm1_kernel_cudaERNS_18TensorIteratorBaseEENKUlvE_clEvENKUlvE1_clEvEUlN3c107complexIdEEE_NS0_6memory8policies10vectorizedILi4ESt5arrayIPcLm2EELi4EEEEEvT0_T1_.numbered_sgpr, 96
	.set .L_ZN2at6native25elementwise_kernel_helperILb0EZZZNS0_17expm1_kernel_cudaERNS_18TensorIteratorBaseEENKUlvE_clEvENKUlvE1_clEvEUlN3c107complexIdEEE_NS0_6memory8policies10vectorizedILi4ESt5arrayIPcLm2EELi4EEEEEvT0_T1_.num_named_barrier, 0
	.set .L_ZN2at6native25elementwise_kernel_helperILb0EZZZNS0_17expm1_kernel_cudaERNS_18TensorIteratorBaseEENKUlvE_clEvENKUlvE1_clEvEUlN3c107complexIdEEE_NS0_6memory8policies10vectorizedILi4ESt5arrayIPcLm2EELi4EEEEEvT0_T1_.private_seg_size, 8
	.set .L_ZN2at6native25elementwise_kernel_helperILb0EZZZNS0_17expm1_kernel_cudaERNS_18TensorIteratorBaseEENKUlvE_clEvENKUlvE1_clEvEUlN3c107complexIdEEE_NS0_6memory8policies10vectorizedILi4ESt5arrayIPcLm2EELi4EEEEEvT0_T1_.uses_vcc, 1
	.set .L_ZN2at6native25elementwise_kernel_helperILb0EZZZNS0_17expm1_kernel_cudaERNS_18TensorIteratorBaseEENKUlvE_clEvENKUlvE1_clEvEUlN3c107complexIdEEE_NS0_6memory8policies10vectorizedILi4ESt5arrayIPcLm2EELi4EEEEEvT0_T1_.uses_flat_scratch, 0
	.set .L_ZN2at6native25elementwise_kernel_helperILb0EZZZNS0_17expm1_kernel_cudaERNS_18TensorIteratorBaseEENKUlvE_clEvENKUlvE1_clEvEUlN3c107complexIdEEE_NS0_6memory8policies10vectorizedILi4ESt5arrayIPcLm2EELi4EEEEEvT0_T1_.has_dyn_sized_stack, 0
	.set .L_ZN2at6native25elementwise_kernel_helperILb0EZZZNS0_17expm1_kernel_cudaERNS_18TensorIteratorBaseEENKUlvE_clEvENKUlvE1_clEvEUlN3c107complexIdEEE_NS0_6memory8policies10vectorizedILi4ESt5arrayIPcLm2EELi4EEEEEvT0_T1_.has_recursion, 0
	.set .L_ZN2at6native25elementwise_kernel_helperILb0EZZZNS0_17expm1_kernel_cudaERNS_18TensorIteratorBaseEENKUlvE_clEvENKUlvE1_clEvEUlN3c107complexIdEEE_NS0_6memory8policies10vectorizedILi4ESt5arrayIPcLm2EELi4EEEEEvT0_T1_.has_indirect_call, 0
	.section	.AMDGPU.csdata,"",@progbits
; Function info:
; codeLenInByte = 15552
; TotalNumSgprs: 102
; NumVgprs: 194
; NumAgprs: 0
; TotalNumVgprs: 194
; ScratchSize: 8
; MemoryBound: 0
	.section	.text._ZN2at6native29vectorized_elementwise_kernelILi16EZZZNS0_17expm1_kernel_cudaERNS_18TensorIteratorBaseEENKUlvE_clEvENKUlvE1_clEvEUlN3c107complexIdEEE_St5arrayIPcLm2EEEEviT0_T1_,"axG",@progbits,_ZN2at6native29vectorized_elementwise_kernelILi16EZZZNS0_17expm1_kernel_cudaERNS_18TensorIteratorBaseEENKUlvE_clEvENKUlvE1_clEvEUlN3c107complexIdEEE_St5arrayIPcLm2EEEEviT0_T1_,comdat
	.globl	_ZN2at6native29vectorized_elementwise_kernelILi16EZZZNS0_17expm1_kernel_cudaERNS_18TensorIteratorBaseEENKUlvE_clEvENKUlvE1_clEvEUlN3c107complexIdEEE_St5arrayIPcLm2EEEEviT0_T1_ ; -- Begin function _ZN2at6native29vectorized_elementwise_kernelILi16EZZZNS0_17expm1_kernel_cudaERNS_18TensorIteratorBaseEENKUlvE_clEvENKUlvE1_clEvEUlN3c107complexIdEEE_St5arrayIPcLm2EEEEviT0_T1_
	.p2align	8
	.type	_ZN2at6native29vectorized_elementwise_kernelILi16EZZZNS0_17expm1_kernel_cudaERNS_18TensorIteratorBaseEENKUlvE_clEvENKUlvE1_clEvEUlN3c107complexIdEEE_St5arrayIPcLm2EEEEviT0_T1_,@function
_ZN2at6native29vectorized_elementwise_kernelILi16EZZZNS0_17expm1_kernel_cudaERNS_18TensorIteratorBaseEENKUlvE_clEvENKUlvE1_clEvEUlN3c107complexIdEEE_St5arrayIPcLm2EEEEviT0_T1_: ; @_ZN2at6native29vectorized_elementwise_kernelILi16EZZZNS0_17expm1_kernel_cudaERNS_18TensorIteratorBaseEENKUlvE_clEvENKUlvE1_clEvEUlN3c107complexIdEEE_St5arrayIPcLm2EEEEviT0_T1_
; %bb.0:
	s_mov_b32 s33, s2
	s_load_dword s2, s[0:1], 0x0
	s_load_dwordx4 s[64:67], s[0:1], 0x8
	s_lshl_b32 s0, s33, 10
	v_mov_b32_e32 v41, v0
	s_mov_b32 s32, 0
	s_waitcnt lgkmcnt(0)
	s_sub_i32 s68, s2, s0
	s_cmpk_gt_i32 s68, 0x3ff
	s_mov_b64 s[0:1], -1
	s_cbranch_scc1 .LBB124_3
; %bb.1:
	s_andn2_b64 vcc, exec, s[0:1]
	s_cbranch_vccz .LBB124_4
.LBB124_2:
	s_endpgm
.LBB124_3:
	s_getpc_b64 s[0:1]
	s_add_u32 s0, s0, _ZN2at6native25elementwise_kernel_helperILb0EZZZNS0_17expm1_kernel_cudaERNS_18TensorIteratorBaseEENKUlvE_clEvENKUlvE1_clEvEUlN3c107complexIdEEE_NS0_6memory8policies10vectorizedILi4ESt5arrayIPcLm2EELi4EEEEEvT0_T1_@rel32@lo+4
	s_addc_u32 s1, s1, _ZN2at6native25elementwise_kernel_helperILb0EZZZNS0_17expm1_kernel_cudaERNS_18TensorIteratorBaseEENKUlvE_clEvENKUlvE1_clEvEUlN3c107complexIdEEE_NS0_6memory8policies10vectorizedILi4ESt5arrayIPcLm2EELi4EEEEEvT0_T1_@rel32@hi+12
	s_mov_b32 s12, s33
	v_mov_b32_e32 v31, v41
	v_mov_b32_e32 v0, s64
	;; [unrolled: 1-line block ×5, first 2 shown]
	s_swappc_b64 s[30:31], s[0:1]
	s_cbranch_execnz .LBB124_2
.LBB124_4:
	s_getpc_b64 s[0:1]
	s_add_u32 s0, s0, _ZN2at6native25elementwise_kernel_helperILb0EZZZNS0_17expm1_kernel_cudaERNS_18TensorIteratorBaseEENKUlvE_clEvENKUlvE1_clEvEUlN3c107complexIdEEE_NS0_6memory8policies11unroll_baseILi256ESt5arrayIPcLm2EE23TrivialOffsetCalculatorILi1EjESH_NSA_15LoadWithoutCastENSA_16StoreWithoutCastELi4ELi1EEEEEvT0_T1_@rel32@lo+4
	s_addc_u32 s1, s1, _ZN2at6native25elementwise_kernel_helperILb0EZZZNS0_17expm1_kernel_cudaERNS_18TensorIteratorBaseEENKUlvE_clEvENKUlvE1_clEvEUlN3c107complexIdEEE_NS0_6memory8policies11unroll_baseILi256ESt5arrayIPcLm2EE23TrivialOffsetCalculatorILi1EjESH_NSA_15LoadWithoutCastENSA_16StoreWithoutCastELi4ELi1EEEEEvT0_T1_@rel32@hi+12
	s_mov_b32 s12, s33
	v_mov_b32_e32 v31, v41
	v_mov_b32_e32 v0, s64
	;; [unrolled: 1-line block ×6, first 2 shown]
	s_swappc_b64 s[30:31], s[0:1]
	s_endpgm
	.section	.rodata,"a",@progbits
	.p2align	6, 0x0
	.amdhsa_kernel _ZN2at6native29vectorized_elementwise_kernelILi16EZZZNS0_17expm1_kernel_cudaERNS_18TensorIteratorBaseEENKUlvE_clEvENKUlvE1_clEvEUlN3c107complexIdEEE_St5arrayIPcLm2EEEEviT0_T1_
		.amdhsa_group_segment_fixed_size 0
		.amdhsa_private_segment_fixed_size 8
		.amdhsa_kernarg_size 24
		.amdhsa_user_sgpr_count 2
		.amdhsa_user_sgpr_dispatch_ptr 0
		.amdhsa_user_sgpr_queue_ptr 0
		.amdhsa_user_sgpr_kernarg_segment_ptr 1
		.amdhsa_user_sgpr_dispatch_id 0
		.amdhsa_user_sgpr_kernarg_preload_length 0
		.amdhsa_user_sgpr_kernarg_preload_offset 0
		.amdhsa_user_sgpr_private_segment_size 0
		.amdhsa_uses_dynamic_stack 0
		.amdhsa_enable_private_segment 1
		.amdhsa_system_sgpr_workgroup_id_x 1
		.amdhsa_system_sgpr_workgroup_id_y 0
		.amdhsa_system_sgpr_workgroup_id_z 0
		.amdhsa_system_sgpr_workgroup_info 0
		.amdhsa_system_vgpr_workitem_id 0
		.amdhsa_next_free_vgpr 194
		.amdhsa_next_free_sgpr 96
		.amdhsa_accum_offset 196
		.amdhsa_reserve_vcc 1
		.amdhsa_float_round_mode_32 0
		.amdhsa_float_round_mode_16_64 0
		.amdhsa_float_denorm_mode_32 3
		.amdhsa_float_denorm_mode_16_64 3
		.amdhsa_dx10_clamp 1
		.amdhsa_ieee_mode 1
		.amdhsa_fp16_overflow 0
		.amdhsa_tg_split 0
		.amdhsa_exception_fp_ieee_invalid_op 0
		.amdhsa_exception_fp_denorm_src 0
		.amdhsa_exception_fp_ieee_div_zero 0
		.amdhsa_exception_fp_ieee_overflow 0
		.amdhsa_exception_fp_ieee_underflow 0
		.amdhsa_exception_fp_ieee_inexact 0
		.amdhsa_exception_int_div_zero 0
	.end_amdhsa_kernel
	.section	.text._ZN2at6native29vectorized_elementwise_kernelILi16EZZZNS0_17expm1_kernel_cudaERNS_18TensorIteratorBaseEENKUlvE_clEvENKUlvE1_clEvEUlN3c107complexIdEEE_St5arrayIPcLm2EEEEviT0_T1_,"axG",@progbits,_ZN2at6native29vectorized_elementwise_kernelILi16EZZZNS0_17expm1_kernel_cudaERNS_18TensorIteratorBaseEENKUlvE_clEvENKUlvE1_clEvEUlN3c107complexIdEEE_St5arrayIPcLm2EEEEviT0_T1_,comdat
.Lfunc_end124:
	.size	_ZN2at6native29vectorized_elementwise_kernelILi16EZZZNS0_17expm1_kernel_cudaERNS_18TensorIteratorBaseEENKUlvE_clEvENKUlvE1_clEvEUlN3c107complexIdEEE_St5arrayIPcLm2EEEEviT0_T1_, .Lfunc_end124-_ZN2at6native29vectorized_elementwise_kernelILi16EZZZNS0_17expm1_kernel_cudaERNS_18TensorIteratorBaseEENKUlvE_clEvENKUlvE1_clEvEUlN3c107complexIdEEE_St5arrayIPcLm2EEEEviT0_T1_
                                        ; -- End function
	.set _ZN2at6native29vectorized_elementwise_kernelILi16EZZZNS0_17expm1_kernel_cudaERNS_18TensorIteratorBaseEENKUlvE_clEvENKUlvE1_clEvEUlN3c107complexIdEEE_St5arrayIPcLm2EEEEviT0_T1_.num_vgpr, max(42, .L_ZN2at6native25elementwise_kernel_helperILb0EZZZNS0_17expm1_kernel_cudaERNS_18TensorIteratorBaseEENKUlvE_clEvENKUlvE1_clEvEUlN3c107complexIdEEE_NS0_6memory8policies10vectorizedILi4ESt5arrayIPcLm2EELi4EEEEEvT0_T1_.num_vgpr, .L_ZN2at6native25elementwise_kernel_helperILb0EZZZNS0_17expm1_kernel_cudaERNS_18TensorIteratorBaseEENKUlvE_clEvENKUlvE1_clEvEUlN3c107complexIdEEE_NS0_6memory8policies11unroll_baseILi256ESt5arrayIPcLm2EE23TrivialOffsetCalculatorILi1EjESH_NSA_15LoadWithoutCastENSA_16StoreWithoutCastELi4ELi1EEEEEvT0_T1_.num_vgpr)
	.set _ZN2at6native29vectorized_elementwise_kernelILi16EZZZNS0_17expm1_kernel_cudaERNS_18TensorIteratorBaseEENKUlvE_clEvENKUlvE1_clEvEUlN3c107complexIdEEE_St5arrayIPcLm2EEEEviT0_T1_.num_agpr, max(0, .L_ZN2at6native25elementwise_kernel_helperILb0EZZZNS0_17expm1_kernel_cudaERNS_18TensorIteratorBaseEENKUlvE_clEvENKUlvE1_clEvEUlN3c107complexIdEEE_NS0_6memory8policies10vectorizedILi4ESt5arrayIPcLm2EELi4EEEEEvT0_T1_.num_agpr, .L_ZN2at6native25elementwise_kernel_helperILb0EZZZNS0_17expm1_kernel_cudaERNS_18TensorIteratorBaseEENKUlvE_clEvENKUlvE1_clEvEUlN3c107complexIdEEE_NS0_6memory8policies11unroll_baseILi256ESt5arrayIPcLm2EE23TrivialOffsetCalculatorILi1EjESH_NSA_15LoadWithoutCastENSA_16StoreWithoutCastELi4ELi1EEEEEvT0_T1_.num_agpr)
	.set _ZN2at6native29vectorized_elementwise_kernelILi16EZZZNS0_17expm1_kernel_cudaERNS_18TensorIteratorBaseEENKUlvE_clEvENKUlvE1_clEvEUlN3c107complexIdEEE_St5arrayIPcLm2EEEEviT0_T1_.numbered_sgpr, max(69, .L_ZN2at6native25elementwise_kernel_helperILb0EZZZNS0_17expm1_kernel_cudaERNS_18TensorIteratorBaseEENKUlvE_clEvENKUlvE1_clEvEUlN3c107complexIdEEE_NS0_6memory8policies10vectorizedILi4ESt5arrayIPcLm2EELi4EEEEEvT0_T1_.numbered_sgpr, .L_ZN2at6native25elementwise_kernel_helperILb0EZZZNS0_17expm1_kernel_cudaERNS_18TensorIteratorBaseEENKUlvE_clEvENKUlvE1_clEvEUlN3c107complexIdEEE_NS0_6memory8policies11unroll_baseILi256ESt5arrayIPcLm2EE23TrivialOffsetCalculatorILi1EjESH_NSA_15LoadWithoutCastENSA_16StoreWithoutCastELi4ELi1EEEEEvT0_T1_.numbered_sgpr)
	.set _ZN2at6native29vectorized_elementwise_kernelILi16EZZZNS0_17expm1_kernel_cudaERNS_18TensorIteratorBaseEENKUlvE_clEvENKUlvE1_clEvEUlN3c107complexIdEEE_St5arrayIPcLm2EEEEviT0_T1_.num_named_barrier, max(0, .L_ZN2at6native25elementwise_kernel_helperILb0EZZZNS0_17expm1_kernel_cudaERNS_18TensorIteratorBaseEENKUlvE_clEvENKUlvE1_clEvEUlN3c107complexIdEEE_NS0_6memory8policies10vectorizedILi4ESt5arrayIPcLm2EELi4EEEEEvT0_T1_.num_named_barrier, .L_ZN2at6native25elementwise_kernel_helperILb0EZZZNS0_17expm1_kernel_cudaERNS_18TensorIteratorBaseEENKUlvE_clEvENKUlvE1_clEvEUlN3c107complexIdEEE_NS0_6memory8policies11unroll_baseILi256ESt5arrayIPcLm2EE23TrivialOffsetCalculatorILi1EjESH_NSA_15LoadWithoutCastENSA_16StoreWithoutCastELi4ELi1EEEEEvT0_T1_.num_named_barrier)
	.set _ZN2at6native29vectorized_elementwise_kernelILi16EZZZNS0_17expm1_kernel_cudaERNS_18TensorIteratorBaseEENKUlvE_clEvENKUlvE1_clEvEUlN3c107complexIdEEE_St5arrayIPcLm2EEEEviT0_T1_.private_seg_size, 0+max(.L_ZN2at6native25elementwise_kernel_helperILb0EZZZNS0_17expm1_kernel_cudaERNS_18TensorIteratorBaseEENKUlvE_clEvENKUlvE1_clEvEUlN3c107complexIdEEE_NS0_6memory8policies10vectorizedILi4ESt5arrayIPcLm2EELi4EEEEEvT0_T1_.private_seg_size, .L_ZN2at6native25elementwise_kernel_helperILb0EZZZNS0_17expm1_kernel_cudaERNS_18TensorIteratorBaseEENKUlvE_clEvENKUlvE1_clEvEUlN3c107complexIdEEE_NS0_6memory8policies11unroll_baseILi256ESt5arrayIPcLm2EE23TrivialOffsetCalculatorILi1EjESH_NSA_15LoadWithoutCastENSA_16StoreWithoutCastELi4ELi1EEEEEvT0_T1_.private_seg_size)
	.set _ZN2at6native29vectorized_elementwise_kernelILi16EZZZNS0_17expm1_kernel_cudaERNS_18TensorIteratorBaseEENKUlvE_clEvENKUlvE1_clEvEUlN3c107complexIdEEE_St5arrayIPcLm2EEEEviT0_T1_.uses_vcc, or(1, .L_ZN2at6native25elementwise_kernel_helperILb0EZZZNS0_17expm1_kernel_cudaERNS_18TensorIteratorBaseEENKUlvE_clEvENKUlvE1_clEvEUlN3c107complexIdEEE_NS0_6memory8policies10vectorizedILi4ESt5arrayIPcLm2EELi4EEEEEvT0_T1_.uses_vcc, .L_ZN2at6native25elementwise_kernel_helperILb0EZZZNS0_17expm1_kernel_cudaERNS_18TensorIteratorBaseEENKUlvE_clEvENKUlvE1_clEvEUlN3c107complexIdEEE_NS0_6memory8policies11unroll_baseILi256ESt5arrayIPcLm2EE23TrivialOffsetCalculatorILi1EjESH_NSA_15LoadWithoutCastENSA_16StoreWithoutCastELi4ELi1EEEEEvT0_T1_.uses_vcc)
	.set _ZN2at6native29vectorized_elementwise_kernelILi16EZZZNS0_17expm1_kernel_cudaERNS_18TensorIteratorBaseEENKUlvE_clEvENKUlvE1_clEvEUlN3c107complexIdEEE_St5arrayIPcLm2EEEEviT0_T1_.uses_flat_scratch, or(0, .L_ZN2at6native25elementwise_kernel_helperILb0EZZZNS0_17expm1_kernel_cudaERNS_18TensorIteratorBaseEENKUlvE_clEvENKUlvE1_clEvEUlN3c107complexIdEEE_NS0_6memory8policies10vectorizedILi4ESt5arrayIPcLm2EELi4EEEEEvT0_T1_.uses_flat_scratch, .L_ZN2at6native25elementwise_kernel_helperILb0EZZZNS0_17expm1_kernel_cudaERNS_18TensorIteratorBaseEENKUlvE_clEvENKUlvE1_clEvEUlN3c107complexIdEEE_NS0_6memory8policies11unroll_baseILi256ESt5arrayIPcLm2EE23TrivialOffsetCalculatorILi1EjESH_NSA_15LoadWithoutCastENSA_16StoreWithoutCastELi4ELi1EEEEEvT0_T1_.uses_flat_scratch)
	.set _ZN2at6native29vectorized_elementwise_kernelILi16EZZZNS0_17expm1_kernel_cudaERNS_18TensorIteratorBaseEENKUlvE_clEvENKUlvE1_clEvEUlN3c107complexIdEEE_St5arrayIPcLm2EEEEviT0_T1_.has_dyn_sized_stack, or(0, .L_ZN2at6native25elementwise_kernel_helperILb0EZZZNS0_17expm1_kernel_cudaERNS_18TensorIteratorBaseEENKUlvE_clEvENKUlvE1_clEvEUlN3c107complexIdEEE_NS0_6memory8policies10vectorizedILi4ESt5arrayIPcLm2EELi4EEEEEvT0_T1_.has_dyn_sized_stack, .L_ZN2at6native25elementwise_kernel_helperILb0EZZZNS0_17expm1_kernel_cudaERNS_18TensorIteratorBaseEENKUlvE_clEvENKUlvE1_clEvEUlN3c107complexIdEEE_NS0_6memory8policies11unroll_baseILi256ESt5arrayIPcLm2EE23TrivialOffsetCalculatorILi1EjESH_NSA_15LoadWithoutCastENSA_16StoreWithoutCastELi4ELi1EEEEEvT0_T1_.has_dyn_sized_stack)
	.set _ZN2at6native29vectorized_elementwise_kernelILi16EZZZNS0_17expm1_kernel_cudaERNS_18TensorIteratorBaseEENKUlvE_clEvENKUlvE1_clEvEUlN3c107complexIdEEE_St5arrayIPcLm2EEEEviT0_T1_.has_recursion, or(0, .L_ZN2at6native25elementwise_kernel_helperILb0EZZZNS0_17expm1_kernel_cudaERNS_18TensorIteratorBaseEENKUlvE_clEvENKUlvE1_clEvEUlN3c107complexIdEEE_NS0_6memory8policies10vectorizedILi4ESt5arrayIPcLm2EELi4EEEEEvT0_T1_.has_recursion, .L_ZN2at6native25elementwise_kernel_helperILb0EZZZNS0_17expm1_kernel_cudaERNS_18TensorIteratorBaseEENKUlvE_clEvENKUlvE1_clEvEUlN3c107complexIdEEE_NS0_6memory8policies11unroll_baseILi256ESt5arrayIPcLm2EE23TrivialOffsetCalculatorILi1EjESH_NSA_15LoadWithoutCastENSA_16StoreWithoutCastELi4ELi1EEEEEvT0_T1_.has_recursion)
	.set _ZN2at6native29vectorized_elementwise_kernelILi16EZZZNS0_17expm1_kernel_cudaERNS_18TensorIteratorBaseEENKUlvE_clEvENKUlvE1_clEvEUlN3c107complexIdEEE_St5arrayIPcLm2EEEEviT0_T1_.has_indirect_call, or(0, .L_ZN2at6native25elementwise_kernel_helperILb0EZZZNS0_17expm1_kernel_cudaERNS_18TensorIteratorBaseEENKUlvE_clEvENKUlvE1_clEvEUlN3c107complexIdEEE_NS0_6memory8policies10vectorizedILi4ESt5arrayIPcLm2EELi4EEEEEvT0_T1_.has_indirect_call, .L_ZN2at6native25elementwise_kernel_helperILb0EZZZNS0_17expm1_kernel_cudaERNS_18TensorIteratorBaseEENKUlvE_clEvENKUlvE1_clEvEUlN3c107complexIdEEE_NS0_6memory8policies11unroll_baseILi256ESt5arrayIPcLm2EE23TrivialOffsetCalculatorILi1EjESH_NSA_15LoadWithoutCastENSA_16StoreWithoutCastELi4ELi1EEEEEvT0_T1_.has_indirect_call)
	.section	.AMDGPU.csdata,"",@progbits
; Kernel info:
; codeLenInByte = 172
; TotalNumSgprs: 102
; NumVgprs: 194
; NumAgprs: 0
; TotalNumVgprs: 194
; ScratchSize: 8
; MemoryBound: 0
; FloatMode: 240
; IeeeMode: 1
; LDSByteSize: 0 bytes/workgroup (compile time only)
; SGPRBlocks: 12
; VGPRBlocks: 24
; NumSGPRsForWavesPerEU: 102
; NumVGPRsForWavesPerEU: 194
; AccumOffset: 196
; Occupancy: 2
; WaveLimiterHint : 0
; COMPUTE_PGM_RSRC2:SCRATCH_EN: 1
; COMPUTE_PGM_RSRC2:USER_SGPR: 2
; COMPUTE_PGM_RSRC2:TRAP_HANDLER: 0
; COMPUTE_PGM_RSRC2:TGID_X_EN: 1
; COMPUTE_PGM_RSRC2:TGID_Y_EN: 0
; COMPUTE_PGM_RSRC2:TGID_Z_EN: 0
; COMPUTE_PGM_RSRC2:TIDIG_COMP_CNT: 0
; COMPUTE_PGM_RSRC3_GFX90A:ACCUM_OFFSET: 48
; COMPUTE_PGM_RSRC3_GFX90A:TG_SPLIT: 0
	.section	.text._ZN2at6native29vectorized_elementwise_kernelILi8EZZZNS0_17expm1_kernel_cudaERNS_18TensorIteratorBaseEENKUlvE_clEvENKUlvE1_clEvEUlN3c107complexIdEEE_St5arrayIPcLm2EEEEviT0_T1_,"axG",@progbits,_ZN2at6native29vectorized_elementwise_kernelILi8EZZZNS0_17expm1_kernel_cudaERNS_18TensorIteratorBaseEENKUlvE_clEvENKUlvE1_clEvEUlN3c107complexIdEEE_St5arrayIPcLm2EEEEviT0_T1_,comdat
	.globl	_ZN2at6native29vectorized_elementwise_kernelILi8EZZZNS0_17expm1_kernel_cudaERNS_18TensorIteratorBaseEENKUlvE_clEvENKUlvE1_clEvEUlN3c107complexIdEEE_St5arrayIPcLm2EEEEviT0_T1_ ; -- Begin function _ZN2at6native29vectorized_elementwise_kernelILi8EZZZNS0_17expm1_kernel_cudaERNS_18TensorIteratorBaseEENKUlvE_clEvENKUlvE1_clEvEUlN3c107complexIdEEE_St5arrayIPcLm2EEEEviT0_T1_
	.p2align	8
	.type	_ZN2at6native29vectorized_elementwise_kernelILi8EZZZNS0_17expm1_kernel_cudaERNS_18TensorIteratorBaseEENKUlvE_clEvENKUlvE1_clEvEUlN3c107complexIdEEE_St5arrayIPcLm2EEEEviT0_T1_,@function
_ZN2at6native29vectorized_elementwise_kernelILi8EZZZNS0_17expm1_kernel_cudaERNS_18TensorIteratorBaseEENKUlvE_clEvENKUlvE1_clEvEUlN3c107complexIdEEE_St5arrayIPcLm2EEEEviT0_T1_: ; @_ZN2at6native29vectorized_elementwise_kernelILi8EZZZNS0_17expm1_kernel_cudaERNS_18TensorIteratorBaseEENKUlvE_clEvENKUlvE1_clEvEUlN3c107complexIdEEE_St5arrayIPcLm2EEEEviT0_T1_
; %bb.0:
	s_mov_b32 s33, s2
	s_load_dword s2, s[0:1], 0x0
	s_load_dwordx4 s[64:67], s[0:1], 0x8
	s_lshl_b32 s0, s33, 10
	v_mov_b32_e32 v41, v0
	s_mov_b32 s32, 0
	s_waitcnt lgkmcnt(0)
	s_sub_i32 s68, s2, s0
	s_cmpk_gt_i32 s68, 0x3ff
	s_mov_b64 s[0:1], -1
	s_cbranch_scc1 .LBB125_3
; %bb.1:
	s_andn2_b64 vcc, exec, s[0:1]
	s_cbranch_vccz .LBB125_4
.LBB125_2:
	s_endpgm
.LBB125_3:
	s_getpc_b64 s[0:1]
	s_add_u32 s0, s0, _ZN2at6native25elementwise_kernel_helperILb0EZZZNS0_17expm1_kernel_cudaERNS_18TensorIteratorBaseEENKUlvE_clEvENKUlvE1_clEvEUlN3c107complexIdEEE_NS0_6memory8policies10vectorizedILi4ESt5arrayIPcLm2EELi4EEEEEvT0_T1_@rel32@lo+4
	s_addc_u32 s1, s1, _ZN2at6native25elementwise_kernel_helperILb0EZZZNS0_17expm1_kernel_cudaERNS_18TensorIteratorBaseEENKUlvE_clEvENKUlvE1_clEvEUlN3c107complexIdEEE_NS0_6memory8policies10vectorizedILi4ESt5arrayIPcLm2EELi4EEEEEvT0_T1_@rel32@hi+12
	s_mov_b32 s12, s33
	v_mov_b32_e32 v31, v41
	v_mov_b32_e32 v0, s64
	v_mov_b32_e32 v1, s65
	v_mov_b32_e32 v2, s66
	v_mov_b32_e32 v3, s67
	s_swappc_b64 s[30:31], s[0:1]
	s_cbranch_execnz .LBB125_2
.LBB125_4:
	s_getpc_b64 s[0:1]
	s_add_u32 s0, s0, _ZN2at6native25elementwise_kernel_helperILb0EZZZNS0_17expm1_kernel_cudaERNS_18TensorIteratorBaseEENKUlvE_clEvENKUlvE1_clEvEUlN3c107complexIdEEE_NS0_6memory8policies11unroll_baseILi256ESt5arrayIPcLm2EE23TrivialOffsetCalculatorILi1EjESH_NSA_15LoadWithoutCastENSA_16StoreWithoutCastELi4ELi1EEEEEvT0_T1_@rel32@lo+4
	s_addc_u32 s1, s1, _ZN2at6native25elementwise_kernel_helperILb0EZZZNS0_17expm1_kernel_cudaERNS_18TensorIteratorBaseEENKUlvE_clEvENKUlvE1_clEvEUlN3c107complexIdEEE_NS0_6memory8policies11unroll_baseILi256ESt5arrayIPcLm2EE23TrivialOffsetCalculatorILi1EjESH_NSA_15LoadWithoutCastENSA_16StoreWithoutCastELi4ELi1EEEEEvT0_T1_@rel32@hi+12
	s_mov_b32 s12, s33
	v_mov_b32_e32 v31, v41
	v_mov_b32_e32 v0, s64
	;; [unrolled: 1-line block ×6, first 2 shown]
	s_swappc_b64 s[30:31], s[0:1]
	s_endpgm
	.section	.rodata,"a",@progbits
	.p2align	6, 0x0
	.amdhsa_kernel _ZN2at6native29vectorized_elementwise_kernelILi8EZZZNS0_17expm1_kernel_cudaERNS_18TensorIteratorBaseEENKUlvE_clEvENKUlvE1_clEvEUlN3c107complexIdEEE_St5arrayIPcLm2EEEEviT0_T1_
		.amdhsa_group_segment_fixed_size 0
		.amdhsa_private_segment_fixed_size 8
		.amdhsa_kernarg_size 24
		.amdhsa_user_sgpr_count 2
		.amdhsa_user_sgpr_dispatch_ptr 0
		.amdhsa_user_sgpr_queue_ptr 0
		.amdhsa_user_sgpr_kernarg_segment_ptr 1
		.amdhsa_user_sgpr_dispatch_id 0
		.amdhsa_user_sgpr_kernarg_preload_length 0
		.amdhsa_user_sgpr_kernarg_preload_offset 0
		.amdhsa_user_sgpr_private_segment_size 0
		.amdhsa_uses_dynamic_stack 0
		.amdhsa_enable_private_segment 1
		.amdhsa_system_sgpr_workgroup_id_x 1
		.amdhsa_system_sgpr_workgroup_id_y 0
		.amdhsa_system_sgpr_workgroup_id_z 0
		.amdhsa_system_sgpr_workgroup_info 0
		.amdhsa_system_vgpr_workitem_id 0
		.amdhsa_next_free_vgpr 194
		.amdhsa_next_free_sgpr 96
		.amdhsa_accum_offset 196
		.amdhsa_reserve_vcc 1
		.amdhsa_float_round_mode_32 0
		.amdhsa_float_round_mode_16_64 0
		.amdhsa_float_denorm_mode_32 3
		.amdhsa_float_denorm_mode_16_64 3
		.amdhsa_dx10_clamp 1
		.amdhsa_ieee_mode 1
		.amdhsa_fp16_overflow 0
		.amdhsa_tg_split 0
		.amdhsa_exception_fp_ieee_invalid_op 0
		.amdhsa_exception_fp_denorm_src 0
		.amdhsa_exception_fp_ieee_div_zero 0
		.amdhsa_exception_fp_ieee_overflow 0
		.amdhsa_exception_fp_ieee_underflow 0
		.amdhsa_exception_fp_ieee_inexact 0
		.amdhsa_exception_int_div_zero 0
	.end_amdhsa_kernel
	.section	.text._ZN2at6native29vectorized_elementwise_kernelILi8EZZZNS0_17expm1_kernel_cudaERNS_18TensorIteratorBaseEENKUlvE_clEvENKUlvE1_clEvEUlN3c107complexIdEEE_St5arrayIPcLm2EEEEviT0_T1_,"axG",@progbits,_ZN2at6native29vectorized_elementwise_kernelILi8EZZZNS0_17expm1_kernel_cudaERNS_18TensorIteratorBaseEENKUlvE_clEvENKUlvE1_clEvEUlN3c107complexIdEEE_St5arrayIPcLm2EEEEviT0_T1_,comdat
.Lfunc_end125:
	.size	_ZN2at6native29vectorized_elementwise_kernelILi8EZZZNS0_17expm1_kernel_cudaERNS_18TensorIteratorBaseEENKUlvE_clEvENKUlvE1_clEvEUlN3c107complexIdEEE_St5arrayIPcLm2EEEEviT0_T1_, .Lfunc_end125-_ZN2at6native29vectorized_elementwise_kernelILi8EZZZNS0_17expm1_kernel_cudaERNS_18TensorIteratorBaseEENKUlvE_clEvENKUlvE1_clEvEUlN3c107complexIdEEE_St5arrayIPcLm2EEEEviT0_T1_
                                        ; -- End function
	.set _ZN2at6native29vectorized_elementwise_kernelILi8EZZZNS0_17expm1_kernel_cudaERNS_18TensorIteratorBaseEENKUlvE_clEvENKUlvE1_clEvEUlN3c107complexIdEEE_St5arrayIPcLm2EEEEviT0_T1_.num_vgpr, max(42, .L_ZN2at6native25elementwise_kernel_helperILb0EZZZNS0_17expm1_kernel_cudaERNS_18TensorIteratorBaseEENKUlvE_clEvENKUlvE1_clEvEUlN3c107complexIdEEE_NS0_6memory8policies10vectorizedILi4ESt5arrayIPcLm2EELi4EEEEEvT0_T1_.num_vgpr, .L_ZN2at6native25elementwise_kernel_helperILb0EZZZNS0_17expm1_kernel_cudaERNS_18TensorIteratorBaseEENKUlvE_clEvENKUlvE1_clEvEUlN3c107complexIdEEE_NS0_6memory8policies11unroll_baseILi256ESt5arrayIPcLm2EE23TrivialOffsetCalculatorILi1EjESH_NSA_15LoadWithoutCastENSA_16StoreWithoutCastELi4ELi1EEEEEvT0_T1_.num_vgpr)
	.set _ZN2at6native29vectorized_elementwise_kernelILi8EZZZNS0_17expm1_kernel_cudaERNS_18TensorIteratorBaseEENKUlvE_clEvENKUlvE1_clEvEUlN3c107complexIdEEE_St5arrayIPcLm2EEEEviT0_T1_.num_agpr, max(0, .L_ZN2at6native25elementwise_kernel_helperILb0EZZZNS0_17expm1_kernel_cudaERNS_18TensorIteratorBaseEENKUlvE_clEvENKUlvE1_clEvEUlN3c107complexIdEEE_NS0_6memory8policies10vectorizedILi4ESt5arrayIPcLm2EELi4EEEEEvT0_T1_.num_agpr, .L_ZN2at6native25elementwise_kernel_helperILb0EZZZNS0_17expm1_kernel_cudaERNS_18TensorIteratorBaseEENKUlvE_clEvENKUlvE1_clEvEUlN3c107complexIdEEE_NS0_6memory8policies11unroll_baseILi256ESt5arrayIPcLm2EE23TrivialOffsetCalculatorILi1EjESH_NSA_15LoadWithoutCastENSA_16StoreWithoutCastELi4ELi1EEEEEvT0_T1_.num_agpr)
	.set _ZN2at6native29vectorized_elementwise_kernelILi8EZZZNS0_17expm1_kernel_cudaERNS_18TensorIteratorBaseEENKUlvE_clEvENKUlvE1_clEvEUlN3c107complexIdEEE_St5arrayIPcLm2EEEEviT0_T1_.numbered_sgpr, max(69, .L_ZN2at6native25elementwise_kernel_helperILb0EZZZNS0_17expm1_kernel_cudaERNS_18TensorIteratorBaseEENKUlvE_clEvENKUlvE1_clEvEUlN3c107complexIdEEE_NS0_6memory8policies10vectorizedILi4ESt5arrayIPcLm2EELi4EEEEEvT0_T1_.numbered_sgpr, .L_ZN2at6native25elementwise_kernel_helperILb0EZZZNS0_17expm1_kernel_cudaERNS_18TensorIteratorBaseEENKUlvE_clEvENKUlvE1_clEvEUlN3c107complexIdEEE_NS0_6memory8policies11unroll_baseILi256ESt5arrayIPcLm2EE23TrivialOffsetCalculatorILi1EjESH_NSA_15LoadWithoutCastENSA_16StoreWithoutCastELi4ELi1EEEEEvT0_T1_.numbered_sgpr)
	.set _ZN2at6native29vectorized_elementwise_kernelILi8EZZZNS0_17expm1_kernel_cudaERNS_18TensorIteratorBaseEENKUlvE_clEvENKUlvE1_clEvEUlN3c107complexIdEEE_St5arrayIPcLm2EEEEviT0_T1_.num_named_barrier, max(0, .L_ZN2at6native25elementwise_kernel_helperILb0EZZZNS0_17expm1_kernel_cudaERNS_18TensorIteratorBaseEENKUlvE_clEvENKUlvE1_clEvEUlN3c107complexIdEEE_NS0_6memory8policies10vectorizedILi4ESt5arrayIPcLm2EELi4EEEEEvT0_T1_.num_named_barrier, .L_ZN2at6native25elementwise_kernel_helperILb0EZZZNS0_17expm1_kernel_cudaERNS_18TensorIteratorBaseEENKUlvE_clEvENKUlvE1_clEvEUlN3c107complexIdEEE_NS0_6memory8policies11unroll_baseILi256ESt5arrayIPcLm2EE23TrivialOffsetCalculatorILi1EjESH_NSA_15LoadWithoutCastENSA_16StoreWithoutCastELi4ELi1EEEEEvT0_T1_.num_named_barrier)
	.set _ZN2at6native29vectorized_elementwise_kernelILi8EZZZNS0_17expm1_kernel_cudaERNS_18TensorIteratorBaseEENKUlvE_clEvENKUlvE1_clEvEUlN3c107complexIdEEE_St5arrayIPcLm2EEEEviT0_T1_.private_seg_size, 0+max(.L_ZN2at6native25elementwise_kernel_helperILb0EZZZNS0_17expm1_kernel_cudaERNS_18TensorIteratorBaseEENKUlvE_clEvENKUlvE1_clEvEUlN3c107complexIdEEE_NS0_6memory8policies10vectorizedILi4ESt5arrayIPcLm2EELi4EEEEEvT0_T1_.private_seg_size, .L_ZN2at6native25elementwise_kernel_helperILb0EZZZNS0_17expm1_kernel_cudaERNS_18TensorIteratorBaseEENKUlvE_clEvENKUlvE1_clEvEUlN3c107complexIdEEE_NS0_6memory8policies11unroll_baseILi256ESt5arrayIPcLm2EE23TrivialOffsetCalculatorILi1EjESH_NSA_15LoadWithoutCastENSA_16StoreWithoutCastELi4ELi1EEEEEvT0_T1_.private_seg_size)
	.set _ZN2at6native29vectorized_elementwise_kernelILi8EZZZNS0_17expm1_kernel_cudaERNS_18TensorIteratorBaseEENKUlvE_clEvENKUlvE1_clEvEUlN3c107complexIdEEE_St5arrayIPcLm2EEEEviT0_T1_.uses_vcc, or(1, .L_ZN2at6native25elementwise_kernel_helperILb0EZZZNS0_17expm1_kernel_cudaERNS_18TensorIteratorBaseEENKUlvE_clEvENKUlvE1_clEvEUlN3c107complexIdEEE_NS0_6memory8policies10vectorizedILi4ESt5arrayIPcLm2EELi4EEEEEvT0_T1_.uses_vcc, .L_ZN2at6native25elementwise_kernel_helperILb0EZZZNS0_17expm1_kernel_cudaERNS_18TensorIteratorBaseEENKUlvE_clEvENKUlvE1_clEvEUlN3c107complexIdEEE_NS0_6memory8policies11unroll_baseILi256ESt5arrayIPcLm2EE23TrivialOffsetCalculatorILi1EjESH_NSA_15LoadWithoutCastENSA_16StoreWithoutCastELi4ELi1EEEEEvT0_T1_.uses_vcc)
	.set _ZN2at6native29vectorized_elementwise_kernelILi8EZZZNS0_17expm1_kernel_cudaERNS_18TensorIteratorBaseEENKUlvE_clEvENKUlvE1_clEvEUlN3c107complexIdEEE_St5arrayIPcLm2EEEEviT0_T1_.uses_flat_scratch, or(0, .L_ZN2at6native25elementwise_kernel_helperILb0EZZZNS0_17expm1_kernel_cudaERNS_18TensorIteratorBaseEENKUlvE_clEvENKUlvE1_clEvEUlN3c107complexIdEEE_NS0_6memory8policies10vectorizedILi4ESt5arrayIPcLm2EELi4EEEEEvT0_T1_.uses_flat_scratch, .L_ZN2at6native25elementwise_kernel_helperILb0EZZZNS0_17expm1_kernel_cudaERNS_18TensorIteratorBaseEENKUlvE_clEvENKUlvE1_clEvEUlN3c107complexIdEEE_NS0_6memory8policies11unroll_baseILi256ESt5arrayIPcLm2EE23TrivialOffsetCalculatorILi1EjESH_NSA_15LoadWithoutCastENSA_16StoreWithoutCastELi4ELi1EEEEEvT0_T1_.uses_flat_scratch)
	.set _ZN2at6native29vectorized_elementwise_kernelILi8EZZZNS0_17expm1_kernel_cudaERNS_18TensorIteratorBaseEENKUlvE_clEvENKUlvE1_clEvEUlN3c107complexIdEEE_St5arrayIPcLm2EEEEviT0_T1_.has_dyn_sized_stack, or(0, .L_ZN2at6native25elementwise_kernel_helperILb0EZZZNS0_17expm1_kernel_cudaERNS_18TensorIteratorBaseEENKUlvE_clEvENKUlvE1_clEvEUlN3c107complexIdEEE_NS0_6memory8policies10vectorizedILi4ESt5arrayIPcLm2EELi4EEEEEvT0_T1_.has_dyn_sized_stack, .L_ZN2at6native25elementwise_kernel_helperILb0EZZZNS0_17expm1_kernel_cudaERNS_18TensorIteratorBaseEENKUlvE_clEvENKUlvE1_clEvEUlN3c107complexIdEEE_NS0_6memory8policies11unroll_baseILi256ESt5arrayIPcLm2EE23TrivialOffsetCalculatorILi1EjESH_NSA_15LoadWithoutCastENSA_16StoreWithoutCastELi4ELi1EEEEEvT0_T1_.has_dyn_sized_stack)
	.set _ZN2at6native29vectorized_elementwise_kernelILi8EZZZNS0_17expm1_kernel_cudaERNS_18TensorIteratorBaseEENKUlvE_clEvENKUlvE1_clEvEUlN3c107complexIdEEE_St5arrayIPcLm2EEEEviT0_T1_.has_recursion, or(0, .L_ZN2at6native25elementwise_kernel_helperILb0EZZZNS0_17expm1_kernel_cudaERNS_18TensorIteratorBaseEENKUlvE_clEvENKUlvE1_clEvEUlN3c107complexIdEEE_NS0_6memory8policies10vectorizedILi4ESt5arrayIPcLm2EELi4EEEEEvT0_T1_.has_recursion, .L_ZN2at6native25elementwise_kernel_helperILb0EZZZNS0_17expm1_kernel_cudaERNS_18TensorIteratorBaseEENKUlvE_clEvENKUlvE1_clEvEUlN3c107complexIdEEE_NS0_6memory8policies11unroll_baseILi256ESt5arrayIPcLm2EE23TrivialOffsetCalculatorILi1EjESH_NSA_15LoadWithoutCastENSA_16StoreWithoutCastELi4ELi1EEEEEvT0_T1_.has_recursion)
	.set _ZN2at6native29vectorized_elementwise_kernelILi8EZZZNS0_17expm1_kernel_cudaERNS_18TensorIteratorBaseEENKUlvE_clEvENKUlvE1_clEvEUlN3c107complexIdEEE_St5arrayIPcLm2EEEEviT0_T1_.has_indirect_call, or(0, .L_ZN2at6native25elementwise_kernel_helperILb0EZZZNS0_17expm1_kernel_cudaERNS_18TensorIteratorBaseEENKUlvE_clEvENKUlvE1_clEvEUlN3c107complexIdEEE_NS0_6memory8policies10vectorizedILi4ESt5arrayIPcLm2EELi4EEEEEvT0_T1_.has_indirect_call, .L_ZN2at6native25elementwise_kernel_helperILb0EZZZNS0_17expm1_kernel_cudaERNS_18TensorIteratorBaseEENKUlvE_clEvENKUlvE1_clEvEUlN3c107complexIdEEE_NS0_6memory8policies11unroll_baseILi256ESt5arrayIPcLm2EE23TrivialOffsetCalculatorILi1EjESH_NSA_15LoadWithoutCastENSA_16StoreWithoutCastELi4ELi1EEEEEvT0_T1_.has_indirect_call)
	.section	.AMDGPU.csdata,"",@progbits
; Kernel info:
; codeLenInByte = 172
; TotalNumSgprs: 102
; NumVgprs: 194
; NumAgprs: 0
; TotalNumVgprs: 194
; ScratchSize: 8
; MemoryBound: 0
; FloatMode: 240
; IeeeMode: 1
; LDSByteSize: 0 bytes/workgroup (compile time only)
; SGPRBlocks: 12
; VGPRBlocks: 24
; NumSGPRsForWavesPerEU: 102
; NumVGPRsForWavesPerEU: 194
; AccumOffset: 196
; Occupancy: 2
; WaveLimiterHint : 0
; COMPUTE_PGM_RSRC2:SCRATCH_EN: 1
; COMPUTE_PGM_RSRC2:USER_SGPR: 2
; COMPUTE_PGM_RSRC2:TRAP_HANDLER: 0
; COMPUTE_PGM_RSRC2:TGID_X_EN: 1
; COMPUTE_PGM_RSRC2:TGID_Y_EN: 0
; COMPUTE_PGM_RSRC2:TGID_Z_EN: 0
; COMPUTE_PGM_RSRC2:TIDIG_COMP_CNT: 0
; COMPUTE_PGM_RSRC3_GFX90A:ACCUM_OFFSET: 48
; COMPUTE_PGM_RSRC3_GFX90A:TG_SPLIT: 0
	.section	.text._ZN2at6native29vectorized_elementwise_kernelILi4EZZZNS0_17expm1_kernel_cudaERNS_18TensorIteratorBaseEENKUlvE_clEvENKUlvE1_clEvEUlN3c107complexIdEEE_St5arrayIPcLm2EEEEviT0_T1_,"axG",@progbits,_ZN2at6native29vectorized_elementwise_kernelILi4EZZZNS0_17expm1_kernel_cudaERNS_18TensorIteratorBaseEENKUlvE_clEvENKUlvE1_clEvEUlN3c107complexIdEEE_St5arrayIPcLm2EEEEviT0_T1_,comdat
	.globl	_ZN2at6native29vectorized_elementwise_kernelILi4EZZZNS0_17expm1_kernel_cudaERNS_18TensorIteratorBaseEENKUlvE_clEvENKUlvE1_clEvEUlN3c107complexIdEEE_St5arrayIPcLm2EEEEviT0_T1_ ; -- Begin function _ZN2at6native29vectorized_elementwise_kernelILi4EZZZNS0_17expm1_kernel_cudaERNS_18TensorIteratorBaseEENKUlvE_clEvENKUlvE1_clEvEUlN3c107complexIdEEE_St5arrayIPcLm2EEEEviT0_T1_
	.p2align	8
	.type	_ZN2at6native29vectorized_elementwise_kernelILi4EZZZNS0_17expm1_kernel_cudaERNS_18TensorIteratorBaseEENKUlvE_clEvENKUlvE1_clEvEUlN3c107complexIdEEE_St5arrayIPcLm2EEEEviT0_T1_,@function
_ZN2at6native29vectorized_elementwise_kernelILi4EZZZNS0_17expm1_kernel_cudaERNS_18TensorIteratorBaseEENKUlvE_clEvENKUlvE1_clEvEUlN3c107complexIdEEE_St5arrayIPcLm2EEEEviT0_T1_: ; @_ZN2at6native29vectorized_elementwise_kernelILi4EZZZNS0_17expm1_kernel_cudaERNS_18TensorIteratorBaseEENKUlvE_clEvENKUlvE1_clEvEUlN3c107complexIdEEE_St5arrayIPcLm2EEEEviT0_T1_
; %bb.0:
	s_mov_b32 s33, s2
	s_load_dword s2, s[0:1], 0x0
	s_load_dwordx4 s[64:67], s[0:1], 0x8
	s_lshl_b32 s0, s33, 10
	v_mov_b32_e32 v41, v0
	s_mov_b32 s32, 0
	s_waitcnt lgkmcnt(0)
	s_sub_i32 s68, s2, s0
	s_cmpk_gt_i32 s68, 0x3ff
	s_mov_b64 s[0:1], -1
	s_cbranch_scc1 .LBB126_3
; %bb.1:
	s_andn2_b64 vcc, exec, s[0:1]
	s_cbranch_vccz .LBB126_4
.LBB126_2:
	s_endpgm
.LBB126_3:
	s_getpc_b64 s[0:1]
	s_add_u32 s0, s0, _ZN2at6native25elementwise_kernel_helperILb0EZZZNS0_17expm1_kernel_cudaERNS_18TensorIteratorBaseEENKUlvE_clEvENKUlvE1_clEvEUlN3c107complexIdEEE_NS0_6memory8policies10vectorizedILi4ESt5arrayIPcLm2EELi4EEEEEvT0_T1_@rel32@lo+4
	s_addc_u32 s1, s1, _ZN2at6native25elementwise_kernel_helperILb0EZZZNS0_17expm1_kernel_cudaERNS_18TensorIteratorBaseEENKUlvE_clEvENKUlvE1_clEvEUlN3c107complexIdEEE_NS0_6memory8policies10vectorizedILi4ESt5arrayIPcLm2EELi4EEEEEvT0_T1_@rel32@hi+12
	s_mov_b32 s12, s33
	v_mov_b32_e32 v31, v41
	v_mov_b32_e32 v0, s64
	;; [unrolled: 1-line block ×5, first 2 shown]
	s_swappc_b64 s[30:31], s[0:1]
	s_cbranch_execnz .LBB126_2
.LBB126_4:
	s_getpc_b64 s[0:1]
	s_add_u32 s0, s0, _ZN2at6native25elementwise_kernel_helperILb0EZZZNS0_17expm1_kernel_cudaERNS_18TensorIteratorBaseEENKUlvE_clEvENKUlvE1_clEvEUlN3c107complexIdEEE_NS0_6memory8policies11unroll_baseILi256ESt5arrayIPcLm2EE23TrivialOffsetCalculatorILi1EjESH_NSA_15LoadWithoutCastENSA_16StoreWithoutCastELi4ELi1EEEEEvT0_T1_@rel32@lo+4
	s_addc_u32 s1, s1, _ZN2at6native25elementwise_kernel_helperILb0EZZZNS0_17expm1_kernel_cudaERNS_18TensorIteratorBaseEENKUlvE_clEvENKUlvE1_clEvEUlN3c107complexIdEEE_NS0_6memory8policies11unroll_baseILi256ESt5arrayIPcLm2EE23TrivialOffsetCalculatorILi1EjESH_NSA_15LoadWithoutCastENSA_16StoreWithoutCastELi4ELi1EEEEEvT0_T1_@rel32@hi+12
	s_mov_b32 s12, s33
	v_mov_b32_e32 v31, v41
	v_mov_b32_e32 v0, s64
	;; [unrolled: 1-line block ×6, first 2 shown]
	s_swappc_b64 s[30:31], s[0:1]
	s_endpgm
	.section	.rodata,"a",@progbits
	.p2align	6, 0x0
	.amdhsa_kernel _ZN2at6native29vectorized_elementwise_kernelILi4EZZZNS0_17expm1_kernel_cudaERNS_18TensorIteratorBaseEENKUlvE_clEvENKUlvE1_clEvEUlN3c107complexIdEEE_St5arrayIPcLm2EEEEviT0_T1_
		.amdhsa_group_segment_fixed_size 0
		.amdhsa_private_segment_fixed_size 8
		.amdhsa_kernarg_size 24
		.amdhsa_user_sgpr_count 2
		.amdhsa_user_sgpr_dispatch_ptr 0
		.amdhsa_user_sgpr_queue_ptr 0
		.amdhsa_user_sgpr_kernarg_segment_ptr 1
		.amdhsa_user_sgpr_dispatch_id 0
		.amdhsa_user_sgpr_kernarg_preload_length 0
		.amdhsa_user_sgpr_kernarg_preload_offset 0
		.amdhsa_user_sgpr_private_segment_size 0
		.amdhsa_uses_dynamic_stack 0
		.amdhsa_enable_private_segment 1
		.amdhsa_system_sgpr_workgroup_id_x 1
		.amdhsa_system_sgpr_workgroup_id_y 0
		.amdhsa_system_sgpr_workgroup_id_z 0
		.amdhsa_system_sgpr_workgroup_info 0
		.amdhsa_system_vgpr_workitem_id 0
		.amdhsa_next_free_vgpr 194
		.amdhsa_next_free_sgpr 96
		.amdhsa_accum_offset 196
		.amdhsa_reserve_vcc 1
		.amdhsa_float_round_mode_32 0
		.amdhsa_float_round_mode_16_64 0
		.amdhsa_float_denorm_mode_32 3
		.amdhsa_float_denorm_mode_16_64 3
		.amdhsa_dx10_clamp 1
		.amdhsa_ieee_mode 1
		.amdhsa_fp16_overflow 0
		.amdhsa_tg_split 0
		.amdhsa_exception_fp_ieee_invalid_op 0
		.amdhsa_exception_fp_denorm_src 0
		.amdhsa_exception_fp_ieee_div_zero 0
		.amdhsa_exception_fp_ieee_overflow 0
		.amdhsa_exception_fp_ieee_underflow 0
		.amdhsa_exception_fp_ieee_inexact 0
		.amdhsa_exception_int_div_zero 0
	.end_amdhsa_kernel
	.section	.text._ZN2at6native29vectorized_elementwise_kernelILi4EZZZNS0_17expm1_kernel_cudaERNS_18TensorIteratorBaseEENKUlvE_clEvENKUlvE1_clEvEUlN3c107complexIdEEE_St5arrayIPcLm2EEEEviT0_T1_,"axG",@progbits,_ZN2at6native29vectorized_elementwise_kernelILi4EZZZNS0_17expm1_kernel_cudaERNS_18TensorIteratorBaseEENKUlvE_clEvENKUlvE1_clEvEUlN3c107complexIdEEE_St5arrayIPcLm2EEEEviT0_T1_,comdat
.Lfunc_end126:
	.size	_ZN2at6native29vectorized_elementwise_kernelILi4EZZZNS0_17expm1_kernel_cudaERNS_18TensorIteratorBaseEENKUlvE_clEvENKUlvE1_clEvEUlN3c107complexIdEEE_St5arrayIPcLm2EEEEviT0_T1_, .Lfunc_end126-_ZN2at6native29vectorized_elementwise_kernelILi4EZZZNS0_17expm1_kernel_cudaERNS_18TensorIteratorBaseEENKUlvE_clEvENKUlvE1_clEvEUlN3c107complexIdEEE_St5arrayIPcLm2EEEEviT0_T1_
                                        ; -- End function
	.set _ZN2at6native29vectorized_elementwise_kernelILi4EZZZNS0_17expm1_kernel_cudaERNS_18TensorIteratorBaseEENKUlvE_clEvENKUlvE1_clEvEUlN3c107complexIdEEE_St5arrayIPcLm2EEEEviT0_T1_.num_vgpr, max(42, .L_ZN2at6native25elementwise_kernel_helperILb0EZZZNS0_17expm1_kernel_cudaERNS_18TensorIteratorBaseEENKUlvE_clEvENKUlvE1_clEvEUlN3c107complexIdEEE_NS0_6memory8policies10vectorizedILi4ESt5arrayIPcLm2EELi4EEEEEvT0_T1_.num_vgpr, .L_ZN2at6native25elementwise_kernel_helperILb0EZZZNS0_17expm1_kernel_cudaERNS_18TensorIteratorBaseEENKUlvE_clEvENKUlvE1_clEvEUlN3c107complexIdEEE_NS0_6memory8policies11unroll_baseILi256ESt5arrayIPcLm2EE23TrivialOffsetCalculatorILi1EjESH_NSA_15LoadWithoutCastENSA_16StoreWithoutCastELi4ELi1EEEEEvT0_T1_.num_vgpr)
	.set _ZN2at6native29vectorized_elementwise_kernelILi4EZZZNS0_17expm1_kernel_cudaERNS_18TensorIteratorBaseEENKUlvE_clEvENKUlvE1_clEvEUlN3c107complexIdEEE_St5arrayIPcLm2EEEEviT0_T1_.num_agpr, max(0, .L_ZN2at6native25elementwise_kernel_helperILb0EZZZNS0_17expm1_kernel_cudaERNS_18TensorIteratorBaseEENKUlvE_clEvENKUlvE1_clEvEUlN3c107complexIdEEE_NS0_6memory8policies10vectorizedILi4ESt5arrayIPcLm2EELi4EEEEEvT0_T1_.num_agpr, .L_ZN2at6native25elementwise_kernel_helperILb0EZZZNS0_17expm1_kernel_cudaERNS_18TensorIteratorBaseEENKUlvE_clEvENKUlvE1_clEvEUlN3c107complexIdEEE_NS0_6memory8policies11unroll_baseILi256ESt5arrayIPcLm2EE23TrivialOffsetCalculatorILi1EjESH_NSA_15LoadWithoutCastENSA_16StoreWithoutCastELi4ELi1EEEEEvT0_T1_.num_agpr)
	.set _ZN2at6native29vectorized_elementwise_kernelILi4EZZZNS0_17expm1_kernel_cudaERNS_18TensorIteratorBaseEENKUlvE_clEvENKUlvE1_clEvEUlN3c107complexIdEEE_St5arrayIPcLm2EEEEviT0_T1_.numbered_sgpr, max(69, .L_ZN2at6native25elementwise_kernel_helperILb0EZZZNS0_17expm1_kernel_cudaERNS_18TensorIteratorBaseEENKUlvE_clEvENKUlvE1_clEvEUlN3c107complexIdEEE_NS0_6memory8policies10vectorizedILi4ESt5arrayIPcLm2EELi4EEEEEvT0_T1_.numbered_sgpr, .L_ZN2at6native25elementwise_kernel_helperILb0EZZZNS0_17expm1_kernel_cudaERNS_18TensorIteratorBaseEENKUlvE_clEvENKUlvE1_clEvEUlN3c107complexIdEEE_NS0_6memory8policies11unroll_baseILi256ESt5arrayIPcLm2EE23TrivialOffsetCalculatorILi1EjESH_NSA_15LoadWithoutCastENSA_16StoreWithoutCastELi4ELi1EEEEEvT0_T1_.numbered_sgpr)
	.set _ZN2at6native29vectorized_elementwise_kernelILi4EZZZNS0_17expm1_kernel_cudaERNS_18TensorIteratorBaseEENKUlvE_clEvENKUlvE1_clEvEUlN3c107complexIdEEE_St5arrayIPcLm2EEEEviT0_T1_.num_named_barrier, max(0, .L_ZN2at6native25elementwise_kernel_helperILb0EZZZNS0_17expm1_kernel_cudaERNS_18TensorIteratorBaseEENKUlvE_clEvENKUlvE1_clEvEUlN3c107complexIdEEE_NS0_6memory8policies10vectorizedILi4ESt5arrayIPcLm2EELi4EEEEEvT0_T1_.num_named_barrier, .L_ZN2at6native25elementwise_kernel_helperILb0EZZZNS0_17expm1_kernel_cudaERNS_18TensorIteratorBaseEENKUlvE_clEvENKUlvE1_clEvEUlN3c107complexIdEEE_NS0_6memory8policies11unroll_baseILi256ESt5arrayIPcLm2EE23TrivialOffsetCalculatorILi1EjESH_NSA_15LoadWithoutCastENSA_16StoreWithoutCastELi4ELi1EEEEEvT0_T1_.num_named_barrier)
	.set _ZN2at6native29vectorized_elementwise_kernelILi4EZZZNS0_17expm1_kernel_cudaERNS_18TensorIteratorBaseEENKUlvE_clEvENKUlvE1_clEvEUlN3c107complexIdEEE_St5arrayIPcLm2EEEEviT0_T1_.private_seg_size, 0+max(.L_ZN2at6native25elementwise_kernel_helperILb0EZZZNS0_17expm1_kernel_cudaERNS_18TensorIteratorBaseEENKUlvE_clEvENKUlvE1_clEvEUlN3c107complexIdEEE_NS0_6memory8policies10vectorizedILi4ESt5arrayIPcLm2EELi4EEEEEvT0_T1_.private_seg_size, .L_ZN2at6native25elementwise_kernel_helperILb0EZZZNS0_17expm1_kernel_cudaERNS_18TensorIteratorBaseEENKUlvE_clEvENKUlvE1_clEvEUlN3c107complexIdEEE_NS0_6memory8policies11unroll_baseILi256ESt5arrayIPcLm2EE23TrivialOffsetCalculatorILi1EjESH_NSA_15LoadWithoutCastENSA_16StoreWithoutCastELi4ELi1EEEEEvT0_T1_.private_seg_size)
	.set _ZN2at6native29vectorized_elementwise_kernelILi4EZZZNS0_17expm1_kernel_cudaERNS_18TensorIteratorBaseEENKUlvE_clEvENKUlvE1_clEvEUlN3c107complexIdEEE_St5arrayIPcLm2EEEEviT0_T1_.uses_vcc, or(1, .L_ZN2at6native25elementwise_kernel_helperILb0EZZZNS0_17expm1_kernel_cudaERNS_18TensorIteratorBaseEENKUlvE_clEvENKUlvE1_clEvEUlN3c107complexIdEEE_NS0_6memory8policies10vectorizedILi4ESt5arrayIPcLm2EELi4EEEEEvT0_T1_.uses_vcc, .L_ZN2at6native25elementwise_kernel_helperILb0EZZZNS0_17expm1_kernel_cudaERNS_18TensorIteratorBaseEENKUlvE_clEvENKUlvE1_clEvEUlN3c107complexIdEEE_NS0_6memory8policies11unroll_baseILi256ESt5arrayIPcLm2EE23TrivialOffsetCalculatorILi1EjESH_NSA_15LoadWithoutCastENSA_16StoreWithoutCastELi4ELi1EEEEEvT0_T1_.uses_vcc)
	.set _ZN2at6native29vectorized_elementwise_kernelILi4EZZZNS0_17expm1_kernel_cudaERNS_18TensorIteratorBaseEENKUlvE_clEvENKUlvE1_clEvEUlN3c107complexIdEEE_St5arrayIPcLm2EEEEviT0_T1_.uses_flat_scratch, or(0, .L_ZN2at6native25elementwise_kernel_helperILb0EZZZNS0_17expm1_kernel_cudaERNS_18TensorIteratorBaseEENKUlvE_clEvENKUlvE1_clEvEUlN3c107complexIdEEE_NS0_6memory8policies10vectorizedILi4ESt5arrayIPcLm2EELi4EEEEEvT0_T1_.uses_flat_scratch, .L_ZN2at6native25elementwise_kernel_helperILb0EZZZNS0_17expm1_kernel_cudaERNS_18TensorIteratorBaseEENKUlvE_clEvENKUlvE1_clEvEUlN3c107complexIdEEE_NS0_6memory8policies11unroll_baseILi256ESt5arrayIPcLm2EE23TrivialOffsetCalculatorILi1EjESH_NSA_15LoadWithoutCastENSA_16StoreWithoutCastELi4ELi1EEEEEvT0_T1_.uses_flat_scratch)
	.set _ZN2at6native29vectorized_elementwise_kernelILi4EZZZNS0_17expm1_kernel_cudaERNS_18TensorIteratorBaseEENKUlvE_clEvENKUlvE1_clEvEUlN3c107complexIdEEE_St5arrayIPcLm2EEEEviT0_T1_.has_dyn_sized_stack, or(0, .L_ZN2at6native25elementwise_kernel_helperILb0EZZZNS0_17expm1_kernel_cudaERNS_18TensorIteratorBaseEENKUlvE_clEvENKUlvE1_clEvEUlN3c107complexIdEEE_NS0_6memory8policies10vectorizedILi4ESt5arrayIPcLm2EELi4EEEEEvT0_T1_.has_dyn_sized_stack, .L_ZN2at6native25elementwise_kernel_helperILb0EZZZNS0_17expm1_kernel_cudaERNS_18TensorIteratorBaseEENKUlvE_clEvENKUlvE1_clEvEUlN3c107complexIdEEE_NS0_6memory8policies11unroll_baseILi256ESt5arrayIPcLm2EE23TrivialOffsetCalculatorILi1EjESH_NSA_15LoadWithoutCastENSA_16StoreWithoutCastELi4ELi1EEEEEvT0_T1_.has_dyn_sized_stack)
	.set _ZN2at6native29vectorized_elementwise_kernelILi4EZZZNS0_17expm1_kernel_cudaERNS_18TensorIteratorBaseEENKUlvE_clEvENKUlvE1_clEvEUlN3c107complexIdEEE_St5arrayIPcLm2EEEEviT0_T1_.has_recursion, or(0, .L_ZN2at6native25elementwise_kernel_helperILb0EZZZNS0_17expm1_kernel_cudaERNS_18TensorIteratorBaseEENKUlvE_clEvENKUlvE1_clEvEUlN3c107complexIdEEE_NS0_6memory8policies10vectorizedILi4ESt5arrayIPcLm2EELi4EEEEEvT0_T1_.has_recursion, .L_ZN2at6native25elementwise_kernel_helperILb0EZZZNS0_17expm1_kernel_cudaERNS_18TensorIteratorBaseEENKUlvE_clEvENKUlvE1_clEvEUlN3c107complexIdEEE_NS0_6memory8policies11unroll_baseILi256ESt5arrayIPcLm2EE23TrivialOffsetCalculatorILi1EjESH_NSA_15LoadWithoutCastENSA_16StoreWithoutCastELi4ELi1EEEEEvT0_T1_.has_recursion)
	.set _ZN2at6native29vectorized_elementwise_kernelILi4EZZZNS0_17expm1_kernel_cudaERNS_18TensorIteratorBaseEENKUlvE_clEvENKUlvE1_clEvEUlN3c107complexIdEEE_St5arrayIPcLm2EEEEviT0_T1_.has_indirect_call, or(0, .L_ZN2at6native25elementwise_kernel_helperILb0EZZZNS0_17expm1_kernel_cudaERNS_18TensorIteratorBaseEENKUlvE_clEvENKUlvE1_clEvEUlN3c107complexIdEEE_NS0_6memory8policies10vectorizedILi4ESt5arrayIPcLm2EELi4EEEEEvT0_T1_.has_indirect_call, .L_ZN2at6native25elementwise_kernel_helperILb0EZZZNS0_17expm1_kernel_cudaERNS_18TensorIteratorBaseEENKUlvE_clEvENKUlvE1_clEvEUlN3c107complexIdEEE_NS0_6memory8policies11unroll_baseILi256ESt5arrayIPcLm2EE23TrivialOffsetCalculatorILi1EjESH_NSA_15LoadWithoutCastENSA_16StoreWithoutCastELi4ELi1EEEEEvT0_T1_.has_indirect_call)
	.section	.AMDGPU.csdata,"",@progbits
; Kernel info:
; codeLenInByte = 172
; TotalNumSgprs: 102
; NumVgprs: 194
; NumAgprs: 0
; TotalNumVgprs: 194
; ScratchSize: 8
; MemoryBound: 0
; FloatMode: 240
; IeeeMode: 1
; LDSByteSize: 0 bytes/workgroup (compile time only)
; SGPRBlocks: 12
; VGPRBlocks: 24
; NumSGPRsForWavesPerEU: 102
; NumVGPRsForWavesPerEU: 194
; AccumOffset: 196
; Occupancy: 2
; WaveLimiterHint : 0
; COMPUTE_PGM_RSRC2:SCRATCH_EN: 1
; COMPUTE_PGM_RSRC2:USER_SGPR: 2
; COMPUTE_PGM_RSRC2:TRAP_HANDLER: 0
; COMPUTE_PGM_RSRC2:TGID_X_EN: 1
; COMPUTE_PGM_RSRC2:TGID_Y_EN: 0
; COMPUTE_PGM_RSRC2:TGID_Z_EN: 0
; COMPUTE_PGM_RSRC2:TIDIG_COMP_CNT: 0
; COMPUTE_PGM_RSRC3_GFX90A:ACCUM_OFFSET: 48
; COMPUTE_PGM_RSRC3_GFX90A:TG_SPLIT: 0
	.section	.text._ZN2at6native29vectorized_elementwise_kernelILi2EZZZNS0_17expm1_kernel_cudaERNS_18TensorIteratorBaseEENKUlvE_clEvENKUlvE1_clEvEUlN3c107complexIdEEE_St5arrayIPcLm2EEEEviT0_T1_,"axG",@progbits,_ZN2at6native29vectorized_elementwise_kernelILi2EZZZNS0_17expm1_kernel_cudaERNS_18TensorIteratorBaseEENKUlvE_clEvENKUlvE1_clEvEUlN3c107complexIdEEE_St5arrayIPcLm2EEEEviT0_T1_,comdat
	.globl	_ZN2at6native29vectorized_elementwise_kernelILi2EZZZNS0_17expm1_kernel_cudaERNS_18TensorIteratorBaseEENKUlvE_clEvENKUlvE1_clEvEUlN3c107complexIdEEE_St5arrayIPcLm2EEEEviT0_T1_ ; -- Begin function _ZN2at6native29vectorized_elementwise_kernelILi2EZZZNS0_17expm1_kernel_cudaERNS_18TensorIteratorBaseEENKUlvE_clEvENKUlvE1_clEvEUlN3c107complexIdEEE_St5arrayIPcLm2EEEEviT0_T1_
	.p2align	8
	.type	_ZN2at6native29vectorized_elementwise_kernelILi2EZZZNS0_17expm1_kernel_cudaERNS_18TensorIteratorBaseEENKUlvE_clEvENKUlvE1_clEvEUlN3c107complexIdEEE_St5arrayIPcLm2EEEEviT0_T1_,@function
_ZN2at6native29vectorized_elementwise_kernelILi2EZZZNS0_17expm1_kernel_cudaERNS_18TensorIteratorBaseEENKUlvE_clEvENKUlvE1_clEvEUlN3c107complexIdEEE_St5arrayIPcLm2EEEEviT0_T1_: ; @_ZN2at6native29vectorized_elementwise_kernelILi2EZZZNS0_17expm1_kernel_cudaERNS_18TensorIteratorBaseEENKUlvE_clEvENKUlvE1_clEvEUlN3c107complexIdEEE_St5arrayIPcLm2EEEEviT0_T1_
; %bb.0:
	s_load_dword s3, s[0:1], 0x0
	s_load_dwordx4 s[8:11], s[0:1], 0x8
	s_lshl_b32 s0, s2, 10
	s_mov_b64 s[4:5], -1
	s_mov_b32 s32, 0
	s_waitcnt lgkmcnt(0)
	s_sub_i32 s3, s3, s0
	s_cmpk_gt_i32 s3, 0x3ff
	s_cbranch_scc0 .LBB127_7
; %bb.1:
	s_ashr_i32 s1, s0, 31
	s_lshl_b64 s[6:7], s[0:1], 4
	s_add_u32 s0, s10, s6
	s_addc_u32 s1, s11, s7
	v_mov_b32_e32 v19, 0
	v_lshlrev_b32_e32 v18, 5, v0
	v_lshl_add_u64 v[2:3], s[0:1], 0, v[18:19]
	global_load_dwordx4 v[10:13], v18, s[0:1] offset:16
	global_load_dwordx4 v[6:9], v18, s[0:1]
	v_add_co_u32_e32 v22, vcc, 0x2000, v2
	s_mov_b64 s[0:1], 0x2000
	s_nop 0
	v_addc_co_u32_e32 v23, vcc, 0, v3, vcc
	v_lshl_add_u64 v[20:21], v[2:3], 0, s[0:1]
	global_load_dwordx4 v[14:17], v[22:23], off
	global_load_dwordx4 v[2:5], v[20:21], off offset:16
	s_mov_b32 s0, 0
	s_mov_b32 s1, 0x41d00000
                                        ; implicit-def: $vgpr1
                                        ; implicit-def: $vgpr22_vgpr23
                                        ; implicit-def: $vgpr24_vgpr25
	s_waitcnt vmcnt(2)
	v_mul_f64 v[20:21], v[8:9], 0.5
	v_cmp_nlt_f64_e64 s[0:1], |v[20:21]|, s[0:1]
	s_and_saveexec_b64 s[4:5], s[0:1]
	s_xor_b64 s[4:5], exec, s[4:5]
	s_cbranch_execz .LBB127_3
; %bb.2:
	s_mov_b32 s0, 0
	s_mov_b32 s1, 0x7b000000
	s_movk_i32 s12, 0xff80
	v_and_b32_e32 v1, 0x7fffffff, v21
	v_ldexp_f64 v[26:27], |v[20:21]|, s12
	v_cmp_ge_f64_e64 vcc, |v[20:21]|, s[0:1]
	v_trig_preop_f64 v[22:23], |v[20:21]|, 0
	v_trig_preop_f64 v[24:25], |v[20:21]|, 1
	v_cndmask_b32_e32 v27, v1, v27, vcc
	v_cndmask_b32_e32 v26, v20, v26, vcc
	v_mul_f64 v[30:31], v[22:23], v[26:27]
	v_mul_f64 v[28:29], v[24:25], v[26:27]
	v_fma_f64 v[22:23], v[22:23], v[26:27], -v[30:31]
	v_add_f64 v[32:33], v[28:29], v[22:23]
	v_add_f64 v[40:41], v[32:33], -v[28:29]
	v_add_f64 v[22:23], v[22:23], -v[40:41]
	;; [unrolled: 1-line block ×4, first 2 shown]
	v_fma_f64 v[24:25], v[24:25], v[26:27], -v[28:29]
	v_trig_preop_f64 v[28:29], |v[20:21]|, 2
	v_add_f64 v[22:23], v[22:23], v[40:41]
	v_mul_f64 v[40:41], v[28:29], v[26:27]
	v_add_f64 v[42:43], v[40:41], v[24:25]
	v_add_f64 v[34:35], v[30:31], v[32:33]
	;; [unrolled: 1-line block ×3, first 2 shown]
	v_ldexp_f64 v[36:37], v[34:35], -2
	v_add_f64 v[30:31], v[34:35], -v[30:31]
	v_add_f64 v[34:35], v[44:45], -v[42:43]
	;; [unrolled: 1-line block ×5, first 2 shown]
	v_add_f64 v[22:23], v[22:23], v[34:35]
	v_add_f64 v[34:35], v[42:43], -v[40:41]
	v_add_f64 v[24:25], v[24:25], -v[34:35]
	v_add_f64 v[34:35], v[42:43], -v[34:35]
	v_add_f64 v[34:35], v[40:41], -v[34:35]
	v_add_f64 v[24:25], v[24:25], v[34:35]
	s_mov_b32 s0, 0
	v_fract_f64_e32 v[38:39], v[36:37]
	v_add_f64 v[22:23], v[24:25], v[22:23]
	v_fma_f64 v[24:25], v[28:29], v[26:27], -v[40:41]
	s_mov_b32 s1, 0x7ff00000
	v_add_f64 v[30:31], v[32:33], -v[30:31]
	v_add_f64 v[22:23], v[24:25], v[22:23]
	v_ldexp_f64 v[24:25], v[38:39], 2
	v_cmp_neq_f64_e64 vcc, |v[36:37]|, s[0:1]
	v_add_f64 v[32:33], v[30:31], v[44:45]
	v_mov_b32_e32 v1, 0x40100000
	v_cndmask_b32_e32 v25, 0, v25, vcc
	v_cndmask_b32_e32 v24, 0, v24, vcc
	v_add_f64 v[26:27], v[32:33], v[24:25]
	v_cmp_gt_f64_e32 vcc, 0, v[26:27]
	v_mov_b32_e32 v26, v19
	v_add_f64 v[30:31], v[32:33], -v[30:31]
	v_cndmask_b32_e32 v27, 0, v1, vcc
	v_add_f64 v[24:25], v[24:25], v[26:27]
	v_add_f64 v[26:27], v[32:33], v[24:25]
	v_cvt_i32_f64_e32 v1, v[26:27]
	v_cvt_f64_i32_e32 v[26:27], v1
	v_add_f64 v[24:25], v[24:25], -v[26:27]
	v_add_f64 v[26:27], v[32:33], v[24:25]
	v_add_f64 v[30:31], v[44:45], -v[30:31]
	v_add_f64 v[24:25], v[26:27], -v[24:25]
	v_add_f64 v[22:23], v[30:31], v[22:23]
	v_add_f64 v[24:25], v[32:33], -v[24:25]
	v_add_f64 v[22:23], v[22:23], v[24:25]
	v_cmp_le_f64_e32 vcc, 0.5, v[26:27]
	v_mov_b32_e32 v24, 0x3ff00000
	s_mov_b32 s12, 0x33145c07
	v_cndmask_b32_e32 v25, 0, v24, vcc
	v_mov_b32_e32 v24, v19
	v_addc_co_u32_e64 v1, s[0:1], 0, v1, vcc
	v_add_f64 v[24:25], v[26:27], -v[24:25]
	v_add_f64 v[26:27], v[24:25], v[22:23]
	s_mov_b32 s0, 0x54442d18
	v_add_f64 v[24:25], v[26:27], -v[24:25]
	s_mov_b32 s1, 0x3ff921fb
	v_add_f64 v[22:23], v[22:23], -v[24:25]
	v_mul_f64 v[24:25], v[26:27], s[0:1]
	v_fma_f64 v[28:29], v[26:27], s[0:1], -v[24:25]
	s_mov_b32 s13, 0x3c91a626
	v_fmac_f64_e32 v[28:29], s[12:13], v[26:27]
	v_fmac_f64_e32 v[28:29], s[0:1], v[22:23]
	v_add_f64 v[22:23], v[24:25], v[28:29]
	v_add_f64 v[24:25], v[22:23], -v[24:25]
	v_add_f64 v[24:25], v[28:29], -v[24:25]
.LBB127_3:
	s_andn2_saveexec_b64 s[0:1], s[4:5]
	s_cbranch_execz .LBB127_5
; %bb.4:
	s_mov_b32 s4, 0x6dc9c883
	s_mov_b32 s5, 0x3fe45f30
	v_mul_f64 v[22:23], |v[20:21]|, s[4:5]
	s_mov_b32 s4, 0x54442d18
	v_rndne_f64_e32 v[26:27], v[22:23]
	s_mov_b32 s5, 0xbff921fb
	v_fma_f64 v[22:23], v[26:27], s[4:5], |v[20:21]|
	s_mov_b32 s5, 0xbc91a626
	s_mov_b32 s4, 0x33145c00
	v_mul_f64 v[28:29], v[26:27], s[4:5]
	v_add_f64 v[32:33], v[22:23], v[28:29]
	v_fma_f64 v[24:25], s[4:5], v[26:27], v[22:23]
	s_mov_b32 s5, 0x3c91a626
	v_add_f64 v[22:23], v[22:23], -v[32:33]
	v_fma_f64 v[30:31], s[4:5], v[26:27], v[28:29]
	v_add_f64 v[22:23], v[22:23], v[28:29]
	v_add_f64 v[28:29], v[32:33], -v[24:25]
	v_add_f64 v[22:23], v[28:29], v[22:23]
	s_mov_b32 s4, 0x252049c0
	v_add_f64 v[28:29], v[22:23], -v[30:31]
	s_mov_b32 s5, 0xb97b839a
	v_fmac_f64_e32 v[28:29], s[4:5], v[26:27]
	v_add_f64 v[22:23], v[24:25], v[28:29]
	v_add_f64 v[24:25], v[22:23], -v[24:25]
	v_add_f64 v[24:25], v[28:29], -v[24:25]
	v_cvt_i32_f64_e32 v1, v[26:27]
.LBB127_5:
	s_or_b64 exec, exec, s[0:1]
	s_mov_b32 s0, 0
	s_mov_b32 s1, 0x41d00000
	v_cmp_nlt_f64_e64 s[4:5], |v[8:9]|, s[0:1]
	v_trig_preop_f64 v[38:39], |v[8:9]|, 0
	v_trig_preop_f64 v[36:37], |v[8:9]|, 1
	;; [unrolled: 1-line block ×3, first 2 shown]
                                        ; implicit-def: $vgpr19
                                        ; implicit-def: $vgpr26_vgpr27
                                        ; implicit-def: $vgpr28_vgpr29
	s_and_saveexec_b64 s[0:1], s[4:5]
	s_xor_b64 s[12:13], exec, s[0:1]
	s_cbranch_execz .LBB127_9
; %bb.6:
	s_mov_b32 s0, 0
	s_mov_b32 s1, 0x7b000000
	s_movk_i32 s14, 0xff80
	v_and_b32_e32 v19, 0x7fffffff, v9
	v_ldexp_f64 v[26:27], |v[8:9]|, s14
	v_cmp_ge_f64_e64 vcc, |v[8:9]|, s[0:1]
	s_mov_b32 s0, 0
	s_mov_b32 s1, 0x7ff00000
	v_cndmask_b32_e32 v27, v19, v27, vcc
	v_cndmask_b32_e32 v26, v8, v26, vcc
	v_mul_f64 v[30:31], v[38:39], v[26:27]
	v_mul_f64 v[28:29], v[36:37], v[26:27]
	v_fma_f64 v[32:33], v[38:39], v[26:27], -v[30:31]
	v_add_f64 v[40:41], v[28:29], v[32:33]
	v_add_f64 v[48:49], v[40:41], -v[28:29]
	v_add_f64 v[32:33], v[32:33], -v[48:49]
	;; [unrolled: 1-line block ×4, first 2 shown]
	v_add_f64 v[32:33], v[32:33], v[48:49]
	v_fma_f64 v[28:29], v[36:37], v[26:27], -v[28:29]
	v_mul_f64 v[48:49], v[34:35], v[26:27]
	v_add_f64 v[50:51], v[48:49], v[28:29]
	v_add_f64 v[42:43], v[30:31], v[40:41]
	;; [unrolled: 1-line block ×3, first 2 shown]
	v_ldexp_f64 v[44:45], v[42:43], -2
	v_add_f64 v[30:31], v[42:43], -v[30:31]
	v_add_f64 v[42:43], v[52:53], -v[50:51]
	;; [unrolled: 1-line block ×5, first 2 shown]
	v_add_f64 v[32:33], v[32:33], v[42:43]
	v_add_f64 v[42:43], v[50:51], -v[48:49]
	v_add_f64 v[28:29], v[28:29], -v[42:43]
	;; [unrolled: 1-line block ×5, first 2 shown]
	v_add_f64 v[28:29], v[28:29], v[42:43]
	v_fract_f64_e32 v[46:47], v[44:45]
	v_add_f64 v[40:41], v[30:31], v[52:53]
	v_add_f64 v[28:29], v[28:29], v[32:33]
	v_fma_f64 v[26:27], v[34:35], v[26:27], -v[48:49]
	v_add_f64 v[30:31], v[40:41], -v[30:31]
	v_add_f64 v[26:27], v[26:27], v[28:29]
	v_ldexp_f64 v[28:29], v[46:47], 2
	v_cmp_neq_f64_e64 vcc, |v[44:45]|, s[0:1]
	v_add_f64 v[30:31], v[52:53], -v[30:31]
	v_add_f64 v[26:27], v[30:31], v[26:27]
	v_cndmask_b32_e32 v29, 0, v29, vcc
	v_cndmask_b32_e32 v28, 0, v28, vcc
	v_add_f64 v[30:31], v[40:41], v[28:29]
	v_mov_b32_e32 v19, 0x40100000
	v_cmp_gt_f64_e32 vcc, 0, v[30:31]
	v_mov_b32_e32 v30, 0
	s_mov_b32 s14, 0x33145c07
	v_cndmask_b32_e32 v31, 0, v19, vcc
	v_add_f64 v[28:29], v[28:29], v[30:31]
	v_add_f64 v[32:33], v[40:41], v[28:29]
	v_cvt_i32_f64_e32 v19, v[32:33]
	v_cvt_f64_i32_e32 v[32:33], v19
	v_add_f64 v[28:29], v[28:29], -v[32:33]
	v_add_f64 v[32:33], v[40:41], v[28:29]
	v_add_f64 v[28:29], v[32:33], -v[28:29]
	v_add_f64 v[28:29], v[40:41], -v[28:29]
	v_add_f64 v[26:27], v[26:27], v[28:29]
	v_cmp_le_f64_e32 vcc, 0.5, v[32:33]
	v_mov_b32_e32 v28, 0x3ff00000
	s_mov_b32 s15, 0x3c91a626
	v_cndmask_b32_e32 v31, 0, v28, vcc
	v_addc_co_u32_e64 v19, s[0:1], 0, v19, vcc
	v_add_f64 v[28:29], v[32:33], -v[30:31]
	v_add_f64 v[30:31], v[28:29], v[26:27]
	s_mov_b32 s0, 0x54442d18
	v_add_f64 v[28:29], v[30:31], -v[28:29]
	s_mov_b32 s1, 0x3ff921fb
	v_add_f64 v[26:27], v[26:27], -v[28:29]
	v_mul_f64 v[28:29], v[30:31], s[0:1]
	v_fma_f64 v[32:33], v[30:31], s[0:1], -v[28:29]
	v_fmac_f64_e32 v[32:33], s[14:15], v[30:31]
	v_fmac_f64_e32 v[32:33], s[0:1], v[26:27]
	v_add_f64 v[26:27], v[28:29], v[32:33]
	v_add_f64 v[28:29], v[26:27], -v[28:29]
	v_add_f64 v[28:29], v[32:33], -v[28:29]
	s_andn2_saveexec_b64 s[0:1], s[12:13]
	s_cbranch_execz .LBB127_11
	s_branch .LBB127_10
.LBB127_7:
	s_and_b64 vcc, exec, s[4:5]
	s_cbranch_vccz .LBB127_52
; %bb.8:
	s_getpc_b64 s[0:1]
	s_add_u32 s0, s0, _ZN2at6native25elementwise_kernel_helperILb0EZZZNS0_17expm1_kernel_cudaERNS_18TensorIteratorBaseEENKUlvE_clEvENKUlvE1_clEvEUlN3c107complexIdEEE_NS0_6memory8policies11unroll_baseILi256ESt5arrayIPcLm2EE23TrivialOffsetCalculatorILi1EjESH_NSA_15LoadWithoutCastENSA_16StoreWithoutCastELi4ELi1EEEEEvT0_T1_@rel32@lo+4
	s_addc_u32 s1, s1, _ZN2at6native25elementwise_kernel_helperILb0EZZZNS0_17expm1_kernel_cudaERNS_18TensorIteratorBaseEENKUlvE_clEvENKUlvE1_clEvEUlN3c107complexIdEEE_NS0_6memory8policies11unroll_baseILi256ESt5arrayIPcLm2EE23TrivialOffsetCalculatorILi1EjESH_NSA_15LoadWithoutCastENSA_16StoreWithoutCastELi4ELi1EEEEEvT0_T1_@rel32@hi+12
	s_mov_b32 s12, s2
	v_mov_b32_e32 v31, v0
	v_mov_b32_e32 v0, s8
	v_mov_b32_e32 v1, s9
	v_mov_b32_e32 v2, s10
	v_mov_b32_e32 v3, s11
	v_mov_b32_e32 v4, s3
	s_swappc_b64 s[30:31], s[0:1]
	s_endpgm
.LBB127_9:
	s_andn2_saveexec_b64 s[0:1], s[12:13]
	s_cbranch_execz .LBB127_11
.LBB127_10:
	s_mov_b32 s12, 0x6dc9c883
	s_mov_b32 s13, 0x3fe45f30
	v_mul_f64 v[26:27], |v[8:9]|, s[12:13]
	s_mov_b32 s12, 0x54442d18
	v_rndne_f64_e32 v[30:31], v[26:27]
	s_mov_b32 s13, 0xbff921fb
	v_fma_f64 v[26:27], v[30:31], s[12:13], |v[8:9]|
	s_mov_b32 s13, 0xbc91a626
	s_mov_b32 s12, 0x33145c00
	v_mul_f64 v[32:33], v[30:31], s[12:13]
	v_add_f64 v[42:43], v[26:27], v[32:33]
	v_fma_f64 v[28:29], s[12:13], v[30:31], v[26:27]
	s_mov_b32 s13, 0x3c91a626
	v_add_f64 v[26:27], v[26:27], -v[42:43]
	v_fma_f64 v[40:41], s[12:13], v[30:31], v[32:33]
	v_add_f64 v[26:27], v[26:27], v[32:33]
	v_add_f64 v[32:33], v[42:43], -v[28:29]
	v_add_f64 v[26:27], v[32:33], v[26:27]
	s_mov_b32 s12, 0x252049c0
	v_add_f64 v[32:33], v[26:27], -v[40:41]
	s_mov_b32 s13, 0xb97b839a
	v_fmac_f64_e32 v[32:33], s[12:13], v[30:31]
	v_add_f64 v[26:27], v[28:29], v[32:33]
	v_add_f64 v[28:29], v[26:27], -v[28:29]
	v_add_f64 v[28:29], v[32:33], -v[28:29]
	v_cvt_i32_f64_e32 v19, v[30:31]
.LBB127_11:
	s_or_b64 exec, exec, s[0:1]
                                        ; implicit-def: $vgpr82
                                        ; implicit-def: $vgpr30_vgpr31
                                        ; implicit-def: $vgpr32_vgpr33
	s_and_saveexec_b64 s[0:1], s[4:5]
	s_xor_b64 s[4:5], exec, s[0:1]
	s_cbranch_execz .LBB127_13
; %bb.12:
	s_mov_b32 s0, 0
	s_mov_b32 s1, 0x7b000000
	s_movk_i32 s12, 0xff80
	v_and_b32_e32 v32, 0x7fffffff, v9
	v_ldexp_f64 v[30:31], |v[8:9]|, s12
	v_cmp_ge_f64_e64 vcc, |v[8:9]|, s[0:1]
	s_mov_b32 s0, 0
	s_mov_b32 s1, 0x7ff00000
	v_cndmask_b32_e32 v31, v32, v31, vcc
	v_cndmask_b32_e32 v30, v8, v30, vcc
	v_mul_f64 v[40:41], v[38:39], v[30:31]
	v_mul_f64 v[32:33], v[36:37], v[30:31]
	v_fma_f64 v[38:39], v[38:39], v[30:31], -v[40:41]
	v_add_f64 v[42:43], v[32:33], v[38:39]
	v_add_f64 v[50:51], v[42:43], -v[32:33]
	v_add_f64 v[38:39], v[38:39], -v[50:51]
	;; [unrolled: 1-line block ×4, first 2 shown]
	v_fma_f64 v[32:33], v[36:37], v[30:31], -v[32:33]
	v_mul_f64 v[36:37], v[34:35], v[30:31]
	v_add_f64 v[38:39], v[38:39], v[50:51]
	v_add_f64 v[50:51], v[36:37], v[32:33]
	v_add_f64 v[44:45], v[40:41], v[42:43]
	v_add_f64 v[52:53], v[50:51], v[38:39]
	v_ldexp_f64 v[46:47], v[44:45], -2
	v_add_f64 v[40:41], v[44:45], -v[40:41]
	v_add_f64 v[44:45], v[52:53], -v[50:51]
	;; [unrolled: 1-line block ×5, first 2 shown]
	v_add_f64 v[38:39], v[38:39], v[44:45]
	v_add_f64 v[44:45], v[50:51], -v[36:37]
	v_add_f64 v[32:33], v[32:33], -v[44:45]
	;; [unrolled: 1-line block ×4, first 2 shown]
	v_add_f64 v[32:33], v[32:33], v[44:45]
	v_fract_f64_e32 v[48:49], v[46:47]
	v_add_f64 v[32:33], v[32:33], v[38:39]
	v_fma_f64 v[30:31], v[34:35], v[30:31], -v[36:37]
	v_add_f64 v[40:41], v[42:43], -v[40:41]
	v_add_f64 v[30:31], v[30:31], v[32:33]
	v_ldexp_f64 v[32:33], v[48:49], 2
	v_cmp_neq_f64_e64 vcc, |v[46:47]|, s[0:1]
	v_add_f64 v[42:43], v[40:41], v[52:53]
	v_mov_b32_e32 v36, 0x40100000
	v_cndmask_b32_e32 v33, 0, v33, vcc
	v_cndmask_b32_e32 v32, 0, v32, vcc
	v_add_f64 v[34:35], v[42:43], v[32:33]
	v_cmp_gt_f64_e32 vcc, 0, v[34:35]
	v_mov_b32_e32 v34, 0
	v_add_f64 v[40:41], v[42:43], -v[40:41]
	v_cndmask_b32_e32 v35, 0, v36, vcc
	v_add_f64 v[32:33], v[32:33], v[34:35]
	v_add_f64 v[36:37], v[42:43], v[32:33]
	v_cvt_i32_f64_e32 v35, v[36:37]
	v_cvt_f64_i32_e32 v[36:37], v35
	v_add_f64 v[32:33], v[32:33], -v[36:37]
	v_add_f64 v[36:37], v[42:43], v[32:33]
	v_add_f64 v[40:41], v[52:53], -v[40:41]
	v_add_f64 v[32:33], v[36:37], -v[32:33]
	v_add_f64 v[30:31], v[40:41], v[30:31]
	v_add_f64 v[32:33], v[42:43], -v[32:33]
	v_add_f64 v[30:31], v[30:31], v[32:33]
	v_cmp_le_f64_e32 vcc, 0.5, v[36:37]
	v_mov_b32_e32 v32, 0x3ff00000
	s_mov_b32 s12, 0x33145c07
	v_addc_co_u32_e64 v82, s[0:1], 0, v35, vcc
	v_cndmask_b32_e32 v35, 0, v32, vcc
	v_add_f64 v[32:33], v[36:37], -v[34:35]
	v_add_f64 v[34:35], v[32:33], v[30:31]
	s_mov_b32 s0, 0x54442d18
	v_add_f64 v[32:33], v[34:35], -v[32:33]
	s_mov_b32 s1, 0x3ff921fb
	v_add_f64 v[30:31], v[30:31], -v[32:33]
	v_mul_f64 v[32:33], v[34:35], s[0:1]
	v_fma_f64 v[36:37], v[34:35], s[0:1], -v[32:33]
	s_mov_b32 s13, 0x3c91a626
	v_fmac_f64_e32 v[36:37], s[12:13], v[34:35]
	v_fmac_f64_e32 v[36:37], s[0:1], v[30:31]
	v_add_f64 v[30:31], v[32:33], v[36:37]
	v_add_f64 v[32:33], v[30:31], -v[32:33]
	v_add_f64 v[32:33], v[36:37], -v[32:33]
	s_andn2_saveexec_b64 s[0:1], s[4:5]
	s_cbranch_execnz .LBB127_14
	s_branch .LBB127_15
.LBB127_13:
	s_andn2_saveexec_b64 s[0:1], s[4:5]
	s_cbranch_execz .LBB127_15
.LBB127_14:
	s_mov_b32 s4, 0x6dc9c883
	s_mov_b32 s5, 0x3fe45f30
	v_mul_f64 v[30:31], |v[8:9]|, s[4:5]
	s_mov_b32 s4, 0x54442d18
	v_rndne_f64_e32 v[34:35], v[30:31]
	s_mov_b32 s5, 0xbff921fb
	v_fma_f64 v[30:31], v[34:35], s[4:5], |v[8:9]|
	s_mov_b32 s5, 0xbc91a626
	s_mov_b32 s4, 0x33145c00
	v_mul_f64 v[36:37], v[34:35], s[4:5]
	v_add_f64 v[40:41], v[30:31], v[36:37]
	v_fma_f64 v[32:33], s[4:5], v[34:35], v[30:31]
	s_mov_b32 s5, 0x3c91a626
	v_add_f64 v[30:31], v[30:31], -v[40:41]
	v_fma_f64 v[38:39], s[4:5], v[34:35], v[36:37]
	v_add_f64 v[30:31], v[30:31], v[36:37]
	v_add_f64 v[36:37], v[40:41], -v[32:33]
	v_add_f64 v[30:31], v[36:37], v[30:31]
	s_mov_b32 s4, 0x252049c0
	v_add_f64 v[36:37], v[30:31], -v[38:39]
	s_mov_b32 s5, 0xb97b839a
	v_fmac_f64_e32 v[36:37], s[4:5], v[34:35]
	v_add_f64 v[30:31], v[32:33], v[36:37]
	v_add_f64 v[32:33], v[30:31], -v[32:33]
	v_add_f64 v[32:33], v[36:37], -v[32:33]
	v_cvt_i32_f64_e32 v82, v[34:35]
.LBB127_15:
	s_or_b64 exec, exec, s[0:1]
	s_mov_b32 s0, 0
	v_mul_f64 v[34:35], v[12:13], 0.5
	s_mov_b32 s1, 0x41d00000
	v_cmp_nlt_f64_e64 s[0:1], |v[34:35]|, s[0:1]
                                        ; implicit-def: $vgpr83
                                        ; implicit-def: $vgpr36_vgpr37
                                        ; implicit-def: $vgpr38_vgpr39
	s_and_saveexec_b64 s[4:5], s[0:1]
	s_xor_b64 s[4:5], exec, s[4:5]
	s_cbranch_execz .LBB127_17
; %bb.16:
	s_mov_b32 s0, 0
	s_mov_b32 s1, 0x7b000000
	s_movk_i32 s12, 0xff80
	v_and_b32_e32 v42, 0x7fffffff, v35
	v_ldexp_f64 v[40:41], |v[34:35]|, s12
	v_cmp_ge_f64_e64 vcc, |v[34:35]|, s[0:1]
	v_trig_preop_f64 v[36:37], |v[34:35]|, 0
	v_trig_preop_f64 v[38:39], |v[34:35]|, 1
	v_cndmask_b32_e32 v41, v42, v41, vcc
	v_cndmask_b32_e32 v40, v34, v40, vcc
	v_mul_f64 v[44:45], v[36:37], v[40:41]
	v_mul_f64 v[42:43], v[38:39], v[40:41]
	v_fma_f64 v[36:37], v[36:37], v[40:41], -v[44:45]
	v_add_f64 v[46:47], v[42:43], v[36:37]
	v_add_f64 v[54:55], v[46:47], -v[42:43]
	v_add_f64 v[36:37], v[36:37], -v[54:55]
	;; [unrolled: 1-line block ×4, first 2 shown]
	v_fma_f64 v[38:39], v[38:39], v[40:41], -v[42:43]
	v_trig_preop_f64 v[42:43], |v[34:35]|, 2
	v_add_f64 v[36:37], v[36:37], v[54:55]
	v_mul_f64 v[54:55], v[42:43], v[40:41]
	v_add_f64 v[56:57], v[54:55], v[38:39]
	v_add_f64 v[48:49], v[44:45], v[46:47]
	;; [unrolled: 1-line block ×3, first 2 shown]
	v_ldexp_f64 v[50:51], v[48:49], -2
	v_add_f64 v[44:45], v[48:49], -v[44:45]
	v_add_f64 v[48:49], v[58:59], -v[56:57]
	v_add_f64 v[36:37], v[36:37], -v[48:49]
	v_add_f64 v[48:49], v[58:59], -v[48:49]
	v_add_f64 v[48:49], v[56:57], -v[48:49]
	v_add_f64 v[36:37], v[36:37], v[48:49]
	v_add_f64 v[48:49], v[56:57], -v[54:55]
	v_add_f64 v[38:39], v[38:39], -v[48:49]
	;; [unrolled: 1-line block ×4, first 2 shown]
	v_add_f64 v[38:39], v[38:39], v[48:49]
	s_mov_b32 s0, 0
	v_fract_f64_e32 v[52:53], v[50:51]
	v_add_f64 v[36:37], v[38:39], v[36:37]
	v_fma_f64 v[38:39], v[42:43], v[40:41], -v[54:55]
	s_mov_b32 s1, 0x7ff00000
	v_add_f64 v[44:45], v[46:47], -v[44:45]
	v_add_f64 v[36:37], v[38:39], v[36:37]
	v_ldexp_f64 v[38:39], v[52:53], 2
	v_cmp_neq_f64_e64 vcc, |v[50:51]|, s[0:1]
	v_add_f64 v[46:47], v[44:45], v[58:59]
	v_mov_b32_e32 v42, 0x40100000
	v_cndmask_b32_e32 v39, 0, v39, vcc
	v_cndmask_b32_e32 v38, 0, v38, vcc
	v_add_f64 v[40:41], v[46:47], v[38:39]
	v_cmp_gt_f64_e32 vcc, 0, v[40:41]
	v_mov_b32_e32 v40, 0
	v_add_f64 v[44:45], v[46:47], -v[44:45]
	v_cndmask_b32_e32 v41, 0, v42, vcc
	v_add_f64 v[38:39], v[38:39], v[40:41]
	v_add_f64 v[42:43], v[46:47], v[38:39]
	v_cvt_i32_f64_e32 v41, v[42:43]
	v_cvt_f64_i32_e32 v[42:43], v41
	v_add_f64 v[38:39], v[38:39], -v[42:43]
	v_add_f64 v[42:43], v[46:47], v[38:39]
	v_add_f64 v[44:45], v[58:59], -v[44:45]
	v_add_f64 v[38:39], v[42:43], -v[38:39]
	v_add_f64 v[36:37], v[44:45], v[36:37]
	v_add_f64 v[38:39], v[46:47], -v[38:39]
	v_add_f64 v[36:37], v[36:37], v[38:39]
	v_cmp_le_f64_e32 vcc, 0.5, v[42:43]
	v_mov_b32_e32 v38, 0x3ff00000
	s_mov_b32 s12, 0x33145c07
	v_addc_co_u32_e64 v83, s[0:1], 0, v41, vcc
	v_cndmask_b32_e32 v41, 0, v38, vcc
	v_add_f64 v[38:39], v[42:43], -v[40:41]
	v_add_f64 v[40:41], v[38:39], v[36:37]
	s_mov_b32 s0, 0x54442d18
	v_add_f64 v[38:39], v[40:41], -v[38:39]
	s_mov_b32 s1, 0x3ff921fb
	v_add_f64 v[36:37], v[36:37], -v[38:39]
	v_mul_f64 v[38:39], v[40:41], s[0:1]
	v_fma_f64 v[42:43], v[40:41], s[0:1], -v[38:39]
	s_mov_b32 s13, 0x3c91a626
	v_fmac_f64_e32 v[42:43], s[12:13], v[40:41]
	v_fmac_f64_e32 v[42:43], s[0:1], v[36:37]
	v_add_f64 v[36:37], v[38:39], v[42:43]
	v_add_f64 v[38:39], v[36:37], -v[38:39]
	v_add_f64 v[38:39], v[42:43], -v[38:39]
.LBB127_17:
	s_andn2_saveexec_b64 s[0:1], s[4:5]
	s_cbranch_execz .LBB127_19
; %bb.18:
	s_mov_b32 s4, 0x6dc9c883
	s_mov_b32 s5, 0x3fe45f30
	v_mul_f64 v[36:37], |v[34:35]|, s[4:5]
	s_mov_b32 s4, 0x54442d18
	v_rndne_f64_e32 v[40:41], v[36:37]
	s_mov_b32 s5, 0xbff921fb
	v_fma_f64 v[36:37], v[40:41], s[4:5], |v[34:35]|
	s_mov_b32 s5, 0xbc91a626
	s_mov_b32 s4, 0x33145c00
	v_mul_f64 v[42:43], v[40:41], s[4:5]
	v_add_f64 v[46:47], v[36:37], v[42:43]
	v_fma_f64 v[38:39], s[4:5], v[40:41], v[36:37]
	s_mov_b32 s5, 0x3c91a626
	v_add_f64 v[36:37], v[36:37], -v[46:47]
	v_fma_f64 v[44:45], s[4:5], v[40:41], v[42:43]
	v_add_f64 v[36:37], v[36:37], v[42:43]
	v_add_f64 v[42:43], v[46:47], -v[38:39]
	v_add_f64 v[36:37], v[42:43], v[36:37]
	s_mov_b32 s4, 0x252049c0
	v_add_f64 v[42:43], v[36:37], -v[44:45]
	s_mov_b32 s5, 0xb97b839a
	v_fmac_f64_e32 v[42:43], s[4:5], v[40:41]
	v_add_f64 v[36:37], v[38:39], v[42:43]
	v_add_f64 v[38:39], v[36:37], -v[38:39]
	v_add_f64 v[38:39], v[42:43], -v[38:39]
	v_cvt_i32_f64_e32 v83, v[40:41]
.LBB127_19:
	s_or_b64 exec, exec, s[0:1]
	s_mov_b32 s0, 0
	s_mov_b32 s1, 0x41d00000
	v_cmp_nlt_f64_e64 s[4:5], |v[12:13]|, s[0:1]
	v_trig_preop_f64 v[52:53], |v[12:13]|, 0
	v_trig_preop_f64 v[50:51], |v[12:13]|, 1
	;; [unrolled: 1-line block ×3, first 2 shown]
                                        ; implicit-def: $vgpr84
                                        ; implicit-def: $vgpr40_vgpr41
                                        ; implicit-def: $vgpr42_vgpr43
	s_and_saveexec_b64 s[0:1], s[4:5]
	s_xor_b64 s[12:13], exec, s[0:1]
	s_cbranch_execz .LBB127_21
; %bb.20:
	s_mov_b32 s0, 0
	s_mov_b32 s1, 0x7b000000
	s_movk_i32 s14, 0xff80
	v_and_b32_e32 v42, 0x7fffffff, v13
	v_ldexp_f64 v[40:41], |v[12:13]|, s14
	v_cmp_ge_f64_e64 vcc, |v[12:13]|, s[0:1]
	s_mov_b32 s0, 0
	s_mov_b32 s1, 0x7ff00000
	v_cndmask_b32_e32 v41, v42, v41, vcc
	v_cndmask_b32_e32 v40, v12, v40, vcc
	v_mul_f64 v[44:45], v[52:53], v[40:41]
	v_mul_f64 v[42:43], v[50:51], v[40:41]
	v_fma_f64 v[46:47], v[52:53], v[40:41], -v[44:45]
	v_add_f64 v[54:55], v[42:43], v[46:47]
	v_add_f64 v[62:63], v[54:55], -v[42:43]
	v_add_f64 v[46:47], v[46:47], -v[62:63]
	;; [unrolled: 1-line block ×4, first 2 shown]
	v_add_f64 v[46:47], v[46:47], v[62:63]
	v_fma_f64 v[42:43], v[50:51], v[40:41], -v[42:43]
	v_mul_f64 v[62:63], v[48:49], v[40:41]
	v_add_f64 v[64:65], v[62:63], v[42:43]
	v_add_f64 v[56:57], v[44:45], v[54:55]
	;; [unrolled: 1-line block ×3, first 2 shown]
	v_ldexp_f64 v[58:59], v[56:57], -2
	v_add_f64 v[44:45], v[56:57], -v[44:45]
	v_add_f64 v[56:57], v[66:67], -v[64:65]
	;; [unrolled: 1-line block ×5, first 2 shown]
	v_add_f64 v[46:47], v[46:47], v[56:57]
	v_add_f64 v[56:57], v[64:65], -v[62:63]
	v_add_f64 v[42:43], v[42:43], -v[56:57]
	;; [unrolled: 1-line block ×5, first 2 shown]
	v_add_f64 v[42:43], v[42:43], v[56:57]
	v_fract_f64_e32 v[60:61], v[58:59]
	v_add_f64 v[54:55], v[44:45], v[66:67]
	v_add_f64 v[42:43], v[42:43], v[46:47]
	v_fma_f64 v[40:41], v[48:49], v[40:41], -v[62:63]
	v_add_f64 v[44:45], v[54:55], -v[44:45]
	v_add_f64 v[40:41], v[40:41], v[42:43]
	v_ldexp_f64 v[42:43], v[60:61], 2
	v_cmp_neq_f64_e64 vcc, |v[58:59]|, s[0:1]
	v_add_f64 v[44:45], v[66:67], -v[44:45]
	v_add_f64 v[40:41], v[44:45], v[40:41]
	v_cndmask_b32_e32 v43, 0, v43, vcc
	v_cndmask_b32_e32 v42, 0, v42, vcc
	v_add_f64 v[44:45], v[54:55], v[42:43]
	v_mov_b32_e32 v46, 0x40100000
	v_cmp_gt_f64_e32 vcc, 0, v[44:45]
	v_mov_b32_e32 v44, 0
	s_mov_b32 s14, 0x33145c07
	v_cndmask_b32_e32 v45, 0, v46, vcc
	v_add_f64 v[42:43], v[42:43], v[44:45]
	v_add_f64 v[46:47], v[54:55], v[42:43]
	v_cvt_i32_f64_e32 v45, v[46:47]
	v_cvt_f64_i32_e32 v[46:47], v45
	v_add_f64 v[42:43], v[42:43], -v[46:47]
	v_add_f64 v[46:47], v[54:55], v[42:43]
	v_add_f64 v[42:43], v[46:47], -v[42:43]
	v_add_f64 v[42:43], v[54:55], -v[42:43]
	v_add_f64 v[40:41], v[40:41], v[42:43]
	v_cmp_le_f64_e32 vcc, 0.5, v[46:47]
	v_mov_b32_e32 v42, 0x3ff00000
	s_mov_b32 s15, 0x3c91a626
	v_addc_co_u32_e64 v84, s[0:1], 0, v45, vcc
	v_cndmask_b32_e32 v45, 0, v42, vcc
	v_add_f64 v[42:43], v[46:47], -v[44:45]
	v_add_f64 v[44:45], v[42:43], v[40:41]
	s_mov_b32 s0, 0x54442d18
	v_add_f64 v[42:43], v[44:45], -v[42:43]
	s_mov_b32 s1, 0x3ff921fb
	v_add_f64 v[40:41], v[40:41], -v[42:43]
	v_mul_f64 v[42:43], v[44:45], s[0:1]
	v_fma_f64 v[46:47], v[44:45], s[0:1], -v[42:43]
	v_fmac_f64_e32 v[46:47], s[14:15], v[44:45]
	v_fmac_f64_e32 v[46:47], s[0:1], v[40:41]
	v_add_f64 v[40:41], v[42:43], v[46:47]
	v_add_f64 v[42:43], v[40:41], -v[42:43]
	v_add_f64 v[42:43], v[46:47], -v[42:43]
	s_andn2_saveexec_b64 s[0:1], s[12:13]
	s_cbranch_execz .LBB127_23
	s_branch .LBB127_22
.LBB127_21:
	s_andn2_saveexec_b64 s[0:1], s[12:13]
	s_cbranch_execz .LBB127_23
.LBB127_22:
	s_mov_b32 s12, 0x6dc9c883
	s_mov_b32 s13, 0x3fe45f30
	v_mul_f64 v[40:41], |v[12:13]|, s[12:13]
	s_mov_b32 s12, 0x54442d18
	v_rndne_f64_e32 v[44:45], v[40:41]
	s_mov_b32 s13, 0xbff921fb
	v_fma_f64 v[40:41], v[44:45], s[12:13], |v[12:13]|
	s_mov_b32 s13, 0xbc91a626
	s_mov_b32 s12, 0x33145c00
	v_mul_f64 v[46:47], v[44:45], s[12:13]
	v_add_f64 v[56:57], v[40:41], v[46:47]
	v_fma_f64 v[42:43], s[12:13], v[44:45], v[40:41]
	s_mov_b32 s13, 0x3c91a626
	v_add_f64 v[40:41], v[40:41], -v[56:57]
	v_fma_f64 v[54:55], s[12:13], v[44:45], v[46:47]
	v_add_f64 v[40:41], v[40:41], v[46:47]
	v_add_f64 v[46:47], v[56:57], -v[42:43]
	v_add_f64 v[40:41], v[46:47], v[40:41]
	s_mov_b32 s12, 0x252049c0
	v_add_f64 v[46:47], v[40:41], -v[54:55]
	s_mov_b32 s13, 0xb97b839a
	v_fmac_f64_e32 v[46:47], s[12:13], v[44:45]
	v_add_f64 v[40:41], v[42:43], v[46:47]
	v_add_f64 v[42:43], v[40:41], -v[42:43]
	v_add_f64 v[42:43], v[46:47], -v[42:43]
	v_cvt_i32_f64_e32 v84, v[44:45]
.LBB127_23:
	s_or_b64 exec, exec, s[0:1]
                                        ; implicit-def: $vgpr85
                                        ; implicit-def: $vgpr44_vgpr45
                                        ; implicit-def: $vgpr46_vgpr47
	s_and_saveexec_b64 s[0:1], s[4:5]
	s_xor_b64 s[4:5], exec, s[0:1]
	s_cbranch_execz .LBB127_25
; %bb.24:
	s_mov_b32 s0, 0
	s_mov_b32 s1, 0x7b000000
	s_movk_i32 s12, 0xff80
	v_and_b32_e32 v46, 0x7fffffff, v13
	v_ldexp_f64 v[44:45], |v[12:13]|, s12
	v_cmp_ge_f64_e64 vcc, |v[12:13]|, s[0:1]
	s_mov_b32 s0, 0
	s_mov_b32 s1, 0x7ff00000
	v_cndmask_b32_e32 v45, v46, v45, vcc
	v_cndmask_b32_e32 v44, v12, v44, vcc
	v_mul_f64 v[54:55], v[52:53], v[44:45]
	v_mul_f64 v[46:47], v[50:51], v[44:45]
	v_fma_f64 v[52:53], v[52:53], v[44:45], -v[54:55]
	v_add_f64 v[56:57], v[46:47], v[52:53]
	v_add_f64 v[64:65], v[56:57], -v[46:47]
	v_add_f64 v[52:53], v[52:53], -v[64:65]
	;; [unrolled: 1-line block ×4, first 2 shown]
	v_fma_f64 v[46:47], v[50:51], v[44:45], -v[46:47]
	v_mul_f64 v[50:51], v[48:49], v[44:45]
	v_add_f64 v[52:53], v[52:53], v[64:65]
	v_add_f64 v[64:65], v[50:51], v[46:47]
	;; [unrolled: 1-line block ×4, first 2 shown]
	v_ldexp_f64 v[60:61], v[58:59], -2
	v_add_f64 v[54:55], v[58:59], -v[54:55]
	v_add_f64 v[58:59], v[66:67], -v[64:65]
	;; [unrolled: 1-line block ×5, first 2 shown]
	v_add_f64 v[52:53], v[52:53], v[58:59]
	v_add_f64 v[58:59], v[64:65], -v[50:51]
	v_add_f64 v[46:47], v[46:47], -v[58:59]
	;; [unrolled: 1-line block ×4, first 2 shown]
	v_add_f64 v[46:47], v[46:47], v[58:59]
	v_fract_f64_e32 v[62:63], v[60:61]
	v_add_f64 v[46:47], v[46:47], v[52:53]
	v_fma_f64 v[44:45], v[48:49], v[44:45], -v[50:51]
	v_add_f64 v[54:55], v[56:57], -v[54:55]
	v_add_f64 v[44:45], v[44:45], v[46:47]
	v_ldexp_f64 v[46:47], v[62:63], 2
	v_cmp_neq_f64_e64 vcc, |v[60:61]|, s[0:1]
	v_add_f64 v[56:57], v[54:55], v[66:67]
	v_mov_b32_e32 v50, 0x40100000
	v_cndmask_b32_e32 v47, 0, v47, vcc
	v_cndmask_b32_e32 v46, 0, v46, vcc
	v_add_f64 v[48:49], v[56:57], v[46:47]
	v_cmp_gt_f64_e32 vcc, 0, v[48:49]
	v_mov_b32_e32 v48, 0
	v_add_f64 v[54:55], v[56:57], -v[54:55]
	v_cndmask_b32_e32 v49, 0, v50, vcc
	v_add_f64 v[46:47], v[46:47], v[48:49]
	v_add_f64 v[50:51], v[56:57], v[46:47]
	v_cvt_i32_f64_e32 v49, v[50:51]
	v_cvt_f64_i32_e32 v[50:51], v49
	v_add_f64 v[46:47], v[46:47], -v[50:51]
	v_add_f64 v[50:51], v[56:57], v[46:47]
	v_add_f64 v[54:55], v[66:67], -v[54:55]
	v_add_f64 v[46:47], v[50:51], -v[46:47]
	v_add_f64 v[44:45], v[54:55], v[44:45]
	v_add_f64 v[46:47], v[56:57], -v[46:47]
	v_add_f64 v[44:45], v[44:45], v[46:47]
	v_cmp_le_f64_e32 vcc, 0.5, v[50:51]
	v_mov_b32_e32 v46, 0x3ff00000
	s_mov_b32 s12, 0x33145c07
	v_addc_co_u32_e64 v85, s[0:1], 0, v49, vcc
	v_cndmask_b32_e32 v49, 0, v46, vcc
	v_add_f64 v[46:47], v[50:51], -v[48:49]
	v_add_f64 v[48:49], v[46:47], v[44:45]
	s_mov_b32 s0, 0x54442d18
	v_add_f64 v[46:47], v[48:49], -v[46:47]
	s_mov_b32 s1, 0x3ff921fb
	v_add_f64 v[44:45], v[44:45], -v[46:47]
	v_mul_f64 v[46:47], v[48:49], s[0:1]
	v_fma_f64 v[50:51], v[48:49], s[0:1], -v[46:47]
	s_mov_b32 s13, 0x3c91a626
	v_fmac_f64_e32 v[50:51], s[12:13], v[48:49]
	v_fmac_f64_e32 v[50:51], s[0:1], v[44:45]
	v_add_f64 v[44:45], v[46:47], v[50:51]
	v_add_f64 v[46:47], v[44:45], -v[46:47]
	v_add_f64 v[46:47], v[50:51], -v[46:47]
	s_andn2_saveexec_b64 s[0:1], s[4:5]
	s_cbranch_execnz .LBB127_26
	s_branch .LBB127_27
.LBB127_25:
	s_andn2_saveexec_b64 s[0:1], s[4:5]
	s_cbranch_execz .LBB127_27
.LBB127_26:
	s_mov_b32 s4, 0x6dc9c883
	s_mov_b32 s5, 0x3fe45f30
	v_mul_f64 v[44:45], |v[12:13]|, s[4:5]
	s_mov_b32 s4, 0x54442d18
	v_rndne_f64_e32 v[48:49], v[44:45]
	s_mov_b32 s5, 0xbff921fb
	v_fma_f64 v[44:45], v[48:49], s[4:5], |v[12:13]|
	s_mov_b32 s5, 0xbc91a626
	s_mov_b32 s4, 0x33145c00
	v_mul_f64 v[50:51], v[48:49], s[4:5]
	v_add_f64 v[54:55], v[44:45], v[50:51]
	v_fma_f64 v[46:47], s[4:5], v[48:49], v[44:45]
	s_mov_b32 s5, 0x3c91a626
	v_add_f64 v[44:45], v[44:45], -v[54:55]
	v_fma_f64 v[52:53], s[4:5], v[48:49], v[50:51]
	v_add_f64 v[44:45], v[44:45], v[50:51]
	v_add_f64 v[50:51], v[54:55], -v[46:47]
	v_add_f64 v[44:45], v[50:51], v[44:45]
	s_mov_b32 s4, 0x252049c0
	v_add_f64 v[50:51], v[44:45], -v[52:53]
	s_mov_b32 s5, 0xb97b839a
	v_fmac_f64_e32 v[50:51], s[4:5], v[48:49]
	v_add_f64 v[44:45], v[46:47], v[50:51]
	v_add_f64 v[46:47], v[44:45], -v[46:47]
	v_add_f64 v[46:47], v[50:51], -v[46:47]
	v_cvt_i32_f64_e32 v85, v[48:49]
.LBB127_27:
	s_or_b64 exec, exec, s[0:1]
	s_mov_b32 s0, 0
	s_waitcnt vmcnt(1)
	v_mul_f64 v[48:49], v[16:17], 0.5
	s_mov_b32 s1, 0x41d00000
	v_cmp_nlt_f64_e64 s[0:1], |v[48:49]|, s[0:1]
                                        ; implicit-def: $vgpr86
                                        ; implicit-def: $vgpr52_vgpr53
                                        ; implicit-def: $vgpr56_vgpr57
	s_and_saveexec_b64 s[4:5], s[0:1]
	s_xor_b64 s[4:5], exec, s[4:5]
	s_cbranch_execz .LBB127_29
; %bb.28:
	s_mov_b32 s0, 0
	s_mov_b32 s1, 0x7b000000
	s_movk_i32 s12, 0xff80
	v_and_b32_e32 v56, 0x7fffffff, v49
	v_ldexp_f64 v[54:55], |v[48:49]|, s12
	v_cmp_ge_f64_e64 vcc, |v[48:49]|, s[0:1]
	v_trig_preop_f64 v[50:51], |v[48:49]|, 0
	v_trig_preop_f64 v[52:53], |v[48:49]|, 1
	v_cndmask_b32_e32 v55, v56, v55, vcc
	v_cndmask_b32_e32 v54, v48, v54, vcc
	v_mul_f64 v[58:59], v[50:51], v[54:55]
	v_mul_f64 v[56:57], v[52:53], v[54:55]
	v_fma_f64 v[50:51], v[50:51], v[54:55], -v[58:59]
	v_add_f64 v[60:61], v[56:57], v[50:51]
	v_add_f64 v[68:69], v[60:61], -v[56:57]
	v_add_f64 v[50:51], v[50:51], -v[68:69]
	;; [unrolled: 1-line block ×4, first 2 shown]
	v_fma_f64 v[52:53], v[52:53], v[54:55], -v[56:57]
	v_trig_preop_f64 v[56:57], |v[48:49]|, 2
	v_add_f64 v[50:51], v[50:51], v[68:69]
	v_mul_f64 v[68:69], v[56:57], v[54:55]
	v_add_f64 v[70:71], v[68:69], v[52:53]
	v_add_f64 v[62:63], v[58:59], v[60:61]
	;; [unrolled: 1-line block ×3, first 2 shown]
	v_ldexp_f64 v[64:65], v[62:63], -2
	v_add_f64 v[58:59], v[62:63], -v[58:59]
	v_add_f64 v[62:63], v[72:73], -v[70:71]
	;; [unrolled: 1-line block ×5, first 2 shown]
	v_add_f64 v[50:51], v[50:51], v[62:63]
	v_add_f64 v[62:63], v[70:71], -v[68:69]
	v_add_f64 v[52:53], v[52:53], -v[62:63]
	;; [unrolled: 1-line block ×4, first 2 shown]
	v_add_f64 v[52:53], v[52:53], v[62:63]
	s_mov_b32 s0, 0
	v_fract_f64_e32 v[66:67], v[64:65]
	v_add_f64 v[50:51], v[52:53], v[50:51]
	v_fma_f64 v[52:53], v[56:57], v[54:55], -v[68:69]
	s_mov_b32 s1, 0x7ff00000
	v_add_f64 v[58:59], v[60:61], -v[58:59]
	v_add_f64 v[50:51], v[52:53], v[50:51]
	v_ldexp_f64 v[52:53], v[66:67], 2
	v_cmp_neq_f64_e64 vcc, |v[64:65]|, s[0:1]
	v_add_f64 v[60:61], v[58:59], v[72:73]
	v_mov_b32_e32 v56, 0x40100000
	v_cndmask_b32_e32 v53, 0, v53, vcc
	v_cndmask_b32_e32 v52, 0, v52, vcc
	v_add_f64 v[54:55], v[60:61], v[52:53]
	v_cmp_gt_f64_e32 vcc, 0, v[54:55]
	v_mov_b32_e32 v54, 0
	v_add_f64 v[58:59], v[60:61], -v[58:59]
	v_cndmask_b32_e32 v55, 0, v56, vcc
	v_add_f64 v[52:53], v[52:53], v[54:55]
	v_add_f64 v[56:57], v[60:61], v[52:53]
	v_cvt_i32_f64_e32 v55, v[56:57]
	v_cvt_f64_i32_e32 v[56:57], v55
	v_add_f64 v[52:53], v[52:53], -v[56:57]
	v_add_f64 v[56:57], v[60:61], v[52:53]
	v_add_f64 v[58:59], v[72:73], -v[58:59]
	v_add_f64 v[52:53], v[56:57], -v[52:53]
	v_add_f64 v[50:51], v[58:59], v[50:51]
	v_add_f64 v[52:53], v[60:61], -v[52:53]
	v_add_f64 v[50:51], v[50:51], v[52:53]
	v_cmp_le_f64_e32 vcc, 0.5, v[56:57]
	v_mov_b32_e32 v52, 0x3ff00000
	s_mov_b32 s12, 0x33145c07
	v_addc_co_u32_e64 v86, s[0:1], 0, v55, vcc
	v_cndmask_b32_e32 v55, 0, v52, vcc
	v_add_f64 v[52:53], v[56:57], -v[54:55]
	s_mov_b32 s0, 0x54442d18
	v_add_f64 v[54:55], v[52:53], v[50:51]
	s_mov_b32 s1, 0x3ff921fb
	v_mul_f64 v[56:57], v[54:55], s[0:1]
	v_add_f64 v[52:53], v[54:55], -v[52:53]
	v_fma_f64 v[58:59], v[54:55], s[0:1], -v[56:57]
	s_mov_b32 s13, 0x3c91a626
	v_add_f64 v[50:51], v[50:51], -v[52:53]
	v_fmac_f64_e32 v[58:59], s[12:13], v[54:55]
	v_fmac_f64_e32 v[58:59], s[0:1], v[50:51]
	v_add_f64 v[52:53], v[56:57], v[58:59]
	v_add_f64 v[50:51], v[52:53], -v[56:57]
	v_add_f64 v[56:57], v[58:59], -v[50:51]
.LBB127_29:
	s_andn2_saveexec_b64 s[0:1], s[4:5]
	s_cbranch_execz .LBB127_31
; %bb.30:
	s_mov_b32 s4, 0x6dc9c883
	s_mov_b32 s5, 0x3fe45f30
	v_mul_f64 v[50:51], |v[48:49]|, s[4:5]
	s_mov_b32 s4, 0x54442d18
	v_rndne_f64_e32 v[50:51], v[50:51]
	s_mov_b32 s5, 0xbff921fb
	v_fma_f64 v[52:53], v[50:51], s[4:5], |v[48:49]|
	s_mov_b32 s5, 0xbc91a626
	s_mov_b32 s4, 0x33145c00
	v_mul_f64 v[56:57], v[50:51], s[4:5]
	v_add_f64 v[60:61], v[52:53], v[56:57]
	v_fma_f64 v[54:55], s[4:5], v[50:51], v[52:53]
	s_mov_b32 s5, 0x3c91a626
	v_add_f64 v[52:53], v[52:53], -v[60:61]
	v_fma_f64 v[58:59], s[4:5], v[50:51], v[56:57]
	v_add_f64 v[52:53], v[52:53], v[56:57]
	v_add_f64 v[56:57], v[60:61], -v[54:55]
	v_add_f64 v[52:53], v[56:57], v[52:53]
	s_mov_b32 s4, 0x252049c0
	v_add_f64 v[56:57], v[52:53], -v[58:59]
	s_mov_b32 s5, 0xb97b839a
	v_fmac_f64_e32 v[56:57], s[4:5], v[50:51]
	v_add_f64 v[52:53], v[54:55], v[56:57]
	v_add_f64 v[54:55], v[52:53], -v[54:55]
	v_add_f64 v[56:57], v[56:57], -v[54:55]
	v_cvt_i32_f64_e32 v86, v[50:51]
.LBB127_31:
	s_or_b64 exec, exec, s[0:1]
	s_mov_b32 s0, 0
	s_mov_b32 s1, 0x41d00000
	v_cmp_nlt_f64_e64 s[4:5], |v[16:17]|, s[0:1]
	v_trig_preop_f64 v[58:59], |v[16:17]|, 0
	v_trig_preop_f64 v[54:55], |v[16:17]|, 1
	;; [unrolled: 1-line block ×3, first 2 shown]
                                        ; implicit-def: $vgpr88
                                        ; implicit-def: $vgpr60_vgpr61
                                        ; implicit-def: $vgpr64_vgpr65
	s_and_saveexec_b64 s[0:1], s[4:5]
	s_xor_b64 s[12:13], exec, s[0:1]
	s_cbranch_execz .LBB127_33
; %bb.32:
	s_mov_b32 s0, 0
	s_mov_b32 s1, 0x7b000000
	s_movk_i32 s14, 0xff80
	v_and_b32_e32 v62, 0x7fffffff, v17
	v_ldexp_f64 v[60:61], |v[16:17]|, s14
	v_cmp_ge_f64_e64 vcc, |v[16:17]|, s[0:1]
	s_mov_b32 s0, 0
	s_mov_b32 s1, 0x7ff00000
	v_cndmask_b32_e32 v61, v62, v61, vcc
	v_cndmask_b32_e32 v60, v16, v60, vcc
	v_mul_f64 v[64:65], v[58:59], v[60:61]
	v_mul_f64 v[62:63], v[54:55], v[60:61]
	v_fma_f64 v[66:67], v[58:59], v[60:61], -v[64:65]
	v_add_f64 v[68:69], v[62:63], v[66:67]
	v_add_f64 v[76:77], v[68:69], -v[62:63]
	v_add_f64 v[66:67], v[66:67], -v[76:77]
	;; [unrolled: 1-line block ×4, first 2 shown]
	v_add_f64 v[66:67], v[66:67], v[76:77]
	v_fma_f64 v[62:63], v[54:55], v[60:61], -v[62:63]
	v_mul_f64 v[76:77], v[50:51], v[60:61]
	v_add_f64 v[78:79], v[76:77], v[62:63]
	v_add_f64 v[70:71], v[64:65], v[68:69]
	;; [unrolled: 1-line block ×3, first 2 shown]
	v_ldexp_f64 v[72:73], v[70:71], -2
	v_add_f64 v[64:65], v[70:71], -v[64:65]
	v_add_f64 v[70:71], v[80:81], -v[78:79]
	v_add_f64 v[66:67], v[66:67], -v[70:71]
	v_add_f64 v[70:71], v[80:81], -v[70:71]
	v_add_f64 v[70:71], v[78:79], -v[70:71]
	v_add_f64 v[66:67], v[66:67], v[70:71]
	v_add_f64 v[70:71], v[78:79], -v[76:77]
	v_add_f64 v[62:63], v[62:63], -v[70:71]
	;; [unrolled: 1-line block ×5, first 2 shown]
	v_add_f64 v[62:63], v[62:63], v[70:71]
	v_fract_f64_e32 v[74:75], v[72:73]
	v_add_f64 v[68:69], v[64:65], v[80:81]
	v_add_f64 v[62:63], v[62:63], v[66:67]
	v_fma_f64 v[60:61], v[50:51], v[60:61], -v[76:77]
	v_add_f64 v[64:65], v[68:69], -v[64:65]
	v_add_f64 v[60:61], v[60:61], v[62:63]
	v_ldexp_f64 v[62:63], v[74:75], 2
	v_cmp_neq_f64_e64 vcc, |v[72:73]|, s[0:1]
	v_add_f64 v[64:65], v[80:81], -v[64:65]
	v_add_f64 v[60:61], v[64:65], v[60:61]
	v_cndmask_b32_e32 v63, 0, v63, vcc
	v_cndmask_b32_e32 v62, 0, v62, vcc
	v_add_f64 v[64:65], v[68:69], v[62:63]
	v_mov_b32_e32 v66, 0x40100000
	v_cmp_gt_f64_e32 vcc, 0, v[64:65]
	v_mov_b32_e32 v64, 0
	s_mov_b32 s14, 0x33145c07
	v_cndmask_b32_e32 v65, 0, v66, vcc
	v_add_f64 v[62:63], v[62:63], v[64:65]
	v_add_f64 v[66:67], v[68:69], v[62:63]
	v_cvt_i32_f64_e32 v65, v[66:67]
	v_cvt_f64_i32_e32 v[66:67], v65
	v_add_f64 v[62:63], v[62:63], -v[66:67]
	v_add_f64 v[66:67], v[68:69], v[62:63]
	v_add_f64 v[62:63], v[66:67], -v[62:63]
	v_add_f64 v[62:63], v[68:69], -v[62:63]
	v_add_f64 v[60:61], v[60:61], v[62:63]
	v_cmp_le_f64_e32 vcc, 0.5, v[66:67]
	v_mov_b32_e32 v62, 0x3ff00000
	s_mov_b32 s15, 0x3c91a626
	v_addc_co_u32_e64 v88, s[0:1], 0, v65, vcc
	v_cndmask_b32_e32 v65, 0, v62, vcc
	v_add_f64 v[62:63], v[66:67], -v[64:65]
	v_add_f64 v[64:65], v[62:63], v[60:61]
	s_mov_b32 s0, 0x54442d18
	v_add_f64 v[62:63], v[64:65], -v[62:63]
	s_mov_b32 s1, 0x3ff921fb
	v_add_f64 v[60:61], v[60:61], -v[62:63]
	v_mul_f64 v[62:63], v[64:65], s[0:1]
	v_fma_f64 v[66:67], v[64:65], s[0:1], -v[62:63]
	v_fmac_f64_e32 v[66:67], s[14:15], v[64:65]
	v_fmac_f64_e32 v[66:67], s[0:1], v[60:61]
	v_add_f64 v[60:61], v[62:63], v[66:67]
	v_add_f64 v[62:63], v[60:61], -v[62:63]
	v_add_f64 v[64:65], v[66:67], -v[62:63]
	s_andn2_saveexec_b64 s[0:1], s[12:13]
	s_cbranch_execz .LBB127_35
	s_branch .LBB127_34
.LBB127_33:
	s_andn2_saveexec_b64 s[0:1], s[12:13]
	s_cbranch_execz .LBB127_35
.LBB127_34:
	s_mov_b32 s12, 0x6dc9c883
	s_mov_b32 s13, 0x3fe45f30
	v_mul_f64 v[60:61], |v[16:17]|, s[12:13]
	s_mov_b32 s12, 0x54442d18
	v_rndne_f64_e32 v[62:63], v[60:61]
	s_mov_b32 s13, 0xbff921fb
	v_fma_f64 v[60:61], v[62:63], s[12:13], |v[16:17]|
	s_mov_b32 s13, 0xbc91a626
	s_mov_b32 s12, 0x33145c00
	v_mul_f64 v[66:67], v[62:63], s[12:13]
	v_add_f64 v[70:71], v[60:61], v[66:67]
	v_fma_f64 v[64:65], s[12:13], v[62:63], v[60:61]
	s_mov_b32 s13, 0x3c91a626
	v_add_f64 v[60:61], v[60:61], -v[70:71]
	v_fma_f64 v[68:69], s[12:13], v[62:63], v[66:67]
	v_add_f64 v[60:61], v[60:61], v[66:67]
	v_add_f64 v[66:67], v[70:71], -v[64:65]
	v_add_f64 v[60:61], v[66:67], v[60:61]
	s_mov_b32 s12, 0x252049c0
	v_add_f64 v[66:67], v[60:61], -v[68:69]
	s_mov_b32 s13, 0xb97b839a
	v_fmac_f64_e32 v[66:67], s[12:13], v[62:63]
	v_add_f64 v[60:61], v[64:65], v[66:67]
	v_add_f64 v[64:65], v[60:61], -v[64:65]
	v_add_f64 v[64:65], v[66:67], -v[64:65]
	v_cvt_i32_f64_e32 v88, v[62:63]
.LBB127_35:
	s_or_b64 exec, exec, s[0:1]
                                        ; implicit-def: $vgpr91
                                        ; implicit-def: $vgpr74_vgpr75
                                        ; implicit-def: $vgpr76_vgpr77
	s_and_saveexec_b64 s[0:1], s[4:5]
	s_xor_b64 s[4:5], exec, s[0:1]
	s_cbranch_execz .LBB127_37
; %bb.36:
	s_mov_b32 s0, 0
	s_mov_b32 s1, 0x7b000000
	s_movk_i32 s12, 0xff80
	v_and_b32_e32 v66, 0x7fffffff, v17
	v_ldexp_f64 v[62:63], |v[16:17]|, s12
	v_cmp_ge_f64_e64 vcc, |v[16:17]|, s[0:1]
	s_mov_b32 s0, 0
	s_mov_b32 s1, 0x7ff00000
	v_cndmask_b32_e32 v63, v66, v63, vcc
	v_cndmask_b32_e32 v62, v16, v62, vcc
	v_mul_f64 v[68:69], v[58:59], v[62:63]
	v_mul_f64 v[66:67], v[54:55], v[62:63]
	v_fma_f64 v[58:59], v[58:59], v[62:63], -v[68:69]
	v_add_f64 v[70:71], v[66:67], v[58:59]
	v_add_f64 v[78:79], v[70:71], -v[66:67]
	v_add_f64 v[58:59], v[58:59], -v[78:79]
	;; [unrolled: 1-line block ×4, first 2 shown]
	v_fma_f64 v[54:55], v[54:55], v[62:63], -v[66:67]
	v_mul_f64 v[66:67], v[50:51], v[62:63]
	v_add_f64 v[58:59], v[58:59], v[78:79]
	v_add_f64 v[78:79], v[66:67], v[54:55]
	;; [unrolled: 1-line block ×4, first 2 shown]
	v_ldexp_f64 v[74:75], v[72:73], -2
	v_add_f64 v[68:69], v[72:73], -v[68:69]
	v_add_f64 v[72:73], v[80:81], -v[78:79]
	;; [unrolled: 1-line block ×5, first 2 shown]
	v_add_f64 v[58:59], v[58:59], v[72:73]
	v_add_f64 v[72:73], v[78:79], -v[66:67]
	v_add_f64 v[54:55], v[54:55], -v[72:73]
	v_add_f64 v[72:73], v[78:79], -v[72:73]
	v_add_f64 v[72:73], v[66:67], -v[72:73]
	v_add_f64 v[54:55], v[54:55], v[72:73]
	v_fract_f64_e32 v[76:77], v[74:75]
	v_add_f64 v[54:55], v[54:55], v[58:59]
	v_fma_f64 v[50:51], v[50:51], v[62:63], -v[66:67]
	v_add_f64 v[68:69], v[70:71], -v[68:69]
	v_add_f64 v[50:51], v[50:51], v[54:55]
	v_ldexp_f64 v[54:55], v[76:77], 2
	v_cmp_neq_f64_e64 vcc, |v[74:75]|, s[0:1]
	v_add_f64 v[70:71], v[68:69], v[80:81]
	v_mov_b32_e32 v62, 0x40100000
	v_cndmask_b32_e32 v55, 0, v55, vcc
	v_cndmask_b32_e32 v54, 0, v54, vcc
	v_add_f64 v[58:59], v[70:71], v[54:55]
	v_cmp_gt_f64_e32 vcc, 0, v[58:59]
	v_mov_b32_e32 v58, 0
	v_add_f64 v[68:69], v[70:71], -v[68:69]
	v_cndmask_b32_e32 v59, 0, v62, vcc
	v_add_f64 v[54:55], v[54:55], v[58:59]
	v_add_f64 v[62:63], v[70:71], v[54:55]
	v_cvt_i32_f64_e32 v59, v[62:63]
	v_cvt_f64_i32_e32 v[62:63], v59
	v_add_f64 v[54:55], v[54:55], -v[62:63]
	v_add_f64 v[62:63], v[70:71], v[54:55]
	v_add_f64 v[68:69], v[80:81], -v[68:69]
	v_add_f64 v[54:55], v[62:63], -v[54:55]
	v_add_f64 v[50:51], v[68:69], v[50:51]
	v_add_f64 v[54:55], v[70:71], -v[54:55]
	v_add_f64 v[50:51], v[50:51], v[54:55]
	v_cmp_le_f64_e32 vcc, 0.5, v[62:63]
	v_mov_b32_e32 v54, 0x3ff00000
	s_mov_b32 s12, 0x33145c07
	v_addc_co_u32_e64 v91, s[0:1], 0, v59, vcc
	v_cndmask_b32_e32 v59, 0, v54, vcc
	v_add_f64 v[54:55], v[62:63], -v[58:59]
	v_add_f64 v[58:59], v[54:55], v[50:51]
	s_mov_b32 s0, 0x54442d18
	v_add_f64 v[54:55], v[58:59], -v[54:55]
	s_mov_b32 s1, 0x3ff921fb
	v_add_f64 v[50:51], v[50:51], -v[54:55]
	v_mul_f64 v[54:55], v[58:59], s[0:1]
	v_fma_f64 v[62:63], v[58:59], s[0:1], -v[54:55]
	s_mov_b32 s13, 0x3c91a626
	v_fmac_f64_e32 v[62:63], s[12:13], v[58:59]
	v_fmac_f64_e32 v[62:63], s[0:1], v[50:51]
	v_add_f64 v[74:75], v[54:55], v[62:63]
	v_add_f64 v[50:51], v[74:75], -v[54:55]
	v_add_f64 v[76:77], v[62:63], -v[50:51]
	s_andn2_saveexec_b64 s[0:1], s[4:5]
	s_cbranch_execnz .LBB127_38
	s_branch .LBB127_39
.LBB127_37:
	s_andn2_saveexec_b64 s[0:1], s[4:5]
	s_cbranch_execz .LBB127_39
.LBB127_38:
	s_mov_b32 s4, 0x6dc9c883
	s_mov_b32 s5, 0x3fe45f30
	v_mul_f64 v[50:51], |v[16:17]|, s[4:5]
	s_mov_b32 s4, 0x54442d18
	v_rndne_f64_e32 v[50:51], v[50:51]
	s_mov_b32 s5, 0xbff921fb
	v_fma_f64 v[54:55], v[50:51], s[4:5], |v[16:17]|
	s_mov_b32 s5, 0xbc91a626
	s_mov_b32 s4, 0x33145c00
	v_mul_f64 v[62:63], v[50:51], s[4:5]
	v_add_f64 v[68:69], v[54:55], v[62:63]
	v_fma_f64 v[58:59], s[4:5], v[50:51], v[54:55]
	s_mov_b32 s5, 0x3c91a626
	v_add_f64 v[54:55], v[54:55], -v[68:69]
	v_fma_f64 v[66:67], s[4:5], v[50:51], v[62:63]
	v_add_f64 v[54:55], v[54:55], v[62:63]
	v_add_f64 v[62:63], v[68:69], -v[58:59]
	v_add_f64 v[54:55], v[62:63], v[54:55]
	s_mov_b32 s4, 0x252049c0
	v_add_f64 v[54:55], v[54:55], -v[66:67]
	s_mov_b32 s5, 0xb97b839a
	v_fmac_f64_e32 v[54:55], s[4:5], v[50:51]
	v_add_f64 v[74:75], v[58:59], v[54:55]
	v_add_f64 v[58:59], v[74:75], -v[58:59]
	v_add_f64 v[76:77], v[54:55], -v[58:59]
	v_cvt_i32_f64_e32 v91, v[50:51]
.LBB127_39:
	s_or_b64 exec, exec, s[0:1]
	s_mov_b32 s0, 0
	s_waitcnt vmcnt(0)
	v_mul_f64 v[50:51], v[4:5], 0.5
	s_mov_b32 s1, 0x41d00000
	v_cmp_nlt_f64_e64 s[0:1], |v[50:51]|, s[0:1]
                                        ; implicit-def: $vgpr87
                                        ; implicit-def: $vgpr54_vgpr55
                                        ; implicit-def: $vgpr58_vgpr59
	s_and_saveexec_b64 s[4:5], s[0:1]
	s_xor_b64 s[4:5], exec, s[4:5]
	s_cbranch_execz .LBB127_41
; %bb.40:
	s_mov_b32 s0, 0
	s_mov_b32 s1, 0x7b000000
	s_movk_i32 s12, 0xff80
	v_and_b32_e32 v66, 0x7fffffff, v51
	v_ldexp_f64 v[62:63], |v[50:51]|, s12
	v_cmp_ge_f64_e64 vcc, |v[50:51]|, s[0:1]
	v_trig_preop_f64 v[54:55], |v[50:51]|, 0
	v_trig_preop_f64 v[58:59], |v[50:51]|, 1
	v_cndmask_b32_e32 v63, v66, v63, vcc
	v_cndmask_b32_e32 v62, v50, v62, vcc
	v_mul_f64 v[68:69], v[54:55], v[62:63]
	v_mul_f64 v[66:67], v[58:59], v[62:63]
	v_fma_f64 v[54:55], v[54:55], v[62:63], -v[68:69]
	v_add_f64 v[70:71], v[66:67], v[54:55]
	v_add_f64 v[92:93], v[70:71], -v[66:67]
	v_add_f64 v[54:55], v[54:55], -v[92:93]
	;; [unrolled: 1-line block ×4, first 2 shown]
	v_fma_f64 v[58:59], v[58:59], v[62:63], -v[66:67]
	v_trig_preop_f64 v[66:67], |v[50:51]|, 2
	v_add_f64 v[54:55], v[54:55], v[92:93]
	v_mul_f64 v[92:93], v[66:67], v[62:63]
	v_add_f64 v[94:95], v[92:93], v[58:59]
	v_add_f64 v[72:73], v[68:69], v[70:71]
	;; [unrolled: 1-line block ×3, first 2 shown]
	v_ldexp_f64 v[78:79], v[72:73], -2
	v_add_f64 v[68:69], v[72:73], -v[68:69]
	v_add_f64 v[72:73], v[96:97], -v[94:95]
	;; [unrolled: 1-line block ×5, first 2 shown]
	v_add_f64 v[54:55], v[54:55], v[72:73]
	v_add_f64 v[72:73], v[94:95], -v[92:93]
	v_add_f64 v[58:59], v[58:59], -v[72:73]
	;; [unrolled: 1-line block ×4, first 2 shown]
	v_add_f64 v[58:59], v[58:59], v[72:73]
	s_mov_b32 s0, 0
	v_fract_f64_e32 v[80:81], v[78:79]
	v_add_f64 v[54:55], v[58:59], v[54:55]
	v_fma_f64 v[58:59], v[66:67], v[62:63], -v[92:93]
	s_mov_b32 s1, 0x7ff00000
	v_add_f64 v[68:69], v[70:71], -v[68:69]
	v_add_f64 v[54:55], v[58:59], v[54:55]
	v_ldexp_f64 v[58:59], v[80:81], 2
	v_cmp_neq_f64_e64 vcc, |v[78:79]|, s[0:1]
	v_add_f64 v[70:71], v[68:69], v[96:97]
	v_mov_b32_e32 v66, 0x40100000
	v_cndmask_b32_e32 v59, 0, v59, vcc
	v_cndmask_b32_e32 v58, 0, v58, vcc
	v_add_f64 v[62:63], v[70:71], v[58:59]
	v_cmp_gt_f64_e32 vcc, 0, v[62:63]
	v_mov_b32_e32 v62, 0
	v_add_f64 v[68:69], v[70:71], -v[68:69]
	v_cndmask_b32_e32 v63, 0, v66, vcc
	v_add_f64 v[58:59], v[58:59], v[62:63]
	v_add_f64 v[66:67], v[70:71], v[58:59]
	v_cvt_i32_f64_e32 v63, v[66:67]
	v_cvt_f64_i32_e32 v[66:67], v63
	v_add_f64 v[58:59], v[58:59], -v[66:67]
	v_add_f64 v[66:67], v[70:71], v[58:59]
	v_add_f64 v[68:69], v[96:97], -v[68:69]
	v_add_f64 v[58:59], v[66:67], -v[58:59]
	v_add_f64 v[54:55], v[68:69], v[54:55]
	v_add_f64 v[58:59], v[70:71], -v[58:59]
	v_add_f64 v[54:55], v[54:55], v[58:59]
	v_cmp_le_f64_e32 vcc, 0.5, v[66:67]
	v_mov_b32_e32 v58, 0x3ff00000
	s_mov_b32 s12, 0x33145c07
	v_addc_co_u32_e64 v87, s[0:1], 0, v63, vcc
	v_cndmask_b32_e32 v63, 0, v58, vcc
	v_add_f64 v[58:59], v[66:67], -v[62:63]
	v_add_f64 v[62:63], v[58:59], v[54:55]
	s_mov_b32 s0, 0x54442d18
	v_add_f64 v[58:59], v[62:63], -v[58:59]
	s_mov_b32 s1, 0x3ff921fb
	v_add_f64 v[54:55], v[54:55], -v[58:59]
	v_mul_f64 v[58:59], v[62:63], s[0:1]
	v_fma_f64 v[66:67], v[62:63], s[0:1], -v[58:59]
	s_mov_b32 s13, 0x3c91a626
	v_fmac_f64_e32 v[66:67], s[12:13], v[62:63]
	v_fmac_f64_e32 v[66:67], s[0:1], v[54:55]
	v_add_f64 v[54:55], v[58:59], v[66:67]
	v_add_f64 v[58:59], v[54:55], -v[58:59]
	v_add_f64 v[58:59], v[66:67], -v[58:59]
.LBB127_41:
	s_andn2_saveexec_b64 s[0:1], s[4:5]
	s_cbranch_execz .LBB127_43
; %bb.42:
	s_mov_b32 s4, 0x6dc9c883
	s_mov_b32 s5, 0x3fe45f30
	v_mul_f64 v[54:55], |v[50:51]|, s[4:5]
	s_mov_b32 s4, 0x54442d18
	v_rndne_f64_e32 v[62:63], v[54:55]
	s_mov_b32 s5, 0xbff921fb
	v_fma_f64 v[54:55], v[62:63], s[4:5], |v[50:51]|
	s_mov_b32 s5, 0xbc91a626
	s_mov_b32 s4, 0x33145c00
	v_mul_f64 v[66:67], v[62:63], s[4:5]
	v_add_f64 v[70:71], v[54:55], v[66:67]
	v_fma_f64 v[58:59], s[4:5], v[62:63], v[54:55]
	s_mov_b32 s5, 0x3c91a626
	v_add_f64 v[54:55], v[54:55], -v[70:71]
	v_fma_f64 v[68:69], s[4:5], v[62:63], v[66:67]
	v_add_f64 v[54:55], v[54:55], v[66:67]
	v_add_f64 v[66:67], v[70:71], -v[58:59]
	v_add_f64 v[54:55], v[66:67], v[54:55]
	s_mov_b32 s4, 0x252049c0
	v_add_f64 v[66:67], v[54:55], -v[68:69]
	s_mov_b32 s5, 0xb97b839a
	v_fmac_f64_e32 v[66:67], s[4:5], v[62:63]
	v_add_f64 v[54:55], v[58:59], v[66:67]
	v_add_f64 v[58:59], v[54:55], -v[58:59]
	v_add_f64 v[58:59], v[66:67], -v[58:59]
	v_cvt_i32_f64_e32 v87, v[62:63]
.LBB127_43:
	s_or_b64 exec, exec, s[0:1]
	s_mov_b32 s0, 0
	s_mov_b32 s1, 0x41d00000
	v_cmp_nlt_f64_e64 s[4:5], |v[4:5]|, s[0:1]
	v_trig_preop_f64 v[80:81], |v[4:5]|, 0
	v_trig_preop_f64 v[78:79], |v[4:5]|, 1
	;; [unrolled: 1-line block ×3, first 2 shown]
                                        ; implicit-def: $vgpr89
                                        ; implicit-def: $vgpr62_vgpr63
                                        ; implicit-def: $vgpr66_vgpr67
	s_and_saveexec_b64 s[0:1], s[4:5]
	s_xor_b64 s[12:13], exec, s[0:1]
	s_cbranch_execz .LBB127_45
; %bb.44:
	s_mov_b32 s0, 0
	s_mov_b32 s1, 0x7b000000
	s_movk_i32 s14, 0xff80
	v_and_b32_e32 v66, 0x7fffffff, v5
	v_ldexp_f64 v[62:63], |v[4:5]|, s14
	v_cmp_ge_f64_e64 vcc, |v[4:5]|, s[0:1]
	s_mov_b32 s0, 0
	s_mov_b32 s1, 0x7ff00000
	v_cndmask_b32_e32 v63, v66, v63, vcc
	v_cndmask_b32_e32 v62, v4, v62, vcc
	v_mul_f64 v[68:69], v[80:81], v[62:63]
	v_mul_f64 v[66:67], v[78:79], v[62:63]
	v_fma_f64 v[70:71], v[80:81], v[62:63], -v[68:69]
	v_add_f64 v[92:93], v[66:67], v[70:71]
	v_add_f64 v[100:101], v[92:93], -v[66:67]
	v_add_f64 v[70:71], v[70:71], -v[100:101]
	;; [unrolled: 1-line block ×4, first 2 shown]
	v_add_f64 v[70:71], v[70:71], v[100:101]
	v_fma_f64 v[66:67], v[78:79], v[62:63], -v[66:67]
	v_mul_f64 v[100:101], v[72:73], v[62:63]
	v_add_f64 v[102:103], v[100:101], v[66:67]
	v_add_f64 v[94:95], v[68:69], v[92:93]
	;; [unrolled: 1-line block ×3, first 2 shown]
	v_ldexp_f64 v[96:97], v[94:95], -2
	v_add_f64 v[68:69], v[94:95], -v[68:69]
	v_add_f64 v[94:95], v[104:105], -v[102:103]
	;; [unrolled: 1-line block ×5, first 2 shown]
	v_add_f64 v[70:71], v[70:71], v[94:95]
	v_add_f64 v[94:95], v[102:103], -v[100:101]
	v_add_f64 v[66:67], v[66:67], -v[94:95]
	v_add_f64 v[94:95], v[102:103], -v[94:95]
	v_add_f64 v[94:95], v[100:101], -v[94:95]
	v_add_f64 v[68:69], v[92:93], -v[68:69]
	v_add_f64 v[66:67], v[66:67], v[94:95]
	v_fract_f64_e32 v[98:99], v[96:97]
	v_add_f64 v[92:93], v[68:69], v[104:105]
	v_add_f64 v[66:67], v[66:67], v[70:71]
	v_fma_f64 v[62:63], v[72:73], v[62:63], -v[100:101]
	v_add_f64 v[68:69], v[92:93], -v[68:69]
	v_add_f64 v[62:63], v[62:63], v[66:67]
	v_ldexp_f64 v[66:67], v[98:99], 2
	v_cmp_neq_f64_e64 vcc, |v[96:97]|, s[0:1]
	v_add_f64 v[68:69], v[104:105], -v[68:69]
	v_add_f64 v[62:63], v[68:69], v[62:63]
	v_cndmask_b32_e32 v67, 0, v67, vcc
	v_cndmask_b32_e32 v66, 0, v66, vcc
	v_add_f64 v[68:69], v[92:93], v[66:67]
	v_mov_b32_e32 v70, 0x40100000
	v_cmp_gt_f64_e32 vcc, 0, v[68:69]
	v_mov_b32_e32 v68, 0
	s_mov_b32 s14, 0x33145c07
	v_cndmask_b32_e32 v69, 0, v70, vcc
	v_add_f64 v[66:67], v[66:67], v[68:69]
	v_add_f64 v[70:71], v[92:93], v[66:67]
	v_cvt_i32_f64_e32 v69, v[70:71]
	v_cvt_f64_i32_e32 v[70:71], v69
	v_add_f64 v[66:67], v[66:67], -v[70:71]
	v_add_f64 v[70:71], v[92:93], v[66:67]
	v_add_f64 v[66:67], v[70:71], -v[66:67]
	v_add_f64 v[66:67], v[92:93], -v[66:67]
	v_add_f64 v[62:63], v[62:63], v[66:67]
	v_cmp_le_f64_e32 vcc, 0.5, v[70:71]
	v_mov_b32_e32 v66, 0x3ff00000
	s_mov_b32 s15, 0x3c91a626
	v_addc_co_u32_e64 v89, s[0:1], 0, v69, vcc
	v_cndmask_b32_e32 v69, 0, v66, vcc
	v_add_f64 v[66:67], v[70:71], -v[68:69]
	v_add_f64 v[68:69], v[66:67], v[62:63]
	s_mov_b32 s0, 0x54442d18
	v_add_f64 v[66:67], v[68:69], -v[66:67]
	s_mov_b32 s1, 0x3ff921fb
	v_add_f64 v[62:63], v[62:63], -v[66:67]
	v_mul_f64 v[66:67], v[68:69], s[0:1]
	v_fma_f64 v[70:71], v[68:69], s[0:1], -v[66:67]
	v_fmac_f64_e32 v[70:71], s[14:15], v[68:69]
	v_fmac_f64_e32 v[70:71], s[0:1], v[62:63]
	v_add_f64 v[62:63], v[66:67], v[70:71]
	v_add_f64 v[66:67], v[62:63], -v[66:67]
	v_add_f64 v[66:67], v[70:71], -v[66:67]
	s_andn2_saveexec_b64 s[0:1], s[12:13]
	s_cbranch_execz .LBB127_47
	s_branch .LBB127_46
.LBB127_45:
	s_andn2_saveexec_b64 s[0:1], s[12:13]
	s_cbranch_execz .LBB127_47
.LBB127_46:
	s_mov_b32 s12, 0x6dc9c883
	s_mov_b32 s13, 0x3fe45f30
	v_mul_f64 v[62:63], |v[4:5]|, s[12:13]
	s_mov_b32 s12, 0x54442d18
	v_rndne_f64_e32 v[68:69], v[62:63]
	s_mov_b32 s13, 0xbff921fb
	v_fma_f64 v[62:63], v[68:69], s[12:13], |v[4:5]|
	s_mov_b32 s13, 0xbc91a626
	s_mov_b32 s12, 0x33145c00
	v_mul_f64 v[70:71], v[68:69], s[12:13]
	v_add_f64 v[94:95], v[62:63], v[70:71]
	v_fma_f64 v[66:67], s[12:13], v[68:69], v[62:63]
	s_mov_b32 s13, 0x3c91a626
	v_add_f64 v[62:63], v[62:63], -v[94:95]
	v_fma_f64 v[92:93], s[12:13], v[68:69], v[70:71]
	v_add_f64 v[62:63], v[62:63], v[70:71]
	v_add_f64 v[70:71], v[94:95], -v[66:67]
	v_add_f64 v[62:63], v[70:71], v[62:63]
	s_mov_b32 s12, 0x252049c0
	v_add_f64 v[70:71], v[62:63], -v[92:93]
	s_mov_b32 s13, 0xb97b839a
	v_fmac_f64_e32 v[70:71], s[12:13], v[68:69]
	v_add_f64 v[62:63], v[66:67], v[70:71]
	v_add_f64 v[66:67], v[62:63], -v[66:67]
	v_add_f64 v[66:67], v[70:71], -v[66:67]
	v_cvt_i32_f64_e32 v89, v[68:69]
.LBB127_47:
	s_or_b64 exec, exec, s[0:1]
                                        ; implicit-def: $vgpr90
                                        ; implicit-def: $vgpr68_vgpr69
                                        ; implicit-def: $vgpr70_vgpr71
	s_and_saveexec_b64 s[0:1], s[4:5]
	s_xor_b64 s[4:5], exec, s[0:1]
	s_cbranch_execz .LBB127_49
; %bb.48:
	s_mov_b32 s0, 0
	s_mov_b32 s1, 0x7b000000
	s_movk_i32 s12, 0xff80
	v_and_b32_e32 v70, 0x7fffffff, v5
	v_ldexp_f64 v[68:69], |v[4:5]|, s12
	v_cmp_ge_f64_e64 vcc, |v[4:5]|, s[0:1]
	s_mov_b32 s0, 0
	s_mov_b32 s1, 0x7ff00000
	v_cndmask_b32_e32 v69, v70, v69, vcc
	v_cndmask_b32_e32 v68, v4, v68, vcc
	v_mul_f64 v[92:93], v[80:81], v[68:69]
	v_mul_f64 v[70:71], v[78:79], v[68:69]
	v_fma_f64 v[80:81], v[80:81], v[68:69], -v[92:93]
	v_add_f64 v[94:95], v[70:71], v[80:81]
	v_add_f64 v[102:103], v[94:95], -v[70:71]
	v_add_f64 v[80:81], v[80:81], -v[102:103]
	;; [unrolled: 1-line block ×4, first 2 shown]
	v_fma_f64 v[70:71], v[78:79], v[68:69], -v[70:71]
	v_mul_f64 v[78:79], v[72:73], v[68:69]
	v_add_f64 v[80:81], v[80:81], v[102:103]
	v_add_f64 v[102:103], v[78:79], v[70:71]
	;; [unrolled: 1-line block ×4, first 2 shown]
	v_ldexp_f64 v[98:99], v[96:97], -2
	v_add_f64 v[92:93], v[96:97], -v[92:93]
	v_add_f64 v[96:97], v[104:105], -v[102:103]
	;; [unrolled: 1-line block ×5, first 2 shown]
	v_add_f64 v[80:81], v[80:81], v[96:97]
	v_add_f64 v[96:97], v[102:103], -v[78:79]
	v_add_f64 v[70:71], v[70:71], -v[96:97]
	;; [unrolled: 1-line block ×4, first 2 shown]
	v_add_f64 v[70:71], v[70:71], v[96:97]
	v_fract_f64_e32 v[100:101], v[98:99]
	v_add_f64 v[70:71], v[70:71], v[80:81]
	v_fma_f64 v[68:69], v[72:73], v[68:69], -v[78:79]
	v_add_f64 v[92:93], v[94:95], -v[92:93]
	v_add_f64 v[68:69], v[68:69], v[70:71]
	v_ldexp_f64 v[70:71], v[100:101], 2
	v_cmp_neq_f64_e64 vcc, |v[98:99]|, s[0:1]
	v_add_f64 v[94:95], v[92:93], v[104:105]
	v_mov_b32_e32 v78, 0x40100000
	v_cndmask_b32_e32 v71, 0, v71, vcc
	v_cndmask_b32_e32 v70, 0, v70, vcc
	v_add_f64 v[72:73], v[94:95], v[70:71]
	v_cmp_gt_f64_e32 vcc, 0, v[72:73]
	v_mov_b32_e32 v72, 0
	v_add_f64 v[92:93], v[94:95], -v[92:93]
	v_cndmask_b32_e32 v73, 0, v78, vcc
	v_add_f64 v[70:71], v[70:71], v[72:73]
	v_add_f64 v[78:79], v[94:95], v[70:71]
	v_cvt_i32_f64_e32 v73, v[78:79]
	v_cvt_f64_i32_e32 v[78:79], v73
	v_add_f64 v[70:71], v[70:71], -v[78:79]
	v_add_f64 v[78:79], v[94:95], v[70:71]
	v_add_f64 v[92:93], v[104:105], -v[92:93]
	v_add_f64 v[70:71], v[78:79], -v[70:71]
	v_add_f64 v[68:69], v[92:93], v[68:69]
	v_add_f64 v[70:71], v[94:95], -v[70:71]
	v_add_f64 v[68:69], v[68:69], v[70:71]
	v_cmp_le_f64_e32 vcc, 0.5, v[78:79]
	v_mov_b32_e32 v70, 0x3ff00000
	s_mov_b32 s12, 0x33145c07
	v_addc_co_u32_e64 v90, s[0:1], 0, v73, vcc
	v_cndmask_b32_e32 v73, 0, v70, vcc
	v_add_f64 v[70:71], v[78:79], -v[72:73]
	v_add_f64 v[72:73], v[70:71], v[68:69]
	s_mov_b32 s0, 0x54442d18
	v_add_f64 v[70:71], v[72:73], -v[70:71]
	s_mov_b32 s1, 0x3ff921fb
	v_add_f64 v[68:69], v[68:69], -v[70:71]
	v_mul_f64 v[70:71], v[72:73], s[0:1]
	v_fma_f64 v[78:79], v[72:73], s[0:1], -v[70:71]
	s_mov_b32 s13, 0x3c91a626
	v_fmac_f64_e32 v[78:79], s[12:13], v[72:73]
	v_fmac_f64_e32 v[78:79], s[0:1], v[68:69]
	v_add_f64 v[68:69], v[70:71], v[78:79]
	v_add_f64 v[70:71], v[68:69], -v[70:71]
	v_add_f64 v[70:71], v[78:79], -v[70:71]
	s_andn2_saveexec_b64 s[0:1], s[4:5]
	s_cbranch_execnz .LBB127_50
	s_branch .LBB127_51
.LBB127_49:
	s_andn2_saveexec_b64 s[0:1], s[4:5]
	s_cbranch_execz .LBB127_51
.LBB127_50:
	s_mov_b32 s4, 0x6dc9c883
	s_mov_b32 s5, 0x3fe45f30
	v_mul_f64 v[68:69], |v[4:5]|, s[4:5]
	s_mov_b32 s4, 0x54442d18
	v_rndne_f64_e32 v[72:73], v[68:69]
	s_mov_b32 s5, 0xbff921fb
	v_fma_f64 v[68:69], v[72:73], s[4:5], |v[4:5]|
	s_mov_b32 s5, 0xbc91a626
	s_mov_b32 s4, 0x33145c00
	v_mul_f64 v[78:79], v[72:73], s[4:5]
	v_add_f64 v[92:93], v[68:69], v[78:79]
	v_fma_f64 v[70:71], s[4:5], v[72:73], v[68:69]
	s_mov_b32 s5, 0x3c91a626
	v_add_f64 v[68:69], v[68:69], -v[92:93]
	v_fma_f64 v[80:81], s[4:5], v[72:73], v[78:79]
	v_add_f64 v[68:69], v[68:69], v[78:79]
	v_add_f64 v[78:79], v[92:93], -v[70:71]
	v_add_f64 v[68:69], v[78:79], v[68:69]
	s_mov_b32 s4, 0x252049c0
	v_add_f64 v[78:79], v[68:69], -v[80:81]
	s_mov_b32 s5, 0xb97b839a
	v_fmac_f64_e32 v[78:79], s[4:5], v[72:73]
	v_add_f64 v[68:69], v[70:71], v[78:79]
	v_add_f64 v[70:71], v[68:69], -v[70:71]
	v_add_f64 v[70:71], v[78:79], -v[70:71]
	v_cvt_i32_f64_e32 v90, v[72:73]
.LBB127_51:
	s_or_b64 exec, exec, s[0:1]
	s_mov_b32 s22, 0x652b82fe
	s_mov_b32 s23, 0x3ff71547
	v_mul_f64 v[72:73], v[14:15], s[22:23]
	s_mov_b32 s28, 0xfefa39ef
	v_rndne_f64_e32 v[94:95], v[72:73]
	s_mov_b32 s29, 0xbfe62e42
	s_mov_b32 s34, 0x3b39803f
	;; [unrolled: 1-line block ×3, first 2 shown]
	v_fma_f64 v[96:97], s[28:29], v[94:95], v[14:15]
	s_mov_b32 s35, 0xbc7abc9e
	s_mov_b32 s1, 0x3e928af3
	;; [unrolled: 1-line block ×3, first 2 shown]
	v_fmac_f64_e32 v[96:97], s[34:35], v[94:95]
	s_mov_b32 s39, 0x3e5ade15
	v_mov_b64_e32 v[80:81], s[0:1]
	s_mov_b32 s42, 0x623fde64
	v_fma_f64 v[72:73], s[38:39], v[96:97], v[80:81]
	s_mov_b32 s43, 0x3ec71dee
	s_mov_b32 s44, 0x7c89e6b0
	v_fma_f64 v[72:73], v[96:97], v[72:73], s[42:43]
	s_mov_b32 s45, 0x3efa0199
	;; [unrolled: 3-line block ×8, first 2 shown]
	v_fma_f64 v[72:73], v[96:97], v[72:73], s[58:59]
	v_fma_f64 v[72:73], v[96:97], v[72:73], 1.0
	s_mov_b32 s54, 0
	v_fma_f64 v[72:73], v[96:97], v[72:73], 1.0
	v_cvt_i32_f64_e32 v93, v[94:95]
	s_mov_b32 s55, 0x40900000
	s_mov_b32 s60, 0
	v_ldexp_f64 v[72:73], v[72:73], v93
	v_mov_b32_e32 v92, 0x7ff00000
	v_cmp_nlt_f64_e32 vcc, s[54:55], v[14:15]
	s_mov_b32 s61, 0xc090cc00
	v_cmp_ngt_f64_e64 s[0:1], s[60:61], v[14:15]
	v_cndmask_b32_e32 v73, v92, v73, vcc
	s_and_b64 vcc, s[0:1], vcc
	v_cndmask_b32_e64 v99, 0, v73, s[0:1]
	s_mov_b32 s0, 0xb42fdfa7
	s_mov_b32 s1, 0xbe5ae600
	;; [unrolled: 1-line block ×3, first 2 shown]
	v_cndmask_b32_e32 v98, 0, v72, vcc
	v_mul_f64 v[100:101], v[74:75], v[74:75]
	s_mov_b32 s13, 0x3de5e0b2
	v_mov_b64_e32 v[72:73], s[0:1]
	s_mov_b32 s14, 0x796cde01
	v_fma_f64 v[102:103], s[12:13], v[100:101], v[72:73]
	s_mov_b32 s15, 0x3ec71de3
	s_mov_b32 s16, 0x19e83e5c
	v_fma_f64 v[102:103], v[100:101], v[102:103], s[14:15]
	s_mov_b32 s17, 0xbf2a01a0
	v_fma_f64 v[102:103], v[100:101], v[102:103], s[16:17]
	s_mov_b32 s18, 0x11110bb3
	s_mov_b32 s19, s51
	v_mul_f64 v[78:79], v[74:75], -v[100:101]
	v_fma_f64 v[102:103], v[100:101], v[102:103], s[18:19]
	v_mul_f64 v[104:105], v[76:77], 0.5
	v_fmac_f64_e32 v[104:105], v[78:79], v[102:103]
	s_mov_b32 s20, 0x55555555
	s_mov_b32 s0, 0x9037ab78
	v_fma_f64 v[102:103], v[100:101], v[104:105], -v[76:77]
	s_mov_b32 s21, 0xbfc55555
	s_mov_b32 s1, 0x3e21eeb6
	;; [unrolled: 1-line block ×3, first 2 shown]
	v_fmac_f64_e32 v[102:103], s[20:21], v[78:79]
	s_mov_b32 s25, 0xbda907db
	v_mov_b64_e32 v[78:79], s[0:1]
	s_mov_b32 s26, 0xa17f65f6
	v_fma_f64 v[110:111], s[24:25], v[100:101], v[78:79]
	s_mov_b32 s27, 0xbe927e4f
	s_mov_b32 s30, 0x19f4ec90
	v_fma_f64 v[110:111], v[100:101], v[110:111], s[26:27]
	s_mov_b32 s31, 0x3efa01a0
	s_mov_b32 s36, 0x16c16967
	v_mul_f64 v[104:105], v[100:101], 0.5
	v_fma_f64 v[110:111], v[100:101], v[110:111], s[30:31]
	s_mov_b32 s37, 0xbf56c16c
	v_add_f64 v[106:107], -v[104:105], 1.0
	v_fma_f64 v[110:111], v[100:101], v[110:111], s[36:37]
	s_mov_b32 s40, s20
	s_mov_b32 s41, s53
	v_mul_f64 v[108:109], v[100:101], v[100:101]
	v_fma_f64 v[100:101], v[100:101], v[110:111], s[40:41]
	v_add_f64 v[110:111], -v[106:107], 1.0
	v_add_f64 v[104:105], v[110:111], -v[104:105]
	v_add_f64 v[102:103], v[74:75], -v[102:103]
	v_fma_f64 v[74:75], v[74:75], -v[76:77], v[104:105]
	v_and_b32_e32 v112, 1, v91
	v_fmac_f64_e32 v[74:75], v[108:109], v[100:101]
	v_add_f64 v[74:75], v[106:107], v[74:75]
	v_cmp_eq_u32_e32 vcc, 0, v112
	v_lshlrev_b32_e32 v76, 30, v91
	s_movk_i32 s33, 0x1f8
	v_cndmask_b32_e32 v75, v75, v103, vcc
	v_xor_b32_e32 v76, v76, v17
	s_brev_b32 s84, 1
	v_cndmask_b32_e32 v74, v74, v102, vcc
	v_bitop3_b32 v75, v75, v76, s84 bitop3:0x78
	v_cmp_class_f64_e64 vcc, v[16:17], s33
	v_mov_b32_e32 v76, 0x7ff80000
	s_mov_b32 s4, 0x2a1b768b
	v_cndmask_b32_e32 v16, 0, v74, vcc
	v_cndmask_b32_e32 v17, v76, v75, vcc
	v_ldexp_f64 v[74:75], 1.0, v93
	v_mov_b32_e32 v77, 0x7fe00000
	v_cmp_eq_f64_e64 s[0:1], s[54:55], v[94:95]
	s_mov_b32 s5, 0x3e5af4eb
	s_mov_b32 s62, 0xa9d67f34
	v_cndmask_b32_e64 v95, v75, v77, s[0:1]
	v_cndmask_b32_e64 v94, v74, 0, s[0:1]
	s_mov_b32 s63, 0x3e21f32e
	v_mov_b64_e32 v[74:75], s[4:5]
	s_mov_b32 s64, 0xe0ac05b
	v_mul_f64 v[16:17], v[98:99], v[16:17]
	v_fma_f64 v[98:99], s[62:63], v[96:97], v[74:75]
	s_mov_b32 s65, 0x3e927e50
	s_mov_b32 s66, 0x1b889c29
	v_fma_f64 v[98:99], v[96:97], v[98:99], s[64:65]
	s_mov_b32 s67, 0x3ec71de0
	v_fma_f64 v[98:99], v[96:97], v[98:99], s[66:67]
	s_mov_b32 s68, 0x197bcfd8
	s_mov_b32 s69, s31
	v_fma_f64 v[98:99], v[96:97], v[98:99], s[68:69]
	s_mov_b32 s70, 0x1ac1a723
	;; [unrolled: 3-line block ×6, first 2 shown]
	s_mov_b32 s79, s57
	v_fma_f64 v[98:99], v[96:97], v[98:99], s[78:79]
	v_fma_f64 v[98:99], v[96:97], v[98:99], 0.5
	v_mul_f64 v[98:99], v[96:97], v[98:99]
	v_fmac_f64_e32 v[96:97], v[96:97], v[98:99]
	v_add_f64 v[98:99], v[94:95], -1.0
	v_fmac_f64_e32 v[98:99], v[94:95], v[96:97]
	v_add_f64 v[94:95], v[98:99], v[98:99]
	s_mov_b32 s81, 0x40862e42
	s_mov_b32 s80, s28
	;; [unrolled: 1-line block ×3, first 2 shown]
	v_cndmask_b32_e64 v93, v98, v94, s[0:1]
	v_cndmask_b32_e64 v91, v99, v95, s[0:1]
	v_cmp_nlt_f64_e64 s[0:1], s[80:81], v[14:15]
	s_mov_b32 s83, 0xc0428000
	v_cmp_ngt_f64_e64 s[4:5], s[82:83], v[14:15]
	v_cndmask_b32_e64 v94, v92, v91, s[0:1]
	v_mov_b32_e32 v91, 0xbff00000
	v_cndmask_b32_e64 v15, v91, v94, s[4:5]
	v_mul_f64 v[94:95], v[60:61], v[60:61]
	v_mul_f64 v[96:97], v[94:95], 0.5
	v_fma_f64 v[102:103], s[24:25], v[94:95], v[78:79]
	v_add_f64 v[98:99], -v[96:97], 1.0
	v_fma_f64 v[102:103], v[94:95], v[102:103], s[26:27]
	v_fma_f64 v[102:103], v[94:95], v[102:103], s[30:31]
	v_add_f64 v[104:105], -v[98:99], 1.0
	v_fma_f64 v[102:103], v[94:95], v[102:103], s[36:37]
	v_add_f64 v[96:97], v[104:105], -v[96:97]
	v_mul_f64 v[100:101], v[94:95], v[94:95]
	v_fma_f64 v[102:103], v[94:95], v[102:103], s[40:41]
	v_fma_f64 v[96:97], v[60:61], -v[64:65], v[96:97]
	v_fmac_f64_e32 v[96:97], v[100:101], v[102:103]
	v_fma_f64 v[100:101], s[12:13], v[94:95], v[72:73]
	v_fma_f64 v[100:101], v[94:95], v[100:101], s[14:15]
	;; [unrolled: 1-line block ×3, first 2 shown]
	v_add_f64 v[96:97], v[98:99], v[96:97]
	v_mul_f64 v[98:99], v[60:61], -v[94:95]
	v_fma_f64 v[100:101], v[94:95], v[100:101], s[18:19]
	v_mul_f64 v[102:103], v[64:65], 0.5
	v_fmac_f64_e32 v[102:103], v[98:99], v[100:101]
	v_fma_f64 v[64:65], v[94:95], v[102:103], -v[64:65]
	s_and_b64 s[0:1], s[4:5], s[0:1]
	v_fmac_f64_e32 v[64:65], s[20:21], v[98:99]
	v_cndmask_b32_e64 v14, 0, v93, s[0:1]
	v_and_b32_e32 v93, 1, v88
	v_add_f64 v[60:61], v[60:61], -v[64:65]
	v_xor_b32_e32 v61, 0x80000000, v61
	v_cmp_eq_u32_e64 s[0:1], 0, v93
	v_lshlrev_b32_e32 v64, 30, v88
	v_mul_f64 v[98:99], v[56:57], 0.5
	v_cndmask_b32_e64 v61, v61, v97, s[0:1]
	v_bitop3_b32 v61, v61, v64, s84 bitop3:0x78
	v_mul_f64 v[64:65], v[52:53], v[52:53]
	v_cndmask_b32_e64 v60, v60, v96, s[0:1]
	v_fma_f64 v[96:97], s[12:13], v[64:65], v[72:73]
	v_fma_f64 v[96:97], v[64:65], v[96:97], s[14:15]
	;; [unrolled: 1-line block ×3, first 2 shown]
	v_mul_f64 v[94:95], v[52:53], -v[64:65]
	v_fma_f64 v[96:97], v[64:65], v[96:97], s[18:19]
	v_fmac_f64_e32 v[98:99], v[94:95], v[96:97]
	v_fma_f64 v[96:97], v[64:65], v[98:99], -v[56:57]
	v_fma_f64 v[102:103], s[24:25], v[64:65], v[78:79]
	v_fmac_f64_e32 v[96:97], s[20:21], v[94:95]
	v_fma_f64 v[102:103], v[64:65], v[102:103], s[26:27]
	v_add_f64 v[94:95], v[52:53], -v[96:97]
	v_mul_f64 v[96:97], v[64:65], 0.5
	v_fma_f64 v[102:103], v[64:65], v[102:103], s[30:31]
	v_add_f64 v[98:99], -v[96:97], 1.0
	v_fma_f64 v[102:103], v[64:65], v[102:103], s[36:37]
	v_mul_f64 v[100:101], v[64:65], v[64:65]
	v_fma_f64 v[64:65], v[64:65], v[102:103], s[40:41]
	v_add_f64 v[102:103], -v[98:99], 1.0
	v_add_f64 v[96:97], v[102:103], -v[96:97]
	v_fma_f64 v[52:53], v[52:53], -v[56:57], v[96:97]
	v_and_b32_e32 v88, 1, v86
	v_fmac_f64_e32 v[52:53], v[100:101], v[64:65]
	v_cndmask_b32_e32 v60, 0, v60, vcc
	v_cndmask_b32_e32 v61, v76, v61, vcc
	v_add_f64 v[52:53], v[98:99], v[52:53]
	v_cmp_eq_u32_e32 vcc, 0, v88
	v_lshlrev_b32_e32 v56, 30, v86
	v_xor_b32_e32 v56, v56, v49
	v_cndmask_b32_e32 v53, v53, v95, vcc
	v_cndmask_b32_e32 v52, v52, v94, vcc
	v_bitop3_b32 v53, v53, v56, s84 bitop3:0x78
	v_cmp_class_f64_e64 vcc, v[48:49], s33
	v_mul_f64 v[96:97], v[46:47], 0.5
	v_cmp_ngt_f64_e64 s[0:1], s[60:61], v[10:11]
	v_cndmask_b32_e32 v48, 0, v52, vcc
	v_cndmask_b32_e32 v49, v76, v53, vcc
	v_add_f64 v[52:53], v[48:49], v[48:49]
	v_mul_f64 v[48:49], v[52:53], v[48:49]
	v_fma_f64 v[14:15], v[14:15], v[60:61], -v[48:49]
	v_mul_f64 v[48:49], v[10:11], s[22:23]
	v_rndne_f64_e32 v[48:49], v[48:49]
	v_fma_f64 v[52:53], s[28:29], v[48:49], v[10:11]
	v_fmac_f64_e32 v[52:53], s[34:35], v[48:49]
	v_mul_f64 v[60:61], v[44:45], v[44:45]
	v_fma_f64 v[56:57], s[38:39], v[52:53], v[80:81]
	v_fma_f64 v[94:95], s[12:13], v[60:61], v[72:73]
	;; [unrolled: 1-line block ×7, first 2 shown]
	v_mul_f64 v[64:65], v[44:45], -v[60:61]
	v_fma_f64 v[94:95], v[60:61], v[94:95], s[18:19]
	v_fma_f64 v[56:57], v[52:53], v[56:57], s[48:49]
	v_fmac_f64_e32 v[96:97], v[64:65], v[94:95]
	v_fma_f64 v[56:57], v[52:53], v[56:57], s[50:51]
	v_fma_f64 v[94:95], v[60:61], v[96:97], -v[46:47]
	v_fma_f64 v[100:101], s[24:25], v[60:61], v[78:79]
	v_fma_f64 v[56:57], v[52:53], v[56:57], s[52:53]
	v_fmac_f64_e32 v[94:95], s[20:21], v[64:65]
	v_fma_f64 v[100:101], v[60:61], v[100:101], s[26:27]
	v_fma_f64 v[56:57], v[52:53], v[56:57], s[56:57]
	v_add_f64 v[64:65], v[44:45], -v[94:95]
	v_mul_f64 v[94:95], v[60:61], 0.5
	v_fma_f64 v[100:101], v[60:61], v[100:101], s[30:31]
	v_fma_f64 v[56:57], v[52:53], v[56:57], s[58:59]
	v_add_f64 v[96:97], -v[94:95], 1.0
	v_fma_f64 v[100:101], v[60:61], v[100:101], s[36:37]
	v_fma_f64 v[56:57], v[52:53], v[56:57], 1.0
	v_mul_f64 v[98:99], v[60:61], v[60:61]
	v_fma_f64 v[60:61], v[60:61], v[100:101], s[40:41]
	v_add_f64 v[100:101], -v[96:97], 1.0
	v_fma_f64 v[56:57], v[52:53], v[56:57], 1.0
	v_cvt_i32_f64_e32 v86, v[48:49]
	v_add_f64 v[94:95], v[100:101], -v[94:95]
	v_ldexp_f64 v[56:57], v[56:57], v86
	v_cmp_nlt_f64_e32 vcc, s[54:55], v[10:11]
	v_fma_f64 v[44:45], v[44:45], -v[46:47], v[94:95]
	v_and_b32_e32 v88, 1, v85
	v_cndmask_b32_e32 v57, v92, v57, vcc
	s_and_b64 vcc, s[0:1], vcc
	v_fmac_f64_e32 v[44:45], v[98:99], v[60:61]
	v_cndmask_b32_e32 v56, 0, v56, vcc
	v_add_f64 v[44:45], v[96:97], v[44:45]
	v_cmp_eq_u32_e32 vcc, 0, v88
	v_lshlrev_b32_e32 v46, 30, v85
	v_xor_b32_e32 v46, v46, v13
	v_cndmask_b32_e32 v45, v45, v65, vcc
	v_bitop3_b32 v45, v45, v46, s84 bitop3:0x78
	v_fma_f64 v[46:47], s[62:63], v[52:53], v[74:75]
	v_fma_f64 v[46:47], v[52:53], v[46:47], s[64:65]
	;; [unrolled: 1-line block ×8, first 2 shown]
	v_cndmask_b32_e32 v44, v44, v64, vcc
	v_cmp_class_f64_e64 vcc, v[12:13], s33
	v_fma_f64 v[46:47], v[52:53], v[46:47], s[78:79]
	v_cndmask_b32_e64 v57, 0, v57, s[0:1]
	v_cndmask_b32_e32 v12, 0, v44, vcc
	v_cndmask_b32_e32 v13, v76, v45, vcc
	v_ldexp_f64 v[44:45], 1.0, v86
	v_cmp_eq_f64_e64 s[0:1], s[54:55], v[48:49]
	v_fma_f64 v[46:47], v[52:53], v[46:47], 0.5
	v_mul_f64 v[46:47], v[52:53], v[46:47]
	v_cndmask_b32_e64 v45, v45, v77, s[0:1]
	v_cndmask_b32_e64 v44, v44, 0, s[0:1]
	v_fmac_f64_e32 v[52:53], v[52:53], v[46:47]
	v_add_f64 v[46:47], v[44:45], -1.0
	v_fmac_f64_e32 v[46:47], v[44:45], v[52:53]
	v_add_f64 v[44:45], v[46:47], v[46:47]
	v_cndmask_b32_e64 v44, v46, v44, s[0:1]
	v_cndmask_b32_e64 v45, v47, v45, s[0:1]
	v_cmp_nlt_f64_e64 s[0:1], s[80:81], v[10:11]
	v_cmp_ngt_f64_e64 s[4:5], s[82:83], v[10:11]
	v_mul_f64 v[12:13], v[56:57], v[12:13]
	v_cndmask_b32_e64 v45, v92, v45, s[0:1]
	s_and_b64 s[0:1], s[4:5], s[0:1]
	v_cndmask_b32_e64 v11, v91, v45, s[4:5]
	v_cndmask_b32_e64 v10, 0, v44, s[0:1]
	v_mul_f64 v[44:45], v[40:41], v[40:41]
	v_mul_f64 v[46:47], v[44:45], 0.5
	v_fma_f64 v[56:57], s[24:25], v[44:45], v[78:79]
	v_add_f64 v[48:49], -v[46:47], 1.0
	v_fma_f64 v[56:57], v[44:45], v[56:57], s[26:27]
	v_fma_f64 v[56:57], v[44:45], v[56:57], s[30:31]
	v_add_f64 v[60:61], -v[48:49], 1.0
	v_fma_f64 v[56:57], v[44:45], v[56:57], s[36:37]
	v_add_f64 v[46:47], v[60:61], -v[46:47]
	v_mul_f64 v[52:53], v[44:45], v[44:45]
	v_fma_f64 v[56:57], v[44:45], v[56:57], s[40:41]
	v_fma_f64 v[46:47], v[40:41], -v[42:43], v[46:47]
	v_fmac_f64_e32 v[46:47], v[52:53], v[56:57]
	v_fma_f64 v[52:53], s[12:13], v[44:45], v[72:73]
	v_fma_f64 v[52:53], v[44:45], v[52:53], s[14:15]
	;; [unrolled: 1-line block ×3, first 2 shown]
	v_add_f64 v[46:47], v[48:49], v[46:47]
	v_mul_f64 v[48:49], v[40:41], -v[44:45]
	v_fma_f64 v[52:53], v[44:45], v[52:53], s[18:19]
	v_mul_f64 v[56:57], v[42:43], 0.5
	v_fmac_f64_e32 v[56:57], v[48:49], v[52:53]
	v_fma_f64 v[42:43], v[44:45], v[56:57], -v[42:43]
	v_fmac_f64_e32 v[42:43], s[20:21], v[48:49]
	v_and_b32_e32 v64, 1, v84
	v_add_f64 v[40:41], v[40:41], -v[42:43]
	v_xor_b32_e32 v41, 0x80000000, v41
	v_cmp_eq_u32_e64 s[0:1], 0, v64
	v_lshlrev_b32_e32 v42, 30, v84
	v_mul_f64 v[48:49], v[38:39], 0.5
	v_cndmask_b32_e64 v41, v41, v47, s[0:1]
	v_bitop3_b32 v41, v41, v42, s84 bitop3:0x78
	v_mul_f64 v[42:43], v[36:37], v[36:37]
	v_cndmask_b32_e64 v40, v40, v46, s[0:1]
	v_fma_f64 v[46:47], s[12:13], v[42:43], v[72:73]
	v_fma_f64 v[46:47], v[42:43], v[46:47], s[14:15]
	v_fma_f64 v[46:47], v[42:43], v[46:47], s[16:17]
	v_mul_f64 v[44:45], v[36:37], -v[42:43]
	v_fma_f64 v[46:47], v[42:43], v[46:47], s[18:19]
	v_fmac_f64_e32 v[48:49], v[44:45], v[46:47]
	v_fma_f64 v[46:47], v[42:43], v[48:49], -v[38:39]
	v_fma_f64 v[56:57], s[24:25], v[42:43], v[78:79]
	v_fmac_f64_e32 v[46:47], s[20:21], v[44:45]
	v_fma_f64 v[56:57], v[42:43], v[56:57], s[26:27]
	v_add_f64 v[44:45], v[36:37], -v[46:47]
	v_mul_f64 v[46:47], v[42:43], 0.5
	v_fma_f64 v[56:57], v[42:43], v[56:57], s[30:31]
	v_add_f64 v[48:49], -v[46:47], 1.0
	v_fma_f64 v[56:57], v[42:43], v[56:57], s[36:37]
	v_mul_f64 v[52:53], v[42:43], v[42:43]
	v_fma_f64 v[42:43], v[42:43], v[56:57], s[40:41]
	v_add_f64 v[56:57], -v[48:49], 1.0
	v_add_f64 v[46:47], v[56:57], -v[46:47]
	v_fma_f64 v[36:37], v[36:37], -v[38:39], v[46:47]
	v_and_b32_e32 v60, 1, v83
	v_fmac_f64_e32 v[36:37], v[52:53], v[42:43]
	v_cndmask_b32_e32 v40, 0, v40, vcc
	v_cndmask_b32_e32 v41, v76, v41, vcc
	v_add_f64 v[36:37], v[48:49], v[36:37]
	v_cmp_eq_u32_e32 vcc, 0, v60
	v_lshlrev_b32_e32 v38, 30, v83
	v_xor_b32_e32 v38, v38, v35
	v_cndmask_b32_e32 v37, v37, v45, vcc
	v_cndmask_b32_e32 v36, v36, v44, vcc
	v_bitop3_b32 v37, v37, v38, s84 bitop3:0x78
	v_cmp_class_f64_e64 vcc, v[34:35], s33
	v_mul_f64 v[46:47], v[32:33], 0.5
	v_cmp_ngt_f64_e64 s[0:1], s[60:61], v[6:7]
	v_cndmask_b32_e32 v34, 0, v36, vcc
	v_cndmask_b32_e32 v35, v76, v37, vcc
	v_add_f64 v[36:37], v[34:35], v[34:35]
	v_mul_f64 v[34:35], v[36:37], v[34:35]
	v_fma_f64 v[10:11], v[10:11], v[40:41], -v[34:35]
	v_mul_f64 v[34:35], v[6:7], s[22:23]
	v_rndne_f64_e32 v[34:35], v[34:35]
	v_fma_f64 v[36:37], s[28:29], v[34:35], v[6:7]
	v_fmac_f64_e32 v[36:37], s[34:35], v[34:35]
	v_mul_f64 v[40:41], v[30:31], v[30:31]
	v_fma_f64 v[38:39], s[38:39], v[36:37], v[80:81]
	v_fma_f64 v[44:45], s[12:13], v[40:41], v[72:73]
	;; [unrolled: 1-line block ×7, first 2 shown]
	v_mul_f64 v[42:43], v[30:31], -v[40:41]
	v_fma_f64 v[44:45], v[40:41], v[44:45], s[18:19]
	v_fma_f64 v[38:39], v[36:37], v[38:39], s[48:49]
	v_fmac_f64_e32 v[46:47], v[42:43], v[44:45]
	v_fma_f64 v[38:39], v[36:37], v[38:39], s[50:51]
	v_fma_f64 v[44:45], v[40:41], v[46:47], -v[32:33]
	v_fma_f64 v[52:53], s[24:25], v[40:41], v[78:79]
	v_fma_f64 v[38:39], v[36:37], v[38:39], s[52:53]
	v_fmac_f64_e32 v[44:45], s[20:21], v[42:43]
	v_fma_f64 v[52:53], v[40:41], v[52:53], s[26:27]
	v_fma_f64 v[38:39], v[36:37], v[38:39], s[56:57]
	v_add_f64 v[42:43], v[30:31], -v[44:45]
	v_mul_f64 v[44:45], v[40:41], 0.5
	v_fma_f64 v[52:53], v[40:41], v[52:53], s[30:31]
	v_fma_f64 v[38:39], v[36:37], v[38:39], s[58:59]
	v_add_f64 v[46:47], -v[44:45], 1.0
	v_fma_f64 v[52:53], v[40:41], v[52:53], s[36:37]
	v_fma_f64 v[38:39], v[36:37], v[38:39], 1.0
	v_mul_f64 v[48:49], v[40:41], v[40:41]
	v_fma_f64 v[40:41], v[40:41], v[52:53], s[40:41]
	v_add_f64 v[52:53], -v[46:47], 1.0
	v_fma_f64 v[38:39], v[36:37], v[38:39], 1.0
	v_cvt_i32_f64_e32 v56, v[34:35]
	v_add_f64 v[44:45], v[52:53], -v[44:45]
	v_ldexp_f64 v[38:39], v[38:39], v56
	v_cmp_nlt_f64_e32 vcc, s[54:55], v[6:7]
	v_fma_f64 v[30:31], v[30:31], -v[32:33], v[44:45]
	v_and_b32_e32 v57, 1, v82
	v_cndmask_b32_e32 v39, v92, v39, vcc
	s_and_b64 vcc, s[0:1], vcc
	v_fmac_f64_e32 v[30:31], v[48:49], v[40:41]
	v_cndmask_b32_e32 v38, 0, v38, vcc
	v_add_f64 v[30:31], v[46:47], v[30:31]
	v_cmp_eq_u32_e32 vcc, 0, v57
	v_lshlrev_b32_e32 v32, 30, v82
	v_xor_b32_e32 v32, v32, v9
	v_cndmask_b32_e32 v31, v31, v43, vcc
	v_bitop3_b32 v31, v31, v32, s84 bitop3:0x78
	v_fma_f64 v[32:33], s[62:63], v[36:37], v[74:75]
	v_fma_f64 v[32:33], v[36:37], v[32:33], s[64:65]
	;; [unrolled: 1-line block ×8, first 2 shown]
	v_cndmask_b32_e32 v30, v30, v42, vcc
	v_cmp_class_f64_e64 vcc, v[8:9], s33
	v_fma_f64 v[32:33], v[36:37], v[32:33], s[78:79]
	v_cndmask_b32_e64 v39, 0, v39, s[0:1]
	v_cndmask_b32_e32 v8, 0, v30, vcc
	v_cndmask_b32_e32 v9, v76, v31, vcc
	v_ldexp_f64 v[30:31], 1.0, v56
	v_cmp_eq_f64_e64 s[0:1], s[54:55], v[34:35]
	v_fma_f64 v[32:33], v[36:37], v[32:33], 0.5
	v_mul_f64 v[32:33], v[36:37], v[32:33]
	v_cndmask_b32_e64 v31, v31, v77, s[0:1]
	v_cndmask_b32_e64 v30, v30, 0, s[0:1]
	v_fmac_f64_e32 v[36:37], v[36:37], v[32:33]
	v_add_f64 v[32:33], v[30:31], -1.0
	v_fmac_f64_e32 v[32:33], v[30:31], v[36:37]
	v_add_f64 v[30:31], v[32:33], v[32:33]
	v_cndmask_b32_e64 v30, v32, v30, s[0:1]
	v_cndmask_b32_e64 v31, v33, v31, s[0:1]
	v_cmp_nlt_f64_e64 s[0:1], s[80:81], v[6:7]
	v_cmp_ngt_f64_e64 s[4:5], s[82:83], v[6:7]
	v_mul_f64 v[8:9], v[38:39], v[8:9]
	v_cndmask_b32_e64 v31, v92, v31, s[0:1]
	s_and_b64 s[0:1], s[4:5], s[0:1]
	v_cndmask_b32_e64 v7, v91, v31, s[4:5]
	v_cndmask_b32_e64 v6, 0, v30, s[0:1]
	v_mul_f64 v[30:31], v[26:27], v[26:27]
	v_mul_f64 v[32:33], v[30:31], 0.5
	v_fma_f64 v[38:39], s[24:25], v[30:31], v[78:79]
	v_add_f64 v[34:35], -v[32:33], 1.0
	v_fma_f64 v[38:39], v[30:31], v[38:39], s[26:27]
	v_fma_f64 v[38:39], v[30:31], v[38:39], s[30:31]
	v_add_f64 v[40:41], -v[34:35], 1.0
	v_fma_f64 v[38:39], v[30:31], v[38:39], s[36:37]
	v_add_f64 v[32:33], v[40:41], -v[32:33]
	v_mul_f64 v[36:37], v[30:31], v[30:31]
	v_fma_f64 v[38:39], v[30:31], v[38:39], s[40:41]
	v_fma_f64 v[32:33], v[26:27], -v[28:29], v[32:33]
	v_fmac_f64_e32 v[32:33], v[36:37], v[38:39]
	v_fma_f64 v[36:37], s[12:13], v[30:31], v[72:73]
	v_fma_f64 v[36:37], v[30:31], v[36:37], s[14:15]
	;; [unrolled: 1-line block ×3, first 2 shown]
	v_add_f64 v[32:33], v[34:35], v[32:33]
	v_mul_f64 v[34:35], v[26:27], -v[30:31]
	v_fma_f64 v[36:37], v[30:31], v[36:37], s[18:19]
	v_mul_f64 v[38:39], v[28:29], 0.5
	v_fmac_f64_e32 v[38:39], v[34:35], v[36:37]
	v_fma_f64 v[28:29], v[30:31], v[38:39], -v[28:29]
	v_fmac_f64_e32 v[28:29], s[20:21], v[34:35]
	v_and_b32_e32 v42, 1, v19
	v_add_f64 v[26:27], v[26:27], -v[28:29]
	v_xor_b32_e32 v27, 0x80000000, v27
	v_cmp_eq_u32_e64 s[0:1], 0, v42
	v_mul_f64 v[28:29], v[22:23], v[22:23]
	v_mul_f64 v[30:31], v[22:23], -v[28:29]
	v_cndmask_b32_e64 v26, v26, v32, s[0:1]
	v_cndmask_b32_e64 v27, v27, v33, s[0:1]
	v_fma_f64 v[32:33], s[12:13], v[28:29], v[72:73]
	v_fma_f64 v[32:33], v[28:29], v[32:33], s[14:15]
	;; [unrolled: 1-line block ×4, first 2 shown]
	v_mul_f64 v[34:35], v[24:25], 0.5
	v_fmac_f64_e32 v[34:35], v[30:31], v[32:33]
	v_fma_f64 v[32:33], v[28:29], v[34:35], -v[24:25]
	v_fma_f64 v[38:39], s[24:25], v[28:29], v[78:79]
	v_fmac_f64_e32 v[32:33], s[20:21], v[30:31]
	v_fma_f64 v[38:39], v[28:29], v[38:39], s[26:27]
	v_add_f64 v[30:31], v[22:23], -v[32:33]
	v_mul_f64 v[32:33], v[28:29], 0.5
	v_fma_f64 v[38:39], v[28:29], v[38:39], s[30:31]
	v_add_f64 v[34:35], -v[32:33], 1.0
	v_fma_f64 v[38:39], v[28:29], v[38:39], s[36:37]
	v_mul_f64 v[36:37], v[28:29], v[28:29]
	v_fma_f64 v[28:29], v[28:29], v[38:39], s[40:41]
	v_add_f64 v[38:39], -v[34:35], 1.0
	v_lshlrev_b32_e32 v19, 30, v19
	v_add_f64 v[32:33], v[38:39], -v[32:33]
	v_bitop3_b32 v19, v27, v19, s84 bitop3:0x78
	v_fma_f64 v[22:23], v[22:23], -v[24:25], v[32:33]
	v_cndmask_b32_e32 v27, v76, v19, vcc
	v_and_b32_e32 v19, 1, v1
	v_fmac_f64_e32 v[22:23], v[36:37], v[28:29]
	v_cndmask_b32_e32 v26, 0, v26, vcc
	v_add_f64 v[22:23], v[34:35], v[22:23]
	v_cmp_eq_u32_e32 vcc, 0, v19
	v_lshlrev_b32_e32 v1, 30, v1
	v_xor_b32_e32 v1, v1, v21
	v_cndmask_b32_e32 v19, v22, v30, vcc
	v_cndmask_b32_e32 v22, v23, v31, vcc
	v_bitop3_b32 v1, v22, v1, s84 bitop3:0x78
	v_cmp_class_f64_e64 vcc, v[20:21], s33
	v_cmp_ngt_f64_e64 s[0:1], s[60:61], v[2:3]
	s_nop 0
	v_cndmask_b32_e32 v20, 0, v19, vcc
	v_cndmask_b32_e32 v21, v76, v1, vcc
	v_add_f64 v[22:23], v[20:21], v[20:21]
	v_mul_f64 v[20:21], v[22:23], v[20:21]
	v_fma_f64 v[6:7], v[6:7], v[26:27], -v[20:21]
	v_mul_f64 v[20:21], v[2:3], s[22:23]
	v_rndne_f64_e32 v[20:21], v[20:21]
	v_fma_f64 v[22:23], s[28:29], v[20:21], v[2:3]
	v_fmac_f64_e32 v[22:23], s[34:35], v[20:21]
	v_fmac_f64_e32 v[80:81], s[38:39], v[22:23]
	v_fma_f64 v[24:25], v[22:23], v[80:81], s[42:43]
	v_fma_f64 v[24:25], v[22:23], v[24:25], s[44:45]
	;; [unrolled: 1-line block ×8, first 2 shown]
	v_fma_f64 v[24:25], v[22:23], v[24:25], 1.0
	v_fma_f64 v[24:25], v[22:23], v[24:25], 1.0
	v_cvt_i32_f64_e32 v1, v[20:21]
	v_ldexp_f64 v[24:25], v[24:25], v1
	v_cmp_nlt_f64_e32 vcc, s[54:55], v[2:3]
	v_ldexp_f64 v[26:27], 1.0, v1
	v_fmac_f64_e32 v[74:75], s[62:63], v[22:23]
	v_cndmask_b32_e32 v19, v92, v25, vcc
	s_and_b64 vcc, s[0:1], vcc
	v_cndmask_b32_e32 v24, 0, v24, vcc
	v_cmp_eq_f64_e32 vcc, s[54:55], v[20:21]
	v_cndmask_b32_e64 v25, 0, v19, s[0:1]
	v_cmp_ngt_f64_e64 s[0:1], s[82:83], v[2:3]
	v_cndmask_b32_e32 v21, v27, v77, vcc
	v_cndmask_b32_e64 v20, v26, 0, vcc
	v_fma_f64 v[26:27], v[22:23], v[74:75], s[64:65]
	v_fma_f64 v[26:27], v[22:23], v[26:27], s[66:67]
	;; [unrolled: 1-line block ×8, first 2 shown]
	v_fma_f64 v[26:27], v[22:23], v[26:27], 0.5
	v_mul_f64 v[26:27], v[22:23], v[26:27]
	v_fmac_f64_e32 v[22:23], v[22:23], v[26:27]
	v_add_f64 v[26:27], v[20:21], -1.0
	v_fmac_f64_e32 v[26:27], v[20:21], v[22:23]
	v_add_f64 v[20:21], v[26:27], v[26:27]
	v_cndmask_b32_e32 v1, v26, v20, vcc
	v_cndmask_b32_e32 v19, v27, v21, vcc
	v_mul_f64 v[20:21], v[62:63], v[62:63]
	v_mul_f64 v[22:23], v[20:21], 0.5
	v_fma_f64 v[30:31], s[24:25], v[20:21], v[78:79]
	v_add_f64 v[26:27], -v[22:23], 1.0
	v_fma_f64 v[30:31], v[20:21], v[30:31], s[26:27]
	v_fma_f64 v[30:31], v[20:21], v[30:31], s[30:31]
	v_add_f64 v[32:33], -v[26:27], 1.0
	v_fma_f64 v[30:31], v[20:21], v[30:31], s[36:37]
	v_add_f64 v[22:23], v[32:33], -v[22:23]
	v_mul_f64 v[28:29], v[20:21], v[20:21]
	v_fma_f64 v[30:31], v[20:21], v[30:31], s[40:41]
	v_fma_f64 v[22:23], v[62:63], -v[66:67], v[22:23]
	v_fmac_f64_e32 v[22:23], v[28:29], v[30:31]
	v_fma_f64 v[28:29], s[12:13], v[20:21], v[72:73]
	v_fma_f64 v[28:29], v[20:21], v[28:29], s[14:15]
	;; [unrolled: 1-line block ×3, first 2 shown]
	v_add_f64 v[22:23], v[26:27], v[22:23]
	v_mul_f64 v[26:27], v[62:63], -v[20:21]
	v_fma_f64 v[28:29], v[20:21], v[28:29], s[18:19]
	v_mul_f64 v[30:31], v[66:67], 0.5
	v_fmac_f64_e32 v[30:31], v[26:27], v[28:29]
	v_cmp_nlt_f64_e32 vcc, s[80:81], v[2:3]
	v_fma_f64 v[20:21], v[20:21], v[30:31], -v[66:67]
	v_fmac_f64_e32 v[20:21], s[20:21], v[26:27]
	v_cndmask_b32_e32 v19, v92, v19, vcc
	s_and_b64 vcc, s[0:1], vcc
	v_cndmask_b32_e32 v2, 0, v1, vcc
	v_and_b32_e32 v1, 1, v89
	v_add_f64 v[20:21], v[62:63], -v[20:21]
	v_cndmask_b32_e64 v3, v91, v19, s[0:1]
	v_xor_b32_e32 v19, 0x80000000, v21
	v_cmp_eq_u32_e32 vcc, 0, v1
	v_mul_f64 v[30:31], v[58:59], 0.5
	s_nop 0
	v_cndmask_b32_e32 v1, v20, v22, vcc
	v_cndmask_b32_e32 v19, v19, v23, vcc
	v_mul_f64 v[22:23], v[54:55], v[54:55]
	v_fma_f64 v[28:29], s[12:13], v[22:23], v[72:73]
	v_fma_f64 v[28:29], v[22:23], v[28:29], s[14:15]
	;; [unrolled: 1-line block ×3, first 2 shown]
	v_mul_f64 v[26:27], v[54:55], -v[22:23]
	v_fma_f64 v[28:29], v[22:23], v[28:29], s[18:19]
	v_fmac_f64_e32 v[30:31], v[26:27], v[28:29]
	v_fma_f64 v[28:29], v[22:23], v[30:31], -v[58:59]
	v_fma_f64 v[34:35], s[24:25], v[22:23], v[78:79]
	v_fmac_f64_e32 v[28:29], s[20:21], v[26:27]
	v_fma_f64 v[34:35], v[22:23], v[34:35], s[26:27]
	v_add_f64 v[26:27], v[54:55], -v[28:29]
	v_mul_f64 v[28:29], v[22:23], 0.5
	v_fma_f64 v[34:35], v[22:23], v[34:35], s[30:31]
	v_add_f64 v[30:31], -v[28:29], 1.0
	v_fma_f64 v[34:35], v[22:23], v[34:35], s[36:37]
	v_mul_f64 v[32:33], v[22:23], v[22:23]
	v_fma_f64 v[22:23], v[22:23], v[34:35], s[40:41]
	v_add_f64 v[34:35], -v[30:31], 1.0
	v_add_f64 v[28:29], v[34:35], -v[28:29]
	v_lshlrev_b32_e32 v20, 30, v89
	v_cmp_class_f64_e64 vcc, v[4:5], s33
	v_fma_f64 v[28:29], v[54:55], -v[58:59], v[28:29]
	v_bitop3_b32 v19, v19, v20, s84 bitop3:0x78
	v_cndmask_b32_e32 v20, 0, v1, vcc
	v_and_b32_e32 v1, 1, v87
	v_fmac_f64_e32 v[28:29], v[32:33], v[22:23]
	v_cndmask_b32_e32 v21, v76, v19, vcc
	v_add_f64 v[22:23], v[30:31], v[28:29]
	v_cmp_eq_u32_e64 s[0:1], 0, v1
	v_lshlrev_b32_e32 v19, 30, v87
	v_xor_b32_e32 v19, v19, v51
	v_cndmask_b32_e64 v4, v23, v27, s[0:1]
	v_cndmask_b32_e64 v1, v22, v26, s[0:1]
	v_bitop3_b32 v4, v4, v19, s84 bitop3:0x78
	v_cmp_class_f64_e64 s[0:1], v[50:51], s33
	v_lshlrev_b32_e32 v19, 30, v90
	v_xor_b32_e32 v5, v19, v5
	v_cndmask_b32_e64 v22, 0, v1, s[0:1]
	v_cndmask_b32_e64 v23, v76, v4, s[0:1]
	v_add_f64 v[26:27], v[22:23], v[22:23]
	v_mul_f64 v[22:23], v[26:27], v[22:23]
	v_fma_f64 v[2:3], v[2:3], v[20:21], -v[22:23]
	v_mul_f64 v[20:21], v[68:69], v[68:69]
	v_mul_f64 v[22:23], v[20:21], 0.5
	v_fmac_f64_e32 v[78:79], s[24:25], v[20:21]
	v_add_f64 v[26:27], -v[22:23], 1.0
	v_fma_f64 v[30:31], v[20:21], v[78:79], s[26:27]
	v_add_f64 v[28:29], -v[26:27], 1.0
	v_fma_f64 v[30:31], v[20:21], v[30:31], s[30:31]
	v_add_f64 v[22:23], v[28:29], -v[22:23]
	v_fma_f64 v[30:31], v[20:21], v[30:31], s[36:37]
	v_mul_f64 v[28:29], v[20:21], v[20:21]
	v_fma_f64 v[30:31], v[20:21], v[30:31], s[40:41]
	v_fma_f64 v[22:23], v[68:69], -v[70:71], v[22:23]
	v_fmac_f64_e32 v[22:23], v[28:29], v[30:31]
	v_fmac_f64_e32 v[72:73], s[12:13], v[20:21]
	v_add_f64 v[22:23], v[26:27], v[22:23]
	v_fma_f64 v[26:27], v[20:21], v[72:73], s[14:15]
	v_fma_f64 v[26:27], v[20:21], v[26:27], s[16:17]
	;; [unrolled: 1-line block ×3, first 2 shown]
	v_mul_f64 v[28:29], v[68:69], -v[20:21]
	v_mul_f64 v[30:31], v[70:71], 0.5
	v_fmac_f64_e32 v[30:31], v[28:29], v[26:27]
	v_fma_f64 v[20:21], v[20:21], v[30:31], -v[70:71]
	v_fmac_f64_e32 v[20:21], s[20:21], v[28:29]
	v_and_b32_e32 v1, 1, v90
	v_add_f64 v[20:21], v[68:69], -v[20:21]
	v_cmp_eq_u32_e64 s[0:1], 0, v1
	v_mov_b32_e32 v19, 0
	s_nop 0
	v_cndmask_b32_e64 v1, v22, v20, s[0:1]
	v_cndmask_b32_e64 v4, v23, v21, s[0:1]
	s_add_u32 s0, s8, s6
	s_addc_u32 s1, s9, s7
	v_bitop3_b32 v5, v4, v5, s84 bitop3:0x78
	v_lshl_add_u64 v[20:21], s[0:1], 0, v[18:19]
	v_cndmask_b32_e32 v4, 0, v1, vcc
	v_cndmask_b32_e32 v5, v76, v5, vcc
	global_store_dwordx4 v18, v[6:9], s[0:1]
	global_store_dwordx4 v18, v[10:13], s[0:1] offset:16
	v_mul_f64 v[4:5], v[24:25], v[4:5]
	v_add_co_u32_e32 v6, vcc, 0x2000, v20
	s_nop 1
	v_addc_co_u32_e32 v7, vcc, 0, v21, vcc
	global_store_dwordx4 v[6:7], v[14:17], off
	global_store_dwordx4 v[6:7], v[2:5], off offset:16
.LBB127_52:
	s_endpgm
	.section	.rodata,"a",@progbits
	.p2align	6, 0x0
	.amdhsa_kernel _ZN2at6native29vectorized_elementwise_kernelILi2EZZZNS0_17expm1_kernel_cudaERNS_18TensorIteratorBaseEENKUlvE_clEvENKUlvE1_clEvEUlN3c107complexIdEEE_St5arrayIPcLm2EEEEviT0_T1_
		.amdhsa_group_segment_fixed_size 0
		.amdhsa_private_segment_fixed_size 0
		.amdhsa_kernarg_size 24
		.amdhsa_user_sgpr_count 2
		.amdhsa_user_sgpr_dispatch_ptr 0
		.amdhsa_user_sgpr_queue_ptr 0
		.amdhsa_user_sgpr_kernarg_segment_ptr 1
		.amdhsa_user_sgpr_dispatch_id 0
		.amdhsa_user_sgpr_kernarg_preload_length 0
		.amdhsa_user_sgpr_kernarg_preload_offset 0
		.amdhsa_user_sgpr_private_segment_size 0
		.amdhsa_uses_dynamic_stack 0
		.amdhsa_enable_private_segment 0
		.amdhsa_system_sgpr_workgroup_id_x 1
		.amdhsa_system_sgpr_workgroup_id_y 0
		.amdhsa_system_sgpr_workgroup_id_z 0
		.amdhsa_system_sgpr_workgroup_info 0
		.amdhsa_system_vgpr_workitem_id 0
		.amdhsa_next_free_vgpr 113
		.amdhsa_next_free_sgpr 85
		.amdhsa_accum_offset 116
		.amdhsa_reserve_vcc 1
		.amdhsa_float_round_mode_32 0
		.amdhsa_float_round_mode_16_64 0
		.amdhsa_float_denorm_mode_32 3
		.amdhsa_float_denorm_mode_16_64 3
		.amdhsa_dx10_clamp 1
		.amdhsa_ieee_mode 1
		.amdhsa_fp16_overflow 0
		.amdhsa_tg_split 0
		.amdhsa_exception_fp_ieee_invalid_op 0
		.amdhsa_exception_fp_denorm_src 0
		.amdhsa_exception_fp_ieee_div_zero 0
		.amdhsa_exception_fp_ieee_overflow 0
		.amdhsa_exception_fp_ieee_underflow 0
		.amdhsa_exception_fp_ieee_inexact 0
		.amdhsa_exception_int_div_zero 0
	.end_amdhsa_kernel
	.section	.text._ZN2at6native29vectorized_elementwise_kernelILi2EZZZNS0_17expm1_kernel_cudaERNS_18TensorIteratorBaseEENKUlvE_clEvENKUlvE1_clEvEUlN3c107complexIdEEE_St5arrayIPcLm2EEEEviT0_T1_,"axG",@progbits,_ZN2at6native29vectorized_elementwise_kernelILi2EZZZNS0_17expm1_kernel_cudaERNS_18TensorIteratorBaseEENKUlvE_clEvENKUlvE1_clEvEUlN3c107complexIdEEE_St5arrayIPcLm2EEEEviT0_T1_,comdat
.Lfunc_end127:
	.size	_ZN2at6native29vectorized_elementwise_kernelILi2EZZZNS0_17expm1_kernel_cudaERNS_18TensorIteratorBaseEENKUlvE_clEvENKUlvE1_clEvEUlN3c107complexIdEEE_St5arrayIPcLm2EEEEviT0_T1_, .Lfunc_end127-_ZN2at6native29vectorized_elementwise_kernelILi2EZZZNS0_17expm1_kernel_cudaERNS_18TensorIteratorBaseEENKUlvE_clEvENKUlvE1_clEvEUlN3c107complexIdEEE_St5arrayIPcLm2EEEEviT0_T1_
                                        ; -- End function
	.set _ZN2at6native29vectorized_elementwise_kernelILi2EZZZNS0_17expm1_kernel_cudaERNS_18TensorIteratorBaseEENKUlvE_clEvENKUlvE1_clEvEUlN3c107complexIdEEE_St5arrayIPcLm2EEEEviT0_T1_.num_vgpr, max(113, .L_ZN2at6native25elementwise_kernel_helperILb0EZZZNS0_17expm1_kernel_cudaERNS_18TensorIteratorBaseEENKUlvE_clEvENKUlvE1_clEvEUlN3c107complexIdEEE_NS0_6memory8policies11unroll_baseILi256ESt5arrayIPcLm2EE23TrivialOffsetCalculatorILi1EjESH_NSA_15LoadWithoutCastENSA_16StoreWithoutCastELi4ELi1EEEEEvT0_T1_.num_vgpr)
	.set _ZN2at6native29vectorized_elementwise_kernelILi2EZZZNS0_17expm1_kernel_cudaERNS_18TensorIteratorBaseEENKUlvE_clEvENKUlvE1_clEvEUlN3c107complexIdEEE_St5arrayIPcLm2EEEEviT0_T1_.num_agpr, max(0, .L_ZN2at6native25elementwise_kernel_helperILb0EZZZNS0_17expm1_kernel_cudaERNS_18TensorIteratorBaseEENKUlvE_clEvENKUlvE1_clEvEUlN3c107complexIdEEE_NS0_6memory8policies11unroll_baseILi256ESt5arrayIPcLm2EE23TrivialOffsetCalculatorILi1EjESH_NSA_15LoadWithoutCastENSA_16StoreWithoutCastELi4ELi1EEEEEvT0_T1_.num_agpr)
	.set _ZN2at6native29vectorized_elementwise_kernelILi2EZZZNS0_17expm1_kernel_cudaERNS_18TensorIteratorBaseEENKUlvE_clEvENKUlvE1_clEvEUlN3c107complexIdEEE_St5arrayIPcLm2EEEEviT0_T1_.numbered_sgpr, max(85, .L_ZN2at6native25elementwise_kernel_helperILb0EZZZNS0_17expm1_kernel_cudaERNS_18TensorIteratorBaseEENKUlvE_clEvENKUlvE1_clEvEUlN3c107complexIdEEE_NS0_6memory8policies11unroll_baseILi256ESt5arrayIPcLm2EE23TrivialOffsetCalculatorILi1EjESH_NSA_15LoadWithoutCastENSA_16StoreWithoutCastELi4ELi1EEEEEvT0_T1_.numbered_sgpr)
	.set _ZN2at6native29vectorized_elementwise_kernelILi2EZZZNS0_17expm1_kernel_cudaERNS_18TensorIteratorBaseEENKUlvE_clEvENKUlvE1_clEvEUlN3c107complexIdEEE_St5arrayIPcLm2EEEEviT0_T1_.num_named_barrier, max(0, .L_ZN2at6native25elementwise_kernel_helperILb0EZZZNS0_17expm1_kernel_cudaERNS_18TensorIteratorBaseEENKUlvE_clEvENKUlvE1_clEvEUlN3c107complexIdEEE_NS0_6memory8policies11unroll_baseILi256ESt5arrayIPcLm2EE23TrivialOffsetCalculatorILi1EjESH_NSA_15LoadWithoutCastENSA_16StoreWithoutCastELi4ELi1EEEEEvT0_T1_.num_named_barrier)
	.set _ZN2at6native29vectorized_elementwise_kernelILi2EZZZNS0_17expm1_kernel_cudaERNS_18TensorIteratorBaseEENKUlvE_clEvENKUlvE1_clEvEUlN3c107complexIdEEE_St5arrayIPcLm2EEEEviT0_T1_.private_seg_size, 0+max(.L_ZN2at6native25elementwise_kernel_helperILb0EZZZNS0_17expm1_kernel_cudaERNS_18TensorIteratorBaseEENKUlvE_clEvENKUlvE1_clEvEUlN3c107complexIdEEE_NS0_6memory8policies11unroll_baseILi256ESt5arrayIPcLm2EE23TrivialOffsetCalculatorILi1EjESH_NSA_15LoadWithoutCastENSA_16StoreWithoutCastELi4ELi1EEEEEvT0_T1_.private_seg_size)
	.set _ZN2at6native29vectorized_elementwise_kernelILi2EZZZNS0_17expm1_kernel_cudaERNS_18TensorIteratorBaseEENKUlvE_clEvENKUlvE1_clEvEUlN3c107complexIdEEE_St5arrayIPcLm2EEEEviT0_T1_.uses_vcc, or(1, .L_ZN2at6native25elementwise_kernel_helperILb0EZZZNS0_17expm1_kernel_cudaERNS_18TensorIteratorBaseEENKUlvE_clEvENKUlvE1_clEvEUlN3c107complexIdEEE_NS0_6memory8policies11unroll_baseILi256ESt5arrayIPcLm2EE23TrivialOffsetCalculatorILi1EjESH_NSA_15LoadWithoutCastENSA_16StoreWithoutCastELi4ELi1EEEEEvT0_T1_.uses_vcc)
	.set _ZN2at6native29vectorized_elementwise_kernelILi2EZZZNS0_17expm1_kernel_cudaERNS_18TensorIteratorBaseEENKUlvE_clEvENKUlvE1_clEvEUlN3c107complexIdEEE_St5arrayIPcLm2EEEEviT0_T1_.uses_flat_scratch, or(0, .L_ZN2at6native25elementwise_kernel_helperILb0EZZZNS0_17expm1_kernel_cudaERNS_18TensorIteratorBaseEENKUlvE_clEvENKUlvE1_clEvEUlN3c107complexIdEEE_NS0_6memory8policies11unroll_baseILi256ESt5arrayIPcLm2EE23TrivialOffsetCalculatorILi1EjESH_NSA_15LoadWithoutCastENSA_16StoreWithoutCastELi4ELi1EEEEEvT0_T1_.uses_flat_scratch)
	.set _ZN2at6native29vectorized_elementwise_kernelILi2EZZZNS0_17expm1_kernel_cudaERNS_18TensorIteratorBaseEENKUlvE_clEvENKUlvE1_clEvEUlN3c107complexIdEEE_St5arrayIPcLm2EEEEviT0_T1_.has_dyn_sized_stack, or(0, .L_ZN2at6native25elementwise_kernel_helperILb0EZZZNS0_17expm1_kernel_cudaERNS_18TensorIteratorBaseEENKUlvE_clEvENKUlvE1_clEvEUlN3c107complexIdEEE_NS0_6memory8policies11unroll_baseILi256ESt5arrayIPcLm2EE23TrivialOffsetCalculatorILi1EjESH_NSA_15LoadWithoutCastENSA_16StoreWithoutCastELi4ELi1EEEEEvT0_T1_.has_dyn_sized_stack)
	.set _ZN2at6native29vectorized_elementwise_kernelILi2EZZZNS0_17expm1_kernel_cudaERNS_18TensorIteratorBaseEENKUlvE_clEvENKUlvE1_clEvEUlN3c107complexIdEEE_St5arrayIPcLm2EEEEviT0_T1_.has_recursion, or(0, .L_ZN2at6native25elementwise_kernel_helperILb0EZZZNS0_17expm1_kernel_cudaERNS_18TensorIteratorBaseEENKUlvE_clEvENKUlvE1_clEvEUlN3c107complexIdEEE_NS0_6memory8policies11unroll_baseILi256ESt5arrayIPcLm2EE23TrivialOffsetCalculatorILi1EjESH_NSA_15LoadWithoutCastENSA_16StoreWithoutCastELi4ELi1EEEEEvT0_T1_.has_recursion)
	.set _ZN2at6native29vectorized_elementwise_kernelILi2EZZZNS0_17expm1_kernel_cudaERNS_18TensorIteratorBaseEENKUlvE_clEvENKUlvE1_clEvEUlN3c107complexIdEEE_St5arrayIPcLm2EEEEviT0_T1_.has_indirect_call, or(0, .L_ZN2at6native25elementwise_kernel_helperILb0EZZZNS0_17expm1_kernel_cudaERNS_18TensorIteratorBaseEENKUlvE_clEvENKUlvE1_clEvEUlN3c107complexIdEEE_NS0_6memory8policies11unroll_baseILi256ESt5arrayIPcLm2EE23TrivialOffsetCalculatorILi1EjESH_NSA_15LoadWithoutCastENSA_16StoreWithoutCastELi4ELi1EEEEEvT0_T1_.has_indirect_call)
	.section	.AMDGPU.csdata,"",@progbits
; Kernel info:
; codeLenInByte = 15416
; TotalNumSgprs: 91
; NumVgprs: 113
; NumAgprs: 0
; TotalNumVgprs: 113
; ScratchSize: 0
; MemoryBound: 0
; FloatMode: 240
; IeeeMode: 1
; LDSByteSize: 0 bytes/workgroup (compile time only)
; SGPRBlocks: 11
; VGPRBlocks: 14
; NumSGPRsForWavesPerEU: 91
; NumVGPRsForWavesPerEU: 113
; AccumOffset: 116
; Occupancy: 4
; WaveLimiterHint : 1
; COMPUTE_PGM_RSRC2:SCRATCH_EN: 0
; COMPUTE_PGM_RSRC2:USER_SGPR: 2
; COMPUTE_PGM_RSRC2:TRAP_HANDLER: 0
; COMPUTE_PGM_RSRC2:TGID_X_EN: 1
; COMPUTE_PGM_RSRC2:TGID_Y_EN: 0
; COMPUTE_PGM_RSRC2:TGID_Z_EN: 0
; COMPUTE_PGM_RSRC2:TIDIG_COMP_CNT: 0
; COMPUTE_PGM_RSRC3_GFX90A:ACCUM_OFFSET: 28
; COMPUTE_PGM_RSRC3_GFX90A:TG_SPLIT: 0
	.section	.text._ZN2at6native27unrolled_elementwise_kernelIZZZNS0_17expm1_kernel_cudaERNS_18TensorIteratorBaseEENKUlvE_clEvENKUlvE1_clEvEUlN3c107complexIdEEE_St5arrayIPcLm2EELi4E23TrivialOffsetCalculatorILi1EjESE_NS0_6memory15LoadWithoutCastENSF_16StoreWithoutCastEEEviT_T0_T2_T3_T4_T5_,"axG",@progbits,_ZN2at6native27unrolled_elementwise_kernelIZZZNS0_17expm1_kernel_cudaERNS_18TensorIteratorBaseEENKUlvE_clEvENKUlvE1_clEvEUlN3c107complexIdEEE_St5arrayIPcLm2EELi4E23TrivialOffsetCalculatorILi1EjESE_NS0_6memory15LoadWithoutCastENSF_16StoreWithoutCastEEEviT_T0_T2_T3_T4_T5_,comdat
	.globl	_ZN2at6native27unrolled_elementwise_kernelIZZZNS0_17expm1_kernel_cudaERNS_18TensorIteratorBaseEENKUlvE_clEvENKUlvE1_clEvEUlN3c107complexIdEEE_St5arrayIPcLm2EELi4E23TrivialOffsetCalculatorILi1EjESE_NS0_6memory15LoadWithoutCastENSF_16StoreWithoutCastEEEviT_T0_T2_T3_T4_T5_ ; -- Begin function _ZN2at6native27unrolled_elementwise_kernelIZZZNS0_17expm1_kernel_cudaERNS_18TensorIteratorBaseEENKUlvE_clEvENKUlvE1_clEvEUlN3c107complexIdEEE_St5arrayIPcLm2EELi4E23TrivialOffsetCalculatorILi1EjESE_NS0_6memory15LoadWithoutCastENSF_16StoreWithoutCastEEEviT_T0_T2_T3_T4_T5_
	.p2align	8
	.type	_ZN2at6native27unrolled_elementwise_kernelIZZZNS0_17expm1_kernel_cudaERNS_18TensorIteratorBaseEENKUlvE_clEvENKUlvE1_clEvEUlN3c107complexIdEEE_St5arrayIPcLm2EELi4E23TrivialOffsetCalculatorILi1EjESE_NS0_6memory15LoadWithoutCastENSF_16StoreWithoutCastEEEviT_T0_T2_T3_T4_T5_,@function
_ZN2at6native27unrolled_elementwise_kernelIZZZNS0_17expm1_kernel_cudaERNS_18TensorIteratorBaseEENKUlvE_clEvENKUlvE1_clEvEUlN3c107complexIdEEE_St5arrayIPcLm2EELi4E23TrivialOffsetCalculatorILi1EjESE_NS0_6memory15LoadWithoutCastENSF_16StoreWithoutCastEEEviT_T0_T2_T3_T4_T5_: ; @_ZN2at6native27unrolled_elementwise_kernelIZZZNS0_17expm1_kernel_cudaERNS_18TensorIteratorBaseEENKUlvE_clEvENKUlvE1_clEvEUlN3c107complexIdEEE_St5arrayIPcLm2EELi4E23TrivialOffsetCalculatorILi1EjESE_NS0_6memory15LoadWithoutCastENSF_16StoreWithoutCastEEEviT_T0_T2_T3_T4_T5_
; %bb.0:
	s_load_dword s3, s[0:1], 0x0
	s_load_dwordx4 s[4:7], s[0:1], 0x8
	s_lshl_b32 s0, s2, 10
	s_mov_b32 s12, s2
	v_mov_b32_e32 v31, v0
	s_waitcnt lgkmcnt(0)
	s_sub_i32 s3, s3, s0
	s_getpc_b64 s[0:1]
	s_add_u32 s0, s0, _ZN2at6native25elementwise_kernel_helperILb0EZZZNS0_17expm1_kernel_cudaERNS_18TensorIteratorBaseEENKUlvE_clEvENKUlvE1_clEvEUlN3c107complexIdEEE_NS0_6memory8policies11unroll_baseILi256ESt5arrayIPcLm2EE23TrivialOffsetCalculatorILi1EjESH_NSA_15LoadWithoutCastENSA_16StoreWithoutCastELi4ELi1EEEEEvT0_T1_@rel32@lo+4
	s_addc_u32 s1, s1, _ZN2at6native25elementwise_kernel_helperILb0EZZZNS0_17expm1_kernel_cudaERNS_18TensorIteratorBaseEENKUlvE_clEvENKUlvE1_clEvEUlN3c107complexIdEEE_NS0_6memory8policies11unroll_baseILi256ESt5arrayIPcLm2EE23TrivialOffsetCalculatorILi1EjESH_NSA_15LoadWithoutCastENSA_16StoreWithoutCastELi4ELi1EEEEEvT0_T1_@rel32@hi+12
	v_mov_b32_e32 v0, s4
	v_mov_b32_e32 v1, s5
	;; [unrolled: 1-line block ×5, first 2 shown]
	s_mov_b32 s32, 0
	s_swappc_b64 s[30:31], s[0:1]
	s_endpgm
	.section	.rodata,"a",@progbits
	.p2align	6, 0x0
	.amdhsa_kernel _ZN2at6native27unrolled_elementwise_kernelIZZZNS0_17expm1_kernel_cudaERNS_18TensorIteratorBaseEENKUlvE_clEvENKUlvE1_clEvEUlN3c107complexIdEEE_St5arrayIPcLm2EELi4E23TrivialOffsetCalculatorILi1EjESE_NS0_6memory15LoadWithoutCastENSF_16StoreWithoutCastEEEviT_T0_T2_T3_T4_T5_
		.amdhsa_group_segment_fixed_size 0
		.amdhsa_private_segment_fixed_size 0
		.amdhsa_kernarg_size 28
		.amdhsa_user_sgpr_count 2
		.amdhsa_user_sgpr_dispatch_ptr 0
		.amdhsa_user_sgpr_queue_ptr 0
		.amdhsa_user_sgpr_kernarg_segment_ptr 1
		.amdhsa_user_sgpr_dispatch_id 0
		.amdhsa_user_sgpr_kernarg_preload_length 0
		.amdhsa_user_sgpr_kernarg_preload_offset 0
		.amdhsa_user_sgpr_private_segment_size 0
		.amdhsa_uses_dynamic_stack 0
		.amdhsa_enable_private_segment 0
		.amdhsa_system_sgpr_workgroup_id_x 1
		.amdhsa_system_sgpr_workgroup_id_y 0
		.amdhsa_system_sgpr_workgroup_id_z 0
		.amdhsa_system_sgpr_workgroup_info 0
		.amdhsa_system_vgpr_workitem_id 0
		.amdhsa_next_free_vgpr 85
		.amdhsa_next_free_sgpr 33
		.amdhsa_accum_offset 88
		.amdhsa_reserve_vcc 1
		.amdhsa_float_round_mode_32 0
		.amdhsa_float_round_mode_16_64 0
		.amdhsa_float_denorm_mode_32 3
		.amdhsa_float_denorm_mode_16_64 3
		.amdhsa_dx10_clamp 1
		.amdhsa_ieee_mode 1
		.amdhsa_fp16_overflow 0
		.amdhsa_tg_split 0
		.amdhsa_exception_fp_ieee_invalid_op 0
		.amdhsa_exception_fp_denorm_src 0
		.amdhsa_exception_fp_ieee_div_zero 0
		.amdhsa_exception_fp_ieee_overflow 0
		.amdhsa_exception_fp_ieee_underflow 0
		.amdhsa_exception_fp_ieee_inexact 0
		.amdhsa_exception_int_div_zero 0
	.end_amdhsa_kernel
	.section	.text._ZN2at6native27unrolled_elementwise_kernelIZZZNS0_17expm1_kernel_cudaERNS_18TensorIteratorBaseEENKUlvE_clEvENKUlvE1_clEvEUlN3c107complexIdEEE_St5arrayIPcLm2EELi4E23TrivialOffsetCalculatorILi1EjESE_NS0_6memory15LoadWithoutCastENSF_16StoreWithoutCastEEEviT_T0_T2_T3_T4_T5_,"axG",@progbits,_ZN2at6native27unrolled_elementwise_kernelIZZZNS0_17expm1_kernel_cudaERNS_18TensorIteratorBaseEENKUlvE_clEvENKUlvE1_clEvEUlN3c107complexIdEEE_St5arrayIPcLm2EELi4E23TrivialOffsetCalculatorILi1EjESE_NS0_6memory15LoadWithoutCastENSF_16StoreWithoutCastEEEviT_T0_T2_T3_T4_T5_,comdat
.Lfunc_end128:
	.size	_ZN2at6native27unrolled_elementwise_kernelIZZZNS0_17expm1_kernel_cudaERNS_18TensorIteratorBaseEENKUlvE_clEvENKUlvE1_clEvEUlN3c107complexIdEEE_St5arrayIPcLm2EELi4E23TrivialOffsetCalculatorILi1EjESE_NS0_6memory15LoadWithoutCastENSF_16StoreWithoutCastEEEviT_T0_T2_T3_T4_T5_, .Lfunc_end128-_ZN2at6native27unrolled_elementwise_kernelIZZZNS0_17expm1_kernel_cudaERNS_18TensorIteratorBaseEENKUlvE_clEvENKUlvE1_clEvEUlN3c107complexIdEEE_St5arrayIPcLm2EELi4E23TrivialOffsetCalculatorILi1EjESE_NS0_6memory15LoadWithoutCastENSF_16StoreWithoutCastEEEviT_T0_T2_T3_T4_T5_
                                        ; -- End function
	.set _ZN2at6native27unrolled_elementwise_kernelIZZZNS0_17expm1_kernel_cudaERNS_18TensorIteratorBaseEENKUlvE_clEvENKUlvE1_clEvEUlN3c107complexIdEEE_St5arrayIPcLm2EELi4E23TrivialOffsetCalculatorILi1EjESE_NS0_6memory15LoadWithoutCastENSF_16StoreWithoutCastEEEviT_T0_T2_T3_T4_T5_.num_vgpr, max(32, .L_ZN2at6native25elementwise_kernel_helperILb0EZZZNS0_17expm1_kernel_cudaERNS_18TensorIteratorBaseEENKUlvE_clEvENKUlvE1_clEvEUlN3c107complexIdEEE_NS0_6memory8policies11unroll_baseILi256ESt5arrayIPcLm2EE23TrivialOffsetCalculatorILi1EjESH_NSA_15LoadWithoutCastENSA_16StoreWithoutCastELi4ELi1EEEEEvT0_T1_.num_vgpr)
	.set _ZN2at6native27unrolled_elementwise_kernelIZZZNS0_17expm1_kernel_cudaERNS_18TensorIteratorBaseEENKUlvE_clEvENKUlvE1_clEvEUlN3c107complexIdEEE_St5arrayIPcLm2EELi4E23TrivialOffsetCalculatorILi1EjESE_NS0_6memory15LoadWithoutCastENSF_16StoreWithoutCastEEEviT_T0_T2_T3_T4_T5_.num_agpr, max(0, .L_ZN2at6native25elementwise_kernel_helperILb0EZZZNS0_17expm1_kernel_cudaERNS_18TensorIteratorBaseEENKUlvE_clEvENKUlvE1_clEvEUlN3c107complexIdEEE_NS0_6memory8policies11unroll_baseILi256ESt5arrayIPcLm2EE23TrivialOffsetCalculatorILi1EjESH_NSA_15LoadWithoutCastENSA_16StoreWithoutCastELi4ELi1EEEEEvT0_T1_.num_agpr)
	.set _ZN2at6native27unrolled_elementwise_kernelIZZZNS0_17expm1_kernel_cudaERNS_18TensorIteratorBaseEENKUlvE_clEvENKUlvE1_clEvEUlN3c107complexIdEEE_St5arrayIPcLm2EELi4E23TrivialOffsetCalculatorILi1EjESE_NS0_6memory15LoadWithoutCastENSF_16StoreWithoutCastEEEviT_T0_T2_T3_T4_T5_.numbered_sgpr, max(33, .L_ZN2at6native25elementwise_kernel_helperILb0EZZZNS0_17expm1_kernel_cudaERNS_18TensorIteratorBaseEENKUlvE_clEvENKUlvE1_clEvEUlN3c107complexIdEEE_NS0_6memory8policies11unroll_baseILi256ESt5arrayIPcLm2EE23TrivialOffsetCalculatorILi1EjESH_NSA_15LoadWithoutCastENSA_16StoreWithoutCastELi4ELi1EEEEEvT0_T1_.numbered_sgpr)
	.set _ZN2at6native27unrolled_elementwise_kernelIZZZNS0_17expm1_kernel_cudaERNS_18TensorIteratorBaseEENKUlvE_clEvENKUlvE1_clEvEUlN3c107complexIdEEE_St5arrayIPcLm2EELi4E23TrivialOffsetCalculatorILi1EjESE_NS0_6memory15LoadWithoutCastENSF_16StoreWithoutCastEEEviT_T0_T2_T3_T4_T5_.num_named_barrier, max(0, .L_ZN2at6native25elementwise_kernel_helperILb0EZZZNS0_17expm1_kernel_cudaERNS_18TensorIteratorBaseEENKUlvE_clEvENKUlvE1_clEvEUlN3c107complexIdEEE_NS0_6memory8policies11unroll_baseILi256ESt5arrayIPcLm2EE23TrivialOffsetCalculatorILi1EjESH_NSA_15LoadWithoutCastENSA_16StoreWithoutCastELi4ELi1EEEEEvT0_T1_.num_named_barrier)
	.set _ZN2at6native27unrolled_elementwise_kernelIZZZNS0_17expm1_kernel_cudaERNS_18TensorIteratorBaseEENKUlvE_clEvENKUlvE1_clEvEUlN3c107complexIdEEE_St5arrayIPcLm2EELi4E23TrivialOffsetCalculatorILi1EjESE_NS0_6memory15LoadWithoutCastENSF_16StoreWithoutCastEEEviT_T0_T2_T3_T4_T5_.private_seg_size, 0+max(.L_ZN2at6native25elementwise_kernel_helperILb0EZZZNS0_17expm1_kernel_cudaERNS_18TensorIteratorBaseEENKUlvE_clEvENKUlvE1_clEvEUlN3c107complexIdEEE_NS0_6memory8policies11unroll_baseILi256ESt5arrayIPcLm2EE23TrivialOffsetCalculatorILi1EjESH_NSA_15LoadWithoutCastENSA_16StoreWithoutCastELi4ELi1EEEEEvT0_T1_.private_seg_size)
	.set _ZN2at6native27unrolled_elementwise_kernelIZZZNS0_17expm1_kernel_cudaERNS_18TensorIteratorBaseEENKUlvE_clEvENKUlvE1_clEvEUlN3c107complexIdEEE_St5arrayIPcLm2EELi4E23TrivialOffsetCalculatorILi1EjESE_NS0_6memory15LoadWithoutCastENSF_16StoreWithoutCastEEEviT_T0_T2_T3_T4_T5_.uses_vcc, or(1, .L_ZN2at6native25elementwise_kernel_helperILb0EZZZNS0_17expm1_kernel_cudaERNS_18TensorIteratorBaseEENKUlvE_clEvENKUlvE1_clEvEUlN3c107complexIdEEE_NS0_6memory8policies11unroll_baseILi256ESt5arrayIPcLm2EE23TrivialOffsetCalculatorILi1EjESH_NSA_15LoadWithoutCastENSA_16StoreWithoutCastELi4ELi1EEEEEvT0_T1_.uses_vcc)
	.set _ZN2at6native27unrolled_elementwise_kernelIZZZNS0_17expm1_kernel_cudaERNS_18TensorIteratorBaseEENKUlvE_clEvENKUlvE1_clEvEUlN3c107complexIdEEE_St5arrayIPcLm2EELi4E23TrivialOffsetCalculatorILi1EjESE_NS0_6memory15LoadWithoutCastENSF_16StoreWithoutCastEEEviT_T0_T2_T3_T4_T5_.uses_flat_scratch, or(0, .L_ZN2at6native25elementwise_kernel_helperILb0EZZZNS0_17expm1_kernel_cudaERNS_18TensorIteratorBaseEENKUlvE_clEvENKUlvE1_clEvEUlN3c107complexIdEEE_NS0_6memory8policies11unroll_baseILi256ESt5arrayIPcLm2EE23TrivialOffsetCalculatorILi1EjESH_NSA_15LoadWithoutCastENSA_16StoreWithoutCastELi4ELi1EEEEEvT0_T1_.uses_flat_scratch)
	.set _ZN2at6native27unrolled_elementwise_kernelIZZZNS0_17expm1_kernel_cudaERNS_18TensorIteratorBaseEENKUlvE_clEvENKUlvE1_clEvEUlN3c107complexIdEEE_St5arrayIPcLm2EELi4E23TrivialOffsetCalculatorILi1EjESE_NS0_6memory15LoadWithoutCastENSF_16StoreWithoutCastEEEviT_T0_T2_T3_T4_T5_.has_dyn_sized_stack, or(0, .L_ZN2at6native25elementwise_kernel_helperILb0EZZZNS0_17expm1_kernel_cudaERNS_18TensorIteratorBaseEENKUlvE_clEvENKUlvE1_clEvEUlN3c107complexIdEEE_NS0_6memory8policies11unroll_baseILi256ESt5arrayIPcLm2EE23TrivialOffsetCalculatorILi1EjESH_NSA_15LoadWithoutCastENSA_16StoreWithoutCastELi4ELi1EEEEEvT0_T1_.has_dyn_sized_stack)
	.set _ZN2at6native27unrolled_elementwise_kernelIZZZNS0_17expm1_kernel_cudaERNS_18TensorIteratorBaseEENKUlvE_clEvENKUlvE1_clEvEUlN3c107complexIdEEE_St5arrayIPcLm2EELi4E23TrivialOffsetCalculatorILi1EjESE_NS0_6memory15LoadWithoutCastENSF_16StoreWithoutCastEEEviT_T0_T2_T3_T4_T5_.has_recursion, or(0, .L_ZN2at6native25elementwise_kernel_helperILb0EZZZNS0_17expm1_kernel_cudaERNS_18TensorIteratorBaseEENKUlvE_clEvENKUlvE1_clEvEUlN3c107complexIdEEE_NS0_6memory8policies11unroll_baseILi256ESt5arrayIPcLm2EE23TrivialOffsetCalculatorILi1EjESH_NSA_15LoadWithoutCastENSA_16StoreWithoutCastELi4ELi1EEEEEvT0_T1_.has_recursion)
	.set _ZN2at6native27unrolled_elementwise_kernelIZZZNS0_17expm1_kernel_cudaERNS_18TensorIteratorBaseEENKUlvE_clEvENKUlvE1_clEvEUlN3c107complexIdEEE_St5arrayIPcLm2EELi4E23TrivialOffsetCalculatorILi1EjESE_NS0_6memory15LoadWithoutCastENSF_16StoreWithoutCastEEEviT_T0_T2_T3_T4_T5_.has_indirect_call, or(0, .L_ZN2at6native25elementwise_kernel_helperILb0EZZZNS0_17expm1_kernel_cudaERNS_18TensorIteratorBaseEENKUlvE_clEvENKUlvE1_clEvEUlN3c107complexIdEEE_NS0_6memory8policies11unroll_baseILi256ESt5arrayIPcLm2EE23TrivialOffsetCalculatorILi1EjESH_NSA_15LoadWithoutCastENSA_16StoreWithoutCastELi4ELi1EEEEEvT0_T1_.has_indirect_call)
	.section	.AMDGPU.csdata,"",@progbits
; Kernel info:
; codeLenInByte = 88
; TotalNumSgprs: 39
; NumVgprs: 85
; NumAgprs: 0
; TotalNumVgprs: 85
; ScratchSize: 0
; MemoryBound: 0
; FloatMode: 240
; IeeeMode: 1
; LDSByteSize: 0 bytes/workgroup (compile time only)
; SGPRBlocks: 4
; VGPRBlocks: 10
; NumSGPRsForWavesPerEU: 39
; NumVGPRsForWavesPerEU: 85
; AccumOffset: 88
; Occupancy: 5
; WaveLimiterHint : 0
; COMPUTE_PGM_RSRC2:SCRATCH_EN: 0
; COMPUTE_PGM_RSRC2:USER_SGPR: 2
; COMPUTE_PGM_RSRC2:TRAP_HANDLER: 0
; COMPUTE_PGM_RSRC2:TGID_X_EN: 1
; COMPUTE_PGM_RSRC2:TGID_Y_EN: 0
; COMPUTE_PGM_RSRC2:TGID_Z_EN: 0
; COMPUTE_PGM_RSRC2:TIDIG_COMP_CNT: 0
; COMPUTE_PGM_RSRC3_GFX90A:ACCUM_OFFSET: 21
; COMPUTE_PGM_RSRC3_GFX90A:TG_SPLIT: 0
	.section	.text._ZN2at6native32elementwise_kernel_manual_unrollILi128ELi4EZNS0_22gpu_kernel_impl_nocastIZZZNS0_17expm1_kernel_cudaERNS_18TensorIteratorBaseEENKUlvE_clEvENKUlvE1_clEvEUlN3c107complexIdEEE_EEvS4_RKT_EUlibE_EEviT1_,"axG",@progbits,_ZN2at6native32elementwise_kernel_manual_unrollILi128ELi4EZNS0_22gpu_kernel_impl_nocastIZZZNS0_17expm1_kernel_cudaERNS_18TensorIteratorBaseEENKUlvE_clEvENKUlvE1_clEvEUlN3c107complexIdEEE_EEvS4_RKT_EUlibE_EEviT1_,comdat
	.globl	_ZN2at6native32elementwise_kernel_manual_unrollILi128ELi4EZNS0_22gpu_kernel_impl_nocastIZZZNS0_17expm1_kernel_cudaERNS_18TensorIteratorBaseEENKUlvE_clEvENKUlvE1_clEvEUlN3c107complexIdEEE_EEvS4_RKT_EUlibE_EEviT1_ ; -- Begin function _ZN2at6native32elementwise_kernel_manual_unrollILi128ELi4EZNS0_22gpu_kernel_impl_nocastIZZZNS0_17expm1_kernel_cudaERNS_18TensorIteratorBaseEENKUlvE_clEvENKUlvE1_clEvEUlN3c107complexIdEEE_EEvS4_RKT_EUlibE_EEviT1_
	.p2align	8
	.type	_ZN2at6native32elementwise_kernel_manual_unrollILi128ELi4EZNS0_22gpu_kernel_impl_nocastIZZZNS0_17expm1_kernel_cudaERNS_18TensorIteratorBaseEENKUlvE_clEvENKUlvE1_clEvEUlN3c107complexIdEEE_EEvS4_RKT_EUlibE_EEviT1_,@function
_ZN2at6native32elementwise_kernel_manual_unrollILi128ELi4EZNS0_22gpu_kernel_impl_nocastIZZZNS0_17expm1_kernel_cudaERNS_18TensorIteratorBaseEENKUlvE_clEvENKUlvE1_clEvEUlN3c107complexIdEEE_EEvS4_RKT_EUlibE_EEviT1_: ; @_ZN2at6native32elementwise_kernel_manual_unrollILi128ELi4EZNS0_22gpu_kernel_impl_nocastIZZZNS0_17expm1_kernel_cudaERNS_18TensorIteratorBaseEENKUlvE_clEvENKUlvE1_clEvEUlN3c107complexIdEEE_EEvS4_RKT_EUlibE_EEviT1_
; %bb.0:
	s_load_dword s55, s[0:1], 0x0
	s_load_dword s33, s[0:1], 0x8
	s_add_u32 s34, s0, 8
	s_addc_u32 s35, s1, 0
	v_lshl_or_b32 v26, s2, 9, v0
	v_or_b32_e32 v2, 0x180, v26
	s_waitcnt lgkmcnt(0)
	s_add_i32 s54, s33, -1
	s_cmp_gt_u32 s54, 1
	v_cmp_le_i32_e32 vcc, s55, v2
	s_cselect_b64 s[36:37], -1, 0
	s_mov_b64 s[24:25], 0
                                        ; implicit-def: $vgpr8_vgpr9
                                        ; implicit-def: $vgpr24_vgpr25
	s_and_saveexec_b64 s[0:1], vcc
	s_xor_b64 s[38:39], exec, s[0:1]
	s_cbranch_execz .LBB129_8
; %bb.1:
	s_load_dwordx4 s[24:27], s[34:35], 0x4
	s_load_dwordx2 s[40:41], s[34:35], 0x14
	s_load_dwordx4 s[20:23], s[34:35], 0xc4
	s_load_dwordx4 s[16:19], s[34:35], 0x148
	s_cmp_lg_u32 s33, 0
	s_cselect_b64 s[46:47], -1, 0
	s_add_u32 s44, s34, 0xc4
	s_addc_u32 s45, s35, 0
	s_min_u32 s56, s54, 15
	s_cmp_gt_u32 s33, 1
	s_cselect_b64 s[42:43], -1, 0
	v_cmp_gt_i32_e32 vcc, s55, v26
	s_and_saveexec_b64 s[48:49], vcc
	s_cbranch_execz .LBB129_15
; %bb.2:
	s_andn2_b64 vcc, exec, s[36:37]
	s_cbranch_vccnz .LBB129_23
; %bb.3:
	s_andn2_b64 vcc, exec, s[46:47]
	s_cbranch_vccnz .LBB129_124
; %bb.4:
	s_add_i32 s58, s56, 1
	s_cmp_eq_u32 s54, 2
	s_cbranch_scc1 .LBB129_126
; %bb.5:
	s_and_b32 s57, s58, 28
	s_mov_b32 s59, 0
	v_mov_b32_e32 v4, 0
	v_mov_b32_e32 v0, 0
	s_mov_b64 s[50:51], s[34:35]
	s_mov_b64 s[52:53], s[44:45]
	v_mov_b32_e32 v2, v26
.LBB129_6:                              ; =>This Inner Loop Header: Depth=1
	s_load_dwordx8 s[8:15], s[50:51], 0x4
	s_load_dwordx4 s[28:31], s[50:51], 0x24
	s_load_dwordx8 s[0:7], s[52:53], 0x0
	s_add_u32 s50, s50, 48
	s_addc_u32 s51, s51, 0
	s_waitcnt lgkmcnt(0)
	v_mul_hi_u32 v1, s9, v2
	v_add_u32_e32 v1, v2, v1
	v_lshrrev_b32_e32 v1, s10, v1
	v_mul_lo_u32 v3, v1, s8
	v_mul_hi_u32 v5, s12, v1
	v_sub_u32_e32 v2, v2, v3
	v_add_u32_e32 v3, v1, v5
	v_lshrrev_b32_e32 v3, s13, v3
	v_mul_lo_u32 v6, v3, s11
	v_mul_hi_u32 v7, s15, v3
	v_sub_u32_e32 v1, v1, v6
	v_add_u32_e32 v6, v3, v7
	v_mul_lo_u32 v5, v2, s1
	v_mul_lo_u32 v2, v2, s0
	;; [unrolled: 1-line block ×4, first 2 shown]
	v_lshrrev_b32_e32 v6, s28, v6
	v_add3_u32 v1, v2, v4, v1
	v_mul_lo_u32 v2, v6, s14
	v_mul_hi_u32 v4, s30, v6
	v_sub_u32_e32 v2, v3, v2
	v_add_u32_e32 v3, v6, v4
	v_add3_u32 v0, v5, v0, v7
	v_mul_lo_u32 v4, v2, s4
	v_mul_lo_u32 v5, v2, s5
	v_lshrrev_b32_e32 v2, s31, v3
	s_add_i32 s59, s59, 4
	v_mul_lo_u32 v3, v2, s29
	s_add_u32 s52, s52, 32
	v_sub_u32_e32 v3, v6, v3
	s_addc_u32 s53, s53, 0
	v_mul_lo_u32 v6, v3, s6
	v_mul_lo_u32 v3, v3, s7
	s_cmp_lg_u32 s57, s59
	v_add3_u32 v0, v5, v0, v3
	v_add3_u32 v4, v4, v1, v6
	s_cbranch_scc1 .LBB129_6
; %bb.7:
	v_mov_b32_e32 v1, v0
	s_branch .LBB129_127
.LBB129_8:
	s_andn2_saveexec_b64 s[26:27], s[38:39]
	s_cbranch_execz .LBB129_225
.LBB129_9:
	v_cndmask_b32_e64 v0, 0, 1, s[36:37]
	v_cmp_ne_u32_e64 s[0:1], 1, v0
	s_andn2_b64 vcc, exec, s[36:37]
	s_cbranch_vccnz .LBB129_22
; %bb.10:
	s_cmp_lg_u32 s33, 0
	s_mov_b32 s30, 0
	s_cbranch_scc0 .LBB129_25
; %bb.11:
	s_min_u32 s31, s54, 15
	s_add_i32 s31, s31, 1
	s_cmp_eq_u32 s54, 2
	s_cbranch_scc1 .LBB129_26
; %bb.12:
	s_and_b32 s30, s31, 28
	s_add_u32 s2, s34, 0xc4
	s_addc_u32 s3, s35, 0
	s_mov_b32 s36, 0
	v_mov_b32_e32 v16, 0
	v_mov_b32_e32 v0, 0
	s_mov_b64 s[28:29], s[34:35]
	v_mov_b32_e32 v3, v26
.LBB129_13:                             ; =>This Inner Loop Header: Depth=1
	s_load_dwordx8 s[12:19], s[28:29], 0x4
	s_load_dwordx4 s[20:23], s[28:29], 0x24
	s_load_dwordx8 s[4:11], s[2:3], 0x0
	s_add_u32 s28, s28, 48
	s_addc_u32 s29, s29, 0
	s_waitcnt lgkmcnt(0)
	v_mul_hi_u32 v1, s13, v3
	v_add_u32_e32 v1, v3, v1
	v_lshrrev_b32_e32 v1, s14, v1
	v_mul_lo_u32 v4, v1, s12
	v_mul_hi_u32 v5, s16, v1
	v_sub_u32_e32 v3, v3, v4
	v_add_u32_e32 v4, v1, v5
	v_lshrrev_b32_e32 v4, s17, v4
	v_mul_lo_u32 v6, v4, s15
	v_mul_hi_u32 v7, s19, v4
	v_sub_u32_e32 v1, v1, v6
	v_add_u32_e32 v6, v4, v7
	v_mul_lo_u32 v5, v3, s5
	v_mul_lo_u32 v3, v3, s4
	;; [unrolled: 1-line block ×4, first 2 shown]
	v_lshrrev_b32_e32 v6, s20, v6
	v_add3_u32 v1, v3, v16, v1
	v_add3_u32 v0, v5, v0, v7
	v_mul_lo_u32 v3, v6, s18
	v_mul_hi_u32 v5, s22, v6
	v_sub_u32_e32 v3, v4, v3
	v_add_u32_e32 v4, v6, v5
	v_mul_lo_u32 v5, v3, s8
	v_mul_lo_u32 v7, v3, s9
	v_lshrrev_b32_e32 v3, s23, v4
	s_add_i32 s36, s36, 4
	v_mul_lo_u32 v4, v3, s21
	s_add_u32 s2, s2, 32
	v_sub_u32_e32 v4, v6, v4
	s_addc_u32 s3, s3, 0
	v_mul_lo_u32 v6, v4, s10
	v_mul_lo_u32 v4, v4, s11
	s_cmp_lg_u32 s30, s36
	v_add3_u32 v0, v7, v0, v4
	v_add3_u32 v16, v5, v1, v6
	s_cbranch_scc1 .LBB129_13
; %bb.14:
	v_mov_b32_e32 v1, v0
	s_and_b32 s6, s31, 3
	s_cmp_eq_u32 s6, 0
	s_cbranch_scc0 .LBB129_27
	s_branch .LBB129_29
.LBB129_15:
	s_or_b64 exec, exec, s[48:49]
	v_cmp_gt_i32_e32 vcc, s55, v26
	s_and_saveexec_b64 s[48:49], vcc
	s_cbranch_execz .LBB129_146
.LBB129_16:
	s_andn2_b64 vcc, exec, s[36:37]
	s_cbranch_vccnz .LBB129_24
; %bb.17:
	s_andn2_b64 vcc, exec, s[46:47]
	s_cbranch_vccnz .LBB129_125
; %bb.18:
	s_add_i32 s58, s56, 1
	s_cmp_eq_u32 s54, 2
	s_cbranch_scc1 .LBB129_147
; %bb.19:
	s_and_b32 s57, s58, 28
	s_mov_b32 s59, 0
	v_mov_b32_e32 v4, 0
	v_mov_b32_e32 v0, 0
	s_mov_b64 s[50:51], s[34:35]
	s_mov_b64 s[52:53], s[44:45]
	v_mov_b32_e32 v2, v26
.LBB129_20:                             ; =>This Inner Loop Header: Depth=1
	s_load_dwordx8 s[8:15], s[50:51], 0x4
	s_load_dwordx4 s[28:31], s[50:51], 0x24
	s_load_dwordx8 s[0:7], s[52:53], 0x0
	s_add_u32 s50, s50, 48
	s_addc_u32 s51, s51, 0
	s_waitcnt lgkmcnt(0)
	v_mul_hi_u32 v1, s9, v2
	v_add_u32_e32 v1, v2, v1
	v_lshrrev_b32_e32 v1, s10, v1
	v_mul_lo_u32 v3, v1, s8
	v_mul_hi_u32 v5, s12, v1
	v_sub_u32_e32 v2, v2, v3
	v_add_u32_e32 v3, v1, v5
	v_lshrrev_b32_e32 v3, s13, v3
	v_mul_lo_u32 v6, v3, s11
	v_mul_hi_u32 v7, s15, v3
	v_sub_u32_e32 v1, v1, v6
	v_add_u32_e32 v6, v3, v7
	v_mul_lo_u32 v5, v2, s1
	v_mul_lo_u32 v2, v2, s0
	;; [unrolled: 1-line block ×4, first 2 shown]
	v_lshrrev_b32_e32 v6, s28, v6
	v_add3_u32 v1, v2, v4, v1
	v_mul_lo_u32 v2, v6, s14
	v_mul_hi_u32 v4, s30, v6
	v_sub_u32_e32 v2, v3, v2
	v_add_u32_e32 v3, v6, v4
	v_add3_u32 v0, v5, v0, v7
	v_mul_lo_u32 v4, v2, s4
	v_mul_lo_u32 v5, v2, s5
	v_lshrrev_b32_e32 v2, s31, v3
	s_add_i32 s59, s59, 4
	v_mul_lo_u32 v3, v2, s29
	s_add_u32 s52, s52, 32
	v_sub_u32_e32 v3, v6, v3
	s_addc_u32 s53, s53, 0
	v_mul_lo_u32 v6, v3, s6
	v_mul_lo_u32 v3, v3, s7
	s_cmp_eq_u32 s57, s59
	v_add3_u32 v0, v5, v0, v3
	v_add3_u32 v4, v4, v1, v6
	s_cbranch_scc0 .LBB129_20
; %bb.21:
	v_mov_b32_e32 v1, v0
	s_branch .LBB129_148
.LBB129_22:
                                        ; implicit-def: $vgpr0
                                        ; implicit-def: $vgpr16
	s_branch .LBB129_30
.LBB129_23:
                                        ; implicit-def: $vgpr0
                                        ; implicit-def: $vgpr4
	s_branch .LBB129_131
.LBB129_24:
                                        ; implicit-def: $vgpr0
                                        ; implicit-def: $vgpr4
	s_branch .LBB129_152
.LBB129_25:
	v_mov_b32_e32 v0, 0
	v_mov_b32_e32 v16, 0
	s_branch .LBB129_29
.LBB129_26:
	v_mov_b32_e32 v16, 0
                                        ; implicit-def: $vgpr0
	v_mov_b32_e32 v1, v16
	v_mov_b32_e32 v3, v26
	s_and_b32 s6, s31, 3
	s_cmp_eq_u32 s6, 0
	s_cbranch_scc1 .LBB129_29
.LBB129_27:
	s_lshl_b32 s2, s30, 3
	s_add_u32 s2, s34, s2
	s_addc_u32 s3, s35, 0
	s_add_u32 s2, s2, 0xc4
	s_addc_u32 s3, s3, 0
	s_mul_i32 s4, s30, 12
	s_add_u32 s4, s34, s4
	s_addc_u32 s5, s35, 0
.LBB129_28:                             ; =>This Inner Loop Header: Depth=1
	s_load_dwordx2 s[8:9], s[4:5], 0x4
	s_load_dword s7, s[4:5], 0xc
	s_load_dwordx2 s[10:11], s[2:3], 0x0
	v_mov_b32_e32 v0, v1
	s_add_u32 s4, s4, 12
	s_waitcnt lgkmcnt(0)
	v_mul_hi_u32 v1, s9, v3
	v_add_u32_e32 v1, v3, v1
	v_lshrrev_b32_e32 v1, s7, v1
	s_addc_u32 s5, s5, 0
	v_mul_lo_u32 v4, v1, s8
	s_add_u32 s2, s2, 8
	v_sub_u32_e32 v4, v3, v4
	s_addc_u32 s3, s3, 0
	s_add_i32 s6, s6, -1
	v_mov_b32_e32 v3, v1
	v_mad_u64_u32 v[0:1], s[8:9], v4, s11, v[0:1]
	s_cmp_lg_u32 s6, 0
	v_mad_u64_u32 v[16:17], s[8:9], v4, s10, v[16:17]
	v_mov_b32_e32 v1, v0
	s_cbranch_scc1 .LBB129_28
.LBB129_29:
	s_cbranch_execnz .LBB129_32
.LBB129_30:
	s_load_dwordx4 s[4:7], s[34:35], 0x4
	s_load_dwordx2 s[2:3], s[34:35], 0xc4
	s_cmp_lt_u32 s33, 2
	s_waitcnt lgkmcnt(0)
	v_mul_hi_u32 v0, s5, v26
	v_add_u32_e32 v0, v26, v0
	v_lshrrev_b32_e32 v1, s6, v0
	v_mul_lo_u32 v0, v1, s4
	v_sub_u32_e32 v3, v26, v0
	v_mul_lo_u32 v0, v3, s3
	v_mul_lo_u32 v16, v3, s2
	s_cbranch_scc1 .LBB129_32
; %bb.31:
	s_load_dwordx4 s[4:7], s[34:35], 0x10
	s_load_dwordx2 s[2:3], s[34:35], 0xcc
	s_waitcnt lgkmcnt(0)
	v_mul_hi_u32 v3, s5, v1
	v_add_u32_e32 v3, v1, v3
	v_lshrrev_b32_e32 v3, s6, v3
	v_mul_lo_u32 v3, v3, s4
	v_sub_u32_e32 v1, v1, v3
	v_mad_u64_u32 v[16:17], s[4:5], v1, s2, v[16:17]
	v_mad_u64_u32 v[0:1], s[2:3], v1, s3, v[0:1]
.LBB129_32:
	s_and_b64 vcc, exec, s[0:1]
	v_add_u32_e32 v3, 0x80, v26
	s_cbranch_vccnz .LBB129_38
; %bb.33:
	s_cmp_lg_u32 s33, 0
	s_mov_b32 s30, 0
	s_cbranch_scc0 .LBB129_39
; %bb.34:
	s_min_u32 s31, s54, 15
	s_add_i32 s31, s31, 1
	s_cmp_eq_u32 s54, 2
	s_cbranch_scc1 .LBB129_40
; %bb.35:
	s_and_b32 s30, s31, 28
	s_add_u32 s2, s34, 0xc4
	s_addc_u32 s3, s35, 0
	s_mov_b32 s36, 0
	v_mov_b32_e32 v18, 0
	v_mov_b32_e32 v4, 0
	s_mov_b64 s[28:29], s[34:35]
	v_mov_b32_e32 v6, v3
.LBB129_36:                             ; =>This Inner Loop Header: Depth=1
	s_load_dwordx8 s[12:19], s[28:29], 0x4
	s_load_dwordx4 s[20:23], s[28:29], 0x24
	s_load_dwordx8 s[4:11], s[2:3], 0x0
	s_add_u32 s28, s28, 48
	s_addc_u32 s29, s29, 0
	s_waitcnt lgkmcnt(0)
	v_mul_hi_u32 v1, s13, v6
	v_add_u32_e32 v1, v6, v1
	v_lshrrev_b32_e32 v1, s14, v1
	v_mul_lo_u32 v5, v1, s12
	v_mul_hi_u32 v7, s16, v1
	v_sub_u32_e32 v5, v6, v5
	v_add_u32_e32 v6, v1, v7
	v_lshrrev_b32_e32 v6, s17, v6
	v_mul_lo_u32 v8, v6, s15
	v_mul_hi_u32 v9, s19, v6
	v_sub_u32_e32 v1, v1, v8
	v_add_u32_e32 v8, v6, v9
	v_mul_lo_u32 v7, v5, s5
	v_mul_lo_u32 v5, v5, s4
	;; [unrolled: 1-line block ×4, first 2 shown]
	v_lshrrev_b32_e32 v8, s20, v8
	v_add3_u32 v1, v5, v18, v1
	v_add3_u32 v4, v7, v4, v9
	v_mul_lo_u32 v5, v8, s18
	v_mul_hi_u32 v7, s22, v8
	v_sub_u32_e32 v5, v6, v5
	v_add_u32_e32 v6, v8, v7
	v_lshrrev_b32_e32 v6, s23, v6
	s_add_i32 s36, s36, 4
	v_mul_lo_u32 v9, v6, s21
	s_add_u32 s2, s2, 32
	v_sub_u32_e32 v8, v8, v9
	s_addc_u32 s3, s3, 0
	v_mul_lo_u32 v7, v5, s8
	v_mul_lo_u32 v5, v5, s9
	;; [unrolled: 1-line block ×4, first 2 shown]
	s_cmp_lg_u32 s30, s36
	v_add3_u32 v4, v5, v4, v8
	v_add3_u32 v18, v7, v1, v9
	s_cbranch_scc1 .LBB129_36
; %bb.37:
	v_mov_b32_e32 v1, v4
	s_and_b32 s6, s31, 3
	s_cmp_eq_u32 s6, 0
	s_cbranch_scc0 .LBB129_41
	s_branch .LBB129_43
.LBB129_38:
                                        ; implicit-def: $vgpr4
                                        ; implicit-def: $vgpr18
	s_branch .LBB129_44
.LBB129_39:
	v_mov_b32_e32 v4, 0
	v_mov_b32_e32 v18, 0
	s_branch .LBB129_43
.LBB129_40:
	v_mov_b32_e32 v18, 0
                                        ; implicit-def: $vgpr4
	v_mov_b32_e32 v1, v18
	v_mov_b32_e32 v6, v3
	s_and_b32 s6, s31, 3
	s_cmp_eq_u32 s6, 0
	s_cbranch_scc1 .LBB129_43
.LBB129_41:
	s_lshl_b32 s2, s30, 3
	s_add_u32 s2, s34, s2
	s_addc_u32 s3, s35, 0
	s_add_u32 s2, s2, 0xc4
	s_addc_u32 s3, s3, 0
	s_mul_i32 s4, s30, 12
	s_add_u32 s4, s34, s4
	s_addc_u32 s5, s35, 0
.LBB129_42:                             ; =>This Inner Loop Header: Depth=1
	s_load_dwordx2 s[8:9], s[4:5], 0x4
	s_load_dword s7, s[4:5], 0xc
	s_load_dwordx2 s[10:11], s[2:3], 0x0
	v_mov_b32_e32 v4, v1
	s_add_u32 s4, s4, 12
	s_waitcnt lgkmcnt(0)
	v_mul_hi_u32 v1, s9, v6
	v_add_u32_e32 v1, v6, v1
	v_lshrrev_b32_e32 v1, s7, v1
	s_addc_u32 s5, s5, 0
	v_mul_lo_u32 v5, v1, s8
	s_add_u32 s2, s2, 8
	v_sub_u32_e32 v7, v6, v5
	s_addc_u32 s3, s3, 0
	s_add_i32 s6, s6, -1
	v_mad_u64_u32 v[4:5], s[8:9], v7, s11, v[4:5]
	s_cmp_lg_u32 s6, 0
	v_mov_b32_e32 v6, v1
	v_mad_u64_u32 v[18:19], s[8:9], v7, s10, v[18:19]
	v_mov_b32_e32 v1, v4
	s_cbranch_scc1 .LBB129_42
.LBB129_43:
	s_cbranch_execnz .LBB129_46
.LBB129_44:
	s_load_dwordx4 s[4:7], s[34:35], 0x4
	s_load_dwordx2 s[2:3], s[34:35], 0xc4
	s_cmp_lt_u32 s33, 2
	s_waitcnt lgkmcnt(0)
	v_mul_hi_u32 v1, s5, v3
	v_add_u32_e32 v1, v3, v1
	v_lshrrev_b32_e32 v1, s6, v1
	v_mul_lo_u32 v4, v1, s4
	v_sub_u32_e32 v3, v3, v4
	v_mul_lo_u32 v4, v3, s3
	v_mul_lo_u32 v18, v3, s2
	s_cbranch_scc1 .LBB129_46
; %bb.45:
	s_load_dwordx4 s[4:7], s[34:35], 0x10
	s_load_dwordx2 s[2:3], s[34:35], 0xcc
	s_waitcnt lgkmcnt(0)
	v_mul_hi_u32 v3, s5, v1
	v_add_u32_e32 v3, v1, v3
	v_lshrrev_b32_e32 v3, s6, v3
	v_mul_lo_u32 v3, v3, s4
	v_sub_u32_e32 v1, v1, v3
	v_mad_u64_u32 v[18:19], s[4:5], v1, s2, v[18:19]
	v_mad_u64_u32 v[4:5], s[2:3], v1, s3, v[4:5]
.LBB129_46:
	s_and_b64 vcc, exec, s[0:1]
	v_add_u32_e32 v3, 0x100, v26
	s_cbranch_vccnz .LBB129_52
; %bb.47:
	s_cmp_lg_u32 s33, 0
	s_mov_b32 s30, 0
	s_cbranch_scc0 .LBB129_53
; %bb.48:
	s_min_u32 s31, s54, 15
	s_add_i32 s31, s31, 1
	s_cmp_eq_u32 s54, 2
	s_cbranch_scc1 .LBB129_54
; %bb.49:
	s_and_b32 s30, s31, 28
	s_add_u32 s2, s34, 0xc4
	s_addc_u32 s3, s35, 0
	s_mov_b32 s36, 0
	v_mov_b32_e32 v20, 0
	v_mov_b32_e32 v10, 0
	s_mov_b64 s[28:29], s[34:35]
	v_mov_b32_e32 v5, v3
.LBB129_50:                             ; =>This Inner Loop Header: Depth=1
	s_load_dwordx8 s[12:19], s[28:29], 0x4
	s_load_dwordx4 s[20:23], s[28:29], 0x24
	s_load_dwordx8 s[4:11], s[2:3], 0x0
	s_add_u32 s28, s28, 48
	s_addc_u32 s29, s29, 0
	s_waitcnt lgkmcnt(0)
	v_mul_hi_u32 v1, s13, v5
	v_add_u32_e32 v1, v5, v1
	v_lshrrev_b32_e32 v1, s14, v1
	v_mul_lo_u32 v6, v1, s12
	v_mul_hi_u32 v7, s16, v1
	v_sub_u32_e32 v5, v5, v6
	v_add_u32_e32 v6, v1, v7
	v_lshrrev_b32_e32 v6, s17, v6
	v_mul_lo_u32 v8, v6, s15
	v_mul_hi_u32 v9, s19, v6
	v_sub_u32_e32 v1, v1, v8
	v_add_u32_e32 v8, v6, v9
	v_mul_lo_u32 v7, v5, s5
	v_mul_lo_u32 v5, v5, s4
	;; [unrolled: 1-line block ×4, first 2 shown]
	v_lshrrev_b32_e32 v8, s20, v8
	v_add3_u32 v1, v5, v20, v1
	v_add3_u32 v7, v7, v10, v9
	v_mul_lo_u32 v5, v8, s18
	v_mul_hi_u32 v9, s22, v8
	v_sub_u32_e32 v5, v6, v5
	v_add_u32_e32 v6, v8, v9
	v_mul_lo_u32 v9, v5, s8
	v_mul_lo_u32 v10, v5, s9
	v_lshrrev_b32_e32 v5, s23, v6
	s_add_i32 s36, s36, 4
	v_mul_lo_u32 v6, v5, s21
	s_add_u32 s2, s2, 32
	v_sub_u32_e32 v6, v8, v6
	s_addc_u32 s3, s3, 0
	v_mul_lo_u32 v8, v6, s10
	v_mul_lo_u32 v6, v6, s11
	s_cmp_lg_u32 s30, s36
	v_add3_u32 v10, v10, v7, v6
	v_add3_u32 v20, v9, v1, v8
	s_cbranch_scc1 .LBB129_50
; %bb.51:
	v_mov_b32_e32 v1, v10
	s_and_b32 s6, s31, 3
	s_cmp_eq_u32 s6, 0
	s_cbranch_scc0 .LBB129_55
	s_branch .LBB129_57
.LBB129_52:
                                        ; implicit-def: $vgpr10
                                        ; implicit-def: $vgpr20
	s_branch .LBB129_58
.LBB129_53:
	v_mov_b32_e32 v10, 0
	v_mov_b32_e32 v20, 0
	s_branch .LBB129_57
.LBB129_54:
	v_mov_b32_e32 v20, 0
                                        ; implicit-def: $vgpr10
	v_mov_b32_e32 v1, v20
	v_mov_b32_e32 v5, v3
	s_and_b32 s6, s31, 3
	s_cmp_eq_u32 s6, 0
	s_cbranch_scc1 .LBB129_57
.LBB129_55:
	s_lshl_b32 s2, s30, 3
	s_add_u32 s2, s34, s2
	s_addc_u32 s3, s35, 0
	s_add_u32 s2, s2, 0xc4
	s_addc_u32 s3, s3, 0
	s_mul_i32 s4, s30, 12
	s_add_u32 s4, s34, s4
	s_addc_u32 s5, s35, 0
.LBB129_56:                             ; =>This Inner Loop Header: Depth=1
	s_load_dwordx2 s[8:9], s[4:5], 0x4
	s_load_dword s7, s[4:5], 0xc
	s_load_dwordx2 s[10:11], s[2:3], 0x0
	v_mov_b32_e32 v6, v1
	s_add_u32 s4, s4, 12
	s_waitcnt lgkmcnt(0)
	v_mul_hi_u32 v1, s9, v5
	v_add_u32_e32 v1, v5, v1
	v_lshrrev_b32_e32 v1, s7, v1
	s_addc_u32 s5, s5, 0
	v_mul_lo_u32 v7, v1, s8
	s_add_u32 s2, s2, 8
	v_sub_u32_e32 v7, v5, v7
	s_addc_u32 s3, s3, 0
	s_add_i32 s6, s6, -1
	v_mad_u64_u32 v[10:11], s[8:9], v7, s11, v[6:7]
	s_cmp_lg_u32 s6, 0
	v_mov_b32_e32 v5, v1
	v_mad_u64_u32 v[20:21], s[8:9], v7, s10, v[20:21]
	v_mov_b32_e32 v1, v10
	s_cbranch_scc1 .LBB129_56
.LBB129_57:
	s_cbranch_execnz .LBB129_60
.LBB129_58:
	s_load_dwordx4 s[4:7], s[34:35], 0x4
	s_load_dwordx2 s[2:3], s[34:35], 0xc4
	s_cmp_lt_u32 s33, 2
	s_waitcnt lgkmcnt(0)
	v_mul_hi_u32 v1, s5, v3
	v_add_u32_e32 v1, v3, v1
	v_lshrrev_b32_e32 v1, s6, v1
	v_mul_lo_u32 v5, v1, s4
	v_sub_u32_e32 v3, v3, v5
	v_mul_lo_u32 v10, v3, s3
	v_mul_lo_u32 v20, v3, s2
	s_cbranch_scc1 .LBB129_60
; %bb.59:
	s_load_dwordx4 s[4:7], s[34:35], 0x10
	s_load_dwordx2 s[2:3], s[34:35], 0xcc
	s_waitcnt lgkmcnt(0)
	v_mul_hi_u32 v3, s5, v1
	v_add_u32_e32 v3, v1, v3
	v_lshrrev_b32_e32 v3, s6, v3
	v_mul_lo_u32 v3, v3, s4
	v_sub_u32_e32 v1, v1, v3
	v_mad_u64_u32 v[20:21], s[4:5], v1, s2, v[20:21]
	v_mad_u64_u32 v[10:11], s[2:3], v1, s3, v[10:11]
.LBB129_60:
	s_and_b64 vcc, exec, s[0:1]
	s_cbranch_vccnz .LBB129_66
; %bb.61:
	s_cmp_lg_u32 s33, 0
	s_mov_b32 s28, 0
	s_cbranch_scc0 .LBB129_67
; %bb.62:
	s_min_u32 s29, s54, 15
	s_add_i32 s29, s29, 1
	s_cmp_eq_u32 s54, 2
	s_cbranch_scc1 .LBB129_68
; %bb.63:
	s_and_b32 s28, s29, 28
	s_add_u32 s20, s34, 0xc4
	s_addc_u32 s21, s35, 0
	s_mov_b32 s30, 0
	v_mov_b32_e32 v22, 0
	v_mov_b32_e32 v8, 0
	s_mov_b64 s[22:23], s[34:35]
	v_mov_b32_e32 v3, v2
.LBB129_64:                             ; =>This Inner Loop Header: Depth=1
	s_load_dwordx8 s[8:15], s[22:23], 0x4
	s_load_dwordx4 s[16:19], s[22:23], 0x24
	s_load_dwordx8 s[0:7], s[20:21], 0x0
	s_add_u32 s22, s22, 48
	s_addc_u32 s23, s23, 0
	s_waitcnt lgkmcnt(0)
	v_mul_hi_u32 v1, s9, v3
	v_add_u32_e32 v1, v3, v1
	v_lshrrev_b32_e32 v1, s10, v1
	v_mul_lo_u32 v5, v1, s8
	v_mul_hi_u32 v6, s12, v1
	v_sub_u32_e32 v3, v3, v5
	v_add_u32_e32 v5, v1, v6
	v_lshrrev_b32_e32 v5, s13, v5
	v_mul_lo_u32 v7, v5, s11
	v_mul_hi_u32 v9, s15, v5
	v_sub_u32_e32 v1, v1, v7
	v_add_u32_e32 v7, v5, v9
	v_mul_lo_u32 v6, v3, s1
	v_mul_lo_u32 v3, v3, s0
	;; [unrolled: 1-line block ×4, first 2 shown]
	v_lshrrev_b32_e32 v7, s16, v7
	v_add3_u32 v1, v3, v22, v1
	v_add3_u32 v6, v6, v8, v9
	v_mul_lo_u32 v3, v7, s14
	v_mul_hi_u32 v8, s18, v7
	v_sub_u32_e32 v3, v5, v3
	v_add_u32_e32 v5, v7, v8
	v_mul_lo_u32 v9, v3, s4
	v_mul_lo_u32 v8, v3, s5
	v_lshrrev_b32_e32 v3, s19, v5
	s_add_i32 s30, s30, 4
	v_mul_lo_u32 v5, v3, s17
	s_add_u32 s20, s20, 32
	v_sub_u32_e32 v5, v7, v5
	s_addc_u32 s21, s21, 0
	v_mul_lo_u32 v7, v5, s6
	v_mul_lo_u32 v5, v5, s7
	s_cmp_lg_u32 s28, s30
	v_add3_u32 v8, v8, v6, v5
	v_add3_u32 v22, v9, v1, v7
	s_cbranch_scc1 .LBB129_64
; %bb.65:
	v_mov_b32_e32 v1, v8
	s_and_b32 s4, s29, 3
	s_cmp_eq_u32 s4, 0
	s_cbranch_scc0 .LBB129_69
	s_branch .LBB129_71
.LBB129_66:
                                        ; implicit-def: $vgpr8
                                        ; implicit-def: $vgpr22
	s_branch .LBB129_72
.LBB129_67:
	v_mov_b32_e32 v8, 0
	v_mov_b32_e32 v22, 0
	s_branch .LBB129_71
.LBB129_68:
	v_mov_b32_e32 v22, 0
                                        ; implicit-def: $vgpr8
	v_mov_b32_e32 v1, v22
	v_mov_b32_e32 v3, v2
	s_and_b32 s4, s29, 3
	s_cmp_eq_u32 s4, 0
	s_cbranch_scc1 .LBB129_71
.LBB129_69:
	s_lshl_b32 s0, s28, 3
	s_add_u32 s0, s34, s0
	s_addc_u32 s1, s35, 0
	s_add_u32 s0, s0, 0xc4
	s_addc_u32 s1, s1, 0
	s_mul_i32 s2, s28, 12
	s_add_u32 s2, s34, s2
	s_addc_u32 s3, s35, 0
.LBB129_70:                             ; =>This Inner Loop Header: Depth=1
	s_load_dwordx2 s[6:7], s[2:3], 0x4
	s_load_dword s5, s[2:3], 0xc
	s_load_dwordx2 s[8:9], s[0:1], 0x0
	v_mov_b32_e32 v6, v1
	s_add_u32 s2, s2, 12
	s_waitcnt lgkmcnt(0)
	v_mul_hi_u32 v1, s7, v3
	v_add_u32_e32 v1, v3, v1
	v_lshrrev_b32_e32 v1, s5, v1
	s_addc_u32 s3, s3, 0
	v_mul_lo_u32 v5, v1, s6
	s_add_u32 s0, s0, 8
	v_sub_u32_e32 v5, v3, v5
	s_addc_u32 s1, s1, 0
	s_add_i32 s4, s4, -1
	v_mad_u64_u32 v[8:9], s[6:7], v5, s9, v[6:7]
	s_cmp_lg_u32 s4, 0
	v_mov_b32_e32 v3, v1
	v_mad_u64_u32 v[22:23], s[6:7], v5, s8, v[22:23]
	v_mov_b32_e32 v1, v8
	s_cbranch_scc1 .LBB129_70
.LBB129_71:
	s_cbranch_execnz .LBB129_74
.LBB129_72:
	s_load_dwordx4 s[0:3], s[34:35], 0x4
	s_load_dwordx2 s[4:5], s[34:35], 0xc4
	s_cmp_lt_u32 s33, 2
	s_waitcnt lgkmcnt(0)
	v_mul_hi_u32 v1, s1, v2
	v_add_u32_e32 v1, v2, v1
	v_lshrrev_b32_e32 v1, s2, v1
	v_mul_lo_u32 v3, v1, s0
	v_sub_u32_e32 v2, v2, v3
	v_mul_lo_u32 v8, v2, s5
	v_mul_lo_u32 v22, v2, s4
	s_cbranch_scc1 .LBB129_74
; %bb.73:
	s_load_dwordx4 s[0:3], s[34:35], 0x10
	s_load_dwordx2 s[4:5], s[34:35], 0xcc
	s_waitcnt lgkmcnt(0)
	v_mul_hi_u32 v2, s1, v1
	v_add_u32_e32 v2, v1, v2
	v_lshrrev_b32_e32 v2, s2, v2
	v_mul_lo_u32 v2, v2, s0
	v_sub_u32_e32 v1, v1, v2
	v_mad_u64_u32 v[22:23], s[0:1], v1, s4, v[22:23]
	v_mad_u64_u32 v[8:9], s[0:1], v1, s5, v[8:9]
.LBB129_74:
	s_load_dwordx4 s[4:7], s[34:35], 0x148
	s_mov_b32 s0, 0
	s_mov_b32 s1, 0x41d00000
                                        ; implicit-def: $vgpr17
                                        ; implicit-def: $vgpr26_vgpr27
                                        ; implicit-def: $vgpr28_vgpr29
	s_waitcnt lgkmcnt(0)
	global_load_dwordx4 v[0:3], v0, s[6:7]
	s_waitcnt vmcnt(0)
	v_mul_f64 v[24:25], v[2:3], 0.5
	v_cmp_nlt_f64_e64 s[0:1], |v[24:25]|, s[0:1]
	s_and_saveexec_b64 s[2:3], s[0:1]
	s_xor_b64 s[2:3], exec, s[2:3]
	s_cbranch_execz .LBB129_76
; %bb.75:
	s_mov_b32 s0, 0
	s_mov_b32 s1, 0x7b000000
	s_movk_i32 s8, 0xff80
	v_and_b32_e32 v5, 0x7fffffff, v25
	v_ldexp_f64 v[14:15], |v[24:25]|, s8
	v_cmp_ge_f64_e64 vcc, |v[24:25]|, s[0:1]
	v_trig_preop_f64 v[6:7], |v[24:25]|, 0
	v_trig_preop_f64 v[12:13], |v[24:25]|, 1
	v_cndmask_b32_e32 v15, v5, v15, vcc
	v_cndmask_b32_e32 v14, v24, v14, vcc
	v_mul_f64 v[28:29], v[6:7], v[14:15]
	v_mul_f64 v[26:27], v[12:13], v[14:15]
	v_fma_f64 v[6:7], v[6:7], v[14:15], -v[28:29]
	v_add_f64 v[30:31], v[26:27], v[6:7]
	v_add_f64 v[38:39], v[30:31], -v[26:27]
	v_add_f64 v[6:7], v[6:7], -v[38:39]
	;; [unrolled: 1-line block ×4, first 2 shown]
	v_fma_f64 v[12:13], v[12:13], v[14:15], -v[26:27]
	v_trig_preop_f64 v[26:27], |v[24:25]|, 2
	v_add_f64 v[6:7], v[6:7], v[38:39]
	v_mul_f64 v[38:39], v[26:27], v[14:15]
	v_add_f64 v[40:41], v[38:39], v[12:13]
	v_add_f64 v[32:33], v[28:29], v[30:31]
	;; [unrolled: 1-line block ×3, first 2 shown]
	v_ldexp_f64 v[34:35], v[32:33], -2
	v_add_f64 v[28:29], v[32:33], -v[28:29]
	v_add_f64 v[32:33], v[42:43], -v[40:41]
	;; [unrolled: 1-line block ×5, first 2 shown]
	v_add_f64 v[6:7], v[6:7], v[32:33]
	v_add_f64 v[32:33], v[40:41], -v[38:39]
	v_add_f64 v[12:13], v[12:13], -v[32:33]
	;; [unrolled: 1-line block ×4, first 2 shown]
	v_add_f64 v[12:13], v[12:13], v[32:33]
	s_mov_b32 s0, 0
	v_fract_f64_e32 v[36:37], v[34:35]
	v_add_f64 v[6:7], v[12:13], v[6:7]
	v_fma_f64 v[12:13], v[26:27], v[14:15], -v[38:39]
	s_mov_b32 s1, 0x7ff00000
	v_add_f64 v[28:29], v[30:31], -v[28:29]
	v_add_f64 v[6:7], v[12:13], v[6:7]
	v_ldexp_f64 v[12:13], v[36:37], 2
	v_cmp_neq_f64_e64 vcc, |v[34:35]|, s[0:1]
	v_add_f64 v[30:31], v[28:29], v[42:43]
	v_mov_b32_e32 v5, 0x40100000
	v_cndmask_b32_e32 v13, 0, v13, vcc
	v_cndmask_b32_e32 v12, 0, v12, vcc
	v_add_f64 v[14:15], v[30:31], v[12:13]
	v_cmp_gt_f64_e32 vcc, 0, v[14:15]
	v_mov_b32_e32 v14, 0
	v_add_f64 v[28:29], v[30:31], -v[28:29]
	v_cndmask_b32_e32 v15, 0, v5, vcc
	v_add_f64 v[12:13], v[12:13], v[14:15]
	v_add_f64 v[26:27], v[30:31], v[12:13]
	v_cvt_i32_f64_e32 v5, v[26:27]
	v_cvt_f64_i32_e32 v[26:27], v5
	v_add_f64 v[12:13], v[12:13], -v[26:27]
	v_add_f64 v[26:27], v[30:31], v[12:13]
	v_cmp_le_f64_e32 vcc, 0.5, v[26:27]
	v_add_f64 v[28:29], v[42:43], -v[28:29]
	v_add_f64 v[12:13], v[26:27], -v[12:13]
	v_addc_co_u32_e64 v17, s[0:1], 0, v5, vcc
	v_mov_b32_e32 v5, 0x3ff00000
	v_add_f64 v[6:7], v[28:29], v[6:7]
	v_add_f64 v[12:13], v[30:31], -v[12:13]
	v_cndmask_b32_e32 v15, 0, v5, vcc
	v_add_f64 v[6:7], v[6:7], v[12:13]
	v_add_f64 v[12:13], v[26:27], -v[14:15]
	v_add_f64 v[14:15], v[12:13], v[6:7]
	s_mov_b32 s0, 0x54442d18
	v_add_f64 v[12:13], v[14:15], -v[12:13]
	s_mov_b32 s1, 0x3ff921fb
	v_add_f64 v[6:7], v[6:7], -v[12:13]
	v_mul_f64 v[12:13], v[14:15], s[0:1]
	s_mov_b32 s8, 0x33145c07
	v_fma_f64 v[28:29], v[14:15], s[0:1], -v[12:13]
	s_mov_b32 s9, 0x3c91a626
	v_fmac_f64_e32 v[28:29], s[8:9], v[14:15]
	v_fmac_f64_e32 v[28:29], s[0:1], v[6:7]
	v_add_f64 v[26:27], v[12:13], v[28:29]
	v_add_f64 v[6:7], v[26:27], -v[12:13]
	v_add_f64 v[28:29], v[28:29], -v[6:7]
.LBB129_76:
	s_andn2_saveexec_b64 s[0:1], s[2:3]
	s_cbranch_execz .LBB129_78
; %bb.77:
	s_mov_b32 s2, 0x6dc9c883
	s_mov_b32 s3, 0x3fe45f30
	v_mul_f64 v[6:7], |v[24:25]|, s[2:3]
	s_mov_b32 s2, 0x54442d18
	v_rndne_f64_e32 v[6:7], v[6:7]
	s_mov_b32 s3, 0xbff921fb
	v_fma_f64 v[12:13], v[6:7], s[2:3], |v[24:25]|
	s_mov_b32 s3, 0xbc91a626
	s_mov_b32 s2, 0x33145c00
	v_mul_f64 v[26:27], v[6:7], s[2:3]
	v_add_f64 v[30:31], v[12:13], v[26:27]
	v_fma_f64 v[14:15], s[2:3], v[6:7], v[12:13]
	s_mov_b32 s3, 0x3c91a626
	v_add_f64 v[12:13], v[12:13], -v[30:31]
	v_fma_f64 v[28:29], s[2:3], v[6:7], v[26:27]
	v_add_f64 v[12:13], v[12:13], v[26:27]
	v_add_f64 v[26:27], v[30:31], -v[14:15]
	v_add_f64 v[12:13], v[26:27], v[12:13]
	s_mov_b32 s2, 0x252049c0
	v_add_f64 v[12:13], v[12:13], -v[28:29]
	s_mov_b32 s3, 0xb97b839a
	v_fmac_f64_e32 v[12:13], s[2:3], v[6:7]
	v_add_f64 v[26:27], v[14:15], v[12:13]
	v_add_f64 v[14:15], v[26:27], -v[14:15]
	v_add_f64 v[28:29], v[12:13], -v[14:15]
	v_cvt_i32_f64_e32 v17, v[6:7]
.LBB129_78:
	s_or_b64 exec, exec, s[0:1]
	s_mov_b32 s0, 0
	s_mov_b32 s1, 0x41d00000
	v_cmp_nlt_f64_e64 s[2:3], |v[2:3]|, s[0:1]
                                        ; implicit-def: $vgpr19
                                        ; implicit-def: $vgpr30_vgpr31
                                        ; implicit-def: $vgpr32_vgpr33
	s_and_saveexec_b64 s[0:1], s[2:3]
	s_xor_b64 s[8:9], exec, s[0:1]
	s_cbranch_execz .LBB129_80
; %bb.79:
	s_mov_b32 s0, 0
	s_mov_b32 s1, 0x7b000000
	s_movk_i32 s10, 0xff80
	v_and_b32_e32 v5, 0x7fffffff, v3
	v_ldexp_f64 v[14:15], |v[2:3]|, s10
	v_cmp_ge_f64_e64 vcc, |v[2:3]|, s[0:1]
	v_trig_preop_f64 v[6:7], |v[2:3]|, 0
	v_trig_preop_f64 v[12:13], |v[2:3]|, 1
	v_cndmask_b32_e32 v15, v5, v15, vcc
	v_cndmask_b32_e32 v14, v2, v14, vcc
	v_mul_f64 v[32:33], v[6:7], v[14:15]
	v_mul_f64 v[30:31], v[12:13], v[14:15]
	v_fma_f64 v[6:7], v[6:7], v[14:15], -v[32:33]
	v_add_f64 v[34:35], v[30:31], v[6:7]
	v_add_f64 v[42:43], v[34:35], -v[30:31]
	v_add_f64 v[6:7], v[6:7], -v[42:43]
	;; [unrolled: 1-line block ×4, first 2 shown]
	v_fma_f64 v[12:13], v[12:13], v[14:15], -v[30:31]
	v_trig_preop_f64 v[30:31], |v[2:3]|, 2
	v_add_f64 v[6:7], v[6:7], v[42:43]
	v_mul_f64 v[42:43], v[30:31], v[14:15]
	v_add_f64 v[44:45], v[42:43], v[12:13]
	v_add_f64 v[36:37], v[32:33], v[34:35]
	v_add_f64 v[46:47], v[44:45], v[6:7]
	v_ldexp_f64 v[38:39], v[36:37], -2
	v_add_f64 v[32:33], v[36:37], -v[32:33]
	v_add_f64 v[36:37], v[46:47], -v[44:45]
	;; [unrolled: 1-line block ×5, first 2 shown]
	v_add_f64 v[6:7], v[6:7], v[36:37]
	v_add_f64 v[36:37], v[44:45], -v[42:43]
	v_add_f64 v[12:13], v[12:13], -v[36:37]
	v_add_f64 v[36:37], v[44:45], -v[36:37]
	v_add_f64 v[36:37], v[42:43], -v[36:37]
	v_add_f64 v[12:13], v[12:13], v[36:37]
	s_mov_b32 s0, 0
	v_fract_f64_e32 v[40:41], v[38:39]
	v_add_f64 v[6:7], v[12:13], v[6:7]
	v_fma_f64 v[12:13], v[30:31], v[14:15], -v[42:43]
	s_mov_b32 s1, 0x7ff00000
	v_add_f64 v[32:33], v[34:35], -v[32:33]
	v_add_f64 v[6:7], v[12:13], v[6:7]
	v_ldexp_f64 v[12:13], v[40:41], 2
	v_cmp_neq_f64_e64 vcc, |v[38:39]|, s[0:1]
	v_add_f64 v[34:35], v[32:33], v[46:47]
	v_mov_b32_e32 v5, 0x40100000
	v_cndmask_b32_e32 v13, 0, v13, vcc
	v_cndmask_b32_e32 v12, 0, v12, vcc
	v_add_f64 v[14:15], v[34:35], v[12:13]
	v_cmp_gt_f64_e32 vcc, 0, v[14:15]
	v_mov_b32_e32 v14, 0
	v_add_f64 v[32:33], v[34:35], -v[32:33]
	v_cndmask_b32_e32 v15, 0, v5, vcc
	v_add_f64 v[12:13], v[12:13], v[14:15]
	v_add_f64 v[30:31], v[34:35], v[12:13]
	v_cvt_i32_f64_e32 v5, v[30:31]
	v_cvt_f64_i32_e32 v[30:31], v5
	v_add_f64 v[12:13], v[12:13], -v[30:31]
	v_add_f64 v[30:31], v[34:35], v[12:13]
	v_cmp_le_f64_e32 vcc, 0.5, v[30:31]
	v_add_f64 v[32:33], v[46:47], -v[32:33]
	v_add_f64 v[12:13], v[30:31], -v[12:13]
	v_addc_co_u32_e64 v19, s[0:1], 0, v5, vcc
	v_mov_b32_e32 v5, 0x3ff00000
	v_add_f64 v[6:7], v[32:33], v[6:7]
	v_add_f64 v[12:13], v[34:35], -v[12:13]
	v_cndmask_b32_e32 v15, 0, v5, vcc
	v_add_f64 v[6:7], v[6:7], v[12:13]
	v_add_f64 v[12:13], v[30:31], -v[14:15]
	v_add_f64 v[14:15], v[12:13], v[6:7]
	s_mov_b32 s0, 0x54442d18
	v_add_f64 v[12:13], v[14:15], -v[12:13]
	s_mov_b32 s1, 0x3ff921fb
	v_add_f64 v[6:7], v[6:7], -v[12:13]
	v_mul_f64 v[12:13], v[14:15], s[0:1]
	s_mov_b32 s10, 0x33145c07
	v_fma_f64 v[32:33], v[14:15], s[0:1], -v[12:13]
	s_mov_b32 s11, 0x3c91a626
	v_fmac_f64_e32 v[32:33], s[10:11], v[14:15]
	v_fmac_f64_e32 v[32:33], s[0:1], v[6:7]
	v_add_f64 v[30:31], v[12:13], v[32:33]
	v_add_f64 v[6:7], v[30:31], -v[12:13]
	v_add_f64 v[32:33], v[32:33], -v[6:7]
	s_andn2_saveexec_b64 s[0:1], s[8:9]
	s_cbranch_execz .LBB129_82
	s_branch .LBB129_81
.LBB129_80:
	s_andn2_saveexec_b64 s[0:1], s[8:9]
	s_cbranch_execz .LBB129_82
.LBB129_81:
	s_mov_b32 s8, 0x6dc9c883
	s_mov_b32 s9, 0x3fe45f30
	v_mul_f64 v[6:7], |v[2:3]|, s[8:9]
	s_mov_b32 s8, 0x54442d18
	v_rndne_f64_e32 v[6:7], v[6:7]
	s_mov_b32 s9, 0xbff921fb
	v_fma_f64 v[12:13], v[6:7], s[8:9], |v[2:3]|
	s_mov_b32 s9, 0xbc91a626
	s_mov_b32 s8, 0x33145c00
	v_mul_f64 v[30:31], v[6:7], s[8:9]
	v_add_f64 v[34:35], v[12:13], v[30:31]
	v_fma_f64 v[14:15], s[8:9], v[6:7], v[12:13]
	s_mov_b32 s9, 0x3c91a626
	v_add_f64 v[12:13], v[12:13], -v[34:35]
	v_fma_f64 v[32:33], s[8:9], v[6:7], v[30:31]
	v_add_f64 v[12:13], v[12:13], v[30:31]
	v_add_f64 v[30:31], v[34:35], -v[14:15]
	v_add_f64 v[12:13], v[30:31], v[12:13]
	s_mov_b32 s8, 0x252049c0
	v_add_f64 v[12:13], v[12:13], -v[32:33]
	s_mov_b32 s9, 0xb97b839a
	v_fmac_f64_e32 v[12:13], s[8:9], v[6:7]
	v_add_f64 v[30:31], v[14:15], v[12:13]
	v_add_f64 v[14:15], v[30:31], -v[14:15]
	v_add_f64 v[32:33], v[12:13], -v[14:15]
	v_cvt_i32_f64_e32 v19, v[6:7]
.LBB129_82:
	s_or_b64 exec, exec, s[0:1]
                                        ; implicit-def: $vgpr21
                                        ; implicit-def: $vgpr34_vgpr35
                                        ; implicit-def: $vgpr36_vgpr37
	s_and_saveexec_b64 s[0:1], s[2:3]
	s_xor_b64 s[2:3], exec, s[0:1]
	s_cbranch_execz .LBB129_84
; %bb.83:
	s_mov_b32 s0, 0
	s_mov_b32 s1, 0x7b000000
	s_movk_i32 s8, 0xff80
	v_and_b32_e32 v5, 0x7fffffff, v3
	v_ldexp_f64 v[14:15], |v[2:3]|, s8
	v_cmp_ge_f64_e64 vcc, |v[2:3]|, s[0:1]
	v_trig_preop_f64 v[6:7], |v[2:3]|, 0
	v_trig_preop_f64 v[12:13], |v[2:3]|, 1
	v_cndmask_b32_e32 v15, v5, v15, vcc
	v_cndmask_b32_e32 v14, v2, v14, vcc
	v_mul_f64 v[36:37], v[6:7], v[14:15]
	v_mul_f64 v[34:35], v[12:13], v[14:15]
	v_fma_f64 v[6:7], v[6:7], v[14:15], -v[36:37]
	v_add_f64 v[38:39], v[34:35], v[6:7]
	v_add_f64 v[46:47], v[38:39], -v[34:35]
	v_add_f64 v[6:7], v[6:7], -v[46:47]
	;; [unrolled: 1-line block ×4, first 2 shown]
	v_fma_f64 v[12:13], v[12:13], v[14:15], -v[34:35]
	v_trig_preop_f64 v[34:35], |v[2:3]|, 2
	v_add_f64 v[6:7], v[6:7], v[46:47]
	v_mul_f64 v[46:47], v[34:35], v[14:15]
	v_add_f64 v[48:49], v[46:47], v[12:13]
	v_add_f64 v[40:41], v[36:37], v[38:39]
	;; [unrolled: 1-line block ×3, first 2 shown]
	v_ldexp_f64 v[42:43], v[40:41], -2
	v_add_f64 v[36:37], v[40:41], -v[36:37]
	v_add_f64 v[40:41], v[50:51], -v[48:49]
	;; [unrolled: 1-line block ×5, first 2 shown]
	v_add_f64 v[6:7], v[6:7], v[40:41]
	v_add_f64 v[40:41], v[48:49], -v[46:47]
	v_add_f64 v[12:13], v[12:13], -v[40:41]
	;; [unrolled: 1-line block ×4, first 2 shown]
	v_add_f64 v[12:13], v[12:13], v[40:41]
	s_mov_b32 s0, 0
	v_fract_f64_e32 v[44:45], v[42:43]
	v_add_f64 v[6:7], v[12:13], v[6:7]
	v_fma_f64 v[12:13], v[34:35], v[14:15], -v[46:47]
	s_mov_b32 s1, 0x7ff00000
	v_add_f64 v[36:37], v[38:39], -v[36:37]
	v_add_f64 v[6:7], v[12:13], v[6:7]
	v_ldexp_f64 v[12:13], v[44:45], 2
	v_cmp_neq_f64_e64 vcc, |v[42:43]|, s[0:1]
	v_add_f64 v[38:39], v[36:37], v[50:51]
	v_mov_b32_e32 v5, 0x40100000
	v_cndmask_b32_e32 v13, 0, v13, vcc
	v_cndmask_b32_e32 v12, 0, v12, vcc
	v_add_f64 v[14:15], v[38:39], v[12:13]
	v_cmp_gt_f64_e32 vcc, 0, v[14:15]
	v_mov_b32_e32 v14, 0
	v_add_f64 v[36:37], v[38:39], -v[36:37]
	v_cndmask_b32_e32 v15, 0, v5, vcc
	v_add_f64 v[12:13], v[12:13], v[14:15]
	v_add_f64 v[34:35], v[38:39], v[12:13]
	v_cvt_i32_f64_e32 v5, v[34:35]
	v_cvt_f64_i32_e32 v[34:35], v5
	v_add_f64 v[12:13], v[12:13], -v[34:35]
	v_add_f64 v[34:35], v[38:39], v[12:13]
	v_cmp_le_f64_e32 vcc, 0.5, v[34:35]
	v_add_f64 v[36:37], v[50:51], -v[36:37]
	v_add_f64 v[12:13], v[34:35], -v[12:13]
	v_addc_co_u32_e64 v21, s[0:1], 0, v5, vcc
	v_mov_b32_e32 v5, 0x3ff00000
	v_add_f64 v[6:7], v[36:37], v[6:7]
	v_add_f64 v[12:13], v[38:39], -v[12:13]
	v_cndmask_b32_e32 v15, 0, v5, vcc
	v_add_f64 v[6:7], v[6:7], v[12:13]
	v_add_f64 v[12:13], v[34:35], -v[14:15]
	v_add_f64 v[14:15], v[12:13], v[6:7]
	s_mov_b32 s0, 0x54442d18
	v_add_f64 v[12:13], v[14:15], -v[12:13]
	s_mov_b32 s1, 0x3ff921fb
	v_add_f64 v[6:7], v[6:7], -v[12:13]
	v_mul_f64 v[12:13], v[14:15], s[0:1]
	s_mov_b32 s8, 0x33145c07
	v_fma_f64 v[36:37], v[14:15], s[0:1], -v[12:13]
	s_mov_b32 s9, 0x3c91a626
	v_fmac_f64_e32 v[36:37], s[8:9], v[14:15]
	v_fmac_f64_e32 v[36:37], s[0:1], v[6:7]
	v_add_f64 v[34:35], v[12:13], v[36:37]
	v_add_f64 v[6:7], v[34:35], -v[12:13]
	v_add_f64 v[36:37], v[36:37], -v[6:7]
	s_andn2_saveexec_b64 s[0:1], s[2:3]
	s_cbranch_execnz .LBB129_85
	s_branch .LBB129_86
.LBB129_84:
	s_andn2_saveexec_b64 s[0:1], s[2:3]
	s_cbranch_execz .LBB129_86
.LBB129_85:
	s_mov_b32 s2, 0x6dc9c883
	s_mov_b32 s3, 0x3fe45f30
	v_mul_f64 v[6:7], |v[2:3]|, s[2:3]
	s_mov_b32 s2, 0x54442d18
	v_rndne_f64_e32 v[6:7], v[6:7]
	s_mov_b32 s3, 0xbff921fb
	v_fma_f64 v[12:13], v[6:7], s[2:3], |v[2:3]|
	s_mov_b32 s3, 0xbc91a626
	s_mov_b32 s2, 0x33145c00
	v_mul_f64 v[34:35], v[6:7], s[2:3]
	v_add_f64 v[38:39], v[12:13], v[34:35]
	v_fma_f64 v[14:15], s[2:3], v[6:7], v[12:13]
	s_mov_b32 s3, 0x3c91a626
	v_add_f64 v[12:13], v[12:13], -v[38:39]
	v_fma_f64 v[36:37], s[2:3], v[6:7], v[34:35]
	v_add_f64 v[12:13], v[12:13], v[34:35]
	v_add_f64 v[34:35], v[38:39], -v[14:15]
	v_add_f64 v[12:13], v[34:35], v[12:13]
	s_mov_b32 s2, 0x252049c0
	v_add_f64 v[12:13], v[12:13], -v[36:37]
	s_mov_b32 s3, 0xb97b839a
	v_fmac_f64_e32 v[12:13], s[2:3], v[6:7]
	v_add_f64 v[34:35], v[14:15], v[12:13]
	v_add_f64 v[14:15], v[34:35], -v[14:15]
	v_add_f64 v[36:37], v[12:13], -v[14:15]
	v_cvt_i32_f64_e32 v21, v[6:7]
.LBB129_86:
	s_or_b64 exec, exec, s[0:1]
	global_load_dwordx4 v[4:7], v4, s[6:7]
	s_mov_b32 s0, 0
	s_mov_b32 s1, 0x41d00000
                                        ; implicit-def: $vgpr23
                                        ; implicit-def: $vgpr40_vgpr41
                                        ; implicit-def: $vgpr42_vgpr43
	s_waitcnt vmcnt(0)
	v_mul_f64 v[38:39], v[6:7], 0.5
	v_cmp_nlt_f64_e64 s[0:1], |v[38:39]|, s[0:1]
	s_and_saveexec_b64 s[2:3], s[0:1]
	s_xor_b64 s[2:3], exec, s[2:3]
	s_cbranch_execz .LBB129_88
; %bb.87:
	s_mov_b32 s0, 0
	s_mov_b32 s1, 0x7b000000
	s_movk_i32 s8, 0xff80
	v_and_b32_e32 v9, 0x7fffffff, v39
	v_ldexp_f64 v[40:41], |v[38:39]|, s8
	v_cmp_ge_f64_e64 vcc, |v[38:39]|, s[0:1]
	v_trig_preop_f64 v[12:13], |v[38:39]|, 0
	v_trig_preop_f64 v[14:15], |v[38:39]|, 1
	v_cndmask_b32_e32 v41, v9, v41, vcc
	v_cndmask_b32_e32 v40, v38, v40, vcc
	v_mul_f64 v[44:45], v[12:13], v[40:41]
	v_mul_f64 v[42:43], v[14:15], v[40:41]
	v_fma_f64 v[12:13], v[12:13], v[40:41], -v[44:45]
	v_add_f64 v[46:47], v[42:43], v[12:13]
	v_add_f64 v[54:55], v[46:47], -v[42:43]
	v_add_f64 v[12:13], v[12:13], -v[54:55]
	v_add_f64 v[54:55], v[46:47], -v[54:55]
	v_add_f64 v[54:55], v[42:43], -v[54:55]
	v_fma_f64 v[14:15], v[14:15], v[40:41], -v[42:43]
	v_trig_preop_f64 v[42:43], |v[38:39]|, 2
	v_add_f64 v[12:13], v[12:13], v[54:55]
	v_mul_f64 v[54:55], v[42:43], v[40:41]
	v_add_f64 v[56:57], v[54:55], v[14:15]
	v_add_f64 v[48:49], v[44:45], v[46:47]
	;; [unrolled: 1-line block ×3, first 2 shown]
	v_ldexp_f64 v[50:51], v[48:49], -2
	v_add_f64 v[44:45], v[48:49], -v[44:45]
	v_add_f64 v[48:49], v[58:59], -v[56:57]
	;; [unrolled: 1-line block ×5, first 2 shown]
	v_add_f64 v[12:13], v[12:13], v[48:49]
	v_add_f64 v[48:49], v[56:57], -v[54:55]
	v_add_f64 v[14:15], v[14:15], -v[48:49]
	v_add_f64 v[48:49], v[56:57], -v[48:49]
	v_add_f64 v[48:49], v[54:55], -v[48:49]
	v_add_f64 v[14:15], v[14:15], v[48:49]
	s_mov_b32 s0, 0
	v_fract_f64_e32 v[52:53], v[50:51]
	v_add_f64 v[12:13], v[14:15], v[12:13]
	v_fma_f64 v[14:15], v[42:43], v[40:41], -v[54:55]
	s_mov_b32 s1, 0x7ff00000
	v_add_f64 v[44:45], v[46:47], -v[44:45]
	v_add_f64 v[12:13], v[14:15], v[12:13]
	v_ldexp_f64 v[14:15], v[52:53], 2
	v_cmp_neq_f64_e64 vcc, |v[50:51]|, s[0:1]
	v_add_f64 v[46:47], v[44:45], v[58:59]
	v_mov_b32_e32 v9, 0x40100000
	v_cndmask_b32_e32 v15, 0, v15, vcc
	v_cndmask_b32_e32 v14, 0, v14, vcc
	v_add_f64 v[40:41], v[46:47], v[14:15]
	v_cmp_gt_f64_e32 vcc, 0, v[40:41]
	v_mov_b32_e32 v40, 0
	v_add_f64 v[44:45], v[46:47], -v[44:45]
	v_cndmask_b32_e32 v41, 0, v9, vcc
	v_add_f64 v[14:15], v[14:15], v[40:41]
	v_add_f64 v[42:43], v[46:47], v[14:15]
	v_cvt_i32_f64_e32 v9, v[42:43]
	v_cvt_f64_i32_e32 v[42:43], v9
	v_add_f64 v[14:15], v[14:15], -v[42:43]
	v_add_f64 v[42:43], v[46:47], v[14:15]
	v_cmp_le_f64_e32 vcc, 0.5, v[42:43]
	v_add_f64 v[44:45], v[58:59], -v[44:45]
	v_add_f64 v[14:15], v[42:43], -v[14:15]
	v_addc_co_u32_e64 v23, s[0:1], 0, v9, vcc
	v_mov_b32_e32 v9, 0x3ff00000
	v_add_f64 v[12:13], v[44:45], v[12:13]
	v_add_f64 v[14:15], v[46:47], -v[14:15]
	v_cndmask_b32_e32 v41, 0, v9, vcc
	v_add_f64 v[12:13], v[12:13], v[14:15]
	v_add_f64 v[14:15], v[42:43], -v[40:41]
	v_add_f64 v[40:41], v[14:15], v[12:13]
	s_mov_b32 s0, 0x54442d18
	v_add_f64 v[14:15], v[40:41], -v[14:15]
	s_mov_b32 s1, 0x3ff921fb
	v_add_f64 v[12:13], v[12:13], -v[14:15]
	v_mul_f64 v[14:15], v[40:41], s[0:1]
	s_mov_b32 s8, 0x33145c07
	v_fma_f64 v[42:43], v[40:41], s[0:1], -v[14:15]
	s_mov_b32 s9, 0x3c91a626
	v_fmac_f64_e32 v[42:43], s[8:9], v[40:41]
	v_fmac_f64_e32 v[42:43], s[0:1], v[12:13]
	v_add_f64 v[40:41], v[14:15], v[42:43]
	v_add_f64 v[12:13], v[40:41], -v[14:15]
	v_add_f64 v[42:43], v[42:43], -v[12:13]
.LBB129_88:
	s_andn2_saveexec_b64 s[0:1], s[2:3]
	s_cbranch_execz .LBB129_90
; %bb.89:
	s_mov_b32 s2, 0x6dc9c883
	s_mov_b32 s3, 0x3fe45f30
	v_mul_f64 v[12:13], |v[38:39]|, s[2:3]
	s_mov_b32 s2, 0x54442d18
	v_rndne_f64_e32 v[12:13], v[12:13]
	s_mov_b32 s3, 0xbff921fb
	v_fma_f64 v[14:15], v[12:13], s[2:3], |v[38:39]|
	s_mov_b32 s3, 0xbc91a626
	s_mov_b32 s2, 0x33145c00
	v_mul_f64 v[40:41], v[12:13], s[2:3]
	v_add_f64 v[46:47], v[14:15], v[40:41]
	v_fma_f64 v[42:43], s[2:3], v[12:13], v[14:15]
	s_mov_b32 s3, 0x3c91a626
	v_add_f64 v[14:15], v[14:15], -v[46:47]
	v_fma_f64 v[44:45], s[2:3], v[12:13], v[40:41]
	v_add_f64 v[14:15], v[14:15], v[40:41]
	v_add_f64 v[40:41], v[46:47], -v[42:43]
	v_add_f64 v[14:15], v[40:41], v[14:15]
	s_mov_b32 s2, 0x252049c0
	v_add_f64 v[14:15], v[14:15], -v[44:45]
	s_mov_b32 s3, 0xb97b839a
	v_fmac_f64_e32 v[14:15], s[2:3], v[12:13]
	v_add_f64 v[40:41], v[42:43], v[14:15]
	v_add_f64 v[42:43], v[40:41], -v[42:43]
	v_add_f64 v[42:43], v[14:15], -v[42:43]
	v_cvt_i32_f64_e32 v23, v[12:13]
.LBB129_90:
	s_or_b64 exec, exec, s[0:1]
	s_mov_b32 s0, 0
	s_mov_b32 s1, 0x41d00000
	v_cmp_nlt_f64_e64 s[2:3], |v[6:7]|, s[0:1]
                                        ; implicit-def: $vgpr90
                                        ; implicit-def: $vgpr44_vgpr45
                                        ; implicit-def: $vgpr46_vgpr47
	s_and_saveexec_b64 s[0:1], s[2:3]
	s_xor_b64 s[8:9], exec, s[0:1]
	s_cbranch_execz .LBB129_92
; %bb.91:
	s_mov_b32 s0, 0
	s_mov_b32 s1, 0x7b000000
	s_movk_i32 s10, 0xff80
	v_and_b32_e32 v9, 0x7fffffff, v7
	v_ldexp_f64 v[44:45], |v[6:7]|, s10
	v_cmp_ge_f64_e64 vcc, |v[6:7]|, s[0:1]
	v_trig_preop_f64 v[12:13], |v[6:7]|, 0
	v_trig_preop_f64 v[14:15], |v[6:7]|, 1
	v_cndmask_b32_e32 v45, v9, v45, vcc
	v_cndmask_b32_e32 v44, v6, v44, vcc
	v_mul_f64 v[48:49], v[12:13], v[44:45]
	v_mul_f64 v[46:47], v[14:15], v[44:45]
	v_fma_f64 v[12:13], v[12:13], v[44:45], -v[48:49]
	v_add_f64 v[50:51], v[46:47], v[12:13]
	v_add_f64 v[58:59], v[50:51], -v[46:47]
	v_add_f64 v[12:13], v[12:13], -v[58:59]
	;; [unrolled: 1-line block ×4, first 2 shown]
	v_fma_f64 v[14:15], v[14:15], v[44:45], -v[46:47]
	v_trig_preop_f64 v[46:47], |v[6:7]|, 2
	v_add_f64 v[12:13], v[12:13], v[58:59]
	v_mul_f64 v[58:59], v[46:47], v[44:45]
	v_add_f64 v[60:61], v[58:59], v[14:15]
	v_add_f64 v[52:53], v[48:49], v[50:51]
	;; [unrolled: 1-line block ×3, first 2 shown]
	v_ldexp_f64 v[54:55], v[52:53], -2
	v_add_f64 v[48:49], v[52:53], -v[48:49]
	v_add_f64 v[52:53], v[62:63], -v[60:61]
	;; [unrolled: 1-line block ×5, first 2 shown]
	v_add_f64 v[12:13], v[12:13], v[52:53]
	v_add_f64 v[52:53], v[60:61], -v[58:59]
	v_add_f64 v[14:15], v[14:15], -v[52:53]
	;; [unrolled: 1-line block ×4, first 2 shown]
	v_add_f64 v[14:15], v[14:15], v[52:53]
	s_mov_b32 s0, 0
	v_fract_f64_e32 v[56:57], v[54:55]
	v_add_f64 v[12:13], v[14:15], v[12:13]
	v_fma_f64 v[14:15], v[46:47], v[44:45], -v[58:59]
	s_mov_b32 s1, 0x7ff00000
	v_add_f64 v[48:49], v[50:51], -v[48:49]
	v_add_f64 v[12:13], v[14:15], v[12:13]
	v_ldexp_f64 v[14:15], v[56:57], 2
	v_cmp_neq_f64_e64 vcc, |v[54:55]|, s[0:1]
	v_add_f64 v[50:51], v[48:49], v[62:63]
	v_mov_b32_e32 v9, 0x40100000
	v_cndmask_b32_e32 v15, 0, v15, vcc
	v_cndmask_b32_e32 v14, 0, v14, vcc
	v_add_f64 v[44:45], v[50:51], v[14:15]
	v_cmp_gt_f64_e32 vcc, 0, v[44:45]
	v_mov_b32_e32 v44, 0
	v_add_f64 v[48:49], v[50:51], -v[48:49]
	v_cndmask_b32_e32 v45, 0, v9, vcc
	v_add_f64 v[14:15], v[14:15], v[44:45]
	v_add_f64 v[46:47], v[50:51], v[14:15]
	v_cvt_i32_f64_e32 v9, v[46:47]
	v_cvt_f64_i32_e32 v[46:47], v9
	v_add_f64 v[14:15], v[14:15], -v[46:47]
	v_add_f64 v[46:47], v[50:51], v[14:15]
	v_cmp_le_f64_e32 vcc, 0.5, v[46:47]
	v_add_f64 v[48:49], v[62:63], -v[48:49]
	v_add_f64 v[14:15], v[46:47], -v[14:15]
	v_addc_co_u32_e64 v90, s[0:1], 0, v9, vcc
	v_mov_b32_e32 v9, 0x3ff00000
	v_add_f64 v[12:13], v[48:49], v[12:13]
	v_add_f64 v[14:15], v[50:51], -v[14:15]
	v_cndmask_b32_e32 v45, 0, v9, vcc
	v_add_f64 v[12:13], v[12:13], v[14:15]
	v_add_f64 v[14:15], v[46:47], -v[44:45]
	v_add_f64 v[44:45], v[14:15], v[12:13]
	s_mov_b32 s0, 0x54442d18
	v_add_f64 v[14:15], v[44:45], -v[14:15]
	s_mov_b32 s1, 0x3ff921fb
	v_add_f64 v[12:13], v[12:13], -v[14:15]
	v_mul_f64 v[14:15], v[44:45], s[0:1]
	s_mov_b32 s10, 0x33145c07
	v_fma_f64 v[46:47], v[44:45], s[0:1], -v[14:15]
	s_mov_b32 s11, 0x3c91a626
	v_fmac_f64_e32 v[46:47], s[10:11], v[44:45]
	v_fmac_f64_e32 v[46:47], s[0:1], v[12:13]
	v_add_f64 v[44:45], v[14:15], v[46:47]
	v_add_f64 v[12:13], v[44:45], -v[14:15]
	v_add_f64 v[46:47], v[46:47], -v[12:13]
	s_andn2_saveexec_b64 s[0:1], s[8:9]
	s_cbranch_execz .LBB129_94
	s_branch .LBB129_93
.LBB129_92:
	s_andn2_saveexec_b64 s[0:1], s[8:9]
	s_cbranch_execz .LBB129_94
.LBB129_93:
	s_mov_b32 s8, 0x6dc9c883
	s_mov_b32 s9, 0x3fe45f30
	v_mul_f64 v[12:13], |v[6:7]|, s[8:9]
	s_mov_b32 s8, 0x54442d18
	v_rndne_f64_e32 v[12:13], v[12:13]
	s_mov_b32 s9, 0xbff921fb
	v_fma_f64 v[14:15], v[12:13], s[8:9], |v[6:7]|
	s_mov_b32 s9, 0xbc91a626
	s_mov_b32 s8, 0x33145c00
	v_mul_f64 v[44:45], v[12:13], s[8:9]
	v_add_f64 v[50:51], v[14:15], v[44:45]
	v_fma_f64 v[46:47], s[8:9], v[12:13], v[14:15]
	s_mov_b32 s9, 0x3c91a626
	v_add_f64 v[14:15], v[14:15], -v[50:51]
	v_fma_f64 v[48:49], s[8:9], v[12:13], v[44:45]
	v_add_f64 v[14:15], v[14:15], v[44:45]
	v_add_f64 v[44:45], v[50:51], -v[46:47]
	v_add_f64 v[14:15], v[44:45], v[14:15]
	s_mov_b32 s8, 0x252049c0
	v_add_f64 v[14:15], v[14:15], -v[48:49]
	s_mov_b32 s9, 0xb97b839a
	v_fmac_f64_e32 v[14:15], s[8:9], v[12:13]
	v_add_f64 v[44:45], v[46:47], v[14:15]
	v_add_f64 v[46:47], v[44:45], -v[46:47]
	v_add_f64 v[46:47], v[14:15], -v[46:47]
	v_cvt_i32_f64_e32 v90, v[12:13]
.LBB129_94:
	s_or_b64 exec, exec, s[0:1]
                                        ; implicit-def: $vgpr91
                                        ; implicit-def: $vgpr48_vgpr49
                                        ; implicit-def: $vgpr50_vgpr51
	s_and_saveexec_b64 s[0:1], s[2:3]
	s_xor_b64 s[2:3], exec, s[0:1]
	s_cbranch_execz .LBB129_96
; %bb.95:
	s_mov_b32 s0, 0
	s_mov_b32 s1, 0x7b000000
	s_movk_i32 s8, 0xff80
	v_and_b32_e32 v9, 0x7fffffff, v7
	v_ldexp_f64 v[48:49], |v[6:7]|, s8
	v_cmp_ge_f64_e64 vcc, |v[6:7]|, s[0:1]
	v_trig_preop_f64 v[12:13], |v[6:7]|, 0
	v_trig_preop_f64 v[14:15], |v[6:7]|, 1
	v_cndmask_b32_e32 v49, v9, v49, vcc
	v_cndmask_b32_e32 v48, v6, v48, vcc
	v_mul_f64 v[52:53], v[12:13], v[48:49]
	v_mul_f64 v[50:51], v[14:15], v[48:49]
	v_fma_f64 v[12:13], v[12:13], v[48:49], -v[52:53]
	v_add_f64 v[54:55], v[50:51], v[12:13]
	v_add_f64 v[62:63], v[54:55], -v[50:51]
	v_add_f64 v[12:13], v[12:13], -v[62:63]
	v_add_f64 v[62:63], v[54:55], -v[62:63]
	v_add_f64 v[62:63], v[50:51], -v[62:63]
	v_fma_f64 v[14:15], v[14:15], v[48:49], -v[50:51]
	v_trig_preop_f64 v[50:51], |v[6:7]|, 2
	v_add_f64 v[12:13], v[12:13], v[62:63]
	v_mul_f64 v[62:63], v[50:51], v[48:49]
	v_add_f64 v[64:65], v[62:63], v[14:15]
	v_add_f64 v[56:57], v[52:53], v[54:55]
	;; [unrolled: 1-line block ×3, first 2 shown]
	v_ldexp_f64 v[58:59], v[56:57], -2
	v_add_f64 v[52:53], v[56:57], -v[52:53]
	v_add_f64 v[56:57], v[66:67], -v[64:65]
	;; [unrolled: 1-line block ×5, first 2 shown]
	v_add_f64 v[12:13], v[12:13], v[56:57]
	v_add_f64 v[56:57], v[64:65], -v[62:63]
	v_add_f64 v[14:15], v[14:15], -v[56:57]
	v_add_f64 v[56:57], v[64:65], -v[56:57]
	v_add_f64 v[56:57], v[62:63], -v[56:57]
	v_add_f64 v[14:15], v[14:15], v[56:57]
	s_mov_b32 s0, 0
	v_fract_f64_e32 v[60:61], v[58:59]
	v_add_f64 v[12:13], v[14:15], v[12:13]
	v_fma_f64 v[14:15], v[50:51], v[48:49], -v[62:63]
	s_mov_b32 s1, 0x7ff00000
	v_add_f64 v[52:53], v[54:55], -v[52:53]
	v_add_f64 v[12:13], v[14:15], v[12:13]
	v_ldexp_f64 v[14:15], v[60:61], 2
	v_cmp_neq_f64_e64 vcc, |v[58:59]|, s[0:1]
	v_add_f64 v[54:55], v[52:53], v[66:67]
	v_mov_b32_e32 v9, 0x40100000
	v_cndmask_b32_e32 v15, 0, v15, vcc
	v_cndmask_b32_e32 v14, 0, v14, vcc
	v_add_f64 v[48:49], v[54:55], v[14:15]
	v_cmp_gt_f64_e32 vcc, 0, v[48:49]
	v_mov_b32_e32 v48, 0
	v_add_f64 v[52:53], v[54:55], -v[52:53]
	v_cndmask_b32_e32 v49, 0, v9, vcc
	v_add_f64 v[14:15], v[14:15], v[48:49]
	v_add_f64 v[50:51], v[54:55], v[14:15]
	v_cvt_i32_f64_e32 v9, v[50:51]
	v_cvt_f64_i32_e32 v[50:51], v9
	v_add_f64 v[14:15], v[14:15], -v[50:51]
	v_add_f64 v[50:51], v[54:55], v[14:15]
	v_cmp_le_f64_e32 vcc, 0.5, v[50:51]
	v_add_f64 v[52:53], v[66:67], -v[52:53]
	v_add_f64 v[14:15], v[50:51], -v[14:15]
	v_addc_co_u32_e64 v91, s[0:1], 0, v9, vcc
	v_mov_b32_e32 v9, 0x3ff00000
	v_add_f64 v[12:13], v[52:53], v[12:13]
	v_add_f64 v[14:15], v[54:55], -v[14:15]
	v_cndmask_b32_e32 v49, 0, v9, vcc
	v_add_f64 v[12:13], v[12:13], v[14:15]
	v_add_f64 v[14:15], v[50:51], -v[48:49]
	v_add_f64 v[48:49], v[14:15], v[12:13]
	s_mov_b32 s0, 0x54442d18
	v_add_f64 v[14:15], v[48:49], -v[14:15]
	s_mov_b32 s1, 0x3ff921fb
	v_add_f64 v[12:13], v[12:13], -v[14:15]
	v_mul_f64 v[14:15], v[48:49], s[0:1]
	s_mov_b32 s8, 0x33145c07
	v_fma_f64 v[50:51], v[48:49], s[0:1], -v[14:15]
	s_mov_b32 s9, 0x3c91a626
	v_fmac_f64_e32 v[50:51], s[8:9], v[48:49]
	v_fmac_f64_e32 v[50:51], s[0:1], v[12:13]
	v_add_f64 v[48:49], v[14:15], v[50:51]
	v_add_f64 v[12:13], v[48:49], -v[14:15]
	v_add_f64 v[50:51], v[50:51], -v[12:13]
	s_andn2_saveexec_b64 s[0:1], s[2:3]
	s_cbranch_execnz .LBB129_97
	s_branch .LBB129_98
.LBB129_96:
	s_andn2_saveexec_b64 s[0:1], s[2:3]
	s_cbranch_execz .LBB129_98
.LBB129_97:
	s_mov_b32 s2, 0x6dc9c883
	s_mov_b32 s3, 0x3fe45f30
	v_mul_f64 v[12:13], |v[6:7]|, s[2:3]
	s_mov_b32 s2, 0x54442d18
	v_rndne_f64_e32 v[12:13], v[12:13]
	s_mov_b32 s3, 0xbff921fb
	v_fma_f64 v[14:15], v[12:13], s[2:3], |v[6:7]|
	s_mov_b32 s3, 0xbc91a626
	s_mov_b32 s2, 0x33145c00
	v_mul_f64 v[48:49], v[12:13], s[2:3]
	v_add_f64 v[54:55], v[14:15], v[48:49]
	v_fma_f64 v[50:51], s[2:3], v[12:13], v[14:15]
	s_mov_b32 s3, 0x3c91a626
	v_add_f64 v[14:15], v[14:15], -v[54:55]
	v_fma_f64 v[52:53], s[2:3], v[12:13], v[48:49]
	v_add_f64 v[14:15], v[14:15], v[48:49]
	v_add_f64 v[48:49], v[54:55], -v[50:51]
	v_add_f64 v[14:15], v[48:49], v[14:15]
	s_mov_b32 s2, 0x252049c0
	v_add_f64 v[14:15], v[14:15], -v[52:53]
	s_mov_b32 s3, 0xb97b839a
	v_fmac_f64_e32 v[14:15], s[2:3], v[12:13]
	v_add_f64 v[48:49], v[50:51], v[14:15]
	v_add_f64 v[50:51], v[48:49], -v[50:51]
	v_add_f64 v[50:51], v[14:15], -v[50:51]
	v_cvt_i32_f64_e32 v91, v[12:13]
.LBB129_98:
	s_or_b64 exec, exec, s[0:1]
	global_load_dwordx4 v[12:15], v10, s[6:7]
	s_mov_b32 s0, 0
	s_mov_b32 s1, 0x41d00000
                                        ; implicit-def: $vgpr93
                                        ; implicit-def: $vgpr60_vgpr61
                                        ; implicit-def: $vgpr62_vgpr63
	s_waitcnt vmcnt(0)
	v_mul_f64 v[54:55], v[14:15], 0.5
	v_cmp_nlt_f64_e64 s[0:1], |v[54:55]|, s[0:1]
	s_and_saveexec_b64 s[2:3], s[0:1]
	s_xor_b64 s[2:3], exec, s[2:3]
	s_cbranch_execz .LBB129_100
; %bb.99:
	s_mov_b32 s0, 0
	s_mov_b32 s1, 0x7b000000
	s_movk_i32 s8, 0xff80
	v_and_b32_e32 v9, 0x7fffffff, v55
	v_ldexp_f64 v[56:57], |v[54:55]|, s8
	v_cmp_ge_f64_e64 vcc, |v[54:55]|, s[0:1]
	v_trig_preop_f64 v[10:11], |v[54:55]|, 0
	v_trig_preop_f64 v[52:53], |v[54:55]|, 1
	v_cndmask_b32_e32 v57, v9, v57, vcc
	v_cndmask_b32_e32 v56, v54, v56, vcc
	v_mul_f64 v[60:61], v[10:11], v[56:57]
	v_mul_f64 v[58:59], v[52:53], v[56:57]
	v_fma_f64 v[10:11], v[10:11], v[56:57], -v[60:61]
	v_add_f64 v[62:63], v[58:59], v[10:11]
	v_add_f64 v[70:71], v[62:63], -v[58:59]
	v_add_f64 v[10:11], v[10:11], -v[70:71]
	;; [unrolled: 1-line block ×4, first 2 shown]
	v_fma_f64 v[52:53], v[52:53], v[56:57], -v[58:59]
	v_trig_preop_f64 v[58:59], |v[54:55]|, 2
	v_add_f64 v[10:11], v[10:11], v[70:71]
	v_mul_f64 v[70:71], v[58:59], v[56:57]
	v_add_f64 v[72:73], v[70:71], v[52:53]
	v_add_f64 v[64:65], v[60:61], v[62:63]
	;; [unrolled: 1-line block ×3, first 2 shown]
	v_ldexp_f64 v[66:67], v[64:65], -2
	v_add_f64 v[60:61], v[64:65], -v[60:61]
	v_add_f64 v[64:65], v[74:75], -v[72:73]
	;; [unrolled: 1-line block ×5, first 2 shown]
	v_add_f64 v[10:11], v[10:11], v[64:65]
	v_add_f64 v[64:65], v[72:73], -v[70:71]
	v_add_f64 v[52:53], v[52:53], -v[64:65]
	;; [unrolled: 1-line block ×4, first 2 shown]
	v_add_f64 v[52:53], v[52:53], v[64:65]
	s_mov_b32 s0, 0
	v_fract_f64_e32 v[68:69], v[66:67]
	v_add_f64 v[10:11], v[52:53], v[10:11]
	v_fma_f64 v[52:53], v[58:59], v[56:57], -v[70:71]
	s_mov_b32 s1, 0x7ff00000
	v_add_f64 v[60:61], v[62:63], -v[60:61]
	v_add_f64 v[10:11], v[52:53], v[10:11]
	v_ldexp_f64 v[52:53], v[68:69], 2
	v_cmp_neq_f64_e64 vcc, |v[66:67]|, s[0:1]
	v_add_f64 v[62:63], v[60:61], v[74:75]
	v_mov_b32_e32 v9, 0x40100000
	v_cndmask_b32_e32 v53, 0, v53, vcc
	v_cndmask_b32_e32 v52, 0, v52, vcc
	v_add_f64 v[56:57], v[62:63], v[52:53]
	v_cmp_gt_f64_e32 vcc, 0, v[56:57]
	v_mov_b32_e32 v56, 0
	v_add_f64 v[60:61], v[62:63], -v[60:61]
	v_cndmask_b32_e32 v57, 0, v9, vcc
	v_add_f64 v[52:53], v[52:53], v[56:57]
	v_add_f64 v[58:59], v[62:63], v[52:53]
	v_cvt_i32_f64_e32 v9, v[58:59]
	v_cvt_f64_i32_e32 v[58:59], v9
	v_add_f64 v[52:53], v[52:53], -v[58:59]
	v_add_f64 v[58:59], v[62:63], v[52:53]
	v_cmp_le_f64_e32 vcc, 0.5, v[58:59]
	v_add_f64 v[60:61], v[74:75], -v[60:61]
	v_add_f64 v[52:53], v[58:59], -v[52:53]
	v_addc_co_u32_e64 v93, s[0:1], 0, v9, vcc
	v_mov_b32_e32 v9, 0x3ff00000
	v_add_f64 v[10:11], v[60:61], v[10:11]
	v_add_f64 v[52:53], v[62:63], -v[52:53]
	v_cndmask_b32_e32 v57, 0, v9, vcc
	v_add_f64 v[10:11], v[10:11], v[52:53]
	v_add_f64 v[52:53], v[58:59], -v[56:57]
	v_add_f64 v[56:57], v[52:53], v[10:11]
	s_mov_b32 s0, 0x54442d18
	v_add_f64 v[52:53], v[56:57], -v[52:53]
	s_mov_b32 s1, 0x3ff921fb
	v_add_f64 v[10:11], v[10:11], -v[52:53]
	v_mul_f64 v[52:53], v[56:57], s[0:1]
	s_mov_b32 s8, 0x33145c07
	v_fma_f64 v[58:59], v[56:57], s[0:1], -v[52:53]
	s_mov_b32 s9, 0x3c91a626
	v_fmac_f64_e32 v[58:59], s[8:9], v[56:57]
	v_fmac_f64_e32 v[58:59], s[0:1], v[10:11]
	v_add_f64 v[60:61], v[52:53], v[58:59]
	v_add_f64 v[10:11], v[60:61], -v[52:53]
	v_add_f64 v[62:63], v[58:59], -v[10:11]
.LBB129_100:
	s_andn2_saveexec_b64 s[0:1], s[2:3]
	s_cbranch_execz .LBB129_102
; %bb.101:
	s_mov_b32 s2, 0x6dc9c883
	s_mov_b32 s3, 0x3fe45f30
	v_mul_f64 v[10:11], |v[54:55]|, s[2:3]
	s_mov_b32 s2, 0x54442d18
	v_rndne_f64_e32 v[10:11], v[10:11]
	s_mov_b32 s3, 0xbff921fb
	v_fma_f64 v[52:53], v[10:11], s[2:3], |v[54:55]|
	s_mov_b32 s3, 0xbc91a626
	s_mov_b32 s2, 0x33145c00
	v_mul_f64 v[58:59], v[10:11], s[2:3]
	v_add_f64 v[62:63], v[52:53], v[58:59]
	v_fma_f64 v[56:57], s[2:3], v[10:11], v[52:53]
	s_mov_b32 s3, 0x3c91a626
	v_add_f64 v[52:53], v[52:53], -v[62:63]
	v_fma_f64 v[60:61], s[2:3], v[10:11], v[58:59]
	v_add_f64 v[52:53], v[52:53], v[58:59]
	v_add_f64 v[58:59], v[62:63], -v[56:57]
	v_add_f64 v[52:53], v[58:59], v[52:53]
	s_mov_b32 s2, 0x252049c0
	v_add_f64 v[52:53], v[52:53], -v[60:61]
	s_mov_b32 s3, 0xb97b839a
	v_fmac_f64_e32 v[52:53], s[2:3], v[10:11]
	v_add_f64 v[60:61], v[56:57], v[52:53]
	v_add_f64 v[56:57], v[60:61], -v[56:57]
	v_add_f64 v[62:63], v[52:53], -v[56:57]
	v_cvt_i32_f64_e32 v93, v[10:11]
.LBB129_102:
	s_or_b64 exec, exec, s[0:1]
	s_mov_b32 s0, 0
	s_mov_b32 s1, 0x41d00000
	v_cmp_nlt_f64_e64 s[2:3], |v[14:15]|, s[0:1]
                                        ; implicit-def: $vgpr95
                                        ; implicit-def: $vgpr68_vgpr69
                                        ; implicit-def: $vgpr70_vgpr71
	s_and_saveexec_b64 s[0:1], s[2:3]
	s_xor_b64 s[8:9], exec, s[0:1]
	s_cbranch_execz .LBB129_104
; %bb.103:
	s_mov_b32 s0, 0
	s_mov_b32 s1, 0x7b000000
	s_movk_i32 s10, 0xff80
	v_and_b32_e32 v9, 0x7fffffff, v15
	v_ldexp_f64 v[56:57], |v[14:15]|, s10
	v_cmp_ge_f64_e64 vcc, |v[14:15]|, s[0:1]
	v_trig_preop_f64 v[10:11], |v[14:15]|, 0
	v_trig_preop_f64 v[52:53], |v[14:15]|, 1
	v_cndmask_b32_e32 v57, v9, v57, vcc
	v_cndmask_b32_e32 v56, v14, v56, vcc
	v_mul_f64 v[64:65], v[10:11], v[56:57]
	v_mul_f64 v[58:59], v[52:53], v[56:57]
	v_fma_f64 v[10:11], v[10:11], v[56:57], -v[64:65]
	v_add_f64 v[66:67], v[58:59], v[10:11]
	v_add_f64 v[74:75], v[66:67], -v[58:59]
	v_add_f64 v[10:11], v[10:11], -v[74:75]
	;; [unrolled: 1-line block ×4, first 2 shown]
	v_fma_f64 v[52:53], v[52:53], v[56:57], -v[58:59]
	v_trig_preop_f64 v[58:59], |v[14:15]|, 2
	v_add_f64 v[10:11], v[10:11], v[74:75]
	v_mul_f64 v[74:75], v[58:59], v[56:57]
	v_add_f64 v[76:77], v[74:75], v[52:53]
	v_add_f64 v[68:69], v[64:65], v[66:67]
	;; [unrolled: 1-line block ×3, first 2 shown]
	v_ldexp_f64 v[70:71], v[68:69], -2
	v_add_f64 v[64:65], v[68:69], -v[64:65]
	v_add_f64 v[68:69], v[78:79], -v[76:77]
	v_add_f64 v[10:11], v[10:11], -v[68:69]
	v_add_f64 v[68:69], v[78:79], -v[68:69]
	v_add_f64 v[68:69], v[76:77], -v[68:69]
	v_add_f64 v[10:11], v[10:11], v[68:69]
	v_add_f64 v[68:69], v[76:77], -v[74:75]
	v_add_f64 v[52:53], v[52:53], -v[68:69]
	;; [unrolled: 1-line block ×4, first 2 shown]
	v_add_f64 v[52:53], v[52:53], v[68:69]
	s_mov_b32 s0, 0
	v_fract_f64_e32 v[72:73], v[70:71]
	v_add_f64 v[10:11], v[52:53], v[10:11]
	v_fma_f64 v[52:53], v[58:59], v[56:57], -v[74:75]
	s_mov_b32 s1, 0x7ff00000
	v_add_f64 v[64:65], v[66:67], -v[64:65]
	v_add_f64 v[10:11], v[52:53], v[10:11]
	v_ldexp_f64 v[52:53], v[72:73], 2
	v_cmp_neq_f64_e64 vcc, |v[70:71]|, s[0:1]
	v_add_f64 v[66:67], v[64:65], v[78:79]
	v_mov_b32_e32 v9, 0x40100000
	v_cndmask_b32_e32 v53, 0, v53, vcc
	v_cndmask_b32_e32 v52, 0, v52, vcc
	v_add_f64 v[56:57], v[66:67], v[52:53]
	v_cmp_gt_f64_e32 vcc, 0, v[56:57]
	v_mov_b32_e32 v56, 0
	v_add_f64 v[64:65], v[66:67], -v[64:65]
	v_cndmask_b32_e32 v57, 0, v9, vcc
	v_add_f64 v[52:53], v[52:53], v[56:57]
	v_add_f64 v[58:59], v[66:67], v[52:53]
	v_cvt_i32_f64_e32 v9, v[58:59]
	v_cvt_f64_i32_e32 v[58:59], v9
	v_add_f64 v[52:53], v[52:53], -v[58:59]
	v_add_f64 v[58:59], v[66:67], v[52:53]
	v_cmp_le_f64_e32 vcc, 0.5, v[58:59]
	v_add_f64 v[64:65], v[78:79], -v[64:65]
	v_add_f64 v[52:53], v[58:59], -v[52:53]
	v_addc_co_u32_e64 v95, s[0:1], 0, v9, vcc
	v_mov_b32_e32 v9, 0x3ff00000
	v_add_f64 v[10:11], v[64:65], v[10:11]
	v_add_f64 v[52:53], v[66:67], -v[52:53]
	v_cndmask_b32_e32 v57, 0, v9, vcc
	v_add_f64 v[10:11], v[10:11], v[52:53]
	v_add_f64 v[52:53], v[58:59], -v[56:57]
	v_add_f64 v[56:57], v[52:53], v[10:11]
	s_mov_b32 s0, 0x54442d18
	v_add_f64 v[52:53], v[56:57], -v[52:53]
	s_mov_b32 s1, 0x3ff921fb
	v_add_f64 v[10:11], v[10:11], -v[52:53]
	v_mul_f64 v[52:53], v[56:57], s[0:1]
	s_mov_b32 s10, 0x33145c07
	v_fma_f64 v[58:59], v[56:57], s[0:1], -v[52:53]
	s_mov_b32 s11, 0x3c91a626
	v_fmac_f64_e32 v[58:59], s[10:11], v[56:57]
	v_fmac_f64_e32 v[58:59], s[0:1], v[10:11]
	v_add_f64 v[68:69], v[52:53], v[58:59]
	v_add_f64 v[10:11], v[68:69], -v[52:53]
	v_add_f64 v[70:71], v[58:59], -v[10:11]
	s_andn2_saveexec_b64 s[0:1], s[8:9]
	s_cbranch_execz .LBB129_106
	s_branch .LBB129_105
.LBB129_104:
	s_andn2_saveexec_b64 s[0:1], s[8:9]
	s_cbranch_execz .LBB129_106
.LBB129_105:
	s_mov_b32 s8, 0x6dc9c883
	s_mov_b32 s9, 0x3fe45f30
	v_mul_f64 v[10:11], |v[14:15]|, s[8:9]
	s_mov_b32 s8, 0x54442d18
	v_rndne_f64_e32 v[10:11], v[10:11]
	s_mov_b32 s9, 0xbff921fb
	v_fma_f64 v[52:53], v[10:11], s[8:9], |v[14:15]|
	s_mov_b32 s9, 0xbc91a626
	s_mov_b32 s8, 0x33145c00
	v_mul_f64 v[58:59], v[10:11], s[8:9]
	v_add_f64 v[66:67], v[52:53], v[58:59]
	v_fma_f64 v[56:57], s[8:9], v[10:11], v[52:53]
	s_mov_b32 s9, 0x3c91a626
	v_add_f64 v[52:53], v[52:53], -v[66:67]
	v_fma_f64 v[64:65], s[8:9], v[10:11], v[58:59]
	v_add_f64 v[52:53], v[52:53], v[58:59]
	v_add_f64 v[58:59], v[66:67], -v[56:57]
	v_add_f64 v[52:53], v[58:59], v[52:53]
	s_mov_b32 s8, 0x252049c0
	v_add_f64 v[52:53], v[52:53], -v[64:65]
	s_mov_b32 s9, 0xb97b839a
	v_fmac_f64_e32 v[52:53], s[8:9], v[10:11]
	v_add_f64 v[68:69], v[56:57], v[52:53]
	v_add_f64 v[56:57], v[68:69], -v[56:57]
	v_add_f64 v[70:71], v[52:53], -v[56:57]
	v_cvt_i32_f64_e32 v95, v[10:11]
.LBB129_106:
	s_or_b64 exec, exec, s[0:1]
                                        ; implicit-def: $vgpr97
                                        ; implicit-def: $vgpr76_vgpr77
                                        ; implicit-def: $vgpr78_vgpr79
	s_and_saveexec_b64 s[0:1], s[2:3]
	s_xor_b64 s[2:3], exec, s[0:1]
	s_cbranch_execz .LBB129_108
; %bb.107:
	s_mov_b32 s0, 0
	s_mov_b32 s1, 0x7b000000
	s_movk_i32 s8, 0xff80
	v_and_b32_e32 v9, 0x7fffffff, v15
	v_ldexp_f64 v[56:57], |v[14:15]|, s8
	v_cmp_ge_f64_e64 vcc, |v[14:15]|, s[0:1]
	v_trig_preop_f64 v[10:11], |v[14:15]|, 0
	v_trig_preop_f64 v[52:53], |v[14:15]|, 1
	v_cndmask_b32_e32 v57, v9, v57, vcc
	v_cndmask_b32_e32 v56, v14, v56, vcc
	v_mul_f64 v[64:65], v[10:11], v[56:57]
	v_mul_f64 v[58:59], v[52:53], v[56:57]
	v_fma_f64 v[10:11], v[10:11], v[56:57], -v[64:65]
	v_add_f64 v[66:67], v[58:59], v[10:11]
	v_add_f64 v[78:79], v[66:67], -v[58:59]
	v_add_f64 v[10:11], v[10:11], -v[78:79]
	;; [unrolled: 1-line block ×4, first 2 shown]
	v_fma_f64 v[52:53], v[52:53], v[56:57], -v[58:59]
	v_trig_preop_f64 v[58:59], |v[14:15]|, 2
	v_add_f64 v[10:11], v[10:11], v[78:79]
	v_mul_f64 v[78:79], v[58:59], v[56:57]
	v_add_f64 v[80:81], v[78:79], v[52:53]
	v_add_f64 v[72:73], v[64:65], v[66:67]
	;; [unrolled: 1-line block ×3, first 2 shown]
	v_ldexp_f64 v[74:75], v[72:73], -2
	v_add_f64 v[64:65], v[72:73], -v[64:65]
	v_add_f64 v[72:73], v[82:83], -v[80:81]
	;; [unrolled: 1-line block ×5, first 2 shown]
	v_add_f64 v[10:11], v[10:11], v[72:73]
	v_add_f64 v[72:73], v[80:81], -v[78:79]
	v_add_f64 v[52:53], v[52:53], -v[72:73]
	;; [unrolled: 1-line block ×4, first 2 shown]
	v_add_f64 v[52:53], v[52:53], v[72:73]
	s_mov_b32 s0, 0
	v_fract_f64_e32 v[76:77], v[74:75]
	v_add_f64 v[10:11], v[52:53], v[10:11]
	v_fma_f64 v[52:53], v[58:59], v[56:57], -v[78:79]
	s_mov_b32 s1, 0x7ff00000
	v_add_f64 v[64:65], v[66:67], -v[64:65]
	v_add_f64 v[10:11], v[52:53], v[10:11]
	v_ldexp_f64 v[52:53], v[76:77], 2
	v_cmp_neq_f64_e64 vcc, |v[74:75]|, s[0:1]
	v_add_f64 v[66:67], v[64:65], v[82:83]
	v_mov_b32_e32 v9, 0x40100000
	v_cndmask_b32_e32 v53, 0, v53, vcc
	v_cndmask_b32_e32 v52, 0, v52, vcc
	v_add_f64 v[56:57], v[66:67], v[52:53]
	v_cmp_gt_f64_e32 vcc, 0, v[56:57]
	v_mov_b32_e32 v56, 0
	v_add_f64 v[64:65], v[66:67], -v[64:65]
	v_cndmask_b32_e32 v57, 0, v9, vcc
	v_add_f64 v[52:53], v[52:53], v[56:57]
	v_add_f64 v[58:59], v[66:67], v[52:53]
	v_cvt_i32_f64_e32 v9, v[58:59]
	v_cvt_f64_i32_e32 v[58:59], v9
	v_add_f64 v[52:53], v[52:53], -v[58:59]
	v_add_f64 v[58:59], v[66:67], v[52:53]
	v_cmp_le_f64_e32 vcc, 0.5, v[58:59]
	v_add_f64 v[64:65], v[82:83], -v[64:65]
	v_add_f64 v[52:53], v[58:59], -v[52:53]
	v_addc_co_u32_e64 v97, s[0:1], 0, v9, vcc
	v_mov_b32_e32 v9, 0x3ff00000
	v_add_f64 v[10:11], v[64:65], v[10:11]
	v_add_f64 v[52:53], v[66:67], -v[52:53]
	v_cndmask_b32_e32 v57, 0, v9, vcc
	v_add_f64 v[10:11], v[10:11], v[52:53]
	v_add_f64 v[52:53], v[58:59], -v[56:57]
	v_add_f64 v[56:57], v[52:53], v[10:11]
	s_mov_b32 s0, 0x54442d18
	v_add_f64 v[52:53], v[56:57], -v[52:53]
	s_mov_b32 s1, 0x3ff921fb
	v_add_f64 v[10:11], v[10:11], -v[52:53]
	v_mul_f64 v[52:53], v[56:57], s[0:1]
	s_mov_b32 s8, 0x33145c07
	v_fma_f64 v[58:59], v[56:57], s[0:1], -v[52:53]
	s_mov_b32 s9, 0x3c91a626
	v_fmac_f64_e32 v[58:59], s[8:9], v[56:57]
	v_fmac_f64_e32 v[58:59], s[0:1], v[10:11]
	v_add_f64 v[76:77], v[52:53], v[58:59]
	v_add_f64 v[10:11], v[76:77], -v[52:53]
	v_add_f64 v[78:79], v[58:59], -v[10:11]
	s_andn2_saveexec_b64 s[0:1], s[2:3]
	s_cbranch_execnz .LBB129_109
	s_branch .LBB129_110
.LBB129_108:
	s_andn2_saveexec_b64 s[0:1], s[2:3]
	s_cbranch_execz .LBB129_110
.LBB129_109:
	s_mov_b32 s2, 0x6dc9c883
	s_mov_b32 s3, 0x3fe45f30
	v_mul_f64 v[10:11], |v[14:15]|, s[2:3]
	s_mov_b32 s2, 0x54442d18
	v_rndne_f64_e32 v[10:11], v[10:11]
	s_mov_b32 s3, 0xbff921fb
	v_fma_f64 v[52:53], v[10:11], s[2:3], |v[14:15]|
	s_mov_b32 s3, 0xbc91a626
	s_mov_b32 s2, 0x33145c00
	v_mul_f64 v[58:59], v[10:11], s[2:3]
	v_add_f64 v[66:67], v[52:53], v[58:59]
	v_fma_f64 v[56:57], s[2:3], v[10:11], v[52:53]
	s_mov_b32 s3, 0x3c91a626
	v_add_f64 v[52:53], v[52:53], -v[66:67]
	v_fma_f64 v[64:65], s[2:3], v[10:11], v[58:59]
	v_add_f64 v[52:53], v[52:53], v[58:59]
	v_add_f64 v[58:59], v[66:67], -v[56:57]
	v_add_f64 v[52:53], v[58:59], v[52:53]
	s_mov_b32 s2, 0x252049c0
	v_add_f64 v[52:53], v[52:53], -v[64:65]
	s_mov_b32 s3, 0xb97b839a
	v_fmac_f64_e32 v[52:53], s[2:3], v[10:11]
	v_add_f64 v[76:77], v[56:57], v[52:53]
	v_add_f64 v[56:57], v[76:77], -v[56:57]
	v_add_f64 v[78:79], v[52:53], -v[56:57]
	v_cvt_i32_f64_e32 v97, v[10:11]
.LBB129_110:
	s_or_b64 exec, exec, s[0:1]
	global_load_dwordx4 v[8:11], v8, s[6:7]
	s_mov_b32 s0, 0
	s_mov_b32 s1, 0x41d00000
                                        ; implicit-def: $vgpr92
                                        ; implicit-def: $vgpr56_vgpr57
                                        ; implicit-def: $vgpr58_vgpr59
	s_waitcnt vmcnt(0)
	v_mul_f64 v[52:53], v[10:11], 0.5
	v_cmp_nlt_f64_e64 s[0:1], |v[52:53]|, s[0:1]
	s_and_saveexec_b64 s[2:3], s[0:1]
	s_xor_b64 s[2:3], exec, s[2:3]
	s_cbranch_execz .LBB129_112
; %bb.111:
	s_mov_b32 s0, 0
	s_mov_b32 s1, 0x7b000000
	s_movk_i32 s6, 0xff80
	v_and_b32_e32 v66, 0x7fffffff, v53
	v_ldexp_f64 v[64:65], |v[52:53]|, s6
	v_cmp_ge_f64_e64 vcc, |v[52:53]|, s[0:1]
	v_trig_preop_f64 v[56:57], |v[52:53]|, 0
	v_trig_preop_f64 v[58:59], |v[52:53]|, 1
	v_cndmask_b32_e32 v65, v66, v65, vcc
	v_cndmask_b32_e32 v64, v52, v64, vcc
	v_mul_f64 v[72:73], v[56:57], v[64:65]
	v_mul_f64 v[66:67], v[58:59], v[64:65]
	v_fma_f64 v[56:57], v[56:57], v[64:65], -v[72:73]
	v_add_f64 v[74:75], v[66:67], v[56:57]
	v_add_f64 v[86:87], v[74:75], -v[66:67]
	v_add_f64 v[56:57], v[56:57], -v[86:87]
	;; [unrolled: 1-line block ×4, first 2 shown]
	v_fma_f64 v[58:59], v[58:59], v[64:65], -v[66:67]
	v_trig_preop_f64 v[66:67], |v[52:53]|, 2
	v_add_f64 v[56:57], v[56:57], v[86:87]
	v_mul_f64 v[86:87], v[66:67], v[64:65]
	v_add_f64 v[88:89], v[86:87], v[58:59]
	v_add_f64 v[80:81], v[72:73], v[74:75]
	;; [unrolled: 1-line block ×3, first 2 shown]
	v_ldexp_f64 v[82:83], v[80:81], -2
	v_add_f64 v[72:73], v[80:81], -v[72:73]
	v_add_f64 v[80:81], v[98:99], -v[88:89]
	;; [unrolled: 1-line block ×5, first 2 shown]
	v_add_f64 v[56:57], v[56:57], v[80:81]
	v_add_f64 v[80:81], v[88:89], -v[86:87]
	v_add_f64 v[58:59], v[58:59], -v[80:81]
	;; [unrolled: 1-line block ×4, first 2 shown]
	v_add_f64 v[58:59], v[58:59], v[80:81]
	s_mov_b32 s0, 0
	v_fract_f64_e32 v[84:85], v[82:83]
	v_add_f64 v[56:57], v[58:59], v[56:57]
	v_fma_f64 v[58:59], v[66:67], v[64:65], -v[86:87]
	s_mov_b32 s1, 0x7ff00000
	v_add_f64 v[72:73], v[74:75], -v[72:73]
	v_add_f64 v[56:57], v[58:59], v[56:57]
	v_ldexp_f64 v[58:59], v[84:85], 2
	v_cmp_neq_f64_e64 vcc, |v[82:83]|, s[0:1]
	v_add_f64 v[74:75], v[72:73], v[98:99]
	v_mov_b32_e32 v66, 0x40100000
	v_cndmask_b32_e32 v59, 0, v59, vcc
	v_cndmask_b32_e32 v58, 0, v58, vcc
	v_add_f64 v[64:65], v[74:75], v[58:59]
	v_cmp_gt_f64_e32 vcc, 0, v[64:65]
	v_mov_b32_e32 v64, 0
	v_add_f64 v[72:73], v[74:75], -v[72:73]
	v_cndmask_b32_e32 v65, 0, v66, vcc
	v_add_f64 v[58:59], v[58:59], v[64:65]
	v_add_f64 v[66:67], v[74:75], v[58:59]
	v_cvt_i32_f64_e32 v65, v[66:67]
	v_cvt_f64_i32_e32 v[66:67], v65
	v_add_f64 v[58:59], v[58:59], -v[66:67]
	v_add_f64 v[66:67], v[74:75], v[58:59]
	v_add_f64 v[72:73], v[98:99], -v[72:73]
	v_add_f64 v[58:59], v[66:67], -v[58:59]
	v_add_f64 v[56:57], v[72:73], v[56:57]
	v_add_f64 v[58:59], v[74:75], -v[58:59]
	v_add_f64 v[56:57], v[56:57], v[58:59]
	v_cmp_le_f64_e32 vcc, 0.5, v[66:67]
	v_mov_b32_e32 v58, 0x3ff00000
	s_mov_b32 s6, 0x33145c07
	v_addc_co_u32_e64 v92, s[0:1], 0, v65, vcc
	v_cndmask_b32_e32 v65, 0, v58, vcc
	v_add_f64 v[58:59], v[66:67], -v[64:65]
	v_add_f64 v[64:65], v[58:59], v[56:57]
	s_mov_b32 s0, 0x54442d18
	v_add_f64 v[58:59], v[64:65], -v[58:59]
	s_mov_b32 s1, 0x3ff921fb
	v_add_f64 v[56:57], v[56:57], -v[58:59]
	v_mul_f64 v[58:59], v[64:65], s[0:1]
	v_fma_f64 v[66:67], v[64:65], s[0:1], -v[58:59]
	s_mov_b32 s7, 0x3c91a626
	v_fmac_f64_e32 v[66:67], s[6:7], v[64:65]
	v_fmac_f64_e32 v[66:67], s[0:1], v[56:57]
	v_add_f64 v[56:57], v[58:59], v[66:67]
	v_add_f64 v[58:59], v[56:57], -v[58:59]
	v_add_f64 v[58:59], v[66:67], -v[58:59]
.LBB129_112:
	s_andn2_saveexec_b64 s[0:1], s[2:3]
	s_cbranch_execz .LBB129_114
; %bb.113:
	s_mov_b32 s2, 0x6dc9c883
	s_mov_b32 s3, 0x3fe45f30
	v_mul_f64 v[56:57], |v[52:53]|, s[2:3]
	s_mov_b32 s2, 0x54442d18
	v_rndne_f64_e32 v[64:65], v[56:57]
	s_mov_b32 s3, 0xbff921fb
	v_fma_f64 v[56:57], v[64:65], s[2:3], |v[52:53]|
	s_mov_b32 s3, 0xbc91a626
	s_mov_b32 s2, 0x33145c00
	v_mul_f64 v[66:67], v[64:65], s[2:3]
	v_add_f64 v[74:75], v[56:57], v[66:67]
	v_fma_f64 v[58:59], s[2:3], v[64:65], v[56:57]
	s_mov_b32 s3, 0x3c91a626
	v_add_f64 v[56:57], v[56:57], -v[74:75]
	v_fma_f64 v[72:73], s[2:3], v[64:65], v[66:67]
	v_add_f64 v[56:57], v[56:57], v[66:67]
	v_add_f64 v[66:67], v[74:75], -v[58:59]
	v_add_f64 v[56:57], v[66:67], v[56:57]
	s_mov_b32 s2, 0x252049c0
	v_add_f64 v[66:67], v[56:57], -v[72:73]
	s_mov_b32 s3, 0xb97b839a
	v_fmac_f64_e32 v[66:67], s[2:3], v[64:65]
	v_add_f64 v[56:57], v[58:59], v[66:67]
	v_add_f64 v[58:59], v[56:57], -v[58:59]
	v_add_f64 v[58:59], v[66:67], -v[58:59]
	v_cvt_i32_f64_e32 v92, v[64:65]
.LBB129_114:
	s_or_b64 exec, exec, s[0:1]
	s_mov_b32 s0, 0
	s_mov_b32 s1, 0x41d00000
	v_cmp_nlt_f64_e64 s[2:3], |v[10:11]|, s[0:1]
                                        ; implicit-def: $vgpr94
                                        ; implicit-def: $vgpr64_vgpr65
                                        ; implicit-def: $vgpr66_vgpr67
	s_and_saveexec_b64 s[0:1], s[2:3]
	s_xor_b64 s[6:7], exec, s[0:1]
	s_cbranch_execz .LBB129_116
; %bb.115:
	s_mov_b32 s0, 0
	s_mov_b32 s1, 0x7b000000
	s_movk_i32 s8, 0xff80
	v_and_b32_e32 v74, 0x7fffffff, v11
	v_ldexp_f64 v[72:73], |v[10:11]|, s8
	v_cmp_ge_f64_e64 vcc, |v[10:11]|, s[0:1]
	v_trig_preop_f64 v[64:65], |v[10:11]|, 0
	v_trig_preop_f64 v[66:67], |v[10:11]|, 1
	v_cndmask_b32_e32 v73, v74, v73, vcc
	v_cndmask_b32_e32 v72, v10, v72, vcc
	v_mul_f64 v[80:81], v[64:65], v[72:73]
	v_mul_f64 v[74:75], v[66:67], v[72:73]
	v_fma_f64 v[64:65], v[64:65], v[72:73], -v[80:81]
	v_add_f64 v[82:83], v[74:75], v[64:65]
	v_add_f64 v[98:99], v[82:83], -v[74:75]
	v_add_f64 v[64:65], v[64:65], -v[98:99]
	;; [unrolled: 1-line block ×4, first 2 shown]
	v_fma_f64 v[66:67], v[66:67], v[72:73], -v[74:75]
	v_trig_preop_f64 v[74:75], |v[10:11]|, 2
	v_add_f64 v[64:65], v[64:65], v[98:99]
	v_mul_f64 v[98:99], v[74:75], v[72:73]
	v_add_f64 v[100:101], v[98:99], v[66:67]
	v_add_f64 v[84:85], v[80:81], v[82:83]
	;; [unrolled: 1-line block ×3, first 2 shown]
	v_ldexp_f64 v[86:87], v[84:85], -2
	v_add_f64 v[80:81], v[84:85], -v[80:81]
	v_add_f64 v[84:85], v[102:103], -v[100:101]
	;; [unrolled: 1-line block ×5, first 2 shown]
	v_add_f64 v[64:65], v[64:65], v[84:85]
	v_add_f64 v[84:85], v[100:101], -v[98:99]
	v_add_f64 v[66:67], v[66:67], -v[84:85]
	;; [unrolled: 1-line block ×4, first 2 shown]
	v_add_f64 v[66:67], v[66:67], v[84:85]
	s_mov_b32 s0, 0
	v_fract_f64_e32 v[88:89], v[86:87]
	v_add_f64 v[64:65], v[66:67], v[64:65]
	v_fma_f64 v[66:67], v[74:75], v[72:73], -v[98:99]
	s_mov_b32 s1, 0x7ff00000
	v_add_f64 v[80:81], v[82:83], -v[80:81]
	v_add_f64 v[64:65], v[66:67], v[64:65]
	v_ldexp_f64 v[66:67], v[88:89], 2
	v_cmp_neq_f64_e64 vcc, |v[86:87]|, s[0:1]
	v_add_f64 v[82:83], v[80:81], v[102:103]
	v_mov_b32_e32 v74, 0x40100000
	v_cndmask_b32_e32 v67, 0, v67, vcc
	v_cndmask_b32_e32 v66, 0, v66, vcc
	v_add_f64 v[72:73], v[82:83], v[66:67]
	v_cmp_gt_f64_e32 vcc, 0, v[72:73]
	v_mov_b32_e32 v72, 0
	v_add_f64 v[80:81], v[82:83], -v[80:81]
	v_cndmask_b32_e32 v73, 0, v74, vcc
	v_add_f64 v[66:67], v[66:67], v[72:73]
	v_add_f64 v[74:75], v[82:83], v[66:67]
	v_cvt_i32_f64_e32 v73, v[74:75]
	v_cvt_f64_i32_e32 v[74:75], v73
	v_add_f64 v[66:67], v[66:67], -v[74:75]
	v_add_f64 v[74:75], v[82:83], v[66:67]
	v_add_f64 v[80:81], v[102:103], -v[80:81]
	v_add_f64 v[66:67], v[74:75], -v[66:67]
	v_add_f64 v[64:65], v[80:81], v[64:65]
	v_add_f64 v[66:67], v[82:83], -v[66:67]
	v_add_f64 v[64:65], v[64:65], v[66:67]
	v_cmp_le_f64_e32 vcc, 0.5, v[74:75]
	v_mov_b32_e32 v66, 0x3ff00000
	s_mov_b32 s8, 0x33145c07
	v_addc_co_u32_e64 v94, s[0:1], 0, v73, vcc
	v_cndmask_b32_e32 v73, 0, v66, vcc
	v_add_f64 v[66:67], v[74:75], -v[72:73]
	v_add_f64 v[72:73], v[66:67], v[64:65]
	s_mov_b32 s0, 0x54442d18
	v_add_f64 v[66:67], v[72:73], -v[66:67]
	s_mov_b32 s1, 0x3ff921fb
	v_add_f64 v[64:65], v[64:65], -v[66:67]
	v_mul_f64 v[66:67], v[72:73], s[0:1]
	v_fma_f64 v[74:75], v[72:73], s[0:1], -v[66:67]
	s_mov_b32 s9, 0x3c91a626
	v_fmac_f64_e32 v[74:75], s[8:9], v[72:73]
	v_fmac_f64_e32 v[74:75], s[0:1], v[64:65]
	v_add_f64 v[64:65], v[66:67], v[74:75]
	v_add_f64 v[66:67], v[64:65], -v[66:67]
	v_add_f64 v[66:67], v[74:75], -v[66:67]
	s_andn2_saveexec_b64 s[0:1], s[6:7]
	s_cbranch_execz .LBB129_118
	s_branch .LBB129_117
.LBB129_116:
	s_andn2_saveexec_b64 s[0:1], s[6:7]
	s_cbranch_execz .LBB129_118
.LBB129_117:
	s_mov_b32 s6, 0x6dc9c883
	s_mov_b32 s7, 0x3fe45f30
	v_mul_f64 v[64:65], |v[10:11]|, s[6:7]
	s_mov_b32 s6, 0x54442d18
	v_rndne_f64_e32 v[72:73], v[64:65]
	s_mov_b32 s7, 0xbff921fb
	v_fma_f64 v[64:65], v[72:73], s[6:7], |v[10:11]|
	s_mov_b32 s7, 0xbc91a626
	s_mov_b32 s6, 0x33145c00
	v_mul_f64 v[74:75], v[72:73], s[6:7]
	v_add_f64 v[82:83], v[64:65], v[74:75]
	v_fma_f64 v[66:67], s[6:7], v[72:73], v[64:65]
	s_mov_b32 s7, 0x3c91a626
	v_add_f64 v[64:65], v[64:65], -v[82:83]
	v_fma_f64 v[80:81], s[6:7], v[72:73], v[74:75]
	v_add_f64 v[64:65], v[64:65], v[74:75]
	v_add_f64 v[74:75], v[82:83], -v[66:67]
	v_add_f64 v[64:65], v[74:75], v[64:65]
	s_mov_b32 s6, 0x252049c0
	v_add_f64 v[74:75], v[64:65], -v[80:81]
	s_mov_b32 s7, 0xb97b839a
	v_fmac_f64_e32 v[74:75], s[6:7], v[72:73]
	v_add_f64 v[64:65], v[66:67], v[74:75]
	v_add_f64 v[66:67], v[64:65], -v[66:67]
	v_add_f64 v[66:67], v[74:75], -v[66:67]
	v_cvt_i32_f64_e32 v94, v[72:73]
.LBB129_118:
	s_or_b64 exec, exec, s[0:1]
                                        ; implicit-def: $vgpr96
                                        ; implicit-def: $vgpr72_vgpr73
                                        ; implicit-def: $vgpr74_vgpr75
	s_and_saveexec_b64 s[0:1], s[2:3]
	s_xor_b64 s[2:3], exec, s[0:1]
	s_cbranch_execz .LBB129_120
; %bb.119:
	s_mov_b32 s0, 0
	s_mov_b32 s1, 0x7b000000
	s_movk_i32 s6, 0xff80
	v_and_b32_e32 v82, 0x7fffffff, v11
	v_ldexp_f64 v[80:81], |v[10:11]|, s6
	v_cmp_ge_f64_e64 vcc, |v[10:11]|, s[0:1]
	v_trig_preop_f64 v[72:73], |v[10:11]|, 0
	v_trig_preop_f64 v[74:75], |v[10:11]|, 1
	v_cndmask_b32_e32 v81, v82, v81, vcc
	v_cndmask_b32_e32 v80, v10, v80, vcc
	v_mul_f64 v[84:85], v[72:73], v[80:81]
	v_mul_f64 v[82:83], v[74:75], v[80:81]
	v_fma_f64 v[72:73], v[72:73], v[80:81], -v[84:85]
	v_add_f64 v[86:87], v[82:83], v[72:73]
	v_add_f64 v[102:103], v[86:87], -v[82:83]
	v_add_f64 v[72:73], v[72:73], -v[102:103]
	;; [unrolled: 1-line block ×4, first 2 shown]
	v_fma_f64 v[74:75], v[74:75], v[80:81], -v[82:83]
	v_trig_preop_f64 v[82:83], |v[10:11]|, 2
	v_add_f64 v[72:73], v[72:73], v[102:103]
	v_mul_f64 v[102:103], v[82:83], v[80:81]
	v_add_f64 v[104:105], v[102:103], v[74:75]
	v_add_f64 v[88:89], v[84:85], v[86:87]
	v_add_f64 v[106:107], v[104:105], v[72:73]
	v_ldexp_f64 v[98:99], v[88:89], -2
	v_add_f64 v[84:85], v[88:89], -v[84:85]
	v_add_f64 v[88:89], v[106:107], -v[104:105]
	v_add_f64 v[72:73], v[72:73], -v[88:89]
	v_add_f64 v[88:89], v[106:107], -v[88:89]
	v_add_f64 v[88:89], v[104:105], -v[88:89]
	v_add_f64 v[72:73], v[72:73], v[88:89]
	v_add_f64 v[88:89], v[104:105], -v[102:103]
	v_add_f64 v[74:75], v[74:75], -v[88:89]
	;; [unrolled: 1-line block ×4, first 2 shown]
	v_add_f64 v[74:75], v[74:75], v[88:89]
	s_mov_b32 s0, 0
	v_fract_f64_e32 v[100:101], v[98:99]
	v_add_f64 v[72:73], v[74:75], v[72:73]
	v_fma_f64 v[74:75], v[82:83], v[80:81], -v[102:103]
	s_mov_b32 s1, 0x7ff00000
	v_add_f64 v[84:85], v[86:87], -v[84:85]
	v_add_f64 v[72:73], v[74:75], v[72:73]
	v_ldexp_f64 v[74:75], v[100:101], 2
	v_cmp_neq_f64_e64 vcc, |v[98:99]|, s[0:1]
	v_add_f64 v[86:87], v[84:85], v[106:107]
	v_mov_b32_e32 v82, 0x40100000
	v_cndmask_b32_e32 v75, 0, v75, vcc
	v_cndmask_b32_e32 v74, 0, v74, vcc
	v_add_f64 v[80:81], v[86:87], v[74:75]
	v_cmp_gt_f64_e32 vcc, 0, v[80:81]
	v_mov_b32_e32 v80, 0
	v_add_f64 v[84:85], v[86:87], -v[84:85]
	v_cndmask_b32_e32 v81, 0, v82, vcc
	v_add_f64 v[74:75], v[74:75], v[80:81]
	v_add_f64 v[82:83], v[86:87], v[74:75]
	v_cvt_i32_f64_e32 v81, v[82:83]
	v_cvt_f64_i32_e32 v[82:83], v81
	v_add_f64 v[74:75], v[74:75], -v[82:83]
	v_add_f64 v[82:83], v[86:87], v[74:75]
	v_add_f64 v[84:85], v[106:107], -v[84:85]
	v_add_f64 v[74:75], v[82:83], -v[74:75]
	v_add_f64 v[72:73], v[84:85], v[72:73]
	v_add_f64 v[74:75], v[86:87], -v[74:75]
	v_add_f64 v[72:73], v[72:73], v[74:75]
	v_cmp_le_f64_e32 vcc, 0.5, v[82:83]
	v_mov_b32_e32 v74, 0x3ff00000
	s_mov_b32 s6, 0x33145c07
	v_addc_co_u32_e64 v96, s[0:1], 0, v81, vcc
	v_cndmask_b32_e32 v81, 0, v74, vcc
	v_add_f64 v[74:75], v[82:83], -v[80:81]
	v_add_f64 v[80:81], v[74:75], v[72:73]
	s_mov_b32 s0, 0x54442d18
	v_add_f64 v[74:75], v[80:81], -v[74:75]
	s_mov_b32 s1, 0x3ff921fb
	v_add_f64 v[72:73], v[72:73], -v[74:75]
	v_mul_f64 v[74:75], v[80:81], s[0:1]
	v_fma_f64 v[82:83], v[80:81], s[0:1], -v[74:75]
	s_mov_b32 s7, 0x3c91a626
	v_fmac_f64_e32 v[82:83], s[6:7], v[80:81]
	v_fmac_f64_e32 v[82:83], s[0:1], v[72:73]
	v_add_f64 v[72:73], v[74:75], v[82:83]
	v_add_f64 v[74:75], v[72:73], -v[74:75]
	v_add_f64 v[74:75], v[82:83], -v[74:75]
	s_andn2_saveexec_b64 s[0:1], s[2:3]
	s_cbranch_execnz .LBB129_121
	s_branch .LBB129_122
.LBB129_120:
	s_andn2_saveexec_b64 s[0:1], s[2:3]
	s_cbranch_execz .LBB129_122
.LBB129_121:
	s_mov_b32 s2, 0x6dc9c883
	s_mov_b32 s3, 0x3fe45f30
	v_mul_f64 v[72:73], |v[10:11]|, s[2:3]
	s_mov_b32 s2, 0x54442d18
	v_rndne_f64_e32 v[80:81], v[72:73]
	s_mov_b32 s3, 0xbff921fb
	v_fma_f64 v[72:73], v[80:81], s[2:3], |v[10:11]|
	s_mov_b32 s3, 0xbc91a626
	s_mov_b32 s2, 0x33145c00
	v_mul_f64 v[82:83], v[80:81], s[2:3]
	v_add_f64 v[86:87], v[72:73], v[82:83]
	v_fma_f64 v[74:75], s[2:3], v[80:81], v[72:73]
	s_mov_b32 s3, 0x3c91a626
	v_add_f64 v[72:73], v[72:73], -v[86:87]
	v_fma_f64 v[84:85], s[2:3], v[80:81], v[82:83]
	v_add_f64 v[72:73], v[72:73], v[82:83]
	v_add_f64 v[82:83], v[86:87], -v[74:75]
	v_add_f64 v[72:73], v[82:83], v[72:73]
	s_mov_b32 s2, 0x252049c0
	v_add_f64 v[82:83], v[72:73], -v[84:85]
	s_mov_b32 s3, 0xb97b839a
	v_fmac_f64_e32 v[82:83], s[2:3], v[80:81]
	v_add_f64 v[72:73], v[74:75], v[82:83]
	v_add_f64 v[74:75], v[72:73], -v[74:75]
	v_add_f64 v[74:75], v[82:83], -v[74:75]
	v_cvt_i32_f64_e32 v96, v[80:81]
.LBB129_122:
	s_or_b64 exec, exec, s[0:1]
	s_mov_b32 s2, 0x652b82fe
	s_mov_b32 s3, 0x3ff71547
	v_mul_f64 v[80:81], v[12:13], s[2:3]
	s_mov_b32 s6, 0xfefa39ef
	v_rndne_f64_e32 v[84:85], v[80:81]
	s_mov_b32 s7, 0xbfe62e42
	s_mov_b32 s8, 0x3b39803f
	;; [unrolled: 1-line block ×3, first 2 shown]
	v_fma_f64 v[82:83], s[6:7], v[84:85], v[12:13]
	s_mov_b32 s9, 0xbc7abc9e
	s_mov_b32 s1, 0x3e928af3
	s_mov_b32 s10, 0x6a5dcb37
	v_fmac_f64_e32 v[82:83], s[8:9], v[84:85]
	s_mov_b32 s11, 0x3e5ade15
	v_mov_b64_e32 v[80:81], s[0:1]
	s_mov_b32 s12, 0x623fde64
	v_fma_f64 v[86:87], s[10:11], v[82:83], v[80:81]
	s_mov_b32 s13, 0x3ec71dee
	s_mov_b32 s14, 0x7c89e6b0
	v_fma_f64 v[86:87], v[82:83], v[86:87], s[12:13]
	s_mov_b32 s15, 0x3efa0199
	;; [unrolled: 3-line block ×8, first 2 shown]
	v_fma_f64 v[86:87], v[82:83], v[86:87], s[44:45]
	v_fma_f64 v[86:87], v[82:83], v[86:87], 1.0
	s_mov_b32 s38, 0
	v_fma_f64 v[86:87], v[82:83], v[86:87], 1.0
	v_cvt_i32_f64_e32 v99, v[84:85]
	s_mov_b32 s39, 0x40900000
	s_mov_b32 s48, 0
	v_ldexp_f64 v[86:87], v[86:87], v99
	v_mov_b32_e32 v98, 0x7ff00000
	v_cmp_nlt_f64_e32 vcc, s[38:39], v[12:13]
	s_mov_b32 s49, 0xc090cc00
	v_cmp_ngt_f64_e64 s[0:1], s[48:49], v[12:13]
	v_cndmask_b32_e32 v87, v98, v87, vcc
	s_and_b64 vcc, s[0:1], vcc
	v_cndmask_b32_e64 v89, 0, v87, s[0:1]
	s_mov_b32 s0, 0x2a1b768b
	v_cndmask_b32_e32 v88, 0, v86, vcc
	v_ldexp_f64 v[86:87], 1.0, v99
	v_mov_b32_e32 v99, 0x7fe00000
	v_cmp_eq_f64_e32 vcc, s[38:39], v[84:85]
	s_mov_b32 s1, 0x3e5af4eb
	s_mov_b32 s50, 0xa9d67f34
	v_cndmask_b32_e32 v85, v87, v99, vcc
	v_cndmask_b32_e64 v84, v86, 0, vcc
	s_mov_b32 s51, 0x3e21f32e
	v_mov_b64_e32 v[86:87], s[0:1]
	s_mov_b32 s56, 0xe0ac05b
	v_fma_f64 v[100:101], s[50:51], v[82:83], v[86:87]
	s_mov_b32 s57, 0x3e927e50
	s_mov_b32 s62, 0x1b889c29
	v_fma_f64 v[100:101], v[82:83], v[100:101], s[56:57]
	s_mov_b32 s63, 0x3ec71de0
	;; [unrolled: 3-line block ×3, first 2 shown]
	v_fma_f64 v[100:101], v[82:83], v[100:101], s[64:65]
	s_mov_b32 s66, 0x1ac1a723
	s_mov_b32 s67, s19
	v_fma_f64 v[100:101], v[82:83], v[100:101], s[66:67]
	s_mov_b32 s68, 0x16c18931
	s_mov_b32 s69, s21
	;; [unrolled: 3-line block ×5, first 2 shown]
	v_fma_f64 v[100:101], v[82:83], v[100:101], s[74:75]
	v_fma_f64 v[100:101], v[82:83], v[100:101], 0.5
	v_mul_f64 v[100:101], v[82:83], v[100:101]
	v_fmac_f64_e32 v[82:83], v[82:83], v[100:101]
	v_add_f64 v[100:101], v[84:85], -1.0
	v_fmac_f64_e32 v[100:101], v[84:85], v[82:83]
	v_add_f64 v[82:83], v[100:101], v[100:101]
	s_mov_b32 s77, 0x40862e42
	s_mov_b32 s76, s6
	;; [unrolled: 1-line block ×3, first 2 shown]
	v_cndmask_b32_e32 v82, v100, v82, vcc
	v_cndmask_b32_e32 v83, v101, v83, vcc
	v_cmp_nlt_f64_e32 vcc, s[76:77], v[12:13]
	s_mov_b32 s79, 0xc0428000
	v_mov_b32_e32 v100, 0xbff00000
	v_cndmask_b32_e32 v83, v98, v83, vcc
	v_cmp_ngt_f64_e64 s[0:1], s[78:79], v[12:13]
	s_and_b64 vcc, s[0:1], vcc
	s_mov_b32 s16, 0x46cc5e42
	v_cndmask_b32_e64 v13, v100, v83, s[0:1]
	s_mov_b32 s0, 0x9037ab78
	s_mov_b32 s1, 0x3e21eeb6
	v_cndmask_b32_e32 v12, 0, v82, vcc
	v_mul_f64 v[102:103], v[68:69], v[68:69]
	s_mov_b32 s17, 0xbda907db
	v_mov_b64_e32 v[82:83], s[0:1]
	s_mov_b32 s22, 0xa17f65f6
	v_mul_f64 v[84:85], v[102:103], 0.5
	v_fma_f64 v[108:109], s[16:17], v[102:103], v[82:83]
	s_mov_b32 s23, 0xbe927e4f
	v_add_f64 v[104:105], -v[84:85], 1.0
	v_fma_f64 v[108:109], v[102:103], v[108:109], s[22:23]
	s_mov_b32 s30, 0x19f4ec90
	s_mov_b32 s31, s65
	;; [unrolled: 1-line block ×3, first 2 shown]
	v_fma_f64 v[108:109], v[102:103], v[108:109], s[30:31]
	s_mov_b32 s37, 0xbf56c16c
	v_add_f64 v[110:111], -v[104:105], 1.0
	v_fma_f64 v[108:109], v[102:103], v[108:109], s[36:37]
	s_mov_b32 s42, 0x55555555
	s_mov_b32 s43, s35
	v_add_f64 v[84:85], v[110:111], -v[84:85]
	v_mul_f64 v[106:107], v[102:103], v[102:103]
	v_fma_f64 v[108:109], v[102:103], v[108:109], s[42:43]
	v_fma_f64 v[84:85], v[68:69], -v[70:71], v[84:85]
	s_mov_b32 s0, 0xb42fdfa7
	v_fmac_f64_e32 v[84:85], v[106:107], v[108:109]
	s_mov_b32 s1, 0xbe5ae600
	s_mov_b32 s46, 0xf9a43bb8
	v_add_f64 v[104:105], v[104:105], v[84:85]
	s_mov_b32 s47, 0x3de5e0b2
	v_mov_b64_e32 v[84:85], s[0:1]
	s_mov_b32 s52, 0x796cde01
	v_fma_f64 v[108:109], s[46:47], v[102:103], v[84:85]
	s_mov_b32 s53, 0x3ec71de3
	s_mov_b32 s54, 0x19e83e5c
	v_fma_f64 v[108:109], v[102:103], v[108:109], s[52:53]
	s_mov_b32 s55, 0xbf2a01a0
	v_fma_f64 v[108:109], v[102:103], v[108:109], s[54:55]
	s_mov_b32 s58, 0x11110bb3
	s_mov_b32 s59, s29
	v_mul_f64 v[106:107], v[68:69], -v[102:103]
	v_fma_f64 v[108:109], v[102:103], v[108:109], s[58:59]
	v_mul_f64 v[110:111], v[70:71], 0.5
	v_fmac_f64_e32 v[110:111], v[106:107], v[108:109]
	v_fma_f64 v[70:71], v[102:103], v[110:111], -v[70:71]
	s_mov_b32 s61, 0xbfc55555
	s_mov_b32 s60, s42
	v_mul_f64 v[102:103], v[60:61], v[60:61]
	v_fmac_f64_e32 v[70:71], s[60:61], v[106:107]
	v_fma_f64 v[106:107], s[46:47], v[102:103], v[84:85]
	v_and_b32_e32 v101, 1, v95
	v_add_f64 v[68:69], v[68:69], -v[70:71]
	v_fma_f64 v[106:107], v[102:103], v[106:107], s[52:53]
	v_xor_b32_e32 v69, 0x80000000, v69
	v_cmp_eq_u32_e32 vcc, 0, v101
	v_fma_f64 v[106:107], v[102:103], v[106:107], s[54:55]
	v_fma_f64 v[106:107], v[102:103], v[106:107], s[58:59]
	v_cndmask_b32_e32 v68, v68, v104, vcc
	v_cndmask_b32_e32 v69, v69, v105, vcc
	v_mul_f64 v[104:105], v[60:61], -v[102:103]
	v_mul_f64 v[108:109], v[62:63], 0.5
	v_fmac_f64_e32 v[108:109], v[104:105], v[106:107]
	v_fma_f64 v[106:107], v[102:103], v[108:109], -v[62:63]
	v_fma_f64 v[112:113], s[16:17], v[102:103], v[82:83]
	v_fmac_f64_e32 v[106:107], s[60:61], v[104:105]
	v_fma_f64 v[112:113], v[102:103], v[112:113], s[22:23]
	v_add_f64 v[104:105], v[60:61], -v[106:107]
	v_mul_f64 v[106:107], v[102:103], 0.5
	v_fma_f64 v[112:113], v[102:103], v[112:113], s[30:31]
	v_add_f64 v[108:109], -v[106:107], 1.0
	v_fma_f64 v[112:113], v[102:103], v[112:113], s[36:37]
	v_mul_f64 v[110:111], v[102:103], v[102:103]
	v_fma_f64 v[102:103], v[102:103], v[112:113], s[42:43]
	v_add_f64 v[112:113], -v[108:109], 1.0
	v_add_f64 v[106:107], v[112:113], -v[106:107]
	s_movk_i32 s33, 0x1f8
	v_fma_f64 v[60:61], v[60:61], -v[62:63], v[106:107]
	v_cmp_class_f64_e64 vcc, v[14:15], s33
	v_and_b32_e32 v14, 1, v93
	v_fmac_f64_e32 v[60:61], v[110:111], v[102:103]
	v_add_f64 v[60:61], v[108:109], v[60:61]
	v_cmp_eq_u32_e64 s[0:1], 0, v14
	s_brev_b32 s80, 1
	v_lshlrev_b32_e32 v70, 30, v95
	v_cndmask_b32_e64 v14, v60, v104, s[0:1]
	v_cndmask_b32_e64 v60, v61, v105, s[0:1]
	v_lshlrev_b32_e32 v61, 30, v93
	v_xor_b32_e32 v61, v61, v55
	v_bitop3_b32 v69, v69, v70, s80 bitop3:0x78
	v_cndmask_b32_e32 v70, 0, v68, vcc
	v_mov_b32_e32 v68, 0x7ff80000
	v_bitop3_b32 v60, v60, v61, s80 bitop3:0x78
	v_cmp_class_f64_e64 s[0:1], v[54:55], s33
	v_cndmask_b32_e32 v71, v68, v69, vcc
	s_or_b64 s[24:25], s[24:25], exec
	v_cndmask_b32_e64 v54, 0, v14, s[0:1]
	v_cndmask_b32_e64 v55, v68, v60, s[0:1]
	v_add_f64 v[60:61], v[54:55], v[54:55]
	v_mul_f64 v[54:55], v[60:61], v[54:55]
	v_fma_f64 v[12:13], v[12:13], v[70:71], -v[54:55]
	v_mul_f64 v[54:55], v[76:77], v[76:77]
	v_mul_f64 v[60:61], v[54:55], 0.5
	v_fma_f64 v[102:103], s[16:17], v[54:55], v[82:83]
	v_add_f64 v[62:63], -v[60:61], 1.0
	v_fma_f64 v[102:103], v[54:55], v[102:103], s[22:23]
	v_add_f64 v[70:71], -v[62:63], 1.0
	v_fma_f64 v[102:103], v[54:55], v[102:103], s[30:31]
	v_add_f64 v[60:61], v[70:71], -v[60:61]
	v_fma_f64 v[102:103], v[54:55], v[102:103], s[36:37]
	v_mul_f64 v[70:71], v[54:55], v[54:55]
	v_fma_f64 v[102:103], v[54:55], v[102:103], s[42:43]
	v_fma_f64 v[60:61], v[76:77], -v[78:79], v[60:61]
	v_fmac_f64_e32 v[60:61], v[70:71], v[102:103]
	v_add_f64 v[60:61], v[62:63], v[60:61]
	v_fma_f64 v[62:63], s[46:47], v[54:55], v[84:85]
	v_fma_f64 v[62:63], v[54:55], v[62:63], s[52:53]
	;; [unrolled: 1-line block ×4, first 2 shown]
	v_mul_f64 v[70:71], v[76:77], -v[54:55]
	v_mul_f64 v[102:103], v[78:79], 0.5
	v_fmac_f64_e32 v[102:103], v[70:71], v[62:63]
	v_fma_f64 v[54:55], v[54:55], v[102:103], -v[78:79]
	v_fmac_f64_e32 v[54:55], s[60:61], v[70:71]
	v_and_b32_e32 v14, 1, v97
	v_add_f64 v[54:55], v[76:77], -v[54:55]
	v_cmp_eq_u32_e64 s[0:1], 0, v14
	s_nop 1
	v_cndmask_b32_e64 v14, v60, v54, s[0:1]
	v_cndmask_b32_e64 v54, v61, v55, s[0:1]
	v_lshlrev_b32_e32 v55, 30, v97
	v_xor_b32_e32 v15, v55, v15
	v_bitop3_b32 v15, v54, v15, s80 bitop3:0x78
	v_mul_f64 v[54:55], v[4:5], s[2:3]
	v_rndne_f64_e32 v[60:61], v[54:55]
	v_fma_f64 v[62:63], s[6:7], v[60:61], v[4:5]
	v_fmac_f64_e32 v[62:63], s[8:9], v[60:61]
	v_fma_f64 v[54:55], s[10:11], v[62:63], v[80:81]
	v_fma_f64 v[54:55], v[62:63], v[54:55], s[12:13]
	;; [unrolled: 1-line block ×9, first 2 shown]
	v_fma_f64 v[54:55], v[62:63], v[54:55], 1.0
	v_fma_f64 v[54:55], v[62:63], v[54:55], 1.0
	v_cvt_i32_f64_e32 v69, v[60:61]
	v_cndmask_b32_e32 v14, 0, v14, vcc
	v_cndmask_b32_e32 v15, v68, v15, vcc
	v_ldexp_f64 v[54:55], v[54:55], v69
	v_cmp_nlt_f64_e32 vcc, s[38:39], v[4:5]
	v_cmp_ngt_f64_e64 s[0:1], s[48:49], v[4:5]
	v_ldexp_f64 v[70:71], 1.0, v69
	v_cndmask_b32_e32 v55, v98, v55, vcc
	s_and_b64 vcc, s[0:1], vcc
	v_cndmask_b32_e32 v54, 0, v54, vcc
	v_cmp_eq_f64_e32 vcc, s[38:39], v[60:61]
	v_cndmask_b32_e64 v55, 0, v55, s[0:1]
	v_cmp_ngt_f64_e64 s[0:1], s[78:79], v[4:5]
	v_cndmask_b32_e32 v61, v71, v99, vcc
	v_cndmask_b32_e64 v60, v70, 0, vcc
	v_fma_f64 v[70:71], s[50:51], v[62:63], v[86:87]
	v_fma_f64 v[70:71], v[62:63], v[70:71], s[56:57]
	;; [unrolled: 1-line block ×9, first 2 shown]
	v_fma_f64 v[70:71], v[62:63], v[70:71], 0.5
	v_mul_f64 v[70:71], v[62:63], v[70:71]
	v_fmac_f64_e32 v[62:63], v[62:63], v[70:71]
	v_add_f64 v[70:71], v[60:61], -1.0
	v_fmac_f64_e32 v[70:71], v[60:61], v[62:63]
	v_add_f64 v[60:61], v[70:71], v[70:71]
	v_cndmask_b32_e32 v60, v70, v60, vcc
	v_cndmask_b32_e32 v61, v71, v61, vcc
	v_cmp_nlt_f64_e32 vcc, s[76:77], v[4:5]
	v_mul_f64 v[14:15], v[88:89], v[14:15]
	v_and_b32_e32 v69, 1, v90
	v_cndmask_b32_e32 v61, v98, v61, vcc
	s_and_b64 vcc, s[0:1], vcc
	v_cndmask_b32_e64 v5, v100, v61, s[0:1]
	v_cndmask_b32_e32 v4, 0, v60, vcc
	v_mul_f64 v[60:61], v[44:45], v[44:45]
	v_mul_f64 v[62:63], v[60:61], 0.5
	v_fma_f64 v[78:79], s[16:17], v[60:61], v[82:83]
	v_add_f64 v[70:71], -v[62:63], 1.0
	v_fma_f64 v[78:79], v[60:61], v[78:79], s[22:23]
	v_fma_f64 v[78:79], v[60:61], v[78:79], s[30:31]
	v_add_f64 v[88:89], -v[70:71], 1.0
	v_fma_f64 v[78:79], v[60:61], v[78:79], s[36:37]
	v_add_f64 v[62:63], v[88:89], -v[62:63]
	v_mul_f64 v[76:77], v[60:61], v[60:61]
	v_fma_f64 v[78:79], v[60:61], v[78:79], s[42:43]
	v_fma_f64 v[62:63], v[44:45], -v[46:47], v[62:63]
	v_fmac_f64_e32 v[62:63], v[76:77], v[78:79]
	v_fma_f64 v[76:77], s[46:47], v[60:61], v[84:85]
	v_fma_f64 v[76:77], v[60:61], v[76:77], s[52:53]
	;; [unrolled: 1-line block ×3, first 2 shown]
	v_add_f64 v[62:63], v[70:71], v[62:63]
	v_mul_f64 v[70:71], v[44:45], -v[60:61]
	v_fma_f64 v[76:77], v[60:61], v[76:77], s[58:59]
	v_mul_f64 v[78:79], v[46:47], 0.5
	v_fmac_f64_e32 v[78:79], v[70:71], v[76:77]
	v_fma_f64 v[46:47], v[60:61], v[78:79], -v[46:47]
	v_fmac_f64_e32 v[46:47], s[60:61], v[70:71]
	v_add_f64 v[44:45], v[44:45], -v[46:47]
	v_xor_b32_e32 v45, 0x80000000, v45
	v_cmp_eq_u32_e32 vcc, 0, v69
	v_lshlrev_b32_e32 v46, 30, v90
	v_mul_f64 v[70:71], v[42:43], 0.5
	v_cndmask_b32_e32 v45, v45, v63, vcc
	v_bitop3_b32 v45, v45, v46, s80 bitop3:0x78
	v_mul_f64 v[46:47], v[40:41], v[40:41]
	v_cndmask_b32_e32 v44, v44, v62, vcc
	v_fma_f64 v[62:63], s[46:47], v[46:47], v[84:85]
	v_fma_f64 v[62:63], v[46:47], v[62:63], s[52:53]
	;; [unrolled: 1-line block ×3, first 2 shown]
	v_mul_f64 v[60:61], v[40:41], -v[46:47]
	v_fma_f64 v[62:63], v[46:47], v[62:63], s[58:59]
	v_fmac_f64_e32 v[70:71], v[60:61], v[62:63]
	v_fma_f64 v[62:63], v[46:47], v[70:71], -v[42:43]
	v_fma_f64 v[78:79], s[16:17], v[46:47], v[82:83]
	v_fmac_f64_e32 v[62:63], s[60:61], v[60:61]
	v_fma_f64 v[78:79], v[46:47], v[78:79], s[22:23]
	v_add_f64 v[60:61], v[40:41], -v[62:63]
	v_mul_f64 v[62:63], v[46:47], 0.5
	v_fma_f64 v[78:79], v[46:47], v[78:79], s[30:31]
	v_add_f64 v[70:71], -v[62:63], 1.0
	v_fma_f64 v[78:79], v[46:47], v[78:79], s[36:37]
	v_mul_f64 v[76:77], v[46:47], v[46:47]
	v_fma_f64 v[46:47], v[46:47], v[78:79], s[42:43]
	v_add_f64 v[78:79], -v[70:71], 1.0
	v_add_f64 v[62:63], v[78:79], -v[62:63]
	v_fma_f64 v[40:41], v[40:41], -v[42:43], v[62:63]
	v_cmp_class_f64_e64 vcc, v[6:7], s33
	v_and_b32_e32 v6, 1, v23
	v_fmac_f64_e32 v[40:41], v[76:77], v[46:47]
	v_add_f64 v[40:41], v[70:71], v[40:41]
	v_cmp_eq_u32_e64 s[0:1], 0, v6
	v_lshlrev_b32_e32 v23, 30, v23
	v_xor_b32_e32 v23, v23, v39
	v_cndmask_b32_e64 v6, v40, v60, s[0:1]
	v_cndmask_b32_e64 v40, v41, v61, s[0:1]
	v_bitop3_b32 v23, v40, v23, s80 bitop3:0x78
	v_cmp_class_f64_e64 s[0:1], v[38:39], s33
	v_cndmask_b32_e32 v44, 0, v44, vcc
	v_cndmask_b32_e32 v45, v68, v45, vcc
	v_cndmask_b32_e64 v38, 0, v6, s[0:1]
	v_cndmask_b32_e64 v39, v68, v23, s[0:1]
	v_add_f64 v[40:41], v[38:39], v[38:39]
	v_mul_f64 v[38:39], v[40:41], v[38:39]
	v_fma_f64 v[4:5], v[4:5], v[44:45], -v[38:39]
	v_mul_f64 v[38:39], v[48:49], v[48:49]
	v_mul_f64 v[40:41], v[38:39], 0.5
	v_fma_f64 v[46:47], s[16:17], v[38:39], v[82:83]
	v_add_f64 v[42:43], -v[40:41], 1.0
	v_fma_f64 v[46:47], v[38:39], v[46:47], s[22:23]
	v_add_f64 v[44:45], -v[42:43], 1.0
	v_fma_f64 v[46:47], v[38:39], v[46:47], s[30:31]
	v_add_f64 v[40:41], v[44:45], -v[40:41]
	v_fma_f64 v[46:47], v[38:39], v[46:47], s[36:37]
	v_mul_f64 v[44:45], v[38:39], v[38:39]
	v_fma_f64 v[46:47], v[38:39], v[46:47], s[42:43]
	v_fma_f64 v[40:41], v[48:49], -v[50:51], v[40:41]
	v_fmac_f64_e32 v[40:41], v[44:45], v[46:47]
	v_add_f64 v[40:41], v[42:43], v[40:41]
	v_fma_f64 v[42:43], s[46:47], v[38:39], v[84:85]
	v_fma_f64 v[42:43], v[38:39], v[42:43], s[52:53]
	;; [unrolled: 1-line block ×4, first 2 shown]
	v_mul_f64 v[44:45], v[48:49], -v[38:39]
	v_mul_f64 v[46:47], v[50:51], 0.5
	v_fmac_f64_e32 v[46:47], v[44:45], v[42:43]
	v_fma_f64 v[38:39], v[38:39], v[46:47], -v[50:51]
	v_fmac_f64_e32 v[38:39], s[60:61], v[44:45]
	v_and_b32_e32 v6, 1, v91
	v_add_f64 v[38:39], v[48:49], -v[38:39]
	v_cmp_eq_u32_e64 s[0:1], 0, v6
	s_nop 1
	v_cndmask_b32_e64 v6, v40, v38, s[0:1]
	v_lshlrev_b32_e32 v38, 30, v91
	v_cndmask_b32_e64 v23, v41, v39, s[0:1]
	v_xor_b32_e32 v7, v38, v7
	v_mul_f64 v[38:39], v[0:1], s[2:3]
	v_rndne_f64_e32 v[40:41], v[38:39]
	v_fma_f64 v[42:43], s[6:7], v[40:41], v[0:1]
	v_fmac_f64_e32 v[42:43], s[8:9], v[40:41]
	v_fma_f64 v[38:39], s[10:11], v[42:43], v[80:81]
	v_fma_f64 v[38:39], v[42:43], v[38:39], s[12:13]
	;; [unrolled: 1-line block ×9, first 2 shown]
	v_fma_f64 v[38:39], v[42:43], v[38:39], 1.0
	v_bitop3_b32 v7, v23, v7, s80 bitop3:0x78
	v_fma_f64 v[38:39], v[42:43], v[38:39], 1.0
	v_cvt_i32_f64_e32 v23, v[40:41]
	v_cndmask_b32_e32 v6, 0, v6, vcc
	v_cndmask_b32_e32 v7, v68, v7, vcc
	v_ldexp_f64 v[38:39], v[38:39], v23
	v_cmp_nlt_f64_e32 vcc, s[38:39], v[0:1]
	v_cmp_ngt_f64_e64 s[0:1], s[48:49], v[0:1]
	v_ldexp_f64 v[44:45], 1.0, v23
	v_cndmask_b32_e32 v39, v98, v39, vcc
	s_and_b64 vcc, s[0:1], vcc
	v_cndmask_b32_e32 v38, 0, v38, vcc
	v_cmp_eq_f64_e32 vcc, s[38:39], v[40:41]
	v_cndmask_b32_e64 v39, 0, v39, s[0:1]
	v_cmp_ngt_f64_e64 s[0:1], s[78:79], v[0:1]
	v_cndmask_b32_e32 v41, v45, v99, vcc
	v_cndmask_b32_e64 v40, v44, 0, vcc
	v_fma_f64 v[44:45], s[50:51], v[42:43], v[86:87]
	v_fma_f64 v[44:45], v[42:43], v[44:45], s[56:57]
	;; [unrolled: 1-line block ×9, first 2 shown]
	v_fma_f64 v[44:45], v[42:43], v[44:45], 0.5
	v_mul_f64 v[44:45], v[42:43], v[44:45]
	v_fmac_f64_e32 v[42:43], v[42:43], v[44:45]
	v_add_f64 v[44:45], v[40:41], -1.0
	v_fmac_f64_e32 v[44:45], v[40:41], v[42:43]
	v_add_f64 v[40:41], v[44:45], v[44:45]
	v_cndmask_b32_e32 v23, v44, v40, vcc
	v_cndmask_b32_e32 v40, v45, v41, vcc
	v_cmp_nlt_f64_e32 vcc, s[76:77], v[0:1]
	v_mul_f64 v[6:7], v[54:55], v[6:7]
	s_nop 0
	v_cndmask_b32_e32 v40, v98, v40, vcc
	v_cndmask_b32_e64 v1, v100, v40, s[0:1]
	v_mul_f64 v[40:41], v[30:31], v[30:31]
	v_mul_f64 v[42:43], v[40:41], 0.5
	v_fma_f64 v[48:49], s[16:17], v[40:41], v[82:83]
	v_add_f64 v[44:45], -v[42:43], 1.0
	v_fma_f64 v[48:49], v[40:41], v[48:49], s[22:23]
	v_fma_f64 v[48:49], v[40:41], v[48:49], s[30:31]
	v_add_f64 v[50:51], -v[44:45], 1.0
	v_fma_f64 v[48:49], v[40:41], v[48:49], s[36:37]
	v_add_f64 v[42:43], v[50:51], -v[42:43]
	v_mul_f64 v[46:47], v[40:41], v[40:41]
	v_fma_f64 v[48:49], v[40:41], v[48:49], s[42:43]
	v_fma_f64 v[42:43], v[30:31], -v[32:33], v[42:43]
	v_fmac_f64_e32 v[42:43], v[46:47], v[48:49]
	v_fma_f64 v[46:47], s[46:47], v[40:41], v[84:85]
	v_fma_f64 v[46:47], v[40:41], v[46:47], s[52:53]
	;; [unrolled: 1-line block ×3, first 2 shown]
	v_add_f64 v[42:43], v[44:45], v[42:43]
	v_mul_f64 v[44:45], v[30:31], -v[40:41]
	v_fma_f64 v[46:47], v[40:41], v[46:47], s[58:59]
	v_mul_f64 v[48:49], v[32:33], 0.5
	v_fmac_f64_e32 v[48:49], v[44:45], v[46:47]
	v_fma_f64 v[32:33], v[40:41], v[48:49], -v[32:33]
	s_and_b64 vcc, s[0:1], vcc
	v_fmac_f64_e32 v[32:33], s[60:61], v[44:45]
	v_cndmask_b32_e32 v0, 0, v23, vcc
	v_and_b32_e32 v23, 1, v19
	v_add_f64 v[30:31], v[30:31], -v[32:33]
	v_xor_b32_e32 v31, 0x80000000, v31
	v_cmp_eq_u32_e32 vcc, 0, v23
	v_mul_f64 v[32:33], v[26:27], v[26:27]
	v_mul_f64 v[40:41], v[26:27], -v[32:33]
	v_cndmask_b32_e32 v23, v30, v42, vcc
	v_cndmask_b32_e32 v30, v31, v43, vcc
	v_fma_f64 v[42:43], s[46:47], v[32:33], v[84:85]
	v_fma_f64 v[42:43], v[32:33], v[42:43], s[52:53]
	;; [unrolled: 1-line block ×4, first 2 shown]
	v_mul_f64 v[44:45], v[28:29], 0.5
	v_fmac_f64_e32 v[44:45], v[40:41], v[42:43]
	v_fma_f64 v[42:43], v[32:33], v[44:45], -v[28:29]
	v_fma_f64 v[48:49], s[16:17], v[32:33], v[82:83]
	v_fmac_f64_e32 v[42:43], s[60:61], v[40:41]
	v_fma_f64 v[48:49], v[32:33], v[48:49], s[22:23]
	v_add_f64 v[40:41], v[26:27], -v[42:43]
	v_mul_f64 v[42:43], v[32:33], 0.5
	v_fma_f64 v[48:49], v[32:33], v[48:49], s[30:31]
	v_add_f64 v[44:45], -v[42:43], 1.0
	v_fma_f64 v[48:49], v[32:33], v[48:49], s[36:37]
	v_mul_f64 v[46:47], v[32:33], v[32:33]
	v_fma_f64 v[32:33], v[32:33], v[48:49], s[42:43]
	v_add_f64 v[48:49], -v[44:45], 1.0
	v_add_f64 v[42:43], v[48:49], -v[42:43]
	v_fma_f64 v[26:27], v[26:27], -v[28:29], v[42:43]
	v_lshlrev_b32_e32 v19, 30, v19
	v_cmp_class_f64_e64 vcc, v[2:3], s33
	v_and_b32_e32 v2, 1, v17
	v_fmac_f64_e32 v[26:27], v[46:47], v[32:33]
	v_bitop3_b32 v19, v30, v19, s80 bitop3:0x78
	v_add_f64 v[26:27], v[44:45], v[26:27]
	v_cmp_eq_u32_e64 s[0:1], 0, v2
	v_lshlrev_b32_e32 v17, 30, v17
	v_cndmask_b32_e32 v31, v68, v19, vcc
	v_cndmask_b32_e64 v19, v27, v41, s[0:1]
	v_xor_b32_e32 v17, v17, v25
	v_cndmask_b32_e64 v2, v26, v40, s[0:1]
	v_bitop3_b32 v17, v19, v17, s80 bitop3:0x78
	v_cmp_class_f64_e64 s[0:1], v[24:25], s33
	v_cndmask_b32_e32 v30, 0, v23, vcc
	v_lshlrev_b32_e32 v19, 30, v21
	v_cndmask_b32_e64 v24, 0, v2, s[0:1]
	v_cndmask_b32_e64 v25, v68, v17, s[0:1]
	v_add_f64 v[26:27], v[24:25], v[24:25]
	v_mul_f64 v[24:25], v[26:27], v[24:25]
	v_fma_f64 v[0:1], v[0:1], v[30:31], -v[24:25]
	v_mul_f64 v[24:25], v[34:35], v[34:35]
	v_mul_f64 v[26:27], v[24:25], 0.5
	v_fma_f64 v[32:33], s[16:17], v[24:25], v[82:83]
	v_add_f64 v[28:29], -v[26:27], 1.0
	v_fma_f64 v[32:33], v[24:25], v[32:33], s[22:23]
	v_add_f64 v[30:31], -v[28:29], 1.0
	v_fma_f64 v[32:33], v[24:25], v[32:33], s[30:31]
	v_add_f64 v[26:27], v[30:31], -v[26:27]
	v_fma_f64 v[32:33], v[24:25], v[32:33], s[36:37]
	v_mul_f64 v[30:31], v[24:25], v[24:25]
	v_fma_f64 v[32:33], v[24:25], v[32:33], s[42:43]
	v_fma_f64 v[26:27], v[34:35], -v[36:37], v[26:27]
	v_fmac_f64_e32 v[26:27], v[30:31], v[32:33]
	v_add_f64 v[26:27], v[28:29], v[26:27]
	v_fma_f64 v[28:29], s[46:47], v[24:25], v[84:85]
	v_fma_f64 v[28:29], v[24:25], v[28:29], s[52:53]
	;; [unrolled: 1-line block ×4, first 2 shown]
	v_mul_f64 v[30:31], v[34:35], -v[24:25]
	v_mul_f64 v[32:33], v[36:37], 0.5
	v_fmac_f64_e32 v[32:33], v[30:31], v[28:29]
	v_fma_f64 v[24:25], v[24:25], v[32:33], -v[36:37]
	v_fmac_f64_e32 v[24:25], s[60:61], v[30:31]
	v_and_b32_e32 v2, 1, v21
	v_add_f64 v[24:25], v[34:35], -v[24:25]
	v_cmp_eq_u32_e64 s[0:1], 0, v2
	v_xor_b32_e32 v3, v19, v3
	v_lshlrev_b32_e32 v21, 30, v94
	v_cndmask_b32_e64 v2, v26, v24, s[0:1]
	v_cndmask_b32_e64 v17, v27, v25, s[0:1]
	v_mul_f64 v[26:27], v[8:9], s[2:3]
	v_rndne_f64_e32 v[28:29], v[26:27]
	v_fma_f64 v[30:31], s[6:7], v[28:29], v[8:9]
	v_fmac_f64_e32 v[30:31], s[8:9], v[28:29]
	v_fmac_f64_e32 v[80:81], s[10:11], v[30:31]
	v_fma_f64 v[26:27], v[30:31], v[80:81], s[12:13]
	v_fma_f64 v[26:27], v[30:31], v[26:27], s[14:15]
	;; [unrolled: 1-line block ×8, first 2 shown]
	v_fma_f64 v[26:27], v[30:31], v[26:27], 1.0
	v_bitop3_b32 v3, v17, v3, s80 bitop3:0x78
	v_fma_f64 v[26:27], v[30:31], v[26:27], 1.0
	v_cvt_i32_f64_e32 v17, v[28:29]
	v_cndmask_b32_e32 v2, 0, v2, vcc
	v_cndmask_b32_e32 v3, v68, v3, vcc
	v_ldexp_f64 v[26:27], v[26:27], v17
	v_cmp_nlt_f64_e32 vcc, s[38:39], v[8:9]
	v_cmp_ngt_f64_e64 s[0:1], s[48:49], v[8:9]
	v_ldexp_f64 v[32:33], 1.0, v17
	v_cndmask_b32_e32 v19, v98, v27, vcc
	s_and_b64 vcc, s[0:1], vcc
	v_cndmask_b32_e32 v26, 0, v26, vcc
	v_cmp_eq_f64_e32 vcc, s[38:39], v[28:29]
	v_fmac_f64_e32 v[86:87], s[50:51], v[30:31]
	v_cndmask_b32_e64 v27, 0, v19, s[0:1]
	v_cndmask_b32_e32 v29, v33, v99, vcc
	v_cndmask_b32_e64 v28, v32, 0, vcc
	v_fma_f64 v[32:33], v[30:31], v[86:87], s[56:57]
	v_fma_f64 v[32:33], v[30:31], v[32:33], s[62:63]
	;; [unrolled: 1-line block ×8, first 2 shown]
	v_fma_f64 v[32:33], v[30:31], v[32:33], 0.5
	v_mul_f64 v[32:33], v[30:31], v[32:33]
	v_fmac_f64_e32 v[30:31], v[30:31], v[32:33]
	v_add_f64 v[32:33], v[28:29], -1.0
	v_fmac_f64_e32 v[32:33], v[28:29], v[30:31]
	v_add_f64 v[28:29], v[32:33], v[32:33]
	v_cndmask_b32_e32 v17, v32, v28, vcc
	v_cndmask_b32_e32 v19, v33, v29, vcc
	v_mul_f64 v[28:29], v[64:65], v[64:65]
	v_mul_f64 v[30:31], v[28:29], 0.5
	v_fma_f64 v[36:37], s[16:17], v[28:29], v[82:83]
	v_add_f64 v[32:33], -v[30:31], 1.0
	v_fma_f64 v[36:37], v[28:29], v[36:37], s[22:23]
	v_mul_f64 v[2:3], v[38:39], v[2:3]
	v_fma_f64 v[36:37], v[28:29], v[36:37], s[30:31]
	v_add_f64 v[38:39], -v[32:33], 1.0
	v_fma_f64 v[36:37], v[28:29], v[36:37], s[36:37]
	v_add_f64 v[30:31], v[38:39], -v[30:31]
	v_mul_f64 v[34:35], v[28:29], v[28:29]
	v_fma_f64 v[36:37], v[28:29], v[36:37], s[42:43]
	v_fma_f64 v[30:31], v[64:65], -v[66:67], v[30:31]
	v_fmac_f64_e32 v[30:31], v[34:35], v[36:37]
	v_fma_f64 v[34:35], s[46:47], v[28:29], v[84:85]
	v_fma_f64 v[34:35], v[28:29], v[34:35], s[52:53]
	;; [unrolled: 1-line block ×3, first 2 shown]
	v_add_f64 v[30:31], v[32:33], v[30:31]
	v_mul_f64 v[32:33], v[64:65], -v[28:29]
	v_fma_f64 v[34:35], v[28:29], v[34:35], s[58:59]
	v_mul_f64 v[36:37], v[66:67], 0.5
	v_fmac_f64_e32 v[36:37], v[32:33], v[34:35]
	v_cmp_nlt_f64_e32 vcc, s[76:77], v[8:9]
	v_cmp_ngt_f64_e64 s[0:1], s[78:79], v[8:9]
	v_fma_f64 v[28:29], v[28:29], v[36:37], -v[66:67]
	v_cndmask_b32_e32 v19, v98, v19, vcc
	s_and_b64 vcc, s[0:1], vcc
	v_fmac_f64_e32 v[28:29], s[60:61], v[32:33]
	v_cndmask_b32_e32 v8, 0, v17, vcc
	v_and_b32_e32 v17, 1, v94
	v_add_f64 v[28:29], v[64:65], -v[28:29]
	v_cndmask_b32_e64 v9, v100, v19, s[0:1]
	v_xor_b32_e32 v19, 0x80000000, v29
	v_cmp_eq_u32_e32 vcc, 0, v17
	v_mul_f64 v[36:37], v[58:59], 0.5
	v_mov_b32_e32 v23, 0
	v_cndmask_b32_e32 v17, v28, v30, vcc
	v_cndmask_b32_e32 v19, v19, v31, vcc
	v_mul_f64 v[30:31], v[56:57], v[56:57]
	v_fma_f64 v[34:35], s[46:47], v[30:31], v[84:85]
	v_fma_f64 v[34:35], v[30:31], v[34:35], s[52:53]
	;; [unrolled: 1-line block ×3, first 2 shown]
	v_mul_f64 v[32:33], v[56:57], -v[30:31]
	v_fma_f64 v[34:35], v[30:31], v[34:35], s[58:59]
	v_fmac_f64_e32 v[36:37], v[32:33], v[34:35]
	v_fma_f64 v[34:35], v[30:31], v[36:37], -v[58:59]
	v_fma_f64 v[40:41], s[16:17], v[30:31], v[82:83]
	v_fmac_f64_e32 v[34:35], s[60:61], v[32:33]
	v_fma_f64 v[40:41], v[30:31], v[40:41], s[22:23]
	v_add_f64 v[32:33], v[56:57], -v[34:35]
	v_mul_f64 v[34:35], v[30:31], 0.5
	v_fma_f64 v[40:41], v[30:31], v[40:41], s[30:31]
	v_add_f64 v[36:37], -v[34:35], 1.0
	v_fma_f64 v[40:41], v[30:31], v[40:41], s[36:37]
	v_mul_f64 v[38:39], v[30:31], v[30:31]
	v_fma_f64 v[30:31], v[30:31], v[40:41], s[42:43]
	v_add_f64 v[40:41], -v[36:37], 1.0
	v_add_f64 v[34:35], v[40:41], -v[34:35]
	v_fma_f64 v[34:35], v[56:57], -v[58:59], v[34:35]
	v_bitop3_b32 v19, v19, v21, s80 bitop3:0x78
	v_cmp_class_f64_e64 vcc, v[10:11], s33
	v_and_b32_e32 v10, 1, v92
	v_fmac_f64_e32 v[34:35], v[38:39], v[30:31]
	v_cndmask_b32_e32 v29, v68, v19, vcc
	v_add_f64 v[30:31], v[36:37], v[34:35]
	v_cmp_eq_u32_e64 s[0:1], 0, v10
	v_lshlrev_b32_e32 v19, 30, v92
	v_cndmask_b32_e32 v28, 0, v17, vcc
	v_cndmask_b32_e64 v17, v31, v33, s[0:1]
	v_xor_b32_e32 v19, v19, v53
	v_cndmask_b32_e64 v10, v30, v32, s[0:1]
	v_bitop3_b32 v17, v17, v19, s80 bitop3:0x78
	v_cmp_class_f64_e64 s[0:1], v[52:53], s33
	v_lshl_add_u64 v[24:25], s[4:5], 0, v[22:23]
	s_nop 0
	v_cndmask_b32_e64 v30, 0, v10, s[0:1]
	v_cndmask_b32_e64 v31, v68, v17, s[0:1]
	v_add_f64 v[32:33], v[30:31], v[30:31]
	v_mul_f64 v[30:31], v[32:33], v[30:31]
	v_fma_f64 v[28:29], v[8:9], v[28:29], -v[30:31]
	v_mul_f64 v[8:9], v[72:73], v[72:73]
	v_mul_f64 v[30:31], v[8:9], 0.5
	v_fmac_f64_e32 v[82:83], s[16:17], v[8:9]
	v_add_f64 v[32:33], -v[30:31], 1.0
	v_fma_f64 v[36:37], v[8:9], v[82:83], s[22:23]
	v_add_f64 v[34:35], -v[32:33], 1.0
	v_fma_f64 v[36:37], v[8:9], v[36:37], s[30:31]
	v_add_f64 v[30:31], v[34:35], -v[30:31]
	v_fma_f64 v[36:37], v[8:9], v[36:37], s[36:37]
	v_mul_f64 v[34:35], v[8:9], v[8:9]
	v_fma_f64 v[36:37], v[8:9], v[36:37], s[42:43]
	v_fma_f64 v[30:31], v[72:73], -v[74:75], v[30:31]
	v_fmac_f64_e32 v[30:31], v[34:35], v[36:37]
	v_fmac_f64_e32 v[84:85], s[46:47], v[8:9]
	v_add_f64 v[30:31], v[32:33], v[30:31]
	v_fma_f64 v[32:33], v[8:9], v[84:85], s[52:53]
	v_fma_f64 v[32:33], v[8:9], v[32:33], s[54:55]
	;; [unrolled: 1-line block ×3, first 2 shown]
	v_mul_f64 v[34:35], v[72:73], -v[8:9]
	v_mul_f64 v[36:37], v[74:75], 0.5
	v_fmac_f64_e32 v[36:37], v[34:35], v[32:33]
	v_fma_f64 v[8:9], v[8:9], v[36:37], -v[74:75]
	v_fmac_f64_e32 v[8:9], s[60:61], v[34:35]
	v_and_b32_e32 v10, 1, v96
	v_add_f64 v[8:9], v[72:73], -v[8:9]
	v_cmp_eq_u32_e64 s[0:1], 0, v10
	v_lshlrev_b32_e32 v10, 30, v96
	v_xor_b32_e32 v10, v10, v11
	v_cndmask_b32_e64 v9, v31, v9, s[0:1]
	v_cndmask_b32_e64 v8, v30, v8, s[0:1]
	v_bitop3_b32 v9, v9, v10, s80 bitop3:0x78
	v_cndmask_b32_e32 v8, 0, v8, vcc
	v_cndmask_b32_e32 v9, v68, v9, vcc
	v_mul_f64 v[8:9], v[26:27], v[8:9]
	global_store_dwordx4 v16, v[0:3], s[4:5]
	global_store_dwordx4 v18, v[4:7], s[4:5]
	;; [unrolled: 1-line block ×3, first 2 shown]
	global_store_dwordx2 v22, v[28:29], s[4:5]
	s_or_b64 exec, exec, s[26:27]
	s_and_saveexec_b64 s[0:1], s[24:25]
	s_cbranch_execnz .LBB129_226
.LBB129_123:
	s_endpgm
.LBB129_124:
	v_mov_b32_e32 v0, 0
	v_mov_b32_e32 v4, 0
	s_branch .LBB129_130
.LBB129_125:
	v_mov_b32_e32 v0, 0
	v_mov_b32_e32 v4, 0
	s_branch .LBB129_151
.LBB129_126:
	v_mov_b32_e32 v4, 0
	s_mov_b32 s57, 0
	v_mov_b32_e32 v1, v4
                                        ; implicit-def: $vgpr0
	v_mov_b32_e32 v2, v26
.LBB129_127:
	s_and_b32 s4, s58, 3
	s_cmp_eq_u32 s4, 0
	s_cbranch_scc1 .LBB129_130
; %bb.128:
	s_lshl_b32 s0, s57, 3
	s_add_u32 s0, s34, s0
	s_addc_u32 s1, s35, 0
	s_add_u32 s0, s0, 0xc4
	s_addc_u32 s1, s1, 0
	s_mul_i32 s2, s57, 12
	s_add_u32 s2, s34, s2
	s_addc_u32 s3, s35, 0
.LBB129_129:                            ; =>This Inner Loop Header: Depth=1
	s_load_dwordx2 s[6:7], s[2:3], 0x4
	s_load_dword s5, s[2:3], 0xc
	s_load_dwordx2 s[8:9], s[0:1], 0x0
	v_mov_b32_e32 v0, v1
	s_add_u32 s2, s2, 12
	s_waitcnt lgkmcnt(0)
	v_mul_hi_u32 v1, s7, v2
	v_add_u32_e32 v1, v2, v1
	v_lshrrev_b32_e32 v1, s5, v1
	s_addc_u32 s3, s3, 0
	v_mul_lo_u32 v3, v1, s6
	s_add_u32 s0, s0, 8
	v_sub_u32_e32 v3, v2, v3
	s_addc_u32 s1, s1, 0
	s_add_i32 s4, s4, -1
	v_mov_b32_e32 v2, v1
	v_mad_u64_u32 v[0:1], s[6:7], v3, s9, v[0:1]
	s_cmp_lg_u32 s4, 0
	v_mad_u64_u32 v[4:5], s[6:7], v3, s8, v[4:5]
	v_mov_b32_e32 v1, v0
	s_cbranch_scc1 .LBB129_129
.LBB129_130:
	s_cbranch_execnz .LBB129_133
.LBB129_131:
	s_waitcnt lgkmcnt(0)
	v_mul_hi_u32 v0, s25, v26
	v_add_u32_e32 v0, v26, v0
	v_lshrrev_b32_e32 v1, s26, v0
	v_mul_lo_u32 v0, v1, s24
	v_sub_u32_e32 v2, v26, v0
	v_mul_lo_u32 v0, v2, s21
	s_andn2_b64 vcc, exec, s[42:43]
	v_mul_lo_u32 v4, v2, s20
	s_cbranch_vccnz .LBB129_133
; %bb.132:
	v_mul_hi_u32 v2, s40, v1
	v_add_u32_e32 v2, v1, v2
	v_lshrrev_b32_e32 v2, s41, v2
	v_mul_lo_u32 v2, v2, s27
	v_sub_u32_e32 v1, v1, v2
	v_mad_u64_u32 v[4:5], s[0:1], v1, s22, v[4:5]
	v_mad_u64_u32 v[0:1], s[0:1], v1, s23, v[0:1]
.LBB129_133:
	s_waitcnt lgkmcnt(0)
	global_load_dwordx4 v[0:3], v0, s[18:19]
	s_mov_b32 s0, 0
	s_mov_b32 s1, 0x41d00000
                                        ; implicit-def: $vgpr5
                                        ; implicit-def: $vgpr8_vgpr9
                                        ; implicit-def: $vgpr10_vgpr11
	s_waitcnt vmcnt(0)
	v_mul_f64 v[6:7], v[2:3], 0.5
	v_cmp_nlt_f64_e64 s[0:1], |v[6:7]|, s[0:1]
	s_and_saveexec_b64 s[2:3], s[0:1]
	s_xor_b64 s[2:3], exec, s[2:3]
	s_cbranch_execz .LBB129_135
; %bb.134:
	s_mov_b32 s0, 0
	s_mov_b32 s1, 0x7b000000
	s_movk_i32 s4, 0xff80
	v_and_b32_e32 v5, 0x7fffffff, v7
	v_ldexp_f64 v[12:13], |v[6:7]|, s4
	v_cmp_ge_f64_e64 vcc, |v[6:7]|, s[0:1]
	v_trig_preop_f64 v[8:9], |v[6:7]|, 0
	v_trig_preop_f64 v[10:11], |v[6:7]|, 1
	v_cndmask_b32_e32 v13, v5, v13, vcc
	v_cndmask_b32_e32 v12, v6, v12, vcc
	v_mul_f64 v[16:17], v[8:9], v[12:13]
	v_mul_f64 v[14:15], v[10:11], v[12:13]
	v_fma_f64 v[8:9], v[8:9], v[12:13], -v[16:17]
	v_add_f64 v[18:19], v[14:15], v[8:9]
	v_add_f64 v[28:29], v[18:19], -v[14:15]
	v_add_f64 v[8:9], v[8:9], -v[28:29]
	;; [unrolled: 1-line block ×4, first 2 shown]
	v_fma_f64 v[10:11], v[10:11], v[12:13], -v[14:15]
	v_trig_preop_f64 v[14:15], |v[6:7]|, 2
	v_add_f64 v[8:9], v[8:9], v[28:29]
	v_mul_f64 v[28:29], v[14:15], v[12:13]
	v_add_f64 v[30:31], v[28:29], v[10:11]
	v_add_f64 v[20:21], v[16:17], v[18:19]
	;; [unrolled: 1-line block ×3, first 2 shown]
	v_ldexp_f64 v[22:23], v[20:21], -2
	v_add_f64 v[16:17], v[20:21], -v[16:17]
	v_add_f64 v[20:21], v[32:33], -v[30:31]
	;; [unrolled: 1-line block ×5, first 2 shown]
	v_add_f64 v[8:9], v[8:9], v[20:21]
	v_add_f64 v[20:21], v[30:31], -v[28:29]
	v_add_f64 v[10:11], v[10:11], -v[20:21]
	;; [unrolled: 1-line block ×4, first 2 shown]
	v_add_f64 v[10:11], v[10:11], v[20:21]
	s_mov_b32 s0, 0
	v_fract_f64_e32 v[24:25], v[22:23]
	v_add_f64 v[8:9], v[10:11], v[8:9]
	v_fma_f64 v[10:11], v[14:15], v[12:13], -v[28:29]
	s_mov_b32 s1, 0x7ff00000
	v_add_f64 v[16:17], v[18:19], -v[16:17]
	v_add_f64 v[8:9], v[10:11], v[8:9]
	v_ldexp_f64 v[10:11], v[24:25], 2
	v_cmp_neq_f64_e64 vcc, |v[22:23]|, s[0:1]
	v_add_f64 v[18:19], v[16:17], v[32:33]
	v_mov_b32_e32 v5, 0x40100000
	v_cndmask_b32_e32 v11, 0, v11, vcc
	v_cndmask_b32_e32 v10, 0, v10, vcc
	v_add_f64 v[12:13], v[18:19], v[10:11]
	v_cmp_gt_f64_e32 vcc, 0, v[12:13]
	v_mov_b32_e32 v12, 0
	v_add_f64 v[16:17], v[18:19], -v[16:17]
	v_cndmask_b32_e32 v13, 0, v5, vcc
	v_add_f64 v[10:11], v[10:11], v[12:13]
	v_add_f64 v[14:15], v[18:19], v[10:11]
	v_cvt_i32_f64_e32 v5, v[14:15]
	v_cvt_f64_i32_e32 v[14:15], v5
	v_add_f64 v[10:11], v[10:11], -v[14:15]
	v_add_f64 v[14:15], v[18:19], v[10:11]
	v_add_f64 v[16:17], v[32:33], -v[16:17]
	v_add_f64 v[10:11], v[14:15], -v[10:11]
	v_add_f64 v[8:9], v[16:17], v[8:9]
	v_add_f64 v[10:11], v[18:19], -v[10:11]
	v_add_f64 v[8:9], v[8:9], v[10:11]
	v_cmp_le_f64_e32 vcc, 0.5, v[14:15]
	v_mov_b32_e32 v10, 0x3ff00000
	s_mov_b32 s4, 0x33145c07
	v_cndmask_b32_e32 v13, 0, v10, vcc
	v_addc_co_u32_e64 v5, s[0:1], 0, v5, vcc
	v_add_f64 v[10:11], v[14:15], -v[12:13]
	v_add_f64 v[12:13], v[10:11], v[8:9]
	s_mov_b32 s0, 0x54442d18
	v_add_f64 v[10:11], v[12:13], -v[10:11]
	s_mov_b32 s1, 0x3ff921fb
	v_add_f64 v[8:9], v[8:9], -v[10:11]
	v_mul_f64 v[10:11], v[12:13], s[0:1]
	v_fma_f64 v[14:15], v[12:13], s[0:1], -v[10:11]
	s_mov_b32 s5, 0x3c91a626
	v_fmac_f64_e32 v[14:15], s[4:5], v[12:13]
	v_fmac_f64_e32 v[14:15], s[0:1], v[8:9]
	v_add_f64 v[8:9], v[10:11], v[14:15]
	v_add_f64 v[10:11], v[8:9], -v[10:11]
	v_add_f64 v[10:11], v[14:15], -v[10:11]
.LBB129_135:
	s_andn2_saveexec_b64 s[0:1], s[2:3]
	s_cbranch_execz .LBB129_137
; %bb.136:
	s_mov_b32 s2, 0x6dc9c883
	s_mov_b32 s3, 0x3fe45f30
	v_mul_f64 v[8:9], |v[6:7]|, s[2:3]
	s_mov_b32 s2, 0x54442d18
	v_rndne_f64_e32 v[12:13], v[8:9]
	s_mov_b32 s3, 0xbff921fb
	v_fma_f64 v[8:9], v[12:13], s[2:3], |v[6:7]|
	s_mov_b32 s3, 0xbc91a626
	s_mov_b32 s2, 0x33145c00
	v_mul_f64 v[14:15], v[12:13], s[2:3]
	v_add_f64 v[18:19], v[8:9], v[14:15]
	v_fma_f64 v[10:11], s[2:3], v[12:13], v[8:9]
	s_mov_b32 s3, 0x3c91a626
	v_add_f64 v[8:9], v[8:9], -v[18:19]
	v_fma_f64 v[16:17], s[2:3], v[12:13], v[14:15]
	v_add_f64 v[8:9], v[8:9], v[14:15]
	v_add_f64 v[14:15], v[18:19], -v[10:11]
	v_add_f64 v[8:9], v[14:15], v[8:9]
	s_mov_b32 s2, 0x252049c0
	v_add_f64 v[14:15], v[8:9], -v[16:17]
	s_mov_b32 s3, 0xb97b839a
	v_fmac_f64_e32 v[14:15], s[2:3], v[12:13]
	v_add_f64 v[8:9], v[10:11], v[14:15]
	v_add_f64 v[10:11], v[8:9], -v[10:11]
	v_add_f64 v[10:11], v[14:15], -v[10:11]
	v_cvt_i32_f64_e32 v5, v[12:13]
.LBB129_137:
	s_or_b64 exec, exec, s[0:1]
	s_mov_b32 s0, 0
	s_mov_b32 s1, 0x41d00000
	v_cmp_nlt_f64_e64 s[2:3], |v[2:3]|, s[0:1]
	v_trig_preop_f64 v[24:25], |v[2:3]|, 0
	v_trig_preop_f64 v[22:23], |v[2:3]|, 1
	;; [unrolled: 1-line block ×3, first 2 shown]
                                        ; implicit-def: $vgpr27
                                        ; implicit-def: $vgpr12_vgpr13
                                        ; implicit-def: $vgpr14_vgpr15
	s_and_saveexec_b64 s[0:1], s[2:3]
	s_xor_b64 s[4:5], exec, s[0:1]
	s_cbranch_execz .LBB129_139
; %bb.138:
	s_mov_b32 s0, 0
	s_mov_b32 s1, 0x7b000000
	s_movk_i32 s6, 0xff80
	v_and_b32_e32 v14, 0x7fffffff, v3
	v_ldexp_f64 v[12:13], |v[2:3]|, s6
	v_cmp_ge_f64_e64 vcc, |v[2:3]|, s[0:1]
	s_mov_b32 s0, 0
	s_mov_b32 s1, 0x7ff00000
	v_cndmask_b32_e32 v13, v14, v13, vcc
	v_cndmask_b32_e32 v12, v2, v12, vcc
	v_mul_f64 v[16:17], v[24:25], v[12:13]
	v_mul_f64 v[14:15], v[22:23], v[12:13]
	v_fma_f64 v[18:19], v[24:25], v[12:13], -v[16:17]
	v_add_f64 v[28:29], v[14:15], v[18:19]
	v_add_f64 v[36:37], v[28:29], -v[14:15]
	v_add_f64 v[18:19], v[18:19], -v[36:37]
	;; [unrolled: 1-line block ×4, first 2 shown]
	v_add_f64 v[18:19], v[18:19], v[36:37]
	v_fma_f64 v[14:15], v[22:23], v[12:13], -v[14:15]
	v_mul_f64 v[36:37], v[20:21], v[12:13]
	v_add_f64 v[38:39], v[36:37], v[14:15]
	v_add_f64 v[30:31], v[16:17], v[28:29]
	;; [unrolled: 1-line block ×3, first 2 shown]
	v_ldexp_f64 v[32:33], v[30:31], -2
	v_add_f64 v[16:17], v[30:31], -v[16:17]
	v_add_f64 v[30:31], v[40:41], -v[38:39]
	;; [unrolled: 1-line block ×5, first 2 shown]
	v_add_f64 v[18:19], v[18:19], v[30:31]
	v_add_f64 v[30:31], v[38:39], -v[36:37]
	v_add_f64 v[14:15], v[14:15], -v[30:31]
	;; [unrolled: 1-line block ×5, first 2 shown]
	v_add_f64 v[14:15], v[14:15], v[30:31]
	v_fract_f64_e32 v[34:35], v[32:33]
	v_add_f64 v[28:29], v[16:17], v[40:41]
	v_add_f64 v[14:15], v[14:15], v[18:19]
	v_fma_f64 v[12:13], v[20:21], v[12:13], -v[36:37]
	v_add_f64 v[16:17], v[28:29], -v[16:17]
	v_add_f64 v[12:13], v[12:13], v[14:15]
	v_ldexp_f64 v[14:15], v[34:35], 2
	v_cmp_neq_f64_e64 vcc, |v[32:33]|, s[0:1]
	v_add_f64 v[16:17], v[40:41], -v[16:17]
	v_add_f64 v[12:13], v[16:17], v[12:13]
	v_cndmask_b32_e32 v15, 0, v15, vcc
	v_cndmask_b32_e32 v14, 0, v14, vcc
	v_add_f64 v[16:17], v[28:29], v[14:15]
	v_mov_b32_e32 v18, 0x40100000
	v_cmp_gt_f64_e32 vcc, 0, v[16:17]
	v_mov_b32_e32 v16, 0
	s_mov_b32 s6, 0x33145c07
	v_cndmask_b32_e32 v17, 0, v18, vcc
	v_add_f64 v[14:15], v[14:15], v[16:17]
	v_add_f64 v[18:19], v[28:29], v[14:15]
	v_cvt_i32_f64_e32 v17, v[18:19]
	v_cvt_f64_i32_e32 v[18:19], v17
	v_add_f64 v[14:15], v[14:15], -v[18:19]
	v_add_f64 v[18:19], v[28:29], v[14:15]
	v_add_f64 v[14:15], v[18:19], -v[14:15]
	v_add_f64 v[14:15], v[28:29], -v[14:15]
	v_add_f64 v[12:13], v[12:13], v[14:15]
	v_cmp_le_f64_e32 vcc, 0.5, v[18:19]
	v_mov_b32_e32 v14, 0x3ff00000
	s_mov_b32 s7, 0x3c91a626
	v_addc_co_u32_e64 v27, s[0:1], 0, v17, vcc
	v_cndmask_b32_e32 v17, 0, v14, vcc
	v_add_f64 v[14:15], v[18:19], -v[16:17]
	v_add_f64 v[16:17], v[14:15], v[12:13]
	s_mov_b32 s0, 0x54442d18
	v_add_f64 v[14:15], v[16:17], -v[14:15]
	s_mov_b32 s1, 0x3ff921fb
	v_add_f64 v[12:13], v[12:13], -v[14:15]
	v_mul_f64 v[14:15], v[16:17], s[0:1]
	v_fma_f64 v[18:19], v[16:17], s[0:1], -v[14:15]
	v_fmac_f64_e32 v[18:19], s[6:7], v[16:17]
	v_fmac_f64_e32 v[18:19], s[0:1], v[12:13]
	v_add_f64 v[12:13], v[14:15], v[18:19]
	v_add_f64 v[14:15], v[12:13], -v[14:15]
	v_add_f64 v[14:15], v[18:19], -v[14:15]
	s_andn2_saveexec_b64 s[0:1], s[4:5]
	s_cbranch_execz .LBB129_141
	s_branch .LBB129_140
.LBB129_139:
	s_andn2_saveexec_b64 s[0:1], s[4:5]
	s_cbranch_execz .LBB129_141
.LBB129_140:
	s_mov_b32 s4, 0x6dc9c883
	s_mov_b32 s5, 0x3fe45f30
	v_mul_f64 v[12:13], |v[2:3]|, s[4:5]
	s_mov_b32 s4, 0x54442d18
	v_rndne_f64_e32 v[16:17], v[12:13]
	s_mov_b32 s5, 0xbff921fb
	v_fma_f64 v[12:13], v[16:17], s[4:5], |v[2:3]|
	s_mov_b32 s5, 0xbc91a626
	s_mov_b32 s4, 0x33145c00
	v_mul_f64 v[18:19], v[16:17], s[4:5]
	v_add_f64 v[30:31], v[12:13], v[18:19]
	v_fma_f64 v[14:15], s[4:5], v[16:17], v[12:13]
	s_mov_b32 s5, 0x3c91a626
	v_add_f64 v[12:13], v[12:13], -v[30:31]
	v_fma_f64 v[28:29], s[4:5], v[16:17], v[18:19]
	v_add_f64 v[12:13], v[12:13], v[18:19]
	v_add_f64 v[18:19], v[30:31], -v[14:15]
	v_add_f64 v[12:13], v[18:19], v[12:13]
	s_mov_b32 s4, 0x252049c0
	v_add_f64 v[18:19], v[12:13], -v[28:29]
	s_mov_b32 s5, 0xb97b839a
	v_fmac_f64_e32 v[18:19], s[4:5], v[16:17]
	v_add_f64 v[12:13], v[14:15], v[18:19]
	v_add_f64 v[14:15], v[12:13], -v[14:15]
	v_add_f64 v[14:15], v[18:19], -v[14:15]
	v_cvt_i32_f64_e32 v27, v[16:17]
.LBB129_141:
	s_or_b64 exec, exec, s[0:1]
                                        ; implicit-def: $vgpr28
                                        ; implicit-def: $vgpr16_vgpr17
                                        ; implicit-def: $vgpr18_vgpr19
	s_and_saveexec_b64 s[0:1], s[2:3]
	s_xor_b64 s[2:3], exec, s[0:1]
	s_cbranch_execz .LBB129_143
; %bb.142:
	s_mov_b32 s0, 0
	s_mov_b32 s1, 0x7b000000
	s_movk_i32 s4, 0xff80
	v_and_b32_e32 v18, 0x7fffffff, v3
	v_ldexp_f64 v[16:17], |v[2:3]|, s4
	v_cmp_ge_f64_e64 vcc, |v[2:3]|, s[0:1]
	s_mov_b32 s0, 0
	s_mov_b32 s1, 0x7ff00000
	v_cndmask_b32_e32 v17, v18, v17, vcc
	v_cndmask_b32_e32 v16, v2, v16, vcc
	v_mul_f64 v[28:29], v[24:25], v[16:17]
	v_mul_f64 v[18:19], v[22:23], v[16:17]
	v_fma_f64 v[24:25], v[24:25], v[16:17], -v[28:29]
	v_add_f64 v[30:31], v[18:19], v[24:25]
	v_add_f64 v[38:39], v[30:31], -v[18:19]
	v_add_f64 v[24:25], v[24:25], -v[38:39]
	;; [unrolled: 1-line block ×4, first 2 shown]
	v_fma_f64 v[18:19], v[22:23], v[16:17], -v[18:19]
	v_mul_f64 v[22:23], v[20:21], v[16:17]
	v_add_f64 v[24:25], v[24:25], v[38:39]
	v_add_f64 v[38:39], v[22:23], v[18:19]
	;; [unrolled: 1-line block ×4, first 2 shown]
	v_ldexp_f64 v[34:35], v[32:33], -2
	v_add_f64 v[28:29], v[32:33], -v[28:29]
	v_add_f64 v[32:33], v[40:41], -v[38:39]
	;; [unrolled: 1-line block ×5, first 2 shown]
	v_add_f64 v[24:25], v[24:25], v[32:33]
	v_add_f64 v[32:33], v[38:39], -v[22:23]
	v_add_f64 v[18:19], v[18:19], -v[32:33]
	;; [unrolled: 1-line block ×4, first 2 shown]
	v_add_f64 v[18:19], v[18:19], v[32:33]
	v_fract_f64_e32 v[36:37], v[34:35]
	v_add_f64 v[18:19], v[18:19], v[24:25]
	v_fma_f64 v[16:17], v[20:21], v[16:17], -v[22:23]
	v_add_f64 v[28:29], v[30:31], -v[28:29]
	v_add_f64 v[16:17], v[16:17], v[18:19]
	v_ldexp_f64 v[18:19], v[36:37], 2
	v_cmp_neq_f64_e64 vcc, |v[34:35]|, s[0:1]
	v_add_f64 v[30:31], v[28:29], v[40:41]
	v_mov_b32_e32 v22, 0x40100000
	v_cndmask_b32_e32 v19, 0, v19, vcc
	v_cndmask_b32_e32 v18, 0, v18, vcc
	v_add_f64 v[20:21], v[30:31], v[18:19]
	v_cmp_gt_f64_e32 vcc, 0, v[20:21]
	v_mov_b32_e32 v20, 0
	v_add_f64 v[28:29], v[30:31], -v[28:29]
	v_cndmask_b32_e32 v21, 0, v22, vcc
	v_add_f64 v[18:19], v[18:19], v[20:21]
	v_add_f64 v[22:23], v[30:31], v[18:19]
	v_cvt_i32_f64_e32 v21, v[22:23]
	v_cvt_f64_i32_e32 v[22:23], v21
	v_add_f64 v[18:19], v[18:19], -v[22:23]
	v_add_f64 v[22:23], v[30:31], v[18:19]
	v_add_f64 v[28:29], v[40:41], -v[28:29]
	v_add_f64 v[18:19], v[22:23], -v[18:19]
	v_add_f64 v[16:17], v[28:29], v[16:17]
	v_add_f64 v[18:19], v[30:31], -v[18:19]
	v_add_f64 v[16:17], v[16:17], v[18:19]
	v_cmp_le_f64_e32 vcc, 0.5, v[22:23]
	v_mov_b32_e32 v18, 0x3ff00000
	s_mov_b32 s4, 0x33145c07
	v_addc_co_u32_e64 v28, s[0:1], 0, v21, vcc
	v_cndmask_b32_e32 v21, 0, v18, vcc
	v_add_f64 v[18:19], v[22:23], -v[20:21]
	v_add_f64 v[20:21], v[18:19], v[16:17]
	s_mov_b32 s0, 0x54442d18
	v_add_f64 v[18:19], v[20:21], -v[18:19]
	s_mov_b32 s1, 0x3ff921fb
	v_add_f64 v[16:17], v[16:17], -v[18:19]
	v_mul_f64 v[18:19], v[20:21], s[0:1]
	v_fma_f64 v[22:23], v[20:21], s[0:1], -v[18:19]
	s_mov_b32 s5, 0x3c91a626
	v_fmac_f64_e32 v[22:23], s[4:5], v[20:21]
	v_fmac_f64_e32 v[22:23], s[0:1], v[16:17]
	v_add_f64 v[16:17], v[18:19], v[22:23]
	v_add_f64 v[18:19], v[16:17], -v[18:19]
	v_add_f64 v[18:19], v[22:23], -v[18:19]
	s_andn2_saveexec_b64 s[0:1], s[2:3]
	s_cbranch_execnz .LBB129_144
	s_branch .LBB129_145
.LBB129_143:
	s_andn2_saveexec_b64 s[0:1], s[2:3]
	s_cbranch_execz .LBB129_145
.LBB129_144:
	s_mov_b32 s2, 0x6dc9c883
	s_mov_b32 s3, 0x3fe45f30
	v_mul_f64 v[16:17], |v[2:3]|, s[2:3]
	s_mov_b32 s2, 0x54442d18
	v_rndne_f64_e32 v[20:21], v[16:17]
	s_mov_b32 s3, 0xbff921fb
	v_fma_f64 v[16:17], v[20:21], s[2:3], |v[2:3]|
	s_mov_b32 s3, 0xbc91a626
	s_mov_b32 s2, 0x33145c00
	v_mul_f64 v[22:23], v[20:21], s[2:3]
	v_add_f64 v[28:29], v[16:17], v[22:23]
	v_fma_f64 v[18:19], s[2:3], v[20:21], v[16:17]
	s_mov_b32 s3, 0x3c91a626
	v_add_f64 v[16:17], v[16:17], -v[28:29]
	v_fma_f64 v[24:25], s[2:3], v[20:21], v[22:23]
	v_add_f64 v[16:17], v[16:17], v[22:23]
	v_add_f64 v[22:23], v[28:29], -v[18:19]
	v_add_f64 v[16:17], v[22:23], v[16:17]
	s_mov_b32 s2, 0x252049c0
	v_add_f64 v[22:23], v[16:17], -v[24:25]
	s_mov_b32 s3, 0xb97b839a
	v_fmac_f64_e32 v[22:23], s[2:3], v[20:21]
	v_add_f64 v[16:17], v[18:19], v[22:23]
	v_add_f64 v[18:19], v[16:17], -v[18:19]
	v_add_f64 v[18:19], v[22:23], -v[18:19]
	v_cvt_i32_f64_e32 v28, v[20:21]
.LBB129_145:
	s_or_b64 exec, exec, s[0:1]
	s_mov_b32 s0, 0x652b82fe
	s_mov_b32 s1, 0x3ff71547
	v_mul_f64 v[20:21], v[0:1], s[0:1]
	v_rndne_f64_e32 v[24:25], v[20:21]
	s_mov_b32 s9, 0xbfe62e42
	s_mov_b32 s8, 0xfefa39ef
	;; [unrolled: 1-line block ×3, first 2 shown]
	v_fma_f64 v[22:23], s[8:9], v[24:25], v[0:1]
	s_mov_b32 s1, 0xbc7abc9e
	v_fmac_f64_e32 v[22:23], s[0:1], v[24:25]
	s_mov_b32 s0, 0x6a5dcb37
	v_mov_b32_e32 v20, 0xfca7ab0c
	v_mov_b32_e32 v21, 0x3e928af3
	s_mov_b32 s1, 0x3e5ade15
	v_fmac_f64_e32 v[20:21], s[0:1], v[22:23]
	v_mov_b32_e32 v30, 0x623fde64
	v_mov_b32_e32 v31, 0x3ec71dee
	v_fmac_f64_e32 v[30:31], v[22:23], v[20:21]
	v_mov_b32_e32 v20, 0x7c89e6b0
	v_mov_b32_e32 v21, 0x3efa0199
	;; [unrolled: 3-line block ×3, first 2 shown]
	v_mov_b64_e32 v[32:33], v[30:31]
	v_mov_b32_e32 v34, 0x1852b7b0
	v_mov_b32_e32 v35, 0x3f56c16c
	v_fmac_f64_e32 v[32:33], v[22:23], v[20:21]
	v_mov_b64_e32 v[20:21], v[34:35]
	v_fmac_f64_e32 v[20:21], v[22:23], v[32:33]
	v_mov_b32_e32 v32, 0x11122322
	v_mov_b32_e32 v33, 0x3f811111
	v_mov_b64_e32 v[36:37], v[32:33]
	v_mov_b32_e32 v38, 0x555502a1
	v_mov_b32_e32 v39, 0x3fa55555
	v_fmac_f64_e32 v[36:37], v[22:23], v[20:21]
	v_mov_b64_e32 v[20:21], v[38:39]
	v_fmac_f64_e32 v[20:21], v[22:23], v[36:37]
	v_mov_b32_e32 v36, 0x55555511
	v_mov_b32_e32 v37, 0x3fc55555
	v_mov_b64_e32 v[40:41], v[36:37]
	v_fmac_f64_e32 v[40:41], v[22:23], v[20:21]
	v_mov_b32_e32 v20, 11
	v_mov_b32_e32 v21, 0x3fe00000
	v_fmac_f64_e32 v[20:21], v[22:23], v[40:41]
	v_fma_f64 v[20:21], v[22:23], v[20:21], 1.0
	s_mov_b32 s6, 0
	s_mov_b32 s0, 0
	v_fma_f64 v[20:21], v[22:23], v[20:21], 1.0
	v_cvt_i32_f64_e32 v29, v[24:25]
	s_mov_b32 s7, 0x40900000
	s_mov_b32 s1, 0xc090cc00
	v_ldexp_f64 v[20:21], v[20:21], v29
	v_mov_b32_e32 v44, 0x7ff00000
	v_cmp_nlt_f64_e32 vcc, s[6:7], v[0:1]
	v_cmp_ngt_f64_e64 s[0:1], s[0:1], v[0:1]
	v_ldexp_f64 v[40:41], 1.0, v29
	v_cndmask_b32_e32 v21, v44, v21, vcc
	s_and_b64 vcc, s[0:1], vcc
	v_cndmask_b32_e64 v21, 0, v21, s[0:1]
	v_cndmask_b32_e32 v20, 0, v20, vcc
	v_mov_b32_e32 v29, 0x7fe00000
	v_cmp_eq_f64_e32 vcc, s[6:7], v[24:25]
	s_mov_b32 s0, 0xa9d67f34
	s_mov_b32 s1, 0x3e21f32e
	v_cndmask_b32_e32 v25, v41, v29, vcc
	v_cndmask_b32_e64 v24, v40, 0, vcc
	v_mov_b32_e32 v40, 0x2a1b768b
	v_mov_b32_e32 v41, 0x3e5af4eb
	v_fmac_f64_e32 v[40:41], s[0:1], v[22:23]
	v_mov_b32_e32 v42, 0xe0ac05b
	v_mov_b32_e32 v43, 0x3e927e50
	v_fmac_f64_e32 v[42:43], v[22:23], v[40:41]
	;; [unrolled: 3-line block ×4, first 2 shown]
	v_mov_b32_e32 v30, 0x1ac1a723
	v_fmac_f64_e32 v[30:31], v[22:23], v[42:43]
	v_mov_b32_e32 v34, 0x16c18931
	v_fmac_f64_e32 v[34:35], v[22:23], v[30:31]
	;; [unrolled: 2-line block ×5, first 2 shown]
	v_fma_f64 v[30:31], v[22:23], v[36:37], 0.5
	v_mul_f64 v[30:31], v[22:23], v[30:31]
	v_fmac_f64_e32 v[22:23], v[22:23], v[30:31]
	v_add_f64 v[30:31], v[24:25], -1.0
	v_fmac_f64_e32 v[30:31], v[24:25], v[22:23]
	v_add_f64 v[22:23], v[30:31], v[30:31]
	s_mov_b32 s9, 0x40862e42
	s_mov_b32 s0, 0
	v_cndmask_b32_e32 v22, v30, v22, vcc
	v_cndmask_b32_e32 v23, v31, v23, vcc
	v_cmp_nlt_f64_e32 vcc, s[8:9], v[0:1]
	s_mov_b32 s1, 0xc0428000
	v_mov_b32_e32 v24, 0xbff00000
	v_cndmask_b32_e32 v23, v44, v23, vcc
	v_cmp_ngt_f64_e64 s[0:1], s[0:1], v[0:1]
	s_and_b64 vcc, s[0:1], vcc
	s_mov_b32 s8, 0x46cc5e42
	v_cndmask_b32_e64 v1, v24, v23, s[0:1]
	s_mov_b32 s0, 0x9037ab78
	s_mov_b32 s1, 0x3e21eeb6
	v_cndmask_b32_e32 v0, 0, v22, vcc
	v_mul_f64 v[24:25], v[12:13], v[12:13]
	s_mov_b32 s9, 0xbda907db
	v_mov_b64_e32 v[22:23], s[0:1]
	s_mov_b32 s10, 0xa17f65f6
	s_mov_b32 s6, 0x19f4ec90
	v_mul_f64 v[30:31], v[24:25], 0.5
	v_fma_f64 v[36:37], s[8:9], v[24:25], v[22:23]
	s_mov_b32 s11, 0xbe927e4f
	s_mov_b32 s7, 0x3efa01a0
	v_add_f64 v[32:33], -v[30:31], 1.0
	v_fma_f64 v[36:37], v[24:25], v[36:37], s[10:11]
	s_mov_b32 s12, 0x16c16967
	s_mov_b32 s4, 0x55555555
	v_fma_f64 v[36:37], v[24:25], v[36:37], s[6:7]
	s_mov_b32 s13, 0xbf56c16c
	v_add_f64 v[38:39], -v[32:33], 1.0
	s_mov_b32 s5, 0x3fa55555
	v_fma_f64 v[36:37], v[24:25], v[36:37], s[12:13]
	v_add_f64 v[30:31], v[38:39], -v[30:31]
	s_mov_b32 s0, 0xb42fdfa7
	v_mul_f64 v[34:35], v[24:25], v[24:25]
	v_fma_f64 v[36:37], v[24:25], v[36:37], s[4:5]
	v_fma_f64 v[30:31], v[12:13], -v[14:15], v[30:31]
	s_mov_b32 s1, 0xbe5ae600
	s_mov_b32 s14, 0xf9a43bb8
	v_fmac_f64_e32 v[30:31], v[34:35], v[36:37]
	s_mov_b32 s15, 0x3de5e0b2
	v_mov_b64_e32 v[34:35], s[0:1]
	s_mov_b32 s28, 0x796cde01
	v_fma_f64 v[36:37], s[14:15], v[24:25], v[34:35]
	s_mov_b32 s29, 0x3ec71de3
	s_mov_b32 s30, 0x19e83e5c
	;; [unrolled: 1-line block ×3, first 2 shown]
	v_fma_f64 v[36:37], v[24:25], v[36:37], s[28:29]
	s_mov_b32 s31, 0xbf2a01a0
	s_mov_b32 s3, 0x3f811111
	v_fma_f64 v[36:37], v[24:25], v[36:37], s[30:31]
	v_add_f64 v[30:31], v[32:33], v[30:31]
	v_mul_f64 v[32:33], v[12:13], -v[24:25]
	v_fma_f64 v[36:37], v[24:25], v[36:37], s[2:3]
	v_mul_f64 v[38:39], v[14:15], 0.5
	v_fmac_f64_e32 v[38:39], v[32:33], v[36:37]
	v_fma_f64 v[14:15], v[24:25], v[38:39], -v[14:15]
	s_mov_b32 s51, 0xbfc55555
	s_mov_b32 s50, s4
	v_fmac_f64_e32 v[14:15], s[50:51], v[32:33]
	v_and_b32_e32 v29, 1, v27
	v_add_f64 v[12:13], v[12:13], -v[14:15]
	v_xor_b32_e32 v13, 0x80000000, v13
	v_cmp_eq_u32_e32 vcc, 0, v29
	s_brev_b32 s53, 1
	v_lshlrev_b32_e32 v14, 30, v27
	v_cndmask_b32_e32 v13, v13, v31, vcc
	v_bitop3_b32 v13, v13, v14, s53 bitop3:0x78
	v_mul_f64 v[14:15], v[8:9], v[8:9]
	v_cndmask_b32_e32 v12, v12, v30, vcc
	v_fma_f64 v[30:31], s[14:15], v[14:15], v[34:35]
	v_fma_f64 v[30:31], v[14:15], v[30:31], s[28:29]
	;; [unrolled: 1-line block ×3, first 2 shown]
	v_mul_f64 v[24:25], v[8:9], -v[14:15]
	v_fma_f64 v[30:31], v[14:15], v[30:31], s[2:3]
	v_mul_f64 v[32:33], v[10:11], 0.5
	v_fmac_f64_e32 v[32:33], v[24:25], v[30:31]
	v_fma_f64 v[30:31], v[14:15], v[32:33], -v[10:11]
	v_fma_f64 v[38:39], s[8:9], v[14:15], v[22:23]
	v_fmac_f64_e32 v[30:31], s[50:51], v[24:25]
	v_fma_f64 v[38:39], v[14:15], v[38:39], s[10:11]
	v_add_f64 v[24:25], v[8:9], -v[30:31]
	v_mul_f64 v[30:31], v[14:15], 0.5
	v_fma_f64 v[38:39], v[14:15], v[38:39], s[6:7]
	v_add_f64 v[32:33], -v[30:31], 1.0
	v_fma_f64 v[38:39], v[14:15], v[38:39], s[12:13]
	v_mul_f64 v[36:37], v[14:15], v[14:15]
	v_fma_f64 v[14:15], v[14:15], v[38:39], s[4:5]
	v_add_f64 v[38:39], -v[32:33], 1.0
	v_add_f64 v[30:31], v[38:39], -v[30:31]
	s_movk_i32 s52, 0x1f8
	v_fma_f64 v[8:9], v[8:9], -v[10:11], v[30:31]
	v_cmp_class_f64_e64 vcc, v[2:3], s52
	v_and_b32_e32 v2, 1, v5
	v_fmac_f64_e32 v[8:9], v[36:37], v[14:15]
	v_add_f64 v[8:9], v[32:33], v[8:9]
	v_cmp_eq_u32_e64 s[0:1], 0, v2
	v_lshlrev_b32_e32 v5, 30, v5
	v_xor_b32_e32 v5, v5, v7
	v_cndmask_b32_e64 v2, v8, v24, s[0:1]
	v_cndmask_b32_e64 v8, v9, v25, s[0:1]
	v_mov_b32_e32 v27, 0x7ff80000
	v_bitop3_b32 v5, v8, v5, s53 bitop3:0x78
	v_cmp_class_f64_e64 s[0:1], v[6:7], s52
	v_cndmask_b32_e32 v12, 0, v12, vcc
	v_cndmask_b32_e32 v13, v27, v13, vcc
	v_cndmask_b32_e64 v6, 0, v2, s[0:1]
	v_cndmask_b32_e64 v7, v27, v5, s[0:1]
	v_add_f64 v[8:9], v[6:7], v[6:7]
	v_mul_f64 v[6:7], v[8:9], v[6:7]
	v_fma_f64 v[0:1], v[0:1], v[12:13], -v[6:7]
	v_mul_f64 v[6:7], v[16:17], v[16:17]
	v_mul_f64 v[8:9], v[6:7], 0.5
	v_fmac_f64_e32 v[22:23], s[8:9], v[6:7]
	v_add_f64 v[10:11], -v[8:9], 1.0
	v_fma_f64 v[14:15], v[6:7], v[22:23], s[10:11]
	v_add_f64 v[12:13], -v[10:11], 1.0
	v_fma_f64 v[14:15], v[6:7], v[14:15], s[6:7]
	v_add_f64 v[8:9], v[12:13], -v[8:9]
	v_fma_f64 v[14:15], v[6:7], v[14:15], s[12:13]
	v_mul_f64 v[12:13], v[6:7], v[6:7]
	v_fma_f64 v[14:15], v[6:7], v[14:15], s[4:5]
	v_fma_f64 v[8:9], v[16:17], -v[18:19], v[8:9]
	v_fmac_f64_e32 v[8:9], v[12:13], v[14:15]
	v_fmac_f64_e32 v[34:35], s[14:15], v[6:7]
	v_add_f64 v[8:9], v[10:11], v[8:9]
	v_fma_f64 v[10:11], v[6:7], v[34:35], s[28:29]
	v_fma_f64 v[10:11], v[6:7], v[10:11], s[30:31]
	v_fma_f64 v[10:11], v[6:7], v[10:11], s[2:3]
	v_mul_f64 v[12:13], v[16:17], -v[6:7]
	v_mul_f64 v[14:15], v[18:19], 0.5
	v_fmac_f64_e32 v[14:15], v[12:13], v[10:11]
	v_fma_f64 v[6:7], v[6:7], v[14:15], -v[18:19]
	v_fmac_f64_e32 v[6:7], s[50:51], v[12:13]
	v_and_b32_e32 v2, 1, v28
	v_add_f64 v[6:7], v[16:17], -v[6:7]
	v_cmp_eq_u32_e64 s[0:1], 0, v2
	v_add_u32_e32 v26, 0x80, v26
	s_nop 0
	v_cndmask_b32_e64 v2, v8, v6, s[0:1]
	v_lshlrev_b32_e32 v6, 30, v28
	v_cndmask_b32_e64 v5, v9, v7, s[0:1]
	v_xor_b32_e32 v3, v6, v3
	v_bitop3_b32 v3, v5, v3, s53 bitop3:0x78
	v_cndmask_b32_e32 v2, 0, v2, vcc
	v_cndmask_b32_e32 v3, v27, v3, vcc
	v_mul_f64 v[2:3], v[20:21], v[2:3]
	global_store_dwordx4 v4, v[0:3], s[16:17]
	s_or_b64 exec, exec, s[48:49]
	v_cmp_gt_i32_e32 vcc, s55, v26
	s_and_saveexec_b64 s[48:49], vcc
	s_cbranch_execnz .LBB129_16
.LBB129_146:
	s_or_b64 exec, exec, s[48:49]
	v_cmp_gt_i32_e32 vcc, s55, v26
	s_and_saveexec_b64 s[48:49], vcc
	s_cbranch_execnz .LBB129_167
	s_branch .LBB129_195
.LBB129_147:
	v_mov_b32_e32 v4, 0
	s_mov_b32 s57, 0
	v_mov_b32_e32 v1, v4
                                        ; implicit-def: $vgpr0
	v_mov_b32_e32 v2, v26
.LBB129_148:
	s_and_b32 s4, s58, 3
	s_cmp_eq_u32 s4, 0
	s_cbranch_scc1 .LBB129_151
; %bb.149:
	s_lshl_b32 s0, s57, 3
	s_add_u32 s0, s34, s0
	s_addc_u32 s1, s35, 0
	s_add_u32 s0, s0, 0xc4
	s_addc_u32 s1, s1, 0
	s_mul_i32 s2, s57, 12
	s_add_u32 s2, s34, s2
	s_addc_u32 s3, s35, 0
.LBB129_150:                            ; =>This Inner Loop Header: Depth=1
	s_load_dwordx2 s[6:7], s[2:3], 0x4
	s_load_dword s5, s[2:3], 0xc
	s_load_dwordx2 s[8:9], s[0:1], 0x0
	v_mov_b32_e32 v0, v1
	s_add_u32 s2, s2, 12
	s_waitcnt lgkmcnt(0)
	v_mul_hi_u32 v1, s7, v2
	v_add_u32_e32 v1, v2, v1
	v_lshrrev_b32_e32 v1, s5, v1
	s_addc_u32 s3, s3, 0
	v_mul_lo_u32 v3, v1, s6
	s_add_u32 s0, s0, 8
	v_sub_u32_e32 v3, v2, v3
	s_addc_u32 s1, s1, 0
	s_add_i32 s4, s4, -1
	v_mov_b32_e32 v2, v1
	v_mad_u64_u32 v[0:1], s[6:7], v3, s9, v[0:1]
	s_cmp_lg_u32 s4, 0
	v_mad_u64_u32 v[4:5], s[6:7], v3, s8, v[4:5]
	v_mov_b32_e32 v1, v0
	s_cbranch_scc1 .LBB129_150
.LBB129_151:
	s_cbranch_execnz .LBB129_154
.LBB129_152:
	s_waitcnt lgkmcnt(0)
	v_mul_hi_u32 v0, s25, v26
	v_add_u32_e32 v0, v26, v0
	v_lshrrev_b32_e32 v1, s26, v0
	v_mul_lo_u32 v0, v1, s24
	v_sub_u32_e32 v2, v26, v0
	v_mul_lo_u32 v0, v2, s21
	s_andn2_b64 vcc, exec, s[42:43]
	v_mul_lo_u32 v4, v2, s20
	s_cbranch_vccnz .LBB129_154
; %bb.153:
	v_mul_hi_u32 v2, s40, v1
	v_add_u32_e32 v2, v1, v2
	v_lshrrev_b32_e32 v2, s41, v2
	v_mul_lo_u32 v2, v2, s27
	v_sub_u32_e32 v1, v1, v2
	v_mad_u64_u32 v[4:5], s[0:1], v1, s22, v[4:5]
	v_mad_u64_u32 v[0:1], s[0:1], v1, s23, v[0:1]
.LBB129_154:
	s_waitcnt lgkmcnt(0)
	global_load_dwordx4 v[0:3], v0, s[18:19]
	s_mov_b32 s0, 0
	s_mov_b32 s1, 0x41d00000
                                        ; implicit-def: $vgpr5
                                        ; implicit-def: $vgpr8_vgpr9
                                        ; implicit-def: $vgpr10_vgpr11
	s_waitcnt vmcnt(0)
	v_mul_f64 v[6:7], v[2:3], 0.5
	v_cmp_nlt_f64_e64 s[0:1], |v[6:7]|, s[0:1]
	s_and_saveexec_b64 s[2:3], s[0:1]
	s_xor_b64 s[2:3], exec, s[2:3]
	s_cbranch_execz .LBB129_156
; %bb.155:
	s_mov_b32 s0, 0
	s_mov_b32 s1, 0x7b000000
	s_movk_i32 s4, 0xff80
	v_and_b32_e32 v5, 0x7fffffff, v7
	v_ldexp_f64 v[12:13], |v[6:7]|, s4
	v_cmp_ge_f64_e64 vcc, |v[6:7]|, s[0:1]
	v_trig_preop_f64 v[8:9], |v[6:7]|, 0
	v_trig_preop_f64 v[10:11], |v[6:7]|, 1
	v_cndmask_b32_e32 v13, v5, v13, vcc
	v_cndmask_b32_e32 v12, v6, v12, vcc
	v_mul_f64 v[16:17], v[8:9], v[12:13]
	v_mul_f64 v[14:15], v[10:11], v[12:13]
	v_fma_f64 v[8:9], v[8:9], v[12:13], -v[16:17]
	v_add_f64 v[18:19], v[14:15], v[8:9]
	v_add_f64 v[28:29], v[18:19], -v[14:15]
	v_add_f64 v[8:9], v[8:9], -v[28:29]
	;; [unrolled: 1-line block ×4, first 2 shown]
	v_fma_f64 v[10:11], v[10:11], v[12:13], -v[14:15]
	v_trig_preop_f64 v[14:15], |v[6:7]|, 2
	v_add_f64 v[8:9], v[8:9], v[28:29]
	v_mul_f64 v[28:29], v[14:15], v[12:13]
	v_add_f64 v[30:31], v[28:29], v[10:11]
	v_add_f64 v[20:21], v[16:17], v[18:19]
	;; [unrolled: 1-line block ×3, first 2 shown]
	v_ldexp_f64 v[22:23], v[20:21], -2
	v_add_f64 v[16:17], v[20:21], -v[16:17]
	v_add_f64 v[20:21], v[32:33], -v[30:31]
	;; [unrolled: 1-line block ×5, first 2 shown]
	v_add_f64 v[8:9], v[8:9], v[20:21]
	v_add_f64 v[20:21], v[30:31], -v[28:29]
	v_add_f64 v[10:11], v[10:11], -v[20:21]
	;; [unrolled: 1-line block ×4, first 2 shown]
	v_add_f64 v[10:11], v[10:11], v[20:21]
	s_mov_b32 s0, 0
	v_fract_f64_e32 v[24:25], v[22:23]
	v_add_f64 v[8:9], v[10:11], v[8:9]
	v_fma_f64 v[10:11], v[14:15], v[12:13], -v[28:29]
	s_mov_b32 s1, 0x7ff00000
	v_add_f64 v[16:17], v[18:19], -v[16:17]
	v_add_f64 v[8:9], v[10:11], v[8:9]
	v_ldexp_f64 v[10:11], v[24:25], 2
	v_cmp_neq_f64_e64 vcc, |v[22:23]|, s[0:1]
	v_add_f64 v[18:19], v[16:17], v[32:33]
	v_mov_b32_e32 v5, 0x40100000
	v_cndmask_b32_e32 v11, 0, v11, vcc
	v_cndmask_b32_e32 v10, 0, v10, vcc
	v_add_f64 v[12:13], v[18:19], v[10:11]
	v_cmp_gt_f64_e32 vcc, 0, v[12:13]
	v_mov_b32_e32 v12, 0
	v_add_f64 v[16:17], v[18:19], -v[16:17]
	v_cndmask_b32_e32 v13, 0, v5, vcc
	v_add_f64 v[10:11], v[10:11], v[12:13]
	v_add_f64 v[14:15], v[18:19], v[10:11]
	v_cvt_i32_f64_e32 v5, v[14:15]
	v_cvt_f64_i32_e32 v[14:15], v5
	v_add_f64 v[10:11], v[10:11], -v[14:15]
	v_add_f64 v[14:15], v[18:19], v[10:11]
	v_add_f64 v[16:17], v[32:33], -v[16:17]
	v_add_f64 v[10:11], v[14:15], -v[10:11]
	v_add_f64 v[8:9], v[16:17], v[8:9]
	v_add_f64 v[10:11], v[18:19], -v[10:11]
	v_add_f64 v[8:9], v[8:9], v[10:11]
	v_cmp_le_f64_e32 vcc, 0.5, v[14:15]
	v_mov_b32_e32 v10, 0x3ff00000
	s_mov_b32 s4, 0x33145c07
	v_cndmask_b32_e32 v13, 0, v10, vcc
	v_addc_co_u32_e64 v5, s[0:1], 0, v5, vcc
	v_add_f64 v[10:11], v[14:15], -v[12:13]
	v_add_f64 v[12:13], v[10:11], v[8:9]
	s_mov_b32 s0, 0x54442d18
	v_add_f64 v[10:11], v[12:13], -v[10:11]
	s_mov_b32 s1, 0x3ff921fb
	v_add_f64 v[8:9], v[8:9], -v[10:11]
	v_mul_f64 v[10:11], v[12:13], s[0:1]
	v_fma_f64 v[14:15], v[12:13], s[0:1], -v[10:11]
	s_mov_b32 s5, 0x3c91a626
	v_fmac_f64_e32 v[14:15], s[4:5], v[12:13]
	v_fmac_f64_e32 v[14:15], s[0:1], v[8:9]
	v_add_f64 v[8:9], v[10:11], v[14:15]
	v_add_f64 v[10:11], v[8:9], -v[10:11]
	v_add_f64 v[10:11], v[14:15], -v[10:11]
.LBB129_156:
	s_andn2_saveexec_b64 s[0:1], s[2:3]
	s_cbranch_execz .LBB129_158
; %bb.157:
	s_mov_b32 s2, 0x6dc9c883
	s_mov_b32 s3, 0x3fe45f30
	v_mul_f64 v[8:9], |v[6:7]|, s[2:3]
	s_mov_b32 s2, 0x54442d18
	v_rndne_f64_e32 v[12:13], v[8:9]
	s_mov_b32 s3, 0xbff921fb
	v_fma_f64 v[8:9], v[12:13], s[2:3], |v[6:7]|
	s_mov_b32 s3, 0xbc91a626
	s_mov_b32 s2, 0x33145c00
	v_mul_f64 v[14:15], v[12:13], s[2:3]
	v_add_f64 v[18:19], v[8:9], v[14:15]
	v_fma_f64 v[10:11], s[2:3], v[12:13], v[8:9]
	s_mov_b32 s3, 0x3c91a626
	v_add_f64 v[8:9], v[8:9], -v[18:19]
	v_fma_f64 v[16:17], s[2:3], v[12:13], v[14:15]
	v_add_f64 v[8:9], v[8:9], v[14:15]
	v_add_f64 v[14:15], v[18:19], -v[10:11]
	v_add_f64 v[8:9], v[14:15], v[8:9]
	s_mov_b32 s2, 0x252049c0
	v_add_f64 v[14:15], v[8:9], -v[16:17]
	s_mov_b32 s3, 0xb97b839a
	v_fmac_f64_e32 v[14:15], s[2:3], v[12:13]
	v_add_f64 v[8:9], v[10:11], v[14:15]
	v_add_f64 v[10:11], v[8:9], -v[10:11]
	v_add_f64 v[10:11], v[14:15], -v[10:11]
	v_cvt_i32_f64_e32 v5, v[12:13]
.LBB129_158:
	s_or_b64 exec, exec, s[0:1]
	s_mov_b32 s0, 0
	s_mov_b32 s1, 0x41d00000
	v_cmp_nlt_f64_e64 s[2:3], |v[2:3]|, s[0:1]
	v_trig_preop_f64 v[24:25], |v[2:3]|, 0
	v_trig_preop_f64 v[22:23], |v[2:3]|, 1
	;; [unrolled: 1-line block ×3, first 2 shown]
                                        ; implicit-def: $vgpr27
                                        ; implicit-def: $vgpr12_vgpr13
                                        ; implicit-def: $vgpr14_vgpr15
	s_and_saveexec_b64 s[0:1], s[2:3]
	s_xor_b64 s[4:5], exec, s[0:1]
	s_cbranch_execz .LBB129_160
; %bb.159:
	s_mov_b32 s0, 0
	s_mov_b32 s1, 0x7b000000
	s_movk_i32 s6, 0xff80
	v_and_b32_e32 v14, 0x7fffffff, v3
	v_ldexp_f64 v[12:13], |v[2:3]|, s6
	v_cmp_ge_f64_e64 vcc, |v[2:3]|, s[0:1]
	s_mov_b32 s0, 0
	s_mov_b32 s1, 0x7ff00000
	v_cndmask_b32_e32 v13, v14, v13, vcc
	v_cndmask_b32_e32 v12, v2, v12, vcc
	v_mul_f64 v[16:17], v[24:25], v[12:13]
	v_mul_f64 v[14:15], v[22:23], v[12:13]
	v_fma_f64 v[18:19], v[24:25], v[12:13], -v[16:17]
	v_add_f64 v[28:29], v[14:15], v[18:19]
	v_add_f64 v[36:37], v[28:29], -v[14:15]
	v_add_f64 v[18:19], v[18:19], -v[36:37]
	v_add_f64 v[36:37], v[28:29], -v[36:37]
	v_add_f64 v[36:37], v[14:15], -v[36:37]
	v_add_f64 v[18:19], v[18:19], v[36:37]
	v_fma_f64 v[14:15], v[22:23], v[12:13], -v[14:15]
	v_mul_f64 v[36:37], v[20:21], v[12:13]
	v_add_f64 v[38:39], v[36:37], v[14:15]
	v_add_f64 v[30:31], v[16:17], v[28:29]
	;; [unrolled: 1-line block ×3, first 2 shown]
	v_ldexp_f64 v[32:33], v[30:31], -2
	v_add_f64 v[16:17], v[30:31], -v[16:17]
	v_add_f64 v[30:31], v[40:41], -v[38:39]
	;; [unrolled: 1-line block ×5, first 2 shown]
	v_add_f64 v[18:19], v[18:19], v[30:31]
	v_add_f64 v[30:31], v[38:39], -v[36:37]
	v_add_f64 v[14:15], v[14:15], -v[30:31]
	;; [unrolled: 1-line block ×5, first 2 shown]
	v_add_f64 v[14:15], v[14:15], v[30:31]
	v_fract_f64_e32 v[34:35], v[32:33]
	v_add_f64 v[28:29], v[16:17], v[40:41]
	v_add_f64 v[14:15], v[14:15], v[18:19]
	v_fma_f64 v[12:13], v[20:21], v[12:13], -v[36:37]
	v_add_f64 v[16:17], v[28:29], -v[16:17]
	v_add_f64 v[12:13], v[12:13], v[14:15]
	v_ldexp_f64 v[14:15], v[34:35], 2
	v_cmp_neq_f64_e64 vcc, |v[32:33]|, s[0:1]
	v_add_f64 v[16:17], v[40:41], -v[16:17]
	v_add_f64 v[12:13], v[16:17], v[12:13]
	v_cndmask_b32_e32 v15, 0, v15, vcc
	v_cndmask_b32_e32 v14, 0, v14, vcc
	v_add_f64 v[16:17], v[28:29], v[14:15]
	v_mov_b32_e32 v18, 0x40100000
	v_cmp_gt_f64_e32 vcc, 0, v[16:17]
	v_mov_b32_e32 v16, 0
	s_mov_b32 s6, 0x33145c07
	v_cndmask_b32_e32 v17, 0, v18, vcc
	v_add_f64 v[14:15], v[14:15], v[16:17]
	v_add_f64 v[18:19], v[28:29], v[14:15]
	v_cvt_i32_f64_e32 v17, v[18:19]
	v_cvt_f64_i32_e32 v[18:19], v17
	v_add_f64 v[14:15], v[14:15], -v[18:19]
	v_add_f64 v[18:19], v[28:29], v[14:15]
	v_add_f64 v[14:15], v[18:19], -v[14:15]
	v_add_f64 v[14:15], v[28:29], -v[14:15]
	v_add_f64 v[12:13], v[12:13], v[14:15]
	v_cmp_le_f64_e32 vcc, 0.5, v[18:19]
	v_mov_b32_e32 v14, 0x3ff00000
	s_mov_b32 s7, 0x3c91a626
	v_addc_co_u32_e64 v27, s[0:1], 0, v17, vcc
	v_cndmask_b32_e32 v17, 0, v14, vcc
	v_add_f64 v[14:15], v[18:19], -v[16:17]
	v_add_f64 v[16:17], v[14:15], v[12:13]
	s_mov_b32 s0, 0x54442d18
	v_add_f64 v[14:15], v[16:17], -v[14:15]
	s_mov_b32 s1, 0x3ff921fb
	v_add_f64 v[12:13], v[12:13], -v[14:15]
	v_mul_f64 v[14:15], v[16:17], s[0:1]
	v_fma_f64 v[18:19], v[16:17], s[0:1], -v[14:15]
	v_fmac_f64_e32 v[18:19], s[6:7], v[16:17]
	v_fmac_f64_e32 v[18:19], s[0:1], v[12:13]
	v_add_f64 v[12:13], v[14:15], v[18:19]
	v_add_f64 v[14:15], v[12:13], -v[14:15]
	v_add_f64 v[14:15], v[18:19], -v[14:15]
	s_andn2_saveexec_b64 s[0:1], s[4:5]
	s_cbranch_execz .LBB129_162
	s_branch .LBB129_161
.LBB129_160:
	s_andn2_saveexec_b64 s[0:1], s[4:5]
	s_cbranch_execz .LBB129_162
.LBB129_161:
	s_mov_b32 s4, 0x6dc9c883
	s_mov_b32 s5, 0x3fe45f30
	v_mul_f64 v[12:13], |v[2:3]|, s[4:5]
	s_mov_b32 s4, 0x54442d18
	v_rndne_f64_e32 v[16:17], v[12:13]
	s_mov_b32 s5, 0xbff921fb
	v_fma_f64 v[12:13], v[16:17], s[4:5], |v[2:3]|
	s_mov_b32 s5, 0xbc91a626
	s_mov_b32 s4, 0x33145c00
	v_mul_f64 v[18:19], v[16:17], s[4:5]
	v_add_f64 v[30:31], v[12:13], v[18:19]
	v_fma_f64 v[14:15], s[4:5], v[16:17], v[12:13]
	s_mov_b32 s5, 0x3c91a626
	v_add_f64 v[12:13], v[12:13], -v[30:31]
	v_fma_f64 v[28:29], s[4:5], v[16:17], v[18:19]
	v_add_f64 v[12:13], v[12:13], v[18:19]
	v_add_f64 v[18:19], v[30:31], -v[14:15]
	v_add_f64 v[12:13], v[18:19], v[12:13]
	s_mov_b32 s4, 0x252049c0
	v_add_f64 v[18:19], v[12:13], -v[28:29]
	s_mov_b32 s5, 0xb97b839a
	v_fmac_f64_e32 v[18:19], s[4:5], v[16:17]
	v_add_f64 v[12:13], v[14:15], v[18:19]
	v_add_f64 v[14:15], v[12:13], -v[14:15]
	v_add_f64 v[14:15], v[18:19], -v[14:15]
	v_cvt_i32_f64_e32 v27, v[16:17]
.LBB129_162:
	s_or_b64 exec, exec, s[0:1]
                                        ; implicit-def: $vgpr28
                                        ; implicit-def: $vgpr16_vgpr17
                                        ; implicit-def: $vgpr18_vgpr19
	s_and_saveexec_b64 s[0:1], s[2:3]
	s_xor_b64 s[2:3], exec, s[0:1]
	s_cbranch_execz .LBB129_164
; %bb.163:
	s_mov_b32 s0, 0
	s_mov_b32 s1, 0x7b000000
	s_movk_i32 s4, 0xff80
	v_and_b32_e32 v18, 0x7fffffff, v3
	v_ldexp_f64 v[16:17], |v[2:3]|, s4
	v_cmp_ge_f64_e64 vcc, |v[2:3]|, s[0:1]
	s_mov_b32 s0, 0
	s_mov_b32 s1, 0x7ff00000
	v_cndmask_b32_e32 v17, v18, v17, vcc
	v_cndmask_b32_e32 v16, v2, v16, vcc
	v_mul_f64 v[28:29], v[24:25], v[16:17]
	v_mul_f64 v[18:19], v[22:23], v[16:17]
	v_fma_f64 v[24:25], v[24:25], v[16:17], -v[28:29]
	v_add_f64 v[30:31], v[18:19], v[24:25]
	v_add_f64 v[38:39], v[30:31], -v[18:19]
	v_add_f64 v[24:25], v[24:25], -v[38:39]
	;; [unrolled: 1-line block ×4, first 2 shown]
	v_fma_f64 v[18:19], v[22:23], v[16:17], -v[18:19]
	v_mul_f64 v[22:23], v[20:21], v[16:17]
	v_add_f64 v[24:25], v[24:25], v[38:39]
	v_add_f64 v[38:39], v[22:23], v[18:19]
	;; [unrolled: 1-line block ×4, first 2 shown]
	v_ldexp_f64 v[34:35], v[32:33], -2
	v_add_f64 v[28:29], v[32:33], -v[28:29]
	v_add_f64 v[32:33], v[40:41], -v[38:39]
	;; [unrolled: 1-line block ×5, first 2 shown]
	v_add_f64 v[24:25], v[24:25], v[32:33]
	v_add_f64 v[32:33], v[38:39], -v[22:23]
	v_add_f64 v[18:19], v[18:19], -v[32:33]
	v_add_f64 v[32:33], v[38:39], -v[32:33]
	v_add_f64 v[32:33], v[22:23], -v[32:33]
	v_add_f64 v[18:19], v[18:19], v[32:33]
	v_fract_f64_e32 v[36:37], v[34:35]
	v_add_f64 v[18:19], v[18:19], v[24:25]
	v_fma_f64 v[16:17], v[20:21], v[16:17], -v[22:23]
	v_add_f64 v[28:29], v[30:31], -v[28:29]
	v_add_f64 v[16:17], v[16:17], v[18:19]
	v_ldexp_f64 v[18:19], v[36:37], 2
	v_cmp_neq_f64_e64 vcc, |v[34:35]|, s[0:1]
	v_add_f64 v[30:31], v[28:29], v[40:41]
	v_mov_b32_e32 v22, 0x40100000
	v_cndmask_b32_e32 v19, 0, v19, vcc
	v_cndmask_b32_e32 v18, 0, v18, vcc
	v_add_f64 v[20:21], v[30:31], v[18:19]
	v_cmp_gt_f64_e32 vcc, 0, v[20:21]
	v_mov_b32_e32 v20, 0
	v_add_f64 v[28:29], v[30:31], -v[28:29]
	v_cndmask_b32_e32 v21, 0, v22, vcc
	v_add_f64 v[18:19], v[18:19], v[20:21]
	v_add_f64 v[22:23], v[30:31], v[18:19]
	v_cvt_i32_f64_e32 v21, v[22:23]
	v_cvt_f64_i32_e32 v[22:23], v21
	v_add_f64 v[18:19], v[18:19], -v[22:23]
	v_add_f64 v[22:23], v[30:31], v[18:19]
	v_add_f64 v[28:29], v[40:41], -v[28:29]
	v_add_f64 v[18:19], v[22:23], -v[18:19]
	v_add_f64 v[16:17], v[28:29], v[16:17]
	v_add_f64 v[18:19], v[30:31], -v[18:19]
	v_add_f64 v[16:17], v[16:17], v[18:19]
	v_cmp_le_f64_e32 vcc, 0.5, v[22:23]
	v_mov_b32_e32 v18, 0x3ff00000
	s_mov_b32 s4, 0x33145c07
	v_addc_co_u32_e64 v28, s[0:1], 0, v21, vcc
	v_cndmask_b32_e32 v21, 0, v18, vcc
	v_add_f64 v[18:19], v[22:23], -v[20:21]
	v_add_f64 v[20:21], v[18:19], v[16:17]
	s_mov_b32 s0, 0x54442d18
	v_add_f64 v[18:19], v[20:21], -v[18:19]
	s_mov_b32 s1, 0x3ff921fb
	v_add_f64 v[16:17], v[16:17], -v[18:19]
	v_mul_f64 v[18:19], v[20:21], s[0:1]
	v_fma_f64 v[22:23], v[20:21], s[0:1], -v[18:19]
	s_mov_b32 s5, 0x3c91a626
	v_fmac_f64_e32 v[22:23], s[4:5], v[20:21]
	v_fmac_f64_e32 v[22:23], s[0:1], v[16:17]
	v_add_f64 v[16:17], v[18:19], v[22:23]
	v_add_f64 v[18:19], v[16:17], -v[18:19]
	v_add_f64 v[18:19], v[22:23], -v[18:19]
	s_andn2_saveexec_b64 s[0:1], s[2:3]
	s_cbranch_execnz .LBB129_165
	s_branch .LBB129_166
.LBB129_164:
	s_andn2_saveexec_b64 s[0:1], s[2:3]
	s_cbranch_execz .LBB129_166
.LBB129_165:
	s_mov_b32 s2, 0x6dc9c883
	s_mov_b32 s3, 0x3fe45f30
	v_mul_f64 v[16:17], |v[2:3]|, s[2:3]
	s_mov_b32 s2, 0x54442d18
	v_rndne_f64_e32 v[20:21], v[16:17]
	s_mov_b32 s3, 0xbff921fb
	v_fma_f64 v[16:17], v[20:21], s[2:3], |v[2:3]|
	s_mov_b32 s3, 0xbc91a626
	s_mov_b32 s2, 0x33145c00
	v_mul_f64 v[22:23], v[20:21], s[2:3]
	v_add_f64 v[28:29], v[16:17], v[22:23]
	v_fma_f64 v[18:19], s[2:3], v[20:21], v[16:17]
	s_mov_b32 s3, 0x3c91a626
	v_add_f64 v[16:17], v[16:17], -v[28:29]
	v_fma_f64 v[24:25], s[2:3], v[20:21], v[22:23]
	v_add_f64 v[16:17], v[16:17], v[22:23]
	v_add_f64 v[22:23], v[28:29], -v[18:19]
	v_add_f64 v[16:17], v[22:23], v[16:17]
	s_mov_b32 s2, 0x252049c0
	v_add_f64 v[22:23], v[16:17], -v[24:25]
	s_mov_b32 s3, 0xb97b839a
	v_fmac_f64_e32 v[22:23], s[2:3], v[20:21]
	v_add_f64 v[16:17], v[18:19], v[22:23]
	v_add_f64 v[18:19], v[16:17], -v[18:19]
	v_add_f64 v[18:19], v[22:23], -v[18:19]
	v_cvt_i32_f64_e32 v28, v[20:21]
.LBB129_166:
	s_or_b64 exec, exec, s[0:1]
	s_mov_b32 s0, 0x652b82fe
	s_mov_b32 s1, 0x3ff71547
	v_mul_f64 v[20:21], v[0:1], s[0:1]
	v_rndne_f64_e32 v[24:25], v[20:21]
	s_mov_b32 s9, 0xbfe62e42
	s_mov_b32 s8, 0xfefa39ef
	s_mov_b32 s0, 0x3b39803f
	v_fma_f64 v[22:23], s[8:9], v[24:25], v[0:1]
	s_mov_b32 s1, 0xbc7abc9e
	v_fmac_f64_e32 v[22:23], s[0:1], v[24:25]
	s_mov_b32 s0, 0x6a5dcb37
	v_mov_b32_e32 v20, 0xfca7ab0c
	v_mov_b32_e32 v21, 0x3e928af3
	s_mov_b32 s1, 0x3e5ade15
	v_fmac_f64_e32 v[20:21], s[0:1], v[22:23]
	v_mov_b32_e32 v30, 0x623fde64
	v_mov_b32_e32 v31, 0x3ec71dee
	v_fmac_f64_e32 v[30:31], v[22:23], v[20:21]
	v_mov_b32_e32 v20, 0x7c89e6b0
	v_mov_b32_e32 v21, 0x3efa0199
	;; [unrolled: 3-line block ×3, first 2 shown]
	v_mov_b64_e32 v[32:33], v[30:31]
	v_mov_b32_e32 v34, 0x1852b7b0
	v_mov_b32_e32 v35, 0x3f56c16c
	v_fmac_f64_e32 v[32:33], v[22:23], v[20:21]
	v_mov_b64_e32 v[20:21], v[34:35]
	v_fmac_f64_e32 v[20:21], v[22:23], v[32:33]
	v_mov_b32_e32 v32, 0x11122322
	v_mov_b32_e32 v33, 0x3f811111
	v_mov_b64_e32 v[36:37], v[32:33]
	v_mov_b32_e32 v38, 0x555502a1
	v_mov_b32_e32 v39, 0x3fa55555
	v_fmac_f64_e32 v[36:37], v[22:23], v[20:21]
	v_mov_b64_e32 v[20:21], v[38:39]
	v_fmac_f64_e32 v[20:21], v[22:23], v[36:37]
	v_mov_b32_e32 v36, 0x55555511
	v_mov_b32_e32 v37, 0x3fc55555
	v_mov_b64_e32 v[40:41], v[36:37]
	v_fmac_f64_e32 v[40:41], v[22:23], v[20:21]
	v_mov_b32_e32 v20, 11
	v_mov_b32_e32 v21, 0x3fe00000
	v_fmac_f64_e32 v[20:21], v[22:23], v[40:41]
	v_fma_f64 v[20:21], v[22:23], v[20:21], 1.0
	s_mov_b32 s6, 0
	s_mov_b32 s0, 0
	v_fma_f64 v[20:21], v[22:23], v[20:21], 1.0
	v_cvt_i32_f64_e32 v29, v[24:25]
	s_mov_b32 s7, 0x40900000
	s_mov_b32 s1, 0xc090cc00
	v_ldexp_f64 v[20:21], v[20:21], v29
	v_mov_b32_e32 v44, 0x7ff00000
	v_cmp_nlt_f64_e32 vcc, s[6:7], v[0:1]
	v_cmp_ngt_f64_e64 s[0:1], s[0:1], v[0:1]
	v_ldexp_f64 v[40:41], 1.0, v29
	v_cndmask_b32_e32 v21, v44, v21, vcc
	s_and_b64 vcc, s[0:1], vcc
	v_cndmask_b32_e64 v21, 0, v21, s[0:1]
	v_cndmask_b32_e32 v20, 0, v20, vcc
	v_mov_b32_e32 v29, 0x7fe00000
	v_cmp_eq_f64_e32 vcc, s[6:7], v[24:25]
	s_mov_b32 s0, 0xa9d67f34
	s_mov_b32 s1, 0x3e21f32e
	v_cndmask_b32_e32 v25, v41, v29, vcc
	v_cndmask_b32_e64 v24, v40, 0, vcc
	v_mov_b32_e32 v40, 0x2a1b768b
	v_mov_b32_e32 v41, 0x3e5af4eb
	v_fmac_f64_e32 v[40:41], s[0:1], v[22:23]
	v_mov_b32_e32 v42, 0xe0ac05b
	v_mov_b32_e32 v43, 0x3e927e50
	v_fmac_f64_e32 v[42:43], v[22:23], v[40:41]
	;; [unrolled: 3-line block ×4, first 2 shown]
	v_mov_b32_e32 v30, 0x1ac1a723
	v_fmac_f64_e32 v[30:31], v[22:23], v[42:43]
	v_mov_b32_e32 v34, 0x16c18931
	v_fmac_f64_e32 v[34:35], v[22:23], v[30:31]
	;; [unrolled: 2-line block ×5, first 2 shown]
	v_fma_f64 v[30:31], v[22:23], v[36:37], 0.5
	v_mul_f64 v[30:31], v[22:23], v[30:31]
	v_fmac_f64_e32 v[22:23], v[22:23], v[30:31]
	v_add_f64 v[30:31], v[24:25], -1.0
	v_fmac_f64_e32 v[30:31], v[24:25], v[22:23]
	v_add_f64 v[22:23], v[30:31], v[30:31]
	s_mov_b32 s9, 0x40862e42
	s_mov_b32 s0, 0
	v_cndmask_b32_e32 v22, v30, v22, vcc
	v_cndmask_b32_e32 v23, v31, v23, vcc
	v_cmp_nlt_f64_e32 vcc, s[8:9], v[0:1]
	s_mov_b32 s1, 0xc0428000
	v_mov_b32_e32 v24, 0xbff00000
	v_cndmask_b32_e32 v23, v44, v23, vcc
	v_cmp_ngt_f64_e64 s[0:1], s[0:1], v[0:1]
	s_and_b64 vcc, s[0:1], vcc
	s_mov_b32 s8, 0x46cc5e42
	v_cndmask_b32_e64 v1, v24, v23, s[0:1]
	s_mov_b32 s0, 0x9037ab78
	s_mov_b32 s1, 0x3e21eeb6
	v_cndmask_b32_e32 v0, 0, v22, vcc
	v_mul_f64 v[24:25], v[12:13], v[12:13]
	s_mov_b32 s9, 0xbda907db
	v_mov_b64_e32 v[22:23], s[0:1]
	s_mov_b32 s10, 0xa17f65f6
	s_mov_b32 s6, 0x19f4ec90
	v_mul_f64 v[30:31], v[24:25], 0.5
	v_fma_f64 v[36:37], s[8:9], v[24:25], v[22:23]
	s_mov_b32 s11, 0xbe927e4f
	s_mov_b32 s7, 0x3efa01a0
	v_add_f64 v[32:33], -v[30:31], 1.0
	v_fma_f64 v[36:37], v[24:25], v[36:37], s[10:11]
	s_mov_b32 s12, 0x16c16967
	s_mov_b32 s4, 0x55555555
	v_fma_f64 v[36:37], v[24:25], v[36:37], s[6:7]
	s_mov_b32 s13, 0xbf56c16c
	v_add_f64 v[38:39], -v[32:33], 1.0
	s_mov_b32 s5, 0x3fa55555
	v_fma_f64 v[36:37], v[24:25], v[36:37], s[12:13]
	v_add_f64 v[30:31], v[38:39], -v[30:31]
	s_mov_b32 s0, 0xb42fdfa7
	v_mul_f64 v[34:35], v[24:25], v[24:25]
	v_fma_f64 v[36:37], v[24:25], v[36:37], s[4:5]
	v_fma_f64 v[30:31], v[12:13], -v[14:15], v[30:31]
	s_mov_b32 s1, 0xbe5ae600
	s_mov_b32 s14, 0xf9a43bb8
	v_fmac_f64_e32 v[30:31], v[34:35], v[36:37]
	s_mov_b32 s15, 0x3de5e0b2
	v_mov_b64_e32 v[34:35], s[0:1]
	s_mov_b32 s28, 0x796cde01
	v_fma_f64 v[36:37], s[14:15], v[24:25], v[34:35]
	s_mov_b32 s29, 0x3ec71de3
	s_mov_b32 s30, 0x19e83e5c
	;; [unrolled: 1-line block ×3, first 2 shown]
	v_fma_f64 v[36:37], v[24:25], v[36:37], s[28:29]
	s_mov_b32 s31, 0xbf2a01a0
	s_mov_b32 s3, 0x3f811111
	v_fma_f64 v[36:37], v[24:25], v[36:37], s[30:31]
	v_add_f64 v[30:31], v[32:33], v[30:31]
	v_mul_f64 v[32:33], v[12:13], -v[24:25]
	v_fma_f64 v[36:37], v[24:25], v[36:37], s[2:3]
	v_mul_f64 v[38:39], v[14:15], 0.5
	v_fmac_f64_e32 v[38:39], v[32:33], v[36:37]
	v_fma_f64 v[14:15], v[24:25], v[38:39], -v[14:15]
	s_mov_b32 s51, 0xbfc55555
	s_mov_b32 s50, s4
	v_fmac_f64_e32 v[14:15], s[50:51], v[32:33]
	v_and_b32_e32 v29, 1, v27
	v_add_f64 v[12:13], v[12:13], -v[14:15]
	v_xor_b32_e32 v13, 0x80000000, v13
	v_cmp_eq_u32_e32 vcc, 0, v29
	s_brev_b32 s53, 1
	v_lshlrev_b32_e32 v14, 30, v27
	v_cndmask_b32_e32 v13, v13, v31, vcc
	v_bitop3_b32 v13, v13, v14, s53 bitop3:0x78
	v_mul_f64 v[14:15], v[8:9], v[8:9]
	v_cndmask_b32_e32 v12, v12, v30, vcc
	v_fma_f64 v[30:31], s[14:15], v[14:15], v[34:35]
	v_fma_f64 v[30:31], v[14:15], v[30:31], s[28:29]
	;; [unrolled: 1-line block ×3, first 2 shown]
	v_mul_f64 v[24:25], v[8:9], -v[14:15]
	v_fma_f64 v[30:31], v[14:15], v[30:31], s[2:3]
	v_mul_f64 v[32:33], v[10:11], 0.5
	v_fmac_f64_e32 v[32:33], v[24:25], v[30:31]
	v_fma_f64 v[30:31], v[14:15], v[32:33], -v[10:11]
	v_fma_f64 v[38:39], s[8:9], v[14:15], v[22:23]
	v_fmac_f64_e32 v[30:31], s[50:51], v[24:25]
	v_fma_f64 v[38:39], v[14:15], v[38:39], s[10:11]
	v_add_f64 v[24:25], v[8:9], -v[30:31]
	v_mul_f64 v[30:31], v[14:15], 0.5
	v_fma_f64 v[38:39], v[14:15], v[38:39], s[6:7]
	v_add_f64 v[32:33], -v[30:31], 1.0
	v_fma_f64 v[38:39], v[14:15], v[38:39], s[12:13]
	v_mul_f64 v[36:37], v[14:15], v[14:15]
	v_fma_f64 v[14:15], v[14:15], v[38:39], s[4:5]
	v_add_f64 v[38:39], -v[32:33], 1.0
	v_add_f64 v[30:31], v[38:39], -v[30:31]
	s_movk_i32 s52, 0x1f8
	v_fma_f64 v[8:9], v[8:9], -v[10:11], v[30:31]
	v_cmp_class_f64_e64 vcc, v[2:3], s52
	v_and_b32_e32 v2, 1, v5
	v_fmac_f64_e32 v[8:9], v[36:37], v[14:15]
	v_add_f64 v[8:9], v[32:33], v[8:9]
	v_cmp_eq_u32_e64 s[0:1], 0, v2
	v_lshlrev_b32_e32 v5, 30, v5
	v_xor_b32_e32 v5, v5, v7
	v_cndmask_b32_e64 v2, v8, v24, s[0:1]
	v_cndmask_b32_e64 v8, v9, v25, s[0:1]
	v_mov_b32_e32 v27, 0x7ff80000
	v_bitop3_b32 v5, v8, v5, s53 bitop3:0x78
	v_cmp_class_f64_e64 s[0:1], v[6:7], s52
	v_cndmask_b32_e32 v12, 0, v12, vcc
	v_cndmask_b32_e32 v13, v27, v13, vcc
	v_cndmask_b32_e64 v6, 0, v2, s[0:1]
	v_cndmask_b32_e64 v7, v27, v5, s[0:1]
	v_add_f64 v[8:9], v[6:7], v[6:7]
	v_mul_f64 v[6:7], v[8:9], v[6:7]
	v_fma_f64 v[0:1], v[0:1], v[12:13], -v[6:7]
	v_mul_f64 v[6:7], v[16:17], v[16:17]
	v_mul_f64 v[8:9], v[6:7], 0.5
	v_fmac_f64_e32 v[22:23], s[8:9], v[6:7]
	v_add_f64 v[10:11], -v[8:9], 1.0
	v_fma_f64 v[14:15], v[6:7], v[22:23], s[10:11]
	v_add_f64 v[12:13], -v[10:11], 1.0
	v_fma_f64 v[14:15], v[6:7], v[14:15], s[6:7]
	v_add_f64 v[8:9], v[12:13], -v[8:9]
	v_fma_f64 v[14:15], v[6:7], v[14:15], s[12:13]
	v_mul_f64 v[12:13], v[6:7], v[6:7]
	v_fma_f64 v[14:15], v[6:7], v[14:15], s[4:5]
	v_fma_f64 v[8:9], v[16:17], -v[18:19], v[8:9]
	v_fmac_f64_e32 v[8:9], v[12:13], v[14:15]
	v_fmac_f64_e32 v[34:35], s[14:15], v[6:7]
	v_add_f64 v[8:9], v[10:11], v[8:9]
	v_fma_f64 v[10:11], v[6:7], v[34:35], s[28:29]
	v_fma_f64 v[10:11], v[6:7], v[10:11], s[30:31]
	;; [unrolled: 1-line block ×3, first 2 shown]
	v_mul_f64 v[12:13], v[16:17], -v[6:7]
	v_mul_f64 v[14:15], v[18:19], 0.5
	v_fmac_f64_e32 v[14:15], v[12:13], v[10:11]
	v_fma_f64 v[6:7], v[6:7], v[14:15], -v[18:19]
	v_fmac_f64_e32 v[6:7], s[50:51], v[12:13]
	v_and_b32_e32 v2, 1, v28
	v_add_f64 v[6:7], v[16:17], -v[6:7]
	v_cmp_eq_u32_e64 s[0:1], 0, v2
	v_add_u32_e32 v26, 0x80, v26
	s_nop 0
	v_cndmask_b32_e64 v2, v8, v6, s[0:1]
	v_lshlrev_b32_e32 v6, 30, v28
	v_cndmask_b32_e64 v5, v9, v7, s[0:1]
	v_xor_b32_e32 v3, v6, v3
	v_bitop3_b32 v3, v5, v3, s53 bitop3:0x78
	v_cndmask_b32_e32 v2, 0, v2, vcc
	v_cndmask_b32_e32 v3, v27, v3, vcc
	v_mul_f64 v[2:3], v[20:21], v[2:3]
	global_store_dwordx4 v4, v[0:3], s[16:17]
	s_or_b64 exec, exec, s[48:49]
	v_cmp_gt_i32_e32 vcc, s55, v26
	s_and_saveexec_b64 s[48:49], vcc
	s_cbranch_execz .LBB129_195
.LBB129_167:
	s_andn2_b64 vcc, exec, s[36:37]
	s_cbranch_vccnz .LBB129_173
; %bb.168:
	s_andn2_b64 vcc, exec, s[46:47]
	s_cbranch_vccnz .LBB129_174
; %bb.169:
	s_add_i32 s58, s56, 1
	s_cmp_eq_u32 s54, 2
	s_cbranch_scc1 .LBB129_175
; %bb.170:
	s_and_b32 s57, s58, 28
	s_mov_b32 s59, 0
	v_mov_b32_e32 v4, 0
	v_mov_b32_e32 v0, 0
	s_mov_b64 s[50:51], s[34:35]
	s_mov_b64 s[52:53], s[44:45]
	v_mov_b32_e32 v2, v26
.LBB129_171:                            ; =>This Inner Loop Header: Depth=1
	s_load_dwordx8 s[8:15], s[50:51], 0x4
	s_load_dwordx4 s[28:31], s[50:51], 0x24
	s_load_dwordx8 s[0:7], s[52:53], 0x0
	s_add_u32 s50, s50, 48
	s_addc_u32 s51, s51, 0
	s_waitcnt lgkmcnt(0)
	v_mul_hi_u32 v1, s9, v2
	v_add_u32_e32 v1, v2, v1
	v_lshrrev_b32_e32 v1, s10, v1
	v_mul_lo_u32 v3, v1, s8
	v_mul_hi_u32 v5, s12, v1
	v_sub_u32_e32 v2, v2, v3
	v_add_u32_e32 v3, v1, v5
	v_lshrrev_b32_e32 v3, s13, v3
	v_mul_lo_u32 v6, v3, s11
	v_mul_hi_u32 v7, s15, v3
	v_sub_u32_e32 v1, v1, v6
	v_add_u32_e32 v6, v3, v7
	v_mul_lo_u32 v5, v2, s1
	v_mul_lo_u32 v2, v2, s0
	;; [unrolled: 1-line block ×4, first 2 shown]
	v_lshrrev_b32_e32 v6, s28, v6
	v_add3_u32 v1, v2, v4, v1
	v_mul_lo_u32 v2, v6, s14
	v_mul_hi_u32 v4, s30, v6
	v_sub_u32_e32 v2, v3, v2
	v_add_u32_e32 v3, v6, v4
	v_add3_u32 v0, v5, v0, v7
	v_mul_lo_u32 v4, v2, s4
	v_mul_lo_u32 v5, v2, s5
	v_lshrrev_b32_e32 v2, s31, v3
	s_add_i32 s59, s59, 4
	v_mul_lo_u32 v3, v2, s29
	s_add_u32 s52, s52, 32
	v_sub_u32_e32 v3, v6, v3
	s_addc_u32 s53, s53, 0
	v_mul_lo_u32 v6, v3, s6
	v_mul_lo_u32 v3, v3, s7
	s_cmp_eq_u32 s57, s59
	v_add3_u32 v0, v5, v0, v3
	v_add3_u32 v4, v4, v1, v6
	s_cbranch_scc0 .LBB129_171
; %bb.172:
	v_mov_b32_e32 v1, v0
	s_branch .LBB129_176
.LBB129_173:
                                        ; implicit-def: $vgpr0
                                        ; implicit-def: $vgpr4
	s_branch .LBB129_180
.LBB129_174:
	v_mov_b32_e32 v0, 0
	v_mov_b32_e32 v4, 0
	s_branch .LBB129_179
.LBB129_175:
	v_mov_b32_e32 v4, 0
	s_mov_b32 s57, 0
	v_mov_b32_e32 v1, v4
                                        ; implicit-def: $vgpr0
	v_mov_b32_e32 v2, v26
.LBB129_176:
	s_and_b32 s4, s58, 3
	s_cmp_eq_u32 s4, 0
	s_cbranch_scc1 .LBB129_179
; %bb.177:
	s_lshl_b32 s0, s57, 3
	s_add_u32 s0, s34, s0
	s_addc_u32 s1, s35, 0
	s_add_u32 s0, s0, 0xc4
	s_addc_u32 s1, s1, 0
	s_mul_i32 s2, s57, 12
	s_add_u32 s2, s34, s2
	s_addc_u32 s3, s35, 0
.LBB129_178:                            ; =>This Inner Loop Header: Depth=1
	s_load_dwordx2 s[6:7], s[2:3], 0x4
	s_load_dword s5, s[2:3], 0xc
	s_load_dwordx2 s[8:9], s[0:1], 0x0
	v_mov_b32_e32 v0, v1
	s_add_u32 s2, s2, 12
	s_waitcnt lgkmcnt(0)
	v_mul_hi_u32 v1, s7, v2
	v_add_u32_e32 v1, v2, v1
	v_lshrrev_b32_e32 v1, s5, v1
	s_addc_u32 s3, s3, 0
	v_mul_lo_u32 v3, v1, s6
	s_add_u32 s0, s0, 8
	v_sub_u32_e32 v3, v2, v3
	s_addc_u32 s1, s1, 0
	s_add_i32 s4, s4, -1
	v_mov_b32_e32 v2, v1
	v_mad_u64_u32 v[0:1], s[6:7], v3, s9, v[0:1]
	s_cmp_lg_u32 s4, 0
	v_mad_u64_u32 v[4:5], s[6:7], v3, s8, v[4:5]
	v_mov_b32_e32 v1, v0
	s_cbranch_scc1 .LBB129_178
.LBB129_179:
	s_cbranch_execnz .LBB129_182
.LBB129_180:
	s_waitcnt lgkmcnt(0)
	v_mul_hi_u32 v0, s25, v26
	v_add_u32_e32 v0, v26, v0
	v_lshrrev_b32_e32 v1, s26, v0
	v_mul_lo_u32 v0, v1, s24
	v_sub_u32_e32 v2, v26, v0
	v_mul_lo_u32 v0, v2, s21
	s_andn2_b64 vcc, exec, s[42:43]
	v_mul_lo_u32 v4, v2, s20
	s_cbranch_vccnz .LBB129_182
; %bb.181:
	v_mul_hi_u32 v2, s40, v1
	v_add_u32_e32 v2, v1, v2
	v_lshrrev_b32_e32 v2, s41, v2
	v_mul_lo_u32 v2, v2, s27
	v_sub_u32_e32 v1, v1, v2
	v_mad_u64_u32 v[4:5], s[0:1], v1, s22, v[4:5]
	v_mad_u64_u32 v[0:1], s[0:1], v1, s23, v[0:1]
.LBB129_182:
	s_waitcnt lgkmcnt(0)
	global_load_dwordx4 v[0:3], v0, s[18:19]
	s_mov_b32 s0, 0
	s_mov_b32 s1, 0x41d00000
                                        ; implicit-def: $vgpr5
                                        ; implicit-def: $vgpr8_vgpr9
                                        ; implicit-def: $vgpr10_vgpr11
	s_waitcnt vmcnt(0)
	v_mul_f64 v[6:7], v[2:3], 0.5
	v_cmp_nlt_f64_e64 s[0:1], |v[6:7]|, s[0:1]
	s_and_saveexec_b64 s[2:3], s[0:1]
	s_xor_b64 s[2:3], exec, s[2:3]
	s_cbranch_execz .LBB129_184
; %bb.183:
	s_mov_b32 s0, 0
	s_mov_b32 s1, 0x7b000000
	s_movk_i32 s4, 0xff80
	v_and_b32_e32 v5, 0x7fffffff, v7
	v_ldexp_f64 v[12:13], |v[6:7]|, s4
	v_cmp_ge_f64_e64 vcc, |v[6:7]|, s[0:1]
	v_trig_preop_f64 v[8:9], |v[6:7]|, 0
	v_trig_preop_f64 v[10:11], |v[6:7]|, 1
	v_cndmask_b32_e32 v13, v5, v13, vcc
	v_cndmask_b32_e32 v12, v6, v12, vcc
	v_mul_f64 v[16:17], v[8:9], v[12:13]
	v_mul_f64 v[14:15], v[10:11], v[12:13]
	v_fma_f64 v[8:9], v[8:9], v[12:13], -v[16:17]
	v_add_f64 v[18:19], v[14:15], v[8:9]
	v_add_f64 v[28:29], v[18:19], -v[14:15]
	v_add_f64 v[8:9], v[8:9], -v[28:29]
	;; [unrolled: 1-line block ×4, first 2 shown]
	v_fma_f64 v[10:11], v[10:11], v[12:13], -v[14:15]
	v_trig_preop_f64 v[14:15], |v[6:7]|, 2
	v_add_f64 v[8:9], v[8:9], v[28:29]
	v_mul_f64 v[28:29], v[14:15], v[12:13]
	v_add_f64 v[30:31], v[28:29], v[10:11]
	v_add_f64 v[20:21], v[16:17], v[18:19]
	;; [unrolled: 1-line block ×3, first 2 shown]
	v_ldexp_f64 v[22:23], v[20:21], -2
	v_add_f64 v[16:17], v[20:21], -v[16:17]
	v_add_f64 v[20:21], v[32:33], -v[30:31]
	;; [unrolled: 1-line block ×5, first 2 shown]
	v_add_f64 v[8:9], v[8:9], v[20:21]
	v_add_f64 v[20:21], v[30:31], -v[28:29]
	v_add_f64 v[10:11], v[10:11], -v[20:21]
	;; [unrolled: 1-line block ×4, first 2 shown]
	v_add_f64 v[10:11], v[10:11], v[20:21]
	s_mov_b32 s0, 0
	v_fract_f64_e32 v[24:25], v[22:23]
	v_add_f64 v[8:9], v[10:11], v[8:9]
	v_fma_f64 v[10:11], v[14:15], v[12:13], -v[28:29]
	s_mov_b32 s1, 0x7ff00000
	v_add_f64 v[16:17], v[18:19], -v[16:17]
	v_add_f64 v[8:9], v[10:11], v[8:9]
	v_ldexp_f64 v[10:11], v[24:25], 2
	v_cmp_neq_f64_e64 vcc, |v[22:23]|, s[0:1]
	v_add_f64 v[18:19], v[16:17], v[32:33]
	v_mov_b32_e32 v5, 0x40100000
	v_cndmask_b32_e32 v11, 0, v11, vcc
	v_cndmask_b32_e32 v10, 0, v10, vcc
	v_add_f64 v[12:13], v[18:19], v[10:11]
	v_cmp_gt_f64_e32 vcc, 0, v[12:13]
	v_mov_b32_e32 v12, 0
	v_add_f64 v[16:17], v[18:19], -v[16:17]
	v_cndmask_b32_e32 v13, 0, v5, vcc
	v_add_f64 v[10:11], v[10:11], v[12:13]
	v_add_f64 v[14:15], v[18:19], v[10:11]
	v_cvt_i32_f64_e32 v5, v[14:15]
	v_cvt_f64_i32_e32 v[14:15], v5
	v_add_f64 v[10:11], v[10:11], -v[14:15]
	v_add_f64 v[14:15], v[18:19], v[10:11]
	v_add_f64 v[16:17], v[32:33], -v[16:17]
	v_add_f64 v[10:11], v[14:15], -v[10:11]
	v_add_f64 v[8:9], v[16:17], v[8:9]
	v_add_f64 v[10:11], v[18:19], -v[10:11]
	v_add_f64 v[8:9], v[8:9], v[10:11]
	v_cmp_le_f64_e32 vcc, 0.5, v[14:15]
	v_mov_b32_e32 v10, 0x3ff00000
	s_mov_b32 s4, 0x33145c07
	v_cndmask_b32_e32 v13, 0, v10, vcc
	v_addc_co_u32_e64 v5, s[0:1], 0, v5, vcc
	v_add_f64 v[10:11], v[14:15], -v[12:13]
	v_add_f64 v[12:13], v[10:11], v[8:9]
	s_mov_b32 s0, 0x54442d18
	v_add_f64 v[10:11], v[12:13], -v[10:11]
	s_mov_b32 s1, 0x3ff921fb
	v_add_f64 v[8:9], v[8:9], -v[10:11]
	v_mul_f64 v[10:11], v[12:13], s[0:1]
	v_fma_f64 v[14:15], v[12:13], s[0:1], -v[10:11]
	s_mov_b32 s5, 0x3c91a626
	v_fmac_f64_e32 v[14:15], s[4:5], v[12:13]
	v_fmac_f64_e32 v[14:15], s[0:1], v[8:9]
	v_add_f64 v[8:9], v[10:11], v[14:15]
	v_add_f64 v[10:11], v[8:9], -v[10:11]
	v_add_f64 v[10:11], v[14:15], -v[10:11]
.LBB129_184:
	s_andn2_saveexec_b64 s[0:1], s[2:3]
	s_cbranch_execz .LBB129_186
; %bb.185:
	s_mov_b32 s2, 0x6dc9c883
	s_mov_b32 s3, 0x3fe45f30
	v_mul_f64 v[8:9], |v[6:7]|, s[2:3]
	s_mov_b32 s2, 0x54442d18
	v_rndne_f64_e32 v[12:13], v[8:9]
	s_mov_b32 s3, 0xbff921fb
	v_fma_f64 v[8:9], v[12:13], s[2:3], |v[6:7]|
	s_mov_b32 s3, 0xbc91a626
	s_mov_b32 s2, 0x33145c00
	v_mul_f64 v[14:15], v[12:13], s[2:3]
	v_add_f64 v[18:19], v[8:9], v[14:15]
	v_fma_f64 v[10:11], s[2:3], v[12:13], v[8:9]
	s_mov_b32 s3, 0x3c91a626
	v_add_f64 v[8:9], v[8:9], -v[18:19]
	v_fma_f64 v[16:17], s[2:3], v[12:13], v[14:15]
	v_add_f64 v[8:9], v[8:9], v[14:15]
	v_add_f64 v[14:15], v[18:19], -v[10:11]
	v_add_f64 v[8:9], v[14:15], v[8:9]
	s_mov_b32 s2, 0x252049c0
	v_add_f64 v[14:15], v[8:9], -v[16:17]
	s_mov_b32 s3, 0xb97b839a
	v_fmac_f64_e32 v[14:15], s[2:3], v[12:13]
	v_add_f64 v[8:9], v[10:11], v[14:15]
	v_add_f64 v[10:11], v[8:9], -v[10:11]
	v_add_f64 v[10:11], v[14:15], -v[10:11]
	v_cvt_i32_f64_e32 v5, v[12:13]
.LBB129_186:
	s_or_b64 exec, exec, s[0:1]
	s_mov_b32 s0, 0
	s_mov_b32 s1, 0x41d00000
	v_cmp_nlt_f64_e64 s[2:3], |v[2:3]|, s[0:1]
	v_trig_preop_f64 v[24:25], |v[2:3]|, 0
	v_trig_preop_f64 v[22:23], |v[2:3]|, 1
	;; [unrolled: 1-line block ×3, first 2 shown]
                                        ; implicit-def: $vgpr27
                                        ; implicit-def: $vgpr12_vgpr13
                                        ; implicit-def: $vgpr14_vgpr15
	s_and_saveexec_b64 s[0:1], s[2:3]
	s_xor_b64 s[4:5], exec, s[0:1]
	s_cbranch_execz .LBB129_188
; %bb.187:
	s_mov_b32 s0, 0
	s_mov_b32 s1, 0x7b000000
	s_movk_i32 s6, 0xff80
	v_and_b32_e32 v14, 0x7fffffff, v3
	v_ldexp_f64 v[12:13], |v[2:3]|, s6
	v_cmp_ge_f64_e64 vcc, |v[2:3]|, s[0:1]
	s_mov_b32 s0, 0
	s_mov_b32 s1, 0x7ff00000
	v_cndmask_b32_e32 v13, v14, v13, vcc
	v_cndmask_b32_e32 v12, v2, v12, vcc
	v_mul_f64 v[16:17], v[24:25], v[12:13]
	v_mul_f64 v[14:15], v[22:23], v[12:13]
	v_fma_f64 v[18:19], v[24:25], v[12:13], -v[16:17]
	v_add_f64 v[28:29], v[14:15], v[18:19]
	v_add_f64 v[36:37], v[28:29], -v[14:15]
	v_add_f64 v[18:19], v[18:19], -v[36:37]
	;; [unrolled: 1-line block ×4, first 2 shown]
	v_add_f64 v[18:19], v[18:19], v[36:37]
	v_fma_f64 v[14:15], v[22:23], v[12:13], -v[14:15]
	v_mul_f64 v[36:37], v[20:21], v[12:13]
	v_add_f64 v[38:39], v[36:37], v[14:15]
	v_add_f64 v[30:31], v[16:17], v[28:29]
	;; [unrolled: 1-line block ×3, first 2 shown]
	v_ldexp_f64 v[32:33], v[30:31], -2
	v_add_f64 v[16:17], v[30:31], -v[16:17]
	v_add_f64 v[30:31], v[40:41], -v[38:39]
	;; [unrolled: 1-line block ×5, first 2 shown]
	v_add_f64 v[18:19], v[18:19], v[30:31]
	v_add_f64 v[30:31], v[38:39], -v[36:37]
	v_add_f64 v[14:15], v[14:15], -v[30:31]
	;; [unrolled: 1-line block ×5, first 2 shown]
	v_add_f64 v[14:15], v[14:15], v[30:31]
	v_fract_f64_e32 v[34:35], v[32:33]
	v_add_f64 v[28:29], v[16:17], v[40:41]
	v_add_f64 v[14:15], v[14:15], v[18:19]
	v_fma_f64 v[12:13], v[20:21], v[12:13], -v[36:37]
	v_add_f64 v[16:17], v[28:29], -v[16:17]
	v_add_f64 v[12:13], v[12:13], v[14:15]
	v_ldexp_f64 v[14:15], v[34:35], 2
	v_cmp_neq_f64_e64 vcc, |v[32:33]|, s[0:1]
	v_add_f64 v[16:17], v[40:41], -v[16:17]
	v_add_f64 v[12:13], v[16:17], v[12:13]
	v_cndmask_b32_e32 v15, 0, v15, vcc
	v_cndmask_b32_e32 v14, 0, v14, vcc
	v_add_f64 v[16:17], v[28:29], v[14:15]
	v_mov_b32_e32 v18, 0x40100000
	v_cmp_gt_f64_e32 vcc, 0, v[16:17]
	v_mov_b32_e32 v16, 0
	s_mov_b32 s6, 0x33145c07
	v_cndmask_b32_e32 v17, 0, v18, vcc
	v_add_f64 v[14:15], v[14:15], v[16:17]
	v_add_f64 v[18:19], v[28:29], v[14:15]
	v_cvt_i32_f64_e32 v17, v[18:19]
	v_cvt_f64_i32_e32 v[18:19], v17
	v_add_f64 v[14:15], v[14:15], -v[18:19]
	v_add_f64 v[18:19], v[28:29], v[14:15]
	v_add_f64 v[14:15], v[18:19], -v[14:15]
	v_add_f64 v[14:15], v[28:29], -v[14:15]
	v_add_f64 v[12:13], v[12:13], v[14:15]
	v_cmp_le_f64_e32 vcc, 0.5, v[18:19]
	v_mov_b32_e32 v14, 0x3ff00000
	s_mov_b32 s7, 0x3c91a626
	v_addc_co_u32_e64 v27, s[0:1], 0, v17, vcc
	v_cndmask_b32_e32 v17, 0, v14, vcc
	v_add_f64 v[14:15], v[18:19], -v[16:17]
	v_add_f64 v[16:17], v[14:15], v[12:13]
	s_mov_b32 s0, 0x54442d18
	v_add_f64 v[14:15], v[16:17], -v[14:15]
	s_mov_b32 s1, 0x3ff921fb
	v_add_f64 v[12:13], v[12:13], -v[14:15]
	v_mul_f64 v[14:15], v[16:17], s[0:1]
	v_fma_f64 v[18:19], v[16:17], s[0:1], -v[14:15]
	v_fmac_f64_e32 v[18:19], s[6:7], v[16:17]
	v_fmac_f64_e32 v[18:19], s[0:1], v[12:13]
	v_add_f64 v[12:13], v[14:15], v[18:19]
	v_add_f64 v[14:15], v[12:13], -v[14:15]
	v_add_f64 v[14:15], v[18:19], -v[14:15]
	s_andn2_saveexec_b64 s[0:1], s[4:5]
	s_cbranch_execz .LBB129_190
	s_branch .LBB129_189
.LBB129_188:
	s_andn2_saveexec_b64 s[0:1], s[4:5]
	s_cbranch_execz .LBB129_190
.LBB129_189:
	s_mov_b32 s4, 0x6dc9c883
	s_mov_b32 s5, 0x3fe45f30
	v_mul_f64 v[12:13], |v[2:3]|, s[4:5]
	s_mov_b32 s4, 0x54442d18
	v_rndne_f64_e32 v[16:17], v[12:13]
	s_mov_b32 s5, 0xbff921fb
	v_fma_f64 v[12:13], v[16:17], s[4:5], |v[2:3]|
	s_mov_b32 s5, 0xbc91a626
	s_mov_b32 s4, 0x33145c00
	v_mul_f64 v[18:19], v[16:17], s[4:5]
	v_add_f64 v[30:31], v[12:13], v[18:19]
	v_fma_f64 v[14:15], s[4:5], v[16:17], v[12:13]
	s_mov_b32 s5, 0x3c91a626
	v_add_f64 v[12:13], v[12:13], -v[30:31]
	v_fma_f64 v[28:29], s[4:5], v[16:17], v[18:19]
	v_add_f64 v[12:13], v[12:13], v[18:19]
	v_add_f64 v[18:19], v[30:31], -v[14:15]
	v_add_f64 v[12:13], v[18:19], v[12:13]
	s_mov_b32 s4, 0x252049c0
	v_add_f64 v[18:19], v[12:13], -v[28:29]
	s_mov_b32 s5, 0xb97b839a
	v_fmac_f64_e32 v[18:19], s[4:5], v[16:17]
	v_add_f64 v[12:13], v[14:15], v[18:19]
	v_add_f64 v[14:15], v[12:13], -v[14:15]
	v_add_f64 v[14:15], v[18:19], -v[14:15]
	v_cvt_i32_f64_e32 v27, v[16:17]
.LBB129_190:
	s_or_b64 exec, exec, s[0:1]
                                        ; implicit-def: $vgpr28
                                        ; implicit-def: $vgpr16_vgpr17
                                        ; implicit-def: $vgpr18_vgpr19
	s_and_saveexec_b64 s[0:1], s[2:3]
	s_xor_b64 s[2:3], exec, s[0:1]
	s_cbranch_execz .LBB129_192
; %bb.191:
	s_mov_b32 s0, 0
	s_mov_b32 s1, 0x7b000000
	s_movk_i32 s4, 0xff80
	v_and_b32_e32 v18, 0x7fffffff, v3
	v_ldexp_f64 v[16:17], |v[2:3]|, s4
	v_cmp_ge_f64_e64 vcc, |v[2:3]|, s[0:1]
	s_mov_b32 s0, 0
	s_mov_b32 s1, 0x7ff00000
	v_cndmask_b32_e32 v17, v18, v17, vcc
	v_cndmask_b32_e32 v16, v2, v16, vcc
	v_mul_f64 v[28:29], v[24:25], v[16:17]
	v_mul_f64 v[18:19], v[22:23], v[16:17]
	v_fma_f64 v[24:25], v[24:25], v[16:17], -v[28:29]
	v_add_f64 v[30:31], v[18:19], v[24:25]
	v_add_f64 v[38:39], v[30:31], -v[18:19]
	v_add_f64 v[24:25], v[24:25], -v[38:39]
	;; [unrolled: 1-line block ×4, first 2 shown]
	v_fma_f64 v[18:19], v[22:23], v[16:17], -v[18:19]
	v_mul_f64 v[22:23], v[20:21], v[16:17]
	v_add_f64 v[24:25], v[24:25], v[38:39]
	v_add_f64 v[38:39], v[22:23], v[18:19]
	;; [unrolled: 1-line block ×4, first 2 shown]
	v_ldexp_f64 v[34:35], v[32:33], -2
	v_add_f64 v[28:29], v[32:33], -v[28:29]
	v_add_f64 v[32:33], v[40:41], -v[38:39]
	;; [unrolled: 1-line block ×5, first 2 shown]
	v_add_f64 v[24:25], v[24:25], v[32:33]
	v_add_f64 v[32:33], v[38:39], -v[22:23]
	v_add_f64 v[18:19], v[18:19], -v[32:33]
	v_add_f64 v[32:33], v[38:39], -v[32:33]
	v_add_f64 v[32:33], v[22:23], -v[32:33]
	v_add_f64 v[18:19], v[18:19], v[32:33]
	v_fract_f64_e32 v[36:37], v[34:35]
	v_add_f64 v[18:19], v[18:19], v[24:25]
	v_fma_f64 v[16:17], v[20:21], v[16:17], -v[22:23]
	v_add_f64 v[28:29], v[30:31], -v[28:29]
	v_add_f64 v[16:17], v[16:17], v[18:19]
	v_ldexp_f64 v[18:19], v[36:37], 2
	v_cmp_neq_f64_e64 vcc, |v[34:35]|, s[0:1]
	v_add_f64 v[30:31], v[28:29], v[40:41]
	v_mov_b32_e32 v22, 0x40100000
	v_cndmask_b32_e32 v19, 0, v19, vcc
	v_cndmask_b32_e32 v18, 0, v18, vcc
	v_add_f64 v[20:21], v[30:31], v[18:19]
	v_cmp_gt_f64_e32 vcc, 0, v[20:21]
	v_mov_b32_e32 v20, 0
	v_add_f64 v[28:29], v[30:31], -v[28:29]
	v_cndmask_b32_e32 v21, 0, v22, vcc
	v_add_f64 v[18:19], v[18:19], v[20:21]
	v_add_f64 v[22:23], v[30:31], v[18:19]
	v_cvt_i32_f64_e32 v21, v[22:23]
	v_cvt_f64_i32_e32 v[22:23], v21
	v_add_f64 v[18:19], v[18:19], -v[22:23]
	v_add_f64 v[22:23], v[30:31], v[18:19]
	v_add_f64 v[28:29], v[40:41], -v[28:29]
	v_add_f64 v[18:19], v[22:23], -v[18:19]
	v_add_f64 v[16:17], v[28:29], v[16:17]
	v_add_f64 v[18:19], v[30:31], -v[18:19]
	v_add_f64 v[16:17], v[16:17], v[18:19]
	v_cmp_le_f64_e32 vcc, 0.5, v[22:23]
	v_mov_b32_e32 v18, 0x3ff00000
	s_mov_b32 s4, 0x33145c07
	v_addc_co_u32_e64 v28, s[0:1], 0, v21, vcc
	v_cndmask_b32_e32 v21, 0, v18, vcc
	v_add_f64 v[18:19], v[22:23], -v[20:21]
	v_add_f64 v[20:21], v[18:19], v[16:17]
	s_mov_b32 s0, 0x54442d18
	v_add_f64 v[18:19], v[20:21], -v[18:19]
	s_mov_b32 s1, 0x3ff921fb
	v_add_f64 v[16:17], v[16:17], -v[18:19]
	v_mul_f64 v[18:19], v[20:21], s[0:1]
	v_fma_f64 v[22:23], v[20:21], s[0:1], -v[18:19]
	s_mov_b32 s5, 0x3c91a626
	v_fmac_f64_e32 v[22:23], s[4:5], v[20:21]
	v_fmac_f64_e32 v[22:23], s[0:1], v[16:17]
	v_add_f64 v[16:17], v[18:19], v[22:23]
	v_add_f64 v[18:19], v[16:17], -v[18:19]
	v_add_f64 v[18:19], v[22:23], -v[18:19]
	s_andn2_saveexec_b64 s[0:1], s[2:3]
	s_cbranch_execnz .LBB129_193
	s_branch .LBB129_194
.LBB129_192:
	s_andn2_saveexec_b64 s[0:1], s[2:3]
	s_cbranch_execz .LBB129_194
.LBB129_193:
	s_mov_b32 s2, 0x6dc9c883
	s_mov_b32 s3, 0x3fe45f30
	v_mul_f64 v[16:17], |v[2:3]|, s[2:3]
	s_mov_b32 s2, 0x54442d18
	v_rndne_f64_e32 v[20:21], v[16:17]
	s_mov_b32 s3, 0xbff921fb
	v_fma_f64 v[16:17], v[20:21], s[2:3], |v[2:3]|
	s_mov_b32 s3, 0xbc91a626
	s_mov_b32 s2, 0x33145c00
	v_mul_f64 v[22:23], v[20:21], s[2:3]
	v_add_f64 v[28:29], v[16:17], v[22:23]
	v_fma_f64 v[18:19], s[2:3], v[20:21], v[16:17]
	s_mov_b32 s3, 0x3c91a626
	v_add_f64 v[16:17], v[16:17], -v[28:29]
	v_fma_f64 v[24:25], s[2:3], v[20:21], v[22:23]
	v_add_f64 v[16:17], v[16:17], v[22:23]
	v_add_f64 v[22:23], v[28:29], -v[18:19]
	v_add_f64 v[16:17], v[22:23], v[16:17]
	s_mov_b32 s2, 0x252049c0
	v_add_f64 v[22:23], v[16:17], -v[24:25]
	s_mov_b32 s3, 0xb97b839a
	v_fmac_f64_e32 v[22:23], s[2:3], v[20:21]
	v_add_f64 v[16:17], v[18:19], v[22:23]
	v_add_f64 v[18:19], v[16:17], -v[18:19]
	v_add_f64 v[18:19], v[22:23], -v[18:19]
	v_cvt_i32_f64_e32 v28, v[20:21]
.LBB129_194:
	s_or_b64 exec, exec, s[0:1]
	s_mov_b32 s0, 0x652b82fe
	s_mov_b32 s1, 0x3ff71547
	v_mul_f64 v[20:21], v[0:1], s[0:1]
	v_rndne_f64_e32 v[24:25], v[20:21]
	s_mov_b32 s9, 0xbfe62e42
	s_mov_b32 s8, 0xfefa39ef
	;; [unrolled: 1-line block ×3, first 2 shown]
	v_fma_f64 v[22:23], s[8:9], v[24:25], v[0:1]
	s_mov_b32 s1, 0xbc7abc9e
	v_fmac_f64_e32 v[22:23], s[0:1], v[24:25]
	s_mov_b32 s0, 0x6a5dcb37
	v_mov_b32_e32 v20, 0xfca7ab0c
	v_mov_b32_e32 v21, 0x3e928af3
	s_mov_b32 s1, 0x3e5ade15
	v_fmac_f64_e32 v[20:21], s[0:1], v[22:23]
	v_mov_b32_e32 v30, 0x623fde64
	v_mov_b32_e32 v31, 0x3ec71dee
	v_fmac_f64_e32 v[30:31], v[22:23], v[20:21]
	v_mov_b32_e32 v20, 0x7c89e6b0
	v_mov_b32_e32 v21, 0x3efa0199
	;; [unrolled: 3-line block ×3, first 2 shown]
	v_mov_b64_e32 v[32:33], v[30:31]
	v_mov_b32_e32 v34, 0x1852b7b0
	v_mov_b32_e32 v35, 0x3f56c16c
	v_fmac_f64_e32 v[32:33], v[22:23], v[20:21]
	v_mov_b64_e32 v[20:21], v[34:35]
	v_fmac_f64_e32 v[20:21], v[22:23], v[32:33]
	v_mov_b32_e32 v32, 0x11122322
	v_mov_b32_e32 v33, 0x3f811111
	v_mov_b64_e32 v[36:37], v[32:33]
	v_mov_b32_e32 v38, 0x555502a1
	v_mov_b32_e32 v39, 0x3fa55555
	v_fmac_f64_e32 v[36:37], v[22:23], v[20:21]
	v_mov_b64_e32 v[20:21], v[38:39]
	v_fmac_f64_e32 v[20:21], v[22:23], v[36:37]
	v_mov_b32_e32 v36, 0x55555511
	v_mov_b32_e32 v37, 0x3fc55555
	v_mov_b64_e32 v[40:41], v[36:37]
	v_fmac_f64_e32 v[40:41], v[22:23], v[20:21]
	v_mov_b32_e32 v20, 11
	v_mov_b32_e32 v21, 0x3fe00000
	v_fmac_f64_e32 v[20:21], v[22:23], v[40:41]
	v_fma_f64 v[20:21], v[22:23], v[20:21], 1.0
	s_mov_b32 s6, 0
	s_mov_b32 s0, 0
	v_fma_f64 v[20:21], v[22:23], v[20:21], 1.0
	v_cvt_i32_f64_e32 v29, v[24:25]
	s_mov_b32 s7, 0x40900000
	s_mov_b32 s1, 0xc090cc00
	v_ldexp_f64 v[20:21], v[20:21], v29
	v_mov_b32_e32 v44, 0x7ff00000
	v_cmp_nlt_f64_e32 vcc, s[6:7], v[0:1]
	v_cmp_ngt_f64_e64 s[0:1], s[0:1], v[0:1]
	v_ldexp_f64 v[40:41], 1.0, v29
	v_cndmask_b32_e32 v21, v44, v21, vcc
	s_and_b64 vcc, s[0:1], vcc
	v_cndmask_b32_e64 v21, 0, v21, s[0:1]
	v_cndmask_b32_e32 v20, 0, v20, vcc
	v_mov_b32_e32 v29, 0x7fe00000
	v_cmp_eq_f64_e32 vcc, s[6:7], v[24:25]
	s_mov_b32 s0, 0xa9d67f34
	s_mov_b32 s1, 0x3e21f32e
	v_cndmask_b32_e32 v25, v41, v29, vcc
	v_cndmask_b32_e64 v24, v40, 0, vcc
	v_mov_b32_e32 v40, 0x2a1b768b
	v_mov_b32_e32 v41, 0x3e5af4eb
	v_fmac_f64_e32 v[40:41], s[0:1], v[22:23]
	v_mov_b32_e32 v42, 0xe0ac05b
	v_mov_b32_e32 v43, 0x3e927e50
	v_fmac_f64_e32 v[42:43], v[22:23], v[40:41]
	;; [unrolled: 3-line block ×4, first 2 shown]
	v_mov_b32_e32 v30, 0x1ac1a723
	v_fmac_f64_e32 v[30:31], v[22:23], v[42:43]
	v_mov_b32_e32 v34, 0x16c18931
	v_fmac_f64_e32 v[34:35], v[22:23], v[30:31]
	;; [unrolled: 2-line block ×5, first 2 shown]
	v_fma_f64 v[30:31], v[22:23], v[36:37], 0.5
	v_mul_f64 v[30:31], v[22:23], v[30:31]
	v_fmac_f64_e32 v[22:23], v[22:23], v[30:31]
	v_add_f64 v[30:31], v[24:25], -1.0
	v_fmac_f64_e32 v[30:31], v[24:25], v[22:23]
	v_add_f64 v[22:23], v[30:31], v[30:31]
	s_mov_b32 s9, 0x40862e42
	s_mov_b32 s0, 0
	v_cndmask_b32_e32 v22, v30, v22, vcc
	v_cndmask_b32_e32 v23, v31, v23, vcc
	v_cmp_nlt_f64_e32 vcc, s[8:9], v[0:1]
	s_mov_b32 s1, 0xc0428000
	v_mov_b32_e32 v24, 0xbff00000
	v_cndmask_b32_e32 v23, v44, v23, vcc
	v_cmp_ngt_f64_e64 s[0:1], s[0:1], v[0:1]
	s_and_b64 vcc, s[0:1], vcc
	s_mov_b32 s8, 0x46cc5e42
	v_cndmask_b32_e64 v1, v24, v23, s[0:1]
	s_mov_b32 s0, 0x9037ab78
	s_mov_b32 s1, 0x3e21eeb6
	v_cndmask_b32_e32 v0, 0, v22, vcc
	v_mul_f64 v[24:25], v[12:13], v[12:13]
	s_mov_b32 s9, 0xbda907db
	v_mov_b64_e32 v[22:23], s[0:1]
	s_mov_b32 s10, 0xa17f65f6
	s_mov_b32 s6, 0x19f4ec90
	v_mul_f64 v[30:31], v[24:25], 0.5
	v_fma_f64 v[36:37], s[8:9], v[24:25], v[22:23]
	s_mov_b32 s11, 0xbe927e4f
	s_mov_b32 s7, 0x3efa01a0
	v_add_f64 v[32:33], -v[30:31], 1.0
	v_fma_f64 v[36:37], v[24:25], v[36:37], s[10:11]
	s_mov_b32 s12, 0x16c16967
	s_mov_b32 s4, 0x55555555
	v_fma_f64 v[36:37], v[24:25], v[36:37], s[6:7]
	s_mov_b32 s13, 0xbf56c16c
	v_add_f64 v[38:39], -v[32:33], 1.0
	s_mov_b32 s5, 0x3fa55555
	v_fma_f64 v[36:37], v[24:25], v[36:37], s[12:13]
	v_add_f64 v[30:31], v[38:39], -v[30:31]
	s_mov_b32 s0, 0xb42fdfa7
	v_mul_f64 v[34:35], v[24:25], v[24:25]
	v_fma_f64 v[36:37], v[24:25], v[36:37], s[4:5]
	v_fma_f64 v[30:31], v[12:13], -v[14:15], v[30:31]
	s_mov_b32 s1, 0xbe5ae600
	s_mov_b32 s14, 0xf9a43bb8
	v_fmac_f64_e32 v[30:31], v[34:35], v[36:37]
	s_mov_b32 s15, 0x3de5e0b2
	v_mov_b64_e32 v[34:35], s[0:1]
	s_mov_b32 s28, 0x796cde01
	v_fma_f64 v[36:37], s[14:15], v[24:25], v[34:35]
	s_mov_b32 s29, 0x3ec71de3
	s_mov_b32 s30, 0x19e83e5c
	;; [unrolled: 1-line block ×3, first 2 shown]
	v_fma_f64 v[36:37], v[24:25], v[36:37], s[28:29]
	s_mov_b32 s31, 0xbf2a01a0
	s_mov_b32 s3, 0x3f811111
	v_fma_f64 v[36:37], v[24:25], v[36:37], s[30:31]
	v_add_f64 v[30:31], v[32:33], v[30:31]
	v_mul_f64 v[32:33], v[12:13], -v[24:25]
	v_fma_f64 v[36:37], v[24:25], v[36:37], s[2:3]
	v_mul_f64 v[38:39], v[14:15], 0.5
	v_fmac_f64_e32 v[38:39], v[32:33], v[36:37]
	v_fma_f64 v[14:15], v[24:25], v[38:39], -v[14:15]
	s_mov_b32 s51, 0xbfc55555
	s_mov_b32 s50, s4
	v_fmac_f64_e32 v[14:15], s[50:51], v[32:33]
	v_and_b32_e32 v29, 1, v27
	v_add_f64 v[12:13], v[12:13], -v[14:15]
	v_xor_b32_e32 v13, 0x80000000, v13
	v_cmp_eq_u32_e32 vcc, 0, v29
	s_brev_b32 s53, 1
	v_lshlrev_b32_e32 v14, 30, v27
	v_cndmask_b32_e32 v13, v13, v31, vcc
	v_bitop3_b32 v13, v13, v14, s53 bitop3:0x78
	v_mul_f64 v[14:15], v[8:9], v[8:9]
	v_cndmask_b32_e32 v12, v12, v30, vcc
	v_fma_f64 v[30:31], s[14:15], v[14:15], v[34:35]
	v_fma_f64 v[30:31], v[14:15], v[30:31], s[28:29]
	;; [unrolled: 1-line block ×3, first 2 shown]
	v_mul_f64 v[24:25], v[8:9], -v[14:15]
	v_fma_f64 v[30:31], v[14:15], v[30:31], s[2:3]
	v_mul_f64 v[32:33], v[10:11], 0.5
	v_fmac_f64_e32 v[32:33], v[24:25], v[30:31]
	v_fma_f64 v[30:31], v[14:15], v[32:33], -v[10:11]
	v_fma_f64 v[38:39], s[8:9], v[14:15], v[22:23]
	v_fmac_f64_e32 v[30:31], s[50:51], v[24:25]
	v_fma_f64 v[38:39], v[14:15], v[38:39], s[10:11]
	v_add_f64 v[24:25], v[8:9], -v[30:31]
	v_mul_f64 v[30:31], v[14:15], 0.5
	v_fma_f64 v[38:39], v[14:15], v[38:39], s[6:7]
	v_add_f64 v[32:33], -v[30:31], 1.0
	v_fma_f64 v[38:39], v[14:15], v[38:39], s[12:13]
	v_mul_f64 v[36:37], v[14:15], v[14:15]
	v_fma_f64 v[14:15], v[14:15], v[38:39], s[4:5]
	v_add_f64 v[38:39], -v[32:33], 1.0
	v_add_f64 v[30:31], v[38:39], -v[30:31]
	s_movk_i32 s52, 0x1f8
	v_fma_f64 v[8:9], v[8:9], -v[10:11], v[30:31]
	v_cmp_class_f64_e64 vcc, v[2:3], s52
	v_and_b32_e32 v2, 1, v5
	v_fmac_f64_e32 v[8:9], v[36:37], v[14:15]
	v_add_f64 v[8:9], v[32:33], v[8:9]
	v_cmp_eq_u32_e64 s[0:1], 0, v2
	v_lshlrev_b32_e32 v5, 30, v5
	v_xor_b32_e32 v5, v5, v7
	v_cndmask_b32_e64 v2, v8, v24, s[0:1]
	v_cndmask_b32_e64 v8, v9, v25, s[0:1]
	v_mov_b32_e32 v27, 0x7ff80000
	v_bitop3_b32 v5, v8, v5, s53 bitop3:0x78
	v_cmp_class_f64_e64 s[0:1], v[6:7], s52
	v_cndmask_b32_e32 v12, 0, v12, vcc
	v_cndmask_b32_e32 v13, v27, v13, vcc
	v_cndmask_b32_e64 v6, 0, v2, s[0:1]
	v_cndmask_b32_e64 v7, v27, v5, s[0:1]
	v_add_f64 v[8:9], v[6:7], v[6:7]
	v_mul_f64 v[6:7], v[8:9], v[6:7]
	v_fma_f64 v[0:1], v[0:1], v[12:13], -v[6:7]
	v_mul_f64 v[6:7], v[16:17], v[16:17]
	v_mul_f64 v[8:9], v[6:7], 0.5
	v_fmac_f64_e32 v[22:23], s[8:9], v[6:7]
	v_add_f64 v[10:11], -v[8:9], 1.0
	v_fma_f64 v[14:15], v[6:7], v[22:23], s[10:11]
	v_add_f64 v[12:13], -v[10:11], 1.0
	v_fma_f64 v[14:15], v[6:7], v[14:15], s[6:7]
	v_add_f64 v[8:9], v[12:13], -v[8:9]
	v_fma_f64 v[14:15], v[6:7], v[14:15], s[12:13]
	v_mul_f64 v[12:13], v[6:7], v[6:7]
	v_fma_f64 v[14:15], v[6:7], v[14:15], s[4:5]
	v_fma_f64 v[8:9], v[16:17], -v[18:19], v[8:9]
	v_fmac_f64_e32 v[8:9], v[12:13], v[14:15]
	v_fmac_f64_e32 v[34:35], s[14:15], v[6:7]
	v_add_f64 v[8:9], v[10:11], v[8:9]
	v_fma_f64 v[10:11], v[6:7], v[34:35], s[28:29]
	v_fma_f64 v[10:11], v[6:7], v[10:11], s[30:31]
	;; [unrolled: 1-line block ×3, first 2 shown]
	v_mul_f64 v[12:13], v[16:17], -v[6:7]
	v_mul_f64 v[14:15], v[18:19], 0.5
	v_fmac_f64_e32 v[14:15], v[12:13], v[10:11]
	v_fma_f64 v[6:7], v[6:7], v[14:15], -v[18:19]
	v_fmac_f64_e32 v[6:7], s[50:51], v[12:13]
	v_and_b32_e32 v2, 1, v28
	v_add_f64 v[6:7], v[16:17], -v[6:7]
	v_cmp_eq_u32_e64 s[0:1], 0, v2
	v_add_u32_e32 v26, 0x80, v26
	s_nop 0
	v_cndmask_b32_e64 v2, v8, v6, s[0:1]
	v_lshlrev_b32_e32 v6, 30, v28
	v_cndmask_b32_e64 v5, v9, v7, s[0:1]
	v_xor_b32_e32 v3, v6, v3
	v_bitop3_b32 v3, v5, v3, s53 bitop3:0x78
	v_cndmask_b32_e32 v2, 0, v2, vcc
	v_cndmask_b32_e32 v3, v27, v3, vcc
	v_mul_f64 v[2:3], v[20:21], v[2:3]
	global_store_dwordx4 v4, v[0:3], s[16:17]
.LBB129_195:
	s_or_b64 exec, exec, s[48:49]
	v_cmp_gt_i32_e32 vcc, s55, v26
	s_mov_b64 s[2:3], 0
                                        ; implicit-def: $vgpr8_vgpr9
                                        ; implicit-def: $vgpr24_vgpr25
	s_and_saveexec_b64 s[48:49], vcc
	s_cbranch_execz .LBB129_224
; %bb.196:
	s_andn2_b64 vcc, exec, s[36:37]
	s_cbranch_vccnz .LBB129_202
; %bb.197:
	s_andn2_b64 vcc, exec, s[46:47]
	s_cbranch_vccnz .LBB129_203
; %bb.198:
	s_add_i32 s56, s56, 1
	s_cmp_eq_u32 s54, 2
	s_cbranch_scc1 .LBB129_204
; %bb.199:
	s_and_b32 s50, s56, 28
	s_mov_b32 s51, 0
	v_mov_b32_e32 v4, 0
	v_mov_b32_e32 v0, 0
	s_mov_b64 s[46:47], s[34:35]
	v_mov_b32_e32 v2, v26
.LBB129_200:                            ; =>This Inner Loop Header: Depth=1
	s_load_dwordx8 s[8:15], s[46:47], 0x4
	s_load_dwordx4 s[28:31], s[46:47], 0x24
	s_load_dwordx8 s[0:7], s[44:45], 0x0
	s_add_u32 s46, s46, 48
	s_addc_u32 s47, s47, 0
	s_waitcnt lgkmcnt(0)
	v_mul_hi_u32 v1, s9, v2
	v_add_u32_e32 v1, v2, v1
	v_lshrrev_b32_e32 v1, s10, v1
	v_mul_lo_u32 v3, v1, s8
	v_mul_hi_u32 v5, s12, v1
	v_sub_u32_e32 v2, v2, v3
	v_add_u32_e32 v3, v1, v5
	v_lshrrev_b32_e32 v3, s13, v3
	v_mul_lo_u32 v6, v3, s11
	v_mul_hi_u32 v7, s15, v3
	v_sub_u32_e32 v1, v1, v6
	v_add_u32_e32 v6, v3, v7
	v_mul_lo_u32 v5, v2, s1
	v_mul_lo_u32 v2, v2, s0
	;; [unrolled: 1-line block ×4, first 2 shown]
	v_lshrrev_b32_e32 v6, s28, v6
	v_add3_u32 v1, v2, v4, v1
	v_mul_lo_u32 v2, v6, s14
	v_mul_hi_u32 v4, s30, v6
	v_sub_u32_e32 v2, v3, v2
	v_add_u32_e32 v3, v6, v4
	v_add3_u32 v0, v5, v0, v7
	v_mul_lo_u32 v4, v2, s4
	v_mul_lo_u32 v5, v2, s5
	v_lshrrev_b32_e32 v2, s31, v3
	s_add_i32 s51, s51, 4
	v_mul_lo_u32 v3, v2, s29
	s_add_u32 s44, s44, 32
	v_sub_u32_e32 v3, v6, v3
	s_addc_u32 s45, s45, 0
	v_mul_lo_u32 v6, v3, s6
	v_mul_lo_u32 v3, v3, s7
	s_cmp_eq_u32 s50, s51
	v_add3_u32 v0, v5, v0, v3
	v_add3_u32 v4, v4, v1, v6
	s_cbranch_scc0 .LBB129_200
; %bb.201:
	v_mov_b32_e32 v1, v0
	s_branch .LBB129_205
.LBB129_202:
                                        ; implicit-def: $vgpr0
                                        ; implicit-def: $vgpr4
	s_branch .LBB129_209
.LBB129_203:
	v_mov_b32_e32 v0, 0
	v_mov_b32_e32 v4, 0
	s_branch .LBB129_208
.LBB129_204:
	v_mov_b32_e32 v4, 0
	s_mov_b32 s50, 0
	v_mov_b32_e32 v1, v4
                                        ; implicit-def: $vgpr0
	v_mov_b32_e32 v2, v26
.LBB129_205:
	s_and_b32 s4, s56, 3
	s_cmp_eq_u32 s4, 0
	s_cbranch_scc1 .LBB129_208
; %bb.206:
	s_lshl_b32 s0, s50, 3
	s_add_u32 s0, s34, s0
	s_addc_u32 s1, s35, 0
	s_add_u32 s0, s0, 0xc4
	s_addc_u32 s1, s1, 0
	s_mul_i32 s2, s50, 12
	s_add_u32 s2, s34, s2
	s_addc_u32 s3, s35, 0
.LBB129_207:                            ; =>This Inner Loop Header: Depth=1
	s_load_dwordx2 s[6:7], s[2:3], 0x4
	s_load_dword s5, s[2:3], 0xc
	s_load_dwordx2 s[8:9], s[0:1], 0x0
	v_mov_b32_e32 v0, v1
	s_add_u32 s2, s2, 12
	s_waitcnt lgkmcnt(0)
	v_mul_hi_u32 v1, s7, v2
	v_add_u32_e32 v1, v2, v1
	v_lshrrev_b32_e32 v1, s5, v1
	s_addc_u32 s3, s3, 0
	v_mul_lo_u32 v3, v1, s6
	s_add_u32 s0, s0, 8
	v_sub_u32_e32 v3, v2, v3
	s_addc_u32 s1, s1, 0
	s_add_i32 s4, s4, -1
	v_mov_b32_e32 v2, v1
	v_mad_u64_u32 v[0:1], s[6:7], v3, s9, v[0:1]
	s_cmp_lg_u32 s4, 0
	v_mad_u64_u32 v[4:5], s[6:7], v3, s8, v[4:5]
	v_mov_b32_e32 v1, v0
	s_cbranch_scc1 .LBB129_207
.LBB129_208:
	s_cbranch_execnz .LBB129_211
.LBB129_209:
	s_waitcnt lgkmcnt(0)
	v_mul_hi_u32 v0, s25, v26
	v_add_u32_e32 v0, v26, v0
	v_lshrrev_b32_e32 v1, s26, v0
	v_mul_lo_u32 v0, v1, s24
	v_sub_u32_e32 v2, v26, v0
	v_mul_lo_u32 v0, v2, s21
	s_andn2_b64 vcc, exec, s[42:43]
	v_mul_lo_u32 v4, v2, s20
	s_cbranch_vccnz .LBB129_211
; %bb.210:
	v_mul_hi_u32 v2, s40, v1
	v_add_u32_e32 v2, v1, v2
	v_lshrrev_b32_e32 v2, s41, v2
	v_mul_lo_u32 v2, v2, s27
	v_sub_u32_e32 v1, v1, v2
	v_mad_u64_u32 v[4:5], s[0:1], v1, s22, v[4:5]
	v_mad_u64_u32 v[0:1], s[0:1], v1, s23, v[0:1]
.LBB129_211:
	s_waitcnt lgkmcnt(0)
	global_load_dwordx4 v[0:3], v0, s[18:19]
	s_mov_b32 s0, 0
	s_mov_b32 s1, 0x41d00000
                                        ; implicit-def: $vgpr26
                                        ; implicit-def: $vgpr8_vgpr9
                                        ; implicit-def: $vgpr10_vgpr11
	s_waitcnt vmcnt(0)
	v_mul_f64 v[6:7], v[2:3], 0.5
	v_cmp_nlt_f64_e64 s[0:1], |v[6:7]|, s[0:1]
	s_and_saveexec_b64 s[2:3], s[0:1]
	s_xor_b64 s[2:3], exec, s[2:3]
	s_cbranch_execz .LBB129_213
; %bb.212:
	s_mov_b32 s0, 0
	s_mov_b32 s1, 0x7b000000
	s_movk_i32 s4, 0xff80
	v_and_b32_e32 v5, 0x7fffffff, v7
	v_ldexp_f64 v[12:13], |v[6:7]|, s4
	v_cmp_ge_f64_e64 vcc, |v[6:7]|, s[0:1]
	v_trig_preop_f64 v[8:9], |v[6:7]|, 0
	v_trig_preop_f64 v[10:11], |v[6:7]|, 1
	v_cndmask_b32_e32 v13, v5, v13, vcc
	v_cndmask_b32_e32 v12, v6, v12, vcc
	v_mul_f64 v[16:17], v[8:9], v[12:13]
	v_mul_f64 v[14:15], v[10:11], v[12:13]
	v_fma_f64 v[8:9], v[8:9], v[12:13], -v[16:17]
	v_add_f64 v[18:19], v[14:15], v[8:9]
	v_add_f64 v[26:27], v[18:19], -v[14:15]
	v_add_f64 v[8:9], v[8:9], -v[26:27]
	;; [unrolled: 1-line block ×4, first 2 shown]
	v_fma_f64 v[10:11], v[10:11], v[12:13], -v[14:15]
	v_trig_preop_f64 v[14:15], |v[6:7]|, 2
	v_add_f64 v[8:9], v[8:9], v[26:27]
	v_mul_f64 v[26:27], v[14:15], v[12:13]
	v_add_f64 v[28:29], v[26:27], v[10:11]
	v_add_f64 v[20:21], v[16:17], v[18:19]
	;; [unrolled: 1-line block ×3, first 2 shown]
	v_ldexp_f64 v[22:23], v[20:21], -2
	v_add_f64 v[16:17], v[20:21], -v[16:17]
	v_add_f64 v[20:21], v[30:31], -v[28:29]
	;; [unrolled: 1-line block ×5, first 2 shown]
	v_add_f64 v[8:9], v[8:9], v[20:21]
	v_add_f64 v[20:21], v[28:29], -v[26:27]
	v_add_f64 v[10:11], v[10:11], -v[20:21]
	;; [unrolled: 1-line block ×4, first 2 shown]
	v_add_f64 v[10:11], v[10:11], v[20:21]
	s_mov_b32 s0, 0
	v_fract_f64_e32 v[24:25], v[22:23]
	v_add_f64 v[8:9], v[10:11], v[8:9]
	v_fma_f64 v[10:11], v[14:15], v[12:13], -v[26:27]
	s_mov_b32 s1, 0x7ff00000
	v_add_f64 v[16:17], v[18:19], -v[16:17]
	v_add_f64 v[8:9], v[10:11], v[8:9]
	v_ldexp_f64 v[10:11], v[24:25], 2
	v_cmp_neq_f64_e64 vcc, |v[22:23]|, s[0:1]
	v_add_f64 v[18:19], v[16:17], v[30:31]
	v_mov_b32_e32 v5, 0x40100000
	v_cndmask_b32_e32 v11, 0, v11, vcc
	v_cndmask_b32_e32 v10, 0, v10, vcc
	v_add_f64 v[12:13], v[18:19], v[10:11]
	v_cmp_gt_f64_e32 vcc, 0, v[12:13]
	v_mov_b32_e32 v12, 0
	v_add_f64 v[16:17], v[18:19], -v[16:17]
	v_cndmask_b32_e32 v13, 0, v5, vcc
	v_add_f64 v[10:11], v[10:11], v[12:13]
	v_add_f64 v[14:15], v[18:19], v[10:11]
	v_cvt_i32_f64_e32 v5, v[14:15]
	v_cvt_f64_i32_e32 v[14:15], v5
	v_add_f64 v[10:11], v[10:11], -v[14:15]
	v_add_f64 v[14:15], v[18:19], v[10:11]
	v_cmp_le_f64_e32 vcc, 0.5, v[14:15]
	v_add_f64 v[16:17], v[30:31], -v[16:17]
	v_add_f64 v[10:11], v[14:15], -v[10:11]
	v_addc_co_u32_e64 v26, s[0:1], 0, v5, vcc
	v_mov_b32_e32 v5, 0x3ff00000
	v_add_f64 v[8:9], v[16:17], v[8:9]
	v_add_f64 v[10:11], v[18:19], -v[10:11]
	v_cndmask_b32_e32 v13, 0, v5, vcc
	v_add_f64 v[8:9], v[8:9], v[10:11]
	v_add_f64 v[10:11], v[14:15], -v[12:13]
	v_add_f64 v[12:13], v[10:11], v[8:9]
	s_mov_b32 s0, 0x54442d18
	v_add_f64 v[10:11], v[12:13], -v[10:11]
	s_mov_b32 s1, 0x3ff921fb
	v_add_f64 v[8:9], v[8:9], -v[10:11]
	v_mul_f64 v[10:11], v[12:13], s[0:1]
	s_mov_b32 s4, 0x33145c07
	v_fma_f64 v[14:15], v[12:13], s[0:1], -v[10:11]
	s_mov_b32 s5, 0x3c91a626
	v_fmac_f64_e32 v[14:15], s[4:5], v[12:13]
	v_fmac_f64_e32 v[14:15], s[0:1], v[8:9]
	v_add_f64 v[8:9], v[10:11], v[14:15]
	v_add_f64 v[10:11], v[8:9], -v[10:11]
	v_add_f64 v[10:11], v[14:15], -v[10:11]
.LBB129_213:
	s_andn2_saveexec_b64 s[0:1], s[2:3]
	s_cbranch_execz .LBB129_215
; %bb.214:
	s_mov_b32 s2, 0x6dc9c883
	s_mov_b32 s3, 0x3fe45f30
	v_mul_f64 v[8:9], |v[6:7]|, s[2:3]
	s_mov_b32 s2, 0x54442d18
	v_rndne_f64_e32 v[12:13], v[8:9]
	s_mov_b32 s3, 0xbff921fb
	v_fma_f64 v[8:9], v[12:13], s[2:3], |v[6:7]|
	s_mov_b32 s3, 0xbc91a626
	s_mov_b32 s2, 0x33145c00
	v_mul_f64 v[14:15], v[12:13], s[2:3]
	v_add_f64 v[18:19], v[8:9], v[14:15]
	v_fma_f64 v[10:11], s[2:3], v[12:13], v[8:9]
	s_mov_b32 s3, 0x3c91a626
	v_add_f64 v[8:9], v[8:9], -v[18:19]
	v_fma_f64 v[16:17], s[2:3], v[12:13], v[14:15]
	v_add_f64 v[8:9], v[8:9], v[14:15]
	v_add_f64 v[14:15], v[18:19], -v[10:11]
	v_add_f64 v[8:9], v[14:15], v[8:9]
	s_mov_b32 s2, 0x252049c0
	v_add_f64 v[14:15], v[8:9], -v[16:17]
	s_mov_b32 s3, 0xb97b839a
	v_fmac_f64_e32 v[14:15], s[2:3], v[12:13]
	v_add_f64 v[8:9], v[10:11], v[14:15]
	v_add_f64 v[10:11], v[8:9], -v[10:11]
	v_add_f64 v[10:11], v[14:15], -v[10:11]
	v_cvt_i32_f64_e32 v26, v[12:13]
.LBB129_215:
	s_or_b64 exec, exec, s[0:1]
	s_mov_b32 s0, 0
	s_mov_b32 s1, 0x41d00000
	v_cmp_nlt_f64_e64 s[2:3], |v[2:3]|, s[0:1]
	v_trig_preop_f64 v[24:25], |v[2:3]|, 0
	v_trig_preop_f64 v[22:23], |v[2:3]|, 1
	v_trig_preop_f64 v[20:21], |v[2:3]|, 2
                                        ; implicit-def: $vgpr27
                                        ; implicit-def: $vgpr12_vgpr13
                                        ; implicit-def: $vgpr14_vgpr15
	s_and_saveexec_b64 s[0:1], s[2:3]
	s_xor_b64 s[4:5], exec, s[0:1]
	s_cbranch_execz .LBB129_217
; %bb.216:
	s_mov_b32 s0, 0
	s_mov_b32 s1, 0x7b000000
	s_movk_i32 s6, 0xff80
	v_and_b32_e32 v5, 0x7fffffff, v3
	v_ldexp_f64 v[12:13], |v[2:3]|, s6
	v_cmp_ge_f64_e64 vcc, |v[2:3]|, s[0:1]
	s_mov_b32 s0, 0
	s_mov_b32 s1, 0x7ff00000
	v_cndmask_b32_e32 v13, v5, v13, vcc
	v_cndmask_b32_e32 v12, v2, v12, vcc
	v_mul_f64 v[16:17], v[24:25], v[12:13]
	v_mul_f64 v[14:15], v[22:23], v[12:13]
	v_fma_f64 v[18:19], v[24:25], v[12:13], -v[16:17]
	v_add_f64 v[28:29], v[14:15], v[18:19]
	v_add_f64 v[36:37], v[28:29], -v[14:15]
	v_add_f64 v[18:19], v[18:19], -v[36:37]
	;; [unrolled: 1-line block ×4, first 2 shown]
	v_add_f64 v[18:19], v[18:19], v[36:37]
	v_fma_f64 v[14:15], v[22:23], v[12:13], -v[14:15]
	v_mul_f64 v[36:37], v[20:21], v[12:13]
	v_add_f64 v[38:39], v[36:37], v[14:15]
	v_add_f64 v[30:31], v[16:17], v[28:29]
	v_add_f64 v[40:41], v[38:39], v[18:19]
	v_ldexp_f64 v[32:33], v[30:31], -2
	v_add_f64 v[16:17], v[30:31], -v[16:17]
	v_add_f64 v[30:31], v[40:41], -v[38:39]
	;; [unrolled: 1-line block ×5, first 2 shown]
	v_add_f64 v[18:19], v[18:19], v[30:31]
	v_add_f64 v[30:31], v[38:39], -v[36:37]
	v_add_f64 v[14:15], v[14:15], -v[30:31]
	;; [unrolled: 1-line block ×5, first 2 shown]
	v_add_f64 v[14:15], v[14:15], v[30:31]
	v_fract_f64_e32 v[34:35], v[32:33]
	v_add_f64 v[28:29], v[16:17], v[40:41]
	v_add_f64 v[14:15], v[14:15], v[18:19]
	v_fma_f64 v[12:13], v[20:21], v[12:13], -v[36:37]
	v_add_f64 v[16:17], v[28:29], -v[16:17]
	v_add_f64 v[12:13], v[12:13], v[14:15]
	v_ldexp_f64 v[14:15], v[34:35], 2
	v_cmp_neq_f64_e64 vcc, |v[32:33]|, s[0:1]
	v_add_f64 v[16:17], v[40:41], -v[16:17]
	v_add_f64 v[12:13], v[16:17], v[12:13]
	v_cndmask_b32_e32 v15, 0, v15, vcc
	v_cndmask_b32_e32 v14, 0, v14, vcc
	v_add_f64 v[16:17], v[28:29], v[14:15]
	v_mov_b32_e32 v5, 0x40100000
	v_cmp_gt_f64_e32 vcc, 0, v[16:17]
	v_mov_b32_e32 v16, 0
	s_mov_b32 s6, 0x33145c07
	v_cndmask_b32_e32 v17, 0, v5, vcc
	v_add_f64 v[14:15], v[14:15], v[16:17]
	v_add_f64 v[18:19], v[28:29], v[14:15]
	v_cvt_i32_f64_e32 v5, v[18:19]
	v_cvt_f64_i32_e32 v[18:19], v5
	v_add_f64 v[14:15], v[14:15], -v[18:19]
	v_add_f64 v[18:19], v[28:29], v[14:15]
	v_cmp_le_f64_e32 vcc, 0.5, v[18:19]
	v_add_f64 v[14:15], v[18:19], -v[14:15]
	v_add_f64 v[14:15], v[28:29], -v[14:15]
	v_addc_co_u32_e64 v27, s[0:1], 0, v5, vcc
	v_mov_b32_e32 v5, 0x3ff00000
	v_cndmask_b32_e32 v17, 0, v5, vcc
	v_add_f64 v[12:13], v[12:13], v[14:15]
	v_add_f64 v[14:15], v[18:19], -v[16:17]
	v_add_f64 v[16:17], v[14:15], v[12:13]
	s_mov_b32 s0, 0x54442d18
	v_add_f64 v[14:15], v[16:17], -v[14:15]
	s_mov_b32 s1, 0x3ff921fb
	v_add_f64 v[12:13], v[12:13], -v[14:15]
	v_mul_f64 v[14:15], v[16:17], s[0:1]
	v_fma_f64 v[18:19], v[16:17], s[0:1], -v[14:15]
	s_mov_b32 s7, 0x3c91a626
	v_fmac_f64_e32 v[18:19], s[6:7], v[16:17]
	v_fmac_f64_e32 v[18:19], s[0:1], v[12:13]
	v_add_f64 v[12:13], v[14:15], v[18:19]
	v_add_f64 v[14:15], v[12:13], -v[14:15]
	v_add_f64 v[14:15], v[18:19], -v[14:15]
	s_andn2_saveexec_b64 s[0:1], s[4:5]
	s_cbranch_execz .LBB129_219
	s_branch .LBB129_218
.LBB129_217:
	s_andn2_saveexec_b64 s[0:1], s[4:5]
	s_cbranch_execz .LBB129_219
.LBB129_218:
	s_mov_b32 s4, 0x6dc9c883
	s_mov_b32 s5, 0x3fe45f30
	v_mul_f64 v[12:13], |v[2:3]|, s[4:5]
	s_mov_b32 s4, 0x54442d18
	v_rndne_f64_e32 v[16:17], v[12:13]
	s_mov_b32 s5, 0xbff921fb
	v_fma_f64 v[12:13], v[16:17], s[4:5], |v[2:3]|
	s_mov_b32 s5, 0xbc91a626
	s_mov_b32 s4, 0x33145c00
	v_mul_f64 v[18:19], v[16:17], s[4:5]
	v_add_f64 v[30:31], v[12:13], v[18:19]
	v_fma_f64 v[14:15], s[4:5], v[16:17], v[12:13]
	s_mov_b32 s5, 0x3c91a626
	v_add_f64 v[12:13], v[12:13], -v[30:31]
	v_fma_f64 v[28:29], s[4:5], v[16:17], v[18:19]
	v_add_f64 v[12:13], v[12:13], v[18:19]
	v_add_f64 v[18:19], v[30:31], -v[14:15]
	v_add_f64 v[12:13], v[18:19], v[12:13]
	s_mov_b32 s4, 0x252049c0
	v_add_f64 v[18:19], v[12:13], -v[28:29]
	s_mov_b32 s5, 0xb97b839a
	v_fmac_f64_e32 v[18:19], s[4:5], v[16:17]
	v_add_f64 v[12:13], v[14:15], v[18:19]
	v_add_f64 v[14:15], v[12:13], -v[14:15]
	v_add_f64 v[14:15], v[18:19], -v[14:15]
	v_cvt_i32_f64_e32 v27, v[16:17]
.LBB129_219:
	s_or_b64 exec, exec, s[0:1]
                                        ; implicit-def: $vgpr28
                                        ; implicit-def: $vgpr16_vgpr17
                                        ; implicit-def: $vgpr18_vgpr19
	s_and_saveexec_b64 s[0:1], s[2:3]
	s_xor_b64 s[2:3], exec, s[0:1]
	s_cbranch_execz .LBB129_221
; %bb.220:
	s_mov_b32 s0, 0
	s_mov_b32 s1, 0x7b000000
	s_movk_i32 s4, 0xff80
	v_and_b32_e32 v5, 0x7fffffff, v3
	v_ldexp_f64 v[16:17], |v[2:3]|, s4
	v_cmp_ge_f64_e64 vcc, |v[2:3]|, s[0:1]
	s_mov_b32 s0, 0
	s_mov_b32 s1, 0x7ff00000
	v_cndmask_b32_e32 v17, v5, v17, vcc
	v_cndmask_b32_e32 v16, v2, v16, vcc
	v_mul_f64 v[28:29], v[24:25], v[16:17]
	v_mul_f64 v[18:19], v[22:23], v[16:17]
	v_fma_f64 v[24:25], v[24:25], v[16:17], -v[28:29]
	v_add_f64 v[30:31], v[18:19], v[24:25]
	v_add_f64 v[38:39], v[30:31], -v[18:19]
	v_add_f64 v[24:25], v[24:25], -v[38:39]
	;; [unrolled: 1-line block ×4, first 2 shown]
	v_fma_f64 v[18:19], v[22:23], v[16:17], -v[18:19]
	v_mul_f64 v[22:23], v[20:21], v[16:17]
	v_add_f64 v[24:25], v[24:25], v[38:39]
	v_add_f64 v[38:39], v[22:23], v[18:19]
	;; [unrolled: 1-line block ×4, first 2 shown]
	v_ldexp_f64 v[34:35], v[32:33], -2
	v_add_f64 v[28:29], v[32:33], -v[28:29]
	v_add_f64 v[32:33], v[40:41], -v[38:39]
	;; [unrolled: 1-line block ×5, first 2 shown]
	v_add_f64 v[24:25], v[24:25], v[32:33]
	v_add_f64 v[32:33], v[38:39], -v[22:23]
	v_add_f64 v[18:19], v[18:19], -v[32:33]
	;; [unrolled: 1-line block ×4, first 2 shown]
	v_add_f64 v[18:19], v[18:19], v[32:33]
	v_fract_f64_e32 v[36:37], v[34:35]
	v_add_f64 v[18:19], v[18:19], v[24:25]
	v_fma_f64 v[16:17], v[20:21], v[16:17], -v[22:23]
	v_add_f64 v[28:29], v[30:31], -v[28:29]
	v_add_f64 v[16:17], v[16:17], v[18:19]
	v_ldexp_f64 v[18:19], v[36:37], 2
	v_cmp_neq_f64_e64 vcc, |v[34:35]|, s[0:1]
	v_add_f64 v[30:31], v[28:29], v[40:41]
	v_mov_b32_e32 v5, 0x40100000
	v_cndmask_b32_e32 v19, 0, v19, vcc
	v_cndmask_b32_e32 v18, 0, v18, vcc
	v_add_f64 v[20:21], v[30:31], v[18:19]
	v_cmp_gt_f64_e32 vcc, 0, v[20:21]
	v_mov_b32_e32 v20, 0
	v_add_f64 v[28:29], v[30:31], -v[28:29]
	v_cndmask_b32_e32 v21, 0, v5, vcc
	v_add_f64 v[18:19], v[18:19], v[20:21]
	v_add_f64 v[22:23], v[30:31], v[18:19]
	v_cvt_i32_f64_e32 v5, v[22:23]
	v_cvt_f64_i32_e32 v[22:23], v5
	v_add_f64 v[18:19], v[18:19], -v[22:23]
	v_add_f64 v[22:23], v[30:31], v[18:19]
	v_add_f64 v[28:29], v[40:41], -v[28:29]
	v_cmp_le_f64_e32 vcc, 0.5, v[22:23]
	v_add_f64 v[16:17], v[28:29], v[16:17]
	v_add_f64 v[18:19], v[22:23], -v[18:19]
	v_addc_co_u32_e64 v28, s[0:1], 0, v5, vcc
	v_mov_b32_e32 v5, 0x3ff00000
	v_add_f64 v[18:19], v[30:31], -v[18:19]
	v_cndmask_b32_e32 v21, 0, v5, vcc
	v_add_f64 v[16:17], v[16:17], v[18:19]
	v_add_f64 v[18:19], v[22:23], -v[20:21]
	v_add_f64 v[20:21], v[18:19], v[16:17]
	s_mov_b32 s0, 0x54442d18
	v_add_f64 v[18:19], v[20:21], -v[18:19]
	s_mov_b32 s1, 0x3ff921fb
	v_add_f64 v[16:17], v[16:17], -v[18:19]
	v_mul_f64 v[18:19], v[20:21], s[0:1]
	s_mov_b32 s4, 0x33145c07
	v_fma_f64 v[22:23], v[20:21], s[0:1], -v[18:19]
	s_mov_b32 s5, 0x3c91a626
	v_fmac_f64_e32 v[22:23], s[4:5], v[20:21]
	v_fmac_f64_e32 v[22:23], s[0:1], v[16:17]
	v_add_f64 v[16:17], v[18:19], v[22:23]
	v_add_f64 v[18:19], v[16:17], -v[18:19]
	v_add_f64 v[18:19], v[22:23], -v[18:19]
	s_andn2_saveexec_b64 s[0:1], s[2:3]
	s_cbranch_execnz .LBB129_222
	s_branch .LBB129_223
.LBB129_221:
	s_andn2_saveexec_b64 s[0:1], s[2:3]
	s_cbranch_execz .LBB129_223
.LBB129_222:
	s_mov_b32 s2, 0x6dc9c883
	s_mov_b32 s3, 0x3fe45f30
	v_mul_f64 v[16:17], |v[2:3]|, s[2:3]
	s_mov_b32 s2, 0x54442d18
	v_rndne_f64_e32 v[20:21], v[16:17]
	s_mov_b32 s3, 0xbff921fb
	v_fma_f64 v[16:17], v[20:21], s[2:3], |v[2:3]|
	s_mov_b32 s3, 0xbc91a626
	s_mov_b32 s2, 0x33145c00
	v_mul_f64 v[22:23], v[20:21], s[2:3]
	v_add_f64 v[28:29], v[16:17], v[22:23]
	v_fma_f64 v[18:19], s[2:3], v[20:21], v[16:17]
	s_mov_b32 s3, 0x3c91a626
	v_add_f64 v[16:17], v[16:17], -v[28:29]
	v_fma_f64 v[24:25], s[2:3], v[20:21], v[22:23]
	v_add_f64 v[16:17], v[16:17], v[22:23]
	v_add_f64 v[22:23], v[28:29], -v[18:19]
	v_add_f64 v[16:17], v[22:23], v[16:17]
	s_mov_b32 s2, 0x252049c0
	v_add_f64 v[22:23], v[16:17], -v[24:25]
	s_mov_b32 s3, 0xb97b839a
	v_fmac_f64_e32 v[22:23], s[2:3], v[20:21]
	v_add_f64 v[16:17], v[18:19], v[22:23]
	v_add_f64 v[18:19], v[16:17], -v[18:19]
	v_add_f64 v[18:19], v[22:23], -v[18:19]
	v_cvt_i32_f64_e32 v28, v[20:21]
.LBB129_223:
	s_or_b64 exec, exec, s[0:1]
	s_mov_b32 s0, 0x652b82fe
	s_mov_b32 s1, 0x3ff71547
	v_mul_f64 v[20:21], v[0:1], s[0:1]
	v_rndne_f64_e32 v[30:31], v[20:21]
	s_mov_b32 s11, 0xbfe62e42
	s_mov_b32 s10, 0xfefa39ef
	;; [unrolled: 1-line block ×3, first 2 shown]
	v_fma_f64 v[22:23], s[10:11], v[30:31], v[0:1]
	s_mov_b32 s1, 0xbc7abc9e
	v_fmac_f64_e32 v[22:23], s[0:1], v[30:31]
	s_mov_b32 s0, 0x6a5dcb37
	v_mov_b32_e32 v20, 0xfca7ab0c
	v_mov_b32_e32 v21, 0x3e928af3
	s_mov_b32 s1, 0x3e5ade15
	v_fmac_f64_e32 v[20:21], s[0:1], v[22:23]
	v_mov_b32_e32 v32, 0x623fde64
	v_mov_b32_e32 v33, 0x3ec71dee
	v_fmac_f64_e32 v[32:33], v[22:23], v[20:21]
	v_mov_b32_e32 v20, 0x7c89e6b0
	v_mov_b32_e32 v21, 0x3efa0199
	;; [unrolled: 3-line block ×3, first 2 shown]
	v_mov_b64_e32 v[34:35], v[32:33]
	v_mov_b32_e32 v36, 0x1852b7b0
	v_mov_b32_e32 v37, 0x3f56c16c
	v_fmac_f64_e32 v[34:35], v[22:23], v[20:21]
	v_mov_b64_e32 v[20:21], v[36:37]
	v_fmac_f64_e32 v[20:21], v[22:23], v[34:35]
	v_mov_b32_e32 v34, 0x11122322
	v_mov_b32_e32 v35, 0x3f811111
	v_mov_b64_e32 v[38:39], v[34:35]
	v_mov_b32_e32 v40, 0x555502a1
	v_mov_b32_e32 v41, 0x3fa55555
	v_fmac_f64_e32 v[38:39], v[22:23], v[20:21]
	v_mov_b64_e32 v[20:21], v[40:41]
	v_fmac_f64_e32 v[20:21], v[22:23], v[38:39]
	v_mov_b32_e32 v38, 0x55555511
	v_mov_b32_e32 v39, 0x3fc55555
	v_mov_b64_e32 v[42:43], v[38:39]
	v_fmac_f64_e32 v[42:43], v[22:23], v[20:21]
	v_mov_b32_e32 v20, 11
	v_mov_b32_e32 v21, 0x3fe00000
	v_fmac_f64_e32 v[20:21], v[22:23], v[42:43]
	v_mov_b32_e32 v5, 0
	v_fma_f64 v[20:21], v[22:23], v[20:21], 1.0
	s_mov_b32 s8, 0
	s_mov_b32 s0, 0
	v_lshl_add_u64 v[24:25], s[16:17], 0, v[4:5]
	v_fma_f64 v[20:21], v[22:23], v[20:21], 1.0
	v_cvt_i32_f64_e32 v5, v[30:31]
	s_mov_b32 s9, 0x40900000
	s_mov_b32 s1, 0xc090cc00
	v_ldexp_f64 v[20:21], v[20:21], v5
	v_mov_b32_e32 v29, 0x7ff00000
	v_cmp_nlt_f64_e32 vcc, s[8:9], v[0:1]
	v_cmp_ngt_f64_e64 s[0:1], s[0:1], v[0:1]
	v_ldexp_f64 v[42:43], 1.0, v5
	v_cndmask_b32_e32 v21, v29, v21, vcc
	s_and_b64 vcc, s[0:1], vcc
	v_cndmask_b32_e64 v21, 0, v21, s[0:1]
	v_cndmask_b32_e32 v20, 0, v20, vcc
	v_mov_b32_e32 v5, 0x7fe00000
	v_cmp_eq_f64_e32 vcc, s[8:9], v[30:31]
	s_mov_b32 s0, 0xa9d67f34
	s_mov_b32 s1, 0x3e21f32e
	v_cndmask_b32_e32 v31, v43, v5, vcc
	v_cndmask_b32_e64 v30, v42, 0, vcc
	v_mov_b32_e32 v42, 0x2a1b768b
	v_mov_b32_e32 v43, 0x3e5af4eb
	v_fmac_f64_e32 v[42:43], s[0:1], v[22:23]
	v_mov_b32_e32 v44, 0xe0ac05b
	v_mov_b32_e32 v45, 0x3e927e50
	v_fmac_f64_e32 v[44:45], v[22:23], v[42:43]
	;; [unrolled: 3-line block ×4, first 2 shown]
	v_mov_b32_e32 v32, 0x1ac1a723
	v_fmac_f64_e32 v[32:33], v[22:23], v[44:45]
	v_mov_b32_e32 v36, 0x16c18931
	v_fmac_f64_e32 v[36:37], v[22:23], v[32:33]
	;; [unrolled: 2-line block ×5, first 2 shown]
	v_fma_f64 v[32:33], v[22:23], v[38:39], 0.5
	v_mul_f64 v[32:33], v[22:23], v[32:33]
	v_fmac_f64_e32 v[22:23], v[22:23], v[32:33]
	v_add_f64 v[32:33], v[30:31], -1.0
	v_fmac_f64_e32 v[32:33], v[30:31], v[22:23]
	v_add_f64 v[22:23], v[32:33], v[32:33]
	s_mov_b32 s11, 0x40862e42
	s_mov_b32 s0, 0
	v_cndmask_b32_e32 v5, v32, v22, vcc
	v_cndmask_b32_e32 v22, v33, v23, vcc
	v_cmp_nlt_f64_e32 vcc, s[10:11], v[0:1]
	s_mov_b32 s1, 0xc0428000
	v_mov_b32_e32 v23, 0xbff00000
	v_cndmask_b32_e32 v22, v29, v22, vcc
	v_cmp_ngt_f64_e64 s[0:1], s[0:1], v[0:1]
	s_and_b64 vcc, s[0:1], vcc
	s_mov_b32 s10, 0x46cc5e42
	v_cndmask_b32_e64 v1, v23, v22, s[0:1]
	s_mov_b32 s0, 0x9037ab78
	s_mov_b32 s1, 0x3e21eeb6
	v_mul_f64 v[30:31], v[12:13], v[12:13]
	s_mov_b32 s11, 0xbda907db
	v_mov_b64_e32 v[22:23], s[0:1]
	s_mov_b32 s12, 0xa17f65f6
	s_mov_b32 s8, 0x19f4ec90
	v_mul_f64 v[32:33], v[30:31], 0.5
	v_fma_f64 v[38:39], s[10:11], v[30:31], v[22:23]
	s_mov_b32 s13, 0xbe927e4f
	s_mov_b32 s9, 0x3efa01a0
	v_add_f64 v[34:35], -v[32:33], 1.0
	v_fma_f64 v[38:39], v[30:31], v[38:39], s[12:13]
	s_mov_b32 s14, 0x16c16967
	s_mov_b32 s6, 0x55555555
	v_fma_f64 v[38:39], v[30:31], v[38:39], s[8:9]
	s_mov_b32 s15, 0xbf56c16c
	v_add_f64 v[40:41], -v[34:35], 1.0
	s_mov_b32 s7, 0x3fa55555
	v_fma_f64 v[38:39], v[30:31], v[38:39], s[14:15]
	v_add_f64 v[32:33], v[40:41], -v[32:33]
	s_mov_b32 s0, 0xb42fdfa7
	v_mul_f64 v[36:37], v[30:31], v[30:31]
	v_fma_f64 v[38:39], v[30:31], v[38:39], s[6:7]
	v_fma_f64 v[32:33], v[12:13], -v[14:15], v[32:33]
	s_mov_b32 s1, 0xbe5ae600
	s_mov_b32 s18, 0xf9a43bb8
	v_fmac_f64_e32 v[32:33], v[36:37], v[38:39]
	s_mov_b32 s19, 0x3de5e0b2
	v_mov_b64_e32 v[36:37], s[0:1]
	s_mov_b32 s20, 0x796cde01
	v_fma_f64 v[38:39], s[18:19], v[30:31], v[36:37]
	s_mov_b32 s21, 0x3ec71de3
	s_mov_b32 s22, 0x19e83e5c
	;; [unrolled: 1-line block ×3, first 2 shown]
	v_fma_f64 v[38:39], v[30:31], v[38:39], s[20:21]
	s_mov_b32 s23, 0xbf2a01a0
	s_mov_b32 s5, 0x3f811111
	v_fma_f64 v[38:39], v[30:31], v[38:39], s[22:23]
	v_add_f64 v[32:33], v[34:35], v[32:33]
	v_mul_f64 v[34:35], v[12:13], -v[30:31]
	v_fma_f64 v[38:39], v[30:31], v[38:39], s[4:5]
	v_mul_f64 v[40:41], v[14:15], 0.5
	v_fmac_f64_e32 v[40:41], v[34:35], v[38:39]
	v_fma_f64 v[14:15], v[30:31], v[40:41], -v[14:15]
	s_mov_b32 s25, 0xbfc55555
	s_mov_b32 s24, s6
	v_fmac_f64_e32 v[14:15], s[24:25], v[34:35]
	v_cndmask_b32_e32 v0, 0, v5, vcc
	v_and_b32_e32 v5, 1, v27
	v_add_f64 v[12:13], v[12:13], -v[14:15]
	v_xor_b32_e32 v13, 0x80000000, v13
	v_cmp_eq_u32_e32 vcc, 0, v5
	v_mul_f64 v[14:15], v[8:9], v[8:9]
	v_mul_f64 v[30:31], v[8:9], -v[14:15]
	v_cndmask_b32_e32 v5, v12, v32, vcc
	v_cndmask_b32_e32 v12, v13, v33, vcc
	v_fma_f64 v[32:33], s[18:19], v[14:15], v[36:37]
	v_fma_f64 v[32:33], v[14:15], v[32:33], s[20:21]
	;; [unrolled: 1-line block ×4, first 2 shown]
	v_mul_f64 v[34:35], v[10:11], 0.5
	v_fmac_f64_e32 v[34:35], v[30:31], v[32:33]
	v_fma_f64 v[32:33], v[14:15], v[34:35], -v[10:11]
	v_fma_f64 v[40:41], s[10:11], v[14:15], v[22:23]
	v_fmac_f64_e32 v[32:33], s[24:25], v[30:31]
	v_fma_f64 v[40:41], v[14:15], v[40:41], s[12:13]
	v_add_f64 v[30:31], v[8:9], -v[32:33]
	v_mul_f64 v[32:33], v[14:15], 0.5
	v_fma_f64 v[40:41], v[14:15], v[40:41], s[8:9]
	v_add_f64 v[34:35], -v[32:33], 1.0
	v_fma_f64 v[40:41], v[14:15], v[40:41], s[14:15]
	v_mul_f64 v[38:39], v[14:15], v[14:15]
	v_fma_f64 v[14:15], v[14:15], v[40:41], s[6:7]
	v_add_f64 v[40:41], -v[34:35], 1.0
	v_add_f64 v[32:33], v[40:41], -v[32:33]
	s_movk_i32 s26, 0x1f8
	v_fma_f64 v[8:9], v[8:9], -v[10:11], v[32:33]
	v_cmp_class_f64_e64 vcc, v[2:3], s26
	v_and_b32_e32 v2, 1, v26
	v_fmac_f64_e32 v[8:9], v[38:39], v[14:15]
	v_add_f64 v[8:9], v[34:35], v[8:9]
	v_cmp_eq_u32_e64 s[0:1], 0, v2
	s_brev_b32 s27, 1
	v_lshlrev_b32_e32 v13, 30, v27
	v_cndmask_b32_e64 v2, v8, v30, s[0:1]
	v_cndmask_b32_e64 v8, v9, v31, s[0:1]
	v_lshlrev_b32_e32 v9, 30, v26
	v_xor_b32_e32 v9, v9, v7
	v_bitop3_b32 v13, v12, v13, s27 bitop3:0x78
	v_cndmask_b32_e32 v12, 0, v5, vcc
	v_mov_b32_e32 v5, 0x7ff80000
	v_bitop3_b32 v8, v8, v9, s27 bitop3:0x78
	v_cmp_class_f64_e64 s[0:1], v[6:7], s26
	v_cndmask_b32_e32 v13, v5, v13, vcc
	s_mov_b64 s[2:3], exec
	v_cndmask_b32_e64 v6, 0, v2, s[0:1]
	v_cndmask_b32_e64 v7, v5, v8, s[0:1]
	v_add_f64 v[8:9], v[6:7], v[6:7]
	v_mul_f64 v[6:7], v[8:9], v[6:7]
	v_fma_f64 v[0:1], v[0:1], v[12:13], -v[6:7]
	v_mul_f64 v[6:7], v[16:17], v[16:17]
	v_mul_f64 v[8:9], v[6:7], 0.5
	v_fmac_f64_e32 v[22:23], s[10:11], v[6:7]
	v_add_f64 v[10:11], -v[8:9], 1.0
	v_fma_f64 v[14:15], v[6:7], v[22:23], s[12:13]
	v_add_f64 v[12:13], -v[10:11], 1.0
	v_fma_f64 v[14:15], v[6:7], v[14:15], s[8:9]
	v_add_f64 v[8:9], v[12:13], -v[8:9]
	v_fma_f64 v[14:15], v[6:7], v[14:15], s[14:15]
	v_mul_f64 v[12:13], v[6:7], v[6:7]
	v_fma_f64 v[14:15], v[6:7], v[14:15], s[6:7]
	v_fma_f64 v[8:9], v[16:17], -v[18:19], v[8:9]
	v_fmac_f64_e32 v[8:9], v[12:13], v[14:15]
	v_fmac_f64_e32 v[36:37], s[18:19], v[6:7]
	v_add_f64 v[8:9], v[10:11], v[8:9]
	v_fma_f64 v[10:11], v[6:7], v[36:37], s[20:21]
	v_fma_f64 v[10:11], v[6:7], v[10:11], s[22:23]
	;; [unrolled: 1-line block ×3, first 2 shown]
	v_mul_f64 v[12:13], v[16:17], -v[6:7]
	v_mul_f64 v[14:15], v[18:19], 0.5
	v_fmac_f64_e32 v[14:15], v[12:13], v[10:11]
	v_fma_f64 v[6:7], v[6:7], v[14:15], -v[18:19]
	v_fmac_f64_e32 v[6:7], s[24:25], v[12:13]
	v_and_b32_e32 v2, 1, v28
	v_add_f64 v[6:7], v[16:17], -v[6:7]
	v_cmp_eq_u32_e64 s[0:1], 0, v2
	global_store_dwordx2 v4, v[0:1], s[16:17]
	s_nop 0
	v_cndmask_b32_e64 v2, v8, v6, s[0:1]
	v_cndmask_b32_e64 v6, v9, v7, s[0:1]
	v_lshlrev_b32_e32 v7, 30, v28
	v_xor_b32_e32 v3, v7, v3
	v_bitop3_b32 v3, v6, v3, s27 bitop3:0x78
	v_cndmask_b32_e32 v2, 0, v2, vcc
	v_cndmask_b32_e32 v3, v5, v3, vcc
	v_mul_f64 v[8:9], v[20:21], v[2:3]
.LBB129_224:
	s_or_b64 exec, exec, s[48:49]
	s_waitcnt lgkmcnt(0)
	s_and_b64 s[24:25], s[2:3], exec
                                        ; implicit-def: $vgpr2
                                        ; implicit-def: $vgpr26
	s_andn2_saveexec_b64 s[26:27], s[38:39]
	s_cbranch_execnz .LBB129_9
.LBB129_225:
	s_or_b64 exec, exec, s[26:27]
	s_and_saveexec_b64 s[0:1], s[24:25]
	s_cbranch_execz .LBB129_123
.LBB129_226:
	global_store_dwordx2 v[24:25], v[8:9], off offset:8
	s_endpgm
	.section	.rodata,"a",@progbits
	.p2align	6, 0x0
	.amdhsa_kernel _ZN2at6native32elementwise_kernel_manual_unrollILi128ELi4EZNS0_22gpu_kernel_impl_nocastIZZZNS0_17expm1_kernel_cudaERNS_18TensorIteratorBaseEENKUlvE_clEvENKUlvE1_clEvEUlN3c107complexIdEEE_EEvS4_RKT_EUlibE_EEviT1_
		.amdhsa_group_segment_fixed_size 0
		.amdhsa_private_segment_fixed_size 0
		.amdhsa_kernarg_size 360
		.amdhsa_user_sgpr_count 2
		.amdhsa_user_sgpr_dispatch_ptr 0
		.amdhsa_user_sgpr_queue_ptr 0
		.amdhsa_user_sgpr_kernarg_segment_ptr 1
		.amdhsa_user_sgpr_dispatch_id 0
		.amdhsa_user_sgpr_kernarg_preload_length 0
		.amdhsa_user_sgpr_kernarg_preload_offset 0
		.amdhsa_user_sgpr_private_segment_size 0
		.amdhsa_uses_dynamic_stack 0
		.amdhsa_enable_private_segment 0
		.amdhsa_system_sgpr_workgroup_id_x 1
		.amdhsa_system_sgpr_workgroup_id_y 0
		.amdhsa_system_sgpr_workgroup_id_z 0
		.amdhsa_system_sgpr_workgroup_info 0
		.amdhsa_system_vgpr_workitem_id 0
		.amdhsa_next_free_vgpr 114
		.amdhsa_next_free_sgpr 81
		.amdhsa_accum_offset 116
		.amdhsa_reserve_vcc 1
		.amdhsa_float_round_mode_32 0
		.amdhsa_float_round_mode_16_64 0
		.amdhsa_float_denorm_mode_32 3
		.amdhsa_float_denorm_mode_16_64 3
		.amdhsa_dx10_clamp 1
		.amdhsa_ieee_mode 1
		.amdhsa_fp16_overflow 0
		.amdhsa_tg_split 0
		.amdhsa_exception_fp_ieee_invalid_op 0
		.amdhsa_exception_fp_denorm_src 0
		.amdhsa_exception_fp_ieee_div_zero 0
		.amdhsa_exception_fp_ieee_overflow 0
		.amdhsa_exception_fp_ieee_underflow 0
		.amdhsa_exception_fp_ieee_inexact 0
		.amdhsa_exception_int_div_zero 0
	.end_amdhsa_kernel
	.section	.text._ZN2at6native32elementwise_kernel_manual_unrollILi128ELi4EZNS0_22gpu_kernel_impl_nocastIZZZNS0_17expm1_kernel_cudaERNS_18TensorIteratorBaseEENKUlvE_clEvENKUlvE1_clEvEUlN3c107complexIdEEE_EEvS4_RKT_EUlibE_EEviT1_,"axG",@progbits,_ZN2at6native32elementwise_kernel_manual_unrollILi128ELi4EZNS0_22gpu_kernel_impl_nocastIZZZNS0_17expm1_kernel_cudaERNS_18TensorIteratorBaseEENKUlvE_clEvENKUlvE1_clEvEUlN3c107complexIdEEE_EEvS4_RKT_EUlibE_EEviT1_,comdat
.Lfunc_end129:
	.size	_ZN2at6native32elementwise_kernel_manual_unrollILi128ELi4EZNS0_22gpu_kernel_impl_nocastIZZZNS0_17expm1_kernel_cudaERNS_18TensorIteratorBaseEENKUlvE_clEvENKUlvE1_clEvEUlN3c107complexIdEEE_EEvS4_RKT_EUlibE_EEviT1_, .Lfunc_end129-_ZN2at6native32elementwise_kernel_manual_unrollILi128ELi4EZNS0_22gpu_kernel_impl_nocastIZZZNS0_17expm1_kernel_cudaERNS_18TensorIteratorBaseEENKUlvE_clEvENKUlvE1_clEvEUlN3c107complexIdEEE_EEvS4_RKT_EUlibE_EEviT1_
                                        ; -- End function
	.set _ZN2at6native32elementwise_kernel_manual_unrollILi128ELi4EZNS0_22gpu_kernel_impl_nocastIZZZNS0_17expm1_kernel_cudaERNS_18TensorIteratorBaseEENKUlvE_clEvENKUlvE1_clEvEUlN3c107complexIdEEE_EEvS4_RKT_EUlibE_EEviT1_.num_vgpr, 114
	.set _ZN2at6native32elementwise_kernel_manual_unrollILi128ELi4EZNS0_22gpu_kernel_impl_nocastIZZZNS0_17expm1_kernel_cudaERNS_18TensorIteratorBaseEENKUlvE_clEvENKUlvE1_clEvEUlN3c107complexIdEEE_EEvS4_RKT_EUlibE_EEviT1_.num_agpr, 0
	.set _ZN2at6native32elementwise_kernel_manual_unrollILi128ELi4EZNS0_22gpu_kernel_impl_nocastIZZZNS0_17expm1_kernel_cudaERNS_18TensorIteratorBaseEENKUlvE_clEvENKUlvE1_clEvEUlN3c107complexIdEEE_EEvS4_RKT_EUlibE_EEviT1_.numbered_sgpr, 81
	.set _ZN2at6native32elementwise_kernel_manual_unrollILi128ELi4EZNS0_22gpu_kernel_impl_nocastIZZZNS0_17expm1_kernel_cudaERNS_18TensorIteratorBaseEENKUlvE_clEvENKUlvE1_clEvEUlN3c107complexIdEEE_EEvS4_RKT_EUlibE_EEviT1_.num_named_barrier, 0
	.set _ZN2at6native32elementwise_kernel_manual_unrollILi128ELi4EZNS0_22gpu_kernel_impl_nocastIZZZNS0_17expm1_kernel_cudaERNS_18TensorIteratorBaseEENKUlvE_clEvENKUlvE1_clEvEUlN3c107complexIdEEE_EEvS4_RKT_EUlibE_EEviT1_.private_seg_size, 0
	.set _ZN2at6native32elementwise_kernel_manual_unrollILi128ELi4EZNS0_22gpu_kernel_impl_nocastIZZZNS0_17expm1_kernel_cudaERNS_18TensorIteratorBaseEENKUlvE_clEvENKUlvE1_clEvEUlN3c107complexIdEEE_EEvS4_RKT_EUlibE_EEviT1_.uses_vcc, 1
	.set _ZN2at6native32elementwise_kernel_manual_unrollILi128ELi4EZNS0_22gpu_kernel_impl_nocastIZZZNS0_17expm1_kernel_cudaERNS_18TensorIteratorBaseEENKUlvE_clEvENKUlvE1_clEvEUlN3c107complexIdEEE_EEvS4_RKT_EUlibE_EEviT1_.uses_flat_scratch, 0
	.set _ZN2at6native32elementwise_kernel_manual_unrollILi128ELi4EZNS0_22gpu_kernel_impl_nocastIZZZNS0_17expm1_kernel_cudaERNS_18TensorIteratorBaseEENKUlvE_clEvENKUlvE1_clEvEUlN3c107complexIdEEE_EEvS4_RKT_EUlibE_EEviT1_.has_dyn_sized_stack, 0
	.set _ZN2at6native32elementwise_kernel_manual_unrollILi128ELi4EZNS0_22gpu_kernel_impl_nocastIZZZNS0_17expm1_kernel_cudaERNS_18TensorIteratorBaseEENKUlvE_clEvENKUlvE1_clEvEUlN3c107complexIdEEE_EEvS4_RKT_EUlibE_EEviT1_.has_recursion, 0
	.set _ZN2at6native32elementwise_kernel_manual_unrollILi128ELi4EZNS0_22gpu_kernel_impl_nocastIZZZNS0_17expm1_kernel_cudaERNS_18TensorIteratorBaseEENKUlvE_clEvENKUlvE1_clEvEUlN3c107complexIdEEE_EEvS4_RKT_EUlibE_EEviT1_.has_indirect_call, 0
	.section	.AMDGPU.csdata,"",@progbits
; Kernel info:
; codeLenInByte = 37684
; TotalNumSgprs: 87
; NumVgprs: 114
; NumAgprs: 0
; TotalNumVgprs: 114
; ScratchSize: 0
; MemoryBound: 0
; FloatMode: 240
; IeeeMode: 1
; LDSByteSize: 0 bytes/workgroup (compile time only)
; SGPRBlocks: 10
; VGPRBlocks: 14
; NumSGPRsForWavesPerEU: 87
; NumVGPRsForWavesPerEU: 114
; AccumOffset: 116
; Occupancy: 4
; WaveLimiterHint : 1
; COMPUTE_PGM_RSRC2:SCRATCH_EN: 0
; COMPUTE_PGM_RSRC2:USER_SGPR: 2
; COMPUTE_PGM_RSRC2:TRAP_HANDLER: 0
; COMPUTE_PGM_RSRC2:TGID_X_EN: 1
; COMPUTE_PGM_RSRC2:TGID_Y_EN: 0
; COMPUTE_PGM_RSRC2:TGID_Z_EN: 0
; COMPUTE_PGM_RSRC2:TIDIG_COMP_CNT: 0
; COMPUTE_PGM_RSRC3_GFX90A:ACCUM_OFFSET: 28
; COMPUTE_PGM_RSRC3_GFX90A:TG_SPLIT: 0
	.text
	.p2align	2                               ; -- Begin function _ZN2at6native6invokeIZZZNS0_17expm1_kernel_cudaERNS_18TensorIteratorBaseEENKUlvE_clEvENKUlvE1_clEvEUlN3c107complexIdEEE_i15function_traitsIS9_EEENT1_11result_typeERKT_PrKPcPKT0_PKNS6_10ScalarTypeEi
	.type	_ZN2at6native6invokeIZZZNS0_17expm1_kernel_cudaERNS_18TensorIteratorBaseEENKUlvE_clEvENKUlvE1_clEvEUlN3c107complexIdEEE_i15function_traitsIS9_EEENT1_11result_typeERKT_PrKPcPKT0_PKNS6_10ScalarTypeEi,@function
_ZN2at6native6invokeIZZZNS0_17expm1_kernel_cudaERNS_18TensorIteratorBaseEENKUlvE_clEvENKUlvE1_clEvEUlN3c107complexIdEEE_i15function_traitsIS9_EEENT1_11result_typeERKT_PrKPcPKT0_PKNS6_10ScalarTypeEi: ; @_ZN2at6native6invokeIZZZNS0_17expm1_kernel_cudaERNS_18TensorIteratorBaseEENKUlvE_clEvENKUlvE1_clEvEUlN3c107complexIdEEE_i15function_traitsIS9_EEENT1_11result_typeERKT_PrKPcPKT0_PKNS6_10ScalarTypeEi
; %bb.0:
	s_waitcnt vmcnt(0) expcnt(0) lgkmcnt(0)
	v_mul_lo_u32 v4, v4, v2
	v_ashrrev_i32_e32 v5, 31, v4
	v_mov_b32_e32 v2, 10
	v_lshl_add_u64 v[0:1], v[0:1], 0, v[4:5]
	v_cmp_gt_i16_sdwa s[0:1], v3, v2 src0_sel:BYTE_0 src1_sel:DWORD
	s_mov_b64 s[4:5], 0
                                        ; implicit-def: $vgpr6_vgpr7
	s_and_saveexec_b64 s[2:3], s[0:1]
	s_xor_b64 s[0:1], exec, s[2:3]
	s_cbranch_execz .LBB130_48
; %bb.1:
	v_mov_b32_e32 v2, 25
	v_cmp_gt_i16_sdwa s[4:5], v3, v2 src0_sel:BYTE_0 src1_sel:DWORD
	s_mov_b64 s[2:3], 0
	s_mov_b64 s[8:9], 0
	;; [unrolled: 1-line block ×3, first 2 shown]
                                        ; implicit-def: $vgpr6_vgpr7
	s_and_saveexec_b64 s[10:11], s[4:5]
	s_xor_b64 s[4:5], exec, s[10:11]
	s_cbranch_execz .LBB130_91
; %bb.2:
	v_mov_b32_e32 v2, 28
	v_cmp_gt_i16_sdwa s[6:7], v3, v2 src0_sel:BYTE_0 src1_sel:DWORD
	s_mov_b64 s[10:11], 0
                                        ; implicit-def: $vgpr6_vgpr7
	s_and_saveexec_b64 s[12:13], s[6:7]
	s_xor_b64 s[6:7], exec, s[12:13]
	s_cbranch_execz .LBB130_18
; %bb.3:
	v_mov_b32_e32 v2, 43
	v_cmp_gt_i16_sdwa s[8:9], v3, v2 src0_sel:BYTE_0 src1_sel:DWORD
	s_mov_b64 s[12:13], 0
	s_mov_b64 s[14:15], 0
                                        ; implicit-def: $vgpr6_vgpr7
	s_and_saveexec_b64 s[10:11], s[8:9]
	s_xor_b64 s[8:9], exec, s[10:11]
	s_cbranch_execz .LBB130_13
; %bb.4:
	v_mov_b32_e32 v2, 45
	v_cmp_gt_i16_sdwa s[14:15], v3, v2 src0_sel:BYTE_0 src1_sel:DWORD
	s_mov_b64 s[10:11], 0
                                        ; implicit-def: $vgpr6_vgpr7
	s_and_saveexec_b64 s[16:17], s[14:15]
	s_xor_b64 s[14:15], exec, s[16:17]
	s_cbranch_execz .LBB130_8
; %bb.5:
	v_mov_b32_e32 v2, 46
	v_cmp_eq_u16_sdwa s[18:19], v3, v2 src0_sel:BYTE_0 src1_sel:DWORD
	s_mov_b64 s[16:17], -1
                                        ; implicit-def: $vgpr6_vgpr7
	s_and_saveexec_b64 s[12:13], s[18:19]
	s_cbranch_execz .LBB130_7
; %bb.6:
	flat_load_dword v2, v[0:1]
	s_mov_b64 s[10:11], exec
	s_xor_b64 s[16:17], exec, -1
	s_waitcnt vmcnt(0) lgkmcnt(0)
	v_and_b32_e32 v3, 0xffff0000, v2
	v_lshlrev_b32_e32 v2, 16, v2
	v_cvt_f64_f32_e32 v[4:5], v2
	v_cvt_f64_f32_e32 v[6:7], v3
.LBB130_7:
	s_or_b64 exec, exec, s[12:13]
	s_and_b64 s[12:13], s[10:11], exec
	s_and_b64 s[10:11], s[16:17], exec
                                        ; implicit-def: $vgpr3
.LBB130_8:
	s_andn2_saveexec_b64 s[14:15], s[14:15]
	s_cbranch_execz .LBB130_12
; %bb.9:
	v_mov_b32_e32 v2, 44
	v_cmp_eq_u16_sdwa s[22:23], v3, v2 src0_sel:BYTE_0 src1_sel:DWORD
	s_mov_b64 s[20:21], -1
	s_mov_b64 s[18:19], s[12:13]
                                        ; implicit-def: $vgpr4_vgpr5
	s_and_saveexec_b64 s[16:17], s[22:23]
	s_cbranch_execz .LBB130_11
; %bb.10:
	flat_load_ubyte v4, v[0:1]
	s_movk_i32 s20, 0xff
	v_bfrev_b32_e32 v5, 4
	v_mov_b32_e32 v6, 0x7ff80000
	v_bfrev_b32_e32 v7, 28
	s_or_b64 s[18:19], s[12:13], exec
	s_waitcnt vmcnt(0) lgkmcnt(0)
	v_lshlrev_b32_e32 v2, 23, v4
	v_cvt_f64_f32_e32 v[2:3], v2
	v_cmp_ne_u32_e32 vcc, s20, v4
	s_xor_b64 s[20:21], exec, -1
	s_nop 0
	v_cndmask_b32_e32 v2, v5, v2, vcc
	v_cndmask_b32_e32 v3, v6, v3, vcc
	v_cmp_ne_u32_e32 vcc, 0, v4
	s_nop 1
	v_cndmask_b32_e32 v5, v7, v3, vcc
	v_cndmask_b32_e32 v4, 0, v2, vcc
.LBB130_11:
	s_or_b64 exec, exec, s[16:17]
	s_andn2_b64 s[12:13], s[12:13], exec
	s_and_b64 s[16:17], s[18:19], exec
	s_or_b64 s[12:13], s[12:13], s[16:17]
	s_andn2_b64 s[10:11], s[10:11], exec
	s_and_b64 s[16:17], s[20:21], exec
	v_mov_b64_e32 v[6:7], 0
	s_or_b64 s[10:11], s[10:11], s[16:17]
.LBB130_12:
	s_or_b64 exec, exec, s[14:15]
	s_and_b64 s[14:15], s[12:13], exec
	s_and_b64 s[12:13], s[10:11], exec
                                        ; implicit-def: $vgpr3
.LBB130_13:
	s_andn2_saveexec_b64 s[8:9], s[8:9]
	s_cbranch_execz .LBB130_17
; %bb.14:
	v_mov_b32_e32 v2, 29
	v_cmp_eq_u16_sdwa s[20:21], v3, v2 src0_sel:BYTE_0 src1_sel:DWORD
	s_mov_b64 s[10:11], -1
	s_mov_b64 s[16:17], s[14:15]
                                        ; implicit-def: $vgpr4_vgpr5
	s_and_saveexec_b64 s[18:19], s[20:21]
	s_cbranch_execz .LBB130_16
; %bb.15:
	flat_load_dwordx2 v[2:3], v[0:1]
	s_or_b64 s[16:17], s[14:15], exec
	s_xor_b64 s[10:11], exec, -1
	s_waitcnt vmcnt(0) lgkmcnt(0)
	v_cvt_f64_u32_e32 v[4:5], v3
	v_cvt_f64_u32_e32 v[2:3], v2
	v_ldexp_f64 v[4:5], v[4:5], 32
	v_add_f64 v[4:5], v[4:5], v[2:3]
.LBB130_16:
	s_or_b64 exec, exec, s[18:19]
	s_andn2_b64 s[14:15], s[14:15], exec
	s_and_b64 s[16:17], s[16:17], exec
	s_andn2_b64 s[12:13], s[12:13], exec
	s_and_b64 s[10:11], s[10:11], exec
	v_mov_b64_e32 v[6:7], 0
	s_or_b64 s[14:15], s[14:15], s[16:17]
	s_or_b64 s[12:13], s[12:13], s[10:11]
.LBB130_17:
	s_or_b64 exec, exec, s[8:9]
	s_and_b64 s[10:11], s[14:15], exec
	s_and_b64 s[8:9], s[12:13], exec
                                        ; implicit-def: $vgpr3
.LBB130_18:
	s_andn2_saveexec_b64 s[6:7], s[6:7]
	s_cbranch_execz .LBB130_36
; %bb.19:
	v_mov_b32_e32 v2, 26
	v_cmp_gt_i16_sdwa s[12:13], v3, v2 src0_sel:BYTE_0 src1_sel:DWORD
                                        ; implicit-def: $vgpr4_vgpr5
	s_and_saveexec_b64 s[14:15], s[12:13]
	s_xor_b64 s[12:13], exec, s[14:15]
	s_cbranch_execz .LBB130_25
; %bb.20:
	v_mov_b32_e32 v2, 27
	v_cmp_gt_i16_sdwa s[14:15], v3, v2 src0_sel:BYTE_0 src1_sel:DWORD
                                        ; implicit-def: $vgpr4_vgpr5
	s_and_saveexec_b64 s[16:17], s[14:15]
	s_xor_b64 s[14:15], exec, s[16:17]
	s_cbranch_execz .LBB130_22
; %bb.21:
	flat_load_dword v2, v[0:1]
	s_waitcnt vmcnt(0) lgkmcnt(0)
	v_cvt_f64_u32_e32 v[4:5], v2
.LBB130_22:
	s_andn2_saveexec_b64 s[14:15], s[14:15]
	s_cbranch_execz .LBB130_24
; %bb.23:
	flat_load_ushort v2, v[0:1]
	s_waitcnt vmcnt(0) lgkmcnt(0)
	v_cvt_f64_u32_e32 v[4:5], v2
.LBB130_24:
	s_or_b64 exec, exec, s[14:15]
.LBB130_25:
	s_andn2_saveexec_b64 s[12:13], s[12:13]
	s_cbranch_execz .LBB130_35
; %bb.26:
	flat_load_ubyte v2, v[0:1]
	s_movk_i32 s14, 0x7f
	s_waitcnt vmcnt(0) lgkmcnt(0)
	v_cmp_lt_i16_e32 vcc, s14, v2
	s_mov_b64 s[14:15], 0
	s_and_saveexec_b64 s[16:17], vcc
	s_xor_b64 s[16:17], exec, s[16:17]
	s_cbranch_execz .LBB130_30
; %bb.27:
	s_movk_i32 s14, 0x80
	v_cmp_eq_u16_e32 vcc, s14, v2
	s_mov_b64 s[14:15], -1
	s_and_saveexec_b64 s[18:19], vcc
; %bb.28:
	s_xor_b64 s[14:15], exec, -1
; %bb.29:
	s_or_b64 exec, exec, s[18:19]
	s_and_b64 s[14:15], s[14:15], exec
.LBB130_30:
	s_or_saveexec_b64 s[16:17], s[16:17]
	v_bfrev_b32_e32 v4, 4
	v_mov_b32_e32 v5, 0x7ff80000
	s_xor_b64 exec, exec, s[16:17]
; %bb.31:
	v_cmp_ne_u16_e32 vcc, 0, v2
	s_andn2_b64 s[14:15], s[14:15], exec
	s_and_b64 s[18:19], vcc, exec
	v_mov_b64_e32 v[4:5], 0
	s_or_b64 s[14:15], s[14:15], s[18:19]
; %bb.32:
	s_or_b64 exec, exec, s[16:17]
	s_and_saveexec_b64 s[16:17], s[14:15]
	s_cbranch_execz .LBB130_34
; %bb.33:
	v_lshlrev_b32_e32 v3, 24, v2
	v_and_b32_e32 v2, 0xffff, v2
	v_and_b32_e32 v4, 7, v2
	v_ffbh_u32_e32 v6, v4
	v_min_u32_e32 v6, 32, v6
	v_subrev_u32_e32 v7, 28, v6
	v_bfe_u32 v5, v2, 3, 4
	v_lshlrev_b32_e32 v2, v7, v2
	v_sub_u32_e32 v6, 29, v6
	v_and_b32_e32 v2, 7, v2
	v_cmp_eq_u32_e32 vcc, 0, v5
	v_and_b32_e32 v3, 0x80000000, v3
	s_nop 0
	v_cndmask_b32_e32 v5, v5, v6, vcc
	v_cndmask_b32_e32 v2, v4, v2, vcc
	v_mov_b32_e32 v4, 0x3b800000
	v_lshlrev_b32_e32 v2, 20, v2
	v_lshl_add_u32 v4, v5, 23, v4
	v_or3_b32 v2, v3, v4, v2
	v_cvt_f64_f32_e32 v[4:5], v2
.LBB130_34:
	s_or_b64 exec, exec, s[16:17]
.LBB130_35:
	s_or_b64 exec, exec, s[12:13]
	v_mov_b64_e32 v[6:7], 0
	s_or_b64 s[10:11], s[10:11], exec
.LBB130_36:
	s_or_b64 exec, exec, s[6:7]
	s_and_b64 s[6:7], s[10:11], exec
	s_and_b64 s[8:9], s[8:9], exec
                                        ; implicit-def: $vgpr3
	s_andn2_saveexec_b64 s[4:5], s[4:5]
	s_cbranch_execnz .LBB130_92
.LBB130_37:
	s_or_b64 exec, exec, s[4:5]
	s_and_saveexec_b64 s[4:5], s[8:9]
	s_cbranch_execnz .LBB130_119
.LBB130_38:
	s_or_b64 exec, exec, s[4:5]
	s_and_saveexec_b64 s[4:5], s[2:3]
	s_xor_b64 s[2:3], exec, s[4:5]
	s_cbranch_execz .LBB130_40
.LBB130_39:
	flat_load_ubyte v0, v[0:1]
	v_mov_b32_e32 v1, 0x3ff00000
	v_mov_b32_e32 v4, 0
	v_mov_b64_e32 v[6:7], 0
	s_or_b64 s[6:7], s[6:7], exec
	s_waitcnt vmcnt(0) lgkmcnt(0)
	v_cmp_ne_u16_e32 vcc, 0, v0
	s_nop 1
	v_cndmask_b32_e32 v5, 0, v1, vcc
.LBB130_40:
	s_or_b64 exec, exec, s[2:3]
	s_and_b64 s[4:5], s[6:7], exec
                                        ; implicit-def: $vgpr3
                                        ; implicit-def: $vgpr0_vgpr1
	s_andn2_saveexec_b64 s[0:1], s[0:1]
	s_cbranch_execnz .LBB130_49
.LBB130_41:
	s_or_b64 exec, exec, s[0:1]
                                        ; implicit-def: $vgpr0_vgpr1
                                        ; implicit-def: $vgpr2_vgpr3
	s_and_saveexec_b64 s[2:3], s[4:5]
	s_cbranch_execz .LBB130_90
.LBB130_42:
	s_mov_b32 s0, 0
	s_waitcnt vmcnt(0) lgkmcnt(0)
	v_mul_f64 v[0:1], v[6:7], 0.5
	s_mov_b32 s1, 0x41d00000
	v_cmp_nlt_f64_e64 s[0:1], |v[0:1]|, s[0:1]
                                        ; implicit-def: $vgpr24
                                        ; implicit-def: $vgpr2_vgpr3
                                        ; implicit-def: $vgpr8_vgpr9
	s_and_saveexec_b64 s[4:5], s[0:1]
	s_xor_b64 s[4:5], exec, s[4:5]
	s_cbranch_execz .LBB130_44
; %bb.43:
	s_mov_b32 s0, 0
	s_mov_b32 s1, 0x7b000000
	s_movk_i32 s6, 0xff80
	v_and_b32_e32 v12, 0x7fffffff, v1
	v_ldexp_f64 v[10:11], |v[0:1]|, s6
	v_cmp_ge_f64_e64 vcc, |v[0:1]|, s[0:1]
	v_trig_preop_f64 v[2:3], |v[0:1]|, 0
	v_trig_preop_f64 v[8:9], |v[0:1]|, 1
	v_cndmask_b32_e32 v11, v12, v11, vcc
	v_cndmask_b32_e32 v10, v0, v10, vcc
	v_mul_f64 v[14:15], v[2:3], v[10:11]
	v_mul_f64 v[12:13], v[8:9], v[10:11]
	v_fma_f64 v[2:3], v[2:3], v[10:11], -v[14:15]
	v_add_f64 v[16:17], v[12:13], v[2:3]
	v_add_f64 v[24:25], v[16:17], -v[12:13]
	v_add_f64 v[2:3], v[2:3], -v[24:25]
	;; [unrolled: 1-line block ×4, first 2 shown]
	v_fma_f64 v[8:9], v[8:9], v[10:11], -v[12:13]
	v_trig_preop_f64 v[12:13], |v[0:1]|, 2
	v_add_f64 v[2:3], v[2:3], v[24:25]
	v_mul_f64 v[24:25], v[12:13], v[10:11]
	v_add_f64 v[26:27], v[24:25], v[8:9]
	v_add_f64 v[18:19], v[14:15], v[16:17]
	;; [unrolled: 1-line block ×3, first 2 shown]
	v_ldexp_f64 v[20:21], v[18:19], -2
	v_add_f64 v[14:15], v[18:19], -v[14:15]
	v_add_f64 v[18:19], v[28:29], -v[26:27]
	;; [unrolled: 1-line block ×5, first 2 shown]
	v_add_f64 v[2:3], v[2:3], v[18:19]
	v_add_f64 v[18:19], v[26:27], -v[24:25]
	v_add_f64 v[8:9], v[8:9], -v[18:19]
	;; [unrolled: 1-line block ×4, first 2 shown]
	v_add_f64 v[8:9], v[8:9], v[18:19]
	s_mov_b32 s0, 0
	v_fract_f64_e32 v[22:23], v[20:21]
	v_add_f64 v[2:3], v[8:9], v[2:3]
	v_fma_f64 v[8:9], v[12:13], v[10:11], -v[24:25]
	s_mov_b32 s1, 0x7ff00000
	v_add_f64 v[14:15], v[16:17], -v[14:15]
	v_add_f64 v[2:3], v[8:9], v[2:3]
	v_ldexp_f64 v[8:9], v[22:23], 2
	v_cmp_neq_f64_e64 vcc, |v[20:21]|, s[0:1]
	v_add_f64 v[16:17], v[14:15], v[28:29]
	v_mov_b32_e32 v12, 0x40100000
	v_cndmask_b32_e32 v9, 0, v9, vcc
	v_cndmask_b32_e32 v8, 0, v8, vcc
	v_add_f64 v[10:11], v[16:17], v[8:9]
	v_cmp_gt_f64_e32 vcc, 0, v[10:11]
	v_mov_b32_e32 v10, 0
	v_add_f64 v[14:15], v[16:17], -v[14:15]
	v_cndmask_b32_e32 v11, 0, v12, vcc
	v_add_f64 v[8:9], v[8:9], v[10:11]
	v_add_f64 v[12:13], v[16:17], v[8:9]
	v_cvt_i32_f64_e32 v11, v[12:13]
	v_cvt_f64_i32_e32 v[12:13], v11
	v_add_f64 v[8:9], v[8:9], -v[12:13]
	v_add_f64 v[12:13], v[16:17], v[8:9]
	v_add_f64 v[14:15], v[28:29], -v[14:15]
	v_add_f64 v[8:9], v[12:13], -v[8:9]
	v_add_f64 v[2:3], v[14:15], v[2:3]
	v_add_f64 v[8:9], v[16:17], -v[8:9]
	v_add_f64 v[2:3], v[2:3], v[8:9]
	v_cmp_le_f64_e32 vcc, 0.5, v[12:13]
	v_mov_b32_e32 v8, 0x3ff00000
	s_mov_b32 s6, 0x33145c07
	v_addc_co_u32_e64 v24, s[0:1], 0, v11, vcc
	v_cndmask_b32_e32 v11, 0, v8, vcc
	v_add_f64 v[8:9], v[12:13], -v[10:11]
	v_add_f64 v[10:11], v[8:9], v[2:3]
	s_mov_b32 s0, 0x54442d18
	v_add_f64 v[8:9], v[10:11], -v[8:9]
	s_mov_b32 s1, 0x3ff921fb
	v_add_f64 v[2:3], v[2:3], -v[8:9]
	v_mul_f64 v[8:9], v[10:11], s[0:1]
	v_fma_f64 v[12:13], v[10:11], s[0:1], -v[8:9]
	s_mov_b32 s7, 0x3c91a626
	v_fmac_f64_e32 v[12:13], s[6:7], v[10:11]
	v_fmac_f64_e32 v[12:13], s[0:1], v[2:3]
	v_add_f64 v[2:3], v[8:9], v[12:13]
	v_add_f64 v[8:9], v[2:3], -v[8:9]
	v_add_f64 v[8:9], v[12:13], -v[8:9]
.LBB130_44:
	s_andn2_saveexec_b64 s[0:1], s[4:5]
	s_cbranch_execz .LBB130_46
; %bb.45:
	s_mov_b32 s4, 0x6dc9c883
	s_mov_b32 s5, 0x3fe45f30
	v_mul_f64 v[2:3], |v[0:1]|, s[4:5]
	s_mov_b32 s4, 0x54442d18
	v_rndne_f64_e32 v[10:11], v[2:3]
	s_mov_b32 s5, 0xbff921fb
	v_fma_f64 v[2:3], v[10:11], s[4:5], |v[0:1]|
	s_mov_b32 s5, 0xbc91a626
	s_mov_b32 s4, 0x33145c00
	v_mul_f64 v[12:13], v[10:11], s[4:5]
	v_add_f64 v[16:17], v[2:3], v[12:13]
	v_fma_f64 v[8:9], s[4:5], v[10:11], v[2:3]
	s_mov_b32 s5, 0x3c91a626
	v_add_f64 v[2:3], v[2:3], -v[16:17]
	v_fma_f64 v[14:15], s[4:5], v[10:11], v[12:13]
	v_add_f64 v[2:3], v[2:3], v[12:13]
	v_add_f64 v[12:13], v[16:17], -v[8:9]
	v_add_f64 v[2:3], v[12:13], v[2:3]
	s_mov_b32 s4, 0x252049c0
	v_add_f64 v[12:13], v[2:3], -v[14:15]
	s_mov_b32 s5, 0xb97b839a
	v_fmac_f64_e32 v[12:13], s[4:5], v[10:11]
	v_add_f64 v[2:3], v[8:9], v[12:13]
	v_add_f64 v[8:9], v[2:3], -v[8:9]
	v_add_f64 v[8:9], v[12:13], -v[8:9]
	v_cvt_i32_f64_e32 v24, v[10:11]
.LBB130_46:
	s_or_b64 exec, exec, s[0:1]
	s_mov_b32 s0, 0
	s_mov_b32 s1, 0x41d00000
	v_cmp_nlt_f64_e64 s[4:5], |v[6:7]|, s[0:1]
	v_trig_preop_f64 v[22:23], |v[6:7]|, 0
	v_trig_preop_f64 v[20:21], |v[6:7]|, 1
	;; [unrolled: 1-line block ×3, first 2 shown]
                                        ; implicit-def: $vgpr25
                                        ; implicit-def: $vgpr10_vgpr11
                                        ; implicit-def: $vgpr12_vgpr13
	s_and_saveexec_b64 s[0:1], s[4:5]
	s_xor_b64 s[6:7], exec, s[0:1]
	s_cbranch_execz .LBB130_120
; %bb.47:
	s_mov_b32 s0, 0
	s_mov_b32 s1, 0x7b000000
	s_movk_i32 s8, 0xff80
	v_and_b32_e32 v12, 0x7fffffff, v7
	v_ldexp_f64 v[10:11], |v[6:7]|, s8
	v_cmp_ge_f64_e64 vcc, |v[6:7]|, s[0:1]
	s_mov_b32 s0, 0
	s_mov_b32 s1, 0x7ff00000
	v_cndmask_b32_e32 v11, v12, v11, vcc
	v_cndmask_b32_e32 v10, v6, v10, vcc
	v_mul_f64 v[14:15], v[22:23], v[10:11]
	v_mul_f64 v[12:13], v[20:21], v[10:11]
	v_fma_f64 v[16:17], v[22:23], v[10:11], -v[14:15]
	v_add_f64 v[26:27], v[12:13], v[16:17]
	v_add_f64 v[34:35], v[26:27], -v[12:13]
	v_add_f64 v[16:17], v[16:17], -v[34:35]
	;; [unrolled: 1-line block ×4, first 2 shown]
	v_add_f64 v[16:17], v[16:17], v[34:35]
	v_fma_f64 v[12:13], v[20:21], v[10:11], -v[12:13]
	v_mul_f64 v[34:35], v[18:19], v[10:11]
	v_add_f64 v[36:37], v[34:35], v[12:13]
	v_add_f64 v[28:29], v[14:15], v[26:27]
	;; [unrolled: 1-line block ×3, first 2 shown]
	v_ldexp_f64 v[30:31], v[28:29], -2
	v_add_f64 v[14:15], v[28:29], -v[14:15]
	v_add_f64 v[28:29], v[38:39], -v[36:37]
	;; [unrolled: 1-line block ×5, first 2 shown]
	v_add_f64 v[16:17], v[16:17], v[28:29]
	v_add_f64 v[28:29], v[36:37], -v[34:35]
	v_add_f64 v[12:13], v[12:13], -v[28:29]
	;; [unrolled: 1-line block ×5, first 2 shown]
	v_add_f64 v[12:13], v[12:13], v[28:29]
	v_fract_f64_e32 v[32:33], v[30:31]
	v_add_f64 v[26:27], v[14:15], v[38:39]
	v_add_f64 v[12:13], v[12:13], v[16:17]
	v_fma_f64 v[10:11], v[18:19], v[10:11], -v[34:35]
	v_add_f64 v[14:15], v[26:27], -v[14:15]
	v_add_f64 v[10:11], v[10:11], v[12:13]
	v_ldexp_f64 v[12:13], v[32:33], 2
	v_cmp_neq_f64_e64 vcc, |v[30:31]|, s[0:1]
	v_add_f64 v[14:15], v[38:39], -v[14:15]
	v_add_f64 v[10:11], v[14:15], v[10:11]
	v_cndmask_b32_e32 v13, 0, v13, vcc
	v_cndmask_b32_e32 v12, 0, v12, vcc
	v_add_f64 v[14:15], v[26:27], v[12:13]
	v_mov_b32_e32 v16, 0x40100000
	v_cmp_gt_f64_e32 vcc, 0, v[14:15]
	v_mov_b32_e32 v14, 0
	s_mov_b32 s8, 0x33145c07
	v_cndmask_b32_e32 v15, 0, v16, vcc
	v_add_f64 v[12:13], v[12:13], v[14:15]
	v_add_f64 v[16:17], v[26:27], v[12:13]
	v_cvt_i32_f64_e32 v15, v[16:17]
	v_cvt_f64_i32_e32 v[16:17], v15
	v_add_f64 v[12:13], v[12:13], -v[16:17]
	v_add_f64 v[16:17], v[26:27], v[12:13]
	v_add_f64 v[12:13], v[16:17], -v[12:13]
	v_add_f64 v[12:13], v[26:27], -v[12:13]
	v_add_f64 v[10:11], v[10:11], v[12:13]
	v_cmp_le_f64_e32 vcc, 0.5, v[16:17]
	v_mov_b32_e32 v12, 0x3ff00000
	s_mov_b32 s9, 0x3c91a626
	v_addc_co_u32_e64 v25, s[0:1], 0, v15, vcc
	v_cndmask_b32_e32 v15, 0, v12, vcc
	v_add_f64 v[12:13], v[16:17], -v[14:15]
	v_add_f64 v[14:15], v[12:13], v[10:11]
	s_mov_b32 s0, 0x54442d18
	v_add_f64 v[12:13], v[14:15], -v[12:13]
	s_mov_b32 s1, 0x3ff921fb
	v_add_f64 v[10:11], v[10:11], -v[12:13]
	v_mul_f64 v[12:13], v[14:15], s[0:1]
	v_fma_f64 v[16:17], v[14:15], s[0:1], -v[12:13]
	v_fmac_f64_e32 v[16:17], s[8:9], v[14:15]
	v_fmac_f64_e32 v[16:17], s[0:1], v[10:11]
	v_add_f64 v[10:11], v[12:13], v[16:17]
	v_add_f64 v[12:13], v[10:11], -v[12:13]
	v_add_f64 v[12:13], v[16:17], -v[12:13]
	s_andn2_saveexec_b64 s[0:1], s[6:7]
	s_cbranch_execz .LBB130_122
	s_branch .LBB130_121
.LBB130_48:
	s_andn2_saveexec_b64 s[0:1], s[0:1]
	s_cbranch_execz .LBB130_41
.LBB130_49:
	v_mov_b32_e32 v2, 4
	v_cmp_gt_i16_sdwa s[2:3], v3, v2 src0_sel:BYTE_0 src1_sel:DWORD
                                        ; implicit-def: $vgpr6_vgpr7
	s_and_saveexec_b64 s[6:7], s[2:3]
	s_xor_b64 s[2:3], exec, s[6:7]
	s_cbranch_execz .LBB130_71
; %bb.50:
	v_mov_b32_e32 v2, 7
	v_cmp_gt_i16_sdwa s[6:7], v3, v2 src0_sel:BYTE_0 src1_sel:DWORD
                                        ; implicit-def: $vgpr6_vgpr7
	s_and_saveexec_b64 s[8:9], s[6:7]
	s_xor_b64 s[6:7], exec, s[8:9]
	s_cbranch_execz .LBB130_60
; %bb.51:
	;; [unrolled: 7-line block ×4, first 2 shown]
	flat_load_dwordx4 v[4:7], v[0:1]
                                        ; implicit-def: $vgpr0_vgpr1
.LBB130_54:
	s_andn2_saveexec_b64 s[10:11], s[10:11]
	s_cbranch_execz .LBB130_56
; %bb.55:
	flat_load_dwordx2 v[0:1], v[0:1]
	s_waitcnt vmcnt(0) lgkmcnt(0)
	v_cvt_f64_f32_e32 v[4:5], v0
	v_cvt_f64_f32_e32 v[6:7], v1
.LBB130_56:
	s_or_b64 exec, exec, s[10:11]
                                        ; implicit-def: $vgpr0_vgpr1
.LBB130_57:
	s_andn2_saveexec_b64 s[8:9], s[8:9]
	s_cbranch_execz .LBB130_59
; %bb.58:
	flat_load_dword v0, v[0:1]
	s_waitcnt vmcnt(0) lgkmcnt(0)
	v_cvt_f32_f16_e32 v1, v0
	v_cvt_f32_f16_sdwa v0, v0 dst_sel:DWORD dst_unused:UNUSED_PAD src0_sel:WORD_1
	v_cvt_f64_f32_e32 v[4:5], v1
	v_cvt_f64_f32_e32 v[6:7], v0
.LBB130_59:
	s_or_b64 exec, exec, s[8:9]
                                        ; implicit-def: $vgpr0_vgpr1
                                        ; implicit-def: $vgpr3
.LBB130_60:
	s_andn2_saveexec_b64 s[6:7], s[6:7]
	s_cbranch_execz .LBB130_70
; %bb.61:
	v_mov_b32_e32 v2, 5
	v_cmp_gt_i16_sdwa s[8:9], v3, v2 src0_sel:BYTE_0 src1_sel:DWORD
                                        ; implicit-def: $vgpr4_vgpr5
	s_and_saveexec_b64 s[10:11], s[8:9]
	s_xor_b64 s[8:9], exec, s[10:11]
	s_cbranch_execz .LBB130_67
; %bb.62:
	v_mov_b32_e32 v2, 6
	v_cmp_gt_i16_sdwa s[10:11], v3, v2 src0_sel:BYTE_0 src1_sel:DWORD
                                        ; implicit-def: $vgpr4_vgpr5
	s_and_saveexec_b64 s[12:13], s[10:11]
	s_xor_b64 s[10:11], exec, s[12:13]
	s_cbranch_execz .LBB130_64
; %bb.63:
	s_waitcnt vmcnt(0) lgkmcnt(0)
	flat_load_dwordx2 v[4:5], v[0:1]
                                        ; implicit-def: $vgpr0_vgpr1
.LBB130_64:
	s_andn2_saveexec_b64 s[10:11], s[10:11]
	s_cbranch_execz .LBB130_66
; %bb.65:
	flat_load_dword v0, v[0:1]
	s_waitcnt vmcnt(0) lgkmcnt(0)
	v_cvt_f64_f32_e32 v[4:5], v0
.LBB130_66:
	s_or_b64 exec, exec, s[10:11]
                                        ; implicit-def: $vgpr0_vgpr1
.LBB130_67:
	s_andn2_saveexec_b64 s[8:9], s[8:9]
	s_cbranch_execz .LBB130_69
; %bb.68:
	flat_load_ushort v0, v[0:1]
	s_waitcnt vmcnt(0) lgkmcnt(0)
	v_cvt_f32_f16_e32 v0, v0
	v_cvt_f64_f32_e32 v[4:5], v0
.LBB130_69:
	s_or_b64 exec, exec, s[8:9]
	s_waitcnt vmcnt(0) lgkmcnt(0)
	v_mov_b64_e32 v[6:7], 0
.LBB130_70:
	s_or_b64 exec, exec, s[6:7]
                                        ; implicit-def: $vgpr3
                                        ; implicit-def: $vgpr0_vgpr1
.LBB130_71:
	s_andn2_saveexec_b64 s[2:3], s[2:3]
	s_cbranch_execz .LBB130_89
; %bb.72:
	v_mov_b32_e32 v2, 1
	v_cmp_gt_i16_sdwa s[6:7], v3, v2 src0_sel:BYTE_0 src1_sel:DWORD
                                        ; implicit-def: $vgpr4_vgpr5
	s_and_saveexec_b64 s[8:9], s[6:7]
	s_xor_b64 s[6:7], exec, s[8:9]
	s_cbranch_execz .LBB130_82
; %bb.73:
	v_mov_b32_e32 v2, 2
	v_cmp_gt_i16_sdwa s[8:9], v3, v2 src0_sel:BYTE_0 src1_sel:DWORD
                                        ; implicit-def: $vgpr4_vgpr5
	s_and_saveexec_b64 s[10:11], s[8:9]
	s_xor_b64 s[8:9], exec, s[10:11]
	;; [unrolled: 7-line block ×3, first 2 shown]
	s_cbranch_execz .LBB130_76
; %bb.75:
	flat_load_dwordx2 v[0:1], v[0:1]
	s_waitcnt vmcnt(0) lgkmcnt(0)
	v_cvt_f64_i32_e32 v[2:3], v1
	v_ldexp_f64 v[2:3], v[2:3], 32
	v_cvt_f64_u32_e32 v[0:1], v0
	v_add_f64 v[4:5], v[2:3], v[0:1]
                                        ; implicit-def: $vgpr0_vgpr1
.LBB130_76:
	s_andn2_saveexec_b64 s[10:11], s[10:11]
	s_cbranch_execz .LBB130_78
; %bb.77:
	flat_load_dword v0, v[0:1]
	s_waitcnt vmcnt(0) lgkmcnt(0)
	v_cvt_f64_i32_e32 v[4:5], v0
.LBB130_78:
	s_or_b64 exec, exec, s[10:11]
                                        ; implicit-def: $vgpr0_vgpr1
.LBB130_79:
	s_andn2_saveexec_b64 s[8:9], s[8:9]
	s_cbranch_execz .LBB130_81
; %bb.80:
	flat_load_sshort v0, v[0:1]
	s_waitcnt vmcnt(0) lgkmcnt(0)
	v_cvt_f64_i32_e32 v[4:5], v0
.LBB130_81:
	s_or_b64 exec, exec, s[8:9]
                                        ; implicit-def: $vgpr0_vgpr1
                                        ; implicit-def: $vgpr3
.LBB130_82:
	s_andn2_saveexec_b64 s[6:7], s[6:7]
	s_cbranch_execz .LBB130_88
; %bb.83:
	v_mov_b32_e32 v2, 0
	v_cmp_gt_i16_sdwa s[8:9], v3, v2 src0_sel:BYTE_0 src1_sel:DWORD
                                        ; implicit-def: $vgpr4_vgpr5
	s_and_saveexec_b64 s[10:11], s[8:9]
	s_xor_b64 s[8:9], exec, s[10:11]
	s_cbranch_execz .LBB130_85
; %bb.84:
	flat_load_sbyte v0, v[0:1]
	s_waitcnt vmcnt(0) lgkmcnt(0)
	v_cvt_f64_i32_e32 v[4:5], v0
                                        ; implicit-def: $vgpr0_vgpr1
.LBB130_85:
	s_andn2_saveexec_b64 s[8:9], s[8:9]
	s_cbranch_execz .LBB130_87
; %bb.86:
	flat_load_ubyte v0, v[0:1]
	s_waitcnt vmcnt(0) lgkmcnt(0)
	v_cvt_f64_u32_e32 v[4:5], v0
.LBB130_87:
	s_or_b64 exec, exec, s[8:9]
.LBB130_88:
	s_or_b64 exec, exec, s[6:7]
	s_waitcnt vmcnt(0) lgkmcnt(0)
	v_mov_b64_e32 v[6:7], 0
.LBB130_89:
	s_or_b64 exec, exec, s[2:3]
	s_or_b64 s[4:5], s[4:5], exec
	s_or_b64 exec, exec, s[0:1]
                                        ; implicit-def: $vgpr0_vgpr1
                                        ; implicit-def: $vgpr2_vgpr3
	s_and_saveexec_b64 s[2:3], s[4:5]
	s_cbranch_execnz .LBB130_42
.LBB130_90:
	s_or_b64 exec, exec, s[2:3]
	s_waitcnt vmcnt(0) lgkmcnt(0)
	s_setpc_b64 s[30:31]
.LBB130_91:
	s_andn2_saveexec_b64 s[4:5], s[4:5]
	s_cbranch_execz .LBB130_37
.LBB130_92:
	v_mov_b32_e32 v2, 22
	v_cmp_gt_i16_sdwa s[2:3], v3, v2 src0_sel:BYTE_0 src1_sel:DWORD
	s_mov_b64 s[10:11], s[6:7]
                                        ; implicit-def: $vgpr4_vgpr5
	s_and_saveexec_b64 s[12:13], s[2:3]
	s_xor_b64 s[2:3], exec, s[12:13]
	s_cbranch_execz .LBB130_110
; %bb.93:
	v_mov_b32_e32 v2, 23
	v_cmp_gt_i16_sdwa s[10:11], v3, v2 src0_sel:BYTE_0 src1_sel:DWORD
                                        ; implicit-def: $vgpr4_vgpr5
	s_and_saveexec_b64 s[12:13], s[10:11]
	s_xor_b64 s[10:11], exec, s[12:13]
	s_cbranch_execz .LBB130_107
; %bb.94:
	v_mov_b32_e32 v2, 24
	v_cmp_gt_i16_sdwa s[12:13], v3, v2 src0_sel:BYTE_0 src1_sel:DWORD
                                        ; implicit-def: $vgpr4_vgpr5
	s_and_saveexec_b64 s[14:15], s[12:13]
	s_xor_b64 s[12:13], exec, s[14:15]
	s_cbranch_execz .LBB130_104
; %bb.95:
	flat_load_ubyte v2, v[0:1]
	s_movk_i32 s14, 0x7f
	s_waitcnt vmcnt(0) lgkmcnt(0)
	v_cmp_lt_i16_e32 vcc, s14, v2
	s_mov_b64 s[14:15], 0
	s_and_saveexec_b64 s[16:17], vcc
	s_xor_b64 s[16:17], exec, s[16:17]
	s_cbranch_execz .LBB130_99
; %bb.96:
	s_movk_i32 s14, 0x80
	v_cmp_eq_u16_e32 vcc, s14, v2
	s_mov_b64 s[14:15], -1
	s_and_saveexec_b64 s[18:19], vcc
; %bb.97:
	s_xor_b64 s[14:15], exec, -1
; %bb.98:
	s_or_b64 exec, exec, s[18:19]
	s_and_b64 s[14:15], s[14:15], exec
.LBB130_99:
	s_or_saveexec_b64 s[16:17], s[16:17]
	v_bfrev_b32_e32 v4, 4
	v_mov_b32_e32 v5, 0x7ff80000
	s_xor_b64 exec, exec, s[16:17]
; %bb.100:
	v_cmp_ne_u16_e32 vcc, 0, v2
	s_andn2_b64 s[14:15], s[14:15], exec
	s_and_b64 s[18:19], vcc, exec
	v_mov_b64_e32 v[4:5], 0
	s_or_b64 s[14:15], s[14:15], s[18:19]
; %bb.101:
	s_or_b64 exec, exec, s[16:17]
	s_and_saveexec_b64 s[16:17], s[14:15]
	s_cbranch_execz .LBB130_103
; %bb.102:
	v_lshlrev_b32_e32 v3, 24, v2
	v_and_b32_e32 v2, 0xffff, v2
	v_and_b32_e32 v4, 3, v2
	v_ffbh_u32_e32 v6, v4
	v_min_u32_e32 v6, 32, v6
	v_subrev_u32_e32 v7, 29, v6
	v_bfe_u32 v5, v2, 2, 5
	v_lshlrev_b32_e32 v2, v7, v2
	v_sub_u32_e32 v6, 30, v6
	v_and_b32_e32 v2, 3, v2
	v_cmp_eq_u32_e32 vcc, 0, v5
	v_and_b32_e32 v3, 0x80000000, v3
	s_nop 0
	v_cndmask_b32_e32 v5, v5, v6, vcc
	v_cndmask_b32_e32 v2, v4, v2, vcc
	v_mov_b32_e32 v4, 0x37800000
	v_lshlrev_b32_e32 v2, 21, v2
	v_lshl_add_u32 v4, v5, 23, v4
	v_or3_b32 v2, v3, v4, v2
	v_cvt_f64_f32_e32 v[4:5], v2
.LBB130_103:
	s_or_b64 exec, exec, s[16:17]
.LBB130_104:
	s_andn2_saveexec_b64 s[12:13], s[12:13]
	s_cbranch_execz .LBB130_106
; %bb.105:
	flat_load_ubyte v2, v[0:1]
	s_mov_b32 s14, 0x7f800000
	s_waitcnt vmcnt(0) lgkmcnt(0)
	v_lshlrev_b32_e32 v2, 24, v2
	v_and_b32_e32 v3, 0x7f000000, v2
	v_ffbh_u32_e32 v4, v3
	v_min_u32_e32 v4, 32, v4
	v_sub_u32_e64 v4, v4, 4 clamp
	v_lshlrev_b32_e32 v6, v4, v3
	v_lshlrev_b32_e32 v4, 23, v4
	v_lshrrev_b32_e32 v6, 4, v6
	v_add_u32_e32 v5, 0x1000000, v3
	v_sub_u32_e32 v4, v6, v4
	v_ashrrev_i32_e32 v5, 8, v5
	v_add_u32_e32 v4, 0x3c000000, v4
	v_and_or_b32 v4, v5, s14, v4
	v_cmp_ne_u32_e32 vcc, 0, v3
	s_brev_b32 s14, 1
	s_nop 0
	v_cndmask_b32_e32 v3, 0, v4, vcc
	v_and_or_b32 v2, v2, s14, v3
	v_cvt_f64_f32_e32 v[4:5], v2
.LBB130_106:
	s_or_b64 exec, exec, s[12:13]
.LBB130_107:
	s_andn2_saveexec_b64 s[10:11], s[10:11]
	s_cbranch_execz .LBB130_109
; %bb.108:
	flat_load_ubyte v2, v[0:1]
	s_movk_i32 s12, 0x7f00
	s_brev_b32 s13, 16
	s_waitcnt vmcnt(0) lgkmcnt(0)
	v_lshlrev_b16_e32 v3, 8, v2
	v_lshlrev_b32_e32 v2, 25, v2
	v_lshrrev_b32_e32 v4, 4, v2
	v_and_or_b32 v5, v3, s12, 0.5
	v_or_b32_e32 v4, 0x70000000, v4
	v_add_f32_e32 v5, -0.5, v5
	v_mul_f32_e32 v4, 0x7800000, v4
	v_cmp_gt_u32_e32 vcc, s13, v2
	v_bfe_i32 v3, v3, 0, 16
	s_brev_b32 s12, 1
	v_cndmask_b32_e32 v2, v4, v5, vcc
	v_and_or_b32 v2, v3, s12, v2
	v_cvt_f64_f32_e32 v[4:5], v2
.LBB130_109:
	s_or_b64 exec, exec, s[10:11]
	s_or_b64 s[10:11], s[6:7], exec
                                        ; implicit-def: $vgpr3
.LBB130_110:
	s_or_saveexec_b64 s[2:3], s[2:3]
	s_mov_b64 s[14:15], 0
	s_mov_b64 s[12:13], s[8:9]
	s_xor_b64 exec, exec, s[2:3]
	s_cbranch_execz .LBB130_118
; %bb.111:
	v_mov_b32_e32 v2, 14
	v_cmp_gt_i16_sdwa s[16:17], v3, v2 src0_sel:BYTE_0 src1_sel:DWORD
	s_mov_b64 s[12:13], s[8:9]
	s_mov_b64 s[14:15], s[10:11]
                                        ; implicit-def: $vgpr4_vgpr5
	s_and_saveexec_b64 s[18:19], s[16:17]
	s_xor_b64 s[16:17], exec, s[18:19]
	s_cbranch_execz .LBB130_115
; %bb.112:
	v_mov_b32_e32 v2, 15
	v_cmp_eq_u16_sdwa s[20:21], v3, v2 src0_sel:BYTE_0 src1_sel:DWORD
	s_mov_b64 s[12:13], -1
	s_mov_b64 s[14:15], s[10:11]
                                        ; implicit-def: $vgpr4_vgpr5
	s_and_saveexec_b64 s[18:19], s[20:21]
	s_cbranch_execz .LBB130_114
; %bb.113:
	flat_load_ushort v2, v[0:1]
	s_or_b64 s[14:15], s[10:11], exec
	s_xor_b64 s[12:13], exec, -1
	s_waitcnt vmcnt(0) lgkmcnt(0)
	v_lshlrev_b32_e32 v2, 16, v2
	v_cvt_f64_f32_e32 v[4:5], v2
.LBB130_114:
	s_or_b64 exec, exec, s[18:19]
	s_andn2_b64 s[18:19], s[10:11], exec
	s_and_b64 s[14:15], s[14:15], exec
	s_or_b64 s[14:15], s[18:19], s[14:15]
	s_andn2_b64 s[18:19], s[8:9], exec
	s_and_b64 s[12:13], s[12:13], exec
	s_or_b64 s[12:13], s[18:19], s[12:13]
                                        ; implicit-def: $vgpr3
.LBB130_115:
	s_or_saveexec_b64 s[16:17], s[16:17]
	s_mov_b64 s[18:19], 0
	s_xor_b64 exec, exec, s[16:17]
; %bb.116:
	v_mov_b32_e32 v2, 11
	v_cmp_ne_u16_sdwa s[20:21], v3, v2 src0_sel:BYTE_0 src1_sel:DWORD
	s_andn2_b64 s[12:13], s[12:13], exec
	s_and_b64 s[20:21], s[20:21], exec
	s_mov_b64 s[18:19], exec
	s_or_b64 s[12:13], s[12:13], s[20:21]
; %bb.117:
	s_or_b64 exec, exec, s[16:17]
	s_andn2_b64 s[10:11], s[10:11], exec
	s_and_b64 s[14:15], s[14:15], exec
	s_andn2_b64 s[16:17], s[8:9], exec
	s_and_b64 s[12:13], s[12:13], exec
	s_or_b64 s[10:11], s[10:11], s[14:15]
	s_and_b64 s[14:15], s[18:19], exec
	s_or_b64 s[12:13], s[16:17], s[12:13]
.LBB130_118:
	s_or_b64 exec, exec, s[2:3]
	s_andn2_b64 s[2:3], s[6:7], exec
	s_and_b64 s[6:7], s[10:11], exec
	s_andn2_b64 s[8:9], s[8:9], exec
	s_and_b64 s[10:11], s[12:13], exec
	v_mov_b64_e32 v[6:7], 0
	s_or_b64 s[6:7], s[2:3], s[6:7]
	s_and_b64 s[2:3], s[14:15], exec
	s_or_b64 s[8:9], s[8:9], s[10:11]
	s_or_b64 exec, exec, s[4:5]
	s_and_saveexec_b64 s[4:5], s[8:9]
	s_cbranch_execz .LBB130_38
.LBB130_119:
	s_trap 2
	; divergent unreachable
	s_andn2_b64 s[2:3], s[2:3], exec
	s_or_b64 exec, exec, s[4:5]
	s_and_saveexec_b64 s[4:5], s[2:3]
	s_xor_b64 s[2:3], exec, s[4:5]
	s_cbranch_execnz .LBB130_39
	s_branch .LBB130_40
.LBB130_120:
	s_andn2_saveexec_b64 s[0:1], s[6:7]
	s_cbranch_execz .LBB130_122
.LBB130_121:
	s_mov_b32 s6, 0x6dc9c883
	s_mov_b32 s7, 0x3fe45f30
	v_mul_f64 v[10:11], |v[6:7]|, s[6:7]
	s_mov_b32 s6, 0x54442d18
	v_rndne_f64_e32 v[14:15], v[10:11]
	s_mov_b32 s7, 0xbff921fb
	v_fma_f64 v[10:11], v[14:15], s[6:7], |v[6:7]|
	s_mov_b32 s7, 0xbc91a626
	s_mov_b32 s6, 0x33145c00
	v_mul_f64 v[16:17], v[14:15], s[6:7]
	v_add_f64 v[28:29], v[10:11], v[16:17]
	v_fma_f64 v[12:13], s[6:7], v[14:15], v[10:11]
	s_mov_b32 s7, 0x3c91a626
	v_add_f64 v[10:11], v[10:11], -v[28:29]
	v_fma_f64 v[26:27], s[6:7], v[14:15], v[16:17]
	v_add_f64 v[10:11], v[10:11], v[16:17]
	v_add_f64 v[16:17], v[28:29], -v[12:13]
	v_add_f64 v[10:11], v[16:17], v[10:11]
	s_mov_b32 s6, 0x252049c0
	v_add_f64 v[16:17], v[10:11], -v[26:27]
	s_mov_b32 s7, 0xb97b839a
	v_fmac_f64_e32 v[16:17], s[6:7], v[14:15]
	v_add_f64 v[10:11], v[12:13], v[16:17]
	v_add_f64 v[12:13], v[10:11], -v[12:13]
	v_add_f64 v[12:13], v[16:17], -v[12:13]
	v_cvt_i32_f64_e32 v25, v[14:15]
.LBB130_122:
	s_or_b64 exec, exec, s[0:1]
                                        ; implicit-def: $vgpr26
                                        ; implicit-def: $vgpr14_vgpr15
                                        ; implicit-def: $vgpr16_vgpr17
	s_and_saveexec_b64 s[0:1], s[4:5]
	s_xor_b64 s[4:5], exec, s[0:1]
	s_cbranch_execz .LBB130_124
; %bb.123:
	s_mov_b32 s0, 0
	s_mov_b32 s1, 0x7b000000
	s_movk_i32 s6, 0xff80
	v_and_b32_e32 v16, 0x7fffffff, v7
	v_ldexp_f64 v[14:15], |v[6:7]|, s6
	v_cmp_ge_f64_e64 vcc, |v[6:7]|, s[0:1]
	s_mov_b32 s0, 0
	s_mov_b32 s1, 0x7ff00000
	v_cndmask_b32_e32 v15, v16, v15, vcc
	v_cndmask_b32_e32 v14, v6, v14, vcc
	v_mul_f64 v[26:27], v[22:23], v[14:15]
	v_mul_f64 v[16:17], v[20:21], v[14:15]
	v_fma_f64 v[22:23], v[22:23], v[14:15], -v[26:27]
	v_add_f64 v[28:29], v[16:17], v[22:23]
	v_add_f64 v[36:37], v[28:29], -v[16:17]
	v_add_f64 v[22:23], v[22:23], -v[36:37]
	;; [unrolled: 1-line block ×4, first 2 shown]
	v_fma_f64 v[16:17], v[20:21], v[14:15], -v[16:17]
	v_mul_f64 v[20:21], v[18:19], v[14:15]
	v_add_f64 v[22:23], v[22:23], v[36:37]
	v_add_f64 v[36:37], v[20:21], v[16:17]
	;; [unrolled: 1-line block ×4, first 2 shown]
	v_ldexp_f64 v[32:33], v[30:31], -2
	v_add_f64 v[26:27], v[30:31], -v[26:27]
	v_add_f64 v[30:31], v[38:39], -v[36:37]
	;; [unrolled: 1-line block ×5, first 2 shown]
	v_add_f64 v[22:23], v[22:23], v[30:31]
	v_add_f64 v[30:31], v[36:37], -v[20:21]
	v_add_f64 v[16:17], v[16:17], -v[30:31]
	;; [unrolled: 1-line block ×4, first 2 shown]
	v_add_f64 v[16:17], v[16:17], v[30:31]
	v_fract_f64_e32 v[34:35], v[32:33]
	v_add_f64 v[16:17], v[16:17], v[22:23]
	v_fma_f64 v[14:15], v[18:19], v[14:15], -v[20:21]
	v_add_f64 v[26:27], v[28:29], -v[26:27]
	v_add_f64 v[14:15], v[14:15], v[16:17]
	v_ldexp_f64 v[16:17], v[34:35], 2
	v_cmp_neq_f64_e64 vcc, |v[32:33]|, s[0:1]
	v_add_f64 v[28:29], v[26:27], v[38:39]
	v_mov_b32_e32 v20, 0x40100000
	v_cndmask_b32_e32 v17, 0, v17, vcc
	v_cndmask_b32_e32 v16, 0, v16, vcc
	v_add_f64 v[18:19], v[28:29], v[16:17]
	v_cmp_gt_f64_e32 vcc, 0, v[18:19]
	v_mov_b32_e32 v18, 0
	v_add_f64 v[26:27], v[28:29], -v[26:27]
	v_cndmask_b32_e32 v19, 0, v20, vcc
	v_add_f64 v[16:17], v[16:17], v[18:19]
	v_add_f64 v[20:21], v[28:29], v[16:17]
	v_cvt_i32_f64_e32 v19, v[20:21]
	v_cvt_f64_i32_e32 v[20:21], v19
	v_add_f64 v[16:17], v[16:17], -v[20:21]
	v_add_f64 v[20:21], v[28:29], v[16:17]
	v_add_f64 v[26:27], v[38:39], -v[26:27]
	v_add_f64 v[16:17], v[20:21], -v[16:17]
	v_add_f64 v[14:15], v[26:27], v[14:15]
	v_add_f64 v[16:17], v[28:29], -v[16:17]
	v_add_f64 v[14:15], v[14:15], v[16:17]
	v_cmp_le_f64_e32 vcc, 0.5, v[20:21]
	v_mov_b32_e32 v16, 0x3ff00000
	s_mov_b32 s6, 0x33145c07
	v_addc_co_u32_e64 v26, s[0:1], 0, v19, vcc
	v_cndmask_b32_e32 v19, 0, v16, vcc
	v_add_f64 v[16:17], v[20:21], -v[18:19]
	v_add_f64 v[18:19], v[16:17], v[14:15]
	s_mov_b32 s0, 0x54442d18
	v_add_f64 v[16:17], v[18:19], -v[16:17]
	s_mov_b32 s1, 0x3ff921fb
	v_add_f64 v[14:15], v[14:15], -v[16:17]
	v_mul_f64 v[16:17], v[18:19], s[0:1]
	v_fma_f64 v[20:21], v[18:19], s[0:1], -v[16:17]
	s_mov_b32 s7, 0x3c91a626
	v_fmac_f64_e32 v[20:21], s[6:7], v[18:19]
	v_fmac_f64_e32 v[20:21], s[0:1], v[14:15]
	v_add_f64 v[14:15], v[16:17], v[20:21]
	v_add_f64 v[16:17], v[14:15], -v[16:17]
	v_add_f64 v[16:17], v[20:21], -v[16:17]
	s_andn2_saveexec_b64 s[0:1], s[4:5]
	s_cbranch_execnz .LBB130_125
	s_branch .LBB130_126
.LBB130_124:
	s_andn2_saveexec_b64 s[0:1], s[4:5]
	s_cbranch_execz .LBB130_126
.LBB130_125:
	s_mov_b32 s4, 0x6dc9c883
	s_mov_b32 s5, 0x3fe45f30
	v_mul_f64 v[14:15], |v[6:7]|, s[4:5]
	s_mov_b32 s4, 0x54442d18
	v_rndne_f64_e32 v[18:19], v[14:15]
	s_mov_b32 s5, 0xbff921fb
	v_fma_f64 v[14:15], v[18:19], s[4:5], |v[6:7]|
	s_mov_b32 s5, 0xbc91a626
	s_mov_b32 s4, 0x33145c00
	v_mul_f64 v[20:21], v[18:19], s[4:5]
	v_add_f64 v[26:27], v[14:15], v[20:21]
	v_fma_f64 v[16:17], s[4:5], v[18:19], v[14:15]
	s_mov_b32 s5, 0x3c91a626
	v_add_f64 v[14:15], v[14:15], -v[26:27]
	v_fma_f64 v[22:23], s[4:5], v[18:19], v[20:21]
	v_add_f64 v[14:15], v[14:15], v[20:21]
	v_add_f64 v[20:21], v[26:27], -v[16:17]
	v_add_f64 v[14:15], v[20:21], v[14:15]
	s_mov_b32 s4, 0x252049c0
	v_add_f64 v[20:21], v[14:15], -v[22:23]
	s_mov_b32 s5, 0xb97b839a
	v_fmac_f64_e32 v[20:21], s[4:5], v[18:19]
	v_add_f64 v[14:15], v[16:17], v[20:21]
	v_add_f64 v[16:17], v[14:15], -v[16:17]
	v_add_f64 v[16:17], v[20:21], -v[16:17]
	v_cvt_i32_f64_e32 v26, v[18:19]
.LBB130_126:
	s_or_b64 exec, exec, s[0:1]
	s_mov_b32 s0, 0x652b82fe
	s_mov_b32 s1, 0x3ff71547
	v_mul_f64 v[18:19], v[4:5], s[0:1]
	v_rndne_f64_e32 v[22:23], v[18:19]
	s_mov_b32 s11, 0xbfe62e42
	s_mov_b32 s10, 0xfefa39ef
	;; [unrolled: 1-line block ×3, first 2 shown]
	v_fma_f64 v[20:21], s[10:11], v[22:23], v[4:5]
	s_mov_b32 s1, 0xbc7abc9e
	v_fmac_f64_e32 v[20:21], s[0:1], v[22:23]
	s_mov_b32 s0, 0x6a5dcb37
	v_mov_b32_e32 v18, 0xfca7ab0c
	v_mov_b32_e32 v19, 0x3e928af3
	s_mov_b32 s1, 0x3e5ade15
	v_fmac_f64_e32 v[18:19], s[0:1], v[20:21]
	v_mov_b32_e32 v28, 0x623fde64
	v_mov_b32_e32 v29, 0x3ec71dee
	v_fmac_f64_e32 v[28:29], v[20:21], v[18:19]
	v_mov_b32_e32 v18, 0x7c89e6b0
	v_mov_b32_e32 v19, 0x3efa0199
	;; [unrolled: 3-line block ×3, first 2 shown]
	v_mov_b64_e32 v[30:31], v[28:29]
	v_mov_b32_e32 v32, 0x1852b7b0
	v_mov_b32_e32 v33, 0x3f56c16c
	v_fmac_f64_e32 v[30:31], v[20:21], v[18:19]
	v_mov_b64_e32 v[18:19], v[32:33]
	v_fmac_f64_e32 v[18:19], v[20:21], v[30:31]
	v_mov_b32_e32 v30, 0x11122322
	v_mov_b32_e32 v31, 0x3f811111
	v_mov_b64_e32 v[34:35], v[30:31]
	v_mov_b32_e32 v36, 0x555502a1
	v_mov_b32_e32 v37, 0x3fa55555
	v_fmac_f64_e32 v[34:35], v[20:21], v[18:19]
	v_mov_b64_e32 v[18:19], v[36:37]
	v_fmac_f64_e32 v[18:19], v[20:21], v[34:35]
	v_mov_b32_e32 v34, 0x55555511
	v_mov_b32_e32 v35, 0x3fc55555
	v_mov_b64_e32 v[38:39], v[34:35]
	v_fmac_f64_e32 v[38:39], v[20:21], v[18:19]
	v_mov_b32_e32 v18, 11
	v_mov_b32_e32 v19, 0x3fe00000
	v_fmac_f64_e32 v[18:19], v[20:21], v[38:39]
	v_fma_f64 v[18:19], v[20:21], v[18:19], 1.0
	s_mov_b32 s8, 0
	s_mov_b32 s0, 0
	v_fma_f64 v[18:19], v[20:21], v[18:19], 1.0
	v_cvt_i32_f64_e32 v27, v[22:23]
	s_mov_b32 s9, 0x40900000
	s_mov_b32 s1, 0xc090cc00
	v_ldexp_f64 v[18:19], v[18:19], v27
	v_mov_b32_e32 v50, 0x7ff00000
	v_cmp_nlt_f64_e32 vcc, s[8:9], v[4:5]
	v_cmp_ngt_f64_e64 s[0:1], s[0:1], v[4:5]
	v_ldexp_f64 v[38:39], 1.0, v27
	v_cndmask_b32_e32 v19, v50, v19, vcc
	s_and_b64 vcc, s[0:1], vcc
	v_cndmask_b32_e64 v19, 0, v19, s[0:1]
	v_cndmask_b32_e32 v18, 0, v18, vcc
	v_mov_b32_e32 v27, 0x7fe00000
	v_cmp_eq_f64_e32 vcc, s[8:9], v[22:23]
	s_mov_b32 s0, 0xa9d67f34
	s_mov_b32 s1, 0x3e21f32e
	v_cndmask_b32_e32 v23, v39, v27, vcc
	v_cndmask_b32_e64 v22, v38, 0, vcc
	v_mov_b32_e32 v38, 0x2a1b768b
	v_mov_b32_e32 v39, 0x3e5af4eb
	v_fmac_f64_e32 v[38:39], s[0:1], v[20:21]
	v_mov_b32_e32 v48, 0xe0ac05b
	v_mov_b32_e32 v49, 0x3e927e50
	v_fmac_f64_e32 v[48:49], v[20:21], v[38:39]
	;; [unrolled: 3-line block ×4, first 2 shown]
	v_mov_b32_e32 v28, 0x1ac1a723
	v_fmac_f64_e32 v[28:29], v[20:21], v[48:49]
	v_mov_b32_e32 v32, 0x16c18931
	v_fmac_f64_e32 v[32:33], v[20:21], v[28:29]
	;; [unrolled: 2-line block ×5, first 2 shown]
	v_fma_f64 v[28:29], v[20:21], v[34:35], 0.5
	v_mul_f64 v[28:29], v[20:21], v[28:29]
	v_fmac_f64_e32 v[20:21], v[20:21], v[28:29]
	v_add_f64 v[28:29], v[22:23], -1.0
	v_fmac_f64_e32 v[28:29], v[22:23], v[20:21]
	v_add_f64 v[20:21], v[28:29], v[28:29]
	s_mov_b32 s11, 0x40862e42
	s_mov_b32 s0, 0
	v_cndmask_b32_e32 v20, v28, v20, vcc
	v_cndmask_b32_e32 v21, v29, v21, vcc
	v_cmp_nlt_f64_e32 vcc, s[10:11], v[4:5]
	s_mov_b32 s1, 0xc0428000
	v_mov_b32_e32 v22, 0xbff00000
	v_cndmask_b32_e32 v21, v50, v21, vcc
	v_cmp_ngt_f64_e64 s[0:1], s[0:1], v[4:5]
	s_and_b64 vcc, s[0:1], vcc
	s_mov_b32 s10, 0x46cc5e42
	v_cndmask_b32_e64 v5, v22, v21, s[0:1]
	s_mov_b32 s0, 0x9037ab78
	s_mov_b32 s1, 0x3e21eeb6
	v_cndmask_b32_e32 v4, 0, v20, vcc
	v_mul_f64 v[22:23], v[10:11], v[10:11]
	s_mov_b32 s11, 0xbda907db
	v_mov_b64_e32 v[20:21], s[0:1]
	s_mov_b32 s12, 0xa17f65f6
	s_mov_b32 s8, 0x19f4ec90
	v_mul_f64 v[28:29], v[22:23], 0.5
	v_fma_f64 v[34:35], s[10:11], v[22:23], v[20:21]
	s_mov_b32 s13, 0xbe927e4f
	s_mov_b32 s9, 0x3efa01a0
	v_add_f64 v[30:31], -v[28:29], 1.0
	v_fma_f64 v[34:35], v[22:23], v[34:35], s[12:13]
	s_mov_b32 s14, 0x16c16967
	s_mov_b32 s6, 0x55555555
	v_fma_f64 v[34:35], v[22:23], v[34:35], s[8:9]
	s_mov_b32 s15, 0xbf56c16c
	v_add_f64 v[36:37], -v[30:31], 1.0
	s_mov_b32 s7, 0x3fa55555
	v_fma_f64 v[34:35], v[22:23], v[34:35], s[14:15]
	v_add_f64 v[28:29], v[36:37], -v[28:29]
	s_mov_b32 s0, 0xb42fdfa7
	v_mul_f64 v[32:33], v[22:23], v[22:23]
	v_fma_f64 v[34:35], v[22:23], v[34:35], s[6:7]
	v_fma_f64 v[28:29], v[10:11], -v[12:13], v[28:29]
	s_mov_b32 s1, 0xbe5ae600
	s_mov_b32 s16, 0xf9a43bb8
	v_fmac_f64_e32 v[28:29], v[32:33], v[34:35]
	s_mov_b32 s17, 0x3de5e0b2
	v_mov_b64_e32 v[32:33], s[0:1]
	s_mov_b32 s18, 0x796cde01
	v_fma_f64 v[34:35], s[16:17], v[22:23], v[32:33]
	s_mov_b32 s19, 0x3ec71de3
	s_mov_b32 s20, 0x19e83e5c
	;; [unrolled: 1-line block ×3, first 2 shown]
	v_fma_f64 v[34:35], v[22:23], v[34:35], s[18:19]
	s_mov_b32 s21, 0xbf2a01a0
	s_mov_b32 s5, 0x3f811111
	v_fma_f64 v[34:35], v[22:23], v[34:35], s[20:21]
	v_add_f64 v[28:29], v[30:31], v[28:29]
	v_mul_f64 v[30:31], v[10:11], -v[22:23]
	v_fma_f64 v[34:35], v[22:23], v[34:35], s[4:5]
	v_mul_f64 v[36:37], v[12:13], 0.5
	v_fmac_f64_e32 v[36:37], v[30:31], v[34:35]
	v_fma_f64 v[12:13], v[22:23], v[36:37], -v[12:13]
	s_mov_b32 s23, 0xbfc55555
	s_mov_b32 s22, s6
	v_fmac_f64_e32 v[12:13], s[22:23], v[30:31]
	v_and_b32_e32 v27, 1, v25
	v_add_f64 v[10:11], v[10:11], -v[12:13]
	v_xor_b32_e32 v11, 0x80000000, v11
	v_cmp_eq_u32_e32 vcc, 0, v27
	s_brev_b32 s25, 1
	v_lshlrev_b32_e32 v12, 30, v25
	v_cndmask_b32_e32 v11, v11, v29, vcc
	v_bitop3_b32 v11, v11, v12, s25 bitop3:0x78
	v_mul_f64 v[12:13], v[2:3], v[2:3]
	v_cndmask_b32_e32 v10, v10, v28, vcc
	v_fma_f64 v[28:29], s[16:17], v[12:13], v[32:33]
	v_fma_f64 v[28:29], v[12:13], v[28:29], s[18:19]
	;; [unrolled: 1-line block ×3, first 2 shown]
	v_mul_f64 v[22:23], v[2:3], -v[12:13]
	v_fma_f64 v[28:29], v[12:13], v[28:29], s[4:5]
	v_mul_f64 v[30:31], v[8:9], 0.5
	v_fmac_f64_e32 v[30:31], v[22:23], v[28:29]
	v_fma_f64 v[28:29], v[12:13], v[30:31], -v[8:9]
	v_fma_f64 v[36:37], s[10:11], v[12:13], v[20:21]
	v_fmac_f64_e32 v[28:29], s[22:23], v[22:23]
	v_fma_f64 v[36:37], v[12:13], v[36:37], s[12:13]
	v_add_f64 v[22:23], v[2:3], -v[28:29]
	v_mul_f64 v[28:29], v[12:13], 0.5
	v_fma_f64 v[36:37], v[12:13], v[36:37], s[8:9]
	v_add_f64 v[30:31], -v[28:29], 1.0
	v_fma_f64 v[36:37], v[12:13], v[36:37], s[14:15]
	v_mul_f64 v[34:35], v[12:13], v[12:13]
	v_fma_f64 v[12:13], v[12:13], v[36:37], s[6:7]
	v_add_f64 v[36:37], -v[30:31], 1.0
	v_add_f64 v[28:29], v[36:37], -v[28:29]
	v_fma_f64 v[2:3], v[2:3], -v[8:9], v[28:29]
	v_and_b32_e32 v25, 1, v24
	v_fmac_f64_e32 v[2:3], v[34:35], v[12:13]
	v_add_f64 v[2:3], v[30:31], v[2:3]
	v_cmp_eq_u32_e64 s[0:1], 0, v25
	v_lshlrev_b32_e32 v8, 30, v24
	s_movk_i32 s24, 0x1f8
	v_cndmask_b32_e64 v3, v3, v23, s[0:1]
	v_xor_b32_e32 v8, v8, v1
	v_cmp_class_f64_e64 vcc, v[6:7], s24
	v_mov_b32_e32 v6, 0x7ff80000
	v_cndmask_b32_e64 v2, v2, v22, s[0:1]
	v_bitop3_b32 v3, v3, v8, s25 bitop3:0x78
	v_cmp_class_f64_e64 s[0:1], v[0:1], s24
	v_cndmask_b32_e32 v10, 0, v10, vcc
	v_cndmask_b32_e32 v11, v6, v11, vcc
	v_cndmask_b32_e64 v0, 0, v2, s[0:1]
	v_cndmask_b32_e64 v1, v6, v3, s[0:1]
	v_add_f64 v[2:3], v[0:1], v[0:1]
	v_mul_f64 v[0:1], v[2:3], v[0:1]
	v_mul_f64 v[2:3], v[14:15], v[14:15]
	v_fma_f64 v[0:1], v[4:5], v[10:11], -v[0:1]
	v_mul_f64 v[4:5], v[2:3], 0.5
	v_fmac_f64_e32 v[20:21], s[10:11], v[2:3]
	v_add_f64 v[8:9], -v[4:5], 1.0
	v_fma_f64 v[12:13], v[2:3], v[20:21], s[12:13]
	v_add_f64 v[10:11], -v[8:9], 1.0
	v_fma_f64 v[12:13], v[2:3], v[12:13], s[8:9]
	v_add_f64 v[4:5], v[10:11], -v[4:5]
	v_fma_f64 v[12:13], v[2:3], v[12:13], s[14:15]
	v_mul_f64 v[10:11], v[2:3], v[2:3]
	v_fma_f64 v[12:13], v[2:3], v[12:13], s[6:7]
	v_fma_f64 v[4:5], v[14:15], -v[16:17], v[4:5]
	v_fmac_f64_e32 v[4:5], v[10:11], v[12:13]
	v_fmac_f64_e32 v[32:33], s[16:17], v[2:3]
	v_add_f64 v[4:5], v[8:9], v[4:5]
	v_fma_f64 v[8:9], v[2:3], v[32:33], s[18:19]
	v_fma_f64 v[8:9], v[2:3], v[8:9], s[20:21]
	;; [unrolled: 1-line block ×3, first 2 shown]
	v_mul_f64 v[10:11], v[14:15], -v[2:3]
	v_mul_f64 v[12:13], v[16:17], 0.5
	v_fmac_f64_e32 v[12:13], v[10:11], v[8:9]
	v_fma_f64 v[2:3], v[2:3], v[12:13], -v[16:17]
	v_fmac_f64_e32 v[2:3], s[22:23], v[10:11]
	v_and_b32_e32 v8, 1, v26
	v_add_f64 v[2:3], v[14:15], -v[2:3]
	v_cmp_eq_u32_e64 s[0:1], 0, v8
	s_nop 1
	v_cndmask_b32_e64 v2, v4, v2, s[0:1]
	v_lshlrev_b32_e32 v4, 30, v26
	v_cndmask_b32_e64 v3, v5, v3, s[0:1]
	v_xor_b32_e32 v4, v4, v7
	v_bitop3_b32 v3, v3, v4, s25 bitop3:0x78
	v_cndmask_b32_e32 v2, 0, v2, vcc
	v_cndmask_b32_e32 v3, v6, v3, vcc
	v_mul_f64 v[2:3], v[18:19], v[2:3]
	s_or_b64 exec, exec, s[2:3]
	s_setpc_b64 s[30:31]
.Lfunc_end130:
	.size	_ZN2at6native6invokeIZZZNS0_17expm1_kernel_cudaERNS_18TensorIteratorBaseEENKUlvE_clEvENKUlvE1_clEvEUlN3c107complexIdEEE_i15function_traitsIS9_EEENT1_11result_typeERKT_PrKPcPKT0_PKNS6_10ScalarTypeEi, .Lfunc_end130-_ZN2at6native6invokeIZZZNS0_17expm1_kernel_cudaERNS_18TensorIteratorBaseEENKUlvE_clEvENKUlvE1_clEvEUlN3c107complexIdEEE_i15function_traitsIS9_EEENT1_11result_typeERKT_PrKPcPKT0_PKNS6_10ScalarTypeEi
                                        ; -- End function
	.set .L_ZN2at6native6invokeIZZZNS0_17expm1_kernel_cudaERNS_18TensorIteratorBaseEENKUlvE_clEvENKUlvE1_clEvEUlN3c107complexIdEEE_i15function_traitsIS9_EEENT1_11result_typeERKT_PrKPcPKT0_PKNS6_10ScalarTypeEi.num_vgpr, 51
	.set .L_ZN2at6native6invokeIZZZNS0_17expm1_kernel_cudaERNS_18TensorIteratorBaseEENKUlvE_clEvENKUlvE1_clEvEUlN3c107complexIdEEE_i15function_traitsIS9_EEENT1_11result_typeERKT_PrKPcPKT0_PKNS6_10ScalarTypeEi.num_agpr, 0
	.set .L_ZN2at6native6invokeIZZZNS0_17expm1_kernel_cudaERNS_18TensorIteratorBaseEENKUlvE_clEvENKUlvE1_clEvEUlN3c107complexIdEEE_i15function_traitsIS9_EEENT1_11result_typeERKT_PrKPcPKT0_PKNS6_10ScalarTypeEi.numbered_sgpr, 32
	.set .L_ZN2at6native6invokeIZZZNS0_17expm1_kernel_cudaERNS_18TensorIteratorBaseEENKUlvE_clEvENKUlvE1_clEvEUlN3c107complexIdEEE_i15function_traitsIS9_EEENT1_11result_typeERKT_PrKPcPKT0_PKNS6_10ScalarTypeEi.num_named_barrier, 0
	.set .L_ZN2at6native6invokeIZZZNS0_17expm1_kernel_cudaERNS_18TensorIteratorBaseEENKUlvE_clEvENKUlvE1_clEvEUlN3c107complexIdEEE_i15function_traitsIS9_EEENT1_11result_typeERKT_PrKPcPKT0_PKNS6_10ScalarTypeEi.private_seg_size, 0
	.set .L_ZN2at6native6invokeIZZZNS0_17expm1_kernel_cudaERNS_18TensorIteratorBaseEENKUlvE_clEvENKUlvE1_clEvEUlN3c107complexIdEEE_i15function_traitsIS9_EEENT1_11result_typeERKT_PrKPcPKT0_PKNS6_10ScalarTypeEi.uses_vcc, 1
	.set .L_ZN2at6native6invokeIZZZNS0_17expm1_kernel_cudaERNS_18TensorIteratorBaseEENKUlvE_clEvENKUlvE1_clEvEUlN3c107complexIdEEE_i15function_traitsIS9_EEENT1_11result_typeERKT_PrKPcPKT0_PKNS6_10ScalarTypeEi.uses_flat_scratch, 0
	.set .L_ZN2at6native6invokeIZZZNS0_17expm1_kernel_cudaERNS_18TensorIteratorBaseEENKUlvE_clEvENKUlvE1_clEvEUlN3c107complexIdEEE_i15function_traitsIS9_EEENT1_11result_typeERKT_PrKPcPKT0_PKNS6_10ScalarTypeEi.has_dyn_sized_stack, 0
	.set .L_ZN2at6native6invokeIZZZNS0_17expm1_kernel_cudaERNS_18TensorIteratorBaseEENKUlvE_clEvENKUlvE1_clEvEUlN3c107complexIdEEE_i15function_traitsIS9_EEENT1_11result_typeERKT_PrKPcPKT0_PKNS6_10ScalarTypeEi.has_recursion, 0
	.set .L_ZN2at6native6invokeIZZZNS0_17expm1_kernel_cudaERNS_18TensorIteratorBaseEENKUlvE_clEvENKUlvE1_clEvEUlN3c107complexIdEEE_i15function_traitsIS9_EEENT1_11result_typeERKT_PrKPcPKT0_PKNS6_10ScalarTypeEi.has_indirect_call, 0
	.section	.AMDGPU.csdata,"",@progbits
; Function info:
; codeLenInByte = 6632
; TotalNumSgprs: 38
; NumVgprs: 51
; NumAgprs: 0
; TotalNumVgprs: 51
; ScratchSize: 0
; MemoryBound: 1
	.section	.text._ZN2at6native32elementwise_kernel_manual_unrollILi128ELi4EZNS0_15gpu_kernel_implIZZZNS0_17expm1_kernel_cudaERNS_18TensorIteratorBaseEENKUlvE_clEvENKUlvE1_clEvEUlN3c107complexIdEEE_EEvS4_RKT_EUlibE_EEviT1_,"axG",@progbits,_ZN2at6native32elementwise_kernel_manual_unrollILi128ELi4EZNS0_15gpu_kernel_implIZZZNS0_17expm1_kernel_cudaERNS_18TensorIteratorBaseEENKUlvE_clEvENKUlvE1_clEvEUlN3c107complexIdEEE_EEvS4_RKT_EUlibE_EEviT1_,comdat
	.globl	_ZN2at6native32elementwise_kernel_manual_unrollILi128ELi4EZNS0_15gpu_kernel_implIZZZNS0_17expm1_kernel_cudaERNS_18TensorIteratorBaseEENKUlvE_clEvENKUlvE1_clEvEUlN3c107complexIdEEE_EEvS4_RKT_EUlibE_EEviT1_ ; -- Begin function _ZN2at6native32elementwise_kernel_manual_unrollILi128ELi4EZNS0_15gpu_kernel_implIZZZNS0_17expm1_kernel_cudaERNS_18TensorIteratorBaseEENKUlvE_clEvENKUlvE1_clEvEUlN3c107complexIdEEE_EEvS4_RKT_EUlibE_EEviT1_
	.p2align	8
	.type	_ZN2at6native32elementwise_kernel_manual_unrollILi128ELi4EZNS0_15gpu_kernel_implIZZZNS0_17expm1_kernel_cudaERNS_18TensorIteratorBaseEENKUlvE_clEvENKUlvE1_clEvEUlN3c107complexIdEEE_EEvS4_RKT_EUlibE_EEviT1_,@function
_ZN2at6native32elementwise_kernel_manual_unrollILi128ELi4EZNS0_15gpu_kernel_implIZZZNS0_17expm1_kernel_cudaERNS_18TensorIteratorBaseEENKUlvE_clEvENKUlvE1_clEvEUlN3c107complexIdEEE_EEvS4_RKT_EUlibE_EEviT1_: ; @_ZN2at6native32elementwise_kernel_manual_unrollILi128ELi4EZNS0_15gpu_kernel_implIZZZNS0_17expm1_kernel_cudaERNS_18TensorIteratorBaseEENKUlvE_clEvENKUlvE1_clEvEUlN3c107complexIdEEE_EEvS4_RKT_EUlibE_EEviT1_
; %bb.0:
	v_mov_b32_e32 v1, 0
	global_load_ushort v1, v1, s[0:1] offset:33
	s_load_dword s52, s[0:1], 0x0
	s_load_dwordx2 s[26:27], s[0:1], 0x18
	s_load_dwordx4 s[36:39], s[0:1], 0x8
	v_lshl_or_b32 v51, s2, 9, v0
	v_mov_b32_e32 v2, 8
	v_or_b32_e32 v57, 0x180, v51
	s_mov_b64 s[28:29], 0
	s_waitcnt lgkmcnt(0)
	v_cmp_le_i32_e32 vcc, s52, v57
	s_mov_b64 s[40:41], 0
	s_mov_b32 s32, 0
	s_waitcnt vmcnt(0)
	v_readfirstlane_b32 s33, v1
	v_lshrrev_b32_sdwa v56, v2, v1 dst_sel:DWORD dst_unused:UNUSED_PAD src0_sel:DWORD src1_sel:WORD_0
	s_and_saveexec_b64 s[0:1], vcc
	s_xor_b64 s[34:35], exec, s[0:1]
	s_cbranch_execz .LBB131_512
; %bb.1:
	v_cmp_gt_i32_e32 vcc, s52, v51
	s_mov_b64 s[0:1], -1
	s_mov_b64 s[46:47], 0
	s_and_saveexec_b64 s[42:43], vcc
	s_cbranch_execz .LBB131_124
; %bb.2:
	s_getpc_b64 s[0:1]
	s_add_u32 s0, s0, _ZN2at6native6invokeIZZZNS0_17expm1_kernel_cudaERNS_18TensorIteratorBaseEENKUlvE_clEvENKUlvE1_clEvEUlN3c107complexIdEEE_i15function_traitsIS9_EEENT1_11result_typeERKT_PrKPcPKT0_PKNS6_10ScalarTypeEi@rel32@lo+4
	s_addc_u32 s1, s1, _ZN2at6native6invokeIZZZNS0_17expm1_kernel_cudaERNS_18TensorIteratorBaseEENKUlvE_clEvENKUlvE1_clEvEUlN3c107complexIdEEE_i15function_traitsIS9_EEENT1_11result_typeERKT_PrKPcPKT0_PKNS6_10ScalarTypeEi@rel32@hi+12
	v_mov_b32_e32 v0, s38
	v_mov_b32_e32 v1, s39
	;; [unrolled: 1-line block ×5, first 2 shown]
	s_swappc_b64 s[30:31], s[0:1]
	v_mul_lo_u32 v4, v51, s26
	v_ashrrev_i32_e32 v5, 31, v4
	s_and_b32 s8, s33, 0xff
	s_cmp_lt_i32 s8, 11
	v_lshl_add_u64 v[4:5], s[36:37], 0, v[4:5]
	s_cbranch_scc1 .LBB131_9
; %bb.3:
	s_and_b32 s9, 0xffff, s8
	s_cmp_gt_i32 s9, 25
	s_cbranch_scc0 .LBB131_12
; %bb.4:
	s_cmp_gt_i32 s9, 28
	s_cbranch_scc0 .LBB131_13
; %bb.5:
	;; [unrolled: 3-line block ×4, first 2 shown]
	s_mov_b64 s[4:5], 0
	s_mov_b64 s[2:3], -1
	s_cmp_eq_u32 s9, 46
	s_mov_b64 s[0:1], 0
	s_cbranch_scc0 .LBB131_16
; %bb.8:
	v_cvt_f32_f64_e32 v7, v[2:3]
	s_movk_i32 s0, 0x7fff
	v_bfe_u32 v9, v7, 16, 1
	v_cvt_f32_f64_e32 v6, v[0:1]
	v_add3_u32 v9, v7, v9, s0
	v_bfe_u32 v8, v6, 16, 1
	v_and_b32_e32 v9, 0xffff0000, v9
	v_mov_b32_e32 v10, 0x7fc00000
	v_cmp_o_f32_e32 vcc, v7, v7
	v_add3_u32 v8, v6, v8, s0
	s_mov_b64 s[0:1], -1
	v_cndmask_b32_e32 v7, v10, v9, vcc
	v_cmp_o_f32_e32 vcc, v6, v6
	v_mov_b32_e32 v6, 0x7fc0
	s_mov_b64 s[2:3], 0
	v_cndmask_b32_sdwa v6, v6, v8, vcc dst_sel:DWORD dst_unused:UNUSED_PAD src0_sel:DWORD src1_sel:WORD_1
	v_or_b32_e32 v6, v7, v6
	global_store_dword v[4:5], v6, off
	s_branch .LBB131_16
.LBB131_9:
	s_mov_b64 s[2:3], 0
	s_mov_b64 s[0:1], 0
	s_cbranch_execnz .LBB131_84
.LBB131_10:
	s_andn2_b64 vcc, exec, s[0:1]
	s_cbranch_vccnz .LBB131_122
.LBB131_11:
	v_add_u32_e32 v51, 0x80, v51
	s_mov_b64 s[0:1], -1
	s_branch .LBB131_123
.LBB131_12:
	s_mov_b64 s[2:3], 0
	s_mov_b64 s[0:1], 0
	s_cbranch_execnz .LBB131_43
	s_branch .LBB131_83
.LBB131_13:
	s_mov_b64 s[4:5], -1
	s_mov_b64 s[2:3], 0
	s_mov_b64 s[0:1], 0
	s_branch .LBB131_26
.LBB131_14:
	s_mov_b64 s[4:5], -1
	s_mov_b64 s[2:3], 0
	s_mov_b64 s[0:1], 0
	s_branch .LBB131_22
.LBB131_15:
	s_mov_b64 s[4:5], -1
	s_mov_b64 s[2:3], 0
	s_mov_b64 s[0:1], 0
.LBB131_16:
	s_and_b64 vcc, exec, s[4:5]
	s_cbranch_vccz .LBB131_21
; %bb.17:
	s_cmp_eq_u32 s9, 44
	s_mov_b64 s[2:3], -1
	s_cbranch_scc0 .LBB131_21
; %bb.18:
	v_cvt_f32_f64_e32 v6, v[0:1]
	v_bfe_u32 v7, v6, 23, 8
	s_movk_i32 s0, 0xff
	v_cmp_ne_u32_e32 vcc, s0, v7
	v_mov_b32_e32 v8, 0xff
	s_and_saveexec_b64 s[2:3], vcc
; %bb.19:
	s_mov_b32 s0, 0x3fffff
	v_lshrrev_b32_e32 v8, 23, v6
	v_and_b32_e32 v9, 0x400000, v6
	v_and_or_b32 v6, v6, s0, v7
	v_cmp_ne_u32_e32 vcc, 0, v9
	v_cmp_ne_u32_e64 s[0:1], 0, v6
	s_and_b64 s[0:1], vcc, s[0:1]
	s_nop 0
	v_cndmask_b32_e64 v6, 0, 1, s[0:1]
	v_add_u32_e32 v8, v8, v6
; %bb.20:
	s_or_b64 exec, exec, s[2:3]
	s_mov_b64 s[0:1], -1
	s_mov_b64 s[2:3], 0
	global_store_byte v[4:5], v8, off
.LBB131_21:
	s_mov_b64 s[4:5], 0
.LBB131_22:
	s_and_b64 vcc, exec, s[4:5]
	s_cbranch_vccz .LBB131_25
; %bb.23:
	s_cmp_eq_u32 s9, 29
	s_mov_b64 s[2:3], -1
	s_cbranch_scc0 .LBB131_25
; %bb.24:
	v_trunc_f64_e32 v[6:7], v[0:1]
	s_movk_i32 s0, 0xffe0
	v_ldexp_f64 v[8:9], v[6:7], s0
	v_floor_f64_e32 v[8:9], v[8:9]
	v_fmac_f64_e32 v[6:7], 0xc1f00000, v[8:9]
	v_cvt_u32_f64_e32 v11, v[8:9]
	v_cvt_u32_f64_e32 v10, v[6:7]
	global_store_dwordx2 v[4:5], v[10:11], off
	s_mov_b64 s[0:1], -1
	s_mov_b64 s[2:3], 0
.LBB131_25:
	s_mov_b64 s[4:5], 0
.LBB131_26:
	s_and_b64 vcc, exec, s[4:5]
	s_cbranch_vccz .LBB131_42
; %bb.27:
	s_cmp_lt_i32 s9, 27
	s_mov_b64 s[0:1], -1
	s_cbranch_scc1 .LBB131_33
; %bb.28:
	s_cmp_gt_i32 s9, 27
	v_cvt_u32_f64_e32 v6, v[0:1]
	s_cbranch_scc0 .LBB131_30
; %bb.29:
	s_mov_b64 s[0:1], 0
	global_store_dword v[4:5], v6, off
.LBB131_30:
	s_andn2_b64 vcc, exec, s[0:1]
	s_cbranch_vccnz .LBB131_32
; %bb.31:
	global_store_short v[4:5], v6, off
.LBB131_32:
	s_mov_b64 s[0:1], 0
.LBB131_33:
	s_andn2_b64 vcc, exec, s[0:1]
	s_cbranch_vccnz .LBB131_41
; %bb.34:
	v_cvt_f32_f64_e32 v6, v[0:1]
	v_and_b32_e32 v7, 0x7fffffff, v6
	s_mov_b32 s0, 0x43800000
	v_cmp_gt_u32_e32 vcc, s0, v7
	v_mov_b32_e32 v8, 0x80
	s_and_saveexec_b64 s[0:1], vcc
	s_cbranch_execz .LBB131_40
; %bb.35:
	s_mov_b32 s4, 0x3bffffff
	v_cmp_lt_u32_e32 vcc, s4, v7
	s_mov_b64 s[4:5], 0
                                        ; implicit-def: $vgpr7
	s_and_saveexec_b64 s[6:7], vcc
	s_xor_b64 s[6:7], exec, s[6:7]
	s_cbranch_execz .LBB131_141
; %bb.36:
	v_bfe_u32 v7, v6, 20, 1
	s_mov_b32 s10, 0x487ffff
	v_add3_u32 v7, v6, v7, s10
	s_mov_b64 s[4:5], exec
	v_lshrrev_b32_e32 v7, 20, v7
	s_andn2_saveexec_b64 s[6:7], s[6:7]
	s_cbranch_execnz .LBB131_142
.LBB131_37:
	s_or_b64 exec, exec, s[6:7]
	v_mov_b32_e32 v8, 0
	s_and_saveexec_b64 s[6:7], s[4:5]
.LBB131_38:
	v_lshrrev_b32_e32 v6, 24, v6
	s_movk_i32 s4, 0x80
	v_and_or_b32 v8, v6, s4, v7
.LBB131_39:
	s_or_b64 exec, exec, s[6:7]
.LBB131_40:
	s_or_b64 exec, exec, s[0:1]
	global_store_byte v[4:5], v8, off
.LBB131_41:
	s_mov_b64 s[0:1], -1
.LBB131_42:
	s_branch .LBB131_83
.LBB131_43:
	s_cmp_gt_i32 s9, 22
	s_mov_b64 s[4:5], -1
	s_cbranch_scc0 .LBB131_75
; %bb.44:
	s_cmp_lt_i32 s9, 24
	s_mov_b64 s[0:1], -1
	s_cbranch_scc1 .LBB131_64
; %bb.45:
	s_cmp_gt_i32 s9, 24
	s_cbranch_scc0 .LBB131_53
; %bb.46:
	v_cvt_f32_f64_e32 v6, v[0:1]
	v_and_b32_e32 v7, 0x7fffffff, v6
	s_mov_b32 s0, 0x47800000
	v_cmp_gt_u32_e32 vcc, s0, v7
	v_mov_b32_e32 v8, 0x80
	s_and_saveexec_b64 s[0:1], vcc
	s_cbranch_execz .LBB131_52
; %bb.47:
	s_mov_b32 s4, 0x37ffffff
	v_cmp_lt_u32_e32 vcc, s4, v7
	s_mov_b64 s[4:5], 0
                                        ; implicit-def: $vgpr7
	s_and_saveexec_b64 s[6:7], vcc
	s_xor_b64 s[6:7], exec, s[6:7]
	s_cbranch_execz .LBB131_144
; %bb.48:
	v_bfe_u32 v7, v6, 21, 1
	s_mov_b32 s10, 0x88fffff
	v_add3_u32 v7, v6, v7, s10
	s_mov_b64 s[4:5], exec
	v_lshrrev_b32_e32 v7, 21, v7
	s_andn2_saveexec_b64 s[6:7], s[6:7]
	s_cbranch_execnz .LBB131_145
.LBB131_49:
	s_or_b64 exec, exec, s[6:7]
	v_mov_b32_e32 v8, 0
	s_and_saveexec_b64 s[6:7], s[4:5]
.LBB131_50:
	v_lshrrev_b32_e32 v6, 24, v6
	s_movk_i32 s4, 0x80
	v_and_or_b32 v8, v6, s4, v7
.LBB131_51:
	s_or_b64 exec, exec, s[6:7]
.LBB131_52:
	s_or_b64 exec, exec, s[0:1]
	s_mov_b64 s[0:1], 0
	global_store_byte v[4:5], v8, off
.LBB131_53:
	s_and_b64 vcc, exec, s[0:1]
	s_cbranch_vccz .LBB131_63
; %bb.54:
	v_cvt_f32_f64_e32 v6, v[0:1]
	v_and_b32_e32 v8, 0x7fffffff, v6
	s_mov_b32 s0, 0x43f00000
	v_cmp_gt_u32_e32 vcc, s0, v8
                                        ; implicit-def: $vgpr7
	s_and_saveexec_b64 s[0:1], vcc
	s_xor_b64 s[0:1], exec, s[0:1]
	s_cbranch_execz .LBB131_60
; %bb.55:
	s_mov_b32 s4, 0x3c7fffff
	v_cmp_lt_u32_e32 vcc, s4, v8
                                        ; implicit-def: $vgpr7
	s_and_saveexec_b64 s[4:5], vcc
	s_xor_b64 s[4:5], exec, s[4:5]
; %bb.56:
	v_bfe_u32 v7, v6, 20, 1
	s_mov_b32 s6, 0x407ffff
	v_add3_u32 v7, v6, v7, s6
	v_lshrrev_b32_e32 v8, 20, v7
	v_and_b32_e32 v7, 0xff00000, v7
	s_mov_b32 s6, 0x7f00000
	v_mov_b32_e32 v9, 0x7e
	v_cmp_ne_u32_e32 vcc, s6, v7
	s_nop 1
	v_cndmask_b32_e32 v7, v9, v8, vcc
; %bb.57:
	s_andn2_saveexec_b64 s[4:5], s[4:5]
; %bb.58:
	s_mov_b32 s6, 0x46800000
	v_add_f32_e64 v7, |v6|, s6
; %bb.59:
	s_or_b64 exec, exec, s[4:5]
                                        ; implicit-def: $vgpr8
.LBB131_60:
	s_andn2_saveexec_b64 s[0:1], s[0:1]
; %bb.61:
	s_mov_b32 s4, 0x7f800000
	v_mov_b32_e32 v7, 0x7e
	v_mov_b32_e32 v9, 0x7f
	v_cmp_lt_u32_e32 vcc, s4, v8
	s_nop 1
	v_cndmask_b32_e32 v7, v7, v9, vcc
; %bb.62:
	s_or_b64 exec, exec, s[0:1]
	v_lshrrev_b32_e32 v6, 24, v6
	s_movk_i32 s0, 0x80
	v_and_or_b32 v6, v6, s0, v7
	global_store_byte v[4:5], v6, off
.LBB131_63:
	s_mov_b64 s[0:1], 0
.LBB131_64:
	s_andn2_b64 vcc, exec, s[0:1]
	s_cbranch_vccnz .LBB131_74
; %bb.65:
	v_cvt_f32_f64_e32 v6, v[0:1]
	v_and_b32_e32 v8, 0x7fffffff, v6
	s_mov_b32 s0, 0x47800000
	v_cmp_gt_u32_e32 vcc, s0, v8
                                        ; implicit-def: $vgpr7
	s_and_saveexec_b64 s[0:1], vcc
	s_xor_b64 s[0:1], exec, s[0:1]
	s_cbranch_execz .LBB131_71
; %bb.66:
	s_mov_b32 s4, 0x387fffff
	v_cmp_lt_u32_e32 vcc, s4, v8
                                        ; implicit-def: $vgpr7
	s_and_saveexec_b64 s[4:5], vcc
	s_xor_b64 s[4:5], exec, s[4:5]
; %bb.67:
	v_bfe_u32 v7, v6, 21, 1
	s_mov_b32 s6, 0x80fffff
	v_add3_u32 v7, v6, v7, s6
	v_lshrrev_b32_e32 v7, 21, v7
; %bb.68:
	s_andn2_saveexec_b64 s[4:5], s[4:5]
; %bb.69:
	s_mov_b32 s6, 0x43000000
	v_add_f32_e64 v7, |v6|, s6
; %bb.70:
	s_or_b64 exec, exec, s[4:5]
                                        ; implicit-def: $vgpr8
.LBB131_71:
	s_andn2_saveexec_b64 s[0:1], s[0:1]
; %bb.72:
	s_mov_b32 s4, 0x7f800000
	v_mov_b32_e32 v7, 0x7c
	v_mov_b32_e32 v9, 0x7f
	v_cmp_lt_u32_e32 vcc, s4, v8
	s_nop 1
	v_cndmask_b32_e32 v7, v7, v9, vcc
; %bb.73:
	s_or_b64 exec, exec, s[0:1]
	v_lshrrev_b32_e32 v6, 24, v6
	s_movk_i32 s0, 0x80
	v_and_or_b32 v6, v6, s0, v7
	global_store_byte v[4:5], v6, off
.LBB131_74:
	s_mov_b64 s[4:5], 0
	s_mov_b64 s[0:1], -1
.LBB131_75:
	s_andn2_b64 vcc, exec, s[4:5]
	s_cbranch_vccnz .LBB131_83
; %bb.76:
	s_cmp_gt_i32 s9, 14
	s_mov_b64 s[4:5], -1
	s_cbranch_scc0 .LBB131_80
; %bb.77:
	s_cmp_eq_u32 s9, 15
	s_mov_b64 s[2:3], -1
	s_cbranch_scc0 .LBB131_79
; %bb.78:
	v_cvt_f32_f64_e32 v6, v[0:1]
	v_bfe_u32 v7, v6, 16, 1
	s_movk_i32 s0, 0x7fff
	v_add3_u32 v7, v6, v7, s0
	v_cmp_o_f32_e32 vcc, v6, v6
	v_mov_b32_e32 v6, 0x7fc0
	s_mov_b64 s[0:1], -1
	v_cndmask_b32_sdwa v6, v6, v7, vcc dst_sel:DWORD dst_unused:UNUSED_PAD src0_sel:DWORD src1_sel:WORD_1
	global_store_short v[4:5], v6, off
	s_mov_b64 s[2:3], 0
.LBB131_79:
	s_mov_b64 s[4:5], 0
.LBB131_80:
	s_and_b64 vcc, exec, s[4:5]
	s_cbranch_vccz .LBB131_83
; %bb.81:
	s_cmp_eq_u32 s9, 11
	s_mov_b64 s[2:3], -1
	s_cbranch_scc0 .LBB131_83
; %bb.82:
	v_cmp_neq_f64_e32 vcc, 0, v[0:1]
	v_cmp_neq_f64_e64 s[0:1], 0, v[2:3]
	s_or_b64 s[0:1], vcc, s[0:1]
	s_mov_b64 s[2:3], 0
	v_cndmask_b32_e64 v6, 0, 1, s[0:1]
	s_mov_b64 s[0:1], -1
	global_store_byte v[4:5], v6, off
.LBB131_83:
	s_branch .LBB131_10
.LBB131_84:
	s_and_b32 s4, 0xffff, s8
	s_cmp_lt_i32 s4, 5
	s_mov_b64 s[0:1], -1
	s_cbranch_scc1 .LBB131_105
; %bb.85:
	s_cmp_lt_i32 s4, 8
	s_cbranch_scc1 .LBB131_95
; %bb.86:
	s_cmp_lt_i32 s4, 9
	s_cbranch_scc1 .LBB131_92
; %bb.87:
	s_cmp_gt_i32 s4, 9
	s_cbranch_scc0 .LBB131_89
; %bb.88:
	global_store_dwordx4 v[4:5], v[0:3], off
	s_mov_b64 s[0:1], 0
.LBB131_89:
	s_andn2_b64 vcc, exec, s[0:1]
	s_cbranch_vccnz .LBB131_91
; %bb.90:
	v_cvt_f32_f64_e32 v7, v[2:3]
	v_cvt_f32_f64_e32 v6, v[0:1]
	global_store_dwordx2 v[4:5], v[6:7], off
.LBB131_91:
	s_mov_b64 s[0:1], 0
.LBB131_92:
	s_andn2_b64 vcc, exec, s[0:1]
	s_cbranch_vccnz .LBB131_94
; %bb.93:
	s_movk_i32 s0, 0x1ff
	v_and_or_b32 v6, v1, s0, v0
	v_cmp_ne_u32_e32 vcc, 0, v6
	v_lshrrev_b32_e32 v7, 8, v1
	s_movk_i32 s1, 0xffe
	v_cndmask_b32_e64 v6, 0, 1, vcc
	v_bfe_u32 v8, v1, 20, 11
	v_and_or_b32 v6, v7, s1, v6
	v_sub_u32_e32 v9, 0x3f1, v8
	v_or_b32_e32 v7, 0x1000, v6
	v_med3_i32 v9, v9, 0, 13
	v_lshrrev_b32_e32 v10, v9, v7
	v_lshlrev_b32_e32 v9, v9, v10
	v_cmp_ne_u32_e32 vcc, v9, v7
	v_add_u32_e32 v8, 0xfffffc10, v8
	v_lshl_or_b32 v9, v8, 12, v6
	v_cndmask_b32_e64 v7, 0, 1, vcc
	v_or_b32_e32 v7, v10, v7
	v_cmp_gt_i32_e32 vcc, 1, v8
	s_movk_i32 s5, 0x40f
	v_and_or_b32 v2, v3, s0, v2
	v_cndmask_b32_e32 v7, v9, v7, vcc
	v_and_b32_e32 v9, 7, v7
	v_cmp_lt_i32_e32 vcc, 5, v9
	v_lshrrev_b32_e32 v7, 2, v7
	v_bfe_u32 v11, v3, 20, 11
	v_cndmask_b32_e64 v10, 0, 1, vcc
	v_cmp_eq_u32_e32 vcc, 3, v9
	v_sub_u32_e32 v12, 0x3f1, v11
	v_med3_i32 v12, v12, 0, 13
	v_cndmask_b32_e64 v9, 0, 1, vcc
	v_or_b32_e32 v9, v9, v10
	v_add_u32_e32 v7, v7, v9
	v_mov_b32_e32 v9, 0x7c00
	v_cmp_gt_i32_e32 vcc, 31, v8
	v_mov_b32_e32 v10, 0x7e00
	v_add_u32_e32 v11, 0xfffffc10, v11
	v_cndmask_b32_e32 v7, v9, v7, vcc
	v_cmp_ne_u32_e32 vcc, 0, v6
	s_mov_b32 s6, 0x8000
	s_mov_b32 s0, 0xffff
	v_cndmask_b32_e32 v6, v9, v10, vcc
	v_cmp_eq_u32_e32 vcc, s5, v8
	v_lshrrev_b32_e32 v8, 8, v3
	v_lshrrev_b32_e32 v3, 16, v3
	v_cndmask_b32_e32 v6, v7, v6, vcc
	v_cmp_ne_u32_e32 vcc, 0, v2
	v_and_b32_sdwa v7, v1, s6 dst_sel:DWORD dst_unused:UNUSED_PAD src0_sel:WORD_1 src1_sel:DWORD
	s_nop 0
	v_cndmask_b32_e64 v2, 0, 1, vcc
	v_and_or_b32 v2, v8, s1, v2
	v_or_b32_e32 v8, 0x1000, v2
	v_lshrrev_b32_e32 v13, v12, v8
	v_lshlrev_b32_e32 v12, v12, v13
	v_cmp_ne_u32_e32 vcc, v12, v8
	v_lshl_or_b32 v12, v11, 12, v2
	s_nop 0
	v_cndmask_b32_e64 v8, 0, 1, vcc
	v_or_b32_e32 v8, v13, v8
	v_cmp_gt_i32_e32 vcc, 1, v11
	s_nop 1
	v_cndmask_b32_e32 v8, v12, v8, vcc
	v_and_b32_e32 v12, 7, v8
	v_cmp_lt_i32_e32 vcc, 5, v12
	v_lshrrev_b32_e32 v8, 2, v8
	s_nop 0
	v_cndmask_b32_e64 v13, 0, 1, vcc
	v_cmp_eq_u32_e32 vcc, 3, v12
	s_nop 1
	v_cndmask_b32_e64 v12, 0, 1, vcc
	v_or_b32_e32 v12, v12, v13
	v_add_u32_e32 v8, v8, v12
	v_cmp_gt_i32_e32 vcc, 31, v11
	s_nop 1
	v_cndmask_b32_e32 v8, v9, v8, vcc
	v_cmp_ne_u32_e32 vcc, 0, v2
	s_nop 1
	v_cndmask_b32_e32 v2, v9, v10, vcc
	v_cmp_eq_u32_e32 vcc, s5, v11
	s_nop 1
	v_cndmask_b32_e32 v2, v8, v2, vcc
	v_and_or_b32 v2, v3, s6, v2
	v_bitop3_b32 v3, v7, s0, v6 bitop3:0xc8
	v_lshl_or_b32 v2, v2, 16, v3
	global_store_dword v[4:5], v2, off
.LBB131_94:
	s_mov_b64 s[0:1], 0
.LBB131_95:
	s_andn2_b64 vcc, exec, s[0:1]
	s_cbranch_vccnz .LBB131_104
; %bb.96:
	s_cmp_lt_i32 s4, 6
	s_mov_b64 s[0:1], -1
	s_cbranch_scc1 .LBB131_102
; %bb.97:
	s_cmp_gt_i32 s4, 6
	s_cbranch_scc0 .LBB131_99
; %bb.98:
	global_store_dwordx2 v[4:5], v[0:1], off
	s_mov_b64 s[0:1], 0
.LBB131_99:
	s_andn2_b64 vcc, exec, s[0:1]
	s_cbranch_vccnz .LBB131_101
; %bb.100:
	v_cvt_f32_f64_e32 v2, v[0:1]
	global_store_dword v[4:5], v2, off
.LBB131_101:
	s_mov_b64 s[0:1], 0
.LBB131_102:
	s_andn2_b64 vcc, exec, s[0:1]
	s_cbranch_vccnz .LBB131_104
; %bb.103:
	s_movk_i32 s0, 0x1ff
	v_and_or_b32 v2, v1, s0, v0
	v_cmp_ne_u32_e32 vcc, 0, v2
	v_lshrrev_b32_e32 v3, 8, v1
	s_movk_i32 s0, 0xffe
	v_cndmask_b32_e64 v2, 0, 1, vcc
	v_bfe_u32 v6, v1, 20, 11
	v_and_or_b32 v2, v3, s0, v2
	v_sub_u32_e32 v7, 0x3f1, v6
	v_or_b32_e32 v3, 0x1000, v2
	v_med3_i32 v7, v7, 0, 13
	v_lshrrev_b32_e32 v8, v7, v3
	v_lshlrev_b32_e32 v7, v7, v8
	v_cmp_ne_u32_e32 vcc, v7, v3
	v_add_u32_e32 v6, 0xfffffc10, v6
	v_lshl_or_b32 v7, v6, 12, v2
	v_cndmask_b32_e64 v3, 0, 1, vcc
	v_or_b32_e32 v3, v8, v3
	v_cmp_gt_i32_e32 vcc, 1, v6
	s_movk_i32 s0, 0x40f
	s_nop 0
	v_cndmask_b32_e32 v3, v7, v3, vcc
	v_and_b32_e32 v7, 7, v3
	v_cmp_lt_i32_e32 vcc, 5, v7
	v_lshrrev_b32_e32 v3, 2, v3
	s_nop 0
	v_cndmask_b32_e64 v8, 0, 1, vcc
	v_cmp_eq_u32_e32 vcc, 3, v7
	s_nop 1
	v_cndmask_b32_e64 v7, 0, 1, vcc
	v_or_b32_e32 v7, v7, v8
	v_add_u32_e32 v3, v3, v7
	v_mov_b32_e32 v7, 0x7c00
	v_cmp_gt_i32_e32 vcc, 31, v6
	v_mov_b32_e32 v8, 0x7e00
	s_nop 0
	v_cndmask_b32_e32 v3, v7, v3, vcc
	v_cmp_ne_u32_e32 vcc, 0, v2
	s_nop 1
	v_cndmask_b32_e32 v2, v7, v8, vcc
	v_cmp_eq_u32_e32 vcc, s0, v6
	s_mov_b32 s0, 0x8000
	s_nop 0
	v_cndmask_b32_e32 v2, v3, v2, vcc
	v_lshrrev_b32_e32 v3, 16, v1
	v_and_or_b32 v2, v3, s0, v2
	global_store_short v[4:5], v2, off
.LBB131_104:
	s_mov_b64 s[0:1], 0
.LBB131_105:
	s_andn2_b64 vcc, exec, s[0:1]
	s_cbranch_vccnz .LBB131_121
; %bb.106:
	s_cmp_lt_i32 s4, 2
	s_mov_b64 s[0:1], -1
	s_cbranch_scc1 .LBB131_116
; %bb.107:
	s_cmp_lt_i32 s4, 3
	s_cbranch_scc1 .LBB131_113
; %bb.108:
	s_cmp_gt_i32 s4, 3
	s_cbranch_scc0 .LBB131_110
; %bb.109:
	v_trunc_f64_e32 v[2:3], v[0:1]
	s_movk_i32 s0, 0xffe0
	v_ldexp_f64 v[6:7], v[2:3], s0
	v_floor_f64_e32 v[6:7], v[6:7]
	v_fmac_f64_e32 v[2:3], 0xc1f00000, v[6:7]
	v_cvt_i32_f64_e32 v9, v[6:7]
	v_cvt_u32_f64_e32 v8, v[2:3]
	global_store_dwordx2 v[4:5], v[8:9], off
	s_mov_b64 s[0:1], 0
.LBB131_110:
	s_andn2_b64 vcc, exec, s[0:1]
	s_cbranch_vccnz .LBB131_112
; %bb.111:
	v_cvt_i32_f64_e32 v2, v[0:1]
	global_store_dword v[4:5], v2, off
.LBB131_112:
	s_mov_b64 s[0:1], 0
.LBB131_113:
	s_andn2_b64 vcc, exec, s[0:1]
	s_cbranch_vccnz .LBB131_115
; %bb.114:
	v_cvt_i32_f64_e32 v2, v[0:1]
	global_store_short v[4:5], v2, off
.LBB131_115:
	s_mov_b64 s[0:1], 0
.LBB131_116:
	s_andn2_b64 vcc, exec, s[0:1]
	s_cbranch_vccnz .LBB131_121
; %bb.117:
	s_cmp_gt_i32 s4, 0
	s_mov_b64 s[0:1], -1
	s_cbranch_scc0 .LBB131_119
; %bb.118:
	v_cvt_i32_f64_e32 v2, v[0:1]
	global_store_byte v[4:5], v2, off
	s_mov_b64 s[0:1], 0
.LBB131_119:
	s_andn2_b64 vcc, exec, s[0:1]
	s_cbranch_vccnz .LBB131_121
; %bb.120:
	v_trunc_f64_e32 v[0:1], v[0:1]
	s_movk_i32 s0, 0xffe0
	v_ldexp_f64 v[2:3], v[0:1], s0
	v_floor_f64_e32 v[2:3], v[2:3]
	v_fmac_f64_e32 v[0:1], 0xc1f00000, v[2:3]
	v_cvt_u32_f64_e32 v0, v[0:1]
	global_store_byte v[4:5], v0, off
.LBB131_121:
	s_branch .LBB131_11
.LBB131_122:
	s_mov_b64 s[0:1], 0
                                        ; implicit-def: $vgpr51
.LBB131_123:
	s_and_b64 s[40:41], s[2:3], exec
	s_orn2_b64 s[0:1], s[0:1], exec
.LBB131_124:
	s_or_b64 exec, exec, s[42:43]
	s_mov_b64 s[4:5], 0
                                        ; implicit-def: $sgpr10
                                        ; implicit-def: $vgpr2_vgpr3
                                        ; implicit-def: $vgpr4_vgpr5
	s_and_saveexec_b64 s[42:43], s[0:1]
	s_cbranch_execz .LBB131_133
; %bb.125:
	v_cmp_gt_i32_e32 vcc, s52, v51
	s_mov_b64 s[4:5], -1
	s_mov_b64 s[44:45], s[40:41]
	s_and_saveexec_b64 s[46:47], vcc
	s_cbranch_execz .LBB131_256
; %bb.126:
	s_getpc_b64 s[0:1]
	s_add_u32 s0, s0, _ZN2at6native6invokeIZZZNS0_17expm1_kernel_cudaERNS_18TensorIteratorBaseEENKUlvE_clEvENKUlvE1_clEvEUlN3c107complexIdEEE_i15function_traitsIS9_EEENT1_11result_typeERKT_PrKPcPKT0_PKNS6_10ScalarTypeEi@rel32@lo+4
	s_addc_u32 s1, s1, _ZN2at6native6invokeIZZZNS0_17expm1_kernel_cudaERNS_18TensorIteratorBaseEENKUlvE_clEvENKUlvE1_clEvEUlN3c107complexIdEEE_i15function_traitsIS9_EEENT1_11result_typeERKT_PrKPcPKT0_PKNS6_10ScalarTypeEi@rel32@hi+12
	v_mov_b32_e32 v0, s38
	v_mov_b32_e32 v1, s39
	v_mov_b32_e32 v2, s27
	v_mov_b32_e32 v3, v56
	v_mov_b32_e32 v4, v51
	s_swappc_b64 s[30:31], s[0:1]
	v_mul_lo_u32 v4, v51, s26
	v_ashrrev_i32_e32 v5, 31, v4
	s_and_b32 s8, s33, 0xff
	s_cmp_lt_i32 s8, 11
	v_lshl_add_u64 v[4:5], s[36:37], 0, v[4:5]
	s_cbranch_scc1 .LBB131_136
; %bb.127:
	s_and_b32 s9, 0xffff, s8
	s_cmp_gt_i32 s9, 25
	s_cbranch_scc0 .LBB131_139
; %bb.128:
	s_cmp_gt_i32 s9, 28
	s_cbranch_scc0 .LBB131_140
; %bb.129:
	;; [unrolled: 3-line block ×4, first 2 shown]
	s_mov_b64 s[4:5], 0
	s_mov_b64 s[2:3], -1
	s_cmp_eq_u32 s9, 46
	s_mov_b64 s[0:1], 0
	s_cbranch_scc0 .LBB131_147
; %bb.132:
	v_cvt_f32_f64_e32 v7, v[2:3]
	s_movk_i32 s0, 0x7fff
	v_bfe_u32 v9, v7, 16, 1
	v_cvt_f32_f64_e32 v6, v[0:1]
	v_add3_u32 v9, v7, v9, s0
	v_bfe_u32 v8, v6, 16, 1
	v_and_b32_e32 v9, 0xffff0000, v9
	v_mov_b32_e32 v10, 0x7fc00000
	v_cmp_o_f32_e32 vcc, v7, v7
	v_add3_u32 v8, v6, v8, s0
	s_mov_b64 s[0:1], -1
	v_cndmask_b32_e32 v7, v10, v9, vcc
	v_cmp_o_f32_e32 vcc, v6, v6
	v_mov_b32_e32 v6, 0x7fc0
	s_mov_b64 s[2:3], 0
	v_cndmask_b32_sdwa v6, v6, v8, vcc dst_sel:DWORD dst_unused:UNUSED_PAD src0_sel:DWORD src1_sel:WORD_1
	v_or_b32_e32 v6, v7, v6
	global_store_dword v[4:5], v6, off
	s_branch .LBB131_147
.LBB131_133:
	s_or_b64 exec, exec, s[42:43]
	s_mov_b64 s[2:3], 0
	s_and_saveexec_b64 s[0:1], s[40:41]
	s_cbranch_execnz .LBB131_472
.LBB131_134:
	s_or_b64 exec, exec, s[0:1]
	s_and_saveexec_b64 s[0:1], s[46:47]
	s_xor_b64 s[6:7], exec, s[0:1]
	s_cbranch_execz .LBB131_473
.LBB131_135:
	v_cmp_neq_f64_e32 vcc, 0, v[0:1]
	v_cmp_neq_f64_e64 s[0:1], 0, v[2:3]
	s_or_b64 s[0:1], vcc, s[0:1]
	s_nop 0
	v_cndmask_b32_e64 v6, 0, 1, s[0:1]
	global_store_byte v[4:5], v6, off
	s_or_b64 exec, exec, s[6:7]
	s_and_saveexec_b64 s[0:1], s[4:5]
	s_xor_b64 s[0:1], exec, s[0:1]
	s_cbranch_execz .LBB131_511
	s_branch .LBB131_474
.LBB131_136:
	s_mov_b64 s[0:1], 0
	s_mov_b64 s[2:3], s[40:41]
	s_cbranch_execnz .LBB131_216
.LBB131_137:
	s_andn2_b64 vcc, exec, s[0:1]
	s_cbranch_vccnz .LBB131_254
.LBB131_138:
	v_add_u32_e32 v51, 0x80, v51
	s_mov_b64 s[0:1], -1
	s_branch .LBB131_255
.LBB131_139:
	s_mov_b64 s[4:5], -1
	s_mov_b64 s[0:1], 0
	s_mov_b64 s[2:3], s[40:41]
	s_branch .LBB131_174
.LBB131_140:
	s_mov_b64 s[4:5], -1
	s_mov_b64 s[0:1], 0
	s_mov_b64 s[2:3], s[40:41]
	s_branch .LBB131_157
.LBB131_141:
	s_andn2_saveexec_b64 s[6:7], s[6:7]
	s_cbranch_execz .LBB131_37
.LBB131_142:
	s_mov_b32 s10, 0x46000000
	v_add_f32_e64 v7, |v6|, s10
	v_and_b32_e32 v7, 0xff, v7
	v_cmp_ne_u32_e32 vcc, 0, v7
	s_andn2_b64 s[4:5], s[4:5], exec
	s_and_b64 s[10:11], vcc, exec
	s_or_b64 s[4:5], s[4:5], s[10:11]
	s_or_b64 exec, exec, s[6:7]
	v_mov_b32_e32 v8, 0
	s_and_saveexec_b64 s[6:7], s[4:5]
	s_cbranch_execnz .LBB131_38
	s_branch .LBB131_39
.LBB131_143:
	s_mov_b64 s[4:5], -1
	s_mov_b64 s[0:1], 0
	s_mov_b64 s[2:3], s[40:41]
	s_branch .LBB131_153
.LBB131_144:
	s_andn2_saveexec_b64 s[6:7], s[6:7]
	s_cbranch_execz .LBB131_49
.LBB131_145:
	s_mov_b32 s10, 0x42800000
	v_add_f32_e64 v7, |v6|, s10
	v_and_b32_e32 v7, 0xff, v7
	v_cmp_ne_u32_e32 vcc, 0, v7
	s_andn2_b64 s[4:5], s[4:5], exec
	s_and_b64 s[10:11], vcc, exec
	s_or_b64 s[4:5], s[4:5], s[10:11]
	s_or_b64 exec, exec, s[6:7]
	v_mov_b32_e32 v8, 0
	s_and_saveexec_b64 s[6:7], s[4:5]
	s_cbranch_execnz .LBB131_50
	s_branch .LBB131_51
.LBB131_146:
	s_mov_b64 s[4:5], -1
	s_mov_b64 s[0:1], 0
	s_mov_b64 s[2:3], s[40:41]
.LBB131_147:
	s_and_b64 vcc, exec, s[4:5]
	s_cbranch_vccz .LBB131_152
; %bb.148:
	s_cmp_eq_u32 s9, 44
	s_mov_b64 s[2:3], -1
	s_cbranch_scc0 .LBB131_152
; %bb.149:
	v_cvt_f32_f64_e32 v6, v[0:1]
	v_bfe_u32 v7, v6, 23, 8
	s_movk_i32 s0, 0xff
	v_cmp_ne_u32_e32 vcc, s0, v7
	v_mov_b32_e32 v8, 0xff
	s_and_saveexec_b64 s[2:3], vcc
; %bb.150:
	s_mov_b32 s0, 0x3fffff
	v_lshrrev_b32_e32 v8, 23, v6
	v_and_b32_e32 v9, 0x400000, v6
	v_and_or_b32 v6, v6, s0, v7
	v_cmp_ne_u32_e32 vcc, 0, v9
	v_cmp_ne_u32_e64 s[0:1], 0, v6
	s_and_b64 s[0:1], vcc, s[0:1]
	s_nop 0
	v_cndmask_b32_e64 v6, 0, 1, s[0:1]
	v_add_u32_e32 v8, v8, v6
; %bb.151:
	s_or_b64 exec, exec, s[2:3]
	s_mov_b64 s[0:1], -1
	s_mov_b64 s[2:3], 0
	global_store_byte v[4:5], v8, off
.LBB131_152:
	s_mov_b64 s[4:5], 0
.LBB131_153:
	s_and_b64 vcc, exec, s[4:5]
	s_cbranch_vccz .LBB131_156
; %bb.154:
	s_cmp_eq_u32 s9, 29
	s_mov_b64 s[2:3], -1
	s_cbranch_scc0 .LBB131_156
; %bb.155:
	v_trunc_f64_e32 v[6:7], v[0:1]
	s_movk_i32 s0, 0xffe0
	v_ldexp_f64 v[8:9], v[6:7], s0
	v_floor_f64_e32 v[8:9], v[8:9]
	v_fmac_f64_e32 v[6:7], 0xc1f00000, v[8:9]
	v_cvt_u32_f64_e32 v11, v[8:9]
	v_cvt_u32_f64_e32 v10, v[6:7]
	global_store_dwordx2 v[4:5], v[10:11], off
	s_mov_b64 s[0:1], -1
	s_mov_b64 s[2:3], 0
.LBB131_156:
	s_mov_b64 s[4:5], 0
.LBB131_157:
	s_and_b64 vcc, exec, s[4:5]
	s_cbranch_vccz .LBB131_173
; %bb.158:
	s_cmp_lt_i32 s9, 27
	s_mov_b64 s[0:1], -1
	s_cbranch_scc1 .LBB131_164
; %bb.159:
	s_cmp_gt_i32 s9, 27
	v_cvt_u32_f64_e32 v6, v[0:1]
	s_cbranch_scc0 .LBB131_161
; %bb.160:
	s_mov_b64 s[0:1], 0
	global_store_dword v[4:5], v6, off
.LBB131_161:
	s_andn2_b64 vcc, exec, s[0:1]
	s_cbranch_vccnz .LBB131_163
; %bb.162:
	global_store_short v[4:5], v6, off
.LBB131_163:
	s_mov_b64 s[0:1], 0
.LBB131_164:
	s_andn2_b64 vcc, exec, s[0:1]
	s_cbranch_vccnz .LBB131_172
; %bb.165:
	v_cvt_f32_f64_e32 v6, v[0:1]
	v_and_b32_e32 v7, 0x7fffffff, v6
	s_mov_b32 s0, 0x43800000
	v_cmp_gt_u32_e32 vcc, s0, v7
	v_mov_b32_e32 v8, 0x80
	s_and_saveexec_b64 s[0:1], vcc
	s_cbranch_execz .LBB131_171
; %bb.166:
	s_mov_b32 s4, 0x3bffffff
	v_cmp_lt_u32_e32 vcc, s4, v7
	s_mov_b64 s[4:5], 0
                                        ; implicit-def: $vgpr7
	s_and_saveexec_b64 s[6:7], vcc
	s_xor_b64 s[6:7], exec, s[6:7]
	s_cbranch_execz .LBB131_268
; %bb.167:
	v_bfe_u32 v7, v6, 20, 1
	s_mov_b32 s10, 0x487ffff
	v_add3_u32 v7, v6, v7, s10
	s_mov_b64 s[4:5], exec
	v_lshrrev_b32_e32 v7, 20, v7
	s_andn2_saveexec_b64 s[6:7], s[6:7]
	s_cbranch_execnz .LBB131_269
.LBB131_168:
	s_or_b64 exec, exec, s[6:7]
	v_mov_b32_e32 v8, 0
	s_and_saveexec_b64 s[6:7], s[4:5]
.LBB131_169:
	v_lshrrev_b32_e32 v6, 24, v6
	s_movk_i32 s4, 0x80
	v_and_or_b32 v8, v6, s4, v7
.LBB131_170:
	s_or_b64 exec, exec, s[6:7]
.LBB131_171:
	s_or_b64 exec, exec, s[0:1]
	global_store_byte v[4:5], v8, off
.LBB131_172:
	s_mov_b64 s[0:1], -1
.LBB131_173:
	s_mov_b64 s[4:5], 0
.LBB131_174:
	s_and_b64 vcc, exec, s[4:5]
	s_cbranch_vccz .LBB131_215
; %bb.175:
	s_cmp_gt_i32 s9, 22
	s_mov_b64 s[4:5], -1
	s_cbranch_scc0 .LBB131_207
; %bb.176:
	s_cmp_lt_i32 s9, 24
	s_mov_b64 s[0:1], -1
	s_cbranch_scc1 .LBB131_196
; %bb.177:
	s_cmp_gt_i32 s9, 24
	s_cbranch_scc0 .LBB131_185
; %bb.178:
	v_cvt_f32_f64_e32 v6, v[0:1]
	v_and_b32_e32 v7, 0x7fffffff, v6
	s_mov_b32 s0, 0x47800000
	v_cmp_gt_u32_e32 vcc, s0, v7
	v_mov_b32_e32 v8, 0x80
	s_and_saveexec_b64 s[0:1], vcc
	s_cbranch_execz .LBB131_184
; %bb.179:
	s_mov_b32 s4, 0x37ffffff
	v_cmp_lt_u32_e32 vcc, s4, v7
	s_mov_b64 s[4:5], 0
                                        ; implicit-def: $vgpr7
	s_and_saveexec_b64 s[6:7], vcc
	s_xor_b64 s[6:7], exec, s[6:7]
	s_cbranch_execz .LBB131_271
; %bb.180:
	v_bfe_u32 v7, v6, 21, 1
	s_mov_b32 s10, 0x88fffff
	v_add3_u32 v7, v6, v7, s10
	s_mov_b64 s[4:5], exec
	v_lshrrev_b32_e32 v7, 21, v7
	s_andn2_saveexec_b64 s[6:7], s[6:7]
	s_cbranch_execnz .LBB131_272
.LBB131_181:
	s_or_b64 exec, exec, s[6:7]
	v_mov_b32_e32 v8, 0
	s_and_saveexec_b64 s[6:7], s[4:5]
.LBB131_182:
	v_lshrrev_b32_e32 v6, 24, v6
	s_movk_i32 s4, 0x80
	v_and_or_b32 v8, v6, s4, v7
.LBB131_183:
	s_or_b64 exec, exec, s[6:7]
.LBB131_184:
	s_or_b64 exec, exec, s[0:1]
	s_mov_b64 s[0:1], 0
	global_store_byte v[4:5], v8, off
.LBB131_185:
	s_and_b64 vcc, exec, s[0:1]
	s_cbranch_vccz .LBB131_195
; %bb.186:
	v_cvt_f32_f64_e32 v6, v[0:1]
	v_and_b32_e32 v8, 0x7fffffff, v6
	s_mov_b32 s0, 0x43f00000
	v_cmp_gt_u32_e32 vcc, s0, v8
                                        ; implicit-def: $vgpr7
	s_and_saveexec_b64 s[0:1], vcc
	s_xor_b64 s[0:1], exec, s[0:1]
	s_cbranch_execz .LBB131_192
; %bb.187:
	s_mov_b32 s4, 0x3c7fffff
	v_cmp_lt_u32_e32 vcc, s4, v8
                                        ; implicit-def: $vgpr7
	s_and_saveexec_b64 s[4:5], vcc
	s_xor_b64 s[4:5], exec, s[4:5]
; %bb.188:
	v_bfe_u32 v7, v6, 20, 1
	s_mov_b32 s6, 0x407ffff
	v_add3_u32 v7, v6, v7, s6
	v_lshrrev_b32_e32 v8, 20, v7
	v_and_b32_e32 v7, 0xff00000, v7
	s_mov_b32 s6, 0x7f00000
	v_mov_b32_e32 v9, 0x7e
	v_cmp_ne_u32_e32 vcc, s6, v7
	s_nop 1
	v_cndmask_b32_e32 v7, v9, v8, vcc
; %bb.189:
	s_andn2_saveexec_b64 s[4:5], s[4:5]
; %bb.190:
	s_mov_b32 s6, 0x46800000
	v_add_f32_e64 v7, |v6|, s6
; %bb.191:
	s_or_b64 exec, exec, s[4:5]
                                        ; implicit-def: $vgpr8
.LBB131_192:
	s_andn2_saveexec_b64 s[0:1], s[0:1]
; %bb.193:
	s_mov_b32 s4, 0x7f800000
	v_mov_b32_e32 v7, 0x7e
	v_mov_b32_e32 v9, 0x7f
	v_cmp_lt_u32_e32 vcc, s4, v8
	s_nop 1
	v_cndmask_b32_e32 v7, v7, v9, vcc
; %bb.194:
	s_or_b64 exec, exec, s[0:1]
	v_lshrrev_b32_e32 v6, 24, v6
	s_movk_i32 s0, 0x80
	v_and_or_b32 v6, v6, s0, v7
	global_store_byte v[4:5], v6, off
.LBB131_195:
	s_mov_b64 s[0:1], 0
.LBB131_196:
	s_andn2_b64 vcc, exec, s[0:1]
	s_cbranch_vccnz .LBB131_206
; %bb.197:
	v_cvt_f32_f64_e32 v6, v[0:1]
	v_and_b32_e32 v8, 0x7fffffff, v6
	s_mov_b32 s0, 0x47800000
	v_cmp_gt_u32_e32 vcc, s0, v8
                                        ; implicit-def: $vgpr7
	s_and_saveexec_b64 s[0:1], vcc
	s_xor_b64 s[0:1], exec, s[0:1]
	s_cbranch_execz .LBB131_203
; %bb.198:
	s_mov_b32 s4, 0x387fffff
	v_cmp_lt_u32_e32 vcc, s4, v8
                                        ; implicit-def: $vgpr7
	s_and_saveexec_b64 s[4:5], vcc
	s_xor_b64 s[4:5], exec, s[4:5]
; %bb.199:
	v_bfe_u32 v7, v6, 21, 1
	s_mov_b32 s6, 0x80fffff
	v_add3_u32 v7, v6, v7, s6
	v_lshrrev_b32_e32 v7, 21, v7
; %bb.200:
	s_andn2_saveexec_b64 s[4:5], s[4:5]
; %bb.201:
	s_mov_b32 s6, 0x43000000
	v_add_f32_e64 v7, |v6|, s6
; %bb.202:
	s_or_b64 exec, exec, s[4:5]
                                        ; implicit-def: $vgpr8
.LBB131_203:
	s_andn2_saveexec_b64 s[0:1], s[0:1]
; %bb.204:
	s_mov_b32 s4, 0x7f800000
	v_mov_b32_e32 v7, 0x7c
	v_mov_b32_e32 v9, 0x7f
	v_cmp_lt_u32_e32 vcc, s4, v8
	s_nop 1
	v_cndmask_b32_e32 v7, v7, v9, vcc
; %bb.205:
	s_or_b64 exec, exec, s[0:1]
	v_lshrrev_b32_e32 v6, 24, v6
	s_movk_i32 s0, 0x80
	v_and_or_b32 v6, v6, s0, v7
	global_store_byte v[4:5], v6, off
.LBB131_206:
	s_mov_b64 s[4:5], 0
	s_mov_b64 s[0:1], -1
.LBB131_207:
	s_andn2_b64 vcc, exec, s[4:5]
	s_cbranch_vccnz .LBB131_215
; %bb.208:
	s_cmp_gt_i32 s9, 14
	s_mov_b64 s[4:5], -1
	s_cbranch_scc0 .LBB131_212
; %bb.209:
	s_cmp_eq_u32 s9, 15
	s_mov_b64 s[2:3], -1
	s_cbranch_scc0 .LBB131_211
; %bb.210:
	v_cvt_f32_f64_e32 v6, v[0:1]
	v_bfe_u32 v7, v6, 16, 1
	s_movk_i32 s0, 0x7fff
	v_add3_u32 v7, v6, v7, s0
	v_cmp_o_f32_e32 vcc, v6, v6
	v_mov_b32_e32 v6, 0x7fc0
	s_mov_b64 s[0:1], -1
	v_cndmask_b32_sdwa v6, v6, v7, vcc dst_sel:DWORD dst_unused:UNUSED_PAD src0_sel:DWORD src1_sel:WORD_1
	global_store_short v[4:5], v6, off
	s_mov_b64 s[2:3], 0
.LBB131_211:
	s_mov_b64 s[4:5], 0
.LBB131_212:
	s_and_b64 vcc, exec, s[4:5]
	s_cbranch_vccz .LBB131_215
; %bb.213:
	s_cmp_eq_u32 s9, 11
	s_mov_b64 s[2:3], -1
	s_cbranch_scc0 .LBB131_215
; %bb.214:
	v_cmp_neq_f64_e32 vcc, 0, v[0:1]
	v_cmp_neq_f64_e64 s[0:1], 0, v[2:3]
	s_or_b64 s[0:1], vcc, s[0:1]
	s_mov_b64 s[2:3], 0
	v_cndmask_b32_e64 v6, 0, 1, s[0:1]
	s_mov_b64 s[0:1], -1
	global_store_byte v[4:5], v6, off
.LBB131_215:
	s_branch .LBB131_137
.LBB131_216:
	s_and_b32 s4, 0xffff, s8
	s_cmp_lt_i32 s4, 5
	s_mov_b64 s[0:1], -1
	s_cbranch_scc1 .LBB131_237
; %bb.217:
	s_cmp_lt_i32 s4, 8
	s_cbranch_scc1 .LBB131_227
; %bb.218:
	s_cmp_lt_i32 s4, 9
	s_cbranch_scc1 .LBB131_224
; %bb.219:
	s_cmp_gt_i32 s4, 9
	s_cbranch_scc0 .LBB131_221
; %bb.220:
	s_mov_b64 s[0:1], 0
	global_store_dwordx4 v[4:5], v[0:3], off
.LBB131_221:
	s_andn2_b64 vcc, exec, s[0:1]
	s_cbranch_vccnz .LBB131_223
; %bb.222:
	v_cvt_f32_f64_e32 v7, v[2:3]
	v_cvt_f32_f64_e32 v6, v[0:1]
	global_store_dwordx2 v[4:5], v[6:7], off
.LBB131_223:
	s_mov_b64 s[0:1], 0
.LBB131_224:
	s_andn2_b64 vcc, exec, s[0:1]
	s_cbranch_vccnz .LBB131_226
; %bb.225:
	s_movk_i32 s0, 0x1ff
	v_and_or_b32 v6, v1, s0, v0
	v_cmp_ne_u32_e32 vcc, 0, v6
	v_lshrrev_b32_e32 v7, 8, v1
	s_movk_i32 s1, 0xffe
	v_cndmask_b32_e64 v6, 0, 1, vcc
	v_bfe_u32 v8, v1, 20, 11
	v_and_or_b32 v6, v7, s1, v6
	v_sub_u32_e32 v9, 0x3f1, v8
	v_or_b32_e32 v7, 0x1000, v6
	v_med3_i32 v9, v9, 0, 13
	v_lshrrev_b32_e32 v10, v9, v7
	v_lshlrev_b32_e32 v9, v9, v10
	v_cmp_ne_u32_e32 vcc, v9, v7
	v_add_u32_e32 v8, 0xfffffc10, v8
	v_lshl_or_b32 v9, v8, 12, v6
	v_cndmask_b32_e64 v7, 0, 1, vcc
	v_or_b32_e32 v7, v10, v7
	v_cmp_gt_i32_e32 vcc, 1, v8
	s_movk_i32 s5, 0x40f
	v_and_or_b32 v2, v3, s0, v2
	v_cndmask_b32_e32 v7, v9, v7, vcc
	v_and_b32_e32 v9, 7, v7
	v_cmp_lt_i32_e32 vcc, 5, v9
	v_lshrrev_b32_e32 v7, 2, v7
	v_bfe_u32 v11, v3, 20, 11
	v_cndmask_b32_e64 v10, 0, 1, vcc
	v_cmp_eq_u32_e32 vcc, 3, v9
	v_sub_u32_e32 v12, 0x3f1, v11
	v_med3_i32 v12, v12, 0, 13
	v_cndmask_b32_e64 v9, 0, 1, vcc
	v_or_b32_e32 v9, v9, v10
	v_add_u32_e32 v7, v7, v9
	v_mov_b32_e32 v9, 0x7c00
	v_cmp_gt_i32_e32 vcc, 31, v8
	v_mov_b32_e32 v10, 0x7e00
	v_add_u32_e32 v11, 0xfffffc10, v11
	v_cndmask_b32_e32 v7, v9, v7, vcc
	v_cmp_ne_u32_e32 vcc, 0, v6
	s_mov_b32 s6, 0x8000
	s_mov_b32 s0, 0xffff
	v_cndmask_b32_e32 v6, v9, v10, vcc
	v_cmp_eq_u32_e32 vcc, s5, v8
	v_lshrrev_b32_e32 v8, 8, v3
	v_lshrrev_b32_e32 v3, 16, v3
	v_cndmask_b32_e32 v6, v7, v6, vcc
	v_cmp_ne_u32_e32 vcc, 0, v2
	v_and_b32_sdwa v7, v1, s6 dst_sel:DWORD dst_unused:UNUSED_PAD src0_sel:WORD_1 src1_sel:DWORD
	s_nop 0
	v_cndmask_b32_e64 v2, 0, 1, vcc
	v_and_or_b32 v2, v8, s1, v2
	v_or_b32_e32 v8, 0x1000, v2
	v_lshrrev_b32_e32 v13, v12, v8
	v_lshlrev_b32_e32 v12, v12, v13
	v_cmp_ne_u32_e32 vcc, v12, v8
	v_lshl_or_b32 v12, v11, 12, v2
	s_nop 0
	v_cndmask_b32_e64 v8, 0, 1, vcc
	v_or_b32_e32 v8, v13, v8
	v_cmp_gt_i32_e32 vcc, 1, v11
	s_nop 1
	v_cndmask_b32_e32 v8, v12, v8, vcc
	v_and_b32_e32 v12, 7, v8
	v_cmp_lt_i32_e32 vcc, 5, v12
	v_lshrrev_b32_e32 v8, 2, v8
	s_nop 0
	v_cndmask_b32_e64 v13, 0, 1, vcc
	v_cmp_eq_u32_e32 vcc, 3, v12
	s_nop 1
	v_cndmask_b32_e64 v12, 0, 1, vcc
	v_or_b32_e32 v12, v12, v13
	v_add_u32_e32 v8, v8, v12
	v_cmp_gt_i32_e32 vcc, 31, v11
	s_nop 1
	v_cndmask_b32_e32 v8, v9, v8, vcc
	v_cmp_ne_u32_e32 vcc, 0, v2
	s_nop 1
	v_cndmask_b32_e32 v2, v9, v10, vcc
	v_cmp_eq_u32_e32 vcc, s5, v11
	s_nop 1
	v_cndmask_b32_e32 v2, v8, v2, vcc
	v_and_or_b32 v2, v3, s6, v2
	v_bitop3_b32 v3, v7, s0, v6 bitop3:0xc8
	v_lshl_or_b32 v2, v2, 16, v3
	global_store_dword v[4:5], v2, off
.LBB131_226:
	s_mov_b64 s[0:1], 0
.LBB131_227:
	s_andn2_b64 vcc, exec, s[0:1]
	s_cbranch_vccnz .LBB131_236
; %bb.228:
	s_cmp_lt_i32 s4, 6
	s_mov_b64 s[0:1], -1
	s_cbranch_scc1 .LBB131_234
; %bb.229:
	s_cmp_gt_i32 s4, 6
	s_cbranch_scc0 .LBB131_231
; %bb.230:
	s_mov_b64 s[0:1], 0
	global_store_dwordx2 v[4:5], v[0:1], off
.LBB131_231:
	s_andn2_b64 vcc, exec, s[0:1]
	s_cbranch_vccnz .LBB131_233
; %bb.232:
	v_cvt_f32_f64_e32 v2, v[0:1]
	global_store_dword v[4:5], v2, off
.LBB131_233:
	s_mov_b64 s[0:1], 0
.LBB131_234:
	s_andn2_b64 vcc, exec, s[0:1]
	s_cbranch_vccnz .LBB131_236
; %bb.235:
	s_movk_i32 s0, 0x1ff
	v_and_or_b32 v2, v1, s0, v0
	v_cmp_ne_u32_e32 vcc, 0, v2
	v_lshrrev_b32_e32 v3, 8, v1
	s_movk_i32 s0, 0xffe
	v_cndmask_b32_e64 v2, 0, 1, vcc
	v_bfe_u32 v6, v1, 20, 11
	v_and_or_b32 v2, v3, s0, v2
	v_sub_u32_e32 v7, 0x3f1, v6
	v_or_b32_e32 v3, 0x1000, v2
	v_med3_i32 v7, v7, 0, 13
	v_lshrrev_b32_e32 v8, v7, v3
	v_lshlrev_b32_e32 v7, v7, v8
	v_cmp_ne_u32_e32 vcc, v7, v3
	v_add_u32_e32 v6, 0xfffffc10, v6
	v_lshl_or_b32 v7, v6, 12, v2
	v_cndmask_b32_e64 v3, 0, 1, vcc
	v_or_b32_e32 v3, v8, v3
	v_cmp_gt_i32_e32 vcc, 1, v6
	s_movk_i32 s0, 0x40f
	s_nop 0
	v_cndmask_b32_e32 v3, v7, v3, vcc
	v_and_b32_e32 v7, 7, v3
	v_cmp_lt_i32_e32 vcc, 5, v7
	v_lshrrev_b32_e32 v3, 2, v3
	s_nop 0
	v_cndmask_b32_e64 v8, 0, 1, vcc
	v_cmp_eq_u32_e32 vcc, 3, v7
	s_nop 1
	v_cndmask_b32_e64 v7, 0, 1, vcc
	v_or_b32_e32 v7, v7, v8
	v_add_u32_e32 v3, v3, v7
	v_mov_b32_e32 v7, 0x7c00
	v_cmp_gt_i32_e32 vcc, 31, v6
	v_mov_b32_e32 v8, 0x7e00
	s_nop 0
	v_cndmask_b32_e32 v3, v7, v3, vcc
	v_cmp_ne_u32_e32 vcc, 0, v2
	s_nop 1
	v_cndmask_b32_e32 v2, v7, v8, vcc
	v_cmp_eq_u32_e32 vcc, s0, v6
	s_mov_b32 s0, 0x8000
	s_nop 0
	v_cndmask_b32_e32 v2, v3, v2, vcc
	v_lshrrev_b32_e32 v3, 16, v1
	v_and_or_b32 v2, v3, s0, v2
	global_store_short v[4:5], v2, off
.LBB131_236:
	s_mov_b64 s[0:1], 0
.LBB131_237:
	s_andn2_b64 vcc, exec, s[0:1]
	s_cbranch_vccnz .LBB131_253
; %bb.238:
	s_cmp_lt_i32 s4, 2
	s_mov_b64 s[0:1], -1
	s_cbranch_scc1 .LBB131_248
; %bb.239:
	s_cmp_lt_i32 s4, 3
	s_cbranch_scc1 .LBB131_245
; %bb.240:
	s_cmp_gt_i32 s4, 3
	s_cbranch_scc0 .LBB131_242
; %bb.241:
	v_trunc_f64_e32 v[2:3], v[0:1]
	s_movk_i32 s0, 0xffe0
	v_ldexp_f64 v[6:7], v[2:3], s0
	v_floor_f64_e32 v[6:7], v[6:7]
	v_fmac_f64_e32 v[2:3], 0xc1f00000, v[6:7]
	v_cvt_i32_f64_e32 v9, v[6:7]
	v_cvt_u32_f64_e32 v8, v[2:3]
	s_mov_b64 s[0:1], 0
	global_store_dwordx2 v[4:5], v[8:9], off
.LBB131_242:
	s_andn2_b64 vcc, exec, s[0:1]
	s_cbranch_vccnz .LBB131_244
; %bb.243:
	v_cvt_i32_f64_e32 v2, v[0:1]
	global_store_dword v[4:5], v2, off
.LBB131_244:
	s_mov_b64 s[0:1], 0
.LBB131_245:
	s_andn2_b64 vcc, exec, s[0:1]
	s_cbranch_vccnz .LBB131_247
; %bb.246:
	v_cvt_i32_f64_e32 v2, v[0:1]
	global_store_short v[4:5], v2, off
.LBB131_247:
	s_mov_b64 s[0:1], 0
.LBB131_248:
	s_andn2_b64 vcc, exec, s[0:1]
	s_cbranch_vccnz .LBB131_253
; %bb.249:
	s_cmp_gt_i32 s4, 0
	s_mov_b64 s[0:1], -1
	s_cbranch_scc0 .LBB131_251
; %bb.250:
	v_cvt_i32_f64_e32 v2, v[0:1]
	s_mov_b64 s[0:1], 0
	global_store_byte v[4:5], v2, off
.LBB131_251:
	s_andn2_b64 vcc, exec, s[0:1]
	s_cbranch_vccnz .LBB131_253
; %bb.252:
	v_trunc_f64_e32 v[0:1], v[0:1]
	s_movk_i32 s0, 0xffe0
	v_ldexp_f64 v[2:3], v[0:1], s0
	v_floor_f64_e32 v[2:3], v[2:3]
	v_fmac_f64_e32 v[0:1], 0xc1f00000, v[2:3]
	v_cvt_u32_f64_e32 v0, v[0:1]
	global_store_byte v[4:5], v0, off
.LBB131_253:
	s_branch .LBB131_138
.LBB131_254:
	s_mov_b64 s[0:1], 0
                                        ; implicit-def: $vgpr51
.LBB131_255:
	s_andn2_b64 s[4:5], s[40:41], exec
	s_and_b64 s[2:3], s[2:3], exec
	s_or_b64 s[44:45], s[4:5], s[2:3]
	s_orn2_b64 s[4:5], s[0:1], exec
.LBB131_256:
	s_or_b64 exec, exec, s[46:47]
	s_mov_b64 s[0:1], 0
	s_mov_b64 s[2:3], 0
                                        ; implicit-def: $sgpr10
                                        ; implicit-def: $vgpr2_vgpr3
                                        ; implicit-def: $vgpr4_vgpr5
	s_and_saveexec_b64 s[46:47], s[4:5]
	s_cbranch_execz .LBB131_471
; %bb.257:
	v_cmp_gt_i32_e32 vcc, s52, v51
	s_mov_b64 s[2:3], -1
	s_mov_b64 s[50:51], s[44:45]
	s_and_saveexec_b64 s[48:49], vcc
	s_cbranch_execz .LBB131_386
; %bb.258:
	s_getpc_b64 s[0:1]
	s_add_u32 s0, s0, _ZN2at6native6invokeIZZZNS0_17expm1_kernel_cudaERNS_18TensorIteratorBaseEENKUlvE_clEvENKUlvE1_clEvEUlN3c107complexIdEEE_i15function_traitsIS9_EEENT1_11result_typeERKT_PrKPcPKT0_PKNS6_10ScalarTypeEi@rel32@lo+4
	s_addc_u32 s1, s1, _ZN2at6native6invokeIZZZNS0_17expm1_kernel_cudaERNS_18TensorIteratorBaseEENKUlvE_clEvENKUlvE1_clEvEUlN3c107complexIdEEE_i15function_traitsIS9_EEENT1_11result_typeERKT_PrKPcPKT0_PKNS6_10ScalarTypeEi@rel32@hi+12
	v_mov_b32_e32 v0, s38
	v_mov_b32_e32 v1, s39
	;; [unrolled: 1-line block ×5, first 2 shown]
	s_swappc_b64 s[30:31], s[0:1]
	v_mul_lo_u32 v4, v51, s26
	v_ashrrev_i32_e32 v5, 31, v4
	s_and_b32 s8, s33, 0xff
	s_cmp_lt_i32 s8, 11
	v_lshl_add_u64 v[4:5], s[36:37], 0, v[4:5]
	s_cbranch_scc1 .LBB131_265
; %bb.259:
	s_and_b32 s9, 0xffff, s8
	s_cmp_gt_i32 s9, 25
	s_cbranch_scc0 .LBB131_266
; %bb.260:
	s_cmp_gt_i32 s9, 28
	s_cbranch_scc0 .LBB131_267
; %bb.261:
	;; [unrolled: 3-line block ×4, first 2 shown]
	s_mov_b64 s[4:5], 0
	s_mov_b64 s[2:3], -1
	s_cmp_eq_u32 s9, 46
	s_mov_b64 s[0:1], 0
	s_cbranch_scc0 .LBB131_274
; %bb.264:
	v_cvt_f32_f64_e32 v7, v[2:3]
	s_movk_i32 s0, 0x7fff
	v_bfe_u32 v9, v7, 16, 1
	v_cvt_f32_f64_e32 v6, v[0:1]
	v_add3_u32 v9, v7, v9, s0
	v_bfe_u32 v8, v6, 16, 1
	v_and_b32_e32 v9, 0xffff0000, v9
	v_mov_b32_e32 v10, 0x7fc00000
	v_cmp_o_f32_e32 vcc, v7, v7
	v_add3_u32 v8, v6, v8, s0
	s_mov_b64 s[0:1], -1
	v_cndmask_b32_e32 v7, v10, v9, vcc
	v_cmp_o_f32_e32 vcc, v6, v6
	v_mov_b32_e32 v6, 0x7fc0
	s_mov_b64 s[2:3], 0
	v_cndmask_b32_sdwa v6, v6, v8, vcc dst_sel:DWORD dst_unused:UNUSED_PAD src0_sel:DWORD src1_sel:WORD_1
	v_or_b32_e32 v6, v7, v6
	global_store_dword v[4:5], v6, off
	s_branch .LBB131_274
.LBB131_265:
	s_mov_b64 s[4:5], -1
	s_mov_b64 s[0:1], 0
	s_mov_b64 s[2:3], s[44:45]
	s_branch .LBB131_343
.LBB131_266:
	s_mov_b64 s[4:5], -1
	s_mov_b64 s[0:1], 0
	s_mov_b64 s[2:3], s[44:45]
	s_branch .LBB131_301
.LBB131_267:
	s_mov_b64 s[4:5], -1
	s_mov_b64 s[0:1], 0
	s_mov_b64 s[2:3], s[44:45]
	s_branch .LBB131_284
.LBB131_268:
	s_andn2_saveexec_b64 s[6:7], s[6:7]
	s_cbranch_execz .LBB131_168
.LBB131_269:
	s_mov_b32 s10, 0x46000000
	v_add_f32_e64 v7, |v6|, s10
	v_and_b32_e32 v7, 0xff, v7
	v_cmp_ne_u32_e32 vcc, 0, v7
	s_andn2_b64 s[4:5], s[4:5], exec
	s_and_b64 s[10:11], vcc, exec
	s_or_b64 s[4:5], s[4:5], s[10:11]
	s_or_b64 exec, exec, s[6:7]
	v_mov_b32_e32 v8, 0
	s_and_saveexec_b64 s[6:7], s[4:5]
	s_cbranch_execnz .LBB131_169
	s_branch .LBB131_170
.LBB131_270:
	s_mov_b64 s[4:5], -1
	s_mov_b64 s[0:1], 0
	s_mov_b64 s[2:3], s[44:45]
	s_branch .LBB131_280
.LBB131_271:
	s_andn2_saveexec_b64 s[6:7], s[6:7]
	s_cbranch_execz .LBB131_181
.LBB131_272:
	s_mov_b32 s10, 0x42800000
	v_add_f32_e64 v7, |v6|, s10
	v_and_b32_e32 v7, 0xff, v7
	v_cmp_ne_u32_e32 vcc, 0, v7
	s_andn2_b64 s[4:5], s[4:5], exec
	s_and_b64 s[10:11], vcc, exec
	s_or_b64 s[4:5], s[4:5], s[10:11]
	s_or_b64 exec, exec, s[6:7]
	v_mov_b32_e32 v8, 0
	s_and_saveexec_b64 s[6:7], s[4:5]
	s_cbranch_execnz .LBB131_182
	s_branch .LBB131_183
.LBB131_273:
	s_mov_b64 s[4:5], -1
	s_mov_b64 s[0:1], 0
	s_mov_b64 s[2:3], s[44:45]
.LBB131_274:
	s_and_b64 vcc, exec, s[4:5]
	s_cbranch_vccz .LBB131_279
; %bb.275:
	s_cmp_eq_u32 s9, 44
	s_mov_b64 s[2:3], -1
	s_cbranch_scc0 .LBB131_279
; %bb.276:
	v_cvt_f32_f64_e32 v6, v[0:1]
	v_bfe_u32 v7, v6, 23, 8
	s_movk_i32 s0, 0xff
	v_cmp_ne_u32_e32 vcc, s0, v7
	v_mov_b32_e32 v8, 0xff
	s_and_saveexec_b64 s[2:3], vcc
; %bb.277:
	s_mov_b32 s0, 0x3fffff
	v_lshrrev_b32_e32 v8, 23, v6
	v_and_b32_e32 v9, 0x400000, v6
	v_and_or_b32 v6, v6, s0, v7
	v_cmp_ne_u32_e32 vcc, 0, v9
	v_cmp_ne_u32_e64 s[0:1], 0, v6
	s_and_b64 s[0:1], vcc, s[0:1]
	s_nop 0
	v_cndmask_b32_e64 v6, 0, 1, s[0:1]
	v_add_u32_e32 v8, v8, v6
; %bb.278:
	s_or_b64 exec, exec, s[2:3]
	s_mov_b64 s[0:1], -1
	s_mov_b64 s[2:3], 0
	global_store_byte v[4:5], v8, off
.LBB131_279:
	s_mov_b64 s[4:5], 0
.LBB131_280:
	s_and_b64 vcc, exec, s[4:5]
	s_cbranch_vccz .LBB131_283
; %bb.281:
	s_cmp_eq_u32 s9, 29
	s_mov_b64 s[2:3], -1
	s_cbranch_scc0 .LBB131_283
; %bb.282:
	v_trunc_f64_e32 v[6:7], v[0:1]
	s_movk_i32 s0, 0xffe0
	v_ldexp_f64 v[8:9], v[6:7], s0
	v_floor_f64_e32 v[8:9], v[8:9]
	v_fmac_f64_e32 v[6:7], 0xc1f00000, v[8:9]
	v_cvt_u32_f64_e32 v11, v[8:9]
	v_cvt_u32_f64_e32 v10, v[6:7]
	global_store_dwordx2 v[4:5], v[10:11], off
	s_mov_b64 s[0:1], -1
	s_mov_b64 s[2:3], 0
.LBB131_283:
	s_mov_b64 s[4:5], 0
.LBB131_284:
	s_and_b64 vcc, exec, s[4:5]
	s_cbranch_vccz .LBB131_300
; %bb.285:
	s_cmp_lt_i32 s9, 27
	s_mov_b64 s[0:1], -1
	s_cbranch_scc1 .LBB131_291
; %bb.286:
	s_cmp_gt_i32 s9, 27
	v_cvt_u32_f64_e32 v6, v[0:1]
	s_cbranch_scc0 .LBB131_288
; %bb.287:
	s_mov_b64 s[0:1], 0
	global_store_dword v[4:5], v6, off
.LBB131_288:
	s_andn2_b64 vcc, exec, s[0:1]
	s_cbranch_vccnz .LBB131_290
; %bb.289:
	global_store_short v[4:5], v6, off
.LBB131_290:
	s_mov_b64 s[0:1], 0
.LBB131_291:
	s_andn2_b64 vcc, exec, s[0:1]
	s_cbranch_vccnz .LBB131_299
; %bb.292:
	v_cvt_f32_f64_e32 v6, v[0:1]
	v_and_b32_e32 v7, 0x7fffffff, v6
	s_mov_b32 s0, 0x43800000
	v_cmp_gt_u32_e32 vcc, s0, v7
	v_mov_b32_e32 v8, 0x80
	s_and_saveexec_b64 s[0:1], vcc
	s_cbranch_execz .LBB131_298
; %bb.293:
	s_mov_b32 s4, 0x3bffffff
	v_cmp_lt_u32_e32 vcc, s4, v7
	s_mov_b64 s[4:5], 0
                                        ; implicit-def: $vgpr7
	s_and_saveexec_b64 s[6:7], vcc
	s_xor_b64 s[6:7], exec, s[6:7]
	s_cbranch_execz .LBB131_396
; %bb.294:
	v_bfe_u32 v7, v6, 20, 1
	s_mov_b32 s10, 0x487ffff
	v_add3_u32 v7, v6, v7, s10
	s_mov_b64 s[4:5], exec
	v_lshrrev_b32_e32 v7, 20, v7
	s_andn2_saveexec_b64 s[6:7], s[6:7]
	s_cbranch_execnz .LBB131_397
.LBB131_295:
	s_or_b64 exec, exec, s[6:7]
	v_mov_b32_e32 v8, 0
	s_and_saveexec_b64 s[6:7], s[4:5]
.LBB131_296:
	v_lshrrev_b32_e32 v6, 24, v6
	s_movk_i32 s4, 0x80
	v_and_or_b32 v8, v6, s4, v7
.LBB131_297:
	s_or_b64 exec, exec, s[6:7]
.LBB131_298:
	s_or_b64 exec, exec, s[0:1]
	global_store_byte v[4:5], v8, off
.LBB131_299:
	s_mov_b64 s[0:1], -1
.LBB131_300:
	s_mov_b64 s[4:5], 0
.LBB131_301:
	s_and_b64 vcc, exec, s[4:5]
	s_cbranch_vccz .LBB131_342
; %bb.302:
	s_cmp_gt_i32 s9, 22
	s_mov_b64 s[4:5], -1
	s_cbranch_scc0 .LBB131_334
; %bb.303:
	s_cmp_lt_i32 s9, 24
	s_mov_b64 s[0:1], -1
	s_cbranch_scc1 .LBB131_323
; %bb.304:
	s_cmp_gt_i32 s9, 24
	s_cbranch_scc0 .LBB131_312
; %bb.305:
	v_cvt_f32_f64_e32 v6, v[0:1]
	v_and_b32_e32 v7, 0x7fffffff, v6
	s_mov_b32 s0, 0x47800000
	v_cmp_gt_u32_e32 vcc, s0, v7
	v_mov_b32_e32 v8, 0x80
	s_and_saveexec_b64 s[0:1], vcc
	s_cbranch_execz .LBB131_311
; %bb.306:
	s_mov_b32 s4, 0x37ffffff
	v_cmp_lt_u32_e32 vcc, s4, v7
	s_mov_b64 s[4:5], 0
                                        ; implicit-def: $vgpr7
	s_and_saveexec_b64 s[6:7], vcc
	s_xor_b64 s[6:7], exec, s[6:7]
	s_cbranch_execz .LBB131_398
; %bb.307:
	v_bfe_u32 v7, v6, 21, 1
	s_mov_b32 s10, 0x88fffff
	v_add3_u32 v7, v6, v7, s10
	s_mov_b64 s[4:5], exec
	v_lshrrev_b32_e32 v7, 21, v7
	s_andn2_saveexec_b64 s[6:7], s[6:7]
	s_cbranch_execnz .LBB131_399
.LBB131_308:
	s_or_b64 exec, exec, s[6:7]
	v_mov_b32_e32 v8, 0
	s_and_saveexec_b64 s[6:7], s[4:5]
.LBB131_309:
	v_lshrrev_b32_e32 v6, 24, v6
	s_movk_i32 s4, 0x80
	v_and_or_b32 v8, v6, s4, v7
.LBB131_310:
	s_or_b64 exec, exec, s[6:7]
.LBB131_311:
	s_or_b64 exec, exec, s[0:1]
	s_mov_b64 s[0:1], 0
	global_store_byte v[4:5], v8, off
.LBB131_312:
	s_and_b64 vcc, exec, s[0:1]
	s_cbranch_vccz .LBB131_322
; %bb.313:
	v_cvt_f32_f64_e32 v6, v[0:1]
	v_and_b32_e32 v8, 0x7fffffff, v6
	s_mov_b32 s0, 0x43f00000
	v_cmp_gt_u32_e32 vcc, s0, v8
                                        ; implicit-def: $vgpr7
	s_and_saveexec_b64 s[0:1], vcc
	s_xor_b64 s[0:1], exec, s[0:1]
	s_cbranch_execz .LBB131_319
; %bb.314:
	s_mov_b32 s4, 0x3c7fffff
	v_cmp_lt_u32_e32 vcc, s4, v8
                                        ; implicit-def: $vgpr7
	s_and_saveexec_b64 s[4:5], vcc
	s_xor_b64 s[4:5], exec, s[4:5]
; %bb.315:
	v_bfe_u32 v7, v6, 20, 1
	s_mov_b32 s6, 0x407ffff
	v_add3_u32 v7, v6, v7, s6
	v_lshrrev_b32_e32 v8, 20, v7
	v_and_b32_e32 v7, 0xff00000, v7
	s_mov_b32 s6, 0x7f00000
	v_mov_b32_e32 v9, 0x7e
	v_cmp_ne_u32_e32 vcc, s6, v7
	s_nop 1
	v_cndmask_b32_e32 v7, v9, v8, vcc
; %bb.316:
	s_andn2_saveexec_b64 s[4:5], s[4:5]
; %bb.317:
	s_mov_b32 s6, 0x46800000
	v_add_f32_e64 v7, |v6|, s6
; %bb.318:
	s_or_b64 exec, exec, s[4:5]
                                        ; implicit-def: $vgpr8
.LBB131_319:
	s_andn2_saveexec_b64 s[0:1], s[0:1]
; %bb.320:
	s_mov_b32 s4, 0x7f800000
	v_mov_b32_e32 v7, 0x7e
	v_mov_b32_e32 v9, 0x7f
	v_cmp_lt_u32_e32 vcc, s4, v8
	s_nop 1
	v_cndmask_b32_e32 v7, v7, v9, vcc
; %bb.321:
	s_or_b64 exec, exec, s[0:1]
	v_lshrrev_b32_e32 v6, 24, v6
	s_movk_i32 s0, 0x80
	v_and_or_b32 v6, v6, s0, v7
	global_store_byte v[4:5], v6, off
.LBB131_322:
	s_mov_b64 s[0:1], 0
.LBB131_323:
	s_andn2_b64 vcc, exec, s[0:1]
	s_cbranch_vccnz .LBB131_333
; %bb.324:
	v_cvt_f32_f64_e32 v6, v[0:1]
	v_and_b32_e32 v8, 0x7fffffff, v6
	s_mov_b32 s0, 0x47800000
	v_cmp_gt_u32_e32 vcc, s0, v8
                                        ; implicit-def: $vgpr7
	s_and_saveexec_b64 s[0:1], vcc
	s_xor_b64 s[0:1], exec, s[0:1]
	s_cbranch_execz .LBB131_330
; %bb.325:
	s_mov_b32 s4, 0x387fffff
	v_cmp_lt_u32_e32 vcc, s4, v8
                                        ; implicit-def: $vgpr7
	s_and_saveexec_b64 s[4:5], vcc
	s_xor_b64 s[4:5], exec, s[4:5]
; %bb.326:
	v_bfe_u32 v7, v6, 21, 1
	s_mov_b32 s6, 0x80fffff
	v_add3_u32 v7, v6, v7, s6
	v_lshrrev_b32_e32 v7, 21, v7
; %bb.327:
	s_andn2_saveexec_b64 s[4:5], s[4:5]
; %bb.328:
	s_mov_b32 s6, 0x43000000
	v_add_f32_e64 v7, |v6|, s6
; %bb.329:
	s_or_b64 exec, exec, s[4:5]
                                        ; implicit-def: $vgpr8
.LBB131_330:
	s_andn2_saveexec_b64 s[0:1], s[0:1]
; %bb.331:
	s_mov_b32 s4, 0x7f800000
	v_mov_b32_e32 v7, 0x7c
	v_mov_b32_e32 v9, 0x7f
	v_cmp_lt_u32_e32 vcc, s4, v8
	s_nop 1
	v_cndmask_b32_e32 v7, v7, v9, vcc
; %bb.332:
	s_or_b64 exec, exec, s[0:1]
	v_lshrrev_b32_e32 v6, 24, v6
	s_movk_i32 s0, 0x80
	v_and_or_b32 v6, v6, s0, v7
	global_store_byte v[4:5], v6, off
.LBB131_333:
	s_mov_b64 s[4:5], 0
	s_mov_b64 s[0:1], -1
.LBB131_334:
	s_andn2_b64 vcc, exec, s[4:5]
	s_cbranch_vccnz .LBB131_342
; %bb.335:
	s_cmp_gt_i32 s9, 14
	s_mov_b64 s[4:5], -1
	s_cbranch_scc0 .LBB131_339
; %bb.336:
	s_cmp_eq_u32 s9, 15
	s_mov_b64 s[2:3], -1
	s_cbranch_scc0 .LBB131_338
; %bb.337:
	v_cvt_f32_f64_e32 v6, v[0:1]
	v_bfe_u32 v7, v6, 16, 1
	s_movk_i32 s0, 0x7fff
	v_add3_u32 v7, v6, v7, s0
	v_cmp_o_f32_e32 vcc, v6, v6
	v_mov_b32_e32 v6, 0x7fc0
	s_mov_b64 s[0:1], -1
	v_cndmask_b32_sdwa v6, v6, v7, vcc dst_sel:DWORD dst_unused:UNUSED_PAD src0_sel:DWORD src1_sel:WORD_1
	global_store_short v[4:5], v6, off
	s_mov_b64 s[2:3], 0
.LBB131_338:
	s_mov_b64 s[4:5], 0
.LBB131_339:
	s_and_b64 vcc, exec, s[4:5]
	s_cbranch_vccz .LBB131_342
; %bb.340:
	s_cmp_eq_u32 s9, 11
	s_mov_b64 s[2:3], -1
	s_cbranch_scc0 .LBB131_342
; %bb.341:
	v_cmp_neq_f64_e32 vcc, 0, v[0:1]
	v_cmp_neq_f64_e64 s[0:1], 0, v[2:3]
	s_or_b64 s[0:1], vcc, s[0:1]
	s_mov_b64 s[2:3], 0
	v_cndmask_b32_e64 v6, 0, 1, s[0:1]
	s_mov_b64 s[0:1], -1
	global_store_byte v[4:5], v6, off
.LBB131_342:
	s_mov_b64 s[4:5], 0
.LBB131_343:
	s_and_b64 vcc, exec, s[4:5]
	s_cbranch_vccz .LBB131_382
; %bb.344:
	s_and_b32 s4, 0xffff, s8
	s_cmp_lt_i32 s4, 5
	s_mov_b64 s[0:1], -1
	s_cbranch_scc1 .LBB131_365
; %bb.345:
	s_cmp_lt_i32 s4, 8
	s_cbranch_scc1 .LBB131_355
; %bb.346:
	s_cmp_lt_i32 s4, 9
	s_cbranch_scc1 .LBB131_352
; %bb.347:
	s_cmp_gt_i32 s4, 9
	s_cbranch_scc0 .LBB131_349
; %bb.348:
	s_mov_b64 s[0:1], 0
	global_store_dwordx4 v[4:5], v[0:3], off
.LBB131_349:
	s_andn2_b64 vcc, exec, s[0:1]
	s_cbranch_vccnz .LBB131_351
; %bb.350:
	v_cvt_f32_f64_e32 v7, v[2:3]
	v_cvt_f32_f64_e32 v6, v[0:1]
	global_store_dwordx2 v[4:5], v[6:7], off
.LBB131_351:
	s_mov_b64 s[0:1], 0
.LBB131_352:
	s_andn2_b64 vcc, exec, s[0:1]
	s_cbranch_vccnz .LBB131_354
; %bb.353:
	s_movk_i32 s0, 0x1ff
	v_and_or_b32 v6, v1, s0, v0
	v_cmp_ne_u32_e32 vcc, 0, v6
	v_lshrrev_b32_e32 v7, 8, v1
	s_movk_i32 s1, 0xffe
	v_cndmask_b32_e64 v6, 0, 1, vcc
	v_bfe_u32 v8, v1, 20, 11
	v_and_or_b32 v6, v7, s1, v6
	v_sub_u32_e32 v9, 0x3f1, v8
	v_or_b32_e32 v7, 0x1000, v6
	v_med3_i32 v9, v9, 0, 13
	v_lshrrev_b32_e32 v10, v9, v7
	v_lshlrev_b32_e32 v9, v9, v10
	v_cmp_ne_u32_e32 vcc, v9, v7
	v_add_u32_e32 v8, 0xfffffc10, v8
	v_lshl_or_b32 v9, v8, 12, v6
	v_cndmask_b32_e64 v7, 0, 1, vcc
	v_or_b32_e32 v7, v10, v7
	v_cmp_gt_i32_e32 vcc, 1, v8
	s_movk_i32 s5, 0x40f
	v_and_or_b32 v2, v3, s0, v2
	v_cndmask_b32_e32 v7, v9, v7, vcc
	v_and_b32_e32 v9, 7, v7
	v_cmp_lt_i32_e32 vcc, 5, v9
	v_lshrrev_b32_e32 v7, 2, v7
	v_bfe_u32 v11, v3, 20, 11
	v_cndmask_b32_e64 v10, 0, 1, vcc
	v_cmp_eq_u32_e32 vcc, 3, v9
	v_sub_u32_e32 v12, 0x3f1, v11
	v_med3_i32 v12, v12, 0, 13
	v_cndmask_b32_e64 v9, 0, 1, vcc
	v_or_b32_e32 v9, v9, v10
	v_add_u32_e32 v7, v7, v9
	v_mov_b32_e32 v9, 0x7c00
	v_cmp_gt_i32_e32 vcc, 31, v8
	v_mov_b32_e32 v10, 0x7e00
	v_add_u32_e32 v11, 0xfffffc10, v11
	v_cndmask_b32_e32 v7, v9, v7, vcc
	v_cmp_ne_u32_e32 vcc, 0, v6
	s_mov_b32 s6, 0x8000
	s_mov_b32 s0, 0xffff
	v_cndmask_b32_e32 v6, v9, v10, vcc
	v_cmp_eq_u32_e32 vcc, s5, v8
	v_lshrrev_b32_e32 v8, 8, v3
	v_lshrrev_b32_e32 v3, 16, v3
	v_cndmask_b32_e32 v6, v7, v6, vcc
	v_cmp_ne_u32_e32 vcc, 0, v2
	v_and_b32_sdwa v7, v1, s6 dst_sel:DWORD dst_unused:UNUSED_PAD src0_sel:WORD_1 src1_sel:DWORD
	s_nop 0
	v_cndmask_b32_e64 v2, 0, 1, vcc
	v_and_or_b32 v2, v8, s1, v2
	v_or_b32_e32 v8, 0x1000, v2
	v_lshrrev_b32_e32 v13, v12, v8
	v_lshlrev_b32_e32 v12, v12, v13
	v_cmp_ne_u32_e32 vcc, v12, v8
	v_lshl_or_b32 v12, v11, 12, v2
	s_nop 0
	v_cndmask_b32_e64 v8, 0, 1, vcc
	v_or_b32_e32 v8, v13, v8
	v_cmp_gt_i32_e32 vcc, 1, v11
	s_nop 1
	v_cndmask_b32_e32 v8, v12, v8, vcc
	v_and_b32_e32 v12, 7, v8
	v_cmp_lt_i32_e32 vcc, 5, v12
	v_lshrrev_b32_e32 v8, 2, v8
	s_nop 0
	v_cndmask_b32_e64 v13, 0, 1, vcc
	v_cmp_eq_u32_e32 vcc, 3, v12
	s_nop 1
	v_cndmask_b32_e64 v12, 0, 1, vcc
	v_or_b32_e32 v12, v12, v13
	v_add_u32_e32 v8, v8, v12
	v_cmp_gt_i32_e32 vcc, 31, v11
	s_nop 1
	v_cndmask_b32_e32 v8, v9, v8, vcc
	v_cmp_ne_u32_e32 vcc, 0, v2
	s_nop 1
	v_cndmask_b32_e32 v2, v9, v10, vcc
	v_cmp_eq_u32_e32 vcc, s5, v11
	s_nop 1
	v_cndmask_b32_e32 v2, v8, v2, vcc
	v_and_or_b32 v2, v3, s6, v2
	v_bitop3_b32 v3, v7, s0, v6 bitop3:0xc8
	v_lshl_or_b32 v2, v2, 16, v3
	global_store_dword v[4:5], v2, off
.LBB131_354:
	s_mov_b64 s[0:1], 0
.LBB131_355:
	s_andn2_b64 vcc, exec, s[0:1]
	s_cbranch_vccnz .LBB131_364
; %bb.356:
	s_cmp_lt_i32 s4, 6
	s_mov_b64 s[0:1], -1
	s_cbranch_scc1 .LBB131_362
; %bb.357:
	s_cmp_gt_i32 s4, 6
	s_cbranch_scc0 .LBB131_359
; %bb.358:
	s_mov_b64 s[0:1], 0
	global_store_dwordx2 v[4:5], v[0:1], off
.LBB131_359:
	s_andn2_b64 vcc, exec, s[0:1]
	s_cbranch_vccnz .LBB131_361
; %bb.360:
	v_cvt_f32_f64_e32 v2, v[0:1]
	global_store_dword v[4:5], v2, off
.LBB131_361:
	s_mov_b64 s[0:1], 0
.LBB131_362:
	s_andn2_b64 vcc, exec, s[0:1]
	s_cbranch_vccnz .LBB131_364
; %bb.363:
	s_movk_i32 s0, 0x1ff
	v_and_or_b32 v2, v1, s0, v0
	v_cmp_ne_u32_e32 vcc, 0, v2
	v_lshrrev_b32_e32 v3, 8, v1
	s_movk_i32 s0, 0xffe
	v_cndmask_b32_e64 v2, 0, 1, vcc
	v_bfe_u32 v6, v1, 20, 11
	v_and_or_b32 v2, v3, s0, v2
	v_sub_u32_e32 v7, 0x3f1, v6
	v_or_b32_e32 v3, 0x1000, v2
	v_med3_i32 v7, v7, 0, 13
	v_lshrrev_b32_e32 v8, v7, v3
	v_lshlrev_b32_e32 v7, v7, v8
	v_cmp_ne_u32_e32 vcc, v7, v3
	v_add_u32_e32 v6, 0xfffffc10, v6
	v_lshl_or_b32 v7, v6, 12, v2
	v_cndmask_b32_e64 v3, 0, 1, vcc
	v_or_b32_e32 v3, v8, v3
	v_cmp_gt_i32_e32 vcc, 1, v6
	s_movk_i32 s0, 0x40f
	s_nop 0
	v_cndmask_b32_e32 v3, v7, v3, vcc
	v_and_b32_e32 v7, 7, v3
	v_cmp_lt_i32_e32 vcc, 5, v7
	v_lshrrev_b32_e32 v3, 2, v3
	s_nop 0
	v_cndmask_b32_e64 v8, 0, 1, vcc
	v_cmp_eq_u32_e32 vcc, 3, v7
	s_nop 1
	v_cndmask_b32_e64 v7, 0, 1, vcc
	v_or_b32_e32 v7, v7, v8
	v_add_u32_e32 v3, v3, v7
	v_mov_b32_e32 v7, 0x7c00
	v_cmp_gt_i32_e32 vcc, 31, v6
	v_mov_b32_e32 v8, 0x7e00
	s_nop 0
	v_cndmask_b32_e32 v3, v7, v3, vcc
	v_cmp_ne_u32_e32 vcc, 0, v2
	s_nop 1
	v_cndmask_b32_e32 v2, v7, v8, vcc
	v_cmp_eq_u32_e32 vcc, s0, v6
	s_mov_b32 s0, 0x8000
	s_nop 0
	v_cndmask_b32_e32 v2, v3, v2, vcc
	v_lshrrev_b32_e32 v3, 16, v1
	v_and_or_b32 v2, v3, s0, v2
	global_store_short v[4:5], v2, off
.LBB131_364:
	s_mov_b64 s[0:1], 0
.LBB131_365:
	s_andn2_b64 vcc, exec, s[0:1]
	s_cbranch_vccnz .LBB131_381
; %bb.366:
	s_cmp_lt_i32 s4, 2
	s_mov_b64 s[0:1], -1
	s_cbranch_scc1 .LBB131_376
; %bb.367:
	s_cmp_lt_i32 s4, 3
	s_cbranch_scc1 .LBB131_373
; %bb.368:
	s_cmp_gt_i32 s4, 3
	s_cbranch_scc0 .LBB131_370
; %bb.369:
	v_trunc_f64_e32 v[2:3], v[0:1]
	s_movk_i32 s0, 0xffe0
	v_ldexp_f64 v[6:7], v[2:3], s0
	v_floor_f64_e32 v[6:7], v[6:7]
	v_fmac_f64_e32 v[2:3], 0xc1f00000, v[6:7]
	v_cvt_i32_f64_e32 v9, v[6:7]
	v_cvt_u32_f64_e32 v8, v[2:3]
	s_mov_b64 s[0:1], 0
	global_store_dwordx2 v[4:5], v[8:9], off
.LBB131_370:
	s_andn2_b64 vcc, exec, s[0:1]
	s_cbranch_vccnz .LBB131_372
; %bb.371:
	v_cvt_i32_f64_e32 v2, v[0:1]
	global_store_dword v[4:5], v2, off
.LBB131_372:
	s_mov_b64 s[0:1], 0
.LBB131_373:
	s_andn2_b64 vcc, exec, s[0:1]
	s_cbranch_vccnz .LBB131_375
; %bb.374:
	v_cvt_i32_f64_e32 v2, v[0:1]
	global_store_short v[4:5], v2, off
.LBB131_375:
	s_mov_b64 s[0:1], 0
.LBB131_376:
	s_andn2_b64 vcc, exec, s[0:1]
	s_cbranch_vccnz .LBB131_381
; %bb.377:
	s_cmp_gt_i32 s4, 0
	s_mov_b64 s[0:1], -1
	s_cbranch_scc0 .LBB131_379
; %bb.378:
	v_cvt_i32_f64_e32 v2, v[0:1]
	s_mov_b64 s[0:1], 0
	global_store_byte v[4:5], v2, off
.LBB131_379:
	s_andn2_b64 vcc, exec, s[0:1]
	s_cbranch_vccnz .LBB131_381
; %bb.380:
	v_trunc_f64_e32 v[0:1], v[0:1]
	s_movk_i32 s0, 0xffe0
	v_ldexp_f64 v[2:3], v[0:1], s0
	v_floor_f64_e32 v[2:3], v[2:3]
	v_fmac_f64_e32 v[0:1], 0xc1f00000, v[2:3]
	v_cvt_u32_f64_e32 v0, v[0:1]
	global_store_byte v[4:5], v0, off
.LBB131_381:
	s_mov_b64 s[0:1], -1
.LBB131_382:
	s_andn2_b64 vcc, exec, s[0:1]
	s_cbranch_vccnz .LBB131_384
; %bb.383:
	v_add_u32_e32 v51, 0x80, v51
	s_mov_b64 s[0:1], -1
	s_branch .LBB131_385
.LBB131_384:
	s_mov_b64 s[0:1], 0
                                        ; implicit-def: $vgpr51
.LBB131_385:
	s_andn2_b64 s[4:5], s[44:45], exec
	s_and_b64 s[2:3], s[2:3], exec
	s_or_b64 s[50:51], s[4:5], s[2:3]
	s_orn2_b64 s[2:3], s[0:1], exec
.LBB131_386:
	s_or_b64 exec, exec, s[48:49]
	s_mov_b64 s[0:1], 0
	s_mov_b64 s[6:7], 0
                                        ; implicit-def: $sgpr10
                                        ; implicit-def: $vgpr2_vgpr3
                                        ; implicit-def: $vgpr4_vgpr5
	s_and_saveexec_b64 s[48:49], s[2:3]
	s_cbranch_execz .LBB131_470
; %bb.387:
	v_cmp_gt_i32_e32 vcc, s52, v51
	s_mov_b64 s[2:3], 0
	s_mov_b64 s[4:5], s[50:51]
                                        ; implicit-def: $sgpr10
                                        ; implicit-def: $vgpr2_vgpr3
                                        ; implicit-def: $vgpr4_vgpr5
	s_and_saveexec_b64 s[52:53], vcc
	s_cbranch_execz .LBB131_469
; %bb.388:
	s_getpc_b64 s[0:1]
	s_add_u32 s0, s0, _ZN2at6native6invokeIZZZNS0_17expm1_kernel_cudaERNS_18TensorIteratorBaseEENKUlvE_clEvENKUlvE1_clEvEUlN3c107complexIdEEE_i15function_traitsIS9_EEENT1_11result_typeERKT_PrKPcPKT0_PKNS6_10ScalarTypeEi@rel32@lo+4
	s_addc_u32 s1, s1, _ZN2at6native6invokeIZZZNS0_17expm1_kernel_cudaERNS_18TensorIteratorBaseEENKUlvE_clEvENKUlvE1_clEvEUlN3c107complexIdEEE_i15function_traitsIS9_EEENT1_11result_typeERKT_PrKPcPKT0_PKNS6_10ScalarTypeEi@rel32@hi+12
	v_mov_b32_e32 v0, s38
	v_mov_b32_e32 v1, s39
	v_mov_b32_e32 v2, s27
	v_mov_b32_e32 v3, v56
	v_mov_b32_e32 v4, v51
	s_swappc_b64 s[30:31], s[0:1]
	v_mul_lo_u32 v4, v51, s26
	v_ashrrev_i32_e32 v5, 31, v4
	s_and_b32 s10, s33, 0xff
	s_cmp_lt_i32 s10, 11
	v_lshl_add_u64 v[4:5], s[36:37], 0, v[4:5]
	s_cbranch_scc1 .LBB131_395
; %bb.389:
	s_and_b32 s11, 0xffff, s10
	s_mov_b64 s[4:5], -1
	s_cmp_gt_i32 s11, 25
	s_mov_b64 s[0:1], s[50:51]
	s_cbranch_scc0 .LBB131_427
; %bb.390:
	s_mov_b64 s[2:3], -1
	s_cmp_gt_i32 s11, 28
	s_mov_b64 s[0:1], s[50:51]
	s_cbranch_scc0 .LBB131_411
; %bb.391:
	s_cmp_gt_i32 s11, 43
	s_mov_b64 s[0:1], s[50:51]
	s_cbranch_scc0 .LBB131_407
; %bb.392:
	;; [unrolled: 4-line block ×3, first 2 shown]
	s_cmp_eq_u32 s11, 46
	s_mov_b64 s[0:1], -1
	s_cbranch_scc0 .LBB131_400
; %bb.394:
	v_cvt_f32_f64_e32 v7, v[2:3]
	s_movk_i32 s0, 0x7fff
	v_bfe_u32 v9, v7, 16, 1
	v_cvt_f32_f64_e32 v6, v[0:1]
	v_add3_u32 v9, v7, v9, s0
	v_bfe_u32 v8, v6, 16, 1
	v_and_b32_e32 v9, 0xffff0000, v9
	v_mov_b32_e32 v10, 0x7fc00000
	v_cmp_o_f32_e32 vcc, v7, v7
	v_add3_u32 v8, v6, v8, s0
	s_mov_b64 s[0:1], 0
	v_cndmask_b32_e32 v7, v10, v9, vcc
	v_cmp_o_f32_e32 vcc, v6, v6
	v_mov_b32_e32 v6, 0x7fc0
	s_mov_b64 s[2:3], 0
	v_cndmask_b32_sdwa v6, v6, v8, vcc dst_sel:DWORD dst_unused:UNUSED_PAD src0_sel:DWORD src1_sel:WORD_1
	v_or_b32_e32 v6, v7, v6
	global_store_dword v[4:5], v6, off
	s_branch .LBB131_401
.LBB131_395:
	s_mov_b64 s[4:5], 0
	s_mov_b64 s[2:3], -1
	s_mov_b64 s[0:1], s[50:51]
	s_branch .LBB131_468
.LBB131_396:
	s_andn2_saveexec_b64 s[6:7], s[6:7]
	s_cbranch_execz .LBB131_295
.LBB131_397:
	s_mov_b32 s10, 0x46000000
	v_add_f32_e64 v7, |v6|, s10
	v_and_b32_e32 v7, 0xff, v7
	v_cmp_ne_u32_e32 vcc, 0, v7
	s_andn2_b64 s[4:5], s[4:5], exec
	s_and_b64 s[10:11], vcc, exec
	s_or_b64 s[4:5], s[4:5], s[10:11]
	s_or_b64 exec, exec, s[6:7]
	v_mov_b32_e32 v8, 0
	s_and_saveexec_b64 s[6:7], s[4:5]
	s_cbranch_execnz .LBB131_296
	s_branch .LBB131_297
.LBB131_398:
	s_andn2_saveexec_b64 s[6:7], s[6:7]
	s_cbranch_execz .LBB131_308
.LBB131_399:
	s_mov_b32 s10, 0x42800000
	v_add_f32_e64 v7, |v6|, s10
	v_and_b32_e32 v7, 0xff, v7
	v_cmp_ne_u32_e32 vcc, 0, v7
	s_andn2_b64 s[4:5], s[4:5], exec
	s_and_b64 s[10:11], vcc, exec
	s_or_b64 s[4:5], s[4:5], s[10:11]
	s_or_b64 exec, exec, s[6:7]
	v_mov_b32_e32 v8, 0
	s_and_saveexec_b64 s[6:7], s[4:5]
	s_cbranch_execnz .LBB131_309
	s_branch .LBB131_310
.LBB131_400:
	s_mov_b64 s[2:3], 0
.LBB131_401:
	s_and_b64 vcc, exec, s[2:3]
	s_cbranch_vccz .LBB131_406
; %bb.402:
	s_cmp_eq_u32 s11, 44
	s_mov_b64 s[0:1], -1
	s_cbranch_scc0 .LBB131_406
; %bb.403:
	v_cvt_f32_f64_e32 v6, v[0:1]
	v_bfe_u32 v7, v6, 23, 8
	s_movk_i32 s0, 0xff
	v_cmp_ne_u32_e32 vcc, s0, v7
	v_mov_b32_e32 v8, 0xff
	s_and_saveexec_b64 s[2:3], vcc
; %bb.404:
	s_mov_b32 s0, 0x3fffff
	v_lshrrev_b32_e32 v8, 23, v6
	v_and_b32_e32 v9, 0x400000, v6
	v_and_or_b32 v6, v6, s0, v7
	v_cmp_ne_u32_e32 vcc, 0, v9
	v_cmp_ne_u32_e64 s[0:1], 0, v6
	s_and_b64 s[0:1], vcc, s[0:1]
	s_nop 0
	v_cndmask_b32_e64 v6, 0, 1, s[0:1]
	v_add_u32_e32 v8, v8, v6
; %bb.405:
	s_or_b64 exec, exec, s[2:3]
	s_mov_b64 s[0:1], 0
	global_store_byte v[4:5], v8, off
.LBB131_406:
	s_mov_b64 s[2:3], 0
.LBB131_407:
	s_and_b64 vcc, exec, s[2:3]
	s_cbranch_vccz .LBB131_410
; %bb.408:
	s_cmp_eq_u32 s11, 29
	s_mov_b64 s[0:1], -1
	s_cbranch_scc0 .LBB131_410
; %bb.409:
	v_trunc_f64_e32 v[6:7], v[0:1]
	s_movk_i32 s0, 0xffe0
	v_ldexp_f64 v[8:9], v[6:7], s0
	v_floor_f64_e32 v[8:9], v[8:9]
	v_fmac_f64_e32 v[6:7], 0xc1f00000, v[8:9]
	v_cvt_u32_f64_e32 v11, v[8:9]
	v_cvt_u32_f64_e32 v10, v[6:7]
	global_store_dwordx2 v[4:5], v[10:11], off
	s_mov_b64 s[0:1], 0
.LBB131_410:
	s_mov_b64 s[2:3], 0
.LBB131_411:
	s_and_b64 vcc, exec, s[2:3]
	s_cbranch_vccz .LBB131_426
; %bb.412:
	s_cmp_lt_i32 s11, 27
	s_mov_b64 s[2:3], -1
	s_cbranch_scc1 .LBB131_418
; %bb.413:
	s_cmp_gt_i32 s11, 27
	v_cvt_u32_f64_e32 v6, v[0:1]
	s_cbranch_scc0 .LBB131_415
; %bb.414:
	s_mov_b64 s[2:3], 0
	global_store_dword v[4:5], v6, off
.LBB131_415:
	s_andn2_b64 vcc, exec, s[2:3]
	s_cbranch_vccnz .LBB131_417
; %bb.416:
	global_store_short v[4:5], v6, off
.LBB131_417:
	s_mov_b64 s[2:3], 0
.LBB131_418:
	s_andn2_b64 vcc, exec, s[2:3]
	s_cbranch_vccnz .LBB131_426
; %bb.419:
	v_cvt_f32_f64_e32 v6, v[0:1]
	v_and_b32_e32 v7, 0x7fffffff, v6
	s_mov_b32 s2, 0x43800000
	v_cmp_gt_u32_e32 vcc, s2, v7
	v_mov_b32_e32 v8, 0x80
	s_and_saveexec_b64 s[2:3], vcc
	s_cbranch_execz .LBB131_425
; %bb.420:
	s_mov_b32 s4, 0x3bffffff
	v_cmp_lt_u32_e32 vcc, s4, v7
	s_mov_b64 s[4:5], 0
                                        ; implicit-def: $vgpr7
	s_and_saveexec_b64 s[6:7], vcc
	s_xor_b64 s[6:7], exec, s[6:7]
	s_cbranch_execz .LBB131_1007
; %bb.421:
	v_bfe_u32 v7, v6, 20, 1
	s_mov_b32 s8, 0x487ffff
	v_add3_u32 v7, v6, v7, s8
	s_mov_b64 s[4:5], exec
	v_lshrrev_b32_e32 v7, 20, v7
	s_andn2_saveexec_b64 s[6:7], s[6:7]
	s_cbranch_execnz .LBB131_1008
.LBB131_422:
	s_or_b64 exec, exec, s[6:7]
	v_mov_b32_e32 v8, 0
	s_and_saveexec_b64 s[6:7], s[4:5]
.LBB131_423:
	v_lshrrev_b32_e32 v6, 24, v6
	s_movk_i32 s4, 0x80
	v_and_or_b32 v8, v6, s4, v7
.LBB131_424:
	s_or_b64 exec, exec, s[6:7]
.LBB131_425:
	s_or_b64 exec, exec, s[2:3]
	global_store_byte v[4:5], v8, off
.LBB131_426:
	s_mov_b64 s[4:5], 0
.LBB131_427:
	s_mov_b64 s[2:3], 0
	s_and_b64 vcc, exec, s[4:5]
	s_cbranch_vccz .LBB131_467
; %bb.428:
	s_cmp_gt_i32 s11, 22
	s_mov_b64 s[4:5], -1
	s_cbranch_scc0 .LBB131_460
; %bb.429:
	s_cmp_lt_i32 s11, 24
	s_cbranch_scc1 .LBB131_449
; %bb.430:
	s_cmp_gt_i32 s11, 24
	s_cbranch_scc0 .LBB131_438
; %bb.431:
	v_cvt_f32_f64_e32 v6, v[0:1]
	v_and_b32_e32 v7, 0x7fffffff, v6
	s_mov_b32 s4, 0x47800000
	v_cmp_gt_u32_e32 vcc, s4, v7
	v_mov_b32_e32 v8, 0x80
	s_and_saveexec_b64 s[4:5], vcc
	s_cbranch_execz .LBB131_437
; %bb.432:
	s_mov_b32 s6, 0x37ffffff
	v_cmp_lt_u32_e32 vcc, s6, v7
	s_mov_b64 s[6:7], 0
                                        ; implicit-def: $vgpr7
	s_and_saveexec_b64 s[8:9], vcc
	s_xor_b64 s[8:9], exec, s[8:9]
	s_cbranch_execz .LBB131_1011
; %bb.433:
	v_bfe_u32 v7, v6, 21, 1
	s_mov_b32 s12, 0x88fffff
	v_add3_u32 v7, v6, v7, s12
	s_mov_b64 s[6:7], exec
	v_lshrrev_b32_e32 v7, 21, v7
	s_andn2_saveexec_b64 s[8:9], s[8:9]
	s_cbranch_execnz .LBB131_1012
.LBB131_434:
	s_or_b64 exec, exec, s[8:9]
	v_mov_b32_e32 v8, 0
	s_and_saveexec_b64 s[8:9], s[6:7]
.LBB131_435:
	v_lshrrev_b32_e32 v6, 24, v6
	s_movk_i32 s6, 0x80
	v_and_or_b32 v8, v6, s6, v7
.LBB131_436:
	s_or_b64 exec, exec, s[8:9]
.LBB131_437:
	s_or_b64 exec, exec, s[4:5]
	s_mov_b64 s[4:5], 0
	global_store_byte v[4:5], v8, off
.LBB131_438:
	s_and_b64 vcc, exec, s[4:5]
	s_cbranch_vccz .LBB131_448
; %bb.439:
	v_cvt_f32_f64_e32 v6, v[0:1]
	v_and_b32_e32 v8, 0x7fffffff, v6
	s_mov_b32 s4, 0x43f00000
	v_cmp_gt_u32_e32 vcc, s4, v8
                                        ; implicit-def: $vgpr7
	s_and_saveexec_b64 s[4:5], vcc
	s_xor_b64 s[4:5], exec, s[4:5]
	s_cbranch_execz .LBB131_445
; %bb.440:
	s_mov_b32 s6, 0x3c7fffff
	v_cmp_lt_u32_e32 vcc, s6, v8
                                        ; implicit-def: $vgpr7
	s_and_saveexec_b64 s[6:7], vcc
	s_xor_b64 s[6:7], exec, s[6:7]
; %bb.441:
	v_bfe_u32 v7, v6, 20, 1
	s_mov_b32 s8, 0x407ffff
	v_add3_u32 v7, v6, v7, s8
	v_lshrrev_b32_e32 v8, 20, v7
	v_and_b32_e32 v7, 0xff00000, v7
	s_mov_b32 s8, 0x7f00000
	v_mov_b32_e32 v9, 0x7e
	v_cmp_ne_u32_e32 vcc, s8, v7
	s_nop 1
	v_cndmask_b32_e32 v7, v9, v8, vcc
; %bb.442:
	s_andn2_saveexec_b64 s[6:7], s[6:7]
; %bb.443:
	s_mov_b32 s8, 0x46800000
	v_add_f32_e64 v7, |v6|, s8
; %bb.444:
	s_or_b64 exec, exec, s[6:7]
                                        ; implicit-def: $vgpr8
.LBB131_445:
	s_andn2_saveexec_b64 s[4:5], s[4:5]
; %bb.446:
	s_mov_b32 s6, 0x7f800000
	v_mov_b32_e32 v7, 0x7e
	v_mov_b32_e32 v9, 0x7f
	v_cmp_lt_u32_e32 vcc, s6, v8
	s_nop 1
	v_cndmask_b32_e32 v7, v7, v9, vcc
; %bb.447:
	s_or_b64 exec, exec, s[4:5]
	v_lshrrev_b32_e32 v6, 24, v6
	s_movk_i32 s4, 0x80
	v_and_or_b32 v6, v6, s4, v7
	global_store_byte v[4:5], v6, off
.LBB131_448:
	s_mov_b64 s[4:5], 0
.LBB131_449:
	s_andn2_b64 vcc, exec, s[4:5]
	s_cbranch_vccnz .LBB131_459
; %bb.450:
	v_cvt_f32_f64_e32 v6, v[0:1]
	v_and_b32_e32 v8, 0x7fffffff, v6
	s_mov_b32 s4, 0x47800000
	v_cmp_gt_u32_e32 vcc, s4, v8
                                        ; implicit-def: $vgpr7
	s_and_saveexec_b64 s[4:5], vcc
	s_xor_b64 s[4:5], exec, s[4:5]
	s_cbranch_execz .LBB131_456
; %bb.451:
	s_mov_b32 s6, 0x387fffff
	v_cmp_lt_u32_e32 vcc, s6, v8
                                        ; implicit-def: $vgpr7
	s_and_saveexec_b64 s[6:7], vcc
	s_xor_b64 s[6:7], exec, s[6:7]
; %bb.452:
	v_bfe_u32 v7, v6, 21, 1
	s_mov_b32 s8, 0x80fffff
	v_add3_u32 v7, v6, v7, s8
	v_lshrrev_b32_e32 v7, 21, v7
; %bb.453:
	s_andn2_saveexec_b64 s[6:7], s[6:7]
; %bb.454:
	s_mov_b32 s8, 0x43000000
	v_add_f32_e64 v7, |v6|, s8
; %bb.455:
	s_or_b64 exec, exec, s[6:7]
                                        ; implicit-def: $vgpr8
.LBB131_456:
	s_andn2_saveexec_b64 s[4:5], s[4:5]
; %bb.457:
	s_mov_b32 s6, 0x7f800000
	v_mov_b32_e32 v7, 0x7c
	v_mov_b32_e32 v9, 0x7f
	v_cmp_lt_u32_e32 vcc, s6, v8
	s_nop 1
	v_cndmask_b32_e32 v7, v7, v9, vcc
; %bb.458:
	s_or_b64 exec, exec, s[4:5]
	v_lshrrev_b32_e32 v6, 24, v6
	s_movk_i32 s4, 0x80
	v_and_or_b32 v6, v6, s4, v7
	global_store_byte v[4:5], v6, off
.LBB131_459:
	s_mov_b64 s[4:5], 0
.LBB131_460:
	s_andn2_b64 vcc, exec, s[4:5]
	s_mov_b64 s[4:5], 0
	s_cbranch_vccnz .LBB131_468
; %bb.461:
	s_cmp_gt_i32 s11, 14
	s_mov_b64 s[6:7], -1
	s_cbranch_scc0 .LBB131_465
; %bb.462:
	s_cmp_eq_u32 s11, 15
	s_mov_b64 s[0:1], -1
	s_cbranch_scc0 .LBB131_464
; %bb.463:
	v_cvt_f32_f64_e32 v6, v[0:1]
	v_bfe_u32 v7, v6, 16, 1
	s_movk_i32 s0, 0x7fff
	v_add3_u32 v7, v6, v7, s0
	v_cmp_o_f32_e32 vcc, v6, v6
	v_mov_b32_e32 v6, 0x7fc0
	s_mov_b64 s[0:1], 0
	v_cndmask_b32_sdwa v6, v6, v7, vcc dst_sel:DWORD dst_unused:UNUSED_PAD src0_sel:DWORD src1_sel:WORD_1
	global_store_short v[4:5], v6, off
.LBB131_464:
	s_mov_b64 s[6:7], 0
.LBB131_465:
	s_and_b64 vcc, exec, s[6:7]
	s_cbranch_vccz .LBB131_468
; %bb.466:
	s_cmp_lg_u32 s11, 11
	s_cselect_b64 s[6:7], -1, 0
	s_andn2_b64 s[0:1], s[0:1], exec
	s_and_b64 s[6:7], s[6:7], exec
	s_mov_b64 s[4:5], -1
	s_or_b64 s[0:1], s[0:1], s[6:7]
	s_branch .LBB131_468
.LBB131_467:
	s_mov_b64 s[4:5], 0
.LBB131_468:
	s_and_b64 s[6:7], s[2:3], exec
	s_and_b64 s[2:3], s[4:5], exec
	s_andn2_b64 s[4:5], s[50:51], exec
	s_and_b64 s[0:1], s[0:1], exec
	s_or_b64 s[4:5], s[4:5], s[0:1]
.LBB131_469:
	s_or_b64 exec, exec, s[52:53]
	s_and_b64 s[0:1], s[2:3], exec
	s_andn2_b64 s[2:3], s[50:51], exec
	s_and_b64 s[4:5], s[4:5], exec
	s_and_b64 s[6:7], s[6:7], exec
	s_or_b64 s[50:51], s[2:3], s[4:5]
.LBB131_470:
	s_or_b64 exec, exec, s[48:49]
	s_and_b64 s[2:3], s[6:7], exec
	s_andn2_b64 s[4:5], s[44:45], exec
	s_and_b64 s[6:7], s[50:51], exec
	s_and_b64 s[0:1], s[0:1], exec
	s_or_b64 s[44:45], s[4:5], s[6:7]
.LBB131_471:
	s_or_b64 exec, exec, s[46:47]
	s_and_b64 s[4:5], s[2:3], exec
	s_and_b64 s[46:47], s[0:1], exec
	s_andn2_b64 s[0:1], s[40:41], exec
	s_and_b64 s[2:3], s[44:45], exec
	s_or_b64 s[40:41], s[0:1], s[2:3]
	s_or_b64 exec, exec, s[42:43]
	s_mov_b64 s[2:3], 0
	s_and_saveexec_b64 s[0:1], s[40:41]
	s_cbranch_execz .LBB131_134
.LBB131_472:
	s_mov_b64 s[2:3], exec
	s_andn2_b64 s[46:47], s[46:47], exec
	s_trap 2
	s_or_b64 exec, exec, s[0:1]
	s_and_saveexec_b64 s[0:1], s[46:47]
	s_xor_b64 s[6:7], exec, s[0:1]
	s_cbranch_execnz .LBB131_135
.LBB131_473:
	s_or_b64 exec, exec, s[6:7]
	s_and_saveexec_b64 s[0:1], s[4:5]
	s_xor_b64 s[0:1], exec, s[0:1]
	s_cbranch_execz .LBB131_511
.LBB131_474:
	s_sext_i32_i16 s6, s10
	s_cmp_lt_i32 s6, 5
	s_mov_b64 s[4:5], -1
	s_cbranch_scc1 .LBB131_495
; %bb.475:
	s_cmp_lt_i32 s6, 8
	s_cbranch_scc1 .LBB131_485
; %bb.476:
	s_cmp_lt_i32 s6, 9
	s_cbranch_scc1 .LBB131_482
; %bb.477:
	s_cmp_gt_i32 s6, 9
	s_cbranch_scc0 .LBB131_479
; %bb.478:
	s_mov_b64 s[4:5], 0
	global_store_dwordx4 v[4:5], v[0:3], off
.LBB131_479:
	s_andn2_b64 vcc, exec, s[4:5]
	s_cbranch_vccnz .LBB131_481
; %bb.480:
	v_cvt_f32_f64_e32 v7, v[2:3]
	v_cvt_f32_f64_e32 v6, v[0:1]
	global_store_dwordx2 v[4:5], v[6:7], off
.LBB131_481:
	s_mov_b64 s[4:5], 0
.LBB131_482:
	s_andn2_b64 vcc, exec, s[4:5]
	s_cbranch_vccnz .LBB131_484
; %bb.483:
	s_movk_i32 s4, 0x1ff
	v_and_or_b32 v6, v1, s4, v0
	v_cmp_ne_u32_e32 vcc, 0, v6
	v_lshrrev_b32_e32 v7, 8, v1
	s_movk_i32 s5, 0xffe
	v_cndmask_b32_e64 v6, 0, 1, vcc
	v_bfe_u32 v8, v1, 20, 11
	v_and_or_b32 v6, v7, s5, v6
	v_sub_u32_e32 v9, 0x3f1, v8
	v_or_b32_e32 v7, 0x1000, v6
	v_med3_i32 v9, v9, 0, 13
	v_lshrrev_b32_e32 v10, v9, v7
	v_lshlrev_b32_e32 v9, v9, v10
	v_cmp_ne_u32_e32 vcc, v9, v7
	v_add_u32_e32 v8, 0xfffffc10, v8
	v_lshl_or_b32 v9, v8, 12, v6
	v_cndmask_b32_e64 v7, 0, 1, vcc
	v_or_b32_e32 v7, v10, v7
	v_cmp_gt_i32_e32 vcc, 1, v8
	s_movk_i32 s6, 0x40f
	v_and_or_b32 v2, v3, s4, v2
	v_cndmask_b32_e32 v7, v9, v7, vcc
	v_and_b32_e32 v9, 7, v7
	v_cmp_lt_i32_e32 vcc, 5, v9
	v_lshrrev_b32_e32 v7, 2, v7
	v_bfe_u32 v11, v3, 20, 11
	v_cndmask_b32_e64 v10, 0, 1, vcc
	v_cmp_eq_u32_e32 vcc, 3, v9
	v_sub_u32_e32 v12, 0x3f1, v11
	v_med3_i32 v12, v12, 0, 13
	v_cndmask_b32_e64 v9, 0, 1, vcc
	v_or_b32_e32 v9, v9, v10
	v_add_u32_e32 v7, v7, v9
	v_mov_b32_e32 v9, 0x7c00
	v_cmp_gt_i32_e32 vcc, 31, v8
	v_mov_b32_e32 v10, 0x7e00
	v_add_u32_e32 v11, 0xfffffc10, v11
	v_cndmask_b32_e32 v7, v9, v7, vcc
	v_cmp_ne_u32_e32 vcc, 0, v6
	s_mov_b32 s7, 0x8000
	s_mov_b32 s4, 0xffff
	v_cndmask_b32_e32 v6, v9, v10, vcc
	v_cmp_eq_u32_e32 vcc, s6, v8
	v_lshrrev_b32_e32 v8, 8, v3
	v_lshrrev_b32_e32 v3, 16, v3
	v_cndmask_b32_e32 v6, v7, v6, vcc
	v_cmp_ne_u32_e32 vcc, 0, v2
	v_and_b32_sdwa v7, v1, s7 dst_sel:DWORD dst_unused:UNUSED_PAD src0_sel:WORD_1 src1_sel:DWORD
	s_nop 0
	v_cndmask_b32_e64 v2, 0, 1, vcc
	v_and_or_b32 v2, v8, s5, v2
	v_or_b32_e32 v8, 0x1000, v2
	v_lshrrev_b32_e32 v13, v12, v8
	v_lshlrev_b32_e32 v12, v12, v13
	v_cmp_ne_u32_e32 vcc, v12, v8
	v_lshl_or_b32 v12, v11, 12, v2
	s_nop 0
	v_cndmask_b32_e64 v8, 0, 1, vcc
	v_or_b32_e32 v8, v13, v8
	v_cmp_gt_i32_e32 vcc, 1, v11
	s_nop 1
	v_cndmask_b32_e32 v8, v12, v8, vcc
	v_and_b32_e32 v12, 7, v8
	v_cmp_lt_i32_e32 vcc, 5, v12
	v_lshrrev_b32_e32 v8, 2, v8
	s_nop 0
	v_cndmask_b32_e64 v13, 0, 1, vcc
	v_cmp_eq_u32_e32 vcc, 3, v12
	s_nop 1
	v_cndmask_b32_e64 v12, 0, 1, vcc
	v_or_b32_e32 v12, v12, v13
	v_add_u32_e32 v8, v8, v12
	v_cmp_gt_i32_e32 vcc, 31, v11
	s_nop 1
	v_cndmask_b32_e32 v8, v9, v8, vcc
	v_cmp_ne_u32_e32 vcc, 0, v2
	s_nop 1
	v_cndmask_b32_e32 v2, v9, v10, vcc
	v_cmp_eq_u32_e32 vcc, s6, v11
	s_nop 1
	v_cndmask_b32_e32 v2, v8, v2, vcc
	v_and_or_b32 v2, v3, s7, v2
	v_bitop3_b32 v3, v7, s4, v6 bitop3:0xc8
	v_lshl_or_b32 v2, v2, 16, v3
	global_store_dword v[4:5], v2, off
.LBB131_484:
	s_mov_b64 s[4:5], 0
.LBB131_485:
	s_andn2_b64 vcc, exec, s[4:5]
	s_cbranch_vccnz .LBB131_494
; %bb.486:
	s_sext_i32_i16 s6, s10
	s_cmp_lt_i32 s6, 6
	s_mov_b64 s[4:5], -1
	s_cbranch_scc1 .LBB131_492
; %bb.487:
	s_cmp_gt_i32 s6, 6
	s_cbranch_scc0 .LBB131_489
; %bb.488:
	s_mov_b64 s[4:5], 0
	global_store_dwordx2 v[4:5], v[0:1], off
.LBB131_489:
	s_andn2_b64 vcc, exec, s[4:5]
	s_cbranch_vccnz .LBB131_491
; %bb.490:
	v_cvt_f32_f64_e32 v2, v[0:1]
	global_store_dword v[4:5], v2, off
.LBB131_491:
	s_mov_b64 s[4:5], 0
.LBB131_492:
	s_andn2_b64 vcc, exec, s[4:5]
	s_cbranch_vccnz .LBB131_494
; %bb.493:
	s_movk_i32 s4, 0x1ff
	v_and_or_b32 v2, v1, s4, v0
	v_cmp_ne_u32_e32 vcc, 0, v2
	v_lshrrev_b32_e32 v3, 8, v1
	s_movk_i32 s4, 0xffe
	v_cndmask_b32_e64 v2, 0, 1, vcc
	v_bfe_u32 v6, v1, 20, 11
	v_and_or_b32 v2, v3, s4, v2
	v_sub_u32_e32 v7, 0x3f1, v6
	v_or_b32_e32 v3, 0x1000, v2
	v_med3_i32 v7, v7, 0, 13
	v_lshrrev_b32_e32 v8, v7, v3
	v_lshlrev_b32_e32 v7, v7, v8
	v_cmp_ne_u32_e32 vcc, v7, v3
	v_add_u32_e32 v6, 0xfffffc10, v6
	v_lshl_or_b32 v7, v6, 12, v2
	v_cndmask_b32_e64 v3, 0, 1, vcc
	v_or_b32_e32 v3, v8, v3
	v_cmp_gt_i32_e32 vcc, 1, v6
	s_movk_i32 s4, 0x40f
	s_nop 0
	v_cndmask_b32_e32 v3, v7, v3, vcc
	v_and_b32_e32 v7, 7, v3
	v_cmp_lt_i32_e32 vcc, 5, v7
	v_lshrrev_b32_e32 v3, 2, v3
	s_nop 0
	v_cndmask_b32_e64 v8, 0, 1, vcc
	v_cmp_eq_u32_e32 vcc, 3, v7
	s_nop 1
	v_cndmask_b32_e64 v7, 0, 1, vcc
	v_or_b32_e32 v7, v7, v8
	v_add_u32_e32 v3, v3, v7
	v_mov_b32_e32 v7, 0x7c00
	v_cmp_gt_i32_e32 vcc, 31, v6
	v_mov_b32_e32 v8, 0x7e00
	s_nop 0
	v_cndmask_b32_e32 v3, v7, v3, vcc
	v_cmp_ne_u32_e32 vcc, 0, v2
	s_nop 1
	v_cndmask_b32_e32 v2, v7, v8, vcc
	v_cmp_eq_u32_e32 vcc, s4, v6
	s_mov_b32 s4, 0x8000
	s_nop 0
	v_cndmask_b32_e32 v2, v3, v2, vcc
	v_lshrrev_b32_e32 v3, 16, v1
	v_and_or_b32 v2, v3, s4, v2
	global_store_short v[4:5], v2, off
.LBB131_494:
	s_mov_b64 s[4:5], 0
.LBB131_495:
	s_andn2_b64 vcc, exec, s[4:5]
	s_cbranch_vccnz .LBB131_511
; %bb.496:
	s_sext_i32_i16 s6, s10
	s_cmp_lt_i32 s6, 2
	s_mov_b64 s[4:5], -1
	s_cbranch_scc1 .LBB131_506
; %bb.497:
	s_cmp_lt_i32 s6, 3
	s_cbranch_scc1 .LBB131_503
; %bb.498:
	s_cmp_gt_i32 s6, 3
	s_cbranch_scc0 .LBB131_500
; %bb.499:
	v_trunc_f64_e32 v[2:3], v[0:1]
	s_movk_i32 s4, 0xffe0
	v_ldexp_f64 v[6:7], v[2:3], s4
	v_floor_f64_e32 v[6:7], v[6:7]
	v_fmac_f64_e32 v[2:3], 0xc1f00000, v[6:7]
	v_cvt_i32_f64_e32 v9, v[6:7]
	v_cvt_u32_f64_e32 v8, v[2:3]
	s_mov_b64 s[4:5], 0
	global_store_dwordx2 v[4:5], v[8:9], off
.LBB131_500:
	s_andn2_b64 vcc, exec, s[4:5]
	s_cbranch_vccnz .LBB131_502
; %bb.501:
	v_cvt_i32_f64_e32 v2, v[0:1]
	global_store_dword v[4:5], v2, off
.LBB131_502:
	s_mov_b64 s[4:5], 0
.LBB131_503:
	s_andn2_b64 vcc, exec, s[4:5]
	s_cbranch_vccnz .LBB131_505
; %bb.504:
	v_cvt_i32_f64_e32 v2, v[0:1]
	global_store_short v[4:5], v2, off
.LBB131_505:
	s_mov_b64 s[4:5], 0
.LBB131_506:
	s_andn2_b64 vcc, exec, s[4:5]
	s_cbranch_vccnz .LBB131_511
; %bb.507:
	s_sext_i32_i16 s4, s10
	s_cmp_gt_i32 s4, 0
	s_mov_b64 s[4:5], -1
	s_cbranch_scc0 .LBB131_509
; %bb.508:
	v_cvt_i32_f64_e32 v2, v[0:1]
	s_mov_b64 s[4:5], 0
	global_store_byte v[4:5], v2, off
.LBB131_509:
	s_andn2_b64 vcc, exec, s[4:5]
	s_cbranch_vccnz .LBB131_511
; %bb.510:
	v_trunc_f64_e32 v[0:1], v[0:1]
	s_movk_i32 s4, 0xffe0
	v_ldexp_f64 v[2:3], v[0:1], s4
	v_floor_f64_e32 v[2:3], v[2:3]
	v_fmac_f64_e32 v[0:1], 0xc1f00000, v[2:3]
	v_cvt_u32_f64_e32 v0, v[0:1]
	global_store_byte v[4:5], v0, off
.LBB131_511:
	s_or_b64 exec, exec, s[0:1]
	s_and_b64 s[40:41], s[2:3], exec
                                        ; implicit-def: $vgpr51
                                        ; implicit-def: $vgpr56
                                        ; implicit-def: $vgpr57
.LBB131_512:
	s_or_saveexec_b64 s[34:35], s[34:35]
	s_mov_b64 s[6:7], 0
                                        ; implicit-def: $sgpr12
                                        ; implicit-def: $vgpr2_vgpr3
                                        ; implicit-def: $vgpr4_vgpr5
	s_xor_b64 exec, exec, s[34:35]
	s_cbranch_execz .LBB131_945
; %bb.513:
	s_getpc_b64 s[28:29]
	s_add_u32 s28, s28, _ZN2at6native6invokeIZZZNS0_17expm1_kernel_cudaERNS_18TensorIteratorBaseEENKUlvE_clEvENKUlvE1_clEvEUlN3c107complexIdEEE_i15function_traitsIS9_EEENT1_11result_typeERKT_PrKPcPKT0_PKNS6_10ScalarTypeEi@rel32@lo+4
	s_addc_u32 s29, s29, _ZN2at6native6invokeIZZZNS0_17expm1_kernel_cudaERNS_18TensorIteratorBaseEENKUlvE_clEvENKUlvE1_clEvEUlN3c107complexIdEEE_i15function_traitsIS9_EEENT1_11result_typeERKT_PrKPcPKT0_PKNS6_10ScalarTypeEi@rel32@hi+12
	v_mov_b32_e32 v0, s38
	v_mov_b32_e32 v1, s39
	v_mov_b32_e32 v2, s27
	v_mov_b32_e32 v3, v56
	v_mov_b32_e32 v4, v51
	v_add_u32_e32 v40, 0x80, v51
	v_add_u32_e32 v41, 0x100, v51
	s_swappc_b64 s[30:31], s[28:29]
	v_mov_b32_e32 v52, v0
	v_mov_b32_e32 v53, v1
	v_mov_b32_e32 v54, v2
	v_mov_b32_e32 v55, v3
	v_mov_b32_e32 v0, s38
	v_mov_b32_e32 v1, s39
	v_mov_b32_e32 v2, s27
	v_mov_b32_e32 v3, v56
	v_mov_b32_e32 v4, v40
	s_swappc_b64 s[30:31], s[28:29]
	v_mov_b32_e32 v44, v0
	v_mov_b32_e32 v45, v1
	v_mov_b32_e32 v46, v2
	v_mov_b32_e32 v47, v3
	v_mov_b32_e32 v0, s38
	v_mov_b32_e32 v1, s39
	v_mov_b32_e32 v2, s27
	v_mov_b32_e32 v3, v56
	v_mov_b32_e32 v4, v41
	;; [unrolled: 10-line block ×3, first 2 shown]
	s_swappc_b64 s[30:31], s[28:29]
	v_mul_lo_u32 v4, s26, v51
	v_ashrrev_i32_e32 v5, 31, v4
	s_and_b32 s12, s33, 0xff
	s_cmp_lt_i32 s12, 11
	v_lshl_add_u64 v[6:7], s[36:37], 0, v[4:5]
	s_cbranch_scc1 .LBB131_592
; %bb.514:
	s_and_b32 s10, 0xffff, s12
	s_mov_b64 s[2:3], -1
	s_mov_b64 s[4:5], 0
	s_cmp_gt_i32 s10, 25
	s_mov_b64 s[6:7], 0
	s_mov_b64 s[0:1], 0
	s_cbranch_scc0 .LBB131_547
; %bb.515:
	s_cmp_gt_i32 s10, 28
	s_cbranch_scc0 .LBB131_530
; %bb.516:
	s_cmp_gt_i32 s10, 43
	;; [unrolled: 3-line block ×3, first 2 shown]
	s_cbranch_scc0 .LBB131_520
; %bb.518:
	s_mov_b64 s[0:1], -1
	s_mov_b64 s[2:3], 0
	s_cmp_eq_u32 s10, 46
	s_cbranch_scc0 .LBB131_520
; %bb.519:
	v_cvt_f32_f64_e32 v8, v[54:55]
	s_movk_i32 s0, 0x7fff
	v_bfe_u32 v10, v8, 16, 1
	v_cvt_f32_f64_e32 v5, v[52:53]
	v_add3_u32 v10, v8, v10, s0
	v_bfe_u32 v9, v5, 16, 1
	v_and_b32_e32 v10, 0xffff0000, v10
	v_mov_b32_e32 v11, 0x7fc00000
	v_cmp_o_f32_e32 vcc, v8, v8
	v_add3_u32 v9, v5, v9, s0
	s_mov_b64 s[0:1], 0
	v_cndmask_b32_e32 v8, v11, v10, vcc
	v_cmp_o_f32_e32 vcc, v5, v5
	v_mov_b32_e32 v5, 0x7fc0
	s_mov_b64 s[6:7], -1
	v_cndmask_b32_sdwa v5, v5, v9, vcc dst_sel:DWORD dst_unused:UNUSED_PAD src0_sel:DWORD src1_sel:WORD_1
	v_or_b32_e32 v5, v8, v5
	global_store_dword v[6:7], v5, off
.LBB131_520:
	s_and_b64 vcc, exec, s[2:3]
	s_cbranch_vccz .LBB131_525
; %bb.521:
	s_cmp_eq_u32 s10, 44
	s_mov_b64 s[0:1], -1
	s_cbranch_scc0 .LBB131_525
; %bb.522:
	v_cvt_f32_f64_e32 v5, v[52:53]
	v_bfe_u32 v8, v5, 23, 8
	s_movk_i32 s0, 0xff
	v_cmp_ne_u32_e32 vcc, s0, v8
	v_mov_b32_e32 v9, 0xff
	s_and_saveexec_b64 s[2:3], vcc
; %bb.523:
	s_mov_b32 s0, 0x3fffff
	v_lshrrev_b32_e32 v9, 23, v5
	v_and_b32_e32 v10, 0x400000, v5
	v_and_or_b32 v5, v5, s0, v8
	v_cmp_ne_u32_e32 vcc, 0, v10
	v_cmp_ne_u32_e64 s[0:1], 0, v5
	s_and_b64 s[0:1], vcc, s[0:1]
	s_nop 0
	v_cndmask_b32_e64 v5, 0, 1, s[0:1]
	v_add_u32_e32 v9, v9, v5
; %bb.524:
	s_or_b64 exec, exec, s[2:3]
	s_mov_b64 s[0:1], 0
	s_mov_b64 s[6:7], -1
	global_store_byte v[6:7], v9, off
.LBB131_525:
	s_mov_b64 s[2:3], 0
.LBB131_526:
	s_and_b64 vcc, exec, s[2:3]
	s_cbranch_vccz .LBB131_529
; %bb.527:
	s_cmp_eq_u32 s10, 29
	s_mov_b64 s[0:1], -1
	s_cbranch_scc0 .LBB131_529
; %bb.528:
	v_trunc_f64_e32 v[8:9], v[52:53]
	s_movk_i32 s0, 0xffe0
	v_ldexp_f64 v[10:11], v[8:9], s0
	v_floor_f64_e32 v[10:11], v[10:11]
	v_fmac_f64_e32 v[8:9], 0xc1f00000, v[10:11]
	v_cvt_u32_f64_e32 v13, v[10:11]
	v_cvt_u32_f64_e32 v12, v[8:9]
	global_store_dwordx2 v[6:7], v[12:13], off
	s_mov_b64 s[0:1], 0
	s_mov_b64 s[6:7], -1
.LBB131_529:
	s_mov_b64 s[2:3], 0
.LBB131_530:
	s_and_b64 vcc, exec, s[2:3]
	s_cbranch_vccz .LBB131_546
; %bb.531:
	s_cmp_lt_i32 s10, 27
	s_mov_b64 s[2:3], -1
	s_cbranch_scc1 .LBB131_537
; %bb.532:
	s_cmp_gt_i32 s10, 27
	v_cvt_u32_f64_e32 v5, v[52:53]
	s_cbranch_scc0 .LBB131_534
; %bb.533:
	s_mov_b64 s[2:3], 0
	global_store_dword v[6:7], v5, off
.LBB131_534:
	s_andn2_b64 vcc, exec, s[2:3]
	s_cbranch_vccnz .LBB131_536
; %bb.535:
	global_store_short v[6:7], v5, off
.LBB131_536:
	s_mov_b64 s[2:3], 0
.LBB131_537:
	s_andn2_b64 vcc, exec, s[2:3]
	s_cbranch_vccnz .LBB131_545
; %bb.538:
	v_cvt_f32_f64_e32 v5, v[52:53]
	v_and_b32_e32 v8, 0x7fffffff, v5
	s_mov_b32 s2, 0x43800000
	v_cmp_gt_u32_e32 vcc, s2, v8
	v_mov_b32_e32 v9, 0x80
	s_and_saveexec_b64 s[2:3], vcc
	s_cbranch_execz .LBB131_544
; %bb.539:
	s_mov_b32 s6, 0x3bffffff
	v_cmp_lt_u32_e32 vcc, s6, v8
	s_mov_b64 s[6:7], 0
                                        ; implicit-def: $vgpr8
	s_and_saveexec_b64 s[8:9], vcc
	s_xor_b64 s[8:9], exec, s[8:9]
	s_cbranch_execz .LBB131_989
; %bb.540:
	v_bfe_u32 v8, v5, 20, 1
	s_mov_b32 s11, 0x487ffff
	v_add3_u32 v8, v5, v8, s11
	s_mov_b64 s[6:7], exec
	v_lshrrev_b32_e32 v8, 20, v8
	s_andn2_saveexec_b64 s[8:9], s[8:9]
	s_cbranch_execnz .LBB131_990
.LBB131_541:
	s_or_b64 exec, exec, s[8:9]
	v_mov_b32_e32 v9, 0
	s_and_saveexec_b64 s[8:9], s[6:7]
.LBB131_542:
	v_lshrrev_b32_e32 v5, 24, v5
	s_movk_i32 s6, 0x80
	v_and_or_b32 v9, v5, s6, v8
.LBB131_543:
	s_or_b64 exec, exec, s[8:9]
.LBB131_544:
	s_or_b64 exec, exec, s[2:3]
	global_store_byte v[6:7], v9, off
.LBB131_545:
	s_mov_b64 s[6:7], -1
.LBB131_546:
	s_mov_b64 s[2:3], 0
.LBB131_547:
	s_and_b64 vcc, exec, s[2:3]
	s_cbranch_vccz .LBB131_587
; %bb.548:
	s_cmp_gt_i32 s10, 22
	s_mov_b64 s[2:3], -1
	s_cbranch_scc0 .LBB131_580
; %bb.549:
	s_cmp_lt_i32 s10, 24
	s_cbranch_scc1 .LBB131_569
; %bb.550:
	s_cmp_gt_i32 s10, 24
	s_cbranch_scc0 .LBB131_558
; %bb.551:
	v_cvt_f32_f64_e32 v5, v[52:53]
	v_and_b32_e32 v8, 0x7fffffff, v5
	s_mov_b32 s2, 0x47800000
	v_cmp_gt_u32_e32 vcc, s2, v8
	v_mov_b32_e32 v9, 0x80
	s_and_saveexec_b64 s[2:3], vcc
	s_cbranch_execz .LBB131_557
; %bb.552:
	s_mov_b32 s4, 0x37ffffff
	v_cmp_lt_u32_e32 vcc, s4, v8
	s_mov_b64 s[4:5], 0
                                        ; implicit-def: $vgpr8
	s_and_saveexec_b64 s[6:7], vcc
	s_xor_b64 s[6:7], exec, s[6:7]
	s_cbranch_execz .LBB131_992
; %bb.553:
	v_bfe_u32 v8, v5, 21, 1
	s_mov_b32 s8, 0x88fffff
	v_add3_u32 v8, v5, v8, s8
	s_mov_b64 s[4:5], exec
	v_lshrrev_b32_e32 v8, 21, v8
	s_andn2_saveexec_b64 s[6:7], s[6:7]
	s_cbranch_execnz .LBB131_993
.LBB131_554:
	s_or_b64 exec, exec, s[6:7]
	v_mov_b32_e32 v9, 0
	s_and_saveexec_b64 s[6:7], s[4:5]
.LBB131_555:
	v_lshrrev_b32_e32 v5, 24, v5
	s_movk_i32 s4, 0x80
	v_and_or_b32 v9, v5, s4, v8
.LBB131_556:
	s_or_b64 exec, exec, s[6:7]
.LBB131_557:
	s_or_b64 exec, exec, s[2:3]
	s_mov_b64 s[2:3], 0
	global_store_byte v[6:7], v9, off
.LBB131_558:
	s_and_b64 vcc, exec, s[2:3]
	s_cbranch_vccz .LBB131_568
; %bb.559:
	v_cvt_f32_f64_e32 v5, v[52:53]
	v_and_b32_e32 v9, 0x7fffffff, v5
	s_mov_b32 s2, 0x43f00000
	v_cmp_gt_u32_e32 vcc, s2, v9
                                        ; implicit-def: $vgpr8
	s_and_saveexec_b64 s[2:3], vcc
	s_xor_b64 s[2:3], exec, s[2:3]
	s_cbranch_execz .LBB131_565
; %bb.560:
	s_mov_b32 s4, 0x3c7fffff
	v_cmp_lt_u32_e32 vcc, s4, v9
                                        ; implicit-def: $vgpr8
	s_and_saveexec_b64 s[4:5], vcc
	s_xor_b64 s[4:5], exec, s[4:5]
; %bb.561:
	v_bfe_u32 v8, v5, 20, 1
	s_mov_b32 s6, 0x407ffff
	v_add3_u32 v8, v5, v8, s6
	v_lshrrev_b32_e32 v9, 20, v8
	v_and_b32_e32 v8, 0xff00000, v8
	s_mov_b32 s6, 0x7f00000
	v_mov_b32_e32 v10, 0x7e
	v_cmp_ne_u32_e32 vcc, s6, v8
	s_nop 1
	v_cndmask_b32_e32 v8, v10, v9, vcc
; %bb.562:
	s_andn2_saveexec_b64 s[4:5], s[4:5]
; %bb.563:
	s_mov_b32 s6, 0x46800000
	v_add_f32_e64 v8, |v5|, s6
; %bb.564:
	s_or_b64 exec, exec, s[4:5]
                                        ; implicit-def: $vgpr9
.LBB131_565:
	s_andn2_saveexec_b64 s[2:3], s[2:3]
; %bb.566:
	s_mov_b32 s4, 0x7f800000
	v_mov_b32_e32 v8, 0x7e
	v_mov_b32_e32 v10, 0x7f
	v_cmp_lt_u32_e32 vcc, s4, v9
	s_nop 1
	v_cndmask_b32_e32 v8, v8, v10, vcc
; %bb.567:
	s_or_b64 exec, exec, s[2:3]
	v_lshrrev_b32_e32 v5, 24, v5
	s_movk_i32 s2, 0x80
	v_and_or_b32 v5, v5, s2, v8
	global_store_byte v[6:7], v5, off
.LBB131_568:
	s_mov_b64 s[2:3], 0
.LBB131_569:
	s_andn2_b64 vcc, exec, s[2:3]
	s_cbranch_vccnz .LBB131_579
; %bb.570:
	v_cvt_f32_f64_e32 v5, v[52:53]
	v_and_b32_e32 v9, 0x7fffffff, v5
	s_mov_b32 s2, 0x47800000
	v_cmp_gt_u32_e32 vcc, s2, v9
                                        ; implicit-def: $vgpr8
	s_and_saveexec_b64 s[2:3], vcc
	s_xor_b64 s[2:3], exec, s[2:3]
	s_cbranch_execz .LBB131_576
; %bb.571:
	s_mov_b32 s4, 0x387fffff
	v_cmp_lt_u32_e32 vcc, s4, v9
                                        ; implicit-def: $vgpr8
	s_and_saveexec_b64 s[4:5], vcc
	s_xor_b64 s[4:5], exec, s[4:5]
; %bb.572:
	v_bfe_u32 v8, v5, 21, 1
	s_mov_b32 s6, 0x80fffff
	v_add3_u32 v8, v5, v8, s6
	v_lshrrev_b32_e32 v8, 21, v8
; %bb.573:
	s_andn2_saveexec_b64 s[4:5], s[4:5]
; %bb.574:
	s_mov_b32 s6, 0x43000000
	v_add_f32_e64 v8, |v5|, s6
; %bb.575:
	s_or_b64 exec, exec, s[4:5]
                                        ; implicit-def: $vgpr9
.LBB131_576:
	s_andn2_saveexec_b64 s[2:3], s[2:3]
; %bb.577:
	s_mov_b32 s4, 0x7f800000
	v_mov_b32_e32 v8, 0x7c
	v_mov_b32_e32 v10, 0x7f
	v_cmp_lt_u32_e32 vcc, s4, v9
	s_nop 1
	v_cndmask_b32_e32 v8, v8, v10, vcc
; %bb.578:
	s_or_b64 exec, exec, s[2:3]
	v_lshrrev_b32_e32 v5, 24, v5
	s_movk_i32 s2, 0x80
	v_and_or_b32 v5, v5, s2, v8
	global_store_byte v[6:7], v5, off
.LBB131_579:
	s_mov_b64 s[2:3], 0
	s_mov_b64 s[6:7], -1
.LBB131_580:
	s_andn2_b64 vcc, exec, s[2:3]
	s_mov_b64 s[4:5], 0
	s_cbranch_vccnz .LBB131_587
; %bb.581:
	s_cmp_gt_i32 s10, 14
	s_mov_b64 s[2:3], -1
	s_cbranch_scc0 .LBB131_585
; %bb.582:
	s_cmp_eq_u32 s10, 15
	s_mov_b64 s[0:1], -1
	s_cbranch_scc0 .LBB131_584
; %bb.583:
	v_cvt_f32_f64_e32 v5, v[52:53]
	v_bfe_u32 v8, v5, 16, 1
	s_movk_i32 s0, 0x7fff
	v_add3_u32 v8, v5, v8, s0
	v_cmp_o_f32_e32 vcc, v5, v5
	v_mov_b32_e32 v5, 0x7fc0
	s_mov_b64 s[0:1], 0
	v_cndmask_b32_sdwa v5, v5, v8, vcc dst_sel:DWORD dst_unused:UNUSED_PAD src0_sel:DWORD src1_sel:WORD_1
	global_store_short v[6:7], v5, off
	s_mov_b64 s[6:7], -1
.LBB131_584:
	s_mov_b64 s[2:3], 0
.LBB131_585:
	s_and_b64 vcc, exec, s[2:3]
	s_cbranch_vccz .LBB131_587
; %bb.586:
	s_cmp_lg_u32 s10, 11
	s_mov_b64 s[4:5], -1
	s_cselect_b64 s[0:1], -1, 0
.LBB131_587:
	s_and_b64 vcc, exec, s[0:1]
	s_mov_b64 s[2:3], s[40:41]
	s_cbranch_vccnz .LBB131_991
; %bb.588:
	s_andn2_b64 vcc, exec, s[4:5]
	s_cbranch_vccnz .LBB131_590
.LBB131_589:
	v_cmp_neq_f64_e32 vcc, 0, v[52:53]
	v_cmp_neq_f64_e64 s[0:1], 0, v[54:55]
	s_or_b64 s[0:1], vcc, s[0:1]
	s_mov_b64 s[6:7], -1
	v_cndmask_b32_e64 v5, 0, 1, s[0:1]
	global_store_byte v[6:7], v5, off
.LBB131_590:
.LBB131_591:
	s_andn2_b64 vcc, exec, s[6:7]
	s_cbranch_vccz .LBB131_631
	s_branch .LBB131_943
.LBB131_592:
	s_mov_b64 s[6:7], 0
	s_mov_b64 s[2:3], s[40:41]
	s_cbranch_execz .LBB131_591
; %bb.593:
	s_and_b32 s4, 0xffff, s12
	s_cmp_lt_i32 s4, 5
	s_mov_b64 s[0:1], -1
	s_cbranch_scc1 .LBB131_614
; %bb.594:
	s_cmp_lt_i32 s4, 8
	s_cbranch_scc1 .LBB131_604
; %bb.595:
	s_cmp_lt_i32 s4, 9
	s_cbranch_scc1 .LBB131_601
; %bb.596:
	s_cmp_gt_i32 s4, 9
	s_cbranch_scc0 .LBB131_598
; %bb.597:
	global_store_dwordx4 v[6:7], v[52:55], off
	s_mov_b64 s[0:1], 0
.LBB131_598:
	s_andn2_b64 vcc, exec, s[0:1]
	s_cbranch_vccnz .LBB131_600
; %bb.599:
	v_cvt_f32_f64_e32 v9, v[54:55]
	v_cvt_f32_f64_e32 v8, v[52:53]
	global_store_dwordx2 v[6:7], v[8:9], off
.LBB131_600:
	s_mov_b64 s[0:1], 0
.LBB131_601:
	s_andn2_b64 vcc, exec, s[0:1]
	s_cbranch_vccnz .LBB131_603
; %bb.602:
	s_movk_i32 s0, 0x1ff
	v_and_or_b32 v5, v53, s0, v52
	v_cmp_ne_u32_e32 vcc, 0, v5
	v_lshrrev_b32_e32 v8, 8, v53
	s_movk_i32 s1, 0xffe
	v_cndmask_b32_e64 v5, 0, 1, vcc
	v_bfe_u32 v9, v53, 20, 11
	v_and_or_b32 v5, v8, s1, v5
	v_sub_u32_e32 v10, 0x3f1, v9
	v_or_b32_e32 v8, 0x1000, v5
	v_med3_i32 v10, v10, 0, 13
	v_lshrrev_b32_e32 v11, v10, v8
	v_lshlrev_b32_e32 v10, v10, v11
	v_cmp_ne_u32_e32 vcc, v10, v8
	v_add_u32_e32 v9, 0xfffffc10, v9
	v_lshl_or_b32 v10, v9, 12, v5
	v_cndmask_b32_e64 v8, 0, 1, vcc
	v_or_b32_e32 v8, v11, v8
	v_cmp_gt_i32_e32 vcc, 1, v9
	s_movk_i32 s5, 0x40f
	v_lshrrev_b32_e32 v12, 8, v55
	v_cndmask_b32_e32 v8, v10, v8, vcc
	v_and_b32_e32 v10, 7, v8
	v_cmp_lt_i32_e32 vcc, 5, v10
	v_lshrrev_b32_e32 v8, 2, v8
	v_bfe_u32 v13, v55, 20, 11
	v_cndmask_b32_e64 v11, 0, 1, vcc
	v_cmp_eq_u32_e32 vcc, 3, v10
	v_sub_u32_e32 v14, 0x3f1, v13
	v_med3_i32 v14, v14, 0, 13
	v_cndmask_b32_e64 v10, 0, 1, vcc
	v_or_b32_e32 v10, v10, v11
	v_add_u32_e32 v8, v8, v10
	v_mov_b32_e32 v10, 0x7c00
	v_cmp_gt_i32_e32 vcc, 31, v9
	v_mov_b32_e32 v11, 0x7e00
	v_add_u32_e32 v13, 0xfffffc10, v13
	v_cndmask_b32_e32 v8, v10, v8, vcc
	v_cmp_ne_u32_e32 vcc, 0, v5
	s_mov_b32 s6, 0x8000
	s_nop 0
	v_cndmask_b32_e32 v5, v10, v11, vcc
	v_cmp_eq_u32_e32 vcc, s5, v9
	v_and_or_b32 v9, v55, s0, v54
	s_mov_b32 s0, 0xffff
	v_cndmask_b32_e32 v5, v8, v5, vcc
	v_cmp_ne_u32_e32 vcc, 0, v9
	v_and_b32_sdwa v8, v53, s6 dst_sel:DWORD dst_unused:UNUSED_PAD src0_sel:WORD_1 src1_sel:DWORD
	v_bitop3_b32 v5, v8, s0, v5 bitop3:0xc8
	v_cndmask_b32_e64 v9, 0, 1, vcc
	v_and_or_b32 v9, v12, s1, v9
	v_or_b32_e32 v12, 0x1000, v9
	v_lshrrev_b32_e32 v15, v14, v12
	v_lshlrev_b32_e32 v14, v14, v15
	v_cmp_ne_u32_e32 vcc, v14, v12
	v_lshl_or_b32 v14, v13, 12, v9
	s_nop 0
	v_cndmask_b32_e64 v12, 0, 1, vcc
	v_or_b32_e32 v12, v15, v12
	v_cmp_gt_i32_e32 vcc, 1, v13
	s_nop 1
	v_cndmask_b32_e32 v12, v14, v12, vcc
	v_and_b32_e32 v14, 7, v12
	v_cmp_lt_i32_e32 vcc, 5, v14
	v_lshrrev_b32_e32 v12, 2, v12
	s_nop 0
	v_cndmask_b32_e64 v15, 0, 1, vcc
	v_cmp_eq_u32_e32 vcc, 3, v14
	s_nop 1
	v_cndmask_b32_e64 v14, 0, 1, vcc
	v_or_b32_e32 v14, v14, v15
	v_add_u32_e32 v12, v12, v14
	v_cmp_gt_i32_e32 vcc, 31, v13
	s_nop 1
	v_cndmask_b32_e32 v12, v10, v12, vcc
	v_cmp_ne_u32_e32 vcc, 0, v9
	s_nop 1
	v_cndmask_b32_e32 v9, v10, v11, vcc
	v_cmp_eq_u32_e32 vcc, s5, v13
	v_lshrrev_b32_e32 v10, 16, v55
	s_nop 0
	v_cndmask_b32_e32 v9, v12, v9, vcc
	v_and_or_b32 v9, v10, s6, v9
	v_lshl_or_b32 v5, v9, 16, v5
	global_store_dword v[6:7], v5, off
.LBB131_603:
	s_mov_b64 s[0:1], 0
.LBB131_604:
	s_andn2_b64 vcc, exec, s[0:1]
	s_cbranch_vccnz .LBB131_613
; %bb.605:
	s_cmp_lt_i32 s4, 6
	s_mov_b64 s[0:1], -1
	s_cbranch_scc1 .LBB131_611
; %bb.606:
	s_cmp_gt_i32 s4, 6
	s_cbranch_scc0 .LBB131_608
; %bb.607:
	global_store_dwordx2 v[6:7], v[52:53], off
	s_mov_b64 s[0:1], 0
.LBB131_608:
	s_andn2_b64 vcc, exec, s[0:1]
	s_cbranch_vccnz .LBB131_610
; %bb.609:
	v_cvt_f32_f64_e32 v5, v[52:53]
	global_store_dword v[6:7], v5, off
.LBB131_610:
	s_mov_b64 s[0:1], 0
.LBB131_611:
	s_andn2_b64 vcc, exec, s[0:1]
	s_cbranch_vccnz .LBB131_613
; %bb.612:
	s_movk_i32 s0, 0x1ff
	v_and_or_b32 v5, v53, s0, v52
	v_cmp_ne_u32_e32 vcc, 0, v5
	v_lshrrev_b32_e32 v8, 8, v53
	s_movk_i32 s0, 0xffe
	v_cndmask_b32_e64 v5, 0, 1, vcc
	v_bfe_u32 v9, v53, 20, 11
	v_and_or_b32 v5, v8, s0, v5
	v_sub_u32_e32 v10, 0x3f1, v9
	v_or_b32_e32 v8, 0x1000, v5
	v_med3_i32 v10, v10, 0, 13
	v_lshrrev_b32_e32 v11, v10, v8
	v_lshlrev_b32_e32 v10, v10, v11
	v_cmp_ne_u32_e32 vcc, v10, v8
	v_add_u32_e32 v9, 0xfffffc10, v9
	v_lshl_or_b32 v10, v9, 12, v5
	v_cndmask_b32_e64 v8, 0, 1, vcc
	v_or_b32_e32 v8, v11, v8
	v_cmp_gt_i32_e32 vcc, 1, v9
	s_movk_i32 s0, 0x40f
	s_nop 0
	v_cndmask_b32_e32 v8, v10, v8, vcc
	v_and_b32_e32 v10, 7, v8
	v_cmp_lt_i32_e32 vcc, 5, v10
	v_lshrrev_b32_e32 v8, 2, v8
	s_nop 0
	v_cndmask_b32_e64 v11, 0, 1, vcc
	v_cmp_eq_u32_e32 vcc, 3, v10
	s_nop 1
	v_cndmask_b32_e64 v10, 0, 1, vcc
	v_or_b32_e32 v10, v10, v11
	v_add_u32_e32 v8, v8, v10
	v_mov_b32_e32 v10, 0x7c00
	v_cmp_gt_i32_e32 vcc, 31, v9
	v_mov_b32_e32 v11, 0x7e00
	s_nop 0
	v_cndmask_b32_e32 v8, v10, v8, vcc
	v_cmp_ne_u32_e32 vcc, 0, v5
	s_nop 1
	v_cndmask_b32_e32 v5, v10, v11, vcc
	v_cmp_eq_u32_e32 vcc, s0, v9
	s_mov_b32 s0, 0x8000
	s_nop 0
	v_cndmask_b32_e32 v5, v8, v5, vcc
	v_lshrrev_b32_e32 v8, 16, v53
	v_and_or_b32 v5, v8, s0, v5
	global_store_short v[6:7], v5, off
.LBB131_613:
	s_mov_b64 s[0:1], 0
.LBB131_614:
	s_andn2_b64 vcc, exec, s[0:1]
	s_cbranch_vccnz .LBB131_630
; %bb.615:
	s_cmp_lt_i32 s4, 2
	s_mov_b64 s[0:1], -1
	s_cbranch_scc1 .LBB131_625
; %bb.616:
	s_cmp_lt_i32 s4, 3
	s_cbranch_scc1 .LBB131_622
; %bb.617:
	s_cmp_gt_i32 s4, 3
	s_cbranch_scc0 .LBB131_619
; %bb.618:
	v_trunc_f64_e32 v[8:9], v[52:53]
	s_movk_i32 s0, 0xffe0
	v_ldexp_f64 v[10:11], v[8:9], s0
	v_floor_f64_e32 v[10:11], v[10:11]
	v_fmac_f64_e32 v[8:9], 0xc1f00000, v[10:11]
	v_cvt_i32_f64_e32 v13, v[10:11]
	v_cvt_u32_f64_e32 v12, v[8:9]
	global_store_dwordx2 v[6:7], v[12:13], off
	s_mov_b64 s[0:1], 0
.LBB131_619:
	s_andn2_b64 vcc, exec, s[0:1]
	s_cbranch_vccnz .LBB131_621
; %bb.620:
	v_cvt_i32_f64_e32 v5, v[52:53]
	global_store_dword v[6:7], v5, off
.LBB131_621:
	s_mov_b64 s[0:1], 0
.LBB131_622:
	s_andn2_b64 vcc, exec, s[0:1]
	s_cbranch_vccnz .LBB131_624
; %bb.623:
	v_cvt_i32_f64_e32 v5, v[52:53]
	global_store_short v[6:7], v5, off
.LBB131_624:
	s_mov_b64 s[0:1], 0
.LBB131_625:
	s_andn2_b64 vcc, exec, s[0:1]
	s_cbranch_vccnz .LBB131_630
; %bb.626:
	s_cmp_gt_i32 s4, 0
	s_mov_b64 s[0:1], -1
	s_cbranch_scc0 .LBB131_628
; %bb.627:
	v_cvt_i32_f64_e32 v5, v[52:53]
	global_store_byte v[6:7], v5, off
	s_mov_b64 s[0:1], 0
.LBB131_628:
	s_andn2_b64 vcc, exec, s[0:1]
	s_cbranch_vccnz .LBB131_630
; %bb.629:
	v_trunc_f64_e32 v[8:9], v[52:53]
	s_movk_i32 s0, 0xffe0
	v_ldexp_f64 v[10:11], v[8:9], s0
	v_floor_f64_e32 v[10:11], v[10:11]
	v_fmac_f64_e32 v[8:9], 0xc1f00000, v[10:11]
	v_cvt_u32_f64_e32 v5, v[8:9]
	global_store_byte v[6:7], v5, off
.LBB131_630:
.LBB131_631:
	s_lshl_b32 s13, s26, 7
	v_add_u32_e32 v4, s13, v4
	v_ashrrev_i32_e32 v5, 31, v4
	s_cmp_lt_i32 s12, 11
	v_lshl_add_u64 v[6:7], s[36:37], 0, v[4:5]
	s_cbranch_scc1 .LBB131_710
; %bb.632:
	s_and_b32 s14, 0xffff, s12
	s_mov_b64 s[8:9], -1
	s_mov_b64 s[4:5], 0
	s_cmp_gt_i32 s14, 25
	s_mov_b64 s[6:7], 0
	s_mov_b64 s[0:1], 0
	s_cbranch_scc0 .LBB131_665
; %bb.633:
	s_cmp_gt_i32 s14, 28
	s_cbranch_scc0 .LBB131_648
; %bb.634:
	s_cmp_gt_i32 s14, 43
	;; [unrolled: 3-line block ×3, first 2 shown]
	s_cbranch_scc0 .LBB131_638
; %bb.636:
	s_mov_b64 s[0:1], -1
	s_mov_b64 s[8:9], 0
	s_cmp_eq_u32 s14, 46
	s_cbranch_scc0 .LBB131_638
; %bb.637:
	v_cvt_f32_f64_e32 v8, v[46:47]
	s_movk_i32 s0, 0x7fff
	v_bfe_u32 v10, v8, 16, 1
	v_cvt_f32_f64_e32 v5, v[44:45]
	v_add3_u32 v10, v8, v10, s0
	v_bfe_u32 v9, v5, 16, 1
	v_and_b32_e32 v10, 0xffff0000, v10
	v_mov_b32_e32 v11, 0x7fc00000
	v_cmp_o_f32_e32 vcc, v8, v8
	v_add3_u32 v9, v5, v9, s0
	s_mov_b64 s[0:1], 0
	v_cndmask_b32_e32 v8, v11, v10, vcc
	v_cmp_o_f32_e32 vcc, v5, v5
	v_mov_b32_e32 v5, 0x7fc0
	s_mov_b64 s[6:7], -1
	v_cndmask_b32_sdwa v5, v5, v9, vcc dst_sel:DWORD dst_unused:UNUSED_PAD src0_sel:DWORD src1_sel:WORD_1
	v_or_b32_e32 v5, v8, v5
	global_store_dword v[6:7], v5, off
.LBB131_638:
	s_and_b64 vcc, exec, s[8:9]
	s_cbranch_vccz .LBB131_643
; %bb.639:
	s_cmp_eq_u32 s14, 44
	s_mov_b64 s[0:1], -1
	s_cbranch_scc0 .LBB131_643
; %bb.640:
	v_cvt_f32_f64_e32 v5, v[44:45]
	v_bfe_u32 v8, v5, 23, 8
	s_movk_i32 s0, 0xff
	v_cmp_ne_u32_e32 vcc, s0, v8
	v_mov_b32_e32 v9, 0xff
	s_and_saveexec_b64 s[6:7], vcc
; %bb.641:
	s_mov_b32 s0, 0x3fffff
	v_lshrrev_b32_e32 v9, 23, v5
	v_and_b32_e32 v10, 0x400000, v5
	v_and_or_b32 v5, v5, s0, v8
	v_cmp_ne_u32_e32 vcc, 0, v10
	v_cmp_ne_u32_e64 s[0:1], 0, v5
	s_and_b64 s[0:1], vcc, s[0:1]
	s_nop 0
	v_cndmask_b32_e64 v5, 0, 1, s[0:1]
	v_add_u32_e32 v9, v9, v5
; %bb.642:
	s_or_b64 exec, exec, s[6:7]
	s_mov_b64 s[0:1], 0
	s_mov_b64 s[6:7], -1
	global_store_byte v[6:7], v9, off
.LBB131_643:
	s_mov_b64 s[8:9], 0
.LBB131_644:
	s_and_b64 vcc, exec, s[8:9]
	s_cbranch_vccz .LBB131_647
; %bb.645:
	s_cmp_eq_u32 s14, 29
	s_mov_b64 s[0:1], -1
	s_cbranch_scc0 .LBB131_647
; %bb.646:
	v_trunc_f64_e32 v[8:9], v[44:45]
	s_movk_i32 s0, 0xffe0
	v_ldexp_f64 v[10:11], v[8:9], s0
	v_floor_f64_e32 v[10:11], v[10:11]
	v_fmac_f64_e32 v[8:9], 0xc1f00000, v[10:11]
	v_cvt_u32_f64_e32 v13, v[10:11]
	v_cvt_u32_f64_e32 v12, v[8:9]
	global_store_dwordx2 v[6:7], v[12:13], off
	s_mov_b64 s[0:1], 0
	s_mov_b64 s[6:7], -1
.LBB131_647:
	s_mov_b64 s[8:9], 0
.LBB131_648:
	s_and_b64 vcc, exec, s[8:9]
	s_cbranch_vccz .LBB131_664
; %bb.649:
	s_cmp_lt_i32 s14, 27
	s_mov_b64 s[6:7], -1
	s_cbranch_scc1 .LBB131_655
; %bb.650:
	s_cmp_gt_i32 s14, 27
	v_cvt_u32_f64_e32 v5, v[44:45]
	s_cbranch_scc0 .LBB131_652
; %bb.651:
	s_mov_b64 s[6:7], 0
	global_store_dword v[6:7], v5, off
.LBB131_652:
	s_andn2_b64 vcc, exec, s[6:7]
	s_cbranch_vccnz .LBB131_654
; %bb.653:
	global_store_short v[6:7], v5, off
.LBB131_654:
	s_mov_b64 s[6:7], 0
.LBB131_655:
	s_andn2_b64 vcc, exec, s[6:7]
	s_cbranch_vccnz .LBB131_663
; %bb.656:
	v_cvt_f32_f64_e32 v5, v[44:45]
	v_and_b32_e32 v8, 0x7fffffff, v5
	s_mov_b32 s6, 0x43800000
	v_cmp_gt_u32_e32 vcc, s6, v8
	v_mov_b32_e32 v9, 0x80
	s_and_saveexec_b64 s[6:7], vcc
	s_cbranch_execz .LBB131_662
; %bb.657:
	s_mov_b32 s8, 0x3bffffff
	v_cmp_lt_u32_e32 vcc, s8, v8
	s_mov_b64 s[8:9], 0
                                        ; implicit-def: $vgpr8
	s_and_saveexec_b64 s[10:11], vcc
	s_xor_b64 s[10:11], exec, s[10:11]
	s_cbranch_execz .LBB131_994
; %bb.658:
	v_bfe_u32 v8, v5, 20, 1
	s_mov_b32 s15, 0x487ffff
	v_add3_u32 v8, v5, v8, s15
	s_mov_b64 s[8:9], exec
	v_lshrrev_b32_e32 v8, 20, v8
	s_andn2_saveexec_b64 s[10:11], s[10:11]
	s_cbranch_execnz .LBB131_995
.LBB131_659:
	s_or_b64 exec, exec, s[10:11]
	v_mov_b32_e32 v9, 0
	s_and_saveexec_b64 s[10:11], s[8:9]
.LBB131_660:
	v_lshrrev_b32_e32 v5, 24, v5
	s_movk_i32 s8, 0x80
	v_and_or_b32 v9, v5, s8, v8
.LBB131_661:
	s_or_b64 exec, exec, s[10:11]
.LBB131_662:
	s_or_b64 exec, exec, s[6:7]
	global_store_byte v[6:7], v9, off
.LBB131_663:
	s_mov_b64 s[6:7], -1
.LBB131_664:
	s_mov_b64 s[8:9], 0
.LBB131_665:
	s_and_b64 vcc, exec, s[8:9]
	s_cbranch_vccz .LBB131_705
; %bb.666:
	s_cmp_gt_i32 s14, 22
	s_mov_b64 s[4:5], -1
	s_cbranch_scc0 .LBB131_698
; %bb.667:
	s_cmp_lt_i32 s14, 24
	s_cbranch_scc1 .LBB131_687
; %bb.668:
	s_cmp_gt_i32 s14, 24
	s_cbranch_scc0 .LBB131_676
; %bb.669:
	v_cvt_f32_f64_e32 v5, v[44:45]
	v_and_b32_e32 v8, 0x7fffffff, v5
	s_mov_b32 s4, 0x47800000
	v_cmp_gt_u32_e32 vcc, s4, v8
	v_mov_b32_e32 v9, 0x80
	s_and_saveexec_b64 s[4:5], vcc
	s_cbranch_execz .LBB131_675
; %bb.670:
	s_mov_b32 s6, 0x37ffffff
	v_cmp_lt_u32_e32 vcc, s6, v8
	s_mov_b64 s[6:7], 0
                                        ; implicit-def: $vgpr8
	s_and_saveexec_b64 s[8:9], vcc
	s_xor_b64 s[8:9], exec, s[8:9]
	s_cbranch_execz .LBB131_997
; %bb.671:
	v_bfe_u32 v8, v5, 21, 1
	s_mov_b32 s10, 0x88fffff
	v_add3_u32 v8, v5, v8, s10
	s_mov_b64 s[6:7], exec
	v_lshrrev_b32_e32 v8, 21, v8
	s_andn2_saveexec_b64 s[8:9], s[8:9]
	s_cbranch_execnz .LBB131_998
.LBB131_672:
	s_or_b64 exec, exec, s[8:9]
	v_mov_b32_e32 v9, 0
	s_and_saveexec_b64 s[8:9], s[6:7]
.LBB131_673:
	v_lshrrev_b32_e32 v5, 24, v5
	s_movk_i32 s6, 0x80
	v_and_or_b32 v9, v5, s6, v8
.LBB131_674:
	s_or_b64 exec, exec, s[8:9]
.LBB131_675:
	s_or_b64 exec, exec, s[4:5]
	s_mov_b64 s[4:5], 0
	global_store_byte v[6:7], v9, off
.LBB131_676:
	s_and_b64 vcc, exec, s[4:5]
	s_cbranch_vccz .LBB131_686
; %bb.677:
	v_cvt_f32_f64_e32 v5, v[44:45]
	v_and_b32_e32 v9, 0x7fffffff, v5
	s_mov_b32 s4, 0x43f00000
	v_cmp_gt_u32_e32 vcc, s4, v9
                                        ; implicit-def: $vgpr8
	s_and_saveexec_b64 s[4:5], vcc
	s_xor_b64 s[4:5], exec, s[4:5]
	s_cbranch_execz .LBB131_683
; %bb.678:
	s_mov_b32 s6, 0x3c7fffff
	v_cmp_lt_u32_e32 vcc, s6, v9
                                        ; implicit-def: $vgpr8
	s_and_saveexec_b64 s[6:7], vcc
	s_xor_b64 s[6:7], exec, s[6:7]
; %bb.679:
	v_bfe_u32 v8, v5, 20, 1
	s_mov_b32 s8, 0x407ffff
	v_add3_u32 v8, v5, v8, s8
	v_lshrrev_b32_e32 v9, 20, v8
	v_and_b32_e32 v8, 0xff00000, v8
	s_mov_b32 s8, 0x7f00000
	v_mov_b32_e32 v10, 0x7e
	v_cmp_ne_u32_e32 vcc, s8, v8
	s_nop 1
	v_cndmask_b32_e32 v8, v10, v9, vcc
; %bb.680:
	s_andn2_saveexec_b64 s[6:7], s[6:7]
; %bb.681:
	s_mov_b32 s8, 0x46800000
	v_add_f32_e64 v8, |v5|, s8
; %bb.682:
	s_or_b64 exec, exec, s[6:7]
                                        ; implicit-def: $vgpr9
.LBB131_683:
	s_andn2_saveexec_b64 s[4:5], s[4:5]
; %bb.684:
	s_mov_b32 s6, 0x7f800000
	v_mov_b32_e32 v8, 0x7e
	v_mov_b32_e32 v10, 0x7f
	v_cmp_lt_u32_e32 vcc, s6, v9
	s_nop 1
	v_cndmask_b32_e32 v8, v8, v10, vcc
; %bb.685:
	s_or_b64 exec, exec, s[4:5]
	v_lshrrev_b32_e32 v5, 24, v5
	s_movk_i32 s4, 0x80
	v_and_or_b32 v5, v5, s4, v8
	global_store_byte v[6:7], v5, off
.LBB131_686:
	s_mov_b64 s[4:5], 0
.LBB131_687:
	s_andn2_b64 vcc, exec, s[4:5]
	s_cbranch_vccnz .LBB131_697
; %bb.688:
	v_cvt_f32_f64_e32 v5, v[44:45]
	v_and_b32_e32 v9, 0x7fffffff, v5
	s_mov_b32 s4, 0x47800000
	v_cmp_gt_u32_e32 vcc, s4, v9
                                        ; implicit-def: $vgpr8
	s_and_saveexec_b64 s[4:5], vcc
	s_xor_b64 s[4:5], exec, s[4:5]
	s_cbranch_execz .LBB131_694
; %bb.689:
	s_mov_b32 s6, 0x387fffff
	v_cmp_lt_u32_e32 vcc, s6, v9
                                        ; implicit-def: $vgpr8
	s_and_saveexec_b64 s[6:7], vcc
	s_xor_b64 s[6:7], exec, s[6:7]
; %bb.690:
	v_bfe_u32 v8, v5, 21, 1
	s_mov_b32 s8, 0x80fffff
	v_add3_u32 v8, v5, v8, s8
	v_lshrrev_b32_e32 v8, 21, v8
; %bb.691:
	s_andn2_saveexec_b64 s[6:7], s[6:7]
; %bb.692:
	s_mov_b32 s8, 0x43000000
	v_add_f32_e64 v8, |v5|, s8
; %bb.693:
	s_or_b64 exec, exec, s[6:7]
                                        ; implicit-def: $vgpr9
.LBB131_694:
	s_andn2_saveexec_b64 s[4:5], s[4:5]
; %bb.695:
	s_mov_b32 s6, 0x7f800000
	v_mov_b32_e32 v8, 0x7c
	v_mov_b32_e32 v10, 0x7f
	v_cmp_lt_u32_e32 vcc, s6, v9
	s_nop 1
	v_cndmask_b32_e32 v8, v8, v10, vcc
; %bb.696:
	s_or_b64 exec, exec, s[4:5]
	v_lshrrev_b32_e32 v5, 24, v5
	s_movk_i32 s4, 0x80
	v_and_or_b32 v5, v5, s4, v8
	global_store_byte v[6:7], v5, off
.LBB131_697:
	s_mov_b64 s[4:5], 0
	s_mov_b64 s[6:7], -1
.LBB131_698:
	s_andn2_b64 vcc, exec, s[4:5]
	s_mov_b64 s[4:5], 0
	s_cbranch_vccnz .LBB131_705
; %bb.699:
	s_cmp_gt_i32 s14, 14
	s_mov_b64 s[8:9], -1
	s_cbranch_scc0 .LBB131_703
; %bb.700:
	s_cmp_eq_u32 s14, 15
	s_mov_b64 s[0:1], -1
	s_cbranch_scc0 .LBB131_702
; %bb.701:
	v_cvt_f32_f64_e32 v5, v[44:45]
	v_bfe_u32 v8, v5, 16, 1
	s_movk_i32 s0, 0x7fff
	v_add3_u32 v8, v5, v8, s0
	v_cmp_o_f32_e32 vcc, v5, v5
	v_mov_b32_e32 v5, 0x7fc0
	s_mov_b64 s[0:1], 0
	v_cndmask_b32_sdwa v5, v5, v8, vcc dst_sel:DWORD dst_unused:UNUSED_PAD src0_sel:DWORD src1_sel:WORD_1
	global_store_short v[6:7], v5, off
	s_mov_b64 s[6:7], -1
.LBB131_702:
	s_mov_b64 s[8:9], 0
.LBB131_703:
	s_and_b64 vcc, exec, s[8:9]
	s_cbranch_vccz .LBB131_705
; %bb.704:
	s_cmp_lg_u32 s14, 11
	s_mov_b64 s[4:5], -1
	s_cselect_b64 s[0:1], -1, 0
.LBB131_705:
	s_and_b64 vcc, exec, s[0:1]
	s_cbranch_vccnz .LBB131_996
; %bb.706:
	s_andn2_b64 vcc, exec, s[4:5]
	s_cbranch_vccnz .LBB131_708
.LBB131_707:
	v_cmp_neq_f64_e32 vcc, 0, v[44:45]
	v_cmp_neq_f64_e64 s[0:1], 0, v[46:47]
	s_or_b64 s[0:1], vcc, s[0:1]
	s_mov_b64 s[6:7], -1
	v_cndmask_b32_e64 v5, 0, 1, s[0:1]
	global_store_byte v[6:7], v5, off
.LBB131_708:
.LBB131_709:
	s_andn2_b64 vcc, exec, s[6:7]
	s_cbranch_vccz .LBB131_749
	s_branch .LBB131_943
.LBB131_710:
	s_mov_b64 s[6:7], 0
	s_cbranch_execz .LBB131_709
; %bb.711:
	s_and_b32 s4, 0xffff, s12
	s_cmp_lt_i32 s4, 5
	s_mov_b64 s[0:1], -1
	s_cbranch_scc1 .LBB131_732
; %bb.712:
	s_cmp_lt_i32 s4, 8
	s_cbranch_scc1 .LBB131_722
; %bb.713:
	s_cmp_lt_i32 s4, 9
	s_cbranch_scc1 .LBB131_719
; %bb.714:
	s_cmp_gt_i32 s4, 9
	s_cbranch_scc0 .LBB131_716
; %bb.715:
	global_store_dwordx4 v[6:7], v[44:47], off
	s_mov_b64 s[0:1], 0
.LBB131_716:
	s_andn2_b64 vcc, exec, s[0:1]
	s_cbranch_vccnz .LBB131_718
; %bb.717:
	v_cvt_f32_f64_e32 v9, v[46:47]
	v_cvt_f32_f64_e32 v8, v[44:45]
	global_store_dwordx2 v[6:7], v[8:9], off
.LBB131_718:
	s_mov_b64 s[0:1], 0
.LBB131_719:
	s_andn2_b64 vcc, exec, s[0:1]
	s_cbranch_vccnz .LBB131_721
; %bb.720:
	s_movk_i32 s0, 0x1ff
	v_and_or_b32 v5, v45, s0, v44
	v_cmp_ne_u32_e32 vcc, 0, v5
	v_lshrrev_b32_e32 v8, 8, v45
	s_movk_i32 s1, 0xffe
	v_cndmask_b32_e64 v5, 0, 1, vcc
	v_bfe_u32 v9, v45, 20, 11
	v_and_or_b32 v5, v8, s1, v5
	v_sub_u32_e32 v10, 0x3f1, v9
	v_or_b32_e32 v8, 0x1000, v5
	v_med3_i32 v10, v10, 0, 13
	v_lshrrev_b32_e32 v11, v10, v8
	v_lshlrev_b32_e32 v10, v10, v11
	v_cmp_ne_u32_e32 vcc, v10, v8
	v_add_u32_e32 v9, 0xfffffc10, v9
	v_lshl_or_b32 v10, v9, 12, v5
	v_cndmask_b32_e64 v8, 0, 1, vcc
	v_or_b32_e32 v8, v11, v8
	v_cmp_gt_i32_e32 vcc, 1, v9
	s_movk_i32 s5, 0x40f
	v_lshrrev_b32_e32 v12, 8, v47
	v_cndmask_b32_e32 v8, v10, v8, vcc
	v_and_b32_e32 v10, 7, v8
	v_cmp_lt_i32_e32 vcc, 5, v10
	v_lshrrev_b32_e32 v8, 2, v8
	v_bfe_u32 v13, v47, 20, 11
	v_cndmask_b32_e64 v11, 0, 1, vcc
	v_cmp_eq_u32_e32 vcc, 3, v10
	v_sub_u32_e32 v14, 0x3f1, v13
	v_med3_i32 v14, v14, 0, 13
	v_cndmask_b32_e64 v10, 0, 1, vcc
	v_or_b32_e32 v10, v10, v11
	v_add_u32_e32 v8, v8, v10
	v_mov_b32_e32 v10, 0x7c00
	v_cmp_gt_i32_e32 vcc, 31, v9
	v_mov_b32_e32 v11, 0x7e00
	v_add_u32_e32 v13, 0xfffffc10, v13
	v_cndmask_b32_e32 v8, v10, v8, vcc
	v_cmp_ne_u32_e32 vcc, 0, v5
	s_mov_b32 s6, 0x8000
	s_nop 0
	v_cndmask_b32_e32 v5, v10, v11, vcc
	v_cmp_eq_u32_e32 vcc, s5, v9
	v_and_or_b32 v9, v47, s0, v46
	s_mov_b32 s0, 0xffff
	v_cndmask_b32_e32 v5, v8, v5, vcc
	v_cmp_ne_u32_e32 vcc, 0, v9
	v_and_b32_sdwa v8, v45, s6 dst_sel:DWORD dst_unused:UNUSED_PAD src0_sel:WORD_1 src1_sel:DWORD
	v_bitop3_b32 v5, v8, s0, v5 bitop3:0xc8
	v_cndmask_b32_e64 v9, 0, 1, vcc
	v_and_or_b32 v9, v12, s1, v9
	v_or_b32_e32 v12, 0x1000, v9
	v_lshrrev_b32_e32 v15, v14, v12
	v_lshlrev_b32_e32 v14, v14, v15
	v_cmp_ne_u32_e32 vcc, v14, v12
	v_lshl_or_b32 v14, v13, 12, v9
	s_nop 0
	v_cndmask_b32_e64 v12, 0, 1, vcc
	v_or_b32_e32 v12, v15, v12
	v_cmp_gt_i32_e32 vcc, 1, v13
	s_nop 1
	v_cndmask_b32_e32 v12, v14, v12, vcc
	v_and_b32_e32 v14, 7, v12
	v_cmp_lt_i32_e32 vcc, 5, v14
	v_lshrrev_b32_e32 v12, 2, v12
	s_nop 0
	v_cndmask_b32_e64 v15, 0, 1, vcc
	v_cmp_eq_u32_e32 vcc, 3, v14
	s_nop 1
	v_cndmask_b32_e64 v14, 0, 1, vcc
	v_or_b32_e32 v14, v14, v15
	v_add_u32_e32 v12, v12, v14
	v_cmp_gt_i32_e32 vcc, 31, v13
	s_nop 1
	v_cndmask_b32_e32 v12, v10, v12, vcc
	v_cmp_ne_u32_e32 vcc, 0, v9
	s_nop 1
	v_cndmask_b32_e32 v9, v10, v11, vcc
	v_cmp_eq_u32_e32 vcc, s5, v13
	v_lshrrev_b32_e32 v10, 16, v47
	s_nop 0
	v_cndmask_b32_e32 v9, v12, v9, vcc
	v_and_or_b32 v9, v10, s6, v9
	v_lshl_or_b32 v5, v9, 16, v5
	global_store_dword v[6:7], v5, off
.LBB131_721:
	s_mov_b64 s[0:1], 0
.LBB131_722:
	s_andn2_b64 vcc, exec, s[0:1]
	s_cbranch_vccnz .LBB131_731
; %bb.723:
	s_cmp_lt_i32 s4, 6
	s_mov_b64 s[0:1], -1
	s_cbranch_scc1 .LBB131_729
; %bb.724:
	s_cmp_gt_i32 s4, 6
	s_cbranch_scc0 .LBB131_726
; %bb.725:
	global_store_dwordx2 v[6:7], v[44:45], off
	s_mov_b64 s[0:1], 0
.LBB131_726:
	s_andn2_b64 vcc, exec, s[0:1]
	s_cbranch_vccnz .LBB131_728
; %bb.727:
	v_cvt_f32_f64_e32 v5, v[44:45]
	global_store_dword v[6:7], v5, off
.LBB131_728:
	s_mov_b64 s[0:1], 0
.LBB131_729:
	s_andn2_b64 vcc, exec, s[0:1]
	s_cbranch_vccnz .LBB131_731
; %bb.730:
	s_movk_i32 s0, 0x1ff
	v_and_or_b32 v5, v45, s0, v44
	v_cmp_ne_u32_e32 vcc, 0, v5
	v_lshrrev_b32_e32 v8, 8, v45
	s_movk_i32 s0, 0xffe
	v_cndmask_b32_e64 v5, 0, 1, vcc
	v_bfe_u32 v9, v45, 20, 11
	v_and_or_b32 v5, v8, s0, v5
	v_sub_u32_e32 v10, 0x3f1, v9
	v_or_b32_e32 v8, 0x1000, v5
	v_med3_i32 v10, v10, 0, 13
	v_lshrrev_b32_e32 v11, v10, v8
	v_lshlrev_b32_e32 v10, v10, v11
	v_cmp_ne_u32_e32 vcc, v10, v8
	v_add_u32_e32 v9, 0xfffffc10, v9
	v_lshl_or_b32 v10, v9, 12, v5
	v_cndmask_b32_e64 v8, 0, 1, vcc
	v_or_b32_e32 v8, v11, v8
	v_cmp_gt_i32_e32 vcc, 1, v9
	s_movk_i32 s0, 0x40f
	s_nop 0
	v_cndmask_b32_e32 v8, v10, v8, vcc
	v_and_b32_e32 v10, 7, v8
	v_cmp_lt_i32_e32 vcc, 5, v10
	v_lshrrev_b32_e32 v8, 2, v8
	s_nop 0
	v_cndmask_b32_e64 v11, 0, 1, vcc
	v_cmp_eq_u32_e32 vcc, 3, v10
	s_nop 1
	v_cndmask_b32_e64 v10, 0, 1, vcc
	v_or_b32_e32 v10, v10, v11
	v_add_u32_e32 v8, v8, v10
	v_mov_b32_e32 v10, 0x7c00
	v_cmp_gt_i32_e32 vcc, 31, v9
	v_mov_b32_e32 v11, 0x7e00
	s_nop 0
	v_cndmask_b32_e32 v8, v10, v8, vcc
	v_cmp_ne_u32_e32 vcc, 0, v5
	s_nop 1
	v_cndmask_b32_e32 v5, v10, v11, vcc
	v_cmp_eq_u32_e32 vcc, s0, v9
	s_mov_b32 s0, 0x8000
	s_nop 0
	v_cndmask_b32_e32 v5, v8, v5, vcc
	v_lshrrev_b32_e32 v8, 16, v45
	v_and_or_b32 v5, v8, s0, v5
	global_store_short v[6:7], v5, off
.LBB131_731:
	s_mov_b64 s[0:1], 0
.LBB131_732:
	s_andn2_b64 vcc, exec, s[0:1]
	s_cbranch_vccnz .LBB131_748
; %bb.733:
	s_cmp_lt_i32 s4, 2
	s_mov_b64 s[0:1], -1
	s_cbranch_scc1 .LBB131_743
; %bb.734:
	s_cmp_lt_i32 s4, 3
	s_cbranch_scc1 .LBB131_740
; %bb.735:
	s_cmp_gt_i32 s4, 3
	s_cbranch_scc0 .LBB131_737
; %bb.736:
	v_trunc_f64_e32 v[8:9], v[44:45]
	s_movk_i32 s0, 0xffe0
	v_ldexp_f64 v[10:11], v[8:9], s0
	v_floor_f64_e32 v[10:11], v[10:11]
	v_fmac_f64_e32 v[8:9], 0xc1f00000, v[10:11]
	v_cvt_i32_f64_e32 v13, v[10:11]
	v_cvt_u32_f64_e32 v12, v[8:9]
	global_store_dwordx2 v[6:7], v[12:13], off
	s_mov_b64 s[0:1], 0
.LBB131_737:
	s_andn2_b64 vcc, exec, s[0:1]
	s_cbranch_vccnz .LBB131_739
; %bb.738:
	v_cvt_i32_f64_e32 v5, v[44:45]
	global_store_dword v[6:7], v5, off
.LBB131_739:
	s_mov_b64 s[0:1], 0
.LBB131_740:
	s_andn2_b64 vcc, exec, s[0:1]
	s_cbranch_vccnz .LBB131_742
; %bb.741:
	v_cvt_i32_f64_e32 v5, v[44:45]
	global_store_short v[6:7], v5, off
.LBB131_742:
	s_mov_b64 s[0:1], 0
.LBB131_743:
	s_andn2_b64 vcc, exec, s[0:1]
	s_cbranch_vccnz .LBB131_748
; %bb.744:
	s_cmp_gt_i32 s4, 0
	s_mov_b64 s[0:1], -1
	s_cbranch_scc0 .LBB131_746
; %bb.745:
	v_cvt_i32_f64_e32 v5, v[44:45]
	global_store_byte v[6:7], v5, off
	s_mov_b64 s[0:1], 0
.LBB131_746:
	s_andn2_b64 vcc, exec, s[0:1]
	s_cbranch_vccnz .LBB131_748
; %bb.747:
	v_trunc_f64_e32 v[8:9], v[44:45]
	s_movk_i32 s0, 0xffe0
	v_ldexp_f64 v[10:11], v[8:9], s0
	v_floor_f64_e32 v[10:11], v[10:11]
	v_fmac_f64_e32 v[8:9], 0xc1f00000, v[10:11]
	v_cvt_u32_f64_e32 v5, v[8:9]
	global_store_byte v[6:7], v5, off
.LBB131_748:
.LBB131_749:
	v_add_u32_e32 v4, s13, v4
	v_ashrrev_i32_e32 v5, 31, v4
	s_cmp_lt_i32 s12, 11
	v_lshl_add_u64 v[6:7], s[36:37], 0, v[4:5]
	s_cbranch_scc1 .LBB131_904
; %bb.750:
	s_and_b32 s14, 0xffff, s12
	s_mov_b64 s[8:9], -1
	s_mov_b64 s[4:5], 0
	s_cmp_gt_i32 s14, 25
	s_mov_b64 s[6:7], 0
	s_mov_b64 s[0:1], 0
	s_cbranch_scc0 .LBB131_783
; %bb.751:
	s_cmp_gt_i32 s14, 28
	s_cbranch_scc0 .LBB131_766
; %bb.752:
	s_cmp_gt_i32 s14, 43
	;; [unrolled: 3-line block ×3, first 2 shown]
	s_cbranch_scc0 .LBB131_756
; %bb.754:
	s_mov_b64 s[0:1], -1
	s_mov_b64 s[8:9], 0
	s_cmp_eq_u32 s14, 46
	s_cbranch_scc0 .LBB131_756
; %bb.755:
	v_cvt_f32_f64_e32 v8, v[42:43]
	s_movk_i32 s0, 0x7fff
	v_bfe_u32 v10, v8, 16, 1
	v_cvt_f32_f64_e32 v5, v[40:41]
	v_add3_u32 v10, v8, v10, s0
	v_bfe_u32 v9, v5, 16, 1
	v_and_b32_e32 v10, 0xffff0000, v10
	v_mov_b32_e32 v11, 0x7fc00000
	v_cmp_o_f32_e32 vcc, v8, v8
	v_add3_u32 v9, v5, v9, s0
	s_mov_b64 s[0:1], 0
	v_cndmask_b32_e32 v8, v11, v10, vcc
	v_cmp_o_f32_e32 vcc, v5, v5
	v_mov_b32_e32 v5, 0x7fc0
	s_mov_b64 s[6:7], -1
	v_cndmask_b32_sdwa v5, v5, v9, vcc dst_sel:DWORD dst_unused:UNUSED_PAD src0_sel:DWORD src1_sel:WORD_1
	v_or_b32_e32 v5, v8, v5
	global_store_dword v[6:7], v5, off
.LBB131_756:
	s_and_b64 vcc, exec, s[8:9]
	s_cbranch_vccz .LBB131_761
; %bb.757:
	s_cmp_eq_u32 s14, 44
	s_mov_b64 s[0:1], -1
	s_cbranch_scc0 .LBB131_761
; %bb.758:
	v_cvt_f32_f64_e32 v5, v[40:41]
	v_bfe_u32 v8, v5, 23, 8
	s_movk_i32 s0, 0xff
	v_cmp_ne_u32_e32 vcc, s0, v8
	v_mov_b32_e32 v9, 0xff
	s_and_saveexec_b64 s[6:7], vcc
; %bb.759:
	s_mov_b32 s0, 0x3fffff
	v_lshrrev_b32_e32 v9, 23, v5
	v_and_b32_e32 v10, 0x400000, v5
	v_and_or_b32 v5, v5, s0, v8
	v_cmp_ne_u32_e32 vcc, 0, v10
	v_cmp_ne_u32_e64 s[0:1], 0, v5
	s_and_b64 s[0:1], vcc, s[0:1]
	s_nop 0
	v_cndmask_b32_e64 v5, 0, 1, s[0:1]
	v_add_u32_e32 v9, v9, v5
; %bb.760:
	s_or_b64 exec, exec, s[6:7]
	s_mov_b64 s[0:1], 0
	s_mov_b64 s[6:7], -1
	global_store_byte v[6:7], v9, off
.LBB131_761:
	s_mov_b64 s[8:9], 0
.LBB131_762:
	s_and_b64 vcc, exec, s[8:9]
	s_cbranch_vccz .LBB131_765
; %bb.763:
	s_cmp_eq_u32 s14, 29
	s_mov_b64 s[0:1], -1
	s_cbranch_scc0 .LBB131_765
; %bb.764:
	v_trunc_f64_e32 v[8:9], v[40:41]
	s_movk_i32 s0, 0xffe0
	v_ldexp_f64 v[10:11], v[8:9], s0
	v_floor_f64_e32 v[10:11], v[10:11]
	v_fmac_f64_e32 v[8:9], 0xc1f00000, v[10:11]
	v_cvt_u32_f64_e32 v13, v[10:11]
	v_cvt_u32_f64_e32 v12, v[8:9]
	global_store_dwordx2 v[6:7], v[12:13], off
	s_mov_b64 s[0:1], 0
	s_mov_b64 s[6:7], -1
.LBB131_765:
	s_mov_b64 s[8:9], 0
.LBB131_766:
	s_and_b64 vcc, exec, s[8:9]
	s_cbranch_vccz .LBB131_782
; %bb.767:
	s_cmp_lt_i32 s14, 27
	s_mov_b64 s[6:7], -1
	s_cbranch_scc1 .LBB131_773
; %bb.768:
	s_cmp_gt_i32 s14, 27
	v_cvt_u32_f64_e32 v5, v[40:41]
	s_cbranch_scc0 .LBB131_770
; %bb.769:
	s_mov_b64 s[6:7], 0
	global_store_dword v[6:7], v5, off
.LBB131_770:
	s_andn2_b64 vcc, exec, s[6:7]
	s_cbranch_vccnz .LBB131_772
; %bb.771:
	global_store_short v[6:7], v5, off
.LBB131_772:
	s_mov_b64 s[6:7], 0
.LBB131_773:
	s_andn2_b64 vcc, exec, s[6:7]
	s_cbranch_vccnz .LBB131_781
; %bb.774:
	v_cvt_f32_f64_e32 v5, v[40:41]
	v_and_b32_e32 v8, 0x7fffffff, v5
	s_mov_b32 s6, 0x43800000
	v_cmp_gt_u32_e32 vcc, s6, v8
	v_mov_b32_e32 v9, 0x80
	s_and_saveexec_b64 s[6:7], vcc
	s_cbranch_execz .LBB131_780
; %bb.775:
	s_mov_b32 s8, 0x3bffffff
	v_cmp_lt_u32_e32 vcc, s8, v8
	s_mov_b64 s[8:9], 0
                                        ; implicit-def: $vgpr8
	s_and_saveexec_b64 s[10:11], vcc
	s_xor_b64 s[10:11], exec, s[10:11]
	s_cbranch_execz .LBB131_999
; %bb.776:
	v_bfe_u32 v8, v5, 20, 1
	s_mov_b32 s15, 0x487ffff
	v_add3_u32 v8, v5, v8, s15
	s_mov_b64 s[8:9], exec
	v_lshrrev_b32_e32 v8, 20, v8
	s_andn2_saveexec_b64 s[10:11], s[10:11]
	s_cbranch_execnz .LBB131_1000
.LBB131_777:
	s_or_b64 exec, exec, s[10:11]
	v_mov_b32_e32 v9, 0
	s_and_saveexec_b64 s[10:11], s[8:9]
.LBB131_778:
	v_lshrrev_b32_e32 v5, 24, v5
	s_movk_i32 s8, 0x80
	v_and_or_b32 v9, v5, s8, v8
.LBB131_779:
	s_or_b64 exec, exec, s[10:11]
.LBB131_780:
	s_or_b64 exec, exec, s[6:7]
	global_store_byte v[6:7], v9, off
.LBB131_781:
	s_mov_b64 s[6:7], -1
.LBB131_782:
	s_mov_b64 s[8:9], 0
.LBB131_783:
	s_and_b64 vcc, exec, s[8:9]
	s_cbranch_vccz .LBB131_823
; %bb.784:
	s_cmp_gt_i32 s14, 22
	s_mov_b64 s[4:5], -1
	s_cbranch_scc0 .LBB131_816
; %bb.785:
	s_cmp_lt_i32 s14, 24
	s_cbranch_scc1 .LBB131_805
; %bb.786:
	s_cmp_gt_i32 s14, 24
	s_cbranch_scc0 .LBB131_794
; %bb.787:
	v_cvt_f32_f64_e32 v5, v[40:41]
	v_and_b32_e32 v8, 0x7fffffff, v5
	s_mov_b32 s4, 0x47800000
	v_cmp_gt_u32_e32 vcc, s4, v8
	v_mov_b32_e32 v9, 0x80
	s_and_saveexec_b64 s[4:5], vcc
	s_cbranch_execz .LBB131_793
; %bb.788:
	s_mov_b32 s6, 0x37ffffff
	v_cmp_lt_u32_e32 vcc, s6, v8
	s_mov_b64 s[6:7], 0
                                        ; implicit-def: $vgpr8
	s_and_saveexec_b64 s[8:9], vcc
	s_xor_b64 s[8:9], exec, s[8:9]
	s_cbranch_execz .LBB131_1002
; %bb.789:
	v_bfe_u32 v8, v5, 21, 1
	s_mov_b32 s10, 0x88fffff
	v_add3_u32 v8, v5, v8, s10
	s_mov_b64 s[6:7], exec
	v_lshrrev_b32_e32 v8, 21, v8
	s_andn2_saveexec_b64 s[8:9], s[8:9]
	s_cbranch_execnz .LBB131_1003
.LBB131_790:
	s_or_b64 exec, exec, s[8:9]
	v_mov_b32_e32 v9, 0
	s_and_saveexec_b64 s[8:9], s[6:7]
.LBB131_791:
	v_lshrrev_b32_e32 v5, 24, v5
	s_movk_i32 s6, 0x80
	v_and_or_b32 v9, v5, s6, v8
.LBB131_792:
	s_or_b64 exec, exec, s[8:9]
.LBB131_793:
	s_or_b64 exec, exec, s[4:5]
	s_mov_b64 s[4:5], 0
	global_store_byte v[6:7], v9, off
.LBB131_794:
	s_and_b64 vcc, exec, s[4:5]
	s_cbranch_vccz .LBB131_804
; %bb.795:
	v_cvt_f32_f64_e32 v5, v[40:41]
	v_and_b32_e32 v9, 0x7fffffff, v5
	s_mov_b32 s4, 0x43f00000
	v_cmp_gt_u32_e32 vcc, s4, v9
                                        ; implicit-def: $vgpr8
	s_and_saveexec_b64 s[4:5], vcc
	s_xor_b64 s[4:5], exec, s[4:5]
	s_cbranch_execz .LBB131_801
; %bb.796:
	s_mov_b32 s6, 0x3c7fffff
	v_cmp_lt_u32_e32 vcc, s6, v9
                                        ; implicit-def: $vgpr8
	s_and_saveexec_b64 s[6:7], vcc
	s_xor_b64 s[6:7], exec, s[6:7]
; %bb.797:
	v_bfe_u32 v8, v5, 20, 1
	s_mov_b32 s8, 0x407ffff
	v_add3_u32 v8, v5, v8, s8
	v_lshrrev_b32_e32 v9, 20, v8
	v_and_b32_e32 v8, 0xff00000, v8
	s_mov_b32 s8, 0x7f00000
	v_mov_b32_e32 v10, 0x7e
	v_cmp_ne_u32_e32 vcc, s8, v8
	s_nop 1
	v_cndmask_b32_e32 v8, v10, v9, vcc
; %bb.798:
	s_andn2_saveexec_b64 s[6:7], s[6:7]
; %bb.799:
	s_mov_b32 s8, 0x46800000
	v_add_f32_e64 v8, |v5|, s8
; %bb.800:
	s_or_b64 exec, exec, s[6:7]
                                        ; implicit-def: $vgpr9
.LBB131_801:
	s_andn2_saveexec_b64 s[4:5], s[4:5]
; %bb.802:
	s_mov_b32 s6, 0x7f800000
	v_mov_b32_e32 v8, 0x7e
	v_mov_b32_e32 v10, 0x7f
	v_cmp_lt_u32_e32 vcc, s6, v9
	s_nop 1
	v_cndmask_b32_e32 v8, v8, v10, vcc
; %bb.803:
	s_or_b64 exec, exec, s[4:5]
	v_lshrrev_b32_e32 v5, 24, v5
	s_movk_i32 s4, 0x80
	v_and_or_b32 v5, v5, s4, v8
	global_store_byte v[6:7], v5, off
.LBB131_804:
	s_mov_b64 s[4:5], 0
.LBB131_805:
	s_andn2_b64 vcc, exec, s[4:5]
	s_cbranch_vccnz .LBB131_815
; %bb.806:
	v_cvt_f32_f64_e32 v5, v[40:41]
	v_and_b32_e32 v9, 0x7fffffff, v5
	s_mov_b32 s4, 0x47800000
	v_cmp_gt_u32_e32 vcc, s4, v9
                                        ; implicit-def: $vgpr8
	s_and_saveexec_b64 s[4:5], vcc
	s_xor_b64 s[4:5], exec, s[4:5]
	s_cbranch_execz .LBB131_812
; %bb.807:
	s_mov_b32 s6, 0x387fffff
	v_cmp_lt_u32_e32 vcc, s6, v9
                                        ; implicit-def: $vgpr8
	s_and_saveexec_b64 s[6:7], vcc
	s_xor_b64 s[6:7], exec, s[6:7]
; %bb.808:
	v_bfe_u32 v8, v5, 21, 1
	s_mov_b32 s8, 0x80fffff
	v_add3_u32 v8, v5, v8, s8
	v_lshrrev_b32_e32 v8, 21, v8
; %bb.809:
	s_andn2_saveexec_b64 s[6:7], s[6:7]
; %bb.810:
	s_mov_b32 s8, 0x43000000
	v_add_f32_e64 v8, |v5|, s8
; %bb.811:
	s_or_b64 exec, exec, s[6:7]
                                        ; implicit-def: $vgpr9
.LBB131_812:
	s_andn2_saveexec_b64 s[4:5], s[4:5]
; %bb.813:
	s_mov_b32 s6, 0x7f800000
	v_mov_b32_e32 v8, 0x7c
	v_mov_b32_e32 v10, 0x7f
	v_cmp_lt_u32_e32 vcc, s6, v9
	s_nop 1
	v_cndmask_b32_e32 v8, v8, v10, vcc
; %bb.814:
	s_or_b64 exec, exec, s[4:5]
	v_lshrrev_b32_e32 v5, 24, v5
	s_movk_i32 s4, 0x80
	v_and_or_b32 v5, v5, s4, v8
	global_store_byte v[6:7], v5, off
.LBB131_815:
	s_mov_b64 s[4:5], 0
	s_mov_b64 s[6:7], -1
.LBB131_816:
	s_andn2_b64 vcc, exec, s[4:5]
	s_mov_b64 s[4:5], 0
	s_cbranch_vccnz .LBB131_823
; %bb.817:
	s_cmp_gt_i32 s14, 14
	s_mov_b64 s[8:9], -1
	s_cbranch_scc0 .LBB131_821
; %bb.818:
	s_cmp_eq_u32 s14, 15
	s_mov_b64 s[0:1], -1
	s_cbranch_scc0 .LBB131_820
; %bb.819:
	v_cvt_f32_f64_e32 v5, v[40:41]
	v_bfe_u32 v8, v5, 16, 1
	s_movk_i32 s0, 0x7fff
	v_add3_u32 v8, v5, v8, s0
	v_cmp_o_f32_e32 vcc, v5, v5
	v_mov_b32_e32 v5, 0x7fc0
	s_mov_b64 s[0:1], 0
	v_cndmask_b32_sdwa v5, v5, v8, vcc dst_sel:DWORD dst_unused:UNUSED_PAD src0_sel:DWORD src1_sel:WORD_1
	global_store_short v[6:7], v5, off
	s_mov_b64 s[6:7], -1
.LBB131_820:
	s_mov_b64 s[8:9], 0
.LBB131_821:
	s_and_b64 vcc, exec, s[8:9]
	s_cbranch_vccz .LBB131_823
; %bb.822:
	s_cmp_lg_u32 s14, 11
	s_mov_b64 s[4:5], -1
	s_cselect_b64 s[0:1], -1, 0
.LBB131_823:
	s_and_b64 vcc, exec, s[0:1]
	s_cbranch_vccnz .LBB131_1001
; %bb.824:
	s_andn2_b64 vcc, exec, s[4:5]
	s_cbranch_vccnz .LBB131_826
.LBB131_825:
	v_cmp_neq_f64_e32 vcc, 0, v[40:41]
	v_cmp_neq_f64_e64 s[0:1], 0, v[42:43]
	s_or_b64 s[0:1], vcc, s[0:1]
	s_mov_b64 s[6:7], -1
	v_cndmask_b32_e64 v5, 0, 1, s[0:1]
	global_store_byte v[6:7], v5, off
.LBB131_826:
.LBB131_827:
	s_andn2_b64 vcc, exec, s[6:7]
	s_cbranch_vccnz .LBB131_943
.LBB131_828:
	v_add_u32_e32 v4, s13, v4
	v_ashrrev_i32_e32 v5, 31, v4
	s_cmp_lt_i32 s12, 11
	v_lshl_add_u64 v[4:5], s[36:37], 0, v[4:5]
	s_cbranch_scc1 .LBB131_988
; %bb.829:
	s_and_b32 s13, 0xffff, s12
	s_mov_b64 s[6:7], -1
	s_mov_b64 s[4:5], 0
	s_cmp_gt_i32 s13, 25
	s_mov_b64 s[0:1], 0
	s_cbranch_scc0 .LBB131_862
; %bb.830:
	s_cmp_gt_i32 s13, 28
	s_cbranch_scc0 .LBB131_846
; %bb.831:
	s_cmp_gt_i32 s13, 43
	;; [unrolled: 3-line block ×3, first 2 shown]
	s_cbranch_scc0 .LBB131_836
; %bb.833:
	s_cmp_eq_u32 s13, 46
	s_mov_b64 s[0:1], -1
	s_cbranch_scc0 .LBB131_835
; %bb.834:
	v_cvt_f32_f64_e32 v7, v[2:3]
	s_movk_i32 s0, 0x7fff
	v_bfe_u32 v9, v7, 16, 1
	v_cvt_f32_f64_e32 v6, v[0:1]
	v_add3_u32 v9, v7, v9, s0
	v_bfe_u32 v8, v6, 16, 1
	v_and_b32_e32 v9, 0xffff0000, v9
	v_mov_b32_e32 v10, 0x7fc00000
	v_cmp_o_f32_e32 vcc, v7, v7
	v_add3_u32 v8, v6, v8, s0
	s_mov_b64 s[0:1], 0
	v_cndmask_b32_e32 v7, v10, v9, vcc
	v_cmp_o_f32_e32 vcc, v6, v6
	v_mov_b32_e32 v6, 0x7fc0
	s_nop 0
	v_cndmask_b32_sdwa v6, v6, v8, vcc dst_sel:DWORD dst_unused:UNUSED_PAD src0_sel:DWORD src1_sel:WORD_1
	v_or_b32_e32 v6, v7, v6
	global_store_dword v[4:5], v6, off
.LBB131_835:
	s_mov_b64 s[6:7], 0
.LBB131_836:
	s_and_b64 vcc, exec, s[6:7]
	s_cbranch_vccz .LBB131_841
; %bb.837:
	s_cmp_eq_u32 s13, 44
	s_mov_b64 s[0:1], -1
	s_cbranch_scc0 .LBB131_841
; %bb.838:
	v_cvt_f32_f64_e32 v6, v[0:1]
	v_bfe_u32 v7, v6, 23, 8
	s_movk_i32 s0, 0xff
	v_cmp_ne_u32_e32 vcc, s0, v7
	v_mov_b32_e32 v8, 0xff
	s_and_saveexec_b64 s[6:7], vcc
; %bb.839:
	s_mov_b32 s0, 0x3fffff
	v_lshrrev_b32_e32 v8, 23, v6
	v_and_b32_e32 v9, 0x400000, v6
	v_and_or_b32 v6, v6, s0, v7
	v_cmp_ne_u32_e32 vcc, 0, v9
	v_cmp_ne_u32_e64 s[0:1], 0, v6
	s_and_b64 s[0:1], vcc, s[0:1]
	s_nop 0
	v_cndmask_b32_e64 v6, 0, 1, s[0:1]
	v_add_u32_e32 v8, v8, v6
; %bb.840:
	s_or_b64 exec, exec, s[6:7]
	s_mov_b64 s[0:1], 0
	global_store_byte v[4:5], v8, off
.LBB131_841:
	s_mov_b64 s[6:7], 0
.LBB131_842:
	s_and_b64 vcc, exec, s[6:7]
	s_cbranch_vccz .LBB131_845
; %bb.843:
	s_cmp_eq_u32 s13, 29
	s_mov_b64 s[0:1], -1
	s_cbranch_scc0 .LBB131_845
; %bb.844:
	v_trunc_f64_e32 v[6:7], v[0:1]
	s_movk_i32 s0, 0xffe0
	v_ldexp_f64 v[8:9], v[6:7], s0
	v_floor_f64_e32 v[8:9], v[8:9]
	v_fmac_f64_e32 v[6:7], 0xc1f00000, v[8:9]
	v_cvt_u32_f64_e32 v11, v[8:9]
	v_cvt_u32_f64_e32 v10, v[6:7]
	global_store_dwordx2 v[4:5], v[10:11], off
	s_mov_b64 s[0:1], 0
.LBB131_845:
	s_mov_b64 s[6:7], 0
.LBB131_846:
	s_and_b64 vcc, exec, s[6:7]
	s_cbranch_vccz .LBB131_861
; %bb.847:
	s_cmp_lt_i32 s13, 27
	s_mov_b64 s[6:7], -1
	s_cbranch_scc1 .LBB131_853
; %bb.848:
	s_cmp_gt_i32 s13, 27
	v_cvt_u32_f64_e32 v6, v[0:1]
	s_cbranch_scc0 .LBB131_850
; %bb.849:
	global_store_dword v[4:5], v6, off
	s_mov_b64 s[6:7], 0
.LBB131_850:
	s_andn2_b64 vcc, exec, s[6:7]
	s_cbranch_vccnz .LBB131_852
; %bb.851:
	global_store_short v[4:5], v6, off
.LBB131_852:
	s_mov_b64 s[6:7], 0
.LBB131_853:
	s_andn2_b64 vcc, exec, s[6:7]
	s_cbranch_vccnz .LBB131_861
; %bb.854:
	v_cvt_f32_f64_e32 v6, v[0:1]
	v_and_b32_e32 v7, 0x7fffffff, v6
	s_mov_b32 s6, 0x43800000
	v_cmp_gt_u32_e32 vcc, s6, v7
	v_mov_b32_e32 v8, 0x80
	s_and_saveexec_b64 s[6:7], vcc
	s_cbranch_execz .LBB131_860
; %bb.855:
	s_mov_b32 s8, 0x3bffffff
	v_cmp_lt_u32_e32 vcc, s8, v7
	s_mov_b64 s[8:9], 0
                                        ; implicit-def: $vgpr7
	s_and_saveexec_b64 s[10:11], vcc
	s_xor_b64 s[10:11], exec, s[10:11]
	s_cbranch_execz .LBB131_1004
; %bb.856:
	v_bfe_u32 v7, v6, 20, 1
	s_mov_b32 s14, 0x487ffff
	v_add3_u32 v7, v6, v7, s14
	s_mov_b64 s[8:9], exec
	v_lshrrev_b32_e32 v7, 20, v7
	s_andn2_saveexec_b64 s[10:11], s[10:11]
	s_cbranch_execnz .LBB131_1005
.LBB131_857:
	s_or_b64 exec, exec, s[10:11]
	v_mov_b32_e32 v8, 0
	s_and_saveexec_b64 s[10:11], s[8:9]
.LBB131_858:
	v_lshrrev_b32_e32 v6, 24, v6
	s_movk_i32 s8, 0x80
	v_and_or_b32 v8, v6, s8, v7
.LBB131_859:
	s_or_b64 exec, exec, s[10:11]
.LBB131_860:
	s_or_b64 exec, exec, s[6:7]
	global_store_byte v[4:5], v8, off
.LBB131_861:
	s_mov_b64 s[6:7], 0
.LBB131_862:
	s_and_b64 vcc, exec, s[6:7]
	s_cbranch_vccz .LBB131_902
; %bb.863:
	s_cmp_gt_i32 s13, 22
	s_mov_b64 s[4:5], -1
	s_cbranch_scc0 .LBB131_895
; %bb.864:
	s_cmp_lt_i32 s13, 24
	s_cbranch_scc1 .LBB131_884
; %bb.865:
	s_cmp_gt_i32 s13, 24
	s_cbranch_scc0 .LBB131_873
; %bb.866:
	v_cvt_f32_f64_e32 v6, v[0:1]
	v_and_b32_e32 v7, 0x7fffffff, v6
	s_mov_b32 s4, 0x47800000
	v_cmp_gt_u32_e32 vcc, s4, v7
	v_mov_b32_e32 v8, 0x80
	s_and_saveexec_b64 s[4:5], vcc
	s_cbranch_execz .LBB131_872
; %bb.867:
	s_mov_b32 s6, 0x37ffffff
	v_cmp_lt_u32_e32 vcc, s6, v7
	s_mov_b64 s[6:7], 0
                                        ; implicit-def: $vgpr7
	s_and_saveexec_b64 s[8:9], vcc
	s_xor_b64 s[8:9], exec, s[8:9]
	s_cbranch_execz .LBB131_1009
; %bb.868:
	v_bfe_u32 v7, v6, 21, 1
	s_mov_b32 s10, 0x88fffff
	v_add3_u32 v7, v6, v7, s10
	s_mov_b64 s[6:7], exec
	v_lshrrev_b32_e32 v7, 21, v7
	s_andn2_saveexec_b64 s[8:9], s[8:9]
	s_cbranch_execnz .LBB131_1010
.LBB131_869:
	s_or_b64 exec, exec, s[8:9]
	v_mov_b32_e32 v8, 0
	s_and_saveexec_b64 s[8:9], s[6:7]
.LBB131_870:
	v_lshrrev_b32_e32 v6, 24, v6
	s_movk_i32 s6, 0x80
	v_and_or_b32 v8, v6, s6, v7
.LBB131_871:
	s_or_b64 exec, exec, s[8:9]
.LBB131_872:
	s_or_b64 exec, exec, s[4:5]
	s_mov_b64 s[4:5], 0
	global_store_byte v[4:5], v8, off
.LBB131_873:
	s_and_b64 vcc, exec, s[4:5]
	s_cbranch_vccz .LBB131_883
; %bb.874:
	v_cvt_f32_f64_e32 v6, v[0:1]
	v_and_b32_e32 v8, 0x7fffffff, v6
	s_mov_b32 s4, 0x43f00000
	v_cmp_gt_u32_e32 vcc, s4, v8
                                        ; implicit-def: $vgpr7
	s_and_saveexec_b64 s[4:5], vcc
	s_xor_b64 s[4:5], exec, s[4:5]
	s_cbranch_execz .LBB131_880
; %bb.875:
	s_mov_b32 s6, 0x3c7fffff
	v_cmp_lt_u32_e32 vcc, s6, v8
                                        ; implicit-def: $vgpr7
	s_and_saveexec_b64 s[6:7], vcc
	s_xor_b64 s[6:7], exec, s[6:7]
; %bb.876:
	v_bfe_u32 v7, v6, 20, 1
	s_mov_b32 s8, 0x407ffff
	v_add3_u32 v7, v6, v7, s8
	v_lshrrev_b32_e32 v8, 20, v7
	v_and_b32_e32 v7, 0xff00000, v7
	s_mov_b32 s8, 0x7f00000
	v_mov_b32_e32 v9, 0x7e
	v_cmp_ne_u32_e32 vcc, s8, v7
	s_nop 1
	v_cndmask_b32_e32 v7, v9, v8, vcc
; %bb.877:
	s_andn2_saveexec_b64 s[6:7], s[6:7]
; %bb.878:
	s_mov_b32 s8, 0x46800000
	v_add_f32_e64 v7, |v6|, s8
; %bb.879:
	s_or_b64 exec, exec, s[6:7]
                                        ; implicit-def: $vgpr8
.LBB131_880:
	s_andn2_saveexec_b64 s[4:5], s[4:5]
; %bb.881:
	s_mov_b32 s6, 0x7f800000
	v_mov_b32_e32 v7, 0x7e
	v_mov_b32_e32 v9, 0x7f
	v_cmp_lt_u32_e32 vcc, s6, v8
	s_nop 1
	v_cndmask_b32_e32 v7, v7, v9, vcc
; %bb.882:
	s_or_b64 exec, exec, s[4:5]
	v_lshrrev_b32_e32 v6, 24, v6
	s_movk_i32 s4, 0x80
	v_and_or_b32 v6, v6, s4, v7
	global_store_byte v[4:5], v6, off
.LBB131_883:
	s_mov_b64 s[4:5], 0
.LBB131_884:
	s_andn2_b64 vcc, exec, s[4:5]
	s_cbranch_vccnz .LBB131_894
; %bb.885:
	v_cvt_f32_f64_e32 v6, v[0:1]
	v_and_b32_e32 v8, 0x7fffffff, v6
	s_mov_b32 s4, 0x47800000
	v_cmp_gt_u32_e32 vcc, s4, v8
                                        ; implicit-def: $vgpr7
	s_and_saveexec_b64 s[4:5], vcc
	s_xor_b64 s[4:5], exec, s[4:5]
	s_cbranch_execz .LBB131_891
; %bb.886:
	s_mov_b32 s6, 0x387fffff
	v_cmp_lt_u32_e32 vcc, s6, v8
                                        ; implicit-def: $vgpr7
	s_and_saveexec_b64 s[6:7], vcc
	s_xor_b64 s[6:7], exec, s[6:7]
; %bb.887:
	v_bfe_u32 v7, v6, 21, 1
	s_mov_b32 s8, 0x80fffff
	v_add3_u32 v7, v6, v7, s8
	v_lshrrev_b32_e32 v7, 21, v7
; %bb.888:
	s_andn2_saveexec_b64 s[6:7], s[6:7]
; %bb.889:
	s_mov_b32 s8, 0x43000000
	v_add_f32_e64 v7, |v6|, s8
; %bb.890:
	s_or_b64 exec, exec, s[6:7]
                                        ; implicit-def: $vgpr8
.LBB131_891:
	s_andn2_saveexec_b64 s[4:5], s[4:5]
; %bb.892:
	s_mov_b32 s6, 0x7f800000
	v_mov_b32_e32 v7, 0x7c
	v_mov_b32_e32 v9, 0x7f
	v_cmp_lt_u32_e32 vcc, s6, v8
	s_nop 1
	v_cndmask_b32_e32 v7, v7, v9, vcc
; %bb.893:
	s_or_b64 exec, exec, s[4:5]
	v_lshrrev_b32_e32 v6, 24, v6
	s_movk_i32 s4, 0x80
	v_and_or_b32 v6, v6, s4, v7
	global_store_byte v[4:5], v6, off
.LBB131_894:
	s_mov_b64 s[4:5], 0
.LBB131_895:
	s_andn2_b64 vcc, exec, s[4:5]
	s_mov_b64 s[4:5], 0
	s_cbranch_vccnz .LBB131_902
; %bb.896:
	s_cmp_gt_i32 s13, 14
	s_mov_b64 s[6:7], -1
	s_cbranch_scc0 .LBB131_900
; %bb.897:
	s_cmp_eq_u32 s13, 15
	s_mov_b64 s[0:1], -1
	s_cbranch_scc0 .LBB131_899
; %bb.898:
	v_cvt_f32_f64_e32 v6, v[0:1]
	v_bfe_u32 v7, v6, 16, 1
	s_movk_i32 s0, 0x7fff
	v_add3_u32 v7, v6, v7, s0
	v_cmp_o_f32_e32 vcc, v6, v6
	v_mov_b32_e32 v6, 0x7fc0
	s_mov_b64 s[0:1], 0
	v_cndmask_b32_sdwa v6, v6, v7, vcc dst_sel:DWORD dst_unused:UNUSED_PAD src0_sel:DWORD src1_sel:WORD_1
	global_store_short v[4:5], v6, off
.LBB131_899:
	s_mov_b64 s[6:7], 0
.LBB131_900:
	s_and_b64 vcc, exec, s[6:7]
	s_cbranch_vccz .LBB131_902
; %bb.901:
	s_cmp_lg_u32 s13, 11
	s_mov_b64 s[4:5], -1
	s_cselect_b64 s[0:1], -1, 0
.LBB131_902:
	s_and_b64 vcc, exec, s[0:1]
	s_cbranch_vccnz .LBB131_1006
.LBB131_903:
	s_mov_b64 s[0:1], 0
	s_branch .LBB131_944
.LBB131_904:
	s_mov_b64 s[6:7], 0
	s_cbranch_execz .LBB131_827
; %bb.905:
	s_and_b32 s4, 0xffff, s12
	s_cmp_lt_i32 s4, 5
	s_mov_b64 s[0:1], -1
	s_cbranch_scc1 .LBB131_926
; %bb.906:
	s_cmp_lt_i32 s4, 8
	s_cbranch_scc1 .LBB131_916
; %bb.907:
	s_cmp_lt_i32 s4, 9
	s_cbranch_scc1 .LBB131_913
; %bb.908:
	s_cmp_gt_i32 s4, 9
	s_cbranch_scc0 .LBB131_910
; %bb.909:
	global_store_dwordx4 v[6:7], v[40:43], off
	s_mov_b64 s[0:1], 0
.LBB131_910:
	s_andn2_b64 vcc, exec, s[0:1]
	s_cbranch_vccnz .LBB131_912
; %bb.911:
	v_cvt_f32_f64_e32 v9, v[42:43]
	v_cvt_f32_f64_e32 v8, v[40:41]
	global_store_dwordx2 v[6:7], v[8:9], off
.LBB131_912:
	s_mov_b64 s[0:1], 0
.LBB131_913:
	s_andn2_b64 vcc, exec, s[0:1]
	s_cbranch_vccnz .LBB131_915
; %bb.914:
	s_movk_i32 s0, 0x1ff
	v_and_or_b32 v5, v41, s0, v40
	v_cmp_ne_u32_e32 vcc, 0, v5
	v_lshrrev_b32_e32 v8, 8, v41
	s_movk_i32 s1, 0xffe
	v_cndmask_b32_e64 v5, 0, 1, vcc
	v_bfe_u32 v9, v41, 20, 11
	v_and_or_b32 v5, v8, s1, v5
	v_sub_u32_e32 v10, 0x3f1, v9
	v_or_b32_e32 v8, 0x1000, v5
	v_med3_i32 v10, v10, 0, 13
	v_lshrrev_b32_e32 v11, v10, v8
	v_lshlrev_b32_e32 v10, v10, v11
	v_cmp_ne_u32_e32 vcc, v10, v8
	v_add_u32_e32 v9, 0xfffffc10, v9
	v_lshl_or_b32 v10, v9, 12, v5
	v_cndmask_b32_e64 v8, 0, 1, vcc
	v_or_b32_e32 v8, v11, v8
	v_cmp_gt_i32_e32 vcc, 1, v9
	s_movk_i32 s5, 0x40f
	v_lshrrev_b32_e32 v12, 8, v43
	v_cndmask_b32_e32 v8, v10, v8, vcc
	v_and_b32_e32 v10, 7, v8
	v_cmp_lt_i32_e32 vcc, 5, v10
	v_lshrrev_b32_e32 v8, 2, v8
	v_bfe_u32 v13, v43, 20, 11
	v_cndmask_b32_e64 v11, 0, 1, vcc
	v_cmp_eq_u32_e32 vcc, 3, v10
	v_sub_u32_e32 v14, 0x3f1, v13
	v_med3_i32 v14, v14, 0, 13
	v_cndmask_b32_e64 v10, 0, 1, vcc
	v_or_b32_e32 v10, v10, v11
	v_add_u32_e32 v8, v8, v10
	v_mov_b32_e32 v10, 0x7c00
	v_cmp_gt_i32_e32 vcc, 31, v9
	v_mov_b32_e32 v11, 0x7e00
	v_add_u32_e32 v13, 0xfffffc10, v13
	v_cndmask_b32_e32 v8, v10, v8, vcc
	v_cmp_ne_u32_e32 vcc, 0, v5
	s_mov_b32 s6, 0x8000
	s_nop 0
	v_cndmask_b32_e32 v5, v10, v11, vcc
	v_cmp_eq_u32_e32 vcc, s5, v9
	v_and_or_b32 v9, v43, s0, v42
	s_mov_b32 s0, 0xffff
	v_cndmask_b32_e32 v5, v8, v5, vcc
	v_cmp_ne_u32_e32 vcc, 0, v9
	v_and_b32_sdwa v8, v41, s6 dst_sel:DWORD dst_unused:UNUSED_PAD src0_sel:WORD_1 src1_sel:DWORD
	v_bitop3_b32 v5, v8, s0, v5 bitop3:0xc8
	v_cndmask_b32_e64 v9, 0, 1, vcc
	v_and_or_b32 v9, v12, s1, v9
	v_or_b32_e32 v12, 0x1000, v9
	v_lshrrev_b32_e32 v15, v14, v12
	v_lshlrev_b32_e32 v14, v14, v15
	v_cmp_ne_u32_e32 vcc, v14, v12
	v_lshl_or_b32 v14, v13, 12, v9
	s_nop 0
	v_cndmask_b32_e64 v12, 0, 1, vcc
	v_or_b32_e32 v12, v15, v12
	v_cmp_gt_i32_e32 vcc, 1, v13
	s_nop 1
	v_cndmask_b32_e32 v12, v14, v12, vcc
	v_and_b32_e32 v14, 7, v12
	v_cmp_lt_i32_e32 vcc, 5, v14
	v_lshrrev_b32_e32 v12, 2, v12
	s_nop 0
	v_cndmask_b32_e64 v15, 0, 1, vcc
	v_cmp_eq_u32_e32 vcc, 3, v14
	s_nop 1
	v_cndmask_b32_e64 v14, 0, 1, vcc
	v_or_b32_e32 v14, v14, v15
	v_add_u32_e32 v12, v12, v14
	v_cmp_gt_i32_e32 vcc, 31, v13
	s_nop 1
	v_cndmask_b32_e32 v12, v10, v12, vcc
	v_cmp_ne_u32_e32 vcc, 0, v9
	s_nop 1
	v_cndmask_b32_e32 v9, v10, v11, vcc
	v_cmp_eq_u32_e32 vcc, s5, v13
	v_lshrrev_b32_e32 v10, 16, v43
	s_nop 0
	v_cndmask_b32_e32 v9, v12, v9, vcc
	v_and_or_b32 v9, v10, s6, v9
	v_lshl_or_b32 v5, v9, 16, v5
	global_store_dword v[6:7], v5, off
.LBB131_915:
	s_mov_b64 s[0:1], 0
.LBB131_916:
	s_andn2_b64 vcc, exec, s[0:1]
	s_cbranch_vccnz .LBB131_925
; %bb.917:
	s_cmp_lt_i32 s4, 6
	s_mov_b64 s[0:1], -1
	s_cbranch_scc1 .LBB131_923
; %bb.918:
	s_cmp_gt_i32 s4, 6
	s_cbranch_scc0 .LBB131_920
; %bb.919:
	global_store_dwordx2 v[6:7], v[40:41], off
	s_mov_b64 s[0:1], 0
.LBB131_920:
	s_andn2_b64 vcc, exec, s[0:1]
	s_cbranch_vccnz .LBB131_922
; %bb.921:
	v_cvt_f32_f64_e32 v5, v[40:41]
	global_store_dword v[6:7], v5, off
.LBB131_922:
	s_mov_b64 s[0:1], 0
.LBB131_923:
	s_andn2_b64 vcc, exec, s[0:1]
	s_cbranch_vccnz .LBB131_925
; %bb.924:
	s_movk_i32 s0, 0x1ff
	v_and_or_b32 v5, v41, s0, v40
	v_cmp_ne_u32_e32 vcc, 0, v5
	v_lshrrev_b32_e32 v8, 8, v41
	s_movk_i32 s0, 0xffe
	v_cndmask_b32_e64 v5, 0, 1, vcc
	v_bfe_u32 v9, v41, 20, 11
	v_and_or_b32 v5, v8, s0, v5
	v_sub_u32_e32 v10, 0x3f1, v9
	v_or_b32_e32 v8, 0x1000, v5
	v_med3_i32 v10, v10, 0, 13
	v_lshrrev_b32_e32 v11, v10, v8
	v_lshlrev_b32_e32 v10, v10, v11
	v_cmp_ne_u32_e32 vcc, v10, v8
	v_add_u32_e32 v9, 0xfffffc10, v9
	v_lshl_or_b32 v10, v9, 12, v5
	v_cndmask_b32_e64 v8, 0, 1, vcc
	v_or_b32_e32 v8, v11, v8
	v_cmp_gt_i32_e32 vcc, 1, v9
	s_movk_i32 s0, 0x40f
	s_nop 0
	v_cndmask_b32_e32 v8, v10, v8, vcc
	v_and_b32_e32 v10, 7, v8
	v_cmp_lt_i32_e32 vcc, 5, v10
	v_lshrrev_b32_e32 v8, 2, v8
	s_nop 0
	v_cndmask_b32_e64 v11, 0, 1, vcc
	v_cmp_eq_u32_e32 vcc, 3, v10
	s_nop 1
	v_cndmask_b32_e64 v10, 0, 1, vcc
	v_or_b32_e32 v10, v10, v11
	v_add_u32_e32 v8, v8, v10
	v_mov_b32_e32 v10, 0x7c00
	v_cmp_gt_i32_e32 vcc, 31, v9
	v_mov_b32_e32 v11, 0x7e00
	s_nop 0
	v_cndmask_b32_e32 v8, v10, v8, vcc
	v_cmp_ne_u32_e32 vcc, 0, v5
	s_nop 1
	v_cndmask_b32_e32 v5, v10, v11, vcc
	v_cmp_eq_u32_e32 vcc, s0, v9
	s_mov_b32 s0, 0x8000
	s_nop 0
	v_cndmask_b32_e32 v5, v8, v5, vcc
	v_lshrrev_b32_e32 v8, 16, v41
	v_and_or_b32 v5, v8, s0, v5
	global_store_short v[6:7], v5, off
.LBB131_925:
	s_mov_b64 s[0:1], 0
.LBB131_926:
	s_andn2_b64 vcc, exec, s[0:1]
	s_cbranch_vccnz .LBB131_942
; %bb.927:
	s_cmp_lt_i32 s4, 2
	s_mov_b64 s[0:1], -1
	s_cbranch_scc1 .LBB131_937
; %bb.928:
	s_cmp_lt_i32 s4, 3
	s_cbranch_scc1 .LBB131_934
; %bb.929:
	s_cmp_gt_i32 s4, 3
	s_cbranch_scc0 .LBB131_931
; %bb.930:
	v_trunc_f64_e32 v[8:9], v[40:41]
	s_movk_i32 s0, 0xffe0
	v_ldexp_f64 v[10:11], v[8:9], s0
	v_floor_f64_e32 v[10:11], v[10:11]
	v_fmac_f64_e32 v[8:9], 0xc1f00000, v[10:11]
	v_cvt_i32_f64_e32 v13, v[10:11]
	v_cvt_u32_f64_e32 v12, v[8:9]
	global_store_dwordx2 v[6:7], v[12:13], off
	s_mov_b64 s[0:1], 0
.LBB131_931:
	s_andn2_b64 vcc, exec, s[0:1]
	s_cbranch_vccnz .LBB131_933
; %bb.932:
	v_cvt_i32_f64_e32 v5, v[40:41]
	global_store_dword v[6:7], v5, off
.LBB131_933:
	s_mov_b64 s[0:1], 0
.LBB131_934:
	s_andn2_b64 vcc, exec, s[0:1]
	s_cbranch_vccnz .LBB131_936
; %bb.935:
	v_cvt_i32_f64_e32 v5, v[40:41]
	global_store_short v[6:7], v5, off
.LBB131_936:
	s_mov_b64 s[0:1], 0
.LBB131_937:
	s_andn2_b64 vcc, exec, s[0:1]
	s_cbranch_vccnz .LBB131_942
; %bb.938:
	s_cmp_gt_i32 s4, 0
	s_mov_b64 s[0:1], -1
	s_cbranch_scc0 .LBB131_940
; %bb.939:
	v_cvt_i32_f64_e32 v5, v[40:41]
	global_store_byte v[6:7], v5, off
	s_mov_b64 s[0:1], 0
.LBB131_940:
	s_andn2_b64 vcc, exec, s[0:1]
	s_cbranch_vccnz .LBB131_942
; %bb.941:
	v_trunc_f64_e32 v[8:9], v[40:41]
	s_movk_i32 s0, 0xffe0
	v_ldexp_f64 v[10:11], v[8:9], s0
	v_floor_f64_e32 v[10:11], v[10:11]
	v_fmac_f64_e32 v[8:9], 0xc1f00000, v[10:11]
	v_cvt_u32_f64_e32 v5, v[8:9]
	global_store_byte v[6:7], v5, off
.LBB131_942:
	s_branch .LBB131_828
.LBB131_943:
	s_mov_b64 s[0:1], 0
	s_mov_b64 s[4:5], 0
                                        ; implicit-def: $sgpr12
                                        ; implicit-def: $vgpr2_vgpr3
                                        ; implicit-def: $vgpr4_vgpr5
.LBB131_944:
	s_and_b64 s[6:7], s[0:1], exec
	s_andn2_b64 s[0:1], s[40:41], exec
	s_and_b64 s[2:3], s[2:3], exec
	s_and_b64 s[28:29], s[4:5], exec
	s_or_b64 s[40:41], s[0:1], s[2:3]
.LBB131_945:
	s_or_b64 exec, exec, s[34:35]
	s_and_saveexec_b64 s[0:1], s[40:41]
	s_cbranch_execz .LBB131_948
; %bb.946:
	; divergent unreachable
	s_or_b64 exec, exec, s[0:1]
	s_and_saveexec_b64 s[0:1], s[28:29]
	s_xor_b64 s[2:3], exec, s[0:1]
	s_cbranch_execnz .LBB131_949
.LBB131_947:
	s_or_b64 exec, exec, s[2:3]
	s_and_saveexec_b64 s[0:1], s[6:7]
	s_cbranch_execnz .LBB131_950
	s_branch .LBB131_987
.LBB131_948:
	s_or_b64 exec, exec, s[0:1]
	s_and_saveexec_b64 s[0:1], s[28:29]
	s_xor_b64 s[2:3], exec, s[0:1]
	s_cbranch_execz .LBB131_947
.LBB131_949:
	v_cmp_neq_f64_e32 vcc, 0, v[0:1]
	v_cmp_neq_f64_e64 s[0:1], 0, v[2:3]
	s_or_b64 s[0:1], vcc, s[0:1]
	s_nop 0
	v_cndmask_b32_e64 v6, 0, 1, s[0:1]
	global_store_byte v[4:5], v6, off
	s_or_b64 exec, exec, s[2:3]
	s_and_saveexec_b64 s[0:1], s[6:7]
	s_cbranch_execz .LBB131_987
.LBB131_950:
	s_sext_i32_i16 s2, s12
	s_cmp_lt_i32 s2, 5
	s_mov_b64 s[0:1], -1
	s_cbranch_scc1 .LBB131_971
; %bb.951:
	s_cmp_lt_i32 s2, 8
	s_cbranch_scc1 .LBB131_961
; %bb.952:
	s_cmp_lt_i32 s2, 9
	s_cbranch_scc1 .LBB131_958
; %bb.953:
	s_cmp_gt_i32 s2, 9
	s_cbranch_scc0 .LBB131_955
; %bb.954:
	global_store_dwordx4 v[4:5], v[0:3], off
	s_mov_b64 s[0:1], 0
.LBB131_955:
	s_andn2_b64 vcc, exec, s[0:1]
	s_cbranch_vccnz .LBB131_957
; %bb.956:
	v_cvt_f32_f64_e32 v7, v[2:3]
	v_cvt_f32_f64_e32 v6, v[0:1]
	global_store_dwordx2 v[4:5], v[6:7], off
.LBB131_957:
	s_mov_b64 s[0:1], 0
.LBB131_958:
	s_andn2_b64 vcc, exec, s[0:1]
	s_cbranch_vccnz .LBB131_960
; %bb.959:
	s_movk_i32 s0, 0x1ff
	v_and_or_b32 v6, v1, s0, v0
	v_cmp_ne_u32_e32 vcc, 0, v6
	v_lshrrev_b32_e32 v7, 8, v1
	s_movk_i32 s1, 0xffe
	v_cndmask_b32_e64 v6, 0, 1, vcc
	v_bfe_u32 v8, v1, 20, 11
	v_and_or_b32 v6, v7, s1, v6
	v_sub_u32_e32 v9, 0x3f1, v8
	v_or_b32_e32 v7, 0x1000, v6
	v_med3_i32 v9, v9, 0, 13
	v_lshrrev_b32_e32 v10, v9, v7
	v_lshlrev_b32_e32 v9, v9, v10
	v_cmp_ne_u32_e32 vcc, v9, v7
	v_add_u32_e32 v8, 0xfffffc10, v8
	v_lshl_or_b32 v9, v8, 12, v6
	v_cndmask_b32_e64 v7, 0, 1, vcc
	v_or_b32_e32 v7, v10, v7
	v_cmp_gt_i32_e32 vcc, 1, v8
	s_movk_i32 s2, 0x40f
	v_and_or_b32 v2, v3, s0, v2
	v_cndmask_b32_e32 v7, v9, v7, vcc
	v_and_b32_e32 v9, 7, v7
	v_cmp_lt_i32_e32 vcc, 5, v9
	v_lshrrev_b32_e32 v7, 2, v7
	v_bfe_u32 v11, v3, 20, 11
	v_cndmask_b32_e64 v10, 0, 1, vcc
	v_cmp_eq_u32_e32 vcc, 3, v9
	v_sub_u32_e32 v12, 0x3f1, v11
	v_med3_i32 v12, v12, 0, 13
	v_cndmask_b32_e64 v9, 0, 1, vcc
	v_or_b32_e32 v9, v9, v10
	v_add_u32_e32 v7, v7, v9
	v_mov_b32_e32 v9, 0x7c00
	v_cmp_gt_i32_e32 vcc, 31, v8
	v_mov_b32_e32 v10, 0x7e00
	v_add_u32_e32 v11, 0xfffffc10, v11
	v_cndmask_b32_e32 v7, v9, v7, vcc
	v_cmp_ne_u32_e32 vcc, 0, v6
	s_mov_b32 s3, 0x8000
	s_mov_b32 s0, 0xffff
	v_cndmask_b32_e32 v6, v9, v10, vcc
	v_cmp_eq_u32_e32 vcc, s2, v8
	v_lshrrev_b32_e32 v8, 8, v3
	v_lshrrev_b32_e32 v3, 16, v3
	v_cndmask_b32_e32 v6, v7, v6, vcc
	v_cmp_ne_u32_e32 vcc, 0, v2
	v_and_b32_sdwa v7, v1, s3 dst_sel:DWORD dst_unused:UNUSED_PAD src0_sel:WORD_1 src1_sel:DWORD
	s_nop 0
	v_cndmask_b32_e64 v2, 0, 1, vcc
	v_and_or_b32 v2, v8, s1, v2
	v_or_b32_e32 v8, 0x1000, v2
	v_lshrrev_b32_e32 v13, v12, v8
	v_lshlrev_b32_e32 v12, v12, v13
	v_cmp_ne_u32_e32 vcc, v12, v8
	v_lshl_or_b32 v12, v11, 12, v2
	s_nop 0
	v_cndmask_b32_e64 v8, 0, 1, vcc
	v_or_b32_e32 v8, v13, v8
	v_cmp_gt_i32_e32 vcc, 1, v11
	s_nop 1
	v_cndmask_b32_e32 v8, v12, v8, vcc
	v_and_b32_e32 v12, 7, v8
	v_cmp_lt_i32_e32 vcc, 5, v12
	v_lshrrev_b32_e32 v8, 2, v8
	s_nop 0
	v_cndmask_b32_e64 v13, 0, 1, vcc
	v_cmp_eq_u32_e32 vcc, 3, v12
	s_nop 1
	v_cndmask_b32_e64 v12, 0, 1, vcc
	v_or_b32_e32 v12, v12, v13
	v_add_u32_e32 v8, v8, v12
	v_cmp_gt_i32_e32 vcc, 31, v11
	s_nop 1
	v_cndmask_b32_e32 v8, v9, v8, vcc
	v_cmp_ne_u32_e32 vcc, 0, v2
	s_nop 1
	v_cndmask_b32_e32 v2, v9, v10, vcc
	v_cmp_eq_u32_e32 vcc, s2, v11
	s_nop 1
	v_cndmask_b32_e32 v2, v8, v2, vcc
	v_and_or_b32 v2, v3, s3, v2
	v_bitop3_b32 v3, v7, s0, v6 bitop3:0xc8
	v_lshl_or_b32 v2, v2, 16, v3
	global_store_dword v[4:5], v2, off
.LBB131_960:
	s_mov_b64 s[0:1], 0
.LBB131_961:
	s_andn2_b64 vcc, exec, s[0:1]
	s_cbranch_vccnz .LBB131_970
; %bb.962:
	s_sext_i32_i16 s2, s12
	s_cmp_lt_i32 s2, 6
	s_mov_b64 s[0:1], -1
	s_cbranch_scc1 .LBB131_968
; %bb.963:
	s_cmp_gt_i32 s2, 6
	s_cbranch_scc0 .LBB131_965
; %bb.964:
	global_store_dwordx2 v[4:5], v[0:1], off
	s_mov_b64 s[0:1], 0
.LBB131_965:
	s_andn2_b64 vcc, exec, s[0:1]
	s_cbranch_vccnz .LBB131_967
; %bb.966:
	v_cvt_f32_f64_e32 v2, v[0:1]
	global_store_dword v[4:5], v2, off
.LBB131_967:
	s_mov_b64 s[0:1], 0
.LBB131_968:
	s_andn2_b64 vcc, exec, s[0:1]
	s_cbranch_vccnz .LBB131_970
; %bb.969:
	s_movk_i32 s0, 0x1ff
	v_and_or_b32 v2, v1, s0, v0
	v_cmp_ne_u32_e32 vcc, 0, v2
	v_lshrrev_b32_e32 v3, 8, v1
	s_movk_i32 s0, 0xffe
	v_cndmask_b32_e64 v2, 0, 1, vcc
	v_bfe_u32 v6, v1, 20, 11
	v_and_or_b32 v2, v3, s0, v2
	v_sub_u32_e32 v7, 0x3f1, v6
	v_or_b32_e32 v3, 0x1000, v2
	v_med3_i32 v7, v7, 0, 13
	v_lshrrev_b32_e32 v8, v7, v3
	v_lshlrev_b32_e32 v7, v7, v8
	v_cmp_ne_u32_e32 vcc, v7, v3
	v_add_u32_e32 v6, 0xfffffc10, v6
	v_lshl_or_b32 v7, v6, 12, v2
	v_cndmask_b32_e64 v3, 0, 1, vcc
	v_or_b32_e32 v3, v8, v3
	v_cmp_gt_i32_e32 vcc, 1, v6
	s_movk_i32 s0, 0x40f
	s_nop 0
	v_cndmask_b32_e32 v3, v7, v3, vcc
	v_and_b32_e32 v7, 7, v3
	v_cmp_lt_i32_e32 vcc, 5, v7
	v_lshrrev_b32_e32 v3, 2, v3
	s_nop 0
	v_cndmask_b32_e64 v8, 0, 1, vcc
	v_cmp_eq_u32_e32 vcc, 3, v7
	s_nop 1
	v_cndmask_b32_e64 v7, 0, 1, vcc
	v_or_b32_e32 v7, v7, v8
	v_add_u32_e32 v3, v3, v7
	v_mov_b32_e32 v7, 0x7c00
	v_cmp_gt_i32_e32 vcc, 31, v6
	v_mov_b32_e32 v8, 0x7e00
	s_nop 0
	v_cndmask_b32_e32 v3, v7, v3, vcc
	v_cmp_ne_u32_e32 vcc, 0, v2
	s_nop 1
	v_cndmask_b32_e32 v2, v7, v8, vcc
	v_cmp_eq_u32_e32 vcc, s0, v6
	s_mov_b32 s0, 0x8000
	s_nop 0
	v_cndmask_b32_e32 v2, v3, v2, vcc
	v_lshrrev_b32_e32 v3, 16, v1
	v_and_or_b32 v2, v3, s0, v2
	global_store_short v[4:5], v2, off
.LBB131_970:
	s_mov_b64 s[0:1], 0
.LBB131_971:
	s_andn2_b64 vcc, exec, s[0:1]
	s_cbranch_vccnz .LBB131_987
; %bb.972:
	s_sext_i32_i16 s2, s12
	s_cmp_lt_i32 s2, 2
	s_mov_b64 s[0:1], -1
	s_cbranch_scc1 .LBB131_982
; %bb.973:
	s_cmp_lt_i32 s2, 3
	s_cbranch_scc1 .LBB131_979
; %bb.974:
	s_cmp_gt_i32 s2, 3
	s_cbranch_scc0 .LBB131_976
; %bb.975:
	v_trunc_f64_e32 v[2:3], v[0:1]
	s_movk_i32 s0, 0xffe0
	v_ldexp_f64 v[6:7], v[2:3], s0
	v_floor_f64_e32 v[6:7], v[6:7]
	v_fmac_f64_e32 v[2:3], 0xc1f00000, v[6:7]
	v_cvt_i32_f64_e32 v9, v[6:7]
	v_cvt_u32_f64_e32 v8, v[2:3]
	global_store_dwordx2 v[4:5], v[8:9], off
	s_mov_b64 s[0:1], 0
.LBB131_976:
	s_andn2_b64 vcc, exec, s[0:1]
	s_cbranch_vccnz .LBB131_978
; %bb.977:
	v_cvt_i32_f64_e32 v2, v[0:1]
	global_store_dword v[4:5], v2, off
.LBB131_978:
	s_mov_b64 s[0:1], 0
.LBB131_979:
	s_andn2_b64 vcc, exec, s[0:1]
	s_cbranch_vccnz .LBB131_981
; %bb.980:
	v_cvt_i32_f64_e32 v2, v[0:1]
	global_store_short v[4:5], v2, off
.LBB131_981:
	s_mov_b64 s[0:1], 0
.LBB131_982:
	s_andn2_b64 vcc, exec, s[0:1]
	s_cbranch_vccnz .LBB131_987
; %bb.983:
	s_sext_i32_i16 s0, s12
	s_cmp_gt_i32 s0, 0
	s_mov_b64 s[0:1], -1
	s_cbranch_scc0 .LBB131_985
; %bb.984:
	v_cvt_i32_f64_e32 v2, v[0:1]
	global_store_byte v[4:5], v2, off
	s_mov_b64 s[0:1], 0
.LBB131_985:
	s_andn2_b64 vcc, exec, s[0:1]
	s_cbranch_vccnz .LBB131_987
; %bb.986:
	v_trunc_f64_e32 v[0:1], v[0:1]
	s_movk_i32 s0, 0xffe0
	v_ldexp_f64 v[2:3], v[0:1], s0
	v_floor_f64_e32 v[2:3], v[2:3]
	v_fmac_f64_e32 v[0:1], 0xc1f00000, v[2:3]
	v_cvt_u32_f64_e32 v0, v[0:1]
	global_store_byte v[4:5], v0, off
	s_endpgm
.LBB131_987:
	s_endpgm
.LBB131_988:
	s_mov_b64 s[4:5], 0
	s_mov_b64 s[0:1], -1
	s_branch .LBB131_944
.LBB131_989:
	s_andn2_saveexec_b64 s[8:9], s[8:9]
	s_cbranch_execz .LBB131_541
.LBB131_990:
	s_mov_b32 s11, 0x46000000
	v_add_f32_e64 v8, |v5|, s11
	v_and_b32_e32 v8, 0xff, v8
	v_cmp_ne_u32_e32 vcc, 0, v8
	s_andn2_b64 s[6:7], s[6:7], exec
	s_and_b64 s[14:15], vcc, exec
	s_or_b64 s[6:7], s[6:7], s[14:15]
	s_or_b64 exec, exec, s[8:9]
	v_mov_b32_e32 v9, 0
	s_and_saveexec_b64 s[8:9], s[6:7]
	s_cbranch_execnz .LBB131_542
	s_branch .LBB131_543
.LBB131_991:
	s_or_b64 s[2:3], s[40:41], exec
	s_trap 2
	s_cbranch_execz .LBB131_589
	s_branch .LBB131_590
.LBB131_992:
	s_andn2_saveexec_b64 s[6:7], s[6:7]
	s_cbranch_execz .LBB131_554
.LBB131_993:
	s_mov_b32 s8, 0x42800000
	v_add_f32_e64 v8, |v5|, s8
	v_and_b32_e32 v8, 0xff, v8
	v_cmp_ne_u32_e32 vcc, 0, v8
	s_andn2_b64 s[4:5], s[4:5], exec
	s_and_b64 s[8:9], vcc, exec
	s_or_b64 s[4:5], s[4:5], s[8:9]
	s_or_b64 exec, exec, s[6:7]
	v_mov_b32_e32 v9, 0
	s_and_saveexec_b64 s[6:7], s[4:5]
	s_cbranch_execnz .LBB131_555
	s_branch .LBB131_556
.LBB131_994:
	s_andn2_saveexec_b64 s[10:11], s[10:11]
	s_cbranch_execz .LBB131_659
.LBB131_995:
	s_mov_b32 s15, 0x46000000
	v_add_f32_e64 v8, |v5|, s15
	v_and_b32_e32 v8, 0xff, v8
	v_cmp_ne_u32_e32 vcc, 0, v8
	s_andn2_b64 s[8:9], s[8:9], exec
	s_and_b64 s[16:17], vcc, exec
	s_or_b64 s[8:9], s[8:9], s[16:17]
	s_or_b64 exec, exec, s[10:11]
	v_mov_b32_e32 v9, 0
	s_and_saveexec_b64 s[10:11], s[8:9]
	s_cbranch_execnz .LBB131_660
	s_branch .LBB131_661
.LBB131_996:
	s_trap 2
	s_or_b64 s[2:3], s[2:3], exec
	s_cbranch_execz .LBB131_707
	s_branch .LBB131_708
.LBB131_997:
	s_andn2_saveexec_b64 s[8:9], s[8:9]
	s_cbranch_execz .LBB131_672
.LBB131_998:
	s_mov_b32 s10, 0x42800000
	v_add_f32_e64 v8, |v5|, s10
	v_and_b32_e32 v8, 0xff, v8
	v_cmp_ne_u32_e32 vcc, 0, v8
	s_andn2_b64 s[6:7], s[6:7], exec
	s_and_b64 s[10:11], vcc, exec
	s_or_b64 s[6:7], s[6:7], s[10:11]
	s_or_b64 exec, exec, s[8:9]
	v_mov_b32_e32 v9, 0
	s_and_saveexec_b64 s[8:9], s[6:7]
	s_cbranch_execnz .LBB131_673
	s_branch .LBB131_674
.LBB131_999:
	s_andn2_saveexec_b64 s[10:11], s[10:11]
	s_cbranch_execz .LBB131_777
.LBB131_1000:
	s_mov_b32 s15, 0x46000000
	v_add_f32_e64 v8, |v5|, s15
	v_and_b32_e32 v8, 0xff, v8
	v_cmp_ne_u32_e32 vcc, 0, v8
	s_andn2_b64 s[8:9], s[8:9], exec
	s_and_b64 s[16:17], vcc, exec
	s_or_b64 s[8:9], s[8:9], s[16:17]
	s_or_b64 exec, exec, s[10:11]
	v_mov_b32_e32 v9, 0
	s_and_saveexec_b64 s[10:11], s[8:9]
	s_cbranch_execnz .LBB131_778
	s_branch .LBB131_779
.LBB131_1001:
	s_trap 2
	s_or_b64 s[2:3], s[2:3], exec
	s_cbranch_execz .LBB131_825
	s_branch .LBB131_826
.LBB131_1002:
	s_andn2_saveexec_b64 s[8:9], s[8:9]
	s_cbranch_execz .LBB131_790
.LBB131_1003:
	s_mov_b32 s10, 0x42800000
	v_add_f32_e64 v8, |v5|, s10
	v_and_b32_e32 v8, 0xff, v8
	v_cmp_ne_u32_e32 vcc, 0, v8
	s_andn2_b64 s[6:7], s[6:7], exec
	s_and_b64 s[10:11], vcc, exec
	s_or_b64 s[6:7], s[6:7], s[10:11]
	s_or_b64 exec, exec, s[8:9]
	v_mov_b32_e32 v9, 0
	s_and_saveexec_b64 s[8:9], s[6:7]
	s_cbranch_execnz .LBB131_791
	s_branch .LBB131_792
.LBB131_1004:
	s_andn2_saveexec_b64 s[10:11], s[10:11]
	s_cbranch_execz .LBB131_857
.LBB131_1005:
	s_mov_b32 s14, 0x46000000
	v_add_f32_e64 v7, |v6|, s14
	v_and_b32_e32 v7, 0xff, v7
	v_cmp_ne_u32_e32 vcc, 0, v7
	s_andn2_b64 s[8:9], s[8:9], exec
	s_and_b64 s[14:15], vcc, exec
	s_or_b64 s[8:9], s[8:9], s[14:15]
	s_or_b64 exec, exec, s[10:11]
	v_mov_b32_e32 v8, 0
	s_and_saveexec_b64 s[10:11], s[8:9]
	s_cbranch_execnz .LBB131_858
	s_branch .LBB131_859
.LBB131_1006:
	s_mov_b64 s[4:5], 0
	s_or_b64 s[2:3], s[2:3], exec
	s_trap 2
	s_branch .LBB131_903
.LBB131_1007:
	s_andn2_saveexec_b64 s[6:7], s[6:7]
	s_cbranch_execz .LBB131_422
.LBB131_1008:
	s_mov_b32 s8, 0x46000000
	v_add_f32_e64 v7, |v6|, s8
	v_and_b32_e32 v7, 0xff, v7
	v_cmp_ne_u32_e32 vcc, 0, v7
	s_andn2_b64 s[4:5], s[4:5], exec
	s_and_b64 s[8:9], vcc, exec
	s_or_b64 s[4:5], s[4:5], s[8:9]
	s_or_b64 exec, exec, s[6:7]
	v_mov_b32_e32 v8, 0
	s_and_saveexec_b64 s[6:7], s[4:5]
	s_cbranch_execnz .LBB131_423
	s_branch .LBB131_424
.LBB131_1009:
	s_andn2_saveexec_b64 s[8:9], s[8:9]
	s_cbranch_execz .LBB131_869
.LBB131_1010:
	s_mov_b32 s10, 0x42800000
	v_add_f32_e64 v7, |v6|, s10
	v_and_b32_e32 v7, 0xff, v7
	v_cmp_ne_u32_e32 vcc, 0, v7
	s_andn2_b64 s[6:7], s[6:7], exec
	s_and_b64 s[10:11], vcc, exec
	s_or_b64 s[6:7], s[6:7], s[10:11]
	s_or_b64 exec, exec, s[8:9]
	v_mov_b32_e32 v8, 0
	s_and_saveexec_b64 s[8:9], s[6:7]
	s_cbranch_execnz .LBB131_870
	s_branch .LBB131_871
.LBB131_1011:
	s_andn2_saveexec_b64 s[8:9], s[8:9]
	s_cbranch_execz .LBB131_434
.LBB131_1012:
	s_mov_b32 s12, 0x42800000
	v_add_f32_e64 v7, |v6|, s12
	v_and_b32_e32 v7, 0xff, v7
	v_cmp_ne_u32_e32 vcc, 0, v7
	s_andn2_b64 s[6:7], s[6:7], exec
	s_and_b64 s[12:13], vcc, exec
	s_or_b64 s[6:7], s[6:7], s[12:13]
	s_or_b64 exec, exec, s[8:9]
	v_mov_b32_e32 v8, 0
	s_and_saveexec_b64 s[8:9], s[6:7]
	s_cbranch_execnz .LBB131_435
	s_branch .LBB131_436
	.section	.rodata,"a",@progbits
	.p2align	6, 0x0
	.amdhsa_kernel _ZN2at6native32elementwise_kernel_manual_unrollILi128ELi4EZNS0_15gpu_kernel_implIZZZNS0_17expm1_kernel_cudaERNS_18TensorIteratorBaseEENKUlvE_clEvENKUlvE1_clEvEUlN3c107complexIdEEE_EEvS4_RKT_EUlibE_EEviT1_
		.amdhsa_group_segment_fixed_size 0
		.amdhsa_private_segment_fixed_size 0
		.amdhsa_kernarg_size 40
		.amdhsa_user_sgpr_count 2
		.amdhsa_user_sgpr_dispatch_ptr 0
		.amdhsa_user_sgpr_queue_ptr 0
		.amdhsa_user_sgpr_kernarg_segment_ptr 1
		.amdhsa_user_sgpr_dispatch_id 0
		.amdhsa_user_sgpr_kernarg_preload_length 0
		.amdhsa_user_sgpr_kernarg_preload_offset 0
		.amdhsa_user_sgpr_private_segment_size 0
		.amdhsa_uses_dynamic_stack 0
		.amdhsa_enable_private_segment 0
		.amdhsa_system_sgpr_workgroup_id_x 1
		.amdhsa_system_sgpr_workgroup_id_y 0
		.amdhsa_system_sgpr_workgroup_id_z 0
		.amdhsa_system_sgpr_workgroup_info 0
		.amdhsa_system_vgpr_workitem_id 0
		.amdhsa_next_free_vgpr 58
		.amdhsa_next_free_sgpr 54
		.amdhsa_accum_offset 60
		.amdhsa_reserve_vcc 1
		.amdhsa_float_round_mode_32 0
		.amdhsa_float_round_mode_16_64 0
		.amdhsa_float_denorm_mode_32 3
		.amdhsa_float_denorm_mode_16_64 3
		.amdhsa_dx10_clamp 1
		.amdhsa_ieee_mode 1
		.amdhsa_fp16_overflow 0
		.amdhsa_tg_split 0
		.amdhsa_exception_fp_ieee_invalid_op 0
		.amdhsa_exception_fp_denorm_src 0
		.amdhsa_exception_fp_ieee_div_zero 0
		.amdhsa_exception_fp_ieee_overflow 0
		.amdhsa_exception_fp_ieee_underflow 0
		.amdhsa_exception_fp_ieee_inexact 0
		.amdhsa_exception_int_div_zero 0
	.end_amdhsa_kernel
	.section	.text._ZN2at6native32elementwise_kernel_manual_unrollILi128ELi4EZNS0_15gpu_kernel_implIZZZNS0_17expm1_kernel_cudaERNS_18TensorIteratorBaseEENKUlvE_clEvENKUlvE1_clEvEUlN3c107complexIdEEE_EEvS4_RKT_EUlibE_EEviT1_,"axG",@progbits,_ZN2at6native32elementwise_kernel_manual_unrollILi128ELi4EZNS0_15gpu_kernel_implIZZZNS0_17expm1_kernel_cudaERNS_18TensorIteratorBaseEENKUlvE_clEvENKUlvE1_clEvEUlN3c107complexIdEEE_EEvS4_RKT_EUlibE_EEviT1_,comdat
.Lfunc_end131:
	.size	_ZN2at6native32elementwise_kernel_manual_unrollILi128ELi4EZNS0_15gpu_kernel_implIZZZNS0_17expm1_kernel_cudaERNS_18TensorIteratorBaseEENKUlvE_clEvENKUlvE1_clEvEUlN3c107complexIdEEE_EEvS4_RKT_EUlibE_EEviT1_, .Lfunc_end131-_ZN2at6native32elementwise_kernel_manual_unrollILi128ELi4EZNS0_15gpu_kernel_implIZZZNS0_17expm1_kernel_cudaERNS_18TensorIteratorBaseEENKUlvE_clEvENKUlvE1_clEvEUlN3c107complexIdEEE_EEvS4_RKT_EUlibE_EEviT1_
                                        ; -- End function
	.set _ZN2at6native32elementwise_kernel_manual_unrollILi128ELi4EZNS0_15gpu_kernel_implIZZZNS0_17expm1_kernel_cudaERNS_18TensorIteratorBaseEENKUlvE_clEvENKUlvE1_clEvEUlN3c107complexIdEEE_EEvS4_RKT_EUlibE_EEviT1_.num_vgpr, max(58, .L_ZN2at6native6invokeIZZZNS0_17expm1_kernel_cudaERNS_18TensorIteratorBaseEENKUlvE_clEvENKUlvE1_clEvEUlN3c107complexIdEEE_i15function_traitsIS9_EEENT1_11result_typeERKT_PrKPcPKT0_PKNS6_10ScalarTypeEi.num_vgpr)
	.set _ZN2at6native32elementwise_kernel_manual_unrollILi128ELi4EZNS0_15gpu_kernel_implIZZZNS0_17expm1_kernel_cudaERNS_18TensorIteratorBaseEENKUlvE_clEvENKUlvE1_clEvEUlN3c107complexIdEEE_EEvS4_RKT_EUlibE_EEviT1_.num_agpr, max(0, .L_ZN2at6native6invokeIZZZNS0_17expm1_kernel_cudaERNS_18TensorIteratorBaseEENKUlvE_clEvENKUlvE1_clEvEUlN3c107complexIdEEE_i15function_traitsIS9_EEENT1_11result_typeERKT_PrKPcPKT0_PKNS6_10ScalarTypeEi.num_agpr)
	.set _ZN2at6native32elementwise_kernel_manual_unrollILi128ELi4EZNS0_15gpu_kernel_implIZZZNS0_17expm1_kernel_cudaERNS_18TensorIteratorBaseEENKUlvE_clEvENKUlvE1_clEvEUlN3c107complexIdEEE_EEvS4_RKT_EUlibE_EEviT1_.numbered_sgpr, max(54, .L_ZN2at6native6invokeIZZZNS0_17expm1_kernel_cudaERNS_18TensorIteratorBaseEENKUlvE_clEvENKUlvE1_clEvEUlN3c107complexIdEEE_i15function_traitsIS9_EEENT1_11result_typeERKT_PrKPcPKT0_PKNS6_10ScalarTypeEi.numbered_sgpr)
	.set _ZN2at6native32elementwise_kernel_manual_unrollILi128ELi4EZNS0_15gpu_kernel_implIZZZNS0_17expm1_kernel_cudaERNS_18TensorIteratorBaseEENKUlvE_clEvENKUlvE1_clEvEUlN3c107complexIdEEE_EEvS4_RKT_EUlibE_EEviT1_.num_named_barrier, max(0, .L_ZN2at6native6invokeIZZZNS0_17expm1_kernel_cudaERNS_18TensorIteratorBaseEENKUlvE_clEvENKUlvE1_clEvEUlN3c107complexIdEEE_i15function_traitsIS9_EEENT1_11result_typeERKT_PrKPcPKT0_PKNS6_10ScalarTypeEi.num_named_barrier)
	.set _ZN2at6native32elementwise_kernel_manual_unrollILi128ELi4EZNS0_15gpu_kernel_implIZZZNS0_17expm1_kernel_cudaERNS_18TensorIteratorBaseEENKUlvE_clEvENKUlvE1_clEvEUlN3c107complexIdEEE_EEvS4_RKT_EUlibE_EEviT1_.private_seg_size, 0+max(.L_ZN2at6native6invokeIZZZNS0_17expm1_kernel_cudaERNS_18TensorIteratorBaseEENKUlvE_clEvENKUlvE1_clEvEUlN3c107complexIdEEE_i15function_traitsIS9_EEENT1_11result_typeERKT_PrKPcPKT0_PKNS6_10ScalarTypeEi.private_seg_size)
	.set _ZN2at6native32elementwise_kernel_manual_unrollILi128ELi4EZNS0_15gpu_kernel_implIZZZNS0_17expm1_kernel_cudaERNS_18TensorIteratorBaseEENKUlvE_clEvENKUlvE1_clEvEUlN3c107complexIdEEE_EEvS4_RKT_EUlibE_EEviT1_.uses_vcc, or(1, .L_ZN2at6native6invokeIZZZNS0_17expm1_kernel_cudaERNS_18TensorIteratorBaseEENKUlvE_clEvENKUlvE1_clEvEUlN3c107complexIdEEE_i15function_traitsIS9_EEENT1_11result_typeERKT_PrKPcPKT0_PKNS6_10ScalarTypeEi.uses_vcc)
	.set _ZN2at6native32elementwise_kernel_manual_unrollILi128ELi4EZNS0_15gpu_kernel_implIZZZNS0_17expm1_kernel_cudaERNS_18TensorIteratorBaseEENKUlvE_clEvENKUlvE1_clEvEUlN3c107complexIdEEE_EEvS4_RKT_EUlibE_EEviT1_.uses_flat_scratch, or(0, .L_ZN2at6native6invokeIZZZNS0_17expm1_kernel_cudaERNS_18TensorIteratorBaseEENKUlvE_clEvENKUlvE1_clEvEUlN3c107complexIdEEE_i15function_traitsIS9_EEENT1_11result_typeERKT_PrKPcPKT0_PKNS6_10ScalarTypeEi.uses_flat_scratch)
	.set _ZN2at6native32elementwise_kernel_manual_unrollILi128ELi4EZNS0_15gpu_kernel_implIZZZNS0_17expm1_kernel_cudaERNS_18TensorIteratorBaseEENKUlvE_clEvENKUlvE1_clEvEUlN3c107complexIdEEE_EEvS4_RKT_EUlibE_EEviT1_.has_dyn_sized_stack, or(0, .L_ZN2at6native6invokeIZZZNS0_17expm1_kernel_cudaERNS_18TensorIteratorBaseEENKUlvE_clEvENKUlvE1_clEvEUlN3c107complexIdEEE_i15function_traitsIS9_EEENT1_11result_typeERKT_PrKPcPKT0_PKNS6_10ScalarTypeEi.has_dyn_sized_stack)
	.set _ZN2at6native32elementwise_kernel_manual_unrollILi128ELi4EZNS0_15gpu_kernel_implIZZZNS0_17expm1_kernel_cudaERNS_18TensorIteratorBaseEENKUlvE_clEvENKUlvE1_clEvEUlN3c107complexIdEEE_EEvS4_RKT_EUlibE_EEviT1_.has_recursion, or(0, .L_ZN2at6native6invokeIZZZNS0_17expm1_kernel_cudaERNS_18TensorIteratorBaseEENKUlvE_clEvENKUlvE1_clEvEUlN3c107complexIdEEE_i15function_traitsIS9_EEENT1_11result_typeERKT_PrKPcPKT0_PKNS6_10ScalarTypeEi.has_recursion)
	.set _ZN2at6native32elementwise_kernel_manual_unrollILi128ELi4EZNS0_15gpu_kernel_implIZZZNS0_17expm1_kernel_cudaERNS_18TensorIteratorBaseEENKUlvE_clEvENKUlvE1_clEvEUlN3c107complexIdEEE_EEvS4_RKT_EUlibE_EEviT1_.has_indirect_call, or(0, .L_ZN2at6native6invokeIZZZNS0_17expm1_kernel_cudaERNS_18TensorIteratorBaseEENKUlvE_clEvENKUlvE1_clEvEUlN3c107complexIdEEE_i15function_traitsIS9_EEENT1_11result_typeERKT_PrKPcPKT0_PKNS6_10ScalarTypeEi.has_indirect_call)
	.section	.AMDGPU.csdata,"",@progbits
; Kernel info:
; codeLenInByte = 22896
; TotalNumSgprs: 60
; NumVgprs: 58
; NumAgprs: 0
; TotalNumVgprs: 58
; ScratchSize: 0
; MemoryBound: 0
; FloatMode: 240
; IeeeMode: 1
; LDSByteSize: 0 bytes/workgroup (compile time only)
; SGPRBlocks: 7
; VGPRBlocks: 7
; NumSGPRsForWavesPerEU: 60
; NumVGPRsForWavesPerEU: 58
; AccumOffset: 60
; Occupancy: 8
; WaveLimiterHint : 0
; COMPUTE_PGM_RSRC2:SCRATCH_EN: 0
; COMPUTE_PGM_RSRC2:USER_SGPR: 2
; COMPUTE_PGM_RSRC2:TRAP_HANDLER: 0
; COMPUTE_PGM_RSRC2:TGID_X_EN: 1
; COMPUTE_PGM_RSRC2:TGID_Y_EN: 0
; COMPUTE_PGM_RSRC2:TGID_Z_EN: 0
; COMPUTE_PGM_RSRC2:TIDIG_COMP_CNT: 0
; COMPUTE_PGM_RSRC3_GFX90A:ACCUM_OFFSET: 14
; COMPUTE_PGM_RSRC3_GFX90A:TG_SPLIT: 0
	.text
	.p2align	2                               ; -- Begin function _ZN2at6native6invokeIZZZNS0_17expm1_kernel_cudaERNS_18TensorIteratorBaseEENKUlvE_clEvENKUlvE1_clEvEUlN3c107complexIdEEE_j15function_traitsIS9_EEENT1_11result_typeERKT_PrKPcPKT0_PKNS6_10ScalarTypeEi
	.type	_ZN2at6native6invokeIZZZNS0_17expm1_kernel_cudaERNS_18TensorIteratorBaseEENKUlvE_clEvENKUlvE1_clEvEUlN3c107complexIdEEE_j15function_traitsIS9_EEENT1_11result_typeERKT_PrKPcPKT0_PKNS6_10ScalarTypeEi,@function
_ZN2at6native6invokeIZZZNS0_17expm1_kernel_cudaERNS_18TensorIteratorBaseEENKUlvE_clEvENKUlvE1_clEvEUlN3c107complexIdEEE_j15function_traitsIS9_EEENT1_11result_typeERKT_PrKPcPKT0_PKNS6_10ScalarTypeEi: ; @_ZN2at6native6invokeIZZZNS0_17expm1_kernel_cudaERNS_18TensorIteratorBaseEENKUlvE_clEvENKUlvE1_clEvEUlN3c107complexIdEEE_j15function_traitsIS9_EEENT1_11result_typeERKT_PrKPcPKT0_PKNS6_10ScalarTypeEi
; %bb.0:
	s_waitcnt vmcnt(0) expcnt(0) lgkmcnt(0)
	v_mov_b32_e32 v4, v3
	v_mov_b32_e32 v3, 0
	v_lshl_add_u64 v[0:1], v[0:1], 0, v[2:3]
	v_mov_b32_e32 v2, 10
	v_cmp_gt_i16_sdwa s[0:1], v4, v2 src0_sel:BYTE_0 src1_sel:DWORD
	s_mov_b64 s[4:5], 0
                                        ; implicit-def: $vgpr8_vgpr9
	s_and_saveexec_b64 s[2:3], s[0:1]
	s_xor_b64 s[0:1], exec, s[2:3]
	s_cbranch_execz .LBB132_48
; %bb.1:
	v_mov_b32_e32 v2, 25
	v_cmp_gt_i16_sdwa s[4:5], v4, v2 src0_sel:BYTE_0 src1_sel:DWORD
	s_mov_b64 s[2:3], 0
	s_mov_b64 s[8:9], 0
	;; [unrolled: 1-line block ×3, first 2 shown]
                                        ; implicit-def: $vgpr8_vgpr9
	s_and_saveexec_b64 s[10:11], s[4:5]
	s_xor_b64 s[4:5], exec, s[10:11]
	s_cbranch_execz .LBB132_91
; %bb.2:
	v_mov_b32_e32 v2, 28
	v_cmp_gt_i16_sdwa s[6:7], v4, v2 src0_sel:BYTE_0 src1_sel:DWORD
	s_mov_b64 s[10:11], 0
                                        ; implicit-def: $vgpr8_vgpr9
	s_and_saveexec_b64 s[12:13], s[6:7]
	s_xor_b64 s[6:7], exec, s[12:13]
	s_cbranch_execz .LBB132_18
; %bb.3:
	v_mov_b32_e32 v2, 43
	v_cmp_gt_i16_sdwa s[8:9], v4, v2 src0_sel:BYTE_0 src1_sel:DWORD
	s_mov_b64 s[12:13], 0
	s_mov_b64 s[14:15], 0
                                        ; implicit-def: $vgpr8_vgpr9
	s_and_saveexec_b64 s[10:11], s[8:9]
	s_xor_b64 s[8:9], exec, s[10:11]
	s_cbranch_execz .LBB132_13
; %bb.4:
	v_mov_b32_e32 v2, 45
	v_cmp_gt_i16_sdwa s[14:15], v4, v2 src0_sel:BYTE_0 src1_sel:DWORD
	s_mov_b64 s[10:11], 0
                                        ; implicit-def: $vgpr8_vgpr9
	s_and_saveexec_b64 s[16:17], s[14:15]
	s_xor_b64 s[14:15], exec, s[16:17]
	s_cbranch_execz .LBB132_8
; %bb.5:
	v_mov_b32_e32 v2, 46
	v_cmp_eq_u16_sdwa s[18:19], v4, v2 src0_sel:BYTE_0 src1_sel:DWORD
	s_mov_b64 s[16:17], -1
                                        ; implicit-def: $vgpr8_vgpr9
	s_and_saveexec_b64 s[12:13], s[18:19]
	s_cbranch_execz .LBB132_7
; %bb.6:
	flat_load_dword v2, v[0:1]
	s_mov_b64 s[10:11], exec
	s_xor_b64 s[16:17], exec, -1
	s_waitcnt vmcnt(0) lgkmcnt(0)
	v_and_b32_e32 v3, 0xffff0000, v2
	v_lshlrev_b32_e32 v2, 16, v2
	v_cvt_f64_f32_e32 v[6:7], v2
	v_cvt_f64_f32_e32 v[8:9], v3
.LBB132_7:
	s_or_b64 exec, exec, s[12:13]
	s_and_b64 s[12:13], s[10:11], exec
	s_and_b64 s[10:11], s[16:17], exec
                                        ; implicit-def: $vgpr4
.LBB132_8:
	s_andn2_saveexec_b64 s[14:15], s[14:15]
	s_cbranch_execz .LBB132_12
; %bb.9:
	v_mov_b32_e32 v2, 44
	v_cmp_eq_u16_sdwa s[22:23], v4, v2 src0_sel:BYTE_0 src1_sel:DWORD
	s_mov_b64 s[20:21], -1
	s_mov_b64 s[18:19], s[12:13]
                                        ; implicit-def: $vgpr6_vgpr7
	s_and_saveexec_b64 s[16:17], s[22:23]
	s_cbranch_execz .LBB132_11
; %bb.10:
	flat_load_ubyte v4, v[0:1]
	s_movk_i32 s20, 0xff
	v_bfrev_b32_e32 v5, 4
	v_mov_b32_e32 v6, 0x7ff80000
	v_bfrev_b32_e32 v7, 28
	s_or_b64 s[18:19], s[12:13], exec
	s_waitcnt vmcnt(0) lgkmcnt(0)
	v_lshlrev_b32_e32 v2, 23, v4
	v_cvt_f64_f32_e32 v[2:3], v2
	v_cmp_ne_u32_e32 vcc, s20, v4
	s_xor_b64 s[20:21], exec, -1
	s_nop 0
	v_cndmask_b32_e32 v2, v5, v2, vcc
	v_cndmask_b32_e32 v3, v6, v3, vcc
	v_cmp_ne_u32_e32 vcc, 0, v4
	s_nop 1
	v_cndmask_b32_e32 v7, v7, v3, vcc
	v_cndmask_b32_e32 v6, 0, v2, vcc
.LBB132_11:
	s_or_b64 exec, exec, s[16:17]
	s_andn2_b64 s[12:13], s[12:13], exec
	s_and_b64 s[16:17], s[18:19], exec
	s_or_b64 s[12:13], s[12:13], s[16:17]
	s_andn2_b64 s[10:11], s[10:11], exec
	s_and_b64 s[16:17], s[20:21], exec
	v_mov_b64_e32 v[8:9], 0
	s_or_b64 s[10:11], s[10:11], s[16:17]
.LBB132_12:
	s_or_b64 exec, exec, s[14:15]
	s_and_b64 s[14:15], s[12:13], exec
	s_and_b64 s[12:13], s[10:11], exec
                                        ; implicit-def: $vgpr4
.LBB132_13:
	s_andn2_saveexec_b64 s[8:9], s[8:9]
	s_cbranch_execz .LBB132_17
; %bb.14:
	v_mov_b32_e32 v2, 29
	v_cmp_eq_u16_sdwa s[20:21], v4, v2 src0_sel:BYTE_0 src1_sel:DWORD
	s_mov_b64 s[10:11], -1
	s_mov_b64 s[16:17], s[14:15]
                                        ; implicit-def: $vgpr6_vgpr7
	s_and_saveexec_b64 s[18:19], s[20:21]
	s_cbranch_execz .LBB132_16
; %bb.15:
	flat_load_dwordx2 v[2:3], v[0:1]
	s_or_b64 s[16:17], s[14:15], exec
	s_xor_b64 s[10:11], exec, -1
	s_waitcnt vmcnt(0) lgkmcnt(0)
	v_cvt_f64_u32_e32 v[4:5], v3
	v_cvt_f64_u32_e32 v[2:3], v2
	v_ldexp_f64 v[4:5], v[4:5], 32
	v_add_f64 v[6:7], v[4:5], v[2:3]
.LBB132_16:
	s_or_b64 exec, exec, s[18:19]
	s_andn2_b64 s[14:15], s[14:15], exec
	s_and_b64 s[16:17], s[16:17], exec
	s_andn2_b64 s[12:13], s[12:13], exec
	s_and_b64 s[10:11], s[10:11], exec
	v_mov_b64_e32 v[8:9], 0
	s_or_b64 s[14:15], s[14:15], s[16:17]
	s_or_b64 s[12:13], s[12:13], s[10:11]
.LBB132_17:
	s_or_b64 exec, exec, s[8:9]
	s_and_b64 s[10:11], s[14:15], exec
	s_and_b64 s[8:9], s[12:13], exec
                                        ; implicit-def: $vgpr4
.LBB132_18:
	s_andn2_saveexec_b64 s[6:7], s[6:7]
	s_cbranch_execz .LBB132_36
; %bb.19:
	v_mov_b32_e32 v2, 26
	v_cmp_gt_i16_sdwa s[12:13], v4, v2 src0_sel:BYTE_0 src1_sel:DWORD
                                        ; implicit-def: $vgpr6_vgpr7
	s_and_saveexec_b64 s[14:15], s[12:13]
	s_xor_b64 s[12:13], exec, s[14:15]
	s_cbranch_execz .LBB132_25
; %bb.20:
	v_mov_b32_e32 v2, 27
	v_cmp_gt_i16_sdwa s[14:15], v4, v2 src0_sel:BYTE_0 src1_sel:DWORD
                                        ; implicit-def: $vgpr6_vgpr7
	s_and_saveexec_b64 s[16:17], s[14:15]
	s_xor_b64 s[14:15], exec, s[16:17]
	s_cbranch_execz .LBB132_22
; %bb.21:
	flat_load_dword v2, v[0:1]
	s_waitcnt vmcnt(0) lgkmcnt(0)
	v_cvt_f64_u32_e32 v[6:7], v2
.LBB132_22:
	s_andn2_saveexec_b64 s[14:15], s[14:15]
	s_cbranch_execz .LBB132_24
; %bb.23:
	flat_load_ushort v2, v[0:1]
	s_waitcnt vmcnt(0) lgkmcnt(0)
	v_cvt_f64_u32_e32 v[6:7], v2
.LBB132_24:
	s_or_b64 exec, exec, s[14:15]
.LBB132_25:
	s_andn2_saveexec_b64 s[12:13], s[12:13]
	s_cbranch_execz .LBB132_35
; %bb.26:
	flat_load_ubyte v2, v[0:1]
	s_movk_i32 s14, 0x7f
	s_waitcnt vmcnt(0) lgkmcnt(0)
	v_cmp_lt_i16_e32 vcc, s14, v2
	s_mov_b64 s[14:15], 0
	s_and_saveexec_b64 s[16:17], vcc
	s_xor_b64 s[16:17], exec, s[16:17]
	s_cbranch_execz .LBB132_30
; %bb.27:
	s_movk_i32 s14, 0x80
	v_cmp_eq_u16_e32 vcc, s14, v2
	s_mov_b64 s[14:15], -1
	s_and_saveexec_b64 s[18:19], vcc
; %bb.28:
	s_xor_b64 s[14:15], exec, -1
; %bb.29:
	s_or_b64 exec, exec, s[18:19]
	s_and_b64 s[14:15], s[14:15], exec
.LBB132_30:
	s_or_saveexec_b64 s[16:17], s[16:17]
	v_bfrev_b32_e32 v6, 4
	v_mov_b32_e32 v7, 0x7ff80000
	s_xor_b64 exec, exec, s[16:17]
; %bb.31:
	v_cmp_ne_u16_e32 vcc, 0, v2
	s_andn2_b64 s[14:15], s[14:15], exec
	s_and_b64 s[18:19], vcc, exec
	v_mov_b64_e32 v[6:7], 0
	s_or_b64 s[14:15], s[14:15], s[18:19]
; %bb.32:
	s_or_b64 exec, exec, s[16:17]
	s_and_saveexec_b64 s[16:17], s[14:15]
	s_cbranch_execz .LBB132_34
; %bb.33:
	v_lshlrev_b32_e32 v3, 24, v2
	v_and_b32_e32 v2, 0xffff, v2
	v_and_b32_e32 v4, 7, v2
	v_ffbh_u32_e32 v6, v4
	v_min_u32_e32 v6, 32, v6
	v_subrev_u32_e32 v7, 28, v6
	v_bfe_u32 v5, v2, 3, 4
	v_lshlrev_b32_e32 v2, v7, v2
	v_sub_u32_e32 v6, 29, v6
	v_and_b32_e32 v2, 7, v2
	v_cmp_eq_u32_e32 vcc, 0, v5
	v_and_b32_e32 v3, 0x80000000, v3
	s_nop 0
	v_cndmask_b32_e32 v5, v5, v6, vcc
	v_cndmask_b32_e32 v2, v4, v2, vcc
	v_mov_b32_e32 v4, 0x3b800000
	v_lshlrev_b32_e32 v2, 20, v2
	v_lshl_add_u32 v4, v5, 23, v4
	v_or3_b32 v2, v3, v4, v2
	v_cvt_f64_f32_e32 v[6:7], v2
.LBB132_34:
	s_or_b64 exec, exec, s[16:17]
.LBB132_35:
	s_or_b64 exec, exec, s[12:13]
	v_mov_b64_e32 v[8:9], 0
	s_or_b64 s[10:11], s[10:11], exec
.LBB132_36:
	s_or_b64 exec, exec, s[6:7]
	s_and_b64 s[6:7], s[10:11], exec
	s_and_b64 s[8:9], s[8:9], exec
                                        ; implicit-def: $vgpr4
	s_andn2_saveexec_b64 s[4:5], s[4:5]
	s_cbranch_execnz .LBB132_92
.LBB132_37:
	s_or_b64 exec, exec, s[4:5]
	s_and_saveexec_b64 s[4:5], s[8:9]
	s_cbranch_execnz .LBB132_119
.LBB132_38:
	s_or_b64 exec, exec, s[4:5]
	s_and_saveexec_b64 s[4:5], s[2:3]
	s_xor_b64 s[2:3], exec, s[4:5]
	s_cbranch_execz .LBB132_40
.LBB132_39:
	flat_load_ubyte v0, v[0:1]
	v_mov_b32_e32 v1, 0x3ff00000
	v_mov_b32_e32 v6, 0
	v_mov_b64_e32 v[8:9], 0
	s_or_b64 s[6:7], s[6:7], exec
	s_waitcnt vmcnt(0) lgkmcnt(0)
	v_cmp_ne_u16_e32 vcc, 0, v0
	s_nop 1
	v_cndmask_b32_e32 v7, 0, v1, vcc
.LBB132_40:
	s_or_b64 exec, exec, s[2:3]
	s_and_b64 s[4:5], s[6:7], exec
                                        ; implicit-def: $vgpr4
                                        ; implicit-def: $vgpr0_vgpr1
	s_andn2_saveexec_b64 s[0:1], s[0:1]
	s_cbranch_execnz .LBB132_49
.LBB132_41:
	s_or_b64 exec, exec, s[0:1]
                                        ; implicit-def: $vgpr0_vgpr1
                                        ; implicit-def: $vgpr2_vgpr3
	s_and_saveexec_b64 s[2:3], s[4:5]
	s_cbranch_execz .LBB132_90
.LBB132_42:
	s_mov_b32 s0, 0
	s_waitcnt vmcnt(0) lgkmcnt(0)
	v_mul_f64 v[0:1], v[8:9], 0.5
	s_mov_b32 s1, 0x41d00000
	v_cmp_nlt_f64_e64 s[0:1], |v[0:1]|, s[0:1]
                                        ; implicit-def: $vgpr24
                                        ; implicit-def: $vgpr2_vgpr3
                                        ; implicit-def: $vgpr4_vgpr5
	s_and_saveexec_b64 s[4:5], s[0:1]
	s_xor_b64 s[4:5], exec, s[4:5]
	s_cbranch_execz .LBB132_44
; %bb.43:
	s_mov_b32 s0, 0
	s_mov_b32 s1, 0x7b000000
	s_movk_i32 s6, 0xff80
	v_and_b32_e32 v12, 0x7fffffff, v1
	v_ldexp_f64 v[10:11], |v[0:1]|, s6
	v_cmp_ge_f64_e64 vcc, |v[0:1]|, s[0:1]
	v_trig_preop_f64 v[2:3], |v[0:1]|, 0
	v_trig_preop_f64 v[4:5], |v[0:1]|, 1
	v_cndmask_b32_e32 v11, v12, v11, vcc
	v_cndmask_b32_e32 v10, v0, v10, vcc
	v_mul_f64 v[14:15], v[2:3], v[10:11]
	v_mul_f64 v[12:13], v[4:5], v[10:11]
	v_fma_f64 v[2:3], v[2:3], v[10:11], -v[14:15]
	v_add_f64 v[16:17], v[12:13], v[2:3]
	v_add_f64 v[24:25], v[16:17], -v[12:13]
	v_add_f64 v[2:3], v[2:3], -v[24:25]
	;; [unrolled: 1-line block ×4, first 2 shown]
	v_fma_f64 v[4:5], v[4:5], v[10:11], -v[12:13]
	v_trig_preop_f64 v[12:13], |v[0:1]|, 2
	v_add_f64 v[2:3], v[2:3], v[24:25]
	v_mul_f64 v[24:25], v[12:13], v[10:11]
	v_add_f64 v[26:27], v[24:25], v[4:5]
	v_add_f64 v[18:19], v[14:15], v[16:17]
	;; [unrolled: 1-line block ×3, first 2 shown]
	v_ldexp_f64 v[20:21], v[18:19], -2
	v_add_f64 v[14:15], v[18:19], -v[14:15]
	v_add_f64 v[18:19], v[28:29], -v[26:27]
	v_add_f64 v[2:3], v[2:3], -v[18:19]
	v_add_f64 v[18:19], v[28:29], -v[18:19]
	v_add_f64 v[18:19], v[26:27], -v[18:19]
	v_add_f64 v[2:3], v[2:3], v[18:19]
	v_add_f64 v[18:19], v[26:27], -v[24:25]
	v_add_f64 v[4:5], v[4:5], -v[18:19]
	;; [unrolled: 1-line block ×4, first 2 shown]
	v_add_f64 v[4:5], v[4:5], v[18:19]
	s_mov_b32 s0, 0
	v_fract_f64_e32 v[22:23], v[20:21]
	v_add_f64 v[2:3], v[4:5], v[2:3]
	v_fma_f64 v[4:5], v[12:13], v[10:11], -v[24:25]
	s_mov_b32 s1, 0x7ff00000
	v_add_f64 v[14:15], v[16:17], -v[14:15]
	v_add_f64 v[2:3], v[4:5], v[2:3]
	v_ldexp_f64 v[4:5], v[22:23], 2
	v_cmp_neq_f64_e64 vcc, |v[20:21]|, s[0:1]
	v_add_f64 v[16:17], v[14:15], v[28:29]
	v_mov_b32_e32 v12, 0x40100000
	v_cndmask_b32_e32 v5, 0, v5, vcc
	v_cndmask_b32_e32 v4, 0, v4, vcc
	v_add_f64 v[10:11], v[16:17], v[4:5]
	v_cmp_gt_f64_e32 vcc, 0, v[10:11]
	v_mov_b32_e32 v10, 0
	v_add_f64 v[14:15], v[16:17], -v[14:15]
	v_cndmask_b32_e32 v11, 0, v12, vcc
	v_add_f64 v[4:5], v[4:5], v[10:11]
	v_add_f64 v[12:13], v[16:17], v[4:5]
	v_cvt_i32_f64_e32 v11, v[12:13]
	v_cvt_f64_i32_e32 v[12:13], v11
	v_add_f64 v[4:5], v[4:5], -v[12:13]
	v_add_f64 v[12:13], v[16:17], v[4:5]
	v_add_f64 v[14:15], v[28:29], -v[14:15]
	v_add_f64 v[4:5], v[12:13], -v[4:5]
	v_add_f64 v[2:3], v[14:15], v[2:3]
	v_add_f64 v[4:5], v[16:17], -v[4:5]
	v_add_f64 v[2:3], v[2:3], v[4:5]
	v_cmp_le_f64_e32 vcc, 0.5, v[12:13]
	v_mov_b32_e32 v4, 0x3ff00000
	s_mov_b32 s6, 0x33145c07
	v_addc_co_u32_e64 v24, s[0:1], 0, v11, vcc
	v_cndmask_b32_e32 v11, 0, v4, vcc
	v_add_f64 v[4:5], v[12:13], -v[10:11]
	v_add_f64 v[10:11], v[4:5], v[2:3]
	s_mov_b32 s0, 0x54442d18
	v_add_f64 v[4:5], v[10:11], -v[4:5]
	s_mov_b32 s1, 0x3ff921fb
	v_add_f64 v[2:3], v[2:3], -v[4:5]
	v_mul_f64 v[4:5], v[10:11], s[0:1]
	v_fma_f64 v[12:13], v[10:11], s[0:1], -v[4:5]
	s_mov_b32 s7, 0x3c91a626
	v_fmac_f64_e32 v[12:13], s[6:7], v[10:11]
	v_fmac_f64_e32 v[12:13], s[0:1], v[2:3]
	v_add_f64 v[2:3], v[4:5], v[12:13]
	v_add_f64 v[4:5], v[2:3], -v[4:5]
	v_add_f64 v[4:5], v[12:13], -v[4:5]
.LBB132_44:
	s_andn2_saveexec_b64 s[0:1], s[4:5]
	s_cbranch_execz .LBB132_46
; %bb.45:
	s_mov_b32 s4, 0x6dc9c883
	s_mov_b32 s5, 0x3fe45f30
	v_mul_f64 v[2:3], |v[0:1]|, s[4:5]
	s_mov_b32 s4, 0x54442d18
	v_rndne_f64_e32 v[10:11], v[2:3]
	s_mov_b32 s5, 0xbff921fb
	v_fma_f64 v[2:3], v[10:11], s[4:5], |v[0:1]|
	s_mov_b32 s5, 0xbc91a626
	s_mov_b32 s4, 0x33145c00
	v_mul_f64 v[12:13], v[10:11], s[4:5]
	v_add_f64 v[16:17], v[2:3], v[12:13]
	v_fma_f64 v[4:5], s[4:5], v[10:11], v[2:3]
	s_mov_b32 s5, 0x3c91a626
	v_add_f64 v[2:3], v[2:3], -v[16:17]
	v_fma_f64 v[14:15], s[4:5], v[10:11], v[12:13]
	v_add_f64 v[2:3], v[2:3], v[12:13]
	v_add_f64 v[12:13], v[16:17], -v[4:5]
	v_add_f64 v[2:3], v[12:13], v[2:3]
	s_mov_b32 s4, 0x252049c0
	v_add_f64 v[12:13], v[2:3], -v[14:15]
	s_mov_b32 s5, 0xb97b839a
	v_fmac_f64_e32 v[12:13], s[4:5], v[10:11]
	v_add_f64 v[2:3], v[4:5], v[12:13]
	v_add_f64 v[4:5], v[2:3], -v[4:5]
	v_add_f64 v[4:5], v[12:13], -v[4:5]
	v_cvt_i32_f64_e32 v24, v[10:11]
.LBB132_46:
	s_or_b64 exec, exec, s[0:1]
	s_mov_b32 s0, 0
	s_mov_b32 s1, 0x41d00000
	v_cmp_nlt_f64_e64 s[4:5], |v[8:9]|, s[0:1]
	v_trig_preop_f64 v[22:23], |v[8:9]|, 0
	v_trig_preop_f64 v[20:21], |v[8:9]|, 1
	;; [unrolled: 1-line block ×3, first 2 shown]
                                        ; implicit-def: $vgpr25
                                        ; implicit-def: $vgpr10_vgpr11
                                        ; implicit-def: $vgpr12_vgpr13
	s_and_saveexec_b64 s[0:1], s[4:5]
	s_xor_b64 s[6:7], exec, s[0:1]
	s_cbranch_execz .LBB132_120
; %bb.47:
	s_mov_b32 s0, 0
	s_mov_b32 s1, 0x7b000000
	s_movk_i32 s8, 0xff80
	v_and_b32_e32 v12, 0x7fffffff, v9
	v_ldexp_f64 v[10:11], |v[8:9]|, s8
	v_cmp_ge_f64_e64 vcc, |v[8:9]|, s[0:1]
	s_mov_b32 s0, 0
	s_mov_b32 s1, 0x7ff00000
	v_cndmask_b32_e32 v11, v12, v11, vcc
	v_cndmask_b32_e32 v10, v8, v10, vcc
	v_mul_f64 v[14:15], v[22:23], v[10:11]
	v_mul_f64 v[12:13], v[20:21], v[10:11]
	v_fma_f64 v[16:17], v[22:23], v[10:11], -v[14:15]
	v_add_f64 v[26:27], v[12:13], v[16:17]
	v_add_f64 v[34:35], v[26:27], -v[12:13]
	v_add_f64 v[16:17], v[16:17], -v[34:35]
	;; [unrolled: 1-line block ×4, first 2 shown]
	v_add_f64 v[16:17], v[16:17], v[34:35]
	v_fma_f64 v[12:13], v[20:21], v[10:11], -v[12:13]
	v_mul_f64 v[34:35], v[18:19], v[10:11]
	v_add_f64 v[36:37], v[34:35], v[12:13]
	v_add_f64 v[28:29], v[14:15], v[26:27]
	;; [unrolled: 1-line block ×3, first 2 shown]
	v_ldexp_f64 v[30:31], v[28:29], -2
	v_add_f64 v[14:15], v[28:29], -v[14:15]
	v_add_f64 v[28:29], v[38:39], -v[36:37]
	;; [unrolled: 1-line block ×5, first 2 shown]
	v_add_f64 v[16:17], v[16:17], v[28:29]
	v_add_f64 v[28:29], v[36:37], -v[34:35]
	v_add_f64 v[12:13], v[12:13], -v[28:29]
	;; [unrolled: 1-line block ×5, first 2 shown]
	v_add_f64 v[12:13], v[12:13], v[28:29]
	v_fract_f64_e32 v[32:33], v[30:31]
	v_add_f64 v[26:27], v[14:15], v[38:39]
	v_add_f64 v[12:13], v[12:13], v[16:17]
	v_fma_f64 v[10:11], v[18:19], v[10:11], -v[34:35]
	v_add_f64 v[14:15], v[26:27], -v[14:15]
	v_add_f64 v[10:11], v[10:11], v[12:13]
	v_ldexp_f64 v[12:13], v[32:33], 2
	v_cmp_neq_f64_e64 vcc, |v[30:31]|, s[0:1]
	v_add_f64 v[14:15], v[38:39], -v[14:15]
	v_add_f64 v[10:11], v[14:15], v[10:11]
	v_cndmask_b32_e32 v13, 0, v13, vcc
	v_cndmask_b32_e32 v12, 0, v12, vcc
	v_add_f64 v[14:15], v[26:27], v[12:13]
	v_mov_b32_e32 v16, 0x40100000
	v_cmp_gt_f64_e32 vcc, 0, v[14:15]
	v_mov_b32_e32 v14, 0
	s_mov_b32 s8, 0x33145c07
	v_cndmask_b32_e32 v15, 0, v16, vcc
	v_add_f64 v[12:13], v[12:13], v[14:15]
	v_add_f64 v[16:17], v[26:27], v[12:13]
	v_cvt_i32_f64_e32 v15, v[16:17]
	v_cvt_f64_i32_e32 v[16:17], v15
	v_add_f64 v[12:13], v[12:13], -v[16:17]
	v_add_f64 v[16:17], v[26:27], v[12:13]
	v_add_f64 v[12:13], v[16:17], -v[12:13]
	v_add_f64 v[12:13], v[26:27], -v[12:13]
	v_add_f64 v[10:11], v[10:11], v[12:13]
	v_cmp_le_f64_e32 vcc, 0.5, v[16:17]
	v_mov_b32_e32 v12, 0x3ff00000
	s_mov_b32 s9, 0x3c91a626
	v_addc_co_u32_e64 v25, s[0:1], 0, v15, vcc
	v_cndmask_b32_e32 v15, 0, v12, vcc
	v_add_f64 v[12:13], v[16:17], -v[14:15]
	v_add_f64 v[14:15], v[12:13], v[10:11]
	s_mov_b32 s0, 0x54442d18
	v_add_f64 v[12:13], v[14:15], -v[12:13]
	s_mov_b32 s1, 0x3ff921fb
	v_add_f64 v[10:11], v[10:11], -v[12:13]
	v_mul_f64 v[12:13], v[14:15], s[0:1]
	v_fma_f64 v[16:17], v[14:15], s[0:1], -v[12:13]
	v_fmac_f64_e32 v[16:17], s[8:9], v[14:15]
	v_fmac_f64_e32 v[16:17], s[0:1], v[10:11]
	v_add_f64 v[10:11], v[12:13], v[16:17]
	v_add_f64 v[12:13], v[10:11], -v[12:13]
	v_add_f64 v[12:13], v[16:17], -v[12:13]
	s_andn2_saveexec_b64 s[0:1], s[6:7]
	s_cbranch_execz .LBB132_122
	s_branch .LBB132_121
.LBB132_48:
	s_andn2_saveexec_b64 s[0:1], s[0:1]
	s_cbranch_execz .LBB132_41
.LBB132_49:
	v_mov_b32_e32 v2, 4
	v_cmp_gt_i16_sdwa s[2:3], v4, v2 src0_sel:BYTE_0 src1_sel:DWORD
                                        ; implicit-def: $vgpr8_vgpr9
	s_and_saveexec_b64 s[6:7], s[2:3]
	s_xor_b64 s[2:3], exec, s[6:7]
	s_cbranch_execz .LBB132_71
; %bb.50:
	v_mov_b32_e32 v2, 7
	v_cmp_gt_i16_sdwa s[6:7], v4, v2 src0_sel:BYTE_0 src1_sel:DWORD
                                        ; implicit-def: $vgpr8_vgpr9
	s_and_saveexec_b64 s[8:9], s[6:7]
	s_xor_b64 s[6:7], exec, s[8:9]
	s_cbranch_execz .LBB132_60
; %bb.51:
	;; [unrolled: 7-line block ×4, first 2 shown]
	flat_load_dwordx4 v[6:9], v[0:1]
                                        ; implicit-def: $vgpr0_vgpr1
.LBB132_54:
	s_andn2_saveexec_b64 s[10:11], s[10:11]
	s_cbranch_execz .LBB132_56
; %bb.55:
	flat_load_dwordx2 v[0:1], v[0:1]
	s_waitcnt vmcnt(0) lgkmcnt(0)
	v_cvt_f64_f32_e32 v[6:7], v0
	v_cvt_f64_f32_e32 v[8:9], v1
.LBB132_56:
	s_or_b64 exec, exec, s[10:11]
                                        ; implicit-def: $vgpr0_vgpr1
.LBB132_57:
	s_andn2_saveexec_b64 s[8:9], s[8:9]
	s_cbranch_execz .LBB132_59
; %bb.58:
	flat_load_dword v0, v[0:1]
	s_waitcnt vmcnt(0) lgkmcnt(0)
	v_cvt_f32_f16_e32 v1, v0
	v_cvt_f32_f16_sdwa v0, v0 dst_sel:DWORD dst_unused:UNUSED_PAD src0_sel:WORD_1
	v_cvt_f64_f32_e32 v[6:7], v1
	v_cvt_f64_f32_e32 v[8:9], v0
.LBB132_59:
	s_or_b64 exec, exec, s[8:9]
                                        ; implicit-def: $vgpr0_vgpr1
                                        ; implicit-def: $vgpr4
.LBB132_60:
	s_andn2_saveexec_b64 s[6:7], s[6:7]
	s_cbranch_execz .LBB132_70
; %bb.61:
	v_mov_b32_e32 v2, 5
	v_cmp_gt_i16_sdwa s[8:9], v4, v2 src0_sel:BYTE_0 src1_sel:DWORD
                                        ; implicit-def: $vgpr6_vgpr7
	s_and_saveexec_b64 s[10:11], s[8:9]
	s_xor_b64 s[8:9], exec, s[10:11]
	s_cbranch_execz .LBB132_67
; %bb.62:
	v_mov_b32_e32 v2, 6
	v_cmp_gt_i16_sdwa s[10:11], v4, v2 src0_sel:BYTE_0 src1_sel:DWORD
                                        ; implicit-def: $vgpr6_vgpr7
	s_and_saveexec_b64 s[12:13], s[10:11]
	s_xor_b64 s[10:11], exec, s[12:13]
	s_cbranch_execz .LBB132_64
; %bb.63:
	s_waitcnt vmcnt(0) lgkmcnt(0)
	flat_load_dwordx2 v[6:7], v[0:1]
                                        ; implicit-def: $vgpr0_vgpr1
.LBB132_64:
	s_andn2_saveexec_b64 s[10:11], s[10:11]
	s_cbranch_execz .LBB132_66
; %bb.65:
	flat_load_dword v0, v[0:1]
	s_waitcnt vmcnt(0) lgkmcnt(0)
	v_cvt_f64_f32_e32 v[6:7], v0
.LBB132_66:
	s_or_b64 exec, exec, s[10:11]
                                        ; implicit-def: $vgpr0_vgpr1
.LBB132_67:
	s_andn2_saveexec_b64 s[8:9], s[8:9]
	s_cbranch_execz .LBB132_69
; %bb.68:
	flat_load_ushort v0, v[0:1]
	s_waitcnt vmcnt(0) lgkmcnt(0)
	v_cvt_f32_f16_e32 v0, v0
	v_cvt_f64_f32_e32 v[6:7], v0
.LBB132_69:
	s_or_b64 exec, exec, s[8:9]
	s_waitcnt vmcnt(0) lgkmcnt(0)
	v_mov_b64_e32 v[8:9], 0
.LBB132_70:
	s_or_b64 exec, exec, s[6:7]
                                        ; implicit-def: $vgpr4
                                        ; implicit-def: $vgpr0_vgpr1
.LBB132_71:
	s_andn2_saveexec_b64 s[2:3], s[2:3]
	s_cbranch_execz .LBB132_89
; %bb.72:
	v_mov_b32_e32 v2, 1
	v_cmp_gt_i16_sdwa s[6:7], v4, v2 src0_sel:BYTE_0 src1_sel:DWORD
                                        ; implicit-def: $vgpr6_vgpr7
	s_and_saveexec_b64 s[8:9], s[6:7]
	s_xor_b64 s[6:7], exec, s[8:9]
	s_cbranch_execz .LBB132_82
; %bb.73:
	v_mov_b32_e32 v2, 2
	v_cmp_gt_i16_sdwa s[8:9], v4, v2 src0_sel:BYTE_0 src1_sel:DWORD
                                        ; implicit-def: $vgpr6_vgpr7
	s_and_saveexec_b64 s[10:11], s[8:9]
	s_xor_b64 s[8:9], exec, s[10:11]
	;; [unrolled: 7-line block ×3, first 2 shown]
	s_cbranch_execz .LBB132_76
; %bb.75:
	flat_load_dwordx2 v[0:1], v[0:1]
	s_waitcnt vmcnt(0) lgkmcnt(0)
	v_cvt_f64_i32_e32 v[2:3], v1
	v_ldexp_f64 v[2:3], v[2:3], 32
	v_cvt_f64_u32_e32 v[0:1], v0
	v_add_f64 v[6:7], v[2:3], v[0:1]
                                        ; implicit-def: $vgpr0_vgpr1
.LBB132_76:
	s_andn2_saveexec_b64 s[10:11], s[10:11]
	s_cbranch_execz .LBB132_78
; %bb.77:
	flat_load_dword v0, v[0:1]
	s_waitcnt vmcnt(0) lgkmcnt(0)
	v_cvt_f64_i32_e32 v[6:7], v0
.LBB132_78:
	s_or_b64 exec, exec, s[10:11]
                                        ; implicit-def: $vgpr0_vgpr1
.LBB132_79:
	s_andn2_saveexec_b64 s[8:9], s[8:9]
	s_cbranch_execz .LBB132_81
; %bb.80:
	flat_load_sshort v0, v[0:1]
	s_waitcnt vmcnt(0) lgkmcnt(0)
	v_cvt_f64_i32_e32 v[6:7], v0
.LBB132_81:
	s_or_b64 exec, exec, s[8:9]
                                        ; implicit-def: $vgpr0_vgpr1
                                        ; implicit-def: $vgpr4
.LBB132_82:
	s_andn2_saveexec_b64 s[6:7], s[6:7]
	s_cbranch_execz .LBB132_88
; %bb.83:
	v_mov_b32_e32 v2, 0
	v_cmp_gt_i16_sdwa s[8:9], v4, v2 src0_sel:BYTE_0 src1_sel:DWORD
                                        ; implicit-def: $vgpr6_vgpr7
	s_and_saveexec_b64 s[10:11], s[8:9]
	s_xor_b64 s[8:9], exec, s[10:11]
	s_cbranch_execz .LBB132_85
; %bb.84:
	flat_load_sbyte v0, v[0:1]
	s_waitcnt vmcnt(0) lgkmcnt(0)
	v_cvt_f64_i32_e32 v[6:7], v0
                                        ; implicit-def: $vgpr0_vgpr1
.LBB132_85:
	s_andn2_saveexec_b64 s[8:9], s[8:9]
	s_cbranch_execz .LBB132_87
; %bb.86:
	flat_load_ubyte v0, v[0:1]
	s_waitcnt vmcnt(0) lgkmcnt(0)
	v_cvt_f64_u32_e32 v[6:7], v0
.LBB132_87:
	s_or_b64 exec, exec, s[8:9]
.LBB132_88:
	s_or_b64 exec, exec, s[6:7]
	s_waitcnt vmcnt(0) lgkmcnt(0)
	v_mov_b64_e32 v[8:9], 0
.LBB132_89:
	s_or_b64 exec, exec, s[2:3]
	s_or_b64 s[4:5], s[4:5], exec
	s_or_b64 exec, exec, s[0:1]
                                        ; implicit-def: $vgpr0_vgpr1
                                        ; implicit-def: $vgpr2_vgpr3
	s_and_saveexec_b64 s[2:3], s[4:5]
	s_cbranch_execnz .LBB132_42
.LBB132_90:
	s_or_b64 exec, exec, s[2:3]
	s_waitcnt vmcnt(0) lgkmcnt(0)
	s_setpc_b64 s[30:31]
.LBB132_91:
	s_andn2_saveexec_b64 s[4:5], s[4:5]
	s_cbranch_execz .LBB132_37
.LBB132_92:
	v_mov_b32_e32 v2, 22
	v_cmp_gt_i16_sdwa s[2:3], v4, v2 src0_sel:BYTE_0 src1_sel:DWORD
	s_mov_b64 s[10:11], s[6:7]
                                        ; implicit-def: $vgpr6_vgpr7
	s_and_saveexec_b64 s[12:13], s[2:3]
	s_xor_b64 s[2:3], exec, s[12:13]
	s_cbranch_execz .LBB132_110
; %bb.93:
	v_mov_b32_e32 v2, 23
	v_cmp_gt_i16_sdwa s[10:11], v4, v2 src0_sel:BYTE_0 src1_sel:DWORD
                                        ; implicit-def: $vgpr6_vgpr7
	s_and_saveexec_b64 s[12:13], s[10:11]
	s_xor_b64 s[10:11], exec, s[12:13]
	s_cbranch_execz .LBB132_107
; %bb.94:
	v_mov_b32_e32 v2, 24
	v_cmp_gt_i16_sdwa s[12:13], v4, v2 src0_sel:BYTE_0 src1_sel:DWORD
                                        ; implicit-def: $vgpr6_vgpr7
	s_and_saveexec_b64 s[14:15], s[12:13]
	s_xor_b64 s[12:13], exec, s[14:15]
	s_cbranch_execz .LBB132_104
; %bb.95:
	flat_load_ubyte v2, v[0:1]
	s_movk_i32 s14, 0x7f
	s_waitcnt vmcnt(0) lgkmcnt(0)
	v_cmp_lt_i16_e32 vcc, s14, v2
	s_mov_b64 s[14:15], 0
	s_and_saveexec_b64 s[16:17], vcc
	s_xor_b64 s[16:17], exec, s[16:17]
	s_cbranch_execz .LBB132_99
; %bb.96:
	s_movk_i32 s14, 0x80
	v_cmp_eq_u16_e32 vcc, s14, v2
	s_mov_b64 s[14:15], -1
	s_and_saveexec_b64 s[18:19], vcc
; %bb.97:
	s_xor_b64 s[14:15], exec, -1
; %bb.98:
	s_or_b64 exec, exec, s[18:19]
	s_and_b64 s[14:15], s[14:15], exec
.LBB132_99:
	s_or_saveexec_b64 s[16:17], s[16:17]
	v_bfrev_b32_e32 v6, 4
	v_mov_b32_e32 v7, 0x7ff80000
	s_xor_b64 exec, exec, s[16:17]
; %bb.100:
	v_cmp_ne_u16_e32 vcc, 0, v2
	s_andn2_b64 s[14:15], s[14:15], exec
	s_and_b64 s[18:19], vcc, exec
	v_mov_b64_e32 v[6:7], 0
	s_or_b64 s[14:15], s[14:15], s[18:19]
; %bb.101:
	s_or_b64 exec, exec, s[16:17]
	s_and_saveexec_b64 s[16:17], s[14:15]
	s_cbranch_execz .LBB132_103
; %bb.102:
	v_lshlrev_b32_e32 v3, 24, v2
	v_and_b32_e32 v2, 0xffff, v2
	v_and_b32_e32 v4, 3, v2
	v_ffbh_u32_e32 v6, v4
	v_min_u32_e32 v6, 32, v6
	v_subrev_u32_e32 v7, 29, v6
	v_bfe_u32 v5, v2, 2, 5
	v_lshlrev_b32_e32 v2, v7, v2
	v_sub_u32_e32 v6, 30, v6
	v_and_b32_e32 v2, 3, v2
	v_cmp_eq_u32_e32 vcc, 0, v5
	v_and_b32_e32 v3, 0x80000000, v3
	s_nop 0
	v_cndmask_b32_e32 v5, v5, v6, vcc
	v_cndmask_b32_e32 v2, v4, v2, vcc
	v_mov_b32_e32 v4, 0x37800000
	v_lshlrev_b32_e32 v2, 21, v2
	v_lshl_add_u32 v4, v5, 23, v4
	v_or3_b32 v2, v3, v4, v2
	v_cvt_f64_f32_e32 v[6:7], v2
.LBB132_103:
	s_or_b64 exec, exec, s[16:17]
.LBB132_104:
	s_andn2_saveexec_b64 s[12:13], s[12:13]
	s_cbranch_execz .LBB132_106
; %bb.105:
	flat_load_ubyte v2, v[0:1]
	s_mov_b32 s14, 0x7f800000
	s_waitcnt vmcnt(0) lgkmcnt(0)
	v_lshlrev_b32_e32 v2, 24, v2
	v_and_b32_e32 v3, 0x7f000000, v2
	v_ffbh_u32_e32 v4, v3
	v_min_u32_e32 v4, 32, v4
	v_sub_u32_e64 v4, v4, 4 clamp
	v_lshlrev_b32_e32 v6, v4, v3
	v_lshlrev_b32_e32 v4, 23, v4
	v_lshrrev_b32_e32 v6, 4, v6
	v_add_u32_e32 v5, 0x1000000, v3
	v_sub_u32_e32 v4, v6, v4
	v_ashrrev_i32_e32 v5, 8, v5
	v_add_u32_e32 v4, 0x3c000000, v4
	v_and_or_b32 v4, v5, s14, v4
	v_cmp_ne_u32_e32 vcc, 0, v3
	s_brev_b32 s14, 1
	s_nop 0
	v_cndmask_b32_e32 v3, 0, v4, vcc
	v_and_or_b32 v2, v2, s14, v3
	v_cvt_f64_f32_e32 v[6:7], v2
.LBB132_106:
	s_or_b64 exec, exec, s[12:13]
.LBB132_107:
	s_andn2_saveexec_b64 s[10:11], s[10:11]
	s_cbranch_execz .LBB132_109
; %bb.108:
	flat_load_ubyte v2, v[0:1]
	s_movk_i32 s12, 0x7f00
	s_brev_b32 s13, 16
	s_waitcnt vmcnt(0) lgkmcnt(0)
	v_lshlrev_b16_e32 v3, 8, v2
	v_lshlrev_b32_e32 v2, 25, v2
	v_lshrrev_b32_e32 v4, 4, v2
	v_and_or_b32 v5, v3, s12, 0.5
	v_or_b32_e32 v4, 0x70000000, v4
	v_add_f32_e32 v5, -0.5, v5
	v_mul_f32_e32 v4, 0x7800000, v4
	v_cmp_gt_u32_e32 vcc, s13, v2
	v_bfe_i32 v3, v3, 0, 16
	s_brev_b32 s12, 1
	v_cndmask_b32_e32 v2, v4, v5, vcc
	v_and_or_b32 v2, v3, s12, v2
	v_cvt_f64_f32_e32 v[6:7], v2
.LBB132_109:
	s_or_b64 exec, exec, s[10:11]
	s_or_b64 s[10:11], s[6:7], exec
                                        ; implicit-def: $vgpr4
.LBB132_110:
	s_or_saveexec_b64 s[2:3], s[2:3]
	s_mov_b64 s[14:15], 0
	s_mov_b64 s[12:13], s[8:9]
	s_xor_b64 exec, exec, s[2:3]
	s_cbranch_execz .LBB132_118
; %bb.111:
	v_mov_b32_e32 v2, 14
	v_cmp_gt_i16_sdwa s[16:17], v4, v2 src0_sel:BYTE_0 src1_sel:DWORD
	s_mov_b64 s[12:13], s[8:9]
	s_mov_b64 s[14:15], s[10:11]
                                        ; implicit-def: $vgpr6_vgpr7
	s_and_saveexec_b64 s[18:19], s[16:17]
	s_xor_b64 s[16:17], exec, s[18:19]
	s_cbranch_execz .LBB132_115
; %bb.112:
	v_mov_b32_e32 v2, 15
	v_cmp_eq_u16_sdwa s[20:21], v4, v2 src0_sel:BYTE_0 src1_sel:DWORD
	s_mov_b64 s[12:13], -1
	s_mov_b64 s[14:15], s[10:11]
                                        ; implicit-def: $vgpr6_vgpr7
	s_and_saveexec_b64 s[18:19], s[20:21]
	s_cbranch_execz .LBB132_114
; %bb.113:
	flat_load_ushort v2, v[0:1]
	s_or_b64 s[14:15], s[10:11], exec
	s_xor_b64 s[12:13], exec, -1
	s_waitcnt vmcnt(0) lgkmcnt(0)
	v_lshlrev_b32_e32 v2, 16, v2
	v_cvt_f64_f32_e32 v[6:7], v2
.LBB132_114:
	s_or_b64 exec, exec, s[18:19]
	s_andn2_b64 s[18:19], s[10:11], exec
	s_and_b64 s[14:15], s[14:15], exec
	s_or_b64 s[14:15], s[18:19], s[14:15]
	s_andn2_b64 s[18:19], s[8:9], exec
	s_and_b64 s[12:13], s[12:13], exec
	s_or_b64 s[12:13], s[18:19], s[12:13]
                                        ; implicit-def: $vgpr4
.LBB132_115:
	s_or_saveexec_b64 s[16:17], s[16:17]
	s_mov_b64 s[18:19], 0
	s_xor_b64 exec, exec, s[16:17]
; %bb.116:
	v_mov_b32_e32 v2, 11
	v_cmp_ne_u16_sdwa s[20:21], v4, v2 src0_sel:BYTE_0 src1_sel:DWORD
	s_andn2_b64 s[12:13], s[12:13], exec
	s_and_b64 s[20:21], s[20:21], exec
	s_mov_b64 s[18:19], exec
	s_or_b64 s[12:13], s[12:13], s[20:21]
; %bb.117:
	s_or_b64 exec, exec, s[16:17]
	s_andn2_b64 s[10:11], s[10:11], exec
	s_and_b64 s[14:15], s[14:15], exec
	s_andn2_b64 s[16:17], s[8:9], exec
	s_and_b64 s[12:13], s[12:13], exec
	s_or_b64 s[10:11], s[10:11], s[14:15]
	s_and_b64 s[14:15], s[18:19], exec
	s_or_b64 s[12:13], s[16:17], s[12:13]
.LBB132_118:
	s_or_b64 exec, exec, s[2:3]
	s_andn2_b64 s[2:3], s[6:7], exec
	s_and_b64 s[6:7], s[10:11], exec
	s_andn2_b64 s[8:9], s[8:9], exec
	s_and_b64 s[10:11], s[12:13], exec
	v_mov_b64_e32 v[8:9], 0
	s_or_b64 s[6:7], s[2:3], s[6:7]
	s_and_b64 s[2:3], s[14:15], exec
	s_or_b64 s[8:9], s[8:9], s[10:11]
	s_or_b64 exec, exec, s[4:5]
	s_and_saveexec_b64 s[4:5], s[8:9]
	s_cbranch_execz .LBB132_38
.LBB132_119:
	s_trap 2
	; divergent unreachable
	s_andn2_b64 s[2:3], s[2:3], exec
	s_or_b64 exec, exec, s[4:5]
	s_and_saveexec_b64 s[4:5], s[2:3]
	s_xor_b64 s[2:3], exec, s[4:5]
	s_cbranch_execnz .LBB132_39
	s_branch .LBB132_40
.LBB132_120:
	s_andn2_saveexec_b64 s[0:1], s[6:7]
	s_cbranch_execz .LBB132_122
.LBB132_121:
	s_mov_b32 s6, 0x6dc9c883
	s_mov_b32 s7, 0x3fe45f30
	v_mul_f64 v[10:11], |v[8:9]|, s[6:7]
	s_mov_b32 s6, 0x54442d18
	v_rndne_f64_e32 v[14:15], v[10:11]
	s_mov_b32 s7, 0xbff921fb
	v_fma_f64 v[10:11], v[14:15], s[6:7], |v[8:9]|
	s_mov_b32 s7, 0xbc91a626
	s_mov_b32 s6, 0x33145c00
	v_mul_f64 v[16:17], v[14:15], s[6:7]
	v_add_f64 v[28:29], v[10:11], v[16:17]
	v_fma_f64 v[12:13], s[6:7], v[14:15], v[10:11]
	s_mov_b32 s7, 0x3c91a626
	v_add_f64 v[10:11], v[10:11], -v[28:29]
	v_fma_f64 v[26:27], s[6:7], v[14:15], v[16:17]
	v_add_f64 v[10:11], v[10:11], v[16:17]
	v_add_f64 v[16:17], v[28:29], -v[12:13]
	v_add_f64 v[10:11], v[16:17], v[10:11]
	s_mov_b32 s6, 0x252049c0
	v_add_f64 v[16:17], v[10:11], -v[26:27]
	s_mov_b32 s7, 0xb97b839a
	v_fmac_f64_e32 v[16:17], s[6:7], v[14:15]
	v_add_f64 v[10:11], v[12:13], v[16:17]
	v_add_f64 v[12:13], v[10:11], -v[12:13]
	v_add_f64 v[12:13], v[16:17], -v[12:13]
	v_cvt_i32_f64_e32 v25, v[14:15]
.LBB132_122:
	s_or_b64 exec, exec, s[0:1]
                                        ; implicit-def: $vgpr26
                                        ; implicit-def: $vgpr14_vgpr15
                                        ; implicit-def: $vgpr16_vgpr17
	s_and_saveexec_b64 s[0:1], s[4:5]
	s_xor_b64 s[4:5], exec, s[0:1]
	s_cbranch_execz .LBB132_124
; %bb.123:
	s_mov_b32 s0, 0
	s_mov_b32 s1, 0x7b000000
	s_movk_i32 s6, 0xff80
	v_and_b32_e32 v16, 0x7fffffff, v9
	v_ldexp_f64 v[14:15], |v[8:9]|, s6
	v_cmp_ge_f64_e64 vcc, |v[8:9]|, s[0:1]
	s_mov_b32 s0, 0
	s_mov_b32 s1, 0x7ff00000
	v_cndmask_b32_e32 v15, v16, v15, vcc
	v_cndmask_b32_e32 v14, v8, v14, vcc
	v_mul_f64 v[26:27], v[22:23], v[14:15]
	v_mul_f64 v[16:17], v[20:21], v[14:15]
	v_fma_f64 v[22:23], v[22:23], v[14:15], -v[26:27]
	v_add_f64 v[28:29], v[16:17], v[22:23]
	v_add_f64 v[36:37], v[28:29], -v[16:17]
	v_add_f64 v[22:23], v[22:23], -v[36:37]
	v_add_f64 v[36:37], v[28:29], -v[36:37]
	v_add_f64 v[36:37], v[16:17], -v[36:37]
	v_fma_f64 v[16:17], v[20:21], v[14:15], -v[16:17]
	v_mul_f64 v[20:21], v[18:19], v[14:15]
	v_add_f64 v[22:23], v[22:23], v[36:37]
	v_add_f64 v[36:37], v[20:21], v[16:17]
	;; [unrolled: 1-line block ×4, first 2 shown]
	v_ldexp_f64 v[32:33], v[30:31], -2
	v_add_f64 v[26:27], v[30:31], -v[26:27]
	v_add_f64 v[30:31], v[38:39], -v[36:37]
	;; [unrolled: 1-line block ×5, first 2 shown]
	v_add_f64 v[22:23], v[22:23], v[30:31]
	v_add_f64 v[30:31], v[36:37], -v[20:21]
	v_add_f64 v[16:17], v[16:17], -v[30:31]
	;; [unrolled: 1-line block ×4, first 2 shown]
	v_add_f64 v[16:17], v[16:17], v[30:31]
	v_fract_f64_e32 v[34:35], v[32:33]
	v_add_f64 v[16:17], v[16:17], v[22:23]
	v_fma_f64 v[14:15], v[18:19], v[14:15], -v[20:21]
	v_add_f64 v[26:27], v[28:29], -v[26:27]
	v_add_f64 v[14:15], v[14:15], v[16:17]
	v_ldexp_f64 v[16:17], v[34:35], 2
	v_cmp_neq_f64_e64 vcc, |v[32:33]|, s[0:1]
	v_add_f64 v[28:29], v[26:27], v[38:39]
	v_mov_b32_e32 v20, 0x40100000
	v_cndmask_b32_e32 v17, 0, v17, vcc
	v_cndmask_b32_e32 v16, 0, v16, vcc
	v_add_f64 v[18:19], v[28:29], v[16:17]
	v_cmp_gt_f64_e32 vcc, 0, v[18:19]
	v_mov_b32_e32 v18, 0
	v_add_f64 v[26:27], v[28:29], -v[26:27]
	v_cndmask_b32_e32 v19, 0, v20, vcc
	v_add_f64 v[16:17], v[16:17], v[18:19]
	v_add_f64 v[20:21], v[28:29], v[16:17]
	v_cvt_i32_f64_e32 v19, v[20:21]
	v_cvt_f64_i32_e32 v[20:21], v19
	v_add_f64 v[16:17], v[16:17], -v[20:21]
	v_add_f64 v[20:21], v[28:29], v[16:17]
	v_add_f64 v[26:27], v[38:39], -v[26:27]
	v_add_f64 v[16:17], v[20:21], -v[16:17]
	v_add_f64 v[14:15], v[26:27], v[14:15]
	v_add_f64 v[16:17], v[28:29], -v[16:17]
	v_add_f64 v[14:15], v[14:15], v[16:17]
	v_cmp_le_f64_e32 vcc, 0.5, v[20:21]
	v_mov_b32_e32 v16, 0x3ff00000
	s_mov_b32 s6, 0x33145c07
	v_addc_co_u32_e64 v26, s[0:1], 0, v19, vcc
	v_cndmask_b32_e32 v19, 0, v16, vcc
	v_add_f64 v[16:17], v[20:21], -v[18:19]
	v_add_f64 v[18:19], v[16:17], v[14:15]
	s_mov_b32 s0, 0x54442d18
	v_add_f64 v[16:17], v[18:19], -v[16:17]
	s_mov_b32 s1, 0x3ff921fb
	v_add_f64 v[14:15], v[14:15], -v[16:17]
	v_mul_f64 v[16:17], v[18:19], s[0:1]
	v_fma_f64 v[20:21], v[18:19], s[0:1], -v[16:17]
	s_mov_b32 s7, 0x3c91a626
	v_fmac_f64_e32 v[20:21], s[6:7], v[18:19]
	v_fmac_f64_e32 v[20:21], s[0:1], v[14:15]
	v_add_f64 v[14:15], v[16:17], v[20:21]
	v_add_f64 v[16:17], v[14:15], -v[16:17]
	v_add_f64 v[16:17], v[20:21], -v[16:17]
	s_andn2_saveexec_b64 s[0:1], s[4:5]
	s_cbranch_execnz .LBB132_125
	s_branch .LBB132_126
.LBB132_124:
	s_andn2_saveexec_b64 s[0:1], s[4:5]
	s_cbranch_execz .LBB132_126
.LBB132_125:
	s_mov_b32 s4, 0x6dc9c883
	s_mov_b32 s5, 0x3fe45f30
	v_mul_f64 v[14:15], |v[8:9]|, s[4:5]
	s_mov_b32 s4, 0x54442d18
	v_rndne_f64_e32 v[18:19], v[14:15]
	s_mov_b32 s5, 0xbff921fb
	v_fma_f64 v[14:15], v[18:19], s[4:5], |v[8:9]|
	s_mov_b32 s5, 0xbc91a626
	s_mov_b32 s4, 0x33145c00
	v_mul_f64 v[20:21], v[18:19], s[4:5]
	v_add_f64 v[26:27], v[14:15], v[20:21]
	v_fma_f64 v[16:17], s[4:5], v[18:19], v[14:15]
	s_mov_b32 s5, 0x3c91a626
	v_add_f64 v[14:15], v[14:15], -v[26:27]
	v_fma_f64 v[22:23], s[4:5], v[18:19], v[20:21]
	v_add_f64 v[14:15], v[14:15], v[20:21]
	v_add_f64 v[20:21], v[26:27], -v[16:17]
	v_add_f64 v[14:15], v[20:21], v[14:15]
	s_mov_b32 s4, 0x252049c0
	v_add_f64 v[20:21], v[14:15], -v[22:23]
	s_mov_b32 s5, 0xb97b839a
	v_fmac_f64_e32 v[20:21], s[4:5], v[18:19]
	v_add_f64 v[14:15], v[16:17], v[20:21]
	v_add_f64 v[16:17], v[14:15], -v[16:17]
	v_add_f64 v[16:17], v[20:21], -v[16:17]
	v_cvt_i32_f64_e32 v26, v[18:19]
.LBB132_126:
	s_or_b64 exec, exec, s[0:1]
	s_mov_b32 s0, 0x652b82fe
	s_mov_b32 s1, 0x3ff71547
	v_mul_f64 v[18:19], v[6:7], s[0:1]
	v_rndne_f64_e32 v[22:23], v[18:19]
	s_mov_b32 s11, 0xbfe62e42
	s_mov_b32 s10, 0xfefa39ef
	;; [unrolled: 1-line block ×3, first 2 shown]
	v_fma_f64 v[20:21], s[10:11], v[22:23], v[6:7]
	s_mov_b32 s1, 0xbc7abc9e
	v_fmac_f64_e32 v[20:21], s[0:1], v[22:23]
	s_mov_b32 s0, 0x6a5dcb37
	v_mov_b32_e32 v18, 0xfca7ab0c
	v_mov_b32_e32 v19, 0x3e928af3
	s_mov_b32 s1, 0x3e5ade15
	v_fmac_f64_e32 v[18:19], s[0:1], v[20:21]
	v_mov_b32_e32 v28, 0x623fde64
	v_mov_b32_e32 v29, 0x3ec71dee
	v_fmac_f64_e32 v[28:29], v[20:21], v[18:19]
	v_mov_b32_e32 v18, 0x7c89e6b0
	v_mov_b32_e32 v19, 0x3efa0199
	;; [unrolled: 3-line block ×3, first 2 shown]
	v_mov_b64_e32 v[30:31], v[28:29]
	v_mov_b32_e32 v32, 0x1852b7b0
	v_mov_b32_e32 v33, 0x3f56c16c
	v_fmac_f64_e32 v[30:31], v[20:21], v[18:19]
	v_mov_b64_e32 v[18:19], v[32:33]
	v_fmac_f64_e32 v[18:19], v[20:21], v[30:31]
	v_mov_b32_e32 v30, 0x11122322
	v_mov_b32_e32 v31, 0x3f811111
	v_mov_b64_e32 v[34:35], v[30:31]
	v_mov_b32_e32 v36, 0x555502a1
	v_mov_b32_e32 v37, 0x3fa55555
	v_fmac_f64_e32 v[34:35], v[20:21], v[18:19]
	v_mov_b64_e32 v[18:19], v[36:37]
	v_fmac_f64_e32 v[18:19], v[20:21], v[34:35]
	v_mov_b32_e32 v34, 0x55555511
	v_mov_b32_e32 v35, 0x3fc55555
	v_mov_b64_e32 v[38:39], v[34:35]
	v_fmac_f64_e32 v[38:39], v[20:21], v[18:19]
	v_mov_b32_e32 v18, 11
	v_mov_b32_e32 v19, 0x3fe00000
	v_fmac_f64_e32 v[18:19], v[20:21], v[38:39]
	v_fma_f64 v[18:19], v[20:21], v[18:19], 1.0
	s_mov_b32 s8, 0
	s_mov_b32 s0, 0
	v_fma_f64 v[18:19], v[20:21], v[18:19], 1.0
	v_cvt_i32_f64_e32 v27, v[22:23]
	s_mov_b32 s9, 0x40900000
	s_mov_b32 s1, 0xc090cc00
	v_ldexp_f64 v[18:19], v[18:19], v27
	v_mov_b32_e32 v50, 0x7ff00000
	v_cmp_nlt_f64_e32 vcc, s[8:9], v[6:7]
	v_cmp_ngt_f64_e64 s[0:1], s[0:1], v[6:7]
	v_ldexp_f64 v[38:39], 1.0, v27
	v_cndmask_b32_e32 v19, v50, v19, vcc
	s_and_b64 vcc, s[0:1], vcc
	v_cndmask_b32_e64 v19, 0, v19, s[0:1]
	v_cndmask_b32_e32 v18, 0, v18, vcc
	v_mov_b32_e32 v27, 0x7fe00000
	v_cmp_eq_f64_e32 vcc, s[8:9], v[22:23]
	s_mov_b32 s0, 0xa9d67f34
	s_mov_b32 s1, 0x3e21f32e
	v_cndmask_b32_e32 v23, v39, v27, vcc
	v_cndmask_b32_e64 v22, v38, 0, vcc
	v_mov_b32_e32 v38, 0x2a1b768b
	v_mov_b32_e32 v39, 0x3e5af4eb
	v_fmac_f64_e32 v[38:39], s[0:1], v[20:21]
	v_mov_b32_e32 v48, 0xe0ac05b
	v_mov_b32_e32 v49, 0x3e927e50
	v_fmac_f64_e32 v[48:49], v[20:21], v[38:39]
	;; [unrolled: 3-line block ×4, first 2 shown]
	v_mov_b32_e32 v28, 0x1ac1a723
	v_fmac_f64_e32 v[28:29], v[20:21], v[48:49]
	v_mov_b32_e32 v32, 0x16c18931
	v_fmac_f64_e32 v[32:33], v[20:21], v[28:29]
	;; [unrolled: 2-line block ×5, first 2 shown]
	v_fma_f64 v[28:29], v[20:21], v[34:35], 0.5
	v_mul_f64 v[28:29], v[20:21], v[28:29]
	v_fmac_f64_e32 v[20:21], v[20:21], v[28:29]
	v_add_f64 v[28:29], v[22:23], -1.0
	v_fmac_f64_e32 v[28:29], v[22:23], v[20:21]
	v_add_f64 v[20:21], v[28:29], v[28:29]
	s_mov_b32 s11, 0x40862e42
	s_mov_b32 s0, 0
	v_cndmask_b32_e32 v20, v28, v20, vcc
	v_cndmask_b32_e32 v21, v29, v21, vcc
	v_cmp_nlt_f64_e32 vcc, s[10:11], v[6:7]
	s_mov_b32 s1, 0xc0428000
	v_mov_b32_e32 v22, 0xbff00000
	v_cndmask_b32_e32 v21, v50, v21, vcc
	v_cmp_ngt_f64_e64 s[0:1], s[0:1], v[6:7]
	s_and_b64 vcc, s[0:1], vcc
	s_mov_b32 s10, 0x46cc5e42
	v_cndmask_b32_e64 v7, v22, v21, s[0:1]
	s_mov_b32 s0, 0x9037ab78
	s_mov_b32 s1, 0x3e21eeb6
	v_cndmask_b32_e32 v6, 0, v20, vcc
	v_mul_f64 v[22:23], v[10:11], v[10:11]
	s_mov_b32 s11, 0xbda907db
	v_mov_b64_e32 v[20:21], s[0:1]
	s_mov_b32 s12, 0xa17f65f6
	s_mov_b32 s8, 0x19f4ec90
	v_mul_f64 v[28:29], v[22:23], 0.5
	v_fma_f64 v[34:35], s[10:11], v[22:23], v[20:21]
	s_mov_b32 s13, 0xbe927e4f
	s_mov_b32 s9, 0x3efa01a0
	v_add_f64 v[30:31], -v[28:29], 1.0
	v_fma_f64 v[34:35], v[22:23], v[34:35], s[12:13]
	s_mov_b32 s14, 0x16c16967
	s_mov_b32 s6, 0x55555555
	v_fma_f64 v[34:35], v[22:23], v[34:35], s[8:9]
	s_mov_b32 s15, 0xbf56c16c
	v_add_f64 v[36:37], -v[30:31], 1.0
	s_mov_b32 s7, 0x3fa55555
	v_fma_f64 v[34:35], v[22:23], v[34:35], s[14:15]
	v_add_f64 v[28:29], v[36:37], -v[28:29]
	s_mov_b32 s0, 0xb42fdfa7
	v_mul_f64 v[32:33], v[22:23], v[22:23]
	v_fma_f64 v[34:35], v[22:23], v[34:35], s[6:7]
	v_fma_f64 v[28:29], v[10:11], -v[12:13], v[28:29]
	s_mov_b32 s1, 0xbe5ae600
	s_mov_b32 s16, 0xf9a43bb8
	v_fmac_f64_e32 v[28:29], v[32:33], v[34:35]
	s_mov_b32 s17, 0x3de5e0b2
	v_mov_b64_e32 v[32:33], s[0:1]
	s_mov_b32 s18, 0x796cde01
	v_fma_f64 v[34:35], s[16:17], v[22:23], v[32:33]
	s_mov_b32 s19, 0x3ec71de3
	s_mov_b32 s20, 0x19e83e5c
	;; [unrolled: 1-line block ×3, first 2 shown]
	v_fma_f64 v[34:35], v[22:23], v[34:35], s[18:19]
	s_mov_b32 s21, 0xbf2a01a0
	s_mov_b32 s5, 0x3f811111
	v_fma_f64 v[34:35], v[22:23], v[34:35], s[20:21]
	v_add_f64 v[28:29], v[30:31], v[28:29]
	v_mul_f64 v[30:31], v[10:11], -v[22:23]
	v_fma_f64 v[34:35], v[22:23], v[34:35], s[4:5]
	v_mul_f64 v[36:37], v[12:13], 0.5
	v_fmac_f64_e32 v[36:37], v[30:31], v[34:35]
	v_fma_f64 v[12:13], v[22:23], v[36:37], -v[12:13]
	s_mov_b32 s23, 0xbfc55555
	s_mov_b32 s22, s6
	v_fmac_f64_e32 v[12:13], s[22:23], v[30:31]
	v_and_b32_e32 v27, 1, v25
	v_add_f64 v[10:11], v[10:11], -v[12:13]
	v_xor_b32_e32 v11, 0x80000000, v11
	v_cmp_eq_u32_e32 vcc, 0, v27
	s_brev_b32 s25, 1
	v_lshlrev_b32_e32 v12, 30, v25
	v_cndmask_b32_e32 v11, v11, v29, vcc
	v_bitop3_b32 v11, v11, v12, s25 bitop3:0x78
	v_mul_f64 v[12:13], v[2:3], v[2:3]
	v_cndmask_b32_e32 v10, v10, v28, vcc
	v_fma_f64 v[28:29], s[16:17], v[12:13], v[32:33]
	v_fma_f64 v[28:29], v[12:13], v[28:29], s[18:19]
	;; [unrolled: 1-line block ×3, first 2 shown]
	v_mul_f64 v[22:23], v[2:3], -v[12:13]
	v_fma_f64 v[28:29], v[12:13], v[28:29], s[4:5]
	v_mul_f64 v[30:31], v[4:5], 0.5
	v_fmac_f64_e32 v[30:31], v[22:23], v[28:29]
	v_fma_f64 v[28:29], v[12:13], v[30:31], -v[4:5]
	v_fma_f64 v[36:37], s[10:11], v[12:13], v[20:21]
	v_fmac_f64_e32 v[28:29], s[22:23], v[22:23]
	v_fma_f64 v[36:37], v[12:13], v[36:37], s[12:13]
	v_add_f64 v[22:23], v[2:3], -v[28:29]
	v_mul_f64 v[28:29], v[12:13], 0.5
	v_fma_f64 v[36:37], v[12:13], v[36:37], s[8:9]
	v_add_f64 v[30:31], -v[28:29], 1.0
	v_fma_f64 v[36:37], v[12:13], v[36:37], s[14:15]
	v_mul_f64 v[34:35], v[12:13], v[12:13]
	v_fma_f64 v[12:13], v[12:13], v[36:37], s[6:7]
	v_add_f64 v[36:37], -v[30:31], 1.0
	v_add_f64 v[28:29], v[36:37], -v[28:29]
	v_fma_f64 v[2:3], v[2:3], -v[4:5], v[28:29]
	v_and_b32_e32 v25, 1, v24
	v_fmac_f64_e32 v[2:3], v[34:35], v[12:13]
	v_add_f64 v[2:3], v[30:31], v[2:3]
	v_cmp_eq_u32_e64 s[0:1], 0, v25
	v_lshlrev_b32_e32 v4, 30, v24
	s_movk_i32 s24, 0x1f8
	v_cndmask_b32_e64 v3, v3, v23, s[0:1]
	v_xor_b32_e32 v4, v4, v1
	v_cmp_class_f64_e64 vcc, v[8:9], s24
	v_mov_b32_e32 v8, 0x7ff80000
	v_cndmask_b32_e64 v2, v2, v22, s[0:1]
	v_bitop3_b32 v3, v3, v4, s25 bitop3:0x78
	v_cmp_class_f64_e64 s[0:1], v[0:1], s24
	v_cndmask_b32_e32 v10, 0, v10, vcc
	v_cndmask_b32_e32 v11, v8, v11, vcc
	v_cndmask_b32_e64 v0, 0, v2, s[0:1]
	v_cndmask_b32_e64 v1, v8, v3, s[0:1]
	v_add_f64 v[2:3], v[0:1], v[0:1]
	v_mul_f64 v[0:1], v[2:3], v[0:1]
	v_mul_f64 v[2:3], v[14:15], v[14:15]
	v_mul_f64 v[4:5], v[2:3], 0.5
	v_fmac_f64_e32 v[20:21], s[10:11], v[2:3]
	v_fma_f64 v[0:1], v[6:7], v[10:11], -v[0:1]
	v_add_f64 v[6:7], -v[4:5], 1.0
	v_fma_f64 v[12:13], v[2:3], v[20:21], s[12:13]
	v_add_f64 v[10:11], -v[6:7], 1.0
	v_fma_f64 v[12:13], v[2:3], v[12:13], s[8:9]
	v_add_f64 v[4:5], v[10:11], -v[4:5]
	v_fma_f64 v[12:13], v[2:3], v[12:13], s[14:15]
	v_mul_f64 v[10:11], v[2:3], v[2:3]
	v_fma_f64 v[12:13], v[2:3], v[12:13], s[6:7]
	v_fma_f64 v[4:5], v[14:15], -v[16:17], v[4:5]
	v_fmac_f64_e32 v[4:5], v[10:11], v[12:13]
	v_fmac_f64_e32 v[32:33], s[16:17], v[2:3]
	v_add_f64 v[4:5], v[6:7], v[4:5]
	v_fma_f64 v[6:7], v[2:3], v[32:33], s[18:19]
	v_fma_f64 v[6:7], v[2:3], v[6:7], s[20:21]
	;; [unrolled: 1-line block ×3, first 2 shown]
	v_mul_f64 v[10:11], v[14:15], -v[2:3]
	v_mul_f64 v[12:13], v[16:17], 0.5
	v_fmac_f64_e32 v[12:13], v[10:11], v[6:7]
	v_fma_f64 v[2:3], v[2:3], v[12:13], -v[16:17]
	v_fmac_f64_e32 v[2:3], s[22:23], v[10:11]
	v_and_b32_e32 v6, 1, v26
	v_add_f64 v[2:3], v[14:15], -v[2:3]
	v_cmp_eq_u32_e64 s[0:1], 0, v6
	s_nop 1
	v_cndmask_b32_e64 v2, v4, v2, s[0:1]
	v_lshlrev_b32_e32 v4, 30, v26
	v_cndmask_b32_e64 v3, v5, v3, s[0:1]
	v_xor_b32_e32 v4, v4, v9
	v_bitop3_b32 v3, v3, v4, s25 bitop3:0x78
	v_cndmask_b32_e32 v2, 0, v2, vcc
	v_cndmask_b32_e32 v3, v8, v3, vcc
	v_mul_f64 v[2:3], v[18:19], v[2:3]
	s_or_b64 exec, exec, s[2:3]
	s_setpc_b64 s[30:31]
.Lfunc_end132:
	.size	_ZN2at6native6invokeIZZZNS0_17expm1_kernel_cudaERNS_18TensorIteratorBaseEENKUlvE_clEvENKUlvE1_clEvEUlN3c107complexIdEEE_j15function_traitsIS9_EEENT1_11result_typeERKT_PrKPcPKT0_PKNS6_10ScalarTypeEi, .Lfunc_end132-_ZN2at6native6invokeIZZZNS0_17expm1_kernel_cudaERNS_18TensorIteratorBaseEENKUlvE_clEvENKUlvE1_clEvEUlN3c107complexIdEEE_j15function_traitsIS9_EEENT1_11result_typeERKT_PrKPcPKT0_PKNS6_10ScalarTypeEi
                                        ; -- End function
	.set .L_ZN2at6native6invokeIZZZNS0_17expm1_kernel_cudaERNS_18TensorIteratorBaseEENKUlvE_clEvENKUlvE1_clEvEUlN3c107complexIdEEE_j15function_traitsIS9_EEENT1_11result_typeERKT_PrKPcPKT0_PKNS6_10ScalarTypeEi.num_vgpr, 51
	.set .L_ZN2at6native6invokeIZZZNS0_17expm1_kernel_cudaERNS_18TensorIteratorBaseEENKUlvE_clEvENKUlvE1_clEvEUlN3c107complexIdEEE_j15function_traitsIS9_EEENT1_11result_typeERKT_PrKPcPKT0_PKNS6_10ScalarTypeEi.num_agpr, 0
	.set .L_ZN2at6native6invokeIZZZNS0_17expm1_kernel_cudaERNS_18TensorIteratorBaseEENKUlvE_clEvENKUlvE1_clEvEUlN3c107complexIdEEE_j15function_traitsIS9_EEENT1_11result_typeERKT_PrKPcPKT0_PKNS6_10ScalarTypeEi.numbered_sgpr, 32
	.set .L_ZN2at6native6invokeIZZZNS0_17expm1_kernel_cudaERNS_18TensorIteratorBaseEENKUlvE_clEvENKUlvE1_clEvEUlN3c107complexIdEEE_j15function_traitsIS9_EEENT1_11result_typeERKT_PrKPcPKT0_PKNS6_10ScalarTypeEi.num_named_barrier, 0
	.set .L_ZN2at6native6invokeIZZZNS0_17expm1_kernel_cudaERNS_18TensorIteratorBaseEENKUlvE_clEvENKUlvE1_clEvEUlN3c107complexIdEEE_j15function_traitsIS9_EEENT1_11result_typeERKT_PrKPcPKT0_PKNS6_10ScalarTypeEi.private_seg_size, 0
	.set .L_ZN2at6native6invokeIZZZNS0_17expm1_kernel_cudaERNS_18TensorIteratorBaseEENKUlvE_clEvENKUlvE1_clEvEUlN3c107complexIdEEE_j15function_traitsIS9_EEENT1_11result_typeERKT_PrKPcPKT0_PKNS6_10ScalarTypeEi.uses_vcc, 1
	.set .L_ZN2at6native6invokeIZZZNS0_17expm1_kernel_cudaERNS_18TensorIteratorBaseEENKUlvE_clEvENKUlvE1_clEvEUlN3c107complexIdEEE_j15function_traitsIS9_EEENT1_11result_typeERKT_PrKPcPKT0_PKNS6_10ScalarTypeEi.uses_flat_scratch, 0
	.set .L_ZN2at6native6invokeIZZZNS0_17expm1_kernel_cudaERNS_18TensorIteratorBaseEENKUlvE_clEvENKUlvE1_clEvEUlN3c107complexIdEEE_j15function_traitsIS9_EEENT1_11result_typeERKT_PrKPcPKT0_PKNS6_10ScalarTypeEi.has_dyn_sized_stack, 0
	.set .L_ZN2at6native6invokeIZZZNS0_17expm1_kernel_cudaERNS_18TensorIteratorBaseEENKUlvE_clEvENKUlvE1_clEvEUlN3c107complexIdEEE_j15function_traitsIS9_EEENT1_11result_typeERKT_PrKPcPKT0_PKNS6_10ScalarTypeEi.has_recursion, 0
	.set .L_ZN2at6native6invokeIZZZNS0_17expm1_kernel_cudaERNS_18TensorIteratorBaseEENKUlvE_clEvENKUlvE1_clEvEUlN3c107complexIdEEE_j15function_traitsIS9_EEENT1_11result_typeERKT_PrKPcPKT0_PKNS6_10ScalarTypeEi.has_indirect_call, 0
	.section	.AMDGPU.csdata,"",@progbits
; Function info:
; codeLenInByte = 6628
; TotalNumSgprs: 38
; NumVgprs: 51
; NumAgprs: 0
; TotalNumVgprs: 51
; ScratchSize: 0
; MemoryBound: 1
	.section	.text._ZN2at6native32elementwise_kernel_manual_unrollILi128ELi4EZNS0_15gpu_kernel_implIZZZNS0_17expm1_kernel_cudaERNS_18TensorIteratorBaseEENKUlvE_clEvENKUlvE1_clEvEUlN3c107complexIdEEE_EEvS4_RKT_EUlibE0_EEviT1_,"axG",@progbits,_ZN2at6native32elementwise_kernel_manual_unrollILi128ELi4EZNS0_15gpu_kernel_implIZZZNS0_17expm1_kernel_cudaERNS_18TensorIteratorBaseEENKUlvE_clEvENKUlvE1_clEvEUlN3c107complexIdEEE_EEvS4_RKT_EUlibE0_EEviT1_,comdat
	.globl	_ZN2at6native32elementwise_kernel_manual_unrollILi128ELi4EZNS0_15gpu_kernel_implIZZZNS0_17expm1_kernel_cudaERNS_18TensorIteratorBaseEENKUlvE_clEvENKUlvE1_clEvEUlN3c107complexIdEEE_EEvS4_RKT_EUlibE0_EEviT1_ ; -- Begin function _ZN2at6native32elementwise_kernel_manual_unrollILi128ELi4EZNS0_15gpu_kernel_implIZZZNS0_17expm1_kernel_cudaERNS_18TensorIteratorBaseEENKUlvE_clEvENKUlvE1_clEvEUlN3c107complexIdEEE_EEvS4_RKT_EUlibE0_EEviT1_
	.p2align	8
	.type	_ZN2at6native32elementwise_kernel_manual_unrollILi128ELi4EZNS0_15gpu_kernel_implIZZZNS0_17expm1_kernel_cudaERNS_18TensorIteratorBaseEENKUlvE_clEvENKUlvE1_clEvEUlN3c107complexIdEEE_EEvS4_RKT_EUlibE0_EEviT1_,@function
_ZN2at6native32elementwise_kernel_manual_unrollILi128ELi4EZNS0_15gpu_kernel_implIZZZNS0_17expm1_kernel_cudaERNS_18TensorIteratorBaseEENKUlvE_clEvENKUlvE1_clEvEUlN3c107complexIdEEE_EEvS4_RKT_EUlibE0_EEviT1_: ; @_ZN2at6native32elementwise_kernel_manual_unrollILi128ELi4EZNS0_15gpu_kernel_implIZZZNS0_17expm1_kernel_cudaERNS_18TensorIteratorBaseEENKUlvE_clEvENKUlvE1_clEvEUlN3c107complexIdEEE_EEvS4_RKT_EUlibE0_EEviT1_
; %bb.0:
	s_load_dword s72, s[0:1], 0x0
	s_load_dword s33, s[0:1], 0x8
	s_mov_b64 s[26:27], s[0:1]
	s_add_u32 s28, s26, 8
	s_addc_u32 s29, s27, 0
	v_lshl_or_b32 v44, s2, 9, v0
	s_waitcnt lgkmcnt(0)
	s_add_i32 s74, s33, -1
	v_or_b32_e32 v0, 0x180, v44
	s_cmp_gt_u32 s74, 1
	v_cmp_le_i32_e32 vcc, s72, v0
	s_cselect_b64 s[48:49], -1, 0
	s_mov_b64 s[34:35], 0
	s_mov_b64 s[40:41], 0
	s_mov_b32 s32, 0
	s_and_saveexec_b64 s[0:1], vcc
	s_xor_b64 s[50:51], exec, s[0:1]
	s_cbranch_execz .LBB133_574
; %bb.1:
	v_mov_b32_e32 v0, 0
	global_load_ushort v0, v0, s[28:29] offset:345
	s_load_dwordx4 s[44:47], s[28:29], 0x4
	s_load_dwordx2 s[52:53], s[28:29], 0x14
	s_load_dwordx4 s[40:43], s[28:29], 0xc4
	s_load_dwordx4 s[36:39], s[28:29], 0x148
	s_cmp_lg_u32 s33, 0
	s_cselect_b64 s[58:59], -1, 0
	s_add_u32 s56, s28, 0xc4
	s_addc_u32 s57, s29, 0
	s_min_u32 s76, s74, 15
	v_mov_b32_e32 v1, 8
	s_cmp_gt_u32 s33, 1
	v_cmp_gt_i32_e32 vcc, s72, v44
	s_mov_b64 s[0:1], -1
	s_mov_b64 s[66:67], 0
	s_cselect_b64 s[54:55], -1, 0
	s_mov_b64 s[60:61], 0
	s_waitcnt vmcnt(0)
	v_readfirstlane_b32 s75, v0
	v_lshrrev_b32_sdwa v40, v1, v0 dst_sel:DWORD dst_unused:UNUSED_PAD src0_sel:DWORD src1_sel:WORD_0
	s_and_saveexec_b64 s[62:63], vcc
	s_cbranch_execz .LBB133_139
; %bb.2:
	s_andn2_b64 vcc, exec, s[48:49]
	s_cbranch_vccnz .LBB133_8
; %bb.3:
	s_andn2_b64 vcc, exec, s[58:59]
	s_cbranch_vccnz .LBB133_9
; %bb.4:
	s_add_i32 s25, s76, 1
	s_cmp_eq_u32 s74, 2
	s_cbranch_scc1 .LBB133_10
; %bb.5:
	s_and_b32 s24, s25, 28
	s_mov_b32 s30, 0
	v_mov_b32_e32 v42, 0
	v_mov_b32_e32 v2, 0
	s_mov_b64 s[20:21], s[28:29]
	s_mov_b64 s[22:23], s[56:57]
	v_mov_b32_e32 v0, v44
.LBB133_6:                              ; =>This Inner Loop Header: Depth=1
	s_load_dwordx8 s[8:15], s[20:21], 0x4
	s_load_dwordx4 s[16:19], s[20:21], 0x24
	s_load_dwordx8 s[0:7], s[22:23], 0x0
	s_add_u32 s20, s20, 48
	s_addc_u32 s21, s21, 0
	s_waitcnt lgkmcnt(0)
	v_mul_hi_u32 v1, s9, v0
	v_add_u32_e32 v1, v0, v1
	v_lshrrev_b32_e32 v1, s10, v1
	v_mul_lo_u32 v3, v1, s8
	v_mul_hi_u32 v4, s12, v1
	v_sub_u32_e32 v0, v0, v3
	v_add_u32_e32 v3, v1, v4
	v_lshrrev_b32_e32 v3, s13, v3
	v_mul_lo_u32 v5, v3, s11
	v_mul_hi_u32 v6, s15, v3
	v_sub_u32_e32 v1, v1, v5
	v_add_u32_e32 v5, v3, v6
	v_mul_lo_u32 v4, v0, s1
	v_mul_lo_u32 v0, v0, s0
	;; [unrolled: 1-line block ×4, first 2 shown]
	v_lshrrev_b32_e32 v5, s16, v5
	v_add3_u32 v1, v0, v42, v1
	v_add3_u32 v2, v4, v2, v6
	v_mul_lo_u32 v0, v5, s14
	v_mul_hi_u32 v4, s18, v5
	v_sub_u32_e32 v0, v3, v0
	v_add_u32_e32 v3, v5, v4
	v_mul_lo_u32 v4, v0, s4
	v_mul_lo_u32 v6, v0, s5
	v_lshrrev_b32_e32 v0, s19, v3
	s_add_i32 s30, s30, 4
	v_mul_lo_u32 v3, v0, s17
	s_add_u32 s22, s22, 32
	v_sub_u32_e32 v3, v5, v3
	s_addc_u32 s23, s23, 0
	v_mul_lo_u32 v5, v3, s6
	v_mul_lo_u32 v3, v3, s7
	s_cmp_lg_u32 s24, s30
	v_add3_u32 v2, v6, v2, v3
	v_add3_u32 v42, v4, v1, v5
	s_cbranch_scc1 .LBB133_6
; %bb.7:
	v_mov_b32_e32 v1, v2
	s_branch .LBB133_11
.LBB133_8:
                                        ; implicit-def: $vgpr2
                                        ; implicit-def: $vgpr42
	s_andn2_b64 vcc, exec, s[0:1]
	s_cbranch_vccz .LBB133_15
	s_branch .LBB133_17
.LBB133_9:
	v_mov_b32_e32 v2, 0
	v_mov_b32_e32 v42, 0
	s_branch .LBB133_14
.LBB133_10:
	v_mov_b32_e32 v42, 0
	s_mov_b32 s24, 0
	v_mov_b32_e32 v1, v42
                                        ; implicit-def: $vgpr2
	v_mov_b32_e32 v0, v44
.LBB133_11:
	s_and_b32 s4, s25, 3
	s_cmp_eq_u32 s4, 0
	s_cbranch_scc1 .LBB133_14
; %bb.12:
	s_lshl_b32 s0, s24, 3
	s_add_u32 s0, s28, s0
	s_addc_u32 s1, s29, 0
	s_add_u32 s0, s0, 0xc4
	s_addc_u32 s1, s1, 0
	s_mul_i32 s2, s24, 12
	s_add_u32 s2, s28, s2
	s_addc_u32 s3, s29, 0
.LBB133_13:                             ; =>This Inner Loop Header: Depth=1
	s_load_dwordx2 s[6:7], s[2:3], 0x4
	s_load_dword s5, s[2:3], 0xc
	s_load_dwordx2 s[8:9], s[0:1], 0x0
	v_mov_b32_e32 v2, v1
	s_add_u32 s2, s2, 12
	s_waitcnt lgkmcnt(0)
	v_mul_hi_u32 v1, s7, v0
	v_add_u32_e32 v1, v0, v1
	v_lshrrev_b32_e32 v1, s5, v1
	s_addc_u32 s3, s3, 0
	v_mul_lo_u32 v3, v1, s6
	s_add_u32 s0, s0, 8
	v_sub_u32_e32 v4, v0, v3
	s_addc_u32 s1, s1, 0
	s_add_i32 s4, s4, -1
	v_mad_u64_u32 v[2:3], s[6:7], v4, s9, v[2:3]
	s_cmp_lg_u32 s4, 0
	v_mov_b32_e32 v0, v1
	v_mad_u64_u32 v[42:43], s[6:7], v4, s8, v[42:43]
	v_mov_b32_e32 v1, v2
	s_cbranch_scc1 .LBB133_13
.LBB133_14:
	s_cbranch_execnz .LBB133_17
.LBB133_15:
	s_waitcnt lgkmcnt(0)
	v_mul_hi_u32 v0, s45, v44
	v_add_u32_e32 v0, v44, v0
	v_lshrrev_b32_e32 v0, s46, v0
	v_mul_lo_u32 v1, v0, s44
	v_sub_u32_e32 v1, v44, v1
	v_mul_lo_u32 v2, v1, s41
	s_andn2_b64 vcc, exec, s[54:55]
	v_mul_lo_u32 v42, v1, s40
	s_cbranch_vccnz .LBB133_17
; %bb.16:
	v_mul_hi_u32 v1, s52, v0
	v_add_u32_e32 v1, v0, v1
	v_lshrrev_b32_e32 v1, s53, v1
	v_mul_lo_u32 v1, v1, s47
	v_sub_u32_e32 v0, v0, v1
	v_mad_u64_u32 v[42:43], s[0:1], v0, s42, v[42:43]
	v_mad_u64_u32 v[2:3], s[0:1], v0, s43, v[2:3]
.LBB133_17:
	s_getpc_b64 s[0:1]
	s_add_u32 s0, s0, _ZN2at6native6invokeIZZZNS0_17expm1_kernel_cudaERNS_18TensorIteratorBaseEENKUlvE_clEvENKUlvE1_clEvEUlN3c107complexIdEEE_j15function_traitsIS9_EEENT1_11result_typeERKT_PrKPcPKT0_PKNS6_10ScalarTypeEi@rel32@lo+4
	s_addc_u32 s1, s1, _ZN2at6native6invokeIZZZNS0_17expm1_kernel_cudaERNS_18TensorIteratorBaseEENKUlvE_clEvENKUlvE1_clEvEUlN3c107complexIdEEE_j15function_traitsIS9_EEENT1_11result_typeERKT_PrKPcPKT0_PKNS6_10ScalarTypeEi@rel32@hi+12
	s_waitcnt lgkmcnt(0)
	v_mov_b32_e32 v0, s38
	v_mov_b32_e32 v1, s39
	;; [unrolled: 1-line block ×3, first 2 shown]
	s_swappc_b64 s[30:31], s[0:1]
	v_mov_b32_e32 v43, 0
	s_and_b32 s8, s75, 0xff
	s_cmp_lt_i32 s8, 11
	v_lshl_add_u64 v[4:5], s[36:37], 0, v[42:43]
	s_cbranch_scc1 .LBB133_24
; %bb.18:
	s_and_b32 s9, 0xffff, s8
	s_cmp_gt_i32 s9, 25
	s_cbranch_scc0 .LBB133_27
; %bb.19:
	s_cmp_gt_i32 s9, 28
	s_cbranch_scc0 .LBB133_28
; %bb.20:
	;; [unrolled: 3-line block ×4, first 2 shown]
	s_mov_b64 s[4:5], 0
	s_mov_b64 s[2:3], -1
	s_cmp_eq_u32 s9, 46
	s_mov_b64 s[0:1], 0
	s_cbranch_scc0 .LBB133_31
; %bb.23:
	v_cvt_f32_f64_e32 v7, v[2:3]
	s_movk_i32 s0, 0x7fff
	v_bfe_u32 v9, v7, 16, 1
	v_cvt_f32_f64_e32 v6, v[0:1]
	v_add3_u32 v9, v7, v9, s0
	v_bfe_u32 v8, v6, 16, 1
	v_and_b32_e32 v9, 0xffff0000, v9
	v_mov_b32_e32 v10, 0x7fc00000
	v_cmp_o_f32_e32 vcc, v7, v7
	v_add3_u32 v8, v6, v8, s0
	s_mov_b64 s[0:1], -1
	v_cndmask_b32_e32 v7, v10, v9, vcc
	v_cmp_o_f32_e32 vcc, v6, v6
	v_mov_b32_e32 v6, 0x7fc0
	s_mov_b64 s[2:3], 0
	v_cndmask_b32_sdwa v6, v6, v8, vcc dst_sel:DWORD dst_unused:UNUSED_PAD src0_sel:DWORD src1_sel:WORD_1
	v_or_b32_e32 v6, v7, v6
	global_store_dword v[4:5], v6, off
	s_branch .LBB133_31
.LBB133_24:
	s_mov_b64 s[2:3], 0
	s_mov_b64 s[0:1], 0
	s_cbranch_execnz .LBB133_99
.LBB133_25:
	s_andn2_b64 vcc, exec, s[0:1]
	s_cbranch_vccnz .LBB133_137
.LBB133_26:
	v_add_u32_e32 v44, 0x80, v44
	s_mov_b64 s[0:1], -1
	s_branch .LBB133_138
.LBB133_27:
	s_mov_b64 s[2:3], 0
	s_mov_b64 s[0:1], 0
	s_cbranch_execnz .LBB133_58
	s_branch .LBB133_98
.LBB133_28:
	s_mov_b64 s[4:5], -1
	s_mov_b64 s[2:3], 0
	s_mov_b64 s[0:1], 0
	s_branch .LBB133_41
.LBB133_29:
	s_mov_b64 s[4:5], -1
	s_mov_b64 s[2:3], 0
	s_mov_b64 s[0:1], 0
	s_branch .LBB133_37
.LBB133_30:
	s_mov_b64 s[4:5], -1
	s_mov_b64 s[2:3], 0
	s_mov_b64 s[0:1], 0
.LBB133_31:
	s_and_b64 vcc, exec, s[4:5]
	s_cbranch_vccz .LBB133_36
; %bb.32:
	s_cmp_eq_u32 s9, 44
	s_mov_b64 s[2:3], -1
	s_cbranch_scc0 .LBB133_36
; %bb.33:
	v_cvt_f32_f64_e32 v6, v[0:1]
	v_bfe_u32 v7, v6, 23, 8
	s_movk_i32 s0, 0xff
	v_cmp_ne_u32_e32 vcc, s0, v7
	v_mov_b32_e32 v8, 0xff
	s_and_saveexec_b64 s[2:3], vcc
; %bb.34:
	s_mov_b32 s0, 0x3fffff
	v_lshrrev_b32_e32 v8, 23, v6
	v_and_b32_e32 v9, 0x400000, v6
	v_and_or_b32 v6, v6, s0, v7
	v_cmp_ne_u32_e32 vcc, 0, v9
	v_cmp_ne_u32_e64 s[0:1], 0, v6
	s_and_b64 s[0:1], vcc, s[0:1]
	s_nop 0
	v_cndmask_b32_e64 v6, 0, 1, s[0:1]
	v_add_u32_e32 v8, v8, v6
; %bb.35:
	s_or_b64 exec, exec, s[2:3]
	s_mov_b64 s[0:1], -1
	s_mov_b64 s[2:3], 0
	global_store_byte v[4:5], v8, off
.LBB133_36:
	s_mov_b64 s[4:5], 0
.LBB133_37:
	s_and_b64 vcc, exec, s[4:5]
	s_cbranch_vccz .LBB133_40
; %bb.38:
	s_cmp_eq_u32 s9, 29
	s_mov_b64 s[2:3], -1
	s_cbranch_scc0 .LBB133_40
; %bb.39:
	v_trunc_f64_e32 v[6:7], v[0:1]
	s_movk_i32 s0, 0xffe0
	v_ldexp_f64 v[8:9], v[6:7], s0
	v_floor_f64_e32 v[8:9], v[8:9]
	v_fmac_f64_e32 v[6:7], 0xc1f00000, v[8:9]
	v_cvt_u32_f64_e32 v11, v[8:9]
	v_cvt_u32_f64_e32 v10, v[6:7]
	global_store_dwordx2 v[4:5], v[10:11], off
	s_mov_b64 s[0:1], -1
	s_mov_b64 s[2:3], 0
.LBB133_40:
	s_mov_b64 s[4:5], 0
.LBB133_41:
	s_and_b64 vcc, exec, s[4:5]
	s_cbranch_vccz .LBB133_57
; %bb.42:
	s_cmp_lt_i32 s9, 27
	s_mov_b64 s[0:1], -1
	s_cbranch_scc1 .LBB133_48
; %bb.43:
	s_cmp_gt_i32 s9, 27
	s_cbranch_scc0 .LBB133_45
; %bb.44:
	v_cvt_u32_f64_e32 v6, v[0:1]
	s_mov_b64 s[0:1], 0
	global_store_dword v[4:5], v6, off
.LBB133_45:
	s_andn2_b64 vcc, exec, s[0:1]
	s_cbranch_vccnz .LBB133_47
; %bb.46:
	v_cvt_u32_f64_e32 v6, v[0:1]
	global_store_short v[4:5], v6, off
.LBB133_47:
	s_mov_b64 s[0:1], 0
.LBB133_48:
	s_andn2_b64 vcc, exec, s[0:1]
	s_cbranch_vccnz .LBB133_56
; %bb.49:
	v_cvt_f32_f64_e32 v6, v[0:1]
	v_and_b32_e32 v7, 0x7fffffff, v6
	s_mov_b32 s0, 0x43800000
	v_cmp_gt_u32_e32 vcc, s0, v7
	v_mov_b32_e32 v8, 0x80
	s_and_saveexec_b64 s[0:1], vcc
	s_cbranch_execz .LBB133_55
; %bb.50:
	s_mov_b32 s4, 0x3bffffff
	v_cmp_lt_u32_e32 vcc, s4, v7
	s_mov_b64 s[4:5], 0
                                        ; implicit-def: $vgpr7
	s_and_saveexec_b64 s[6:7], vcc
	s_xor_b64 s[6:7], exec, s[6:7]
	s_cbranch_execz .LBB133_171
; %bb.51:
	v_bfe_u32 v7, v6, 20, 1
	s_mov_b32 s10, 0x487ffff
	v_add3_u32 v7, v6, v7, s10
	s_mov_b64 s[4:5], exec
	v_lshrrev_b32_e32 v7, 20, v7
	s_andn2_saveexec_b64 s[6:7], s[6:7]
	s_cbranch_execnz .LBB133_172
.LBB133_52:
	s_or_b64 exec, exec, s[6:7]
	v_mov_b32_e32 v8, 0
	s_and_saveexec_b64 s[6:7], s[4:5]
.LBB133_53:
	v_lshrrev_b32_e32 v6, 24, v6
	s_movk_i32 s4, 0x80
	v_and_or_b32 v8, v6, s4, v7
.LBB133_54:
	s_or_b64 exec, exec, s[6:7]
.LBB133_55:
	s_or_b64 exec, exec, s[0:1]
	global_store_byte v[4:5], v8, off
.LBB133_56:
	s_mov_b64 s[0:1], -1
.LBB133_57:
	s_branch .LBB133_98
.LBB133_58:
	s_cmp_gt_i32 s9, 22
	s_mov_b64 s[4:5], -1
	s_cbranch_scc0 .LBB133_90
; %bb.59:
	s_cmp_lt_i32 s9, 24
	s_mov_b64 s[0:1], -1
	s_cbranch_scc1 .LBB133_79
; %bb.60:
	s_cmp_gt_i32 s9, 24
	s_cbranch_scc0 .LBB133_68
; %bb.61:
	v_cvt_f32_f64_e32 v6, v[0:1]
	v_and_b32_e32 v7, 0x7fffffff, v6
	s_mov_b32 s0, 0x47800000
	v_cmp_gt_u32_e32 vcc, s0, v7
	v_mov_b32_e32 v8, 0x80
	s_and_saveexec_b64 s[0:1], vcc
	s_cbranch_execz .LBB133_67
; %bb.62:
	s_mov_b32 s4, 0x37ffffff
	v_cmp_lt_u32_e32 vcc, s4, v7
	s_mov_b64 s[4:5], 0
                                        ; implicit-def: $vgpr7
	s_and_saveexec_b64 s[6:7], vcc
	s_xor_b64 s[6:7], exec, s[6:7]
	s_cbranch_execz .LBB133_174
; %bb.63:
	v_bfe_u32 v7, v6, 21, 1
	s_mov_b32 s10, 0x88fffff
	v_add3_u32 v7, v6, v7, s10
	s_mov_b64 s[4:5], exec
	v_lshrrev_b32_e32 v7, 21, v7
	s_andn2_saveexec_b64 s[6:7], s[6:7]
	s_cbranch_execnz .LBB133_175
.LBB133_64:
	s_or_b64 exec, exec, s[6:7]
	v_mov_b32_e32 v8, 0
	s_and_saveexec_b64 s[6:7], s[4:5]
.LBB133_65:
	v_lshrrev_b32_e32 v6, 24, v6
	s_movk_i32 s4, 0x80
	v_and_or_b32 v8, v6, s4, v7
.LBB133_66:
	s_or_b64 exec, exec, s[6:7]
.LBB133_67:
	s_or_b64 exec, exec, s[0:1]
	s_mov_b64 s[0:1], 0
	global_store_byte v[4:5], v8, off
.LBB133_68:
	s_and_b64 vcc, exec, s[0:1]
	s_cbranch_vccz .LBB133_78
; %bb.69:
	v_cvt_f32_f64_e32 v6, v[0:1]
	v_and_b32_e32 v8, 0x7fffffff, v6
	s_mov_b32 s0, 0x43f00000
	v_cmp_gt_u32_e32 vcc, s0, v8
                                        ; implicit-def: $vgpr7
	s_and_saveexec_b64 s[0:1], vcc
	s_xor_b64 s[0:1], exec, s[0:1]
	s_cbranch_execz .LBB133_75
; %bb.70:
	s_mov_b32 s4, 0x3c7fffff
	v_cmp_lt_u32_e32 vcc, s4, v8
                                        ; implicit-def: $vgpr7
	s_and_saveexec_b64 s[4:5], vcc
	s_xor_b64 s[4:5], exec, s[4:5]
; %bb.71:
	v_bfe_u32 v7, v6, 20, 1
	s_mov_b32 s6, 0x407ffff
	v_add3_u32 v7, v6, v7, s6
	v_lshrrev_b32_e32 v8, 20, v7
	v_and_b32_e32 v7, 0xff00000, v7
	s_mov_b32 s6, 0x7f00000
	v_mov_b32_e32 v9, 0x7e
	v_cmp_ne_u32_e32 vcc, s6, v7
	s_nop 1
	v_cndmask_b32_e32 v7, v9, v8, vcc
; %bb.72:
	s_andn2_saveexec_b64 s[4:5], s[4:5]
; %bb.73:
	s_mov_b32 s6, 0x46800000
	v_add_f32_e64 v7, |v6|, s6
; %bb.74:
	s_or_b64 exec, exec, s[4:5]
                                        ; implicit-def: $vgpr8
.LBB133_75:
	s_andn2_saveexec_b64 s[0:1], s[0:1]
; %bb.76:
	s_mov_b32 s4, 0x7f800000
	v_mov_b32_e32 v7, 0x7e
	v_mov_b32_e32 v9, 0x7f
	v_cmp_lt_u32_e32 vcc, s4, v8
	s_nop 1
	v_cndmask_b32_e32 v7, v7, v9, vcc
; %bb.77:
	s_or_b64 exec, exec, s[0:1]
	v_lshrrev_b32_e32 v6, 24, v6
	s_movk_i32 s0, 0x80
	v_and_or_b32 v6, v6, s0, v7
	global_store_byte v[4:5], v6, off
.LBB133_78:
	s_mov_b64 s[0:1], 0
.LBB133_79:
	s_andn2_b64 vcc, exec, s[0:1]
	s_cbranch_vccnz .LBB133_89
; %bb.80:
	v_cvt_f32_f64_e32 v6, v[0:1]
	v_and_b32_e32 v8, 0x7fffffff, v6
	s_mov_b32 s0, 0x47800000
	v_cmp_gt_u32_e32 vcc, s0, v8
                                        ; implicit-def: $vgpr7
	s_and_saveexec_b64 s[0:1], vcc
	s_xor_b64 s[0:1], exec, s[0:1]
	s_cbranch_execz .LBB133_86
; %bb.81:
	s_mov_b32 s4, 0x387fffff
	v_cmp_lt_u32_e32 vcc, s4, v8
                                        ; implicit-def: $vgpr7
	s_and_saveexec_b64 s[4:5], vcc
	s_xor_b64 s[4:5], exec, s[4:5]
; %bb.82:
	v_bfe_u32 v7, v6, 21, 1
	s_mov_b32 s6, 0x80fffff
	v_add3_u32 v7, v6, v7, s6
	v_lshrrev_b32_e32 v7, 21, v7
; %bb.83:
	s_andn2_saveexec_b64 s[4:5], s[4:5]
; %bb.84:
	s_mov_b32 s6, 0x43000000
	v_add_f32_e64 v7, |v6|, s6
; %bb.85:
	s_or_b64 exec, exec, s[4:5]
                                        ; implicit-def: $vgpr8
.LBB133_86:
	s_andn2_saveexec_b64 s[0:1], s[0:1]
; %bb.87:
	s_mov_b32 s4, 0x7f800000
	v_mov_b32_e32 v7, 0x7c
	v_mov_b32_e32 v9, 0x7f
	v_cmp_lt_u32_e32 vcc, s4, v8
	s_nop 1
	v_cndmask_b32_e32 v7, v7, v9, vcc
; %bb.88:
	s_or_b64 exec, exec, s[0:1]
	v_lshrrev_b32_e32 v6, 24, v6
	s_movk_i32 s0, 0x80
	v_and_or_b32 v6, v6, s0, v7
	global_store_byte v[4:5], v6, off
.LBB133_89:
	s_mov_b64 s[4:5], 0
	s_mov_b64 s[0:1], -1
.LBB133_90:
	s_andn2_b64 vcc, exec, s[4:5]
	s_cbranch_vccnz .LBB133_98
; %bb.91:
	s_cmp_gt_i32 s9, 14
	s_mov_b64 s[4:5], -1
	s_cbranch_scc0 .LBB133_95
; %bb.92:
	s_cmp_eq_u32 s9, 15
	s_mov_b64 s[2:3], -1
	s_cbranch_scc0 .LBB133_94
; %bb.93:
	v_cvt_f32_f64_e32 v6, v[0:1]
	v_bfe_u32 v7, v6, 16, 1
	s_movk_i32 s0, 0x7fff
	v_add3_u32 v7, v6, v7, s0
	v_cmp_o_f32_e32 vcc, v6, v6
	v_mov_b32_e32 v6, 0x7fc0
	s_mov_b64 s[0:1], -1
	v_cndmask_b32_sdwa v6, v6, v7, vcc dst_sel:DWORD dst_unused:UNUSED_PAD src0_sel:DWORD src1_sel:WORD_1
	global_store_short v[4:5], v6, off
	s_mov_b64 s[2:3], 0
.LBB133_94:
	s_mov_b64 s[4:5], 0
.LBB133_95:
	s_and_b64 vcc, exec, s[4:5]
	s_cbranch_vccz .LBB133_98
; %bb.96:
	s_cmp_eq_u32 s9, 11
	s_mov_b64 s[2:3], -1
	s_cbranch_scc0 .LBB133_98
; %bb.97:
	v_cmp_neq_f64_e32 vcc, 0, v[0:1]
	v_cmp_neq_f64_e64 s[0:1], 0, v[2:3]
	s_or_b64 s[0:1], vcc, s[0:1]
	s_mov_b64 s[2:3], 0
	v_cndmask_b32_e64 v6, 0, 1, s[0:1]
	s_mov_b64 s[0:1], -1
	global_store_byte v[4:5], v6, off
.LBB133_98:
	s_branch .LBB133_25
.LBB133_99:
	s_and_b32 s4, 0xffff, s8
	s_cmp_lt_i32 s4, 5
	s_mov_b64 s[0:1], -1
	s_cbranch_scc1 .LBB133_120
; %bb.100:
	s_cmp_lt_i32 s4, 8
	s_cbranch_scc1 .LBB133_110
; %bb.101:
	s_cmp_lt_i32 s4, 9
	s_cbranch_scc1 .LBB133_107
; %bb.102:
	s_cmp_gt_i32 s4, 9
	s_cbranch_scc0 .LBB133_104
; %bb.103:
	global_store_dwordx4 v[4:5], v[0:3], off
	s_mov_b64 s[0:1], 0
.LBB133_104:
	s_andn2_b64 vcc, exec, s[0:1]
	s_cbranch_vccnz .LBB133_106
; %bb.105:
	v_cvt_f32_f64_e32 v7, v[2:3]
	v_cvt_f32_f64_e32 v6, v[0:1]
	global_store_dwordx2 v[4:5], v[6:7], off
.LBB133_106:
	s_mov_b64 s[0:1], 0
.LBB133_107:
	s_andn2_b64 vcc, exec, s[0:1]
	s_cbranch_vccnz .LBB133_109
; %bb.108:
	s_movk_i32 s0, 0x1ff
	v_and_or_b32 v6, v1, s0, v0
	v_cmp_ne_u32_e32 vcc, 0, v6
	v_lshrrev_b32_e32 v7, 8, v1
	s_movk_i32 s1, 0xffe
	v_cndmask_b32_e64 v6, 0, 1, vcc
	v_bfe_u32 v8, v1, 20, 11
	v_and_or_b32 v6, v7, s1, v6
	v_sub_u32_e32 v9, 0x3f1, v8
	v_or_b32_e32 v7, 0x1000, v6
	v_med3_i32 v9, v9, 0, 13
	v_lshrrev_b32_e32 v10, v9, v7
	v_lshlrev_b32_e32 v9, v9, v10
	v_cmp_ne_u32_e32 vcc, v9, v7
	v_add_u32_e32 v8, 0xfffffc10, v8
	v_lshl_or_b32 v9, v8, 12, v6
	v_cndmask_b32_e64 v7, 0, 1, vcc
	v_or_b32_e32 v7, v10, v7
	v_cmp_gt_i32_e32 vcc, 1, v8
	s_movk_i32 s5, 0x40f
	v_and_or_b32 v2, v3, s0, v2
	v_cndmask_b32_e32 v7, v9, v7, vcc
	v_and_b32_e32 v9, 7, v7
	v_cmp_lt_i32_e32 vcc, 5, v9
	v_lshrrev_b32_e32 v7, 2, v7
	v_bfe_u32 v11, v3, 20, 11
	v_cndmask_b32_e64 v10, 0, 1, vcc
	v_cmp_eq_u32_e32 vcc, 3, v9
	v_sub_u32_e32 v12, 0x3f1, v11
	v_med3_i32 v12, v12, 0, 13
	v_cndmask_b32_e64 v9, 0, 1, vcc
	v_or_b32_e32 v9, v9, v10
	v_add_u32_e32 v7, v7, v9
	v_mov_b32_e32 v9, 0x7c00
	v_cmp_gt_i32_e32 vcc, 31, v8
	v_mov_b32_e32 v10, 0x7e00
	v_add_u32_e32 v11, 0xfffffc10, v11
	v_cndmask_b32_e32 v7, v9, v7, vcc
	v_cmp_ne_u32_e32 vcc, 0, v6
	s_mov_b32 s6, 0x8000
	s_mov_b32 s0, 0xffff
	v_cndmask_b32_e32 v6, v9, v10, vcc
	v_cmp_eq_u32_e32 vcc, s5, v8
	v_lshrrev_b32_e32 v8, 8, v3
	v_lshrrev_b32_e32 v3, 16, v3
	v_cndmask_b32_e32 v6, v7, v6, vcc
	v_cmp_ne_u32_e32 vcc, 0, v2
	v_and_b32_sdwa v7, v1, s6 dst_sel:DWORD dst_unused:UNUSED_PAD src0_sel:WORD_1 src1_sel:DWORD
	s_nop 0
	v_cndmask_b32_e64 v2, 0, 1, vcc
	v_and_or_b32 v2, v8, s1, v2
	v_or_b32_e32 v8, 0x1000, v2
	v_lshrrev_b32_e32 v13, v12, v8
	v_lshlrev_b32_e32 v12, v12, v13
	v_cmp_ne_u32_e32 vcc, v12, v8
	v_lshl_or_b32 v12, v11, 12, v2
	s_nop 0
	v_cndmask_b32_e64 v8, 0, 1, vcc
	v_or_b32_e32 v8, v13, v8
	v_cmp_gt_i32_e32 vcc, 1, v11
	s_nop 1
	v_cndmask_b32_e32 v8, v12, v8, vcc
	v_and_b32_e32 v12, 7, v8
	v_cmp_lt_i32_e32 vcc, 5, v12
	v_lshrrev_b32_e32 v8, 2, v8
	s_nop 0
	v_cndmask_b32_e64 v13, 0, 1, vcc
	v_cmp_eq_u32_e32 vcc, 3, v12
	s_nop 1
	v_cndmask_b32_e64 v12, 0, 1, vcc
	v_or_b32_e32 v12, v12, v13
	v_add_u32_e32 v8, v8, v12
	v_cmp_gt_i32_e32 vcc, 31, v11
	s_nop 1
	v_cndmask_b32_e32 v8, v9, v8, vcc
	v_cmp_ne_u32_e32 vcc, 0, v2
	s_nop 1
	v_cndmask_b32_e32 v2, v9, v10, vcc
	v_cmp_eq_u32_e32 vcc, s5, v11
	s_nop 1
	v_cndmask_b32_e32 v2, v8, v2, vcc
	v_and_or_b32 v2, v3, s6, v2
	v_bitop3_b32 v3, v7, s0, v6 bitop3:0xc8
	v_lshl_or_b32 v2, v2, 16, v3
	global_store_dword v[4:5], v2, off
.LBB133_109:
	s_mov_b64 s[0:1], 0
.LBB133_110:
	s_andn2_b64 vcc, exec, s[0:1]
	s_cbranch_vccnz .LBB133_119
; %bb.111:
	s_cmp_lt_i32 s4, 6
	s_mov_b64 s[0:1], -1
	s_cbranch_scc1 .LBB133_117
; %bb.112:
	s_cmp_gt_i32 s4, 6
	s_cbranch_scc0 .LBB133_114
; %bb.113:
	global_store_dwordx2 v[4:5], v[0:1], off
	s_mov_b64 s[0:1], 0
.LBB133_114:
	s_andn2_b64 vcc, exec, s[0:1]
	s_cbranch_vccnz .LBB133_116
; %bb.115:
	v_cvt_f32_f64_e32 v2, v[0:1]
	global_store_dword v[4:5], v2, off
.LBB133_116:
	s_mov_b64 s[0:1], 0
.LBB133_117:
	s_andn2_b64 vcc, exec, s[0:1]
	s_cbranch_vccnz .LBB133_119
; %bb.118:
	s_movk_i32 s0, 0x1ff
	v_and_or_b32 v2, v1, s0, v0
	v_cmp_ne_u32_e32 vcc, 0, v2
	v_lshrrev_b32_e32 v3, 8, v1
	s_movk_i32 s0, 0xffe
	v_cndmask_b32_e64 v2, 0, 1, vcc
	v_bfe_u32 v6, v1, 20, 11
	v_and_or_b32 v2, v3, s0, v2
	v_sub_u32_e32 v7, 0x3f1, v6
	v_or_b32_e32 v3, 0x1000, v2
	v_med3_i32 v7, v7, 0, 13
	v_lshrrev_b32_e32 v8, v7, v3
	v_lshlrev_b32_e32 v7, v7, v8
	v_cmp_ne_u32_e32 vcc, v7, v3
	v_add_u32_e32 v6, 0xfffffc10, v6
	v_lshl_or_b32 v7, v6, 12, v2
	v_cndmask_b32_e64 v3, 0, 1, vcc
	v_or_b32_e32 v3, v8, v3
	v_cmp_gt_i32_e32 vcc, 1, v6
	s_movk_i32 s0, 0x40f
	s_nop 0
	v_cndmask_b32_e32 v3, v7, v3, vcc
	v_and_b32_e32 v7, 7, v3
	v_cmp_lt_i32_e32 vcc, 5, v7
	v_lshrrev_b32_e32 v3, 2, v3
	s_nop 0
	v_cndmask_b32_e64 v8, 0, 1, vcc
	v_cmp_eq_u32_e32 vcc, 3, v7
	s_nop 1
	v_cndmask_b32_e64 v7, 0, 1, vcc
	v_or_b32_e32 v7, v7, v8
	v_add_u32_e32 v3, v3, v7
	v_mov_b32_e32 v7, 0x7c00
	v_cmp_gt_i32_e32 vcc, 31, v6
	v_mov_b32_e32 v8, 0x7e00
	s_nop 0
	v_cndmask_b32_e32 v3, v7, v3, vcc
	v_cmp_ne_u32_e32 vcc, 0, v2
	s_nop 1
	v_cndmask_b32_e32 v2, v7, v8, vcc
	v_cmp_eq_u32_e32 vcc, s0, v6
	s_mov_b32 s0, 0x8000
	s_nop 0
	v_cndmask_b32_e32 v2, v3, v2, vcc
	v_lshrrev_b32_e32 v3, 16, v1
	v_and_or_b32 v2, v3, s0, v2
	global_store_short v[4:5], v2, off
.LBB133_119:
	s_mov_b64 s[0:1], 0
.LBB133_120:
	s_andn2_b64 vcc, exec, s[0:1]
	s_cbranch_vccnz .LBB133_136
; %bb.121:
	s_cmp_lt_i32 s4, 2
	s_mov_b64 s[0:1], -1
	s_cbranch_scc1 .LBB133_131
; %bb.122:
	s_cmp_lt_i32 s4, 3
	s_cbranch_scc1 .LBB133_128
; %bb.123:
	s_cmp_gt_i32 s4, 3
	s_cbranch_scc0 .LBB133_125
; %bb.124:
	v_trunc_f64_e32 v[2:3], v[0:1]
	s_movk_i32 s0, 0xffe0
	v_ldexp_f64 v[6:7], v[2:3], s0
	v_floor_f64_e32 v[6:7], v[6:7]
	v_fmac_f64_e32 v[2:3], 0xc1f00000, v[6:7]
	v_cvt_i32_f64_e32 v9, v[6:7]
	v_cvt_u32_f64_e32 v8, v[2:3]
	global_store_dwordx2 v[4:5], v[8:9], off
	s_mov_b64 s[0:1], 0
.LBB133_125:
	s_andn2_b64 vcc, exec, s[0:1]
	s_cbranch_vccnz .LBB133_127
; %bb.126:
	v_cvt_i32_f64_e32 v2, v[0:1]
	global_store_dword v[4:5], v2, off
.LBB133_127:
	s_mov_b64 s[0:1], 0
.LBB133_128:
	s_andn2_b64 vcc, exec, s[0:1]
	s_cbranch_vccnz .LBB133_130
; %bb.129:
	v_cvt_i32_f64_e32 v2, v[0:1]
	global_store_short v[4:5], v2, off
.LBB133_130:
	s_mov_b64 s[0:1], 0
.LBB133_131:
	s_andn2_b64 vcc, exec, s[0:1]
	s_cbranch_vccnz .LBB133_136
; %bb.132:
	s_cmp_gt_i32 s4, 0
	s_mov_b64 s[0:1], -1
	s_cbranch_scc0 .LBB133_134
; %bb.133:
	v_cvt_i32_f64_e32 v2, v[0:1]
	global_store_byte v[4:5], v2, off
	s_mov_b64 s[0:1], 0
.LBB133_134:
	s_andn2_b64 vcc, exec, s[0:1]
	s_cbranch_vccnz .LBB133_136
; %bb.135:
	v_trunc_f64_e32 v[0:1], v[0:1]
	s_movk_i32 s0, 0xffe0
	v_ldexp_f64 v[2:3], v[0:1], s0
	v_floor_f64_e32 v[2:3], v[2:3]
	v_fmac_f64_e32 v[0:1], 0xc1f00000, v[2:3]
	v_cvt_u32_f64_e32 v0, v[0:1]
	global_store_byte v[4:5], v0, off
.LBB133_136:
	s_branch .LBB133_26
.LBB133_137:
	s_mov_b64 s[0:1], 0
                                        ; implicit-def: $vgpr44
.LBB133_138:
	s_and_b64 s[60:61], s[2:3], exec
	s_orn2_b64 s[0:1], s[0:1], exec
.LBB133_139:
	s_or_b64 exec, exec, s[62:63]
	s_mov_b64 s[4:5], 0
                                        ; implicit-def: $sgpr10
                                        ; implicit-def: $vgpr2_vgpr3
                                        ; implicit-def: $vgpr4_vgpr5
	s_and_saveexec_b64 s[62:63], s[0:1]
	s_cbranch_execz .LBB133_147
; %bb.140:
	v_cmp_gt_i32_e32 vcc, s72, v44
	s_mov_b64 s[4:5], -1
	s_mov_b64 s[64:65], s[60:61]
	s_and_saveexec_b64 s[66:67], vcc
	s_cbranch_execz .LBB133_286
; %bb.141:
	s_andn2_b64 vcc, exec, s[48:49]
	s_cbranch_vccnz .LBB133_150
; %bb.142:
	s_andn2_b64 vcc, exec, s[58:59]
	s_cbranch_vccnz .LBB133_151
; %bb.143:
	s_add_i32 s25, s76, 1
	s_cmp_eq_u32 s74, 2
	s_cbranch_scc1 .LBB133_152
; %bb.144:
	s_and_b32 s24, s25, 28
	s_mov_b32 s30, 0
	v_mov_b32_e32 v42, 0
	v_mov_b32_e32 v2, 0
	s_mov_b64 s[20:21], s[28:29]
	s_mov_b64 s[22:23], s[56:57]
	v_mov_b32_e32 v0, v44
.LBB133_145:                            ; =>This Inner Loop Header: Depth=1
	s_load_dwordx8 s[8:15], s[20:21], 0x4
	s_load_dwordx4 s[16:19], s[20:21], 0x24
	s_load_dwordx8 s[0:7], s[22:23], 0x0
	s_add_u32 s20, s20, 48
	s_addc_u32 s21, s21, 0
	s_waitcnt lgkmcnt(0)
	v_mul_hi_u32 v1, s9, v0
	v_add_u32_e32 v1, v0, v1
	v_lshrrev_b32_e32 v1, s10, v1
	v_mul_lo_u32 v3, v1, s8
	v_mul_hi_u32 v4, s12, v1
	v_sub_u32_e32 v0, v0, v3
	v_add_u32_e32 v3, v1, v4
	v_lshrrev_b32_e32 v3, s13, v3
	v_mul_lo_u32 v5, v3, s11
	v_mul_hi_u32 v6, s15, v3
	v_sub_u32_e32 v1, v1, v5
	v_add_u32_e32 v5, v3, v6
	v_mul_lo_u32 v4, v0, s1
	v_mul_lo_u32 v0, v0, s0
	;; [unrolled: 1-line block ×4, first 2 shown]
	v_lshrrev_b32_e32 v5, s16, v5
	v_add3_u32 v1, v0, v42, v1
	v_add3_u32 v2, v4, v2, v6
	v_mul_lo_u32 v0, v5, s14
	v_mul_hi_u32 v4, s18, v5
	v_sub_u32_e32 v0, v3, v0
	v_add_u32_e32 v3, v5, v4
	v_mul_lo_u32 v4, v0, s4
	v_mul_lo_u32 v6, v0, s5
	v_lshrrev_b32_e32 v0, s19, v3
	s_add_i32 s30, s30, 4
	v_mul_lo_u32 v3, v0, s17
	s_add_u32 s22, s22, 32
	v_sub_u32_e32 v3, v5, v3
	s_addc_u32 s23, s23, 0
	v_mul_lo_u32 v5, v3, s6
	v_mul_lo_u32 v3, v3, s7
	s_cmp_eq_u32 s24, s30
	v_add3_u32 v2, v6, v2, v3
	v_add3_u32 v42, v4, v1, v5
	s_cbranch_scc0 .LBB133_145
; %bb.146:
	v_mov_b32_e32 v1, v2
	s_branch .LBB133_153
.LBB133_147:
	s_or_b64 exec, exec, s[62:63]
	s_mov_b64 s[2:3], 0
	s_and_saveexec_b64 s[0:1], s[60:61]
	s_cbranch_execnz .LBB133_534
.LBB133_148:
	s_or_b64 exec, exec, s[0:1]
	s_and_saveexec_b64 s[0:1], s[66:67]
	s_xor_b64 s[6:7], exec, s[0:1]
	s_cbranch_execz .LBB133_535
.LBB133_149:
	v_cmp_neq_f64_e32 vcc, 0, v[0:1]
	v_cmp_neq_f64_e64 s[0:1], 0, v[2:3]
	s_or_b64 s[0:1], vcc, s[0:1]
	s_nop 0
	v_cndmask_b32_e64 v6, 0, 1, s[0:1]
	global_store_byte v[4:5], v6, off
	s_or_b64 exec, exec, s[6:7]
	s_and_saveexec_b64 s[0:1], s[4:5]
	s_xor_b64 s[0:1], exec, s[0:1]
	s_cbranch_execz .LBB133_573
	s_branch .LBB133_536
.LBB133_150:
                                        ; implicit-def: $vgpr2
                                        ; implicit-def: $vgpr42
	s_branch .LBB133_157
.LBB133_151:
	v_mov_b32_e32 v2, 0
	v_mov_b32_e32 v42, 0
	s_branch .LBB133_156
.LBB133_152:
	v_mov_b32_e32 v42, 0
	s_mov_b32 s24, 0
	v_mov_b32_e32 v1, v42
                                        ; implicit-def: $vgpr2
	v_mov_b32_e32 v0, v44
.LBB133_153:
	s_and_b32 s4, s25, 3
	s_cmp_eq_u32 s4, 0
	s_cbranch_scc1 .LBB133_156
; %bb.154:
	s_lshl_b32 s0, s24, 3
	s_add_u32 s0, s28, s0
	s_addc_u32 s1, s29, 0
	s_add_u32 s0, s0, 0xc4
	s_addc_u32 s1, s1, 0
	s_mul_i32 s2, s24, 12
	s_add_u32 s2, s28, s2
	s_addc_u32 s3, s29, 0
.LBB133_155:                            ; =>This Inner Loop Header: Depth=1
	s_load_dwordx2 s[6:7], s[2:3], 0x4
	s_load_dword s5, s[2:3], 0xc
	s_load_dwordx2 s[8:9], s[0:1], 0x0
	v_mov_b32_e32 v2, v1
	s_add_u32 s2, s2, 12
	s_waitcnt lgkmcnt(0)
	v_mul_hi_u32 v1, s7, v0
	v_add_u32_e32 v1, v0, v1
	v_lshrrev_b32_e32 v1, s5, v1
	s_addc_u32 s3, s3, 0
	v_mul_lo_u32 v3, v1, s6
	s_add_u32 s0, s0, 8
	v_sub_u32_e32 v4, v0, v3
	s_addc_u32 s1, s1, 0
	s_add_i32 s4, s4, -1
	v_mad_u64_u32 v[2:3], s[6:7], v4, s9, v[2:3]
	s_cmp_lg_u32 s4, 0
	v_mov_b32_e32 v0, v1
	v_mad_u64_u32 v[42:43], s[6:7], v4, s8, v[42:43]
	v_mov_b32_e32 v1, v2
	s_cbranch_scc1 .LBB133_155
.LBB133_156:
	s_cbranch_execnz .LBB133_159
.LBB133_157:
	s_waitcnt lgkmcnt(0)
	v_mul_hi_u32 v0, s45, v44
	v_add_u32_e32 v0, v44, v0
	v_lshrrev_b32_e32 v0, s46, v0
	v_mul_lo_u32 v1, v0, s44
	v_sub_u32_e32 v1, v44, v1
	v_mul_lo_u32 v2, v1, s41
	s_andn2_b64 vcc, exec, s[54:55]
	v_mul_lo_u32 v42, v1, s40
	s_cbranch_vccnz .LBB133_159
; %bb.158:
	v_mul_hi_u32 v1, s52, v0
	v_add_u32_e32 v1, v0, v1
	v_lshrrev_b32_e32 v1, s53, v1
	v_mul_lo_u32 v1, v1, s47
	v_sub_u32_e32 v0, v0, v1
	v_mad_u64_u32 v[42:43], s[0:1], v0, s42, v[42:43]
	v_mad_u64_u32 v[2:3], s[0:1], v0, s43, v[2:3]
.LBB133_159:
	s_getpc_b64 s[0:1]
	s_add_u32 s0, s0, _ZN2at6native6invokeIZZZNS0_17expm1_kernel_cudaERNS_18TensorIteratorBaseEENKUlvE_clEvENKUlvE1_clEvEUlN3c107complexIdEEE_j15function_traitsIS9_EEENT1_11result_typeERKT_PrKPcPKT0_PKNS6_10ScalarTypeEi@rel32@lo+4
	s_addc_u32 s1, s1, _ZN2at6native6invokeIZZZNS0_17expm1_kernel_cudaERNS_18TensorIteratorBaseEENKUlvE_clEvENKUlvE1_clEvEUlN3c107complexIdEEE_j15function_traitsIS9_EEENT1_11result_typeERKT_PrKPcPKT0_PKNS6_10ScalarTypeEi@rel32@hi+12
	s_waitcnt lgkmcnt(0)
	v_mov_b32_e32 v0, s38
	v_mov_b32_e32 v1, s39
	;; [unrolled: 1-line block ×3, first 2 shown]
	s_swappc_b64 s[30:31], s[0:1]
	v_mov_b32_e32 v43, 0
	s_and_b32 s8, s75, 0xff
	s_cmp_lt_i32 s8, 11
	v_lshl_add_u64 v[4:5], s[36:37], 0, v[42:43]
	s_cbranch_scc1 .LBB133_166
; %bb.160:
	s_and_b32 s9, 0xffff, s8
	s_cmp_gt_i32 s9, 25
	s_cbranch_scc0 .LBB133_169
; %bb.161:
	s_cmp_gt_i32 s9, 28
	s_cbranch_scc0 .LBB133_170
; %bb.162:
	;; [unrolled: 3-line block ×4, first 2 shown]
	s_mov_b64 s[4:5], 0
	s_mov_b64 s[2:3], -1
	s_cmp_eq_u32 s9, 46
	s_mov_b64 s[0:1], 0
	s_cbranch_scc0 .LBB133_177
; %bb.165:
	v_cvt_f32_f64_e32 v7, v[2:3]
	s_movk_i32 s0, 0x7fff
	v_bfe_u32 v9, v7, 16, 1
	v_cvt_f32_f64_e32 v6, v[0:1]
	v_add3_u32 v9, v7, v9, s0
	v_bfe_u32 v8, v6, 16, 1
	v_and_b32_e32 v9, 0xffff0000, v9
	v_mov_b32_e32 v10, 0x7fc00000
	v_cmp_o_f32_e32 vcc, v7, v7
	v_add3_u32 v8, v6, v8, s0
	s_mov_b64 s[0:1], -1
	v_cndmask_b32_e32 v7, v10, v9, vcc
	v_cmp_o_f32_e32 vcc, v6, v6
	v_mov_b32_e32 v6, 0x7fc0
	s_mov_b64 s[2:3], 0
	v_cndmask_b32_sdwa v6, v6, v8, vcc dst_sel:DWORD dst_unused:UNUSED_PAD src0_sel:DWORD src1_sel:WORD_1
	v_or_b32_e32 v6, v7, v6
	global_store_dword v[4:5], v6, off
	s_branch .LBB133_177
.LBB133_166:
	s_mov_b64 s[0:1], 0
	s_mov_b64 s[2:3], s[60:61]
	s_cbranch_execnz .LBB133_246
.LBB133_167:
	s_andn2_b64 vcc, exec, s[0:1]
	s_cbranch_vccnz .LBB133_284
.LBB133_168:
	v_add_u32_e32 v44, 0x80, v44
	s_mov_b64 s[0:1], -1
	s_branch .LBB133_285
.LBB133_169:
	s_mov_b64 s[4:5], -1
	s_mov_b64 s[0:1], 0
	s_mov_b64 s[2:3], s[60:61]
	s_branch .LBB133_204
.LBB133_170:
	s_mov_b64 s[4:5], -1
	s_mov_b64 s[0:1], 0
	s_mov_b64 s[2:3], s[60:61]
	s_branch .LBB133_187
.LBB133_171:
	s_andn2_saveexec_b64 s[6:7], s[6:7]
	s_cbranch_execz .LBB133_52
.LBB133_172:
	s_mov_b32 s10, 0x46000000
	v_add_f32_e64 v7, |v6|, s10
	v_and_b32_e32 v7, 0xff, v7
	v_cmp_ne_u32_e32 vcc, 0, v7
	s_andn2_b64 s[4:5], s[4:5], exec
	s_and_b64 s[10:11], vcc, exec
	s_or_b64 s[4:5], s[4:5], s[10:11]
	s_or_b64 exec, exec, s[6:7]
	v_mov_b32_e32 v8, 0
	s_and_saveexec_b64 s[6:7], s[4:5]
	s_cbranch_execnz .LBB133_53
	s_branch .LBB133_54
.LBB133_173:
	s_mov_b64 s[4:5], -1
	s_mov_b64 s[0:1], 0
	s_mov_b64 s[2:3], s[60:61]
	s_branch .LBB133_183
.LBB133_174:
	s_andn2_saveexec_b64 s[6:7], s[6:7]
	s_cbranch_execz .LBB133_64
.LBB133_175:
	s_mov_b32 s10, 0x42800000
	v_add_f32_e64 v7, |v6|, s10
	v_and_b32_e32 v7, 0xff, v7
	v_cmp_ne_u32_e32 vcc, 0, v7
	s_andn2_b64 s[4:5], s[4:5], exec
	s_and_b64 s[10:11], vcc, exec
	s_or_b64 s[4:5], s[4:5], s[10:11]
	s_or_b64 exec, exec, s[6:7]
	v_mov_b32_e32 v8, 0
	s_and_saveexec_b64 s[6:7], s[4:5]
	s_cbranch_execnz .LBB133_65
	s_branch .LBB133_66
.LBB133_176:
	s_mov_b64 s[4:5], -1
	s_mov_b64 s[0:1], 0
	s_mov_b64 s[2:3], s[60:61]
.LBB133_177:
	s_and_b64 vcc, exec, s[4:5]
	s_cbranch_vccz .LBB133_182
; %bb.178:
	s_cmp_eq_u32 s9, 44
	s_mov_b64 s[2:3], -1
	s_cbranch_scc0 .LBB133_182
; %bb.179:
	v_cvt_f32_f64_e32 v6, v[0:1]
	v_bfe_u32 v7, v6, 23, 8
	s_movk_i32 s0, 0xff
	v_cmp_ne_u32_e32 vcc, s0, v7
	v_mov_b32_e32 v8, 0xff
	s_and_saveexec_b64 s[2:3], vcc
; %bb.180:
	s_mov_b32 s0, 0x3fffff
	v_lshrrev_b32_e32 v8, 23, v6
	v_and_b32_e32 v9, 0x400000, v6
	v_and_or_b32 v6, v6, s0, v7
	v_cmp_ne_u32_e32 vcc, 0, v9
	v_cmp_ne_u32_e64 s[0:1], 0, v6
	s_and_b64 s[0:1], vcc, s[0:1]
	s_nop 0
	v_cndmask_b32_e64 v6, 0, 1, s[0:1]
	v_add_u32_e32 v8, v8, v6
; %bb.181:
	s_or_b64 exec, exec, s[2:3]
	s_mov_b64 s[0:1], -1
	s_mov_b64 s[2:3], 0
	global_store_byte v[4:5], v8, off
.LBB133_182:
	s_mov_b64 s[4:5], 0
.LBB133_183:
	s_and_b64 vcc, exec, s[4:5]
	s_cbranch_vccz .LBB133_186
; %bb.184:
	s_cmp_eq_u32 s9, 29
	s_mov_b64 s[2:3], -1
	s_cbranch_scc0 .LBB133_186
; %bb.185:
	v_trunc_f64_e32 v[6:7], v[0:1]
	s_movk_i32 s0, 0xffe0
	v_ldexp_f64 v[8:9], v[6:7], s0
	v_floor_f64_e32 v[8:9], v[8:9]
	v_fmac_f64_e32 v[6:7], 0xc1f00000, v[8:9]
	v_cvt_u32_f64_e32 v11, v[8:9]
	v_cvt_u32_f64_e32 v10, v[6:7]
	global_store_dwordx2 v[4:5], v[10:11], off
	s_mov_b64 s[0:1], -1
	s_mov_b64 s[2:3], 0
.LBB133_186:
	s_mov_b64 s[4:5], 0
.LBB133_187:
	s_and_b64 vcc, exec, s[4:5]
	s_cbranch_vccz .LBB133_203
; %bb.188:
	s_cmp_lt_i32 s9, 27
	s_mov_b64 s[0:1], -1
	s_cbranch_scc1 .LBB133_194
; %bb.189:
	s_cmp_gt_i32 s9, 27
	v_cvt_u32_f64_e32 v6, v[0:1]
	s_cbranch_scc0 .LBB133_191
; %bb.190:
	s_mov_b64 s[0:1], 0
	global_store_dword v[4:5], v6, off
.LBB133_191:
	s_andn2_b64 vcc, exec, s[0:1]
	s_cbranch_vccnz .LBB133_193
; %bb.192:
	global_store_short v[4:5], v6, off
.LBB133_193:
	s_mov_b64 s[0:1], 0
.LBB133_194:
	s_andn2_b64 vcc, exec, s[0:1]
	s_cbranch_vccnz .LBB133_202
; %bb.195:
	v_cvt_f32_f64_e32 v6, v[0:1]
	v_and_b32_e32 v7, 0x7fffffff, v6
	s_mov_b32 s0, 0x43800000
	v_cmp_gt_u32_e32 vcc, s0, v7
	v_mov_b32_e32 v8, 0x80
	s_and_saveexec_b64 s[0:1], vcc
	s_cbranch_execz .LBB133_201
; %bb.196:
	s_mov_b32 s4, 0x3bffffff
	v_cmp_lt_u32_e32 vcc, s4, v7
	s_mov_b64 s[4:5], 0
                                        ; implicit-def: $vgpr7
	s_and_saveexec_b64 s[6:7], vcc
	s_xor_b64 s[6:7], exec, s[6:7]
	s_cbranch_execz .LBB133_314
; %bb.197:
	v_bfe_u32 v7, v6, 20, 1
	s_mov_b32 s10, 0x487ffff
	v_add3_u32 v7, v6, v7, s10
	s_mov_b64 s[4:5], exec
	v_lshrrev_b32_e32 v7, 20, v7
	s_andn2_saveexec_b64 s[6:7], s[6:7]
	s_cbranch_execnz .LBB133_315
.LBB133_198:
	s_or_b64 exec, exec, s[6:7]
	v_mov_b32_e32 v8, 0
	s_and_saveexec_b64 s[6:7], s[4:5]
.LBB133_199:
	v_lshrrev_b32_e32 v6, 24, v6
	s_movk_i32 s4, 0x80
	v_and_or_b32 v8, v6, s4, v7
.LBB133_200:
	s_or_b64 exec, exec, s[6:7]
.LBB133_201:
	s_or_b64 exec, exec, s[0:1]
	global_store_byte v[4:5], v8, off
.LBB133_202:
	s_mov_b64 s[0:1], -1
.LBB133_203:
	s_mov_b64 s[4:5], 0
.LBB133_204:
	s_and_b64 vcc, exec, s[4:5]
	s_cbranch_vccz .LBB133_245
; %bb.205:
	s_cmp_gt_i32 s9, 22
	s_mov_b64 s[4:5], -1
	s_cbranch_scc0 .LBB133_237
; %bb.206:
	s_cmp_lt_i32 s9, 24
	s_mov_b64 s[0:1], -1
	s_cbranch_scc1 .LBB133_226
; %bb.207:
	s_cmp_gt_i32 s9, 24
	s_cbranch_scc0 .LBB133_215
; %bb.208:
	v_cvt_f32_f64_e32 v6, v[0:1]
	v_and_b32_e32 v7, 0x7fffffff, v6
	s_mov_b32 s0, 0x47800000
	v_cmp_gt_u32_e32 vcc, s0, v7
	v_mov_b32_e32 v8, 0x80
	s_and_saveexec_b64 s[0:1], vcc
	s_cbranch_execz .LBB133_214
; %bb.209:
	s_mov_b32 s4, 0x37ffffff
	v_cmp_lt_u32_e32 vcc, s4, v7
	s_mov_b64 s[4:5], 0
                                        ; implicit-def: $vgpr7
	s_and_saveexec_b64 s[6:7], vcc
	s_xor_b64 s[6:7], exec, s[6:7]
	s_cbranch_execz .LBB133_317
; %bb.210:
	v_bfe_u32 v7, v6, 21, 1
	s_mov_b32 s10, 0x88fffff
	v_add3_u32 v7, v6, v7, s10
	s_mov_b64 s[4:5], exec
	v_lshrrev_b32_e32 v7, 21, v7
	s_andn2_saveexec_b64 s[6:7], s[6:7]
	s_cbranch_execnz .LBB133_318
.LBB133_211:
	s_or_b64 exec, exec, s[6:7]
	v_mov_b32_e32 v8, 0
	s_and_saveexec_b64 s[6:7], s[4:5]
.LBB133_212:
	v_lshrrev_b32_e32 v6, 24, v6
	s_movk_i32 s4, 0x80
	v_and_or_b32 v8, v6, s4, v7
.LBB133_213:
	s_or_b64 exec, exec, s[6:7]
.LBB133_214:
	s_or_b64 exec, exec, s[0:1]
	s_mov_b64 s[0:1], 0
	global_store_byte v[4:5], v8, off
.LBB133_215:
	s_and_b64 vcc, exec, s[0:1]
	s_cbranch_vccz .LBB133_225
; %bb.216:
	v_cvt_f32_f64_e32 v6, v[0:1]
	v_and_b32_e32 v8, 0x7fffffff, v6
	s_mov_b32 s0, 0x43f00000
	v_cmp_gt_u32_e32 vcc, s0, v8
                                        ; implicit-def: $vgpr7
	s_and_saveexec_b64 s[0:1], vcc
	s_xor_b64 s[0:1], exec, s[0:1]
	s_cbranch_execz .LBB133_222
; %bb.217:
	s_mov_b32 s4, 0x3c7fffff
	v_cmp_lt_u32_e32 vcc, s4, v8
                                        ; implicit-def: $vgpr7
	s_and_saveexec_b64 s[4:5], vcc
	s_xor_b64 s[4:5], exec, s[4:5]
; %bb.218:
	v_bfe_u32 v7, v6, 20, 1
	s_mov_b32 s6, 0x407ffff
	v_add3_u32 v7, v6, v7, s6
	v_lshrrev_b32_e32 v8, 20, v7
	v_and_b32_e32 v7, 0xff00000, v7
	s_mov_b32 s6, 0x7f00000
	v_mov_b32_e32 v9, 0x7e
	v_cmp_ne_u32_e32 vcc, s6, v7
	s_nop 1
	v_cndmask_b32_e32 v7, v9, v8, vcc
; %bb.219:
	s_andn2_saveexec_b64 s[4:5], s[4:5]
; %bb.220:
	s_mov_b32 s6, 0x46800000
	v_add_f32_e64 v7, |v6|, s6
; %bb.221:
	s_or_b64 exec, exec, s[4:5]
                                        ; implicit-def: $vgpr8
.LBB133_222:
	s_andn2_saveexec_b64 s[0:1], s[0:1]
; %bb.223:
	s_mov_b32 s4, 0x7f800000
	v_mov_b32_e32 v7, 0x7e
	v_mov_b32_e32 v9, 0x7f
	v_cmp_lt_u32_e32 vcc, s4, v8
	s_nop 1
	v_cndmask_b32_e32 v7, v7, v9, vcc
; %bb.224:
	s_or_b64 exec, exec, s[0:1]
	v_lshrrev_b32_e32 v6, 24, v6
	s_movk_i32 s0, 0x80
	v_and_or_b32 v6, v6, s0, v7
	global_store_byte v[4:5], v6, off
.LBB133_225:
	s_mov_b64 s[0:1], 0
.LBB133_226:
	s_andn2_b64 vcc, exec, s[0:1]
	s_cbranch_vccnz .LBB133_236
; %bb.227:
	v_cvt_f32_f64_e32 v6, v[0:1]
	v_and_b32_e32 v8, 0x7fffffff, v6
	s_mov_b32 s0, 0x47800000
	v_cmp_gt_u32_e32 vcc, s0, v8
                                        ; implicit-def: $vgpr7
	s_and_saveexec_b64 s[0:1], vcc
	s_xor_b64 s[0:1], exec, s[0:1]
	s_cbranch_execz .LBB133_233
; %bb.228:
	s_mov_b32 s4, 0x387fffff
	v_cmp_lt_u32_e32 vcc, s4, v8
                                        ; implicit-def: $vgpr7
	s_and_saveexec_b64 s[4:5], vcc
	s_xor_b64 s[4:5], exec, s[4:5]
; %bb.229:
	v_bfe_u32 v7, v6, 21, 1
	s_mov_b32 s6, 0x80fffff
	v_add3_u32 v7, v6, v7, s6
	v_lshrrev_b32_e32 v7, 21, v7
; %bb.230:
	s_andn2_saveexec_b64 s[4:5], s[4:5]
; %bb.231:
	s_mov_b32 s6, 0x43000000
	v_add_f32_e64 v7, |v6|, s6
; %bb.232:
	s_or_b64 exec, exec, s[4:5]
                                        ; implicit-def: $vgpr8
.LBB133_233:
	s_andn2_saveexec_b64 s[0:1], s[0:1]
; %bb.234:
	s_mov_b32 s4, 0x7f800000
	v_mov_b32_e32 v7, 0x7c
	v_mov_b32_e32 v9, 0x7f
	v_cmp_lt_u32_e32 vcc, s4, v8
	s_nop 1
	v_cndmask_b32_e32 v7, v7, v9, vcc
; %bb.235:
	s_or_b64 exec, exec, s[0:1]
	v_lshrrev_b32_e32 v6, 24, v6
	s_movk_i32 s0, 0x80
	v_and_or_b32 v6, v6, s0, v7
	global_store_byte v[4:5], v6, off
.LBB133_236:
	s_mov_b64 s[4:5], 0
	s_mov_b64 s[0:1], -1
.LBB133_237:
	s_andn2_b64 vcc, exec, s[4:5]
	s_cbranch_vccnz .LBB133_245
; %bb.238:
	s_cmp_gt_i32 s9, 14
	s_mov_b64 s[4:5], -1
	s_cbranch_scc0 .LBB133_242
; %bb.239:
	s_cmp_eq_u32 s9, 15
	s_mov_b64 s[2:3], -1
	s_cbranch_scc0 .LBB133_241
; %bb.240:
	v_cvt_f32_f64_e32 v6, v[0:1]
	v_bfe_u32 v7, v6, 16, 1
	s_movk_i32 s0, 0x7fff
	v_add3_u32 v7, v6, v7, s0
	v_cmp_o_f32_e32 vcc, v6, v6
	v_mov_b32_e32 v6, 0x7fc0
	s_mov_b64 s[0:1], -1
	v_cndmask_b32_sdwa v6, v6, v7, vcc dst_sel:DWORD dst_unused:UNUSED_PAD src0_sel:DWORD src1_sel:WORD_1
	global_store_short v[4:5], v6, off
	s_mov_b64 s[2:3], 0
.LBB133_241:
	s_mov_b64 s[4:5], 0
.LBB133_242:
	s_and_b64 vcc, exec, s[4:5]
	s_cbranch_vccz .LBB133_245
; %bb.243:
	s_cmp_eq_u32 s9, 11
	s_mov_b64 s[2:3], -1
	s_cbranch_scc0 .LBB133_245
; %bb.244:
	v_cmp_neq_f64_e32 vcc, 0, v[0:1]
	v_cmp_neq_f64_e64 s[0:1], 0, v[2:3]
	s_or_b64 s[0:1], vcc, s[0:1]
	s_mov_b64 s[2:3], 0
	v_cndmask_b32_e64 v6, 0, 1, s[0:1]
	s_mov_b64 s[0:1], -1
	global_store_byte v[4:5], v6, off
.LBB133_245:
	s_branch .LBB133_167
.LBB133_246:
	s_and_b32 s4, 0xffff, s8
	s_cmp_lt_i32 s4, 5
	s_mov_b64 s[0:1], -1
	s_cbranch_scc1 .LBB133_267
; %bb.247:
	s_cmp_lt_i32 s4, 8
	s_cbranch_scc1 .LBB133_257
; %bb.248:
	s_cmp_lt_i32 s4, 9
	s_cbranch_scc1 .LBB133_254
; %bb.249:
	s_cmp_gt_i32 s4, 9
	s_cbranch_scc0 .LBB133_251
; %bb.250:
	s_mov_b64 s[0:1], 0
	global_store_dwordx4 v[4:5], v[0:3], off
.LBB133_251:
	s_andn2_b64 vcc, exec, s[0:1]
	s_cbranch_vccnz .LBB133_253
; %bb.252:
	v_cvt_f32_f64_e32 v7, v[2:3]
	v_cvt_f32_f64_e32 v6, v[0:1]
	global_store_dwordx2 v[4:5], v[6:7], off
.LBB133_253:
	s_mov_b64 s[0:1], 0
.LBB133_254:
	s_andn2_b64 vcc, exec, s[0:1]
	s_cbranch_vccnz .LBB133_256
; %bb.255:
	s_movk_i32 s0, 0x1ff
	v_and_or_b32 v6, v1, s0, v0
	v_cmp_ne_u32_e32 vcc, 0, v6
	v_lshrrev_b32_e32 v7, 8, v1
	s_movk_i32 s1, 0xffe
	v_cndmask_b32_e64 v6, 0, 1, vcc
	v_bfe_u32 v8, v1, 20, 11
	v_and_or_b32 v6, v7, s1, v6
	v_sub_u32_e32 v9, 0x3f1, v8
	v_or_b32_e32 v7, 0x1000, v6
	v_med3_i32 v9, v9, 0, 13
	v_lshrrev_b32_e32 v10, v9, v7
	v_lshlrev_b32_e32 v9, v9, v10
	v_cmp_ne_u32_e32 vcc, v9, v7
	v_add_u32_e32 v8, 0xfffffc10, v8
	v_lshl_or_b32 v9, v8, 12, v6
	v_cndmask_b32_e64 v7, 0, 1, vcc
	v_or_b32_e32 v7, v10, v7
	v_cmp_gt_i32_e32 vcc, 1, v8
	s_movk_i32 s5, 0x40f
	v_and_or_b32 v2, v3, s0, v2
	v_cndmask_b32_e32 v7, v9, v7, vcc
	v_and_b32_e32 v9, 7, v7
	v_cmp_lt_i32_e32 vcc, 5, v9
	v_lshrrev_b32_e32 v7, 2, v7
	v_bfe_u32 v11, v3, 20, 11
	v_cndmask_b32_e64 v10, 0, 1, vcc
	v_cmp_eq_u32_e32 vcc, 3, v9
	v_sub_u32_e32 v12, 0x3f1, v11
	v_med3_i32 v12, v12, 0, 13
	v_cndmask_b32_e64 v9, 0, 1, vcc
	v_or_b32_e32 v9, v9, v10
	v_add_u32_e32 v7, v7, v9
	v_mov_b32_e32 v9, 0x7c00
	v_cmp_gt_i32_e32 vcc, 31, v8
	v_mov_b32_e32 v10, 0x7e00
	v_add_u32_e32 v11, 0xfffffc10, v11
	v_cndmask_b32_e32 v7, v9, v7, vcc
	v_cmp_ne_u32_e32 vcc, 0, v6
	s_mov_b32 s6, 0x8000
	s_mov_b32 s0, 0xffff
	v_cndmask_b32_e32 v6, v9, v10, vcc
	v_cmp_eq_u32_e32 vcc, s5, v8
	v_lshrrev_b32_e32 v8, 8, v3
	v_lshrrev_b32_e32 v3, 16, v3
	v_cndmask_b32_e32 v6, v7, v6, vcc
	v_cmp_ne_u32_e32 vcc, 0, v2
	v_and_b32_sdwa v7, v1, s6 dst_sel:DWORD dst_unused:UNUSED_PAD src0_sel:WORD_1 src1_sel:DWORD
	s_nop 0
	v_cndmask_b32_e64 v2, 0, 1, vcc
	v_and_or_b32 v2, v8, s1, v2
	v_or_b32_e32 v8, 0x1000, v2
	v_lshrrev_b32_e32 v13, v12, v8
	v_lshlrev_b32_e32 v12, v12, v13
	v_cmp_ne_u32_e32 vcc, v12, v8
	v_lshl_or_b32 v12, v11, 12, v2
	s_nop 0
	v_cndmask_b32_e64 v8, 0, 1, vcc
	v_or_b32_e32 v8, v13, v8
	v_cmp_gt_i32_e32 vcc, 1, v11
	s_nop 1
	v_cndmask_b32_e32 v8, v12, v8, vcc
	v_and_b32_e32 v12, 7, v8
	v_cmp_lt_i32_e32 vcc, 5, v12
	v_lshrrev_b32_e32 v8, 2, v8
	s_nop 0
	v_cndmask_b32_e64 v13, 0, 1, vcc
	v_cmp_eq_u32_e32 vcc, 3, v12
	s_nop 1
	v_cndmask_b32_e64 v12, 0, 1, vcc
	v_or_b32_e32 v12, v12, v13
	v_add_u32_e32 v8, v8, v12
	v_cmp_gt_i32_e32 vcc, 31, v11
	s_nop 1
	v_cndmask_b32_e32 v8, v9, v8, vcc
	v_cmp_ne_u32_e32 vcc, 0, v2
	s_nop 1
	v_cndmask_b32_e32 v2, v9, v10, vcc
	v_cmp_eq_u32_e32 vcc, s5, v11
	s_nop 1
	v_cndmask_b32_e32 v2, v8, v2, vcc
	v_and_or_b32 v2, v3, s6, v2
	v_bitop3_b32 v3, v7, s0, v6 bitop3:0xc8
	v_lshl_or_b32 v2, v2, 16, v3
	global_store_dword v[4:5], v2, off
.LBB133_256:
	s_mov_b64 s[0:1], 0
.LBB133_257:
	s_andn2_b64 vcc, exec, s[0:1]
	s_cbranch_vccnz .LBB133_266
; %bb.258:
	s_cmp_lt_i32 s4, 6
	s_mov_b64 s[0:1], -1
	s_cbranch_scc1 .LBB133_264
; %bb.259:
	s_cmp_gt_i32 s4, 6
	s_cbranch_scc0 .LBB133_261
; %bb.260:
	s_mov_b64 s[0:1], 0
	global_store_dwordx2 v[4:5], v[0:1], off
.LBB133_261:
	s_andn2_b64 vcc, exec, s[0:1]
	s_cbranch_vccnz .LBB133_263
; %bb.262:
	v_cvt_f32_f64_e32 v2, v[0:1]
	global_store_dword v[4:5], v2, off
.LBB133_263:
	s_mov_b64 s[0:1], 0
.LBB133_264:
	s_andn2_b64 vcc, exec, s[0:1]
	s_cbranch_vccnz .LBB133_266
; %bb.265:
	s_movk_i32 s0, 0x1ff
	v_and_or_b32 v2, v1, s0, v0
	v_cmp_ne_u32_e32 vcc, 0, v2
	v_lshrrev_b32_e32 v3, 8, v1
	s_movk_i32 s0, 0xffe
	v_cndmask_b32_e64 v2, 0, 1, vcc
	v_bfe_u32 v6, v1, 20, 11
	v_and_or_b32 v2, v3, s0, v2
	v_sub_u32_e32 v7, 0x3f1, v6
	v_or_b32_e32 v3, 0x1000, v2
	v_med3_i32 v7, v7, 0, 13
	v_lshrrev_b32_e32 v8, v7, v3
	v_lshlrev_b32_e32 v7, v7, v8
	v_cmp_ne_u32_e32 vcc, v7, v3
	v_add_u32_e32 v6, 0xfffffc10, v6
	v_lshl_or_b32 v7, v6, 12, v2
	v_cndmask_b32_e64 v3, 0, 1, vcc
	v_or_b32_e32 v3, v8, v3
	v_cmp_gt_i32_e32 vcc, 1, v6
	s_movk_i32 s0, 0x40f
	s_nop 0
	v_cndmask_b32_e32 v3, v7, v3, vcc
	v_and_b32_e32 v7, 7, v3
	v_cmp_lt_i32_e32 vcc, 5, v7
	v_lshrrev_b32_e32 v3, 2, v3
	s_nop 0
	v_cndmask_b32_e64 v8, 0, 1, vcc
	v_cmp_eq_u32_e32 vcc, 3, v7
	s_nop 1
	v_cndmask_b32_e64 v7, 0, 1, vcc
	v_or_b32_e32 v7, v7, v8
	v_add_u32_e32 v3, v3, v7
	v_mov_b32_e32 v7, 0x7c00
	v_cmp_gt_i32_e32 vcc, 31, v6
	v_mov_b32_e32 v8, 0x7e00
	s_nop 0
	v_cndmask_b32_e32 v3, v7, v3, vcc
	v_cmp_ne_u32_e32 vcc, 0, v2
	s_nop 1
	v_cndmask_b32_e32 v2, v7, v8, vcc
	v_cmp_eq_u32_e32 vcc, s0, v6
	s_mov_b32 s0, 0x8000
	s_nop 0
	v_cndmask_b32_e32 v2, v3, v2, vcc
	v_lshrrev_b32_e32 v3, 16, v1
	v_and_or_b32 v2, v3, s0, v2
	global_store_short v[4:5], v2, off
.LBB133_266:
	s_mov_b64 s[0:1], 0
.LBB133_267:
	s_andn2_b64 vcc, exec, s[0:1]
	s_cbranch_vccnz .LBB133_283
; %bb.268:
	s_cmp_lt_i32 s4, 2
	s_mov_b64 s[0:1], -1
	s_cbranch_scc1 .LBB133_278
; %bb.269:
	s_cmp_lt_i32 s4, 3
	s_cbranch_scc1 .LBB133_275
; %bb.270:
	s_cmp_gt_i32 s4, 3
	s_cbranch_scc0 .LBB133_272
; %bb.271:
	v_trunc_f64_e32 v[2:3], v[0:1]
	s_movk_i32 s0, 0xffe0
	v_ldexp_f64 v[6:7], v[2:3], s0
	v_floor_f64_e32 v[6:7], v[6:7]
	v_fmac_f64_e32 v[2:3], 0xc1f00000, v[6:7]
	v_cvt_i32_f64_e32 v9, v[6:7]
	v_cvt_u32_f64_e32 v8, v[2:3]
	s_mov_b64 s[0:1], 0
	global_store_dwordx2 v[4:5], v[8:9], off
.LBB133_272:
	s_andn2_b64 vcc, exec, s[0:1]
	s_cbranch_vccnz .LBB133_274
; %bb.273:
	v_cvt_i32_f64_e32 v2, v[0:1]
	global_store_dword v[4:5], v2, off
.LBB133_274:
	s_mov_b64 s[0:1], 0
.LBB133_275:
	s_andn2_b64 vcc, exec, s[0:1]
	s_cbranch_vccnz .LBB133_277
; %bb.276:
	v_cvt_i32_f64_e32 v2, v[0:1]
	global_store_short v[4:5], v2, off
.LBB133_277:
	s_mov_b64 s[0:1], 0
.LBB133_278:
	s_andn2_b64 vcc, exec, s[0:1]
	s_cbranch_vccnz .LBB133_283
; %bb.279:
	s_cmp_gt_i32 s4, 0
	s_mov_b64 s[0:1], -1
	s_cbranch_scc0 .LBB133_281
; %bb.280:
	v_cvt_i32_f64_e32 v2, v[0:1]
	s_mov_b64 s[0:1], 0
	global_store_byte v[4:5], v2, off
.LBB133_281:
	s_andn2_b64 vcc, exec, s[0:1]
	s_cbranch_vccnz .LBB133_283
; %bb.282:
	v_trunc_f64_e32 v[0:1], v[0:1]
	s_movk_i32 s0, 0xffe0
	v_ldexp_f64 v[2:3], v[0:1], s0
	v_floor_f64_e32 v[2:3], v[2:3]
	v_fmac_f64_e32 v[0:1], 0xc1f00000, v[2:3]
	v_cvt_u32_f64_e32 v0, v[0:1]
	global_store_byte v[4:5], v0, off
.LBB133_283:
	s_branch .LBB133_168
.LBB133_284:
	s_mov_b64 s[0:1], 0
                                        ; implicit-def: $vgpr44
.LBB133_285:
	s_andn2_b64 s[4:5], s[60:61], exec
	s_and_b64 s[2:3], s[2:3], exec
	s_or_b64 s[64:65], s[4:5], s[2:3]
	s_orn2_b64 s[4:5], s[0:1], exec
.LBB133_286:
	s_or_b64 exec, exec, s[66:67]
	s_mov_b64 s[0:1], 0
	s_mov_b64 s[2:3], 0
                                        ; implicit-def: $sgpr10
                                        ; implicit-def: $vgpr2_vgpr3
                                        ; implicit-def: $vgpr4_vgpr5
	s_and_saveexec_b64 s[66:67], s[4:5]
	s_cbranch_execz .LBB133_533
; %bb.287:
	v_cmp_gt_i32_e32 vcc, s72, v44
	s_mov_b64 s[2:3], -1
	s_mov_b64 s[70:71], s[64:65]
	s_and_saveexec_b64 s[68:69], vcc
	s_cbranch_execz .LBB133_432
; %bb.288:
	s_andn2_b64 vcc, exec, s[48:49]
	s_cbranch_vccnz .LBB133_294
; %bb.289:
	s_andn2_b64 vcc, exec, s[58:59]
	s_cbranch_vccnz .LBB133_295
; %bb.290:
	s_add_i32 s25, s76, 1
	s_cmp_eq_u32 s74, 2
	s_cbranch_scc1 .LBB133_296
; %bb.291:
	s_and_b32 s24, s25, 28
	s_mov_b32 s30, 0
	v_mov_b32_e32 v42, 0
	v_mov_b32_e32 v2, 0
	s_mov_b64 s[20:21], s[28:29]
	s_mov_b64 s[22:23], s[56:57]
	v_mov_b32_e32 v0, v44
.LBB133_292:                            ; =>This Inner Loop Header: Depth=1
	s_load_dwordx8 s[8:15], s[20:21], 0x4
	s_load_dwordx4 s[16:19], s[20:21], 0x24
	s_load_dwordx8 s[0:7], s[22:23], 0x0
	s_add_u32 s20, s20, 48
	s_addc_u32 s21, s21, 0
	s_waitcnt lgkmcnt(0)
	v_mul_hi_u32 v1, s9, v0
	v_add_u32_e32 v1, v0, v1
	v_lshrrev_b32_e32 v1, s10, v1
	v_mul_lo_u32 v3, v1, s8
	v_mul_hi_u32 v4, s12, v1
	v_sub_u32_e32 v0, v0, v3
	v_add_u32_e32 v3, v1, v4
	v_lshrrev_b32_e32 v3, s13, v3
	v_mul_lo_u32 v5, v3, s11
	v_mul_hi_u32 v6, s15, v3
	v_sub_u32_e32 v1, v1, v5
	v_add_u32_e32 v5, v3, v6
	v_mul_lo_u32 v4, v0, s1
	v_mul_lo_u32 v0, v0, s0
	;; [unrolled: 1-line block ×4, first 2 shown]
	v_lshrrev_b32_e32 v5, s16, v5
	v_add3_u32 v1, v0, v42, v1
	v_add3_u32 v2, v4, v2, v6
	v_mul_lo_u32 v0, v5, s14
	v_mul_hi_u32 v4, s18, v5
	v_sub_u32_e32 v0, v3, v0
	v_add_u32_e32 v3, v5, v4
	v_mul_lo_u32 v4, v0, s4
	v_mul_lo_u32 v6, v0, s5
	v_lshrrev_b32_e32 v0, s19, v3
	s_add_i32 s30, s30, 4
	v_mul_lo_u32 v3, v0, s17
	s_add_u32 s22, s22, 32
	v_sub_u32_e32 v3, v5, v3
	s_addc_u32 s23, s23, 0
	v_mul_lo_u32 v5, v3, s6
	v_mul_lo_u32 v3, v3, s7
	s_cmp_eq_u32 s24, s30
	v_add3_u32 v2, v6, v2, v3
	v_add3_u32 v42, v4, v1, v5
	s_cbranch_scc0 .LBB133_292
; %bb.293:
	v_mov_b32_e32 v1, v2
	s_branch .LBB133_297
.LBB133_294:
	s_mov_b64 s[0:1], -1
                                        ; implicit-def: $vgpr2
                                        ; implicit-def: $vgpr42
	s_branch .LBB133_301
.LBB133_295:
	v_mov_b32_e32 v2, 0
	v_mov_b32_e32 v42, 0
	s_branch .LBB133_300
.LBB133_296:
	v_mov_b32_e32 v42, 0
	s_mov_b32 s24, 0
	v_mov_b32_e32 v1, v42
                                        ; implicit-def: $vgpr2
	v_mov_b32_e32 v0, v44
.LBB133_297:
	s_and_b32 s4, s25, 3
	s_cmp_eq_u32 s4, 0
	s_cbranch_scc1 .LBB133_300
; %bb.298:
	s_lshl_b32 s0, s24, 3
	s_add_u32 s0, s28, s0
	s_addc_u32 s1, s29, 0
	s_add_u32 s0, s0, 0xc4
	s_addc_u32 s1, s1, 0
	s_mul_i32 s2, s24, 12
	s_add_u32 s2, s28, s2
	s_addc_u32 s3, s29, 0
.LBB133_299:                            ; =>This Inner Loop Header: Depth=1
	s_load_dwordx2 s[6:7], s[2:3], 0x4
	s_load_dword s5, s[2:3], 0xc
	s_load_dwordx2 s[8:9], s[0:1], 0x0
	v_mov_b32_e32 v2, v1
	s_add_u32 s2, s2, 12
	s_waitcnt lgkmcnt(0)
	v_mul_hi_u32 v1, s7, v0
	v_add_u32_e32 v1, v0, v1
	v_lshrrev_b32_e32 v1, s5, v1
	s_addc_u32 s3, s3, 0
	v_mul_lo_u32 v3, v1, s6
	s_add_u32 s0, s0, 8
	v_sub_u32_e32 v4, v0, v3
	s_addc_u32 s1, s1, 0
	s_add_i32 s4, s4, -1
	v_mad_u64_u32 v[2:3], s[6:7], v4, s9, v[2:3]
	s_cmp_lg_u32 s4, 0
	v_mov_b32_e32 v0, v1
	v_mad_u64_u32 v[42:43], s[6:7], v4, s8, v[42:43]
	v_mov_b32_e32 v1, v2
	s_cbranch_scc1 .LBB133_299
.LBB133_300:
	s_mov_b64 s[0:1], 0
.LBB133_301:
	s_andn2_b64 vcc, exec, s[0:1]
	s_cbranch_vccnz .LBB133_304
; %bb.302:
	s_waitcnt lgkmcnt(0)
	v_mul_hi_u32 v0, s45, v44
	v_add_u32_e32 v0, v44, v0
	v_lshrrev_b32_e32 v0, s46, v0
	v_mul_lo_u32 v1, v0, s44
	v_sub_u32_e32 v1, v44, v1
	v_mul_lo_u32 v2, v1, s41
	s_andn2_b64 vcc, exec, s[54:55]
	v_mul_lo_u32 v42, v1, s40
	s_cbranch_vccnz .LBB133_304
; %bb.303:
	v_mul_hi_u32 v1, s52, v0
	v_add_u32_e32 v1, v0, v1
	v_lshrrev_b32_e32 v1, s53, v1
	v_mul_lo_u32 v1, v1, s47
	v_sub_u32_e32 v0, v0, v1
	v_mad_u64_u32 v[42:43], s[0:1], v0, s42, v[42:43]
	v_mad_u64_u32 v[2:3], s[0:1], v0, s43, v[2:3]
.LBB133_304:
	s_getpc_b64 s[0:1]
	s_add_u32 s0, s0, _ZN2at6native6invokeIZZZNS0_17expm1_kernel_cudaERNS_18TensorIteratorBaseEENKUlvE_clEvENKUlvE1_clEvEUlN3c107complexIdEEE_j15function_traitsIS9_EEENT1_11result_typeERKT_PrKPcPKT0_PKNS6_10ScalarTypeEi@rel32@lo+4
	s_addc_u32 s1, s1, _ZN2at6native6invokeIZZZNS0_17expm1_kernel_cudaERNS_18TensorIteratorBaseEENKUlvE_clEvENKUlvE1_clEvEUlN3c107complexIdEEE_j15function_traitsIS9_EEENT1_11result_typeERKT_PrKPcPKT0_PKNS6_10ScalarTypeEi@rel32@hi+12
	s_waitcnt lgkmcnt(0)
	v_mov_b32_e32 v0, s38
	v_mov_b32_e32 v1, s39
	;; [unrolled: 1-line block ×3, first 2 shown]
	s_swappc_b64 s[30:31], s[0:1]
	v_mov_b32_e32 v43, 0
	s_and_b32 s8, s75, 0xff
	s_cmp_lt_i32 s8, 11
	v_lshl_add_u64 v[4:5], s[36:37], 0, v[42:43]
	s_cbranch_scc1 .LBB133_311
; %bb.305:
	s_and_b32 s9, 0xffff, s8
	s_cmp_gt_i32 s9, 25
	s_cbranch_scc0 .LBB133_312
; %bb.306:
	s_cmp_gt_i32 s9, 28
	s_cbranch_scc0 .LBB133_313
; %bb.307:
	;; [unrolled: 3-line block ×4, first 2 shown]
	s_mov_b64 s[4:5], 0
	s_mov_b64 s[2:3], -1
	s_cmp_eq_u32 s9, 46
	s_mov_b64 s[0:1], 0
	s_cbranch_scc0 .LBB133_320
; %bb.310:
	v_cvt_f32_f64_e32 v7, v[2:3]
	s_movk_i32 s0, 0x7fff
	v_bfe_u32 v9, v7, 16, 1
	v_cvt_f32_f64_e32 v6, v[0:1]
	v_add3_u32 v9, v7, v9, s0
	v_bfe_u32 v8, v6, 16, 1
	v_and_b32_e32 v9, 0xffff0000, v9
	v_mov_b32_e32 v10, 0x7fc00000
	v_cmp_o_f32_e32 vcc, v7, v7
	v_add3_u32 v8, v6, v8, s0
	s_mov_b64 s[0:1], -1
	v_cndmask_b32_e32 v7, v10, v9, vcc
	v_cmp_o_f32_e32 vcc, v6, v6
	v_mov_b32_e32 v6, 0x7fc0
	s_mov_b64 s[2:3], 0
	v_cndmask_b32_sdwa v6, v6, v8, vcc dst_sel:DWORD dst_unused:UNUSED_PAD src0_sel:DWORD src1_sel:WORD_1
	v_or_b32_e32 v6, v7, v6
	global_store_dword v[4:5], v6, off
	s_branch .LBB133_320
.LBB133_311:
	s_mov_b64 s[4:5], -1
	s_mov_b64 s[0:1], 0
	s_mov_b64 s[2:3], s[64:65]
	s_branch .LBB133_389
.LBB133_312:
	s_mov_b64 s[4:5], -1
	s_mov_b64 s[0:1], 0
	s_mov_b64 s[2:3], s[64:65]
	s_branch .LBB133_347
.LBB133_313:
	s_mov_b64 s[4:5], -1
	s_mov_b64 s[0:1], 0
	s_mov_b64 s[2:3], s[64:65]
	s_branch .LBB133_330
.LBB133_314:
	s_andn2_saveexec_b64 s[6:7], s[6:7]
	s_cbranch_execz .LBB133_198
.LBB133_315:
	s_mov_b32 s10, 0x46000000
	v_add_f32_e64 v7, |v6|, s10
	v_and_b32_e32 v7, 0xff, v7
	v_cmp_ne_u32_e32 vcc, 0, v7
	s_andn2_b64 s[4:5], s[4:5], exec
	s_and_b64 s[10:11], vcc, exec
	s_or_b64 s[4:5], s[4:5], s[10:11]
	s_or_b64 exec, exec, s[6:7]
	v_mov_b32_e32 v8, 0
	s_and_saveexec_b64 s[6:7], s[4:5]
	s_cbranch_execnz .LBB133_199
	s_branch .LBB133_200
.LBB133_316:
	s_mov_b64 s[4:5], -1
	s_mov_b64 s[0:1], 0
	s_mov_b64 s[2:3], s[64:65]
	s_branch .LBB133_326
.LBB133_317:
	s_andn2_saveexec_b64 s[6:7], s[6:7]
	s_cbranch_execz .LBB133_211
.LBB133_318:
	s_mov_b32 s10, 0x42800000
	v_add_f32_e64 v7, |v6|, s10
	v_and_b32_e32 v7, 0xff, v7
	v_cmp_ne_u32_e32 vcc, 0, v7
	s_andn2_b64 s[4:5], s[4:5], exec
	s_and_b64 s[10:11], vcc, exec
	s_or_b64 s[4:5], s[4:5], s[10:11]
	s_or_b64 exec, exec, s[6:7]
	v_mov_b32_e32 v8, 0
	s_and_saveexec_b64 s[6:7], s[4:5]
	s_cbranch_execnz .LBB133_212
	s_branch .LBB133_213
.LBB133_319:
	s_mov_b64 s[4:5], -1
	s_mov_b64 s[0:1], 0
	s_mov_b64 s[2:3], s[64:65]
.LBB133_320:
	s_and_b64 vcc, exec, s[4:5]
	s_cbranch_vccz .LBB133_325
; %bb.321:
	s_cmp_eq_u32 s9, 44
	s_mov_b64 s[2:3], -1
	s_cbranch_scc0 .LBB133_325
; %bb.322:
	v_cvt_f32_f64_e32 v6, v[0:1]
	v_bfe_u32 v7, v6, 23, 8
	s_movk_i32 s0, 0xff
	v_cmp_ne_u32_e32 vcc, s0, v7
	v_mov_b32_e32 v8, 0xff
	s_and_saveexec_b64 s[2:3], vcc
; %bb.323:
	s_mov_b32 s0, 0x3fffff
	v_lshrrev_b32_e32 v8, 23, v6
	v_and_b32_e32 v9, 0x400000, v6
	v_and_or_b32 v6, v6, s0, v7
	v_cmp_ne_u32_e32 vcc, 0, v9
	v_cmp_ne_u32_e64 s[0:1], 0, v6
	s_and_b64 s[0:1], vcc, s[0:1]
	s_nop 0
	v_cndmask_b32_e64 v6, 0, 1, s[0:1]
	v_add_u32_e32 v8, v8, v6
; %bb.324:
	s_or_b64 exec, exec, s[2:3]
	s_mov_b64 s[0:1], -1
	s_mov_b64 s[2:3], 0
	global_store_byte v[4:5], v8, off
.LBB133_325:
	s_mov_b64 s[4:5], 0
.LBB133_326:
	s_and_b64 vcc, exec, s[4:5]
	s_cbranch_vccz .LBB133_329
; %bb.327:
	s_cmp_eq_u32 s9, 29
	s_mov_b64 s[2:3], -1
	s_cbranch_scc0 .LBB133_329
; %bb.328:
	v_trunc_f64_e32 v[6:7], v[0:1]
	s_movk_i32 s0, 0xffe0
	v_ldexp_f64 v[8:9], v[6:7], s0
	v_floor_f64_e32 v[8:9], v[8:9]
	v_fmac_f64_e32 v[6:7], 0xc1f00000, v[8:9]
	v_cvt_u32_f64_e32 v11, v[8:9]
	v_cvt_u32_f64_e32 v10, v[6:7]
	global_store_dwordx2 v[4:5], v[10:11], off
	s_mov_b64 s[0:1], -1
	s_mov_b64 s[2:3], 0
.LBB133_329:
	s_mov_b64 s[4:5], 0
.LBB133_330:
	s_and_b64 vcc, exec, s[4:5]
	s_cbranch_vccz .LBB133_346
; %bb.331:
	s_cmp_lt_i32 s9, 27
	s_mov_b64 s[0:1], -1
	s_cbranch_scc1 .LBB133_337
; %bb.332:
	s_cmp_gt_i32 s9, 27
	v_cvt_u32_f64_e32 v6, v[0:1]
	s_cbranch_scc0 .LBB133_334
; %bb.333:
	s_mov_b64 s[0:1], 0
	global_store_dword v[4:5], v6, off
.LBB133_334:
	s_andn2_b64 vcc, exec, s[0:1]
	s_cbranch_vccnz .LBB133_336
; %bb.335:
	global_store_short v[4:5], v6, off
.LBB133_336:
	s_mov_b64 s[0:1], 0
.LBB133_337:
	s_andn2_b64 vcc, exec, s[0:1]
	s_cbranch_vccnz .LBB133_345
; %bb.338:
	v_cvt_f32_f64_e32 v6, v[0:1]
	v_and_b32_e32 v7, 0x7fffffff, v6
	s_mov_b32 s0, 0x43800000
	v_cmp_gt_u32_e32 vcc, s0, v7
	v_mov_b32_e32 v8, 0x80
	s_and_saveexec_b64 s[0:1], vcc
	s_cbranch_execz .LBB133_344
; %bb.339:
	s_mov_b32 s4, 0x3bffffff
	v_cmp_lt_u32_e32 vcc, s4, v7
	s_mov_b64 s[4:5], 0
                                        ; implicit-def: $vgpr7
	s_and_saveexec_b64 s[6:7], vcc
	s_xor_b64 s[6:7], exec, s[6:7]
	s_cbranch_execz .LBB133_458
; %bb.340:
	v_bfe_u32 v7, v6, 20, 1
	s_mov_b32 s10, 0x487ffff
	v_add3_u32 v7, v6, v7, s10
	s_mov_b64 s[4:5], exec
	v_lshrrev_b32_e32 v7, 20, v7
	s_andn2_saveexec_b64 s[6:7], s[6:7]
	s_cbranch_execnz .LBB133_459
.LBB133_341:
	s_or_b64 exec, exec, s[6:7]
	v_mov_b32_e32 v8, 0
	s_and_saveexec_b64 s[6:7], s[4:5]
.LBB133_342:
	v_lshrrev_b32_e32 v6, 24, v6
	s_movk_i32 s4, 0x80
	v_and_or_b32 v8, v6, s4, v7
.LBB133_343:
	s_or_b64 exec, exec, s[6:7]
.LBB133_344:
	s_or_b64 exec, exec, s[0:1]
	global_store_byte v[4:5], v8, off
.LBB133_345:
	s_mov_b64 s[0:1], -1
.LBB133_346:
	s_mov_b64 s[4:5], 0
.LBB133_347:
	s_and_b64 vcc, exec, s[4:5]
	s_cbranch_vccz .LBB133_388
; %bb.348:
	s_cmp_gt_i32 s9, 22
	s_mov_b64 s[4:5], -1
	s_cbranch_scc0 .LBB133_380
; %bb.349:
	s_cmp_lt_i32 s9, 24
	s_mov_b64 s[0:1], -1
	s_cbranch_scc1 .LBB133_369
; %bb.350:
	s_cmp_gt_i32 s9, 24
	s_cbranch_scc0 .LBB133_358
; %bb.351:
	v_cvt_f32_f64_e32 v6, v[0:1]
	v_and_b32_e32 v7, 0x7fffffff, v6
	s_mov_b32 s0, 0x47800000
	v_cmp_gt_u32_e32 vcc, s0, v7
	v_mov_b32_e32 v8, 0x80
	s_and_saveexec_b64 s[0:1], vcc
	s_cbranch_execz .LBB133_357
; %bb.352:
	s_mov_b32 s4, 0x37ffffff
	v_cmp_lt_u32_e32 vcc, s4, v7
	s_mov_b64 s[4:5], 0
                                        ; implicit-def: $vgpr7
	s_and_saveexec_b64 s[6:7], vcc
	s_xor_b64 s[6:7], exec, s[6:7]
	s_cbranch_execz .LBB133_460
; %bb.353:
	v_bfe_u32 v7, v6, 21, 1
	s_mov_b32 s10, 0x88fffff
	v_add3_u32 v7, v6, v7, s10
	s_mov_b64 s[4:5], exec
	v_lshrrev_b32_e32 v7, 21, v7
	s_andn2_saveexec_b64 s[6:7], s[6:7]
	s_cbranch_execnz .LBB133_461
.LBB133_354:
	s_or_b64 exec, exec, s[6:7]
	v_mov_b32_e32 v8, 0
	s_and_saveexec_b64 s[6:7], s[4:5]
.LBB133_355:
	v_lshrrev_b32_e32 v6, 24, v6
	s_movk_i32 s4, 0x80
	v_and_or_b32 v8, v6, s4, v7
.LBB133_356:
	s_or_b64 exec, exec, s[6:7]
.LBB133_357:
	s_or_b64 exec, exec, s[0:1]
	s_mov_b64 s[0:1], 0
	global_store_byte v[4:5], v8, off
.LBB133_358:
	s_and_b64 vcc, exec, s[0:1]
	s_cbranch_vccz .LBB133_368
; %bb.359:
	v_cvt_f32_f64_e32 v6, v[0:1]
	v_and_b32_e32 v8, 0x7fffffff, v6
	s_mov_b32 s0, 0x43f00000
	v_cmp_gt_u32_e32 vcc, s0, v8
                                        ; implicit-def: $vgpr7
	s_and_saveexec_b64 s[0:1], vcc
	s_xor_b64 s[0:1], exec, s[0:1]
	s_cbranch_execz .LBB133_365
; %bb.360:
	s_mov_b32 s4, 0x3c7fffff
	v_cmp_lt_u32_e32 vcc, s4, v8
                                        ; implicit-def: $vgpr7
	s_and_saveexec_b64 s[4:5], vcc
	s_xor_b64 s[4:5], exec, s[4:5]
; %bb.361:
	v_bfe_u32 v7, v6, 20, 1
	s_mov_b32 s6, 0x407ffff
	v_add3_u32 v7, v6, v7, s6
	v_lshrrev_b32_e32 v8, 20, v7
	v_and_b32_e32 v7, 0xff00000, v7
	s_mov_b32 s6, 0x7f00000
	v_mov_b32_e32 v9, 0x7e
	v_cmp_ne_u32_e32 vcc, s6, v7
	s_nop 1
	v_cndmask_b32_e32 v7, v9, v8, vcc
; %bb.362:
	s_andn2_saveexec_b64 s[4:5], s[4:5]
; %bb.363:
	s_mov_b32 s6, 0x46800000
	v_add_f32_e64 v7, |v6|, s6
; %bb.364:
	s_or_b64 exec, exec, s[4:5]
                                        ; implicit-def: $vgpr8
.LBB133_365:
	s_andn2_saveexec_b64 s[0:1], s[0:1]
; %bb.366:
	s_mov_b32 s4, 0x7f800000
	v_mov_b32_e32 v7, 0x7e
	v_mov_b32_e32 v9, 0x7f
	v_cmp_lt_u32_e32 vcc, s4, v8
	s_nop 1
	v_cndmask_b32_e32 v7, v7, v9, vcc
; %bb.367:
	s_or_b64 exec, exec, s[0:1]
	v_lshrrev_b32_e32 v6, 24, v6
	s_movk_i32 s0, 0x80
	v_and_or_b32 v6, v6, s0, v7
	global_store_byte v[4:5], v6, off
.LBB133_368:
	s_mov_b64 s[0:1], 0
.LBB133_369:
	s_andn2_b64 vcc, exec, s[0:1]
	s_cbranch_vccnz .LBB133_379
; %bb.370:
	v_cvt_f32_f64_e32 v6, v[0:1]
	v_and_b32_e32 v8, 0x7fffffff, v6
	s_mov_b32 s0, 0x47800000
	v_cmp_gt_u32_e32 vcc, s0, v8
                                        ; implicit-def: $vgpr7
	s_and_saveexec_b64 s[0:1], vcc
	s_xor_b64 s[0:1], exec, s[0:1]
	s_cbranch_execz .LBB133_376
; %bb.371:
	s_mov_b32 s4, 0x387fffff
	v_cmp_lt_u32_e32 vcc, s4, v8
                                        ; implicit-def: $vgpr7
	s_and_saveexec_b64 s[4:5], vcc
	s_xor_b64 s[4:5], exec, s[4:5]
; %bb.372:
	v_bfe_u32 v7, v6, 21, 1
	s_mov_b32 s6, 0x80fffff
	v_add3_u32 v7, v6, v7, s6
	v_lshrrev_b32_e32 v7, 21, v7
; %bb.373:
	s_andn2_saveexec_b64 s[4:5], s[4:5]
; %bb.374:
	s_mov_b32 s6, 0x43000000
	v_add_f32_e64 v7, |v6|, s6
; %bb.375:
	s_or_b64 exec, exec, s[4:5]
                                        ; implicit-def: $vgpr8
.LBB133_376:
	s_andn2_saveexec_b64 s[0:1], s[0:1]
; %bb.377:
	s_mov_b32 s4, 0x7f800000
	v_mov_b32_e32 v7, 0x7c
	v_mov_b32_e32 v9, 0x7f
	v_cmp_lt_u32_e32 vcc, s4, v8
	s_nop 1
	v_cndmask_b32_e32 v7, v7, v9, vcc
; %bb.378:
	s_or_b64 exec, exec, s[0:1]
	v_lshrrev_b32_e32 v6, 24, v6
	s_movk_i32 s0, 0x80
	v_and_or_b32 v6, v6, s0, v7
	global_store_byte v[4:5], v6, off
.LBB133_379:
	s_mov_b64 s[4:5], 0
	s_mov_b64 s[0:1], -1
.LBB133_380:
	s_andn2_b64 vcc, exec, s[4:5]
	s_cbranch_vccnz .LBB133_388
; %bb.381:
	s_cmp_gt_i32 s9, 14
	s_mov_b64 s[4:5], -1
	s_cbranch_scc0 .LBB133_385
; %bb.382:
	s_cmp_eq_u32 s9, 15
	s_mov_b64 s[2:3], -1
	s_cbranch_scc0 .LBB133_384
; %bb.383:
	v_cvt_f32_f64_e32 v6, v[0:1]
	v_bfe_u32 v7, v6, 16, 1
	s_movk_i32 s0, 0x7fff
	v_add3_u32 v7, v6, v7, s0
	v_cmp_o_f32_e32 vcc, v6, v6
	v_mov_b32_e32 v6, 0x7fc0
	s_mov_b64 s[0:1], -1
	v_cndmask_b32_sdwa v6, v6, v7, vcc dst_sel:DWORD dst_unused:UNUSED_PAD src0_sel:DWORD src1_sel:WORD_1
	global_store_short v[4:5], v6, off
	s_mov_b64 s[2:3], 0
.LBB133_384:
	s_mov_b64 s[4:5], 0
.LBB133_385:
	s_and_b64 vcc, exec, s[4:5]
	s_cbranch_vccz .LBB133_388
; %bb.386:
	s_cmp_eq_u32 s9, 11
	s_mov_b64 s[2:3], -1
	s_cbranch_scc0 .LBB133_388
; %bb.387:
	v_cmp_neq_f64_e32 vcc, 0, v[0:1]
	v_cmp_neq_f64_e64 s[0:1], 0, v[2:3]
	s_or_b64 s[0:1], vcc, s[0:1]
	s_mov_b64 s[2:3], 0
	v_cndmask_b32_e64 v6, 0, 1, s[0:1]
	s_mov_b64 s[0:1], -1
	global_store_byte v[4:5], v6, off
.LBB133_388:
	s_mov_b64 s[4:5], 0
.LBB133_389:
	s_and_b64 vcc, exec, s[4:5]
	s_cbranch_vccz .LBB133_428
; %bb.390:
	s_and_b32 s4, 0xffff, s8
	s_cmp_lt_i32 s4, 5
	s_mov_b64 s[0:1], -1
	s_cbranch_scc1 .LBB133_411
; %bb.391:
	s_cmp_lt_i32 s4, 8
	s_cbranch_scc1 .LBB133_401
; %bb.392:
	s_cmp_lt_i32 s4, 9
	s_cbranch_scc1 .LBB133_398
; %bb.393:
	s_cmp_gt_i32 s4, 9
	s_cbranch_scc0 .LBB133_395
; %bb.394:
	s_mov_b64 s[0:1], 0
	global_store_dwordx4 v[4:5], v[0:3], off
.LBB133_395:
	s_andn2_b64 vcc, exec, s[0:1]
	s_cbranch_vccnz .LBB133_397
; %bb.396:
	v_cvt_f32_f64_e32 v7, v[2:3]
	v_cvt_f32_f64_e32 v6, v[0:1]
	global_store_dwordx2 v[4:5], v[6:7], off
.LBB133_397:
	s_mov_b64 s[0:1], 0
.LBB133_398:
	s_andn2_b64 vcc, exec, s[0:1]
	s_cbranch_vccnz .LBB133_400
; %bb.399:
	s_movk_i32 s0, 0x1ff
	v_and_or_b32 v6, v1, s0, v0
	v_cmp_ne_u32_e32 vcc, 0, v6
	v_lshrrev_b32_e32 v7, 8, v1
	s_movk_i32 s1, 0xffe
	v_cndmask_b32_e64 v6, 0, 1, vcc
	v_bfe_u32 v8, v1, 20, 11
	v_and_or_b32 v6, v7, s1, v6
	v_sub_u32_e32 v9, 0x3f1, v8
	v_or_b32_e32 v7, 0x1000, v6
	v_med3_i32 v9, v9, 0, 13
	v_lshrrev_b32_e32 v10, v9, v7
	v_lshlrev_b32_e32 v9, v9, v10
	v_cmp_ne_u32_e32 vcc, v9, v7
	v_add_u32_e32 v8, 0xfffffc10, v8
	v_lshl_or_b32 v9, v8, 12, v6
	v_cndmask_b32_e64 v7, 0, 1, vcc
	v_or_b32_e32 v7, v10, v7
	v_cmp_gt_i32_e32 vcc, 1, v8
	s_movk_i32 s5, 0x40f
	v_and_or_b32 v2, v3, s0, v2
	v_cndmask_b32_e32 v7, v9, v7, vcc
	v_and_b32_e32 v9, 7, v7
	v_cmp_lt_i32_e32 vcc, 5, v9
	v_lshrrev_b32_e32 v7, 2, v7
	v_bfe_u32 v11, v3, 20, 11
	v_cndmask_b32_e64 v10, 0, 1, vcc
	v_cmp_eq_u32_e32 vcc, 3, v9
	v_sub_u32_e32 v12, 0x3f1, v11
	v_med3_i32 v12, v12, 0, 13
	v_cndmask_b32_e64 v9, 0, 1, vcc
	v_or_b32_e32 v9, v9, v10
	v_add_u32_e32 v7, v7, v9
	v_mov_b32_e32 v9, 0x7c00
	v_cmp_gt_i32_e32 vcc, 31, v8
	v_mov_b32_e32 v10, 0x7e00
	v_add_u32_e32 v11, 0xfffffc10, v11
	v_cndmask_b32_e32 v7, v9, v7, vcc
	v_cmp_ne_u32_e32 vcc, 0, v6
	s_mov_b32 s6, 0x8000
	s_mov_b32 s0, 0xffff
	v_cndmask_b32_e32 v6, v9, v10, vcc
	v_cmp_eq_u32_e32 vcc, s5, v8
	v_lshrrev_b32_e32 v8, 8, v3
	v_lshrrev_b32_e32 v3, 16, v3
	v_cndmask_b32_e32 v6, v7, v6, vcc
	v_cmp_ne_u32_e32 vcc, 0, v2
	v_and_b32_sdwa v7, v1, s6 dst_sel:DWORD dst_unused:UNUSED_PAD src0_sel:WORD_1 src1_sel:DWORD
	s_nop 0
	v_cndmask_b32_e64 v2, 0, 1, vcc
	v_and_or_b32 v2, v8, s1, v2
	v_or_b32_e32 v8, 0x1000, v2
	v_lshrrev_b32_e32 v13, v12, v8
	v_lshlrev_b32_e32 v12, v12, v13
	v_cmp_ne_u32_e32 vcc, v12, v8
	v_lshl_or_b32 v12, v11, 12, v2
	s_nop 0
	v_cndmask_b32_e64 v8, 0, 1, vcc
	v_or_b32_e32 v8, v13, v8
	v_cmp_gt_i32_e32 vcc, 1, v11
	s_nop 1
	v_cndmask_b32_e32 v8, v12, v8, vcc
	v_and_b32_e32 v12, 7, v8
	v_cmp_lt_i32_e32 vcc, 5, v12
	v_lshrrev_b32_e32 v8, 2, v8
	s_nop 0
	v_cndmask_b32_e64 v13, 0, 1, vcc
	v_cmp_eq_u32_e32 vcc, 3, v12
	s_nop 1
	v_cndmask_b32_e64 v12, 0, 1, vcc
	v_or_b32_e32 v12, v12, v13
	v_add_u32_e32 v8, v8, v12
	v_cmp_gt_i32_e32 vcc, 31, v11
	s_nop 1
	v_cndmask_b32_e32 v8, v9, v8, vcc
	v_cmp_ne_u32_e32 vcc, 0, v2
	s_nop 1
	v_cndmask_b32_e32 v2, v9, v10, vcc
	v_cmp_eq_u32_e32 vcc, s5, v11
	s_nop 1
	v_cndmask_b32_e32 v2, v8, v2, vcc
	v_and_or_b32 v2, v3, s6, v2
	v_bitop3_b32 v3, v7, s0, v6 bitop3:0xc8
	v_lshl_or_b32 v2, v2, 16, v3
	global_store_dword v[4:5], v2, off
.LBB133_400:
	s_mov_b64 s[0:1], 0
.LBB133_401:
	s_andn2_b64 vcc, exec, s[0:1]
	s_cbranch_vccnz .LBB133_410
; %bb.402:
	s_cmp_lt_i32 s4, 6
	s_mov_b64 s[0:1], -1
	s_cbranch_scc1 .LBB133_408
; %bb.403:
	s_cmp_gt_i32 s4, 6
	s_cbranch_scc0 .LBB133_405
; %bb.404:
	s_mov_b64 s[0:1], 0
	global_store_dwordx2 v[4:5], v[0:1], off
.LBB133_405:
	s_andn2_b64 vcc, exec, s[0:1]
	s_cbranch_vccnz .LBB133_407
; %bb.406:
	v_cvt_f32_f64_e32 v2, v[0:1]
	global_store_dword v[4:5], v2, off
.LBB133_407:
	s_mov_b64 s[0:1], 0
.LBB133_408:
	s_andn2_b64 vcc, exec, s[0:1]
	s_cbranch_vccnz .LBB133_410
; %bb.409:
	s_movk_i32 s0, 0x1ff
	v_and_or_b32 v2, v1, s0, v0
	v_cmp_ne_u32_e32 vcc, 0, v2
	v_lshrrev_b32_e32 v3, 8, v1
	s_movk_i32 s0, 0xffe
	v_cndmask_b32_e64 v2, 0, 1, vcc
	v_bfe_u32 v6, v1, 20, 11
	v_and_or_b32 v2, v3, s0, v2
	v_sub_u32_e32 v7, 0x3f1, v6
	v_or_b32_e32 v3, 0x1000, v2
	v_med3_i32 v7, v7, 0, 13
	v_lshrrev_b32_e32 v8, v7, v3
	v_lshlrev_b32_e32 v7, v7, v8
	v_cmp_ne_u32_e32 vcc, v7, v3
	v_add_u32_e32 v6, 0xfffffc10, v6
	v_lshl_or_b32 v7, v6, 12, v2
	v_cndmask_b32_e64 v3, 0, 1, vcc
	v_or_b32_e32 v3, v8, v3
	v_cmp_gt_i32_e32 vcc, 1, v6
	s_movk_i32 s0, 0x40f
	s_nop 0
	v_cndmask_b32_e32 v3, v7, v3, vcc
	v_and_b32_e32 v7, 7, v3
	v_cmp_lt_i32_e32 vcc, 5, v7
	v_lshrrev_b32_e32 v3, 2, v3
	s_nop 0
	v_cndmask_b32_e64 v8, 0, 1, vcc
	v_cmp_eq_u32_e32 vcc, 3, v7
	s_nop 1
	v_cndmask_b32_e64 v7, 0, 1, vcc
	v_or_b32_e32 v7, v7, v8
	v_add_u32_e32 v3, v3, v7
	v_mov_b32_e32 v7, 0x7c00
	v_cmp_gt_i32_e32 vcc, 31, v6
	v_mov_b32_e32 v8, 0x7e00
	s_nop 0
	v_cndmask_b32_e32 v3, v7, v3, vcc
	v_cmp_ne_u32_e32 vcc, 0, v2
	s_nop 1
	v_cndmask_b32_e32 v2, v7, v8, vcc
	v_cmp_eq_u32_e32 vcc, s0, v6
	s_mov_b32 s0, 0x8000
	s_nop 0
	v_cndmask_b32_e32 v2, v3, v2, vcc
	v_lshrrev_b32_e32 v3, 16, v1
	v_and_or_b32 v2, v3, s0, v2
	global_store_short v[4:5], v2, off
.LBB133_410:
	s_mov_b64 s[0:1], 0
.LBB133_411:
	s_andn2_b64 vcc, exec, s[0:1]
	s_cbranch_vccnz .LBB133_427
; %bb.412:
	s_cmp_lt_i32 s4, 2
	s_mov_b64 s[0:1], -1
	s_cbranch_scc1 .LBB133_422
; %bb.413:
	s_cmp_lt_i32 s4, 3
	s_cbranch_scc1 .LBB133_419
; %bb.414:
	s_cmp_gt_i32 s4, 3
	s_cbranch_scc0 .LBB133_416
; %bb.415:
	v_trunc_f64_e32 v[2:3], v[0:1]
	s_movk_i32 s0, 0xffe0
	v_ldexp_f64 v[6:7], v[2:3], s0
	v_floor_f64_e32 v[6:7], v[6:7]
	v_fmac_f64_e32 v[2:3], 0xc1f00000, v[6:7]
	v_cvt_i32_f64_e32 v9, v[6:7]
	v_cvt_u32_f64_e32 v8, v[2:3]
	s_mov_b64 s[0:1], 0
	global_store_dwordx2 v[4:5], v[8:9], off
.LBB133_416:
	s_andn2_b64 vcc, exec, s[0:1]
	s_cbranch_vccnz .LBB133_418
; %bb.417:
	v_cvt_i32_f64_e32 v2, v[0:1]
	global_store_dword v[4:5], v2, off
.LBB133_418:
	s_mov_b64 s[0:1], 0
.LBB133_419:
	s_andn2_b64 vcc, exec, s[0:1]
	s_cbranch_vccnz .LBB133_421
; %bb.420:
	v_cvt_i32_f64_e32 v2, v[0:1]
	global_store_short v[4:5], v2, off
.LBB133_421:
	s_mov_b64 s[0:1], 0
.LBB133_422:
	s_andn2_b64 vcc, exec, s[0:1]
	s_cbranch_vccnz .LBB133_427
; %bb.423:
	s_cmp_gt_i32 s4, 0
	s_mov_b64 s[0:1], -1
	s_cbranch_scc0 .LBB133_425
; %bb.424:
	v_cvt_i32_f64_e32 v2, v[0:1]
	s_mov_b64 s[0:1], 0
	global_store_byte v[4:5], v2, off
.LBB133_425:
	s_andn2_b64 vcc, exec, s[0:1]
	s_cbranch_vccnz .LBB133_427
; %bb.426:
	v_trunc_f64_e32 v[0:1], v[0:1]
	s_movk_i32 s0, 0xffe0
	v_ldexp_f64 v[2:3], v[0:1], s0
	v_floor_f64_e32 v[2:3], v[2:3]
	v_fmac_f64_e32 v[0:1], 0xc1f00000, v[2:3]
	v_cvt_u32_f64_e32 v0, v[0:1]
	global_store_byte v[4:5], v0, off
.LBB133_427:
	s_mov_b64 s[0:1], -1
.LBB133_428:
	s_andn2_b64 vcc, exec, s[0:1]
	s_cbranch_vccnz .LBB133_430
; %bb.429:
	v_add_u32_e32 v44, 0x80, v44
	s_mov_b64 s[0:1], -1
	s_branch .LBB133_431
.LBB133_430:
	s_mov_b64 s[0:1], 0
                                        ; implicit-def: $vgpr44
.LBB133_431:
	s_andn2_b64 s[4:5], s[64:65], exec
	s_and_b64 s[2:3], s[2:3], exec
	s_or_b64 s[70:71], s[4:5], s[2:3]
	s_orn2_b64 s[2:3], s[0:1], exec
.LBB133_432:
	s_or_b64 exec, exec, s[68:69]
	s_mov_b64 s[0:1], 0
	s_mov_b64 s[6:7], 0
                                        ; implicit-def: $sgpr10
                                        ; implicit-def: $vgpr2_vgpr3
                                        ; implicit-def: $vgpr4_vgpr5
	s_and_saveexec_b64 s[68:69], s[2:3]
	s_cbranch_execz .LBB133_532
; %bb.433:
	v_cmp_gt_i32_e32 vcc, s72, v44
	s_mov_b64 s[2:3], 0
	s_mov_b64 s[4:5], s[70:71]
                                        ; implicit-def: $sgpr10
                                        ; implicit-def: $vgpr2_vgpr3
                                        ; implicit-def: $vgpr4_vgpr5
	s_and_saveexec_b64 s[72:73], vcc
	s_cbranch_execz .LBB133_531
; %bb.434:
	s_andn2_b64 vcc, exec, s[48:49]
	s_cbranch_vccnz .LBB133_440
; %bb.435:
	s_andn2_b64 vcc, exec, s[58:59]
	s_cbranch_vccnz .LBB133_441
; %bb.436:
	s_add_i32 s76, s76, 1
	s_cmp_eq_u32 s74, 2
	s_cbranch_scc1 .LBB133_442
; %bb.437:
	s_and_b32 s22, s76, 28
	s_mov_b32 s23, 0
	v_mov_b32_e32 v42, 0
	v_mov_b32_e32 v2, 0
	s_mov_b64 s[20:21], s[28:29]
	v_mov_b32_e32 v0, v44
.LBB133_438:                            ; =>This Inner Loop Header: Depth=1
	s_load_dwordx8 s[8:15], s[20:21], 0x4
	s_load_dwordx4 s[16:19], s[20:21], 0x24
	s_load_dwordx8 s[0:7], s[56:57], 0x0
	s_add_u32 s20, s20, 48
	s_addc_u32 s21, s21, 0
	s_waitcnt lgkmcnt(0)
	v_mul_hi_u32 v1, s9, v0
	v_add_u32_e32 v1, v0, v1
	v_lshrrev_b32_e32 v1, s10, v1
	v_mul_lo_u32 v3, v1, s8
	v_mul_hi_u32 v4, s12, v1
	v_sub_u32_e32 v0, v0, v3
	v_add_u32_e32 v3, v1, v4
	v_lshrrev_b32_e32 v3, s13, v3
	v_mul_lo_u32 v5, v3, s11
	v_mul_hi_u32 v6, s15, v3
	v_sub_u32_e32 v1, v1, v5
	v_add_u32_e32 v5, v3, v6
	v_mul_lo_u32 v4, v0, s1
	v_mul_lo_u32 v0, v0, s0
	;; [unrolled: 1-line block ×4, first 2 shown]
	v_lshrrev_b32_e32 v5, s16, v5
	v_add3_u32 v1, v0, v42, v1
	v_add3_u32 v2, v4, v2, v6
	v_mul_lo_u32 v0, v5, s14
	v_mul_hi_u32 v4, s18, v5
	v_sub_u32_e32 v0, v3, v0
	v_add_u32_e32 v3, v5, v4
	v_mul_lo_u32 v4, v0, s4
	v_mul_lo_u32 v6, v0, s5
	v_lshrrev_b32_e32 v0, s19, v3
	s_add_i32 s23, s23, 4
	v_mul_lo_u32 v3, v0, s17
	s_add_u32 s56, s56, 32
	v_sub_u32_e32 v3, v5, v3
	s_addc_u32 s57, s57, 0
	v_mul_lo_u32 v5, v3, s6
	v_mul_lo_u32 v3, v3, s7
	s_cmp_eq_u32 s22, s23
	v_add3_u32 v2, v6, v2, v3
	v_add3_u32 v42, v4, v1, v5
	s_cbranch_scc0 .LBB133_438
; %bb.439:
	v_mov_b32_e32 v1, v2
	s_branch .LBB133_443
.LBB133_440:
	s_mov_b64 s[0:1], -1
                                        ; implicit-def: $vgpr2
                                        ; implicit-def: $vgpr42
	s_branch .LBB133_447
.LBB133_441:
	v_mov_b32_e32 v2, 0
	v_mov_b32_e32 v42, 0
	s_branch .LBB133_446
.LBB133_442:
	v_mov_b32_e32 v42, 0
	s_mov_b32 s22, 0
	v_mov_b32_e32 v1, v42
                                        ; implicit-def: $vgpr2
	v_mov_b32_e32 v0, v44
.LBB133_443:
	s_and_b32 s4, s76, 3
	s_cmp_eq_u32 s4, 0
	s_cbranch_scc1 .LBB133_446
; %bb.444:
	s_lshl_b32 s0, s22, 3
	s_add_u32 s0, s28, s0
	s_addc_u32 s1, s29, 0
	s_add_u32 s0, s0, 0xc4
	s_addc_u32 s1, s1, 0
	s_mul_i32 s2, s22, 12
	s_add_u32 s2, s28, s2
	s_addc_u32 s3, s29, 0
.LBB133_445:                            ; =>This Inner Loop Header: Depth=1
	s_load_dwordx2 s[6:7], s[2:3], 0x4
	s_load_dword s5, s[2:3], 0xc
	s_load_dwordx2 s[8:9], s[0:1], 0x0
	v_mov_b32_e32 v2, v1
	s_add_u32 s2, s2, 12
	s_waitcnt lgkmcnt(0)
	v_mul_hi_u32 v1, s7, v0
	v_add_u32_e32 v1, v0, v1
	v_lshrrev_b32_e32 v1, s5, v1
	s_addc_u32 s3, s3, 0
	v_mul_lo_u32 v3, v1, s6
	s_add_u32 s0, s0, 8
	v_sub_u32_e32 v4, v0, v3
	s_addc_u32 s1, s1, 0
	s_add_i32 s4, s4, -1
	v_mad_u64_u32 v[2:3], s[6:7], v4, s9, v[2:3]
	s_cmp_lg_u32 s4, 0
	v_mov_b32_e32 v0, v1
	v_mad_u64_u32 v[42:43], s[6:7], v4, s8, v[42:43]
	v_mov_b32_e32 v1, v2
	s_cbranch_scc1 .LBB133_445
.LBB133_446:
	s_mov_b64 s[0:1], 0
.LBB133_447:
	s_andn2_b64 vcc, exec, s[0:1]
	s_cbranch_vccnz .LBB133_450
; %bb.448:
	s_waitcnt lgkmcnt(0)
	v_mul_hi_u32 v0, s45, v44
	v_add_u32_e32 v0, v44, v0
	v_lshrrev_b32_e32 v0, s46, v0
	v_mul_lo_u32 v1, v0, s44
	v_sub_u32_e32 v1, v44, v1
	v_mul_lo_u32 v2, v1, s41
	s_andn2_b64 vcc, exec, s[54:55]
	v_mul_lo_u32 v42, v1, s40
	s_cbranch_vccnz .LBB133_450
; %bb.449:
	v_mul_hi_u32 v1, s52, v0
	v_add_u32_e32 v1, v0, v1
	v_lshrrev_b32_e32 v1, s53, v1
	v_mul_lo_u32 v1, v1, s47
	v_sub_u32_e32 v0, v0, v1
	v_mad_u64_u32 v[42:43], s[0:1], v0, s42, v[42:43]
	v_mad_u64_u32 v[2:3], s[0:1], v0, s43, v[2:3]
.LBB133_450:
	s_getpc_b64 s[0:1]
	s_add_u32 s0, s0, _ZN2at6native6invokeIZZZNS0_17expm1_kernel_cudaERNS_18TensorIteratorBaseEENKUlvE_clEvENKUlvE1_clEvEUlN3c107complexIdEEE_j15function_traitsIS9_EEENT1_11result_typeERKT_PrKPcPKT0_PKNS6_10ScalarTypeEi@rel32@lo+4
	s_addc_u32 s1, s1, _ZN2at6native6invokeIZZZNS0_17expm1_kernel_cudaERNS_18TensorIteratorBaseEENKUlvE_clEvENKUlvE1_clEvEUlN3c107complexIdEEE_j15function_traitsIS9_EEENT1_11result_typeERKT_PrKPcPKT0_PKNS6_10ScalarTypeEi@rel32@hi+12
	s_waitcnt lgkmcnt(0)
	v_mov_b32_e32 v0, s38
	v_mov_b32_e32 v1, s39
	;; [unrolled: 1-line block ×3, first 2 shown]
	s_swappc_b64 s[30:31], s[0:1]
	v_mov_b32_e32 v43, 0
	s_and_b32 s10, s75, 0xff
	s_cmp_lt_i32 s10, 11
	v_lshl_add_u64 v[4:5], s[36:37], 0, v[42:43]
	s_cbranch_scc1 .LBB133_457
; %bb.451:
	s_and_b32 s11, 0xffff, s10
	s_mov_b64 s[4:5], -1
	s_cmp_gt_i32 s11, 25
	s_mov_b64 s[0:1], s[70:71]
	s_cbranch_scc0 .LBB133_489
; %bb.452:
	s_mov_b64 s[2:3], -1
	s_cmp_gt_i32 s11, 28
	s_mov_b64 s[0:1], s[70:71]
	s_cbranch_scc0 .LBB133_473
; %bb.453:
	s_cmp_gt_i32 s11, 43
	s_mov_b64 s[0:1], s[70:71]
	s_cbranch_scc0 .LBB133_469
; %bb.454:
	;; [unrolled: 4-line block ×3, first 2 shown]
	s_cmp_eq_u32 s11, 46
	s_mov_b64 s[0:1], -1
	s_cbranch_scc0 .LBB133_462
; %bb.456:
	v_cvt_f32_f64_e32 v7, v[2:3]
	s_movk_i32 s0, 0x7fff
	v_bfe_u32 v9, v7, 16, 1
	v_cvt_f32_f64_e32 v6, v[0:1]
	v_add3_u32 v9, v7, v9, s0
	v_bfe_u32 v8, v6, 16, 1
	v_and_b32_e32 v9, 0xffff0000, v9
	v_mov_b32_e32 v10, 0x7fc00000
	v_cmp_o_f32_e32 vcc, v7, v7
	v_add3_u32 v8, v6, v8, s0
	s_mov_b64 s[0:1], 0
	v_cndmask_b32_e32 v7, v10, v9, vcc
	v_cmp_o_f32_e32 vcc, v6, v6
	v_mov_b32_e32 v6, 0x7fc0
	s_mov_b64 s[2:3], 0
	v_cndmask_b32_sdwa v6, v6, v8, vcc dst_sel:DWORD dst_unused:UNUSED_PAD src0_sel:DWORD src1_sel:WORD_1
	v_or_b32_e32 v6, v7, v6
	global_store_dword v[4:5], v6, off
	s_branch .LBB133_463
.LBB133_457:
	s_mov_b64 s[4:5], 0
	s_mov_b64 s[2:3], -1
	s_mov_b64 s[0:1], s[70:71]
	s_branch .LBB133_530
.LBB133_458:
	s_andn2_saveexec_b64 s[6:7], s[6:7]
	s_cbranch_execz .LBB133_341
.LBB133_459:
	s_mov_b32 s10, 0x46000000
	v_add_f32_e64 v7, |v6|, s10
	v_and_b32_e32 v7, 0xff, v7
	v_cmp_ne_u32_e32 vcc, 0, v7
	s_andn2_b64 s[4:5], s[4:5], exec
	s_and_b64 s[10:11], vcc, exec
	s_or_b64 s[4:5], s[4:5], s[10:11]
	s_or_b64 exec, exec, s[6:7]
	v_mov_b32_e32 v8, 0
	s_and_saveexec_b64 s[6:7], s[4:5]
	s_cbranch_execnz .LBB133_342
	s_branch .LBB133_343
.LBB133_460:
	s_andn2_saveexec_b64 s[6:7], s[6:7]
	s_cbranch_execz .LBB133_354
.LBB133_461:
	s_mov_b32 s10, 0x42800000
	v_add_f32_e64 v7, |v6|, s10
	v_and_b32_e32 v7, 0xff, v7
	v_cmp_ne_u32_e32 vcc, 0, v7
	s_andn2_b64 s[4:5], s[4:5], exec
	s_and_b64 s[10:11], vcc, exec
	s_or_b64 s[4:5], s[4:5], s[10:11]
	s_or_b64 exec, exec, s[6:7]
	v_mov_b32_e32 v8, 0
	s_and_saveexec_b64 s[6:7], s[4:5]
	s_cbranch_execnz .LBB133_355
	s_branch .LBB133_356
.LBB133_462:
	s_mov_b64 s[2:3], 0
.LBB133_463:
	s_and_b64 vcc, exec, s[2:3]
	s_cbranch_vccz .LBB133_468
; %bb.464:
	s_cmp_eq_u32 s11, 44
	s_mov_b64 s[0:1], -1
	s_cbranch_scc0 .LBB133_468
; %bb.465:
	v_cvt_f32_f64_e32 v6, v[0:1]
	v_bfe_u32 v7, v6, 23, 8
	s_movk_i32 s0, 0xff
	v_cmp_ne_u32_e32 vcc, s0, v7
	v_mov_b32_e32 v8, 0xff
	s_and_saveexec_b64 s[2:3], vcc
; %bb.466:
	s_mov_b32 s0, 0x3fffff
	v_lshrrev_b32_e32 v8, 23, v6
	v_and_b32_e32 v9, 0x400000, v6
	v_and_or_b32 v6, v6, s0, v7
	v_cmp_ne_u32_e32 vcc, 0, v9
	v_cmp_ne_u32_e64 s[0:1], 0, v6
	s_and_b64 s[0:1], vcc, s[0:1]
	s_nop 0
	v_cndmask_b32_e64 v6, 0, 1, s[0:1]
	v_add_u32_e32 v8, v8, v6
; %bb.467:
	s_or_b64 exec, exec, s[2:3]
	s_mov_b64 s[0:1], 0
	global_store_byte v[4:5], v8, off
.LBB133_468:
	s_mov_b64 s[2:3], 0
.LBB133_469:
	s_and_b64 vcc, exec, s[2:3]
	s_cbranch_vccz .LBB133_472
; %bb.470:
	s_cmp_eq_u32 s11, 29
	s_mov_b64 s[0:1], -1
	s_cbranch_scc0 .LBB133_472
; %bb.471:
	v_trunc_f64_e32 v[6:7], v[0:1]
	s_movk_i32 s0, 0xffe0
	v_ldexp_f64 v[8:9], v[6:7], s0
	v_floor_f64_e32 v[8:9], v[8:9]
	v_fmac_f64_e32 v[6:7], 0xc1f00000, v[8:9]
	v_cvt_u32_f64_e32 v11, v[8:9]
	v_cvt_u32_f64_e32 v10, v[6:7]
	global_store_dwordx2 v[4:5], v[10:11], off
	s_mov_b64 s[0:1], 0
.LBB133_472:
	s_mov_b64 s[2:3], 0
.LBB133_473:
	s_and_b64 vcc, exec, s[2:3]
	s_cbranch_vccz .LBB133_488
; %bb.474:
	s_cmp_lt_i32 s11, 27
	s_mov_b64 s[2:3], -1
	s_cbranch_scc1 .LBB133_480
; %bb.475:
	s_cmp_gt_i32 s11, 27
	v_cvt_u32_f64_e32 v6, v[0:1]
	s_cbranch_scc0 .LBB133_477
; %bb.476:
	s_mov_b64 s[2:3], 0
	global_store_dword v[4:5], v6, off
.LBB133_477:
	s_andn2_b64 vcc, exec, s[2:3]
	s_cbranch_vccnz .LBB133_479
; %bb.478:
	global_store_short v[4:5], v6, off
.LBB133_479:
	s_mov_b64 s[2:3], 0
.LBB133_480:
	s_andn2_b64 vcc, exec, s[2:3]
	s_cbranch_vccnz .LBB133_488
; %bb.481:
	v_cvt_f32_f64_e32 v6, v[0:1]
	v_and_b32_e32 v7, 0x7fffffff, v6
	s_mov_b32 s2, 0x43800000
	v_cmp_gt_u32_e32 vcc, s2, v7
	v_mov_b32_e32 v8, 0x80
	s_and_saveexec_b64 s[2:3], vcc
	s_cbranch_execz .LBB133_487
; %bb.482:
	s_mov_b32 s4, 0x3bffffff
	v_cmp_lt_u32_e32 vcc, s4, v7
	s_mov_b64 s[4:5], 0
                                        ; implicit-def: $vgpr7
	s_and_saveexec_b64 s[6:7], vcc
	s_xor_b64 s[6:7], exec, s[6:7]
	s_cbranch_execz .LBB133_1125
; %bb.483:
	v_bfe_u32 v7, v6, 20, 1
	s_mov_b32 s8, 0x487ffff
	v_add3_u32 v7, v6, v7, s8
	s_mov_b64 s[4:5], exec
	v_lshrrev_b32_e32 v7, 20, v7
	s_andn2_saveexec_b64 s[6:7], s[6:7]
	s_cbranch_execnz .LBB133_1126
.LBB133_484:
	s_or_b64 exec, exec, s[6:7]
	v_mov_b32_e32 v8, 0
	s_and_saveexec_b64 s[6:7], s[4:5]
.LBB133_485:
	v_lshrrev_b32_e32 v6, 24, v6
	s_movk_i32 s4, 0x80
	v_and_or_b32 v8, v6, s4, v7
.LBB133_486:
	s_or_b64 exec, exec, s[6:7]
.LBB133_487:
	s_or_b64 exec, exec, s[2:3]
	global_store_byte v[4:5], v8, off
.LBB133_488:
	s_mov_b64 s[4:5], 0
.LBB133_489:
	s_mov_b64 s[2:3], 0
	s_and_b64 vcc, exec, s[4:5]
	s_cbranch_vccz .LBB133_529
; %bb.490:
	s_cmp_gt_i32 s11, 22
	s_mov_b64 s[4:5], -1
	s_cbranch_scc0 .LBB133_522
; %bb.491:
	s_cmp_lt_i32 s11, 24
	s_cbranch_scc1 .LBB133_511
; %bb.492:
	s_cmp_gt_i32 s11, 24
	s_cbranch_scc0 .LBB133_500
; %bb.493:
	v_cvt_f32_f64_e32 v6, v[0:1]
	v_and_b32_e32 v7, 0x7fffffff, v6
	s_mov_b32 s4, 0x47800000
	v_cmp_gt_u32_e32 vcc, s4, v7
	v_mov_b32_e32 v8, 0x80
	s_and_saveexec_b64 s[4:5], vcc
	s_cbranch_execz .LBB133_499
; %bb.494:
	s_mov_b32 s6, 0x37ffffff
	v_cmp_lt_u32_e32 vcc, s6, v7
	s_mov_b64 s[6:7], 0
                                        ; implicit-def: $vgpr7
	s_and_saveexec_b64 s[8:9], vcc
	s_xor_b64 s[8:9], exec, s[8:9]
	s_cbranch_execz .LBB133_1129
; %bb.495:
	v_bfe_u32 v7, v6, 21, 1
	s_mov_b32 s12, 0x88fffff
	v_add3_u32 v7, v6, v7, s12
	s_mov_b64 s[6:7], exec
	v_lshrrev_b32_e32 v7, 21, v7
	s_andn2_saveexec_b64 s[8:9], s[8:9]
	s_cbranch_execnz .LBB133_1130
.LBB133_496:
	s_or_b64 exec, exec, s[8:9]
	v_mov_b32_e32 v8, 0
	s_and_saveexec_b64 s[8:9], s[6:7]
.LBB133_497:
	v_lshrrev_b32_e32 v6, 24, v6
	s_movk_i32 s6, 0x80
	v_and_or_b32 v8, v6, s6, v7
.LBB133_498:
	s_or_b64 exec, exec, s[8:9]
.LBB133_499:
	s_or_b64 exec, exec, s[4:5]
	s_mov_b64 s[4:5], 0
	global_store_byte v[4:5], v8, off
.LBB133_500:
	s_and_b64 vcc, exec, s[4:5]
	s_cbranch_vccz .LBB133_510
; %bb.501:
	v_cvt_f32_f64_e32 v6, v[0:1]
	v_and_b32_e32 v8, 0x7fffffff, v6
	s_mov_b32 s4, 0x43f00000
	v_cmp_gt_u32_e32 vcc, s4, v8
                                        ; implicit-def: $vgpr7
	s_and_saveexec_b64 s[4:5], vcc
	s_xor_b64 s[4:5], exec, s[4:5]
	s_cbranch_execz .LBB133_507
; %bb.502:
	s_mov_b32 s6, 0x3c7fffff
	v_cmp_lt_u32_e32 vcc, s6, v8
                                        ; implicit-def: $vgpr7
	s_and_saveexec_b64 s[6:7], vcc
	s_xor_b64 s[6:7], exec, s[6:7]
; %bb.503:
	v_bfe_u32 v7, v6, 20, 1
	s_mov_b32 s8, 0x407ffff
	v_add3_u32 v7, v6, v7, s8
	v_lshrrev_b32_e32 v8, 20, v7
	v_and_b32_e32 v7, 0xff00000, v7
	s_mov_b32 s8, 0x7f00000
	v_mov_b32_e32 v9, 0x7e
	v_cmp_ne_u32_e32 vcc, s8, v7
	s_nop 1
	v_cndmask_b32_e32 v7, v9, v8, vcc
; %bb.504:
	s_andn2_saveexec_b64 s[6:7], s[6:7]
; %bb.505:
	s_mov_b32 s8, 0x46800000
	v_add_f32_e64 v7, |v6|, s8
; %bb.506:
	s_or_b64 exec, exec, s[6:7]
                                        ; implicit-def: $vgpr8
.LBB133_507:
	s_andn2_saveexec_b64 s[4:5], s[4:5]
; %bb.508:
	s_mov_b32 s6, 0x7f800000
	v_mov_b32_e32 v7, 0x7e
	v_mov_b32_e32 v9, 0x7f
	v_cmp_lt_u32_e32 vcc, s6, v8
	s_nop 1
	v_cndmask_b32_e32 v7, v7, v9, vcc
; %bb.509:
	s_or_b64 exec, exec, s[4:5]
	v_lshrrev_b32_e32 v6, 24, v6
	s_movk_i32 s4, 0x80
	v_and_or_b32 v6, v6, s4, v7
	global_store_byte v[4:5], v6, off
.LBB133_510:
	s_mov_b64 s[4:5], 0
.LBB133_511:
	s_andn2_b64 vcc, exec, s[4:5]
	s_cbranch_vccnz .LBB133_521
; %bb.512:
	v_cvt_f32_f64_e32 v6, v[0:1]
	v_and_b32_e32 v8, 0x7fffffff, v6
	s_mov_b32 s4, 0x47800000
	v_cmp_gt_u32_e32 vcc, s4, v8
                                        ; implicit-def: $vgpr7
	s_and_saveexec_b64 s[4:5], vcc
	s_xor_b64 s[4:5], exec, s[4:5]
	s_cbranch_execz .LBB133_518
; %bb.513:
	s_mov_b32 s6, 0x387fffff
	v_cmp_lt_u32_e32 vcc, s6, v8
                                        ; implicit-def: $vgpr7
	s_and_saveexec_b64 s[6:7], vcc
	s_xor_b64 s[6:7], exec, s[6:7]
; %bb.514:
	v_bfe_u32 v7, v6, 21, 1
	s_mov_b32 s8, 0x80fffff
	v_add3_u32 v7, v6, v7, s8
	v_lshrrev_b32_e32 v7, 21, v7
; %bb.515:
	s_andn2_saveexec_b64 s[6:7], s[6:7]
; %bb.516:
	s_mov_b32 s8, 0x43000000
	v_add_f32_e64 v7, |v6|, s8
; %bb.517:
	s_or_b64 exec, exec, s[6:7]
                                        ; implicit-def: $vgpr8
.LBB133_518:
	s_andn2_saveexec_b64 s[4:5], s[4:5]
; %bb.519:
	s_mov_b32 s6, 0x7f800000
	v_mov_b32_e32 v7, 0x7c
	v_mov_b32_e32 v9, 0x7f
	v_cmp_lt_u32_e32 vcc, s6, v8
	s_nop 1
	v_cndmask_b32_e32 v7, v7, v9, vcc
; %bb.520:
	s_or_b64 exec, exec, s[4:5]
	v_lshrrev_b32_e32 v6, 24, v6
	s_movk_i32 s4, 0x80
	v_and_or_b32 v6, v6, s4, v7
	global_store_byte v[4:5], v6, off
.LBB133_521:
	s_mov_b64 s[4:5], 0
.LBB133_522:
	s_andn2_b64 vcc, exec, s[4:5]
	s_mov_b64 s[4:5], 0
	s_cbranch_vccnz .LBB133_530
; %bb.523:
	s_cmp_gt_i32 s11, 14
	s_mov_b64 s[6:7], -1
	s_cbranch_scc0 .LBB133_527
; %bb.524:
	s_cmp_eq_u32 s11, 15
	s_mov_b64 s[0:1], -1
	s_cbranch_scc0 .LBB133_526
; %bb.525:
	v_cvt_f32_f64_e32 v6, v[0:1]
	v_bfe_u32 v7, v6, 16, 1
	s_movk_i32 s0, 0x7fff
	v_add3_u32 v7, v6, v7, s0
	v_cmp_o_f32_e32 vcc, v6, v6
	v_mov_b32_e32 v6, 0x7fc0
	s_mov_b64 s[0:1], 0
	v_cndmask_b32_sdwa v6, v6, v7, vcc dst_sel:DWORD dst_unused:UNUSED_PAD src0_sel:DWORD src1_sel:WORD_1
	global_store_short v[4:5], v6, off
.LBB133_526:
	s_mov_b64 s[6:7], 0
.LBB133_527:
	s_and_b64 vcc, exec, s[6:7]
	s_cbranch_vccz .LBB133_530
; %bb.528:
	s_cmp_lg_u32 s11, 11
	s_cselect_b64 s[6:7], -1, 0
	s_andn2_b64 s[0:1], s[0:1], exec
	s_and_b64 s[6:7], s[6:7], exec
	s_mov_b64 s[4:5], -1
	s_or_b64 s[0:1], s[0:1], s[6:7]
	s_branch .LBB133_530
.LBB133_529:
	s_mov_b64 s[4:5], 0
.LBB133_530:
	s_and_b64 s[6:7], s[2:3], exec
	s_and_b64 s[2:3], s[4:5], exec
	s_andn2_b64 s[4:5], s[70:71], exec
	s_and_b64 s[0:1], s[0:1], exec
	s_or_b64 s[4:5], s[4:5], s[0:1]
.LBB133_531:
	s_or_b64 exec, exec, s[72:73]
	s_and_b64 s[0:1], s[2:3], exec
	s_andn2_b64 s[2:3], s[70:71], exec
	s_and_b64 s[4:5], s[4:5], exec
	s_and_b64 s[6:7], s[6:7], exec
	s_or_b64 s[70:71], s[2:3], s[4:5]
.LBB133_532:
	s_or_b64 exec, exec, s[68:69]
	s_and_b64 s[2:3], s[6:7], exec
	s_andn2_b64 s[4:5], s[64:65], exec
	s_and_b64 s[6:7], s[70:71], exec
	s_and_b64 s[0:1], s[0:1], exec
	s_or_b64 s[64:65], s[4:5], s[6:7]
.LBB133_533:
	s_or_b64 exec, exec, s[66:67]
	s_and_b64 s[4:5], s[2:3], exec
	s_and_b64 s[66:67], s[0:1], exec
	s_andn2_b64 s[0:1], s[60:61], exec
	s_and_b64 s[2:3], s[64:65], exec
	s_or_b64 s[60:61], s[0:1], s[2:3]
	s_or_b64 exec, exec, s[62:63]
	s_mov_b64 s[2:3], 0
	s_and_saveexec_b64 s[0:1], s[60:61]
	s_cbranch_execz .LBB133_148
.LBB133_534:
	s_mov_b64 s[2:3], exec
	s_andn2_b64 s[66:67], s[66:67], exec
	s_trap 2
	s_or_b64 exec, exec, s[0:1]
	s_and_saveexec_b64 s[0:1], s[66:67]
	s_xor_b64 s[6:7], exec, s[0:1]
	s_cbranch_execnz .LBB133_149
.LBB133_535:
	s_or_b64 exec, exec, s[6:7]
	s_and_saveexec_b64 s[0:1], s[4:5]
	s_xor_b64 s[0:1], exec, s[0:1]
	s_cbranch_execz .LBB133_573
.LBB133_536:
	s_sext_i32_i16 s6, s10
	s_cmp_lt_i32 s6, 5
	s_mov_b64 s[4:5], -1
	s_cbranch_scc1 .LBB133_557
; %bb.537:
	s_cmp_lt_i32 s6, 8
	s_cbranch_scc1 .LBB133_547
; %bb.538:
	s_cmp_lt_i32 s6, 9
	s_cbranch_scc1 .LBB133_544
; %bb.539:
	s_cmp_gt_i32 s6, 9
	s_cbranch_scc0 .LBB133_541
; %bb.540:
	s_mov_b64 s[4:5], 0
	global_store_dwordx4 v[4:5], v[0:3], off
.LBB133_541:
	s_andn2_b64 vcc, exec, s[4:5]
	s_cbranch_vccnz .LBB133_543
; %bb.542:
	v_cvt_f32_f64_e32 v7, v[2:3]
	v_cvt_f32_f64_e32 v6, v[0:1]
	global_store_dwordx2 v[4:5], v[6:7], off
.LBB133_543:
	s_mov_b64 s[4:5], 0
.LBB133_544:
	s_andn2_b64 vcc, exec, s[4:5]
	s_cbranch_vccnz .LBB133_546
; %bb.545:
	s_movk_i32 s4, 0x1ff
	v_and_or_b32 v6, v1, s4, v0
	v_cmp_ne_u32_e32 vcc, 0, v6
	v_lshrrev_b32_e32 v7, 8, v1
	s_movk_i32 s5, 0xffe
	v_cndmask_b32_e64 v6, 0, 1, vcc
	v_bfe_u32 v8, v1, 20, 11
	v_and_or_b32 v6, v7, s5, v6
	v_sub_u32_e32 v9, 0x3f1, v8
	v_or_b32_e32 v7, 0x1000, v6
	v_med3_i32 v9, v9, 0, 13
	v_lshrrev_b32_e32 v10, v9, v7
	v_lshlrev_b32_e32 v9, v9, v10
	v_cmp_ne_u32_e32 vcc, v9, v7
	v_add_u32_e32 v8, 0xfffffc10, v8
	v_lshl_or_b32 v9, v8, 12, v6
	v_cndmask_b32_e64 v7, 0, 1, vcc
	v_or_b32_e32 v7, v10, v7
	v_cmp_gt_i32_e32 vcc, 1, v8
	s_movk_i32 s6, 0x40f
	v_and_or_b32 v2, v3, s4, v2
	v_cndmask_b32_e32 v7, v9, v7, vcc
	v_and_b32_e32 v9, 7, v7
	v_cmp_lt_i32_e32 vcc, 5, v9
	v_lshrrev_b32_e32 v7, 2, v7
	v_bfe_u32 v11, v3, 20, 11
	v_cndmask_b32_e64 v10, 0, 1, vcc
	v_cmp_eq_u32_e32 vcc, 3, v9
	v_sub_u32_e32 v12, 0x3f1, v11
	v_med3_i32 v12, v12, 0, 13
	v_cndmask_b32_e64 v9, 0, 1, vcc
	v_or_b32_e32 v9, v9, v10
	v_add_u32_e32 v7, v7, v9
	v_mov_b32_e32 v9, 0x7c00
	v_cmp_gt_i32_e32 vcc, 31, v8
	v_mov_b32_e32 v10, 0x7e00
	v_add_u32_e32 v11, 0xfffffc10, v11
	v_cndmask_b32_e32 v7, v9, v7, vcc
	v_cmp_ne_u32_e32 vcc, 0, v6
	s_mov_b32 s7, 0x8000
	s_mov_b32 s4, 0xffff
	v_cndmask_b32_e32 v6, v9, v10, vcc
	v_cmp_eq_u32_e32 vcc, s6, v8
	v_lshrrev_b32_e32 v8, 8, v3
	v_lshrrev_b32_e32 v3, 16, v3
	v_cndmask_b32_e32 v6, v7, v6, vcc
	v_cmp_ne_u32_e32 vcc, 0, v2
	v_and_b32_sdwa v7, v1, s7 dst_sel:DWORD dst_unused:UNUSED_PAD src0_sel:WORD_1 src1_sel:DWORD
	s_nop 0
	v_cndmask_b32_e64 v2, 0, 1, vcc
	v_and_or_b32 v2, v8, s5, v2
	v_or_b32_e32 v8, 0x1000, v2
	v_lshrrev_b32_e32 v13, v12, v8
	v_lshlrev_b32_e32 v12, v12, v13
	v_cmp_ne_u32_e32 vcc, v12, v8
	v_lshl_or_b32 v12, v11, 12, v2
	s_nop 0
	v_cndmask_b32_e64 v8, 0, 1, vcc
	v_or_b32_e32 v8, v13, v8
	v_cmp_gt_i32_e32 vcc, 1, v11
	s_nop 1
	v_cndmask_b32_e32 v8, v12, v8, vcc
	v_and_b32_e32 v12, 7, v8
	v_cmp_lt_i32_e32 vcc, 5, v12
	v_lshrrev_b32_e32 v8, 2, v8
	s_nop 0
	v_cndmask_b32_e64 v13, 0, 1, vcc
	v_cmp_eq_u32_e32 vcc, 3, v12
	s_nop 1
	v_cndmask_b32_e64 v12, 0, 1, vcc
	v_or_b32_e32 v12, v12, v13
	v_add_u32_e32 v8, v8, v12
	v_cmp_gt_i32_e32 vcc, 31, v11
	s_nop 1
	v_cndmask_b32_e32 v8, v9, v8, vcc
	v_cmp_ne_u32_e32 vcc, 0, v2
	s_nop 1
	v_cndmask_b32_e32 v2, v9, v10, vcc
	v_cmp_eq_u32_e32 vcc, s6, v11
	s_nop 1
	v_cndmask_b32_e32 v2, v8, v2, vcc
	v_and_or_b32 v2, v3, s7, v2
	v_bitop3_b32 v3, v7, s4, v6 bitop3:0xc8
	v_lshl_or_b32 v2, v2, 16, v3
	global_store_dword v[4:5], v2, off
.LBB133_546:
	s_mov_b64 s[4:5], 0
.LBB133_547:
	s_andn2_b64 vcc, exec, s[4:5]
	s_cbranch_vccnz .LBB133_556
; %bb.548:
	s_sext_i32_i16 s6, s10
	s_cmp_lt_i32 s6, 6
	s_mov_b64 s[4:5], -1
	s_cbranch_scc1 .LBB133_554
; %bb.549:
	s_cmp_gt_i32 s6, 6
	s_cbranch_scc0 .LBB133_551
; %bb.550:
	s_mov_b64 s[4:5], 0
	global_store_dwordx2 v[4:5], v[0:1], off
.LBB133_551:
	s_andn2_b64 vcc, exec, s[4:5]
	s_cbranch_vccnz .LBB133_553
; %bb.552:
	v_cvt_f32_f64_e32 v2, v[0:1]
	global_store_dword v[4:5], v2, off
.LBB133_553:
	s_mov_b64 s[4:5], 0
.LBB133_554:
	s_andn2_b64 vcc, exec, s[4:5]
	s_cbranch_vccnz .LBB133_556
; %bb.555:
	s_movk_i32 s4, 0x1ff
	v_and_or_b32 v2, v1, s4, v0
	v_cmp_ne_u32_e32 vcc, 0, v2
	v_lshrrev_b32_e32 v3, 8, v1
	s_movk_i32 s4, 0xffe
	v_cndmask_b32_e64 v2, 0, 1, vcc
	v_bfe_u32 v6, v1, 20, 11
	v_and_or_b32 v2, v3, s4, v2
	v_sub_u32_e32 v7, 0x3f1, v6
	v_or_b32_e32 v3, 0x1000, v2
	v_med3_i32 v7, v7, 0, 13
	v_lshrrev_b32_e32 v8, v7, v3
	v_lshlrev_b32_e32 v7, v7, v8
	v_cmp_ne_u32_e32 vcc, v7, v3
	v_add_u32_e32 v6, 0xfffffc10, v6
	v_lshl_or_b32 v7, v6, 12, v2
	v_cndmask_b32_e64 v3, 0, 1, vcc
	v_or_b32_e32 v3, v8, v3
	v_cmp_gt_i32_e32 vcc, 1, v6
	s_movk_i32 s4, 0x40f
	s_nop 0
	v_cndmask_b32_e32 v3, v7, v3, vcc
	v_and_b32_e32 v7, 7, v3
	v_cmp_lt_i32_e32 vcc, 5, v7
	v_lshrrev_b32_e32 v3, 2, v3
	s_nop 0
	v_cndmask_b32_e64 v8, 0, 1, vcc
	v_cmp_eq_u32_e32 vcc, 3, v7
	s_nop 1
	v_cndmask_b32_e64 v7, 0, 1, vcc
	v_or_b32_e32 v7, v7, v8
	v_add_u32_e32 v3, v3, v7
	v_mov_b32_e32 v7, 0x7c00
	v_cmp_gt_i32_e32 vcc, 31, v6
	v_mov_b32_e32 v8, 0x7e00
	s_nop 0
	v_cndmask_b32_e32 v3, v7, v3, vcc
	v_cmp_ne_u32_e32 vcc, 0, v2
	s_nop 1
	v_cndmask_b32_e32 v2, v7, v8, vcc
	v_cmp_eq_u32_e32 vcc, s4, v6
	s_mov_b32 s4, 0x8000
	s_nop 0
	v_cndmask_b32_e32 v2, v3, v2, vcc
	v_lshrrev_b32_e32 v3, 16, v1
	v_and_or_b32 v2, v3, s4, v2
	global_store_short v[4:5], v2, off
.LBB133_556:
	s_mov_b64 s[4:5], 0
.LBB133_557:
	s_andn2_b64 vcc, exec, s[4:5]
	s_cbranch_vccnz .LBB133_573
; %bb.558:
	s_sext_i32_i16 s6, s10
	s_cmp_lt_i32 s6, 2
	s_mov_b64 s[4:5], -1
	s_cbranch_scc1 .LBB133_568
; %bb.559:
	s_cmp_lt_i32 s6, 3
	s_cbranch_scc1 .LBB133_565
; %bb.560:
	s_cmp_gt_i32 s6, 3
	s_cbranch_scc0 .LBB133_562
; %bb.561:
	v_trunc_f64_e32 v[2:3], v[0:1]
	s_movk_i32 s4, 0xffe0
	v_ldexp_f64 v[6:7], v[2:3], s4
	v_floor_f64_e32 v[6:7], v[6:7]
	v_fmac_f64_e32 v[2:3], 0xc1f00000, v[6:7]
	v_cvt_i32_f64_e32 v9, v[6:7]
	v_cvt_u32_f64_e32 v8, v[2:3]
	s_mov_b64 s[4:5], 0
	global_store_dwordx2 v[4:5], v[8:9], off
.LBB133_562:
	s_andn2_b64 vcc, exec, s[4:5]
	s_cbranch_vccnz .LBB133_564
; %bb.563:
	v_cvt_i32_f64_e32 v2, v[0:1]
	global_store_dword v[4:5], v2, off
.LBB133_564:
	s_mov_b64 s[4:5], 0
.LBB133_565:
	s_andn2_b64 vcc, exec, s[4:5]
	s_cbranch_vccnz .LBB133_567
; %bb.566:
	v_cvt_i32_f64_e32 v2, v[0:1]
	global_store_short v[4:5], v2, off
.LBB133_567:
	s_mov_b64 s[4:5], 0
.LBB133_568:
	s_andn2_b64 vcc, exec, s[4:5]
	s_cbranch_vccnz .LBB133_573
; %bb.569:
	s_sext_i32_i16 s4, s10
	s_cmp_gt_i32 s4, 0
	s_mov_b64 s[4:5], -1
	s_cbranch_scc0 .LBB133_571
; %bb.570:
	v_cvt_i32_f64_e32 v2, v[0:1]
	s_mov_b64 s[4:5], 0
	global_store_byte v[4:5], v2, off
.LBB133_571:
	s_andn2_b64 vcc, exec, s[4:5]
	s_cbranch_vccnz .LBB133_573
; %bb.572:
	v_trunc_f64_e32 v[0:1], v[0:1]
	s_movk_i32 s4, 0xffe0
	v_ldexp_f64 v[2:3], v[0:1], s4
	v_floor_f64_e32 v[2:3], v[2:3]
	v_fmac_f64_e32 v[0:1], 0xc1f00000, v[2:3]
	v_cvt_u32_f64_e32 v0, v[0:1]
	global_store_byte v[4:5], v0, off
.LBB133_573:
	s_or_b64 exec, exec, s[0:1]
	s_waitcnt lgkmcnt(0)
	s_and_b64 s[40:41], s[2:3], exec
                                        ; implicit-def: $vgpr0
                                        ; implicit-def: $vgpr44
.LBB133_574:
	s_or_saveexec_b64 s[42:43], s[50:51]
	s_mov_b64 s[6:7], 0
                                        ; implicit-def: $sgpr12
                                        ; implicit-def: $vgpr2_vgpr3
                                        ; implicit-def: $vgpr4_vgpr5
	s_xor_b64 exec, exec, s[42:43]
	s_cbranch_execz .LBB133_1063
; %bb.575:
	v_cndmask_b32_e64 v1, 0, 1, s[48:49]
	v_cmp_ne_u32_e64 s[0:1], 1, v1
	s_andn2_b64 vcc, exec, s[48:49]
	s_cbranch_vccnz .LBB133_581
; %bb.576:
	s_cmp_lg_u32 s33, 0
	s_mov_b32 s30, 0
	s_cbranch_scc0 .LBB133_582
; %bb.577:
	s_min_u32 s31, s74, 15
	s_add_i32 s31, s31, 1
	s_cmp_eq_u32 s74, 2
	s_cbranch_scc1 .LBB133_583
; %bb.578:
	s_and_b32 s30, s31, 28
	s_add_u32 s2, s28, 0xc4
	s_addc_u32 s3, s29, 0
	s_mov_b32 s34, 0
	v_mov_b32_e32 v64, 0
	v_mov_b32_e32 v2, 0
	s_mov_b64 s[24:25], s[28:29]
	v_mov_b32_e32 v4, v44
.LBB133_579:                            ; =>This Inner Loop Header: Depth=1
	s_load_dwordx8 s[12:19], s[24:25], 0x4
	s_load_dwordx4 s[20:23], s[24:25], 0x24
	s_load_dwordx8 s[4:11], s[2:3], 0x0
	s_add_u32 s24, s24, 48
	s_addc_u32 s25, s25, 0
	s_waitcnt lgkmcnt(0)
	v_mul_hi_u32 v1, s13, v4
	v_add_u32_e32 v1, v4, v1
	v_lshrrev_b32_e32 v1, s14, v1
	v_mul_lo_u32 v3, v1, s12
	v_mul_hi_u32 v5, s16, v1
	v_sub_u32_e32 v3, v4, v3
	v_add_u32_e32 v4, v1, v5
	v_lshrrev_b32_e32 v4, s17, v4
	v_mul_lo_u32 v6, v4, s15
	v_mul_hi_u32 v7, s19, v4
	v_sub_u32_e32 v1, v1, v6
	v_add_u32_e32 v6, v4, v7
	v_mul_lo_u32 v5, v3, s5
	v_mul_lo_u32 v3, v3, s4
	;; [unrolled: 1-line block ×4, first 2 shown]
	v_lshrrev_b32_e32 v6, s20, v6
	v_add3_u32 v1, v3, v64, v1
	v_add3_u32 v2, v5, v2, v7
	v_mul_lo_u32 v3, v6, s18
	v_mul_hi_u32 v5, s22, v6
	v_sub_u32_e32 v3, v4, v3
	v_add_u32_e32 v4, v6, v5
	v_lshrrev_b32_e32 v4, s23, v4
	s_add_i32 s34, s34, 4
	v_mul_lo_u32 v7, v4, s21
	s_add_u32 s2, s2, 32
	v_sub_u32_e32 v6, v6, v7
	s_addc_u32 s3, s3, 0
	v_mul_lo_u32 v5, v3, s8
	v_mul_lo_u32 v3, v3, s9
	;; [unrolled: 1-line block ×4, first 2 shown]
	s_cmp_lg_u32 s30, s34
	v_add3_u32 v2, v3, v2, v6
	v_add3_u32 v64, v5, v1, v7
	s_cbranch_scc1 .LBB133_579
; %bb.580:
	v_mov_b32_e32 v1, v2
	s_and_b32 s6, s31, 3
	s_cmp_eq_u32 s6, 0
	s_cbranch_scc0 .LBB133_584
	s_branch .LBB133_586
.LBB133_581:
                                        ; implicit-def: $vgpr2
                                        ; implicit-def: $vgpr64
	s_branch .LBB133_587
.LBB133_582:
	v_mov_b32_e32 v2, 0
	v_mov_b32_e32 v64, 0
	s_branch .LBB133_586
.LBB133_583:
	v_mov_b32_e32 v64, 0
                                        ; implicit-def: $vgpr2
	v_mov_b32_e32 v1, v64
	v_mov_b32_e32 v4, v44
	s_and_b32 s6, s31, 3
	s_cmp_eq_u32 s6, 0
	s_cbranch_scc1 .LBB133_586
.LBB133_584:
	s_lshl_b32 s2, s30, 3
	s_add_u32 s2, s28, s2
	s_addc_u32 s3, s29, 0
	s_add_u32 s2, s2, 0xc4
	s_addc_u32 s3, s3, 0
	s_mul_i32 s4, s30, 12
	s_add_u32 s4, s28, s4
	s_addc_u32 s5, s29, 0
.LBB133_585:                            ; =>This Inner Loop Header: Depth=1
	s_load_dwordx2 s[8:9], s[4:5], 0x4
	s_load_dword s7, s[4:5], 0xc
	s_load_dwordx2 s[10:11], s[2:3], 0x0
	v_mov_b32_e32 v2, v1
	s_add_u32 s4, s4, 12
	s_waitcnt lgkmcnt(0)
	v_mul_hi_u32 v1, s9, v4
	v_add_u32_e32 v1, v4, v1
	v_lshrrev_b32_e32 v1, s7, v1
	s_addc_u32 s5, s5, 0
	v_mul_lo_u32 v3, v1, s8
	s_add_u32 s2, s2, 8
	v_sub_u32_e32 v5, v4, v3
	s_addc_u32 s3, s3, 0
	s_add_i32 s6, s6, -1
	v_mad_u64_u32 v[2:3], s[8:9], v5, s11, v[2:3]
	s_cmp_lg_u32 s6, 0
	v_mov_b32_e32 v4, v1
	v_mad_u64_u32 v[64:65], s[8:9], v5, s10, v[64:65]
	v_mov_b32_e32 v1, v2
	s_cbranch_scc1 .LBB133_585
.LBB133_586:
	s_cbranch_execnz .LBB133_589
.LBB133_587:
	s_load_dwordx4 s[4:7], s[28:29], 0x4
	s_load_dwordx2 s[2:3], s[28:29], 0xc4
	s_cmp_lt_u32 s33, 2
	s_waitcnt lgkmcnt(0)
	v_mul_hi_u32 v1, s5, v44
	v_add_u32_e32 v1, v44, v1
	v_lshrrev_b32_e32 v1, s6, v1
	v_mul_lo_u32 v2, v1, s4
	v_sub_u32_e32 v3, v44, v2
	v_mul_lo_u32 v2, v3, s3
	v_mul_lo_u32 v64, v3, s2
	s_cbranch_scc1 .LBB133_589
; %bb.588:
	s_load_dwordx4 s[4:7], s[28:29], 0x10
	s_load_dwordx2 s[2:3], s[28:29], 0xcc
	s_waitcnt lgkmcnt(0)
	v_mul_hi_u32 v3, s5, v1
	v_add_u32_e32 v3, v1, v3
	v_lshrrev_b32_e32 v3, s6, v3
	v_mul_lo_u32 v3, v3, s4
	v_sub_u32_e32 v1, v1, v3
	v_mad_u64_u32 v[64:65], s[4:5], v1, s2, v[64:65]
	v_mad_u64_u32 v[2:3], s[2:3], v1, s3, v[2:3]
.LBB133_589:
	s_and_b64 vcc, exec, s[0:1]
	v_add_u32_e32 v3, 0x80, v44
	s_cbranch_vccnz .LBB133_595
; %bb.590:
	s_cmp_lg_u32 s33, 0
	s_mov_b32 s30, 0
	s_cbranch_scc0 .LBB133_596
; %bb.591:
	s_min_u32 s31, s74, 15
	s_add_i32 s31, s31, 1
	s_cmp_eq_u32 s74, 2
	s_cbranch_scc1 .LBB133_597
; %bb.592:
	s_and_b32 s30, s31, 28
	s_add_u32 s2, s28, 0xc4
	s_addc_u32 s3, s29, 0
	s_mov_b32 s34, 0
	v_mov_b32_e32 v62, 0
	v_mov_b32_e32 v40, 0
	s_mov_b64 s[24:25], s[28:29]
	v_mov_b32_e32 v4, v3
.LBB133_593:                            ; =>This Inner Loop Header: Depth=1
	s_load_dwordx8 s[12:19], s[24:25], 0x4
	s_load_dwordx4 s[20:23], s[24:25], 0x24
	s_load_dwordx8 s[4:11], s[2:3], 0x0
	s_add_u32 s24, s24, 48
	s_addc_u32 s25, s25, 0
	s_waitcnt lgkmcnt(0)
	v_mul_hi_u32 v1, s13, v4
	v_add_u32_e32 v1, v4, v1
	v_lshrrev_b32_e32 v1, s14, v1
	v_mul_lo_u32 v5, v1, s12
	v_mul_hi_u32 v6, s16, v1
	v_sub_u32_e32 v4, v4, v5
	v_add_u32_e32 v5, v1, v6
	v_lshrrev_b32_e32 v5, s17, v5
	v_mul_lo_u32 v7, v5, s15
	v_mul_hi_u32 v8, s19, v5
	v_sub_u32_e32 v1, v1, v7
	v_add_u32_e32 v7, v5, v8
	v_mul_lo_u32 v6, v4, s5
	v_mul_lo_u32 v4, v4, s4
	;; [unrolled: 1-line block ×4, first 2 shown]
	v_lshrrev_b32_e32 v7, s20, v7
	v_add3_u32 v1, v4, v62, v1
	v_add3_u32 v6, v6, v40, v8
	v_mul_lo_u32 v4, v7, s18
	v_mul_hi_u32 v8, s22, v7
	v_sub_u32_e32 v4, v5, v4
	v_add_u32_e32 v5, v7, v8
	v_mul_lo_u32 v8, v4, s8
	v_mul_lo_u32 v9, v4, s9
	v_lshrrev_b32_e32 v4, s23, v5
	s_add_i32 s34, s34, 4
	v_mul_lo_u32 v5, v4, s21
	s_add_u32 s2, s2, 32
	v_sub_u32_e32 v5, v7, v5
	s_addc_u32 s3, s3, 0
	v_mul_lo_u32 v7, v5, s10
	v_mul_lo_u32 v5, v5, s11
	s_cmp_lg_u32 s30, s34
	v_add3_u32 v40, v9, v6, v5
	v_add3_u32 v62, v8, v1, v7
	s_cbranch_scc1 .LBB133_593
; %bb.594:
	v_mov_b32_e32 v1, v40
	s_and_b32 s6, s31, 3
	s_cmp_eq_u32 s6, 0
	s_cbranch_scc0 .LBB133_598
	s_branch .LBB133_600
.LBB133_595:
                                        ; implicit-def: $vgpr40
                                        ; implicit-def: $vgpr62
	s_branch .LBB133_601
.LBB133_596:
	v_mov_b32_e32 v40, 0
	v_mov_b32_e32 v62, 0
	s_branch .LBB133_600
.LBB133_597:
	v_mov_b32_e32 v62, 0
                                        ; implicit-def: $vgpr40
	v_mov_b32_e32 v1, v62
	v_mov_b32_e32 v4, v3
	s_and_b32 s6, s31, 3
	s_cmp_eq_u32 s6, 0
	s_cbranch_scc1 .LBB133_600
.LBB133_598:
	s_lshl_b32 s2, s30, 3
	s_add_u32 s2, s28, s2
	s_addc_u32 s3, s29, 0
	s_add_u32 s2, s2, 0xc4
	s_addc_u32 s3, s3, 0
	s_mul_i32 s4, s30, 12
	s_add_u32 s4, s28, s4
	s_addc_u32 s5, s29, 0
.LBB133_599:                            ; =>This Inner Loop Header: Depth=1
	s_load_dwordx2 s[8:9], s[4:5], 0x4
	s_load_dword s7, s[4:5], 0xc
	s_load_dwordx2 s[10:11], s[2:3], 0x0
	v_mov_b32_e32 v6, v1
	s_add_u32 s4, s4, 12
	s_waitcnt lgkmcnt(0)
	v_mul_hi_u32 v1, s9, v4
	v_add_u32_e32 v1, v4, v1
	v_lshrrev_b32_e32 v1, s7, v1
	s_addc_u32 s5, s5, 0
	v_mul_lo_u32 v5, v1, s8
	s_add_u32 s2, s2, 8
	v_sub_u32_e32 v5, v4, v5
	s_addc_u32 s3, s3, 0
	s_add_i32 s6, s6, -1
	v_mad_u64_u32 v[40:41], s[8:9], v5, s11, v[6:7]
	s_cmp_lg_u32 s6, 0
	v_mov_b32_e32 v4, v1
	v_mad_u64_u32 v[62:63], s[8:9], v5, s10, v[62:63]
	v_mov_b32_e32 v1, v40
	s_cbranch_scc1 .LBB133_599
.LBB133_600:
	s_cbranch_execnz .LBB133_603
.LBB133_601:
	s_load_dwordx4 s[4:7], s[28:29], 0x4
	s_load_dwordx2 s[2:3], s[28:29], 0xc4
	s_cmp_lt_u32 s33, 2
	s_waitcnt lgkmcnt(0)
	v_mul_hi_u32 v1, s5, v3
	v_add_u32_e32 v1, v3, v1
	v_lshrrev_b32_e32 v1, s6, v1
	v_mul_lo_u32 v4, v1, s4
	v_sub_u32_e32 v3, v3, v4
	v_mul_lo_u32 v40, v3, s3
	v_mul_lo_u32 v62, v3, s2
	s_cbranch_scc1 .LBB133_603
; %bb.602:
	s_load_dwordx4 s[4:7], s[28:29], 0x10
	s_load_dwordx2 s[2:3], s[28:29], 0xcc
	s_waitcnt lgkmcnt(0)
	v_mul_hi_u32 v3, s5, v1
	v_add_u32_e32 v3, v1, v3
	v_lshrrev_b32_e32 v3, s6, v3
	v_mul_lo_u32 v3, v3, s4
	v_sub_u32_e32 v1, v1, v3
	v_mad_u64_u32 v[62:63], s[4:5], v1, s2, v[62:63]
	v_mad_u64_u32 v[40:41], s[2:3], v1, s3, v[40:41]
.LBB133_603:
	s_and_b64 vcc, exec, s[0:1]
	v_add_u32_e32 v3, 0x100, v44
	s_cbranch_vccnz .LBB133_609
; %bb.604:
	s_cmp_lg_u32 s33, 0
	s_mov_b32 s30, 0
	s_cbranch_scc0 .LBB133_610
; %bb.605:
	s_min_u32 s31, s74, 15
	s_add_i32 s31, s31, 1
	s_cmp_eq_u32 s74, 2
	s_cbranch_scc1 .LBB133_611
; %bb.606:
	s_and_b32 s30, s31, 28
	s_add_u32 s2, s28, 0xc4
	s_addc_u32 s3, s29, 0
	s_mov_b32 s34, 0
	v_mov_b32_e32 v60, 0
	v_mov_b32_e32 v42, 0
	s_mov_b64 s[24:25], s[28:29]
	v_mov_b32_e32 v4, v3
.LBB133_607:                            ; =>This Inner Loop Header: Depth=1
	s_load_dwordx8 s[12:19], s[24:25], 0x4
	s_load_dwordx4 s[20:23], s[24:25], 0x24
	s_load_dwordx8 s[4:11], s[2:3], 0x0
	s_add_u32 s24, s24, 48
	s_addc_u32 s25, s25, 0
	s_waitcnt lgkmcnt(0)
	v_mul_hi_u32 v1, s13, v4
	v_add_u32_e32 v1, v4, v1
	v_lshrrev_b32_e32 v1, s14, v1
	v_mul_lo_u32 v5, v1, s12
	v_mul_hi_u32 v6, s16, v1
	v_sub_u32_e32 v4, v4, v5
	v_add_u32_e32 v5, v1, v6
	v_lshrrev_b32_e32 v5, s17, v5
	v_mul_lo_u32 v7, v5, s15
	v_mul_hi_u32 v8, s19, v5
	v_sub_u32_e32 v1, v1, v7
	v_add_u32_e32 v7, v5, v8
	v_mul_lo_u32 v6, v4, s5
	v_mul_lo_u32 v4, v4, s4
	;; [unrolled: 1-line block ×4, first 2 shown]
	v_lshrrev_b32_e32 v7, s20, v7
	v_add3_u32 v1, v4, v60, v1
	v_add3_u32 v6, v6, v42, v8
	v_mul_lo_u32 v4, v7, s18
	v_mul_hi_u32 v8, s22, v7
	v_sub_u32_e32 v4, v5, v4
	v_add_u32_e32 v5, v7, v8
	v_mul_lo_u32 v8, v4, s8
	v_mul_lo_u32 v9, v4, s9
	v_lshrrev_b32_e32 v4, s23, v5
	s_add_i32 s34, s34, 4
	v_mul_lo_u32 v5, v4, s21
	s_add_u32 s2, s2, 32
	v_sub_u32_e32 v5, v7, v5
	s_addc_u32 s3, s3, 0
	v_mul_lo_u32 v7, v5, s10
	v_mul_lo_u32 v5, v5, s11
	s_cmp_lg_u32 s30, s34
	v_add3_u32 v42, v9, v6, v5
	v_add3_u32 v60, v8, v1, v7
	s_cbranch_scc1 .LBB133_607
; %bb.608:
	v_mov_b32_e32 v1, v42
	s_and_b32 s6, s31, 3
	s_cmp_eq_u32 s6, 0
	s_cbranch_scc0 .LBB133_612
	s_branch .LBB133_614
.LBB133_609:
                                        ; implicit-def: $vgpr42
                                        ; implicit-def: $vgpr60
	s_branch .LBB133_615
.LBB133_610:
	v_mov_b32_e32 v42, 0
	v_mov_b32_e32 v60, 0
	s_branch .LBB133_614
.LBB133_611:
	v_mov_b32_e32 v60, 0
                                        ; implicit-def: $vgpr42
	v_mov_b32_e32 v1, v60
	v_mov_b32_e32 v4, v3
	s_and_b32 s6, s31, 3
	s_cmp_eq_u32 s6, 0
	s_cbranch_scc1 .LBB133_614
.LBB133_612:
	s_lshl_b32 s2, s30, 3
	s_add_u32 s2, s28, s2
	s_addc_u32 s3, s29, 0
	s_add_u32 s2, s2, 0xc4
	s_addc_u32 s3, s3, 0
	s_mul_i32 s4, s30, 12
	s_add_u32 s4, s28, s4
	s_addc_u32 s5, s29, 0
.LBB133_613:                            ; =>This Inner Loop Header: Depth=1
	s_load_dwordx2 s[8:9], s[4:5], 0x4
	s_load_dword s7, s[4:5], 0xc
	s_load_dwordx2 s[10:11], s[2:3], 0x0
	v_mov_b32_e32 v6, v1
	s_add_u32 s4, s4, 12
	s_waitcnt lgkmcnt(0)
	v_mul_hi_u32 v1, s9, v4
	v_add_u32_e32 v1, v4, v1
	v_lshrrev_b32_e32 v1, s7, v1
	s_addc_u32 s5, s5, 0
	v_mul_lo_u32 v5, v1, s8
	s_add_u32 s2, s2, 8
	v_sub_u32_e32 v5, v4, v5
	s_addc_u32 s3, s3, 0
	s_add_i32 s6, s6, -1
	v_mad_u64_u32 v[42:43], s[8:9], v5, s11, v[6:7]
	s_cmp_lg_u32 s6, 0
	v_mov_b32_e32 v4, v1
	v_mad_u64_u32 v[60:61], s[8:9], v5, s10, v[60:61]
	v_mov_b32_e32 v1, v42
	s_cbranch_scc1 .LBB133_613
.LBB133_614:
	s_cbranch_execnz .LBB133_617
.LBB133_615:
	s_load_dwordx4 s[4:7], s[28:29], 0x4
	s_load_dwordx2 s[2:3], s[28:29], 0xc4
	s_cmp_lt_u32 s33, 2
	s_waitcnt lgkmcnt(0)
	v_mul_hi_u32 v1, s5, v3
	v_add_u32_e32 v1, v3, v1
	v_lshrrev_b32_e32 v1, s6, v1
	v_mul_lo_u32 v4, v1, s4
	v_sub_u32_e32 v3, v3, v4
	v_mul_lo_u32 v42, v3, s3
	v_mul_lo_u32 v60, v3, s2
	s_cbranch_scc1 .LBB133_617
; %bb.616:
	s_load_dwordx4 s[4:7], s[28:29], 0x10
	s_load_dwordx2 s[2:3], s[28:29], 0xcc
	s_waitcnt lgkmcnt(0)
	v_mul_hi_u32 v3, s5, v1
	v_add_u32_e32 v3, v1, v3
	v_lshrrev_b32_e32 v3, s6, v3
	v_mul_lo_u32 v3, v3, s4
	v_sub_u32_e32 v1, v1, v3
	v_mad_u64_u32 v[60:61], s[4:5], v1, s2, v[60:61]
	v_mad_u64_u32 v[42:43], s[2:3], v1, s3, v[42:43]
.LBB133_617:
	s_and_b64 vcc, exec, s[0:1]
	s_cbranch_vccnz .LBB133_623
; %bb.618:
	s_cmp_lg_u32 s33, 0
	s_mov_b32 s24, 0
	s_cbranch_scc0 .LBB133_624
; %bb.619:
	s_min_u32 s25, s74, 15
	s_add_i32 s25, s25, 1
	s_cmp_eq_u32 s74, 2
	s_cbranch_scc1 .LBB133_625
; %bb.620:
	s_and_b32 s24, s25, 28
	s_add_u32 s20, s28, 0xc4
	s_addc_u32 s21, s29, 0
	s_mov_b32 s30, 0
	v_mov_b32_e32 v58, 0
	v_mov_b32_e32 v56, 0
	s_mov_b64 s[22:23], s[28:29]
	v_mov_b32_e32 v3, v0
.LBB133_621:                            ; =>This Inner Loop Header: Depth=1
	s_load_dwordx8 s[8:15], s[22:23], 0x4
	s_load_dwordx4 s[16:19], s[22:23], 0x24
	s_load_dwordx8 s[0:7], s[20:21], 0x0
	s_add_u32 s22, s22, 48
	s_addc_u32 s23, s23, 0
	s_waitcnt lgkmcnt(0)
	v_mul_hi_u32 v1, s9, v3
	v_add_u32_e32 v1, v3, v1
	v_lshrrev_b32_e32 v1, s10, v1
	v_mul_lo_u32 v4, v1, s8
	v_mul_hi_u32 v5, s12, v1
	v_sub_u32_e32 v3, v3, v4
	v_add_u32_e32 v4, v1, v5
	v_lshrrev_b32_e32 v4, s13, v4
	v_mul_lo_u32 v6, v4, s11
	v_mul_hi_u32 v7, s15, v4
	v_sub_u32_e32 v1, v1, v6
	v_add_u32_e32 v6, v4, v7
	v_mul_lo_u32 v5, v3, s1
	v_mul_lo_u32 v3, v3, s0
	;; [unrolled: 1-line block ×4, first 2 shown]
	v_lshrrev_b32_e32 v6, s16, v6
	v_add3_u32 v1, v3, v58, v1
	v_add3_u32 v5, v5, v56, v7
	v_mul_lo_u32 v3, v6, s14
	v_mul_hi_u32 v7, s18, v6
	v_sub_u32_e32 v3, v4, v3
	v_add_u32_e32 v4, v6, v7
	v_mul_lo_u32 v7, v3, s4
	v_mul_lo_u32 v8, v3, s5
	v_lshrrev_b32_e32 v3, s19, v4
	s_add_i32 s30, s30, 4
	v_mul_lo_u32 v4, v3, s17
	s_add_u32 s20, s20, 32
	v_sub_u32_e32 v4, v6, v4
	s_addc_u32 s21, s21, 0
	v_mul_lo_u32 v6, v4, s6
	v_mul_lo_u32 v4, v4, s7
	s_cmp_lg_u32 s24, s30
	v_add3_u32 v56, v8, v5, v4
	v_add3_u32 v58, v7, v1, v6
	s_cbranch_scc1 .LBB133_621
; %bb.622:
	v_mov_b32_e32 v1, v56
	s_and_b32 s4, s25, 3
	s_cmp_eq_u32 s4, 0
	s_cbranch_scc0 .LBB133_626
	s_branch .LBB133_628
.LBB133_623:
                                        ; implicit-def: $vgpr56
                                        ; implicit-def: $vgpr58
	s_branch .LBB133_629
.LBB133_624:
	v_mov_b32_e32 v56, 0
	v_mov_b32_e32 v58, 0
	s_branch .LBB133_628
.LBB133_625:
	v_mov_b32_e32 v58, 0
                                        ; implicit-def: $vgpr56
	v_mov_b32_e32 v1, v58
	v_mov_b32_e32 v3, v0
	s_and_b32 s4, s25, 3
	s_cmp_eq_u32 s4, 0
	s_cbranch_scc1 .LBB133_628
.LBB133_626:
	s_lshl_b32 s0, s24, 3
	s_add_u32 s0, s28, s0
	s_addc_u32 s1, s29, 0
	s_add_u32 s0, s0, 0xc4
	s_addc_u32 s1, s1, 0
	s_mul_i32 s2, s24, 12
	s_add_u32 s2, s28, s2
	s_addc_u32 s3, s29, 0
.LBB133_627:                            ; =>This Inner Loop Header: Depth=1
	s_load_dwordx2 s[6:7], s[2:3], 0x4
	s_load_dword s5, s[2:3], 0xc
	s_load_dwordx2 s[8:9], s[0:1], 0x0
	v_mov_b32_e32 v4, v1
	s_add_u32 s2, s2, 12
	s_waitcnt lgkmcnt(0)
	v_mul_hi_u32 v1, s7, v3
	v_add_u32_e32 v1, v3, v1
	v_lshrrev_b32_e32 v1, s5, v1
	s_addc_u32 s3, s3, 0
	v_mul_lo_u32 v5, v1, s6
	s_add_u32 s0, s0, 8
	v_sub_u32_e32 v5, v3, v5
	s_addc_u32 s1, s1, 0
	s_add_i32 s4, s4, -1
	v_mad_u64_u32 v[56:57], s[6:7], v5, s9, v[4:5]
	s_cmp_lg_u32 s4, 0
	v_mov_b32_e32 v3, v1
	v_mad_u64_u32 v[58:59], s[6:7], v5, s8, v[58:59]
	v_mov_b32_e32 v1, v56
	s_cbranch_scc1 .LBB133_627
.LBB133_628:
	s_cbranch_execnz .LBB133_631
.LBB133_629:
	s_load_dwordx4 s[0:3], s[28:29], 0x4
	s_load_dwordx2 s[4:5], s[28:29], 0xc4
	s_cmp_lt_u32 s33, 2
	s_waitcnt lgkmcnt(0)
	v_mul_hi_u32 v1, s1, v0
	v_add_u32_e32 v1, v0, v1
	v_lshrrev_b32_e32 v1, s2, v1
	v_mul_lo_u32 v3, v1, s0
	v_sub_u32_e32 v0, v0, v3
	v_mul_lo_u32 v56, v0, s5
	v_mul_lo_u32 v58, v0, s4
	s_cbranch_scc1 .LBB133_631
; %bb.630:
	s_load_dwordx4 s[0:3], s[28:29], 0x10
	s_load_dwordx2 s[4:5], s[28:29], 0xcc
	s_waitcnt lgkmcnt(0)
	v_mul_hi_u32 v0, s1, v1
	v_add_u32_e32 v0, v1, v0
	v_lshrrev_b32_e32 v0, s2, v0
	v_mul_lo_u32 v0, v0, s0
	v_sub_u32_e32 v0, v1, v0
	v_mad_u64_u32 v[58:59], s[0:1], v0, s4, v[58:59]
	v_mad_u64_u32 v[56:57], s[0:1], v0, s5, v[56:57]
.LBB133_631:
	s_load_dword s33, s[26:27], 0x160
	s_load_dwordx4 s[36:39], s[28:29], 0x148
	s_getpc_b64 s[26:27]
	s_add_u32 s26, s26, _ZN2at6native6invokeIZZZNS0_17expm1_kernel_cudaERNS_18TensorIteratorBaseEENKUlvE_clEvENKUlvE1_clEvEUlN3c107complexIdEEE_j15function_traitsIS9_EEENT1_11result_typeERKT_PrKPcPKT0_PKNS6_10ScalarTypeEi@rel32@lo+4
	s_addc_u32 s27, s27, _ZN2at6native6invokeIZZZNS0_17expm1_kernel_cudaERNS_18TensorIteratorBaseEENKUlvE_clEvENKUlvE1_clEvEUlN3c107complexIdEEE_j15function_traitsIS9_EEENT1_11result_typeERKT_PrKPcPKT0_PKNS6_10ScalarTypeEi@rel32@hi+12
	s_waitcnt lgkmcnt(0)
	s_lshr_b32 s28, s33, 16
	v_mov_b32_e32 v0, s38
	v_mov_b32_e32 v1, s39
	v_mov_b32_e32 v3, s28
	s_swappc_b64 s[30:31], s[26:27]
	v_mov_b32_e32 v52, v0
	v_mov_b32_e32 v53, v1
	v_mov_b32_e32 v54, v2
	v_mov_b32_e32 v55, v3
	v_mov_b32_e32 v0, s38
	v_mov_b32_e32 v1, s39
	v_mov_b32_e32 v2, v40
	v_mov_b32_e32 v3, s28
	s_swappc_b64 s[30:31], s[26:27]
	v_mov_b32_e32 v44, v0
	v_mov_b32_e32 v45, v1
	v_mov_b32_e32 v46, v2
	v_mov_b32_e32 v47, v3
	v_mov_b32_e32 v0, s38
	;; [unrolled: 9-line block ×3, first 2 shown]
	v_mov_b32_e32 v1, s39
	v_mov_b32_e32 v2, v56
	;; [unrolled: 1-line block ×3, first 2 shown]
	s_swappc_b64 s[30:31], s[26:27]
	v_mov_b32_e32 v65, 0
	s_bfe_u32 s10, s33, 0x80008
	s_cmp_lt_i32 s10, 11
	v_lshl_add_u64 v[4:5], s[36:37], 0, v[64:65]
	s_cbranch_scc1 .LBB133_710
; %bb.632:
	s_and_b32 s11, 0xffff, s10
	s_mov_b64 s[2:3], -1
	s_mov_b64 s[4:5], 0
	s_cmp_gt_i32 s11, 25
	s_mov_b64 s[6:7], 0
	s_mov_b64 s[0:1], 0
	s_cbranch_scc0 .LBB133_665
; %bb.633:
	s_cmp_gt_i32 s11, 28
	s_cbranch_scc0 .LBB133_648
; %bb.634:
	s_cmp_gt_i32 s11, 43
	;; [unrolled: 3-line block ×3, first 2 shown]
	s_cbranch_scc0 .LBB133_638
; %bb.636:
	s_mov_b64 s[0:1], -1
	s_mov_b64 s[2:3], 0
	s_cmp_eq_u32 s11, 46
	s_cbranch_scc0 .LBB133_638
; %bb.637:
	v_cvt_f32_f64_e32 v7, v[54:55]
	s_movk_i32 s0, 0x7fff
	v_bfe_u32 v9, v7, 16, 1
	v_cvt_f32_f64_e32 v6, v[52:53]
	v_add3_u32 v9, v7, v9, s0
	v_bfe_u32 v8, v6, 16, 1
	v_and_b32_e32 v9, 0xffff0000, v9
	v_mov_b32_e32 v10, 0x7fc00000
	v_cmp_o_f32_e32 vcc, v7, v7
	v_add3_u32 v8, v6, v8, s0
	s_mov_b64 s[0:1], 0
	v_cndmask_b32_e32 v7, v10, v9, vcc
	v_cmp_o_f32_e32 vcc, v6, v6
	v_mov_b32_e32 v6, 0x7fc0
	s_mov_b64 s[6:7], -1
	v_cndmask_b32_sdwa v6, v6, v8, vcc dst_sel:DWORD dst_unused:UNUSED_PAD src0_sel:DWORD src1_sel:WORD_1
	v_or_b32_e32 v6, v7, v6
	global_store_dword v[4:5], v6, off
.LBB133_638:
	s_and_b64 vcc, exec, s[2:3]
	s_cbranch_vccz .LBB133_643
; %bb.639:
	s_cmp_eq_u32 s11, 44
	s_mov_b64 s[0:1], -1
	s_cbranch_scc0 .LBB133_643
; %bb.640:
	v_cvt_f32_f64_e32 v6, v[52:53]
	v_bfe_u32 v7, v6, 23, 8
	s_movk_i32 s0, 0xff
	v_cmp_ne_u32_e32 vcc, s0, v7
	v_mov_b32_e32 v8, 0xff
	s_and_saveexec_b64 s[2:3], vcc
; %bb.641:
	s_mov_b32 s0, 0x3fffff
	v_lshrrev_b32_e32 v8, 23, v6
	v_and_b32_e32 v9, 0x400000, v6
	v_and_or_b32 v6, v6, s0, v7
	v_cmp_ne_u32_e32 vcc, 0, v9
	v_cmp_ne_u32_e64 s[0:1], 0, v6
	s_and_b64 s[0:1], vcc, s[0:1]
	s_nop 0
	v_cndmask_b32_e64 v6, 0, 1, s[0:1]
	v_add_u32_e32 v8, v8, v6
; %bb.642:
	s_or_b64 exec, exec, s[2:3]
	s_mov_b64 s[0:1], 0
	s_mov_b64 s[6:7], -1
	global_store_byte v[4:5], v8, off
.LBB133_643:
	s_mov_b64 s[2:3], 0
.LBB133_644:
	s_and_b64 vcc, exec, s[2:3]
	s_cbranch_vccz .LBB133_647
; %bb.645:
	s_cmp_eq_u32 s11, 29
	s_mov_b64 s[0:1], -1
	s_cbranch_scc0 .LBB133_647
; %bb.646:
	v_trunc_f64_e32 v[6:7], v[52:53]
	s_movk_i32 s0, 0xffe0
	v_ldexp_f64 v[8:9], v[6:7], s0
	v_floor_f64_e32 v[8:9], v[8:9]
	v_fmac_f64_e32 v[6:7], 0xc1f00000, v[8:9]
	v_cvt_u32_f64_e32 v11, v[8:9]
	v_cvt_u32_f64_e32 v10, v[6:7]
	global_store_dwordx2 v[4:5], v[10:11], off
	s_mov_b64 s[0:1], 0
	s_mov_b64 s[6:7], -1
.LBB133_647:
	s_mov_b64 s[2:3], 0
.LBB133_648:
	s_and_b64 vcc, exec, s[2:3]
	s_cbranch_vccz .LBB133_664
; %bb.649:
	s_cmp_lt_i32 s11, 27
	s_mov_b64 s[2:3], -1
	s_cbranch_scc1 .LBB133_655
; %bb.650:
	s_cmp_gt_i32 s11, 27
	s_cbranch_scc0 .LBB133_652
; %bb.651:
	v_cvt_u32_f64_e32 v6, v[52:53]
	s_mov_b64 s[2:3], 0
	global_store_dword v[4:5], v6, off
.LBB133_652:
	s_andn2_b64 vcc, exec, s[2:3]
	s_cbranch_vccnz .LBB133_654
; %bb.653:
	v_cvt_u32_f64_e32 v6, v[52:53]
	global_store_short v[4:5], v6, off
.LBB133_654:
	s_mov_b64 s[2:3], 0
.LBB133_655:
	s_andn2_b64 vcc, exec, s[2:3]
	s_cbranch_vccnz .LBB133_663
; %bb.656:
	v_cvt_f32_f64_e32 v6, v[52:53]
	v_and_b32_e32 v7, 0x7fffffff, v6
	s_mov_b32 s2, 0x43800000
	v_cmp_gt_u32_e32 vcc, s2, v7
	v_mov_b32_e32 v8, 0x80
	s_and_saveexec_b64 s[2:3], vcc
	s_cbranch_execz .LBB133_662
; %bb.657:
	s_mov_b32 s6, 0x3bffffff
	v_cmp_lt_u32_e32 vcc, s6, v7
	s_mov_b64 s[6:7], 0
                                        ; implicit-def: $vgpr7
	s_and_saveexec_b64 s[8:9], vcc
	s_xor_b64 s[8:9], exec, s[8:9]
	s_cbranch_execz .LBB133_1107
; %bb.658:
	v_bfe_u32 v7, v6, 20, 1
	s_mov_b32 s12, 0x487ffff
	v_add3_u32 v7, v6, v7, s12
	s_mov_b64 s[6:7], exec
	v_lshrrev_b32_e32 v7, 20, v7
	s_andn2_saveexec_b64 s[8:9], s[8:9]
	s_cbranch_execnz .LBB133_1108
.LBB133_659:
	s_or_b64 exec, exec, s[8:9]
	v_mov_b32_e32 v8, 0
	s_and_saveexec_b64 s[8:9], s[6:7]
.LBB133_660:
	v_lshrrev_b32_e32 v6, 24, v6
	s_movk_i32 s6, 0x80
	v_and_or_b32 v8, v6, s6, v7
.LBB133_661:
	s_or_b64 exec, exec, s[8:9]
.LBB133_662:
	s_or_b64 exec, exec, s[2:3]
	global_store_byte v[4:5], v8, off
.LBB133_663:
	s_mov_b64 s[6:7], -1
.LBB133_664:
	s_mov_b64 s[2:3], 0
.LBB133_665:
	s_and_b64 vcc, exec, s[2:3]
	s_cbranch_vccz .LBB133_705
; %bb.666:
	s_cmp_gt_i32 s11, 22
	s_mov_b64 s[2:3], -1
	s_cbranch_scc0 .LBB133_698
; %bb.667:
	s_cmp_lt_i32 s11, 24
	s_cbranch_scc1 .LBB133_687
; %bb.668:
	s_cmp_gt_i32 s11, 24
	s_cbranch_scc0 .LBB133_676
; %bb.669:
	v_cvt_f32_f64_e32 v6, v[52:53]
	v_and_b32_e32 v7, 0x7fffffff, v6
	s_mov_b32 s2, 0x47800000
	v_cmp_gt_u32_e32 vcc, s2, v7
	v_mov_b32_e32 v8, 0x80
	s_and_saveexec_b64 s[2:3], vcc
	s_cbranch_execz .LBB133_675
; %bb.670:
	s_mov_b32 s4, 0x37ffffff
	v_cmp_lt_u32_e32 vcc, s4, v7
	s_mov_b64 s[4:5], 0
                                        ; implicit-def: $vgpr7
	s_and_saveexec_b64 s[6:7], vcc
	s_xor_b64 s[6:7], exec, s[6:7]
	s_cbranch_execz .LBB133_1110
; %bb.671:
	v_bfe_u32 v7, v6, 21, 1
	s_mov_b32 s8, 0x88fffff
	v_add3_u32 v7, v6, v7, s8
	s_mov_b64 s[4:5], exec
	v_lshrrev_b32_e32 v7, 21, v7
	s_andn2_saveexec_b64 s[6:7], s[6:7]
	s_cbranch_execnz .LBB133_1111
.LBB133_672:
	s_or_b64 exec, exec, s[6:7]
	v_mov_b32_e32 v8, 0
	s_and_saveexec_b64 s[6:7], s[4:5]
.LBB133_673:
	v_lshrrev_b32_e32 v6, 24, v6
	s_movk_i32 s4, 0x80
	v_and_or_b32 v8, v6, s4, v7
.LBB133_674:
	s_or_b64 exec, exec, s[6:7]
.LBB133_675:
	s_or_b64 exec, exec, s[2:3]
	s_mov_b64 s[2:3], 0
	global_store_byte v[4:5], v8, off
.LBB133_676:
	s_and_b64 vcc, exec, s[2:3]
	s_cbranch_vccz .LBB133_686
; %bb.677:
	v_cvt_f32_f64_e32 v6, v[52:53]
	v_and_b32_e32 v8, 0x7fffffff, v6
	s_mov_b32 s2, 0x43f00000
	v_cmp_gt_u32_e32 vcc, s2, v8
                                        ; implicit-def: $vgpr7
	s_and_saveexec_b64 s[2:3], vcc
	s_xor_b64 s[2:3], exec, s[2:3]
	s_cbranch_execz .LBB133_683
; %bb.678:
	s_mov_b32 s4, 0x3c7fffff
	v_cmp_lt_u32_e32 vcc, s4, v8
                                        ; implicit-def: $vgpr7
	s_and_saveexec_b64 s[4:5], vcc
	s_xor_b64 s[4:5], exec, s[4:5]
; %bb.679:
	v_bfe_u32 v7, v6, 20, 1
	s_mov_b32 s6, 0x407ffff
	v_add3_u32 v7, v6, v7, s6
	v_lshrrev_b32_e32 v8, 20, v7
	v_and_b32_e32 v7, 0xff00000, v7
	s_mov_b32 s6, 0x7f00000
	v_mov_b32_e32 v9, 0x7e
	v_cmp_ne_u32_e32 vcc, s6, v7
	s_nop 1
	v_cndmask_b32_e32 v7, v9, v8, vcc
; %bb.680:
	s_andn2_saveexec_b64 s[4:5], s[4:5]
; %bb.681:
	s_mov_b32 s6, 0x46800000
	v_add_f32_e64 v7, |v6|, s6
; %bb.682:
	s_or_b64 exec, exec, s[4:5]
                                        ; implicit-def: $vgpr8
.LBB133_683:
	s_andn2_saveexec_b64 s[2:3], s[2:3]
; %bb.684:
	s_mov_b32 s4, 0x7f800000
	v_mov_b32_e32 v7, 0x7e
	v_mov_b32_e32 v9, 0x7f
	v_cmp_lt_u32_e32 vcc, s4, v8
	s_nop 1
	v_cndmask_b32_e32 v7, v7, v9, vcc
; %bb.685:
	s_or_b64 exec, exec, s[2:3]
	v_lshrrev_b32_e32 v6, 24, v6
	s_movk_i32 s2, 0x80
	v_and_or_b32 v6, v6, s2, v7
	global_store_byte v[4:5], v6, off
.LBB133_686:
	s_mov_b64 s[2:3], 0
.LBB133_687:
	s_andn2_b64 vcc, exec, s[2:3]
	s_cbranch_vccnz .LBB133_697
; %bb.688:
	v_cvt_f32_f64_e32 v6, v[52:53]
	v_and_b32_e32 v8, 0x7fffffff, v6
	s_mov_b32 s2, 0x47800000
	v_cmp_gt_u32_e32 vcc, s2, v8
                                        ; implicit-def: $vgpr7
	s_and_saveexec_b64 s[2:3], vcc
	s_xor_b64 s[2:3], exec, s[2:3]
	s_cbranch_execz .LBB133_694
; %bb.689:
	s_mov_b32 s4, 0x387fffff
	v_cmp_lt_u32_e32 vcc, s4, v8
                                        ; implicit-def: $vgpr7
	s_and_saveexec_b64 s[4:5], vcc
	s_xor_b64 s[4:5], exec, s[4:5]
; %bb.690:
	v_bfe_u32 v7, v6, 21, 1
	s_mov_b32 s6, 0x80fffff
	v_add3_u32 v7, v6, v7, s6
	v_lshrrev_b32_e32 v7, 21, v7
; %bb.691:
	s_andn2_saveexec_b64 s[4:5], s[4:5]
; %bb.692:
	s_mov_b32 s6, 0x43000000
	v_add_f32_e64 v7, |v6|, s6
; %bb.693:
	s_or_b64 exec, exec, s[4:5]
                                        ; implicit-def: $vgpr8
.LBB133_694:
	s_andn2_saveexec_b64 s[2:3], s[2:3]
; %bb.695:
	s_mov_b32 s4, 0x7f800000
	v_mov_b32_e32 v7, 0x7c
	v_mov_b32_e32 v9, 0x7f
	v_cmp_lt_u32_e32 vcc, s4, v8
	s_nop 1
	v_cndmask_b32_e32 v7, v7, v9, vcc
; %bb.696:
	s_or_b64 exec, exec, s[2:3]
	v_lshrrev_b32_e32 v6, 24, v6
	s_movk_i32 s2, 0x80
	v_and_or_b32 v6, v6, s2, v7
	global_store_byte v[4:5], v6, off
.LBB133_697:
	s_mov_b64 s[2:3], 0
	s_mov_b64 s[6:7], -1
.LBB133_698:
	s_andn2_b64 vcc, exec, s[2:3]
	s_mov_b64 s[4:5], 0
	s_cbranch_vccnz .LBB133_705
; %bb.699:
	s_cmp_gt_i32 s11, 14
	s_mov_b64 s[2:3], -1
	s_cbranch_scc0 .LBB133_703
; %bb.700:
	s_cmp_eq_u32 s11, 15
	s_mov_b64 s[0:1], -1
	s_cbranch_scc0 .LBB133_702
; %bb.701:
	v_cvt_f32_f64_e32 v6, v[52:53]
	v_bfe_u32 v7, v6, 16, 1
	s_movk_i32 s0, 0x7fff
	v_add3_u32 v7, v6, v7, s0
	v_cmp_o_f32_e32 vcc, v6, v6
	v_mov_b32_e32 v6, 0x7fc0
	s_mov_b64 s[0:1], 0
	v_cndmask_b32_sdwa v6, v6, v7, vcc dst_sel:DWORD dst_unused:UNUSED_PAD src0_sel:DWORD src1_sel:WORD_1
	global_store_short v[4:5], v6, off
	s_mov_b64 s[6:7], -1
.LBB133_702:
	s_mov_b64 s[2:3], 0
.LBB133_703:
	s_and_b64 vcc, exec, s[2:3]
	s_cbranch_vccz .LBB133_705
; %bb.704:
	s_cmp_lg_u32 s11, 11
	s_mov_b64 s[4:5], -1
	s_cselect_b64 s[0:1], -1, 0
.LBB133_705:
	s_and_b64 vcc, exec, s[0:1]
	s_mov_b64 s[2:3], s[40:41]
	s_cbranch_vccnz .LBB133_1109
; %bb.706:
	s_andn2_b64 vcc, exec, s[4:5]
	s_cbranch_vccnz .LBB133_708
.LBB133_707:
	v_cmp_neq_f64_e32 vcc, 0, v[52:53]
	v_cmp_neq_f64_e64 s[0:1], 0, v[54:55]
	s_or_b64 s[0:1], vcc, s[0:1]
	s_mov_b64 s[6:7], -1
	v_cndmask_b32_e64 v6, 0, 1, s[0:1]
	global_store_byte v[4:5], v6, off
.LBB133_708:
.LBB133_709:
	s_andn2_b64 vcc, exec, s[6:7]
	s_cbranch_vccz .LBB133_749
	s_branch .LBB133_1061
.LBB133_710:
	s_mov_b64 s[6:7], 0
	s_mov_b64 s[2:3], s[40:41]
	s_cbranch_execz .LBB133_709
; %bb.711:
	s_and_b32 s4, 0xffff, s10
	s_cmp_lt_i32 s4, 5
	s_mov_b64 s[0:1], -1
	s_cbranch_scc1 .LBB133_732
; %bb.712:
	s_cmp_lt_i32 s4, 8
	s_cbranch_scc1 .LBB133_722
; %bb.713:
	s_cmp_lt_i32 s4, 9
	s_cbranch_scc1 .LBB133_719
; %bb.714:
	s_cmp_gt_i32 s4, 9
	s_cbranch_scc0 .LBB133_716
; %bb.715:
	global_store_dwordx4 v[4:5], v[52:55], off
	s_mov_b64 s[0:1], 0
.LBB133_716:
	s_andn2_b64 vcc, exec, s[0:1]
	s_cbranch_vccnz .LBB133_718
; %bb.717:
	v_cvt_f32_f64_e32 v7, v[54:55]
	v_cvt_f32_f64_e32 v6, v[52:53]
	global_store_dwordx2 v[4:5], v[6:7], off
.LBB133_718:
	s_mov_b64 s[0:1], 0
.LBB133_719:
	s_andn2_b64 vcc, exec, s[0:1]
	s_cbranch_vccnz .LBB133_721
; %bb.720:
	s_movk_i32 s0, 0x1ff
	v_and_or_b32 v6, v53, s0, v52
	v_cmp_ne_u32_e32 vcc, 0, v6
	v_lshrrev_b32_e32 v7, 8, v53
	s_movk_i32 s1, 0xffe
	v_cndmask_b32_e64 v6, 0, 1, vcc
	v_bfe_u32 v8, v53, 20, 11
	v_and_or_b32 v6, v7, s1, v6
	v_sub_u32_e32 v9, 0x3f1, v8
	v_or_b32_e32 v7, 0x1000, v6
	v_med3_i32 v9, v9, 0, 13
	v_lshrrev_b32_e32 v10, v9, v7
	v_lshlrev_b32_e32 v9, v9, v10
	v_cmp_ne_u32_e32 vcc, v9, v7
	v_add_u32_e32 v8, 0xfffffc10, v8
	v_lshl_or_b32 v9, v8, 12, v6
	v_cndmask_b32_e64 v7, 0, 1, vcc
	v_or_b32_e32 v7, v10, v7
	v_cmp_gt_i32_e32 vcc, 1, v8
	s_movk_i32 s5, 0x40f
	v_lshrrev_b32_e32 v11, 8, v55
	v_cndmask_b32_e32 v7, v9, v7, vcc
	v_and_b32_e32 v9, 7, v7
	v_cmp_lt_i32_e32 vcc, 5, v9
	v_lshrrev_b32_e32 v7, 2, v7
	v_bfe_u32 v12, v55, 20, 11
	v_cndmask_b32_e64 v10, 0, 1, vcc
	v_cmp_eq_u32_e32 vcc, 3, v9
	v_sub_u32_e32 v13, 0x3f1, v12
	v_med3_i32 v13, v13, 0, 13
	v_cndmask_b32_e64 v9, 0, 1, vcc
	v_or_b32_e32 v9, v9, v10
	v_add_u32_e32 v7, v7, v9
	v_mov_b32_e32 v9, 0x7c00
	v_cmp_gt_i32_e32 vcc, 31, v8
	v_mov_b32_e32 v10, 0x7e00
	v_add_u32_e32 v12, 0xfffffc10, v12
	v_cndmask_b32_e32 v7, v9, v7, vcc
	v_cmp_ne_u32_e32 vcc, 0, v6
	s_mov_b32 s6, 0x8000
	s_nop 0
	v_cndmask_b32_e32 v6, v9, v10, vcc
	v_cmp_eq_u32_e32 vcc, s5, v8
	v_and_or_b32 v8, v55, s0, v54
	s_mov_b32 s0, 0xffff
	v_cndmask_b32_e32 v6, v7, v6, vcc
	v_cmp_ne_u32_e32 vcc, 0, v8
	v_and_b32_sdwa v7, v53, s6 dst_sel:DWORD dst_unused:UNUSED_PAD src0_sel:WORD_1 src1_sel:DWORD
	v_bitop3_b32 v6, v7, s0, v6 bitop3:0xc8
	v_cndmask_b32_e64 v8, 0, 1, vcc
	v_and_or_b32 v8, v11, s1, v8
	v_or_b32_e32 v11, 0x1000, v8
	v_lshrrev_b32_e32 v14, v13, v11
	v_lshlrev_b32_e32 v13, v13, v14
	v_cmp_ne_u32_e32 vcc, v13, v11
	v_lshl_or_b32 v13, v12, 12, v8
	s_nop 0
	v_cndmask_b32_e64 v11, 0, 1, vcc
	v_or_b32_e32 v11, v14, v11
	v_cmp_gt_i32_e32 vcc, 1, v12
	s_nop 1
	v_cndmask_b32_e32 v11, v13, v11, vcc
	v_and_b32_e32 v13, 7, v11
	v_cmp_lt_i32_e32 vcc, 5, v13
	v_lshrrev_b32_e32 v11, 2, v11
	s_nop 0
	v_cndmask_b32_e64 v14, 0, 1, vcc
	v_cmp_eq_u32_e32 vcc, 3, v13
	s_nop 1
	v_cndmask_b32_e64 v13, 0, 1, vcc
	v_or_b32_e32 v13, v13, v14
	v_add_u32_e32 v11, v11, v13
	v_cmp_gt_i32_e32 vcc, 31, v12
	s_nop 1
	v_cndmask_b32_e32 v11, v9, v11, vcc
	v_cmp_ne_u32_e32 vcc, 0, v8
	s_nop 1
	v_cndmask_b32_e32 v8, v9, v10, vcc
	v_cmp_eq_u32_e32 vcc, s5, v12
	v_lshrrev_b32_e32 v9, 16, v55
	s_nop 0
	v_cndmask_b32_e32 v8, v11, v8, vcc
	v_and_or_b32 v8, v9, s6, v8
	v_lshl_or_b32 v6, v8, 16, v6
	global_store_dword v[4:5], v6, off
.LBB133_721:
	s_mov_b64 s[0:1], 0
.LBB133_722:
	s_andn2_b64 vcc, exec, s[0:1]
	s_cbranch_vccnz .LBB133_731
; %bb.723:
	s_cmp_lt_i32 s4, 6
	s_mov_b64 s[0:1], -1
	s_cbranch_scc1 .LBB133_729
; %bb.724:
	s_cmp_gt_i32 s4, 6
	s_cbranch_scc0 .LBB133_726
; %bb.725:
	global_store_dwordx2 v[4:5], v[52:53], off
	s_mov_b64 s[0:1], 0
.LBB133_726:
	s_andn2_b64 vcc, exec, s[0:1]
	s_cbranch_vccnz .LBB133_728
; %bb.727:
	v_cvt_f32_f64_e32 v6, v[52:53]
	global_store_dword v[4:5], v6, off
.LBB133_728:
	s_mov_b64 s[0:1], 0
.LBB133_729:
	s_andn2_b64 vcc, exec, s[0:1]
	s_cbranch_vccnz .LBB133_731
; %bb.730:
	s_movk_i32 s0, 0x1ff
	v_and_or_b32 v6, v53, s0, v52
	v_cmp_ne_u32_e32 vcc, 0, v6
	v_lshrrev_b32_e32 v7, 8, v53
	s_movk_i32 s0, 0xffe
	v_cndmask_b32_e64 v6, 0, 1, vcc
	v_bfe_u32 v8, v53, 20, 11
	v_and_or_b32 v6, v7, s0, v6
	v_sub_u32_e32 v9, 0x3f1, v8
	v_or_b32_e32 v7, 0x1000, v6
	v_med3_i32 v9, v9, 0, 13
	v_lshrrev_b32_e32 v10, v9, v7
	v_lshlrev_b32_e32 v9, v9, v10
	v_cmp_ne_u32_e32 vcc, v9, v7
	v_add_u32_e32 v8, 0xfffffc10, v8
	v_lshl_or_b32 v9, v8, 12, v6
	v_cndmask_b32_e64 v7, 0, 1, vcc
	v_or_b32_e32 v7, v10, v7
	v_cmp_gt_i32_e32 vcc, 1, v8
	s_movk_i32 s0, 0x40f
	s_nop 0
	v_cndmask_b32_e32 v7, v9, v7, vcc
	v_and_b32_e32 v9, 7, v7
	v_cmp_lt_i32_e32 vcc, 5, v9
	v_lshrrev_b32_e32 v7, 2, v7
	s_nop 0
	v_cndmask_b32_e64 v10, 0, 1, vcc
	v_cmp_eq_u32_e32 vcc, 3, v9
	s_nop 1
	v_cndmask_b32_e64 v9, 0, 1, vcc
	v_or_b32_e32 v9, v9, v10
	v_add_u32_e32 v7, v7, v9
	v_mov_b32_e32 v9, 0x7c00
	v_cmp_gt_i32_e32 vcc, 31, v8
	v_mov_b32_e32 v10, 0x7e00
	s_nop 0
	v_cndmask_b32_e32 v7, v9, v7, vcc
	v_cmp_ne_u32_e32 vcc, 0, v6
	s_nop 1
	v_cndmask_b32_e32 v6, v9, v10, vcc
	v_cmp_eq_u32_e32 vcc, s0, v8
	s_mov_b32 s0, 0x8000
	s_nop 0
	v_cndmask_b32_e32 v6, v7, v6, vcc
	v_lshrrev_b32_e32 v7, 16, v53
	v_and_or_b32 v6, v7, s0, v6
	global_store_short v[4:5], v6, off
.LBB133_731:
	s_mov_b64 s[0:1], 0
.LBB133_732:
	s_andn2_b64 vcc, exec, s[0:1]
	s_cbranch_vccnz .LBB133_748
; %bb.733:
	s_cmp_lt_i32 s4, 2
	s_mov_b64 s[0:1], -1
	s_cbranch_scc1 .LBB133_743
; %bb.734:
	s_cmp_lt_i32 s4, 3
	s_cbranch_scc1 .LBB133_740
; %bb.735:
	s_cmp_gt_i32 s4, 3
	s_cbranch_scc0 .LBB133_737
; %bb.736:
	v_trunc_f64_e32 v[6:7], v[52:53]
	s_movk_i32 s0, 0xffe0
	v_ldexp_f64 v[8:9], v[6:7], s0
	v_floor_f64_e32 v[8:9], v[8:9]
	v_fmac_f64_e32 v[6:7], 0xc1f00000, v[8:9]
	v_cvt_i32_f64_e32 v11, v[8:9]
	v_cvt_u32_f64_e32 v10, v[6:7]
	global_store_dwordx2 v[4:5], v[10:11], off
	s_mov_b64 s[0:1], 0
.LBB133_737:
	s_andn2_b64 vcc, exec, s[0:1]
	s_cbranch_vccnz .LBB133_739
; %bb.738:
	v_cvt_i32_f64_e32 v6, v[52:53]
	global_store_dword v[4:5], v6, off
.LBB133_739:
	s_mov_b64 s[0:1], 0
.LBB133_740:
	s_andn2_b64 vcc, exec, s[0:1]
	s_cbranch_vccnz .LBB133_742
; %bb.741:
	v_cvt_i32_f64_e32 v6, v[52:53]
	global_store_short v[4:5], v6, off
.LBB133_742:
	s_mov_b64 s[0:1], 0
.LBB133_743:
	s_andn2_b64 vcc, exec, s[0:1]
	s_cbranch_vccnz .LBB133_748
; %bb.744:
	s_cmp_gt_i32 s4, 0
	s_mov_b64 s[0:1], -1
	s_cbranch_scc0 .LBB133_746
; %bb.745:
	v_cvt_i32_f64_e32 v6, v[52:53]
	global_store_byte v[4:5], v6, off
	s_mov_b64 s[0:1], 0
.LBB133_746:
	s_andn2_b64 vcc, exec, s[0:1]
	s_cbranch_vccnz .LBB133_748
; %bb.747:
	v_trunc_f64_e32 v[6:7], v[52:53]
	s_movk_i32 s0, 0xffe0
	v_ldexp_f64 v[8:9], v[6:7], s0
	v_floor_f64_e32 v[8:9], v[8:9]
	v_fmac_f64_e32 v[6:7], 0xc1f00000, v[8:9]
	v_cvt_u32_f64_e32 v6, v[6:7]
	global_store_byte v[4:5], v6, off
.LBB133_748:
.LBB133_749:
	s_lshr_b32 s0, s33, 8
	v_mov_b32_e32 v63, 0
	s_and_b32 s12, s0, 0xff
	s_cmp_lt_i32 s12, 11
	v_lshl_add_u64 v[4:5], s[36:37], 0, v[62:63]
	s_cbranch_scc1 .LBB133_828
; %bb.750:
	s_and_b32 s13, 0xffff, s12
	s_mov_b64 s[8:9], -1
	s_mov_b64 s[4:5], 0
	s_cmp_gt_i32 s13, 25
	s_mov_b64 s[6:7], 0
	s_mov_b64 s[0:1], 0
	s_cbranch_scc0 .LBB133_783
; %bb.751:
	s_cmp_gt_i32 s13, 28
	s_cbranch_scc0 .LBB133_766
; %bb.752:
	s_cmp_gt_i32 s13, 43
	s_cbranch_scc0 .LBB133_762
; %bb.753:
	s_cmp_gt_i32 s13, 45
	s_cbranch_scc0 .LBB133_756
; %bb.754:
	s_mov_b64 s[0:1], -1
	s_mov_b64 s[8:9], 0
	s_cmp_eq_u32 s13, 46
	s_cbranch_scc0 .LBB133_756
; %bb.755:
	v_cvt_f32_f64_e32 v7, v[46:47]
	s_movk_i32 s0, 0x7fff
	v_bfe_u32 v9, v7, 16, 1
	v_cvt_f32_f64_e32 v6, v[44:45]
	v_add3_u32 v9, v7, v9, s0
	v_bfe_u32 v8, v6, 16, 1
	v_and_b32_e32 v9, 0xffff0000, v9
	v_mov_b32_e32 v10, 0x7fc00000
	v_cmp_o_f32_e32 vcc, v7, v7
	v_add3_u32 v8, v6, v8, s0
	s_mov_b64 s[0:1], 0
	v_cndmask_b32_e32 v7, v10, v9, vcc
	v_cmp_o_f32_e32 vcc, v6, v6
	v_mov_b32_e32 v6, 0x7fc0
	s_mov_b64 s[6:7], -1
	v_cndmask_b32_sdwa v6, v6, v8, vcc dst_sel:DWORD dst_unused:UNUSED_PAD src0_sel:DWORD src1_sel:WORD_1
	v_or_b32_e32 v6, v7, v6
	global_store_dword v[4:5], v6, off
.LBB133_756:
	s_and_b64 vcc, exec, s[8:9]
	s_cbranch_vccz .LBB133_761
; %bb.757:
	s_cmp_eq_u32 s13, 44
	s_mov_b64 s[0:1], -1
	s_cbranch_scc0 .LBB133_761
; %bb.758:
	v_cvt_f32_f64_e32 v6, v[44:45]
	v_bfe_u32 v7, v6, 23, 8
	s_movk_i32 s0, 0xff
	v_cmp_ne_u32_e32 vcc, s0, v7
	v_mov_b32_e32 v8, 0xff
	s_and_saveexec_b64 s[6:7], vcc
; %bb.759:
	s_mov_b32 s0, 0x3fffff
	v_lshrrev_b32_e32 v8, 23, v6
	v_and_b32_e32 v9, 0x400000, v6
	v_and_or_b32 v6, v6, s0, v7
	v_cmp_ne_u32_e32 vcc, 0, v9
	v_cmp_ne_u32_e64 s[0:1], 0, v6
	s_and_b64 s[0:1], vcc, s[0:1]
	s_nop 0
	v_cndmask_b32_e64 v6, 0, 1, s[0:1]
	v_add_u32_e32 v8, v8, v6
; %bb.760:
	s_or_b64 exec, exec, s[6:7]
	s_mov_b64 s[0:1], 0
	s_mov_b64 s[6:7], -1
	global_store_byte v[4:5], v8, off
.LBB133_761:
	s_mov_b64 s[8:9], 0
.LBB133_762:
	s_and_b64 vcc, exec, s[8:9]
	s_cbranch_vccz .LBB133_765
; %bb.763:
	s_cmp_eq_u32 s13, 29
	s_mov_b64 s[0:1], -1
	s_cbranch_scc0 .LBB133_765
; %bb.764:
	v_trunc_f64_e32 v[6:7], v[44:45]
	s_movk_i32 s0, 0xffe0
	v_ldexp_f64 v[8:9], v[6:7], s0
	v_floor_f64_e32 v[8:9], v[8:9]
	v_fmac_f64_e32 v[6:7], 0xc1f00000, v[8:9]
	v_cvt_u32_f64_e32 v11, v[8:9]
	v_cvt_u32_f64_e32 v10, v[6:7]
	global_store_dwordx2 v[4:5], v[10:11], off
	s_mov_b64 s[0:1], 0
	s_mov_b64 s[6:7], -1
.LBB133_765:
	s_mov_b64 s[8:9], 0
.LBB133_766:
	s_and_b64 vcc, exec, s[8:9]
	s_cbranch_vccz .LBB133_782
; %bb.767:
	s_cmp_lt_i32 s13, 27
	s_mov_b64 s[6:7], -1
	s_cbranch_scc1 .LBB133_773
; %bb.768:
	s_cmp_gt_i32 s13, 27
	s_cbranch_scc0 .LBB133_770
; %bb.769:
	v_cvt_u32_f64_e32 v6, v[44:45]
	s_mov_b64 s[6:7], 0
	global_store_dword v[4:5], v6, off
.LBB133_770:
	s_andn2_b64 vcc, exec, s[6:7]
	s_cbranch_vccnz .LBB133_772
; %bb.771:
	v_cvt_u32_f64_e32 v6, v[44:45]
	global_store_short v[4:5], v6, off
.LBB133_772:
	s_mov_b64 s[6:7], 0
.LBB133_773:
	s_andn2_b64 vcc, exec, s[6:7]
	s_cbranch_vccnz .LBB133_781
; %bb.774:
	v_cvt_f32_f64_e32 v6, v[44:45]
	v_and_b32_e32 v7, 0x7fffffff, v6
	s_mov_b32 s6, 0x43800000
	v_cmp_gt_u32_e32 vcc, s6, v7
	v_mov_b32_e32 v8, 0x80
	s_and_saveexec_b64 s[6:7], vcc
	s_cbranch_execz .LBB133_780
; %bb.775:
	s_mov_b32 s8, 0x3bffffff
	v_cmp_lt_u32_e32 vcc, s8, v7
	s_mov_b64 s[8:9], 0
                                        ; implicit-def: $vgpr7
	s_and_saveexec_b64 s[10:11], vcc
	s_xor_b64 s[10:11], exec, s[10:11]
	s_cbranch_execz .LBB133_1112
; %bb.776:
	v_bfe_u32 v7, v6, 20, 1
	s_mov_b32 s14, 0x487ffff
	v_add3_u32 v7, v6, v7, s14
	s_mov_b64 s[8:9], exec
	v_lshrrev_b32_e32 v7, 20, v7
	s_andn2_saveexec_b64 s[10:11], s[10:11]
	s_cbranch_execnz .LBB133_1113
.LBB133_777:
	s_or_b64 exec, exec, s[10:11]
	v_mov_b32_e32 v8, 0
	s_and_saveexec_b64 s[10:11], s[8:9]
.LBB133_778:
	v_lshrrev_b32_e32 v6, 24, v6
	s_movk_i32 s8, 0x80
	v_and_or_b32 v8, v6, s8, v7
.LBB133_779:
	s_or_b64 exec, exec, s[10:11]
.LBB133_780:
	s_or_b64 exec, exec, s[6:7]
	global_store_byte v[4:5], v8, off
.LBB133_781:
	s_mov_b64 s[6:7], -1
.LBB133_782:
	s_mov_b64 s[8:9], 0
.LBB133_783:
	s_and_b64 vcc, exec, s[8:9]
	s_cbranch_vccz .LBB133_823
; %bb.784:
	s_cmp_gt_i32 s13, 22
	s_mov_b64 s[4:5], -1
	s_cbranch_scc0 .LBB133_816
; %bb.785:
	s_cmp_lt_i32 s13, 24
	s_cbranch_scc1 .LBB133_805
; %bb.786:
	s_cmp_gt_i32 s13, 24
	s_cbranch_scc0 .LBB133_794
; %bb.787:
	v_cvt_f32_f64_e32 v6, v[44:45]
	v_and_b32_e32 v7, 0x7fffffff, v6
	s_mov_b32 s4, 0x47800000
	v_cmp_gt_u32_e32 vcc, s4, v7
	v_mov_b32_e32 v8, 0x80
	s_and_saveexec_b64 s[4:5], vcc
	s_cbranch_execz .LBB133_793
; %bb.788:
	s_mov_b32 s6, 0x37ffffff
	v_cmp_lt_u32_e32 vcc, s6, v7
	s_mov_b64 s[6:7], 0
                                        ; implicit-def: $vgpr7
	s_and_saveexec_b64 s[8:9], vcc
	s_xor_b64 s[8:9], exec, s[8:9]
	s_cbranch_execz .LBB133_1115
; %bb.789:
	v_bfe_u32 v7, v6, 21, 1
	s_mov_b32 s10, 0x88fffff
	v_add3_u32 v7, v6, v7, s10
	s_mov_b64 s[6:7], exec
	v_lshrrev_b32_e32 v7, 21, v7
	s_andn2_saveexec_b64 s[8:9], s[8:9]
	s_cbranch_execnz .LBB133_1116
.LBB133_790:
	s_or_b64 exec, exec, s[8:9]
	v_mov_b32_e32 v8, 0
	s_and_saveexec_b64 s[8:9], s[6:7]
.LBB133_791:
	v_lshrrev_b32_e32 v6, 24, v6
	s_movk_i32 s6, 0x80
	v_and_or_b32 v8, v6, s6, v7
.LBB133_792:
	s_or_b64 exec, exec, s[8:9]
.LBB133_793:
	s_or_b64 exec, exec, s[4:5]
	s_mov_b64 s[4:5], 0
	global_store_byte v[4:5], v8, off
.LBB133_794:
	s_and_b64 vcc, exec, s[4:5]
	s_cbranch_vccz .LBB133_804
; %bb.795:
	v_cvt_f32_f64_e32 v6, v[44:45]
	v_and_b32_e32 v8, 0x7fffffff, v6
	s_mov_b32 s4, 0x43f00000
	v_cmp_gt_u32_e32 vcc, s4, v8
                                        ; implicit-def: $vgpr7
	s_and_saveexec_b64 s[4:5], vcc
	s_xor_b64 s[4:5], exec, s[4:5]
	s_cbranch_execz .LBB133_801
; %bb.796:
	s_mov_b32 s6, 0x3c7fffff
	v_cmp_lt_u32_e32 vcc, s6, v8
                                        ; implicit-def: $vgpr7
	s_and_saveexec_b64 s[6:7], vcc
	s_xor_b64 s[6:7], exec, s[6:7]
; %bb.797:
	v_bfe_u32 v7, v6, 20, 1
	s_mov_b32 s8, 0x407ffff
	v_add3_u32 v7, v6, v7, s8
	v_lshrrev_b32_e32 v8, 20, v7
	v_and_b32_e32 v7, 0xff00000, v7
	s_mov_b32 s8, 0x7f00000
	v_mov_b32_e32 v9, 0x7e
	v_cmp_ne_u32_e32 vcc, s8, v7
	s_nop 1
	v_cndmask_b32_e32 v7, v9, v8, vcc
; %bb.798:
	s_andn2_saveexec_b64 s[6:7], s[6:7]
; %bb.799:
	s_mov_b32 s8, 0x46800000
	v_add_f32_e64 v7, |v6|, s8
; %bb.800:
	s_or_b64 exec, exec, s[6:7]
                                        ; implicit-def: $vgpr8
.LBB133_801:
	s_andn2_saveexec_b64 s[4:5], s[4:5]
; %bb.802:
	s_mov_b32 s6, 0x7f800000
	v_mov_b32_e32 v7, 0x7e
	v_mov_b32_e32 v9, 0x7f
	v_cmp_lt_u32_e32 vcc, s6, v8
	s_nop 1
	v_cndmask_b32_e32 v7, v7, v9, vcc
; %bb.803:
	s_or_b64 exec, exec, s[4:5]
	v_lshrrev_b32_e32 v6, 24, v6
	s_movk_i32 s4, 0x80
	v_and_or_b32 v6, v6, s4, v7
	global_store_byte v[4:5], v6, off
.LBB133_804:
	s_mov_b64 s[4:5], 0
.LBB133_805:
	s_andn2_b64 vcc, exec, s[4:5]
	s_cbranch_vccnz .LBB133_815
; %bb.806:
	v_cvt_f32_f64_e32 v6, v[44:45]
	v_and_b32_e32 v8, 0x7fffffff, v6
	s_mov_b32 s4, 0x47800000
	v_cmp_gt_u32_e32 vcc, s4, v8
                                        ; implicit-def: $vgpr7
	s_and_saveexec_b64 s[4:5], vcc
	s_xor_b64 s[4:5], exec, s[4:5]
	s_cbranch_execz .LBB133_812
; %bb.807:
	s_mov_b32 s6, 0x387fffff
	v_cmp_lt_u32_e32 vcc, s6, v8
                                        ; implicit-def: $vgpr7
	s_and_saveexec_b64 s[6:7], vcc
	s_xor_b64 s[6:7], exec, s[6:7]
; %bb.808:
	v_bfe_u32 v7, v6, 21, 1
	s_mov_b32 s8, 0x80fffff
	v_add3_u32 v7, v6, v7, s8
	v_lshrrev_b32_e32 v7, 21, v7
; %bb.809:
	s_andn2_saveexec_b64 s[6:7], s[6:7]
; %bb.810:
	s_mov_b32 s8, 0x43000000
	v_add_f32_e64 v7, |v6|, s8
; %bb.811:
	s_or_b64 exec, exec, s[6:7]
                                        ; implicit-def: $vgpr8
.LBB133_812:
	s_andn2_saveexec_b64 s[4:5], s[4:5]
; %bb.813:
	s_mov_b32 s6, 0x7f800000
	v_mov_b32_e32 v7, 0x7c
	v_mov_b32_e32 v9, 0x7f
	v_cmp_lt_u32_e32 vcc, s6, v8
	s_nop 1
	v_cndmask_b32_e32 v7, v7, v9, vcc
; %bb.814:
	s_or_b64 exec, exec, s[4:5]
	v_lshrrev_b32_e32 v6, 24, v6
	s_movk_i32 s4, 0x80
	v_and_or_b32 v6, v6, s4, v7
	global_store_byte v[4:5], v6, off
.LBB133_815:
	s_mov_b64 s[4:5], 0
	s_mov_b64 s[6:7], -1
.LBB133_816:
	s_andn2_b64 vcc, exec, s[4:5]
	s_mov_b64 s[4:5], 0
	s_cbranch_vccnz .LBB133_823
; %bb.817:
	s_cmp_gt_i32 s13, 14
	s_mov_b64 s[8:9], -1
	s_cbranch_scc0 .LBB133_821
; %bb.818:
	s_cmp_eq_u32 s13, 15
	s_mov_b64 s[0:1], -1
	s_cbranch_scc0 .LBB133_820
; %bb.819:
	v_cvt_f32_f64_e32 v6, v[44:45]
	v_bfe_u32 v7, v6, 16, 1
	s_movk_i32 s0, 0x7fff
	v_add3_u32 v7, v6, v7, s0
	v_cmp_o_f32_e32 vcc, v6, v6
	v_mov_b32_e32 v6, 0x7fc0
	s_mov_b64 s[0:1], 0
	v_cndmask_b32_sdwa v6, v6, v7, vcc dst_sel:DWORD dst_unused:UNUSED_PAD src0_sel:DWORD src1_sel:WORD_1
	global_store_short v[4:5], v6, off
	s_mov_b64 s[6:7], -1
.LBB133_820:
	s_mov_b64 s[8:9], 0
.LBB133_821:
	s_and_b64 vcc, exec, s[8:9]
	s_cbranch_vccz .LBB133_823
; %bb.822:
	s_cmp_lg_u32 s13, 11
	s_mov_b64 s[4:5], -1
	s_cselect_b64 s[0:1], -1, 0
.LBB133_823:
	s_and_b64 vcc, exec, s[0:1]
	s_cbranch_vccnz .LBB133_1114
; %bb.824:
	s_andn2_b64 vcc, exec, s[4:5]
	s_cbranch_vccnz .LBB133_826
.LBB133_825:
	v_cmp_neq_f64_e32 vcc, 0, v[44:45]
	v_cmp_neq_f64_e64 s[0:1], 0, v[46:47]
	s_or_b64 s[0:1], vcc, s[0:1]
	s_mov_b64 s[6:7], -1
	v_cndmask_b32_e64 v6, 0, 1, s[0:1]
	global_store_byte v[4:5], v6, off
.LBB133_826:
.LBB133_827:
	s_andn2_b64 vcc, exec, s[6:7]
	s_cbranch_vccz .LBB133_867
	s_branch .LBB133_1061
.LBB133_828:
	s_mov_b64 s[6:7], 0
	s_cbranch_execz .LBB133_827
; %bb.829:
	s_and_b32 s4, 0xffff, s12
	s_cmp_lt_i32 s4, 5
	s_mov_b64 s[0:1], -1
	s_cbranch_scc1 .LBB133_850
; %bb.830:
	s_cmp_lt_i32 s4, 8
	s_cbranch_scc1 .LBB133_840
; %bb.831:
	s_cmp_lt_i32 s4, 9
	s_cbranch_scc1 .LBB133_837
; %bb.832:
	s_cmp_gt_i32 s4, 9
	s_cbranch_scc0 .LBB133_834
; %bb.833:
	global_store_dwordx4 v[4:5], v[44:47], off
	s_mov_b64 s[0:1], 0
.LBB133_834:
	s_andn2_b64 vcc, exec, s[0:1]
	s_cbranch_vccnz .LBB133_836
; %bb.835:
	v_cvt_f32_f64_e32 v7, v[46:47]
	v_cvt_f32_f64_e32 v6, v[44:45]
	global_store_dwordx2 v[4:5], v[6:7], off
.LBB133_836:
	s_mov_b64 s[0:1], 0
.LBB133_837:
	s_andn2_b64 vcc, exec, s[0:1]
	s_cbranch_vccnz .LBB133_839
; %bb.838:
	s_movk_i32 s0, 0x1ff
	v_and_or_b32 v6, v45, s0, v44
	v_cmp_ne_u32_e32 vcc, 0, v6
	v_lshrrev_b32_e32 v7, 8, v45
	s_movk_i32 s1, 0xffe
	v_cndmask_b32_e64 v6, 0, 1, vcc
	v_bfe_u32 v8, v45, 20, 11
	v_and_or_b32 v6, v7, s1, v6
	v_sub_u32_e32 v9, 0x3f1, v8
	v_or_b32_e32 v7, 0x1000, v6
	v_med3_i32 v9, v9, 0, 13
	v_lshrrev_b32_e32 v10, v9, v7
	v_lshlrev_b32_e32 v9, v9, v10
	v_cmp_ne_u32_e32 vcc, v9, v7
	v_add_u32_e32 v8, 0xfffffc10, v8
	v_lshl_or_b32 v9, v8, 12, v6
	v_cndmask_b32_e64 v7, 0, 1, vcc
	v_or_b32_e32 v7, v10, v7
	v_cmp_gt_i32_e32 vcc, 1, v8
	s_movk_i32 s5, 0x40f
	v_lshrrev_b32_e32 v11, 8, v47
	v_cndmask_b32_e32 v7, v9, v7, vcc
	v_and_b32_e32 v9, 7, v7
	v_cmp_lt_i32_e32 vcc, 5, v9
	v_lshrrev_b32_e32 v7, 2, v7
	v_bfe_u32 v12, v47, 20, 11
	v_cndmask_b32_e64 v10, 0, 1, vcc
	v_cmp_eq_u32_e32 vcc, 3, v9
	v_sub_u32_e32 v13, 0x3f1, v12
	v_med3_i32 v13, v13, 0, 13
	v_cndmask_b32_e64 v9, 0, 1, vcc
	v_or_b32_e32 v9, v9, v10
	v_add_u32_e32 v7, v7, v9
	v_mov_b32_e32 v9, 0x7c00
	v_cmp_gt_i32_e32 vcc, 31, v8
	v_mov_b32_e32 v10, 0x7e00
	v_add_u32_e32 v12, 0xfffffc10, v12
	v_cndmask_b32_e32 v7, v9, v7, vcc
	v_cmp_ne_u32_e32 vcc, 0, v6
	s_mov_b32 s6, 0x8000
	s_nop 0
	v_cndmask_b32_e32 v6, v9, v10, vcc
	v_cmp_eq_u32_e32 vcc, s5, v8
	v_and_or_b32 v8, v47, s0, v46
	s_mov_b32 s0, 0xffff
	v_cndmask_b32_e32 v6, v7, v6, vcc
	v_cmp_ne_u32_e32 vcc, 0, v8
	v_and_b32_sdwa v7, v45, s6 dst_sel:DWORD dst_unused:UNUSED_PAD src0_sel:WORD_1 src1_sel:DWORD
	v_bitop3_b32 v6, v7, s0, v6 bitop3:0xc8
	v_cndmask_b32_e64 v8, 0, 1, vcc
	v_and_or_b32 v8, v11, s1, v8
	v_or_b32_e32 v11, 0x1000, v8
	v_lshrrev_b32_e32 v14, v13, v11
	v_lshlrev_b32_e32 v13, v13, v14
	v_cmp_ne_u32_e32 vcc, v13, v11
	v_lshl_or_b32 v13, v12, 12, v8
	s_nop 0
	v_cndmask_b32_e64 v11, 0, 1, vcc
	v_or_b32_e32 v11, v14, v11
	v_cmp_gt_i32_e32 vcc, 1, v12
	s_nop 1
	v_cndmask_b32_e32 v11, v13, v11, vcc
	v_and_b32_e32 v13, 7, v11
	v_cmp_lt_i32_e32 vcc, 5, v13
	v_lshrrev_b32_e32 v11, 2, v11
	s_nop 0
	v_cndmask_b32_e64 v14, 0, 1, vcc
	v_cmp_eq_u32_e32 vcc, 3, v13
	s_nop 1
	v_cndmask_b32_e64 v13, 0, 1, vcc
	v_or_b32_e32 v13, v13, v14
	v_add_u32_e32 v11, v11, v13
	v_cmp_gt_i32_e32 vcc, 31, v12
	s_nop 1
	v_cndmask_b32_e32 v11, v9, v11, vcc
	v_cmp_ne_u32_e32 vcc, 0, v8
	s_nop 1
	v_cndmask_b32_e32 v8, v9, v10, vcc
	v_cmp_eq_u32_e32 vcc, s5, v12
	v_lshrrev_b32_e32 v9, 16, v47
	s_nop 0
	v_cndmask_b32_e32 v8, v11, v8, vcc
	v_and_or_b32 v8, v9, s6, v8
	v_lshl_or_b32 v6, v8, 16, v6
	global_store_dword v[4:5], v6, off
.LBB133_839:
	s_mov_b64 s[0:1], 0
.LBB133_840:
	s_andn2_b64 vcc, exec, s[0:1]
	s_cbranch_vccnz .LBB133_849
; %bb.841:
	s_cmp_lt_i32 s4, 6
	s_mov_b64 s[0:1], -1
	s_cbranch_scc1 .LBB133_847
; %bb.842:
	s_cmp_gt_i32 s4, 6
	s_cbranch_scc0 .LBB133_844
; %bb.843:
	global_store_dwordx2 v[4:5], v[44:45], off
	s_mov_b64 s[0:1], 0
.LBB133_844:
	s_andn2_b64 vcc, exec, s[0:1]
	s_cbranch_vccnz .LBB133_846
; %bb.845:
	v_cvt_f32_f64_e32 v6, v[44:45]
	global_store_dword v[4:5], v6, off
.LBB133_846:
	s_mov_b64 s[0:1], 0
.LBB133_847:
	s_andn2_b64 vcc, exec, s[0:1]
	s_cbranch_vccnz .LBB133_849
; %bb.848:
	s_movk_i32 s0, 0x1ff
	v_and_or_b32 v6, v45, s0, v44
	v_cmp_ne_u32_e32 vcc, 0, v6
	v_lshrrev_b32_e32 v7, 8, v45
	s_movk_i32 s0, 0xffe
	v_cndmask_b32_e64 v6, 0, 1, vcc
	v_bfe_u32 v8, v45, 20, 11
	v_and_or_b32 v6, v7, s0, v6
	v_sub_u32_e32 v9, 0x3f1, v8
	v_or_b32_e32 v7, 0x1000, v6
	v_med3_i32 v9, v9, 0, 13
	v_lshrrev_b32_e32 v10, v9, v7
	v_lshlrev_b32_e32 v9, v9, v10
	v_cmp_ne_u32_e32 vcc, v9, v7
	v_add_u32_e32 v8, 0xfffffc10, v8
	v_lshl_or_b32 v9, v8, 12, v6
	v_cndmask_b32_e64 v7, 0, 1, vcc
	v_or_b32_e32 v7, v10, v7
	v_cmp_gt_i32_e32 vcc, 1, v8
	s_movk_i32 s0, 0x40f
	s_nop 0
	v_cndmask_b32_e32 v7, v9, v7, vcc
	v_and_b32_e32 v9, 7, v7
	v_cmp_lt_i32_e32 vcc, 5, v9
	v_lshrrev_b32_e32 v7, 2, v7
	s_nop 0
	v_cndmask_b32_e64 v10, 0, 1, vcc
	v_cmp_eq_u32_e32 vcc, 3, v9
	s_nop 1
	v_cndmask_b32_e64 v9, 0, 1, vcc
	v_or_b32_e32 v9, v9, v10
	v_add_u32_e32 v7, v7, v9
	v_mov_b32_e32 v9, 0x7c00
	v_cmp_gt_i32_e32 vcc, 31, v8
	v_mov_b32_e32 v10, 0x7e00
	s_nop 0
	v_cndmask_b32_e32 v7, v9, v7, vcc
	v_cmp_ne_u32_e32 vcc, 0, v6
	s_nop 1
	v_cndmask_b32_e32 v6, v9, v10, vcc
	v_cmp_eq_u32_e32 vcc, s0, v8
	s_mov_b32 s0, 0x8000
	s_nop 0
	v_cndmask_b32_e32 v6, v7, v6, vcc
	v_lshrrev_b32_e32 v7, 16, v45
	v_and_or_b32 v6, v7, s0, v6
	global_store_short v[4:5], v6, off
.LBB133_849:
	s_mov_b64 s[0:1], 0
.LBB133_850:
	s_andn2_b64 vcc, exec, s[0:1]
	s_cbranch_vccnz .LBB133_866
; %bb.851:
	s_cmp_lt_i32 s4, 2
	s_mov_b64 s[0:1], -1
	s_cbranch_scc1 .LBB133_861
; %bb.852:
	s_cmp_lt_i32 s4, 3
	s_cbranch_scc1 .LBB133_858
; %bb.853:
	s_cmp_gt_i32 s4, 3
	s_cbranch_scc0 .LBB133_855
; %bb.854:
	v_trunc_f64_e32 v[6:7], v[44:45]
	s_movk_i32 s0, 0xffe0
	v_ldexp_f64 v[8:9], v[6:7], s0
	v_floor_f64_e32 v[8:9], v[8:9]
	v_fmac_f64_e32 v[6:7], 0xc1f00000, v[8:9]
	v_cvt_i32_f64_e32 v11, v[8:9]
	v_cvt_u32_f64_e32 v10, v[6:7]
	global_store_dwordx2 v[4:5], v[10:11], off
	s_mov_b64 s[0:1], 0
.LBB133_855:
	s_andn2_b64 vcc, exec, s[0:1]
	s_cbranch_vccnz .LBB133_857
; %bb.856:
	v_cvt_i32_f64_e32 v6, v[44:45]
	global_store_dword v[4:5], v6, off
.LBB133_857:
	s_mov_b64 s[0:1], 0
.LBB133_858:
	s_andn2_b64 vcc, exec, s[0:1]
	s_cbranch_vccnz .LBB133_860
; %bb.859:
	v_cvt_i32_f64_e32 v6, v[44:45]
	global_store_short v[4:5], v6, off
.LBB133_860:
	s_mov_b64 s[0:1], 0
.LBB133_861:
	s_andn2_b64 vcc, exec, s[0:1]
	s_cbranch_vccnz .LBB133_866
; %bb.862:
	s_cmp_gt_i32 s4, 0
	s_mov_b64 s[0:1], -1
	s_cbranch_scc0 .LBB133_864
; %bb.863:
	v_cvt_i32_f64_e32 v6, v[44:45]
	global_store_byte v[4:5], v6, off
	s_mov_b64 s[0:1], 0
.LBB133_864:
	s_andn2_b64 vcc, exec, s[0:1]
	s_cbranch_vccnz .LBB133_866
; %bb.865:
	v_trunc_f64_e32 v[6:7], v[44:45]
	s_movk_i32 s0, 0xffe0
	v_ldexp_f64 v[8:9], v[6:7], s0
	v_floor_f64_e32 v[8:9], v[8:9]
	v_fmac_f64_e32 v[6:7], 0xc1f00000, v[8:9]
	v_cvt_u32_f64_e32 v6, v[6:7]
	global_store_byte v[4:5], v6, off
.LBB133_866:
.LBB133_867:
	v_mov_b32_e32 v61, 0
	s_cmp_lt_i32 s12, 11
	v_lshl_add_u64 v[4:5], s[36:37], 0, v[60:61]
	s_cbranch_scc1 .LBB133_1022
; %bb.868:
	s_and_b32 s13, 0xffff, s12
	s_mov_b64 s[8:9], -1
	s_mov_b64 s[4:5], 0
	s_cmp_gt_i32 s13, 25
	s_mov_b64 s[6:7], 0
	s_mov_b64 s[0:1], 0
	s_cbranch_scc0 .LBB133_901
; %bb.869:
	s_cmp_gt_i32 s13, 28
	s_cbranch_scc0 .LBB133_884
; %bb.870:
	s_cmp_gt_i32 s13, 43
	;; [unrolled: 3-line block ×3, first 2 shown]
	s_cbranch_scc0 .LBB133_874
; %bb.872:
	s_mov_b64 s[0:1], -1
	s_mov_b64 s[8:9], 0
	s_cmp_eq_u32 s13, 46
	s_cbranch_scc0 .LBB133_874
; %bb.873:
	v_cvt_f32_f64_e32 v7, v[42:43]
	s_movk_i32 s0, 0x7fff
	v_bfe_u32 v9, v7, 16, 1
	v_cvt_f32_f64_e32 v6, v[40:41]
	v_add3_u32 v9, v7, v9, s0
	v_bfe_u32 v8, v6, 16, 1
	v_and_b32_e32 v9, 0xffff0000, v9
	v_mov_b32_e32 v10, 0x7fc00000
	v_cmp_o_f32_e32 vcc, v7, v7
	v_add3_u32 v8, v6, v8, s0
	s_mov_b64 s[0:1], 0
	v_cndmask_b32_e32 v7, v10, v9, vcc
	v_cmp_o_f32_e32 vcc, v6, v6
	v_mov_b32_e32 v6, 0x7fc0
	s_mov_b64 s[6:7], -1
	v_cndmask_b32_sdwa v6, v6, v8, vcc dst_sel:DWORD dst_unused:UNUSED_PAD src0_sel:DWORD src1_sel:WORD_1
	v_or_b32_e32 v6, v7, v6
	global_store_dword v[4:5], v6, off
.LBB133_874:
	s_and_b64 vcc, exec, s[8:9]
	s_cbranch_vccz .LBB133_879
; %bb.875:
	s_cmp_eq_u32 s13, 44
	s_mov_b64 s[0:1], -1
	s_cbranch_scc0 .LBB133_879
; %bb.876:
	v_cvt_f32_f64_e32 v6, v[40:41]
	v_bfe_u32 v7, v6, 23, 8
	s_movk_i32 s0, 0xff
	v_cmp_ne_u32_e32 vcc, s0, v7
	v_mov_b32_e32 v8, 0xff
	s_and_saveexec_b64 s[6:7], vcc
; %bb.877:
	s_mov_b32 s0, 0x3fffff
	v_lshrrev_b32_e32 v8, 23, v6
	v_and_b32_e32 v9, 0x400000, v6
	v_and_or_b32 v6, v6, s0, v7
	v_cmp_ne_u32_e32 vcc, 0, v9
	v_cmp_ne_u32_e64 s[0:1], 0, v6
	s_and_b64 s[0:1], vcc, s[0:1]
	s_nop 0
	v_cndmask_b32_e64 v6, 0, 1, s[0:1]
	v_add_u32_e32 v8, v8, v6
; %bb.878:
	s_or_b64 exec, exec, s[6:7]
	s_mov_b64 s[0:1], 0
	s_mov_b64 s[6:7], -1
	global_store_byte v[4:5], v8, off
.LBB133_879:
	s_mov_b64 s[8:9], 0
.LBB133_880:
	s_and_b64 vcc, exec, s[8:9]
	s_cbranch_vccz .LBB133_883
; %bb.881:
	s_cmp_eq_u32 s13, 29
	s_mov_b64 s[0:1], -1
	s_cbranch_scc0 .LBB133_883
; %bb.882:
	v_trunc_f64_e32 v[6:7], v[40:41]
	s_movk_i32 s0, 0xffe0
	v_ldexp_f64 v[8:9], v[6:7], s0
	v_floor_f64_e32 v[8:9], v[8:9]
	v_fmac_f64_e32 v[6:7], 0xc1f00000, v[8:9]
	v_cvt_u32_f64_e32 v11, v[8:9]
	v_cvt_u32_f64_e32 v10, v[6:7]
	global_store_dwordx2 v[4:5], v[10:11], off
	s_mov_b64 s[0:1], 0
	s_mov_b64 s[6:7], -1
.LBB133_883:
	s_mov_b64 s[8:9], 0
.LBB133_884:
	s_and_b64 vcc, exec, s[8:9]
	s_cbranch_vccz .LBB133_900
; %bb.885:
	s_cmp_lt_i32 s13, 27
	s_mov_b64 s[6:7], -1
	s_cbranch_scc1 .LBB133_891
; %bb.886:
	s_cmp_gt_i32 s13, 27
	v_cvt_u32_f64_e32 v6, v[40:41]
	s_cbranch_scc0 .LBB133_888
; %bb.887:
	s_mov_b64 s[6:7], 0
	global_store_dword v[4:5], v6, off
.LBB133_888:
	s_andn2_b64 vcc, exec, s[6:7]
	s_cbranch_vccnz .LBB133_890
; %bb.889:
	global_store_short v[4:5], v6, off
.LBB133_890:
	s_mov_b64 s[6:7], 0
.LBB133_891:
	s_andn2_b64 vcc, exec, s[6:7]
	s_cbranch_vccnz .LBB133_899
; %bb.892:
	v_cvt_f32_f64_e32 v6, v[40:41]
	v_and_b32_e32 v7, 0x7fffffff, v6
	s_mov_b32 s6, 0x43800000
	v_cmp_gt_u32_e32 vcc, s6, v7
	v_mov_b32_e32 v8, 0x80
	s_and_saveexec_b64 s[6:7], vcc
	s_cbranch_execz .LBB133_898
; %bb.893:
	s_mov_b32 s8, 0x3bffffff
	v_cmp_lt_u32_e32 vcc, s8, v7
	s_mov_b64 s[8:9], 0
                                        ; implicit-def: $vgpr7
	s_and_saveexec_b64 s[10:11], vcc
	s_xor_b64 s[10:11], exec, s[10:11]
	s_cbranch_execz .LBB133_1117
; %bb.894:
	v_bfe_u32 v7, v6, 20, 1
	s_mov_b32 s14, 0x487ffff
	v_add3_u32 v7, v6, v7, s14
	s_mov_b64 s[8:9], exec
	v_lshrrev_b32_e32 v7, 20, v7
	s_andn2_saveexec_b64 s[10:11], s[10:11]
	s_cbranch_execnz .LBB133_1118
.LBB133_895:
	s_or_b64 exec, exec, s[10:11]
	v_mov_b32_e32 v8, 0
	s_and_saveexec_b64 s[10:11], s[8:9]
.LBB133_896:
	v_lshrrev_b32_e32 v6, 24, v6
	s_movk_i32 s8, 0x80
	v_and_or_b32 v8, v6, s8, v7
.LBB133_897:
	s_or_b64 exec, exec, s[10:11]
.LBB133_898:
	s_or_b64 exec, exec, s[6:7]
	global_store_byte v[4:5], v8, off
.LBB133_899:
	s_mov_b64 s[6:7], -1
.LBB133_900:
	s_mov_b64 s[8:9], 0
.LBB133_901:
	s_and_b64 vcc, exec, s[8:9]
	s_cbranch_vccz .LBB133_941
; %bb.902:
	s_cmp_gt_i32 s13, 22
	s_mov_b64 s[4:5], -1
	s_cbranch_scc0 .LBB133_934
; %bb.903:
	s_cmp_lt_i32 s13, 24
	s_cbranch_scc1 .LBB133_923
; %bb.904:
	s_cmp_gt_i32 s13, 24
	s_cbranch_scc0 .LBB133_912
; %bb.905:
	v_cvt_f32_f64_e32 v6, v[40:41]
	v_and_b32_e32 v7, 0x7fffffff, v6
	s_mov_b32 s4, 0x47800000
	v_cmp_gt_u32_e32 vcc, s4, v7
	v_mov_b32_e32 v8, 0x80
	s_and_saveexec_b64 s[4:5], vcc
	s_cbranch_execz .LBB133_911
; %bb.906:
	s_mov_b32 s6, 0x37ffffff
	v_cmp_lt_u32_e32 vcc, s6, v7
	s_mov_b64 s[6:7], 0
                                        ; implicit-def: $vgpr7
	s_and_saveexec_b64 s[8:9], vcc
	s_xor_b64 s[8:9], exec, s[8:9]
	s_cbranch_execz .LBB133_1120
; %bb.907:
	v_bfe_u32 v7, v6, 21, 1
	s_mov_b32 s10, 0x88fffff
	v_add3_u32 v7, v6, v7, s10
	s_mov_b64 s[6:7], exec
	v_lshrrev_b32_e32 v7, 21, v7
	s_andn2_saveexec_b64 s[8:9], s[8:9]
	s_cbranch_execnz .LBB133_1121
.LBB133_908:
	s_or_b64 exec, exec, s[8:9]
	v_mov_b32_e32 v8, 0
	s_and_saveexec_b64 s[8:9], s[6:7]
.LBB133_909:
	v_lshrrev_b32_e32 v6, 24, v6
	s_movk_i32 s6, 0x80
	v_and_or_b32 v8, v6, s6, v7
.LBB133_910:
	s_or_b64 exec, exec, s[8:9]
.LBB133_911:
	s_or_b64 exec, exec, s[4:5]
	s_mov_b64 s[4:5], 0
	global_store_byte v[4:5], v8, off
.LBB133_912:
	s_and_b64 vcc, exec, s[4:5]
	s_cbranch_vccz .LBB133_922
; %bb.913:
	v_cvt_f32_f64_e32 v6, v[40:41]
	v_and_b32_e32 v8, 0x7fffffff, v6
	s_mov_b32 s4, 0x43f00000
	v_cmp_gt_u32_e32 vcc, s4, v8
                                        ; implicit-def: $vgpr7
	s_and_saveexec_b64 s[4:5], vcc
	s_xor_b64 s[4:5], exec, s[4:5]
	s_cbranch_execz .LBB133_919
; %bb.914:
	s_mov_b32 s6, 0x3c7fffff
	v_cmp_lt_u32_e32 vcc, s6, v8
                                        ; implicit-def: $vgpr7
	s_and_saveexec_b64 s[6:7], vcc
	s_xor_b64 s[6:7], exec, s[6:7]
; %bb.915:
	v_bfe_u32 v7, v6, 20, 1
	s_mov_b32 s8, 0x407ffff
	v_add3_u32 v7, v6, v7, s8
	v_lshrrev_b32_e32 v8, 20, v7
	v_and_b32_e32 v7, 0xff00000, v7
	s_mov_b32 s8, 0x7f00000
	v_mov_b32_e32 v9, 0x7e
	v_cmp_ne_u32_e32 vcc, s8, v7
	s_nop 1
	v_cndmask_b32_e32 v7, v9, v8, vcc
; %bb.916:
	s_andn2_saveexec_b64 s[6:7], s[6:7]
; %bb.917:
	s_mov_b32 s8, 0x46800000
	v_add_f32_e64 v7, |v6|, s8
; %bb.918:
	s_or_b64 exec, exec, s[6:7]
                                        ; implicit-def: $vgpr8
.LBB133_919:
	s_andn2_saveexec_b64 s[4:5], s[4:5]
; %bb.920:
	s_mov_b32 s6, 0x7f800000
	v_mov_b32_e32 v7, 0x7e
	v_mov_b32_e32 v9, 0x7f
	v_cmp_lt_u32_e32 vcc, s6, v8
	s_nop 1
	v_cndmask_b32_e32 v7, v7, v9, vcc
; %bb.921:
	s_or_b64 exec, exec, s[4:5]
	v_lshrrev_b32_e32 v6, 24, v6
	s_movk_i32 s4, 0x80
	v_and_or_b32 v6, v6, s4, v7
	global_store_byte v[4:5], v6, off
.LBB133_922:
	s_mov_b64 s[4:5], 0
.LBB133_923:
	s_andn2_b64 vcc, exec, s[4:5]
	s_cbranch_vccnz .LBB133_933
; %bb.924:
	v_cvt_f32_f64_e32 v6, v[40:41]
	v_and_b32_e32 v8, 0x7fffffff, v6
	s_mov_b32 s4, 0x47800000
	v_cmp_gt_u32_e32 vcc, s4, v8
                                        ; implicit-def: $vgpr7
	s_and_saveexec_b64 s[4:5], vcc
	s_xor_b64 s[4:5], exec, s[4:5]
	s_cbranch_execz .LBB133_930
; %bb.925:
	s_mov_b32 s6, 0x387fffff
	v_cmp_lt_u32_e32 vcc, s6, v8
                                        ; implicit-def: $vgpr7
	s_and_saveexec_b64 s[6:7], vcc
	s_xor_b64 s[6:7], exec, s[6:7]
; %bb.926:
	v_bfe_u32 v7, v6, 21, 1
	s_mov_b32 s8, 0x80fffff
	v_add3_u32 v7, v6, v7, s8
	v_lshrrev_b32_e32 v7, 21, v7
; %bb.927:
	s_andn2_saveexec_b64 s[6:7], s[6:7]
; %bb.928:
	s_mov_b32 s8, 0x43000000
	v_add_f32_e64 v7, |v6|, s8
; %bb.929:
	s_or_b64 exec, exec, s[6:7]
                                        ; implicit-def: $vgpr8
.LBB133_930:
	s_andn2_saveexec_b64 s[4:5], s[4:5]
; %bb.931:
	s_mov_b32 s6, 0x7f800000
	v_mov_b32_e32 v7, 0x7c
	v_mov_b32_e32 v9, 0x7f
	v_cmp_lt_u32_e32 vcc, s6, v8
	s_nop 1
	v_cndmask_b32_e32 v7, v7, v9, vcc
; %bb.932:
	s_or_b64 exec, exec, s[4:5]
	v_lshrrev_b32_e32 v6, 24, v6
	s_movk_i32 s4, 0x80
	v_and_or_b32 v6, v6, s4, v7
	global_store_byte v[4:5], v6, off
.LBB133_933:
	s_mov_b64 s[4:5], 0
	s_mov_b64 s[6:7], -1
.LBB133_934:
	s_andn2_b64 vcc, exec, s[4:5]
	s_mov_b64 s[4:5], 0
	s_cbranch_vccnz .LBB133_941
; %bb.935:
	s_cmp_gt_i32 s13, 14
	s_mov_b64 s[8:9], -1
	s_cbranch_scc0 .LBB133_939
; %bb.936:
	s_cmp_eq_u32 s13, 15
	s_mov_b64 s[0:1], -1
	s_cbranch_scc0 .LBB133_938
; %bb.937:
	v_cvt_f32_f64_e32 v6, v[40:41]
	v_bfe_u32 v7, v6, 16, 1
	s_movk_i32 s0, 0x7fff
	v_add3_u32 v7, v6, v7, s0
	v_cmp_o_f32_e32 vcc, v6, v6
	v_mov_b32_e32 v6, 0x7fc0
	s_mov_b64 s[0:1], 0
	v_cndmask_b32_sdwa v6, v6, v7, vcc dst_sel:DWORD dst_unused:UNUSED_PAD src0_sel:DWORD src1_sel:WORD_1
	global_store_short v[4:5], v6, off
	s_mov_b64 s[6:7], -1
.LBB133_938:
	s_mov_b64 s[8:9], 0
.LBB133_939:
	s_and_b64 vcc, exec, s[8:9]
	s_cbranch_vccz .LBB133_941
; %bb.940:
	s_cmp_lg_u32 s13, 11
	s_mov_b64 s[4:5], -1
	s_cselect_b64 s[0:1], -1, 0
.LBB133_941:
	s_and_b64 vcc, exec, s[0:1]
	s_cbranch_vccnz .LBB133_1119
; %bb.942:
	s_andn2_b64 vcc, exec, s[4:5]
	s_cbranch_vccnz .LBB133_944
.LBB133_943:
	v_cmp_neq_f64_e32 vcc, 0, v[40:41]
	v_cmp_neq_f64_e64 s[0:1], 0, v[42:43]
	s_or_b64 s[0:1], vcc, s[0:1]
	s_mov_b64 s[6:7], -1
	v_cndmask_b32_e64 v6, 0, 1, s[0:1]
	global_store_byte v[4:5], v6, off
.LBB133_944:
.LBB133_945:
	s_andn2_b64 vcc, exec, s[6:7]
	s_cbranch_vccnz .LBB133_1061
.LBB133_946:
	v_mov_b32_e32 v59, 0
	s_cmp_lt_i32 s12, 11
	v_lshl_add_u64 v[4:5], s[36:37], 0, v[58:59]
	s_cbranch_scc1 .LBB133_1106
; %bb.947:
	s_and_b32 s13, 0xffff, s12
	s_mov_b64 s[6:7], -1
	s_mov_b64 s[4:5], 0
	s_cmp_gt_i32 s13, 25
	s_mov_b64 s[0:1], 0
	s_cbranch_scc0 .LBB133_980
; %bb.948:
	s_cmp_gt_i32 s13, 28
	s_cbranch_scc0 .LBB133_964
; %bb.949:
	s_cmp_gt_i32 s13, 43
	;; [unrolled: 3-line block ×3, first 2 shown]
	s_cbranch_scc0 .LBB133_954
; %bb.951:
	s_cmp_eq_u32 s13, 46
	s_mov_b64 s[0:1], -1
	s_cbranch_scc0 .LBB133_953
; %bb.952:
	v_cvt_f32_f64_e32 v7, v[2:3]
	s_movk_i32 s0, 0x7fff
	v_bfe_u32 v9, v7, 16, 1
	v_cvt_f32_f64_e32 v6, v[0:1]
	v_add3_u32 v9, v7, v9, s0
	v_bfe_u32 v8, v6, 16, 1
	v_and_b32_e32 v9, 0xffff0000, v9
	v_mov_b32_e32 v10, 0x7fc00000
	v_cmp_o_f32_e32 vcc, v7, v7
	v_add3_u32 v8, v6, v8, s0
	s_mov_b64 s[0:1], 0
	v_cndmask_b32_e32 v7, v10, v9, vcc
	v_cmp_o_f32_e32 vcc, v6, v6
	v_mov_b32_e32 v6, 0x7fc0
	s_nop 0
	v_cndmask_b32_sdwa v6, v6, v8, vcc dst_sel:DWORD dst_unused:UNUSED_PAD src0_sel:DWORD src1_sel:WORD_1
	v_or_b32_e32 v6, v7, v6
	global_store_dword v[4:5], v6, off
.LBB133_953:
	s_mov_b64 s[6:7], 0
.LBB133_954:
	s_and_b64 vcc, exec, s[6:7]
	s_cbranch_vccz .LBB133_959
; %bb.955:
	s_cmp_eq_u32 s13, 44
	s_mov_b64 s[0:1], -1
	s_cbranch_scc0 .LBB133_959
; %bb.956:
	v_cvt_f32_f64_e32 v6, v[0:1]
	v_bfe_u32 v7, v6, 23, 8
	s_movk_i32 s0, 0xff
	v_cmp_ne_u32_e32 vcc, s0, v7
	v_mov_b32_e32 v8, 0xff
	s_and_saveexec_b64 s[6:7], vcc
; %bb.957:
	s_mov_b32 s0, 0x3fffff
	v_lshrrev_b32_e32 v8, 23, v6
	v_and_b32_e32 v9, 0x400000, v6
	v_and_or_b32 v6, v6, s0, v7
	v_cmp_ne_u32_e32 vcc, 0, v9
	v_cmp_ne_u32_e64 s[0:1], 0, v6
	s_and_b64 s[0:1], vcc, s[0:1]
	s_nop 0
	v_cndmask_b32_e64 v6, 0, 1, s[0:1]
	v_add_u32_e32 v8, v8, v6
; %bb.958:
	s_or_b64 exec, exec, s[6:7]
	s_mov_b64 s[0:1], 0
	global_store_byte v[4:5], v8, off
.LBB133_959:
	s_mov_b64 s[6:7], 0
.LBB133_960:
	s_and_b64 vcc, exec, s[6:7]
	s_cbranch_vccz .LBB133_963
; %bb.961:
	s_cmp_eq_u32 s13, 29
	s_mov_b64 s[0:1], -1
	s_cbranch_scc0 .LBB133_963
; %bb.962:
	v_trunc_f64_e32 v[6:7], v[0:1]
	s_movk_i32 s0, 0xffe0
	v_ldexp_f64 v[8:9], v[6:7], s0
	v_floor_f64_e32 v[8:9], v[8:9]
	v_fmac_f64_e32 v[6:7], 0xc1f00000, v[8:9]
	v_cvt_u32_f64_e32 v11, v[8:9]
	v_cvt_u32_f64_e32 v10, v[6:7]
	global_store_dwordx2 v[4:5], v[10:11], off
	s_mov_b64 s[0:1], 0
.LBB133_963:
	s_mov_b64 s[6:7], 0
.LBB133_964:
	s_and_b64 vcc, exec, s[6:7]
	s_cbranch_vccz .LBB133_979
; %bb.965:
	s_cmp_lt_i32 s13, 27
	s_mov_b64 s[6:7], -1
	s_cbranch_scc1 .LBB133_971
; %bb.966:
	s_cmp_gt_i32 s13, 27
	v_cvt_u32_f64_e32 v6, v[0:1]
	s_cbranch_scc0 .LBB133_968
; %bb.967:
	global_store_dword v[4:5], v6, off
	s_mov_b64 s[6:7], 0
.LBB133_968:
	s_andn2_b64 vcc, exec, s[6:7]
	s_cbranch_vccnz .LBB133_970
; %bb.969:
	global_store_short v[4:5], v6, off
.LBB133_970:
	s_mov_b64 s[6:7], 0
.LBB133_971:
	s_andn2_b64 vcc, exec, s[6:7]
	s_cbranch_vccnz .LBB133_979
; %bb.972:
	v_cvt_f32_f64_e32 v6, v[0:1]
	v_and_b32_e32 v7, 0x7fffffff, v6
	s_mov_b32 s6, 0x43800000
	v_cmp_gt_u32_e32 vcc, s6, v7
	v_mov_b32_e32 v8, 0x80
	s_and_saveexec_b64 s[6:7], vcc
	s_cbranch_execz .LBB133_978
; %bb.973:
	s_mov_b32 s8, 0x3bffffff
	v_cmp_lt_u32_e32 vcc, s8, v7
	s_mov_b64 s[8:9], 0
                                        ; implicit-def: $vgpr7
	s_and_saveexec_b64 s[10:11], vcc
	s_xor_b64 s[10:11], exec, s[10:11]
	s_cbranch_execz .LBB133_1122
; %bb.974:
	v_bfe_u32 v7, v6, 20, 1
	s_mov_b32 s14, 0x487ffff
	v_add3_u32 v7, v6, v7, s14
	s_mov_b64 s[8:9], exec
	v_lshrrev_b32_e32 v7, 20, v7
	s_andn2_saveexec_b64 s[10:11], s[10:11]
	s_cbranch_execnz .LBB133_1123
.LBB133_975:
	s_or_b64 exec, exec, s[10:11]
	v_mov_b32_e32 v8, 0
	s_and_saveexec_b64 s[10:11], s[8:9]
.LBB133_976:
	v_lshrrev_b32_e32 v6, 24, v6
	s_movk_i32 s8, 0x80
	v_and_or_b32 v8, v6, s8, v7
.LBB133_977:
	s_or_b64 exec, exec, s[10:11]
.LBB133_978:
	s_or_b64 exec, exec, s[6:7]
	global_store_byte v[4:5], v8, off
.LBB133_979:
	s_mov_b64 s[6:7], 0
.LBB133_980:
	s_and_b64 vcc, exec, s[6:7]
	s_cbranch_vccz .LBB133_1020
; %bb.981:
	s_cmp_gt_i32 s13, 22
	s_mov_b64 s[4:5], -1
	s_cbranch_scc0 .LBB133_1013
; %bb.982:
	s_cmp_lt_i32 s13, 24
	s_cbranch_scc1 .LBB133_1002
; %bb.983:
	s_cmp_gt_i32 s13, 24
	s_cbranch_scc0 .LBB133_991
; %bb.984:
	v_cvt_f32_f64_e32 v6, v[0:1]
	v_and_b32_e32 v7, 0x7fffffff, v6
	s_mov_b32 s4, 0x47800000
	v_cmp_gt_u32_e32 vcc, s4, v7
	v_mov_b32_e32 v8, 0x80
	s_and_saveexec_b64 s[4:5], vcc
	s_cbranch_execz .LBB133_990
; %bb.985:
	s_mov_b32 s6, 0x37ffffff
	v_cmp_lt_u32_e32 vcc, s6, v7
	s_mov_b64 s[6:7], 0
                                        ; implicit-def: $vgpr7
	s_and_saveexec_b64 s[8:9], vcc
	s_xor_b64 s[8:9], exec, s[8:9]
	s_cbranch_execz .LBB133_1127
; %bb.986:
	v_bfe_u32 v7, v6, 21, 1
	s_mov_b32 s10, 0x88fffff
	v_add3_u32 v7, v6, v7, s10
	s_mov_b64 s[6:7], exec
	v_lshrrev_b32_e32 v7, 21, v7
	s_andn2_saveexec_b64 s[8:9], s[8:9]
	s_cbranch_execnz .LBB133_1128
.LBB133_987:
	s_or_b64 exec, exec, s[8:9]
	v_mov_b32_e32 v8, 0
	s_and_saveexec_b64 s[8:9], s[6:7]
.LBB133_988:
	v_lshrrev_b32_e32 v6, 24, v6
	s_movk_i32 s6, 0x80
	v_and_or_b32 v8, v6, s6, v7
.LBB133_989:
	s_or_b64 exec, exec, s[8:9]
.LBB133_990:
	s_or_b64 exec, exec, s[4:5]
	s_mov_b64 s[4:5], 0
	global_store_byte v[4:5], v8, off
.LBB133_991:
	s_and_b64 vcc, exec, s[4:5]
	s_cbranch_vccz .LBB133_1001
; %bb.992:
	v_cvt_f32_f64_e32 v6, v[0:1]
	v_and_b32_e32 v8, 0x7fffffff, v6
	s_mov_b32 s4, 0x43f00000
	v_cmp_gt_u32_e32 vcc, s4, v8
                                        ; implicit-def: $vgpr7
	s_and_saveexec_b64 s[4:5], vcc
	s_xor_b64 s[4:5], exec, s[4:5]
	s_cbranch_execz .LBB133_998
; %bb.993:
	s_mov_b32 s6, 0x3c7fffff
	v_cmp_lt_u32_e32 vcc, s6, v8
                                        ; implicit-def: $vgpr7
	s_and_saveexec_b64 s[6:7], vcc
	s_xor_b64 s[6:7], exec, s[6:7]
; %bb.994:
	v_bfe_u32 v7, v6, 20, 1
	s_mov_b32 s8, 0x407ffff
	v_add3_u32 v7, v6, v7, s8
	v_lshrrev_b32_e32 v8, 20, v7
	v_and_b32_e32 v7, 0xff00000, v7
	s_mov_b32 s8, 0x7f00000
	v_mov_b32_e32 v9, 0x7e
	v_cmp_ne_u32_e32 vcc, s8, v7
	s_nop 1
	v_cndmask_b32_e32 v7, v9, v8, vcc
; %bb.995:
	s_andn2_saveexec_b64 s[6:7], s[6:7]
; %bb.996:
	s_mov_b32 s8, 0x46800000
	v_add_f32_e64 v7, |v6|, s8
; %bb.997:
	s_or_b64 exec, exec, s[6:7]
                                        ; implicit-def: $vgpr8
.LBB133_998:
	s_andn2_saveexec_b64 s[4:5], s[4:5]
; %bb.999:
	s_mov_b32 s6, 0x7f800000
	v_mov_b32_e32 v7, 0x7e
	v_mov_b32_e32 v9, 0x7f
	v_cmp_lt_u32_e32 vcc, s6, v8
	s_nop 1
	v_cndmask_b32_e32 v7, v7, v9, vcc
; %bb.1000:
	s_or_b64 exec, exec, s[4:5]
	v_lshrrev_b32_e32 v6, 24, v6
	s_movk_i32 s4, 0x80
	v_and_or_b32 v6, v6, s4, v7
	global_store_byte v[4:5], v6, off
.LBB133_1001:
	s_mov_b64 s[4:5], 0
.LBB133_1002:
	s_andn2_b64 vcc, exec, s[4:5]
	s_cbranch_vccnz .LBB133_1012
; %bb.1003:
	v_cvt_f32_f64_e32 v6, v[0:1]
	v_and_b32_e32 v8, 0x7fffffff, v6
	s_mov_b32 s4, 0x47800000
	v_cmp_gt_u32_e32 vcc, s4, v8
                                        ; implicit-def: $vgpr7
	s_and_saveexec_b64 s[4:5], vcc
	s_xor_b64 s[4:5], exec, s[4:5]
	s_cbranch_execz .LBB133_1009
; %bb.1004:
	s_mov_b32 s6, 0x387fffff
	v_cmp_lt_u32_e32 vcc, s6, v8
                                        ; implicit-def: $vgpr7
	s_and_saveexec_b64 s[6:7], vcc
	s_xor_b64 s[6:7], exec, s[6:7]
; %bb.1005:
	v_bfe_u32 v7, v6, 21, 1
	s_mov_b32 s8, 0x80fffff
	v_add3_u32 v7, v6, v7, s8
	v_lshrrev_b32_e32 v7, 21, v7
; %bb.1006:
	s_andn2_saveexec_b64 s[6:7], s[6:7]
; %bb.1007:
	s_mov_b32 s8, 0x43000000
	v_add_f32_e64 v7, |v6|, s8
; %bb.1008:
	s_or_b64 exec, exec, s[6:7]
                                        ; implicit-def: $vgpr8
.LBB133_1009:
	s_andn2_saveexec_b64 s[4:5], s[4:5]
; %bb.1010:
	s_mov_b32 s6, 0x7f800000
	v_mov_b32_e32 v7, 0x7c
	v_mov_b32_e32 v9, 0x7f
	v_cmp_lt_u32_e32 vcc, s6, v8
	s_nop 1
	v_cndmask_b32_e32 v7, v7, v9, vcc
; %bb.1011:
	s_or_b64 exec, exec, s[4:5]
	v_lshrrev_b32_e32 v6, 24, v6
	s_movk_i32 s4, 0x80
	v_and_or_b32 v6, v6, s4, v7
	global_store_byte v[4:5], v6, off
.LBB133_1012:
	s_mov_b64 s[4:5], 0
.LBB133_1013:
	s_andn2_b64 vcc, exec, s[4:5]
	s_mov_b64 s[4:5], 0
	s_cbranch_vccnz .LBB133_1020
; %bb.1014:
	s_cmp_gt_i32 s13, 14
	s_mov_b64 s[6:7], -1
	s_cbranch_scc0 .LBB133_1018
; %bb.1015:
	s_cmp_eq_u32 s13, 15
	s_mov_b64 s[0:1], -1
	s_cbranch_scc0 .LBB133_1017
; %bb.1016:
	v_cvt_f32_f64_e32 v6, v[0:1]
	v_bfe_u32 v7, v6, 16, 1
	s_movk_i32 s0, 0x7fff
	v_add3_u32 v7, v6, v7, s0
	v_cmp_o_f32_e32 vcc, v6, v6
	v_mov_b32_e32 v6, 0x7fc0
	s_mov_b64 s[0:1], 0
	v_cndmask_b32_sdwa v6, v6, v7, vcc dst_sel:DWORD dst_unused:UNUSED_PAD src0_sel:DWORD src1_sel:WORD_1
	global_store_short v[4:5], v6, off
.LBB133_1017:
	s_mov_b64 s[6:7], 0
.LBB133_1018:
	s_and_b64 vcc, exec, s[6:7]
	s_cbranch_vccz .LBB133_1020
; %bb.1019:
	s_cmp_lg_u32 s13, 11
	s_mov_b64 s[4:5], -1
	s_cselect_b64 s[0:1], -1, 0
.LBB133_1020:
	s_and_b64 vcc, exec, s[0:1]
	s_cbranch_vccnz .LBB133_1124
.LBB133_1021:
	s_mov_b64 s[0:1], 0
	s_branch .LBB133_1062
.LBB133_1022:
	s_mov_b64 s[6:7], 0
	s_cbranch_execz .LBB133_945
; %bb.1023:
	s_and_b32 s4, 0xffff, s12
	s_cmp_lt_i32 s4, 5
	s_mov_b64 s[0:1], -1
	s_cbranch_scc1 .LBB133_1044
; %bb.1024:
	s_cmp_lt_i32 s4, 8
	s_cbranch_scc1 .LBB133_1034
; %bb.1025:
	s_cmp_lt_i32 s4, 9
	s_cbranch_scc1 .LBB133_1031
; %bb.1026:
	s_cmp_gt_i32 s4, 9
	s_cbranch_scc0 .LBB133_1028
; %bb.1027:
	global_store_dwordx4 v[4:5], v[40:43], off
	s_mov_b64 s[0:1], 0
.LBB133_1028:
	s_andn2_b64 vcc, exec, s[0:1]
	s_cbranch_vccnz .LBB133_1030
; %bb.1029:
	v_cvt_f32_f64_e32 v7, v[42:43]
	v_cvt_f32_f64_e32 v6, v[40:41]
	global_store_dwordx2 v[4:5], v[6:7], off
.LBB133_1030:
	s_mov_b64 s[0:1], 0
.LBB133_1031:
	s_andn2_b64 vcc, exec, s[0:1]
	s_cbranch_vccnz .LBB133_1033
; %bb.1032:
	s_movk_i32 s0, 0x1ff
	v_and_or_b32 v6, v41, s0, v40
	v_cmp_ne_u32_e32 vcc, 0, v6
	v_lshrrev_b32_e32 v7, 8, v41
	s_movk_i32 s1, 0xffe
	v_cndmask_b32_e64 v6, 0, 1, vcc
	v_bfe_u32 v8, v41, 20, 11
	v_and_or_b32 v6, v7, s1, v6
	v_sub_u32_e32 v9, 0x3f1, v8
	v_or_b32_e32 v7, 0x1000, v6
	v_med3_i32 v9, v9, 0, 13
	v_lshrrev_b32_e32 v10, v9, v7
	v_lshlrev_b32_e32 v9, v9, v10
	v_cmp_ne_u32_e32 vcc, v9, v7
	v_add_u32_e32 v8, 0xfffffc10, v8
	v_lshl_or_b32 v9, v8, 12, v6
	v_cndmask_b32_e64 v7, 0, 1, vcc
	v_or_b32_e32 v7, v10, v7
	v_cmp_gt_i32_e32 vcc, 1, v8
	s_movk_i32 s5, 0x40f
	v_lshrrev_b32_e32 v11, 8, v43
	v_cndmask_b32_e32 v7, v9, v7, vcc
	v_and_b32_e32 v9, 7, v7
	v_cmp_lt_i32_e32 vcc, 5, v9
	v_lshrrev_b32_e32 v7, 2, v7
	v_bfe_u32 v12, v43, 20, 11
	v_cndmask_b32_e64 v10, 0, 1, vcc
	v_cmp_eq_u32_e32 vcc, 3, v9
	v_sub_u32_e32 v13, 0x3f1, v12
	v_med3_i32 v13, v13, 0, 13
	v_cndmask_b32_e64 v9, 0, 1, vcc
	v_or_b32_e32 v9, v9, v10
	v_add_u32_e32 v7, v7, v9
	v_mov_b32_e32 v9, 0x7c00
	v_cmp_gt_i32_e32 vcc, 31, v8
	v_mov_b32_e32 v10, 0x7e00
	v_add_u32_e32 v12, 0xfffffc10, v12
	v_cndmask_b32_e32 v7, v9, v7, vcc
	v_cmp_ne_u32_e32 vcc, 0, v6
	s_mov_b32 s6, 0x8000
	s_nop 0
	v_cndmask_b32_e32 v6, v9, v10, vcc
	v_cmp_eq_u32_e32 vcc, s5, v8
	v_and_or_b32 v8, v43, s0, v42
	s_mov_b32 s0, 0xffff
	v_cndmask_b32_e32 v6, v7, v6, vcc
	v_cmp_ne_u32_e32 vcc, 0, v8
	v_and_b32_sdwa v7, v41, s6 dst_sel:DWORD dst_unused:UNUSED_PAD src0_sel:WORD_1 src1_sel:DWORD
	v_bitop3_b32 v6, v7, s0, v6 bitop3:0xc8
	v_cndmask_b32_e64 v8, 0, 1, vcc
	v_and_or_b32 v8, v11, s1, v8
	v_or_b32_e32 v11, 0x1000, v8
	v_lshrrev_b32_e32 v14, v13, v11
	v_lshlrev_b32_e32 v13, v13, v14
	v_cmp_ne_u32_e32 vcc, v13, v11
	v_lshl_or_b32 v13, v12, 12, v8
	s_nop 0
	v_cndmask_b32_e64 v11, 0, 1, vcc
	v_or_b32_e32 v11, v14, v11
	v_cmp_gt_i32_e32 vcc, 1, v12
	s_nop 1
	v_cndmask_b32_e32 v11, v13, v11, vcc
	v_and_b32_e32 v13, 7, v11
	v_cmp_lt_i32_e32 vcc, 5, v13
	v_lshrrev_b32_e32 v11, 2, v11
	s_nop 0
	v_cndmask_b32_e64 v14, 0, 1, vcc
	v_cmp_eq_u32_e32 vcc, 3, v13
	s_nop 1
	v_cndmask_b32_e64 v13, 0, 1, vcc
	v_or_b32_e32 v13, v13, v14
	v_add_u32_e32 v11, v11, v13
	v_cmp_gt_i32_e32 vcc, 31, v12
	s_nop 1
	v_cndmask_b32_e32 v11, v9, v11, vcc
	v_cmp_ne_u32_e32 vcc, 0, v8
	s_nop 1
	v_cndmask_b32_e32 v8, v9, v10, vcc
	v_cmp_eq_u32_e32 vcc, s5, v12
	v_lshrrev_b32_e32 v9, 16, v43
	s_nop 0
	v_cndmask_b32_e32 v8, v11, v8, vcc
	v_and_or_b32 v8, v9, s6, v8
	v_lshl_or_b32 v6, v8, 16, v6
	global_store_dword v[4:5], v6, off
.LBB133_1033:
	s_mov_b64 s[0:1], 0
.LBB133_1034:
	s_andn2_b64 vcc, exec, s[0:1]
	s_cbranch_vccnz .LBB133_1043
; %bb.1035:
	s_cmp_lt_i32 s4, 6
	s_mov_b64 s[0:1], -1
	s_cbranch_scc1 .LBB133_1041
; %bb.1036:
	s_cmp_gt_i32 s4, 6
	s_cbranch_scc0 .LBB133_1038
; %bb.1037:
	global_store_dwordx2 v[4:5], v[40:41], off
	s_mov_b64 s[0:1], 0
.LBB133_1038:
	s_andn2_b64 vcc, exec, s[0:1]
	s_cbranch_vccnz .LBB133_1040
; %bb.1039:
	v_cvt_f32_f64_e32 v6, v[40:41]
	global_store_dword v[4:5], v6, off
.LBB133_1040:
	s_mov_b64 s[0:1], 0
.LBB133_1041:
	s_andn2_b64 vcc, exec, s[0:1]
	s_cbranch_vccnz .LBB133_1043
; %bb.1042:
	s_movk_i32 s0, 0x1ff
	v_and_or_b32 v6, v41, s0, v40
	v_cmp_ne_u32_e32 vcc, 0, v6
	v_lshrrev_b32_e32 v7, 8, v41
	s_movk_i32 s0, 0xffe
	v_cndmask_b32_e64 v6, 0, 1, vcc
	v_bfe_u32 v8, v41, 20, 11
	v_and_or_b32 v6, v7, s0, v6
	v_sub_u32_e32 v9, 0x3f1, v8
	v_or_b32_e32 v7, 0x1000, v6
	v_med3_i32 v9, v9, 0, 13
	v_lshrrev_b32_e32 v10, v9, v7
	v_lshlrev_b32_e32 v9, v9, v10
	v_cmp_ne_u32_e32 vcc, v9, v7
	v_add_u32_e32 v8, 0xfffffc10, v8
	v_lshl_or_b32 v9, v8, 12, v6
	v_cndmask_b32_e64 v7, 0, 1, vcc
	v_or_b32_e32 v7, v10, v7
	v_cmp_gt_i32_e32 vcc, 1, v8
	s_movk_i32 s0, 0x40f
	s_nop 0
	v_cndmask_b32_e32 v7, v9, v7, vcc
	v_and_b32_e32 v9, 7, v7
	v_cmp_lt_i32_e32 vcc, 5, v9
	v_lshrrev_b32_e32 v7, 2, v7
	s_nop 0
	v_cndmask_b32_e64 v10, 0, 1, vcc
	v_cmp_eq_u32_e32 vcc, 3, v9
	s_nop 1
	v_cndmask_b32_e64 v9, 0, 1, vcc
	v_or_b32_e32 v9, v9, v10
	v_add_u32_e32 v7, v7, v9
	v_mov_b32_e32 v9, 0x7c00
	v_cmp_gt_i32_e32 vcc, 31, v8
	v_mov_b32_e32 v10, 0x7e00
	s_nop 0
	v_cndmask_b32_e32 v7, v9, v7, vcc
	v_cmp_ne_u32_e32 vcc, 0, v6
	s_nop 1
	v_cndmask_b32_e32 v6, v9, v10, vcc
	v_cmp_eq_u32_e32 vcc, s0, v8
	s_mov_b32 s0, 0x8000
	s_nop 0
	v_cndmask_b32_e32 v6, v7, v6, vcc
	v_lshrrev_b32_e32 v7, 16, v41
	v_and_or_b32 v6, v7, s0, v6
	global_store_short v[4:5], v6, off
.LBB133_1043:
	s_mov_b64 s[0:1], 0
.LBB133_1044:
	s_andn2_b64 vcc, exec, s[0:1]
	s_cbranch_vccnz .LBB133_1060
; %bb.1045:
	s_cmp_lt_i32 s4, 2
	s_mov_b64 s[0:1], -1
	s_cbranch_scc1 .LBB133_1055
; %bb.1046:
	s_cmp_lt_i32 s4, 3
	s_cbranch_scc1 .LBB133_1052
; %bb.1047:
	s_cmp_gt_i32 s4, 3
	s_cbranch_scc0 .LBB133_1049
; %bb.1048:
	v_trunc_f64_e32 v[6:7], v[40:41]
	s_movk_i32 s0, 0xffe0
	v_ldexp_f64 v[8:9], v[6:7], s0
	v_floor_f64_e32 v[8:9], v[8:9]
	v_fmac_f64_e32 v[6:7], 0xc1f00000, v[8:9]
	v_cvt_i32_f64_e32 v11, v[8:9]
	v_cvt_u32_f64_e32 v10, v[6:7]
	global_store_dwordx2 v[4:5], v[10:11], off
	s_mov_b64 s[0:1], 0
.LBB133_1049:
	s_andn2_b64 vcc, exec, s[0:1]
	s_cbranch_vccnz .LBB133_1051
; %bb.1050:
	v_cvt_i32_f64_e32 v6, v[40:41]
	global_store_dword v[4:5], v6, off
.LBB133_1051:
	s_mov_b64 s[0:1], 0
.LBB133_1052:
	s_andn2_b64 vcc, exec, s[0:1]
	s_cbranch_vccnz .LBB133_1054
; %bb.1053:
	v_cvt_i32_f64_e32 v6, v[40:41]
	global_store_short v[4:5], v6, off
.LBB133_1054:
	s_mov_b64 s[0:1], 0
.LBB133_1055:
	s_andn2_b64 vcc, exec, s[0:1]
	s_cbranch_vccnz .LBB133_1060
; %bb.1056:
	s_cmp_gt_i32 s4, 0
	s_mov_b64 s[0:1], -1
	s_cbranch_scc0 .LBB133_1058
; %bb.1057:
	v_cvt_i32_f64_e32 v6, v[40:41]
	global_store_byte v[4:5], v6, off
	s_mov_b64 s[0:1], 0
.LBB133_1058:
	s_andn2_b64 vcc, exec, s[0:1]
	s_cbranch_vccnz .LBB133_1060
; %bb.1059:
	v_trunc_f64_e32 v[6:7], v[40:41]
	s_movk_i32 s0, 0xffe0
	v_ldexp_f64 v[8:9], v[6:7], s0
	v_floor_f64_e32 v[8:9], v[8:9]
	v_fmac_f64_e32 v[6:7], 0xc1f00000, v[8:9]
	v_cvt_u32_f64_e32 v6, v[6:7]
	global_store_byte v[4:5], v6, off
.LBB133_1060:
	s_branch .LBB133_946
.LBB133_1061:
	s_mov_b64 s[0:1], 0
	s_mov_b64 s[4:5], 0
                                        ; implicit-def: $sgpr12
                                        ; implicit-def: $vgpr2_vgpr3
                                        ; implicit-def: $vgpr4_vgpr5
.LBB133_1062:
	s_and_b64 s[6:7], s[0:1], exec
	s_andn2_b64 s[0:1], s[40:41], exec
	s_and_b64 s[2:3], s[2:3], exec
	s_and_b64 s[34:35], s[4:5], exec
	s_or_b64 s[40:41], s[0:1], s[2:3]
.LBB133_1063:
	s_or_b64 exec, exec, s[42:43]
	s_and_saveexec_b64 s[0:1], s[40:41]
	s_cbranch_execz .LBB133_1066
; %bb.1064:
	; divergent unreachable
	s_or_b64 exec, exec, s[0:1]
	s_and_saveexec_b64 s[0:1], s[34:35]
	s_xor_b64 s[2:3], exec, s[0:1]
	s_cbranch_execnz .LBB133_1067
.LBB133_1065:
	s_or_b64 exec, exec, s[2:3]
	s_and_saveexec_b64 s[0:1], s[6:7]
	s_cbranch_execnz .LBB133_1068
	s_branch .LBB133_1105
.LBB133_1066:
	s_or_b64 exec, exec, s[0:1]
	s_and_saveexec_b64 s[0:1], s[34:35]
	s_xor_b64 s[2:3], exec, s[0:1]
	s_cbranch_execz .LBB133_1065
.LBB133_1067:
	v_cmp_neq_f64_e32 vcc, 0, v[0:1]
	v_cmp_neq_f64_e64 s[0:1], 0, v[2:3]
	s_or_b64 s[0:1], vcc, s[0:1]
	s_nop 0
	v_cndmask_b32_e64 v6, 0, 1, s[0:1]
	global_store_byte v[4:5], v6, off
	s_or_b64 exec, exec, s[2:3]
	s_and_saveexec_b64 s[0:1], s[6:7]
	s_cbranch_execz .LBB133_1105
.LBB133_1068:
	s_sext_i32_i16 s2, s12
	s_cmp_lt_i32 s2, 5
	s_mov_b64 s[0:1], -1
	s_cbranch_scc1 .LBB133_1089
; %bb.1069:
	s_cmp_lt_i32 s2, 8
	s_cbranch_scc1 .LBB133_1079
; %bb.1070:
	s_cmp_lt_i32 s2, 9
	s_cbranch_scc1 .LBB133_1076
; %bb.1071:
	s_cmp_gt_i32 s2, 9
	s_cbranch_scc0 .LBB133_1073
; %bb.1072:
	global_store_dwordx4 v[4:5], v[0:3], off
	s_mov_b64 s[0:1], 0
.LBB133_1073:
	s_andn2_b64 vcc, exec, s[0:1]
	s_cbranch_vccnz .LBB133_1075
; %bb.1074:
	v_cvt_f32_f64_e32 v7, v[2:3]
	v_cvt_f32_f64_e32 v6, v[0:1]
	global_store_dwordx2 v[4:5], v[6:7], off
.LBB133_1075:
	s_mov_b64 s[0:1], 0
.LBB133_1076:
	s_andn2_b64 vcc, exec, s[0:1]
	s_cbranch_vccnz .LBB133_1078
; %bb.1077:
	s_movk_i32 s0, 0x1ff
	v_and_or_b32 v6, v1, s0, v0
	v_cmp_ne_u32_e32 vcc, 0, v6
	v_lshrrev_b32_e32 v7, 8, v1
	s_movk_i32 s1, 0xffe
	v_cndmask_b32_e64 v6, 0, 1, vcc
	v_bfe_u32 v8, v1, 20, 11
	v_and_or_b32 v6, v7, s1, v6
	v_sub_u32_e32 v9, 0x3f1, v8
	v_or_b32_e32 v7, 0x1000, v6
	v_med3_i32 v9, v9, 0, 13
	v_lshrrev_b32_e32 v10, v9, v7
	v_lshlrev_b32_e32 v9, v9, v10
	v_cmp_ne_u32_e32 vcc, v9, v7
	v_add_u32_e32 v8, 0xfffffc10, v8
	v_lshl_or_b32 v9, v8, 12, v6
	v_cndmask_b32_e64 v7, 0, 1, vcc
	v_or_b32_e32 v7, v10, v7
	v_cmp_gt_i32_e32 vcc, 1, v8
	s_movk_i32 s2, 0x40f
	v_and_or_b32 v2, v3, s0, v2
	v_cndmask_b32_e32 v7, v9, v7, vcc
	v_and_b32_e32 v9, 7, v7
	v_cmp_lt_i32_e32 vcc, 5, v9
	v_lshrrev_b32_e32 v7, 2, v7
	v_bfe_u32 v11, v3, 20, 11
	v_cndmask_b32_e64 v10, 0, 1, vcc
	v_cmp_eq_u32_e32 vcc, 3, v9
	v_sub_u32_e32 v12, 0x3f1, v11
	v_med3_i32 v12, v12, 0, 13
	v_cndmask_b32_e64 v9, 0, 1, vcc
	v_or_b32_e32 v9, v9, v10
	v_add_u32_e32 v7, v7, v9
	v_mov_b32_e32 v9, 0x7c00
	v_cmp_gt_i32_e32 vcc, 31, v8
	v_mov_b32_e32 v10, 0x7e00
	v_add_u32_e32 v11, 0xfffffc10, v11
	v_cndmask_b32_e32 v7, v9, v7, vcc
	v_cmp_ne_u32_e32 vcc, 0, v6
	s_mov_b32 s3, 0x8000
	s_mov_b32 s0, 0xffff
	v_cndmask_b32_e32 v6, v9, v10, vcc
	v_cmp_eq_u32_e32 vcc, s2, v8
	v_lshrrev_b32_e32 v8, 8, v3
	v_lshrrev_b32_e32 v3, 16, v3
	v_cndmask_b32_e32 v6, v7, v6, vcc
	v_cmp_ne_u32_e32 vcc, 0, v2
	v_and_b32_sdwa v7, v1, s3 dst_sel:DWORD dst_unused:UNUSED_PAD src0_sel:WORD_1 src1_sel:DWORD
	s_nop 0
	v_cndmask_b32_e64 v2, 0, 1, vcc
	v_and_or_b32 v2, v8, s1, v2
	v_or_b32_e32 v8, 0x1000, v2
	v_lshrrev_b32_e32 v13, v12, v8
	v_lshlrev_b32_e32 v12, v12, v13
	v_cmp_ne_u32_e32 vcc, v12, v8
	v_lshl_or_b32 v12, v11, 12, v2
	s_nop 0
	v_cndmask_b32_e64 v8, 0, 1, vcc
	v_or_b32_e32 v8, v13, v8
	v_cmp_gt_i32_e32 vcc, 1, v11
	s_nop 1
	v_cndmask_b32_e32 v8, v12, v8, vcc
	v_and_b32_e32 v12, 7, v8
	v_cmp_lt_i32_e32 vcc, 5, v12
	v_lshrrev_b32_e32 v8, 2, v8
	s_nop 0
	v_cndmask_b32_e64 v13, 0, 1, vcc
	v_cmp_eq_u32_e32 vcc, 3, v12
	s_nop 1
	v_cndmask_b32_e64 v12, 0, 1, vcc
	v_or_b32_e32 v12, v12, v13
	v_add_u32_e32 v8, v8, v12
	v_cmp_gt_i32_e32 vcc, 31, v11
	s_nop 1
	v_cndmask_b32_e32 v8, v9, v8, vcc
	v_cmp_ne_u32_e32 vcc, 0, v2
	s_nop 1
	v_cndmask_b32_e32 v2, v9, v10, vcc
	v_cmp_eq_u32_e32 vcc, s2, v11
	s_nop 1
	v_cndmask_b32_e32 v2, v8, v2, vcc
	v_and_or_b32 v2, v3, s3, v2
	v_bitop3_b32 v3, v7, s0, v6 bitop3:0xc8
	v_lshl_or_b32 v2, v2, 16, v3
	global_store_dword v[4:5], v2, off
.LBB133_1078:
	s_mov_b64 s[0:1], 0
.LBB133_1079:
	s_andn2_b64 vcc, exec, s[0:1]
	s_cbranch_vccnz .LBB133_1088
; %bb.1080:
	s_sext_i32_i16 s2, s12
	s_cmp_lt_i32 s2, 6
	s_mov_b64 s[0:1], -1
	s_cbranch_scc1 .LBB133_1086
; %bb.1081:
	s_cmp_gt_i32 s2, 6
	s_cbranch_scc0 .LBB133_1083
; %bb.1082:
	global_store_dwordx2 v[4:5], v[0:1], off
	s_mov_b64 s[0:1], 0
.LBB133_1083:
	s_andn2_b64 vcc, exec, s[0:1]
	s_cbranch_vccnz .LBB133_1085
; %bb.1084:
	v_cvt_f32_f64_e32 v2, v[0:1]
	global_store_dword v[4:5], v2, off
.LBB133_1085:
	s_mov_b64 s[0:1], 0
.LBB133_1086:
	s_andn2_b64 vcc, exec, s[0:1]
	s_cbranch_vccnz .LBB133_1088
; %bb.1087:
	s_movk_i32 s0, 0x1ff
	v_and_or_b32 v2, v1, s0, v0
	v_cmp_ne_u32_e32 vcc, 0, v2
	v_lshrrev_b32_e32 v3, 8, v1
	s_movk_i32 s0, 0xffe
	v_cndmask_b32_e64 v2, 0, 1, vcc
	v_bfe_u32 v6, v1, 20, 11
	v_and_or_b32 v2, v3, s0, v2
	v_sub_u32_e32 v7, 0x3f1, v6
	v_or_b32_e32 v3, 0x1000, v2
	v_med3_i32 v7, v7, 0, 13
	v_lshrrev_b32_e32 v8, v7, v3
	v_lshlrev_b32_e32 v7, v7, v8
	v_cmp_ne_u32_e32 vcc, v7, v3
	v_add_u32_e32 v6, 0xfffffc10, v6
	v_lshl_or_b32 v7, v6, 12, v2
	v_cndmask_b32_e64 v3, 0, 1, vcc
	v_or_b32_e32 v3, v8, v3
	v_cmp_gt_i32_e32 vcc, 1, v6
	s_movk_i32 s0, 0x40f
	s_nop 0
	v_cndmask_b32_e32 v3, v7, v3, vcc
	v_and_b32_e32 v7, 7, v3
	v_cmp_lt_i32_e32 vcc, 5, v7
	v_lshrrev_b32_e32 v3, 2, v3
	s_nop 0
	v_cndmask_b32_e64 v8, 0, 1, vcc
	v_cmp_eq_u32_e32 vcc, 3, v7
	s_nop 1
	v_cndmask_b32_e64 v7, 0, 1, vcc
	v_or_b32_e32 v7, v7, v8
	v_add_u32_e32 v3, v3, v7
	v_mov_b32_e32 v7, 0x7c00
	v_cmp_gt_i32_e32 vcc, 31, v6
	v_mov_b32_e32 v8, 0x7e00
	s_nop 0
	v_cndmask_b32_e32 v3, v7, v3, vcc
	v_cmp_ne_u32_e32 vcc, 0, v2
	s_nop 1
	v_cndmask_b32_e32 v2, v7, v8, vcc
	v_cmp_eq_u32_e32 vcc, s0, v6
	s_mov_b32 s0, 0x8000
	s_nop 0
	v_cndmask_b32_e32 v2, v3, v2, vcc
	v_lshrrev_b32_e32 v3, 16, v1
	v_and_or_b32 v2, v3, s0, v2
	global_store_short v[4:5], v2, off
.LBB133_1088:
	s_mov_b64 s[0:1], 0
.LBB133_1089:
	s_andn2_b64 vcc, exec, s[0:1]
	s_cbranch_vccnz .LBB133_1105
; %bb.1090:
	s_sext_i32_i16 s2, s12
	s_cmp_lt_i32 s2, 2
	s_mov_b64 s[0:1], -1
	s_cbranch_scc1 .LBB133_1100
; %bb.1091:
	s_cmp_lt_i32 s2, 3
	s_cbranch_scc1 .LBB133_1097
; %bb.1092:
	s_cmp_gt_i32 s2, 3
	s_cbranch_scc0 .LBB133_1094
; %bb.1093:
	v_trunc_f64_e32 v[2:3], v[0:1]
	s_movk_i32 s0, 0xffe0
	v_ldexp_f64 v[6:7], v[2:3], s0
	v_floor_f64_e32 v[6:7], v[6:7]
	v_fmac_f64_e32 v[2:3], 0xc1f00000, v[6:7]
	v_cvt_i32_f64_e32 v9, v[6:7]
	v_cvt_u32_f64_e32 v8, v[2:3]
	global_store_dwordx2 v[4:5], v[8:9], off
	s_mov_b64 s[0:1], 0
.LBB133_1094:
	s_andn2_b64 vcc, exec, s[0:1]
	s_cbranch_vccnz .LBB133_1096
; %bb.1095:
	v_cvt_i32_f64_e32 v2, v[0:1]
	global_store_dword v[4:5], v2, off
.LBB133_1096:
	s_mov_b64 s[0:1], 0
.LBB133_1097:
	s_andn2_b64 vcc, exec, s[0:1]
	s_cbranch_vccnz .LBB133_1099
; %bb.1098:
	v_cvt_i32_f64_e32 v2, v[0:1]
	global_store_short v[4:5], v2, off
.LBB133_1099:
	s_mov_b64 s[0:1], 0
.LBB133_1100:
	s_andn2_b64 vcc, exec, s[0:1]
	s_cbranch_vccnz .LBB133_1105
; %bb.1101:
	s_sext_i32_i16 s0, s12
	s_cmp_gt_i32 s0, 0
	s_mov_b64 s[0:1], -1
	s_cbranch_scc0 .LBB133_1103
; %bb.1102:
	v_cvt_i32_f64_e32 v2, v[0:1]
	global_store_byte v[4:5], v2, off
	s_mov_b64 s[0:1], 0
.LBB133_1103:
	s_andn2_b64 vcc, exec, s[0:1]
	s_cbranch_vccnz .LBB133_1105
; %bb.1104:
	v_trunc_f64_e32 v[0:1], v[0:1]
	s_movk_i32 s0, 0xffe0
	v_ldexp_f64 v[2:3], v[0:1], s0
	v_floor_f64_e32 v[2:3], v[2:3]
	v_fmac_f64_e32 v[0:1], 0xc1f00000, v[2:3]
	v_cvt_u32_f64_e32 v0, v[0:1]
	global_store_byte v[4:5], v0, off
	s_endpgm
.LBB133_1105:
	s_endpgm
.LBB133_1106:
	s_mov_b64 s[4:5], 0
	s_mov_b64 s[0:1], -1
	s_branch .LBB133_1062
.LBB133_1107:
	s_andn2_saveexec_b64 s[8:9], s[8:9]
	s_cbranch_execz .LBB133_659
.LBB133_1108:
	s_mov_b32 s12, 0x46000000
	v_add_f32_e64 v7, |v6|, s12
	v_and_b32_e32 v7, 0xff, v7
	v_cmp_ne_u32_e32 vcc, 0, v7
	s_andn2_b64 s[6:7], s[6:7], exec
	s_and_b64 s[12:13], vcc, exec
	s_or_b64 s[6:7], s[6:7], s[12:13]
	s_or_b64 exec, exec, s[8:9]
	v_mov_b32_e32 v8, 0
	s_and_saveexec_b64 s[8:9], s[6:7]
	s_cbranch_execnz .LBB133_660
	s_branch .LBB133_661
.LBB133_1109:
	s_or_b64 s[2:3], s[40:41], exec
	s_trap 2
	s_cbranch_execz .LBB133_707
	s_branch .LBB133_708
.LBB133_1110:
	s_andn2_saveexec_b64 s[6:7], s[6:7]
	s_cbranch_execz .LBB133_672
.LBB133_1111:
	s_mov_b32 s8, 0x42800000
	v_add_f32_e64 v7, |v6|, s8
	v_and_b32_e32 v7, 0xff, v7
	v_cmp_ne_u32_e32 vcc, 0, v7
	s_andn2_b64 s[4:5], s[4:5], exec
	s_and_b64 s[8:9], vcc, exec
	s_or_b64 s[4:5], s[4:5], s[8:9]
	s_or_b64 exec, exec, s[6:7]
	v_mov_b32_e32 v8, 0
	s_and_saveexec_b64 s[6:7], s[4:5]
	s_cbranch_execnz .LBB133_673
	s_branch .LBB133_674
.LBB133_1112:
	s_andn2_saveexec_b64 s[10:11], s[10:11]
	s_cbranch_execz .LBB133_777
.LBB133_1113:
	s_mov_b32 s14, 0x46000000
	v_add_f32_e64 v7, |v6|, s14
	v_and_b32_e32 v7, 0xff, v7
	v_cmp_ne_u32_e32 vcc, 0, v7
	s_andn2_b64 s[8:9], s[8:9], exec
	s_and_b64 s[14:15], vcc, exec
	s_or_b64 s[8:9], s[8:9], s[14:15]
	s_or_b64 exec, exec, s[10:11]
	v_mov_b32_e32 v8, 0
	s_and_saveexec_b64 s[10:11], s[8:9]
	s_cbranch_execnz .LBB133_778
	s_branch .LBB133_779
.LBB133_1114:
	s_trap 2
	s_or_b64 s[2:3], s[2:3], exec
	s_cbranch_execz .LBB133_825
	s_branch .LBB133_826
.LBB133_1115:
	s_andn2_saveexec_b64 s[8:9], s[8:9]
	s_cbranch_execz .LBB133_790
.LBB133_1116:
	s_mov_b32 s10, 0x42800000
	v_add_f32_e64 v7, |v6|, s10
	v_and_b32_e32 v7, 0xff, v7
	v_cmp_ne_u32_e32 vcc, 0, v7
	s_andn2_b64 s[6:7], s[6:7], exec
	s_and_b64 s[10:11], vcc, exec
	s_or_b64 s[6:7], s[6:7], s[10:11]
	s_or_b64 exec, exec, s[8:9]
	v_mov_b32_e32 v8, 0
	s_and_saveexec_b64 s[8:9], s[6:7]
	s_cbranch_execnz .LBB133_791
	s_branch .LBB133_792
.LBB133_1117:
	s_andn2_saveexec_b64 s[10:11], s[10:11]
	s_cbranch_execz .LBB133_895
.LBB133_1118:
	s_mov_b32 s14, 0x46000000
	v_add_f32_e64 v7, |v6|, s14
	v_and_b32_e32 v7, 0xff, v7
	v_cmp_ne_u32_e32 vcc, 0, v7
	s_andn2_b64 s[8:9], s[8:9], exec
	s_and_b64 s[14:15], vcc, exec
	s_or_b64 s[8:9], s[8:9], s[14:15]
	s_or_b64 exec, exec, s[10:11]
	v_mov_b32_e32 v8, 0
	s_and_saveexec_b64 s[10:11], s[8:9]
	s_cbranch_execnz .LBB133_896
	s_branch .LBB133_897
.LBB133_1119:
	s_trap 2
	s_or_b64 s[2:3], s[2:3], exec
	s_cbranch_execz .LBB133_943
	s_branch .LBB133_944
.LBB133_1120:
	s_andn2_saveexec_b64 s[8:9], s[8:9]
	s_cbranch_execz .LBB133_908
.LBB133_1121:
	s_mov_b32 s10, 0x42800000
	v_add_f32_e64 v7, |v6|, s10
	v_and_b32_e32 v7, 0xff, v7
	v_cmp_ne_u32_e32 vcc, 0, v7
	s_andn2_b64 s[6:7], s[6:7], exec
	s_and_b64 s[10:11], vcc, exec
	s_or_b64 s[6:7], s[6:7], s[10:11]
	s_or_b64 exec, exec, s[8:9]
	v_mov_b32_e32 v8, 0
	s_and_saveexec_b64 s[8:9], s[6:7]
	s_cbranch_execnz .LBB133_909
	s_branch .LBB133_910
.LBB133_1122:
	s_andn2_saveexec_b64 s[10:11], s[10:11]
	s_cbranch_execz .LBB133_975
.LBB133_1123:
	s_mov_b32 s14, 0x46000000
	v_add_f32_e64 v7, |v6|, s14
	v_and_b32_e32 v7, 0xff, v7
	v_cmp_ne_u32_e32 vcc, 0, v7
	s_andn2_b64 s[8:9], s[8:9], exec
	s_and_b64 s[14:15], vcc, exec
	s_or_b64 s[8:9], s[8:9], s[14:15]
	s_or_b64 exec, exec, s[10:11]
	v_mov_b32_e32 v8, 0
	s_and_saveexec_b64 s[10:11], s[8:9]
	s_cbranch_execnz .LBB133_976
	s_branch .LBB133_977
.LBB133_1124:
	s_mov_b64 s[4:5], 0
	s_or_b64 s[2:3], s[2:3], exec
	s_trap 2
	s_branch .LBB133_1021
.LBB133_1125:
	s_andn2_saveexec_b64 s[6:7], s[6:7]
	s_cbranch_execz .LBB133_484
.LBB133_1126:
	s_mov_b32 s8, 0x46000000
	v_add_f32_e64 v7, |v6|, s8
	v_and_b32_e32 v7, 0xff, v7
	v_cmp_ne_u32_e32 vcc, 0, v7
	s_andn2_b64 s[4:5], s[4:5], exec
	s_and_b64 s[8:9], vcc, exec
	s_or_b64 s[4:5], s[4:5], s[8:9]
	s_or_b64 exec, exec, s[6:7]
	v_mov_b32_e32 v8, 0
	s_and_saveexec_b64 s[6:7], s[4:5]
	s_cbranch_execnz .LBB133_485
	s_branch .LBB133_486
.LBB133_1127:
	s_andn2_saveexec_b64 s[8:9], s[8:9]
	s_cbranch_execz .LBB133_987
.LBB133_1128:
	s_mov_b32 s10, 0x42800000
	v_add_f32_e64 v7, |v6|, s10
	v_and_b32_e32 v7, 0xff, v7
	v_cmp_ne_u32_e32 vcc, 0, v7
	s_andn2_b64 s[6:7], s[6:7], exec
	s_and_b64 s[10:11], vcc, exec
	s_or_b64 s[6:7], s[6:7], s[10:11]
	s_or_b64 exec, exec, s[8:9]
	v_mov_b32_e32 v8, 0
	s_and_saveexec_b64 s[8:9], s[6:7]
	s_cbranch_execnz .LBB133_988
	s_branch .LBB133_989
.LBB133_1129:
	s_andn2_saveexec_b64 s[8:9], s[8:9]
	s_cbranch_execz .LBB133_496
.LBB133_1130:
	s_mov_b32 s12, 0x42800000
	v_add_f32_e64 v7, |v6|, s12
	v_and_b32_e32 v7, 0xff, v7
	v_cmp_ne_u32_e32 vcc, 0, v7
	s_andn2_b64 s[6:7], s[6:7], exec
	s_and_b64 s[12:13], vcc, exec
	s_or_b64 s[6:7], s[6:7], s[12:13]
	s_or_b64 exec, exec, s[8:9]
	v_mov_b32_e32 v8, 0
	s_and_saveexec_b64 s[8:9], s[6:7]
	s_cbranch_execnz .LBB133_497
	s_branch .LBB133_498
	.section	.rodata,"a",@progbits
	.p2align	6, 0x0
	.amdhsa_kernel _ZN2at6native32elementwise_kernel_manual_unrollILi128ELi4EZNS0_15gpu_kernel_implIZZZNS0_17expm1_kernel_cudaERNS_18TensorIteratorBaseEENKUlvE_clEvENKUlvE1_clEvEUlN3c107complexIdEEE_EEvS4_RKT_EUlibE0_EEviT1_
		.amdhsa_group_segment_fixed_size 0
		.amdhsa_private_segment_fixed_size 0
		.amdhsa_kernarg_size 360
		.amdhsa_user_sgpr_count 2
		.amdhsa_user_sgpr_dispatch_ptr 0
		.amdhsa_user_sgpr_queue_ptr 0
		.amdhsa_user_sgpr_kernarg_segment_ptr 1
		.amdhsa_user_sgpr_dispatch_id 0
		.amdhsa_user_sgpr_kernarg_preload_length 0
		.amdhsa_user_sgpr_kernarg_preload_offset 0
		.amdhsa_user_sgpr_private_segment_size 0
		.amdhsa_uses_dynamic_stack 0
		.amdhsa_enable_private_segment 0
		.amdhsa_system_sgpr_workgroup_id_x 1
		.amdhsa_system_sgpr_workgroup_id_y 0
		.amdhsa_system_sgpr_workgroup_id_z 0
		.amdhsa_system_sgpr_workgroup_info 0
		.amdhsa_system_vgpr_workitem_id 0
		.amdhsa_next_free_vgpr 66
		.amdhsa_next_free_sgpr 77
		.amdhsa_accum_offset 68
		.amdhsa_reserve_vcc 1
		.amdhsa_float_round_mode_32 0
		.amdhsa_float_round_mode_16_64 0
		.amdhsa_float_denorm_mode_32 3
		.amdhsa_float_denorm_mode_16_64 3
		.amdhsa_dx10_clamp 1
		.amdhsa_ieee_mode 1
		.amdhsa_fp16_overflow 0
		.amdhsa_tg_split 0
		.amdhsa_exception_fp_ieee_invalid_op 0
		.amdhsa_exception_fp_denorm_src 0
		.amdhsa_exception_fp_ieee_div_zero 0
		.amdhsa_exception_fp_ieee_overflow 0
		.amdhsa_exception_fp_ieee_underflow 0
		.amdhsa_exception_fp_ieee_inexact 0
		.amdhsa_exception_int_div_zero 0
	.end_amdhsa_kernel
	.section	.text._ZN2at6native32elementwise_kernel_manual_unrollILi128ELi4EZNS0_15gpu_kernel_implIZZZNS0_17expm1_kernel_cudaERNS_18TensorIteratorBaseEENKUlvE_clEvENKUlvE1_clEvEUlN3c107complexIdEEE_EEvS4_RKT_EUlibE0_EEviT1_,"axG",@progbits,_ZN2at6native32elementwise_kernel_manual_unrollILi128ELi4EZNS0_15gpu_kernel_implIZZZNS0_17expm1_kernel_cudaERNS_18TensorIteratorBaseEENKUlvE_clEvENKUlvE1_clEvEUlN3c107complexIdEEE_EEvS4_RKT_EUlibE0_EEviT1_,comdat
.Lfunc_end133:
	.size	_ZN2at6native32elementwise_kernel_manual_unrollILi128ELi4EZNS0_15gpu_kernel_implIZZZNS0_17expm1_kernel_cudaERNS_18TensorIteratorBaseEENKUlvE_clEvENKUlvE1_clEvEUlN3c107complexIdEEE_EEvS4_RKT_EUlibE0_EEviT1_, .Lfunc_end133-_ZN2at6native32elementwise_kernel_manual_unrollILi128ELi4EZNS0_15gpu_kernel_implIZZZNS0_17expm1_kernel_cudaERNS_18TensorIteratorBaseEENKUlvE_clEvENKUlvE1_clEvEUlN3c107complexIdEEE_EEvS4_RKT_EUlibE0_EEviT1_
                                        ; -- End function
	.set _ZN2at6native32elementwise_kernel_manual_unrollILi128ELi4EZNS0_15gpu_kernel_implIZZZNS0_17expm1_kernel_cudaERNS_18TensorIteratorBaseEENKUlvE_clEvENKUlvE1_clEvEUlN3c107complexIdEEE_EEvS4_RKT_EUlibE0_EEviT1_.num_vgpr, max(66, .L_ZN2at6native6invokeIZZZNS0_17expm1_kernel_cudaERNS_18TensorIteratorBaseEENKUlvE_clEvENKUlvE1_clEvEUlN3c107complexIdEEE_j15function_traitsIS9_EEENT1_11result_typeERKT_PrKPcPKT0_PKNS6_10ScalarTypeEi.num_vgpr)
	.set _ZN2at6native32elementwise_kernel_manual_unrollILi128ELi4EZNS0_15gpu_kernel_implIZZZNS0_17expm1_kernel_cudaERNS_18TensorIteratorBaseEENKUlvE_clEvENKUlvE1_clEvEUlN3c107complexIdEEE_EEvS4_RKT_EUlibE0_EEviT1_.num_agpr, max(0, .L_ZN2at6native6invokeIZZZNS0_17expm1_kernel_cudaERNS_18TensorIteratorBaseEENKUlvE_clEvENKUlvE1_clEvEUlN3c107complexIdEEE_j15function_traitsIS9_EEENT1_11result_typeERKT_PrKPcPKT0_PKNS6_10ScalarTypeEi.num_agpr)
	.set _ZN2at6native32elementwise_kernel_manual_unrollILi128ELi4EZNS0_15gpu_kernel_implIZZZNS0_17expm1_kernel_cudaERNS_18TensorIteratorBaseEENKUlvE_clEvENKUlvE1_clEvEUlN3c107complexIdEEE_EEvS4_RKT_EUlibE0_EEviT1_.numbered_sgpr, max(77, .L_ZN2at6native6invokeIZZZNS0_17expm1_kernel_cudaERNS_18TensorIteratorBaseEENKUlvE_clEvENKUlvE1_clEvEUlN3c107complexIdEEE_j15function_traitsIS9_EEENT1_11result_typeERKT_PrKPcPKT0_PKNS6_10ScalarTypeEi.numbered_sgpr)
	.set _ZN2at6native32elementwise_kernel_manual_unrollILi128ELi4EZNS0_15gpu_kernel_implIZZZNS0_17expm1_kernel_cudaERNS_18TensorIteratorBaseEENKUlvE_clEvENKUlvE1_clEvEUlN3c107complexIdEEE_EEvS4_RKT_EUlibE0_EEviT1_.num_named_barrier, max(0, .L_ZN2at6native6invokeIZZZNS0_17expm1_kernel_cudaERNS_18TensorIteratorBaseEENKUlvE_clEvENKUlvE1_clEvEUlN3c107complexIdEEE_j15function_traitsIS9_EEENT1_11result_typeERKT_PrKPcPKT0_PKNS6_10ScalarTypeEi.num_named_barrier)
	.set _ZN2at6native32elementwise_kernel_manual_unrollILi128ELi4EZNS0_15gpu_kernel_implIZZZNS0_17expm1_kernel_cudaERNS_18TensorIteratorBaseEENKUlvE_clEvENKUlvE1_clEvEUlN3c107complexIdEEE_EEvS4_RKT_EUlibE0_EEviT1_.private_seg_size, 0+max(.L_ZN2at6native6invokeIZZZNS0_17expm1_kernel_cudaERNS_18TensorIteratorBaseEENKUlvE_clEvENKUlvE1_clEvEUlN3c107complexIdEEE_j15function_traitsIS9_EEENT1_11result_typeERKT_PrKPcPKT0_PKNS6_10ScalarTypeEi.private_seg_size)
	.set _ZN2at6native32elementwise_kernel_manual_unrollILi128ELi4EZNS0_15gpu_kernel_implIZZZNS0_17expm1_kernel_cudaERNS_18TensorIteratorBaseEENKUlvE_clEvENKUlvE1_clEvEUlN3c107complexIdEEE_EEvS4_RKT_EUlibE0_EEviT1_.uses_vcc, or(1, .L_ZN2at6native6invokeIZZZNS0_17expm1_kernel_cudaERNS_18TensorIteratorBaseEENKUlvE_clEvENKUlvE1_clEvEUlN3c107complexIdEEE_j15function_traitsIS9_EEENT1_11result_typeERKT_PrKPcPKT0_PKNS6_10ScalarTypeEi.uses_vcc)
	.set _ZN2at6native32elementwise_kernel_manual_unrollILi128ELi4EZNS0_15gpu_kernel_implIZZZNS0_17expm1_kernel_cudaERNS_18TensorIteratorBaseEENKUlvE_clEvENKUlvE1_clEvEUlN3c107complexIdEEE_EEvS4_RKT_EUlibE0_EEviT1_.uses_flat_scratch, or(0, .L_ZN2at6native6invokeIZZZNS0_17expm1_kernel_cudaERNS_18TensorIteratorBaseEENKUlvE_clEvENKUlvE1_clEvEUlN3c107complexIdEEE_j15function_traitsIS9_EEENT1_11result_typeERKT_PrKPcPKT0_PKNS6_10ScalarTypeEi.uses_flat_scratch)
	.set _ZN2at6native32elementwise_kernel_manual_unrollILi128ELi4EZNS0_15gpu_kernel_implIZZZNS0_17expm1_kernel_cudaERNS_18TensorIteratorBaseEENKUlvE_clEvENKUlvE1_clEvEUlN3c107complexIdEEE_EEvS4_RKT_EUlibE0_EEviT1_.has_dyn_sized_stack, or(0, .L_ZN2at6native6invokeIZZZNS0_17expm1_kernel_cudaERNS_18TensorIteratorBaseEENKUlvE_clEvENKUlvE1_clEvEUlN3c107complexIdEEE_j15function_traitsIS9_EEENT1_11result_typeERKT_PrKPcPKT0_PKNS6_10ScalarTypeEi.has_dyn_sized_stack)
	.set _ZN2at6native32elementwise_kernel_manual_unrollILi128ELi4EZNS0_15gpu_kernel_implIZZZNS0_17expm1_kernel_cudaERNS_18TensorIteratorBaseEENKUlvE_clEvENKUlvE1_clEvEUlN3c107complexIdEEE_EEvS4_RKT_EUlibE0_EEviT1_.has_recursion, or(0, .L_ZN2at6native6invokeIZZZNS0_17expm1_kernel_cudaERNS_18TensorIteratorBaseEENKUlvE_clEvENKUlvE1_clEvEUlN3c107complexIdEEE_j15function_traitsIS9_EEENT1_11result_typeERKT_PrKPcPKT0_PKNS6_10ScalarTypeEi.has_recursion)
	.set _ZN2at6native32elementwise_kernel_manual_unrollILi128ELi4EZNS0_15gpu_kernel_implIZZZNS0_17expm1_kernel_cudaERNS_18TensorIteratorBaseEENKUlvE_clEvENKUlvE1_clEvEUlN3c107complexIdEEE_EEvS4_RKT_EUlibE0_EEviT1_.has_indirect_call, or(0, .L_ZN2at6native6invokeIZZZNS0_17expm1_kernel_cudaERNS_18TensorIteratorBaseEENKUlvE_clEvENKUlvE1_clEvEUlN3c107complexIdEEE_j15function_traitsIS9_EEENT1_11result_typeERKT_PrKPcPKT0_PKNS6_10ScalarTypeEi.has_indirect_call)
	.section	.AMDGPU.csdata,"",@progbits
; Kernel info:
; codeLenInByte = 28216
; TotalNumSgprs: 83
; NumVgprs: 66
; NumAgprs: 0
; TotalNumVgprs: 66
; ScratchSize: 0
; MemoryBound: 0
; FloatMode: 240
; IeeeMode: 1
; LDSByteSize: 0 bytes/workgroup (compile time only)
; SGPRBlocks: 10
; VGPRBlocks: 8
; NumSGPRsForWavesPerEU: 83
; NumVGPRsForWavesPerEU: 66
; AccumOffset: 68
; Occupancy: 7
; WaveLimiterHint : 1
; COMPUTE_PGM_RSRC2:SCRATCH_EN: 0
; COMPUTE_PGM_RSRC2:USER_SGPR: 2
; COMPUTE_PGM_RSRC2:TRAP_HANDLER: 0
; COMPUTE_PGM_RSRC2:TGID_X_EN: 1
; COMPUTE_PGM_RSRC2:TGID_Y_EN: 0
; COMPUTE_PGM_RSRC2:TGID_Z_EN: 0
; COMPUTE_PGM_RSRC2:TIDIG_COMP_CNT: 0
; COMPUTE_PGM_RSRC3_GFX90A:ACCUM_OFFSET: 16
; COMPUTE_PGM_RSRC3_GFX90A:TG_SPLIT: 0
	.text
	.p2align	2                               ; -- Begin function _ZN2at6native25elementwise_kernel_helperILb0EZZZNS0_17expm1_kernel_cudaERNS_18TensorIteratorBaseEENKUlvE_clEvENKUlvE2_clEvEUlN3c107complexIfEEE_NS0_6memory8policies11unroll_baseILi256ESt5arrayIPcLm2EE23TrivialOffsetCalculatorILi1EjESH_NSA_15LoadWithoutCastENSA_16StoreWithoutCastELi4ELi1EEEEEvT0_T1_
	.type	_ZN2at6native25elementwise_kernel_helperILb0EZZZNS0_17expm1_kernel_cudaERNS_18TensorIteratorBaseEENKUlvE_clEvENKUlvE2_clEvEUlN3c107complexIfEEE_NS0_6memory8policies11unroll_baseILi256ESt5arrayIPcLm2EE23TrivialOffsetCalculatorILi1EjESH_NSA_15LoadWithoutCastENSA_16StoreWithoutCastELi4ELi1EEEEEvT0_T1_,@function
_ZN2at6native25elementwise_kernel_helperILb0EZZZNS0_17expm1_kernel_cudaERNS_18TensorIteratorBaseEENKUlvE_clEvENKUlvE2_clEvEUlN3c107complexIfEEE_NS0_6memory8policies11unroll_baseILi256ESt5arrayIPcLm2EE23TrivialOffsetCalculatorILi1EjESH_NSA_15LoadWithoutCastENSA_16StoreWithoutCastELi4ELi1EEEEEvT0_T1_: ; @_ZN2at6native25elementwise_kernel_helperILb0EZZZNS0_17expm1_kernel_cudaERNS_18TensorIteratorBaseEENKUlvE_clEvENKUlvE2_clEvEUlN3c107complexIfEEE_NS0_6memory8policies11unroll_baseILi256ESt5arrayIPcLm2EE23TrivialOffsetCalculatorILi1EjESH_NSA_15LoadWithoutCastENSA_16StoreWithoutCastELi4ELi1EEEEEvT0_T1_
; %bb.0:
	s_waitcnt vmcnt(0) expcnt(0) lgkmcnt(0)
	v_and_b32_e32 v5, 0x3ff, v31
	s_lshl_b32 s14, s12, 10
	v_cmp_lt_i32_e32 vcc, v5, v4
	v_mov_b32_e32 v12, 0
	v_or_b32_e32 v6, s14, v5
	v_mov_b32_e32 v7, v5
	v_mov_b32_e32 v14, 0
	;; [unrolled: 1-line block ×3, first 2 shown]
	s_and_saveexec_b64 s[0:1], vcc
	s_cbranch_execz .LBB134_2
; %bb.1:
	v_mov_b32_e32 v7, 0
	v_lshl_add_u64 v[8:9], v[6:7], 3, v[2:3]
	flat_load_dwordx2 v[14:15], v[8:9]
	v_add_u32_e32 v7, 0x100, v5
.LBB134_2:
	s_or_b64 exec, exec, s[0:1]
	v_cmp_lt_i32_e64 s[0:1], v7, v4
	v_mov_b32_e32 v13, 0
	s_and_saveexec_b64 s[2:3], s[0:1]
	s_cbranch_execz .LBB134_4
; %bb.3:
	v_add_u32_e32 v8, s14, v7
	v_mov_b32_e32 v9, 0
	v_lshl_add_u64 v[8:9], v[8:9], 3, v[2:3]
	flat_load_dwordx2 v[12:13], v[8:9]
	v_add_u32_e32 v7, 0x100, v7
.LBB134_4:
	s_or_b64 exec, exec, s[2:3]
	v_cmp_lt_i32_e64 s[0:1], v7, v4
	v_mov_b32_e32 v8, 0
	v_mov_b32_e32 v10, 0
	;; [unrolled: 1-line block ×3, first 2 shown]
	s_and_saveexec_b64 s[2:3], s[0:1]
	s_cbranch_execz .LBB134_6
; %bb.5:
	v_add_u32_e32 v10, s14, v7
	v_mov_b32_e32 v11, 0
	v_lshl_add_u64 v[10:11], v[10:11], 3, v[2:3]
	flat_load_dwordx2 v[10:11], v[10:11]
	v_add_u32_e32 v7, 0x100, v7
.LBB134_6:
	s_or_b64 exec, exec, s[2:3]
	v_cmp_lt_i32_e64 s[0:1], v7, v4
	v_mov_b32_e32 v9, 0
	s_and_saveexec_b64 s[2:3], s[0:1]
	s_cbranch_execz .LBB134_8
; %bb.7:
	v_add_u32_e32 v8, s14, v7
	v_mov_b32_e32 v9, 0
	v_lshl_add_u64 v[2:3], v[8:9], 3, v[2:3]
	flat_load_dwordx2 v[8:9], v[2:3]
.LBB134_8:
	s_or_b64 exec, exec, s[2:3]
	v_mov_b32_e32 v3, 0
	v_mov_b32_e32 v2, 0
	s_and_saveexec_b64 s[8:9], vcc
	s_cbranch_execz .LBB134_22
; %bb.9:
	s_waitcnt vmcnt(0) lgkmcnt(0)
	v_mul_f32_e32 v2, 0.5, v15
	s_brev_b32 s0, 18
	v_and_b32_e32 v3, 0x7fffffff, v2
	v_cmp_nlt_f32_e64 s[0:1], |v2|, s0
                                        ; implicit-def: $vgpr16
                                        ; implicit-def: $vgpr7
	s_and_saveexec_b64 s[2:3], s[0:1]
	s_xor_b64 s[10:11], exec, s[2:3]
	s_cbranch_execz .LBB134_11
; %bb.10:
	v_lshrrev_b32_e32 v7, 23, v3
	v_add_u32_e32 v7, 0xffffff88, v7
	v_not_b32_e32 v16, 63
	v_cmp_lt_u32_e64 s[0:1], 63, v7
	s_mov_b32 s6, 0xfe5163ab
	v_mov_b32_e32 v19, 0
	v_cndmask_b32_e64 v16, 0, v16, s[0:1]
	v_add_u32_e32 v7, v16, v7
	v_not_b32_e32 v16, 31
	v_cmp_lt_u32_e64 s[2:3], 31, v7
	s_nop 1
	v_cndmask_b32_e64 v17, 0, v16, s[2:3]
	v_add_u32_e32 v7, v17, v7
	v_cmp_lt_u32_e64 s[4:5], 31, v7
	s_nop 1
	v_cndmask_b32_e64 v16, 0, v16, s[4:5]
	v_add_u32_e32 v7, v16, v7
	v_and_b32_e32 v16, 0x7fffff, v3
	v_or_b32_e32 v30, 0x800000, v16
	v_mad_u64_u32 v[16:17], s[6:7], v30, s6, 0
	v_mov_b32_e32 v18, v17
	s_mov_b32 s6, 0x3c439041
	v_mad_u64_u32 v[20:21], s[6:7], v30, s6, v[18:19]
	v_mov_b32_e32 v18, v21
	s_mov_b32 s6, 0xdb629599
	;; [unrolled: 3-line block ×6, first 2 shown]
	v_mad_u64_u32 v[18:19], s[6:7], v30, s6, v[18:19]
	v_cndmask_b32_e64 v17, v28, v24, s[0:1]
	v_cndmask_b32_e64 v18, v18, v26, s[0:1]
	;; [unrolled: 1-line block ×7, first 2 shown]
	v_sub_u32_e32 v23, 32, v7
	v_cmp_eq_u32_e64 s[6:7], 0, v7
	v_cndmask_b32_e64 v7, v24, v20, s[0:1]
	v_cndmask_b32_e64 v18, v18, v21, s[4:5]
	;; [unrolled: 1-line block ×4, first 2 shown]
	v_alignbit_b32 v25, v18, v21, v23
	v_cndmask_b32_e64 v17, v17, v19, s[4:5]
	v_cndmask_b32_e64 v18, v25, v18, s[6:7]
	v_alignbit_b32 v20, v21, v17, v23
	v_cndmask_b32_e64 v16, v22, v16, s[0:1]
	v_cndmask_b32_e64 v20, v20, v21, s[6:7]
	v_bfe_u32 v25, v18, 29, 1
	v_cndmask_b32_e64 v7, v7, v16, s[2:3]
	v_alignbit_b32 v21, v18, v20, 30
	v_sub_u32_e32 v26, 0, v25
	v_cndmask_b32_e64 v7, v19, v7, s[4:5]
	v_xor_b32_e32 v21, v21, v26
	v_alignbit_b32 v16, v17, v7, v23
	v_cndmask_b32_e64 v16, v16, v17, s[6:7]
	v_ffbh_u32_e32 v19, v21
	v_alignbit_b32 v17, v20, v16, 30
	v_min_u32_e32 v19, 32, v19
	v_alignbit_b32 v7, v16, v7, 30
	v_xor_b32_e32 v17, v17, v26
	v_sub_u32_e32 v20, 31, v19
	v_xor_b32_e32 v7, v7, v26
	v_alignbit_b32 v21, v21, v17, v20
	v_alignbit_b32 v7, v17, v7, v20
	;; [unrolled: 1-line block ×3, first 2 shown]
	v_ffbh_u32_e32 v17, v16
	v_min_u32_e32 v17, 32, v17
	v_lshrrev_b32_e32 v24, 29, v18
	v_not_b32_e32 v20, v17
	v_alignbit_b32 v7, v16, v7, v20
	v_lshlrev_b32_e32 v16, 31, v24
	v_or_b32_e32 v20, 0x33000000, v16
	v_add_lshl_u32 v17, v17, v19, 23
	v_lshrrev_b32_e32 v7, 9, v7
	v_sub_u32_e32 v17, v20, v17
	v_or_b32_e32 v16, 0.5, v16
	v_lshlrev_b32_e32 v19, 23, v19
	v_or_b32_e32 v7, v17, v7
	v_lshrrev_b32_e32 v17, 9, v21
	v_sub_u32_e32 v16, v16, v19
	v_or_b32_e32 v16, v17, v16
	s_mov_b32 s0, 0x3fc90fda
	v_mul_f32_e32 v17, 0x3fc90fda, v16
	v_fma_f32 v19, v16, s0, -v17
	v_fmamk_f32 v16, v16, 0x33a22168, v19
	v_fmac_f32_e32 v16, 0x3fc90fda, v7
	v_add_f32_e32 v7, v17, v16
	v_lshrrev_b32_e32 v16, 30, v18
	v_add_u32_e32 v16, v25, v16
.LBB134_11:
	s_andn2_saveexec_b64 s[0:1], s[10:11]
	s_cbranch_execz .LBB134_13
; %bb.12:
	s_mov_b32 s2, 0x3f22f983
	v_mul_f32_e64 v7, |v2|, s2
	v_rndne_f32_e32 v7, v7
	s_mov_b32 s2, 0xbfc90fda
	v_cvt_i32_f32_e32 v16, v7
	v_fma_f32 v17, v7, s2, |v2|
	v_fmamk_f32 v17, v7, 0xb3a22168, v17
	v_fmamk_f32 v7, v7, 0xa7c234c4, v17
.LBB134_13:
	s_or_b64 exec, exec, s[0:1]
	v_and_b32_e32 v17, 0x7fffffff, v15
	s_brev_b32 s0, 18
	v_cmp_nlt_f32_e64 s[10:11], |v15|, s0
	v_lshrrev_b32_e32 v20, 23, v17
                                        ; implicit-def: $vgpr19
                                        ; implicit-def: $vgpr18
	s_and_saveexec_b64 s[0:1], s[10:11]
	s_xor_b64 s[12:13], exec, s[0:1]
	s_cbranch_execz .LBB134_15
; %bb.14:
	v_add_u32_e32 v18, 0xffffff88, v20
	v_not_b32_e32 v19, 63
	v_cmp_lt_u32_e64 s[0:1], 63, v18
	s_mov_b32 s6, 0xfe5163ab
	v_mov_b32_e32 v23, 0
	v_cndmask_b32_e64 v19, 0, v19, s[0:1]
	v_add_u32_e32 v18, v19, v18
	v_not_b32_e32 v19, 31
	v_cmp_lt_u32_e64 s[2:3], 31, v18
	s_nop 1
	v_cndmask_b32_e64 v21, 0, v19, s[2:3]
	v_add_u32_e32 v18, v21, v18
	v_cmp_lt_u32_e64 s[4:5], 31, v18
	s_nop 1
	v_cndmask_b32_e64 v19, 0, v19, s[4:5]
	v_add_u32_e32 v21, v19, v18
	v_and_b32_e32 v18, 0x7fffff, v17
	v_or_b32_e32 v34, 0x800000, v18
	v_mad_u64_u32 v[18:19], s[6:7], v34, s6, 0
	v_mov_b32_e32 v22, v19
	s_mov_b32 s6, 0x3c439041
	v_mad_u64_u32 v[24:25], s[6:7], v34, s6, v[22:23]
	v_mov_b32_e32 v22, v25
	s_mov_b32 s6, 0xdb629599
	;; [unrolled: 3-line block ×6, first 2 shown]
	v_mad_u64_u32 v[22:23], s[6:7], v34, s6, v[22:23]
	v_cndmask_b32_e64 v19, v32, v28, s[0:1]
	v_cndmask_b32_e64 v22, v22, v30, s[0:1]
	;; [unrolled: 1-line block ×9, first 2 shown]
	v_sub_u32_e32 v27, 32, v21
	v_alignbit_b32 v29, v22, v25, v27
	v_cmp_eq_u32_e64 s[6:7], 0, v21
	v_cndmask_b32_e64 v18, v26, v18, s[0:1]
	s_nop 0
	v_cndmask_b32_e64 v21, v29, v22, s[6:7]
	v_cndmask_b32_e64 v22, v28, v24, s[0:1]
	;; [unrolled: 1-line block ×4, first 2 shown]
	v_alignbit_b32 v24, v25, v19, v27
	v_cndmask_b32_e64 v24, v24, v25, s[6:7]
	v_bfe_u32 v29, v21, 29, 1
	v_cndmask_b32_e64 v18, v22, v18, s[2:3]
	v_alignbit_b32 v25, v21, v24, 30
	v_sub_u32_e32 v30, 0, v29
	v_cndmask_b32_e64 v18, v23, v18, s[4:5]
	v_xor_b32_e32 v25, v25, v30
	v_alignbit_b32 v22, v19, v18, v27
	v_cndmask_b32_e64 v19, v22, v19, s[6:7]
	v_ffbh_u32_e32 v23, v25
	v_alignbit_b32 v22, v24, v19, 30
	v_min_u32_e32 v23, 32, v23
	v_alignbit_b32 v18, v19, v18, 30
	v_xor_b32_e32 v22, v22, v30
	v_sub_u32_e32 v24, 31, v23
	v_xor_b32_e32 v18, v18, v30
	v_alignbit_b32 v25, v25, v22, v24
	v_alignbit_b32 v18, v22, v18, v24
	;; [unrolled: 1-line block ×3, first 2 shown]
	v_ffbh_u32_e32 v22, v19
	v_min_u32_e32 v22, 32, v22
	v_lshrrev_b32_e32 v28, 29, v21
	v_not_b32_e32 v24, v22
	v_alignbit_b32 v18, v19, v18, v24
	v_lshlrev_b32_e32 v19, 31, v28
	v_or_b32_e32 v24, 0x33000000, v19
	v_add_lshl_u32 v22, v22, v23, 23
	v_lshrrev_b32_e32 v18, 9, v18
	v_sub_u32_e32 v22, v24, v22
	v_or_b32_e32 v19, 0.5, v19
	v_lshlrev_b32_e32 v23, 23, v23
	v_or_b32_e32 v18, v22, v18
	v_lshrrev_b32_e32 v22, 9, v25
	v_sub_u32_e32 v19, v19, v23
	v_or_b32_e32 v19, v22, v19
	s_mov_b32 s0, 0x3fc90fda
	v_mul_f32_e32 v22, 0x3fc90fda, v19
	v_fma_f32 v23, v19, s0, -v22
	v_fmamk_f32 v19, v19, 0x33a22168, v23
	v_fmac_f32_e32 v19, 0x3fc90fda, v18
	v_add_f32_e32 v18, v22, v19
	v_lshrrev_b32_e32 v19, 30, v21
	v_add_u32_e32 v19, v29, v19
	s_andn2_saveexec_b64 s[0:1], s[12:13]
	s_cbranch_execz .LBB134_17
	s_branch .LBB134_16
.LBB134_15:
	s_andn2_saveexec_b64 s[0:1], s[12:13]
	s_cbranch_execz .LBB134_17
.LBB134_16:
	s_mov_b32 s2, 0x3f22f983
	v_mul_f32_e64 v18, |v15|, s2
	v_rndne_f32_e32 v18, v18
	s_mov_b32 s2, 0xbfc90fda
	v_cvt_i32_f32_e32 v19, v18
	v_fma_f32 v21, v18, s2, |v15|
	v_fmamk_f32 v21, v18, 0xb3a22168, v21
	v_fmamk_f32 v18, v18, 0xa7c234c4, v21
.LBB134_17:
	s_or_b64 exec, exec, s[0:1]
                                        ; implicit-def: $vgpr21
                                        ; implicit-def: $vgpr22
	s_and_saveexec_b64 s[0:1], s[10:11]
	s_xor_b64 s[10:11], exec, s[0:1]
	s_cbranch_execz .LBB134_19
; %bb.18:
	v_add_u32_e32 v20, 0xffffff88, v20
	v_not_b32_e32 v21, 63
	v_cmp_lt_u32_e64 s[0:1], 63, v20
	s_mov_b32 s6, 0xfe5163ab
	v_mov_b32_e32 v23, 0
	v_cndmask_b32_e64 v21, 0, v21, s[0:1]
	v_add_u32_e32 v20, v21, v20
	v_not_b32_e32 v21, 31
	v_cmp_lt_u32_e64 s[2:3], 31, v20
	s_nop 1
	v_cndmask_b32_e64 v22, 0, v21, s[2:3]
	v_add_u32_e32 v20, v22, v20
	v_cmp_lt_u32_e64 s[4:5], 31, v20
	s_nop 1
	v_cndmask_b32_e64 v21, 0, v21, s[4:5]
	v_add_u32_e32 v34, v21, v20
	v_and_b32_e32 v20, 0x7fffff, v17
	v_or_b32_e32 v35, 0x800000, v20
	v_mad_u64_u32 v[20:21], s[6:7], v35, s6, 0
	v_mov_b32_e32 v22, v21
	s_mov_b32 s6, 0x3c439041
	v_mad_u64_u32 v[24:25], s[6:7], v35, s6, v[22:23]
	v_mov_b32_e32 v22, v25
	s_mov_b32 s6, 0xdb629599
	;; [unrolled: 3-line block ×6, first 2 shown]
	v_mad_u64_u32 v[22:23], s[6:7], v35, s6, v[22:23]
	v_cndmask_b32_e64 v21, v32, v28, s[0:1]
	v_cndmask_b32_e64 v22, v22, v30, s[0:1]
	;; [unrolled: 1-line block ×9, first 2 shown]
	v_sub_u32_e32 v27, 32, v34
	v_alignbit_b32 v29, v22, v25, v27
	v_cmp_eq_u32_e64 s[6:7], 0, v34
	v_cndmask_b32_e64 v20, v26, v20, s[0:1]
	s_nop 0
	v_cndmask_b32_e64 v29, v29, v22, s[6:7]
	v_cndmask_b32_e64 v22, v28, v24, s[0:1]
	;; [unrolled: 1-line block ×4, first 2 shown]
	v_alignbit_b32 v24, v25, v21, v27
	v_cndmask_b32_e64 v24, v24, v25, s[6:7]
	v_bfe_u32 v30, v29, 29, 1
	v_cndmask_b32_e64 v20, v22, v20, s[2:3]
	v_alignbit_b32 v25, v29, v24, 30
	v_sub_u32_e32 v31, 0, v30
	v_cndmask_b32_e64 v20, v23, v20, s[4:5]
	v_xor_b32_e32 v25, v25, v31
	v_alignbit_b32 v22, v21, v20, v27
	v_cndmask_b32_e64 v21, v22, v21, s[6:7]
	v_ffbh_u32_e32 v23, v25
	v_alignbit_b32 v22, v24, v21, 30
	v_min_u32_e32 v23, 32, v23
	v_alignbit_b32 v20, v21, v20, 30
	v_xor_b32_e32 v22, v22, v31
	v_sub_u32_e32 v24, 31, v23
	v_xor_b32_e32 v20, v20, v31
	v_alignbit_b32 v25, v25, v22, v24
	v_alignbit_b32 v20, v22, v20, v24
	;; [unrolled: 1-line block ×3, first 2 shown]
	v_ffbh_u32_e32 v22, v21
	v_min_u32_e32 v22, 32, v22
	v_lshrrev_b32_e32 v28, 29, v29
	v_not_b32_e32 v24, v22
	v_alignbit_b32 v20, v21, v20, v24
	v_lshlrev_b32_e32 v21, 31, v28
	v_or_b32_e32 v24, 0x33000000, v21
	v_add_lshl_u32 v22, v22, v23, 23
	v_lshrrev_b32_e32 v20, 9, v20
	v_sub_u32_e32 v22, v24, v22
	v_or_b32_e32 v21, 0.5, v21
	v_lshlrev_b32_e32 v23, 23, v23
	v_or_b32_e32 v20, v22, v20
	v_lshrrev_b32_e32 v22, 9, v25
	v_sub_u32_e32 v21, v21, v23
	v_or_b32_e32 v21, v22, v21
	s_mov_b32 s0, 0x3fc90fda
	v_mul_f32_e32 v22, 0x3fc90fda, v21
	v_fma_f32 v23, v21, s0, -v22
	v_fmamk_f32 v21, v21, 0x33a22168, v23
	v_fmac_f32_e32 v21, 0x3fc90fda, v20
	v_lshrrev_b32_e32 v20, 30, v29
	v_add_f32_e32 v22, v22, v21
	v_add_u32_e32 v21, v30, v20
	s_andn2_saveexec_b64 s[0:1], s[10:11]
	s_cbranch_execnz .LBB134_20
	s_branch .LBB134_21
.LBB134_19:
	s_andn2_saveexec_b64 s[0:1], s[10:11]
	s_cbranch_execz .LBB134_21
.LBB134_20:
	s_mov_b32 s2, 0x3f22f983
	v_mul_f32_e64 v20, |v15|, s2
	v_rndne_f32_e32 v20, v20
	s_mov_b32 s2, 0xbfc90fda
	v_cvt_i32_f32_e32 v21, v20
	v_fma_f32 v22, v20, s2, |v15|
	v_fmamk_f32 v22, v20, 0xb3a22168, v22
	v_fmamk_f32 v22, v20, 0xa7c234c4, v22
.LBB134_21:
	s_or_b64 exec, exec, s[0:1]
	v_mul_f32_e32 v20, 0x3fb8aa3b, v14
	s_mov_b32 s0, 0x3fb8aa3b
	v_rndne_f32_e32 v23, v20
	v_sub_f32_e32 v24, v20, v23
	v_fma_f32 v20, v14, s0, -v20
	v_fmamk_f32 v20, v14, 0x32a5705f, v20
	v_add_f32_e32 v20, v24, v20
	v_exp_f32_e32 v20, v20
	v_cvt_i32_f32_e32 v24, v23
	s_mov_b32 s0, 0xc2ce8ed0
	v_cmp_ngt_f32_e64 s[0:1], s0, v14
	v_mov_b32_e32 v25, 0x7f800000
	v_ldexp_f32 v20, v20, v24
	v_cndmask_b32_e64 v20, 0, v20, s[0:1]
	s_mov_b32 s0, 0x42b17218
	v_cmp_nlt_f32_e64 s[0:1], s0, v14
	v_ldexp_f32 v24, 1.0, v24
	v_mov_b32_e32 v26, 0x7f000000
	v_cndmask_b32_e64 v20, v25, v20, s[0:1]
	s_mov_b32 s0, 0x43000000
	v_cmp_eq_f32_e64 s[0:1], s0, v23
	v_mov_b32_e32 v29, 0x3c0881c4
	s_brev_b32 s5, 1
	v_cndmask_b32_e64 v24, v24, v26, s[0:1]
	v_fmamk_f32 v26, v23, 0xbf317218, v14
	v_fmamk_f32 v23, v23, 0x3102e308, v26
	v_mov_b32_e32 v26, 0x3ab69700
	v_fmac_f32_e32 v26, 0x395133b1, v23
	v_fmaak_f32 v26, v23, v26, 0x3c0887f9
	v_fmaak_f32 v26, v23, v26, 0x3d2aaa81
	;; [unrolled: 1-line block ×3, first 2 shown]
	v_fma_f32 v26, v23, v26, 0.5
	v_mul_f32_e32 v26, v23, v26
	v_fmac_f32_e32 v23, v23, v26
	v_add_f32_e32 v26, -1.0, v24
	v_fmac_f32_e32 v26, v24, v23
	v_add_f32_e32 v23, v26, v26
	v_cndmask_b32_e64 v23, v26, v23, s[0:1]
	s_mov_b32 s0, 0x42b17217
	v_cmp_nlt_f32_e64 s[0:1], s0, v14
	v_mul_f32_e32 v24, v18, v18
	v_fmamk_f32 v30, v24, 0xb94c1982, v29
	v_cndmask_b32_e64 v23, v25, v23, s[0:1]
	v_mov_b32_e32 v25, 0xbab64f3b
	v_fmamk_f32 v26, v24, 0x37d75334, v25
	s_mov_b32 s0, 0xc1880000
	v_fmaak_f32 v26, v24, v26, 0x3d2aabf7
	v_cmp_ngt_f32_e64 s[0:1], s0, v14
	v_fmaak_f32 v26, v24, v26, 0xbf000004
	v_fmaak_f32 v30, v24, v30, 0xbe2aaa9d
	v_cndmask_b32_e64 v14, -1.0, v23, s[0:1]
	v_lshlrev_b32_e32 v23, 30, v19
	v_and_b32_e32 v19, 1, v19
	v_fma_f32 v26, v24, v26, 1.0
	v_mul_f32_e32 v24, v24, v30
	v_fmac_f32_e32 v18, v18, v24
	v_cmp_eq_u32_e64 s[0:1], 0, v19
	v_xor_b32_e32 v3, v3, v2
	s_movk_i32 s4, 0x1f8
	v_cndmask_b32_e64 v18, -v18, v26, s[0:1]
	v_bitop3_b32 v18, v23, v18, s5 bitop3:0x6c
	v_lshlrev_b32_e32 v23, 30, v16
	v_and_b32_e32 v23, 0x80000000, v23
	v_xor_b32_e32 v3, v3, v23
	v_mul_f32_e32 v23, v7, v7
	v_fmamk_f32 v24, v23, 0xb94c1982, v29
	v_fmaak_f32 v24, v23, v24, 0xbe2aaa9d
	v_mul_f32_e32 v24, v23, v24
	v_fmac_f32_e32 v7, v7, v24
	v_fmamk_f32 v24, v23, 0x37d75334, v25
	v_fmaak_f32 v24, v23, v24, 0x3d2aabf7
	v_and_b32_e32 v16, 1, v16
	v_fmaak_f32 v24, v23, v24, 0xbf000004
	v_fma_f32 v23, v23, v24, 1.0
	v_cmp_eq_u32_e64 s[2:3], 0, v16
	v_mov_b32_e32 v19, 0x7fc00000
	v_mov_b32_e32 v31, 0xbe2aaa9d
	v_cndmask_b32_e64 v7, v23, v7, s[2:3]
	v_xor_b32_e32 v3, v3, v7
	v_cmp_class_f32_e64 s[2:3], v2, s4
	v_mov_b32_e32 v27, 0x3d2aabf7
	v_mov_b32_e32 v28, 0xbf000004
	v_cndmask_b32_e64 v2, v19, v3, s[2:3]
	v_add_f32_e32 v3, v2, v2
	v_mul_f32_e32 v2, v2, v3
	v_mul_f32_e32 v3, v22, v22
	v_fmac_f32_e32 v29, 0xb94c1982, v3
	v_fmac_f32_e32 v31, v3, v29
	;; [unrolled: 1-line block ×3, first 2 shown]
	v_mul_f32_e32 v7, v3, v31
	v_fmac_f32_e32 v27, v3, v25
	v_fmac_f32_e32 v22, v22, v7
	;; [unrolled: 1-line block ×3, first 2 shown]
	v_and_b32_e32 v7, 1, v21
	v_fma_f32 v3, v3, v28, 1.0
	v_cmp_eq_u32_e64 s[2:3], 0, v7
	v_lshlrev_b32_e32 v7, 30, v21
	v_bitop3_b32 v7, v17, v7, s5 bitop3:0x78
	v_cndmask_b32_e64 v3, v3, v22, s[2:3]
	v_xor_b32_e32 v3, v7, v3
	v_cmp_class_f32_e64 s[0:1], v15, s4
	v_xor_b32_e32 v3, v3, v15
	s_nop 0
	v_cndmask_b32_e64 v18, v19, v18, s[0:1]
	v_cndmask_b32_e64 v3, v19, v3, s[0:1]
	v_fma_f32 v2, v14, v18, -v2
	v_mul_f32_e32 v3, v20, v3
.LBB134_22:
	s_or_b64 exec, exec, s[8:9]
	v_add_u32_e32 v16, 0x100, v5
	v_cmp_lt_i32_e64 s[0:1], v16, v4
	s_waitcnt vmcnt(0) lgkmcnt(0)
	v_mov_b32_e32 v15, 0
	v_mov_b32_e32 v14, 0
	s_and_saveexec_b64 s[8:9], s[0:1]
	s_cbranch_execz .LBB134_36
; %bb.23:
	v_mul_f32_e32 v7, 0.5, v13
	s_brev_b32 s0, 18
	v_and_b32_e32 v14, 0x7fffffff, v7
	v_cmp_nlt_f32_e64 s[0:1], |v7|, s0
                                        ; implicit-def: $vgpr17
                                        ; implicit-def: $vgpr15
	s_and_saveexec_b64 s[2:3], s[0:1]
	s_xor_b64 s[10:11], exec, s[2:3]
	s_cbranch_execz .LBB134_25
; %bb.24:
	v_lshrrev_b32_e32 v15, 23, v14
	v_add_u32_e32 v15, 0xffffff88, v15
	v_not_b32_e32 v17, 63
	v_cmp_lt_u32_e64 s[0:1], 63, v15
	s_mov_b32 s6, 0xfe5163ab
	v_mov_b32_e32 v21, 0
	v_cndmask_b32_e64 v17, 0, v17, s[0:1]
	v_add_u32_e32 v15, v17, v15
	v_not_b32_e32 v17, 31
	v_cmp_lt_u32_e64 s[2:3], 31, v15
	s_nop 1
	v_cndmask_b32_e64 v18, 0, v17, s[2:3]
	v_add_u32_e32 v15, v18, v15
	v_cmp_lt_u32_e64 s[4:5], 31, v15
	s_nop 1
	v_cndmask_b32_e64 v17, 0, v17, s[4:5]
	v_add_u32_e32 v15, v17, v15
	v_and_b32_e32 v17, 0x7fffff, v14
	v_or_b32_e32 v17, 0x800000, v17
	v_mad_u64_u32 v[18:19], s[6:7], v17, s6, 0
	v_mov_b32_e32 v20, v19
	s_mov_b32 s6, 0x3c439041
	v_mad_u64_u32 v[22:23], s[6:7], v17, s6, v[20:21]
	v_mov_b32_e32 v20, v23
	s_mov_b32 s6, 0xdb629599
	;; [unrolled: 3-line block ×6, first 2 shown]
	v_mad_u64_u32 v[20:21], s[6:7], v17, s6, v[20:21]
	v_cndmask_b32_e64 v19, v30, v26, s[0:1]
	v_cndmask_b32_e64 v17, v20, v28, s[0:1]
	;; [unrolled: 1-line block ×7, first 2 shown]
	v_sub_u32_e32 v23, 32, v15
	v_cmp_eq_u32_e64 s[6:7], 0, v15
	v_cndmask_b32_e64 v15, v26, v22, s[0:1]
	v_cndmask_b32_e64 v17, v17, v20, s[4:5]
	;; [unrolled: 1-line block ×4, first 2 shown]
	v_alignbit_b32 v25, v17, v20, v23
	v_cndmask_b32_e64 v19, v19, v21, s[4:5]
	v_cndmask_b32_e64 v18, v24, v18, s[0:1]
	;; [unrolled: 1-line block ×3, first 2 shown]
	v_alignbit_b32 v22, v20, v19, v23
	v_cndmask_b32_e64 v15, v15, v18, s[2:3]
	v_cndmask_b32_e64 v20, v22, v20, s[6:7]
	v_bfe_u32 v26, v17, 29, 1
	v_cndmask_b32_e64 v15, v21, v15, s[4:5]
	v_alignbit_b32 v22, v17, v20, 30
	v_sub_u32_e32 v27, 0, v26
	v_alignbit_b32 v18, v19, v15, v23
	v_xor_b32_e32 v22, v22, v27
	v_cndmask_b32_e64 v18, v18, v19, s[6:7]
	v_alignbit_b32 v19, v20, v18, 30
	v_ffbh_u32_e32 v20, v22
	v_min_u32_e32 v20, 32, v20
	v_alignbit_b32 v15, v18, v15, 30
	v_xor_b32_e32 v19, v19, v27
	v_sub_u32_e32 v21, 31, v20
	v_xor_b32_e32 v15, v15, v27
	v_alignbit_b32 v22, v22, v19, v21
	v_alignbit_b32 v15, v19, v15, v21
	;; [unrolled: 1-line block ×3, first 2 shown]
	v_ffbh_u32_e32 v19, v18
	v_min_u32_e32 v19, 32, v19
	v_lshrrev_b32_e32 v25, 29, v17
	v_not_b32_e32 v21, v19
	v_alignbit_b32 v15, v18, v15, v21
	v_lshlrev_b32_e32 v18, 31, v25
	v_or_b32_e32 v21, 0x33000000, v18
	v_add_lshl_u32 v19, v19, v20, 23
	v_lshrrev_b32_e32 v15, 9, v15
	v_sub_u32_e32 v19, v21, v19
	v_or_b32_e32 v18, 0.5, v18
	v_lshlrev_b32_e32 v20, 23, v20
	v_or_b32_e32 v15, v19, v15
	v_lshrrev_b32_e32 v19, 9, v22
	v_sub_u32_e32 v18, v18, v20
	v_or_b32_e32 v18, v19, v18
	s_mov_b32 s0, 0x3fc90fda
	v_mul_f32_e32 v19, 0x3fc90fda, v18
	v_fma_f32 v20, v18, s0, -v19
	v_fmamk_f32 v18, v18, 0x33a22168, v20
	v_fmac_f32_e32 v18, 0x3fc90fda, v15
	v_lshrrev_b32_e32 v17, 30, v17
	v_add_f32_e32 v15, v19, v18
	v_add_u32_e32 v17, v26, v17
.LBB134_25:
	s_andn2_saveexec_b64 s[0:1], s[10:11]
	s_cbranch_execz .LBB134_27
; %bb.26:
	s_mov_b32 s2, 0x3f22f983
	v_mul_f32_e64 v15, |v7|, s2
	v_rndne_f32_e32 v15, v15
	s_mov_b32 s2, 0xbfc90fda
	v_cvt_i32_f32_e32 v17, v15
	v_fma_f32 v18, v15, s2, |v7|
	v_fmamk_f32 v18, v15, 0xb3a22168, v18
	v_fmamk_f32 v15, v15, 0xa7c234c4, v18
.LBB134_27:
	s_or_b64 exec, exec, s[0:1]
	v_and_b32_e32 v18, 0x7fffffff, v13
	s_brev_b32 s0, 18
	v_cmp_nlt_f32_e64 s[10:11], |v13|, s0
	v_lshrrev_b32_e32 v21, 23, v18
                                        ; implicit-def: $vgpr20
                                        ; implicit-def: $vgpr19
	s_and_saveexec_b64 s[0:1], s[10:11]
	s_xor_b64 s[12:13], exec, s[0:1]
	s_cbranch_execz .LBB134_29
; %bb.28:
	v_add_u32_e32 v19, 0xffffff88, v21
	v_not_b32_e32 v20, 63
	v_cmp_lt_u32_e64 s[0:1], 63, v19
	s_mov_b32 s6, 0xfe5163ab
	v_mov_b32_e32 v25, 0
	v_cndmask_b32_e64 v20, 0, v20, s[0:1]
	v_add_u32_e32 v19, v20, v19
	v_not_b32_e32 v20, 31
	v_cmp_lt_u32_e64 s[2:3], 31, v19
	s_nop 1
	v_cndmask_b32_e64 v22, 0, v20, s[2:3]
	v_add_u32_e32 v19, v22, v19
	v_cmp_lt_u32_e64 s[4:5], 31, v19
	s_nop 1
	v_cndmask_b32_e64 v20, 0, v20, s[4:5]
	v_add_u32_e32 v19, v20, v19
	v_and_b32_e32 v20, 0x7fffff, v18
	v_or_b32_e32 v20, 0x800000, v20
	v_mad_u64_u32 v[22:23], s[6:7], v20, s6, 0
	v_mov_b32_e32 v24, v23
	s_mov_b32 s6, 0x3c439041
	v_mad_u64_u32 v[26:27], s[6:7], v20, s6, v[24:25]
	v_mov_b32_e32 v24, v27
	s_mov_b32 s6, 0xdb629599
	;; [unrolled: 3-line block ×6, first 2 shown]
	v_mad_u64_u32 v[24:25], s[6:7], v20, s6, v[24:25]
	v_cndmask_b32_e64 v23, v34, v30, s[0:1]
	v_cndmask_b32_e64 v20, v24, v32, s[0:1]
	;; [unrolled: 1-line block ×7, first 2 shown]
	v_sub_u32_e32 v27, 32, v19
	v_cmp_eq_u32_e64 s[6:7], 0, v19
	v_cndmask_b32_e64 v19, v30, v26, s[0:1]
	v_cndmask_b32_e64 v20, v20, v24, s[4:5]
	;; [unrolled: 1-line block ×4, first 2 shown]
	v_alignbit_b32 v29, v20, v24, v27
	v_cndmask_b32_e64 v23, v23, v25, s[4:5]
	v_cndmask_b32_e64 v22, v28, v22, s[0:1]
	v_cndmask_b32_e64 v20, v29, v20, s[6:7]
	v_alignbit_b32 v26, v24, v23, v27
	v_cndmask_b32_e64 v19, v19, v22, s[2:3]
	v_cndmask_b32_e64 v24, v26, v24, s[6:7]
	v_bfe_u32 v30, v20, 29, 1
	v_cndmask_b32_e64 v19, v25, v19, s[4:5]
	v_alignbit_b32 v26, v20, v24, 30
	v_sub_u32_e32 v31, 0, v30
	v_alignbit_b32 v22, v23, v19, v27
	v_xor_b32_e32 v26, v26, v31
	v_cndmask_b32_e64 v22, v22, v23, s[6:7]
	v_alignbit_b32 v23, v24, v22, 30
	v_ffbh_u32_e32 v24, v26
	v_min_u32_e32 v24, 32, v24
	v_alignbit_b32 v19, v22, v19, 30
	v_xor_b32_e32 v23, v23, v31
	v_sub_u32_e32 v25, 31, v24
	v_xor_b32_e32 v19, v19, v31
	v_alignbit_b32 v26, v26, v23, v25
	v_alignbit_b32 v19, v23, v19, v25
	;; [unrolled: 1-line block ×3, first 2 shown]
	v_ffbh_u32_e32 v23, v22
	v_min_u32_e32 v23, 32, v23
	v_lshrrev_b32_e32 v29, 29, v20
	v_not_b32_e32 v25, v23
	v_alignbit_b32 v19, v22, v19, v25
	v_lshlrev_b32_e32 v22, 31, v29
	v_or_b32_e32 v25, 0x33000000, v22
	v_add_lshl_u32 v23, v23, v24, 23
	v_lshrrev_b32_e32 v19, 9, v19
	v_sub_u32_e32 v23, v25, v23
	v_or_b32_e32 v22, 0.5, v22
	v_lshlrev_b32_e32 v24, 23, v24
	v_or_b32_e32 v19, v23, v19
	v_lshrrev_b32_e32 v23, 9, v26
	v_sub_u32_e32 v22, v22, v24
	v_or_b32_e32 v22, v23, v22
	s_mov_b32 s0, 0x3fc90fda
	v_mul_f32_e32 v23, 0x3fc90fda, v22
	v_fma_f32 v24, v22, s0, -v23
	v_fmamk_f32 v22, v22, 0x33a22168, v24
	v_fmac_f32_e32 v22, 0x3fc90fda, v19
	v_lshrrev_b32_e32 v20, 30, v20
	v_add_f32_e32 v19, v23, v22
	v_add_u32_e32 v20, v30, v20
	s_andn2_saveexec_b64 s[0:1], s[12:13]
	s_cbranch_execz .LBB134_31
	s_branch .LBB134_30
.LBB134_29:
	s_andn2_saveexec_b64 s[0:1], s[12:13]
	s_cbranch_execz .LBB134_31
.LBB134_30:
	s_mov_b32 s2, 0x3f22f983
	v_mul_f32_e64 v19, |v13|, s2
	v_rndne_f32_e32 v19, v19
	s_mov_b32 s2, 0xbfc90fda
	v_cvt_i32_f32_e32 v20, v19
	v_fma_f32 v22, v19, s2, |v13|
	v_fmamk_f32 v22, v19, 0xb3a22168, v22
	v_fmamk_f32 v19, v19, 0xa7c234c4, v22
.LBB134_31:
	s_or_b64 exec, exec, s[0:1]
                                        ; implicit-def: $vgpr22
                                        ; implicit-def: $vgpr23
	s_and_saveexec_b64 s[0:1], s[10:11]
	s_xor_b64 s[10:11], exec, s[0:1]
	s_cbranch_execz .LBB134_33
; %bb.32:
	v_add_u32_e32 v21, 0xffffff88, v21
	v_not_b32_e32 v22, 63
	v_cmp_lt_u32_e64 s[0:1], 63, v21
	s_mov_b32 s6, 0xfe5163ab
	v_mov_b32_e32 v25, 0
	v_cndmask_b32_e64 v22, 0, v22, s[0:1]
	v_add_u32_e32 v21, v22, v21
	v_not_b32_e32 v22, 31
	v_cmp_lt_u32_e64 s[2:3], 31, v21
	s_nop 1
	v_cndmask_b32_e64 v23, 0, v22, s[2:3]
	v_add_u32_e32 v21, v23, v21
	v_cmp_lt_u32_e64 s[4:5], 31, v21
	s_nop 1
	v_cndmask_b32_e64 v22, 0, v22, s[4:5]
	v_add_u32_e32 v21, v22, v21
	v_and_b32_e32 v22, 0x7fffff, v18
	v_or_b32_e32 v36, 0x800000, v22
	v_mad_u64_u32 v[22:23], s[6:7], v36, s6, 0
	v_mov_b32_e32 v24, v23
	s_mov_b32 s6, 0x3c439041
	v_mad_u64_u32 v[26:27], s[6:7], v36, s6, v[24:25]
	v_mov_b32_e32 v24, v27
	s_mov_b32 s6, 0xdb629599
	;; [unrolled: 3-line block ×6, first 2 shown]
	v_mad_u64_u32 v[24:25], s[6:7], v36, s6, v[24:25]
	v_cndmask_b32_e64 v23, v34, v30, s[0:1]
	v_cndmask_b32_e64 v24, v24, v32, s[0:1]
	;; [unrolled: 1-line block ×9, first 2 shown]
	v_sub_u32_e32 v29, 32, v21
	v_alignbit_b32 v31, v24, v27, v29
	v_cmp_eq_u32_e64 s[6:7], 0, v21
	v_cndmask_b32_e64 v22, v28, v22, s[0:1]
	s_nop 0
	v_cndmask_b32_e64 v21, v31, v24, s[6:7]
	v_cndmask_b32_e64 v24, v30, v26, s[0:1]
	;; [unrolled: 1-line block ×4, first 2 shown]
	v_alignbit_b32 v26, v27, v23, v29
	v_cndmask_b32_e64 v26, v26, v27, s[6:7]
	v_bfe_u32 v31, v21, 29, 1
	v_cndmask_b32_e64 v22, v24, v22, s[2:3]
	v_alignbit_b32 v27, v21, v26, 30
	v_sub_u32_e32 v32, 0, v31
	v_cndmask_b32_e64 v22, v25, v22, s[4:5]
	v_xor_b32_e32 v27, v27, v32
	v_alignbit_b32 v24, v23, v22, v29
	v_cndmask_b32_e64 v23, v24, v23, s[6:7]
	v_ffbh_u32_e32 v25, v27
	v_alignbit_b32 v24, v26, v23, 30
	v_min_u32_e32 v25, 32, v25
	v_alignbit_b32 v22, v23, v22, 30
	v_xor_b32_e32 v24, v24, v32
	v_sub_u32_e32 v26, 31, v25
	v_xor_b32_e32 v22, v22, v32
	v_alignbit_b32 v27, v27, v24, v26
	v_alignbit_b32 v22, v24, v22, v26
	;; [unrolled: 1-line block ×3, first 2 shown]
	v_ffbh_u32_e32 v24, v23
	v_min_u32_e32 v24, 32, v24
	v_lshrrev_b32_e32 v30, 29, v21
	v_not_b32_e32 v26, v24
	v_alignbit_b32 v22, v23, v22, v26
	v_lshlrev_b32_e32 v23, 31, v30
	v_or_b32_e32 v26, 0x33000000, v23
	v_add_lshl_u32 v24, v24, v25, 23
	v_lshrrev_b32_e32 v22, 9, v22
	v_sub_u32_e32 v24, v26, v24
	v_or_b32_e32 v23, 0.5, v23
	v_lshlrev_b32_e32 v25, 23, v25
	v_or_b32_e32 v22, v24, v22
	v_lshrrev_b32_e32 v24, 9, v27
	v_sub_u32_e32 v23, v23, v25
	v_or_b32_e32 v23, v24, v23
	s_mov_b32 s0, 0x3fc90fda
	v_mul_f32_e32 v24, 0x3fc90fda, v23
	v_fma_f32 v25, v23, s0, -v24
	v_fmamk_f32 v23, v23, 0x33a22168, v25
	v_fmac_f32_e32 v23, 0x3fc90fda, v22
	v_lshrrev_b32_e32 v21, 30, v21
	v_add_f32_e32 v23, v24, v23
	v_add_u32_e32 v22, v31, v21
	s_andn2_saveexec_b64 s[0:1], s[10:11]
	s_cbranch_execnz .LBB134_34
	s_branch .LBB134_35
.LBB134_33:
	s_andn2_saveexec_b64 s[0:1], s[10:11]
	s_cbranch_execz .LBB134_35
.LBB134_34:
	s_mov_b32 s2, 0x3f22f983
	v_mul_f32_e64 v21, |v13|, s2
	v_rndne_f32_e32 v21, v21
	s_mov_b32 s2, 0xbfc90fda
	v_cvt_i32_f32_e32 v22, v21
	v_fma_f32 v23, v21, s2, |v13|
	v_fmamk_f32 v23, v21, 0xb3a22168, v23
	v_fmamk_f32 v23, v21, 0xa7c234c4, v23
.LBB134_35:
	s_or_b64 exec, exec, s[0:1]
	v_mul_f32_e32 v21, 0x3fb8aa3b, v12
	s_mov_b32 s0, 0x3fb8aa3b
	v_rndne_f32_e32 v24, v21
	v_sub_f32_e32 v25, v21, v24
	v_fma_f32 v21, v12, s0, -v21
	v_fmamk_f32 v21, v12, 0x32a5705f, v21
	v_add_f32_e32 v21, v25, v21
	v_exp_f32_e32 v21, v21
	v_cvt_i32_f32_e32 v25, v24
	s_mov_b32 s0, 0xc2ce8ed0
	v_cmp_ngt_f32_e64 s[0:1], s0, v12
	v_mov_b32_e32 v26, 0x7f800000
	v_ldexp_f32 v21, v21, v25
	v_cndmask_b32_e64 v21, 0, v21, s[0:1]
	s_mov_b32 s0, 0x42b17218
	v_cmp_nlt_f32_e64 s[0:1], s0, v12
	v_ldexp_f32 v25, 1.0, v25
	v_mov_b32_e32 v27, 0x7f000000
	v_cndmask_b32_e64 v21, v26, v21, s[0:1]
	s_mov_b32 s0, 0x43000000
	v_cmp_eq_f32_e64 s[0:1], s0, v24
	v_mov_b32_e32 v30, 0x3c0881c4
	s_brev_b32 s5, 1
	v_cndmask_b32_e64 v25, v25, v27, s[0:1]
	v_fmamk_f32 v27, v24, 0xbf317218, v12
	v_fmamk_f32 v24, v24, 0x3102e308, v27
	v_mov_b32_e32 v27, 0x3ab69700
	v_fmac_f32_e32 v27, 0x395133b1, v24
	v_fmaak_f32 v27, v24, v27, 0x3c0887f9
	v_fmaak_f32 v27, v24, v27, 0x3d2aaa81
	;; [unrolled: 1-line block ×3, first 2 shown]
	v_fma_f32 v27, v24, v27, 0.5
	v_mul_f32_e32 v27, v24, v27
	v_fmac_f32_e32 v24, v24, v27
	v_add_f32_e32 v27, -1.0, v25
	v_fmac_f32_e32 v27, v25, v24
	v_add_f32_e32 v24, v27, v27
	v_cndmask_b32_e64 v24, v27, v24, s[0:1]
	s_mov_b32 s0, 0x42b17217
	v_cmp_nlt_f32_e64 s[0:1], s0, v12
	v_mul_f32_e32 v25, v19, v19
	v_fmamk_f32 v31, v25, 0xb94c1982, v30
	v_cndmask_b32_e64 v24, v26, v24, s[0:1]
	v_mov_b32_e32 v26, 0xbab64f3b
	v_fmamk_f32 v27, v25, 0x37d75334, v26
	s_mov_b32 s0, 0xc1880000
	v_fmaak_f32 v27, v25, v27, 0x3d2aabf7
	v_cmp_ngt_f32_e64 s[0:1], s0, v12
	v_fmaak_f32 v27, v25, v27, 0xbf000004
	v_fmaak_f32 v31, v25, v31, 0xbe2aaa9d
	v_cndmask_b32_e64 v12, -1.0, v24, s[0:1]
	v_lshlrev_b32_e32 v24, 30, v20
	v_and_b32_e32 v20, 1, v20
	v_fma_f32 v27, v25, v27, 1.0
	v_mul_f32_e32 v25, v25, v31
	v_fmac_f32_e32 v19, v19, v25
	v_cmp_eq_u32_e64 s[0:1], 0, v20
	v_xor_b32_e32 v14, v14, v7
	s_movk_i32 s4, 0x1f8
	v_cndmask_b32_e64 v19, -v19, v27, s[0:1]
	v_bitop3_b32 v19, v24, v19, s5 bitop3:0x6c
	v_lshlrev_b32_e32 v24, 30, v17
	v_and_b32_e32 v24, 0x80000000, v24
	v_xor_b32_e32 v14, v14, v24
	v_mul_f32_e32 v24, v15, v15
	v_fmamk_f32 v25, v24, 0xb94c1982, v30
	v_fmaak_f32 v25, v24, v25, 0xbe2aaa9d
	v_mul_f32_e32 v25, v24, v25
	v_fmac_f32_e32 v15, v15, v25
	v_fmamk_f32 v25, v24, 0x37d75334, v26
	v_fmaak_f32 v25, v24, v25, 0x3d2aabf7
	v_and_b32_e32 v17, 1, v17
	v_fmaak_f32 v25, v24, v25, 0xbf000004
	v_fma_f32 v24, v24, v25, 1.0
	v_cmp_eq_u32_e64 s[2:3], 0, v17
	v_mov_b32_e32 v20, 0x7fc00000
	v_cmp_class_f32_e64 s[0:1], v13, s4
	v_cndmask_b32_e64 v15, v24, v15, s[2:3]
	v_xor_b32_e32 v14, v14, v15
	v_cmp_class_f32_e64 s[2:3], v7, s4
	v_cndmask_b32_e64 v19, v20, v19, s[0:1]
	v_mov_b32_e32 v32, 0xbe2aaa9d
	v_cndmask_b32_e64 v7, v20, v14, s[2:3]
	v_add_f32_e32 v14, v7, v7
	v_mul_f32_e32 v7, v7, v14
	v_fma_f32 v14, v12, v19, -v7
	v_mul_f32_e32 v7, v23, v23
	v_fmac_f32_e32 v30, 0xb94c1982, v7
	v_mov_b32_e32 v28, 0x3d2aabf7
	v_fmac_f32_e32 v32, v7, v30
	v_fmac_f32_e32 v26, 0x37d75334, v7
	v_mov_b32_e32 v29, 0xbf000004
	v_mul_f32_e32 v12, v7, v32
	v_fmac_f32_e32 v28, v7, v26
	v_fmac_f32_e32 v23, v23, v12
	;; [unrolled: 1-line block ×3, first 2 shown]
	v_and_b32_e32 v12, 1, v22
	v_fma_f32 v7, v7, v29, 1.0
	v_cmp_eq_u32_e64 s[2:3], 0, v12
	v_lshlrev_b32_e32 v12, 30, v22
	v_bitop3_b32 v12, v18, v12, s5 bitop3:0x78
	v_cndmask_b32_e64 v7, v7, v23, s[2:3]
	v_xor_b32_e32 v7, v12, v7
	v_xor_b32_e32 v7, v7, v13
	v_cndmask_b32_e64 v7, v20, v7, s[0:1]
	v_mul_f32_e32 v15, v21, v7
.LBB134_36:
	s_or_b64 exec, exec, s[8:9]
	v_add_u32_e32 v7, 0x200, v5
	v_cmp_lt_i32_e64 s[0:1], v7, v4
	v_mov_b32_e32 v13, 0
	v_mov_b32_e32 v12, 0
	s_and_saveexec_b64 s[8:9], s[0:1]
	s_cbranch_execz .LBB134_50
; %bb.37:
	v_mul_f32_e32 v7, 0.5, v11
	s_brev_b32 s0, 18
	v_and_b32_e32 v12, 0x7fffffff, v7
	v_cmp_nlt_f32_e64 s[0:1], |v7|, s0
                                        ; implicit-def: $vgpr17
                                        ; implicit-def: $vgpr13
	s_and_saveexec_b64 s[2:3], s[0:1]
	s_xor_b64 s[10:11], exec, s[2:3]
	s_cbranch_execz .LBB134_39
; %bb.38:
	v_lshrrev_b32_e32 v13, 23, v12
	v_add_u32_e32 v13, 0xffffff88, v13
	v_not_b32_e32 v17, 63
	v_cmp_lt_u32_e64 s[0:1], 63, v13
	s_mov_b32 s6, 0xfe5163ab
	v_mov_b32_e32 v21, 0
	v_cndmask_b32_e64 v17, 0, v17, s[0:1]
	v_add_u32_e32 v13, v17, v13
	v_not_b32_e32 v17, 31
	v_cmp_lt_u32_e64 s[2:3], 31, v13
	s_nop 1
	v_cndmask_b32_e64 v18, 0, v17, s[2:3]
	v_add_u32_e32 v13, v18, v13
	v_cmp_lt_u32_e64 s[4:5], 31, v13
	s_nop 1
	v_cndmask_b32_e64 v17, 0, v17, s[4:5]
	v_add_u32_e32 v13, v17, v13
	v_and_b32_e32 v17, 0x7fffff, v12
	v_or_b32_e32 v17, 0x800000, v17
	v_mad_u64_u32 v[18:19], s[6:7], v17, s6, 0
	v_mov_b32_e32 v20, v19
	s_mov_b32 s6, 0x3c439041
	v_mad_u64_u32 v[22:23], s[6:7], v17, s6, v[20:21]
	v_mov_b32_e32 v20, v23
	s_mov_b32 s6, 0xdb629599
	;; [unrolled: 3-line block ×6, first 2 shown]
	v_mad_u64_u32 v[20:21], s[6:7], v17, s6, v[20:21]
	v_cndmask_b32_e64 v19, v30, v26, s[0:1]
	v_cndmask_b32_e64 v17, v20, v28, s[0:1]
	;; [unrolled: 1-line block ×7, first 2 shown]
	v_sub_u32_e32 v23, 32, v13
	v_cmp_eq_u32_e64 s[6:7], 0, v13
	v_cndmask_b32_e64 v13, v26, v22, s[0:1]
	v_cndmask_b32_e64 v17, v17, v20, s[4:5]
	;; [unrolled: 1-line block ×4, first 2 shown]
	v_alignbit_b32 v25, v17, v20, v23
	v_cndmask_b32_e64 v19, v19, v21, s[4:5]
	v_cndmask_b32_e64 v18, v24, v18, s[0:1]
	;; [unrolled: 1-line block ×3, first 2 shown]
	v_alignbit_b32 v22, v20, v19, v23
	v_cndmask_b32_e64 v13, v13, v18, s[2:3]
	v_cndmask_b32_e64 v20, v22, v20, s[6:7]
	v_bfe_u32 v26, v17, 29, 1
	v_cndmask_b32_e64 v13, v21, v13, s[4:5]
	v_alignbit_b32 v22, v17, v20, 30
	v_sub_u32_e32 v27, 0, v26
	v_alignbit_b32 v18, v19, v13, v23
	v_xor_b32_e32 v22, v22, v27
	v_cndmask_b32_e64 v18, v18, v19, s[6:7]
	v_alignbit_b32 v19, v20, v18, 30
	v_ffbh_u32_e32 v20, v22
	v_min_u32_e32 v20, 32, v20
	v_alignbit_b32 v13, v18, v13, 30
	v_xor_b32_e32 v19, v19, v27
	v_sub_u32_e32 v21, 31, v20
	v_xor_b32_e32 v13, v13, v27
	v_alignbit_b32 v22, v22, v19, v21
	v_alignbit_b32 v13, v19, v13, v21
	;; [unrolled: 1-line block ×3, first 2 shown]
	v_ffbh_u32_e32 v19, v18
	v_min_u32_e32 v19, 32, v19
	v_lshrrev_b32_e32 v25, 29, v17
	v_not_b32_e32 v21, v19
	v_alignbit_b32 v13, v18, v13, v21
	v_lshlrev_b32_e32 v18, 31, v25
	v_or_b32_e32 v21, 0x33000000, v18
	v_add_lshl_u32 v19, v19, v20, 23
	v_lshrrev_b32_e32 v13, 9, v13
	v_sub_u32_e32 v19, v21, v19
	v_or_b32_e32 v18, 0.5, v18
	v_lshlrev_b32_e32 v20, 23, v20
	v_or_b32_e32 v13, v19, v13
	v_lshrrev_b32_e32 v19, 9, v22
	v_sub_u32_e32 v18, v18, v20
	v_or_b32_e32 v18, v19, v18
	s_mov_b32 s0, 0x3fc90fda
	v_mul_f32_e32 v19, 0x3fc90fda, v18
	v_fma_f32 v20, v18, s0, -v19
	v_fmamk_f32 v18, v18, 0x33a22168, v20
	v_fmac_f32_e32 v18, 0x3fc90fda, v13
	v_lshrrev_b32_e32 v17, 30, v17
	v_add_f32_e32 v13, v19, v18
	v_add_u32_e32 v17, v26, v17
.LBB134_39:
	s_andn2_saveexec_b64 s[0:1], s[10:11]
	s_cbranch_execz .LBB134_41
; %bb.40:
	s_mov_b32 s2, 0x3f22f983
	v_mul_f32_e64 v13, |v7|, s2
	v_rndne_f32_e32 v13, v13
	s_mov_b32 s2, 0xbfc90fda
	v_cvt_i32_f32_e32 v17, v13
	v_fma_f32 v18, v13, s2, |v7|
	v_fmamk_f32 v18, v13, 0xb3a22168, v18
	v_fmamk_f32 v13, v13, 0xa7c234c4, v18
.LBB134_41:
	s_or_b64 exec, exec, s[0:1]
	v_and_b32_e32 v18, 0x7fffffff, v11
	s_brev_b32 s0, 18
	v_cmp_nlt_f32_e64 s[10:11], |v11|, s0
	v_lshrrev_b32_e32 v21, 23, v18
                                        ; implicit-def: $vgpr20
                                        ; implicit-def: $vgpr19
	s_and_saveexec_b64 s[0:1], s[10:11]
	s_xor_b64 s[12:13], exec, s[0:1]
	s_cbranch_execz .LBB134_43
; %bb.42:
	v_add_u32_e32 v19, 0xffffff88, v21
	v_not_b32_e32 v20, 63
	v_cmp_lt_u32_e64 s[0:1], 63, v19
	s_mov_b32 s6, 0xfe5163ab
	v_mov_b32_e32 v25, 0
	v_cndmask_b32_e64 v20, 0, v20, s[0:1]
	v_add_u32_e32 v19, v20, v19
	v_not_b32_e32 v20, 31
	v_cmp_lt_u32_e64 s[2:3], 31, v19
	s_nop 1
	v_cndmask_b32_e64 v22, 0, v20, s[2:3]
	v_add_u32_e32 v19, v22, v19
	v_cmp_lt_u32_e64 s[4:5], 31, v19
	s_nop 1
	v_cndmask_b32_e64 v20, 0, v20, s[4:5]
	v_add_u32_e32 v19, v20, v19
	v_and_b32_e32 v20, 0x7fffff, v18
	v_or_b32_e32 v20, 0x800000, v20
	v_mad_u64_u32 v[22:23], s[6:7], v20, s6, 0
	v_mov_b32_e32 v24, v23
	s_mov_b32 s6, 0x3c439041
	v_mad_u64_u32 v[26:27], s[6:7], v20, s6, v[24:25]
	v_mov_b32_e32 v24, v27
	s_mov_b32 s6, 0xdb629599
	;; [unrolled: 3-line block ×6, first 2 shown]
	v_mad_u64_u32 v[24:25], s[6:7], v20, s6, v[24:25]
	v_cndmask_b32_e64 v23, v34, v30, s[0:1]
	v_cndmask_b32_e64 v20, v24, v32, s[0:1]
	;; [unrolled: 1-line block ×7, first 2 shown]
	v_sub_u32_e32 v27, 32, v19
	v_cmp_eq_u32_e64 s[6:7], 0, v19
	v_cndmask_b32_e64 v19, v30, v26, s[0:1]
	v_cndmask_b32_e64 v20, v20, v24, s[4:5]
	;; [unrolled: 1-line block ×4, first 2 shown]
	v_alignbit_b32 v29, v20, v24, v27
	v_cndmask_b32_e64 v23, v23, v25, s[4:5]
	v_cndmask_b32_e64 v22, v28, v22, s[0:1]
	;; [unrolled: 1-line block ×3, first 2 shown]
	v_alignbit_b32 v26, v24, v23, v27
	v_cndmask_b32_e64 v19, v19, v22, s[2:3]
	v_cndmask_b32_e64 v24, v26, v24, s[6:7]
	v_bfe_u32 v30, v20, 29, 1
	v_cndmask_b32_e64 v19, v25, v19, s[4:5]
	v_alignbit_b32 v26, v20, v24, 30
	v_sub_u32_e32 v31, 0, v30
	v_alignbit_b32 v22, v23, v19, v27
	v_xor_b32_e32 v26, v26, v31
	v_cndmask_b32_e64 v22, v22, v23, s[6:7]
	v_alignbit_b32 v23, v24, v22, 30
	v_ffbh_u32_e32 v24, v26
	v_min_u32_e32 v24, 32, v24
	v_alignbit_b32 v19, v22, v19, 30
	v_xor_b32_e32 v23, v23, v31
	v_sub_u32_e32 v25, 31, v24
	v_xor_b32_e32 v19, v19, v31
	v_alignbit_b32 v26, v26, v23, v25
	v_alignbit_b32 v19, v23, v19, v25
	;; [unrolled: 1-line block ×3, first 2 shown]
	v_ffbh_u32_e32 v23, v22
	v_min_u32_e32 v23, 32, v23
	v_lshrrev_b32_e32 v29, 29, v20
	v_not_b32_e32 v25, v23
	v_alignbit_b32 v19, v22, v19, v25
	v_lshlrev_b32_e32 v22, 31, v29
	v_or_b32_e32 v25, 0x33000000, v22
	v_add_lshl_u32 v23, v23, v24, 23
	v_lshrrev_b32_e32 v19, 9, v19
	v_sub_u32_e32 v23, v25, v23
	v_or_b32_e32 v22, 0.5, v22
	v_lshlrev_b32_e32 v24, 23, v24
	v_or_b32_e32 v19, v23, v19
	v_lshrrev_b32_e32 v23, 9, v26
	v_sub_u32_e32 v22, v22, v24
	v_or_b32_e32 v22, v23, v22
	s_mov_b32 s0, 0x3fc90fda
	v_mul_f32_e32 v23, 0x3fc90fda, v22
	v_fma_f32 v24, v22, s0, -v23
	v_fmamk_f32 v22, v22, 0x33a22168, v24
	v_fmac_f32_e32 v22, 0x3fc90fda, v19
	v_lshrrev_b32_e32 v20, 30, v20
	v_add_f32_e32 v19, v23, v22
	v_add_u32_e32 v20, v30, v20
	s_andn2_saveexec_b64 s[0:1], s[12:13]
	s_cbranch_execz .LBB134_45
	s_branch .LBB134_44
.LBB134_43:
	s_andn2_saveexec_b64 s[0:1], s[12:13]
	s_cbranch_execz .LBB134_45
.LBB134_44:
	s_mov_b32 s2, 0x3f22f983
	v_mul_f32_e64 v19, |v11|, s2
	v_rndne_f32_e32 v19, v19
	s_mov_b32 s2, 0xbfc90fda
	v_cvt_i32_f32_e32 v20, v19
	v_fma_f32 v22, v19, s2, |v11|
	v_fmamk_f32 v22, v19, 0xb3a22168, v22
	v_fmamk_f32 v19, v19, 0xa7c234c4, v22
.LBB134_45:
	s_or_b64 exec, exec, s[0:1]
                                        ; implicit-def: $vgpr22
                                        ; implicit-def: $vgpr23
	s_and_saveexec_b64 s[0:1], s[10:11]
	s_xor_b64 s[10:11], exec, s[0:1]
	s_cbranch_execz .LBB134_47
; %bb.46:
	v_add_u32_e32 v21, 0xffffff88, v21
	v_not_b32_e32 v22, 63
	v_cmp_lt_u32_e64 s[0:1], 63, v21
	s_mov_b32 s6, 0xfe5163ab
	v_mov_b32_e32 v25, 0
	v_cndmask_b32_e64 v22, 0, v22, s[0:1]
	v_add_u32_e32 v21, v22, v21
	v_not_b32_e32 v22, 31
	v_cmp_lt_u32_e64 s[2:3], 31, v21
	s_nop 1
	v_cndmask_b32_e64 v23, 0, v22, s[2:3]
	v_add_u32_e32 v21, v23, v21
	v_cmp_lt_u32_e64 s[4:5], 31, v21
	s_nop 1
	v_cndmask_b32_e64 v22, 0, v22, s[4:5]
	v_add_u32_e32 v21, v22, v21
	v_and_b32_e32 v22, 0x7fffff, v18
	v_or_b32_e32 v36, 0x800000, v22
	v_mad_u64_u32 v[22:23], s[6:7], v36, s6, 0
	v_mov_b32_e32 v24, v23
	s_mov_b32 s6, 0x3c439041
	v_mad_u64_u32 v[26:27], s[6:7], v36, s6, v[24:25]
	v_mov_b32_e32 v24, v27
	s_mov_b32 s6, 0xdb629599
	;; [unrolled: 3-line block ×6, first 2 shown]
	v_mad_u64_u32 v[24:25], s[6:7], v36, s6, v[24:25]
	v_cndmask_b32_e64 v23, v34, v30, s[0:1]
	v_cndmask_b32_e64 v24, v24, v32, s[0:1]
	;; [unrolled: 1-line block ×9, first 2 shown]
	v_sub_u32_e32 v29, 32, v21
	v_alignbit_b32 v31, v24, v27, v29
	v_cmp_eq_u32_e64 s[6:7], 0, v21
	v_cndmask_b32_e64 v22, v28, v22, s[0:1]
	s_nop 0
	v_cndmask_b32_e64 v21, v31, v24, s[6:7]
	v_cndmask_b32_e64 v24, v30, v26, s[0:1]
	;; [unrolled: 1-line block ×4, first 2 shown]
	v_alignbit_b32 v26, v27, v23, v29
	v_cndmask_b32_e64 v26, v26, v27, s[6:7]
	v_bfe_u32 v31, v21, 29, 1
	v_cndmask_b32_e64 v22, v24, v22, s[2:3]
	v_alignbit_b32 v27, v21, v26, 30
	v_sub_u32_e32 v32, 0, v31
	v_cndmask_b32_e64 v22, v25, v22, s[4:5]
	v_xor_b32_e32 v27, v27, v32
	v_alignbit_b32 v24, v23, v22, v29
	v_cndmask_b32_e64 v23, v24, v23, s[6:7]
	v_ffbh_u32_e32 v25, v27
	v_alignbit_b32 v24, v26, v23, 30
	v_min_u32_e32 v25, 32, v25
	v_alignbit_b32 v22, v23, v22, 30
	v_xor_b32_e32 v24, v24, v32
	v_sub_u32_e32 v26, 31, v25
	v_xor_b32_e32 v22, v22, v32
	v_alignbit_b32 v27, v27, v24, v26
	v_alignbit_b32 v22, v24, v22, v26
	;; [unrolled: 1-line block ×3, first 2 shown]
	v_ffbh_u32_e32 v24, v23
	v_min_u32_e32 v24, 32, v24
	v_lshrrev_b32_e32 v30, 29, v21
	v_not_b32_e32 v26, v24
	v_alignbit_b32 v22, v23, v22, v26
	v_lshlrev_b32_e32 v23, 31, v30
	v_or_b32_e32 v26, 0x33000000, v23
	v_add_lshl_u32 v24, v24, v25, 23
	v_lshrrev_b32_e32 v22, 9, v22
	v_sub_u32_e32 v24, v26, v24
	v_or_b32_e32 v23, 0.5, v23
	v_lshlrev_b32_e32 v25, 23, v25
	v_or_b32_e32 v22, v24, v22
	v_lshrrev_b32_e32 v24, 9, v27
	v_sub_u32_e32 v23, v23, v25
	v_or_b32_e32 v23, v24, v23
	s_mov_b32 s0, 0x3fc90fda
	v_mul_f32_e32 v24, 0x3fc90fda, v23
	v_fma_f32 v25, v23, s0, -v24
	v_fmamk_f32 v23, v23, 0x33a22168, v25
	v_fmac_f32_e32 v23, 0x3fc90fda, v22
	v_lshrrev_b32_e32 v21, 30, v21
	v_add_f32_e32 v23, v24, v23
	v_add_u32_e32 v22, v31, v21
	s_andn2_saveexec_b64 s[0:1], s[10:11]
	s_cbranch_execnz .LBB134_48
	s_branch .LBB134_49
.LBB134_47:
	s_andn2_saveexec_b64 s[0:1], s[10:11]
	s_cbranch_execz .LBB134_49
.LBB134_48:
	s_mov_b32 s2, 0x3f22f983
	v_mul_f32_e64 v21, |v11|, s2
	v_rndne_f32_e32 v21, v21
	s_mov_b32 s2, 0xbfc90fda
	v_cvt_i32_f32_e32 v22, v21
	v_fma_f32 v23, v21, s2, |v11|
	v_fmamk_f32 v23, v21, 0xb3a22168, v23
	v_fmamk_f32 v23, v21, 0xa7c234c4, v23
.LBB134_49:
	s_or_b64 exec, exec, s[0:1]
	v_mul_f32_e32 v21, 0x3fb8aa3b, v10
	s_mov_b32 s0, 0x3fb8aa3b
	v_rndne_f32_e32 v24, v21
	v_sub_f32_e32 v25, v21, v24
	v_fma_f32 v21, v10, s0, -v21
	v_fmamk_f32 v21, v10, 0x32a5705f, v21
	v_add_f32_e32 v21, v25, v21
	v_exp_f32_e32 v21, v21
	v_cvt_i32_f32_e32 v25, v24
	s_mov_b32 s0, 0xc2ce8ed0
	v_cmp_ngt_f32_e64 s[0:1], s0, v10
	v_mov_b32_e32 v26, 0x7f800000
	v_ldexp_f32 v21, v21, v25
	v_cndmask_b32_e64 v21, 0, v21, s[0:1]
	s_mov_b32 s0, 0x42b17218
	v_cmp_nlt_f32_e64 s[0:1], s0, v10
	v_ldexp_f32 v25, 1.0, v25
	v_mov_b32_e32 v27, 0x7f000000
	v_cndmask_b32_e64 v21, v26, v21, s[0:1]
	s_mov_b32 s0, 0x43000000
	v_cmp_eq_f32_e64 s[0:1], s0, v24
	v_mov_b32_e32 v30, 0x3c0881c4
	s_brev_b32 s5, 1
	v_cndmask_b32_e64 v25, v25, v27, s[0:1]
	v_fmamk_f32 v27, v24, 0xbf317218, v10
	v_fmamk_f32 v24, v24, 0x3102e308, v27
	v_mov_b32_e32 v27, 0x3ab69700
	v_fmac_f32_e32 v27, 0x395133b1, v24
	v_fmaak_f32 v27, v24, v27, 0x3c0887f9
	v_fmaak_f32 v27, v24, v27, 0x3d2aaa81
	;; [unrolled: 1-line block ×3, first 2 shown]
	v_fma_f32 v27, v24, v27, 0.5
	v_mul_f32_e32 v27, v24, v27
	v_fmac_f32_e32 v24, v24, v27
	v_add_f32_e32 v27, -1.0, v25
	v_fmac_f32_e32 v27, v25, v24
	v_add_f32_e32 v24, v27, v27
	v_cndmask_b32_e64 v24, v27, v24, s[0:1]
	s_mov_b32 s0, 0x42b17217
	v_cmp_nlt_f32_e64 s[0:1], s0, v10
	v_mul_f32_e32 v25, v19, v19
	v_fmamk_f32 v31, v25, 0xb94c1982, v30
	v_cndmask_b32_e64 v24, v26, v24, s[0:1]
	v_mov_b32_e32 v26, 0xbab64f3b
	v_fmamk_f32 v27, v25, 0x37d75334, v26
	s_mov_b32 s0, 0xc1880000
	v_fmaak_f32 v27, v25, v27, 0x3d2aabf7
	v_cmp_ngt_f32_e64 s[0:1], s0, v10
	v_fmaak_f32 v27, v25, v27, 0xbf000004
	v_fmaak_f32 v31, v25, v31, 0xbe2aaa9d
	v_cndmask_b32_e64 v10, -1.0, v24, s[0:1]
	v_lshlrev_b32_e32 v24, 30, v20
	v_and_b32_e32 v20, 1, v20
	v_fma_f32 v27, v25, v27, 1.0
	v_mul_f32_e32 v25, v25, v31
	v_fmac_f32_e32 v19, v19, v25
	v_cmp_eq_u32_e64 s[0:1], 0, v20
	v_xor_b32_e32 v12, v12, v7
	s_movk_i32 s4, 0x1f8
	v_cndmask_b32_e64 v19, -v19, v27, s[0:1]
	v_bitop3_b32 v19, v24, v19, s5 bitop3:0x6c
	v_lshlrev_b32_e32 v24, 30, v17
	v_and_b32_e32 v24, 0x80000000, v24
	v_xor_b32_e32 v12, v12, v24
	v_mul_f32_e32 v24, v13, v13
	v_fmamk_f32 v25, v24, 0xb94c1982, v30
	v_fmaak_f32 v25, v24, v25, 0xbe2aaa9d
	v_mul_f32_e32 v25, v24, v25
	v_fmac_f32_e32 v13, v13, v25
	v_fmamk_f32 v25, v24, 0x37d75334, v26
	v_fmaak_f32 v25, v24, v25, 0x3d2aabf7
	v_and_b32_e32 v17, 1, v17
	v_fmaak_f32 v25, v24, v25, 0xbf000004
	v_fma_f32 v24, v24, v25, 1.0
	v_cmp_eq_u32_e64 s[2:3], 0, v17
	v_mov_b32_e32 v20, 0x7fc00000
	v_cmp_class_f32_e64 s[0:1], v11, s4
	v_cndmask_b32_e64 v13, v24, v13, s[2:3]
	v_xor_b32_e32 v12, v12, v13
	v_cmp_class_f32_e64 s[2:3], v7, s4
	v_cndmask_b32_e64 v19, v20, v19, s[0:1]
	v_mov_b32_e32 v32, 0xbe2aaa9d
	v_cndmask_b32_e64 v7, v20, v12, s[2:3]
	v_add_f32_e32 v12, v7, v7
	v_mul_f32_e32 v7, v7, v12
	v_fma_f32 v12, v10, v19, -v7
	v_mul_f32_e32 v7, v23, v23
	v_fmac_f32_e32 v30, 0xb94c1982, v7
	v_mov_b32_e32 v28, 0x3d2aabf7
	v_fmac_f32_e32 v32, v7, v30
	v_fmac_f32_e32 v26, 0x37d75334, v7
	v_mov_b32_e32 v29, 0xbf000004
	v_mul_f32_e32 v10, v7, v32
	v_fmac_f32_e32 v28, v7, v26
	v_fmac_f32_e32 v23, v23, v10
	;; [unrolled: 1-line block ×3, first 2 shown]
	v_and_b32_e32 v10, 1, v22
	v_fma_f32 v7, v7, v29, 1.0
	v_cmp_eq_u32_e64 s[2:3], 0, v10
	v_lshlrev_b32_e32 v10, 30, v22
	v_bitop3_b32 v10, v18, v10, s5 bitop3:0x78
	v_cndmask_b32_e64 v7, v7, v23, s[2:3]
	v_xor_b32_e32 v7, v10, v7
	v_xor_b32_e32 v7, v7, v11
	v_cndmask_b32_e64 v7, v20, v7, s[0:1]
	v_mul_f32_e32 v13, v21, v7
.LBB134_50:
	s_or_b64 exec, exec, s[8:9]
	v_add_u32_e32 v7, 0x300, v5
	v_cmp_lt_i32_e64 s[0:1], v7, v4
	v_mov_b32_e32 v11, 0
	v_mov_b32_e32 v10, 0
	s_and_saveexec_b64 s[8:9], s[0:1]
	s_cbranch_execz .LBB134_57
; %bb.51:
	v_mul_f32_e32 v7, 0.5, v9
	s_brev_b32 s0, 18
	v_and_b32_e32 v10, 0x7fffffff, v7
	v_cmp_nlt_f32_e64 s[0:1], |v7|, s0
                                        ; implicit-def: $vgpr17
                                        ; implicit-def: $vgpr11
	s_and_saveexec_b64 s[2:3], s[0:1]
	s_xor_b64 s[10:11], exec, s[2:3]
	s_cbranch_execz .LBB134_53
; %bb.52:
	v_lshrrev_b32_e32 v11, 23, v10
	v_add_u32_e32 v11, 0xffffff88, v11
	v_not_b32_e32 v17, 63
	v_cmp_lt_u32_e64 s[0:1], 63, v11
	s_mov_b32 s6, 0xfe5163ab
	v_mov_b32_e32 v21, 0
	v_cndmask_b32_e64 v17, 0, v17, s[0:1]
	v_add_u32_e32 v11, v17, v11
	v_not_b32_e32 v17, 31
	v_cmp_lt_u32_e64 s[2:3], 31, v11
	s_nop 1
	v_cndmask_b32_e64 v18, 0, v17, s[2:3]
	v_add_u32_e32 v11, v18, v11
	v_cmp_lt_u32_e64 s[4:5], 31, v11
	s_nop 1
	v_cndmask_b32_e64 v17, 0, v17, s[4:5]
	v_add_u32_e32 v11, v17, v11
	v_and_b32_e32 v17, 0x7fffff, v10
	v_or_b32_e32 v17, 0x800000, v17
	v_mad_u64_u32 v[18:19], s[6:7], v17, s6, 0
	v_mov_b32_e32 v20, v19
	s_mov_b32 s6, 0x3c439041
	v_mad_u64_u32 v[22:23], s[6:7], v17, s6, v[20:21]
	v_mov_b32_e32 v20, v23
	s_mov_b32 s6, 0xdb629599
	;; [unrolled: 3-line block ×6, first 2 shown]
	v_mad_u64_u32 v[20:21], s[6:7], v17, s6, v[20:21]
	v_cndmask_b32_e64 v19, v30, v26, s[0:1]
	v_cndmask_b32_e64 v17, v20, v28, s[0:1]
	;; [unrolled: 1-line block ×7, first 2 shown]
	v_sub_u32_e32 v23, 32, v11
	v_cmp_eq_u32_e64 s[6:7], 0, v11
	v_cndmask_b32_e64 v11, v26, v22, s[0:1]
	v_cndmask_b32_e64 v17, v17, v20, s[4:5]
	;; [unrolled: 1-line block ×4, first 2 shown]
	v_alignbit_b32 v25, v17, v20, v23
	v_cndmask_b32_e64 v19, v19, v21, s[4:5]
	v_cndmask_b32_e64 v18, v24, v18, s[0:1]
	;; [unrolled: 1-line block ×3, first 2 shown]
	v_alignbit_b32 v22, v20, v19, v23
	v_cndmask_b32_e64 v11, v11, v18, s[2:3]
	v_cndmask_b32_e64 v20, v22, v20, s[6:7]
	v_bfe_u32 v26, v17, 29, 1
	v_cndmask_b32_e64 v11, v21, v11, s[4:5]
	v_alignbit_b32 v22, v17, v20, 30
	v_sub_u32_e32 v27, 0, v26
	v_alignbit_b32 v18, v19, v11, v23
	v_xor_b32_e32 v22, v22, v27
	v_cndmask_b32_e64 v18, v18, v19, s[6:7]
	v_alignbit_b32 v19, v20, v18, 30
	v_ffbh_u32_e32 v20, v22
	v_min_u32_e32 v20, 32, v20
	v_alignbit_b32 v11, v18, v11, 30
	v_xor_b32_e32 v19, v19, v27
	v_sub_u32_e32 v21, 31, v20
	v_xor_b32_e32 v11, v11, v27
	v_alignbit_b32 v22, v22, v19, v21
	v_alignbit_b32 v11, v19, v11, v21
	;; [unrolled: 1-line block ×3, first 2 shown]
	v_ffbh_u32_e32 v19, v18
	v_min_u32_e32 v19, 32, v19
	v_lshrrev_b32_e32 v25, 29, v17
	v_not_b32_e32 v21, v19
	v_alignbit_b32 v11, v18, v11, v21
	v_lshlrev_b32_e32 v18, 31, v25
	v_or_b32_e32 v21, 0x33000000, v18
	v_add_lshl_u32 v19, v19, v20, 23
	v_lshrrev_b32_e32 v11, 9, v11
	v_sub_u32_e32 v19, v21, v19
	v_or_b32_e32 v18, 0.5, v18
	v_lshlrev_b32_e32 v20, 23, v20
	v_or_b32_e32 v11, v19, v11
	v_lshrrev_b32_e32 v19, 9, v22
	v_sub_u32_e32 v18, v18, v20
	v_or_b32_e32 v18, v19, v18
	s_mov_b32 s0, 0x3fc90fda
	v_mul_f32_e32 v19, 0x3fc90fda, v18
	v_fma_f32 v20, v18, s0, -v19
	v_fmamk_f32 v18, v18, 0x33a22168, v20
	v_fmac_f32_e32 v18, 0x3fc90fda, v11
	v_lshrrev_b32_e32 v17, 30, v17
	v_add_f32_e32 v11, v19, v18
	v_add_u32_e32 v17, v26, v17
.LBB134_53:
	s_andn2_saveexec_b64 s[0:1], s[10:11]
	s_cbranch_execz .LBB134_55
; %bb.54:
	s_mov_b32 s2, 0x3f22f983
	v_mul_f32_e64 v11, |v7|, s2
	v_rndne_f32_e32 v11, v11
	s_mov_b32 s2, 0xbfc90fda
	v_cvt_i32_f32_e32 v17, v11
	v_fma_f32 v18, v11, s2, |v7|
	v_fmamk_f32 v18, v11, 0xb3a22168, v18
	v_fmamk_f32 v11, v11, 0xa7c234c4, v18
.LBB134_55:
	s_or_b64 exec, exec, s[0:1]
	v_and_b32_e32 v18, 0x7fffffff, v9
	s_brev_b32 s0, 18
	v_cmp_nlt_f32_e64 s[10:11], |v9|, s0
	v_lshrrev_b32_e32 v21, 23, v18
                                        ; implicit-def: $vgpr20
                                        ; implicit-def: $vgpr19
	s_and_saveexec_b64 s[0:1], s[10:11]
	s_xor_b64 s[12:13], exec, s[0:1]
	s_cbranch_execz .LBB134_62
; %bb.56:
	v_add_u32_e32 v19, 0xffffff88, v21
	v_not_b32_e32 v20, 63
	v_cmp_lt_u32_e64 s[0:1], 63, v19
	s_mov_b32 s6, 0xfe5163ab
	v_mov_b32_e32 v25, 0
	v_cndmask_b32_e64 v20, 0, v20, s[0:1]
	v_add_u32_e32 v19, v20, v19
	v_not_b32_e32 v20, 31
	v_cmp_lt_u32_e64 s[2:3], 31, v19
	s_nop 1
	v_cndmask_b32_e64 v22, 0, v20, s[2:3]
	v_add_u32_e32 v19, v22, v19
	v_cmp_lt_u32_e64 s[4:5], 31, v19
	s_nop 1
	v_cndmask_b32_e64 v20, 0, v20, s[4:5]
	v_add_u32_e32 v19, v20, v19
	v_and_b32_e32 v20, 0x7fffff, v18
	v_or_b32_e32 v20, 0x800000, v20
	v_mad_u64_u32 v[22:23], s[6:7], v20, s6, 0
	v_mov_b32_e32 v24, v23
	s_mov_b32 s6, 0x3c439041
	v_mad_u64_u32 v[26:27], s[6:7], v20, s6, v[24:25]
	v_mov_b32_e32 v24, v27
	s_mov_b32 s6, 0xdb629599
	;; [unrolled: 3-line block ×6, first 2 shown]
	v_mad_u64_u32 v[24:25], s[6:7], v20, s6, v[24:25]
	v_cndmask_b32_e64 v23, v34, v30, s[0:1]
	v_cndmask_b32_e64 v20, v24, v32, s[0:1]
	;; [unrolled: 1-line block ×7, first 2 shown]
	v_sub_u32_e32 v27, 32, v19
	v_cmp_eq_u32_e64 s[6:7], 0, v19
	v_cndmask_b32_e64 v19, v30, v26, s[0:1]
	v_cndmask_b32_e64 v20, v20, v24, s[4:5]
	v_cndmask_b32_e64 v24, v24, v23, s[4:5]
	v_cndmask_b32_e64 v25, v25, v19, s[2:3]
	v_alignbit_b32 v29, v20, v24, v27
	v_cndmask_b32_e64 v23, v23, v25, s[4:5]
	v_cndmask_b32_e64 v22, v28, v22, s[0:1]
	;; [unrolled: 1-line block ×3, first 2 shown]
	v_alignbit_b32 v26, v24, v23, v27
	v_cndmask_b32_e64 v19, v19, v22, s[2:3]
	v_cndmask_b32_e64 v24, v26, v24, s[6:7]
	v_bfe_u32 v30, v20, 29, 1
	v_cndmask_b32_e64 v19, v25, v19, s[4:5]
	v_alignbit_b32 v26, v20, v24, 30
	v_sub_u32_e32 v31, 0, v30
	v_alignbit_b32 v22, v23, v19, v27
	v_xor_b32_e32 v26, v26, v31
	v_cndmask_b32_e64 v22, v22, v23, s[6:7]
	v_alignbit_b32 v23, v24, v22, 30
	v_ffbh_u32_e32 v24, v26
	v_min_u32_e32 v24, 32, v24
	v_alignbit_b32 v19, v22, v19, 30
	v_xor_b32_e32 v23, v23, v31
	v_sub_u32_e32 v25, 31, v24
	v_xor_b32_e32 v19, v19, v31
	v_alignbit_b32 v26, v26, v23, v25
	v_alignbit_b32 v19, v23, v19, v25
	;; [unrolled: 1-line block ×3, first 2 shown]
	v_ffbh_u32_e32 v23, v22
	v_min_u32_e32 v23, 32, v23
	v_lshrrev_b32_e32 v29, 29, v20
	v_not_b32_e32 v25, v23
	v_alignbit_b32 v19, v22, v19, v25
	v_lshlrev_b32_e32 v22, 31, v29
	v_or_b32_e32 v25, 0x33000000, v22
	v_add_lshl_u32 v23, v23, v24, 23
	v_lshrrev_b32_e32 v19, 9, v19
	v_sub_u32_e32 v23, v25, v23
	v_or_b32_e32 v22, 0.5, v22
	v_lshlrev_b32_e32 v24, 23, v24
	v_or_b32_e32 v19, v23, v19
	v_lshrrev_b32_e32 v23, 9, v26
	v_sub_u32_e32 v22, v22, v24
	v_or_b32_e32 v22, v23, v22
	s_mov_b32 s0, 0x3fc90fda
	v_mul_f32_e32 v23, 0x3fc90fda, v22
	v_fma_f32 v24, v22, s0, -v23
	v_fmamk_f32 v22, v22, 0x33a22168, v24
	v_fmac_f32_e32 v22, 0x3fc90fda, v19
	v_lshrrev_b32_e32 v20, 30, v20
	v_add_f32_e32 v19, v23, v22
	v_add_u32_e32 v20, v30, v20
	s_andn2_saveexec_b64 s[0:1], s[12:13]
	s_cbranch_execz .LBB134_64
	s_branch .LBB134_63
.LBB134_57:
	s_or_b64 exec, exec, s[8:9]
	s_and_saveexec_b64 s[0:1], vcc
	s_xor_b64 s[0:1], exec, s[0:1]
	s_cbranch_execz .LBB134_69
.LBB134_58:
	v_mov_b32_e32 v7, 0
	v_lshl_add_u64 v[6:7], v[6:7], 3, v[0:1]
	v_mov_b32_e32 v5, v16
	flat_store_dwordx2 v[6:7], v[2:3]
	s_or_b64 exec, exec, s[0:1]
	v_cmp_lt_i32_e32 vcc, v5, v4
	s_and_saveexec_b64 s[0:1], vcc
	s_cbranch_execnz .LBB134_70
.LBB134_59:
	s_or_b64 exec, exec, s[0:1]
	v_cmp_lt_i32_e32 vcc, v5, v4
	s_and_saveexec_b64 s[0:1], vcc
	s_cbranch_execz .LBB134_71
.LBB134_60:
	v_add_u32_e32 v6, 0x100, v5
	v_add_u32_e32 v2, s14, v5
	v_mov_b32_e32 v3, 0
	v_lshl_add_u64 v[2:3], v[2:3], 3, v[0:1]
	v_mov_b32_e32 v5, v6
	flat_store_dwordx2 v[2:3], v[12:13]
	s_or_b64 exec, exec, s[0:1]
	v_cmp_lt_i32_e32 vcc, v5, v4
	s_and_saveexec_b64 s[0:1], vcc
	s_cbranch_execnz .LBB134_72
.LBB134_61:
	s_or_b64 exec, exec, s[0:1]
	s_waitcnt vmcnt(0) lgkmcnt(0)
	s_setpc_b64 s[30:31]
.LBB134_62:
	s_andn2_saveexec_b64 s[0:1], s[12:13]
	s_cbranch_execz .LBB134_64
.LBB134_63:
	s_mov_b32 s2, 0x3f22f983
	v_mul_f32_e64 v19, |v9|, s2
	v_rndne_f32_e32 v19, v19
	s_mov_b32 s2, 0xbfc90fda
	v_cvt_i32_f32_e32 v20, v19
	v_fma_f32 v22, v19, s2, |v9|
	v_fmamk_f32 v22, v19, 0xb3a22168, v22
	v_fmamk_f32 v19, v19, 0xa7c234c4, v22
.LBB134_64:
	s_or_b64 exec, exec, s[0:1]
                                        ; implicit-def: $vgpr22
                                        ; implicit-def: $vgpr23
	s_and_saveexec_b64 s[0:1], s[10:11]
	s_xor_b64 s[10:11], exec, s[0:1]
	s_cbranch_execz .LBB134_66
; %bb.65:
	v_add_u32_e32 v21, 0xffffff88, v21
	v_not_b32_e32 v22, 63
	v_cmp_lt_u32_e64 s[0:1], 63, v21
	s_mov_b32 s6, 0xfe5163ab
	v_mov_b32_e32 v25, 0
	v_cndmask_b32_e64 v22, 0, v22, s[0:1]
	v_add_u32_e32 v21, v22, v21
	v_not_b32_e32 v22, 31
	v_cmp_lt_u32_e64 s[2:3], 31, v21
	s_nop 1
	v_cndmask_b32_e64 v23, 0, v22, s[2:3]
	v_add_u32_e32 v21, v23, v21
	v_cmp_lt_u32_e64 s[4:5], 31, v21
	s_nop 1
	v_cndmask_b32_e64 v22, 0, v22, s[4:5]
	v_add_u32_e32 v21, v22, v21
	v_and_b32_e32 v22, 0x7fffff, v18
	v_or_b32_e32 v36, 0x800000, v22
	v_mad_u64_u32 v[22:23], s[6:7], v36, s6, 0
	v_mov_b32_e32 v24, v23
	s_mov_b32 s6, 0x3c439041
	v_mad_u64_u32 v[26:27], s[6:7], v36, s6, v[24:25]
	v_mov_b32_e32 v24, v27
	s_mov_b32 s6, 0xdb629599
	;; [unrolled: 3-line block ×6, first 2 shown]
	v_mad_u64_u32 v[24:25], s[6:7], v36, s6, v[24:25]
	v_cndmask_b32_e64 v23, v34, v30, s[0:1]
	v_cndmask_b32_e64 v24, v24, v32, s[0:1]
	;; [unrolled: 1-line block ×9, first 2 shown]
	v_sub_u32_e32 v29, 32, v21
	v_alignbit_b32 v31, v24, v27, v29
	v_cmp_eq_u32_e64 s[6:7], 0, v21
	v_cndmask_b32_e64 v22, v28, v22, s[0:1]
	s_nop 0
	v_cndmask_b32_e64 v21, v31, v24, s[6:7]
	v_cndmask_b32_e64 v24, v30, v26, s[0:1]
	;; [unrolled: 1-line block ×4, first 2 shown]
	v_alignbit_b32 v26, v27, v23, v29
	v_cndmask_b32_e64 v26, v26, v27, s[6:7]
	v_bfe_u32 v31, v21, 29, 1
	v_cndmask_b32_e64 v22, v24, v22, s[2:3]
	v_alignbit_b32 v27, v21, v26, 30
	v_sub_u32_e32 v32, 0, v31
	v_cndmask_b32_e64 v22, v25, v22, s[4:5]
	v_xor_b32_e32 v27, v27, v32
	v_alignbit_b32 v24, v23, v22, v29
	v_cndmask_b32_e64 v23, v24, v23, s[6:7]
	v_ffbh_u32_e32 v25, v27
	v_alignbit_b32 v24, v26, v23, 30
	v_min_u32_e32 v25, 32, v25
	v_alignbit_b32 v22, v23, v22, 30
	v_xor_b32_e32 v24, v24, v32
	v_sub_u32_e32 v26, 31, v25
	v_xor_b32_e32 v22, v22, v32
	v_alignbit_b32 v27, v27, v24, v26
	v_alignbit_b32 v22, v24, v22, v26
	;; [unrolled: 1-line block ×3, first 2 shown]
	v_ffbh_u32_e32 v24, v23
	v_min_u32_e32 v24, 32, v24
	v_lshrrev_b32_e32 v30, 29, v21
	v_not_b32_e32 v26, v24
	v_alignbit_b32 v22, v23, v22, v26
	v_lshlrev_b32_e32 v23, 31, v30
	v_or_b32_e32 v26, 0x33000000, v23
	v_add_lshl_u32 v24, v24, v25, 23
	v_lshrrev_b32_e32 v22, 9, v22
	v_sub_u32_e32 v24, v26, v24
	v_or_b32_e32 v23, 0.5, v23
	v_lshlrev_b32_e32 v25, 23, v25
	v_or_b32_e32 v22, v24, v22
	v_lshrrev_b32_e32 v24, 9, v27
	v_sub_u32_e32 v23, v23, v25
	v_or_b32_e32 v23, v24, v23
	s_mov_b32 s0, 0x3fc90fda
	v_mul_f32_e32 v24, 0x3fc90fda, v23
	v_fma_f32 v25, v23, s0, -v24
	v_fmamk_f32 v23, v23, 0x33a22168, v25
	v_fmac_f32_e32 v23, 0x3fc90fda, v22
	v_lshrrev_b32_e32 v21, 30, v21
	v_add_f32_e32 v23, v24, v23
	v_add_u32_e32 v22, v31, v21
	s_andn2_saveexec_b64 s[0:1], s[10:11]
	s_cbranch_execnz .LBB134_67
	s_branch .LBB134_68
.LBB134_66:
	s_andn2_saveexec_b64 s[0:1], s[10:11]
	s_cbranch_execz .LBB134_68
.LBB134_67:
	s_mov_b32 s2, 0x3f22f983
	v_mul_f32_e64 v21, |v9|, s2
	v_rndne_f32_e32 v21, v21
	s_mov_b32 s2, 0xbfc90fda
	v_cvt_i32_f32_e32 v22, v21
	v_fma_f32 v23, v21, s2, |v9|
	v_fmamk_f32 v23, v21, 0xb3a22168, v23
	v_fmamk_f32 v23, v21, 0xa7c234c4, v23
.LBB134_68:
	s_or_b64 exec, exec, s[0:1]
	v_mul_f32_e32 v21, 0x3fb8aa3b, v8
	s_mov_b32 s0, 0x3fb8aa3b
	v_rndne_f32_e32 v24, v21
	v_sub_f32_e32 v25, v21, v24
	v_fma_f32 v21, v8, s0, -v21
	v_fmamk_f32 v21, v8, 0x32a5705f, v21
	v_add_f32_e32 v21, v25, v21
	v_exp_f32_e32 v21, v21
	v_cvt_i32_f32_e32 v25, v24
	s_mov_b32 s0, 0xc2ce8ed0
	v_cmp_ngt_f32_e64 s[0:1], s0, v8
	v_mov_b32_e32 v26, 0x7f800000
	v_ldexp_f32 v21, v21, v25
	v_cndmask_b32_e64 v21, 0, v21, s[0:1]
	s_mov_b32 s0, 0x42b17218
	v_cmp_nlt_f32_e64 s[0:1], s0, v8
	v_ldexp_f32 v25, 1.0, v25
	v_mov_b32_e32 v27, 0x7f000000
	v_cndmask_b32_e64 v21, v26, v21, s[0:1]
	s_mov_b32 s0, 0x43000000
	v_cmp_eq_f32_e64 s[0:1], s0, v24
	v_mov_b32_e32 v30, 0x3c0881c4
	s_brev_b32 s5, 1
	v_cndmask_b32_e64 v25, v25, v27, s[0:1]
	v_fmamk_f32 v27, v24, 0xbf317218, v8
	v_fmamk_f32 v24, v24, 0x3102e308, v27
	v_mov_b32_e32 v27, 0x3ab69700
	v_fmac_f32_e32 v27, 0x395133b1, v24
	v_fmaak_f32 v27, v24, v27, 0x3c0887f9
	v_fmaak_f32 v27, v24, v27, 0x3d2aaa81
	;; [unrolled: 1-line block ×3, first 2 shown]
	v_fma_f32 v27, v24, v27, 0.5
	v_mul_f32_e32 v27, v24, v27
	v_fmac_f32_e32 v24, v24, v27
	v_add_f32_e32 v27, -1.0, v25
	v_fmac_f32_e32 v27, v25, v24
	v_add_f32_e32 v24, v27, v27
	v_cndmask_b32_e64 v24, v27, v24, s[0:1]
	s_mov_b32 s0, 0x42b17217
	v_cmp_nlt_f32_e64 s[0:1], s0, v8
	v_mul_f32_e32 v25, v19, v19
	v_fmamk_f32 v31, v25, 0xb94c1982, v30
	v_cndmask_b32_e64 v24, v26, v24, s[0:1]
	v_mov_b32_e32 v26, 0xbab64f3b
	v_fmamk_f32 v27, v25, 0x37d75334, v26
	s_mov_b32 s0, 0xc1880000
	v_fmaak_f32 v27, v25, v27, 0x3d2aabf7
	v_cmp_ngt_f32_e64 s[0:1], s0, v8
	v_fmaak_f32 v27, v25, v27, 0xbf000004
	v_fmaak_f32 v31, v25, v31, 0xbe2aaa9d
	v_cndmask_b32_e64 v8, -1.0, v24, s[0:1]
	v_lshlrev_b32_e32 v24, 30, v20
	v_and_b32_e32 v20, 1, v20
	v_fma_f32 v27, v25, v27, 1.0
	v_mul_f32_e32 v25, v25, v31
	v_fmac_f32_e32 v19, v19, v25
	v_cmp_eq_u32_e64 s[0:1], 0, v20
	v_xor_b32_e32 v10, v10, v7
	s_movk_i32 s4, 0x1f8
	v_cndmask_b32_e64 v19, -v19, v27, s[0:1]
	v_bitop3_b32 v19, v24, v19, s5 bitop3:0x6c
	v_lshlrev_b32_e32 v24, 30, v17
	v_and_b32_e32 v24, 0x80000000, v24
	v_xor_b32_e32 v10, v10, v24
	v_mul_f32_e32 v24, v11, v11
	v_fmamk_f32 v25, v24, 0xb94c1982, v30
	v_fmaak_f32 v25, v24, v25, 0xbe2aaa9d
	v_mul_f32_e32 v25, v24, v25
	v_fmac_f32_e32 v11, v11, v25
	v_fmamk_f32 v25, v24, 0x37d75334, v26
	v_fmaak_f32 v25, v24, v25, 0x3d2aabf7
	v_and_b32_e32 v17, 1, v17
	v_fmaak_f32 v25, v24, v25, 0xbf000004
	v_fma_f32 v24, v24, v25, 1.0
	v_cmp_eq_u32_e64 s[2:3], 0, v17
	v_mov_b32_e32 v20, 0x7fc00000
	v_cmp_class_f32_e64 s[0:1], v9, s4
	v_cndmask_b32_e64 v11, v24, v11, s[2:3]
	v_xor_b32_e32 v10, v10, v11
	v_cmp_class_f32_e64 s[2:3], v7, s4
	v_cndmask_b32_e64 v19, v20, v19, s[0:1]
	v_mov_b32_e32 v32, 0xbe2aaa9d
	v_cndmask_b32_e64 v7, v20, v10, s[2:3]
	v_add_f32_e32 v10, v7, v7
	v_mul_f32_e32 v7, v7, v10
	v_fma_f32 v10, v8, v19, -v7
	v_mul_f32_e32 v7, v23, v23
	v_fmac_f32_e32 v30, 0xb94c1982, v7
	v_mov_b32_e32 v28, 0x3d2aabf7
	v_fmac_f32_e32 v32, v7, v30
	v_fmac_f32_e32 v26, 0x37d75334, v7
	v_mov_b32_e32 v29, 0xbf000004
	v_mul_f32_e32 v8, v7, v32
	v_fmac_f32_e32 v28, v7, v26
	v_fmac_f32_e32 v23, v23, v8
	v_fmac_f32_e32 v29, v7, v28
	v_and_b32_e32 v8, 1, v22
	v_fma_f32 v7, v7, v29, 1.0
	v_cmp_eq_u32_e64 s[2:3], 0, v8
	v_lshlrev_b32_e32 v8, 30, v22
	v_bitop3_b32 v8, v18, v8, s5 bitop3:0x78
	v_cndmask_b32_e64 v7, v7, v23, s[2:3]
	v_xor_b32_e32 v7, v8, v7
	v_xor_b32_e32 v7, v7, v9
	v_cndmask_b32_e64 v7, v20, v7, s[0:1]
	v_mul_f32_e32 v11, v21, v7
	s_or_b64 exec, exec, s[8:9]
	s_and_saveexec_b64 s[0:1], vcc
	s_xor_b64 s[0:1], exec, s[0:1]
	s_cbranch_execnz .LBB134_58
.LBB134_69:
	s_or_b64 exec, exec, s[0:1]
	v_cmp_lt_i32_e32 vcc, v5, v4
	s_and_saveexec_b64 s[0:1], vcc
	s_cbranch_execz .LBB134_59
.LBB134_70:
	v_add_u32_e32 v6, 0x100, v5
	v_add_u32_e32 v2, s14, v5
	v_mov_b32_e32 v3, 0
	v_lshl_add_u64 v[2:3], v[2:3], 3, v[0:1]
	v_mov_b32_e32 v5, v6
	flat_store_dwordx2 v[2:3], v[14:15]
	s_or_b64 exec, exec, s[0:1]
	v_cmp_lt_i32_e32 vcc, v5, v4
	s_and_saveexec_b64 s[0:1], vcc
	s_cbranch_execnz .LBB134_60
.LBB134_71:
	s_or_b64 exec, exec, s[0:1]
	v_cmp_lt_i32_e32 vcc, v5, v4
	s_and_saveexec_b64 s[0:1], vcc
	s_cbranch_execz .LBB134_61
.LBB134_72:
	v_add_u32_e32 v2, s14, v5
	v_mov_b32_e32 v3, 0
	v_lshl_add_u64 v[0:1], v[2:3], 3, v[0:1]
	flat_store_dwordx2 v[0:1], v[10:11]
	s_or_b64 exec, exec, s[0:1]
	s_waitcnt vmcnt(0) lgkmcnt(0)
	s_setpc_b64 s[30:31]
.Lfunc_end134:
	.size	_ZN2at6native25elementwise_kernel_helperILb0EZZZNS0_17expm1_kernel_cudaERNS_18TensorIteratorBaseEENKUlvE_clEvENKUlvE2_clEvEUlN3c107complexIfEEE_NS0_6memory8policies11unroll_baseILi256ESt5arrayIPcLm2EE23TrivialOffsetCalculatorILi1EjESH_NSA_15LoadWithoutCastENSA_16StoreWithoutCastELi4ELi1EEEEEvT0_T1_, .Lfunc_end134-_ZN2at6native25elementwise_kernel_helperILb0EZZZNS0_17expm1_kernel_cudaERNS_18TensorIteratorBaseEENKUlvE_clEvENKUlvE2_clEvEUlN3c107complexIfEEE_NS0_6memory8policies11unroll_baseILi256ESt5arrayIPcLm2EE23TrivialOffsetCalculatorILi1EjESH_NSA_15LoadWithoutCastENSA_16StoreWithoutCastELi4ELi1EEEEEvT0_T1_
                                        ; -- End function
	.set .L_ZN2at6native25elementwise_kernel_helperILb0EZZZNS0_17expm1_kernel_cudaERNS_18TensorIteratorBaseEENKUlvE_clEvENKUlvE2_clEvEUlN3c107complexIfEEE_NS0_6memory8policies11unroll_baseILi256ESt5arrayIPcLm2EE23TrivialOffsetCalculatorILi1EjESH_NSA_15LoadWithoutCastENSA_16StoreWithoutCastELi4ELi1EEEEEvT0_T1_.num_vgpr, 37
	.set .L_ZN2at6native25elementwise_kernel_helperILb0EZZZNS0_17expm1_kernel_cudaERNS_18TensorIteratorBaseEENKUlvE_clEvENKUlvE2_clEvEUlN3c107complexIfEEE_NS0_6memory8policies11unroll_baseILi256ESt5arrayIPcLm2EE23TrivialOffsetCalculatorILi1EjESH_NSA_15LoadWithoutCastENSA_16StoreWithoutCastELi4ELi1EEEEEvT0_T1_.num_agpr, 0
	.set .L_ZN2at6native25elementwise_kernel_helperILb0EZZZNS0_17expm1_kernel_cudaERNS_18TensorIteratorBaseEENKUlvE_clEvENKUlvE2_clEvEUlN3c107complexIfEEE_NS0_6memory8policies11unroll_baseILi256ESt5arrayIPcLm2EE23TrivialOffsetCalculatorILi1EjESH_NSA_15LoadWithoutCastENSA_16StoreWithoutCastELi4ELi1EEEEEvT0_T1_.numbered_sgpr, 32
	.set .L_ZN2at6native25elementwise_kernel_helperILb0EZZZNS0_17expm1_kernel_cudaERNS_18TensorIteratorBaseEENKUlvE_clEvENKUlvE2_clEvEUlN3c107complexIfEEE_NS0_6memory8policies11unroll_baseILi256ESt5arrayIPcLm2EE23TrivialOffsetCalculatorILi1EjESH_NSA_15LoadWithoutCastENSA_16StoreWithoutCastELi4ELi1EEEEEvT0_T1_.num_named_barrier, 0
	.set .L_ZN2at6native25elementwise_kernel_helperILb0EZZZNS0_17expm1_kernel_cudaERNS_18TensorIteratorBaseEENKUlvE_clEvENKUlvE2_clEvEUlN3c107complexIfEEE_NS0_6memory8policies11unroll_baseILi256ESt5arrayIPcLm2EE23TrivialOffsetCalculatorILi1EjESH_NSA_15LoadWithoutCastENSA_16StoreWithoutCastELi4ELi1EEEEEvT0_T1_.private_seg_size, 0
	.set .L_ZN2at6native25elementwise_kernel_helperILb0EZZZNS0_17expm1_kernel_cudaERNS_18TensorIteratorBaseEENKUlvE_clEvENKUlvE2_clEvEUlN3c107complexIfEEE_NS0_6memory8policies11unroll_baseILi256ESt5arrayIPcLm2EE23TrivialOffsetCalculatorILi1EjESH_NSA_15LoadWithoutCastENSA_16StoreWithoutCastELi4ELi1EEEEEvT0_T1_.uses_vcc, 1
	.set .L_ZN2at6native25elementwise_kernel_helperILb0EZZZNS0_17expm1_kernel_cudaERNS_18TensorIteratorBaseEENKUlvE_clEvENKUlvE2_clEvEUlN3c107complexIfEEE_NS0_6memory8policies11unroll_baseILi256ESt5arrayIPcLm2EE23TrivialOffsetCalculatorILi1EjESH_NSA_15LoadWithoutCastENSA_16StoreWithoutCastELi4ELi1EEEEEvT0_T1_.uses_flat_scratch, 0
	.set .L_ZN2at6native25elementwise_kernel_helperILb0EZZZNS0_17expm1_kernel_cudaERNS_18TensorIteratorBaseEENKUlvE_clEvENKUlvE2_clEvEUlN3c107complexIfEEE_NS0_6memory8policies11unroll_baseILi256ESt5arrayIPcLm2EE23TrivialOffsetCalculatorILi1EjESH_NSA_15LoadWithoutCastENSA_16StoreWithoutCastELi4ELi1EEEEEvT0_T1_.has_dyn_sized_stack, 0
	.set .L_ZN2at6native25elementwise_kernel_helperILb0EZZZNS0_17expm1_kernel_cudaERNS_18TensorIteratorBaseEENKUlvE_clEvENKUlvE2_clEvEUlN3c107complexIfEEE_NS0_6memory8policies11unroll_baseILi256ESt5arrayIPcLm2EE23TrivialOffsetCalculatorILi1EjESH_NSA_15LoadWithoutCastENSA_16StoreWithoutCastELi4ELi1EEEEEvT0_T1_.has_recursion, 0
	.set .L_ZN2at6native25elementwise_kernel_helperILb0EZZZNS0_17expm1_kernel_cudaERNS_18TensorIteratorBaseEENKUlvE_clEvENKUlvE2_clEvEUlN3c107complexIfEEE_NS0_6memory8policies11unroll_baseILi256ESt5arrayIPcLm2EE23TrivialOffsetCalculatorILi1EjESH_NSA_15LoadWithoutCastENSA_16StoreWithoutCastELi4ELi1EEEEEvT0_T1_.has_indirect_call, 0
	.section	.AMDGPU.csdata,"",@progbits
; Function info:
; codeLenInByte = 12308
; TotalNumSgprs: 38
; NumVgprs: 37
; NumAgprs: 0
; TotalNumVgprs: 37
; ScratchSize: 0
; MemoryBound: 0
	.text
	.p2align	2                               ; -- Begin function _ZN2at6native25elementwise_kernel_helperILb0EZZZNS0_17expm1_kernel_cudaERNS_18TensorIteratorBaseEENKUlvE_clEvENKUlvE2_clEvEUlN3c107complexIfEEE_NS0_6memory8policies10vectorizedILi4ESt5arrayIPcLm2EELi4EEEEEvT0_T1_
	.type	_ZN2at6native25elementwise_kernel_helperILb0EZZZNS0_17expm1_kernel_cudaERNS_18TensorIteratorBaseEENKUlvE_clEvENKUlvE2_clEvEUlN3c107complexIfEEE_NS0_6memory8policies10vectorizedILi4ESt5arrayIPcLm2EELi4EEEEEvT0_T1_,@function
_ZN2at6native25elementwise_kernel_helperILb0EZZZNS0_17expm1_kernel_cudaERNS_18TensorIteratorBaseEENKUlvE_clEvENKUlvE2_clEvEUlN3c107complexIfEEE_NS0_6memory8policies10vectorizedILi4ESt5arrayIPcLm2EELi4EEEEEvT0_T1_: ; @_ZN2at6native25elementwise_kernel_helperILb0EZZZNS0_17expm1_kernel_cudaERNS_18TensorIteratorBaseEENKUlvE_clEvENKUlvE2_clEvEUlN3c107complexIfEEE_NS0_6memory8policies10vectorizedILi4ESt5arrayIPcLm2EELi4EEEEEvT0_T1_
; %bb.0:
	s_waitcnt vmcnt(0) expcnt(0) lgkmcnt(0)
	s_lshl_b32 s6, s12, 10
	s_ashr_i32 s7, s6, 31
	v_and_b32_e32 v4, 0x3ff, v31
	v_lshl_add_u64 v[2:3], s[6:7], 3, v[2:3]
	v_mov_b32_e32 v11, 0
	v_lshlrev_b32_e32 v10, 5, v4
	v_lshl_add_u64 v[12:13], v[2:3], 0, v[10:11]
	flat_load_dwordx4 v[6:9], v[12:13]
	flat_load_dwordx4 v[2:5], v[12:13] offset:16
	s_brev_b32 s0, 18
                                        ; implicit-def: $vgpr15
                                        ; implicit-def: $vgpr14
	s_waitcnt vmcnt(0) lgkmcnt(0)
	v_mul_f32_e32 v12, 0.5, v7
	v_and_b32_e32 v13, 0x7fffffff, v12
	v_cmp_nlt_f32_e64 s[0:1], |v12|, s0
	s_and_saveexec_b64 s[2:3], s[0:1]
	s_xor_b64 s[8:9], exec, s[2:3]
	s_cbranch_execz .LBB135_2
; %bb.1:
	v_lshrrev_b32_e32 v14, 23, v13
	v_add_u32_e32 v14, 0xffffff88, v14
	v_not_b32_e32 v15, 63
	v_cmp_lt_u32_e32 vcc, 63, v14
	s_mov_b32 s4, 0xfe5163ab
	v_mov_b32_e32 v17, v11
	v_cndmask_b32_e32 v15, 0, v15, vcc
	v_add_u32_e32 v14, v15, v14
	v_not_b32_e32 v15, 31
	v_cmp_lt_u32_e64 s[0:1], 31, v14
	v_mov_b32_e32 v19, v11
	v_mov_b32_e32 v21, v11
	v_cndmask_b32_e64 v16, 0, v15, s[0:1]
	v_add_u32_e32 v14, v16, v14
	v_cmp_lt_u32_e64 s[2:3], 31, v14
	v_mov_b32_e32 v23, v11
	v_mov_b32_e32 v25, v11
	v_cndmask_b32_e64 v15, 0, v15, s[2:3]
	v_add_u32_e32 v28, v15, v14
	v_and_b32_e32 v14, 0x7fffff, v13
	v_or_b32_e32 v29, 0x800000, v14
	v_mad_u64_u32 v[14:15], s[4:5], v29, s4, 0
	v_mov_b32_e32 v16, v15
	s_mov_b32 s4, 0x3c439041
	v_mad_u64_u32 v[16:17], s[4:5], v29, s4, v[16:17]
	v_mov_b32_e32 v18, v17
	s_mov_b32 s4, 0xdb629599
	;; [unrolled: 3-line block ×5, first 2 shown]
	v_mad_u64_u32 v[24:25], s[4:5], v29, s4, v[24:25]
	v_mov_b32_e32 v26, v25
	v_mov_b32_e32 v27, v11
	s_mov_b32 s4, 0xa2f9836e
	v_mad_u64_u32 v[26:27], s[4:5], v29, s4, v[26:27]
	v_cndmask_b32_e32 v15, v24, v20, vcc
	v_cndmask_b32_e32 v11, v26, v22, vcc
	;; [unrolled: 1-line block ×3, first 2 shown]
	v_cndmask_b32_e64 v17, v11, v15, s[0:1]
	v_cndmask_b32_e64 v11, v19, v11, s[0:1]
	v_cndmask_b32_e32 v19, v22, v18, vcc
	v_cndmask_b32_e64 v15, v15, v19, s[0:1]
	v_cndmask_b32_e32 v16, v20, v16, vcc
	v_cndmask_b32_e64 v11, v11, v17, s[2:3]
	v_cndmask_b32_e64 v17, v17, v15, s[2:3]
	v_sub_u32_e32 v21, 32, v28
	v_cndmask_b32_e64 v19, v19, v16, s[0:1]
	v_alignbit_b32 v22, v11, v17, v21
	v_cmp_eq_u32_e64 s[4:5], 0, v28
	v_cndmask_b32_e64 v15, v15, v19, s[2:3]
	v_cndmask_b32_e32 v14, v18, v14, vcc
	v_cndmask_b32_e64 v11, v22, v11, s[4:5]
	v_alignbit_b32 v20, v17, v15, v21
	v_cndmask_b32_e64 v14, v16, v14, s[0:1]
	v_cndmask_b32_e64 v17, v20, v17, s[4:5]
	v_bfe_u32 v23, v11, 29, 1
	v_cndmask_b32_e64 v14, v19, v14, s[2:3]
	v_alignbit_b32 v20, v11, v17, 30
	v_sub_u32_e32 v24, 0, v23
	v_alignbit_b32 v16, v15, v14, v21
	v_xor_b32_e32 v20, v20, v24
	v_cndmask_b32_e64 v15, v16, v15, s[4:5]
	v_alignbit_b32 v16, v17, v15, 30
	v_ffbh_u32_e32 v17, v20
	v_min_u32_e32 v17, 32, v17
	v_alignbit_b32 v14, v15, v14, 30
	v_xor_b32_e32 v16, v16, v24
	v_sub_u32_e32 v18, 31, v17
	v_xor_b32_e32 v14, v14, v24
	v_alignbit_b32 v19, v20, v16, v18
	v_alignbit_b32 v14, v16, v14, v18
	;; [unrolled: 1-line block ×3, first 2 shown]
	v_ffbh_u32_e32 v16, v15
	v_min_u32_e32 v16, 32, v16
	v_lshrrev_b32_e32 v22, 29, v11
	v_not_b32_e32 v18, v16
	v_alignbit_b32 v14, v15, v14, v18
	v_lshlrev_b32_e32 v15, 31, v22
	v_or_b32_e32 v18, 0x33000000, v15
	v_add_lshl_u32 v16, v16, v17, 23
	v_lshrrev_b32_e32 v14, 9, v14
	v_sub_u32_e32 v16, v18, v16
	v_or_b32_e32 v15, 0.5, v15
	v_lshlrev_b32_e32 v17, 23, v17
	v_or_b32_e32 v14, v16, v14
	v_lshrrev_b32_e32 v16, 9, v19
	v_sub_u32_e32 v15, v15, v17
	v_or_b32_e32 v15, v16, v15
	s_mov_b32 s0, 0x3fc90fda
	v_mul_f32_e32 v16, 0x3fc90fda, v15
	v_fma_f32 v17, v15, s0, -v16
	v_fmamk_f32 v15, v15, 0x33a22168, v17
	v_fmac_f32_e32 v15, 0x3fc90fda, v14
	v_lshrrev_b32_e32 v11, 30, v11
	v_add_f32_e32 v14, v16, v15
	v_add_u32_e32 v15, v23, v11
.LBB135_2:
	s_andn2_saveexec_b64 s[0:1], s[8:9]
	s_cbranch_execz .LBB135_4
; %bb.3:
	s_mov_b32 s2, 0x3f22f983
	v_mul_f32_e64 v11, |v12|, s2
	v_rndne_f32_e32 v11, v11
	s_mov_b32 s2, 0xbfc90fda
	v_cvt_i32_f32_e32 v15, v11
	v_fma_f32 v14, v11, s2, |v12|
	v_fmamk_f32 v14, v11, 0xb3a22168, v14
	v_fmamk_f32 v14, v11, 0xa7c234c4, v14
.LBB135_4:
	s_or_b64 exec, exec, s[0:1]
	v_and_b32_e32 v11, 0x7fffffff, v7
	s_brev_b32 s0, 18
	v_cmp_nlt_f32_e64 s[8:9], |v7|, s0
	v_lshrrev_b32_e32 v20, 23, v11
                                        ; implicit-def: $vgpr17
                                        ; implicit-def: $vgpr16
	s_and_saveexec_b64 s[0:1], s[8:9]
	s_xor_b64 s[10:11], exec, s[0:1]
	s_cbranch_execz .LBB135_6
; %bb.5:
	v_add_u32_e32 v16, 0xffffff88, v20
	v_not_b32_e32 v17, 63
	v_cmp_lt_u32_e32 vcc, 63, v16
	s_mov_b32 s4, 0xfe5163ab
	v_mov_b32_e32 v19, 0
	v_cndmask_b32_e32 v17, 0, v17, vcc
	v_add_u32_e32 v16, v17, v16
	v_not_b32_e32 v17, 31
	v_cmp_lt_u32_e64 s[0:1], 31, v16
	s_nop 1
	v_cndmask_b32_e64 v18, 0, v17, s[0:1]
	v_add_u32_e32 v16, v18, v16
	v_cmp_lt_u32_e64 s[2:3], 31, v16
	s_nop 1
	v_cndmask_b32_e64 v17, 0, v17, s[2:3]
	v_add_u32_e32 v21, v17, v16
	v_and_b32_e32 v16, 0x7fffff, v11
	v_or_b32_e32 v32, 0x800000, v16
	v_mad_u64_u32 v[16:17], s[4:5], v32, s4, 0
	v_mov_b32_e32 v18, v17
	s_mov_b32 s4, 0x3c439041
	v_mad_u64_u32 v[22:23], s[4:5], v32, s4, v[18:19]
	v_mov_b32_e32 v18, v23
	s_mov_b32 s4, 0xdb629599
	;; [unrolled: 3-line block ×6, first 2 shown]
	v_mad_u64_u32 v[18:19], s[4:5], v32, s4, v[18:19]
	v_cndmask_b32_e32 v17, v30, v26, vcc
	v_cndmask_b32_e32 v18, v18, v28, vcc
	;; [unrolled: 1-line block ×3, first 2 shown]
	v_cndmask_b32_e64 v23, v18, v17, s[0:1]
	v_cndmask_b32_e64 v18, v19, v18, s[0:1]
	v_cndmask_b32_e32 v19, v28, v24, vcc
	v_cndmask_b32_e64 v17, v17, v19, s[0:1]
	v_sub_u32_e32 v25, 32, v21
	v_cmp_eq_u32_e64 s[4:5], 0, v21
	v_cndmask_b32_e32 v21, v26, v22, vcc
	v_cndmask_b32_e64 v18, v18, v23, s[2:3]
	v_cndmask_b32_e64 v23, v23, v17, s[2:3]
	;; [unrolled: 1-line block ×3, first 2 shown]
	v_alignbit_b32 v27, v18, v23, v25
	v_cndmask_b32_e64 v17, v17, v19, s[2:3]
	v_cndmask_b32_e64 v18, v27, v18, s[4:5]
	v_alignbit_b32 v22, v23, v17, v25
	v_cndmask_b32_e32 v16, v24, v16, vcc
	v_cndmask_b32_e64 v22, v22, v23, s[4:5]
	v_bfe_u32 v27, v18, 29, 1
	v_cndmask_b32_e64 v16, v21, v16, s[0:1]
	v_alignbit_b32 v23, v18, v22, 30
	v_sub_u32_e32 v28, 0, v27
	v_cndmask_b32_e64 v16, v19, v16, s[2:3]
	v_xor_b32_e32 v23, v23, v28
	v_alignbit_b32 v19, v17, v16, v25
	v_cndmask_b32_e64 v17, v19, v17, s[4:5]
	v_ffbh_u32_e32 v21, v23
	v_alignbit_b32 v19, v22, v17, 30
	v_min_u32_e32 v21, 32, v21
	v_alignbit_b32 v16, v17, v16, 30
	v_xor_b32_e32 v19, v19, v28
	v_sub_u32_e32 v22, 31, v21
	v_xor_b32_e32 v16, v16, v28
	v_alignbit_b32 v23, v23, v19, v22
	v_alignbit_b32 v16, v19, v16, v22
	;; [unrolled: 1-line block ×3, first 2 shown]
	v_ffbh_u32_e32 v19, v17
	v_min_u32_e32 v19, 32, v19
	v_lshrrev_b32_e32 v26, 29, v18
	v_not_b32_e32 v22, v19
	v_alignbit_b32 v16, v17, v16, v22
	v_lshlrev_b32_e32 v17, 31, v26
	v_or_b32_e32 v22, 0x33000000, v17
	v_add_lshl_u32 v19, v19, v21, 23
	v_lshrrev_b32_e32 v16, 9, v16
	v_sub_u32_e32 v19, v22, v19
	v_or_b32_e32 v17, 0.5, v17
	v_lshlrev_b32_e32 v21, 23, v21
	v_or_b32_e32 v16, v19, v16
	v_lshrrev_b32_e32 v19, 9, v23
	v_sub_u32_e32 v17, v17, v21
	v_or_b32_e32 v17, v19, v17
	s_mov_b32 s0, 0x3fc90fda
	v_mul_f32_e32 v19, 0x3fc90fda, v17
	v_fma_f32 v21, v17, s0, -v19
	v_fmamk_f32 v17, v17, 0x33a22168, v21
	v_fmac_f32_e32 v17, 0x3fc90fda, v16
	v_add_f32_e32 v16, v19, v17
	v_lshrrev_b32_e32 v17, 30, v18
	v_add_u32_e32 v17, v27, v17
	s_andn2_saveexec_b64 s[0:1], s[10:11]
	s_cbranch_execz .LBB135_8
	s_branch .LBB135_7
.LBB135_6:
	s_andn2_saveexec_b64 s[0:1], s[10:11]
	s_cbranch_execz .LBB135_8
.LBB135_7:
	s_mov_b32 s2, 0x3f22f983
	v_mul_f32_e64 v16, |v7|, s2
	v_rndne_f32_e32 v16, v16
	s_mov_b32 s2, 0xbfc90fda
	v_cvt_i32_f32_e32 v17, v16
	v_fma_f32 v18, v16, s2, |v7|
	v_fmamk_f32 v18, v16, 0xb3a22168, v18
	v_fmamk_f32 v16, v16, 0xa7c234c4, v18
.LBB135_8:
	s_or_b64 exec, exec, s[0:1]
                                        ; implicit-def: $vgpr19
                                        ; implicit-def: $vgpr18
	s_and_saveexec_b64 s[0:1], s[8:9]
	s_xor_b64 s[8:9], exec, s[0:1]
	s_cbranch_execz .LBB135_10
; %bb.9:
	v_add_u32_e32 v18, 0xffffff88, v20
	v_not_b32_e32 v19, 63
	v_cmp_lt_u32_e32 vcc, 63, v18
	s_mov_b32 s4, 0xfe5163ab
	v_mov_b32_e32 v21, 0
	v_cndmask_b32_e32 v19, 0, v19, vcc
	v_add_u32_e32 v18, v19, v18
	v_not_b32_e32 v19, 31
	v_cmp_lt_u32_e64 s[0:1], 31, v18
	s_nop 1
	v_cndmask_b32_e64 v20, 0, v19, s[0:1]
	v_add_u32_e32 v18, v20, v18
	v_cmp_lt_u32_e64 s[2:3], 31, v18
	s_nop 1
	v_cndmask_b32_e64 v19, 0, v19, s[2:3]
	v_add_u32_e32 v32, v19, v18
	v_and_b32_e32 v18, 0x7fffff, v11
	v_or_b32_e32 v33, 0x800000, v18
	v_mad_u64_u32 v[18:19], s[4:5], v33, s4, 0
	v_mov_b32_e32 v20, v19
	s_mov_b32 s4, 0x3c439041
	v_mad_u64_u32 v[22:23], s[4:5], v33, s4, v[20:21]
	v_mov_b32_e32 v20, v23
	s_mov_b32 s4, 0xdb629599
	;; [unrolled: 3-line block ×6, first 2 shown]
	v_mad_u64_u32 v[20:21], s[4:5], v33, s4, v[20:21]
	v_cndmask_b32_e32 v19, v30, v26, vcc
	v_cndmask_b32_e32 v20, v20, v28, vcc
	;; [unrolled: 1-line block ×3, first 2 shown]
	v_cndmask_b32_e64 v23, v20, v19, s[0:1]
	v_cndmask_b32_e64 v20, v21, v20, s[0:1]
	v_cndmask_b32_e32 v21, v28, v24, vcc
	v_cndmask_b32_e64 v19, v19, v21, s[0:1]
	v_cndmask_b32_e32 v22, v26, v22, vcc
	v_cndmask_b32_e64 v20, v20, v23, s[2:3]
	v_cndmask_b32_e64 v23, v23, v19, s[2:3]
	v_sub_u32_e32 v25, 32, v32
	v_cndmask_b32_e64 v21, v21, v22, s[0:1]
	v_alignbit_b32 v27, v20, v23, v25
	v_cmp_eq_u32_e64 s[4:5], 0, v32
	v_cndmask_b32_e64 v19, v19, v21, s[2:3]
	v_alignbit_b32 v26, v23, v19, v25
	v_cndmask_b32_e64 v20, v27, v20, s[4:5]
	v_cndmask_b32_e32 v18, v24, v18, vcc
	v_cndmask_b32_e64 v23, v26, v23, s[4:5]
	v_bfe_u32 v28, v20, 29, 1
	v_cndmask_b32_e64 v18, v22, v18, s[0:1]
	v_alignbit_b32 v26, v20, v23, 30
	v_sub_u32_e32 v29, 0, v28
	v_cndmask_b32_e64 v18, v21, v18, s[2:3]
	v_xor_b32_e32 v26, v26, v29
	v_alignbit_b32 v21, v19, v18, v25
	v_cndmask_b32_e64 v19, v21, v19, s[4:5]
	v_ffbh_u32_e32 v22, v26
	v_alignbit_b32 v21, v23, v19, 30
	v_min_u32_e32 v22, 32, v22
	v_alignbit_b32 v18, v19, v18, 30
	v_xor_b32_e32 v21, v21, v29
	v_sub_u32_e32 v23, 31, v22
	v_xor_b32_e32 v18, v18, v29
	v_alignbit_b32 v24, v26, v21, v23
	v_alignbit_b32 v18, v21, v18, v23
	;; [unrolled: 1-line block ×3, first 2 shown]
	v_ffbh_u32_e32 v21, v19
	v_min_u32_e32 v21, 32, v21
	v_lshrrev_b32_e32 v27, 29, v20
	v_not_b32_e32 v23, v21
	v_alignbit_b32 v18, v19, v18, v23
	v_lshlrev_b32_e32 v19, 31, v27
	v_or_b32_e32 v23, 0x33000000, v19
	v_add_lshl_u32 v21, v21, v22, 23
	v_lshrrev_b32_e32 v18, 9, v18
	v_sub_u32_e32 v21, v23, v21
	v_or_b32_e32 v19, 0.5, v19
	v_lshlrev_b32_e32 v22, 23, v22
	v_or_b32_e32 v18, v21, v18
	v_lshrrev_b32_e32 v21, 9, v24
	v_sub_u32_e32 v19, v19, v22
	v_or_b32_e32 v19, v21, v19
	s_mov_b32 s0, 0x3fc90fda
	v_mul_f32_e32 v21, 0x3fc90fda, v19
	v_fma_f32 v22, v19, s0, -v21
	v_fmamk_f32 v19, v19, 0x33a22168, v22
	v_fmac_f32_e32 v19, 0x3fc90fda, v18
	v_add_f32_e32 v18, v21, v19
	v_lshrrev_b32_e32 v19, 30, v20
	v_add_u32_e32 v19, v28, v19
	s_andn2_saveexec_b64 s[0:1], s[8:9]
	s_cbranch_execnz .LBB135_11
	s_branch .LBB135_12
.LBB135_10:
	s_andn2_saveexec_b64 s[0:1], s[8:9]
	s_cbranch_execz .LBB135_12
.LBB135_11:
	s_mov_b32 s2, 0x3f22f983
	v_mul_f32_e64 v18, |v7|, s2
	v_rndne_f32_e32 v18, v18
	s_mov_b32 s2, 0xbfc90fda
	v_cvt_i32_f32_e32 v19, v18
	v_fma_f32 v20, v18, s2, |v7|
	v_fmamk_f32 v20, v18, 0xb3a22168, v20
	v_fmamk_f32 v18, v18, 0xa7c234c4, v20
.LBB135_12:
	s_or_b64 exec, exec, s[0:1]
	v_mul_f32_e32 v20, 0.5, v9
	s_brev_b32 s0, 18
	v_and_b32_e32 v21, 0x7fffffff, v20
	v_cmp_nlt_f32_e64 s[0:1], |v20|, s0
                                        ; implicit-def: $vgpr23
                                        ; implicit-def: $vgpr22
	s_and_saveexec_b64 s[2:3], s[0:1]
	s_xor_b64 s[8:9], exec, s[2:3]
	s_cbranch_execz .LBB135_14
; %bb.13:
	v_lshrrev_b32_e32 v22, 23, v21
	v_add_u32_e32 v22, 0xffffff88, v22
	v_not_b32_e32 v23, 63
	v_cmp_lt_u32_e32 vcc, 63, v22
	s_mov_b32 s4, 0xfe5163ab
	v_mov_b32_e32 v25, 0
	v_cndmask_b32_e32 v23, 0, v23, vcc
	v_add_u32_e32 v22, v23, v22
	v_not_b32_e32 v23, 31
	v_cmp_lt_u32_e64 s[0:1], 31, v22
	s_nop 1
	v_cndmask_b32_e64 v24, 0, v23, s[0:1]
	v_add_u32_e32 v22, v24, v22
	v_cmp_lt_u32_e64 s[2:3], 31, v22
	s_nop 1
	v_cndmask_b32_e64 v23, 0, v23, s[2:3]
	v_add_u32_e32 v36, v23, v22
	v_and_b32_e32 v22, 0x7fffff, v21
	v_or_b32_e32 v37, 0x800000, v22
	v_mad_u64_u32 v[22:23], s[4:5], v37, s4, 0
	v_mov_b32_e32 v24, v23
	s_mov_b32 s4, 0x3c439041
	v_mad_u64_u32 v[26:27], s[4:5], v37, s4, v[24:25]
	v_mov_b32_e32 v24, v27
	s_mov_b32 s4, 0xdb629599
	;; [unrolled: 3-line block ×6, first 2 shown]
	v_mad_u64_u32 v[24:25], s[4:5], v37, s4, v[24:25]
	v_cndmask_b32_e32 v23, v34, v30, vcc
	v_cndmask_b32_e32 v24, v24, v32, vcc
	;; [unrolled: 1-line block ×3, first 2 shown]
	v_cndmask_b32_e64 v27, v24, v23, s[0:1]
	v_cndmask_b32_e64 v24, v25, v24, s[0:1]
	v_cndmask_b32_e32 v25, v32, v28, vcc
	v_cndmask_b32_e64 v23, v23, v25, s[0:1]
	v_cndmask_b32_e32 v26, v30, v26, vcc
	v_cndmask_b32_e64 v24, v24, v27, s[2:3]
	v_cndmask_b32_e64 v27, v27, v23, s[2:3]
	v_sub_u32_e32 v29, 32, v36
	v_cndmask_b32_e64 v25, v25, v26, s[0:1]
	v_alignbit_b32 v31, v24, v27, v29
	v_cmp_eq_u32_e64 s[4:5], 0, v36
	v_cndmask_b32_e64 v23, v23, v25, s[2:3]
	v_alignbit_b32 v30, v27, v23, v29
	v_cndmask_b32_e64 v24, v31, v24, s[4:5]
	v_cndmask_b32_e32 v22, v28, v22, vcc
	v_cndmask_b32_e64 v27, v30, v27, s[4:5]
	v_bfe_u32 v32, v24, 29, 1
	v_cndmask_b32_e64 v22, v26, v22, s[0:1]
	v_alignbit_b32 v30, v24, v27, 30
	v_sub_u32_e32 v33, 0, v32
	v_cndmask_b32_e64 v22, v25, v22, s[2:3]
	v_xor_b32_e32 v30, v30, v33
	v_alignbit_b32 v25, v23, v22, v29
	v_cndmask_b32_e64 v23, v25, v23, s[4:5]
	v_ffbh_u32_e32 v26, v30
	v_alignbit_b32 v25, v27, v23, 30
	v_min_u32_e32 v26, 32, v26
	v_alignbit_b32 v22, v23, v22, 30
	v_xor_b32_e32 v25, v25, v33
	v_sub_u32_e32 v27, 31, v26
	v_xor_b32_e32 v22, v22, v33
	v_alignbit_b32 v28, v30, v25, v27
	v_alignbit_b32 v22, v25, v22, v27
	;; [unrolled: 1-line block ×3, first 2 shown]
	v_ffbh_u32_e32 v25, v23
	v_min_u32_e32 v25, 32, v25
	v_lshrrev_b32_e32 v31, 29, v24
	v_not_b32_e32 v27, v25
	v_alignbit_b32 v22, v23, v22, v27
	v_lshlrev_b32_e32 v23, 31, v31
	v_or_b32_e32 v27, 0x33000000, v23
	v_add_lshl_u32 v25, v25, v26, 23
	v_lshrrev_b32_e32 v22, 9, v22
	v_sub_u32_e32 v25, v27, v25
	v_or_b32_e32 v23, 0.5, v23
	v_lshlrev_b32_e32 v26, 23, v26
	v_or_b32_e32 v22, v25, v22
	v_lshrrev_b32_e32 v25, 9, v28
	v_sub_u32_e32 v23, v23, v26
	v_or_b32_e32 v23, v25, v23
	s_mov_b32 s0, 0x3fc90fda
	v_mul_f32_e32 v25, 0x3fc90fda, v23
	v_fma_f32 v26, v23, s0, -v25
	v_fmamk_f32 v23, v23, 0x33a22168, v26
	v_fmac_f32_e32 v23, 0x3fc90fda, v22
	v_add_f32_e32 v22, v25, v23
	v_lshrrev_b32_e32 v23, 30, v24
	v_add_u32_e32 v23, v32, v23
.LBB135_14:
	s_andn2_saveexec_b64 s[0:1], s[8:9]
	s_cbranch_execz .LBB135_16
; %bb.15:
	s_mov_b32 s2, 0x3f22f983
	v_mul_f32_e64 v22, |v20|, s2
	v_rndne_f32_e32 v22, v22
	s_mov_b32 s2, 0xbfc90fda
	v_cvt_i32_f32_e32 v23, v22
	v_fma_f32 v24, v22, s2, |v20|
	v_fmamk_f32 v24, v22, 0xb3a22168, v24
	v_fmamk_f32 v22, v22, 0xa7c234c4, v24
.LBB135_16:
	s_or_b64 exec, exec, s[0:1]
	v_and_b32_e32 v24, 0x7fffffff, v9
	s_brev_b32 s0, 18
	v_cmp_nlt_f32_e64 s[8:9], |v9|, s0
	v_lshrrev_b32_e32 v29, 23, v24
                                        ; implicit-def: $vgpr26
                                        ; implicit-def: $vgpr25
	s_and_saveexec_b64 s[0:1], s[8:9]
	s_xor_b64 s[10:11], exec, s[0:1]
	s_cbranch_execz .LBB135_18
; %bb.17:
	v_add_u32_e32 v25, 0xffffff88, v29
	v_not_b32_e32 v26, 63
	v_cmp_lt_u32_e32 vcc, 63, v25
	s_mov_b32 s4, 0xfe5163ab
	v_mov_b32_e32 v31, 0
	v_cndmask_b32_e32 v26, 0, v26, vcc
	v_add_u32_e32 v25, v26, v25
	v_not_b32_e32 v26, 31
	v_cmp_lt_u32_e64 s[0:1], 31, v25
	s_nop 1
	v_cndmask_b32_e64 v27, 0, v26, s[0:1]
	v_add_u32_e32 v25, v27, v25
	v_cmp_lt_u32_e64 s[2:3], 31, v25
	s_nop 1
	v_cndmask_b32_e64 v26, 0, v26, s[2:3]
	v_add_u32_e32 v25, v26, v25
	v_and_b32_e32 v26, 0x7fffff, v24
	v_or_b32_e32 v28, 0x800000, v26
	v_mad_u64_u32 v[26:27], s[4:5], v28, s4, 0
	v_mov_b32_e32 v30, v27
	s_mov_b32 s4, 0x3c439041
	v_mad_u64_u32 v[32:33], s[4:5], v28, s4, v[30:31]
	v_mov_b32_e32 v30, v33
	s_mov_b32 s4, 0xdb629599
	;; [unrolled: 3-line block ×6, first 2 shown]
	v_mad_u64_u32 v[30:31], s[4:5], v28, s4, v[30:31]
	v_cndmask_b32_e32 v27, v48, v36, vcc
	v_cndmask_b32_e32 v28, v30, v38, vcc
	;; [unrolled: 1-line block ×3, first 2 shown]
	v_cndmask_b32_e64 v30, v28, v27, s[0:1]
	v_cndmask_b32_e64 v28, v31, v28, s[0:1]
	v_cndmask_b32_e32 v31, v38, v34, vcc
	v_cndmask_b32_e64 v27, v27, v31, s[0:1]
	v_sub_u32_e32 v33, 32, v25
	v_cmp_eq_u32_e64 s[4:5], 0, v25
	v_cndmask_b32_e32 v25, v36, v32, vcc
	v_cndmask_b32_e64 v28, v28, v30, s[2:3]
	v_cndmask_b32_e64 v30, v30, v27, s[2:3]
	;; [unrolled: 1-line block ×3, first 2 shown]
	v_alignbit_b32 v35, v28, v30, v33
	v_cndmask_b32_e64 v27, v27, v31, s[2:3]
	v_cndmask_b32_e32 v26, v34, v26, vcc
	v_cndmask_b32_e64 v28, v35, v28, s[4:5]
	v_alignbit_b32 v32, v30, v27, v33
	v_cndmask_b32_e64 v25, v25, v26, s[0:1]
	v_cndmask_b32_e64 v30, v32, v30, s[4:5]
	v_bfe_u32 v36, v28, 29, 1
	v_cndmask_b32_e64 v25, v31, v25, s[2:3]
	v_alignbit_b32 v32, v28, v30, 30
	v_sub_u32_e32 v37, 0, v36
	v_alignbit_b32 v26, v27, v25, v33
	v_xor_b32_e32 v32, v32, v37
	v_cndmask_b32_e64 v26, v26, v27, s[4:5]
	v_alignbit_b32 v27, v30, v26, 30
	v_ffbh_u32_e32 v30, v32
	v_min_u32_e32 v30, 32, v30
	v_alignbit_b32 v25, v26, v25, 30
	v_xor_b32_e32 v27, v27, v37
	v_sub_u32_e32 v31, 31, v30
	v_xor_b32_e32 v25, v25, v37
	v_alignbit_b32 v32, v32, v27, v31
	v_alignbit_b32 v25, v27, v25, v31
	v_alignbit_b32 v26, v32, v25, 9
	v_ffbh_u32_e32 v27, v26
	v_min_u32_e32 v27, 32, v27
	v_lshrrev_b32_e32 v35, 29, v28
	v_not_b32_e32 v31, v27
	v_alignbit_b32 v25, v26, v25, v31
	v_lshlrev_b32_e32 v26, 31, v35
	v_or_b32_e32 v31, 0x33000000, v26
	v_add_lshl_u32 v27, v27, v30, 23
	v_lshrrev_b32_e32 v25, 9, v25
	v_sub_u32_e32 v27, v31, v27
	v_or_b32_e32 v26, 0.5, v26
	v_lshlrev_b32_e32 v30, 23, v30
	v_or_b32_e32 v25, v27, v25
	v_lshrrev_b32_e32 v27, 9, v32
	v_sub_u32_e32 v26, v26, v30
	v_or_b32_e32 v26, v27, v26
	s_mov_b32 s0, 0x3fc90fda
	v_mul_f32_e32 v27, 0x3fc90fda, v26
	v_fma_f32 v30, v26, s0, -v27
	v_fmamk_f32 v26, v26, 0x33a22168, v30
	v_fmac_f32_e32 v26, 0x3fc90fda, v25
	v_add_f32_e32 v25, v27, v26
	v_lshrrev_b32_e32 v26, 30, v28
	v_add_u32_e32 v26, v36, v26
	s_andn2_saveexec_b64 s[0:1], s[10:11]
	s_cbranch_execz .LBB135_20
	s_branch .LBB135_19
.LBB135_18:
	s_andn2_saveexec_b64 s[0:1], s[10:11]
	s_cbranch_execz .LBB135_20
.LBB135_19:
	s_mov_b32 s2, 0x3f22f983
	v_mul_f32_e64 v25, |v9|, s2
	v_rndne_f32_e32 v25, v25
	s_mov_b32 s2, 0xbfc90fda
	v_cvt_i32_f32_e32 v26, v25
	v_fma_f32 v27, v25, s2, |v9|
	v_fmamk_f32 v27, v25, 0xb3a22168, v27
	v_fmamk_f32 v25, v25, 0xa7c234c4, v27
.LBB135_20:
	s_or_b64 exec, exec, s[0:1]
                                        ; implicit-def: $vgpr28
                                        ; implicit-def: $vgpr27
	s_and_saveexec_b64 s[0:1], s[8:9]
	s_xor_b64 s[8:9], exec, s[0:1]
	s_cbranch_execz .LBB135_22
; %bb.21:
	v_add_u32_e32 v27, 0xffffff88, v29
	v_not_b32_e32 v28, 63
	v_cmp_lt_u32_e32 vcc, 63, v27
	s_mov_b32 s4, 0xfe5163ab
	v_mov_b32_e32 v31, 0
	v_cndmask_b32_e32 v28, 0, v28, vcc
	v_add_u32_e32 v27, v28, v27
	v_not_b32_e32 v28, 31
	v_cmp_lt_u32_e64 s[0:1], 31, v27
	s_nop 1
	v_cndmask_b32_e64 v29, 0, v28, s[0:1]
	v_add_u32_e32 v27, v29, v27
	v_cmp_lt_u32_e64 s[2:3], 31, v27
	s_nop 1
	v_cndmask_b32_e64 v28, 0, v28, s[2:3]
	v_add_u32_e32 v27, v28, v27
	v_and_b32_e32 v28, 0x7fffff, v24
	v_or_b32_e32 v50, 0x800000, v28
	v_mad_u64_u32 v[28:29], s[4:5], v50, s4, 0
	v_mov_b32_e32 v30, v29
	s_mov_b32 s4, 0x3c439041
	v_mad_u64_u32 v[32:33], s[4:5], v50, s4, v[30:31]
	v_mov_b32_e32 v30, v33
	s_mov_b32 s4, 0xdb629599
	;; [unrolled: 3-line block ×6, first 2 shown]
	v_mad_u64_u32 v[30:31], s[4:5], v50, s4, v[30:31]
	v_cndmask_b32_e32 v29, v48, v36, vcc
	v_cndmask_b32_e32 v30, v30, v38, vcc
	;; [unrolled: 1-line block ×3, first 2 shown]
	v_cndmask_b32_e64 v33, v30, v29, s[0:1]
	v_cndmask_b32_e64 v30, v31, v30, s[0:1]
	v_cndmask_b32_e32 v31, v38, v34, vcc
	v_cndmask_b32_e64 v29, v29, v31, s[0:1]
	v_sub_u32_e32 v35, 32, v27
	v_cmp_eq_u32_e64 s[4:5], 0, v27
	v_cndmask_b32_e32 v27, v36, v32, vcc
	v_cndmask_b32_e64 v30, v30, v33, s[2:3]
	v_cndmask_b32_e64 v33, v33, v29, s[2:3]
	;; [unrolled: 1-line block ×3, first 2 shown]
	v_alignbit_b32 v37, v30, v33, v35
	v_cndmask_b32_e64 v29, v29, v31, s[2:3]
	v_cndmask_b32_e64 v30, v37, v30, s[4:5]
	v_alignbit_b32 v32, v33, v29, v35
	v_cndmask_b32_e32 v28, v34, v28, vcc
	v_cndmask_b32_e64 v32, v32, v33, s[4:5]
	v_bfe_u32 v37, v30, 29, 1
	v_cndmask_b32_e64 v27, v27, v28, s[0:1]
	v_alignbit_b32 v33, v30, v32, 30
	v_sub_u32_e32 v38, 0, v37
	v_cndmask_b32_e64 v27, v31, v27, s[2:3]
	v_xor_b32_e32 v33, v33, v38
	v_alignbit_b32 v28, v29, v27, v35
	v_cndmask_b32_e64 v28, v28, v29, s[4:5]
	v_ffbh_u32_e32 v31, v33
	v_alignbit_b32 v29, v32, v28, 30
	v_min_u32_e32 v31, 32, v31
	v_alignbit_b32 v27, v28, v27, 30
	v_xor_b32_e32 v29, v29, v38
	v_sub_u32_e32 v32, 31, v31
	v_xor_b32_e32 v27, v27, v38
	v_alignbit_b32 v33, v33, v29, v32
	v_alignbit_b32 v27, v29, v27, v32
	;; [unrolled: 1-line block ×3, first 2 shown]
	v_ffbh_u32_e32 v29, v28
	v_min_u32_e32 v29, 32, v29
	v_lshrrev_b32_e32 v36, 29, v30
	v_not_b32_e32 v32, v29
	v_alignbit_b32 v27, v28, v27, v32
	v_lshlrev_b32_e32 v28, 31, v36
	v_or_b32_e32 v32, 0x33000000, v28
	v_add_lshl_u32 v29, v29, v31, 23
	v_lshrrev_b32_e32 v27, 9, v27
	v_sub_u32_e32 v29, v32, v29
	v_or_b32_e32 v28, 0.5, v28
	v_lshlrev_b32_e32 v31, 23, v31
	v_or_b32_e32 v27, v29, v27
	v_lshrrev_b32_e32 v29, 9, v33
	v_sub_u32_e32 v28, v28, v31
	v_or_b32_e32 v28, v29, v28
	s_mov_b32 s0, 0x3fc90fda
	v_mul_f32_e32 v29, 0x3fc90fda, v28
	v_fma_f32 v31, v28, s0, -v29
	v_fmamk_f32 v28, v28, 0x33a22168, v31
	v_fmac_f32_e32 v28, 0x3fc90fda, v27
	v_add_f32_e32 v27, v29, v28
	v_lshrrev_b32_e32 v28, 30, v30
	v_add_u32_e32 v28, v37, v28
	s_andn2_saveexec_b64 s[0:1], s[8:9]
	s_cbranch_execnz .LBB135_23
	s_branch .LBB135_24
.LBB135_22:
	s_andn2_saveexec_b64 s[0:1], s[8:9]
	s_cbranch_execz .LBB135_24
.LBB135_23:
	s_mov_b32 s2, 0x3f22f983
	v_mul_f32_e64 v27, |v9|, s2
	v_rndne_f32_e32 v27, v27
	s_mov_b32 s2, 0xbfc90fda
	v_cvt_i32_f32_e32 v28, v27
	v_fma_f32 v29, v27, s2, |v9|
	v_fmamk_f32 v29, v27, 0xb3a22168, v29
	v_fmamk_f32 v27, v27, 0xa7c234c4, v29
.LBB135_24:
	s_or_b64 exec, exec, s[0:1]
	v_mul_f32_e32 v29, 0.5, v3
	s_brev_b32 s0, 18
	v_and_b32_e32 v30, 0x7fffffff, v29
	v_cmp_nlt_f32_e64 s[0:1], |v29|, s0
                                        ; implicit-def: $vgpr32
                                        ; implicit-def: $vgpr31
	s_and_saveexec_b64 s[2:3], s[0:1]
	s_xor_b64 s[8:9], exec, s[2:3]
	s_cbranch_execz .LBB135_26
; %bb.25:
	v_lshrrev_b32_e32 v31, 23, v30
	v_add_u32_e32 v31, 0xffffff88, v31
	v_not_b32_e32 v32, 63
	v_cmp_lt_u32_e32 vcc, 63, v31
	s_mov_b32 s4, 0xfe5163ab
	v_mov_b32_e32 v35, 0
	v_cndmask_b32_e32 v32, 0, v32, vcc
	v_add_u32_e32 v31, v32, v31
	v_not_b32_e32 v32, 31
	v_cmp_lt_u32_e64 s[0:1], 31, v31
	s_nop 1
	v_cndmask_b32_e64 v33, 0, v32, s[0:1]
	v_add_u32_e32 v31, v33, v31
	v_cmp_lt_u32_e64 s[2:3], 31, v31
	s_nop 1
	v_cndmask_b32_e64 v32, 0, v32, s[2:3]
	v_add_u32_e32 v31, v32, v31
	v_and_b32_e32 v32, 0x7fffff, v30
	v_or_b32_e32 v54, 0x800000, v32
	v_mad_u64_u32 v[32:33], s[4:5], v54, s4, 0
	v_mov_b32_e32 v34, v33
	s_mov_b32 s4, 0x3c439041
	v_mad_u64_u32 v[36:37], s[4:5], v54, s4, v[34:35]
	v_mov_b32_e32 v34, v37
	s_mov_b32 s4, 0xdb629599
	;; [unrolled: 3-line block ×6, first 2 shown]
	v_mad_u64_u32 v[34:35], s[4:5], v54, s4, v[34:35]
	v_cndmask_b32_e32 v33, v52, v48, vcc
	v_cndmask_b32_e32 v34, v34, v50, vcc
	;; [unrolled: 1-line block ×3, first 2 shown]
	v_cndmask_b32_e64 v37, v34, v33, s[0:1]
	v_cndmask_b32_e64 v34, v35, v34, s[0:1]
	v_cndmask_b32_e32 v35, v50, v38, vcc
	v_cndmask_b32_e64 v33, v33, v35, s[0:1]
	v_sub_u32_e32 v39, 32, v31
	v_cmp_eq_u32_e64 s[4:5], 0, v31
	v_cndmask_b32_e32 v31, v48, v36, vcc
	v_cndmask_b32_e64 v34, v34, v37, s[2:3]
	v_cndmask_b32_e64 v37, v37, v33, s[2:3]
	;; [unrolled: 1-line block ×3, first 2 shown]
	v_alignbit_b32 v49, v34, v37, v39
	v_cndmask_b32_e64 v33, v33, v35, s[2:3]
	v_cndmask_b32_e64 v34, v49, v34, s[4:5]
	v_alignbit_b32 v36, v37, v33, v39
	v_cndmask_b32_e32 v32, v38, v32, vcc
	v_cndmask_b32_e64 v36, v36, v37, s[4:5]
	v_bfe_u32 v49, v34, 29, 1
	v_cndmask_b32_e64 v31, v31, v32, s[0:1]
	v_alignbit_b32 v37, v34, v36, 30
	v_sub_u32_e32 v50, 0, v49
	v_cndmask_b32_e64 v31, v35, v31, s[2:3]
	v_xor_b32_e32 v37, v37, v50
	v_alignbit_b32 v32, v33, v31, v39
	v_cndmask_b32_e64 v32, v32, v33, s[4:5]
	v_ffbh_u32_e32 v35, v37
	v_alignbit_b32 v33, v36, v32, 30
	v_min_u32_e32 v35, 32, v35
	v_alignbit_b32 v31, v32, v31, 30
	v_xor_b32_e32 v33, v33, v50
	v_sub_u32_e32 v36, 31, v35
	v_xor_b32_e32 v31, v31, v50
	v_alignbit_b32 v37, v37, v33, v36
	v_alignbit_b32 v31, v33, v31, v36
	;; [unrolled: 1-line block ×3, first 2 shown]
	v_ffbh_u32_e32 v33, v32
	v_min_u32_e32 v33, 32, v33
	v_lshrrev_b32_e32 v48, 29, v34
	v_not_b32_e32 v36, v33
	v_alignbit_b32 v31, v32, v31, v36
	v_lshlrev_b32_e32 v32, 31, v48
	v_or_b32_e32 v36, 0x33000000, v32
	v_add_lshl_u32 v33, v33, v35, 23
	v_lshrrev_b32_e32 v31, 9, v31
	v_sub_u32_e32 v33, v36, v33
	v_or_b32_e32 v32, 0.5, v32
	v_lshlrev_b32_e32 v35, 23, v35
	v_or_b32_e32 v31, v33, v31
	v_lshrrev_b32_e32 v33, 9, v37
	v_sub_u32_e32 v32, v32, v35
	v_or_b32_e32 v32, v33, v32
	s_mov_b32 s0, 0x3fc90fda
	v_mul_f32_e32 v33, 0x3fc90fda, v32
	v_fma_f32 v35, v32, s0, -v33
	v_fmamk_f32 v32, v32, 0x33a22168, v35
	v_fmac_f32_e32 v32, 0x3fc90fda, v31
	v_add_f32_e32 v31, v33, v32
	v_lshrrev_b32_e32 v32, 30, v34
	v_add_u32_e32 v32, v49, v32
.LBB135_26:
	s_andn2_saveexec_b64 s[0:1], s[8:9]
	s_cbranch_execz .LBB135_28
; %bb.27:
	s_mov_b32 s2, 0x3f22f983
	v_mul_f32_e64 v31, |v29|, s2
	v_rndne_f32_e32 v31, v31
	s_mov_b32 s2, 0xbfc90fda
	v_cvt_i32_f32_e32 v32, v31
	v_fma_f32 v33, v31, s2, |v29|
	v_fmamk_f32 v33, v31, 0xb3a22168, v33
	v_fmamk_f32 v31, v31, 0xa7c234c4, v33
.LBB135_28:
	s_or_b64 exec, exec, s[0:1]
	v_and_b32_e32 v35, 0x7fffffff, v3
	s_brev_b32 s0, 18
	v_cmp_nlt_f32_e64 s[8:9], |v3|, s0
	v_lshrrev_b32_e32 v33, 23, v35
                                        ; implicit-def: $vgpr37
                                        ; implicit-def: $vgpr38
	s_and_saveexec_b64 s[0:1], s[8:9]
	s_xor_b64 s[10:11], exec, s[0:1]
	s_cbranch_execz .LBB135_30
; %bb.29:
	v_add_u32_e32 v34, 0xffffff88, v33
	v_not_b32_e32 v36, 63
	v_cmp_lt_u32_e32 vcc, 63, v34
	s_mov_b32 s4, 0xfe5163ab
	v_mov_b32_e32 v39, 0
	v_cndmask_b32_e32 v36, 0, v36, vcc
	v_add_u32_e32 v34, v36, v34
	v_not_b32_e32 v36, 31
	v_cmp_lt_u32_e64 s[0:1], 31, v34
	s_nop 1
	v_cndmask_b32_e64 v37, 0, v36, s[0:1]
	v_add_u32_e32 v34, v37, v34
	v_cmp_lt_u32_e64 s[2:3], 31, v34
	s_nop 1
	v_cndmask_b32_e64 v36, 0, v36, s[2:3]
	v_add_u32_e32 v34, v36, v34
	v_and_b32_e32 v36, 0x7fffff, v35
	v_or_b32_e32 v66, 0x800000, v36
	v_mad_u64_u32 v[36:37], s[4:5], v66, s4, 0
	v_mov_b32_e32 v38, v37
	s_mov_b32 s4, 0x3c439041
	v_mad_u64_u32 v[48:49], s[4:5], v66, s4, v[38:39]
	v_mov_b32_e32 v38, v49
	s_mov_b32 s4, 0xdb629599
	;; [unrolled: 3-line block ×6, first 2 shown]
	v_mad_u64_u32 v[38:39], s[4:5], v66, s4, v[38:39]
	v_cndmask_b32_e32 v37, v64, v52, vcc
	v_cndmask_b32_e32 v38, v38, v54, vcc
	;; [unrolled: 1-line block ×3, first 2 shown]
	v_cndmask_b32_e64 v49, v38, v37, s[0:1]
	v_cndmask_b32_e64 v38, v39, v38, s[0:1]
	v_cndmask_b32_e32 v39, v54, v50, vcc
	v_cndmask_b32_e64 v37, v37, v39, s[0:1]
	v_cndmask_b32_e64 v38, v38, v49, s[2:3]
	;; [unrolled: 1-line block ×3, first 2 shown]
	v_sub_u32_e32 v51, 32, v34
	v_alignbit_b32 v53, v38, v49, v51
	v_cmp_eq_u32_e64 s[4:5], 0, v34
	v_cndmask_b32_e32 v36, v50, v36, vcc
	s_nop 0
	v_cndmask_b32_e64 v34, v53, v38, s[4:5]
	v_cndmask_b32_e32 v38, v52, v48, vcc
	v_cndmask_b32_e64 v39, v39, v38, s[0:1]
	v_cndmask_b32_e64 v37, v37, v39, s[2:3]
	v_alignbit_b32 v48, v49, v37, v51
	v_cndmask_b32_e64 v48, v48, v49, s[4:5]
	v_bfe_u32 v53, v34, 29, 1
	v_cndmask_b32_e64 v36, v38, v36, s[0:1]
	v_alignbit_b32 v49, v34, v48, 30
	v_sub_u32_e32 v54, 0, v53
	v_cndmask_b32_e64 v36, v39, v36, s[2:3]
	v_xor_b32_e32 v49, v49, v54
	v_alignbit_b32 v38, v37, v36, v51
	v_cndmask_b32_e64 v37, v38, v37, s[4:5]
	v_ffbh_u32_e32 v39, v49
	v_alignbit_b32 v38, v48, v37, 30
	v_min_u32_e32 v39, 32, v39
	v_alignbit_b32 v36, v37, v36, 30
	v_xor_b32_e32 v38, v38, v54
	v_sub_u32_e32 v48, 31, v39
	v_xor_b32_e32 v36, v36, v54
	v_alignbit_b32 v49, v49, v38, v48
	v_alignbit_b32 v36, v38, v36, v48
	;; [unrolled: 1-line block ×3, first 2 shown]
	v_ffbh_u32_e32 v38, v37
	v_min_u32_e32 v38, 32, v38
	v_lshrrev_b32_e32 v52, 29, v34
	v_not_b32_e32 v48, v38
	v_alignbit_b32 v36, v37, v36, v48
	v_lshlrev_b32_e32 v37, 31, v52
	v_or_b32_e32 v48, 0x33000000, v37
	v_add_lshl_u32 v38, v38, v39, 23
	v_lshrrev_b32_e32 v36, 9, v36
	v_sub_u32_e32 v38, v48, v38
	v_or_b32_e32 v37, 0.5, v37
	v_lshlrev_b32_e32 v39, 23, v39
	v_or_b32_e32 v36, v38, v36
	v_lshrrev_b32_e32 v38, 9, v49
	v_sub_u32_e32 v37, v37, v39
	v_or_b32_e32 v37, v38, v37
	s_mov_b32 s0, 0x3fc90fda
	v_mul_f32_e32 v38, 0x3fc90fda, v37
	v_fma_f32 v39, v37, s0, -v38
	v_fmamk_f32 v37, v37, 0x33a22168, v39
	v_fmac_f32_e32 v37, 0x3fc90fda, v36
	v_lshrrev_b32_e32 v34, 30, v34
	v_add_f32_e32 v38, v38, v37
	v_add_u32_e32 v37, v53, v34
	s_andn2_saveexec_b64 s[0:1], s[10:11]
	s_cbranch_execz .LBB135_32
	s_branch .LBB135_31
.LBB135_30:
	s_andn2_saveexec_b64 s[0:1], s[10:11]
	s_cbranch_execz .LBB135_32
.LBB135_31:
	s_mov_b32 s2, 0x3f22f983
	v_mul_f32_e64 v34, |v3|, s2
	v_rndne_f32_e32 v34, v34
	s_mov_b32 s2, 0xbfc90fda
	v_cvt_i32_f32_e32 v37, v34
	v_fma_f32 v36, v34, s2, |v3|
	v_fmamk_f32 v36, v34, 0xb3a22168, v36
	v_fmamk_f32 v38, v34, 0xa7c234c4, v36
.LBB135_32:
	s_or_b64 exec, exec, s[0:1]
                                        ; implicit-def: $vgpr52
                                        ; implicit-def: $vgpr51
	s_and_saveexec_b64 s[0:1], s[8:9]
	s_xor_b64 s[8:9], exec, s[0:1]
	s_cbranch_execz .LBB135_34
; %bb.33:
	v_add_u32_e32 v33, 0xffffff88, v33
	v_not_b32_e32 v34, 63
	v_cmp_lt_u32_e32 vcc, 63, v33
	s_mov_b32 s4, 0xfe5163ab
	v_mov_b32_e32 v51, 0
	v_cndmask_b32_e32 v34, 0, v34, vcc
	v_add_u32_e32 v33, v34, v33
	v_not_b32_e32 v34, 31
	v_cmp_lt_u32_e64 s[0:1], 31, v33
	s_nop 1
	v_cndmask_b32_e64 v36, 0, v34, s[0:1]
	v_add_u32_e32 v33, v36, v33
	v_cmp_lt_u32_e64 s[2:3], 31, v33
	s_nop 1
	v_cndmask_b32_e64 v34, 0, v34, s[2:3]
	v_add_u32_e32 v33, v34, v33
	v_and_b32_e32 v34, 0x7fffff, v35
	v_or_b32_e32 v34, 0x800000, v34
	v_mad_u64_u32 v[48:49], s[4:5], v34, s4, 0
	v_mov_b32_e32 v50, v49
	s_mov_b32 s4, 0x3c439041
	v_mad_u64_u32 v[52:53], s[4:5], v34, s4, v[50:51]
	v_mov_b32_e32 v50, v53
	s_mov_b32 s4, 0xdb629599
	;; [unrolled: 3-line block ×6, first 2 shown]
	v_mad_u64_u32 v[50:51], s[4:5], v34, s4, v[50:51]
	v_cndmask_b32_e32 v36, v68, v64, vcc
	v_cndmask_b32_e32 v34, v50, v66, vcc
	;; [unrolled: 1-line block ×3, first 2 shown]
	v_cndmask_b32_e64 v39, v34, v36, s[0:1]
	v_cndmask_b32_e64 v34, v49, v34, s[0:1]
	v_cndmask_b32_e32 v49, v66, v54, vcc
	v_cndmask_b32_e64 v36, v36, v49, s[0:1]
	v_cndmask_b32_e64 v34, v34, v39, s[2:3]
	;; [unrolled: 1-line block ×3, first 2 shown]
	v_sub_u32_e32 v50, 32, v33
	v_alignbit_b32 v51, v34, v39, v50
	v_cmp_eq_u32_e64 s[4:5], 0, v33
	v_cndmask_b32_e32 v48, v54, v48, vcc
	s_nop 0
	v_cndmask_b32_e64 v33, v51, v34, s[4:5]
	v_cndmask_b32_e32 v34, v64, v52, vcc
	v_cndmask_b32_e64 v49, v49, v34, s[0:1]
	v_cndmask_b32_e64 v36, v36, v49, s[2:3]
	v_alignbit_b32 v51, v39, v36, v50
	v_cndmask_b32_e64 v39, v51, v39, s[4:5]
	v_bfe_u32 v53, v33, 29, 1
	v_cndmask_b32_e64 v34, v34, v48, s[0:1]
	v_alignbit_b32 v51, v33, v39, 30
	v_sub_u32_e32 v55, 0, v53
	v_cndmask_b32_e64 v34, v49, v34, s[2:3]
	v_xor_b32_e32 v51, v51, v55
	v_alignbit_b32 v48, v36, v34, v50
	v_cndmask_b32_e64 v36, v48, v36, s[4:5]
	v_ffbh_u32_e32 v48, v51
	v_alignbit_b32 v39, v39, v36, 30
	v_min_u32_e32 v48, 32, v48
	v_alignbit_b32 v34, v36, v34, 30
	v_xor_b32_e32 v39, v39, v55
	v_sub_u32_e32 v49, 31, v48
	v_xor_b32_e32 v34, v34, v55
	v_alignbit_b32 v50, v51, v39, v49
	v_alignbit_b32 v34, v39, v34, v49
	;; [unrolled: 1-line block ×3, first 2 shown]
	v_ffbh_u32_e32 v39, v36
	v_min_u32_e32 v39, 32, v39
	v_lshrrev_b32_e32 v52, 29, v33
	v_not_b32_e32 v49, v39
	v_alignbit_b32 v34, v36, v34, v49
	v_lshlrev_b32_e32 v36, 31, v52
	v_or_b32_e32 v49, 0x33000000, v36
	v_add_lshl_u32 v39, v39, v48, 23
	v_lshrrev_b32_e32 v34, 9, v34
	v_sub_u32_e32 v39, v49, v39
	v_or_b32_e32 v36, 0.5, v36
	v_lshlrev_b32_e32 v48, 23, v48
	v_or_b32_e32 v34, v39, v34
	v_lshrrev_b32_e32 v39, 9, v50
	v_sub_u32_e32 v36, v36, v48
	v_or_b32_e32 v36, v39, v36
	s_mov_b32 s0, 0x3fc90fda
	v_mul_f32_e32 v39, 0x3fc90fda, v36
	v_fma_f32 v48, v36, s0, -v39
	v_fmamk_f32 v36, v36, 0x33a22168, v48
	v_fmac_f32_e32 v36, 0x3fc90fda, v34
	v_lshrrev_b32_e32 v33, 30, v33
	v_add_f32_e32 v51, v39, v36
	v_add_u32_e32 v52, v53, v33
	s_andn2_saveexec_b64 s[0:1], s[8:9]
	s_cbranch_execnz .LBB135_35
	s_branch .LBB135_36
.LBB135_34:
	s_andn2_saveexec_b64 s[0:1], s[8:9]
	s_cbranch_execz .LBB135_36
.LBB135_35:
	s_mov_b32 s2, 0x3f22f983
	v_mul_f32_e64 v33, |v3|, s2
	v_rndne_f32_e32 v33, v33
	s_mov_b32 s2, 0xbfc90fda
	v_cvt_i32_f32_e32 v52, v33
	v_fma_f32 v34, v33, s2, |v3|
	v_fmamk_f32 v34, v33, 0xb3a22168, v34
	v_fmamk_f32 v51, v33, 0xa7c234c4, v34
.LBB135_36:
	s_or_b64 exec, exec, s[0:1]
	v_mul_f32_e32 v33, 0.5, v5
	s_brev_b32 s0, 18
	v_and_b32_e32 v34, 0x7fffffff, v33
	v_cmp_nlt_f32_e64 s[0:1], |v33|, s0
                                        ; implicit-def: $vgpr39
                                        ; implicit-def: $vgpr36
	s_and_saveexec_b64 s[2:3], s[0:1]
	s_xor_b64 s[8:9], exec, s[2:3]
	s_cbranch_execz .LBB135_38
; %bb.37:
	v_lshrrev_b32_e32 v36, 23, v34
	v_add_u32_e32 v36, 0xffffff88, v36
	v_not_b32_e32 v39, 63
	v_cmp_lt_u32_e32 vcc, 63, v36
	s_mov_b32 s4, 0xfe5163ab
	v_mov_b32_e32 v55, 0
	v_cndmask_b32_e32 v39, 0, v39, vcc
	v_add_u32_e32 v36, v39, v36
	v_not_b32_e32 v39, 31
	v_cmp_lt_u32_e64 s[0:1], 31, v36
	s_nop 1
	v_cndmask_b32_e64 v48, 0, v39, s[0:1]
	v_add_u32_e32 v36, v48, v36
	v_cmp_lt_u32_e64 s[2:3], 31, v36
	s_nop 1
	v_cndmask_b32_e64 v39, 0, v39, s[2:3]
	v_add_u32_e32 v36, v39, v36
	v_and_b32_e32 v39, 0x7fffff, v34
	v_or_b32_e32 v39, 0x800000, v39
	v_mad_u64_u32 v[48:49], s[4:5], v39, s4, 0
	v_mov_b32_e32 v54, v49
	s_mov_b32 s4, 0x3c439041
	v_mad_u64_u32 v[64:65], s[4:5], v39, s4, v[54:55]
	v_mov_b32_e32 v54, v65
	s_mov_b32 s4, 0xdb629599
	;; [unrolled: 3-line block ×6, first 2 shown]
	v_mad_u64_u32 v[54:55], s[4:5], v39, s4, v[54:55]
	v_cndmask_b32_e32 v49, v80, v68, vcc
	v_cndmask_b32_e32 v39, v54, v70, vcc
	;; [unrolled: 1-line block ×3, first 2 shown]
	v_cndmask_b32_e64 v50, v39, v49, s[0:1]
	v_cndmask_b32_e64 v39, v53, v39, s[0:1]
	v_cndmask_b32_e32 v53, v70, v66, vcc
	v_cndmask_b32_e64 v49, v49, v53, s[0:1]
	v_sub_u32_e32 v54, 32, v36
	v_cmp_eq_u32_e64 s[4:5], 0, v36
	v_cndmask_b32_e32 v36, v68, v64, vcc
	v_cndmask_b32_e64 v39, v39, v50, s[2:3]
	v_cndmask_b32_e64 v50, v50, v49, s[2:3]
	;; [unrolled: 1-line block ×3, first 2 shown]
	v_alignbit_b32 v55, v39, v50, v54
	v_cndmask_b32_e64 v49, v49, v53, s[2:3]
	v_cndmask_b32_e32 v48, v66, v48, vcc
	v_cndmask_b32_e64 v39, v55, v39, s[4:5]
	v_alignbit_b32 v55, v50, v49, v54
	v_cndmask_b32_e64 v36, v36, v48, s[0:1]
	v_cndmask_b32_e64 v50, v55, v50, s[4:5]
	v_bfe_u32 v65, v39, 29, 1
	v_cndmask_b32_e64 v36, v53, v36, s[2:3]
	v_alignbit_b32 v55, v39, v50, 30
	v_sub_u32_e32 v67, 0, v65
	v_alignbit_b32 v48, v49, v36, v54
	v_xor_b32_e32 v55, v55, v67
	v_cndmask_b32_e64 v48, v48, v49, s[4:5]
	v_alignbit_b32 v49, v50, v48, 30
	v_ffbh_u32_e32 v50, v55
	v_min_u32_e32 v50, 32, v50
	v_alignbit_b32 v36, v48, v36, 30
	v_xor_b32_e32 v49, v49, v67
	v_sub_u32_e32 v53, 31, v50
	v_xor_b32_e32 v36, v36, v67
	v_alignbit_b32 v54, v55, v49, v53
	v_alignbit_b32 v36, v49, v36, v53
	;; [unrolled: 1-line block ×3, first 2 shown]
	v_ffbh_u32_e32 v49, v48
	v_min_u32_e32 v49, 32, v49
	v_lshrrev_b32_e32 v64, 29, v39
	v_not_b32_e32 v53, v49
	v_alignbit_b32 v36, v48, v36, v53
	v_lshlrev_b32_e32 v48, 31, v64
	v_or_b32_e32 v53, 0x33000000, v48
	v_add_lshl_u32 v49, v49, v50, 23
	v_lshrrev_b32_e32 v36, 9, v36
	v_sub_u32_e32 v49, v53, v49
	v_or_b32_e32 v48, 0.5, v48
	v_lshlrev_b32_e32 v50, 23, v50
	v_or_b32_e32 v36, v49, v36
	v_lshrrev_b32_e32 v49, 9, v54
	v_sub_u32_e32 v48, v48, v50
	v_or_b32_e32 v48, v49, v48
	s_mov_b32 s0, 0x3fc90fda
	v_mul_f32_e32 v49, 0x3fc90fda, v48
	v_fma_f32 v50, v48, s0, -v49
	v_fmamk_f32 v48, v48, 0x33a22168, v50
	v_fmac_f32_e32 v48, 0x3fc90fda, v36
	v_lshrrev_b32_e32 v39, 30, v39
	v_add_f32_e32 v36, v49, v48
	v_add_u32_e32 v39, v65, v39
.LBB135_38:
	s_andn2_saveexec_b64 s[0:1], s[8:9]
	s_cbranch_execz .LBB135_40
; %bb.39:
	s_mov_b32 s2, 0x3f22f983
	v_mul_f32_e64 v36, |v33|, s2
	v_rndne_f32_e32 v36, v36
	s_mov_b32 s2, 0xbfc90fda
	v_cvt_i32_f32_e32 v39, v36
	v_fma_f32 v48, v36, s2, |v33|
	v_fmamk_f32 v48, v36, 0xb3a22168, v48
	v_fmamk_f32 v36, v36, 0xa7c234c4, v48
.LBB135_40:
	s_or_b64 exec, exec, s[0:1]
	v_and_b32_e32 v48, 0x7fffffff, v5
	s_brev_b32 s0, 18
	v_cmp_nlt_f32_e64 s[8:9], |v5|, s0
	v_lshrrev_b32_e32 v55, 23, v48
                                        ; implicit-def: $vgpr50
                                        ; implicit-def: $vgpr49
	s_and_saveexec_b64 s[0:1], s[8:9]
	s_xor_b64 s[10:11], exec, s[0:1]
	s_cbranch_execz .LBB135_42
; %bb.41:
	v_add_u32_e32 v49, 0xffffff88, v55
	v_not_b32_e32 v50, 63
	v_cmp_lt_u32_e32 vcc, 63, v49
	s_mov_b32 s4, 0xfe5163ab
	v_mov_b32_e32 v67, 0
	v_cndmask_b32_e32 v50, 0, v50, vcc
	v_add_u32_e32 v49, v50, v49
	v_not_b32_e32 v50, 31
	v_cmp_lt_u32_e64 s[0:1], 31, v49
	s_nop 1
	v_cndmask_b32_e64 v53, 0, v50, s[0:1]
	v_add_u32_e32 v49, v53, v49
	v_cmp_lt_u32_e64 s[2:3], 31, v49
	s_nop 1
	v_cndmask_b32_e64 v50, 0, v50, s[2:3]
	v_add_u32_e32 v49, v50, v49
	v_and_b32_e32 v50, 0x7fffff, v48
	v_or_b32_e32 v50, 0x800000, v50
	v_mad_u64_u32 v[64:65], s[4:5], v50, s4, 0
	v_mov_b32_e32 v66, v65
	s_mov_b32 s4, 0x3c439041
	v_mad_u64_u32 v[68:69], s[4:5], v50, s4, v[66:67]
	v_mov_b32_e32 v66, v69
	s_mov_b32 s4, 0xdb629599
	;; [unrolled: 3-line block ×6, first 2 shown]
	v_mad_u64_u32 v[66:67], s[4:5], v50, s4, v[66:67]
	v_cndmask_b32_e32 v53, v84, v80, vcc
	v_cndmask_b32_e32 v50, v66, v82, vcc
	;; [unrolled: 1-line block ×3, first 2 shown]
	v_cndmask_b32_e64 v54, v50, v53, s[0:1]
	v_cndmask_b32_e64 v50, v65, v50, s[0:1]
	v_cndmask_b32_e32 v65, v82, v70, vcc
	v_cndmask_b32_e64 v53, v53, v65, s[0:1]
	v_sub_u32_e32 v66, 32, v49
	v_cmp_eq_u32_e64 s[4:5], 0, v49
	v_cndmask_b32_e32 v49, v80, v68, vcc
	v_cndmask_b32_e64 v50, v50, v54, s[2:3]
	v_cndmask_b32_e64 v54, v54, v53, s[2:3]
	v_cndmask_b32_e64 v65, v65, v49, s[0:1]
	v_alignbit_b32 v67, v50, v54, v66
	v_cndmask_b32_e64 v53, v53, v65, s[2:3]
	v_cndmask_b32_e64 v50, v67, v50, s[4:5]
	v_alignbit_b32 v67, v54, v53, v66
	v_cndmask_b32_e32 v64, v70, v64, vcc
	v_cndmask_b32_e64 v54, v67, v54, s[4:5]
	v_bfe_u32 v69, v50, 29, 1
	v_cndmask_b32_e64 v49, v49, v64, s[0:1]
	v_alignbit_b32 v67, v50, v54, 30
	v_sub_u32_e32 v71, 0, v69
	v_cndmask_b32_e64 v49, v65, v49, s[2:3]
	v_xor_b32_e32 v67, v67, v71
	v_alignbit_b32 v64, v53, v49, v66
	v_cndmask_b32_e64 v53, v64, v53, s[4:5]
	v_ffbh_u32_e32 v64, v67
	v_alignbit_b32 v54, v54, v53, 30
	v_min_u32_e32 v64, 32, v64
	v_alignbit_b32 v49, v53, v49, 30
	v_xor_b32_e32 v54, v54, v71
	v_sub_u32_e32 v65, 31, v64
	v_xor_b32_e32 v49, v49, v71
	v_alignbit_b32 v66, v67, v54, v65
	v_alignbit_b32 v49, v54, v49, v65
	;; [unrolled: 1-line block ×3, first 2 shown]
	v_ffbh_u32_e32 v54, v53
	v_min_u32_e32 v54, 32, v54
	v_lshrrev_b32_e32 v68, 29, v50
	v_not_b32_e32 v65, v54
	v_alignbit_b32 v49, v53, v49, v65
	v_lshlrev_b32_e32 v53, 31, v68
	v_or_b32_e32 v65, 0x33000000, v53
	v_add_lshl_u32 v54, v54, v64, 23
	v_lshrrev_b32_e32 v49, 9, v49
	v_sub_u32_e32 v54, v65, v54
	v_or_b32_e32 v53, 0.5, v53
	v_lshlrev_b32_e32 v64, 23, v64
	v_or_b32_e32 v49, v54, v49
	v_lshrrev_b32_e32 v54, 9, v66
	v_sub_u32_e32 v53, v53, v64
	v_or_b32_e32 v53, v54, v53
	s_mov_b32 s0, 0x3fc90fda
	v_mul_f32_e32 v54, 0x3fc90fda, v53
	v_fma_f32 v64, v53, s0, -v54
	v_fmamk_f32 v53, v53, 0x33a22168, v64
	v_fmac_f32_e32 v53, 0x3fc90fda, v49
	v_lshrrev_b32_e32 v50, 30, v50
	v_add_f32_e32 v49, v54, v53
	v_add_u32_e32 v50, v69, v50
	s_andn2_saveexec_b64 s[0:1], s[10:11]
	s_cbranch_execz .LBB135_44
	s_branch .LBB135_43
.LBB135_42:
	s_andn2_saveexec_b64 s[0:1], s[10:11]
	s_cbranch_execz .LBB135_44
.LBB135_43:
	s_mov_b32 s2, 0x3f22f983
	v_mul_f32_e64 v49, |v5|, s2
	v_rndne_f32_e32 v49, v49
	s_mov_b32 s2, 0xbfc90fda
	v_cvt_i32_f32_e32 v50, v49
	v_fma_f32 v53, v49, s2, |v5|
	v_fmamk_f32 v53, v49, 0xb3a22168, v53
	v_fmamk_f32 v49, v49, 0xa7c234c4, v53
.LBB135_44:
	s_or_b64 exec, exec, s[0:1]
                                        ; implicit-def: $vgpr53
                                        ; implicit-def: $vgpr54
	s_and_saveexec_b64 s[0:1], s[8:9]
	s_xor_b64 s[8:9], exec, s[0:1]
	s_cbranch_execz .LBB135_46
; %bb.45:
	v_add_u32_e32 v53, 0xffffff88, v55
	v_not_b32_e32 v54, 63
	v_cmp_lt_u32_e32 vcc, 63, v53
	s_mov_b32 s4, 0xfe5163ab
	v_mov_b32_e32 v65, 0
	v_cndmask_b32_e32 v54, 0, v54, vcc
	v_add_u32_e32 v53, v54, v53
	v_not_b32_e32 v54, 31
	v_cmp_lt_u32_e64 s[0:1], 31, v53
	s_nop 1
	v_cndmask_b32_e64 v55, 0, v54, s[0:1]
	v_add_u32_e32 v53, v55, v53
	v_cmp_lt_u32_e64 s[2:3], 31, v53
	s_nop 1
	v_cndmask_b32_e64 v54, 0, v54, s[2:3]
	v_add_u32_e32 v53, v54, v53
	v_and_b32_e32 v54, 0x7fffff, v48
	v_or_b32_e32 v84, 0x800000, v54
	v_mad_u64_u32 v[54:55], s[4:5], v84, s4, 0
	v_mov_b32_e32 v64, v55
	s_mov_b32 s4, 0x3c439041
	v_mad_u64_u32 v[66:67], s[4:5], v84, s4, v[64:65]
	v_mov_b32_e32 v64, v67
	s_mov_b32 s4, 0xdb629599
	;; [unrolled: 3-line block ×6, first 2 shown]
	v_mad_u64_u32 v[64:65], s[4:5], v84, s4, v[64:65]
	v_cndmask_b32_e32 v55, v82, v70, vcc
	v_cndmask_b32_e32 v64, v64, v80, vcc
	;; [unrolled: 1-line block ×3, first 2 shown]
	v_cndmask_b32_e64 v67, v64, v55, s[0:1]
	v_cndmask_b32_e64 v64, v65, v64, s[0:1]
	v_cndmask_b32_e32 v65, v80, v68, vcc
	v_cndmask_b32_e64 v55, v55, v65, s[0:1]
	v_cndmask_b32_e64 v64, v64, v67, s[2:3]
	;; [unrolled: 1-line block ×3, first 2 shown]
	v_sub_u32_e32 v69, 32, v53
	v_alignbit_b32 v71, v64, v67, v69
	v_cmp_eq_u32_e64 s[4:5], 0, v53
	v_cndmask_b32_e32 v54, v68, v54, vcc
	s_nop 0
	v_cndmask_b32_e64 v53, v71, v64, s[4:5]
	v_cndmask_b32_e32 v64, v70, v66, vcc
	v_cndmask_b32_e64 v65, v65, v64, s[0:1]
	v_cndmask_b32_e64 v55, v55, v65, s[2:3]
	v_alignbit_b32 v66, v67, v55, v69
	v_cndmask_b32_e64 v66, v66, v67, s[4:5]
	v_bfe_u32 v71, v53, 29, 1
	v_cndmask_b32_e64 v54, v64, v54, s[0:1]
	v_alignbit_b32 v67, v53, v66, 30
	v_sub_u32_e32 v80, 0, v71
	v_cndmask_b32_e64 v54, v65, v54, s[2:3]
	v_xor_b32_e32 v67, v67, v80
	v_alignbit_b32 v64, v55, v54, v69
	v_cndmask_b32_e64 v55, v64, v55, s[4:5]
	v_ffbh_u32_e32 v65, v67
	v_alignbit_b32 v64, v66, v55, 30
	v_min_u32_e32 v65, 32, v65
	v_alignbit_b32 v54, v55, v54, 30
	v_xor_b32_e32 v64, v64, v80
	v_sub_u32_e32 v66, 31, v65
	v_xor_b32_e32 v54, v54, v80
	v_alignbit_b32 v67, v67, v64, v66
	v_alignbit_b32 v54, v64, v54, v66
	;; [unrolled: 1-line block ×3, first 2 shown]
	v_ffbh_u32_e32 v64, v55
	v_min_u32_e32 v64, 32, v64
	v_lshrrev_b32_e32 v70, 29, v53
	v_not_b32_e32 v66, v64
	v_alignbit_b32 v54, v55, v54, v66
	v_lshlrev_b32_e32 v55, 31, v70
	v_or_b32_e32 v66, 0x33000000, v55
	v_add_lshl_u32 v64, v64, v65, 23
	v_lshrrev_b32_e32 v54, 9, v54
	v_sub_u32_e32 v64, v66, v64
	v_or_b32_e32 v55, 0.5, v55
	v_lshlrev_b32_e32 v65, 23, v65
	v_or_b32_e32 v54, v64, v54
	v_lshrrev_b32_e32 v64, 9, v67
	v_sub_u32_e32 v55, v55, v65
	v_or_b32_e32 v55, v64, v55
	s_mov_b32 s0, 0x3fc90fda
	v_mul_f32_e32 v64, 0x3fc90fda, v55
	v_fma_f32 v65, v55, s0, -v64
	v_fmamk_f32 v55, v55, 0x33a22168, v65
	v_fmac_f32_e32 v55, 0x3fc90fda, v54
	v_lshrrev_b32_e32 v53, 30, v53
	v_add_f32_e32 v54, v64, v55
	v_add_u32_e32 v53, v71, v53
	s_andn2_saveexec_b64 s[0:1], s[8:9]
	s_cbranch_execnz .LBB135_47
	s_branch .LBB135_48
.LBB135_46:
	s_andn2_saveexec_b64 s[0:1], s[8:9]
	s_cbranch_execz .LBB135_48
.LBB135_47:
	s_mov_b32 s2, 0x3f22f983
	v_mul_f32_e64 v53, |v5|, s2
	v_rndne_f32_e32 v54, v53
	s_mov_b32 s2, 0xbfc90fda
	v_cvt_i32_f32_e32 v53, v54
	v_fma_f32 v55, v54, s2, |v5|
	v_fmamk_f32 v55, v54, 0xb3a22168, v55
	v_fmamk_f32 v54, v54, 0xa7c234c4, v55
.LBB135_48:
	s_or_b64 exec, exec, s[0:1]
	v_mul_f32_e32 v55, 0x3fb8aa3b, v2
	s_mov_b32 s4, 0x3fb8aa3b
	v_rndne_f32_e32 v64, v55
	v_sub_f32_e32 v65, v55, v64
	v_fma_f32 v55, v2, s4, -v55
	v_lshlrev_b32_e32 v67, 30, v52
	s_brev_b32 s2, 1
	v_fmac_f32_e32 v55, 0x32a5705f, v2
	v_bitop3_b32 v35, v35, v67, s2 bitop3:0x78
	v_mul_f32_e32 v67, v51, v51
	v_mov_b32_e32 v68, 0x3c0881c4
	v_add_f32_e32 v55, v65, v55
	v_fmamk_f32 v69, v67, 0xb94c1982, v68
	v_exp_f32_e32 v55, v55
	v_cvt_i32_f32_e32 v65, v64
	v_fmaak_f32 v69, v67, v69, 0xbe2aaa9d
	v_mul_f32_e32 v69, v67, v69
	v_fmac_f32_e32 v51, v51, v69
	v_mov_b32_e32 v69, 0xbab64f3b
	s_mov_b32 s5, 0xc2ce8ed0
	v_fmamk_f32 v71, v67, 0x37d75334, v69
	v_ldexp_f32 v55, v55, v65
	v_cmp_ngt_f32_e32 vcc, s5, v2
	s_mov_b32 s8, 0x42b17218
	v_fmaak_f32 v71, v67, v71, 0x3d2aabf7
	v_cndmask_b32_e32 v55, 0, v55, vcc
	v_mov_b32_e32 v66, 0x7f800000
	v_cmp_nlt_f32_e32 vcc, s8, v2
	v_and_b32_e32 v52, 1, v52
	v_fmaak_f32 v71, v67, v71, 0xbf000004
	v_cndmask_b32_e32 v55, v66, v55, vcc
	v_fma_f32 v67, v67, v71, 1.0
	v_cmp_eq_u32_e32 vcc, 0, v52
	s_movk_i32 s3, 0x1f8
	s_mov_b32 s9, 0x43000000
	v_cndmask_b32_e32 v51, v67, v51, vcc
	v_xor_b32_e32 v35, v35, v51
	v_xor_b32_e32 v35, v35, v3
	v_cmp_class_f32_e64 vcc, v3, s3
	v_ldexp_f32 v3, 1.0, v65
	v_fmamk_f32 v65, v64, 0xbf317218, v2
	v_cmp_eq_f32_e64 s[0:1], s9, v64
	v_fmac_f32_e32 v65, 0x3102e308, v64
	v_mov_b32_e32 v64, 0x3ab69700
	v_fmamk_f32 v67, v65, 0x395133b1, v64
	v_fmaak_f32 v67, v65, v67, 0x3c0887f9
	v_fmaak_f32 v67, v65, v67, 0x3d2aaa81
	;; [unrolled: 1-line block ×3, first 2 shown]
	v_mov_b32_e32 v52, 0x7f000000
	v_fma_f32 v67, v65, v67, 0.5
	v_cndmask_b32_e64 v3, v3, v52, s[0:1]
	v_mul_f32_e32 v67, v65, v67
	v_fmac_f32_e32 v65, v65, v67
	v_add_f32_e32 v67, -1.0, v3
	v_fmac_f32_e32 v67, v3, v65
	v_add_f32_e32 v3, v67, v67
	v_mul_f32_e32 v65, v38, v38
	v_cndmask_b32_e64 v3, v67, v3, s[0:1]
	v_fmamk_f32 v67, v65, 0x37d75334, v69
	v_fmaak_f32 v67, v65, v67, 0x3d2aabf7
	v_fmamk_f32 v71, v65, 0xb94c1982, v68
	v_fmaak_f32 v67, v65, v67, 0xbf000004
	v_fmaak_f32 v71, v65, v71, 0xbe2aaa9d
	v_fma_f32 v67, v65, v67, 1.0
	v_mul_f32_e32 v65, v65, v71
	v_fmac_f32_e32 v38, v38, v65
	v_and_b32_e32 v65, 1, v37
	v_cmp_eq_u32_e64 s[0:1], 0, v65
	v_lshlrev_b32_e32 v37, 30, v37
	v_xor_b32_e32 v30, v30, v29
	v_cndmask_b32_e64 v38, -v38, v67, s[0:1]
	v_bitop3_b32 v37, v37, v38, s2 bitop3:0x6c
	v_lshlrev_b32_e32 v38, 30, v32
	v_and_b32_e32 v38, 0x80000000, v38
	v_xor_b32_e32 v30, v30, v38
	v_mul_f32_e32 v38, v31, v31
	v_fmamk_f32 v67, v38, 0xb94c1982, v68
	v_fmaak_f32 v67, v38, v67, 0xbe2aaa9d
	v_mul_f32_e32 v67, v38, v67
	v_fmac_f32_e32 v31, v31, v67
	v_fmamk_f32 v67, v38, 0x37d75334, v69
	v_fmaak_f32 v67, v38, v67, 0x3d2aabf7
	s_mov_b32 s10, 0x42b17217
	v_fmaak_f32 v67, v38, v67, 0xbf000004
	v_cmp_nlt_f32_e64 s[0:1], s10, v2
	v_and_b32_e32 v32, 1, v32
	v_fma_f32 v38, v38, v67, 1.0
	v_cndmask_b32_e64 v3, v66, v3, s[0:1]
	v_cmp_eq_u32_e64 s[0:1], 0, v32
	v_mov_b32_e32 v51, 0x7fc00000
	s_mov_b32 s11, 0xc1880000
	v_cndmask_b32_e64 v31, v38, v31, s[0:1]
	v_xor_b32_e32 v30, v30, v31
	v_cmp_class_f32_e64 s[0:1], v29, s3
	v_cndmask_b32_e32 v35, v51, v35, vcc
	v_cndmask_b32_e32 v37, v51, v37, vcc
	v_cndmask_b32_e64 v29, v51, v30, s[0:1]
	v_add_f32_e32 v30, v29, v29
	v_mul_f32_e32 v29, v29, v30
	v_mul_f32_e32 v30, 0x3fb8aa3b, v8
	v_rndne_f32_e32 v31, v30
	v_sub_f32_e32 v32, v30, v31
	v_fma_f32 v30, v8, s4, -v30
	v_fmac_f32_e32 v30, 0x32a5705f, v8
	v_add_f32_e32 v30, v32, v30
	v_lshlrev_b32_e32 v32, 30, v28
	v_bitop3_b32 v24, v24, v32, s2 bitop3:0x78
	v_mul_f32_e32 v32, v27, v27
	v_fmamk_f32 v38, v32, 0xb94c1982, v68
	v_fmaak_f32 v38, v32, v38, 0xbe2aaa9d
	v_mul_f32_e32 v38, v32, v38
	v_fmac_f32_e32 v27, v27, v38
	v_fmamk_f32 v38, v32, 0x37d75334, v69
	v_fmaak_f32 v38, v32, v38, 0x3d2aabf7
	v_fmaak_f32 v38, v32, v38, 0xbf000004
	v_exp_f32_e32 v30, v30
	v_fma_f32 v32, v32, v38, 1.0
	v_cvt_i32_f32_e32 v38, v31
	v_cmp_ngt_f32_e64 s[0:1], s11, v2
	v_cmp_ngt_f32_e32 vcc, s5, v8
	v_xor_b32_e32 v21, v21, v20
	v_ldexp_f32 v2, v30, v38
	v_cndmask_b32_e32 v2, 0, v2, vcc
	v_cmp_nlt_f32_e32 vcc, s8, v8
	v_cndmask_b32_e64 v82, -1.0, v3, s[0:1]
	v_cmp_eq_f32_e64 s[0:1], s9, v31
	v_cndmask_b32_e32 v3, v66, v2, vcc
	v_and_b32_e32 v2, 1, v28
	v_cmp_eq_u32_e32 vcc, 0, v2
	v_mov_b32_e32 v71, 0x3c0887f9
	v_mov_b32_e32 v65, 0x3d2aaa81
	v_cndmask_b32_e32 v2, v32, v27, vcc
	v_xor_b32_e32 v2, v24, v2
	v_fmamk_f32 v24, v31, 0xbf317218, v8
	v_fmac_f32_e32 v24, 0x3102e308, v31
	v_fmamk_f32 v27, v24, 0x395133b1, v64
	v_fmaak_f32 v27, v24, v27, 0x3c0887f9
	v_fmaak_f32 v27, v24, v27, 0x3d2aaa81
	v_xor_b32_e32 v2, v2, v9
	v_cmp_class_f32_e64 vcc, v9, s3
	v_fmaak_f32 v27, v24, v27, 0x3e2aaaab
	v_fma_f32 v27, v24, v27, 0.5
	v_cndmask_b32_e32 v9, v51, v2, vcc
	v_ldexp_f32 v2, 1.0, v38
	v_cndmask_b32_e64 v2, v2, v52, s[0:1]
	v_mul_f32_e32 v27, v24, v27
	v_fmac_f32_e32 v24, v24, v27
	v_add_f32_e32 v27, -1.0, v2
	v_fmac_f32_e32 v27, v2, v24
	v_add_f32_e32 v2, v27, v27
	v_cndmask_b32_e64 v2, v27, v2, s[0:1]
	v_cmp_nlt_f32_e64 s[0:1], s10, v8
	v_and_b32_e32 v24, 1, v26
	v_mov_b32_e32 v67, 0x3e2aaaab
	v_cndmask_b32_e64 v2, v66, v2, s[0:1]
	v_cmp_ngt_f32_e64 s[0:1], s11, v8
	v_lshlrev_b32_e32 v8, 30, v26
	v_mul_f32_e32 v26, v25, v25
	v_fmamk_f32 v27, v26, 0x37d75334, v69
	v_fmaak_f32 v27, v26, v27, 0x3d2aabf7
	v_fmamk_f32 v28, v26, 0xb94c1982, v68
	v_fmaak_f32 v27, v26, v27, 0xbf000004
	v_fmaak_f32 v28, v26, v28, 0xbe2aaa9d
	v_fma_f32 v27, v26, v27, 1.0
	v_mul_f32_e32 v26, v26, v28
	v_cndmask_b32_e64 v2, -1.0, v2, s[0:1]
	v_fmac_f32_e32 v25, v25, v26
	v_cmp_eq_u32_e64 s[0:1], 0, v24
	v_mov_b32_e32 v70, 0xbe2aaa9d
	v_mov_b32_e32 v80, 0x3d2aabf7
	v_cndmask_b32_e64 v24, -v25, v27, s[0:1]
	v_bitop3_b32 v8, v8, v24, s2 bitop3:0x6c
	v_lshlrev_b32_e32 v24, 30, v23
	v_and_b32_e32 v24, 0x80000000, v24
	v_xor_b32_e32 v21, v21, v24
	v_mul_f32_e32 v24, v22, v22
	v_fmamk_f32 v25, v24, 0xb94c1982, v68
	v_fmaak_f32 v25, v24, v25, 0xbe2aaa9d
	v_mul_f32_e32 v25, v24, v25
	v_fmac_f32_e32 v22, v22, v25
	v_fmamk_f32 v25, v24, 0x37d75334, v69
	v_fmaak_f32 v25, v24, v25, 0x3d2aabf7
	v_and_b32_e32 v23, 1, v23
	v_fmaak_f32 v25, v24, v25, 0xbf000004
	v_cndmask_b32_e32 v8, v51, v8, vcc
	v_fma_f32 v24, v24, v25, 1.0
	v_cmp_eq_u32_e32 vcc, 0, v23
	v_mov_b32_e32 v81, 0xbf000004
	v_lshl_add_u64 v[0:1], s[6:7], 3, v[0:1]
	v_cndmask_b32_e32 v22, v24, v22, vcc
	v_xor_b32_e32 v21, v21, v22
	v_mul_f32_e32 v22, 0x3fb8aa3b, v6
	v_rndne_f32_e32 v23, v22
	v_sub_f32_e32 v24, v22, v23
	v_fma_f32 v22, v6, s4, -v22
	v_fmac_f32_e32 v22, 0x32a5705f, v6
	v_add_f32_e32 v22, v24, v22
	v_exp_f32_e32 v22, v22
	v_cvt_i32_f32_e32 v24, v23
	v_cmp_class_f32_e64 vcc, v20, s3
	v_cmp_eq_f32_e64 s[0:1], s9, v23
	v_mul_f32_e32 v3, v3, v9
	v_cndmask_b32_e32 v20, v51, v21, vcc
	v_add_f32_e32 v21, v20, v20
	v_mul_f32_e32 v20, v20, v21
	v_ldexp_f32 v21, v22, v24
	v_lshlrev_b32_e32 v22, 30, v19
	v_bitop3_b32 v11, v11, v22, s2 bitop3:0x78
	v_mul_f32_e32 v22, v18, v18
	v_fmamk_f32 v25, v22, 0xb94c1982, v68
	v_fmaak_f32 v25, v22, v25, 0xbe2aaa9d
	v_mul_f32_e32 v25, v22, v25
	v_fmac_f32_e32 v18, v18, v25
	v_fmamk_f32 v25, v22, 0x37d75334, v69
	v_cmp_ngt_f32_e32 vcc, s5, v6
	v_fmaak_f32 v25, v22, v25, 0x3d2aabf7
	v_and_b32_e32 v19, 1, v19
	v_cndmask_b32_e32 v21, 0, v21, vcc
	v_cmp_nlt_f32_e32 vcc, s8, v6
	v_fmaak_f32 v25, v22, v25, 0xbf000004
	v_fma_f32 v22, v22, v25, 1.0
	v_cndmask_b32_e32 v21, v66, v21, vcc
	v_cmp_eq_u32_e32 vcc, 0, v19
	v_fma_f32 v2, v2, v8, -v20
	s_nop 0
	v_cndmask_b32_e32 v18, v22, v18, vcc
	v_xor_b32_e32 v11, v11, v18
	v_fmamk_f32 v18, v23, 0xbf317218, v6
	v_fmac_f32_e32 v18, 0x3102e308, v23
	v_fmamk_f32 v19, v18, 0x395133b1, v64
	v_fmaak_f32 v19, v18, v19, 0x3c0887f9
	v_fmaak_f32 v19, v18, v19, 0x3d2aaa81
	v_xor_b32_e32 v11, v11, v7
	v_cmp_class_f32_e64 vcc, v7, s3
	v_fmaak_f32 v19, v18, v19, 0x3e2aaaab
	v_fma_f32 v19, v18, v19, 0.5
	v_cndmask_b32_e32 v7, v51, v11, vcc
	v_ldexp_f32 v11, 1.0, v24
	v_cndmask_b32_e64 v11, v11, v52, s[0:1]
	v_mul_f32_e32 v19, v18, v19
	v_fmac_f32_e32 v18, v18, v19
	v_add_f32_e32 v19, -1.0, v11
	v_fmac_f32_e32 v19, v11, v18
	v_add_f32_e32 v11, v19, v19
	v_mul_f32_e32 v18, v16, v16
	v_cndmask_b32_e64 v11, v19, v11, s[0:1]
	v_fmamk_f32 v19, v18, 0x37d75334, v69
	v_cmp_nlt_f32_e64 s[0:1], s10, v6
	v_fmaak_f32 v19, v18, v19, 0x3d2aabf7
	v_fmamk_f32 v22, v18, 0xb94c1982, v68
	v_cndmask_b32_e64 v11, v66, v11, s[0:1]
	v_cmp_ngt_f32_e64 s[0:1], s11, v6
	v_fmaak_f32 v19, v18, v19, 0xbf000004
	v_fmaak_f32 v22, v18, v22, 0xbe2aaa9d
	v_cndmask_b32_e64 v6, -1.0, v11, s[0:1]
	v_lshlrev_b32_e32 v11, 30, v17
	v_and_b32_e32 v17, 1, v17
	v_fma_f32 v19, v18, v19, 1.0
	v_mul_f32_e32 v18, v18, v22
	v_fmac_f32_e32 v16, v16, v18
	v_cmp_eq_u32_e64 s[0:1], 0, v17
	s_nop 1
	v_cndmask_b32_e64 v16, -v16, v19, s[0:1]
	v_bitop3_b32 v11, v11, v16, s2 bitop3:0x6c
	v_cndmask_b32_e32 v16, v51, v11, vcc
	v_xor_b32_e32 v11, v13, v12
	v_lshlrev_b32_e32 v13, 30, v15
	v_and_b32_e32 v13, 0x80000000, v13
	v_xor_b32_e32 v11, v11, v13
	v_and_b32_e32 v13, 1, v15
	v_mul_f32_e32 v15, v14, v14
	v_fmamk_f32 v17, v15, 0xb94c1982, v68
	v_fmaak_f32 v17, v15, v17, 0xbe2aaa9d
	v_mul_f32_e32 v17, v15, v17
	v_fmac_f32_e32 v14, v14, v17
	v_fmamk_f32 v17, v15, 0x37d75334, v69
	v_fmaak_f32 v17, v15, v17, 0x3d2aabf7
	v_fmaak_f32 v17, v15, v17, 0xbf000004
	v_fma_f32 v15, v15, v17, 1.0
	v_cmp_eq_u32_e32 vcc, 0, v13
	s_nop 1
	v_cndmask_b32_e32 v13, v15, v14, vcc
	v_xor_b32_e32 v11, v11, v13
	v_mul_f32_e32 v13, 0x3fb8aa3b, v4
	v_rndne_f32_e32 v14, v13
	v_sub_f32_e32 v15, v13, v14
	v_fma_f32 v13, v4, s4, -v13
	v_fmac_f32_e32 v13, 0x32a5705f, v4
	v_add_f32_e32 v13, v15, v13
	v_exp_f32_e32 v13, v13
	v_cvt_i32_f32_e32 v15, v14
	v_cmp_class_f32_e64 vcc, v12, s3
	s_nop 1
	v_cndmask_b32_e32 v11, v51, v11, vcc
	v_add_f32_e32 v12, v11, v11
	v_mul_f32_e32 v12, v11, v12
	v_ldexp_f32 v11, v13, v15
	v_cmp_ngt_f32_e32 vcc, s5, v4
	s_nop 1
	v_cndmask_b32_e32 v11, 0, v11, vcc
	v_cmp_nlt_f32_e32 vcc, s8, v4
	s_nop 1
	v_cndmask_b32_e32 v13, v66, v11, vcc
	v_ldexp_f32 v11, 1.0, v15
	v_fmamk_f32 v15, v14, 0xbf317218, v4
	v_fmac_f32_e32 v15, 0x3102e308, v14
	v_fmac_f32_e32 v64, 0x395133b1, v15
	v_fmac_f32_e32 v71, v15, v64
	v_fmac_f32_e32 v65, v15, v71
	v_fmac_f32_e32 v67, v15, v65
	v_cmp_eq_f32_e32 vcc, s9, v14
	v_fma_f32 v14, v15, v67, 0.5
	v_mul_f32_e32 v14, v15, v14
	v_cndmask_b32_e32 v11, v11, v52, vcc
	v_fmac_f32_e32 v15, v15, v14
	v_add_f32_e32 v14, -1.0, v11
	v_fmac_f32_e32 v14, v11, v15
	v_mul_f32_e32 v15, v49, v49
	v_add_f32_e32 v11, v14, v14
	v_fmamk_f32 v17, v15, 0x37d75334, v69
	v_cndmask_b32_e32 v11, v14, v11, vcc
	v_cmp_nlt_f32_e32 vcc, s10, v4
	v_fmaak_f32 v17, v15, v17, 0x3d2aabf7
	v_fmamk_f32 v18, v15, 0xb94c1982, v68
	v_cndmask_b32_e32 v11, v66, v11, vcc
	v_cmp_ngt_f32_e32 vcc, s11, v4
	v_fmaak_f32 v17, v15, v17, 0xbf000004
	v_fmaak_f32 v18, v15, v18, 0xbe2aaa9d
	v_cndmask_b32_e32 v14, -1.0, v11, vcc
	v_and_b32_e32 v11, 1, v50
	v_fma_f32 v17, v15, v17, 1.0
	v_mul_f32_e32 v15, v15, v18
	v_fmac_f32_e32 v49, v49, v15
	v_cmp_eq_u32_e32 vcc, 0, v11
	v_lshlrev_b32_e32 v4, 30, v50
	s_nop 0
	v_cndmask_b32_e64 v11, -v49, v17, vcc
	v_mul_f32_e32 v17, v36, v36
	v_fmamk_f32 v18, v17, 0xb94c1982, v68
	v_fmaak_f32 v18, v17, v18, 0xbe2aaa9d
	v_mul_f32_e32 v18, v17, v18
	v_bitop3_b32 v4, v4, v11, s2 bitop3:0x6c
	v_cmp_class_f32_e64 vcc, v5, s3
	v_lshlrev_b32_e32 v11, 30, v39
	v_fmac_f32_e32 v36, v36, v18
	v_fmamk_f32 v18, v17, 0x37d75334, v69
	v_cndmask_b32_e32 v15, v51, v4, vcc
	v_xor_b32_e32 v4, v34, v33
	v_and_b32_e32 v11, 0x80000000, v11
	v_fmaak_f32 v18, v17, v18, 0x3d2aabf7
	v_xor_b32_e32 v4, v4, v11
	v_and_b32_e32 v11, 1, v39
	v_fmaak_f32 v18, v17, v18, 0xbf000004
	v_fma_f32 v17, v17, v18, 1.0
	v_cmp_eq_u32_e64 s[0:1], 0, v11
	s_nop 1
	v_cndmask_b32_e64 v11, v17, v36, s[0:1]
	v_xor_b32_e32 v4, v4, v11
	v_cmp_class_f32_e64 s[0:1], v33, s3
	s_nop 1
	v_cndmask_b32_e64 v4, v51, v4, s[0:1]
	v_add_f32_e32 v11, v4, v4
	v_mul_f32_e32 v17, v4, v11
	v_mul_f32_e32 v4, v54, v54
	v_fmac_f32_e32 v68, 0xb94c1982, v4
	v_fmac_f32_e32 v70, v4, v68
	;; [unrolled: 1-line block ×3, first 2 shown]
	v_mul_f32_e32 v11, v4, v70
	v_fmac_f32_e32 v80, v4, v69
	v_fmac_f32_e32 v54, v54, v11
	;; [unrolled: 1-line block ×3, first 2 shown]
	v_and_b32_e32 v11, 1, v53
	v_fma_f32 v4, v4, v81, 1.0
	v_cmp_eq_u32_e64 s[0:1], 0, v11
	v_lshlrev_b32_e32 v11, 30, v53
	v_bitop3_b32 v11, v48, v11, s2 bitop3:0x78
	v_cndmask_b32_e64 v4, v4, v54, s[0:1]
	v_xor_b32_e32 v4, v11, v4
	v_xor_b32_e32 v4, v4, v5
	v_mov_b32_e32 v11, 0
	v_cndmask_b32_e32 v18, v51, v4, vcc
	v_lshl_add_u64 v[4:5], v[0:1], 0, v[10:11]
	v_fma_f32 v0, v6, v16, -v12
	v_mul_f32_e32 v1, v21, v7
	flat_store_dwordx4 v[4:5], v[0:3]
	s_nop 1
	v_fma_f32 v2, v14, v15, -v17
	v_fma_f32 v0, v82, v37, -v29
	v_mul_f32_e32 v3, v13, v18
	v_mul_f32_e32 v1, v55, v35
	flat_store_dwordx4 v[4:5], v[0:3] offset:16
	s_waitcnt vmcnt(0) lgkmcnt(0)
	s_setpc_b64 s[30:31]
.Lfunc_end135:
	.size	_ZN2at6native25elementwise_kernel_helperILb0EZZZNS0_17expm1_kernel_cudaERNS_18TensorIteratorBaseEENKUlvE_clEvENKUlvE2_clEvEUlN3c107complexIfEEE_NS0_6memory8policies10vectorizedILi4ESt5arrayIPcLm2EELi4EEEEEvT0_T1_, .Lfunc_end135-_ZN2at6native25elementwise_kernel_helperILb0EZZZNS0_17expm1_kernel_cudaERNS_18TensorIteratorBaseEENKUlvE_clEvENKUlvE2_clEvEUlN3c107complexIfEEE_NS0_6memory8policies10vectorizedILi4ESt5arrayIPcLm2EELi4EEEEEvT0_T1_
                                        ; -- End function
	.set .L_ZN2at6native25elementwise_kernel_helperILb0EZZZNS0_17expm1_kernel_cudaERNS_18TensorIteratorBaseEENKUlvE_clEvENKUlvE2_clEvEUlN3c107complexIfEEE_NS0_6memory8policies10vectorizedILi4ESt5arrayIPcLm2EELi4EEEEEvT0_T1_.num_vgpr, 86
	.set .L_ZN2at6native25elementwise_kernel_helperILb0EZZZNS0_17expm1_kernel_cudaERNS_18TensorIteratorBaseEENKUlvE_clEvENKUlvE2_clEvEUlN3c107complexIfEEE_NS0_6memory8policies10vectorizedILi4ESt5arrayIPcLm2EELi4EEEEEvT0_T1_.num_agpr, 0
	.set .L_ZN2at6native25elementwise_kernel_helperILb0EZZZNS0_17expm1_kernel_cudaERNS_18TensorIteratorBaseEENKUlvE_clEvENKUlvE2_clEvEUlN3c107complexIfEEE_NS0_6memory8policies10vectorizedILi4ESt5arrayIPcLm2EELi4EEEEEvT0_T1_.numbered_sgpr, 32
	.set .L_ZN2at6native25elementwise_kernel_helperILb0EZZZNS0_17expm1_kernel_cudaERNS_18TensorIteratorBaseEENKUlvE_clEvENKUlvE2_clEvEUlN3c107complexIfEEE_NS0_6memory8policies10vectorizedILi4ESt5arrayIPcLm2EELi4EEEEEvT0_T1_.num_named_barrier, 0
	.set .L_ZN2at6native25elementwise_kernel_helperILb0EZZZNS0_17expm1_kernel_cudaERNS_18TensorIteratorBaseEENKUlvE_clEvENKUlvE2_clEvEUlN3c107complexIfEEE_NS0_6memory8policies10vectorizedILi4ESt5arrayIPcLm2EELi4EEEEEvT0_T1_.private_seg_size, 0
	.set .L_ZN2at6native25elementwise_kernel_helperILb0EZZZNS0_17expm1_kernel_cudaERNS_18TensorIteratorBaseEENKUlvE_clEvENKUlvE2_clEvEUlN3c107complexIfEEE_NS0_6memory8policies10vectorizedILi4ESt5arrayIPcLm2EELi4EEEEEvT0_T1_.uses_vcc, 1
	.set .L_ZN2at6native25elementwise_kernel_helperILb0EZZZNS0_17expm1_kernel_cudaERNS_18TensorIteratorBaseEENKUlvE_clEvENKUlvE2_clEvEUlN3c107complexIfEEE_NS0_6memory8policies10vectorizedILi4ESt5arrayIPcLm2EELi4EEEEEvT0_T1_.uses_flat_scratch, 0
	.set .L_ZN2at6native25elementwise_kernel_helperILb0EZZZNS0_17expm1_kernel_cudaERNS_18TensorIteratorBaseEENKUlvE_clEvENKUlvE2_clEvEUlN3c107complexIfEEE_NS0_6memory8policies10vectorizedILi4ESt5arrayIPcLm2EELi4EEEEEvT0_T1_.has_dyn_sized_stack, 0
	.set .L_ZN2at6native25elementwise_kernel_helperILb0EZZZNS0_17expm1_kernel_cudaERNS_18TensorIteratorBaseEENKUlvE_clEvENKUlvE2_clEvEUlN3c107complexIfEEE_NS0_6memory8policies10vectorizedILi4ESt5arrayIPcLm2EELi4EEEEEvT0_T1_.has_recursion, 0
	.set .L_ZN2at6native25elementwise_kernel_helperILb0EZZZNS0_17expm1_kernel_cudaERNS_18TensorIteratorBaseEENKUlvE_clEvENKUlvE2_clEvEUlN3c107complexIfEEE_NS0_6memory8policies10vectorizedILi4ESt5arrayIPcLm2EELi4EEEEEvT0_T1_.has_indirect_call, 0
	.section	.AMDGPU.csdata,"",@progbits
; Function info:
; codeLenInByte = 10908
; TotalNumSgprs: 38
; NumVgprs: 86
; NumAgprs: 0
; TotalNumVgprs: 86
; ScratchSize: 0
; MemoryBound: 0
	.section	.text._ZN2at6native29vectorized_elementwise_kernelILi16EZZZNS0_17expm1_kernel_cudaERNS_18TensorIteratorBaseEENKUlvE_clEvENKUlvE2_clEvEUlN3c107complexIfEEE_St5arrayIPcLm2EEEEviT0_T1_,"axG",@progbits,_ZN2at6native29vectorized_elementwise_kernelILi16EZZZNS0_17expm1_kernel_cudaERNS_18TensorIteratorBaseEENKUlvE_clEvENKUlvE2_clEvEUlN3c107complexIfEEE_St5arrayIPcLm2EEEEviT0_T1_,comdat
	.globl	_ZN2at6native29vectorized_elementwise_kernelILi16EZZZNS0_17expm1_kernel_cudaERNS_18TensorIteratorBaseEENKUlvE_clEvENKUlvE2_clEvEUlN3c107complexIfEEE_St5arrayIPcLm2EEEEviT0_T1_ ; -- Begin function _ZN2at6native29vectorized_elementwise_kernelILi16EZZZNS0_17expm1_kernel_cudaERNS_18TensorIteratorBaseEENKUlvE_clEvENKUlvE2_clEvEUlN3c107complexIfEEE_St5arrayIPcLm2EEEEviT0_T1_
	.p2align	8
	.type	_ZN2at6native29vectorized_elementwise_kernelILi16EZZZNS0_17expm1_kernel_cudaERNS_18TensorIteratorBaseEENKUlvE_clEvENKUlvE2_clEvEUlN3c107complexIfEEE_St5arrayIPcLm2EEEEviT0_T1_,@function
_ZN2at6native29vectorized_elementwise_kernelILi16EZZZNS0_17expm1_kernel_cudaERNS_18TensorIteratorBaseEENKUlvE_clEvENKUlvE2_clEvEUlN3c107complexIfEEE_St5arrayIPcLm2EEEEviT0_T1_: ; @_ZN2at6native29vectorized_elementwise_kernelILi16EZZZNS0_17expm1_kernel_cudaERNS_18TensorIteratorBaseEENKUlvE_clEvENKUlvE2_clEvEUlN3c107complexIfEEE_St5arrayIPcLm2EEEEviT0_T1_
; %bb.0:
	s_mov_b32 s12, s2
	s_load_dword s2, s[0:1], 0x0
	s_load_dwordx4 s[16:19], s[0:1], 0x8
	s_lshl_b32 s0, s12, 10
	v_mov_b32_e32 v40, v0
	s_mov_b32 s32, 0
	s_waitcnt lgkmcnt(0)
	s_sub_i32 s13, s2, s0
	s_cmpk_gt_i32 s13, 0x3ff
	s_mov_b64 s[0:1], -1
	s_cbranch_scc1 .LBB136_3
; %bb.1:
	s_andn2_b64 vcc, exec, s[0:1]
	s_cbranch_vccz .LBB136_4
.LBB136_2:
	s_endpgm
.LBB136_3:
	s_getpc_b64 s[0:1]
	s_add_u32 s0, s0, _ZN2at6native25elementwise_kernel_helperILb0EZZZNS0_17expm1_kernel_cudaERNS_18TensorIteratorBaseEENKUlvE_clEvENKUlvE2_clEvEUlN3c107complexIfEEE_NS0_6memory8policies10vectorizedILi4ESt5arrayIPcLm2EELi4EEEEEvT0_T1_@rel32@lo+4
	s_addc_u32 s1, s1, _ZN2at6native25elementwise_kernel_helperILb0EZZZNS0_17expm1_kernel_cudaERNS_18TensorIteratorBaseEENKUlvE_clEvENKUlvE2_clEvEUlN3c107complexIfEEE_NS0_6memory8policies10vectorizedILi4ESt5arrayIPcLm2EELi4EEEEEvT0_T1_@rel32@hi+12
	v_mov_b32_e32 v31, v40
	v_mov_b32_e32 v0, s16
	;; [unrolled: 1-line block ×5, first 2 shown]
	s_swappc_b64 s[30:31], s[0:1]
	s_cbranch_execnz .LBB136_2
.LBB136_4:
	s_getpc_b64 s[0:1]
	s_add_u32 s0, s0, _ZN2at6native25elementwise_kernel_helperILb0EZZZNS0_17expm1_kernel_cudaERNS_18TensorIteratorBaseEENKUlvE_clEvENKUlvE2_clEvEUlN3c107complexIfEEE_NS0_6memory8policies11unroll_baseILi256ESt5arrayIPcLm2EE23TrivialOffsetCalculatorILi1EjESH_NSA_15LoadWithoutCastENSA_16StoreWithoutCastELi4ELi1EEEEEvT0_T1_@rel32@lo+4
	s_addc_u32 s1, s1, _ZN2at6native25elementwise_kernel_helperILb0EZZZNS0_17expm1_kernel_cudaERNS_18TensorIteratorBaseEENKUlvE_clEvENKUlvE2_clEvEUlN3c107complexIfEEE_NS0_6memory8policies11unroll_baseILi256ESt5arrayIPcLm2EE23TrivialOffsetCalculatorILi1EjESH_NSA_15LoadWithoutCastENSA_16StoreWithoutCastELi4ELi1EEEEEvT0_T1_@rel32@hi+12
	v_mov_b32_e32 v31, v40
	v_mov_b32_e32 v0, s16
	;; [unrolled: 1-line block ×6, first 2 shown]
	s_swappc_b64 s[30:31], s[0:1]
	s_endpgm
	.section	.rodata,"a",@progbits
	.p2align	6, 0x0
	.amdhsa_kernel _ZN2at6native29vectorized_elementwise_kernelILi16EZZZNS0_17expm1_kernel_cudaERNS_18TensorIteratorBaseEENKUlvE_clEvENKUlvE2_clEvEUlN3c107complexIfEEE_St5arrayIPcLm2EEEEviT0_T1_
		.amdhsa_group_segment_fixed_size 0
		.amdhsa_private_segment_fixed_size 0
		.amdhsa_kernarg_size 24
		.amdhsa_user_sgpr_count 2
		.amdhsa_user_sgpr_dispatch_ptr 0
		.amdhsa_user_sgpr_queue_ptr 0
		.amdhsa_user_sgpr_kernarg_segment_ptr 1
		.amdhsa_user_sgpr_dispatch_id 0
		.amdhsa_user_sgpr_kernarg_preload_length 0
		.amdhsa_user_sgpr_kernarg_preload_offset 0
		.amdhsa_user_sgpr_private_segment_size 0
		.amdhsa_uses_dynamic_stack 0
		.amdhsa_enable_private_segment 0
		.amdhsa_system_sgpr_workgroup_id_x 1
		.amdhsa_system_sgpr_workgroup_id_y 0
		.amdhsa_system_sgpr_workgroup_id_z 0
		.amdhsa_system_sgpr_workgroup_info 0
		.amdhsa_system_vgpr_workitem_id 0
		.amdhsa_next_free_vgpr 86
		.amdhsa_next_free_sgpr 33
		.amdhsa_accum_offset 88
		.amdhsa_reserve_vcc 1
		.amdhsa_float_round_mode_32 0
		.amdhsa_float_round_mode_16_64 0
		.amdhsa_float_denorm_mode_32 3
		.amdhsa_float_denorm_mode_16_64 3
		.amdhsa_dx10_clamp 1
		.amdhsa_ieee_mode 1
		.amdhsa_fp16_overflow 0
		.amdhsa_tg_split 0
		.amdhsa_exception_fp_ieee_invalid_op 0
		.amdhsa_exception_fp_denorm_src 0
		.amdhsa_exception_fp_ieee_div_zero 0
		.amdhsa_exception_fp_ieee_overflow 0
		.amdhsa_exception_fp_ieee_underflow 0
		.amdhsa_exception_fp_ieee_inexact 0
		.amdhsa_exception_int_div_zero 0
	.end_amdhsa_kernel
	.section	.text._ZN2at6native29vectorized_elementwise_kernelILi16EZZZNS0_17expm1_kernel_cudaERNS_18TensorIteratorBaseEENKUlvE_clEvENKUlvE2_clEvEUlN3c107complexIfEEE_St5arrayIPcLm2EEEEviT0_T1_,"axG",@progbits,_ZN2at6native29vectorized_elementwise_kernelILi16EZZZNS0_17expm1_kernel_cudaERNS_18TensorIteratorBaseEENKUlvE_clEvENKUlvE2_clEvEUlN3c107complexIfEEE_St5arrayIPcLm2EEEEviT0_T1_,comdat
.Lfunc_end136:
	.size	_ZN2at6native29vectorized_elementwise_kernelILi16EZZZNS0_17expm1_kernel_cudaERNS_18TensorIteratorBaseEENKUlvE_clEvENKUlvE2_clEvEUlN3c107complexIfEEE_St5arrayIPcLm2EEEEviT0_T1_, .Lfunc_end136-_ZN2at6native29vectorized_elementwise_kernelILi16EZZZNS0_17expm1_kernel_cudaERNS_18TensorIteratorBaseEENKUlvE_clEvENKUlvE2_clEvEUlN3c107complexIfEEE_St5arrayIPcLm2EEEEviT0_T1_
                                        ; -- End function
	.set _ZN2at6native29vectorized_elementwise_kernelILi16EZZZNS0_17expm1_kernel_cudaERNS_18TensorIteratorBaseEENKUlvE_clEvENKUlvE2_clEvEUlN3c107complexIfEEE_St5arrayIPcLm2EEEEviT0_T1_.num_vgpr, max(41, .L_ZN2at6native25elementwise_kernel_helperILb0EZZZNS0_17expm1_kernel_cudaERNS_18TensorIteratorBaseEENKUlvE_clEvENKUlvE2_clEvEUlN3c107complexIfEEE_NS0_6memory8policies10vectorizedILi4ESt5arrayIPcLm2EELi4EEEEEvT0_T1_.num_vgpr, .L_ZN2at6native25elementwise_kernel_helperILb0EZZZNS0_17expm1_kernel_cudaERNS_18TensorIteratorBaseEENKUlvE_clEvENKUlvE2_clEvEUlN3c107complexIfEEE_NS0_6memory8policies11unroll_baseILi256ESt5arrayIPcLm2EE23TrivialOffsetCalculatorILi1EjESH_NSA_15LoadWithoutCastENSA_16StoreWithoutCastELi4ELi1EEEEEvT0_T1_.num_vgpr)
	.set _ZN2at6native29vectorized_elementwise_kernelILi16EZZZNS0_17expm1_kernel_cudaERNS_18TensorIteratorBaseEENKUlvE_clEvENKUlvE2_clEvEUlN3c107complexIfEEE_St5arrayIPcLm2EEEEviT0_T1_.num_agpr, max(0, .L_ZN2at6native25elementwise_kernel_helperILb0EZZZNS0_17expm1_kernel_cudaERNS_18TensorIteratorBaseEENKUlvE_clEvENKUlvE2_clEvEUlN3c107complexIfEEE_NS0_6memory8policies10vectorizedILi4ESt5arrayIPcLm2EELi4EEEEEvT0_T1_.num_agpr, .L_ZN2at6native25elementwise_kernel_helperILb0EZZZNS0_17expm1_kernel_cudaERNS_18TensorIteratorBaseEENKUlvE_clEvENKUlvE2_clEvEUlN3c107complexIfEEE_NS0_6memory8policies11unroll_baseILi256ESt5arrayIPcLm2EE23TrivialOffsetCalculatorILi1EjESH_NSA_15LoadWithoutCastENSA_16StoreWithoutCastELi4ELi1EEEEEvT0_T1_.num_agpr)
	.set _ZN2at6native29vectorized_elementwise_kernelILi16EZZZNS0_17expm1_kernel_cudaERNS_18TensorIteratorBaseEENKUlvE_clEvENKUlvE2_clEvEUlN3c107complexIfEEE_St5arrayIPcLm2EEEEviT0_T1_.numbered_sgpr, max(33, .L_ZN2at6native25elementwise_kernel_helperILb0EZZZNS0_17expm1_kernel_cudaERNS_18TensorIteratorBaseEENKUlvE_clEvENKUlvE2_clEvEUlN3c107complexIfEEE_NS0_6memory8policies10vectorizedILi4ESt5arrayIPcLm2EELi4EEEEEvT0_T1_.numbered_sgpr, .L_ZN2at6native25elementwise_kernel_helperILb0EZZZNS0_17expm1_kernel_cudaERNS_18TensorIteratorBaseEENKUlvE_clEvENKUlvE2_clEvEUlN3c107complexIfEEE_NS0_6memory8policies11unroll_baseILi256ESt5arrayIPcLm2EE23TrivialOffsetCalculatorILi1EjESH_NSA_15LoadWithoutCastENSA_16StoreWithoutCastELi4ELi1EEEEEvT0_T1_.numbered_sgpr)
	.set _ZN2at6native29vectorized_elementwise_kernelILi16EZZZNS0_17expm1_kernel_cudaERNS_18TensorIteratorBaseEENKUlvE_clEvENKUlvE2_clEvEUlN3c107complexIfEEE_St5arrayIPcLm2EEEEviT0_T1_.num_named_barrier, max(0, .L_ZN2at6native25elementwise_kernel_helperILb0EZZZNS0_17expm1_kernel_cudaERNS_18TensorIteratorBaseEENKUlvE_clEvENKUlvE2_clEvEUlN3c107complexIfEEE_NS0_6memory8policies10vectorizedILi4ESt5arrayIPcLm2EELi4EEEEEvT0_T1_.num_named_barrier, .L_ZN2at6native25elementwise_kernel_helperILb0EZZZNS0_17expm1_kernel_cudaERNS_18TensorIteratorBaseEENKUlvE_clEvENKUlvE2_clEvEUlN3c107complexIfEEE_NS0_6memory8policies11unroll_baseILi256ESt5arrayIPcLm2EE23TrivialOffsetCalculatorILi1EjESH_NSA_15LoadWithoutCastENSA_16StoreWithoutCastELi4ELi1EEEEEvT0_T1_.num_named_barrier)
	.set _ZN2at6native29vectorized_elementwise_kernelILi16EZZZNS0_17expm1_kernel_cudaERNS_18TensorIteratorBaseEENKUlvE_clEvENKUlvE2_clEvEUlN3c107complexIfEEE_St5arrayIPcLm2EEEEviT0_T1_.private_seg_size, 0+max(.L_ZN2at6native25elementwise_kernel_helperILb0EZZZNS0_17expm1_kernel_cudaERNS_18TensorIteratorBaseEENKUlvE_clEvENKUlvE2_clEvEUlN3c107complexIfEEE_NS0_6memory8policies10vectorizedILi4ESt5arrayIPcLm2EELi4EEEEEvT0_T1_.private_seg_size, .L_ZN2at6native25elementwise_kernel_helperILb0EZZZNS0_17expm1_kernel_cudaERNS_18TensorIteratorBaseEENKUlvE_clEvENKUlvE2_clEvEUlN3c107complexIfEEE_NS0_6memory8policies11unroll_baseILi256ESt5arrayIPcLm2EE23TrivialOffsetCalculatorILi1EjESH_NSA_15LoadWithoutCastENSA_16StoreWithoutCastELi4ELi1EEEEEvT0_T1_.private_seg_size)
	.set _ZN2at6native29vectorized_elementwise_kernelILi16EZZZNS0_17expm1_kernel_cudaERNS_18TensorIteratorBaseEENKUlvE_clEvENKUlvE2_clEvEUlN3c107complexIfEEE_St5arrayIPcLm2EEEEviT0_T1_.uses_vcc, or(1, .L_ZN2at6native25elementwise_kernel_helperILb0EZZZNS0_17expm1_kernel_cudaERNS_18TensorIteratorBaseEENKUlvE_clEvENKUlvE2_clEvEUlN3c107complexIfEEE_NS0_6memory8policies10vectorizedILi4ESt5arrayIPcLm2EELi4EEEEEvT0_T1_.uses_vcc, .L_ZN2at6native25elementwise_kernel_helperILb0EZZZNS0_17expm1_kernel_cudaERNS_18TensorIteratorBaseEENKUlvE_clEvENKUlvE2_clEvEUlN3c107complexIfEEE_NS0_6memory8policies11unroll_baseILi256ESt5arrayIPcLm2EE23TrivialOffsetCalculatorILi1EjESH_NSA_15LoadWithoutCastENSA_16StoreWithoutCastELi4ELi1EEEEEvT0_T1_.uses_vcc)
	.set _ZN2at6native29vectorized_elementwise_kernelILi16EZZZNS0_17expm1_kernel_cudaERNS_18TensorIteratorBaseEENKUlvE_clEvENKUlvE2_clEvEUlN3c107complexIfEEE_St5arrayIPcLm2EEEEviT0_T1_.uses_flat_scratch, or(0, .L_ZN2at6native25elementwise_kernel_helperILb0EZZZNS0_17expm1_kernel_cudaERNS_18TensorIteratorBaseEENKUlvE_clEvENKUlvE2_clEvEUlN3c107complexIfEEE_NS0_6memory8policies10vectorizedILi4ESt5arrayIPcLm2EELi4EEEEEvT0_T1_.uses_flat_scratch, .L_ZN2at6native25elementwise_kernel_helperILb0EZZZNS0_17expm1_kernel_cudaERNS_18TensorIteratorBaseEENKUlvE_clEvENKUlvE2_clEvEUlN3c107complexIfEEE_NS0_6memory8policies11unroll_baseILi256ESt5arrayIPcLm2EE23TrivialOffsetCalculatorILi1EjESH_NSA_15LoadWithoutCastENSA_16StoreWithoutCastELi4ELi1EEEEEvT0_T1_.uses_flat_scratch)
	.set _ZN2at6native29vectorized_elementwise_kernelILi16EZZZNS0_17expm1_kernel_cudaERNS_18TensorIteratorBaseEENKUlvE_clEvENKUlvE2_clEvEUlN3c107complexIfEEE_St5arrayIPcLm2EEEEviT0_T1_.has_dyn_sized_stack, or(0, .L_ZN2at6native25elementwise_kernel_helperILb0EZZZNS0_17expm1_kernel_cudaERNS_18TensorIteratorBaseEENKUlvE_clEvENKUlvE2_clEvEUlN3c107complexIfEEE_NS0_6memory8policies10vectorizedILi4ESt5arrayIPcLm2EELi4EEEEEvT0_T1_.has_dyn_sized_stack, .L_ZN2at6native25elementwise_kernel_helperILb0EZZZNS0_17expm1_kernel_cudaERNS_18TensorIteratorBaseEENKUlvE_clEvENKUlvE2_clEvEUlN3c107complexIfEEE_NS0_6memory8policies11unroll_baseILi256ESt5arrayIPcLm2EE23TrivialOffsetCalculatorILi1EjESH_NSA_15LoadWithoutCastENSA_16StoreWithoutCastELi4ELi1EEEEEvT0_T1_.has_dyn_sized_stack)
	.set _ZN2at6native29vectorized_elementwise_kernelILi16EZZZNS0_17expm1_kernel_cudaERNS_18TensorIteratorBaseEENKUlvE_clEvENKUlvE2_clEvEUlN3c107complexIfEEE_St5arrayIPcLm2EEEEviT0_T1_.has_recursion, or(0, .L_ZN2at6native25elementwise_kernel_helperILb0EZZZNS0_17expm1_kernel_cudaERNS_18TensorIteratorBaseEENKUlvE_clEvENKUlvE2_clEvEUlN3c107complexIfEEE_NS0_6memory8policies10vectorizedILi4ESt5arrayIPcLm2EELi4EEEEEvT0_T1_.has_recursion, .L_ZN2at6native25elementwise_kernel_helperILb0EZZZNS0_17expm1_kernel_cudaERNS_18TensorIteratorBaseEENKUlvE_clEvENKUlvE2_clEvEUlN3c107complexIfEEE_NS0_6memory8policies11unroll_baseILi256ESt5arrayIPcLm2EE23TrivialOffsetCalculatorILi1EjESH_NSA_15LoadWithoutCastENSA_16StoreWithoutCastELi4ELi1EEEEEvT0_T1_.has_recursion)
	.set _ZN2at6native29vectorized_elementwise_kernelILi16EZZZNS0_17expm1_kernel_cudaERNS_18TensorIteratorBaseEENKUlvE_clEvENKUlvE2_clEvEUlN3c107complexIfEEE_St5arrayIPcLm2EEEEviT0_T1_.has_indirect_call, or(0, .L_ZN2at6native25elementwise_kernel_helperILb0EZZZNS0_17expm1_kernel_cudaERNS_18TensorIteratorBaseEENKUlvE_clEvENKUlvE2_clEvEUlN3c107complexIfEEE_NS0_6memory8policies10vectorizedILi4ESt5arrayIPcLm2EELi4EEEEEvT0_T1_.has_indirect_call, .L_ZN2at6native25elementwise_kernel_helperILb0EZZZNS0_17expm1_kernel_cudaERNS_18TensorIteratorBaseEENKUlvE_clEvENKUlvE2_clEvEUlN3c107complexIfEEE_NS0_6memory8policies11unroll_baseILi256ESt5arrayIPcLm2EE23TrivialOffsetCalculatorILi1EjESH_NSA_15LoadWithoutCastENSA_16StoreWithoutCastELi4ELi1EEEEEvT0_T1_.has_indirect_call)
	.section	.AMDGPU.csdata,"",@progbits
; Kernel info:
; codeLenInByte = 164
; TotalNumSgprs: 39
; NumVgprs: 86
; NumAgprs: 0
; TotalNumVgprs: 86
; ScratchSize: 0
; MemoryBound: 0
; FloatMode: 240
; IeeeMode: 1
; LDSByteSize: 0 bytes/workgroup (compile time only)
; SGPRBlocks: 4
; VGPRBlocks: 10
; NumSGPRsForWavesPerEU: 39
; NumVGPRsForWavesPerEU: 86
; AccumOffset: 88
; Occupancy: 5
; WaveLimiterHint : 0
; COMPUTE_PGM_RSRC2:SCRATCH_EN: 0
; COMPUTE_PGM_RSRC2:USER_SGPR: 2
; COMPUTE_PGM_RSRC2:TRAP_HANDLER: 0
; COMPUTE_PGM_RSRC2:TGID_X_EN: 1
; COMPUTE_PGM_RSRC2:TGID_Y_EN: 0
; COMPUTE_PGM_RSRC2:TGID_Z_EN: 0
; COMPUTE_PGM_RSRC2:TIDIG_COMP_CNT: 0
; COMPUTE_PGM_RSRC3_GFX90A:ACCUM_OFFSET: 21
; COMPUTE_PGM_RSRC3_GFX90A:TG_SPLIT: 0
	.section	.text._ZN2at6native29vectorized_elementwise_kernelILi8EZZZNS0_17expm1_kernel_cudaERNS_18TensorIteratorBaseEENKUlvE_clEvENKUlvE2_clEvEUlN3c107complexIfEEE_St5arrayIPcLm2EEEEviT0_T1_,"axG",@progbits,_ZN2at6native29vectorized_elementwise_kernelILi8EZZZNS0_17expm1_kernel_cudaERNS_18TensorIteratorBaseEENKUlvE_clEvENKUlvE2_clEvEUlN3c107complexIfEEE_St5arrayIPcLm2EEEEviT0_T1_,comdat
	.globl	_ZN2at6native29vectorized_elementwise_kernelILi8EZZZNS0_17expm1_kernel_cudaERNS_18TensorIteratorBaseEENKUlvE_clEvENKUlvE2_clEvEUlN3c107complexIfEEE_St5arrayIPcLm2EEEEviT0_T1_ ; -- Begin function _ZN2at6native29vectorized_elementwise_kernelILi8EZZZNS0_17expm1_kernel_cudaERNS_18TensorIteratorBaseEENKUlvE_clEvENKUlvE2_clEvEUlN3c107complexIfEEE_St5arrayIPcLm2EEEEviT0_T1_
	.p2align	8
	.type	_ZN2at6native29vectorized_elementwise_kernelILi8EZZZNS0_17expm1_kernel_cudaERNS_18TensorIteratorBaseEENKUlvE_clEvENKUlvE2_clEvEUlN3c107complexIfEEE_St5arrayIPcLm2EEEEviT0_T1_,@function
_ZN2at6native29vectorized_elementwise_kernelILi8EZZZNS0_17expm1_kernel_cudaERNS_18TensorIteratorBaseEENKUlvE_clEvENKUlvE2_clEvEUlN3c107complexIfEEE_St5arrayIPcLm2EEEEviT0_T1_: ; @_ZN2at6native29vectorized_elementwise_kernelILi8EZZZNS0_17expm1_kernel_cudaERNS_18TensorIteratorBaseEENKUlvE_clEvENKUlvE2_clEvEUlN3c107complexIfEEE_St5arrayIPcLm2EEEEviT0_T1_
; %bb.0:
	s_mov_b32 s12, s2
	s_load_dword s2, s[0:1], 0x0
	s_load_dwordx4 s[16:19], s[0:1], 0x8
	s_lshl_b32 s0, s12, 10
	v_mov_b32_e32 v40, v0
	s_mov_b32 s32, 0
	s_waitcnt lgkmcnt(0)
	s_sub_i32 s13, s2, s0
	s_cmpk_gt_i32 s13, 0x3ff
	s_mov_b64 s[0:1], -1
	s_cbranch_scc1 .LBB137_3
; %bb.1:
	s_andn2_b64 vcc, exec, s[0:1]
	s_cbranch_vccz .LBB137_4
.LBB137_2:
	s_endpgm
.LBB137_3:
	s_getpc_b64 s[0:1]
	s_add_u32 s0, s0, _ZN2at6native25elementwise_kernel_helperILb0EZZZNS0_17expm1_kernel_cudaERNS_18TensorIteratorBaseEENKUlvE_clEvENKUlvE2_clEvEUlN3c107complexIfEEE_NS0_6memory8policies10vectorizedILi4ESt5arrayIPcLm2EELi4EEEEEvT0_T1_@rel32@lo+4
	s_addc_u32 s1, s1, _ZN2at6native25elementwise_kernel_helperILb0EZZZNS0_17expm1_kernel_cudaERNS_18TensorIteratorBaseEENKUlvE_clEvENKUlvE2_clEvEUlN3c107complexIfEEE_NS0_6memory8policies10vectorizedILi4ESt5arrayIPcLm2EELi4EEEEEvT0_T1_@rel32@hi+12
	v_mov_b32_e32 v31, v40
	v_mov_b32_e32 v0, s16
	;; [unrolled: 1-line block ×5, first 2 shown]
	s_swappc_b64 s[30:31], s[0:1]
	s_cbranch_execnz .LBB137_2
.LBB137_4:
	s_getpc_b64 s[0:1]
	s_add_u32 s0, s0, _ZN2at6native25elementwise_kernel_helperILb0EZZZNS0_17expm1_kernel_cudaERNS_18TensorIteratorBaseEENKUlvE_clEvENKUlvE2_clEvEUlN3c107complexIfEEE_NS0_6memory8policies11unroll_baseILi256ESt5arrayIPcLm2EE23TrivialOffsetCalculatorILi1EjESH_NSA_15LoadWithoutCastENSA_16StoreWithoutCastELi4ELi1EEEEEvT0_T1_@rel32@lo+4
	s_addc_u32 s1, s1, _ZN2at6native25elementwise_kernel_helperILb0EZZZNS0_17expm1_kernel_cudaERNS_18TensorIteratorBaseEENKUlvE_clEvENKUlvE2_clEvEUlN3c107complexIfEEE_NS0_6memory8policies11unroll_baseILi256ESt5arrayIPcLm2EE23TrivialOffsetCalculatorILi1EjESH_NSA_15LoadWithoutCastENSA_16StoreWithoutCastELi4ELi1EEEEEvT0_T1_@rel32@hi+12
	v_mov_b32_e32 v31, v40
	v_mov_b32_e32 v0, s16
	;; [unrolled: 1-line block ×6, first 2 shown]
	s_swappc_b64 s[30:31], s[0:1]
	s_endpgm
	.section	.rodata,"a",@progbits
	.p2align	6, 0x0
	.amdhsa_kernel _ZN2at6native29vectorized_elementwise_kernelILi8EZZZNS0_17expm1_kernel_cudaERNS_18TensorIteratorBaseEENKUlvE_clEvENKUlvE2_clEvEUlN3c107complexIfEEE_St5arrayIPcLm2EEEEviT0_T1_
		.amdhsa_group_segment_fixed_size 0
		.amdhsa_private_segment_fixed_size 0
		.amdhsa_kernarg_size 24
		.amdhsa_user_sgpr_count 2
		.amdhsa_user_sgpr_dispatch_ptr 0
		.amdhsa_user_sgpr_queue_ptr 0
		.amdhsa_user_sgpr_kernarg_segment_ptr 1
		.amdhsa_user_sgpr_dispatch_id 0
		.amdhsa_user_sgpr_kernarg_preload_length 0
		.amdhsa_user_sgpr_kernarg_preload_offset 0
		.amdhsa_user_sgpr_private_segment_size 0
		.amdhsa_uses_dynamic_stack 0
		.amdhsa_enable_private_segment 0
		.amdhsa_system_sgpr_workgroup_id_x 1
		.amdhsa_system_sgpr_workgroup_id_y 0
		.amdhsa_system_sgpr_workgroup_id_z 0
		.amdhsa_system_sgpr_workgroup_info 0
		.amdhsa_system_vgpr_workitem_id 0
		.amdhsa_next_free_vgpr 86
		.amdhsa_next_free_sgpr 33
		.amdhsa_accum_offset 88
		.amdhsa_reserve_vcc 1
		.amdhsa_float_round_mode_32 0
		.amdhsa_float_round_mode_16_64 0
		.amdhsa_float_denorm_mode_32 3
		.amdhsa_float_denorm_mode_16_64 3
		.amdhsa_dx10_clamp 1
		.amdhsa_ieee_mode 1
		.amdhsa_fp16_overflow 0
		.amdhsa_tg_split 0
		.amdhsa_exception_fp_ieee_invalid_op 0
		.amdhsa_exception_fp_denorm_src 0
		.amdhsa_exception_fp_ieee_div_zero 0
		.amdhsa_exception_fp_ieee_overflow 0
		.amdhsa_exception_fp_ieee_underflow 0
		.amdhsa_exception_fp_ieee_inexact 0
		.amdhsa_exception_int_div_zero 0
	.end_amdhsa_kernel
	.section	.text._ZN2at6native29vectorized_elementwise_kernelILi8EZZZNS0_17expm1_kernel_cudaERNS_18TensorIteratorBaseEENKUlvE_clEvENKUlvE2_clEvEUlN3c107complexIfEEE_St5arrayIPcLm2EEEEviT0_T1_,"axG",@progbits,_ZN2at6native29vectorized_elementwise_kernelILi8EZZZNS0_17expm1_kernel_cudaERNS_18TensorIteratorBaseEENKUlvE_clEvENKUlvE2_clEvEUlN3c107complexIfEEE_St5arrayIPcLm2EEEEviT0_T1_,comdat
.Lfunc_end137:
	.size	_ZN2at6native29vectorized_elementwise_kernelILi8EZZZNS0_17expm1_kernel_cudaERNS_18TensorIteratorBaseEENKUlvE_clEvENKUlvE2_clEvEUlN3c107complexIfEEE_St5arrayIPcLm2EEEEviT0_T1_, .Lfunc_end137-_ZN2at6native29vectorized_elementwise_kernelILi8EZZZNS0_17expm1_kernel_cudaERNS_18TensorIteratorBaseEENKUlvE_clEvENKUlvE2_clEvEUlN3c107complexIfEEE_St5arrayIPcLm2EEEEviT0_T1_
                                        ; -- End function
	.set _ZN2at6native29vectorized_elementwise_kernelILi8EZZZNS0_17expm1_kernel_cudaERNS_18TensorIteratorBaseEENKUlvE_clEvENKUlvE2_clEvEUlN3c107complexIfEEE_St5arrayIPcLm2EEEEviT0_T1_.num_vgpr, max(41, .L_ZN2at6native25elementwise_kernel_helperILb0EZZZNS0_17expm1_kernel_cudaERNS_18TensorIteratorBaseEENKUlvE_clEvENKUlvE2_clEvEUlN3c107complexIfEEE_NS0_6memory8policies10vectorizedILi4ESt5arrayIPcLm2EELi4EEEEEvT0_T1_.num_vgpr, .L_ZN2at6native25elementwise_kernel_helperILb0EZZZNS0_17expm1_kernel_cudaERNS_18TensorIteratorBaseEENKUlvE_clEvENKUlvE2_clEvEUlN3c107complexIfEEE_NS0_6memory8policies11unroll_baseILi256ESt5arrayIPcLm2EE23TrivialOffsetCalculatorILi1EjESH_NSA_15LoadWithoutCastENSA_16StoreWithoutCastELi4ELi1EEEEEvT0_T1_.num_vgpr)
	.set _ZN2at6native29vectorized_elementwise_kernelILi8EZZZNS0_17expm1_kernel_cudaERNS_18TensorIteratorBaseEENKUlvE_clEvENKUlvE2_clEvEUlN3c107complexIfEEE_St5arrayIPcLm2EEEEviT0_T1_.num_agpr, max(0, .L_ZN2at6native25elementwise_kernel_helperILb0EZZZNS0_17expm1_kernel_cudaERNS_18TensorIteratorBaseEENKUlvE_clEvENKUlvE2_clEvEUlN3c107complexIfEEE_NS0_6memory8policies10vectorizedILi4ESt5arrayIPcLm2EELi4EEEEEvT0_T1_.num_agpr, .L_ZN2at6native25elementwise_kernel_helperILb0EZZZNS0_17expm1_kernel_cudaERNS_18TensorIteratorBaseEENKUlvE_clEvENKUlvE2_clEvEUlN3c107complexIfEEE_NS0_6memory8policies11unroll_baseILi256ESt5arrayIPcLm2EE23TrivialOffsetCalculatorILi1EjESH_NSA_15LoadWithoutCastENSA_16StoreWithoutCastELi4ELi1EEEEEvT0_T1_.num_agpr)
	.set _ZN2at6native29vectorized_elementwise_kernelILi8EZZZNS0_17expm1_kernel_cudaERNS_18TensorIteratorBaseEENKUlvE_clEvENKUlvE2_clEvEUlN3c107complexIfEEE_St5arrayIPcLm2EEEEviT0_T1_.numbered_sgpr, max(33, .L_ZN2at6native25elementwise_kernel_helperILb0EZZZNS0_17expm1_kernel_cudaERNS_18TensorIteratorBaseEENKUlvE_clEvENKUlvE2_clEvEUlN3c107complexIfEEE_NS0_6memory8policies10vectorizedILi4ESt5arrayIPcLm2EELi4EEEEEvT0_T1_.numbered_sgpr, .L_ZN2at6native25elementwise_kernel_helperILb0EZZZNS0_17expm1_kernel_cudaERNS_18TensorIteratorBaseEENKUlvE_clEvENKUlvE2_clEvEUlN3c107complexIfEEE_NS0_6memory8policies11unroll_baseILi256ESt5arrayIPcLm2EE23TrivialOffsetCalculatorILi1EjESH_NSA_15LoadWithoutCastENSA_16StoreWithoutCastELi4ELi1EEEEEvT0_T1_.numbered_sgpr)
	.set _ZN2at6native29vectorized_elementwise_kernelILi8EZZZNS0_17expm1_kernel_cudaERNS_18TensorIteratorBaseEENKUlvE_clEvENKUlvE2_clEvEUlN3c107complexIfEEE_St5arrayIPcLm2EEEEviT0_T1_.num_named_barrier, max(0, .L_ZN2at6native25elementwise_kernel_helperILb0EZZZNS0_17expm1_kernel_cudaERNS_18TensorIteratorBaseEENKUlvE_clEvENKUlvE2_clEvEUlN3c107complexIfEEE_NS0_6memory8policies10vectorizedILi4ESt5arrayIPcLm2EELi4EEEEEvT0_T1_.num_named_barrier, .L_ZN2at6native25elementwise_kernel_helperILb0EZZZNS0_17expm1_kernel_cudaERNS_18TensorIteratorBaseEENKUlvE_clEvENKUlvE2_clEvEUlN3c107complexIfEEE_NS0_6memory8policies11unroll_baseILi256ESt5arrayIPcLm2EE23TrivialOffsetCalculatorILi1EjESH_NSA_15LoadWithoutCastENSA_16StoreWithoutCastELi4ELi1EEEEEvT0_T1_.num_named_barrier)
	.set _ZN2at6native29vectorized_elementwise_kernelILi8EZZZNS0_17expm1_kernel_cudaERNS_18TensorIteratorBaseEENKUlvE_clEvENKUlvE2_clEvEUlN3c107complexIfEEE_St5arrayIPcLm2EEEEviT0_T1_.private_seg_size, 0+max(.L_ZN2at6native25elementwise_kernel_helperILb0EZZZNS0_17expm1_kernel_cudaERNS_18TensorIteratorBaseEENKUlvE_clEvENKUlvE2_clEvEUlN3c107complexIfEEE_NS0_6memory8policies10vectorizedILi4ESt5arrayIPcLm2EELi4EEEEEvT0_T1_.private_seg_size, .L_ZN2at6native25elementwise_kernel_helperILb0EZZZNS0_17expm1_kernel_cudaERNS_18TensorIteratorBaseEENKUlvE_clEvENKUlvE2_clEvEUlN3c107complexIfEEE_NS0_6memory8policies11unroll_baseILi256ESt5arrayIPcLm2EE23TrivialOffsetCalculatorILi1EjESH_NSA_15LoadWithoutCastENSA_16StoreWithoutCastELi4ELi1EEEEEvT0_T1_.private_seg_size)
	.set _ZN2at6native29vectorized_elementwise_kernelILi8EZZZNS0_17expm1_kernel_cudaERNS_18TensorIteratorBaseEENKUlvE_clEvENKUlvE2_clEvEUlN3c107complexIfEEE_St5arrayIPcLm2EEEEviT0_T1_.uses_vcc, or(1, .L_ZN2at6native25elementwise_kernel_helperILb0EZZZNS0_17expm1_kernel_cudaERNS_18TensorIteratorBaseEENKUlvE_clEvENKUlvE2_clEvEUlN3c107complexIfEEE_NS0_6memory8policies10vectorizedILi4ESt5arrayIPcLm2EELi4EEEEEvT0_T1_.uses_vcc, .L_ZN2at6native25elementwise_kernel_helperILb0EZZZNS0_17expm1_kernel_cudaERNS_18TensorIteratorBaseEENKUlvE_clEvENKUlvE2_clEvEUlN3c107complexIfEEE_NS0_6memory8policies11unroll_baseILi256ESt5arrayIPcLm2EE23TrivialOffsetCalculatorILi1EjESH_NSA_15LoadWithoutCastENSA_16StoreWithoutCastELi4ELi1EEEEEvT0_T1_.uses_vcc)
	.set _ZN2at6native29vectorized_elementwise_kernelILi8EZZZNS0_17expm1_kernel_cudaERNS_18TensorIteratorBaseEENKUlvE_clEvENKUlvE2_clEvEUlN3c107complexIfEEE_St5arrayIPcLm2EEEEviT0_T1_.uses_flat_scratch, or(0, .L_ZN2at6native25elementwise_kernel_helperILb0EZZZNS0_17expm1_kernel_cudaERNS_18TensorIteratorBaseEENKUlvE_clEvENKUlvE2_clEvEUlN3c107complexIfEEE_NS0_6memory8policies10vectorizedILi4ESt5arrayIPcLm2EELi4EEEEEvT0_T1_.uses_flat_scratch, .L_ZN2at6native25elementwise_kernel_helperILb0EZZZNS0_17expm1_kernel_cudaERNS_18TensorIteratorBaseEENKUlvE_clEvENKUlvE2_clEvEUlN3c107complexIfEEE_NS0_6memory8policies11unroll_baseILi256ESt5arrayIPcLm2EE23TrivialOffsetCalculatorILi1EjESH_NSA_15LoadWithoutCastENSA_16StoreWithoutCastELi4ELi1EEEEEvT0_T1_.uses_flat_scratch)
	.set _ZN2at6native29vectorized_elementwise_kernelILi8EZZZNS0_17expm1_kernel_cudaERNS_18TensorIteratorBaseEENKUlvE_clEvENKUlvE2_clEvEUlN3c107complexIfEEE_St5arrayIPcLm2EEEEviT0_T1_.has_dyn_sized_stack, or(0, .L_ZN2at6native25elementwise_kernel_helperILb0EZZZNS0_17expm1_kernel_cudaERNS_18TensorIteratorBaseEENKUlvE_clEvENKUlvE2_clEvEUlN3c107complexIfEEE_NS0_6memory8policies10vectorizedILi4ESt5arrayIPcLm2EELi4EEEEEvT0_T1_.has_dyn_sized_stack, .L_ZN2at6native25elementwise_kernel_helperILb0EZZZNS0_17expm1_kernel_cudaERNS_18TensorIteratorBaseEENKUlvE_clEvENKUlvE2_clEvEUlN3c107complexIfEEE_NS0_6memory8policies11unroll_baseILi256ESt5arrayIPcLm2EE23TrivialOffsetCalculatorILi1EjESH_NSA_15LoadWithoutCastENSA_16StoreWithoutCastELi4ELi1EEEEEvT0_T1_.has_dyn_sized_stack)
	.set _ZN2at6native29vectorized_elementwise_kernelILi8EZZZNS0_17expm1_kernel_cudaERNS_18TensorIteratorBaseEENKUlvE_clEvENKUlvE2_clEvEUlN3c107complexIfEEE_St5arrayIPcLm2EEEEviT0_T1_.has_recursion, or(0, .L_ZN2at6native25elementwise_kernel_helperILb0EZZZNS0_17expm1_kernel_cudaERNS_18TensorIteratorBaseEENKUlvE_clEvENKUlvE2_clEvEUlN3c107complexIfEEE_NS0_6memory8policies10vectorizedILi4ESt5arrayIPcLm2EELi4EEEEEvT0_T1_.has_recursion, .L_ZN2at6native25elementwise_kernel_helperILb0EZZZNS0_17expm1_kernel_cudaERNS_18TensorIteratorBaseEENKUlvE_clEvENKUlvE2_clEvEUlN3c107complexIfEEE_NS0_6memory8policies11unroll_baseILi256ESt5arrayIPcLm2EE23TrivialOffsetCalculatorILi1EjESH_NSA_15LoadWithoutCastENSA_16StoreWithoutCastELi4ELi1EEEEEvT0_T1_.has_recursion)
	.set _ZN2at6native29vectorized_elementwise_kernelILi8EZZZNS0_17expm1_kernel_cudaERNS_18TensorIteratorBaseEENKUlvE_clEvENKUlvE2_clEvEUlN3c107complexIfEEE_St5arrayIPcLm2EEEEviT0_T1_.has_indirect_call, or(0, .L_ZN2at6native25elementwise_kernel_helperILb0EZZZNS0_17expm1_kernel_cudaERNS_18TensorIteratorBaseEENKUlvE_clEvENKUlvE2_clEvEUlN3c107complexIfEEE_NS0_6memory8policies10vectorizedILi4ESt5arrayIPcLm2EELi4EEEEEvT0_T1_.has_indirect_call, .L_ZN2at6native25elementwise_kernel_helperILb0EZZZNS0_17expm1_kernel_cudaERNS_18TensorIteratorBaseEENKUlvE_clEvENKUlvE2_clEvEUlN3c107complexIfEEE_NS0_6memory8policies11unroll_baseILi256ESt5arrayIPcLm2EE23TrivialOffsetCalculatorILi1EjESH_NSA_15LoadWithoutCastENSA_16StoreWithoutCastELi4ELi1EEEEEvT0_T1_.has_indirect_call)
	.section	.AMDGPU.csdata,"",@progbits
; Kernel info:
; codeLenInByte = 164
; TotalNumSgprs: 39
; NumVgprs: 86
; NumAgprs: 0
; TotalNumVgprs: 86
; ScratchSize: 0
; MemoryBound: 0
; FloatMode: 240
; IeeeMode: 1
; LDSByteSize: 0 bytes/workgroup (compile time only)
; SGPRBlocks: 4
; VGPRBlocks: 10
; NumSGPRsForWavesPerEU: 39
; NumVGPRsForWavesPerEU: 86
; AccumOffset: 88
; Occupancy: 5
; WaveLimiterHint : 0
; COMPUTE_PGM_RSRC2:SCRATCH_EN: 0
; COMPUTE_PGM_RSRC2:USER_SGPR: 2
; COMPUTE_PGM_RSRC2:TRAP_HANDLER: 0
; COMPUTE_PGM_RSRC2:TGID_X_EN: 1
; COMPUTE_PGM_RSRC2:TGID_Y_EN: 0
; COMPUTE_PGM_RSRC2:TGID_Z_EN: 0
; COMPUTE_PGM_RSRC2:TIDIG_COMP_CNT: 0
; COMPUTE_PGM_RSRC3_GFX90A:ACCUM_OFFSET: 21
; COMPUTE_PGM_RSRC3_GFX90A:TG_SPLIT: 0
	.section	.text._ZN2at6native29vectorized_elementwise_kernelILi4EZZZNS0_17expm1_kernel_cudaERNS_18TensorIteratorBaseEENKUlvE_clEvENKUlvE2_clEvEUlN3c107complexIfEEE_St5arrayIPcLm2EEEEviT0_T1_,"axG",@progbits,_ZN2at6native29vectorized_elementwise_kernelILi4EZZZNS0_17expm1_kernel_cudaERNS_18TensorIteratorBaseEENKUlvE_clEvENKUlvE2_clEvEUlN3c107complexIfEEE_St5arrayIPcLm2EEEEviT0_T1_,comdat
	.globl	_ZN2at6native29vectorized_elementwise_kernelILi4EZZZNS0_17expm1_kernel_cudaERNS_18TensorIteratorBaseEENKUlvE_clEvENKUlvE2_clEvEUlN3c107complexIfEEE_St5arrayIPcLm2EEEEviT0_T1_ ; -- Begin function _ZN2at6native29vectorized_elementwise_kernelILi4EZZZNS0_17expm1_kernel_cudaERNS_18TensorIteratorBaseEENKUlvE_clEvENKUlvE2_clEvEUlN3c107complexIfEEE_St5arrayIPcLm2EEEEviT0_T1_
	.p2align	8
	.type	_ZN2at6native29vectorized_elementwise_kernelILi4EZZZNS0_17expm1_kernel_cudaERNS_18TensorIteratorBaseEENKUlvE_clEvENKUlvE2_clEvEUlN3c107complexIfEEE_St5arrayIPcLm2EEEEviT0_T1_,@function
_ZN2at6native29vectorized_elementwise_kernelILi4EZZZNS0_17expm1_kernel_cudaERNS_18TensorIteratorBaseEENKUlvE_clEvENKUlvE2_clEvEUlN3c107complexIfEEE_St5arrayIPcLm2EEEEviT0_T1_: ; @_ZN2at6native29vectorized_elementwise_kernelILi4EZZZNS0_17expm1_kernel_cudaERNS_18TensorIteratorBaseEENKUlvE_clEvENKUlvE2_clEvEUlN3c107complexIfEEE_St5arrayIPcLm2EEEEviT0_T1_
; %bb.0:
	s_mov_b32 s12, s2
	s_load_dword s2, s[0:1], 0x0
	s_load_dwordx4 s[16:19], s[0:1], 0x8
	s_lshl_b32 s0, s12, 10
	v_mov_b32_e32 v40, v0
	s_mov_b32 s32, 0
	s_waitcnt lgkmcnt(0)
	s_sub_i32 s13, s2, s0
	s_cmpk_gt_i32 s13, 0x3ff
	s_mov_b64 s[0:1], -1
	s_cbranch_scc1 .LBB138_3
; %bb.1:
	s_andn2_b64 vcc, exec, s[0:1]
	s_cbranch_vccz .LBB138_4
.LBB138_2:
	s_endpgm
.LBB138_3:
	s_getpc_b64 s[0:1]
	s_add_u32 s0, s0, _ZN2at6native25elementwise_kernel_helperILb0EZZZNS0_17expm1_kernel_cudaERNS_18TensorIteratorBaseEENKUlvE_clEvENKUlvE2_clEvEUlN3c107complexIfEEE_NS0_6memory8policies10vectorizedILi4ESt5arrayIPcLm2EELi4EEEEEvT0_T1_@rel32@lo+4
	s_addc_u32 s1, s1, _ZN2at6native25elementwise_kernel_helperILb0EZZZNS0_17expm1_kernel_cudaERNS_18TensorIteratorBaseEENKUlvE_clEvENKUlvE2_clEvEUlN3c107complexIfEEE_NS0_6memory8policies10vectorizedILi4ESt5arrayIPcLm2EELi4EEEEEvT0_T1_@rel32@hi+12
	v_mov_b32_e32 v31, v40
	v_mov_b32_e32 v0, s16
	v_mov_b32_e32 v1, s17
	v_mov_b32_e32 v2, s18
	v_mov_b32_e32 v3, s19
	s_swappc_b64 s[30:31], s[0:1]
	s_cbranch_execnz .LBB138_2
.LBB138_4:
	s_getpc_b64 s[0:1]
	s_add_u32 s0, s0, _ZN2at6native25elementwise_kernel_helperILb0EZZZNS0_17expm1_kernel_cudaERNS_18TensorIteratorBaseEENKUlvE_clEvENKUlvE2_clEvEUlN3c107complexIfEEE_NS0_6memory8policies11unroll_baseILi256ESt5arrayIPcLm2EE23TrivialOffsetCalculatorILi1EjESH_NSA_15LoadWithoutCastENSA_16StoreWithoutCastELi4ELi1EEEEEvT0_T1_@rel32@lo+4
	s_addc_u32 s1, s1, _ZN2at6native25elementwise_kernel_helperILb0EZZZNS0_17expm1_kernel_cudaERNS_18TensorIteratorBaseEENKUlvE_clEvENKUlvE2_clEvEUlN3c107complexIfEEE_NS0_6memory8policies11unroll_baseILi256ESt5arrayIPcLm2EE23TrivialOffsetCalculatorILi1EjESH_NSA_15LoadWithoutCastENSA_16StoreWithoutCastELi4ELi1EEEEEvT0_T1_@rel32@hi+12
	v_mov_b32_e32 v31, v40
	v_mov_b32_e32 v0, s16
	;; [unrolled: 1-line block ×6, first 2 shown]
	s_swappc_b64 s[30:31], s[0:1]
	s_endpgm
	.section	.rodata,"a",@progbits
	.p2align	6, 0x0
	.amdhsa_kernel _ZN2at6native29vectorized_elementwise_kernelILi4EZZZNS0_17expm1_kernel_cudaERNS_18TensorIteratorBaseEENKUlvE_clEvENKUlvE2_clEvEUlN3c107complexIfEEE_St5arrayIPcLm2EEEEviT0_T1_
		.amdhsa_group_segment_fixed_size 0
		.amdhsa_private_segment_fixed_size 0
		.amdhsa_kernarg_size 24
		.amdhsa_user_sgpr_count 2
		.amdhsa_user_sgpr_dispatch_ptr 0
		.amdhsa_user_sgpr_queue_ptr 0
		.amdhsa_user_sgpr_kernarg_segment_ptr 1
		.amdhsa_user_sgpr_dispatch_id 0
		.amdhsa_user_sgpr_kernarg_preload_length 0
		.amdhsa_user_sgpr_kernarg_preload_offset 0
		.amdhsa_user_sgpr_private_segment_size 0
		.amdhsa_uses_dynamic_stack 0
		.amdhsa_enable_private_segment 0
		.amdhsa_system_sgpr_workgroup_id_x 1
		.amdhsa_system_sgpr_workgroup_id_y 0
		.amdhsa_system_sgpr_workgroup_id_z 0
		.amdhsa_system_sgpr_workgroup_info 0
		.amdhsa_system_vgpr_workitem_id 0
		.amdhsa_next_free_vgpr 86
		.amdhsa_next_free_sgpr 33
		.amdhsa_accum_offset 88
		.amdhsa_reserve_vcc 1
		.amdhsa_float_round_mode_32 0
		.amdhsa_float_round_mode_16_64 0
		.amdhsa_float_denorm_mode_32 3
		.amdhsa_float_denorm_mode_16_64 3
		.amdhsa_dx10_clamp 1
		.amdhsa_ieee_mode 1
		.amdhsa_fp16_overflow 0
		.amdhsa_tg_split 0
		.amdhsa_exception_fp_ieee_invalid_op 0
		.amdhsa_exception_fp_denorm_src 0
		.amdhsa_exception_fp_ieee_div_zero 0
		.amdhsa_exception_fp_ieee_overflow 0
		.amdhsa_exception_fp_ieee_underflow 0
		.amdhsa_exception_fp_ieee_inexact 0
		.amdhsa_exception_int_div_zero 0
	.end_amdhsa_kernel
	.section	.text._ZN2at6native29vectorized_elementwise_kernelILi4EZZZNS0_17expm1_kernel_cudaERNS_18TensorIteratorBaseEENKUlvE_clEvENKUlvE2_clEvEUlN3c107complexIfEEE_St5arrayIPcLm2EEEEviT0_T1_,"axG",@progbits,_ZN2at6native29vectorized_elementwise_kernelILi4EZZZNS0_17expm1_kernel_cudaERNS_18TensorIteratorBaseEENKUlvE_clEvENKUlvE2_clEvEUlN3c107complexIfEEE_St5arrayIPcLm2EEEEviT0_T1_,comdat
.Lfunc_end138:
	.size	_ZN2at6native29vectorized_elementwise_kernelILi4EZZZNS0_17expm1_kernel_cudaERNS_18TensorIteratorBaseEENKUlvE_clEvENKUlvE2_clEvEUlN3c107complexIfEEE_St5arrayIPcLm2EEEEviT0_T1_, .Lfunc_end138-_ZN2at6native29vectorized_elementwise_kernelILi4EZZZNS0_17expm1_kernel_cudaERNS_18TensorIteratorBaseEENKUlvE_clEvENKUlvE2_clEvEUlN3c107complexIfEEE_St5arrayIPcLm2EEEEviT0_T1_
                                        ; -- End function
	.set _ZN2at6native29vectorized_elementwise_kernelILi4EZZZNS0_17expm1_kernel_cudaERNS_18TensorIteratorBaseEENKUlvE_clEvENKUlvE2_clEvEUlN3c107complexIfEEE_St5arrayIPcLm2EEEEviT0_T1_.num_vgpr, max(41, .L_ZN2at6native25elementwise_kernel_helperILb0EZZZNS0_17expm1_kernel_cudaERNS_18TensorIteratorBaseEENKUlvE_clEvENKUlvE2_clEvEUlN3c107complexIfEEE_NS0_6memory8policies10vectorizedILi4ESt5arrayIPcLm2EELi4EEEEEvT0_T1_.num_vgpr, .L_ZN2at6native25elementwise_kernel_helperILb0EZZZNS0_17expm1_kernel_cudaERNS_18TensorIteratorBaseEENKUlvE_clEvENKUlvE2_clEvEUlN3c107complexIfEEE_NS0_6memory8policies11unroll_baseILi256ESt5arrayIPcLm2EE23TrivialOffsetCalculatorILi1EjESH_NSA_15LoadWithoutCastENSA_16StoreWithoutCastELi4ELi1EEEEEvT0_T1_.num_vgpr)
	.set _ZN2at6native29vectorized_elementwise_kernelILi4EZZZNS0_17expm1_kernel_cudaERNS_18TensorIteratorBaseEENKUlvE_clEvENKUlvE2_clEvEUlN3c107complexIfEEE_St5arrayIPcLm2EEEEviT0_T1_.num_agpr, max(0, .L_ZN2at6native25elementwise_kernel_helperILb0EZZZNS0_17expm1_kernel_cudaERNS_18TensorIteratorBaseEENKUlvE_clEvENKUlvE2_clEvEUlN3c107complexIfEEE_NS0_6memory8policies10vectorizedILi4ESt5arrayIPcLm2EELi4EEEEEvT0_T1_.num_agpr, .L_ZN2at6native25elementwise_kernel_helperILb0EZZZNS0_17expm1_kernel_cudaERNS_18TensorIteratorBaseEENKUlvE_clEvENKUlvE2_clEvEUlN3c107complexIfEEE_NS0_6memory8policies11unroll_baseILi256ESt5arrayIPcLm2EE23TrivialOffsetCalculatorILi1EjESH_NSA_15LoadWithoutCastENSA_16StoreWithoutCastELi4ELi1EEEEEvT0_T1_.num_agpr)
	.set _ZN2at6native29vectorized_elementwise_kernelILi4EZZZNS0_17expm1_kernel_cudaERNS_18TensorIteratorBaseEENKUlvE_clEvENKUlvE2_clEvEUlN3c107complexIfEEE_St5arrayIPcLm2EEEEviT0_T1_.numbered_sgpr, max(33, .L_ZN2at6native25elementwise_kernel_helperILb0EZZZNS0_17expm1_kernel_cudaERNS_18TensorIteratorBaseEENKUlvE_clEvENKUlvE2_clEvEUlN3c107complexIfEEE_NS0_6memory8policies10vectorizedILi4ESt5arrayIPcLm2EELi4EEEEEvT0_T1_.numbered_sgpr, .L_ZN2at6native25elementwise_kernel_helperILb0EZZZNS0_17expm1_kernel_cudaERNS_18TensorIteratorBaseEENKUlvE_clEvENKUlvE2_clEvEUlN3c107complexIfEEE_NS0_6memory8policies11unroll_baseILi256ESt5arrayIPcLm2EE23TrivialOffsetCalculatorILi1EjESH_NSA_15LoadWithoutCastENSA_16StoreWithoutCastELi4ELi1EEEEEvT0_T1_.numbered_sgpr)
	.set _ZN2at6native29vectorized_elementwise_kernelILi4EZZZNS0_17expm1_kernel_cudaERNS_18TensorIteratorBaseEENKUlvE_clEvENKUlvE2_clEvEUlN3c107complexIfEEE_St5arrayIPcLm2EEEEviT0_T1_.num_named_barrier, max(0, .L_ZN2at6native25elementwise_kernel_helperILb0EZZZNS0_17expm1_kernel_cudaERNS_18TensorIteratorBaseEENKUlvE_clEvENKUlvE2_clEvEUlN3c107complexIfEEE_NS0_6memory8policies10vectorizedILi4ESt5arrayIPcLm2EELi4EEEEEvT0_T1_.num_named_barrier, .L_ZN2at6native25elementwise_kernel_helperILb0EZZZNS0_17expm1_kernel_cudaERNS_18TensorIteratorBaseEENKUlvE_clEvENKUlvE2_clEvEUlN3c107complexIfEEE_NS0_6memory8policies11unroll_baseILi256ESt5arrayIPcLm2EE23TrivialOffsetCalculatorILi1EjESH_NSA_15LoadWithoutCastENSA_16StoreWithoutCastELi4ELi1EEEEEvT0_T1_.num_named_barrier)
	.set _ZN2at6native29vectorized_elementwise_kernelILi4EZZZNS0_17expm1_kernel_cudaERNS_18TensorIteratorBaseEENKUlvE_clEvENKUlvE2_clEvEUlN3c107complexIfEEE_St5arrayIPcLm2EEEEviT0_T1_.private_seg_size, 0+max(.L_ZN2at6native25elementwise_kernel_helperILb0EZZZNS0_17expm1_kernel_cudaERNS_18TensorIteratorBaseEENKUlvE_clEvENKUlvE2_clEvEUlN3c107complexIfEEE_NS0_6memory8policies10vectorizedILi4ESt5arrayIPcLm2EELi4EEEEEvT0_T1_.private_seg_size, .L_ZN2at6native25elementwise_kernel_helperILb0EZZZNS0_17expm1_kernel_cudaERNS_18TensorIteratorBaseEENKUlvE_clEvENKUlvE2_clEvEUlN3c107complexIfEEE_NS0_6memory8policies11unroll_baseILi256ESt5arrayIPcLm2EE23TrivialOffsetCalculatorILi1EjESH_NSA_15LoadWithoutCastENSA_16StoreWithoutCastELi4ELi1EEEEEvT0_T1_.private_seg_size)
	.set _ZN2at6native29vectorized_elementwise_kernelILi4EZZZNS0_17expm1_kernel_cudaERNS_18TensorIteratorBaseEENKUlvE_clEvENKUlvE2_clEvEUlN3c107complexIfEEE_St5arrayIPcLm2EEEEviT0_T1_.uses_vcc, or(1, .L_ZN2at6native25elementwise_kernel_helperILb0EZZZNS0_17expm1_kernel_cudaERNS_18TensorIteratorBaseEENKUlvE_clEvENKUlvE2_clEvEUlN3c107complexIfEEE_NS0_6memory8policies10vectorizedILi4ESt5arrayIPcLm2EELi4EEEEEvT0_T1_.uses_vcc, .L_ZN2at6native25elementwise_kernel_helperILb0EZZZNS0_17expm1_kernel_cudaERNS_18TensorIteratorBaseEENKUlvE_clEvENKUlvE2_clEvEUlN3c107complexIfEEE_NS0_6memory8policies11unroll_baseILi256ESt5arrayIPcLm2EE23TrivialOffsetCalculatorILi1EjESH_NSA_15LoadWithoutCastENSA_16StoreWithoutCastELi4ELi1EEEEEvT0_T1_.uses_vcc)
	.set _ZN2at6native29vectorized_elementwise_kernelILi4EZZZNS0_17expm1_kernel_cudaERNS_18TensorIteratorBaseEENKUlvE_clEvENKUlvE2_clEvEUlN3c107complexIfEEE_St5arrayIPcLm2EEEEviT0_T1_.uses_flat_scratch, or(0, .L_ZN2at6native25elementwise_kernel_helperILb0EZZZNS0_17expm1_kernel_cudaERNS_18TensorIteratorBaseEENKUlvE_clEvENKUlvE2_clEvEUlN3c107complexIfEEE_NS0_6memory8policies10vectorizedILi4ESt5arrayIPcLm2EELi4EEEEEvT0_T1_.uses_flat_scratch, .L_ZN2at6native25elementwise_kernel_helperILb0EZZZNS0_17expm1_kernel_cudaERNS_18TensorIteratorBaseEENKUlvE_clEvENKUlvE2_clEvEUlN3c107complexIfEEE_NS0_6memory8policies11unroll_baseILi256ESt5arrayIPcLm2EE23TrivialOffsetCalculatorILi1EjESH_NSA_15LoadWithoutCastENSA_16StoreWithoutCastELi4ELi1EEEEEvT0_T1_.uses_flat_scratch)
	.set _ZN2at6native29vectorized_elementwise_kernelILi4EZZZNS0_17expm1_kernel_cudaERNS_18TensorIteratorBaseEENKUlvE_clEvENKUlvE2_clEvEUlN3c107complexIfEEE_St5arrayIPcLm2EEEEviT0_T1_.has_dyn_sized_stack, or(0, .L_ZN2at6native25elementwise_kernel_helperILb0EZZZNS0_17expm1_kernel_cudaERNS_18TensorIteratorBaseEENKUlvE_clEvENKUlvE2_clEvEUlN3c107complexIfEEE_NS0_6memory8policies10vectorizedILi4ESt5arrayIPcLm2EELi4EEEEEvT0_T1_.has_dyn_sized_stack, .L_ZN2at6native25elementwise_kernel_helperILb0EZZZNS0_17expm1_kernel_cudaERNS_18TensorIteratorBaseEENKUlvE_clEvENKUlvE2_clEvEUlN3c107complexIfEEE_NS0_6memory8policies11unroll_baseILi256ESt5arrayIPcLm2EE23TrivialOffsetCalculatorILi1EjESH_NSA_15LoadWithoutCastENSA_16StoreWithoutCastELi4ELi1EEEEEvT0_T1_.has_dyn_sized_stack)
	.set _ZN2at6native29vectorized_elementwise_kernelILi4EZZZNS0_17expm1_kernel_cudaERNS_18TensorIteratorBaseEENKUlvE_clEvENKUlvE2_clEvEUlN3c107complexIfEEE_St5arrayIPcLm2EEEEviT0_T1_.has_recursion, or(0, .L_ZN2at6native25elementwise_kernel_helperILb0EZZZNS0_17expm1_kernel_cudaERNS_18TensorIteratorBaseEENKUlvE_clEvENKUlvE2_clEvEUlN3c107complexIfEEE_NS0_6memory8policies10vectorizedILi4ESt5arrayIPcLm2EELi4EEEEEvT0_T1_.has_recursion, .L_ZN2at6native25elementwise_kernel_helperILb0EZZZNS0_17expm1_kernel_cudaERNS_18TensorIteratorBaseEENKUlvE_clEvENKUlvE2_clEvEUlN3c107complexIfEEE_NS0_6memory8policies11unroll_baseILi256ESt5arrayIPcLm2EE23TrivialOffsetCalculatorILi1EjESH_NSA_15LoadWithoutCastENSA_16StoreWithoutCastELi4ELi1EEEEEvT0_T1_.has_recursion)
	.set _ZN2at6native29vectorized_elementwise_kernelILi4EZZZNS0_17expm1_kernel_cudaERNS_18TensorIteratorBaseEENKUlvE_clEvENKUlvE2_clEvEUlN3c107complexIfEEE_St5arrayIPcLm2EEEEviT0_T1_.has_indirect_call, or(0, .L_ZN2at6native25elementwise_kernel_helperILb0EZZZNS0_17expm1_kernel_cudaERNS_18TensorIteratorBaseEENKUlvE_clEvENKUlvE2_clEvEUlN3c107complexIfEEE_NS0_6memory8policies10vectorizedILi4ESt5arrayIPcLm2EELi4EEEEEvT0_T1_.has_indirect_call, .L_ZN2at6native25elementwise_kernel_helperILb0EZZZNS0_17expm1_kernel_cudaERNS_18TensorIteratorBaseEENKUlvE_clEvENKUlvE2_clEvEUlN3c107complexIfEEE_NS0_6memory8policies11unroll_baseILi256ESt5arrayIPcLm2EE23TrivialOffsetCalculatorILi1EjESH_NSA_15LoadWithoutCastENSA_16StoreWithoutCastELi4ELi1EEEEEvT0_T1_.has_indirect_call)
	.section	.AMDGPU.csdata,"",@progbits
; Kernel info:
; codeLenInByte = 164
; TotalNumSgprs: 39
; NumVgprs: 86
; NumAgprs: 0
; TotalNumVgprs: 86
; ScratchSize: 0
; MemoryBound: 0
; FloatMode: 240
; IeeeMode: 1
; LDSByteSize: 0 bytes/workgroup (compile time only)
; SGPRBlocks: 4
; VGPRBlocks: 10
; NumSGPRsForWavesPerEU: 39
; NumVGPRsForWavesPerEU: 86
; AccumOffset: 88
; Occupancy: 5
; WaveLimiterHint : 0
; COMPUTE_PGM_RSRC2:SCRATCH_EN: 0
; COMPUTE_PGM_RSRC2:USER_SGPR: 2
; COMPUTE_PGM_RSRC2:TRAP_HANDLER: 0
; COMPUTE_PGM_RSRC2:TGID_X_EN: 1
; COMPUTE_PGM_RSRC2:TGID_Y_EN: 0
; COMPUTE_PGM_RSRC2:TGID_Z_EN: 0
; COMPUTE_PGM_RSRC2:TIDIG_COMP_CNT: 0
; COMPUTE_PGM_RSRC3_GFX90A:ACCUM_OFFSET: 21
; COMPUTE_PGM_RSRC3_GFX90A:TG_SPLIT: 0
	.section	.text._ZN2at6native29vectorized_elementwise_kernelILi2EZZZNS0_17expm1_kernel_cudaERNS_18TensorIteratorBaseEENKUlvE_clEvENKUlvE2_clEvEUlN3c107complexIfEEE_St5arrayIPcLm2EEEEviT0_T1_,"axG",@progbits,_ZN2at6native29vectorized_elementwise_kernelILi2EZZZNS0_17expm1_kernel_cudaERNS_18TensorIteratorBaseEENKUlvE_clEvENKUlvE2_clEvEUlN3c107complexIfEEE_St5arrayIPcLm2EEEEviT0_T1_,comdat
	.globl	_ZN2at6native29vectorized_elementwise_kernelILi2EZZZNS0_17expm1_kernel_cudaERNS_18TensorIteratorBaseEENKUlvE_clEvENKUlvE2_clEvEUlN3c107complexIfEEE_St5arrayIPcLm2EEEEviT0_T1_ ; -- Begin function _ZN2at6native29vectorized_elementwise_kernelILi2EZZZNS0_17expm1_kernel_cudaERNS_18TensorIteratorBaseEENKUlvE_clEvENKUlvE2_clEvEUlN3c107complexIfEEE_St5arrayIPcLm2EEEEviT0_T1_
	.p2align	8
	.type	_ZN2at6native29vectorized_elementwise_kernelILi2EZZZNS0_17expm1_kernel_cudaERNS_18TensorIteratorBaseEENKUlvE_clEvENKUlvE2_clEvEUlN3c107complexIfEEE_St5arrayIPcLm2EEEEviT0_T1_,@function
_ZN2at6native29vectorized_elementwise_kernelILi2EZZZNS0_17expm1_kernel_cudaERNS_18TensorIteratorBaseEENKUlvE_clEvENKUlvE2_clEvEUlN3c107complexIfEEE_St5arrayIPcLm2EEEEviT0_T1_: ; @_ZN2at6native29vectorized_elementwise_kernelILi2EZZZNS0_17expm1_kernel_cudaERNS_18TensorIteratorBaseEENKUlvE_clEvENKUlvE2_clEvEUlN3c107complexIfEEE_St5arrayIPcLm2EEEEviT0_T1_
; %bb.0:
	s_load_dword s3, s[0:1], 0x0
	s_load_dwordx4 s[8:11], s[0:1], 0x8
	s_lshl_b32 s0, s2, 10
	s_mov_b64 s[4:5], -1
	s_mov_b32 s32, 0
	s_waitcnt lgkmcnt(0)
	s_sub_i32 s3, s3, s0
	s_cmpk_gt_i32 s3, 0x3ff
	s_cbranch_scc0 .LBB139_7
; %bb.1:
	s_ashr_i32 s1, s0, 31
	s_lshl_b64 s[12:13], s[0:1], 3
	s_add_u32 s0, s10, s12
	s_addc_u32 s1, s11, s13
	v_mov_b32_e32 v11, 0
	v_lshlrev_b32_e32 v10, 4, v0
	v_lshl_add_u64 v[2:3], s[0:1], 0, v[10:11]
	global_load_dwordx4 v[6:9], v10, s[0:1]
	v_add_co_u32_e32 v2, vcc, 0x1000, v2
                                        ; implicit-def: $vgpr14
                                        ; implicit-def: $vgpr13
	s_nop 1
	v_addc_co_u32_e32 v3, vcc, 0, v3, vcc
	global_load_dwordx4 v[2:5], v[2:3], off
	s_brev_b32 s0, 18
	s_waitcnt vmcnt(1)
	v_mul_f32_e32 v1, 0.5, v7
	v_and_b32_e32 v12, 0x7fffffff, v1
	v_cmp_nlt_f32_e64 s[0:1], |v1|, s0
	s_and_saveexec_b64 s[4:5], s[0:1]
	s_xor_b64 s[14:15], exec, s[4:5]
	s_cbranch_execz .LBB139_3
; %bb.2:
	v_lshrrev_b32_e32 v13, 23, v12
	v_add_u32_e32 v13, 0xffffff88, v13
	v_not_b32_e32 v14, 63
	v_cmp_lt_u32_e32 vcc, 63, v13
	s_mov_b32 s6, 0xfe5163ab
	v_mov_b32_e32 v17, v11
	v_cndmask_b32_e32 v14, 0, v14, vcc
	v_add_u32_e32 v13, v14, v13
	v_not_b32_e32 v14, 31
	v_cmp_lt_u32_e64 s[0:1], 31, v13
	v_mov_b32_e32 v19, v11
	v_mov_b32_e32 v21, v11
	v_cndmask_b32_e64 v15, 0, v14, s[0:1]
	v_add_u32_e32 v13, v15, v13
	v_cmp_lt_u32_e64 s[4:5], 31, v13
	v_mov_b32_e32 v23, v11
	v_mov_b32_e32 v25, v11
	v_cndmask_b32_e64 v14, 0, v14, s[4:5]
	v_add_u32_e32 v13, v14, v13
	v_and_b32_e32 v14, 0x7fffff, v12
	v_or_b32_e32 v28, 0x800000, v14
	v_mad_u64_u32 v[14:15], s[6:7], v28, s6, 0
	v_mov_b32_e32 v16, v15
	s_mov_b32 s6, 0x3c439041
	v_mad_u64_u32 v[16:17], s[6:7], v28, s6, v[16:17]
	v_mov_b32_e32 v18, v17
	s_mov_b32 s6, 0xdb629599
	;; [unrolled: 3-line block ×5, first 2 shown]
	v_mad_u64_u32 v[24:25], s[6:7], v28, s6, v[24:25]
	v_mov_b32_e32 v26, v25
	v_mov_b32_e32 v27, v11
	s_mov_b32 s6, 0xa2f9836e
	v_mad_u64_u32 v[26:27], s[6:7], v28, s6, v[26:27]
	v_cndmask_b32_e32 v15, v24, v20, vcc
	v_cndmask_b32_e32 v11, v26, v22, vcc
	;; [unrolled: 1-line block ×3, first 2 shown]
	v_cndmask_b32_e64 v17, v11, v15, s[0:1]
	v_cndmask_b32_e64 v11, v19, v11, s[0:1]
	v_cndmask_b32_e32 v19, v22, v18, vcc
	v_cndmask_b32_e64 v15, v15, v19, s[0:1]
	v_sub_u32_e32 v21, 32, v13
	v_cmp_eq_u32_e64 s[6:7], 0, v13
	v_cndmask_b32_e32 v13, v20, v16, vcc
	v_cndmask_b32_e64 v11, v11, v17, s[4:5]
	v_cndmask_b32_e64 v17, v17, v15, s[4:5]
	;; [unrolled: 1-line block ×3, first 2 shown]
	v_alignbit_b32 v22, v11, v17, v21
	v_cndmask_b32_e64 v15, v15, v16, s[4:5]
	v_cndmask_b32_e64 v11, v22, v11, s[6:7]
	v_alignbit_b32 v19, v17, v15, v21
	v_cndmask_b32_e32 v14, v18, v14, vcc
	v_cndmask_b32_e64 v17, v19, v17, s[6:7]
	v_bfe_u32 v22, v11, 29, 1
	v_cndmask_b32_e64 v13, v13, v14, s[0:1]
	v_alignbit_b32 v19, v11, v17, 30
	v_sub_u32_e32 v23, 0, v22
	v_cndmask_b32_e64 v13, v16, v13, s[4:5]
	v_xor_b32_e32 v19, v19, v23
	v_alignbit_b32 v14, v15, v13, v21
	v_cndmask_b32_e64 v14, v14, v15, s[6:7]
	v_ffbh_u32_e32 v16, v19
	v_alignbit_b32 v15, v17, v14, 30
	v_min_u32_e32 v16, 32, v16
	v_alignbit_b32 v13, v14, v13, 30
	v_xor_b32_e32 v15, v15, v23
	v_sub_u32_e32 v17, 31, v16
	v_xor_b32_e32 v13, v13, v23
	v_alignbit_b32 v18, v19, v15, v17
	v_alignbit_b32 v13, v15, v13, v17
	;; [unrolled: 1-line block ×3, first 2 shown]
	v_ffbh_u32_e32 v15, v14
	v_min_u32_e32 v15, 32, v15
	v_lshrrev_b32_e32 v20, 29, v11
	v_not_b32_e32 v17, v15
	v_alignbit_b32 v13, v14, v13, v17
	v_lshlrev_b32_e32 v14, 31, v20
	v_or_b32_e32 v17, 0x33000000, v14
	v_add_lshl_u32 v15, v15, v16, 23
	v_lshrrev_b32_e32 v13, 9, v13
	v_sub_u32_e32 v15, v17, v15
	v_or_b32_e32 v14, 0.5, v14
	v_lshlrev_b32_e32 v16, 23, v16
	v_or_b32_e32 v13, v15, v13
	v_lshrrev_b32_e32 v15, 9, v18
	v_sub_u32_e32 v14, v14, v16
	v_or_b32_e32 v14, v15, v14
	s_mov_b32 s0, 0x3fc90fda
	v_mul_f32_e32 v15, 0x3fc90fda, v14
	v_fma_f32 v16, v14, s0, -v15
	v_fmamk_f32 v14, v14, 0x33a22168, v16
	v_fmac_f32_e32 v14, 0x3fc90fda, v13
	v_lshrrev_b32_e32 v11, 30, v11
	v_add_f32_e32 v13, v15, v14
	v_add_u32_e32 v14, v22, v11
.LBB139_3:
	s_andn2_saveexec_b64 s[0:1], s[14:15]
	s_cbranch_execz .LBB139_5
; %bb.4:
	s_mov_b32 s4, 0x3f22f983
	v_mul_f32_e64 v11, |v1|, s4
	v_rndne_f32_e32 v11, v11
	s_mov_b32 s4, 0xbfc90fda
	v_cvt_i32_f32_e32 v14, v11
	v_fma_f32 v13, v11, s4, |v1|
	v_fmamk_f32 v13, v11, 0xb3a22168, v13
	v_fmamk_f32 v13, v11, 0xa7c234c4, v13
.LBB139_5:
	s_or_b64 exec, exec, s[0:1]
	v_and_b32_e32 v11, 0x7fffffff, v7
	s_brev_b32 s0, 18
	v_cmp_nlt_f32_e64 s[14:15], |v7|, s0
	v_lshrrev_b32_e32 v19, 23, v11
                                        ; implicit-def: $vgpr16
                                        ; implicit-def: $vgpr15
	s_and_saveexec_b64 s[0:1], s[14:15]
	s_xor_b64 s[16:17], exec, s[0:1]
	s_cbranch_execz .LBB139_9
; %bb.6:
	v_add_u32_e32 v15, 0xffffff88, v19
	v_not_b32_e32 v16, 63
	v_cmp_lt_u32_e32 vcc, 63, v15
	s_mov_b32 s6, 0xfe5163ab
	v_mov_b32_e32 v21, 0
	v_cndmask_b32_e32 v16, 0, v16, vcc
	v_add_u32_e32 v15, v16, v15
	v_not_b32_e32 v16, 31
	v_cmp_lt_u32_e64 s[0:1], 31, v15
	s_nop 1
	v_cndmask_b32_e64 v17, 0, v16, s[0:1]
	v_add_u32_e32 v15, v17, v15
	v_cmp_lt_u32_e64 s[4:5], 31, v15
	s_nop 1
	v_cndmask_b32_e64 v16, 0, v16, s[4:5]
	v_add_u32_e32 v15, v16, v15
	v_and_b32_e32 v16, 0x7fffff, v11
	v_or_b32_e32 v18, 0x800000, v16
	v_mad_u64_u32 v[16:17], s[6:7], v18, s6, 0
	v_mov_b32_e32 v20, v17
	s_mov_b32 s6, 0x3c439041
	v_mad_u64_u32 v[22:23], s[6:7], v18, s6, v[20:21]
	v_mov_b32_e32 v20, v23
	s_mov_b32 s6, 0xdb629599
	;; [unrolled: 3-line block ×6, first 2 shown]
	v_mad_u64_u32 v[20:21], s[6:7], v18, s6, v[20:21]
	v_cndmask_b32_e32 v17, v30, v26, vcc
	v_cndmask_b32_e32 v18, v20, v28, vcc
	;; [unrolled: 1-line block ×3, first 2 shown]
	v_cndmask_b32_e64 v20, v18, v17, s[0:1]
	v_cndmask_b32_e64 v18, v21, v18, s[0:1]
	v_cndmask_b32_e32 v21, v28, v24, vcc
	v_cndmask_b32_e64 v17, v17, v21, s[0:1]
	v_sub_u32_e32 v23, 32, v15
	v_cmp_eq_u32_e64 s[6:7], 0, v15
	v_cndmask_b32_e32 v15, v26, v22, vcc
	v_cndmask_b32_e64 v18, v18, v20, s[4:5]
	v_cndmask_b32_e64 v20, v20, v17, s[4:5]
	v_cndmask_b32_e64 v21, v21, v15, s[0:1]
	v_alignbit_b32 v25, v18, v20, v23
	v_cndmask_b32_e64 v17, v17, v21, s[4:5]
	v_cndmask_b32_e32 v16, v24, v16, vcc
	v_cndmask_b32_e64 v18, v25, v18, s[6:7]
	v_alignbit_b32 v22, v20, v17, v23
	v_cndmask_b32_e64 v15, v15, v16, s[0:1]
	v_cndmask_b32_e64 v20, v22, v20, s[6:7]
	v_bfe_u32 v26, v18, 29, 1
	v_cndmask_b32_e64 v15, v21, v15, s[4:5]
	v_alignbit_b32 v22, v18, v20, 30
	v_sub_u32_e32 v27, 0, v26
	v_alignbit_b32 v16, v17, v15, v23
	v_xor_b32_e32 v22, v22, v27
	v_cndmask_b32_e64 v16, v16, v17, s[6:7]
	v_alignbit_b32 v17, v20, v16, 30
	v_ffbh_u32_e32 v20, v22
	v_min_u32_e32 v20, 32, v20
	v_alignbit_b32 v15, v16, v15, 30
	v_xor_b32_e32 v17, v17, v27
	v_sub_u32_e32 v21, 31, v20
	v_xor_b32_e32 v15, v15, v27
	v_alignbit_b32 v22, v22, v17, v21
	v_alignbit_b32 v15, v17, v15, v21
	;; [unrolled: 1-line block ×3, first 2 shown]
	v_ffbh_u32_e32 v17, v16
	v_min_u32_e32 v17, 32, v17
	v_lshrrev_b32_e32 v25, 29, v18
	v_not_b32_e32 v21, v17
	v_alignbit_b32 v15, v16, v15, v21
	v_lshlrev_b32_e32 v16, 31, v25
	v_or_b32_e32 v21, 0x33000000, v16
	v_add_lshl_u32 v17, v17, v20, 23
	v_lshrrev_b32_e32 v15, 9, v15
	v_sub_u32_e32 v17, v21, v17
	v_or_b32_e32 v16, 0.5, v16
	v_lshlrev_b32_e32 v20, 23, v20
	v_or_b32_e32 v15, v17, v15
	v_lshrrev_b32_e32 v17, 9, v22
	v_sub_u32_e32 v16, v16, v20
	v_or_b32_e32 v16, v17, v16
	s_mov_b32 s0, 0x3fc90fda
	v_mul_f32_e32 v17, 0x3fc90fda, v16
	v_fma_f32 v20, v16, s0, -v17
	v_fmamk_f32 v16, v16, 0x33a22168, v20
	v_fmac_f32_e32 v16, 0x3fc90fda, v15
	v_add_f32_e32 v15, v17, v16
	v_lshrrev_b32_e32 v16, 30, v18
	v_add_u32_e32 v16, v26, v16
	s_andn2_saveexec_b64 s[0:1], s[16:17]
	s_cbranch_execz .LBB139_11
	s_branch .LBB139_10
.LBB139_7:
	s_and_b64 vcc, exec, s[4:5]
	s_cbranch_vccz .LBB139_52
; %bb.8:
	s_getpc_b64 s[0:1]
	s_add_u32 s0, s0, _ZN2at6native25elementwise_kernel_helperILb0EZZZNS0_17expm1_kernel_cudaERNS_18TensorIteratorBaseEENKUlvE_clEvENKUlvE2_clEvEUlN3c107complexIfEEE_NS0_6memory8policies11unroll_baseILi256ESt5arrayIPcLm2EE23TrivialOffsetCalculatorILi1EjESH_NSA_15LoadWithoutCastENSA_16StoreWithoutCastELi4ELi1EEEEEvT0_T1_@rel32@lo+4
	s_addc_u32 s1, s1, _ZN2at6native25elementwise_kernel_helperILb0EZZZNS0_17expm1_kernel_cudaERNS_18TensorIteratorBaseEENKUlvE_clEvENKUlvE2_clEvEUlN3c107complexIfEEE_NS0_6memory8policies11unroll_baseILi256ESt5arrayIPcLm2EE23TrivialOffsetCalculatorILi1EjESH_NSA_15LoadWithoutCastENSA_16StoreWithoutCastELi4ELi1EEEEEvT0_T1_@rel32@hi+12
	s_mov_b32 s12, s2
	v_mov_b32_e32 v31, v0
	v_mov_b32_e32 v0, s8
	;; [unrolled: 1-line block ×6, first 2 shown]
	s_swappc_b64 s[30:31], s[0:1]
	s_endpgm
.LBB139_9:
	s_andn2_saveexec_b64 s[0:1], s[16:17]
	s_cbranch_execz .LBB139_11
.LBB139_10:
	s_mov_b32 s4, 0x3f22f983
	v_mul_f32_e64 v15, |v7|, s4
	v_rndne_f32_e32 v15, v15
	s_mov_b32 s4, 0xbfc90fda
	v_cvt_i32_f32_e32 v16, v15
	v_fma_f32 v17, v15, s4, |v7|
	v_fmamk_f32 v17, v15, 0xb3a22168, v17
	v_fmamk_f32 v15, v15, 0xa7c234c4, v17
.LBB139_11:
	s_or_b64 exec, exec, s[0:1]
                                        ; implicit-def: $vgpr18
                                        ; implicit-def: $vgpr17
	s_and_saveexec_b64 s[0:1], s[14:15]
	s_xor_b64 s[14:15], exec, s[0:1]
	s_cbranch_execz .LBB139_13
; %bb.12:
	v_add_u32_e32 v17, 0xffffff88, v19
	v_not_b32_e32 v18, 63
	v_cmp_lt_u32_e32 vcc, 63, v17
	s_mov_b32 s6, 0xfe5163ab
	v_mov_b32_e32 v21, 0
	v_cndmask_b32_e32 v18, 0, v18, vcc
	v_add_u32_e32 v17, v18, v17
	v_not_b32_e32 v18, 31
	v_cmp_lt_u32_e64 s[0:1], 31, v17
	s_nop 1
	v_cndmask_b32_e64 v19, 0, v18, s[0:1]
	v_add_u32_e32 v17, v19, v17
	v_cmp_lt_u32_e64 s[4:5], 31, v17
	s_nop 1
	v_cndmask_b32_e64 v18, 0, v18, s[4:5]
	v_add_u32_e32 v17, v18, v17
	v_and_b32_e32 v18, 0x7fffff, v11
	v_or_b32_e32 v32, 0x800000, v18
	v_mad_u64_u32 v[18:19], s[6:7], v32, s6, 0
	v_mov_b32_e32 v20, v19
	s_mov_b32 s6, 0x3c439041
	v_mad_u64_u32 v[22:23], s[6:7], v32, s6, v[20:21]
	v_mov_b32_e32 v20, v23
	s_mov_b32 s6, 0xdb629599
	;; [unrolled: 3-line block ×6, first 2 shown]
	v_mad_u64_u32 v[20:21], s[6:7], v32, s6, v[20:21]
	v_cndmask_b32_e32 v19, v30, v26, vcc
	v_cndmask_b32_e32 v20, v20, v28, vcc
	;; [unrolled: 1-line block ×3, first 2 shown]
	v_cndmask_b32_e64 v23, v20, v19, s[0:1]
	v_cndmask_b32_e64 v20, v21, v20, s[0:1]
	v_cndmask_b32_e32 v21, v28, v24, vcc
	v_cndmask_b32_e64 v19, v19, v21, s[0:1]
	v_sub_u32_e32 v25, 32, v17
	v_cmp_eq_u32_e64 s[6:7], 0, v17
	v_cndmask_b32_e32 v17, v26, v22, vcc
	v_cndmask_b32_e64 v20, v20, v23, s[4:5]
	v_cndmask_b32_e64 v23, v23, v19, s[4:5]
	;; [unrolled: 1-line block ×3, first 2 shown]
	v_alignbit_b32 v27, v20, v23, v25
	v_cndmask_b32_e64 v19, v19, v21, s[4:5]
	v_cndmask_b32_e64 v20, v27, v20, s[6:7]
	v_alignbit_b32 v22, v23, v19, v25
	v_cndmask_b32_e32 v18, v24, v18, vcc
	v_cndmask_b32_e64 v22, v22, v23, s[6:7]
	v_bfe_u32 v27, v20, 29, 1
	v_cndmask_b32_e64 v17, v17, v18, s[0:1]
	v_alignbit_b32 v23, v20, v22, 30
	v_sub_u32_e32 v28, 0, v27
	v_cndmask_b32_e64 v17, v21, v17, s[4:5]
	v_xor_b32_e32 v23, v23, v28
	v_alignbit_b32 v18, v19, v17, v25
	v_cndmask_b32_e64 v18, v18, v19, s[6:7]
	v_ffbh_u32_e32 v21, v23
	v_alignbit_b32 v19, v22, v18, 30
	v_min_u32_e32 v21, 32, v21
	v_alignbit_b32 v17, v18, v17, 30
	v_xor_b32_e32 v19, v19, v28
	v_sub_u32_e32 v22, 31, v21
	v_xor_b32_e32 v17, v17, v28
	v_alignbit_b32 v23, v23, v19, v22
	v_alignbit_b32 v17, v19, v17, v22
	;; [unrolled: 1-line block ×3, first 2 shown]
	v_ffbh_u32_e32 v19, v18
	v_min_u32_e32 v19, 32, v19
	v_lshrrev_b32_e32 v26, 29, v20
	v_not_b32_e32 v22, v19
	v_alignbit_b32 v17, v18, v17, v22
	v_lshlrev_b32_e32 v18, 31, v26
	v_or_b32_e32 v22, 0x33000000, v18
	v_add_lshl_u32 v19, v19, v21, 23
	v_lshrrev_b32_e32 v17, 9, v17
	v_sub_u32_e32 v19, v22, v19
	v_or_b32_e32 v18, 0.5, v18
	v_lshlrev_b32_e32 v21, 23, v21
	v_or_b32_e32 v17, v19, v17
	v_lshrrev_b32_e32 v19, 9, v23
	v_sub_u32_e32 v18, v18, v21
	v_or_b32_e32 v18, v19, v18
	s_mov_b32 s0, 0x3fc90fda
	v_mul_f32_e32 v19, 0x3fc90fda, v18
	v_fma_f32 v21, v18, s0, -v19
	v_fmamk_f32 v18, v18, 0x33a22168, v21
	v_fmac_f32_e32 v18, 0x3fc90fda, v17
	v_add_f32_e32 v17, v19, v18
	v_lshrrev_b32_e32 v18, 30, v20
	v_add_u32_e32 v18, v27, v18
	s_andn2_saveexec_b64 s[0:1], s[14:15]
	s_cbranch_execnz .LBB139_14
	s_branch .LBB139_15
.LBB139_13:
	s_andn2_saveexec_b64 s[0:1], s[14:15]
	s_cbranch_execz .LBB139_15
.LBB139_14:
	s_mov_b32 s4, 0x3f22f983
	v_mul_f32_e64 v17, |v7|, s4
	v_rndne_f32_e32 v17, v17
	s_mov_b32 s4, 0xbfc90fda
	v_cvt_i32_f32_e32 v18, v17
	v_fma_f32 v19, v17, s4, |v7|
	v_fmamk_f32 v19, v17, 0xb3a22168, v19
	v_fmamk_f32 v17, v17, 0xa7c234c4, v19
.LBB139_15:
	s_or_b64 exec, exec, s[0:1]
	v_mul_f32_e32 v19, 0.5, v9
	s_brev_b32 s0, 18
	v_and_b32_e32 v20, 0x7fffffff, v19
	v_cmp_nlt_f32_e64 s[0:1], |v19|, s0
                                        ; implicit-def: $vgpr22
                                        ; implicit-def: $vgpr21
	s_and_saveexec_b64 s[4:5], s[0:1]
	s_xor_b64 s[14:15], exec, s[4:5]
	s_cbranch_execz .LBB139_17
; %bb.16:
	v_lshrrev_b32_e32 v21, 23, v20
	v_add_u32_e32 v21, 0xffffff88, v21
	v_not_b32_e32 v22, 63
	v_cmp_lt_u32_e32 vcc, 63, v21
	s_mov_b32 s6, 0xfe5163ab
	v_mov_b32_e32 v25, 0
	v_cndmask_b32_e32 v22, 0, v22, vcc
	v_add_u32_e32 v21, v22, v21
	v_not_b32_e32 v22, 31
	v_cmp_lt_u32_e64 s[0:1], 31, v21
	s_nop 1
	v_cndmask_b32_e64 v23, 0, v22, s[0:1]
	v_add_u32_e32 v21, v23, v21
	v_cmp_lt_u32_e64 s[4:5], 31, v21
	s_nop 1
	v_cndmask_b32_e64 v22, 0, v22, s[4:5]
	v_add_u32_e32 v21, v22, v21
	v_and_b32_e32 v22, 0x7fffff, v20
	v_or_b32_e32 v36, 0x800000, v22
	v_mad_u64_u32 v[22:23], s[6:7], v36, s6, 0
	v_mov_b32_e32 v24, v23
	s_mov_b32 s6, 0x3c439041
	v_mad_u64_u32 v[26:27], s[6:7], v36, s6, v[24:25]
	v_mov_b32_e32 v24, v27
	s_mov_b32 s6, 0xdb629599
	;; [unrolled: 3-line block ×6, first 2 shown]
	v_mad_u64_u32 v[24:25], s[6:7], v36, s6, v[24:25]
	v_cndmask_b32_e32 v23, v34, v30, vcc
	v_cndmask_b32_e32 v24, v24, v32, vcc
	;; [unrolled: 1-line block ×3, first 2 shown]
	v_cndmask_b32_e64 v27, v24, v23, s[0:1]
	v_cndmask_b32_e64 v24, v25, v24, s[0:1]
	v_cndmask_b32_e32 v25, v32, v28, vcc
	v_cndmask_b32_e64 v23, v23, v25, s[0:1]
	v_sub_u32_e32 v29, 32, v21
	v_cmp_eq_u32_e64 s[6:7], 0, v21
	v_cndmask_b32_e32 v21, v30, v26, vcc
	v_cndmask_b32_e64 v24, v24, v27, s[4:5]
	v_cndmask_b32_e64 v27, v27, v23, s[4:5]
	v_cndmask_b32_e64 v25, v25, v21, s[0:1]
	v_alignbit_b32 v31, v24, v27, v29
	v_cndmask_b32_e64 v23, v23, v25, s[4:5]
	v_cndmask_b32_e64 v24, v31, v24, s[6:7]
	v_alignbit_b32 v26, v27, v23, v29
	v_cndmask_b32_e32 v22, v28, v22, vcc
	v_cndmask_b32_e64 v26, v26, v27, s[6:7]
	v_bfe_u32 v31, v24, 29, 1
	v_cndmask_b32_e64 v21, v21, v22, s[0:1]
	v_alignbit_b32 v27, v24, v26, 30
	v_sub_u32_e32 v32, 0, v31
	v_cndmask_b32_e64 v21, v25, v21, s[4:5]
	v_xor_b32_e32 v27, v27, v32
	v_alignbit_b32 v22, v23, v21, v29
	v_cndmask_b32_e64 v22, v22, v23, s[6:7]
	v_ffbh_u32_e32 v25, v27
	v_alignbit_b32 v23, v26, v22, 30
	v_min_u32_e32 v25, 32, v25
	v_alignbit_b32 v21, v22, v21, 30
	v_xor_b32_e32 v23, v23, v32
	v_sub_u32_e32 v26, 31, v25
	v_xor_b32_e32 v21, v21, v32
	v_alignbit_b32 v27, v27, v23, v26
	v_alignbit_b32 v21, v23, v21, v26
	;; [unrolled: 1-line block ×3, first 2 shown]
	v_ffbh_u32_e32 v23, v22
	v_min_u32_e32 v23, 32, v23
	v_lshrrev_b32_e32 v30, 29, v24
	v_not_b32_e32 v26, v23
	v_alignbit_b32 v21, v22, v21, v26
	v_lshlrev_b32_e32 v22, 31, v30
	v_or_b32_e32 v26, 0x33000000, v22
	v_add_lshl_u32 v23, v23, v25, 23
	v_lshrrev_b32_e32 v21, 9, v21
	v_sub_u32_e32 v23, v26, v23
	v_or_b32_e32 v22, 0.5, v22
	v_lshlrev_b32_e32 v25, 23, v25
	v_or_b32_e32 v21, v23, v21
	v_lshrrev_b32_e32 v23, 9, v27
	v_sub_u32_e32 v22, v22, v25
	v_or_b32_e32 v22, v23, v22
	s_mov_b32 s0, 0x3fc90fda
	v_mul_f32_e32 v23, 0x3fc90fda, v22
	v_fma_f32 v25, v22, s0, -v23
	v_fmamk_f32 v22, v22, 0x33a22168, v25
	v_fmac_f32_e32 v22, 0x3fc90fda, v21
	v_add_f32_e32 v21, v23, v22
	v_lshrrev_b32_e32 v22, 30, v24
	v_add_u32_e32 v22, v31, v22
.LBB139_17:
	s_andn2_saveexec_b64 s[0:1], s[14:15]
	s_cbranch_execz .LBB139_19
; %bb.18:
	s_mov_b32 s4, 0x3f22f983
	v_mul_f32_e64 v21, |v19|, s4
	v_rndne_f32_e32 v21, v21
	s_mov_b32 s4, 0xbfc90fda
	v_cvt_i32_f32_e32 v22, v21
	v_fma_f32 v23, v21, s4, |v19|
	v_fmamk_f32 v23, v21, 0xb3a22168, v23
	v_fmamk_f32 v21, v21, 0xa7c234c4, v23
.LBB139_19:
	s_or_b64 exec, exec, s[0:1]
	v_and_b32_e32 v23, 0x7fffffff, v9
	s_brev_b32 s0, 18
	v_cmp_nlt_f32_e64 s[14:15], |v9|, s0
	v_lshrrev_b32_e32 v28, 23, v23
                                        ; implicit-def: $vgpr25
                                        ; implicit-def: $vgpr24
	s_and_saveexec_b64 s[0:1], s[14:15]
	s_xor_b64 s[16:17], exec, s[0:1]
	s_cbranch_execz .LBB139_21
; %bb.20:
	v_add_u32_e32 v24, 0xffffff88, v28
	v_not_b32_e32 v25, 63
	v_cmp_lt_u32_e32 vcc, 63, v24
	s_mov_b32 s6, 0xfe5163ab
	v_mov_b32_e32 v27, 0
	v_cndmask_b32_e32 v25, 0, v25, vcc
	v_add_u32_e32 v24, v25, v24
	v_not_b32_e32 v25, 31
	v_cmp_lt_u32_e64 s[0:1], 31, v24
	s_nop 1
	v_cndmask_b32_e64 v26, 0, v25, s[0:1]
	v_add_u32_e32 v24, v26, v24
	v_cmp_lt_u32_e64 s[4:5], 31, v24
	s_nop 1
	v_cndmask_b32_e64 v25, 0, v25, s[4:5]
	v_add_u32_e32 v29, v25, v24
	v_and_b32_e32 v24, 0x7fffff, v23
	v_or_b32_e32 v40, 0x800000, v24
	v_mad_u64_u32 v[24:25], s[6:7], v40, s6, 0
	v_mov_b32_e32 v26, v25
	s_mov_b32 s6, 0x3c439041
	v_mad_u64_u32 v[30:31], s[6:7], v40, s6, v[26:27]
	v_mov_b32_e32 v26, v31
	s_mov_b32 s6, 0xdb629599
	;; [unrolled: 3-line block ×6, first 2 shown]
	v_mad_u64_u32 v[26:27], s[6:7], v40, s6, v[26:27]
	v_cndmask_b32_e32 v25, v38, v34, vcc
	v_cndmask_b32_e32 v26, v26, v36, vcc
	;; [unrolled: 1-line block ×3, first 2 shown]
	v_cndmask_b32_e64 v31, v26, v25, s[0:1]
	v_cndmask_b32_e64 v26, v27, v26, s[0:1]
	v_cndmask_b32_e32 v27, v36, v32, vcc
	v_cndmask_b32_e64 v25, v25, v27, s[0:1]
	v_sub_u32_e32 v33, 32, v29
	v_cmp_eq_u32_e64 s[6:7], 0, v29
	v_cndmask_b32_e32 v29, v34, v30, vcc
	v_cndmask_b32_e64 v26, v26, v31, s[4:5]
	v_cndmask_b32_e64 v31, v31, v25, s[4:5]
	;; [unrolled: 1-line block ×3, first 2 shown]
	v_alignbit_b32 v35, v26, v31, v33
	v_cndmask_b32_e64 v25, v25, v27, s[4:5]
	v_cndmask_b32_e64 v26, v35, v26, s[6:7]
	v_alignbit_b32 v30, v31, v25, v33
	v_cndmask_b32_e32 v24, v32, v24, vcc
	v_cndmask_b32_e64 v30, v30, v31, s[6:7]
	v_bfe_u32 v35, v26, 29, 1
	v_cndmask_b32_e64 v24, v29, v24, s[0:1]
	v_alignbit_b32 v31, v26, v30, 30
	v_sub_u32_e32 v36, 0, v35
	v_cndmask_b32_e64 v24, v27, v24, s[4:5]
	v_xor_b32_e32 v31, v31, v36
	v_alignbit_b32 v27, v25, v24, v33
	v_cndmask_b32_e64 v25, v27, v25, s[6:7]
	v_ffbh_u32_e32 v29, v31
	v_alignbit_b32 v27, v30, v25, 30
	v_min_u32_e32 v29, 32, v29
	v_alignbit_b32 v24, v25, v24, 30
	v_xor_b32_e32 v27, v27, v36
	v_sub_u32_e32 v30, 31, v29
	v_xor_b32_e32 v24, v24, v36
	v_alignbit_b32 v31, v31, v27, v30
	v_alignbit_b32 v24, v27, v24, v30
	v_alignbit_b32 v25, v31, v24, 9
	v_ffbh_u32_e32 v27, v25
	v_min_u32_e32 v27, 32, v27
	v_lshrrev_b32_e32 v34, 29, v26
	v_not_b32_e32 v30, v27
	v_alignbit_b32 v24, v25, v24, v30
	v_lshlrev_b32_e32 v25, 31, v34
	v_or_b32_e32 v30, 0x33000000, v25
	v_add_lshl_u32 v27, v27, v29, 23
	v_lshrrev_b32_e32 v24, 9, v24
	v_sub_u32_e32 v27, v30, v27
	v_or_b32_e32 v25, 0.5, v25
	v_lshlrev_b32_e32 v29, 23, v29
	v_or_b32_e32 v24, v27, v24
	v_lshrrev_b32_e32 v27, 9, v31
	v_sub_u32_e32 v25, v25, v29
	v_or_b32_e32 v25, v27, v25
	s_mov_b32 s0, 0x3fc90fda
	v_mul_f32_e32 v27, 0x3fc90fda, v25
	v_fma_f32 v29, v25, s0, -v27
	v_fmamk_f32 v25, v25, 0x33a22168, v29
	v_fmac_f32_e32 v25, 0x3fc90fda, v24
	v_add_f32_e32 v24, v27, v25
	v_lshrrev_b32_e32 v25, 30, v26
	v_add_u32_e32 v25, v35, v25
	s_andn2_saveexec_b64 s[0:1], s[16:17]
	s_cbranch_execz .LBB139_23
	s_branch .LBB139_22
.LBB139_21:
	s_andn2_saveexec_b64 s[0:1], s[16:17]
	s_cbranch_execz .LBB139_23
.LBB139_22:
	s_mov_b32 s4, 0x3f22f983
	v_mul_f32_e64 v24, |v9|, s4
	v_rndne_f32_e32 v24, v24
	s_mov_b32 s4, 0xbfc90fda
	v_cvt_i32_f32_e32 v25, v24
	v_fma_f32 v26, v24, s4, |v9|
	v_fmamk_f32 v26, v24, 0xb3a22168, v26
	v_fmamk_f32 v24, v24, 0xa7c234c4, v26
.LBB139_23:
	s_or_b64 exec, exec, s[0:1]
                                        ; implicit-def: $vgpr27
                                        ; implicit-def: $vgpr26
	s_and_saveexec_b64 s[0:1], s[14:15]
	s_xor_b64 s[14:15], exec, s[0:1]
	s_cbranch_execz .LBB139_25
; %bb.24:
	v_add_u32_e32 v26, 0xffffff88, v28
	v_not_b32_e32 v27, 63
	v_cmp_lt_u32_e32 vcc, 63, v26
	s_mov_b32 s6, 0xfe5163ab
	v_mov_b32_e32 v29, 0
	v_cndmask_b32_e32 v27, 0, v27, vcc
	v_add_u32_e32 v26, v27, v26
	v_not_b32_e32 v27, 31
	v_cmp_lt_u32_e64 s[0:1], 31, v26
	s_nop 1
	v_cndmask_b32_e64 v28, 0, v27, s[0:1]
	v_add_u32_e32 v26, v28, v26
	v_cmp_lt_u32_e64 s[4:5], 31, v26
	s_nop 1
	v_cndmask_b32_e64 v27, 0, v27, s[4:5]
	v_add_u32_e32 v40, v27, v26
	v_and_b32_e32 v26, 0x7fffff, v23
	v_or_b32_e32 v41, 0x800000, v26
	v_mad_u64_u32 v[26:27], s[6:7], v41, s6, 0
	v_mov_b32_e32 v28, v27
	s_mov_b32 s6, 0x3c439041
	v_mad_u64_u32 v[30:31], s[6:7], v41, s6, v[28:29]
	v_mov_b32_e32 v28, v31
	s_mov_b32 s6, 0xdb629599
	;; [unrolled: 3-line block ×6, first 2 shown]
	v_mad_u64_u32 v[28:29], s[6:7], v41, s6, v[28:29]
	v_cndmask_b32_e32 v27, v38, v34, vcc
	v_cndmask_b32_e32 v28, v28, v36, vcc
	;; [unrolled: 1-line block ×3, first 2 shown]
	v_cndmask_b32_e64 v31, v28, v27, s[0:1]
	v_cndmask_b32_e64 v28, v29, v28, s[0:1]
	v_cndmask_b32_e32 v29, v36, v32, vcc
	v_cndmask_b32_e64 v27, v27, v29, s[0:1]
	v_cndmask_b32_e32 v30, v34, v30, vcc
	v_cndmask_b32_e64 v28, v28, v31, s[4:5]
	v_cndmask_b32_e64 v31, v31, v27, s[4:5]
	v_sub_u32_e32 v33, 32, v40
	v_cndmask_b32_e64 v29, v29, v30, s[0:1]
	v_alignbit_b32 v35, v28, v31, v33
	v_cmp_eq_u32_e64 s[6:7], 0, v40
	v_cndmask_b32_e64 v27, v27, v29, s[4:5]
	v_alignbit_b32 v34, v31, v27, v33
	v_cndmask_b32_e64 v28, v35, v28, s[6:7]
	v_cndmask_b32_e32 v26, v32, v26, vcc
	v_cndmask_b32_e64 v31, v34, v31, s[6:7]
	v_bfe_u32 v36, v28, 29, 1
	v_cndmask_b32_e64 v26, v30, v26, s[0:1]
	v_alignbit_b32 v34, v28, v31, 30
	v_sub_u32_e32 v37, 0, v36
	v_cndmask_b32_e64 v26, v29, v26, s[4:5]
	v_xor_b32_e32 v34, v34, v37
	v_alignbit_b32 v29, v27, v26, v33
	v_cndmask_b32_e64 v27, v29, v27, s[6:7]
	v_ffbh_u32_e32 v30, v34
	v_alignbit_b32 v29, v31, v27, 30
	v_min_u32_e32 v30, 32, v30
	v_alignbit_b32 v26, v27, v26, 30
	v_xor_b32_e32 v29, v29, v37
	v_sub_u32_e32 v31, 31, v30
	v_xor_b32_e32 v26, v26, v37
	v_alignbit_b32 v32, v34, v29, v31
	v_alignbit_b32 v26, v29, v26, v31
	;; [unrolled: 1-line block ×3, first 2 shown]
	v_ffbh_u32_e32 v29, v27
	v_min_u32_e32 v29, 32, v29
	v_lshrrev_b32_e32 v35, 29, v28
	v_not_b32_e32 v31, v29
	v_alignbit_b32 v26, v27, v26, v31
	v_lshlrev_b32_e32 v27, 31, v35
	v_or_b32_e32 v31, 0x33000000, v27
	v_add_lshl_u32 v29, v29, v30, 23
	v_lshrrev_b32_e32 v26, 9, v26
	v_sub_u32_e32 v29, v31, v29
	v_or_b32_e32 v27, 0.5, v27
	v_lshlrev_b32_e32 v30, 23, v30
	v_or_b32_e32 v26, v29, v26
	v_lshrrev_b32_e32 v29, 9, v32
	v_sub_u32_e32 v27, v27, v30
	v_or_b32_e32 v27, v29, v27
	s_mov_b32 s0, 0x3fc90fda
	v_mul_f32_e32 v29, 0x3fc90fda, v27
	v_fma_f32 v30, v27, s0, -v29
	v_fmamk_f32 v27, v27, 0x33a22168, v30
	v_fmac_f32_e32 v27, 0x3fc90fda, v26
	v_add_f32_e32 v26, v29, v27
	v_lshrrev_b32_e32 v27, 30, v28
	v_add_u32_e32 v27, v36, v27
	s_andn2_saveexec_b64 s[0:1], s[14:15]
	s_cbranch_execnz .LBB139_26
	s_branch .LBB139_27
.LBB139_25:
	s_andn2_saveexec_b64 s[0:1], s[14:15]
	s_cbranch_execz .LBB139_27
.LBB139_26:
	s_mov_b32 s4, 0x3f22f983
	v_mul_f32_e64 v26, |v9|, s4
	v_rndne_f32_e32 v26, v26
	s_mov_b32 s4, 0xbfc90fda
	v_cvt_i32_f32_e32 v27, v26
	v_fma_f32 v28, v26, s4, |v9|
	v_fmamk_f32 v28, v26, 0xb3a22168, v28
	v_fmamk_f32 v26, v26, 0xa7c234c4, v28
.LBB139_27:
	s_or_b64 exec, exec, s[0:1]
	s_waitcnt vmcnt(0)
	v_mul_f32_e32 v28, 0.5, v3
	s_brev_b32 s0, 18
	v_and_b32_e32 v29, 0x7fffffff, v28
	v_cmp_nlt_f32_e64 s[0:1], |v28|, s0
                                        ; implicit-def: $vgpr31
                                        ; implicit-def: $vgpr30
	s_and_saveexec_b64 s[4:5], s[0:1]
	s_xor_b64 s[14:15], exec, s[4:5]
	s_cbranch_execz .LBB139_29
; %bb.28:
	v_lshrrev_b32_e32 v30, 23, v29
	v_add_u32_e32 v30, 0xffffff88, v30
	v_not_b32_e32 v31, 63
	v_cmp_lt_u32_e32 vcc, 63, v30
	s_mov_b32 s6, 0xfe5163ab
	v_mov_b32_e32 v33, 0
	v_cndmask_b32_e32 v31, 0, v31, vcc
	v_add_u32_e32 v30, v31, v30
	v_not_b32_e32 v31, 31
	v_cmp_lt_u32_e64 s[0:1], 31, v30
	s_nop 1
	v_cndmask_b32_e64 v32, 0, v31, s[0:1]
	v_add_u32_e32 v30, v32, v30
	v_cmp_lt_u32_e64 s[4:5], 31, v30
	s_nop 1
	v_cndmask_b32_e64 v31, 0, v31, s[4:5]
	v_add_u32_e32 v44, v31, v30
	v_and_b32_e32 v30, 0x7fffff, v29
	v_or_b32_e32 v45, 0x800000, v30
	v_mad_u64_u32 v[30:31], s[6:7], v45, s6, 0
	v_mov_b32_e32 v32, v31
	s_mov_b32 s6, 0x3c439041
	v_mad_u64_u32 v[34:35], s[6:7], v45, s6, v[32:33]
	v_mov_b32_e32 v32, v35
	s_mov_b32 s6, 0xdb629599
	;; [unrolled: 3-line block ×6, first 2 shown]
	v_mad_u64_u32 v[32:33], s[6:7], v45, s6, v[32:33]
	v_cndmask_b32_e32 v31, v42, v38, vcc
	v_cndmask_b32_e32 v32, v32, v40, vcc
	;; [unrolled: 1-line block ×3, first 2 shown]
	v_cndmask_b32_e64 v35, v32, v31, s[0:1]
	v_cndmask_b32_e64 v32, v33, v32, s[0:1]
	v_cndmask_b32_e32 v33, v40, v36, vcc
	v_cndmask_b32_e64 v31, v31, v33, s[0:1]
	v_cndmask_b32_e32 v34, v38, v34, vcc
	v_cndmask_b32_e64 v32, v32, v35, s[4:5]
	v_cndmask_b32_e64 v35, v35, v31, s[4:5]
	v_sub_u32_e32 v37, 32, v44
	v_cndmask_b32_e64 v33, v33, v34, s[0:1]
	v_alignbit_b32 v39, v32, v35, v37
	v_cmp_eq_u32_e64 s[6:7], 0, v44
	v_cndmask_b32_e64 v31, v31, v33, s[4:5]
	v_alignbit_b32 v38, v35, v31, v37
	v_cndmask_b32_e64 v32, v39, v32, s[6:7]
	v_cndmask_b32_e32 v30, v36, v30, vcc
	v_cndmask_b32_e64 v35, v38, v35, s[6:7]
	v_bfe_u32 v40, v32, 29, 1
	v_cndmask_b32_e64 v30, v34, v30, s[0:1]
	v_alignbit_b32 v38, v32, v35, 30
	v_sub_u32_e32 v41, 0, v40
	v_cndmask_b32_e64 v30, v33, v30, s[4:5]
	v_xor_b32_e32 v38, v38, v41
	v_alignbit_b32 v33, v31, v30, v37
	v_cndmask_b32_e64 v31, v33, v31, s[6:7]
	v_ffbh_u32_e32 v34, v38
	v_alignbit_b32 v33, v35, v31, 30
	v_min_u32_e32 v34, 32, v34
	v_alignbit_b32 v30, v31, v30, 30
	v_xor_b32_e32 v33, v33, v41
	v_sub_u32_e32 v35, 31, v34
	v_xor_b32_e32 v30, v30, v41
	v_alignbit_b32 v36, v38, v33, v35
	v_alignbit_b32 v30, v33, v30, v35
	;; [unrolled: 1-line block ×3, first 2 shown]
	v_ffbh_u32_e32 v33, v31
	v_min_u32_e32 v33, 32, v33
	v_lshrrev_b32_e32 v39, 29, v32
	v_not_b32_e32 v35, v33
	v_alignbit_b32 v30, v31, v30, v35
	v_lshlrev_b32_e32 v31, 31, v39
	v_or_b32_e32 v35, 0x33000000, v31
	v_add_lshl_u32 v33, v33, v34, 23
	v_lshrrev_b32_e32 v30, 9, v30
	v_sub_u32_e32 v33, v35, v33
	v_or_b32_e32 v31, 0.5, v31
	v_lshlrev_b32_e32 v34, 23, v34
	v_or_b32_e32 v30, v33, v30
	v_lshrrev_b32_e32 v33, 9, v36
	v_sub_u32_e32 v31, v31, v34
	v_or_b32_e32 v31, v33, v31
	s_mov_b32 s0, 0x3fc90fda
	v_mul_f32_e32 v33, 0x3fc90fda, v31
	v_fma_f32 v34, v31, s0, -v33
	v_fmamk_f32 v31, v31, 0x33a22168, v34
	v_fmac_f32_e32 v31, 0x3fc90fda, v30
	v_add_f32_e32 v30, v33, v31
	v_lshrrev_b32_e32 v31, 30, v32
	v_add_u32_e32 v31, v40, v31
.LBB139_29:
	s_andn2_saveexec_b64 s[0:1], s[14:15]
	s_cbranch_execz .LBB139_31
; %bb.30:
	s_mov_b32 s4, 0x3f22f983
	v_mul_f32_e64 v30, |v28|, s4
	v_rndne_f32_e32 v30, v30
	s_mov_b32 s4, 0xbfc90fda
	v_cvt_i32_f32_e32 v31, v30
	v_fma_f32 v32, v30, s4, |v28|
	v_fmamk_f32 v32, v30, 0xb3a22168, v32
	v_fmamk_f32 v30, v30, 0xa7c234c4, v32
.LBB139_31:
	s_or_b64 exec, exec, s[0:1]
	v_and_b32_e32 v34, 0x7fffffff, v3
	s_brev_b32 s0, 18
	v_cmp_nlt_f32_e64 s[14:15], |v3|, s0
	v_lshrrev_b32_e32 v32, 23, v34
                                        ; implicit-def: $vgpr36
                                        ; implicit-def: $vgpr35
	s_and_saveexec_b64 s[0:1], s[14:15]
	s_xor_b64 s[16:17], exec, s[0:1]
	s_cbranch_execz .LBB139_33
; %bb.32:
	v_add_u32_e32 v33, 0xffffff88, v32
	v_not_b32_e32 v35, 63
	v_cmp_lt_u32_e32 vcc, 63, v33
	s_mov_b32 s6, 0xfe5163ab
	v_mov_b32_e32 v39, 0
	v_cndmask_b32_e32 v35, 0, v35, vcc
	v_add_u32_e32 v33, v35, v33
	v_not_b32_e32 v35, 31
	v_cmp_lt_u32_e64 s[0:1], 31, v33
	s_nop 1
	v_cndmask_b32_e64 v36, 0, v35, s[0:1]
	v_add_u32_e32 v33, v36, v33
	v_cmp_lt_u32_e64 s[4:5], 31, v33
	s_nop 1
	v_cndmask_b32_e64 v35, 0, v35, s[4:5]
	v_add_u32_e32 v33, v35, v33
	v_and_b32_e32 v35, 0x7fffff, v34
	v_or_b32_e32 v35, 0x800000, v35
	v_mad_u64_u32 v[36:37], s[6:7], v35, s6, 0
	v_mov_b32_e32 v38, v37
	s_mov_b32 s6, 0x3c439041
	v_mad_u64_u32 v[40:41], s[6:7], v35, s6, v[38:39]
	v_mov_b32_e32 v38, v41
	s_mov_b32 s6, 0xdb629599
	;; [unrolled: 3-line block ×6, first 2 shown]
	v_mad_u64_u32 v[38:39], s[6:7], v35, s6, v[38:39]
	v_cndmask_b32_e32 v37, v48, v44, vcc
	v_cndmask_b32_e32 v35, v38, v46, vcc
	;; [unrolled: 1-line block ×3, first 2 shown]
	v_cndmask_b32_e64 v38, v35, v37, s[0:1]
	v_cndmask_b32_e64 v35, v39, v35, s[0:1]
	v_cndmask_b32_e32 v39, v46, v42, vcc
	v_cndmask_b32_e64 v37, v37, v39, s[0:1]
	v_cndmask_b32_e64 v35, v35, v38, s[4:5]
	;; [unrolled: 1-line block ×3, first 2 shown]
	v_sub_u32_e32 v41, 32, v33
	v_alignbit_b32 v43, v35, v38, v41
	v_cmp_eq_u32_e64 s[6:7], 0, v33
	v_cndmask_b32_e32 v36, v42, v36, vcc
	s_nop 0
	v_cndmask_b32_e64 v33, v43, v35, s[6:7]
	v_cndmask_b32_e32 v35, v44, v40, vcc
	v_cndmask_b32_e64 v39, v39, v35, s[0:1]
	v_cndmask_b32_e64 v37, v37, v39, s[4:5]
	v_alignbit_b32 v40, v38, v37, v41
	v_cndmask_b32_e64 v35, v35, v36, s[0:1]
	v_cndmask_b32_e64 v38, v40, v38, s[6:7]
	v_bfe_u32 v44, v33, 29, 1
	v_cndmask_b32_e64 v35, v39, v35, s[4:5]
	v_alignbit_b32 v40, v33, v38, 30
	v_sub_u32_e32 v45, 0, v44
	v_alignbit_b32 v36, v37, v35, v41
	v_xor_b32_e32 v40, v40, v45
	v_cndmask_b32_e64 v36, v36, v37, s[6:7]
	v_alignbit_b32 v37, v38, v36, 30
	v_ffbh_u32_e32 v38, v40
	v_min_u32_e32 v38, 32, v38
	v_alignbit_b32 v35, v36, v35, 30
	v_xor_b32_e32 v37, v37, v45
	v_sub_u32_e32 v39, 31, v38
	v_xor_b32_e32 v35, v35, v45
	v_alignbit_b32 v40, v40, v37, v39
	v_alignbit_b32 v35, v37, v35, v39
	;; [unrolled: 1-line block ×3, first 2 shown]
	v_ffbh_u32_e32 v37, v36
	v_min_u32_e32 v37, 32, v37
	v_lshrrev_b32_e32 v43, 29, v33
	v_not_b32_e32 v39, v37
	v_alignbit_b32 v35, v36, v35, v39
	v_lshlrev_b32_e32 v36, 31, v43
	v_or_b32_e32 v39, 0x33000000, v36
	v_add_lshl_u32 v37, v37, v38, 23
	v_lshrrev_b32_e32 v35, 9, v35
	v_sub_u32_e32 v37, v39, v37
	v_or_b32_e32 v36, 0.5, v36
	v_lshlrev_b32_e32 v38, 23, v38
	v_or_b32_e32 v35, v37, v35
	v_lshrrev_b32_e32 v37, 9, v40
	v_sub_u32_e32 v36, v36, v38
	v_or_b32_e32 v36, v37, v36
	s_mov_b32 s0, 0x3fc90fda
	v_mul_f32_e32 v37, 0x3fc90fda, v36
	v_fma_f32 v38, v36, s0, -v37
	v_fmamk_f32 v36, v36, 0x33a22168, v38
	v_fmac_f32_e32 v36, 0x3fc90fda, v35
	v_lshrrev_b32_e32 v33, 30, v33
	v_add_f32_e32 v35, v37, v36
	v_add_u32_e32 v36, v44, v33
	s_andn2_saveexec_b64 s[0:1], s[16:17]
	s_cbranch_execz .LBB139_35
	s_branch .LBB139_34
.LBB139_33:
	s_andn2_saveexec_b64 s[0:1], s[16:17]
	s_cbranch_execz .LBB139_35
.LBB139_34:
	s_mov_b32 s4, 0x3f22f983
	v_mul_f32_e64 v33, |v3|, s4
	v_rndne_f32_e32 v33, v33
	s_mov_b32 s4, 0xbfc90fda
	v_cvt_i32_f32_e32 v36, v33
	v_fma_f32 v35, v33, s4, |v3|
	v_fmamk_f32 v35, v33, 0xb3a22168, v35
	v_fmamk_f32 v35, v33, 0xa7c234c4, v35
.LBB139_35:
	s_or_b64 exec, exec, s[0:1]
                                        ; implicit-def: $vgpr43
                                        ; implicit-def: $vgpr42
	s_and_saveexec_b64 s[0:1], s[14:15]
	s_xor_b64 s[14:15], exec, s[0:1]
	s_cbranch_execz .LBB139_37
; %bb.36:
	v_add_u32_e32 v32, 0xffffff88, v32
	v_not_b32_e32 v33, 63
	v_cmp_lt_u32_e32 vcc, 63, v32
	s_mov_b32 s6, 0xfe5163ab
	v_mov_b32_e32 v39, 0
	v_cndmask_b32_e32 v33, 0, v33, vcc
	v_add_u32_e32 v32, v33, v32
	v_not_b32_e32 v33, 31
	v_cmp_lt_u32_e64 s[0:1], 31, v32
	s_nop 1
	v_cndmask_b32_e64 v37, 0, v33, s[0:1]
	v_add_u32_e32 v32, v37, v32
	v_cmp_lt_u32_e64 s[4:5], 31, v32
	s_nop 1
	v_cndmask_b32_e64 v33, 0, v33, s[4:5]
	v_add_u32_e32 v37, v33, v32
	v_and_b32_e32 v32, 0x7fffff, v34
	v_or_b32_e32 v50, 0x800000, v32
	v_mad_u64_u32 v[32:33], s[6:7], v50, s6, 0
	v_mov_b32_e32 v38, v33
	s_mov_b32 s6, 0x3c439041
	v_mad_u64_u32 v[40:41], s[6:7], v50, s6, v[38:39]
	v_mov_b32_e32 v38, v41
	s_mov_b32 s6, 0xdb629599
	;; [unrolled: 3-line block ×6, first 2 shown]
	v_mad_u64_u32 v[38:39], s[6:7], v50, s6, v[38:39]
	v_cndmask_b32_e32 v33, v48, v44, vcc
	v_cndmask_b32_e32 v38, v38, v46, vcc
	;; [unrolled: 1-line block ×3, first 2 shown]
	v_cndmask_b32_e64 v41, v38, v33, s[0:1]
	v_cndmask_b32_e64 v38, v39, v38, s[0:1]
	v_cndmask_b32_e32 v39, v46, v42, vcc
	v_cndmask_b32_e64 v33, v33, v39, s[0:1]
	v_cndmask_b32_e64 v38, v38, v41, s[4:5]
	;; [unrolled: 1-line block ×3, first 2 shown]
	v_sub_u32_e32 v43, 32, v37
	v_alignbit_b32 v45, v38, v41, v43
	v_cmp_eq_u32_e64 s[6:7], 0, v37
	v_cndmask_b32_e32 v32, v42, v32, vcc
	s_nop 0
	v_cndmask_b32_e64 v37, v45, v38, s[6:7]
	v_cndmask_b32_e32 v38, v44, v40, vcc
	v_cndmask_b32_e64 v39, v39, v38, s[0:1]
	v_cndmask_b32_e64 v33, v33, v39, s[4:5]
	v_alignbit_b32 v40, v41, v33, v43
	v_cndmask_b32_e64 v40, v40, v41, s[6:7]
	v_bfe_u32 v45, v37, 29, 1
	v_cndmask_b32_e64 v32, v38, v32, s[0:1]
	v_alignbit_b32 v41, v37, v40, 30
	v_sub_u32_e32 v46, 0, v45
	v_cndmask_b32_e64 v32, v39, v32, s[4:5]
	v_xor_b32_e32 v41, v41, v46
	v_alignbit_b32 v38, v33, v32, v43
	v_cndmask_b32_e64 v33, v38, v33, s[6:7]
	v_ffbh_u32_e32 v39, v41
	v_alignbit_b32 v38, v40, v33, 30
	v_min_u32_e32 v39, 32, v39
	v_alignbit_b32 v32, v33, v32, 30
	v_xor_b32_e32 v38, v38, v46
	v_sub_u32_e32 v40, 31, v39
	v_xor_b32_e32 v32, v32, v46
	v_alignbit_b32 v41, v41, v38, v40
	v_alignbit_b32 v32, v38, v32, v40
	v_alignbit_b32 v33, v41, v32, 9
	v_ffbh_u32_e32 v38, v33
	v_min_u32_e32 v38, 32, v38
	v_lshrrev_b32_e32 v44, 29, v37
	v_not_b32_e32 v40, v38
	v_alignbit_b32 v32, v33, v32, v40
	v_lshlrev_b32_e32 v33, 31, v44
	v_or_b32_e32 v40, 0x33000000, v33
	v_add_lshl_u32 v38, v38, v39, 23
	v_lshrrev_b32_e32 v32, 9, v32
	v_sub_u32_e32 v38, v40, v38
	v_or_b32_e32 v33, 0.5, v33
	v_lshlrev_b32_e32 v39, 23, v39
	v_or_b32_e32 v32, v38, v32
	v_lshrrev_b32_e32 v38, 9, v41
	v_sub_u32_e32 v33, v33, v39
	v_or_b32_e32 v33, v38, v33
	s_mov_b32 s0, 0x3fc90fda
	v_mul_f32_e32 v38, 0x3fc90fda, v33
	v_fma_f32 v39, v33, s0, -v38
	v_fmamk_f32 v33, v33, 0x33a22168, v39
	v_fmac_f32_e32 v33, 0x3fc90fda, v32
	v_lshrrev_b32_e32 v32, 30, v37
	v_add_f32_e32 v42, v38, v33
	v_add_u32_e32 v43, v45, v32
	s_andn2_saveexec_b64 s[0:1], s[14:15]
	s_cbranch_execnz .LBB139_38
	s_branch .LBB139_39
.LBB139_37:
	s_andn2_saveexec_b64 s[0:1], s[14:15]
	s_cbranch_execz .LBB139_39
.LBB139_38:
	s_mov_b32 s4, 0x3f22f983
	v_mul_f32_e64 v32, |v3|, s4
	v_rndne_f32_e32 v32, v32
	s_mov_b32 s4, 0xbfc90fda
	v_cvt_i32_f32_e32 v43, v32
	v_fma_f32 v33, v32, s4, |v3|
	v_fmamk_f32 v33, v32, 0xb3a22168, v33
	v_fmamk_f32 v42, v32, 0xa7c234c4, v33
.LBB139_39:
	s_or_b64 exec, exec, s[0:1]
	v_mul_f32_e32 v32, 0.5, v5
	s_brev_b32 s0, 18
	v_and_b32_e32 v33, 0x7fffffff, v32
	v_cmp_nlt_f32_e64 s[0:1], |v32|, s0
                                        ; implicit-def: $vgpr38
                                        ; implicit-def: $vgpr37
	s_and_saveexec_b64 s[4:5], s[0:1]
	s_xor_b64 s[14:15], exec, s[4:5]
	s_cbranch_execz .LBB139_41
; %bb.40:
	v_lshrrev_b32_e32 v37, 23, v33
	v_add_u32_e32 v37, 0xffffff88, v37
	v_not_b32_e32 v38, 63
	v_cmp_lt_u32_e32 vcc, 63, v37
	s_mov_b32 s6, 0xfe5163ab
	v_mov_b32_e32 v41, 0
	v_cndmask_b32_e32 v38, 0, v38, vcc
	v_add_u32_e32 v37, v38, v37
	v_not_b32_e32 v38, 31
	v_cmp_lt_u32_e64 s[0:1], 31, v37
	s_nop 1
	v_cndmask_b32_e64 v39, 0, v38, s[0:1]
	v_add_u32_e32 v37, v39, v37
	v_cmp_lt_u32_e64 s[4:5], 31, v37
	s_nop 1
	v_cndmask_b32_e64 v38, 0, v38, s[4:5]
	v_add_u32_e32 v37, v38, v37
	v_and_b32_e32 v38, 0x7fffff, v33
	v_or_b32_e32 v54, 0x800000, v38
	v_mad_u64_u32 v[38:39], s[6:7], v54, s6, 0
	v_mov_b32_e32 v40, v39
	s_mov_b32 s6, 0x3c439041
	v_mad_u64_u32 v[44:45], s[6:7], v54, s6, v[40:41]
	v_mov_b32_e32 v40, v45
	s_mov_b32 s6, 0xdb629599
	;; [unrolled: 3-line block ×6, first 2 shown]
	v_mad_u64_u32 v[40:41], s[6:7], v54, s6, v[40:41]
	v_cndmask_b32_e32 v39, v52, v48, vcc
	v_cndmask_b32_e32 v40, v40, v50, vcc
	;; [unrolled: 1-line block ×3, first 2 shown]
	v_cndmask_b32_e64 v45, v40, v39, s[0:1]
	v_cndmask_b32_e64 v40, v41, v40, s[0:1]
	v_cndmask_b32_e32 v41, v50, v46, vcc
	v_cndmask_b32_e64 v39, v39, v41, s[0:1]
	v_sub_u32_e32 v47, 32, v37
	v_cmp_eq_u32_e64 s[6:7], 0, v37
	v_cndmask_b32_e32 v37, v48, v44, vcc
	v_cndmask_b32_e64 v40, v40, v45, s[4:5]
	v_cndmask_b32_e64 v45, v45, v39, s[4:5]
	;; [unrolled: 1-line block ×3, first 2 shown]
	v_alignbit_b32 v49, v40, v45, v47
	v_cndmask_b32_e64 v39, v39, v41, s[4:5]
	v_cndmask_b32_e64 v40, v49, v40, s[6:7]
	v_alignbit_b32 v44, v45, v39, v47
	v_cndmask_b32_e32 v38, v46, v38, vcc
	v_cndmask_b32_e64 v44, v44, v45, s[6:7]
	v_bfe_u32 v49, v40, 29, 1
	v_cndmask_b32_e64 v37, v37, v38, s[0:1]
	v_alignbit_b32 v45, v40, v44, 30
	v_sub_u32_e32 v50, 0, v49
	v_cndmask_b32_e64 v37, v41, v37, s[4:5]
	v_xor_b32_e32 v45, v45, v50
	v_alignbit_b32 v38, v39, v37, v47
	v_cndmask_b32_e64 v38, v38, v39, s[6:7]
	v_ffbh_u32_e32 v41, v45
	v_alignbit_b32 v39, v44, v38, 30
	v_min_u32_e32 v41, 32, v41
	v_alignbit_b32 v37, v38, v37, 30
	v_xor_b32_e32 v39, v39, v50
	v_sub_u32_e32 v44, 31, v41
	v_xor_b32_e32 v37, v37, v50
	v_alignbit_b32 v45, v45, v39, v44
	v_alignbit_b32 v37, v39, v37, v44
	v_alignbit_b32 v38, v45, v37, 9
	v_ffbh_u32_e32 v39, v38
	v_min_u32_e32 v39, 32, v39
	v_lshrrev_b32_e32 v48, 29, v40
	v_not_b32_e32 v44, v39
	v_alignbit_b32 v37, v38, v37, v44
	v_lshlrev_b32_e32 v38, 31, v48
	v_or_b32_e32 v44, 0x33000000, v38
	v_add_lshl_u32 v39, v39, v41, 23
	v_lshrrev_b32_e32 v37, 9, v37
	v_sub_u32_e32 v39, v44, v39
	v_or_b32_e32 v38, 0.5, v38
	v_lshlrev_b32_e32 v41, 23, v41
	v_or_b32_e32 v37, v39, v37
	v_lshrrev_b32_e32 v39, 9, v45
	v_sub_u32_e32 v38, v38, v41
	v_or_b32_e32 v38, v39, v38
	s_mov_b32 s0, 0x3fc90fda
	v_mul_f32_e32 v39, 0x3fc90fda, v38
	v_fma_f32 v41, v38, s0, -v39
	v_fmamk_f32 v38, v38, 0x33a22168, v41
	v_fmac_f32_e32 v38, 0x3fc90fda, v37
	v_add_f32_e32 v37, v39, v38
	v_lshrrev_b32_e32 v38, 30, v40
	v_add_u32_e32 v38, v49, v38
.LBB139_41:
	s_andn2_saveexec_b64 s[0:1], s[14:15]
	s_cbranch_execz .LBB139_43
; %bb.42:
	s_mov_b32 s4, 0x3f22f983
	v_mul_f32_e64 v37, |v32|, s4
	v_rndne_f32_e32 v37, v37
	s_mov_b32 s4, 0xbfc90fda
	v_cvt_i32_f32_e32 v38, v37
	v_fma_f32 v39, v37, s4, |v32|
	v_fmamk_f32 v39, v37, 0xb3a22168, v39
	v_fmamk_f32 v37, v37, 0xa7c234c4, v39
.LBB139_43:
	s_or_b64 exec, exec, s[0:1]
	v_and_b32_e32 v39, 0x7fffffff, v5
	s_brev_b32 s0, 18
	v_cmp_nlt_f32_e64 s[14:15], |v5|, s0
	v_lshrrev_b32_e32 v46, 23, v39
                                        ; implicit-def: $vgpr41
                                        ; implicit-def: $vgpr40
	s_and_saveexec_b64 s[0:1], s[14:15]
	s_xor_b64 s[16:17], exec, s[0:1]
	s_cbranch_execz .LBB139_45
; %bb.44:
	v_add_u32_e32 v40, 0xffffff88, v46
	v_not_b32_e32 v41, 63
	v_cmp_lt_u32_e32 vcc, 63, v40
	s_mov_b32 s6, 0xfe5163ab
	v_mov_b32_e32 v45, 0
	v_cndmask_b32_e32 v41, 0, v41, vcc
	v_add_u32_e32 v40, v41, v40
	v_not_b32_e32 v41, 31
	v_cmp_lt_u32_e64 s[0:1], 31, v40
	s_nop 1
	v_cndmask_b32_e64 v44, 0, v41, s[0:1]
	v_add_u32_e32 v40, v44, v40
	v_cmp_lt_u32_e64 s[4:5], 31, v40
	s_nop 1
	v_cndmask_b32_e64 v41, 0, v41, s[4:5]
	v_add_u32_e32 v47, v41, v40
	v_and_b32_e32 v40, 0x7fffff, v39
	v_or_b32_e32 v58, 0x800000, v40
	v_mad_u64_u32 v[40:41], s[6:7], v58, s6, 0
	v_mov_b32_e32 v44, v41
	s_mov_b32 s6, 0x3c439041
	v_mad_u64_u32 v[48:49], s[6:7], v58, s6, v[44:45]
	v_mov_b32_e32 v44, v49
	s_mov_b32 s6, 0xdb629599
	;; [unrolled: 3-line block ×6, first 2 shown]
	v_mad_u64_u32 v[44:45], s[6:7], v58, s6, v[44:45]
	v_cndmask_b32_e32 v41, v56, v52, vcc
	v_cndmask_b32_e32 v44, v44, v54, vcc
	;; [unrolled: 1-line block ×3, first 2 shown]
	v_cndmask_b32_e64 v49, v44, v41, s[0:1]
	v_cndmask_b32_e64 v44, v45, v44, s[0:1]
	v_cndmask_b32_e32 v45, v54, v50, vcc
	v_cndmask_b32_e64 v41, v41, v45, s[0:1]
	v_sub_u32_e32 v51, 32, v47
	v_cmp_eq_u32_e64 s[6:7], 0, v47
	v_cndmask_b32_e32 v47, v52, v48, vcc
	v_cndmask_b32_e64 v44, v44, v49, s[4:5]
	v_cndmask_b32_e64 v49, v49, v41, s[4:5]
	;; [unrolled: 1-line block ×3, first 2 shown]
	v_alignbit_b32 v53, v44, v49, v51
	v_cndmask_b32_e64 v41, v41, v45, s[4:5]
	v_cndmask_b32_e64 v44, v53, v44, s[6:7]
	v_alignbit_b32 v48, v49, v41, v51
	v_cndmask_b32_e32 v40, v50, v40, vcc
	v_cndmask_b32_e64 v48, v48, v49, s[6:7]
	v_bfe_u32 v53, v44, 29, 1
	v_cndmask_b32_e64 v40, v47, v40, s[0:1]
	v_alignbit_b32 v49, v44, v48, 30
	v_sub_u32_e32 v54, 0, v53
	v_cndmask_b32_e64 v40, v45, v40, s[4:5]
	v_xor_b32_e32 v49, v49, v54
	v_alignbit_b32 v45, v41, v40, v51
	v_cndmask_b32_e64 v41, v45, v41, s[6:7]
	v_ffbh_u32_e32 v47, v49
	v_alignbit_b32 v45, v48, v41, 30
	v_min_u32_e32 v47, 32, v47
	v_alignbit_b32 v40, v41, v40, 30
	v_xor_b32_e32 v45, v45, v54
	v_sub_u32_e32 v48, 31, v47
	v_xor_b32_e32 v40, v40, v54
	v_alignbit_b32 v49, v49, v45, v48
	v_alignbit_b32 v40, v45, v40, v48
	v_alignbit_b32 v41, v49, v40, 9
	v_ffbh_u32_e32 v45, v41
	v_min_u32_e32 v45, 32, v45
	v_lshrrev_b32_e32 v52, 29, v44
	v_not_b32_e32 v48, v45
	v_alignbit_b32 v40, v41, v40, v48
	v_lshlrev_b32_e32 v41, 31, v52
	v_or_b32_e32 v48, 0x33000000, v41
	v_add_lshl_u32 v45, v45, v47, 23
	v_lshrrev_b32_e32 v40, 9, v40
	v_sub_u32_e32 v45, v48, v45
	v_or_b32_e32 v41, 0.5, v41
	v_lshlrev_b32_e32 v47, 23, v47
	v_or_b32_e32 v40, v45, v40
	v_lshrrev_b32_e32 v45, 9, v49
	v_sub_u32_e32 v41, v41, v47
	v_or_b32_e32 v41, v45, v41
	s_mov_b32 s0, 0x3fc90fda
	v_mul_f32_e32 v45, 0x3fc90fda, v41
	v_fma_f32 v47, v41, s0, -v45
	v_fmamk_f32 v41, v41, 0x33a22168, v47
	v_fmac_f32_e32 v41, 0x3fc90fda, v40
	v_add_f32_e32 v40, v45, v41
	v_lshrrev_b32_e32 v41, 30, v44
	v_add_u32_e32 v41, v53, v41
	s_andn2_saveexec_b64 s[0:1], s[16:17]
	s_cbranch_execz .LBB139_47
	s_branch .LBB139_46
.LBB139_45:
	s_andn2_saveexec_b64 s[0:1], s[16:17]
	s_cbranch_execz .LBB139_47
.LBB139_46:
	s_mov_b32 s4, 0x3f22f983
	v_mul_f32_e64 v40, |v5|, s4
	v_rndne_f32_e32 v40, v40
	s_mov_b32 s4, 0xbfc90fda
	v_cvt_i32_f32_e32 v41, v40
	v_fma_f32 v44, v40, s4, |v5|
	v_fmamk_f32 v44, v40, 0xb3a22168, v44
	v_fmamk_f32 v40, v40, 0xa7c234c4, v44
.LBB139_47:
	s_or_b64 exec, exec, s[0:1]
                                        ; implicit-def: $vgpr44
                                        ; implicit-def: $vgpr45
	s_and_saveexec_b64 s[0:1], s[14:15]
	s_xor_b64 s[14:15], exec, s[0:1]
	s_cbranch_execz .LBB139_49
; %bb.48:
	v_add_u32_e32 v44, 0xffffff88, v46
	v_not_b32_e32 v45, 63
	v_cmp_lt_u32_e32 vcc, 63, v44
	s_mov_b32 s6, 0xfe5163ab
	v_mov_b32_e32 v47, 0
	v_cndmask_b32_e32 v45, 0, v45, vcc
	v_add_u32_e32 v44, v45, v44
	v_not_b32_e32 v45, 31
	v_cmp_lt_u32_e64 s[0:1], 31, v44
	s_nop 1
	v_cndmask_b32_e64 v46, 0, v45, s[0:1]
	v_add_u32_e32 v44, v46, v44
	v_cmp_lt_u32_e64 s[4:5], 31, v44
	s_nop 1
	v_cndmask_b32_e64 v45, 0, v45, s[4:5]
	v_add_u32_e32 v58, v45, v44
	v_and_b32_e32 v44, 0x7fffff, v39
	v_or_b32_e32 v59, 0x800000, v44
	v_mad_u64_u32 v[44:45], s[6:7], v59, s6, 0
	v_mov_b32_e32 v46, v45
	s_mov_b32 s6, 0x3c439041
	v_mad_u64_u32 v[48:49], s[6:7], v59, s6, v[46:47]
	v_mov_b32_e32 v46, v49
	s_mov_b32 s6, 0xdb629599
	;; [unrolled: 3-line block ×6, first 2 shown]
	v_mad_u64_u32 v[46:47], s[6:7], v59, s6, v[46:47]
	v_cndmask_b32_e32 v45, v56, v52, vcc
	v_cndmask_b32_e32 v46, v46, v54, vcc
	;; [unrolled: 1-line block ×3, first 2 shown]
	v_cndmask_b32_e64 v49, v46, v45, s[0:1]
	v_cndmask_b32_e64 v46, v47, v46, s[0:1]
	v_cndmask_b32_e32 v47, v54, v50, vcc
	v_cndmask_b32_e64 v45, v45, v47, s[0:1]
	v_cndmask_b32_e32 v48, v52, v48, vcc
	v_cndmask_b32_e64 v46, v46, v49, s[4:5]
	v_cndmask_b32_e64 v49, v49, v45, s[4:5]
	v_sub_u32_e32 v51, 32, v58
	v_cndmask_b32_e64 v47, v47, v48, s[0:1]
	v_alignbit_b32 v53, v46, v49, v51
	v_cmp_eq_u32_e64 s[6:7], 0, v58
	v_cndmask_b32_e64 v45, v45, v47, s[4:5]
	v_alignbit_b32 v52, v49, v45, v51
	v_cndmask_b32_e64 v46, v53, v46, s[6:7]
	v_cndmask_b32_e32 v44, v50, v44, vcc
	v_cndmask_b32_e64 v49, v52, v49, s[6:7]
	v_bfe_u32 v54, v46, 29, 1
	v_cndmask_b32_e64 v44, v48, v44, s[0:1]
	v_alignbit_b32 v52, v46, v49, 30
	v_sub_u32_e32 v55, 0, v54
	v_cndmask_b32_e64 v44, v47, v44, s[4:5]
	v_xor_b32_e32 v52, v52, v55
	v_alignbit_b32 v47, v45, v44, v51
	v_cndmask_b32_e64 v45, v47, v45, s[6:7]
	v_ffbh_u32_e32 v48, v52
	v_alignbit_b32 v47, v49, v45, 30
	v_min_u32_e32 v48, 32, v48
	v_alignbit_b32 v44, v45, v44, 30
	v_xor_b32_e32 v47, v47, v55
	v_sub_u32_e32 v49, 31, v48
	v_xor_b32_e32 v44, v44, v55
	v_alignbit_b32 v50, v52, v47, v49
	v_alignbit_b32 v44, v47, v44, v49
	;; [unrolled: 1-line block ×3, first 2 shown]
	v_ffbh_u32_e32 v47, v45
	v_min_u32_e32 v47, 32, v47
	v_lshrrev_b32_e32 v53, 29, v46
	v_not_b32_e32 v49, v47
	v_alignbit_b32 v44, v45, v44, v49
	v_lshlrev_b32_e32 v45, 31, v53
	v_or_b32_e32 v49, 0x33000000, v45
	v_add_lshl_u32 v47, v47, v48, 23
	v_lshrrev_b32_e32 v44, 9, v44
	v_sub_u32_e32 v47, v49, v47
	v_or_b32_e32 v45, 0.5, v45
	v_lshlrev_b32_e32 v48, 23, v48
	v_or_b32_e32 v44, v47, v44
	v_lshrrev_b32_e32 v47, 9, v50
	v_sub_u32_e32 v45, v45, v48
	v_or_b32_e32 v45, v47, v45
	s_mov_b32 s0, 0x3fc90fda
	v_mul_f32_e32 v47, 0x3fc90fda, v45
	v_fma_f32 v48, v45, s0, -v47
	v_fmamk_f32 v45, v45, 0x33a22168, v48
	v_fmac_f32_e32 v45, 0x3fc90fda, v44
	v_lshrrev_b32_e32 v44, 30, v46
	v_add_f32_e32 v45, v47, v45
	v_add_u32_e32 v44, v54, v44
	s_andn2_saveexec_b64 s[0:1], s[14:15]
	s_cbranch_execnz .LBB139_50
	s_branch .LBB139_51
.LBB139_49:
	s_andn2_saveexec_b64 s[0:1], s[14:15]
	s_cbranch_execz .LBB139_51
.LBB139_50:
	s_mov_b32 s4, 0x3f22f983
	v_mul_f32_e64 v44, |v5|, s4
	v_rndne_f32_e32 v45, v44
	s_mov_b32 s4, 0xbfc90fda
	v_cvt_i32_f32_e32 v44, v45
	v_fma_f32 v46, v45, s4, |v5|
	v_fmamk_f32 v46, v45, 0xb3a22168, v46
	v_fmamk_f32 v45, v45, 0xa7c234c4, v46
.LBB139_51:
	s_or_b64 exec, exec, s[0:1]
	v_mul_f32_e32 v46, 0x3fb8aa3b, v2
	s_mov_b32 s6, 0x3fb8aa3b
	v_rndne_f32_e32 v47, v46
	v_sub_f32_e32 v48, v46, v47
	v_fma_f32 v46, v2, s6, -v46
	v_fmac_f32_e32 v46, 0x32a5705f, v2
	v_mul_f32_e32 v51, v42, v42
	v_mov_b32_e32 v52, 0x3c0881c4
	v_add_f32_e32 v46, v48, v46
	v_fmamk_f32 v53, v51, 0xb94c1982, v52
	v_exp_f32_e32 v46, v46
	v_cvt_i32_f32_e32 v48, v47
	v_fmaak_f32 v53, v51, v53, 0xbe2aaa9d
	v_mul_f32_e32 v53, v51, v53
	v_fmac_f32_e32 v42, v42, v53
	v_mov_b32_e32 v53, 0xbab64f3b
	s_mov_b32 s7, 0xc2ce8ed0
	v_fmamk_f32 v55, v51, 0x37d75334, v53
	v_ldexp_f32 v46, v46, v48
	v_cmp_ngt_f32_e32 vcc, s7, v2
	s_mov_b32 s14, 0x42b17218
	v_fmaak_f32 v55, v51, v55, 0x3d2aabf7
	v_cndmask_b32_e32 v46, 0, v46, vcc
	v_mov_b32_e32 v49, 0x7f800000
	v_cmp_nlt_f32_e32 vcc, s14, v2
	v_lshlrev_b32_e32 v50, 30, v43
	v_and_b32_e32 v43, 1, v43
	v_fmaak_f32 v55, v51, v55, 0xbf000004
	v_cndmask_b32_e32 v46, v49, v46, vcc
	v_fma_f32 v51, v51, v55, 1.0
	v_cmp_eq_u32_e32 vcc, 0, v43
	s_brev_b32 s4, 1
	v_bitop3_b32 v34, v34, v50, s4 bitop3:0x78
	v_cndmask_b32_e32 v42, v51, v42, vcc
	s_movk_i32 s5, 0x1f8
	v_xor_b32_e32 v34, v34, v42
	v_xor_b32_e32 v34, v34, v3
	v_cmp_class_f32_e64 vcc, v3, s5
	s_mov_b32 s15, 0x43000000
	v_ldexp_f32 v3, 1.0, v48
	v_fmamk_f32 v48, v47, 0xbf317218, v2
	v_cmp_eq_f32_e64 s[0:1], s15, v47
	v_fmac_f32_e32 v48, 0x3102e308, v47
	v_mov_b32_e32 v47, 0x3ab69700
	v_fmamk_f32 v50, v48, 0x395133b1, v47
	v_fmaak_f32 v50, v48, v50, 0x3c0887f9
	v_fmaak_f32 v50, v48, v50, 0x3d2aaa81
	;; [unrolled: 1-line block ×3, first 2 shown]
	v_mov_b32_e32 v43, 0x7f000000
	v_fma_f32 v50, v48, v50, 0.5
	v_cndmask_b32_e64 v3, v3, v43, s[0:1]
	v_mul_f32_e32 v50, v48, v50
	v_fmac_f32_e32 v48, v48, v50
	v_add_f32_e32 v50, -1.0, v3
	v_fmac_f32_e32 v50, v3, v48
	v_add_f32_e32 v3, v50, v50
	v_mul_f32_e32 v48, v35, v35
	v_cndmask_b32_e64 v3, v50, v3, s[0:1]
	v_fmamk_f32 v50, v48, 0x37d75334, v53
	s_mov_b32 s16, 0x42b17217
	v_fmaak_f32 v50, v48, v50, 0x3d2aabf7
	v_fmamk_f32 v58, v48, 0xb94c1982, v52
	v_cmp_nlt_f32_e64 s[0:1], s16, v2
	s_mov_b32 s17, 0xc1880000
	v_fmaak_f32 v50, v48, v50, 0xbf000004
	v_fmaak_f32 v58, v48, v58, 0xbe2aaa9d
	v_cndmask_b32_e64 v3, v49, v3, s[0:1]
	v_cmp_ngt_f32_e64 s[0:1], s17, v2
	v_fma_f32 v50, v48, v50, 1.0
	v_mul_f32_e32 v48, v48, v58
	v_cndmask_b32_e64 v59, -1.0, v3, s[0:1]
	v_and_b32_e32 v3, 1, v36
	v_fmac_f32_e32 v35, v35, v48
	v_cmp_eq_u32_e64 s[0:1], 0, v3
	v_lshlrev_b32_e32 v2, 30, v36
	v_mov_b32_e32 v42, 0x7fc00000
	v_cndmask_b32_e64 v3, -v35, v50, s[0:1]
	v_bitop3_b32 v2, v2, v3, s4 bitop3:0x6c
	v_lshlrev_b32_e32 v3, 30, v31
	v_cndmask_b32_e32 v35, v42, v2, vcc
	v_xor_b32_e32 v2, v29, v28
	v_and_b32_e32 v3, 0x80000000, v3
	v_mul_f32_e32 v29, v30, v30
	v_xor_b32_e32 v2, v2, v3
	v_and_b32_e32 v3, 1, v31
	v_fmamk_f32 v31, v29, 0xb94c1982, v52
	v_fmaak_f32 v31, v29, v31, 0xbe2aaa9d
	v_mul_f32_e32 v31, v29, v31
	v_fmac_f32_e32 v30, v30, v31
	v_fmamk_f32 v31, v29, 0x37d75334, v53
	v_fmaak_f32 v31, v29, v31, 0x3d2aabf7
	v_fmaak_f32 v31, v29, v31, 0xbf000004
	v_cndmask_b32_e32 v34, v42, v34, vcc
	v_fma_f32 v29, v29, v31, 1.0
	v_cmp_eq_u32_e32 vcc, 0, v3
	v_mul_f32_e32 v31, v26, v26
	v_fmamk_f32 v36, v31, 0xb94c1982, v52
	v_cndmask_b32_e32 v3, v29, v30, vcc
	v_xor_b32_e32 v2, v2, v3
	v_mul_f32_e32 v3, 0x3fb8aa3b, v8
	v_rndne_f32_e32 v29, v3
	v_sub_f32_e32 v30, v3, v29
	v_fma_f32 v3, v8, s6, -v3
	v_fmac_f32_e32 v3, 0x32a5705f, v8
	v_add_f32_e32 v3, v30, v3
	v_exp_f32_e32 v3, v3
	v_cvt_i32_f32_e32 v30, v29
	v_cmp_class_f32_e64 vcc, v28, s5
	v_fmaak_f32 v36, v31, v36, 0xbe2aaa9d
	v_mul_f32_e32 v36, v31, v36
	v_cndmask_b32_e32 v2, v42, v2, vcc
	v_add_f32_e32 v28, v2, v2
	v_mul_f32_e32 v28, v2, v28
	v_ldexp_f32 v2, v3, v30
	v_cmp_ngt_f32_e32 vcc, s7, v8
	v_fmac_f32_e32 v26, v26, v36
	v_fmamk_f32 v36, v31, 0x37d75334, v53
	v_cndmask_b32_e32 v2, 0, v2, vcc
	v_cmp_nlt_f32_e32 vcc, s14, v8
	v_fmaak_f32 v36, v31, v36, 0x3d2aabf7
	v_fmaak_f32 v36, v31, v36, 0xbf000004
	v_cndmask_b32_e32 v3, v49, v2, vcc
	v_lshlrev_b32_e32 v2, 30, v27
	v_and_b32_e32 v27, 1, v27
	v_fma_f32 v31, v31, v36, 1.0
	v_cmp_eq_u32_e32 vcc, 0, v27
	v_bitop3_b32 v2, v23, v2, s4 bitop3:0x78
	v_fmamk_f32 v23, v29, 0xbf317218, v8
	v_cndmask_b32_e32 v26, v31, v26, vcc
	v_fmac_f32_e32 v23, 0x3102e308, v29
	v_xor_b32_e32 v2, v2, v26
	v_fmamk_f32 v26, v23, 0x395133b1, v47
	v_fmaak_f32 v26, v23, v26, 0x3c0887f9
	v_fmaak_f32 v26, v23, v26, 0x3d2aaa81
	v_xor_b32_e32 v2, v2, v9
	v_cmp_class_f32_e64 vcc, v9, s5
	v_fmaak_f32 v26, v23, v26, 0x3e2aaaab
	v_cmp_eq_f32_e64 s[0:1], s15, v29
	v_cndmask_b32_e32 v9, v42, v2, vcc
	v_ldexp_f32 v2, 1.0, v30
	v_fma_f32 v26, v23, v26, 0.5
	v_cndmask_b32_e64 v2, v2, v43, s[0:1]
	v_mul_f32_e32 v26, v23, v26
	v_fmac_f32_e32 v23, v23, v26
	v_add_f32_e32 v26, -1.0, v2
	v_fmac_f32_e32 v26, v2, v23
	v_add_f32_e32 v2, v26, v26
	v_cndmask_b32_e64 v2, v26, v2, s[0:1]
	v_cmp_nlt_f32_e64 s[0:1], s16, v8
	v_and_b32_e32 v23, 1, v25
	v_xor_b32_e32 v20, v20, v19
	v_cndmask_b32_e64 v2, v49, v2, s[0:1]
	v_cmp_ngt_f32_e64 s[0:1], s17, v8
	v_lshlrev_b32_e32 v8, 30, v25
	v_mul_f32_e32 v25, v24, v24
	v_fmamk_f32 v26, v25, 0x37d75334, v53
	v_fmaak_f32 v26, v25, v26, 0x3d2aabf7
	v_fmamk_f32 v27, v25, 0xb94c1982, v52
	v_fmaak_f32 v26, v25, v26, 0xbf000004
	v_fmaak_f32 v27, v25, v27, 0xbe2aaa9d
	v_fma_f32 v26, v25, v26, 1.0
	v_mul_f32_e32 v25, v25, v27
	v_cndmask_b32_e64 v2, -1.0, v2, s[0:1]
	v_fmac_f32_e32 v24, v24, v25
	v_cmp_eq_u32_e64 s[0:1], 0, v23
	v_mov_b32_e32 v51, 0x3c0887f9
	v_mov_b32_e32 v55, 0x3d2aaa81
	v_cndmask_b32_e64 v23, -v24, v26, s[0:1]
	v_bitop3_b32 v8, v8, v23, s4 bitop3:0x6c
	v_lshlrev_b32_e32 v23, 30, v22
	v_and_b32_e32 v23, 0x80000000, v23
	v_xor_b32_e32 v20, v20, v23
	v_mul_f32_e32 v23, v21, v21
	v_fmamk_f32 v24, v23, 0xb94c1982, v52
	v_fmaak_f32 v24, v23, v24, 0xbe2aaa9d
	v_mul_f32_e32 v24, v23, v24
	v_fmac_f32_e32 v21, v21, v24
	v_fmamk_f32 v24, v23, 0x37d75334, v53
	v_fmaak_f32 v24, v23, v24, 0x3d2aabf7
	v_and_b32_e32 v22, 1, v22
	v_fmaak_f32 v24, v23, v24, 0xbf000004
	v_cndmask_b32_e32 v8, v42, v8, vcc
	v_fma_f32 v23, v23, v24, 1.0
	v_cmp_eq_u32_e32 vcc, 0, v22
	v_mul_f32_e32 v24, v17, v17
	v_fmamk_f32 v25, v24, 0xb94c1982, v52
	v_cndmask_b32_e32 v21, v23, v21, vcc
	v_xor_b32_e32 v20, v20, v21
	v_mul_f32_e32 v21, 0x3fb8aa3b, v6
	v_rndne_f32_e32 v22, v21
	v_sub_f32_e32 v23, v21, v22
	v_fma_f32 v21, v6, s6, -v21
	v_fmac_f32_e32 v21, 0x32a5705f, v6
	v_add_f32_e32 v21, v23, v21
	v_exp_f32_e32 v21, v21
	v_cvt_i32_f32_e32 v23, v22
	v_cmp_class_f32_e64 vcc, v19, s5
	v_fmaak_f32 v25, v24, v25, 0xbe2aaa9d
	v_mul_f32_e32 v25, v24, v25
	v_cndmask_b32_e32 v19, v42, v20, vcc
	v_add_f32_e32 v20, v19, v19
	v_fmac_f32_e32 v17, v17, v25
	v_fmamk_f32 v25, v24, 0x37d75334, v53
	v_mul_f32_e32 v19, v19, v20
	v_ldexp_f32 v20, v21, v23
	v_cmp_ngt_f32_e32 vcc, s7, v6
	v_fmaak_f32 v25, v24, v25, 0x3d2aabf7
	v_lshlrev_b32_e32 v21, 30, v18
	v_cndmask_b32_e32 v20, 0, v20, vcc
	v_cmp_nlt_f32_e32 vcc, s14, v6
	v_and_b32_e32 v18, 1, v18
	v_fmaak_f32 v25, v24, v25, 0xbf000004
	v_cndmask_b32_e32 v20, v49, v20, vcc
	v_fma_f32 v24, v24, v25, 1.0
	v_cmp_eq_u32_e32 vcc, 0, v18
	v_bitop3_b32 v11, v11, v21, s4 bitop3:0x78
	v_cmp_eq_f32_e64 s[0:1], s15, v22
	v_cndmask_b32_e32 v17, v24, v17, vcc
	v_xor_b32_e32 v11, v11, v17
	v_xor_b32_e32 v11, v11, v7
	v_cmp_class_f32_e64 vcc, v7, s5
	v_ldexp_f32 v7, 1.0, v23
	v_cndmask_b32_e64 v7, v7, v43, s[0:1]
	v_cndmask_b32_e32 v17, v42, v11, vcc
	v_fmamk_f32 v11, v22, 0xbf317218, v6
	v_fmac_f32_e32 v11, 0x3102e308, v22
	v_fmamk_f32 v18, v11, 0x395133b1, v47
	v_fmaak_f32 v18, v11, v18, 0x3c0887f9
	v_fmaak_f32 v18, v11, v18, 0x3d2aaa81
	;; [unrolled: 1-line block ×3, first 2 shown]
	v_fma_f32 v18, v11, v18, 0.5
	v_mul_f32_e32 v18, v11, v18
	v_fmac_f32_e32 v11, v11, v18
	v_add_f32_e32 v18, -1.0, v7
	v_fmac_f32_e32 v18, v7, v11
	v_add_f32_e32 v7, v18, v18
	v_cndmask_b32_e64 v7, v18, v7, s[0:1]
	v_cmp_nlt_f32_e64 s[0:1], s16, v6
	v_mul_f32_e32 v11, v15, v15
	v_fmamk_f32 v21, v11, 0xb94c1982, v52
	v_cndmask_b32_e64 v7, v49, v7, s[0:1]
	v_cmp_ngt_f32_e64 s[0:1], s17, v6
	v_lshlrev_b32_e32 v6, 30, v16
	v_fmaak_f32 v21, v11, v21, 0xbe2aaa9d
	v_cndmask_b32_e64 v18, -1.0, v7, s[0:1]
	v_and_b32_e32 v7, 1, v16
	v_fmamk_f32 v16, v11, 0x37d75334, v53
	v_fmaak_f32 v16, v11, v16, 0x3d2aabf7
	v_fmaak_f32 v16, v11, v16, 0xbf000004
	v_fma_f32 v16, v11, v16, 1.0
	v_mul_f32_e32 v11, v11, v21
	v_fmac_f32_e32 v15, v15, v11
	v_cmp_eq_u32_e64 s[0:1], 0, v7
	v_mul_f32_e32 v11, v13, v13
	v_mov_b32_e32 v58, 0x3e2aaaab
	v_cndmask_b32_e64 v7, -v15, v16, s[0:1]
	v_bitop3_b32 v6, v6, v7, s4 bitop3:0x6c
	v_cndmask_b32_e32 v15, v42, v6, vcc
	v_xor_b32_e32 v6, v12, v1
	v_fmamk_f32 v12, v11, 0xb94c1982, v52
	v_fmaak_f32 v12, v11, v12, 0xbe2aaa9d
	v_mul_f32_e32 v12, v11, v12
	v_lshlrev_b32_e32 v7, 30, v14
	v_fmac_f32_e32 v13, v13, v12
	v_fmamk_f32 v12, v11, 0x37d75334, v53
	v_and_b32_e32 v7, 0x80000000, v7
	v_fmaak_f32 v12, v11, v12, 0x3d2aabf7
	v_xor_b32_e32 v6, v6, v7
	v_and_b32_e32 v7, 1, v14
	v_fmaak_f32 v12, v11, v12, 0xbf000004
	v_fma_f32 v11, v11, v12, 1.0
	v_cmp_eq_u32_e32 vcc, 0, v7
	v_mov_b32_e32 v54, 0xbe2aaa9d
	v_mov_b32_e32 v56, 0x3d2aabf7
	v_cndmask_b32_e32 v7, v11, v13, vcc
	v_xor_b32_e32 v6, v6, v7
	v_mul_f32_e32 v7, 0x3fb8aa3b, v4
	v_rndne_f32_e32 v11, v7
	v_sub_f32_e32 v12, v7, v11
	v_fma_f32 v7, v4, s6, -v7
	v_fmac_f32_e32 v7, 0x32a5705f, v4
	v_add_f32_e32 v7, v12, v7
	v_exp_f32_e32 v7, v7
	v_cvt_i32_f32_e32 v12, v11
	v_cmp_class_f32_e64 vcc, v1, s5
	v_mov_b32_e32 v57, 0xbf000004
	s_nop 0
	v_cndmask_b32_e32 v1, v42, v6, vcc
	v_add_f32_e32 v6, v1, v1
	v_mul_f32_e32 v1, v1, v6
	v_ldexp_f32 v6, v7, v12
	v_fmamk_f32 v7, v11, 0xbf317218, v4
	v_fmac_f32_e32 v7, 0x3102e308, v11
	v_fmac_f32_e32 v47, 0x395133b1, v7
	;; [unrolled: 1-line block ×3, first 2 shown]
	v_cmp_ngt_f32_e32 vcc, s7, v4
	v_fmac_f32_e32 v55, v7, v51
	v_fmac_f32_e32 v58, v7, v55
	v_cndmask_b32_e32 v6, 0, v6, vcc
	v_cmp_nlt_f32_e32 vcc, s14, v4
	s_nop 1
	v_cndmask_b32_e32 v13, v49, v6, vcc
	v_ldexp_f32 v6, 1.0, v12
	v_cmp_eq_f32_e32 vcc, s15, v11
	v_fma_f32 v11, v7, v58, 0.5
	v_mul_f32_e32 v11, v7, v11
	v_cndmask_b32_e32 v6, v6, v43, vcc
	v_fmac_f32_e32 v7, v7, v11
	v_add_f32_e32 v11, -1.0, v6
	v_fmac_f32_e32 v11, v6, v7
	v_add_f32_e32 v6, v11, v11
	v_mul_f32_e32 v7, v40, v40
	v_cndmask_b32_e32 v6, v11, v6, vcc
	v_fmamk_f32 v11, v7, 0x37d75334, v53
	v_cmp_nlt_f32_e32 vcc, s16, v4
	v_fmaak_f32 v11, v7, v11, 0x3d2aabf7
	v_fmamk_f32 v14, v7, 0xb94c1982, v52
	v_cndmask_b32_e32 v6, v49, v6, vcc
	v_cmp_ngt_f32_e32 vcc, s17, v4
	v_fmaak_f32 v11, v7, v11, 0xbf000004
	v_fmaak_f32 v14, v7, v14, 0xbe2aaa9d
	v_cndmask_b32_e32 v12, -1.0, v6, vcc
	v_and_b32_e32 v6, 1, v41
	v_fma_f32 v11, v7, v11, 1.0
	v_mul_f32_e32 v7, v7, v14
	v_fmac_f32_e32 v40, v40, v7
	v_cmp_eq_u32_e32 vcc, 0, v6
	v_mul_f32_e32 v7, v37, v37
	v_lshlrev_b32_e32 v4, 30, v41
	v_cndmask_b32_e64 v6, -v40, v11, vcc
	v_fmamk_f32 v11, v7, 0xb94c1982, v52
	v_fmaak_f32 v11, v7, v11, 0xbe2aaa9d
	v_mul_f32_e32 v11, v7, v11
	v_bitop3_b32 v4, v4, v6, s4 bitop3:0x6c
	v_cmp_class_f32_e64 vcc, v5, s5
	v_lshlrev_b32_e32 v6, 30, v38
	v_fmac_f32_e32 v37, v37, v11
	v_fmamk_f32 v11, v7, 0x37d75334, v53
	v_cndmask_b32_e32 v14, v42, v4, vcc
	v_xor_b32_e32 v4, v33, v32
	v_and_b32_e32 v6, 0x80000000, v6
	v_fmaak_f32 v11, v7, v11, 0x3d2aabf7
	v_xor_b32_e32 v4, v4, v6
	v_and_b32_e32 v6, 1, v38
	v_fmaak_f32 v11, v7, v11, 0xbf000004
	v_fma_f32 v7, v7, v11, 1.0
	v_cmp_eq_u32_e64 s[0:1], 0, v6
	v_mov_b32_e32 v11, 0
	s_nop 0
	v_cndmask_b32_e64 v6, v7, v37, s[0:1]
	v_xor_b32_e32 v4, v4, v6
	v_cmp_class_f32_e64 s[0:1], v32, s5
	s_nop 1
	v_cndmask_b32_e64 v4, v42, v4, s[0:1]
	v_add_f32_e32 v6, v4, v4
	v_mul_f32_e32 v16, v4, v6
	v_mul_f32_e32 v4, v45, v45
	v_fmac_f32_e32 v52, 0xb94c1982, v4
	v_fmac_f32_e32 v54, v4, v52
	;; [unrolled: 1-line block ×3, first 2 shown]
	v_mul_f32_e32 v6, v4, v54
	v_fmac_f32_e32 v56, v4, v53
	v_fmac_f32_e32 v45, v45, v6
	;; [unrolled: 1-line block ×3, first 2 shown]
	v_and_b32_e32 v6, 1, v44
	v_fma_f32 v4, v4, v57, 1.0
	v_cmp_eq_u32_e64 s[0:1], 0, v6
	v_lshlrev_b32_e32 v6, 30, v44
	v_bitop3_b32 v6, v39, v6, s4 bitop3:0x78
	v_cndmask_b32_e64 v4, v4, v45, s[0:1]
	s_add_u32 s0, s8, s12
	v_xor_b32_e32 v4, v6, v4
	s_addc_u32 s1, s9, s13
	v_xor_b32_e32 v4, v4, v5
	v_lshl_add_u64 v[6:7], s[0:1], 0, v[10:11]
	v_cndmask_b32_e32 v21, v42, v4, vcc
	v_fma_f32 v4, v2, v8, -v19
	v_fma_f32 v2, v18, v15, -v1
	v_mul_f32_e32 v5, v3, v9
	v_mul_f32_e32 v3, v20, v17
	v_add_co_u32_e32 v6, vcc, 0x1000, v6
	global_store_dwordx4 v10, v[2:5], s[0:1]
	s_nop 0
	v_addc_co_u32_e32 v7, vcc, 0, v7, vcc
	v_fma_f32 v4, v12, v14, -v16
	v_fma_f32 v2, v59, v35, -v28
	v_mul_f32_e32 v5, v13, v21
	v_mul_f32_e32 v3, v46, v34
	global_store_dwordx4 v[6:7], v[2:5], off
.LBB139_52:
	s_endpgm
	.section	.rodata,"a",@progbits
	.p2align	6, 0x0
	.amdhsa_kernel _ZN2at6native29vectorized_elementwise_kernelILi2EZZZNS0_17expm1_kernel_cudaERNS_18TensorIteratorBaseEENKUlvE_clEvENKUlvE2_clEvEUlN3c107complexIfEEE_St5arrayIPcLm2EEEEviT0_T1_
		.amdhsa_group_segment_fixed_size 0
		.amdhsa_private_segment_fixed_size 0
		.amdhsa_kernarg_size 24
		.amdhsa_user_sgpr_count 2
		.amdhsa_user_sgpr_dispatch_ptr 0
		.amdhsa_user_sgpr_queue_ptr 0
		.amdhsa_user_sgpr_kernarg_segment_ptr 1
		.amdhsa_user_sgpr_dispatch_id 0
		.amdhsa_user_sgpr_kernarg_preload_length 0
		.amdhsa_user_sgpr_kernarg_preload_offset 0
		.amdhsa_user_sgpr_private_segment_size 0
		.amdhsa_uses_dynamic_stack 0
		.amdhsa_enable_private_segment 0
		.amdhsa_system_sgpr_workgroup_id_x 1
		.amdhsa_system_sgpr_workgroup_id_y 0
		.amdhsa_system_sgpr_workgroup_id_z 0
		.amdhsa_system_sgpr_workgroup_info 0
		.amdhsa_system_vgpr_workitem_id 0
		.amdhsa_next_free_vgpr 60
		.amdhsa_next_free_sgpr 33
		.amdhsa_accum_offset 60
		.amdhsa_reserve_vcc 1
		.amdhsa_float_round_mode_32 0
		.amdhsa_float_round_mode_16_64 0
		.amdhsa_float_denorm_mode_32 3
		.amdhsa_float_denorm_mode_16_64 3
		.amdhsa_dx10_clamp 1
		.amdhsa_ieee_mode 1
		.amdhsa_fp16_overflow 0
		.amdhsa_tg_split 0
		.amdhsa_exception_fp_ieee_invalid_op 0
		.amdhsa_exception_fp_denorm_src 0
		.amdhsa_exception_fp_ieee_div_zero 0
		.amdhsa_exception_fp_ieee_overflow 0
		.amdhsa_exception_fp_ieee_underflow 0
		.amdhsa_exception_fp_ieee_inexact 0
		.amdhsa_exception_int_div_zero 0
	.end_amdhsa_kernel
	.section	.text._ZN2at6native29vectorized_elementwise_kernelILi2EZZZNS0_17expm1_kernel_cudaERNS_18TensorIteratorBaseEENKUlvE_clEvENKUlvE2_clEvEUlN3c107complexIfEEE_St5arrayIPcLm2EEEEviT0_T1_,"axG",@progbits,_ZN2at6native29vectorized_elementwise_kernelILi2EZZZNS0_17expm1_kernel_cudaERNS_18TensorIteratorBaseEENKUlvE_clEvENKUlvE2_clEvEUlN3c107complexIfEEE_St5arrayIPcLm2EEEEviT0_T1_,comdat
.Lfunc_end139:
	.size	_ZN2at6native29vectorized_elementwise_kernelILi2EZZZNS0_17expm1_kernel_cudaERNS_18TensorIteratorBaseEENKUlvE_clEvENKUlvE2_clEvEUlN3c107complexIfEEE_St5arrayIPcLm2EEEEviT0_T1_, .Lfunc_end139-_ZN2at6native29vectorized_elementwise_kernelILi2EZZZNS0_17expm1_kernel_cudaERNS_18TensorIteratorBaseEENKUlvE_clEvENKUlvE2_clEvEUlN3c107complexIfEEE_St5arrayIPcLm2EEEEviT0_T1_
                                        ; -- End function
	.set _ZN2at6native29vectorized_elementwise_kernelILi2EZZZNS0_17expm1_kernel_cudaERNS_18TensorIteratorBaseEENKUlvE_clEvENKUlvE2_clEvEUlN3c107complexIfEEE_St5arrayIPcLm2EEEEviT0_T1_.num_vgpr, max(60, .L_ZN2at6native25elementwise_kernel_helperILb0EZZZNS0_17expm1_kernel_cudaERNS_18TensorIteratorBaseEENKUlvE_clEvENKUlvE2_clEvEUlN3c107complexIfEEE_NS0_6memory8policies11unroll_baseILi256ESt5arrayIPcLm2EE23TrivialOffsetCalculatorILi1EjESH_NSA_15LoadWithoutCastENSA_16StoreWithoutCastELi4ELi1EEEEEvT0_T1_.num_vgpr)
	.set _ZN2at6native29vectorized_elementwise_kernelILi2EZZZNS0_17expm1_kernel_cudaERNS_18TensorIteratorBaseEENKUlvE_clEvENKUlvE2_clEvEUlN3c107complexIfEEE_St5arrayIPcLm2EEEEviT0_T1_.num_agpr, max(0, .L_ZN2at6native25elementwise_kernel_helperILb0EZZZNS0_17expm1_kernel_cudaERNS_18TensorIteratorBaseEENKUlvE_clEvENKUlvE2_clEvEUlN3c107complexIfEEE_NS0_6memory8policies11unroll_baseILi256ESt5arrayIPcLm2EE23TrivialOffsetCalculatorILi1EjESH_NSA_15LoadWithoutCastENSA_16StoreWithoutCastELi4ELi1EEEEEvT0_T1_.num_agpr)
	.set _ZN2at6native29vectorized_elementwise_kernelILi2EZZZNS0_17expm1_kernel_cudaERNS_18TensorIteratorBaseEENKUlvE_clEvENKUlvE2_clEvEUlN3c107complexIfEEE_St5arrayIPcLm2EEEEviT0_T1_.numbered_sgpr, max(33, .L_ZN2at6native25elementwise_kernel_helperILb0EZZZNS0_17expm1_kernel_cudaERNS_18TensorIteratorBaseEENKUlvE_clEvENKUlvE2_clEvEUlN3c107complexIfEEE_NS0_6memory8policies11unroll_baseILi256ESt5arrayIPcLm2EE23TrivialOffsetCalculatorILi1EjESH_NSA_15LoadWithoutCastENSA_16StoreWithoutCastELi4ELi1EEEEEvT0_T1_.numbered_sgpr)
	.set _ZN2at6native29vectorized_elementwise_kernelILi2EZZZNS0_17expm1_kernel_cudaERNS_18TensorIteratorBaseEENKUlvE_clEvENKUlvE2_clEvEUlN3c107complexIfEEE_St5arrayIPcLm2EEEEviT0_T1_.num_named_barrier, max(0, .L_ZN2at6native25elementwise_kernel_helperILb0EZZZNS0_17expm1_kernel_cudaERNS_18TensorIteratorBaseEENKUlvE_clEvENKUlvE2_clEvEUlN3c107complexIfEEE_NS0_6memory8policies11unroll_baseILi256ESt5arrayIPcLm2EE23TrivialOffsetCalculatorILi1EjESH_NSA_15LoadWithoutCastENSA_16StoreWithoutCastELi4ELi1EEEEEvT0_T1_.num_named_barrier)
	.set _ZN2at6native29vectorized_elementwise_kernelILi2EZZZNS0_17expm1_kernel_cudaERNS_18TensorIteratorBaseEENKUlvE_clEvENKUlvE2_clEvEUlN3c107complexIfEEE_St5arrayIPcLm2EEEEviT0_T1_.private_seg_size, 0+max(.L_ZN2at6native25elementwise_kernel_helperILb0EZZZNS0_17expm1_kernel_cudaERNS_18TensorIteratorBaseEENKUlvE_clEvENKUlvE2_clEvEUlN3c107complexIfEEE_NS0_6memory8policies11unroll_baseILi256ESt5arrayIPcLm2EE23TrivialOffsetCalculatorILi1EjESH_NSA_15LoadWithoutCastENSA_16StoreWithoutCastELi4ELi1EEEEEvT0_T1_.private_seg_size)
	.set _ZN2at6native29vectorized_elementwise_kernelILi2EZZZNS0_17expm1_kernel_cudaERNS_18TensorIteratorBaseEENKUlvE_clEvENKUlvE2_clEvEUlN3c107complexIfEEE_St5arrayIPcLm2EEEEviT0_T1_.uses_vcc, or(1, .L_ZN2at6native25elementwise_kernel_helperILb0EZZZNS0_17expm1_kernel_cudaERNS_18TensorIteratorBaseEENKUlvE_clEvENKUlvE2_clEvEUlN3c107complexIfEEE_NS0_6memory8policies11unroll_baseILi256ESt5arrayIPcLm2EE23TrivialOffsetCalculatorILi1EjESH_NSA_15LoadWithoutCastENSA_16StoreWithoutCastELi4ELi1EEEEEvT0_T1_.uses_vcc)
	.set _ZN2at6native29vectorized_elementwise_kernelILi2EZZZNS0_17expm1_kernel_cudaERNS_18TensorIteratorBaseEENKUlvE_clEvENKUlvE2_clEvEUlN3c107complexIfEEE_St5arrayIPcLm2EEEEviT0_T1_.uses_flat_scratch, or(0, .L_ZN2at6native25elementwise_kernel_helperILb0EZZZNS0_17expm1_kernel_cudaERNS_18TensorIteratorBaseEENKUlvE_clEvENKUlvE2_clEvEUlN3c107complexIfEEE_NS0_6memory8policies11unroll_baseILi256ESt5arrayIPcLm2EE23TrivialOffsetCalculatorILi1EjESH_NSA_15LoadWithoutCastENSA_16StoreWithoutCastELi4ELi1EEEEEvT0_T1_.uses_flat_scratch)
	.set _ZN2at6native29vectorized_elementwise_kernelILi2EZZZNS0_17expm1_kernel_cudaERNS_18TensorIteratorBaseEENKUlvE_clEvENKUlvE2_clEvEUlN3c107complexIfEEE_St5arrayIPcLm2EEEEviT0_T1_.has_dyn_sized_stack, or(0, .L_ZN2at6native25elementwise_kernel_helperILb0EZZZNS0_17expm1_kernel_cudaERNS_18TensorIteratorBaseEENKUlvE_clEvENKUlvE2_clEvEUlN3c107complexIfEEE_NS0_6memory8policies11unroll_baseILi256ESt5arrayIPcLm2EE23TrivialOffsetCalculatorILi1EjESH_NSA_15LoadWithoutCastENSA_16StoreWithoutCastELi4ELi1EEEEEvT0_T1_.has_dyn_sized_stack)
	.set _ZN2at6native29vectorized_elementwise_kernelILi2EZZZNS0_17expm1_kernel_cudaERNS_18TensorIteratorBaseEENKUlvE_clEvENKUlvE2_clEvEUlN3c107complexIfEEE_St5arrayIPcLm2EEEEviT0_T1_.has_recursion, or(0, .L_ZN2at6native25elementwise_kernel_helperILb0EZZZNS0_17expm1_kernel_cudaERNS_18TensorIteratorBaseEENKUlvE_clEvENKUlvE2_clEvEUlN3c107complexIfEEE_NS0_6memory8policies11unroll_baseILi256ESt5arrayIPcLm2EE23TrivialOffsetCalculatorILi1EjESH_NSA_15LoadWithoutCastENSA_16StoreWithoutCastELi4ELi1EEEEEvT0_T1_.has_recursion)
	.set _ZN2at6native29vectorized_elementwise_kernelILi2EZZZNS0_17expm1_kernel_cudaERNS_18TensorIteratorBaseEENKUlvE_clEvENKUlvE2_clEvEUlN3c107complexIfEEE_St5arrayIPcLm2EEEEviT0_T1_.has_indirect_call, or(0, .L_ZN2at6native25elementwise_kernel_helperILb0EZZZNS0_17expm1_kernel_cudaERNS_18TensorIteratorBaseEENKUlvE_clEvENKUlvE2_clEvEUlN3c107complexIfEEE_NS0_6memory8policies11unroll_baseILi256ESt5arrayIPcLm2EE23TrivialOffsetCalculatorILi1EjESH_NSA_15LoadWithoutCastENSA_16StoreWithoutCastELi4ELi1EEEEEvT0_T1_.has_indirect_call)
	.section	.AMDGPU.csdata,"",@progbits
; Kernel info:
; codeLenInByte = 10996
; TotalNumSgprs: 39
; NumVgprs: 60
; NumAgprs: 0
; TotalNumVgprs: 60
; ScratchSize: 0
; MemoryBound: 0
; FloatMode: 240
; IeeeMode: 1
; LDSByteSize: 0 bytes/workgroup (compile time only)
; SGPRBlocks: 4
; VGPRBlocks: 7
; NumSGPRsForWavesPerEU: 39
; NumVGPRsForWavesPerEU: 60
; AccumOffset: 60
; Occupancy: 8
; WaveLimiterHint : 1
; COMPUTE_PGM_RSRC2:SCRATCH_EN: 0
; COMPUTE_PGM_RSRC2:USER_SGPR: 2
; COMPUTE_PGM_RSRC2:TRAP_HANDLER: 0
; COMPUTE_PGM_RSRC2:TGID_X_EN: 1
; COMPUTE_PGM_RSRC2:TGID_Y_EN: 0
; COMPUTE_PGM_RSRC2:TGID_Z_EN: 0
; COMPUTE_PGM_RSRC2:TIDIG_COMP_CNT: 0
; COMPUTE_PGM_RSRC3_GFX90A:ACCUM_OFFSET: 14
; COMPUTE_PGM_RSRC3_GFX90A:TG_SPLIT: 0
	.section	.text._ZN2at6native27unrolled_elementwise_kernelIZZZNS0_17expm1_kernel_cudaERNS_18TensorIteratorBaseEENKUlvE_clEvENKUlvE2_clEvEUlN3c107complexIfEEE_St5arrayIPcLm2EELi4E23TrivialOffsetCalculatorILi1EjESE_NS0_6memory15LoadWithoutCastENSF_16StoreWithoutCastEEEviT_T0_T2_T3_T4_T5_,"axG",@progbits,_ZN2at6native27unrolled_elementwise_kernelIZZZNS0_17expm1_kernel_cudaERNS_18TensorIteratorBaseEENKUlvE_clEvENKUlvE2_clEvEUlN3c107complexIfEEE_St5arrayIPcLm2EELi4E23TrivialOffsetCalculatorILi1EjESE_NS0_6memory15LoadWithoutCastENSF_16StoreWithoutCastEEEviT_T0_T2_T3_T4_T5_,comdat
	.globl	_ZN2at6native27unrolled_elementwise_kernelIZZZNS0_17expm1_kernel_cudaERNS_18TensorIteratorBaseEENKUlvE_clEvENKUlvE2_clEvEUlN3c107complexIfEEE_St5arrayIPcLm2EELi4E23TrivialOffsetCalculatorILi1EjESE_NS0_6memory15LoadWithoutCastENSF_16StoreWithoutCastEEEviT_T0_T2_T3_T4_T5_ ; -- Begin function _ZN2at6native27unrolled_elementwise_kernelIZZZNS0_17expm1_kernel_cudaERNS_18TensorIteratorBaseEENKUlvE_clEvENKUlvE2_clEvEUlN3c107complexIfEEE_St5arrayIPcLm2EELi4E23TrivialOffsetCalculatorILi1EjESE_NS0_6memory15LoadWithoutCastENSF_16StoreWithoutCastEEEviT_T0_T2_T3_T4_T5_
	.p2align	8
	.type	_ZN2at6native27unrolled_elementwise_kernelIZZZNS0_17expm1_kernel_cudaERNS_18TensorIteratorBaseEENKUlvE_clEvENKUlvE2_clEvEUlN3c107complexIfEEE_St5arrayIPcLm2EELi4E23TrivialOffsetCalculatorILi1EjESE_NS0_6memory15LoadWithoutCastENSF_16StoreWithoutCastEEEviT_T0_T2_T3_T4_T5_,@function
_ZN2at6native27unrolled_elementwise_kernelIZZZNS0_17expm1_kernel_cudaERNS_18TensorIteratorBaseEENKUlvE_clEvENKUlvE2_clEvEUlN3c107complexIfEEE_St5arrayIPcLm2EELi4E23TrivialOffsetCalculatorILi1EjESE_NS0_6memory15LoadWithoutCastENSF_16StoreWithoutCastEEEviT_T0_T2_T3_T4_T5_: ; @_ZN2at6native27unrolled_elementwise_kernelIZZZNS0_17expm1_kernel_cudaERNS_18TensorIteratorBaseEENKUlvE_clEvENKUlvE2_clEvEUlN3c107complexIfEEE_St5arrayIPcLm2EELi4E23TrivialOffsetCalculatorILi1EjESE_NS0_6memory15LoadWithoutCastENSF_16StoreWithoutCastEEEviT_T0_T2_T3_T4_T5_
; %bb.0:
	s_load_dword s3, s[0:1], 0x0
	s_load_dwordx4 s[4:7], s[0:1], 0x8
	s_lshl_b32 s0, s2, 10
	s_mov_b32 s12, s2
	v_mov_b32_e32 v31, v0
	s_waitcnt lgkmcnt(0)
	s_sub_i32 s3, s3, s0
	s_getpc_b64 s[0:1]
	s_add_u32 s0, s0, _ZN2at6native25elementwise_kernel_helperILb0EZZZNS0_17expm1_kernel_cudaERNS_18TensorIteratorBaseEENKUlvE_clEvENKUlvE2_clEvEUlN3c107complexIfEEE_NS0_6memory8policies11unroll_baseILi256ESt5arrayIPcLm2EE23TrivialOffsetCalculatorILi1EjESH_NSA_15LoadWithoutCastENSA_16StoreWithoutCastELi4ELi1EEEEEvT0_T1_@rel32@lo+4
	s_addc_u32 s1, s1, _ZN2at6native25elementwise_kernel_helperILb0EZZZNS0_17expm1_kernel_cudaERNS_18TensorIteratorBaseEENKUlvE_clEvENKUlvE2_clEvEUlN3c107complexIfEEE_NS0_6memory8policies11unroll_baseILi256ESt5arrayIPcLm2EE23TrivialOffsetCalculatorILi1EjESH_NSA_15LoadWithoutCastENSA_16StoreWithoutCastELi4ELi1EEEEEvT0_T1_@rel32@hi+12
	v_mov_b32_e32 v0, s4
	v_mov_b32_e32 v1, s5
	;; [unrolled: 1-line block ×5, first 2 shown]
	s_mov_b32 s32, 0
	s_swappc_b64 s[30:31], s[0:1]
	s_endpgm
	.section	.rodata,"a",@progbits
	.p2align	6, 0x0
	.amdhsa_kernel _ZN2at6native27unrolled_elementwise_kernelIZZZNS0_17expm1_kernel_cudaERNS_18TensorIteratorBaseEENKUlvE_clEvENKUlvE2_clEvEUlN3c107complexIfEEE_St5arrayIPcLm2EELi4E23TrivialOffsetCalculatorILi1EjESE_NS0_6memory15LoadWithoutCastENSF_16StoreWithoutCastEEEviT_T0_T2_T3_T4_T5_
		.amdhsa_group_segment_fixed_size 0
		.amdhsa_private_segment_fixed_size 0
		.amdhsa_kernarg_size 28
		.amdhsa_user_sgpr_count 2
		.amdhsa_user_sgpr_dispatch_ptr 0
		.amdhsa_user_sgpr_queue_ptr 0
		.amdhsa_user_sgpr_kernarg_segment_ptr 1
		.amdhsa_user_sgpr_dispatch_id 0
		.amdhsa_user_sgpr_kernarg_preload_length 0
		.amdhsa_user_sgpr_kernarg_preload_offset 0
		.amdhsa_user_sgpr_private_segment_size 0
		.amdhsa_uses_dynamic_stack 0
		.amdhsa_enable_private_segment 0
		.amdhsa_system_sgpr_workgroup_id_x 1
		.amdhsa_system_sgpr_workgroup_id_y 0
		.amdhsa_system_sgpr_workgroup_id_z 0
		.amdhsa_system_sgpr_workgroup_info 0
		.amdhsa_system_vgpr_workitem_id 0
		.amdhsa_next_free_vgpr 37
		.amdhsa_next_free_sgpr 33
		.amdhsa_accum_offset 40
		.amdhsa_reserve_vcc 1
		.amdhsa_float_round_mode_32 0
		.amdhsa_float_round_mode_16_64 0
		.amdhsa_float_denorm_mode_32 3
		.amdhsa_float_denorm_mode_16_64 3
		.amdhsa_dx10_clamp 1
		.amdhsa_ieee_mode 1
		.amdhsa_fp16_overflow 0
		.amdhsa_tg_split 0
		.amdhsa_exception_fp_ieee_invalid_op 0
		.amdhsa_exception_fp_denorm_src 0
		.amdhsa_exception_fp_ieee_div_zero 0
		.amdhsa_exception_fp_ieee_overflow 0
		.amdhsa_exception_fp_ieee_underflow 0
		.amdhsa_exception_fp_ieee_inexact 0
		.amdhsa_exception_int_div_zero 0
	.end_amdhsa_kernel
	.section	.text._ZN2at6native27unrolled_elementwise_kernelIZZZNS0_17expm1_kernel_cudaERNS_18TensorIteratorBaseEENKUlvE_clEvENKUlvE2_clEvEUlN3c107complexIfEEE_St5arrayIPcLm2EELi4E23TrivialOffsetCalculatorILi1EjESE_NS0_6memory15LoadWithoutCastENSF_16StoreWithoutCastEEEviT_T0_T2_T3_T4_T5_,"axG",@progbits,_ZN2at6native27unrolled_elementwise_kernelIZZZNS0_17expm1_kernel_cudaERNS_18TensorIteratorBaseEENKUlvE_clEvENKUlvE2_clEvEUlN3c107complexIfEEE_St5arrayIPcLm2EELi4E23TrivialOffsetCalculatorILi1EjESE_NS0_6memory15LoadWithoutCastENSF_16StoreWithoutCastEEEviT_T0_T2_T3_T4_T5_,comdat
.Lfunc_end140:
	.size	_ZN2at6native27unrolled_elementwise_kernelIZZZNS0_17expm1_kernel_cudaERNS_18TensorIteratorBaseEENKUlvE_clEvENKUlvE2_clEvEUlN3c107complexIfEEE_St5arrayIPcLm2EELi4E23TrivialOffsetCalculatorILi1EjESE_NS0_6memory15LoadWithoutCastENSF_16StoreWithoutCastEEEviT_T0_T2_T3_T4_T5_, .Lfunc_end140-_ZN2at6native27unrolled_elementwise_kernelIZZZNS0_17expm1_kernel_cudaERNS_18TensorIteratorBaseEENKUlvE_clEvENKUlvE2_clEvEUlN3c107complexIfEEE_St5arrayIPcLm2EELi4E23TrivialOffsetCalculatorILi1EjESE_NS0_6memory15LoadWithoutCastENSF_16StoreWithoutCastEEEviT_T0_T2_T3_T4_T5_
                                        ; -- End function
	.set _ZN2at6native27unrolled_elementwise_kernelIZZZNS0_17expm1_kernel_cudaERNS_18TensorIteratorBaseEENKUlvE_clEvENKUlvE2_clEvEUlN3c107complexIfEEE_St5arrayIPcLm2EELi4E23TrivialOffsetCalculatorILi1EjESE_NS0_6memory15LoadWithoutCastENSF_16StoreWithoutCastEEEviT_T0_T2_T3_T4_T5_.num_vgpr, max(32, .L_ZN2at6native25elementwise_kernel_helperILb0EZZZNS0_17expm1_kernel_cudaERNS_18TensorIteratorBaseEENKUlvE_clEvENKUlvE2_clEvEUlN3c107complexIfEEE_NS0_6memory8policies11unroll_baseILi256ESt5arrayIPcLm2EE23TrivialOffsetCalculatorILi1EjESH_NSA_15LoadWithoutCastENSA_16StoreWithoutCastELi4ELi1EEEEEvT0_T1_.num_vgpr)
	.set _ZN2at6native27unrolled_elementwise_kernelIZZZNS0_17expm1_kernel_cudaERNS_18TensorIteratorBaseEENKUlvE_clEvENKUlvE2_clEvEUlN3c107complexIfEEE_St5arrayIPcLm2EELi4E23TrivialOffsetCalculatorILi1EjESE_NS0_6memory15LoadWithoutCastENSF_16StoreWithoutCastEEEviT_T0_T2_T3_T4_T5_.num_agpr, max(0, .L_ZN2at6native25elementwise_kernel_helperILb0EZZZNS0_17expm1_kernel_cudaERNS_18TensorIteratorBaseEENKUlvE_clEvENKUlvE2_clEvEUlN3c107complexIfEEE_NS0_6memory8policies11unroll_baseILi256ESt5arrayIPcLm2EE23TrivialOffsetCalculatorILi1EjESH_NSA_15LoadWithoutCastENSA_16StoreWithoutCastELi4ELi1EEEEEvT0_T1_.num_agpr)
	.set _ZN2at6native27unrolled_elementwise_kernelIZZZNS0_17expm1_kernel_cudaERNS_18TensorIteratorBaseEENKUlvE_clEvENKUlvE2_clEvEUlN3c107complexIfEEE_St5arrayIPcLm2EELi4E23TrivialOffsetCalculatorILi1EjESE_NS0_6memory15LoadWithoutCastENSF_16StoreWithoutCastEEEviT_T0_T2_T3_T4_T5_.numbered_sgpr, max(33, .L_ZN2at6native25elementwise_kernel_helperILb0EZZZNS0_17expm1_kernel_cudaERNS_18TensorIteratorBaseEENKUlvE_clEvENKUlvE2_clEvEUlN3c107complexIfEEE_NS0_6memory8policies11unroll_baseILi256ESt5arrayIPcLm2EE23TrivialOffsetCalculatorILi1EjESH_NSA_15LoadWithoutCastENSA_16StoreWithoutCastELi4ELi1EEEEEvT0_T1_.numbered_sgpr)
	.set _ZN2at6native27unrolled_elementwise_kernelIZZZNS0_17expm1_kernel_cudaERNS_18TensorIteratorBaseEENKUlvE_clEvENKUlvE2_clEvEUlN3c107complexIfEEE_St5arrayIPcLm2EELi4E23TrivialOffsetCalculatorILi1EjESE_NS0_6memory15LoadWithoutCastENSF_16StoreWithoutCastEEEviT_T0_T2_T3_T4_T5_.num_named_barrier, max(0, .L_ZN2at6native25elementwise_kernel_helperILb0EZZZNS0_17expm1_kernel_cudaERNS_18TensorIteratorBaseEENKUlvE_clEvENKUlvE2_clEvEUlN3c107complexIfEEE_NS0_6memory8policies11unroll_baseILi256ESt5arrayIPcLm2EE23TrivialOffsetCalculatorILi1EjESH_NSA_15LoadWithoutCastENSA_16StoreWithoutCastELi4ELi1EEEEEvT0_T1_.num_named_barrier)
	.set _ZN2at6native27unrolled_elementwise_kernelIZZZNS0_17expm1_kernel_cudaERNS_18TensorIteratorBaseEENKUlvE_clEvENKUlvE2_clEvEUlN3c107complexIfEEE_St5arrayIPcLm2EELi4E23TrivialOffsetCalculatorILi1EjESE_NS0_6memory15LoadWithoutCastENSF_16StoreWithoutCastEEEviT_T0_T2_T3_T4_T5_.private_seg_size, 0+max(.L_ZN2at6native25elementwise_kernel_helperILb0EZZZNS0_17expm1_kernel_cudaERNS_18TensorIteratorBaseEENKUlvE_clEvENKUlvE2_clEvEUlN3c107complexIfEEE_NS0_6memory8policies11unroll_baseILi256ESt5arrayIPcLm2EE23TrivialOffsetCalculatorILi1EjESH_NSA_15LoadWithoutCastENSA_16StoreWithoutCastELi4ELi1EEEEEvT0_T1_.private_seg_size)
	.set _ZN2at6native27unrolled_elementwise_kernelIZZZNS0_17expm1_kernel_cudaERNS_18TensorIteratorBaseEENKUlvE_clEvENKUlvE2_clEvEUlN3c107complexIfEEE_St5arrayIPcLm2EELi4E23TrivialOffsetCalculatorILi1EjESE_NS0_6memory15LoadWithoutCastENSF_16StoreWithoutCastEEEviT_T0_T2_T3_T4_T5_.uses_vcc, or(1, .L_ZN2at6native25elementwise_kernel_helperILb0EZZZNS0_17expm1_kernel_cudaERNS_18TensorIteratorBaseEENKUlvE_clEvENKUlvE2_clEvEUlN3c107complexIfEEE_NS0_6memory8policies11unroll_baseILi256ESt5arrayIPcLm2EE23TrivialOffsetCalculatorILi1EjESH_NSA_15LoadWithoutCastENSA_16StoreWithoutCastELi4ELi1EEEEEvT0_T1_.uses_vcc)
	.set _ZN2at6native27unrolled_elementwise_kernelIZZZNS0_17expm1_kernel_cudaERNS_18TensorIteratorBaseEENKUlvE_clEvENKUlvE2_clEvEUlN3c107complexIfEEE_St5arrayIPcLm2EELi4E23TrivialOffsetCalculatorILi1EjESE_NS0_6memory15LoadWithoutCastENSF_16StoreWithoutCastEEEviT_T0_T2_T3_T4_T5_.uses_flat_scratch, or(0, .L_ZN2at6native25elementwise_kernel_helperILb0EZZZNS0_17expm1_kernel_cudaERNS_18TensorIteratorBaseEENKUlvE_clEvENKUlvE2_clEvEUlN3c107complexIfEEE_NS0_6memory8policies11unroll_baseILi256ESt5arrayIPcLm2EE23TrivialOffsetCalculatorILi1EjESH_NSA_15LoadWithoutCastENSA_16StoreWithoutCastELi4ELi1EEEEEvT0_T1_.uses_flat_scratch)
	.set _ZN2at6native27unrolled_elementwise_kernelIZZZNS0_17expm1_kernel_cudaERNS_18TensorIteratorBaseEENKUlvE_clEvENKUlvE2_clEvEUlN3c107complexIfEEE_St5arrayIPcLm2EELi4E23TrivialOffsetCalculatorILi1EjESE_NS0_6memory15LoadWithoutCastENSF_16StoreWithoutCastEEEviT_T0_T2_T3_T4_T5_.has_dyn_sized_stack, or(0, .L_ZN2at6native25elementwise_kernel_helperILb0EZZZNS0_17expm1_kernel_cudaERNS_18TensorIteratorBaseEENKUlvE_clEvENKUlvE2_clEvEUlN3c107complexIfEEE_NS0_6memory8policies11unroll_baseILi256ESt5arrayIPcLm2EE23TrivialOffsetCalculatorILi1EjESH_NSA_15LoadWithoutCastENSA_16StoreWithoutCastELi4ELi1EEEEEvT0_T1_.has_dyn_sized_stack)
	.set _ZN2at6native27unrolled_elementwise_kernelIZZZNS0_17expm1_kernel_cudaERNS_18TensorIteratorBaseEENKUlvE_clEvENKUlvE2_clEvEUlN3c107complexIfEEE_St5arrayIPcLm2EELi4E23TrivialOffsetCalculatorILi1EjESE_NS0_6memory15LoadWithoutCastENSF_16StoreWithoutCastEEEviT_T0_T2_T3_T4_T5_.has_recursion, or(0, .L_ZN2at6native25elementwise_kernel_helperILb0EZZZNS0_17expm1_kernel_cudaERNS_18TensorIteratorBaseEENKUlvE_clEvENKUlvE2_clEvEUlN3c107complexIfEEE_NS0_6memory8policies11unroll_baseILi256ESt5arrayIPcLm2EE23TrivialOffsetCalculatorILi1EjESH_NSA_15LoadWithoutCastENSA_16StoreWithoutCastELi4ELi1EEEEEvT0_T1_.has_recursion)
	.set _ZN2at6native27unrolled_elementwise_kernelIZZZNS0_17expm1_kernel_cudaERNS_18TensorIteratorBaseEENKUlvE_clEvENKUlvE2_clEvEUlN3c107complexIfEEE_St5arrayIPcLm2EELi4E23TrivialOffsetCalculatorILi1EjESE_NS0_6memory15LoadWithoutCastENSF_16StoreWithoutCastEEEviT_T0_T2_T3_T4_T5_.has_indirect_call, or(0, .L_ZN2at6native25elementwise_kernel_helperILb0EZZZNS0_17expm1_kernel_cudaERNS_18TensorIteratorBaseEENKUlvE_clEvENKUlvE2_clEvEUlN3c107complexIfEEE_NS0_6memory8policies11unroll_baseILi256ESt5arrayIPcLm2EE23TrivialOffsetCalculatorILi1EjESH_NSA_15LoadWithoutCastENSA_16StoreWithoutCastELi4ELi1EEEEEvT0_T1_.has_indirect_call)
	.section	.AMDGPU.csdata,"",@progbits
; Kernel info:
; codeLenInByte = 88
; TotalNumSgprs: 39
; NumVgprs: 37
; NumAgprs: 0
; TotalNumVgprs: 37
; ScratchSize: 0
; MemoryBound: 0
; FloatMode: 240
; IeeeMode: 1
; LDSByteSize: 0 bytes/workgroup (compile time only)
; SGPRBlocks: 4
; VGPRBlocks: 4
; NumSGPRsForWavesPerEU: 39
; NumVGPRsForWavesPerEU: 37
; AccumOffset: 40
; Occupancy: 8
; WaveLimiterHint : 0
; COMPUTE_PGM_RSRC2:SCRATCH_EN: 0
; COMPUTE_PGM_RSRC2:USER_SGPR: 2
; COMPUTE_PGM_RSRC2:TRAP_HANDLER: 0
; COMPUTE_PGM_RSRC2:TGID_X_EN: 1
; COMPUTE_PGM_RSRC2:TGID_Y_EN: 0
; COMPUTE_PGM_RSRC2:TGID_Z_EN: 0
; COMPUTE_PGM_RSRC2:TIDIG_COMP_CNT: 0
; COMPUTE_PGM_RSRC3_GFX90A:ACCUM_OFFSET: 9
; COMPUTE_PGM_RSRC3_GFX90A:TG_SPLIT: 0
	.section	.text._ZN2at6native32elementwise_kernel_manual_unrollILi128ELi4EZNS0_22gpu_kernel_impl_nocastIZZZNS0_17expm1_kernel_cudaERNS_18TensorIteratorBaseEENKUlvE_clEvENKUlvE2_clEvEUlN3c107complexIfEEE_EEvS4_RKT_EUlibE_EEviT1_,"axG",@progbits,_ZN2at6native32elementwise_kernel_manual_unrollILi128ELi4EZNS0_22gpu_kernel_impl_nocastIZZZNS0_17expm1_kernel_cudaERNS_18TensorIteratorBaseEENKUlvE_clEvENKUlvE2_clEvEUlN3c107complexIfEEE_EEvS4_RKT_EUlibE_EEviT1_,comdat
	.globl	_ZN2at6native32elementwise_kernel_manual_unrollILi128ELi4EZNS0_22gpu_kernel_impl_nocastIZZZNS0_17expm1_kernel_cudaERNS_18TensorIteratorBaseEENKUlvE_clEvENKUlvE2_clEvEUlN3c107complexIfEEE_EEvS4_RKT_EUlibE_EEviT1_ ; -- Begin function _ZN2at6native32elementwise_kernel_manual_unrollILi128ELi4EZNS0_22gpu_kernel_impl_nocastIZZZNS0_17expm1_kernel_cudaERNS_18TensorIteratorBaseEENKUlvE_clEvENKUlvE2_clEvEUlN3c107complexIfEEE_EEvS4_RKT_EUlibE_EEviT1_
	.p2align	8
	.type	_ZN2at6native32elementwise_kernel_manual_unrollILi128ELi4EZNS0_22gpu_kernel_impl_nocastIZZZNS0_17expm1_kernel_cudaERNS_18TensorIteratorBaseEENKUlvE_clEvENKUlvE2_clEvEUlN3c107complexIfEEE_EEvS4_RKT_EUlibE_EEviT1_,@function
_ZN2at6native32elementwise_kernel_manual_unrollILi128ELi4EZNS0_22gpu_kernel_impl_nocastIZZZNS0_17expm1_kernel_cudaERNS_18TensorIteratorBaseEENKUlvE_clEvENKUlvE2_clEvEUlN3c107complexIfEEE_EEvS4_RKT_EUlibE_EEviT1_: ; @_ZN2at6native32elementwise_kernel_manual_unrollILi128ELi4EZNS0_22gpu_kernel_impl_nocastIZZZNS0_17expm1_kernel_cudaERNS_18TensorIteratorBaseEENKUlvE_clEvENKUlvE2_clEvEUlN3c107complexIfEEE_EEvS4_RKT_EUlibE_EEviT1_
; %bb.0:
	s_load_dword s55, s[0:1], 0x0
	s_load_dword s33, s[0:1], 0x8
	s_add_u32 s34, s0, 8
	s_addc_u32 s35, s1, 0
	v_lshl_or_b32 v4, s2, 9, v0
	v_or_b32_e32 v16, 0x180, v4
	s_waitcnt lgkmcnt(0)
	s_add_i32 s54, s33, -1
	s_cmp_gt_u32 s54, 1
	v_cmp_le_i32_e32 vcc, s55, v16
	s_cselect_b64 s[36:37], -1, 0
	s_mov_b64 s[24:25], 0
                                        ; implicit-def: $vgpr1
                                        ; implicit-def: $vgpr8_vgpr9
	s_and_saveexec_b64 s[0:1], vcc
	s_xor_b64 s[38:39], exec, s[0:1]
	s_cbranch_execz .LBB141_8
; %bb.1:
	s_load_dwordx4 s[24:27], s[34:35], 0x4
	s_load_dwordx2 s[40:41], s[34:35], 0x14
	s_load_dwordx4 s[20:23], s[34:35], 0xc4
	s_load_dwordx4 s[16:19], s[34:35], 0x148
	s_cmp_lg_u32 s33, 0
	s_cselect_b64 s[46:47], -1, 0
	s_add_u32 s44, s34, 0xc4
	s_addc_u32 s45, s35, 0
	s_min_u32 s56, s54, 15
	s_cmp_gt_u32 s33, 1
	s_cselect_b64 s[42:43], -1, 0
	v_cmp_gt_i32_e32 vcc, s55, v4
	s_and_saveexec_b64 s[48:49], vcc
	s_cbranch_execz .LBB141_15
; %bb.2:
	s_andn2_b64 vcc, exec, s[36:37]
	s_cbranch_vccnz .LBB141_23
; %bb.3:
	s_andn2_b64 vcc, exec, s[46:47]
	s_cbranch_vccnz .LBB141_124
; %bb.4:
	s_add_i32 s58, s56, 1
	s_cmp_eq_u32 s54, 2
	s_cbranch_scc1 .LBB141_126
; %bb.5:
	s_and_b32 s57, s58, 28
	s_mov_b32 s59, 0
	v_mov_b32_e32 v0, 0
	v_mov_b32_e32 v2, 0
	s_mov_b64 s[50:51], s[34:35]
	s_mov_b64 s[52:53], s[44:45]
	v_mov_b32_e32 v5, v4
.LBB141_6:                              ; =>This Inner Loop Header: Depth=1
	s_load_dwordx8 s[8:15], s[50:51], 0x4
	s_load_dwordx4 s[28:31], s[50:51], 0x24
	s_load_dwordx8 s[0:7], s[52:53], 0x0
	s_add_u32 s50, s50, 48
	s_addc_u32 s51, s51, 0
	s_waitcnt lgkmcnt(0)
	v_mul_hi_u32 v1, s9, v5
	v_add_u32_e32 v1, v5, v1
	v_lshrrev_b32_e32 v1, s10, v1
	v_mul_lo_u32 v3, v1, s8
	v_mul_hi_u32 v6, s12, v1
	v_sub_u32_e32 v3, v5, v3
	v_add_u32_e32 v5, v1, v6
	v_lshrrev_b32_e32 v5, s13, v5
	v_mul_lo_u32 v7, v5, s11
	v_mul_hi_u32 v8, s15, v5
	v_sub_u32_e32 v1, v1, v7
	v_add_u32_e32 v7, v5, v8
	v_mul_lo_u32 v6, v3, s1
	v_mul_lo_u32 v3, v3, s0
	;; [unrolled: 1-line block ×4, first 2 shown]
	v_lshrrev_b32_e32 v7, s28, v7
	v_add3_u32 v0, v3, v0, v1
	v_mul_hi_u32 v3, s30, v7
	v_add3_u32 v1, v6, v2, v8
	v_mul_lo_u32 v2, v7, s14
	v_add_u32_e32 v3, v7, v3
	v_sub_u32_e32 v2, v5, v2
	v_lshrrev_b32_e32 v5, s31, v3
	s_add_i32 s59, s59, 4
	v_mul_lo_u32 v3, v5, s29
	s_add_u32 s52, s52, 32
	v_sub_u32_e32 v3, v7, v3
	s_addc_u32 s53, s53, 0
	v_mul_lo_u32 v6, v2, s4
	v_mul_lo_u32 v2, v2, s5
	;; [unrolled: 1-line block ×4, first 2 shown]
	s_cmp_lg_u32 s57, s59
	v_add3_u32 v2, v2, v1, v3
	v_add3_u32 v0, v6, v0, v7
	s_cbranch_scc1 .LBB141_6
; %bb.7:
	v_mov_b32_e32 v1, v2
	s_branch .LBB141_127
.LBB141_8:
	s_andn2_saveexec_b64 s[26:27], s[38:39]
	s_cbranch_execz .LBB141_225
.LBB141_9:
	v_cndmask_b32_e64 v0, 0, 1, s[36:37]
	v_cmp_ne_u32_e64 s[0:1], 1, v0
	s_andn2_b64 vcc, exec, s[36:37]
	s_cbranch_vccnz .LBB141_22
; %bb.10:
	s_cmp_lg_u32 s33, 0
	s_mov_b32 s30, 0
	s_cbranch_scc0 .LBB141_25
; %bb.11:
	s_min_u32 s31, s54, 15
	s_add_i32 s31, s31, 1
	s_cmp_eq_u32 s54, 2
	s_cbranch_scc1 .LBB141_26
; %bb.12:
	s_and_b32 s30, s31, 28
	s_add_u32 s2, s34, 0xc4
	s_addc_u32 s3, s35, 0
	s_mov_b32 s36, 0
	v_mov_b32_e32 v0, 0
	v_mov_b32_e32 v8, 0
	s_mov_b64 s[28:29], s[34:35]
	v_mov_b32_e32 v2, v4
.LBB141_13:                             ; =>This Inner Loop Header: Depth=1
	s_load_dwordx8 s[12:19], s[28:29], 0x4
	s_load_dwordx4 s[20:23], s[28:29], 0x24
	s_load_dwordx8 s[4:11], s[2:3], 0x0
	s_add_u32 s28, s28, 48
	s_addc_u32 s29, s29, 0
	s_waitcnt lgkmcnt(0)
	v_mul_hi_u32 v1, s13, v2
	v_add_u32_e32 v1, v2, v1
	v_lshrrev_b32_e32 v1, s14, v1
	v_mul_lo_u32 v3, v1, s12
	v_mul_hi_u32 v5, s16, v1
	v_sub_u32_e32 v2, v2, v3
	v_add_u32_e32 v3, v1, v5
	v_lshrrev_b32_e32 v3, s17, v3
	v_mul_lo_u32 v6, v3, s15
	v_mul_hi_u32 v7, s19, v3
	v_sub_u32_e32 v1, v1, v6
	v_add_u32_e32 v6, v3, v7
	v_mul_lo_u32 v5, v2, s5
	v_mul_lo_u32 v2, v2, s4
	;; [unrolled: 1-line block ×4, first 2 shown]
	v_lshrrev_b32_e32 v6, s20, v6
	v_add3_u32 v0, v2, v0, v1
	v_add3_u32 v1, v5, v8, v7
	v_mul_lo_u32 v2, v6, s18
	v_mul_hi_u32 v5, s22, v6
	v_sub_u32_e32 v2, v3, v2
	v_add_u32_e32 v3, v6, v5
	v_mul_lo_u32 v5, v2, s8
	v_mul_lo_u32 v7, v2, s9
	v_lshrrev_b32_e32 v2, s23, v3
	s_add_i32 s36, s36, 4
	v_mul_lo_u32 v3, v2, s21
	s_add_u32 s2, s2, 32
	v_sub_u32_e32 v3, v6, v3
	s_addc_u32 s3, s3, 0
	v_mul_lo_u32 v6, v3, s10
	v_mul_lo_u32 v3, v3, s11
	s_cmp_lg_u32 s30, s36
	v_add3_u32 v8, v7, v1, v3
	v_add3_u32 v0, v5, v0, v6
	s_cbranch_scc1 .LBB141_13
; %bb.14:
	v_mov_b32_e32 v1, v8
	s_and_b32 s6, s31, 3
	s_cmp_eq_u32 s6, 0
	s_cbranch_scc0 .LBB141_27
	s_branch .LBB141_29
.LBB141_15:
	s_or_b64 exec, exec, s[48:49]
	v_cmp_gt_i32_e32 vcc, s55, v4
	s_and_saveexec_b64 s[48:49], vcc
	s_cbranch_execz .LBB141_146
.LBB141_16:
	s_andn2_b64 vcc, exec, s[36:37]
	s_cbranch_vccnz .LBB141_24
; %bb.17:
	s_andn2_b64 vcc, exec, s[46:47]
	s_cbranch_vccnz .LBB141_125
; %bb.18:
	s_add_i32 s58, s56, 1
	s_cmp_eq_u32 s54, 2
	s_cbranch_scc1 .LBB141_147
; %bb.19:
	s_and_b32 s57, s58, 28
	s_mov_b32 s59, 0
	v_mov_b32_e32 v0, 0
	v_mov_b32_e32 v2, 0
	s_mov_b64 s[50:51], s[34:35]
	s_mov_b64 s[52:53], s[44:45]
	v_mov_b32_e32 v5, v4
.LBB141_20:                             ; =>This Inner Loop Header: Depth=1
	s_load_dwordx8 s[8:15], s[50:51], 0x4
	s_load_dwordx4 s[28:31], s[50:51], 0x24
	s_load_dwordx8 s[0:7], s[52:53], 0x0
	s_add_u32 s50, s50, 48
	s_addc_u32 s51, s51, 0
	s_waitcnt lgkmcnt(0)
	v_mul_hi_u32 v1, s9, v5
	v_add_u32_e32 v1, v5, v1
	v_lshrrev_b32_e32 v1, s10, v1
	v_mul_lo_u32 v3, v1, s8
	v_mul_hi_u32 v6, s12, v1
	v_sub_u32_e32 v3, v5, v3
	v_add_u32_e32 v5, v1, v6
	v_lshrrev_b32_e32 v5, s13, v5
	v_mul_lo_u32 v7, v5, s11
	v_mul_hi_u32 v8, s15, v5
	v_sub_u32_e32 v1, v1, v7
	v_add_u32_e32 v7, v5, v8
	v_mul_lo_u32 v6, v3, s1
	v_mul_lo_u32 v3, v3, s0
	;; [unrolled: 1-line block ×4, first 2 shown]
	v_lshrrev_b32_e32 v7, s28, v7
	v_add3_u32 v0, v3, v0, v1
	v_mul_hi_u32 v3, s30, v7
	v_add3_u32 v1, v6, v2, v8
	v_mul_lo_u32 v2, v7, s14
	v_add_u32_e32 v3, v7, v3
	v_sub_u32_e32 v2, v5, v2
	v_lshrrev_b32_e32 v5, s31, v3
	s_add_i32 s59, s59, 4
	v_mul_lo_u32 v3, v5, s29
	s_add_u32 s52, s52, 32
	v_sub_u32_e32 v3, v7, v3
	s_addc_u32 s53, s53, 0
	v_mul_lo_u32 v6, v2, s4
	v_mul_lo_u32 v2, v2, s5
	;; [unrolled: 1-line block ×4, first 2 shown]
	s_cmp_eq_u32 s57, s59
	v_add3_u32 v2, v2, v1, v3
	v_add3_u32 v0, v6, v0, v7
	s_cbranch_scc0 .LBB141_20
; %bb.21:
	v_mov_b32_e32 v1, v2
	s_branch .LBB141_148
.LBB141_22:
                                        ; implicit-def: $vgpr8
                                        ; implicit-def: $vgpr0
	s_branch .LBB141_30
.LBB141_23:
                                        ; implicit-def: $vgpr2
                                        ; implicit-def: $vgpr0
	s_branch .LBB141_131
.LBB141_24:
                                        ; implicit-def: $vgpr2
                                        ; implicit-def: $vgpr0
	s_branch .LBB141_152
.LBB141_25:
	v_mov_b32_e32 v8, 0
	v_mov_b32_e32 v0, 0
	s_branch .LBB141_29
.LBB141_26:
	v_mov_b32_e32 v0, 0
                                        ; implicit-def: $vgpr8
	v_mov_b32_e32 v1, v0
	v_mov_b32_e32 v2, v4
	s_and_b32 s6, s31, 3
	s_cmp_eq_u32 s6, 0
	s_cbranch_scc1 .LBB141_29
.LBB141_27:
	s_lshl_b32 s2, s30, 3
	s_add_u32 s2, s34, s2
	s_addc_u32 s3, s35, 0
	s_add_u32 s2, s2, 0xc4
	s_addc_u32 s3, s3, 0
	s_mul_i32 s4, s30, 12
	s_add_u32 s4, s34, s4
	s_addc_u32 s5, s35, 0
.LBB141_28:                             ; =>This Inner Loop Header: Depth=1
	s_load_dwordx2 s[8:9], s[4:5], 0x4
	s_load_dword s7, s[4:5], 0xc
	s_load_dwordx2 s[10:11], s[2:3], 0x0
	v_mov_b32_e32 v6, v1
	s_add_u32 s4, s4, 12
	s_waitcnt lgkmcnt(0)
	v_mul_hi_u32 v1, s9, v2
	v_add_u32_e32 v1, v2, v1
	v_lshrrev_b32_e32 v1, s7, v1
	s_addc_u32 s5, s5, 0
	v_mul_lo_u32 v3, v1, s8
	s_add_u32 s2, s2, 8
	v_sub_u32_e32 v3, v2, v3
	s_addc_u32 s3, s3, 0
	s_add_i32 s6, s6, -1
	v_mov_b32_e32 v2, v1
	v_mad_u64_u32 v[8:9], s[8:9], v3, s11, v[6:7]
	v_mad_u64_u32 v[0:1], s[8:9], v3, s10, v[0:1]
	s_cmp_lg_u32 s6, 0
	v_mov_b32_e32 v1, v8
	s_cbranch_scc1 .LBB141_28
.LBB141_29:
	s_cbranch_execnz .LBB141_32
.LBB141_30:
	s_load_dwordx4 s[4:7], s[34:35], 0x4
	s_load_dwordx2 s[2:3], s[34:35], 0xc4
	s_cmp_lt_u32 s33, 2
	s_waitcnt lgkmcnt(0)
	v_mul_hi_u32 v0, s5, v4
	v_add_u32_e32 v0, v4, v0
	v_lshrrev_b32_e32 v1, s6, v0
	v_mul_lo_u32 v0, v1, s4
	v_sub_u32_e32 v0, v4, v0
	v_mul_lo_u32 v8, v0, s3
	v_mul_lo_u32 v0, v0, s2
	s_cbranch_scc1 .LBB141_32
; %bb.31:
	s_load_dwordx4 s[4:7], s[34:35], 0x10
	s_load_dwordx2 s[2:3], s[34:35], 0xcc
	s_waitcnt lgkmcnt(0)
	v_mul_hi_u32 v2, s5, v1
	v_add_u32_e32 v2, v1, v2
	v_lshrrev_b32_e32 v2, s6, v2
	v_mul_lo_u32 v2, v2, s4
	v_sub_u32_e32 v2, v1, v2
	v_mad_u64_u32 v[0:1], s[4:5], v2, s2, v[0:1]
	v_mad_u64_u32 v[8:9], s[2:3], v2, s3, v[8:9]
.LBB141_32:
	s_and_b64 vcc, exec, s[0:1]
	v_add_u32_e32 v5, 0x80, v4
	s_cbranch_vccnz .LBB141_38
; %bb.33:
	s_cmp_lg_u32 s33, 0
	s_mov_b32 s30, 0
	s_cbranch_scc0 .LBB141_39
; %bb.34:
	s_min_u32 s31, s54, 15
	s_add_i32 s31, s31, 1
	s_cmp_eq_u32 s54, 2
	s_cbranch_scc1 .LBB141_40
; %bb.35:
	s_and_b32 s30, s31, 28
	s_add_u32 s2, s34, 0xc4
	s_addc_u32 s3, s35, 0
	s_mov_b32 s36, 0
	v_mov_b32_e32 v2, 0
	v_mov_b32_e32 v10, 0
	s_mov_b64 s[28:29], s[34:35]
	v_mov_b32_e32 v6, v5
.LBB141_36:                             ; =>This Inner Loop Header: Depth=1
	s_load_dwordx8 s[12:19], s[28:29], 0x4
	s_load_dwordx4 s[20:23], s[28:29], 0x24
	s_load_dwordx8 s[4:11], s[2:3], 0x0
	s_add_u32 s28, s28, 48
	s_addc_u32 s29, s29, 0
	s_waitcnt lgkmcnt(0)
	v_mul_hi_u32 v1, s13, v6
	v_add_u32_e32 v1, v6, v1
	v_lshrrev_b32_e32 v1, s14, v1
	v_mul_lo_u32 v3, v1, s12
	v_mul_hi_u32 v7, s16, v1
	v_sub_u32_e32 v3, v6, v3
	v_add_u32_e32 v6, v1, v7
	v_lshrrev_b32_e32 v6, s17, v6
	v_mul_lo_u32 v9, v6, s15
	v_mul_hi_u32 v11, s19, v6
	v_sub_u32_e32 v1, v1, v9
	v_add_u32_e32 v9, v6, v11
	v_mul_lo_u32 v7, v3, s5
	v_mul_lo_u32 v3, v3, s4
	;; [unrolled: 1-line block ×4, first 2 shown]
	v_lshrrev_b32_e32 v9, s20, v9
	v_add3_u32 v1, v3, v2, v1
	v_add3_u32 v2, v7, v10, v11
	v_mul_lo_u32 v3, v9, s18
	v_mul_hi_u32 v7, s22, v9
	v_sub_u32_e32 v3, v6, v3
	v_add_u32_e32 v6, v9, v7
	v_lshrrev_b32_e32 v6, s23, v6
	s_add_i32 s36, s36, 4
	v_mul_lo_u32 v10, v6, s21
	s_add_u32 s2, s2, 32
	v_sub_u32_e32 v9, v9, v10
	s_addc_u32 s3, s3, 0
	v_mul_lo_u32 v7, v3, s8
	v_mul_lo_u32 v3, v3, s9
	;; [unrolled: 1-line block ×4, first 2 shown]
	s_cmp_lg_u32 s30, s36
	v_add3_u32 v10, v3, v2, v9
	v_add3_u32 v2, v7, v1, v11
	s_cbranch_scc1 .LBB141_36
; %bb.37:
	v_mov_b32_e32 v1, v10
	s_and_b32 s6, s31, 3
	s_cmp_eq_u32 s6, 0
	s_cbranch_scc0 .LBB141_41
	s_branch .LBB141_43
.LBB141_38:
                                        ; implicit-def: $vgpr10
                                        ; implicit-def: $vgpr2
	s_branch .LBB141_44
.LBB141_39:
	v_mov_b32_e32 v10, 0
	v_mov_b32_e32 v2, 0
	s_branch .LBB141_43
.LBB141_40:
	v_mov_b32_e32 v2, 0
                                        ; implicit-def: $vgpr10
	v_mov_b32_e32 v1, v2
	v_mov_b32_e32 v6, v5
	s_and_b32 s6, s31, 3
	s_cmp_eq_u32 s6, 0
	s_cbranch_scc1 .LBB141_43
.LBB141_41:
	s_lshl_b32 s2, s30, 3
	s_add_u32 s2, s34, s2
	s_addc_u32 s3, s35, 0
	s_add_u32 s2, s2, 0xc4
	s_addc_u32 s3, s3, 0
	s_mul_i32 s4, s30, 12
	s_add_u32 s4, s34, s4
	s_addc_u32 s5, s35, 0
.LBB141_42:                             ; =>This Inner Loop Header: Depth=1
	s_load_dwordx2 s[8:9], s[4:5], 0x4
	s_load_dword s7, s[4:5], 0xc
	s_load_dwordx2 s[10:11], s[2:3], 0x0
	v_mov_b32_e32 v10, v1
	s_add_u32 s4, s4, 12
	s_waitcnt lgkmcnt(0)
	v_mul_hi_u32 v1, s9, v6
	v_add_u32_e32 v1, v6, v1
	v_lshrrev_b32_e32 v1, s7, v1
	s_addc_u32 s5, s5, 0
	v_mul_lo_u32 v3, v1, s8
	s_add_u32 s2, s2, 8
	v_sub_u32_e32 v3, v6, v3
	s_addc_u32 s3, s3, 0
	s_add_i32 s6, s6, -1
	v_mad_u64_u32 v[10:11], s[8:9], v3, s11, v[10:11]
	s_cmp_lg_u32 s6, 0
	v_mov_b32_e32 v6, v1
	v_mad_u64_u32 v[2:3], s[8:9], v3, s10, v[2:3]
	v_mov_b32_e32 v1, v10
	s_cbranch_scc1 .LBB141_42
.LBB141_43:
	s_cbranch_execnz .LBB141_46
.LBB141_44:
	s_load_dwordx4 s[4:7], s[34:35], 0x4
	s_load_dwordx2 s[2:3], s[34:35], 0xc4
	s_cmp_lt_u32 s33, 2
	s_waitcnt lgkmcnt(0)
	v_mul_hi_u32 v1, s5, v5
	v_add_u32_e32 v1, v5, v1
	v_lshrrev_b32_e32 v1, s6, v1
	v_mul_lo_u32 v2, v1, s4
	v_sub_u32_e32 v2, v5, v2
	v_mul_lo_u32 v10, v2, s3
	v_mul_lo_u32 v2, v2, s2
	s_cbranch_scc1 .LBB141_46
; %bb.45:
	s_load_dwordx4 s[4:7], s[34:35], 0x10
	s_load_dwordx2 s[2:3], s[34:35], 0xcc
	s_waitcnt lgkmcnt(0)
	v_mul_hi_u32 v3, s5, v1
	v_add_u32_e32 v3, v1, v3
	v_lshrrev_b32_e32 v3, s6, v3
	v_mul_lo_u32 v3, v3, s4
	v_sub_u32_e32 v1, v1, v3
	v_mad_u64_u32 v[2:3], s[4:5], v1, s2, v[2:3]
	v_mad_u64_u32 v[10:11], s[2:3], v1, s3, v[10:11]
.LBB141_46:
	s_and_b64 vcc, exec, s[0:1]
	v_add_u32_e32 v3, 0x100, v4
	s_cbranch_vccnz .LBB141_52
; %bb.47:
	s_cmp_lg_u32 s33, 0
	s_mov_b32 s30, 0
	s_cbranch_scc0 .LBB141_53
; %bb.48:
	s_min_u32 s31, s54, 15
	s_add_i32 s31, s31, 1
	s_cmp_eq_u32 s54, 2
	s_cbranch_scc1 .LBB141_54
; %bb.49:
	s_and_b32 s30, s31, 28
	s_add_u32 s2, s34, 0xc4
	s_addc_u32 s3, s35, 0
	s_mov_b32 s36, 0
	v_mov_b32_e32 v4, 0
	v_mov_b32_e32 v14, 0
	s_mov_b64 s[28:29], s[34:35]
	v_mov_b32_e32 v6, v3
.LBB141_50:                             ; =>This Inner Loop Header: Depth=1
	s_load_dwordx8 s[12:19], s[28:29], 0x4
	s_load_dwordx4 s[20:23], s[28:29], 0x24
	s_load_dwordx8 s[4:11], s[2:3], 0x0
	s_add_u32 s28, s28, 48
	s_addc_u32 s29, s29, 0
	s_waitcnt lgkmcnt(0)
	v_mul_hi_u32 v1, s13, v6
	v_add_u32_e32 v1, v6, v1
	v_lshrrev_b32_e32 v1, s14, v1
	v_mul_lo_u32 v5, v1, s12
	v_mul_hi_u32 v7, s16, v1
	v_sub_u32_e32 v5, v6, v5
	v_add_u32_e32 v6, v1, v7
	v_lshrrev_b32_e32 v6, s17, v6
	v_mul_lo_u32 v9, v6, s15
	v_mul_hi_u32 v11, s19, v6
	v_sub_u32_e32 v1, v1, v9
	v_add_u32_e32 v9, v6, v11
	v_mul_lo_u32 v7, v5, s5
	v_mul_lo_u32 v5, v5, s4
	;; [unrolled: 1-line block ×4, first 2 shown]
	v_lshrrev_b32_e32 v9, s20, v9
	v_add3_u32 v1, v5, v4, v1
	v_add3_u32 v4, v7, v14, v11
	v_mul_lo_u32 v5, v9, s18
	v_mul_hi_u32 v7, s22, v9
	v_sub_u32_e32 v5, v6, v5
	v_add_u32_e32 v6, v9, v7
	v_lshrrev_b32_e32 v6, s23, v6
	s_add_i32 s36, s36, 4
	v_mul_lo_u32 v11, v6, s21
	s_add_u32 s2, s2, 32
	v_sub_u32_e32 v9, v9, v11
	s_addc_u32 s3, s3, 0
	v_mul_lo_u32 v7, v5, s8
	v_mul_lo_u32 v5, v5, s9
	v_mul_lo_u32 v11, v9, s10
	v_mul_lo_u32 v9, v9, s11
	s_cmp_lg_u32 s30, s36
	v_add3_u32 v14, v5, v4, v9
	v_add3_u32 v4, v7, v1, v11
	s_cbranch_scc1 .LBB141_50
; %bb.51:
	v_mov_b32_e32 v1, v14
	s_and_b32 s6, s31, 3
	s_cmp_eq_u32 s6, 0
	s_cbranch_scc0 .LBB141_55
	s_branch .LBB141_57
.LBB141_52:
                                        ; implicit-def: $vgpr14
                                        ; implicit-def: $vgpr4
	s_branch .LBB141_58
.LBB141_53:
	v_mov_b32_e32 v14, 0
	v_mov_b32_e32 v4, 0
	s_branch .LBB141_57
.LBB141_54:
	v_mov_b32_e32 v4, 0
                                        ; implicit-def: $vgpr14
	v_mov_b32_e32 v1, v4
	v_mov_b32_e32 v6, v3
	s_and_b32 s6, s31, 3
	s_cmp_eq_u32 s6, 0
	s_cbranch_scc1 .LBB141_57
.LBB141_55:
	s_lshl_b32 s2, s30, 3
	s_add_u32 s2, s34, s2
	s_addc_u32 s3, s35, 0
	s_add_u32 s2, s2, 0xc4
	s_addc_u32 s3, s3, 0
	s_mul_i32 s4, s30, 12
	s_add_u32 s4, s34, s4
	s_addc_u32 s5, s35, 0
.LBB141_56:                             ; =>This Inner Loop Header: Depth=1
	s_load_dwordx2 s[8:9], s[4:5], 0x4
	s_load_dword s7, s[4:5], 0xc
	s_load_dwordx2 s[10:11], s[2:3], 0x0
	v_mov_b32_e32 v12, v1
	s_add_u32 s4, s4, 12
	s_waitcnt lgkmcnt(0)
	v_mul_hi_u32 v1, s9, v6
	v_add_u32_e32 v1, v6, v1
	v_lshrrev_b32_e32 v1, s7, v1
	s_addc_u32 s5, s5, 0
	v_mul_lo_u32 v5, v1, s8
	s_add_u32 s2, s2, 8
	v_sub_u32_e32 v5, v6, v5
	s_addc_u32 s3, s3, 0
	s_add_i32 s6, s6, -1
	v_mad_u64_u32 v[14:15], s[8:9], v5, s11, v[12:13]
	s_cmp_lg_u32 s6, 0
	v_mov_b32_e32 v6, v1
	v_mad_u64_u32 v[4:5], s[8:9], v5, s10, v[4:5]
	v_mov_b32_e32 v1, v14
	s_cbranch_scc1 .LBB141_56
.LBB141_57:
	s_cbranch_execnz .LBB141_60
.LBB141_58:
	s_load_dwordx4 s[4:7], s[34:35], 0x4
	s_load_dwordx2 s[2:3], s[34:35], 0xc4
	s_cmp_lt_u32 s33, 2
	s_waitcnt lgkmcnt(0)
	v_mul_hi_u32 v1, s5, v3
	v_add_u32_e32 v1, v3, v1
	v_lshrrev_b32_e32 v1, s6, v1
	v_mul_lo_u32 v4, v1, s4
	v_sub_u32_e32 v3, v3, v4
	v_mul_lo_u32 v14, v3, s3
	v_mul_lo_u32 v4, v3, s2
	s_cbranch_scc1 .LBB141_60
; %bb.59:
	s_load_dwordx4 s[4:7], s[34:35], 0x10
	s_load_dwordx2 s[2:3], s[34:35], 0xcc
	s_waitcnt lgkmcnt(0)
	v_mul_hi_u32 v3, s5, v1
	v_add_u32_e32 v3, v1, v3
	v_lshrrev_b32_e32 v3, s6, v3
	v_mul_lo_u32 v3, v3, s4
	v_sub_u32_e32 v1, v1, v3
	v_mad_u64_u32 v[4:5], s[4:5], v1, s2, v[4:5]
	v_mad_u64_u32 v[14:15], s[2:3], v1, s3, v[14:15]
.LBB141_60:
	s_and_b64 vcc, exec, s[0:1]
	s_cbranch_vccnz .LBB141_66
; %bb.61:
	s_cmp_lg_u32 s33, 0
	s_mov_b32 s28, 0
	s_cbranch_scc0 .LBB141_67
; %bb.62:
	s_min_u32 s29, s54, 15
	s_add_i32 s29, s29, 1
	s_cmp_eq_u32 s54, 2
	s_cbranch_scc1 .LBB141_68
; %bb.63:
	s_and_b32 s28, s29, 28
	s_add_u32 s20, s34, 0xc4
	s_addc_u32 s21, s35, 0
	s_mov_b32 s30, 0
	v_mov_b32_e32 v6, 0
	v_mov_b32_e32 v12, 0
	s_mov_b64 s[22:23], s[34:35]
	v_mov_b32_e32 v3, v16
.LBB141_64:                             ; =>This Inner Loop Header: Depth=1
	s_load_dwordx8 s[8:15], s[22:23], 0x4
	s_load_dwordx4 s[16:19], s[22:23], 0x24
	s_load_dwordx8 s[0:7], s[20:21], 0x0
	s_add_u32 s22, s22, 48
	s_addc_u32 s23, s23, 0
	s_waitcnt lgkmcnt(0)
	v_mul_hi_u32 v1, s9, v3
	v_add_u32_e32 v1, v3, v1
	v_lshrrev_b32_e32 v1, s10, v1
	v_mul_lo_u32 v5, v1, s8
	v_mul_hi_u32 v7, s12, v1
	v_sub_u32_e32 v3, v3, v5
	v_add_u32_e32 v5, v1, v7
	v_lshrrev_b32_e32 v5, s13, v5
	v_mul_lo_u32 v9, v5, s11
	v_mul_hi_u32 v11, s15, v5
	v_sub_u32_e32 v1, v1, v9
	v_add_u32_e32 v9, v5, v11
	v_mul_lo_u32 v7, v3, s1
	v_mul_lo_u32 v3, v3, s0
	;; [unrolled: 1-line block ×4, first 2 shown]
	v_lshrrev_b32_e32 v9, s16, v9
	v_add3_u32 v1, v3, v6, v1
	v_add3_u32 v6, v7, v12, v11
	v_mul_lo_u32 v3, v9, s14
	v_mul_hi_u32 v7, s18, v9
	v_sub_u32_e32 v3, v5, v3
	v_add_u32_e32 v5, v9, v7
	v_mul_lo_u32 v7, v3, s4
	v_mul_lo_u32 v11, v3, s5
	v_lshrrev_b32_e32 v3, s19, v5
	s_add_i32 s30, s30, 4
	v_mul_lo_u32 v5, v3, s17
	s_add_u32 s20, s20, 32
	v_sub_u32_e32 v5, v9, v5
	s_addc_u32 s21, s21, 0
	v_mul_lo_u32 v9, v5, s6
	v_mul_lo_u32 v5, v5, s7
	s_cmp_lg_u32 s28, s30
	v_add3_u32 v12, v11, v6, v5
	v_add3_u32 v6, v7, v1, v9
	s_cbranch_scc1 .LBB141_64
; %bb.65:
	v_mov_b32_e32 v1, v12
	s_and_b32 s4, s29, 3
	s_cmp_eq_u32 s4, 0
	s_cbranch_scc0 .LBB141_69
	s_branch .LBB141_71
.LBB141_66:
                                        ; implicit-def: $vgpr12
                                        ; implicit-def: $vgpr6
	s_branch .LBB141_72
.LBB141_67:
	v_mov_b32_e32 v12, 0
	v_mov_b32_e32 v6, 0
	s_branch .LBB141_71
.LBB141_68:
	v_mov_b32_e32 v6, 0
                                        ; implicit-def: $vgpr12
	v_mov_b32_e32 v1, v6
	v_mov_b32_e32 v3, v16
	s_and_b32 s4, s29, 3
	s_cmp_eq_u32 s4, 0
	s_cbranch_scc1 .LBB141_71
.LBB141_69:
	s_lshl_b32 s0, s28, 3
	s_add_u32 s0, s34, s0
	s_addc_u32 s1, s35, 0
	s_add_u32 s0, s0, 0xc4
	s_addc_u32 s1, s1, 0
	s_mul_i32 s2, s28, 12
	s_add_u32 s2, s34, s2
	s_addc_u32 s3, s35, 0
.LBB141_70:                             ; =>This Inner Loop Header: Depth=1
	s_load_dwordx2 s[6:7], s[2:3], 0x4
	s_load_dword s5, s[2:3], 0xc
	s_load_dwordx2 s[8:9], s[0:1], 0x0
	v_mov_b32_e32 v12, v1
	s_add_u32 s2, s2, 12
	s_waitcnt lgkmcnt(0)
	v_mul_hi_u32 v1, s7, v3
	v_add_u32_e32 v1, v3, v1
	v_lshrrev_b32_e32 v1, s5, v1
	s_addc_u32 s3, s3, 0
	v_mul_lo_u32 v5, v1, s6
	s_add_u32 s0, s0, 8
	v_sub_u32_e32 v5, v3, v5
	s_addc_u32 s1, s1, 0
	s_add_i32 s4, s4, -1
	v_mad_u64_u32 v[12:13], s[6:7], v5, s9, v[12:13]
	s_cmp_lg_u32 s4, 0
	v_mov_b32_e32 v3, v1
	v_mad_u64_u32 v[6:7], s[6:7], v5, s8, v[6:7]
	v_mov_b32_e32 v1, v12
	s_cbranch_scc1 .LBB141_70
.LBB141_71:
	s_cbranch_execnz .LBB141_74
.LBB141_72:
	s_load_dwordx4 s[0:3], s[34:35], 0x4
	s_load_dwordx2 s[4:5], s[34:35], 0xc4
	s_cmp_lt_u32 s33, 2
	s_waitcnt lgkmcnt(0)
	v_mul_hi_u32 v1, s1, v16
	v_add_u32_e32 v1, v16, v1
	v_lshrrev_b32_e32 v1, s2, v1
	v_mul_lo_u32 v3, v1, s0
	v_sub_u32_e32 v3, v16, v3
	v_mul_lo_u32 v12, v3, s5
	v_mul_lo_u32 v6, v3, s4
	s_cbranch_scc1 .LBB141_74
; %bb.73:
	s_load_dwordx4 s[0:3], s[34:35], 0x10
	s_load_dwordx2 s[4:5], s[34:35], 0xcc
	s_waitcnt lgkmcnt(0)
	v_mul_hi_u32 v3, s1, v1
	v_add_u32_e32 v3, v1, v3
	v_lshrrev_b32_e32 v3, s2, v3
	v_mul_lo_u32 v3, v3, s0
	v_sub_u32_e32 v1, v1, v3
	v_mad_u64_u32 v[6:7], s[0:1], v1, s4, v[6:7]
	v_mad_u64_u32 v[12:13], s[0:1], v1, s5, v[12:13]
.LBB141_74:
	s_load_dwordx4 s[8:11], s[34:35], 0x148
	s_brev_b32 s0, 18
                                        ; implicit-def: $vgpr7
                                        ; implicit-def: $vgpr5
	s_waitcnt lgkmcnt(0)
	global_load_dwordx2 v[8:9], v8, s[10:11]
	s_waitcnt vmcnt(0)
	v_mul_f32_e32 v1, 0.5, v9
	v_and_b32_e32 v3, 0x7fffffff, v1
	v_cmp_nlt_f32_e64 s[0:1], |v1|, s0
	s_and_saveexec_b64 s[2:3], s[0:1]
	s_xor_b64 s[6:7], exec, s[2:3]
	s_cbranch_execz .LBB141_76
; %bb.75:
	v_lshrrev_b32_e32 v5, 23, v3
	v_add_u32_e32 v5, 0xffffff88, v5
	v_not_b32_e32 v7, 63
	v_cmp_lt_u32_e32 vcc, 63, v5
	s_mov_b32 s4, 0xfe5163ab
	v_mov_b32_e32 v19, 0
	v_cndmask_b32_e32 v7, 0, v7, vcc
	v_add_u32_e32 v5, v7, v5
	v_not_b32_e32 v7, 31
	v_cmp_lt_u32_e64 s[0:1], 31, v5
	s_nop 1
	v_cndmask_b32_e64 v11, 0, v7, s[0:1]
	v_add_u32_e32 v5, v11, v5
	v_cmp_lt_u32_e64 s[2:3], 31, v5
	s_nop 1
	v_cndmask_b32_e64 v7, 0, v7, s[2:3]
	v_add_u32_e32 v5, v7, v5
	v_and_b32_e32 v7, 0x7fffff, v3
	v_or_b32_e32 v7, 0x800000, v7
	v_mad_u64_u32 v[16:17], s[4:5], v7, s4, 0
	v_mov_b32_e32 v18, v17
	s_mov_b32 s4, 0x3c439041
	v_mad_u64_u32 v[20:21], s[4:5], v7, s4, v[18:19]
	v_mov_b32_e32 v18, v21
	s_mov_b32 s4, 0xdb629599
	;; [unrolled: 3-line block ×6, first 2 shown]
	v_mad_u64_u32 v[18:19], s[4:5], v7, s4, v[18:19]
	v_cndmask_b32_e32 v11, v28, v24, vcc
	v_cndmask_b32_e32 v7, v18, v26, vcc
	;; [unrolled: 1-line block ×3, first 2 shown]
	v_cndmask_b32_e64 v13, v7, v11, s[0:1]
	v_cndmask_b32_e64 v7, v15, v7, s[0:1]
	v_cndmask_b32_e32 v15, v26, v22, vcc
	v_cndmask_b32_e64 v11, v11, v15, s[0:1]
	v_sub_u32_e32 v17, 32, v5
	v_cmp_eq_u32_e64 s[4:5], 0, v5
	v_cndmask_b32_e32 v5, v24, v20, vcc
	v_cndmask_b32_e64 v7, v7, v13, s[2:3]
	v_cndmask_b32_e64 v13, v13, v11, s[2:3]
	;; [unrolled: 1-line block ×3, first 2 shown]
	v_alignbit_b32 v18, v7, v13, v17
	v_cndmask_b32_e64 v11, v11, v15, s[2:3]
	v_cndmask_b32_e64 v7, v18, v7, s[4:5]
	v_alignbit_b32 v18, v13, v11, v17
	v_cndmask_b32_e32 v16, v22, v16, vcc
	v_cndmask_b32_e64 v13, v18, v13, s[4:5]
	v_bfe_u32 v20, v7, 29, 1
	v_cndmask_b32_e64 v5, v5, v16, s[0:1]
	v_alignbit_b32 v18, v7, v13, 30
	v_sub_u32_e32 v21, 0, v20
	v_cndmask_b32_e64 v5, v15, v5, s[2:3]
	v_xor_b32_e32 v18, v18, v21
	v_alignbit_b32 v15, v11, v5, v17
	v_cndmask_b32_e64 v11, v15, v11, s[4:5]
	v_ffbh_u32_e32 v15, v18
	v_alignbit_b32 v13, v13, v11, 30
	v_min_u32_e32 v15, 32, v15
	v_alignbit_b32 v5, v11, v5, 30
	v_xor_b32_e32 v13, v13, v21
	v_sub_u32_e32 v16, 31, v15
	v_xor_b32_e32 v5, v5, v21
	v_alignbit_b32 v17, v18, v13, v16
	v_alignbit_b32 v5, v13, v5, v16
	;; [unrolled: 1-line block ×3, first 2 shown]
	v_ffbh_u32_e32 v13, v11
	v_min_u32_e32 v13, 32, v13
	v_lshrrev_b32_e32 v19, 29, v7
	v_not_b32_e32 v16, v13
	v_alignbit_b32 v5, v11, v5, v16
	v_lshlrev_b32_e32 v11, 31, v19
	v_or_b32_e32 v16, 0x33000000, v11
	v_add_lshl_u32 v13, v13, v15, 23
	v_lshrrev_b32_e32 v5, 9, v5
	v_sub_u32_e32 v13, v16, v13
	v_or_b32_e32 v11, 0.5, v11
	v_lshlrev_b32_e32 v15, 23, v15
	v_or_b32_e32 v5, v13, v5
	v_lshrrev_b32_e32 v13, 9, v17
	v_sub_u32_e32 v11, v11, v15
	v_or_b32_e32 v11, v13, v11
	s_mov_b32 s0, 0x3fc90fda
	v_mul_f32_e32 v13, 0x3fc90fda, v11
	v_fma_f32 v15, v11, s0, -v13
	v_fmamk_f32 v11, v11, 0x33a22168, v15
	v_fmac_f32_e32 v11, 0x3fc90fda, v5
	v_lshrrev_b32_e32 v7, 30, v7
	v_add_f32_e32 v5, v13, v11
	v_add_u32_e32 v7, v20, v7
.LBB141_76:
	s_andn2_saveexec_b64 s[0:1], s[6:7]
	s_cbranch_execz .LBB141_78
; %bb.77:
	s_mov_b32 s2, 0x3f22f983
	v_mul_f32_e64 v5, |v1|, s2
	v_rndne_f32_e32 v5, v5
	s_mov_b32 s2, 0xbfc90fda
	v_cvt_i32_f32_e32 v7, v5
	v_fma_f32 v11, v5, s2, |v1|
	v_fmamk_f32 v11, v5, 0xb3a22168, v11
	v_fmamk_f32 v5, v5, 0xa7c234c4, v11
.LBB141_78:
	s_or_b64 exec, exec, s[0:1]
	s_brev_b32 s0, 18
	v_and_b32_e32 v17, 0x7fffffff, v9
	v_cmp_nlt_f32_e64 s[6:7], |v9|, s0
                                        ; implicit-def: $vgpr18
                                        ; implicit-def: $vgpr16
	s_and_saveexec_b64 s[0:1], s[6:7]
	s_xor_b64 s[12:13], exec, s[0:1]
	s_cbranch_execz .LBB141_80
; %bb.79:
	v_lshrrev_b32_e32 v11, 23, v17
	v_add_u32_e32 v11, 0xffffff88, v11
	v_not_b32_e32 v13, 63
	v_cmp_lt_u32_e32 vcc, 63, v11
	s_mov_b32 s4, 0xfe5163ab
	v_mov_b32_e32 v21, 0
	v_cndmask_b32_e32 v13, 0, v13, vcc
	v_add_u32_e32 v11, v13, v11
	v_not_b32_e32 v13, 31
	v_cmp_lt_u32_e64 s[0:1], 31, v11
	s_nop 1
	v_cndmask_b32_e64 v15, 0, v13, s[0:1]
	v_add_u32_e32 v11, v15, v11
	v_cmp_lt_u32_e64 s[2:3], 31, v11
	s_nop 1
	v_cndmask_b32_e64 v13, 0, v13, s[2:3]
	v_add_u32_e32 v11, v13, v11
	v_and_b32_e32 v13, 0x7fffff, v17
	v_or_b32_e32 v13, 0x800000, v13
	v_mad_u64_u32 v[18:19], s[4:5], v13, s4, 0
	v_mov_b32_e32 v20, v19
	s_mov_b32 s4, 0x3c439041
	v_mad_u64_u32 v[22:23], s[4:5], v13, s4, v[20:21]
	v_mov_b32_e32 v20, v23
	s_mov_b32 s4, 0xdb629599
	;; [unrolled: 3-line block ×6, first 2 shown]
	v_mad_u64_u32 v[20:21], s[4:5], v13, s4, v[20:21]
	v_cndmask_b32_e32 v15, v30, v26, vcc
	v_cndmask_b32_e32 v13, v20, v28, vcc
	;; [unrolled: 1-line block ×3, first 2 shown]
	v_cndmask_b32_e64 v16, v13, v15, s[0:1]
	v_cndmask_b32_e64 v13, v19, v13, s[0:1]
	v_cndmask_b32_e32 v19, v28, v24, vcc
	v_cndmask_b32_e64 v15, v15, v19, s[0:1]
	v_cndmask_b32_e64 v13, v13, v16, s[2:3]
	;; [unrolled: 1-line block ×3, first 2 shown]
	v_sub_u32_e32 v20, 32, v11
	v_alignbit_b32 v21, v13, v16, v20
	v_cmp_eq_u32_e64 s[4:5], 0, v11
	v_cndmask_b32_e32 v18, v24, v18, vcc
	s_nop 0
	v_cndmask_b32_e64 v11, v21, v13, s[4:5]
	v_cndmask_b32_e32 v13, v26, v22, vcc
	v_cndmask_b32_e64 v19, v19, v13, s[0:1]
	v_cndmask_b32_e64 v15, v15, v19, s[2:3]
	v_alignbit_b32 v21, v16, v15, v20
	v_cndmask_b32_e64 v16, v21, v16, s[4:5]
	v_bfe_u32 v23, v11, 29, 1
	v_cndmask_b32_e64 v13, v13, v18, s[0:1]
	v_alignbit_b32 v21, v11, v16, 30
	v_sub_u32_e32 v25, 0, v23
	v_cndmask_b32_e64 v13, v19, v13, s[2:3]
	v_xor_b32_e32 v21, v21, v25
	v_alignbit_b32 v18, v15, v13, v20
	v_cndmask_b32_e64 v15, v18, v15, s[4:5]
	v_ffbh_u32_e32 v18, v21
	v_alignbit_b32 v16, v16, v15, 30
	v_min_u32_e32 v18, 32, v18
	v_alignbit_b32 v13, v15, v13, 30
	v_xor_b32_e32 v16, v16, v25
	v_sub_u32_e32 v19, 31, v18
	v_xor_b32_e32 v13, v13, v25
	v_alignbit_b32 v20, v21, v16, v19
	v_alignbit_b32 v13, v16, v13, v19
	;; [unrolled: 1-line block ×3, first 2 shown]
	v_ffbh_u32_e32 v16, v15
	v_min_u32_e32 v16, 32, v16
	v_lshrrev_b32_e32 v22, 29, v11
	v_not_b32_e32 v19, v16
	v_alignbit_b32 v13, v15, v13, v19
	v_lshlrev_b32_e32 v15, 31, v22
	v_or_b32_e32 v19, 0x33000000, v15
	v_add_lshl_u32 v16, v16, v18, 23
	v_lshrrev_b32_e32 v13, 9, v13
	v_sub_u32_e32 v16, v19, v16
	v_or_b32_e32 v15, 0.5, v15
	v_lshlrev_b32_e32 v18, 23, v18
	v_or_b32_e32 v13, v16, v13
	v_lshrrev_b32_e32 v16, 9, v20
	v_sub_u32_e32 v15, v15, v18
	v_or_b32_e32 v15, v16, v15
	s_mov_b32 s0, 0x3fc90fda
	v_mul_f32_e32 v16, 0x3fc90fda, v15
	v_fma_f32 v18, v15, s0, -v16
	v_fmamk_f32 v15, v15, 0x33a22168, v18
	v_fmac_f32_e32 v15, 0x3fc90fda, v13
	v_lshrrev_b32_e32 v11, 30, v11
	v_add_f32_e32 v16, v16, v15
	v_add_u32_e32 v18, v23, v11
	s_andn2_saveexec_b64 s[0:1], s[12:13]
	s_cbranch_execz .LBB141_82
	s_branch .LBB141_81
.LBB141_80:
	s_andn2_saveexec_b64 s[0:1], s[12:13]
	s_cbranch_execz .LBB141_82
.LBB141_81:
	s_mov_b32 s2, 0x3f22f983
	v_mul_f32_e64 v11, |v9|, s2
	v_rndne_f32_e32 v11, v11
	s_mov_b32 s2, 0xbfc90fda
	v_cvt_i32_f32_e32 v18, v11
	v_fma_f32 v13, v11, s2, |v9|
	v_fmamk_f32 v13, v11, 0xb3a22168, v13
	v_fmamk_f32 v16, v11, 0xa7c234c4, v13
.LBB141_82:
	s_or_b64 exec, exec, s[0:1]
                                        ; implicit-def: $vgpr19
                                        ; implicit-def: $vgpr20
	s_and_saveexec_b64 s[0:1], s[6:7]
	s_xor_b64 s[6:7], exec, s[0:1]
	s_cbranch_execz .LBB141_84
; %bb.83:
	v_lshrrev_b32_e32 v11, 23, v17
	v_add_u32_e32 v11, 0xffffff88, v11
	v_not_b32_e32 v13, 63
	v_cmp_lt_u32_e32 vcc, 63, v11
	s_mov_b32 s4, 0xfe5163ab
	v_mov_b32_e32 v23, 0
	v_cndmask_b32_e32 v13, 0, v13, vcc
	v_add_u32_e32 v11, v13, v11
	v_not_b32_e32 v13, 31
	v_cmp_lt_u32_e64 s[0:1], 31, v11
	s_nop 1
	v_cndmask_b32_e64 v15, 0, v13, s[0:1]
	v_add_u32_e32 v11, v15, v11
	v_cmp_lt_u32_e64 s[2:3], 31, v11
	s_nop 1
	v_cndmask_b32_e64 v13, 0, v13, s[2:3]
	v_add_u32_e32 v11, v13, v11
	v_and_b32_e32 v13, 0x7fffff, v17
	v_or_b32_e32 v13, 0x800000, v13
	v_mad_u64_u32 v[20:21], s[4:5], v13, s4, 0
	v_mov_b32_e32 v22, v21
	s_mov_b32 s4, 0x3c439041
	v_mad_u64_u32 v[24:25], s[4:5], v13, s4, v[22:23]
	v_mov_b32_e32 v22, v25
	s_mov_b32 s4, 0xdb629599
	;; [unrolled: 3-line block ×6, first 2 shown]
	v_mad_u64_u32 v[22:23], s[4:5], v13, s4, v[22:23]
	v_cndmask_b32_e32 v15, v32, v28, vcc
	v_cndmask_b32_e32 v13, v22, v30, vcc
	;; [unrolled: 1-line block ×3, first 2 shown]
	v_cndmask_b32_e64 v19, v13, v15, s[0:1]
	v_cndmask_b32_e64 v13, v21, v13, s[0:1]
	v_cndmask_b32_e32 v21, v30, v26, vcc
	v_cndmask_b32_e64 v15, v15, v21, s[0:1]
	v_cndmask_b32_e64 v13, v13, v19, s[2:3]
	;; [unrolled: 1-line block ×3, first 2 shown]
	v_sub_u32_e32 v22, 32, v11
	v_alignbit_b32 v23, v13, v19, v22
	v_cmp_eq_u32_e64 s[4:5], 0, v11
	v_cndmask_b32_e32 v20, v26, v20, vcc
	s_nop 0
	v_cndmask_b32_e64 v11, v23, v13, s[4:5]
	v_cndmask_b32_e32 v13, v28, v24, vcc
	v_cndmask_b32_e64 v21, v21, v13, s[0:1]
	v_cndmask_b32_e64 v15, v15, v21, s[2:3]
	v_alignbit_b32 v23, v19, v15, v22
	v_cndmask_b32_e64 v19, v23, v19, s[4:5]
	v_bfe_u32 v25, v11, 29, 1
	v_cndmask_b32_e64 v13, v13, v20, s[0:1]
	v_alignbit_b32 v23, v11, v19, 30
	v_sub_u32_e32 v27, 0, v25
	v_cndmask_b32_e64 v13, v21, v13, s[2:3]
	v_xor_b32_e32 v23, v23, v27
	v_alignbit_b32 v20, v15, v13, v22
	v_cndmask_b32_e64 v15, v20, v15, s[4:5]
	v_ffbh_u32_e32 v20, v23
	v_alignbit_b32 v19, v19, v15, 30
	v_min_u32_e32 v20, 32, v20
	v_alignbit_b32 v13, v15, v13, 30
	v_xor_b32_e32 v19, v19, v27
	v_sub_u32_e32 v21, 31, v20
	v_xor_b32_e32 v13, v13, v27
	v_alignbit_b32 v22, v23, v19, v21
	v_alignbit_b32 v13, v19, v13, v21
	;; [unrolled: 1-line block ×3, first 2 shown]
	v_ffbh_u32_e32 v19, v15
	v_min_u32_e32 v19, 32, v19
	v_lshrrev_b32_e32 v24, 29, v11
	v_not_b32_e32 v21, v19
	v_alignbit_b32 v13, v15, v13, v21
	v_lshlrev_b32_e32 v15, 31, v24
	v_or_b32_e32 v21, 0x33000000, v15
	v_add_lshl_u32 v19, v19, v20, 23
	v_lshrrev_b32_e32 v13, 9, v13
	v_sub_u32_e32 v19, v21, v19
	v_or_b32_e32 v15, 0.5, v15
	v_lshlrev_b32_e32 v20, 23, v20
	v_or_b32_e32 v13, v19, v13
	v_lshrrev_b32_e32 v19, 9, v22
	v_sub_u32_e32 v15, v15, v20
	v_or_b32_e32 v15, v19, v15
	s_mov_b32 s0, 0x3fc90fda
	v_mul_f32_e32 v19, 0x3fc90fda, v15
	v_fma_f32 v20, v15, s0, -v19
	v_fmamk_f32 v15, v15, 0x33a22168, v20
	v_fmac_f32_e32 v15, 0x3fc90fda, v13
	v_lshrrev_b32_e32 v11, 30, v11
	v_add_f32_e32 v20, v19, v15
	v_add_u32_e32 v19, v25, v11
	s_andn2_saveexec_b64 s[0:1], s[6:7]
	s_cbranch_execnz .LBB141_85
	s_branch .LBB141_86
.LBB141_84:
	s_andn2_saveexec_b64 s[0:1], s[6:7]
	s_cbranch_execz .LBB141_86
.LBB141_85:
	s_mov_b32 s2, 0x3f22f983
	v_mul_f32_e64 v11, |v9|, s2
	v_rndne_f32_e32 v11, v11
	s_mov_b32 s2, 0xbfc90fda
	v_cvt_i32_f32_e32 v19, v11
	v_fma_f32 v13, v11, s2, |v9|
	v_fmamk_f32 v13, v11, 0xb3a22168, v13
	v_fmamk_f32 v20, v11, 0xa7c234c4, v13
.LBB141_86:
	s_or_b64 exec, exec, s[0:1]
	global_load_dwordx2 v[10:11], v10, s[10:11]
	s_brev_b32 s0, 18
                                        ; implicit-def: $vgpr24
                                        ; implicit-def: $vgpr23
	s_waitcnt vmcnt(0)
	v_mul_f32_e32 v21, 0.5, v11
	v_and_b32_e32 v22, 0x7fffffff, v21
	v_cmp_nlt_f32_e64 s[0:1], |v21|, s0
	s_and_saveexec_b64 s[2:3], s[0:1]
	s_xor_b64 s[6:7], exec, s[2:3]
	s_cbranch_execz .LBB141_88
; %bb.87:
	v_lshrrev_b32_e32 v13, 23, v22
	v_add_u32_e32 v13, 0xffffff88, v13
	v_not_b32_e32 v15, 63
	v_cmp_lt_u32_e32 vcc, 63, v13
	s_mov_b32 s4, 0xfe5163ab
	v_mov_b32_e32 v27, 0
	v_cndmask_b32_e32 v15, 0, v15, vcc
	v_add_u32_e32 v13, v15, v13
	v_not_b32_e32 v15, 31
	v_cmp_lt_u32_e64 s[0:1], 31, v13
	s_nop 1
	v_cndmask_b32_e64 v23, 0, v15, s[0:1]
	v_add_u32_e32 v13, v23, v13
	v_cmp_lt_u32_e64 s[2:3], 31, v13
	s_nop 1
	v_cndmask_b32_e64 v15, 0, v15, s[2:3]
	v_add_u32_e32 v13, v15, v13
	v_and_b32_e32 v15, 0x7fffff, v22
	v_or_b32_e32 v15, 0x800000, v15
	v_mad_u64_u32 v[24:25], s[4:5], v15, s4, 0
	v_mov_b32_e32 v26, v25
	s_mov_b32 s4, 0x3c439041
	v_mad_u64_u32 v[28:29], s[4:5], v15, s4, v[26:27]
	v_mov_b32_e32 v26, v29
	s_mov_b32 s4, 0xdb629599
	;; [unrolled: 3-line block ×6, first 2 shown]
	v_mad_u64_u32 v[26:27], s[4:5], v15, s4, v[26:27]
	v_cndmask_b32_e32 v23, v36, v32, vcc
	v_cndmask_b32_e32 v15, v26, v34, vcc
	;; [unrolled: 1-line block ×3, first 2 shown]
	v_cndmask_b32_e64 v25, v15, v23, s[0:1]
	v_cndmask_b32_e64 v15, v26, v15, s[0:1]
	v_cndmask_b32_e32 v26, v34, v30, vcc
	v_cndmask_b32_e64 v23, v23, v26, s[0:1]
	v_cndmask_b32_e64 v15, v15, v25, s[2:3]
	;; [unrolled: 1-line block ×3, first 2 shown]
	v_sub_u32_e32 v27, 32, v13
	v_alignbit_b32 v29, v15, v25, v27
	v_cmp_eq_u32_e64 s[4:5], 0, v13
	v_cndmask_b32_e32 v24, v30, v24, vcc
	s_nop 0
	v_cndmask_b32_e64 v13, v29, v15, s[4:5]
	v_cndmask_b32_e32 v15, v32, v28, vcc
	v_cndmask_b32_e64 v26, v26, v15, s[0:1]
	v_cndmask_b32_e64 v23, v23, v26, s[2:3]
	v_alignbit_b32 v28, v25, v23, v27
	v_cndmask_b32_e64 v15, v15, v24, s[0:1]
	v_cndmask_b32_e64 v25, v28, v25, s[4:5]
	v_bfe_u32 v31, v13, 29, 1
	v_cndmask_b32_e64 v15, v26, v15, s[2:3]
	v_alignbit_b32 v28, v13, v25, 30
	v_sub_u32_e32 v32, 0, v31
	v_alignbit_b32 v24, v23, v15, v27
	v_xor_b32_e32 v28, v28, v32
	v_cndmask_b32_e64 v23, v24, v23, s[4:5]
	v_alignbit_b32 v24, v25, v23, 30
	v_ffbh_u32_e32 v25, v28
	v_min_u32_e32 v25, 32, v25
	v_alignbit_b32 v15, v23, v15, 30
	v_xor_b32_e32 v24, v24, v32
	v_sub_u32_e32 v26, 31, v25
	v_xor_b32_e32 v15, v15, v32
	v_alignbit_b32 v27, v28, v24, v26
	v_alignbit_b32 v15, v24, v15, v26
	;; [unrolled: 1-line block ×3, first 2 shown]
	v_ffbh_u32_e32 v24, v23
	v_min_u32_e32 v24, 32, v24
	v_lshrrev_b32_e32 v29, 29, v13
	v_not_b32_e32 v26, v24
	v_alignbit_b32 v15, v23, v15, v26
	v_lshlrev_b32_e32 v23, 31, v29
	v_or_b32_e32 v26, 0x33000000, v23
	v_add_lshl_u32 v24, v24, v25, 23
	v_lshrrev_b32_e32 v15, 9, v15
	v_sub_u32_e32 v24, v26, v24
	v_or_b32_e32 v23, 0.5, v23
	v_lshlrev_b32_e32 v25, 23, v25
	v_or_b32_e32 v15, v24, v15
	v_lshrrev_b32_e32 v24, 9, v27
	v_sub_u32_e32 v23, v23, v25
	v_or_b32_e32 v23, v24, v23
	s_mov_b32 s0, 0x3fc90fda
	v_mul_f32_e32 v24, 0x3fc90fda, v23
	v_fma_f32 v25, v23, s0, -v24
	v_fmamk_f32 v23, v23, 0x33a22168, v25
	v_fmac_f32_e32 v23, 0x3fc90fda, v15
	v_lshrrev_b32_e32 v13, 30, v13
	v_add_f32_e32 v23, v24, v23
	v_add_u32_e32 v24, v31, v13
.LBB141_88:
	s_andn2_saveexec_b64 s[0:1], s[6:7]
	s_cbranch_execz .LBB141_90
; %bb.89:
	s_mov_b32 s2, 0x3f22f983
	v_mul_f32_e64 v13, |v21|, s2
	v_rndne_f32_e32 v13, v13
	s_mov_b32 s2, 0xbfc90fda
	v_cvt_i32_f32_e32 v24, v13
	v_fma_f32 v15, v13, s2, |v21|
	v_fmamk_f32 v15, v13, 0xb3a22168, v15
	v_fmamk_f32 v23, v13, 0xa7c234c4, v15
.LBB141_90:
	s_or_b64 exec, exec, s[0:1]
	s_brev_b32 s0, 18
	v_and_b32_e32 v25, 0x7fffffff, v11
	v_cmp_nlt_f32_e64 s[6:7], |v11|, s0
                                        ; implicit-def: $vgpr27
                                        ; implicit-def: $vgpr26
	s_and_saveexec_b64 s[0:1], s[6:7]
	s_xor_b64 s[12:13], exec, s[0:1]
	s_cbranch_execz .LBB141_92
; %bb.91:
	v_lshrrev_b32_e32 v13, 23, v25
	v_add_u32_e32 v13, 0xffffff88, v13
	v_not_b32_e32 v15, 63
	v_cmp_lt_u32_e32 vcc, 63, v13
	s_mov_b32 s4, 0xfe5163ab
	v_mov_b32_e32 v29, 0
	v_cndmask_b32_e32 v15, 0, v15, vcc
	v_add_u32_e32 v13, v15, v13
	v_not_b32_e32 v15, 31
	v_cmp_lt_u32_e64 s[0:1], 31, v13
	s_nop 1
	v_cndmask_b32_e64 v26, 0, v15, s[0:1]
	v_add_u32_e32 v13, v26, v13
	v_cmp_lt_u32_e64 s[2:3], 31, v13
	s_nop 1
	v_cndmask_b32_e64 v15, 0, v15, s[2:3]
	v_add_u32_e32 v13, v15, v13
	v_and_b32_e32 v15, 0x7fffff, v25
	v_or_b32_e32 v15, 0x800000, v15
	v_mad_u64_u32 v[26:27], s[4:5], v15, s4, 0
	v_mov_b32_e32 v28, v27
	s_mov_b32 s4, 0x3c439041
	v_mad_u64_u32 v[30:31], s[4:5], v15, s4, v[28:29]
	v_mov_b32_e32 v28, v31
	s_mov_b32 s4, 0xdb629599
	;; [unrolled: 3-line block ×6, first 2 shown]
	v_mad_u64_u32 v[28:29], s[4:5], v15, s4, v[28:29]
	v_cndmask_b32_e32 v27, v38, v34, vcc
	v_cndmask_b32_e32 v15, v28, v36, vcc
	;; [unrolled: 1-line block ×3, first 2 shown]
	v_cndmask_b32_e64 v28, v15, v27, s[0:1]
	v_cndmask_b32_e64 v15, v29, v15, s[0:1]
	v_cndmask_b32_e32 v29, v36, v32, vcc
	v_cndmask_b32_e64 v27, v27, v29, s[0:1]
	v_cndmask_b32_e64 v15, v15, v28, s[2:3]
	;; [unrolled: 1-line block ×3, first 2 shown]
	v_sub_u32_e32 v31, 32, v13
	v_alignbit_b32 v33, v15, v28, v31
	v_cmp_eq_u32_e64 s[4:5], 0, v13
	v_cndmask_b32_e32 v26, v32, v26, vcc
	s_nop 0
	v_cndmask_b32_e64 v13, v33, v15, s[4:5]
	v_cndmask_b32_e32 v15, v34, v30, vcc
	v_cndmask_b32_e64 v29, v29, v15, s[0:1]
	v_cndmask_b32_e64 v27, v27, v29, s[2:3]
	v_alignbit_b32 v30, v28, v27, v31
	v_cndmask_b32_e64 v15, v15, v26, s[0:1]
	v_cndmask_b32_e64 v28, v30, v28, s[4:5]
	v_bfe_u32 v34, v13, 29, 1
	v_cndmask_b32_e64 v15, v29, v15, s[2:3]
	v_alignbit_b32 v30, v13, v28, 30
	v_sub_u32_e32 v35, 0, v34
	v_alignbit_b32 v26, v27, v15, v31
	v_xor_b32_e32 v30, v30, v35
	v_cndmask_b32_e64 v26, v26, v27, s[4:5]
	v_alignbit_b32 v27, v28, v26, 30
	v_ffbh_u32_e32 v28, v30
	v_min_u32_e32 v28, 32, v28
	v_alignbit_b32 v15, v26, v15, 30
	v_xor_b32_e32 v27, v27, v35
	v_sub_u32_e32 v29, 31, v28
	v_xor_b32_e32 v15, v15, v35
	v_alignbit_b32 v30, v30, v27, v29
	v_alignbit_b32 v15, v27, v15, v29
	;; [unrolled: 1-line block ×3, first 2 shown]
	v_ffbh_u32_e32 v27, v26
	v_min_u32_e32 v27, 32, v27
	v_lshrrev_b32_e32 v33, 29, v13
	v_not_b32_e32 v29, v27
	v_alignbit_b32 v15, v26, v15, v29
	v_lshlrev_b32_e32 v26, 31, v33
	v_or_b32_e32 v29, 0x33000000, v26
	v_add_lshl_u32 v27, v27, v28, 23
	v_lshrrev_b32_e32 v15, 9, v15
	v_sub_u32_e32 v27, v29, v27
	v_or_b32_e32 v26, 0.5, v26
	v_lshlrev_b32_e32 v28, 23, v28
	v_or_b32_e32 v15, v27, v15
	v_lshrrev_b32_e32 v27, 9, v30
	v_sub_u32_e32 v26, v26, v28
	v_or_b32_e32 v26, v27, v26
	s_mov_b32 s0, 0x3fc90fda
	v_mul_f32_e32 v27, 0x3fc90fda, v26
	v_fma_f32 v28, v26, s0, -v27
	v_fmamk_f32 v26, v26, 0x33a22168, v28
	v_fmac_f32_e32 v26, 0x3fc90fda, v15
	v_lshrrev_b32_e32 v13, 30, v13
	v_add_f32_e32 v26, v27, v26
	v_add_u32_e32 v27, v34, v13
	s_andn2_saveexec_b64 s[0:1], s[12:13]
	s_cbranch_execz .LBB141_94
	s_branch .LBB141_93
.LBB141_92:
	s_andn2_saveexec_b64 s[0:1], s[12:13]
	s_cbranch_execz .LBB141_94
.LBB141_93:
	s_mov_b32 s2, 0x3f22f983
	v_mul_f32_e64 v13, |v11|, s2
	v_rndne_f32_e32 v13, v13
	s_mov_b32 s2, 0xbfc90fda
	v_cvt_i32_f32_e32 v27, v13
	v_fma_f32 v15, v13, s2, |v11|
	v_fmamk_f32 v15, v13, 0xb3a22168, v15
	v_fmamk_f32 v26, v13, 0xa7c234c4, v15
.LBB141_94:
	s_or_b64 exec, exec, s[0:1]
                                        ; implicit-def: $vgpr28
                                        ; implicit-def: $vgpr29
	s_and_saveexec_b64 s[0:1], s[6:7]
	s_xor_b64 s[6:7], exec, s[0:1]
	s_cbranch_execz .LBB141_96
; %bb.95:
	v_lshrrev_b32_e32 v13, 23, v25
	v_add_u32_e32 v13, 0xffffff88, v13
	v_not_b32_e32 v15, 63
	v_cmp_lt_u32_e32 vcc, 63, v13
	s_mov_b32 s4, 0xfe5163ab
	v_mov_b32_e32 v31, 0
	v_cndmask_b32_e32 v15, 0, v15, vcc
	v_add_u32_e32 v13, v15, v13
	v_not_b32_e32 v15, 31
	v_cmp_lt_u32_e64 s[0:1], 31, v13
	s_nop 1
	v_cndmask_b32_e64 v28, 0, v15, s[0:1]
	v_add_u32_e32 v13, v28, v13
	v_cmp_lt_u32_e64 s[2:3], 31, v13
	s_nop 1
	v_cndmask_b32_e64 v15, 0, v15, s[2:3]
	v_add_u32_e32 v13, v15, v13
	v_and_b32_e32 v15, 0x7fffff, v25
	v_or_b32_e32 v15, 0x800000, v15
	v_mad_u64_u32 v[28:29], s[4:5], v15, s4, 0
	v_mov_b32_e32 v30, v29
	s_mov_b32 s4, 0x3c439041
	v_mad_u64_u32 v[32:33], s[4:5], v15, s4, v[30:31]
	v_mov_b32_e32 v30, v33
	s_mov_b32 s4, 0xdb629599
	;; [unrolled: 3-line block ×6, first 2 shown]
	v_mad_u64_u32 v[30:31], s[4:5], v15, s4, v[30:31]
	v_cndmask_b32_e32 v29, v40, v36, vcc
	v_cndmask_b32_e32 v15, v30, v38, vcc
	;; [unrolled: 1-line block ×3, first 2 shown]
	v_cndmask_b32_e64 v30, v15, v29, s[0:1]
	v_cndmask_b32_e64 v15, v31, v15, s[0:1]
	v_cndmask_b32_e32 v31, v38, v34, vcc
	v_cndmask_b32_e64 v29, v29, v31, s[0:1]
	v_cndmask_b32_e64 v15, v15, v30, s[2:3]
	;; [unrolled: 1-line block ×3, first 2 shown]
	v_sub_u32_e32 v33, 32, v13
	v_alignbit_b32 v35, v15, v30, v33
	v_cmp_eq_u32_e64 s[4:5], 0, v13
	v_cndmask_b32_e32 v28, v34, v28, vcc
	s_nop 0
	v_cndmask_b32_e64 v13, v35, v15, s[4:5]
	v_cndmask_b32_e32 v15, v36, v32, vcc
	v_cndmask_b32_e64 v31, v31, v15, s[0:1]
	v_cndmask_b32_e64 v29, v29, v31, s[2:3]
	v_alignbit_b32 v32, v30, v29, v33
	v_cndmask_b32_e64 v15, v15, v28, s[0:1]
	v_cndmask_b32_e64 v30, v32, v30, s[4:5]
	v_bfe_u32 v36, v13, 29, 1
	v_cndmask_b32_e64 v15, v31, v15, s[2:3]
	v_alignbit_b32 v32, v13, v30, 30
	v_sub_u32_e32 v37, 0, v36
	v_alignbit_b32 v28, v29, v15, v33
	v_xor_b32_e32 v32, v32, v37
	v_cndmask_b32_e64 v28, v28, v29, s[4:5]
	v_alignbit_b32 v29, v30, v28, 30
	v_ffbh_u32_e32 v30, v32
	v_min_u32_e32 v30, 32, v30
	v_alignbit_b32 v15, v28, v15, 30
	v_xor_b32_e32 v29, v29, v37
	v_sub_u32_e32 v31, 31, v30
	v_xor_b32_e32 v15, v15, v37
	v_alignbit_b32 v32, v32, v29, v31
	v_alignbit_b32 v15, v29, v15, v31
	;; [unrolled: 1-line block ×3, first 2 shown]
	v_ffbh_u32_e32 v29, v28
	v_min_u32_e32 v29, 32, v29
	v_lshrrev_b32_e32 v35, 29, v13
	v_not_b32_e32 v31, v29
	v_alignbit_b32 v15, v28, v15, v31
	v_lshlrev_b32_e32 v28, 31, v35
	v_or_b32_e32 v31, 0x33000000, v28
	v_add_lshl_u32 v29, v29, v30, 23
	v_lshrrev_b32_e32 v15, 9, v15
	v_sub_u32_e32 v29, v31, v29
	v_or_b32_e32 v28, 0.5, v28
	v_lshlrev_b32_e32 v30, 23, v30
	v_or_b32_e32 v15, v29, v15
	v_lshrrev_b32_e32 v29, 9, v32
	v_sub_u32_e32 v28, v28, v30
	v_or_b32_e32 v28, v29, v28
	s_mov_b32 s0, 0x3fc90fda
	v_mul_f32_e32 v29, 0x3fc90fda, v28
	v_fma_f32 v30, v28, s0, -v29
	v_fmamk_f32 v28, v28, 0x33a22168, v30
	v_fmac_f32_e32 v28, 0x3fc90fda, v15
	v_lshrrev_b32_e32 v13, 30, v13
	v_add_f32_e32 v29, v29, v28
	v_add_u32_e32 v28, v36, v13
	s_andn2_saveexec_b64 s[0:1], s[6:7]
	s_cbranch_execnz .LBB141_97
	s_branch .LBB141_98
.LBB141_96:
	s_andn2_saveexec_b64 s[0:1], s[6:7]
	s_cbranch_execz .LBB141_98
.LBB141_97:
	s_mov_b32 s2, 0x3f22f983
	v_mul_f32_e64 v13, |v11|, s2
	v_rndne_f32_e32 v13, v13
	s_mov_b32 s2, 0xbfc90fda
	v_cvt_i32_f32_e32 v28, v13
	v_fma_f32 v15, v13, s2, |v11|
	v_fmamk_f32 v15, v13, 0xb3a22168, v15
	v_fmamk_f32 v29, v13, 0xa7c234c4, v15
.LBB141_98:
	s_or_b64 exec, exec, s[0:1]
	global_load_dwordx2 v[14:15], v14, s[10:11]
	s_brev_b32 s0, 18
                                        ; implicit-def: $vgpr33
                                        ; implicit-def: $vgpr32
	s_waitcnt vmcnt(0)
	v_mul_f32_e32 v30, 0.5, v15
	v_and_b32_e32 v31, 0x7fffffff, v30
	v_cmp_nlt_f32_e64 s[0:1], |v30|, s0
	s_and_saveexec_b64 s[2:3], s[0:1]
	s_xor_b64 s[6:7], exec, s[2:3]
	s_cbranch_execz .LBB141_100
; %bb.99:
	v_lshrrev_b32_e32 v13, 23, v31
	v_add_u32_e32 v13, 0xffffff88, v13
	v_not_b32_e32 v32, 63
	v_cmp_lt_u32_e32 vcc, 63, v13
	s_mov_b32 s4, 0xfe5163ab
	v_mov_b32_e32 v35, 0
	v_cndmask_b32_e32 v32, 0, v32, vcc
	v_add_u32_e32 v13, v32, v13
	v_not_b32_e32 v32, 31
	v_cmp_lt_u32_e64 s[0:1], 31, v13
	s_nop 1
	v_cndmask_b32_e64 v33, 0, v32, s[0:1]
	v_add_u32_e32 v13, v33, v13
	v_cmp_lt_u32_e64 s[2:3], 31, v13
	s_nop 1
	v_cndmask_b32_e64 v32, 0, v32, s[2:3]
	v_add_u32_e32 v13, v32, v13
	v_and_b32_e32 v32, 0x7fffff, v31
	v_or_b32_e32 v46, 0x800000, v32
	v_mad_u64_u32 v[32:33], s[4:5], v46, s4, 0
	v_mov_b32_e32 v34, v33
	s_mov_b32 s4, 0x3c439041
	v_mad_u64_u32 v[36:37], s[4:5], v46, s4, v[34:35]
	v_mov_b32_e32 v34, v37
	s_mov_b32 s4, 0xdb629599
	;; [unrolled: 3-line block ×6, first 2 shown]
	v_mad_u64_u32 v[34:35], s[4:5], v46, s4, v[34:35]
	v_cndmask_b32_e32 v33, v44, v40, vcc
	v_cndmask_b32_e32 v34, v34, v42, vcc
	;; [unrolled: 1-line block ×3, first 2 shown]
	v_cndmask_b32_e64 v37, v34, v33, s[0:1]
	v_cndmask_b32_e64 v34, v35, v34, s[0:1]
	v_cndmask_b32_e32 v35, v42, v38, vcc
	v_cndmask_b32_e64 v33, v33, v35, s[0:1]
	v_cndmask_b32_e64 v34, v34, v37, s[2:3]
	;; [unrolled: 1-line block ×3, first 2 shown]
	v_sub_u32_e32 v39, 32, v13
	v_alignbit_b32 v41, v34, v37, v39
	v_cmp_eq_u32_e64 s[4:5], 0, v13
	v_cndmask_b32_e32 v32, v38, v32, vcc
	s_nop 0
	v_cndmask_b32_e64 v13, v41, v34, s[4:5]
	v_cndmask_b32_e32 v34, v40, v36, vcc
	v_cndmask_b32_e64 v35, v35, v34, s[0:1]
	v_cndmask_b32_e64 v33, v33, v35, s[2:3]
	v_alignbit_b32 v36, v37, v33, v39
	v_cndmask_b32_e64 v36, v36, v37, s[4:5]
	v_bfe_u32 v41, v13, 29, 1
	v_cndmask_b32_e64 v32, v34, v32, s[0:1]
	v_alignbit_b32 v37, v13, v36, 30
	v_sub_u32_e32 v42, 0, v41
	v_cndmask_b32_e64 v32, v35, v32, s[2:3]
	v_xor_b32_e32 v37, v37, v42
	v_alignbit_b32 v34, v33, v32, v39
	v_cndmask_b32_e64 v33, v34, v33, s[4:5]
	v_ffbh_u32_e32 v35, v37
	v_alignbit_b32 v34, v36, v33, 30
	v_min_u32_e32 v35, 32, v35
	v_alignbit_b32 v32, v33, v32, 30
	v_xor_b32_e32 v34, v34, v42
	v_sub_u32_e32 v36, 31, v35
	v_xor_b32_e32 v32, v32, v42
	v_alignbit_b32 v37, v37, v34, v36
	v_alignbit_b32 v32, v34, v32, v36
	;; [unrolled: 1-line block ×3, first 2 shown]
	v_ffbh_u32_e32 v34, v33
	v_min_u32_e32 v34, 32, v34
	v_lshrrev_b32_e32 v40, 29, v13
	v_not_b32_e32 v36, v34
	v_alignbit_b32 v32, v33, v32, v36
	v_lshlrev_b32_e32 v33, 31, v40
	v_or_b32_e32 v36, 0x33000000, v33
	v_add_lshl_u32 v34, v34, v35, 23
	v_lshrrev_b32_e32 v32, 9, v32
	v_sub_u32_e32 v34, v36, v34
	v_or_b32_e32 v33, 0.5, v33
	v_lshlrev_b32_e32 v35, 23, v35
	v_or_b32_e32 v32, v34, v32
	v_lshrrev_b32_e32 v34, 9, v37
	v_sub_u32_e32 v33, v33, v35
	v_or_b32_e32 v33, v34, v33
	s_mov_b32 s0, 0x3fc90fda
	v_mul_f32_e32 v34, 0x3fc90fda, v33
	v_fma_f32 v35, v33, s0, -v34
	v_fmamk_f32 v33, v33, 0x33a22168, v35
	v_fmac_f32_e32 v33, 0x3fc90fda, v32
	v_lshrrev_b32_e32 v13, 30, v13
	v_add_f32_e32 v32, v34, v33
	v_add_u32_e32 v33, v41, v13
.LBB141_100:
	s_andn2_saveexec_b64 s[0:1], s[6:7]
	s_cbranch_execz .LBB141_102
; %bb.101:
	s_mov_b32 s2, 0x3f22f983
	v_mul_f32_e64 v13, |v30|, s2
	v_rndne_f32_e32 v13, v13
	s_mov_b32 s2, 0xbfc90fda
	v_cvt_i32_f32_e32 v33, v13
	v_fma_f32 v32, v13, s2, |v30|
	v_fmamk_f32 v32, v13, 0xb3a22168, v32
	v_fmamk_f32 v32, v13, 0xa7c234c4, v32
.LBB141_102:
	s_or_b64 exec, exec, s[0:1]
	s_brev_b32 s0, 18
	v_and_b32_e32 v34, 0x7fffffff, v15
	v_cmp_nlt_f32_e64 s[6:7], |v15|, s0
                                        ; implicit-def: $vgpr40
                                        ; implicit-def: $vgpr41
	s_and_saveexec_b64 s[0:1], s[6:7]
	s_xor_b64 s[12:13], exec, s[0:1]
	s_cbranch_execz .LBB141_104
; %bb.103:
	v_lshrrev_b32_e32 v13, 23, v34
	v_add_u32_e32 v13, 0xffffff88, v13
	v_not_b32_e32 v35, 63
	v_cmp_lt_u32_e32 vcc, 63, v13
	s_mov_b32 s4, 0xfe5163ab
	v_mov_b32_e32 v39, 0
	v_cndmask_b32_e32 v35, 0, v35, vcc
	v_add_u32_e32 v13, v35, v13
	v_not_b32_e32 v35, 31
	v_cmp_lt_u32_e64 s[0:1], 31, v13
	s_nop 1
	v_cndmask_b32_e64 v36, 0, v35, s[0:1]
	v_add_u32_e32 v13, v36, v13
	v_cmp_lt_u32_e64 s[2:3], 31, v13
	s_nop 1
	v_cndmask_b32_e64 v35, 0, v35, s[2:3]
	v_add_u32_e32 v13, v35, v13
	v_and_b32_e32 v35, 0x7fffff, v34
	v_or_b32_e32 v35, 0x800000, v35
	v_mad_u64_u32 v[36:37], s[4:5], v35, s4, 0
	v_mov_b32_e32 v38, v37
	s_mov_b32 s4, 0x3c439041
	v_mad_u64_u32 v[40:41], s[4:5], v35, s4, v[38:39]
	v_mov_b32_e32 v38, v41
	s_mov_b32 s4, 0xdb629599
	;; [unrolled: 3-line block ×6, first 2 shown]
	v_mad_u64_u32 v[38:39], s[4:5], v35, s4, v[38:39]
	v_cndmask_b32_e32 v37, v48, v44, vcc
	v_cndmask_b32_e32 v35, v38, v46, vcc
	;; [unrolled: 1-line block ×3, first 2 shown]
	v_cndmask_b32_e64 v38, v35, v37, s[0:1]
	v_cndmask_b32_e64 v35, v39, v35, s[0:1]
	v_cndmask_b32_e32 v39, v46, v42, vcc
	v_cndmask_b32_e64 v37, v37, v39, s[0:1]
	v_cndmask_b32_e64 v35, v35, v38, s[2:3]
	;; [unrolled: 1-line block ×3, first 2 shown]
	v_sub_u32_e32 v41, 32, v13
	v_alignbit_b32 v43, v35, v38, v41
	v_cmp_eq_u32_e64 s[4:5], 0, v13
	v_cndmask_b32_e32 v36, v42, v36, vcc
	s_nop 0
	v_cndmask_b32_e64 v13, v43, v35, s[4:5]
	v_cndmask_b32_e32 v35, v44, v40, vcc
	v_cndmask_b32_e64 v39, v39, v35, s[0:1]
	v_cndmask_b32_e64 v37, v37, v39, s[2:3]
	v_alignbit_b32 v40, v38, v37, v41
	v_cndmask_b32_e64 v35, v35, v36, s[0:1]
	v_cndmask_b32_e64 v38, v40, v38, s[4:5]
	v_bfe_u32 v44, v13, 29, 1
	v_cndmask_b32_e64 v35, v39, v35, s[2:3]
	v_alignbit_b32 v40, v13, v38, 30
	v_sub_u32_e32 v45, 0, v44
	v_alignbit_b32 v36, v37, v35, v41
	v_xor_b32_e32 v40, v40, v45
	v_cndmask_b32_e64 v36, v36, v37, s[4:5]
	v_alignbit_b32 v37, v38, v36, 30
	v_ffbh_u32_e32 v38, v40
	v_min_u32_e32 v38, 32, v38
	v_alignbit_b32 v35, v36, v35, 30
	v_xor_b32_e32 v37, v37, v45
	v_sub_u32_e32 v39, 31, v38
	v_xor_b32_e32 v35, v35, v45
	v_alignbit_b32 v40, v40, v37, v39
	v_alignbit_b32 v35, v37, v35, v39
	v_alignbit_b32 v36, v40, v35, 9
	v_ffbh_u32_e32 v37, v36
	v_min_u32_e32 v37, 32, v37
	v_lshrrev_b32_e32 v43, 29, v13
	v_not_b32_e32 v39, v37
	v_alignbit_b32 v35, v36, v35, v39
	v_lshlrev_b32_e32 v36, 31, v43
	v_or_b32_e32 v39, 0x33000000, v36
	v_add_lshl_u32 v37, v37, v38, 23
	v_lshrrev_b32_e32 v35, 9, v35
	v_sub_u32_e32 v37, v39, v37
	v_or_b32_e32 v36, 0.5, v36
	v_lshlrev_b32_e32 v38, 23, v38
	v_or_b32_e32 v35, v37, v35
	v_lshrrev_b32_e32 v37, 9, v40
	v_sub_u32_e32 v36, v36, v38
	v_or_b32_e32 v36, v37, v36
	s_mov_b32 s0, 0x3fc90fda
	v_mul_f32_e32 v37, 0x3fc90fda, v36
	v_fma_f32 v38, v36, s0, -v37
	v_fmamk_f32 v36, v36, 0x33a22168, v38
	v_fmac_f32_e32 v36, 0x3fc90fda, v35
	v_lshrrev_b32_e32 v13, 30, v13
	v_add_f32_e32 v41, v37, v36
	v_add_u32_e32 v40, v44, v13
	s_andn2_saveexec_b64 s[0:1], s[12:13]
	s_cbranch_execz .LBB141_106
	s_branch .LBB141_105
.LBB141_104:
	s_andn2_saveexec_b64 s[0:1], s[12:13]
	s_cbranch_execz .LBB141_106
.LBB141_105:
	s_mov_b32 s2, 0x3f22f983
	v_mul_f32_e64 v13, |v15|, s2
	v_rndne_f32_e32 v13, v13
	s_mov_b32 s2, 0xbfc90fda
	v_cvt_i32_f32_e32 v40, v13
	v_fma_f32 v35, v13, s2, |v15|
	v_fmamk_f32 v35, v13, 0xb3a22168, v35
	v_fmamk_f32 v41, v13, 0xa7c234c4, v35
.LBB141_106:
	s_or_b64 exec, exec, s[0:1]
                                        ; implicit-def: $vgpr42
                                        ; implicit-def: $vgpr43
	s_and_saveexec_b64 s[0:1], s[6:7]
	s_xor_b64 s[6:7], exec, s[0:1]
	s_cbranch_execz .LBB141_108
; %bb.107:
	v_lshrrev_b32_e32 v13, 23, v34
	v_add_u32_e32 v13, 0xffffff88, v13
	v_not_b32_e32 v35, 63
	v_cmp_lt_u32_e32 vcc, 63, v13
	s_mov_b32 s4, 0xfe5163ab
	v_mov_b32_e32 v39, 0
	v_cndmask_b32_e32 v35, 0, v35, vcc
	v_add_u32_e32 v13, v35, v13
	v_not_b32_e32 v35, 31
	v_cmp_lt_u32_e64 s[0:1], 31, v13
	s_nop 1
	v_cndmask_b32_e64 v36, 0, v35, s[0:1]
	v_add_u32_e32 v13, v36, v13
	v_cmp_lt_u32_e64 s[2:3], 31, v13
	s_nop 1
	v_cndmask_b32_e64 v35, 0, v35, s[2:3]
	v_add_u32_e32 v13, v35, v13
	v_and_b32_e32 v35, 0x7fffff, v34
	v_or_b32_e32 v35, 0x800000, v35
	v_mad_u64_u32 v[36:37], s[4:5], v35, s4, 0
	v_mov_b32_e32 v38, v37
	s_mov_b32 s4, 0x3c439041
	v_mad_u64_u32 v[42:43], s[4:5], v35, s4, v[38:39]
	v_mov_b32_e32 v38, v43
	s_mov_b32 s4, 0xdb629599
	v_mad_u64_u32 v[44:45], s[4:5], v35, s4, v[38:39]
	v_mov_b32_e32 v38, v45
	s_mov_b32 s4, 0xf534ddc0
	v_mad_u64_u32 v[46:47], s[4:5], v35, s4, v[38:39]
	v_mov_b32_e32 v38, v47
	s_mov_b32 s4, 0xfc2757d1
	v_mad_u64_u32 v[48:49], s[4:5], v35, s4, v[38:39]
	v_mov_b32_e32 v38, v49
	s_mov_b32 s4, 0x4e441529
	v_mad_u64_u32 v[50:51], s[4:5], v35, s4, v[38:39]
	v_mov_b32_e32 v38, v51
	s_mov_b32 s4, 0xa2f9836e
	v_mad_u64_u32 v[38:39], s[4:5], v35, s4, v[38:39]
	v_cndmask_b32_e32 v37, v50, v46, vcc
	v_cndmask_b32_e32 v35, v38, v48, vcc
	;; [unrolled: 1-line block ×3, first 2 shown]
	v_cndmask_b32_e64 v38, v35, v37, s[0:1]
	v_cndmask_b32_e64 v35, v39, v35, s[0:1]
	v_cndmask_b32_e32 v39, v48, v44, vcc
	v_cndmask_b32_e64 v37, v37, v39, s[0:1]
	v_cndmask_b32_e64 v35, v35, v38, s[2:3]
	;; [unrolled: 1-line block ×3, first 2 shown]
	v_sub_u32_e32 v43, 32, v13
	v_alignbit_b32 v45, v35, v38, v43
	v_cmp_eq_u32_e64 s[4:5], 0, v13
	v_cndmask_b32_e32 v36, v44, v36, vcc
	s_nop 0
	v_cndmask_b32_e64 v13, v45, v35, s[4:5]
	v_cndmask_b32_e32 v35, v46, v42, vcc
	v_cndmask_b32_e64 v39, v39, v35, s[0:1]
	v_cndmask_b32_e64 v37, v37, v39, s[2:3]
	v_alignbit_b32 v42, v38, v37, v43
	v_cndmask_b32_e64 v35, v35, v36, s[0:1]
	v_cndmask_b32_e64 v38, v42, v38, s[4:5]
	v_bfe_u32 v46, v13, 29, 1
	v_cndmask_b32_e64 v35, v39, v35, s[2:3]
	v_alignbit_b32 v42, v13, v38, 30
	v_sub_u32_e32 v47, 0, v46
	v_alignbit_b32 v36, v37, v35, v43
	v_xor_b32_e32 v42, v42, v47
	v_cndmask_b32_e64 v36, v36, v37, s[4:5]
	v_alignbit_b32 v37, v38, v36, 30
	v_ffbh_u32_e32 v38, v42
	v_min_u32_e32 v38, 32, v38
	v_alignbit_b32 v35, v36, v35, 30
	v_xor_b32_e32 v37, v37, v47
	v_sub_u32_e32 v39, 31, v38
	v_xor_b32_e32 v35, v35, v47
	v_alignbit_b32 v42, v42, v37, v39
	v_alignbit_b32 v35, v37, v35, v39
	v_alignbit_b32 v36, v42, v35, 9
	v_ffbh_u32_e32 v37, v36
	v_min_u32_e32 v37, 32, v37
	v_lshrrev_b32_e32 v45, 29, v13
	v_not_b32_e32 v39, v37
	v_alignbit_b32 v35, v36, v35, v39
	v_lshlrev_b32_e32 v36, 31, v45
	v_or_b32_e32 v39, 0x33000000, v36
	v_add_lshl_u32 v37, v37, v38, 23
	v_lshrrev_b32_e32 v35, 9, v35
	v_sub_u32_e32 v37, v39, v37
	v_or_b32_e32 v36, 0.5, v36
	v_lshlrev_b32_e32 v38, 23, v38
	v_or_b32_e32 v35, v37, v35
	v_lshrrev_b32_e32 v37, 9, v42
	v_sub_u32_e32 v36, v36, v38
	v_or_b32_e32 v36, v37, v36
	s_mov_b32 s0, 0x3fc90fda
	v_mul_f32_e32 v37, 0x3fc90fda, v36
	v_fma_f32 v38, v36, s0, -v37
	v_fmamk_f32 v36, v36, 0x33a22168, v38
	v_fmac_f32_e32 v36, 0x3fc90fda, v35
	v_lshrrev_b32_e32 v13, 30, v13
	v_add_f32_e32 v43, v37, v36
	v_add_u32_e32 v42, v46, v13
	s_andn2_saveexec_b64 s[0:1], s[6:7]
	s_cbranch_execnz .LBB141_109
	s_branch .LBB141_110
.LBB141_108:
	s_andn2_saveexec_b64 s[0:1], s[6:7]
	s_cbranch_execz .LBB141_110
.LBB141_109:
	s_mov_b32 s2, 0x3f22f983
	v_mul_f32_e64 v13, |v15|, s2
	v_rndne_f32_e32 v13, v13
	s_mov_b32 s2, 0xbfc90fda
	v_cvt_i32_f32_e32 v42, v13
	v_fma_f32 v35, v13, s2, |v15|
	v_fmamk_f32 v35, v13, 0xb3a22168, v35
	v_fmamk_f32 v43, v13, 0xa7c234c4, v35
.LBB141_110:
	s_or_b64 exec, exec, s[0:1]
	global_load_dwordx2 v[12:13], v12, s[10:11]
	s_brev_b32 s0, 18
                                        ; implicit-def: $vgpr38
                                        ; implicit-def: $vgpr37
	s_waitcnt vmcnt(0)
	v_mul_f32_e32 v35, 0.5, v13
	v_and_b32_e32 v36, 0x7fffffff, v35
	v_cmp_nlt_f32_e64 s[0:1], |v35|, s0
	s_and_saveexec_b64 s[2:3], s[0:1]
	s_xor_b64 s[6:7], exec, s[2:3]
	s_cbranch_execz .LBB141_112
; %bb.111:
	v_lshrrev_b32_e32 v37, 23, v36
	v_add_u32_e32 v37, 0xffffff88, v37
	v_not_b32_e32 v38, 63
	v_cmp_lt_u32_e32 vcc, 63, v37
	s_mov_b32 s4, 0xfe5163ab
	v_mov_b32_e32 v45, 0
	v_cndmask_b32_e32 v38, 0, v38, vcc
	v_add_u32_e32 v37, v38, v37
	v_not_b32_e32 v38, 31
	v_cmp_lt_u32_e64 s[0:1], 31, v37
	s_nop 1
	v_cndmask_b32_e64 v39, 0, v38, s[0:1]
	v_add_u32_e32 v37, v39, v37
	v_cmp_lt_u32_e64 s[2:3], 31, v37
	s_nop 1
	v_cndmask_b32_e64 v38, 0, v38, s[2:3]
	v_add_u32_e32 v37, v38, v37
	v_and_b32_e32 v38, 0x7fffff, v36
	v_or_b32_e32 v56, 0x800000, v38
	v_mad_u64_u32 v[38:39], s[4:5], v56, s4, 0
	v_mov_b32_e32 v44, v39
	s_mov_b32 s4, 0x3c439041
	v_mad_u64_u32 v[46:47], s[4:5], v56, s4, v[44:45]
	v_mov_b32_e32 v44, v47
	s_mov_b32 s4, 0xdb629599
	;; [unrolled: 3-line block ×6, first 2 shown]
	v_mad_u64_u32 v[44:45], s[4:5], v56, s4, v[44:45]
	v_cndmask_b32_e32 v39, v54, v50, vcc
	v_cndmask_b32_e32 v44, v44, v52, vcc
	v_cndmask_b32_e32 v45, v45, v54, vcc
	v_cndmask_b32_e64 v47, v44, v39, s[0:1]
	v_cndmask_b32_e64 v44, v45, v44, s[0:1]
	v_cndmask_b32_e32 v45, v52, v48, vcc
	v_cndmask_b32_e64 v39, v39, v45, s[0:1]
	v_sub_u32_e32 v49, 32, v37
	v_cmp_eq_u32_e64 s[4:5], 0, v37
	v_cndmask_b32_e32 v37, v50, v46, vcc
	v_cndmask_b32_e64 v44, v44, v47, s[2:3]
	v_cndmask_b32_e64 v47, v47, v39, s[2:3]
	v_cndmask_b32_e64 v45, v45, v37, s[0:1]
	v_alignbit_b32 v51, v44, v47, v49
	v_cndmask_b32_e64 v39, v39, v45, s[2:3]
	v_cndmask_b32_e64 v44, v51, v44, s[4:5]
	v_alignbit_b32 v46, v47, v39, v49
	v_cndmask_b32_e32 v38, v48, v38, vcc
	v_cndmask_b32_e64 v46, v46, v47, s[4:5]
	v_bfe_u32 v51, v44, 29, 1
	v_cndmask_b32_e64 v37, v37, v38, s[0:1]
	v_alignbit_b32 v47, v44, v46, 30
	v_sub_u32_e32 v52, 0, v51
	v_cndmask_b32_e64 v37, v45, v37, s[2:3]
	v_xor_b32_e32 v47, v47, v52
	v_alignbit_b32 v38, v39, v37, v49
	v_cndmask_b32_e64 v38, v38, v39, s[4:5]
	v_ffbh_u32_e32 v45, v47
	v_alignbit_b32 v39, v46, v38, 30
	v_min_u32_e32 v45, 32, v45
	v_alignbit_b32 v37, v38, v37, 30
	v_xor_b32_e32 v39, v39, v52
	v_sub_u32_e32 v46, 31, v45
	v_xor_b32_e32 v37, v37, v52
	v_alignbit_b32 v47, v47, v39, v46
	v_alignbit_b32 v37, v39, v37, v46
	;; [unrolled: 1-line block ×3, first 2 shown]
	v_ffbh_u32_e32 v39, v38
	v_min_u32_e32 v39, 32, v39
	v_lshrrev_b32_e32 v50, 29, v44
	v_not_b32_e32 v46, v39
	v_alignbit_b32 v37, v38, v37, v46
	v_lshlrev_b32_e32 v38, 31, v50
	v_or_b32_e32 v46, 0x33000000, v38
	v_add_lshl_u32 v39, v39, v45, 23
	v_lshrrev_b32_e32 v37, 9, v37
	v_sub_u32_e32 v39, v46, v39
	v_or_b32_e32 v38, 0.5, v38
	v_lshlrev_b32_e32 v45, 23, v45
	v_or_b32_e32 v37, v39, v37
	v_lshrrev_b32_e32 v39, 9, v47
	v_sub_u32_e32 v38, v38, v45
	v_or_b32_e32 v38, v39, v38
	s_mov_b32 s0, 0x3fc90fda
	v_mul_f32_e32 v39, 0x3fc90fda, v38
	v_fma_f32 v45, v38, s0, -v39
	v_fmamk_f32 v38, v38, 0x33a22168, v45
	v_fmac_f32_e32 v38, 0x3fc90fda, v37
	v_add_f32_e32 v37, v39, v38
	v_lshrrev_b32_e32 v38, 30, v44
	v_add_u32_e32 v38, v51, v38
.LBB141_112:
	s_andn2_saveexec_b64 s[0:1], s[6:7]
	s_cbranch_execz .LBB141_114
; %bb.113:
	s_mov_b32 s2, 0x3f22f983
	v_mul_f32_e64 v37, |v35|, s2
	v_rndne_f32_e32 v37, v37
	s_mov_b32 s2, 0xbfc90fda
	v_cvt_i32_f32_e32 v38, v37
	v_fma_f32 v39, v37, s2, |v35|
	v_fmamk_f32 v39, v37, 0xb3a22168, v39
	v_fmamk_f32 v37, v37, 0xa7c234c4, v39
.LBB141_114:
	s_or_b64 exec, exec, s[0:1]
	s_brev_b32 s0, 18
	v_and_b32_e32 v39, 0x7fffffff, v13
	v_cmp_nlt_f32_e64 s[6:7], |v13|, s0
                                        ; implicit-def: $vgpr45
                                        ; implicit-def: $vgpr44
	s_and_saveexec_b64 s[0:1], s[6:7]
	s_xor_b64 s[10:11], exec, s[0:1]
	s_cbranch_execz .LBB141_116
; %bb.115:
	v_lshrrev_b32_e32 v44, 23, v39
	v_add_u32_e32 v44, 0xffffff88, v44
	v_not_b32_e32 v45, 63
	v_cmp_lt_u32_e32 vcc, 63, v44
	s_mov_b32 s4, 0xfe5163ab
	v_mov_b32_e32 v47, 0
	v_cndmask_b32_e32 v45, 0, v45, vcc
	v_add_u32_e32 v44, v45, v44
	v_not_b32_e32 v45, 31
	v_cmp_lt_u32_e64 s[0:1], 31, v44
	s_nop 1
	v_cndmask_b32_e64 v46, 0, v45, s[0:1]
	v_add_u32_e32 v44, v46, v44
	v_cmp_lt_u32_e64 s[2:3], 31, v44
	s_nop 1
	v_cndmask_b32_e64 v45, 0, v45, s[2:3]
	v_add_u32_e32 v58, v45, v44
	v_and_b32_e32 v44, 0x7fffff, v39
	v_or_b32_e32 v59, 0x800000, v44
	v_mad_u64_u32 v[44:45], s[4:5], v59, s4, 0
	v_mov_b32_e32 v46, v45
	s_mov_b32 s4, 0x3c439041
	v_mad_u64_u32 v[48:49], s[4:5], v59, s4, v[46:47]
	v_mov_b32_e32 v46, v49
	s_mov_b32 s4, 0xdb629599
	v_mad_u64_u32 v[50:51], s[4:5], v59, s4, v[46:47]
	v_mov_b32_e32 v46, v51
	s_mov_b32 s4, 0xf534ddc0
	v_mad_u64_u32 v[52:53], s[4:5], v59, s4, v[46:47]
	v_mov_b32_e32 v46, v53
	s_mov_b32 s4, 0xfc2757d1
	v_mad_u64_u32 v[54:55], s[4:5], v59, s4, v[46:47]
	v_mov_b32_e32 v46, v55
	s_mov_b32 s4, 0x4e441529
	v_mad_u64_u32 v[56:57], s[4:5], v59, s4, v[46:47]
	v_mov_b32_e32 v46, v57
	s_mov_b32 s4, 0xa2f9836e
	v_mad_u64_u32 v[46:47], s[4:5], v59, s4, v[46:47]
	v_cndmask_b32_e32 v45, v56, v52, vcc
	v_cndmask_b32_e32 v46, v46, v54, vcc
	;; [unrolled: 1-line block ×3, first 2 shown]
	v_cndmask_b32_e64 v49, v46, v45, s[0:1]
	v_cndmask_b32_e64 v46, v47, v46, s[0:1]
	v_cndmask_b32_e32 v47, v54, v50, vcc
	v_cndmask_b32_e64 v45, v45, v47, s[0:1]
	v_cndmask_b32_e32 v48, v52, v48, vcc
	v_cndmask_b32_e64 v46, v46, v49, s[2:3]
	v_cndmask_b32_e64 v49, v49, v45, s[2:3]
	v_sub_u32_e32 v51, 32, v58
	v_cndmask_b32_e64 v47, v47, v48, s[0:1]
	v_alignbit_b32 v53, v46, v49, v51
	v_cmp_eq_u32_e64 s[4:5], 0, v58
	v_cndmask_b32_e64 v45, v45, v47, s[2:3]
	v_alignbit_b32 v52, v49, v45, v51
	v_cndmask_b32_e64 v46, v53, v46, s[4:5]
	v_cndmask_b32_e32 v44, v50, v44, vcc
	v_cndmask_b32_e64 v49, v52, v49, s[4:5]
	v_bfe_u32 v54, v46, 29, 1
	v_cndmask_b32_e64 v44, v48, v44, s[0:1]
	v_alignbit_b32 v52, v46, v49, 30
	v_sub_u32_e32 v55, 0, v54
	v_cndmask_b32_e64 v44, v47, v44, s[2:3]
	v_xor_b32_e32 v52, v52, v55
	v_alignbit_b32 v47, v45, v44, v51
	v_cndmask_b32_e64 v45, v47, v45, s[4:5]
	v_ffbh_u32_e32 v48, v52
	v_alignbit_b32 v47, v49, v45, 30
	v_min_u32_e32 v48, 32, v48
	v_alignbit_b32 v44, v45, v44, 30
	v_xor_b32_e32 v47, v47, v55
	v_sub_u32_e32 v49, 31, v48
	v_xor_b32_e32 v44, v44, v55
	v_alignbit_b32 v50, v52, v47, v49
	v_alignbit_b32 v44, v47, v44, v49
	;; [unrolled: 1-line block ×3, first 2 shown]
	v_ffbh_u32_e32 v47, v45
	v_min_u32_e32 v47, 32, v47
	v_lshrrev_b32_e32 v53, 29, v46
	v_not_b32_e32 v49, v47
	v_alignbit_b32 v44, v45, v44, v49
	v_lshlrev_b32_e32 v45, 31, v53
	v_or_b32_e32 v49, 0x33000000, v45
	v_add_lshl_u32 v47, v47, v48, 23
	v_lshrrev_b32_e32 v44, 9, v44
	v_sub_u32_e32 v47, v49, v47
	v_or_b32_e32 v45, 0.5, v45
	v_lshlrev_b32_e32 v48, 23, v48
	v_or_b32_e32 v44, v47, v44
	v_lshrrev_b32_e32 v47, 9, v50
	v_sub_u32_e32 v45, v45, v48
	v_or_b32_e32 v45, v47, v45
	s_mov_b32 s0, 0x3fc90fda
	v_mul_f32_e32 v47, 0x3fc90fda, v45
	v_fma_f32 v48, v45, s0, -v47
	v_fmamk_f32 v45, v45, 0x33a22168, v48
	v_fmac_f32_e32 v45, 0x3fc90fda, v44
	v_add_f32_e32 v44, v47, v45
	v_lshrrev_b32_e32 v45, 30, v46
	v_add_u32_e32 v45, v54, v45
	s_andn2_saveexec_b64 s[0:1], s[10:11]
	s_cbranch_execz .LBB141_118
	s_branch .LBB141_117
.LBB141_116:
	s_andn2_saveexec_b64 s[0:1], s[10:11]
	s_cbranch_execz .LBB141_118
.LBB141_117:
	s_mov_b32 s2, 0x3f22f983
	v_mul_f32_e64 v44, |v13|, s2
	v_rndne_f32_e32 v44, v44
	s_mov_b32 s2, 0xbfc90fda
	v_cvt_i32_f32_e32 v45, v44
	v_fma_f32 v46, v44, s2, |v13|
	v_fmamk_f32 v46, v44, 0xb3a22168, v46
	v_fmamk_f32 v44, v44, 0xa7c234c4, v46
.LBB141_118:
	s_or_b64 exec, exec, s[0:1]
                                        ; implicit-def: $vgpr46
                                        ; implicit-def: $vgpr47
	s_and_saveexec_b64 s[0:1], s[6:7]
	s_xor_b64 s[6:7], exec, s[0:1]
	s_cbranch_execz .LBB141_120
; %bb.119:
	v_lshrrev_b32_e32 v46, 23, v39
	v_add_u32_e32 v46, 0xffffff88, v46
	v_not_b32_e32 v47, 63
	v_cmp_lt_u32_e32 vcc, 63, v46
	s_mov_b32 s4, 0xfe5163ab
	v_mov_b32_e32 v49, 0
	v_cndmask_b32_e32 v47, 0, v47, vcc
	v_add_u32_e32 v46, v47, v46
	v_not_b32_e32 v47, 31
	v_cmp_lt_u32_e64 s[0:1], 31, v46
	s_nop 1
	v_cndmask_b32_e64 v48, 0, v47, s[0:1]
	v_add_u32_e32 v46, v48, v46
	v_cmp_lt_u32_e64 s[2:3], 31, v46
	s_nop 1
	v_cndmask_b32_e64 v47, 0, v47, s[2:3]
	v_add_u32_e32 v60, v47, v46
	v_and_b32_e32 v46, 0x7fffff, v39
	v_or_b32_e32 v61, 0x800000, v46
	v_mad_u64_u32 v[46:47], s[4:5], v61, s4, 0
	v_mov_b32_e32 v48, v47
	s_mov_b32 s4, 0x3c439041
	v_mad_u64_u32 v[50:51], s[4:5], v61, s4, v[48:49]
	v_mov_b32_e32 v48, v51
	s_mov_b32 s4, 0xdb629599
	;; [unrolled: 3-line block ×6, first 2 shown]
	v_mad_u64_u32 v[48:49], s[4:5], v61, s4, v[48:49]
	v_cndmask_b32_e32 v47, v58, v54, vcc
	v_cndmask_b32_e32 v48, v48, v56, vcc
	;; [unrolled: 1-line block ×3, first 2 shown]
	v_cndmask_b32_e64 v51, v48, v47, s[0:1]
	v_cndmask_b32_e64 v48, v49, v48, s[0:1]
	v_cndmask_b32_e32 v49, v56, v52, vcc
	v_cndmask_b32_e64 v47, v47, v49, s[0:1]
	v_cndmask_b32_e32 v50, v54, v50, vcc
	v_cndmask_b32_e64 v48, v48, v51, s[2:3]
	v_cndmask_b32_e64 v51, v51, v47, s[2:3]
	v_sub_u32_e32 v53, 32, v60
	v_cndmask_b32_e64 v49, v49, v50, s[0:1]
	v_alignbit_b32 v55, v48, v51, v53
	v_cmp_eq_u32_e64 s[4:5], 0, v60
	v_cndmask_b32_e64 v47, v47, v49, s[2:3]
	v_alignbit_b32 v54, v51, v47, v53
	v_cndmask_b32_e64 v48, v55, v48, s[4:5]
	v_cndmask_b32_e32 v46, v52, v46, vcc
	v_cndmask_b32_e64 v51, v54, v51, s[4:5]
	v_bfe_u32 v56, v48, 29, 1
	v_cndmask_b32_e64 v46, v50, v46, s[0:1]
	v_alignbit_b32 v54, v48, v51, 30
	v_sub_u32_e32 v57, 0, v56
	v_cndmask_b32_e64 v46, v49, v46, s[2:3]
	v_xor_b32_e32 v54, v54, v57
	v_alignbit_b32 v49, v47, v46, v53
	v_cndmask_b32_e64 v47, v49, v47, s[4:5]
	v_ffbh_u32_e32 v50, v54
	v_alignbit_b32 v49, v51, v47, 30
	v_min_u32_e32 v50, 32, v50
	v_alignbit_b32 v46, v47, v46, 30
	v_xor_b32_e32 v49, v49, v57
	v_sub_u32_e32 v51, 31, v50
	v_xor_b32_e32 v46, v46, v57
	v_alignbit_b32 v52, v54, v49, v51
	v_alignbit_b32 v46, v49, v46, v51
	;; [unrolled: 1-line block ×3, first 2 shown]
	v_ffbh_u32_e32 v49, v47
	v_min_u32_e32 v49, 32, v49
	v_lshrrev_b32_e32 v55, 29, v48
	v_not_b32_e32 v51, v49
	v_alignbit_b32 v46, v47, v46, v51
	v_lshlrev_b32_e32 v47, 31, v55
	v_or_b32_e32 v51, 0x33000000, v47
	v_add_lshl_u32 v49, v49, v50, 23
	v_lshrrev_b32_e32 v46, 9, v46
	v_sub_u32_e32 v49, v51, v49
	v_or_b32_e32 v47, 0.5, v47
	v_lshlrev_b32_e32 v50, 23, v50
	v_or_b32_e32 v46, v49, v46
	v_lshrrev_b32_e32 v49, 9, v52
	v_sub_u32_e32 v47, v47, v50
	v_or_b32_e32 v47, v49, v47
	s_mov_b32 s0, 0x3fc90fda
	v_mul_f32_e32 v49, 0x3fc90fda, v47
	v_fma_f32 v50, v47, s0, -v49
	v_fmamk_f32 v47, v47, 0x33a22168, v50
	v_fmac_f32_e32 v47, 0x3fc90fda, v46
	v_lshrrev_b32_e32 v46, 30, v48
	v_add_f32_e32 v47, v49, v47
	v_add_u32_e32 v46, v56, v46
	s_andn2_saveexec_b64 s[0:1], s[6:7]
	s_cbranch_execnz .LBB141_121
	s_branch .LBB141_122
.LBB141_120:
	s_andn2_saveexec_b64 s[0:1], s[6:7]
	s_cbranch_execz .LBB141_122
.LBB141_121:
	s_mov_b32 s2, 0x3f22f983
	v_mul_f32_e64 v46, |v13|, s2
	v_rndne_f32_e32 v47, v46
	s_mov_b32 s2, 0xbfc90fda
	v_cvt_i32_f32_e32 v46, v47
	v_fma_f32 v48, v47, s2, |v13|
	v_fmamk_f32 v48, v47, 0xb3a22168, v48
	v_fmamk_f32 v47, v47, 0xa7c234c4, v48
.LBB141_122:
	s_or_b64 exec, exec, s[0:1]
	v_mul_f32_e32 v48, 0x3fb8aa3b, v14
	s_mov_b32 s3, 0x3fb8aa3b
	v_rndne_f32_e32 v49, v48
	v_sub_f32_e32 v50, v48, v49
	v_fma_f32 v48, v14, s3, -v48
	v_fmac_f32_e32 v48, 0x32a5705f, v14
	v_add_f32_e32 v48, v50, v48
	v_exp_f32_e32 v48, v48
	v_cvt_i32_f32_e32 v50, v49
	v_fmamk_f32 v53, v49, 0xbf317218, v14
	s_mov_b32 s4, 0x43000000
	v_fmac_f32_e32 v53, 0x3102e308, v49
	v_ldexp_f32 v52, v48, v50
	v_ldexp_f32 v48, 1.0, v50
	v_mov_b32_e32 v50, 0x3ab69700
	v_cmp_eq_f32_e32 vcc, s4, v49
	v_fmamk_f32 v49, v53, 0x395133b1, v50
	v_fmaak_f32 v49, v53, v49, 0x3c0887f9
	v_fmaak_f32 v49, v53, v49, 0x3d2aaa81
	;; [unrolled: 1-line block ×3, first 2 shown]
	v_mov_b32_e32 v51, 0x7f000000
	v_fma_f32 v49, v53, v49, 0.5
	v_cndmask_b32_e32 v48, v48, v51, vcc
	v_mul_f32_e32 v49, v53, v49
	v_fmac_f32_e32 v53, v53, v49
	v_add_f32_e32 v49, -1.0, v48
	v_fmac_f32_e32 v49, v48, v53
	v_add_f32_e32 v48, v49, v49
	v_cndmask_b32_e32 v54, v49, v48, vcc
	v_mul_f32_e32 v53, v41, v41
	v_mov_b32_e32 v48, 0xbab64f3b
	v_fmamk_f32 v49, v53, 0x37d75334, v48
	v_fmaak_f32 v49, v53, v49, 0x3d2aabf7
	v_fmaak_f32 v49, v53, v49, 0xbf000004
	v_fma_f32 v55, v53, v49, 1.0
	v_mov_b32_e32 v49, 0x3c0881c4
	v_fmamk_f32 v56, v53, 0xb94c1982, v49
	s_mov_b32 s6, 0xc2ce8ed0
	v_fmaak_f32 v56, v53, v56, 0xbe2aaa9d
	v_cmp_ngt_f32_e32 vcc, s6, v14
	v_mul_f32_e32 v53, v53, v56
	v_fmac_f32_e32 v41, v41, v53
	v_cndmask_b32_e32 v56, 0, v52, vcc
	v_and_b32_e32 v52, 1, v40
	v_cmp_eq_u32_e32 vcc, 0, v52
	v_lshlrev_b32_e32 v40, 30, v40
	s_brev_b32 s2, 1
	v_cndmask_b32_e64 v41, -v41, v55, vcc
	v_bitop3_b32 v55, v40, v41, s2 bitop3:0x6c
	v_lshlrev_b32_e32 v40, 30, v33
	v_xor_b32_e32 v31, v31, v30
	v_and_b32_e32 v40, 0x80000000, v40
	v_xor_b32_e32 v31, v31, v40
	v_mul_f32_e32 v40, v32, v32
	v_fmamk_f32 v41, v40, 0xb94c1982, v49
	v_fmaak_f32 v41, v40, v41, 0xbe2aaa9d
	v_mul_f32_e32 v41, v40, v41
	v_fmac_f32_e32 v32, v32, v41
	v_fmamk_f32 v41, v40, 0x37d75334, v48
	v_fmaak_f32 v41, v40, v41, 0x3d2aabf7
	v_fmaak_f32 v41, v40, v41, 0xbf000004
	v_and_b32_e32 v33, 1, v33
	s_mov_b32 s7, 0x42b17218
	v_fma_f32 v53, v40, v41, 1.0
	v_cmp_eq_u32_e32 vcc, 0, v33
	v_mov_b32_e32 v52, 0x7f800000
	v_cmp_nlt_f32_e64 s[0:1], s7, v14
	v_cndmask_b32_e32 v32, v53, v32, vcc
	s_mov_b32 s10, 0x42b17217
	s_movk_i32 s5, 0x1f8
	v_cndmask_b32_e64 v56, v52, v56, s[0:1]
	v_cmp_nlt_f32_e32 vcc, s10, v14
	s_mov_b32 s11, 0xc1880000
	v_xor_b32_e32 v32, v31, v32
	v_mov_b32_e32 v31, 0x7fc00000
	v_cmp_class_f32_e64 s[0:1], v30, s5
	v_cndmask_b32_e32 v33, v52, v54, vcc
	v_cmp_ngt_f32_e32 vcc, s11, v14
	v_cndmask_b32_e64 v30, v31, v32, s[0:1]
	v_add_f32_e32 v32, v30, v30
	v_cndmask_b32_e32 v14, -1.0, v33, vcc
	v_cmp_class_f32_e64 vcc, v15, s5
	v_mul_f32_e32 v30, v30, v32
	v_xor_b32_e32 v22, v22, v21
	v_cndmask_b32_e32 v33, v31, v55, vcc
	v_fma_f32 v14, v14, v33, -v30
	v_mul_f32_e32 v30, v43, v43
	v_fmamk_f32 v32, v30, 0xb94c1982, v49
	v_fmaak_f32 v32, v30, v32, 0xbe2aaa9d
	v_mul_f32_e32 v32, v30, v32
	v_fmac_f32_e32 v43, v43, v32
	v_fmamk_f32 v32, v30, 0x37d75334, v48
	v_fmaak_f32 v32, v30, v32, 0x3d2aabf7
	v_fmaak_f32 v32, v30, v32, 0xbf000004
	v_fma_f32 v32, v30, v32, 1.0
	v_and_b32_e32 v30, 1, v42
	v_cmp_eq_u32_e64 s[0:1], 0, v30
	v_lshlrev_b32_e32 v42, 30, v42
	v_bitop3_b32 v34, v34, v42, s2 bitop3:0x78
	v_cndmask_b32_e64 v33, v32, v43, s[0:1]
	v_xor_b32_e32 v33, v34, v33
	v_xor_b32_e32 v15, v33, v15
	v_mul_f32_e32 v33, 0x3fb8aa3b, v10
	v_rndne_f32_e32 v34, v33
	v_sub_f32_e32 v42, v33, v34
	v_fma_f32 v33, v10, s3, -v33
	v_fmac_f32_e32 v33, 0x32a5705f, v10
	v_add_f32_e32 v33, v42, v33
	v_exp_f32_e32 v42, v33
	v_cvt_i32_f32_e32 v43, v34
	v_cndmask_b32_e32 v15, v31, v15, vcc
	v_cmp_ngt_f32_e32 vcc, s6, v10
	v_fmamk_f32 v54, v34, 0xbf317218, v10
	v_ldexp_f32 v42, v42, v43
	v_cndmask_b32_e32 v42, 0, v42, vcc
	v_cmp_nlt_f32_e32 vcc, s7, v10
	v_fmac_f32_e32 v54, 0x3102e308, v34
	v_ldexp_f32 v43, 1.0, v43
	v_cndmask_b32_e32 v42, v52, v42, vcc
	v_cmp_eq_f32_e32 vcc, s4, v34
	v_fmamk_f32 v34, v54, 0x395133b1, v50
	v_fmaak_f32 v34, v54, v34, 0x3c0887f9
	v_fmaak_f32 v34, v54, v34, 0x3d2aaa81
	;; [unrolled: 1-line block ×3, first 2 shown]
	v_fma_f32 v34, v54, v34, 0.5
	v_cndmask_b32_e32 v43, v43, v51, vcc
	v_mul_f32_e32 v34, v54, v34
	v_fmac_f32_e32 v54, v54, v34
	v_add_f32_e32 v34, -1.0, v43
	v_fmac_f32_e32 v34, v43, v54
	v_add_f32_e32 v43, v34, v34
	v_cndmask_b32_e32 v34, v34, v43, vcc
	v_cmp_nlt_f32_e32 vcc, s10, v10
	v_xor_b32_e32 v3, v3, v1
	v_mov_b32_e32 v40, 0x3c0887f9
	v_cndmask_b32_e32 v34, v52, v34, vcc
	v_cmp_ngt_f32_e32 vcc, s11, v10
	v_mov_b32_e32 v41, 0x3d2aaa81
	v_mov_b32_e32 v53, 0x3e2aaaab
	v_cndmask_b32_e32 v10, -1.0, v34, vcc
	v_mul_f32_e32 v34, v26, v26
	v_fmamk_f32 v43, v34, 0x37d75334, v48
	v_fmaak_f32 v43, v34, v43, 0x3d2aabf7
	v_fmamk_f32 v54, v34, 0xb94c1982, v49
	v_fmaak_f32 v43, v34, v43, 0xbf000004
	v_fmaak_f32 v54, v34, v54, 0xbe2aaa9d
	v_fma_f32 v43, v34, v43, 1.0
	v_mul_f32_e32 v34, v34, v54
	v_lshlrev_b32_e32 v54, 30, v27
	v_and_b32_e32 v27, 1, v27
	v_cmp_eq_u32_e32 vcc, 0, v27
	v_lshlrev_b32_e32 v27, 30, v24
	v_and_b32_e32 v27, 0x80000000, v27
	v_xor_b32_e32 v22, v22, v27
	v_mul_f32_e32 v27, v23, v23
	v_fmac_f32_e32 v26, v26, v34
	v_fmamk_f32 v34, v27, 0xb94c1982, v49
	v_fmaak_f32 v34, v27, v34, 0xbe2aaa9d
	v_mul_f32_e32 v34, v27, v34
	v_fmac_f32_e32 v23, v23, v34
	v_fmamk_f32 v34, v27, 0x37d75334, v48
	v_fmaak_f32 v34, v27, v34, 0x3d2aabf7
	v_and_b32_e32 v24, 1, v24
	v_fmaak_f32 v34, v27, v34, 0xbf000004
	v_fma_f32 v27, v27, v34, 1.0
	v_cmp_eq_u32_e64 s[0:1], 0, v24
	v_cndmask_b32_e64 v26, -v26, v43, vcc
	v_bitop3_b32 v26, v54, v26, s2 bitop3:0x6c
	v_cndmask_b32_e64 v23, v27, v23, s[0:1]
	v_xor_b32_e32 v22, v22, v23
	v_cmp_class_f32_e64 s[0:1], v21, s5
	v_cmp_class_f32_e64 vcc, v11, s5
	v_mov_b32_e32 v33, 0xbe2aaa9d
	v_cndmask_b32_e64 v21, v31, v22, s[0:1]
	v_add_f32_e32 v22, v21, v21
	v_cndmask_b32_e32 v26, v31, v26, vcc
	v_mul_f32_e32 v21, v21, v22
	v_fma_f32 v10, v10, v26, -v21
	v_mul_f32_e32 v21, v29, v29
	v_fmamk_f32 v22, v21, 0xb94c1982, v49
	v_fmaak_f32 v22, v21, v22, 0xbe2aaa9d
	v_mul_f32_e32 v22, v21, v22
	v_fmac_f32_e32 v29, v29, v22
	v_fmamk_f32 v22, v21, 0x37d75334, v48
	v_fmaak_f32 v22, v21, v22, 0x3d2aabf7
	v_fmaak_f32 v22, v21, v22, 0xbf000004
	v_fma_f32 v21, v21, v22, 1.0
	v_and_b32_e32 v22, 1, v28
	v_cmp_eq_u32_e64 s[0:1], 0, v22
	v_lshlrev_b32_e32 v22, 30, v28
	v_bitop3_b32 v22, v25, v22, s2 bitop3:0x78
	v_cndmask_b32_e64 v21, v21, v29, s[0:1]
	v_xor_b32_e32 v21, v22, v21
	v_mul_f32_e32 v22, 0x3fb8aa3b, v8
	v_rndne_f32_e32 v23, v22
	v_sub_f32_e32 v24, v22, v23
	v_fma_f32 v22, v8, s3, -v22
	v_fmac_f32_e32 v22, 0x32a5705f, v8
	v_add_f32_e32 v22, v24, v22
	v_exp_f32_e32 v22, v22
	v_cvt_i32_f32_e32 v24, v23
	v_xor_b32_e32 v11, v21, v11
	v_cndmask_b32_e32 v11, v31, v11, vcc
	v_cmp_ngt_f32_e32 vcc, s6, v8
	v_ldexp_f32 v21, v22, v24
	v_ldexp_f32 v22, 1.0, v24
	v_fmamk_f32 v24, v23, 0xbf317218, v8
	v_cndmask_b32_e32 v21, 0, v21, vcc
	v_cmp_nlt_f32_e32 vcc, s7, v8
	v_fmac_f32_e32 v24, 0x3102e308, v23
	v_mov_b32_e32 v30, 0x3d2aabf7
	v_cndmask_b32_e32 v21, v52, v21, vcc
	v_cmp_eq_f32_e32 vcc, s4, v23
	v_fmamk_f32 v23, v24, 0x395133b1, v50
	v_fmaak_f32 v23, v24, v23, 0x3c0887f9
	v_fmaak_f32 v23, v24, v23, 0x3d2aaa81
	;; [unrolled: 1-line block ×3, first 2 shown]
	v_fma_f32 v23, v24, v23, 0.5
	v_cndmask_b32_e32 v22, v22, v51, vcc
	v_mul_f32_e32 v23, v24, v23
	v_fmac_f32_e32 v24, v24, v23
	v_add_f32_e32 v23, -1.0, v22
	v_fmac_f32_e32 v23, v22, v24
	v_add_f32_e32 v22, v23, v23
	v_cndmask_b32_e32 v22, v23, v22, vcc
	v_mul_f32_e32 v23, v16, v16
	v_cmp_nlt_f32_e32 vcc, s10, v8
	v_fmamk_f32 v24, v23, 0x37d75334, v48
	v_fmaak_f32 v24, v23, v24, 0x3d2aabf7
	v_cndmask_b32_e32 v22, v52, v22, vcc
	v_cmp_ngt_f32_e32 vcc, s11, v8
	v_fmamk_f32 v25, v23, 0xb94c1982, v49
	v_fmaak_f32 v24, v23, v24, 0xbf000004
	v_cndmask_b32_e32 v8, -1.0, v22, vcc
	v_lshlrev_b32_e32 v22, 30, v18
	v_and_b32_e32 v18, 1, v18
	v_fmaak_f32 v25, v23, v25, 0xbe2aaa9d
	v_fma_f32 v24, v23, v24, 1.0
	v_mul_f32_e32 v23, v23, v25
	v_cmp_eq_u32_e32 vcc, 0, v18
	v_lshlrev_b32_e32 v18, 30, v7
	v_fmac_f32_e32 v16, v16, v23
	v_and_b32_e32 v18, 0x80000000, v18
	v_cndmask_b32_e64 v16, -v16, v24, vcc
	v_xor_b32_e32 v3, v3, v18
	v_mul_f32_e32 v18, v5, v5
	v_bitop3_b32 v16, v22, v16, s2 bitop3:0x6c
	v_fmamk_f32 v22, v18, 0xb94c1982, v49
	v_fmaak_f32 v22, v18, v22, 0xbe2aaa9d
	v_mul_f32_e32 v22, v18, v22
	v_fmac_f32_e32 v5, v5, v22
	v_fmamk_f32 v22, v18, 0x37d75334, v48
	v_fmaak_f32 v22, v18, v22, 0x3d2aabf7
	v_and_b32_e32 v7, 1, v7
	v_fmaak_f32 v22, v18, v22, 0xbf000004
	v_fma_f32 v18, v18, v22, 1.0
	v_cmp_eq_u32_e64 s[0:1], 0, v7
	v_cmp_class_f32_e64 vcc, v9, s5
	v_mov_b32_e32 v32, 0xbf000004
	v_cndmask_b32_e64 v5, v18, v5, s[0:1]
	v_xor_b32_e32 v3, v3, v5
	v_cmp_class_f32_e64 s[0:1], v1, s5
	v_cndmask_b32_e32 v16, v31, v16, vcc
	s_or_b64 s[24:25], s[24:25], exec
	v_cndmask_b32_e64 v1, v31, v3, s[0:1]
	v_add_f32_e32 v3, v1, v1
	v_mul_f32_e32 v1, v1, v3
	v_fma_f32 v16, v8, v16, -v1
	v_mul_f32_e32 v1, v20, v20
	v_fmamk_f32 v3, v1, 0xb94c1982, v49
	v_fmaak_f32 v3, v1, v3, 0xbe2aaa9d
	v_mul_f32_e32 v3, v1, v3
	v_fmac_f32_e32 v20, v20, v3
	v_fmamk_f32 v3, v1, 0x37d75334, v48
	v_fmaak_f32 v3, v1, v3, 0x3d2aabf7
	v_fmaak_f32 v3, v1, v3, 0xbf000004
	v_fma_f32 v1, v1, v3, 1.0
	v_and_b32_e32 v3, 1, v19
	v_cmp_eq_u32_e64 s[0:1], 0, v3
	v_lshlrev_b32_e32 v3, 30, v19
	v_bitop3_b32 v3, v17, v3, s2 bitop3:0x78
	v_cndmask_b32_e64 v1, v1, v20, s[0:1]
	v_xor_b32_e32 v1, v3, v1
	v_mul_f32_e32 v3, 0x3fb8aa3b, v12
	v_rndne_f32_e32 v5, v3
	v_sub_f32_e32 v7, v3, v5
	v_fma_f32 v3, v12, s3, -v3
	v_fmac_f32_e32 v3, 0x32a5705f, v12
	v_add_f32_e32 v3, v7, v3
	v_mov_b32_e32 v7, 0
	v_xor_b32_e32 v1, v1, v9
	v_exp_f32_e32 v3, v3
	v_cvt_i32_f32_e32 v18, v5
	v_lshl_add_u64 v[8:9], s[8:9], 0, v[6:7]
	v_fmamk_f32 v7, v5, 0xbf317218, v12
	v_fmac_f32_e32 v7, 0x3102e308, v5
	v_fmac_f32_e32 v50, 0x395133b1, v7
	v_cndmask_b32_e32 v1, v31, v1, vcc
	v_fmac_f32_e32 v40, v7, v50
	v_mul_f32_e32 v17, v21, v1
	v_ldexp_f32 v1, v3, v18
	v_cmp_ngt_f32_e32 vcc, s6, v12
	v_fmac_f32_e32 v41, v7, v40
	v_fmac_f32_e32 v53, v7, v41
	v_cndmask_b32_e32 v1, 0, v1, vcc
	v_cmp_nlt_f32_e32 vcc, s7, v12
	v_ldexp_f32 v3, 1.0, v18
	v_mul_f32_e32 v15, v56, v15
	v_cndmask_b32_e32 v1, v52, v1, vcc
	v_cmp_eq_f32_e32 vcc, s4, v5
	v_fma_f32 v5, v7, v53, 0.5
	v_mul_f32_e32 v5, v7, v5
	v_cndmask_b32_e32 v3, v3, v51, vcc
	v_fmac_f32_e32 v7, v7, v5
	v_add_f32_e32 v5, -1.0, v3
	v_fmac_f32_e32 v5, v3, v7
	v_add_f32_e32 v3, v5, v5
	v_cndmask_b32_e32 v3, v5, v3, vcc
	v_cmp_nlt_f32_e32 vcc, s10, v12
	v_and_b32_e32 v7, 1, v45
	v_lshlrev_b32_e32 v5, 30, v45
	v_cndmask_b32_e32 v3, v52, v3, vcc
	v_cmp_ngt_f32_e32 vcc, s11, v12
	v_mul_f32_e32 v12, v44, v44
	v_fmamk_f32 v18, v12, 0x37d75334, v48
	v_fmaak_f32 v18, v12, v18, 0x3d2aabf7
	v_fmamk_f32 v19, v12, 0xb94c1982, v49
	v_fmaak_f32 v18, v12, v18, 0xbf000004
	v_fmaak_f32 v19, v12, v19, 0xbe2aaa9d
	v_fma_f32 v18, v12, v18, 1.0
	v_mul_f32_e32 v12, v12, v19
	v_cndmask_b32_e32 v3, -1.0, v3, vcc
	v_fmac_f32_e32 v44, v44, v12
	v_cmp_eq_u32_e32 vcc, 0, v7
	v_lshlrev_b32_e32 v12, 30, v38
	v_and_b32_e32 v12, 0x80000000, v12
	v_cndmask_b32_e64 v7, -v44, v18, vcc
	v_mul_f32_e32 v18, v37, v37
	v_fmamk_f32 v19, v18, 0xb94c1982, v49
	v_fmaak_f32 v19, v18, v19, 0xbe2aaa9d
	v_mul_f32_e32 v19, v18, v19
	v_fmac_f32_e32 v37, v37, v19
	v_fmamk_f32 v19, v18, 0x37d75334, v48
	v_bitop3_b32 v5, v5, v7, s2 bitop3:0x6c
	v_xor_b32_e32 v7, v36, v35
	v_fmaak_f32 v19, v18, v19, 0x3d2aabf7
	v_xor_b32_e32 v7, v7, v12
	v_and_b32_e32 v12, 1, v38
	v_fmaak_f32 v19, v18, v19, 0xbf000004
	v_fma_f32 v18, v18, v19, 1.0
	v_cmp_eq_u32_e64 s[0:1], 0, v12
	v_cmp_class_f32_e64 vcc, v13, s5
	v_mul_f32_e32 v11, v42, v11
	v_cndmask_b32_e64 v12, v18, v37, s[0:1]
	v_xor_b32_e32 v7, v7, v12
	v_cmp_class_f32_e64 s[0:1], v35, s5
	v_cndmask_b32_e32 v5, v31, v5, vcc
	s_nop 0
	v_cndmask_b32_e64 v7, v31, v7, s[0:1]
	v_add_f32_e32 v12, v7, v7
	v_mul_f32_e32 v7, v7, v12
	v_fma_f32 v3, v3, v5, -v7
	v_mul_f32_e32 v5, v47, v47
	v_fmac_f32_e32 v49, 0xb94c1982, v5
	v_fmac_f32_e32 v33, v5, v49
	;; [unrolled: 1-line block ×3, first 2 shown]
	v_mul_f32_e32 v7, v5, v33
	v_fmac_f32_e32 v30, v5, v48
	v_fmac_f32_e32 v47, v47, v7
	;; [unrolled: 1-line block ×3, first 2 shown]
	v_and_b32_e32 v7, 1, v46
	v_fma_f32 v5, v5, v32, 1.0
	v_cmp_eq_u32_e64 s[0:1], 0, v7
	v_lshlrev_b32_e32 v7, 30, v46
	v_bitop3_b32 v7, v39, v7, s2 bitop3:0x78
	v_cndmask_b32_e64 v5, v5, v47, s[0:1]
	v_xor_b32_e32 v5, v7, v5
	v_xor_b32_e32 v5, v5, v13
	v_cndmask_b32_e32 v5, v31, v5, vcc
	v_mul_f32_e32 v1, v1, v5
	global_store_dwordx2 v0, v[16:17], s[8:9]
	global_store_dwordx2 v2, v[10:11], s[8:9]
	;; [unrolled: 1-line block ×3, first 2 shown]
	global_store_dword v6, v3, s[8:9]
	s_or_b64 exec, exec, s[26:27]
	s_and_saveexec_b64 s[0:1], s[24:25]
	s_cbranch_execnz .LBB141_226
.LBB141_123:
	s_endpgm
.LBB141_124:
	v_mov_b32_e32 v2, 0
	v_mov_b32_e32 v0, 0
	s_branch .LBB141_130
.LBB141_125:
	v_mov_b32_e32 v2, 0
	v_mov_b32_e32 v0, 0
	s_branch .LBB141_151
.LBB141_126:
	v_mov_b32_e32 v0, 0
	s_mov_b32 s57, 0
	v_mov_b32_e32 v1, v0
                                        ; implicit-def: $vgpr2
	v_mov_b32_e32 v5, v4
.LBB141_127:
	s_and_b32 s4, s58, 3
	s_cmp_eq_u32 s4, 0
	s_cbranch_scc1 .LBB141_130
; %bb.128:
	s_lshl_b32 s0, s57, 3
	s_add_u32 s0, s34, s0
	s_addc_u32 s1, s35, 0
	s_add_u32 s0, s0, 0xc4
	s_addc_u32 s1, s1, 0
	s_mul_i32 s2, s57, 12
	s_add_u32 s2, s34, s2
	s_addc_u32 s3, s35, 0
.LBB141_129:                            ; =>This Inner Loop Header: Depth=1
	s_load_dwordx2 s[6:7], s[2:3], 0x4
	s_load_dword s5, s[2:3], 0xc
	s_load_dwordx2 s[8:9], s[0:1], 0x0
	v_mov_b32_e32 v2, v1
	s_add_u32 s2, s2, 12
	s_waitcnt lgkmcnt(0)
	v_mul_hi_u32 v1, s7, v5
	v_add_u32_e32 v1, v5, v1
	v_lshrrev_b32_e32 v1, s5, v1
	s_addc_u32 s3, s3, 0
	v_mul_lo_u32 v3, v1, s6
	s_add_u32 s0, s0, 8
	v_sub_u32_e32 v6, v5, v3
	s_addc_u32 s1, s1, 0
	s_add_i32 s4, s4, -1
	v_mov_b32_e32 v5, v1
	v_mad_u64_u32 v[2:3], s[6:7], v6, s9, v[2:3]
	v_mad_u64_u32 v[0:1], s[6:7], v6, s8, v[0:1]
	s_cmp_lg_u32 s4, 0
	v_mov_b32_e32 v1, v2
	s_cbranch_scc1 .LBB141_129
.LBB141_130:
	s_cbranch_execnz .LBB141_133
.LBB141_131:
	s_waitcnt lgkmcnt(0)
	v_mul_hi_u32 v0, s25, v4
	v_add_u32_e32 v0, v4, v0
	v_lshrrev_b32_e32 v1, s26, v0
	v_mul_lo_u32 v0, v1, s24
	v_sub_u32_e32 v0, v4, v0
	v_mul_lo_u32 v2, v0, s21
	s_andn2_b64 vcc, exec, s[42:43]
	v_mul_lo_u32 v0, v0, s20
	s_cbranch_vccnz .LBB141_133
; %bb.132:
	v_mul_hi_u32 v3, s40, v1
	v_add_u32_e32 v3, v1, v3
	v_lshrrev_b32_e32 v3, s41, v3
	v_mul_lo_u32 v3, v3, s27
	v_sub_u32_e32 v3, v1, v3
	v_mad_u64_u32 v[0:1], s[0:1], v3, s22, v[0:1]
	v_mad_u64_u32 v[2:3], s[0:1], v3, s23, v[2:3]
.LBB141_133:
	s_waitcnt lgkmcnt(0)
	global_load_dwordx2 v[2:3], v2, s[18:19]
	s_brev_b32 s0, 18
                                        ; implicit-def: $vgpr7
                                        ; implicit-def: $vgpr6
	s_waitcnt vmcnt(0)
	v_mul_f32_e32 v1, 0.5, v3
	v_and_b32_e32 v5, 0x7fffffff, v1
	v_cmp_nlt_f32_e64 s[0:1], |v1|, s0
	s_and_saveexec_b64 s[2:3], s[0:1]
	s_xor_b64 s[6:7], exec, s[2:3]
	s_cbranch_execz .LBB141_135
; %bb.134:
	v_lshrrev_b32_e32 v6, 23, v5
	v_add_u32_e32 v6, 0xffffff88, v6
	v_not_b32_e32 v7, 63
	v_cmp_lt_u32_e32 vcc, 63, v6
	s_mov_b32 s4, 0xfe5163ab
	v_mov_b32_e32 v9, 0
	v_cndmask_b32_e32 v7, 0, v7, vcc
	v_add_u32_e32 v6, v7, v6
	v_not_b32_e32 v7, 31
	v_cmp_lt_u32_e64 s[0:1], 31, v6
	s_nop 1
	v_cndmask_b32_e64 v8, 0, v7, s[0:1]
	v_add_u32_e32 v6, v8, v6
	v_cmp_lt_u32_e64 s[2:3], 31, v6
	s_nop 1
	v_cndmask_b32_e64 v7, 0, v7, s[2:3]
	v_add_u32_e32 v20, v7, v6
	v_and_b32_e32 v6, 0x7fffff, v5
	v_or_b32_e32 v21, 0x800000, v6
	v_mad_u64_u32 v[6:7], s[4:5], v21, s4, 0
	v_mov_b32_e32 v8, v7
	s_mov_b32 s4, 0x3c439041
	v_mad_u64_u32 v[10:11], s[4:5], v21, s4, v[8:9]
	v_mov_b32_e32 v8, v11
	s_mov_b32 s4, 0xdb629599
	;; [unrolled: 3-line block ×6, first 2 shown]
	v_mad_u64_u32 v[8:9], s[4:5], v21, s4, v[8:9]
	v_cndmask_b32_e32 v7, v18, v14, vcc
	v_cndmask_b32_e32 v8, v8, v16, vcc
	;; [unrolled: 1-line block ×3, first 2 shown]
	v_cndmask_b32_e64 v11, v8, v7, s[0:1]
	v_cndmask_b32_e64 v8, v9, v8, s[0:1]
	v_cndmask_b32_e32 v9, v16, v12, vcc
	v_cndmask_b32_e64 v7, v7, v9, s[0:1]
	v_cndmask_b32_e32 v10, v14, v10, vcc
	v_cndmask_b32_e64 v8, v8, v11, s[2:3]
	v_cndmask_b32_e64 v11, v11, v7, s[2:3]
	v_sub_u32_e32 v13, 32, v20
	v_cndmask_b32_e64 v9, v9, v10, s[0:1]
	v_alignbit_b32 v15, v8, v11, v13
	v_cmp_eq_u32_e64 s[4:5], 0, v20
	v_cndmask_b32_e64 v7, v7, v9, s[2:3]
	v_alignbit_b32 v14, v11, v7, v13
	v_cndmask_b32_e64 v8, v15, v8, s[4:5]
	v_cndmask_b32_e32 v6, v12, v6, vcc
	v_cndmask_b32_e64 v11, v14, v11, s[4:5]
	v_bfe_u32 v16, v8, 29, 1
	v_cndmask_b32_e64 v6, v10, v6, s[0:1]
	v_alignbit_b32 v14, v8, v11, 30
	v_sub_u32_e32 v17, 0, v16
	v_cndmask_b32_e64 v6, v9, v6, s[2:3]
	v_xor_b32_e32 v14, v14, v17
	v_alignbit_b32 v9, v7, v6, v13
	v_cndmask_b32_e64 v7, v9, v7, s[4:5]
	v_ffbh_u32_e32 v10, v14
	v_alignbit_b32 v9, v11, v7, 30
	v_min_u32_e32 v10, 32, v10
	v_alignbit_b32 v6, v7, v6, 30
	v_xor_b32_e32 v9, v9, v17
	v_sub_u32_e32 v11, 31, v10
	v_xor_b32_e32 v6, v6, v17
	v_alignbit_b32 v12, v14, v9, v11
	v_alignbit_b32 v6, v9, v6, v11
	;; [unrolled: 1-line block ×3, first 2 shown]
	v_ffbh_u32_e32 v9, v7
	v_min_u32_e32 v9, 32, v9
	v_lshrrev_b32_e32 v15, 29, v8
	v_not_b32_e32 v11, v9
	v_alignbit_b32 v6, v7, v6, v11
	v_lshlrev_b32_e32 v7, 31, v15
	v_or_b32_e32 v11, 0x33000000, v7
	v_add_lshl_u32 v9, v9, v10, 23
	v_lshrrev_b32_e32 v6, 9, v6
	v_sub_u32_e32 v9, v11, v9
	v_or_b32_e32 v7, 0.5, v7
	v_lshlrev_b32_e32 v10, 23, v10
	v_or_b32_e32 v6, v9, v6
	v_lshrrev_b32_e32 v9, 9, v12
	v_sub_u32_e32 v7, v7, v10
	v_or_b32_e32 v7, v9, v7
	s_mov_b32 s0, 0x3fc90fda
	v_mul_f32_e32 v9, 0x3fc90fda, v7
	v_fma_f32 v10, v7, s0, -v9
	v_fmamk_f32 v7, v7, 0x33a22168, v10
	v_fmac_f32_e32 v7, 0x3fc90fda, v6
	v_add_f32_e32 v6, v9, v7
	v_lshrrev_b32_e32 v7, 30, v8
	v_add_u32_e32 v7, v16, v7
.LBB141_135:
	s_andn2_saveexec_b64 s[0:1], s[6:7]
	s_cbranch_execz .LBB141_137
; %bb.136:
	s_mov_b32 s2, 0x3f22f983
	v_mul_f32_e64 v6, |v1|, s2
	v_rndne_f32_e32 v6, v6
	s_mov_b32 s2, 0xbfc90fda
	v_cvt_i32_f32_e32 v7, v6
	v_fma_f32 v8, v6, s2, |v1|
	v_fmamk_f32 v8, v6, 0xb3a22168, v8
	v_fmamk_f32 v6, v6, 0xa7c234c4, v8
.LBB141_137:
	s_or_b64 exec, exec, s[0:1]
	v_and_b32_e32 v8, 0x7fffffff, v3
	s_brev_b32 s0, 18
	v_cmp_nlt_f32_e64 s[6:7], |v3|, s0
	v_lshrrev_b32_e32 v11, 23, v8
                                        ; implicit-def: $vgpr10
                                        ; implicit-def: $vgpr9
	s_and_saveexec_b64 s[0:1], s[6:7]
	s_xor_b64 s[8:9], exec, s[0:1]
	s_cbranch_execz .LBB141_139
; %bb.138:
	v_add_u32_e32 v9, 0xffffff88, v11
	v_not_b32_e32 v10, 63
	v_cmp_lt_u32_e32 vcc, 63, v9
	s_mov_b32 s4, 0xfe5163ab
	v_mov_b32_e32 v15, 0
	v_cndmask_b32_e32 v10, 0, v10, vcc
	v_add_u32_e32 v9, v10, v9
	v_not_b32_e32 v10, 31
	v_cmp_lt_u32_e64 s[0:1], 31, v9
	s_nop 1
	v_cndmask_b32_e64 v12, 0, v10, s[0:1]
	v_add_u32_e32 v9, v12, v9
	v_cmp_lt_u32_e64 s[2:3], 31, v9
	s_nop 1
	v_cndmask_b32_e64 v10, 0, v10, s[2:3]
	v_add_u32_e32 v9, v10, v9
	v_and_b32_e32 v10, 0x7fffff, v8
	v_or_b32_e32 v10, 0x800000, v10
	v_mad_u64_u32 v[12:13], s[4:5], v10, s4, 0
	v_mov_b32_e32 v14, v13
	s_mov_b32 s4, 0x3c439041
	v_mad_u64_u32 v[16:17], s[4:5], v10, s4, v[14:15]
	v_mov_b32_e32 v14, v17
	s_mov_b32 s4, 0xdb629599
	;; [unrolled: 3-line block ×6, first 2 shown]
	v_mad_u64_u32 v[14:15], s[4:5], v10, s4, v[14:15]
	v_cndmask_b32_e32 v13, v24, v20, vcc
	v_cndmask_b32_e32 v10, v14, v22, vcc
	;; [unrolled: 1-line block ×3, first 2 shown]
	v_cndmask_b32_e64 v14, v10, v13, s[0:1]
	v_cndmask_b32_e64 v10, v15, v10, s[0:1]
	v_cndmask_b32_e32 v15, v22, v18, vcc
	v_cndmask_b32_e64 v13, v13, v15, s[0:1]
	v_sub_u32_e32 v17, 32, v9
	v_cmp_eq_u32_e64 s[4:5], 0, v9
	v_cndmask_b32_e32 v9, v20, v16, vcc
	v_cndmask_b32_e64 v10, v10, v14, s[2:3]
	v_cndmask_b32_e64 v14, v14, v13, s[2:3]
	;; [unrolled: 1-line block ×3, first 2 shown]
	v_alignbit_b32 v19, v10, v14, v17
	v_cndmask_b32_e64 v13, v13, v15, s[2:3]
	v_cndmask_b32_e32 v12, v18, v12, vcc
	v_cndmask_b32_e64 v10, v19, v10, s[4:5]
	v_alignbit_b32 v16, v14, v13, v17
	v_cndmask_b32_e64 v9, v9, v12, s[0:1]
	v_cndmask_b32_e64 v14, v16, v14, s[4:5]
	v_bfe_u32 v20, v10, 29, 1
	v_cndmask_b32_e64 v9, v15, v9, s[2:3]
	v_alignbit_b32 v16, v10, v14, 30
	v_sub_u32_e32 v21, 0, v20
	v_alignbit_b32 v12, v13, v9, v17
	v_xor_b32_e32 v16, v16, v21
	v_cndmask_b32_e64 v12, v12, v13, s[4:5]
	v_alignbit_b32 v13, v14, v12, 30
	v_ffbh_u32_e32 v14, v16
	v_min_u32_e32 v14, 32, v14
	v_alignbit_b32 v9, v12, v9, 30
	v_xor_b32_e32 v13, v13, v21
	v_sub_u32_e32 v15, 31, v14
	v_xor_b32_e32 v9, v9, v21
	v_alignbit_b32 v16, v16, v13, v15
	v_alignbit_b32 v9, v13, v9, v15
	;; [unrolled: 1-line block ×3, first 2 shown]
	v_ffbh_u32_e32 v13, v12
	v_min_u32_e32 v13, 32, v13
	v_lshrrev_b32_e32 v19, 29, v10
	v_not_b32_e32 v15, v13
	v_alignbit_b32 v9, v12, v9, v15
	v_lshlrev_b32_e32 v12, 31, v19
	v_or_b32_e32 v15, 0x33000000, v12
	v_add_lshl_u32 v13, v13, v14, 23
	v_lshrrev_b32_e32 v9, 9, v9
	v_sub_u32_e32 v13, v15, v13
	v_or_b32_e32 v12, 0.5, v12
	v_lshlrev_b32_e32 v14, 23, v14
	v_or_b32_e32 v9, v13, v9
	v_lshrrev_b32_e32 v13, 9, v16
	v_sub_u32_e32 v12, v12, v14
	v_or_b32_e32 v12, v13, v12
	s_mov_b32 s0, 0x3fc90fda
	v_mul_f32_e32 v13, 0x3fc90fda, v12
	v_fma_f32 v14, v12, s0, -v13
	v_fmamk_f32 v12, v12, 0x33a22168, v14
	v_fmac_f32_e32 v12, 0x3fc90fda, v9
	v_lshrrev_b32_e32 v10, 30, v10
	v_add_f32_e32 v9, v13, v12
	v_add_u32_e32 v10, v20, v10
	s_andn2_saveexec_b64 s[0:1], s[8:9]
	s_cbranch_execz .LBB141_141
	s_branch .LBB141_140
.LBB141_139:
	s_andn2_saveexec_b64 s[0:1], s[8:9]
	s_cbranch_execz .LBB141_141
.LBB141_140:
	s_mov_b32 s2, 0x3f22f983
	v_mul_f32_e64 v9, |v3|, s2
	v_rndne_f32_e32 v9, v9
	s_mov_b32 s2, 0xbfc90fda
	v_cvt_i32_f32_e32 v10, v9
	v_fma_f32 v12, v9, s2, |v3|
	v_fmamk_f32 v12, v9, 0xb3a22168, v12
	v_fmamk_f32 v9, v9, 0xa7c234c4, v12
.LBB141_141:
	s_or_b64 exec, exec, s[0:1]
                                        ; implicit-def: $vgpr12
                                        ; implicit-def: $vgpr13
	s_and_saveexec_b64 s[0:1], s[6:7]
	s_xor_b64 s[6:7], exec, s[0:1]
	s_cbranch_execz .LBB141_143
; %bb.142:
	v_add_u32_e32 v11, 0xffffff88, v11
	v_not_b32_e32 v12, 63
	v_cmp_lt_u32_e32 vcc, 63, v11
	s_mov_b32 s4, 0xfe5163ab
	v_mov_b32_e32 v15, 0
	v_cndmask_b32_e32 v12, 0, v12, vcc
	v_add_u32_e32 v11, v12, v11
	v_not_b32_e32 v12, 31
	v_cmp_lt_u32_e64 s[0:1], 31, v11
	s_nop 1
	v_cndmask_b32_e64 v13, 0, v12, s[0:1]
	v_add_u32_e32 v11, v13, v11
	v_cmp_lt_u32_e64 s[2:3], 31, v11
	s_nop 1
	v_cndmask_b32_e64 v12, 0, v12, s[2:3]
	v_add_u32_e32 v11, v12, v11
	v_and_b32_e32 v12, 0x7fffff, v8
	v_or_b32_e32 v26, 0x800000, v12
	v_mad_u64_u32 v[12:13], s[4:5], v26, s4, 0
	v_mov_b32_e32 v14, v13
	s_mov_b32 s4, 0x3c439041
	v_mad_u64_u32 v[16:17], s[4:5], v26, s4, v[14:15]
	v_mov_b32_e32 v14, v17
	s_mov_b32 s4, 0xdb629599
	;; [unrolled: 3-line block ×6, first 2 shown]
	v_mad_u64_u32 v[14:15], s[4:5], v26, s4, v[14:15]
	v_cndmask_b32_e32 v13, v24, v20, vcc
	v_cndmask_b32_e32 v14, v14, v22, vcc
	;; [unrolled: 1-line block ×3, first 2 shown]
	v_cndmask_b32_e64 v17, v14, v13, s[0:1]
	v_cndmask_b32_e64 v14, v15, v14, s[0:1]
	v_cndmask_b32_e32 v15, v22, v18, vcc
	v_cndmask_b32_e64 v13, v13, v15, s[0:1]
	v_cndmask_b32_e64 v14, v14, v17, s[2:3]
	;; [unrolled: 1-line block ×3, first 2 shown]
	v_sub_u32_e32 v19, 32, v11
	v_alignbit_b32 v21, v14, v17, v19
	v_cmp_eq_u32_e64 s[4:5], 0, v11
	v_cndmask_b32_e32 v12, v18, v12, vcc
	s_nop 0
	v_cndmask_b32_e64 v11, v21, v14, s[4:5]
	v_cndmask_b32_e32 v14, v20, v16, vcc
	v_cndmask_b32_e64 v15, v15, v14, s[0:1]
	v_cndmask_b32_e64 v13, v13, v15, s[2:3]
	v_alignbit_b32 v16, v17, v13, v19
	v_cndmask_b32_e64 v16, v16, v17, s[4:5]
	v_bfe_u32 v21, v11, 29, 1
	v_cndmask_b32_e64 v12, v14, v12, s[0:1]
	v_alignbit_b32 v17, v11, v16, 30
	v_sub_u32_e32 v22, 0, v21
	v_cndmask_b32_e64 v12, v15, v12, s[2:3]
	v_xor_b32_e32 v17, v17, v22
	v_alignbit_b32 v14, v13, v12, v19
	v_cndmask_b32_e64 v13, v14, v13, s[4:5]
	v_ffbh_u32_e32 v15, v17
	v_alignbit_b32 v14, v16, v13, 30
	v_min_u32_e32 v15, 32, v15
	v_alignbit_b32 v12, v13, v12, 30
	v_xor_b32_e32 v14, v14, v22
	v_sub_u32_e32 v16, 31, v15
	v_xor_b32_e32 v12, v12, v22
	v_alignbit_b32 v17, v17, v14, v16
	v_alignbit_b32 v12, v14, v12, v16
	;; [unrolled: 1-line block ×3, first 2 shown]
	v_ffbh_u32_e32 v14, v13
	v_min_u32_e32 v14, 32, v14
	v_lshrrev_b32_e32 v20, 29, v11
	v_not_b32_e32 v16, v14
	v_alignbit_b32 v12, v13, v12, v16
	v_lshlrev_b32_e32 v13, 31, v20
	v_or_b32_e32 v16, 0x33000000, v13
	v_add_lshl_u32 v14, v14, v15, 23
	v_lshrrev_b32_e32 v12, 9, v12
	v_sub_u32_e32 v14, v16, v14
	v_or_b32_e32 v13, 0.5, v13
	v_lshlrev_b32_e32 v15, 23, v15
	v_or_b32_e32 v12, v14, v12
	v_lshrrev_b32_e32 v14, 9, v17
	v_sub_u32_e32 v13, v13, v15
	v_or_b32_e32 v13, v14, v13
	s_mov_b32 s0, 0x3fc90fda
	v_mul_f32_e32 v14, 0x3fc90fda, v13
	v_fma_f32 v15, v13, s0, -v14
	v_fmamk_f32 v13, v13, 0x33a22168, v15
	v_fmac_f32_e32 v13, 0x3fc90fda, v12
	v_lshrrev_b32_e32 v11, 30, v11
	v_add_f32_e32 v13, v14, v13
	v_add_u32_e32 v12, v21, v11
	s_andn2_saveexec_b64 s[0:1], s[6:7]
	s_cbranch_execnz .LBB141_144
	s_branch .LBB141_145
.LBB141_143:
	s_andn2_saveexec_b64 s[0:1], s[6:7]
	s_cbranch_execz .LBB141_145
.LBB141_144:
	s_mov_b32 s2, 0x3f22f983
	v_mul_f32_e64 v11, |v3|, s2
	v_rndne_f32_e32 v11, v11
	s_mov_b32 s2, 0xbfc90fda
	v_cvt_i32_f32_e32 v12, v11
	v_fma_f32 v13, v11, s2, |v3|
	v_fmamk_f32 v13, v11, 0xb3a22168, v13
	v_fmamk_f32 v13, v11, 0xa7c234c4, v13
.LBB141_145:
	s_or_b64 exec, exec, s[0:1]
	v_mul_f32_e32 v11, 0x3fb8aa3b, v2
	s_mov_b32 s0, 0x3fb8aa3b
	v_rndne_f32_e32 v14, v11
	v_sub_f32_e32 v15, v11, v14
	v_fma_f32 v11, v2, s0, -v11
	v_fmamk_f32 v11, v2, 0x32a5705f, v11
	v_add_f32_e32 v11, v15, v11
	v_exp_f32_e32 v11, v11
	v_cvt_i32_f32_e32 v15, v14
	s_mov_b32 s0, 0xc2ce8ed0
	v_cmp_ngt_f32_e32 vcc, s0, v2
	s_mov_b32 s0, 0x42b17218
	v_ldexp_f32 v11, v11, v15
	v_cndmask_b32_e32 v11, 0, v11, vcc
	v_mov_b32_e32 v16, 0x7f800000
	v_cmp_nlt_f32_e32 vcc, s0, v2
	s_mov_b32 s0, 0x43000000
	v_ldexp_f32 v15, 1.0, v15
	v_cndmask_b32_e32 v11, v16, v11, vcc
	v_mov_b32_e32 v17, 0x7f000000
	v_cmp_eq_f32_e32 vcc, s0, v14
	s_mov_b32 s0, 0x42b17217
	v_mov_b32_e32 v20, 0x3c0881c4
	v_cndmask_b32_e32 v15, v15, v17, vcc
	v_fmamk_f32 v17, v14, 0xbf317218, v2
	v_fmamk_f32 v14, v14, 0x3102e308, v17
	v_mov_b32_e32 v17, 0x3ab69700
	v_fmac_f32_e32 v17, 0x395133b1, v14
	v_fmaak_f32 v17, v14, v17, 0x3c0887f9
	v_fmaak_f32 v17, v14, v17, 0x3d2aaa81
	;; [unrolled: 1-line block ×3, first 2 shown]
	v_fma_f32 v17, v14, v17, 0.5
	v_mul_f32_e32 v17, v14, v17
	v_fmac_f32_e32 v14, v14, v17
	v_add_f32_e32 v17, -1.0, v15
	v_fmac_f32_e32 v17, v15, v14
	v_add_f32_e32 v14, v17, v17
	v_cndmask_b32_e32 v14, v17, v14, vcc
	v_cmp_nlt_f32_e32 vcc, s0, v2
	v_mul_f32_e32 v15, v9, v9
	s_mov_b32 s0, 0xc1880000
	v_cndmask_b32_e32 v14, v16, v14, vcc
	v_mov_b32_e32 v16, 0xbab64f3b
	v_fmamk_f32 v17, v15, 0x37d75334, v16
	v_fmaak_f32 v17, v15, v17, 0x3d2aabf7
	v_fmamk_f32 v21, v15, 0xb94c1982, v20
	v_cmp_ngt_f32_e32 vcc, s0, v2
	v_fmaak_f32 v17, v15, v17, 0xbf000004
	v_fmaak_f32 v21, v15, v21, 0xbe2aaa9d
	v_cndmask_b32_e32 v2, -1.0, v14, vcc
	v_lshlrev_b32_e32 v14, 30, v10
	v_and_b32_e32 v10, 1, v10
	v_fma_f32 v17, v15, v17, 1.0
	v_mul_f32_e32 v15, v15, v21
	v_fmac_f32_e32 v9, v9, v15
	v_cmp_eq_u32_e32 vcc, 0, v10
	s_brev_b32 s3, 1
	v_xor_b32_e32 v5, v5, v1
	v_cndmask_b32_e64 v9, -v9, v17, vcc
	v_bitop3_b32 v9, v14, v9, s3 bitop3:0x6c
	v_lshlrev_b32_e32 v14, 30, v7
	v_and_b32_e32 v14, 0x80000000, v14
	v_xor_b32_e32 v5, v5, v14
	v_mul_f32_e32 v14, v6, v6
	v_fmamk_f32 v15, v14, 0xb94c1982, v20
	v_fmaak_f32 v15, v14, v15, 0xbe2aaa9d
	v_mul_f32_e32 v15, v14, v15
	v_fmac_f32_e32 v6, v6, v15
	v_fmamk_f32 v15, v14, 0x37d75334, v16
	v_fmaak_f32 v15, v14, v15, 0x3d2aabf7
	v_and_b32_e32 v7, 1, v7
	v_fmaak_f32 v15, v14, v15, 0xbf000004
	v_fma_f32 v14, v14, v15, 1.0
	v_cmp_eq_u32_e64 s[0:1], 0, v7
	s_movk_i32 s2, 0x1f8
	v_mov_b32_e32 v10, 0x7fc00000
	v_cndmask_b32_e64 v6, v14, v6, s[0:1]
	v_xor_b32_e32 v5, v5, v6
	v_cmp_class_f32_e64 s[0:1], v1, s2
	v_cmp_class_f32_e64 vcc, v3, s2
	v_mov_b32_e32 v22, 0xbe2aaa9d
	v_cndmask_b32_e64 v1, v10, v5, s[0:1]
	v_add_f32_e32 v5, v1, v1
	v_cndmask_b32_e32 v9, v10, v9, vcc
	v_mul_f32_e32 v1, v1, v5
	v_fma_f32 v2, v2, v9, -v1
	v_mul_f32_e32 v1, v13, v13
	v_fmac_f32_e32 v20, 0xb94c1982, v1
	v_mov_b32_e32 v18, 0x3d2aabf7
	v_fmac_f32_e32 v22, v1, v20
	v_fmac_f32_e32 v16, 0x37d75334, v1
	v_mov_b32_e32 v19, 0xbf000004
	v_mul_f32_e32 v5, v1, v22
	v_fmac_f32_e32 v18, v1, v16
	v_fmac_f32_e32 v13, v13, v5
	;; [unrolled: 1-line block ×3, first 2 shown]
	v_and_b32_e32 v5, 1, v12
	v_fma_f32 v1, v1, v19, 1.0
	v_cmp_eq_u32_e64 s[0:1], 0, v5
	v_lshlrev_b32_e32 v5, 30, v12
	v_bitop3_b32 v5, v8, v5, s3 bitop3:0x78
	v_cndmask_b32_e64 v1, v1, v13, s[0:1]
	v_xor_b32_e32 v1, v5, v1
	v_xor_b32_e32 v1, v1, v3
	v_cndmask_b32_e32 v1, v10, v1, vcc
	v_mul_f32_e32 v3, v11, v1
	v_add_u32_e32 v4, 0x80, v4
	global_store_dwordx2 v0, v[2:3], s[16:17]
	s_or_b64 exec, exec, s[48:49]
	v_cmp_gt_i32_e32 vcc, s55, v4
	s_and_saveexec_b64 s[48:49], vcc
	s_cbranch_execnz .LBB141_16
.LBB141_146:
	s_or_b64 exec, exec, s[48:49]
	v_cmp_gt_i32_e32 vcc, s55, v4
	s_and_saveexec_b64 s[48:49], vcc
	s_cbranch_execnz .LBB141_167
	s_branch .LBB141_195
.LBB141_147:
	v_mov_b32_e32 v0, 0
	s_mov_b32 s57, 0
	v_mov_b32_e32 v1, v0
                                        ; implicit-def: $vgpr2
	v_mov_b32_e32 v5, v4
.LBB141_148:
	s_and_b32 s4, s58, 3
	s_cmp_eq_u32 s4, 0
	s_cbranch_scc1 .LBB141_151
; %bb.149:
	s_lshl_b32 s0, s57, 3
	s_add_u32 s0, s34, s0
	s_addc_u32 s1, s35, 0
	s_add_u32 s0, s0, 0xc4
	s_addc_u32 s1, s1, 0
	s_mul_i32 s2, s57, 12
	s_add_u32 s2, s34, s2
	s_addc_u32 s3, s35, 0
.LBB141_150:                            ; =>This Inner Loop Header: Depth=1
	s_load_dwordx2 s[6:7], s[2:3], 0x4
	s_load_dword s5, s[2:3], 0xc
	s_load_dwordx2 s[8:9], s[0:1], 0x0
	v_mov_b32_e32 v2, v1
	s_add_u32 s2, s2, 12
	s_waitcnt lgkmcnt(0)
	v_mul_hi_u32 v1, s7, v5
	v_add_u32_e32 v1, v5, v1
	v_lshrrev_b32_e32 v1, s5, v1
	s_addc_u32 s3, s3, 0
	v_mul_lo_u32 v3, v1, s6
	s_add_u32 s0, s0, 8
	v_sub_u32_e32 v6, v5, v3
	s_addc_u32 s1, s1, 0
	s_add_i32 s4, s4, -1
	v_mov_b32_e32 v5, v1
	v_mad_u64_u32 v[2:3], s[6:7], v6, s9, v[2:3]
	v_mad_u64_u32 v[0:1], s[6:7], v6, s8, v[0:1]
	s_cmp_lg_u32 s4, 0
	v_mov_b32_e32 v1, v2
	s_cbranch_scc1 .LBB141_150
.LBB141_151:
	s_cbranch_execnz .LBB141_154
.LBB141_152:
	s_waitcnt lgkmcnt(0)
	v_mul_hi_u32 v0, s25, v4
	v_add_u32_e32 v0, v4, v0
	v_lshrrev_b32_e32 v1, s26, v0
	v_mul_lo_u32 v0, v1, s24
	v_sub_u32_e32 v0, v4, v0
	v_mul_lo_u32 v2, v0, s21
	s_andn2_b64 vcc, exec, s[42:43]
	v_mul_lo_u32 v0, v0, s20
	s_cbranch_vccnz .LBB141_154
; %bb.153:
	v_mul_hi_u32 v3, s40, v1
	v_add_u32_e32 v3, v1, v3
	v_lshrrev_b32_e32 v3, s41, v3
	v_mul_lo_u32 v3, v3, s27
	v_sub_u32_e32 v3, v1, v3
	v_mad_u64_u32 v[0:1], s[0:1], v3, s22, v[0:1]
	v_mad_u64_u32 v[2:3], s[0:1], v3, s23, v[2:3]
.LBB141_154:
	s_waitcnt lgkmcnt(0)
	global_load_dwordx2 v[2:3], v2, s[18:19]
	s_brev_b32 s0, 18
                                        ; implicit-def: $vgpr7
                                        ; implicit-def: $vgpr6
	s_waitcnt vmcnt(0)
	v_mul_f32_e32 v1, 0.5, v3
	v_and_b32_e32 v5, 0x7fffffff, v1
	v_cmp_nlt_f32_e64 s[0:1], |v1|, s0
	s_and_saveexec_b64 s[2:3], s[0:1]
	s_xor_b64 s[6:7], exec, s[2:3]
	s_cbranch_execz .LBB141_156
; %bb.155:
	v_lshrrev_b32_e32 v6, 23, v5
	v_add_u32_e32 v6, 0xffffff88, v6
	v_not_b32_e32 v7, 63
	v_cmp_lt_u32_e32 vcc, 63, v6
	s_mov_b32 s4, 0xfe5163ab
	v_mov_b32_e32 v9, 0
	v_cndmask_b32_e32 v7, 0, v7, vcc
	v_add_u32_e32 v6, v7, v6
	v_not_b32_e32 v7, 31
	v_cmp_lt_u32_e64 s[0:1], 31, v6
	s_nop 1
	v_cndmask_b32_e64 v8, 0, v7, s[0:1]
	v_add_u32_e32 v6, v8, v6
	v_cmp_lt_u32_e64 s[2:3], 31, v6
	s_nop 1
	v_cndmask_b32_e64 v7, 0, v7, s[2:3]
	v_add_u32_e32 v20, v7, v6
	v_and_b32_e32 v6, 0x7fffff, v5
	v_or_b32_e32 v21, 0x800000, v6
	v_mad_u64_u32 v[6:7], s[4:5], v21, s4, 0
	v_mov_b32_e32 v8, v7
	s_mov_b32 s4, 0x3c439041
	v_mad_u64_u32 v[10:11], s[4:5], v21, s4, v[8:9]
	v_mov_b32_e32 v8, v11
	s_mov_b32 s4, 0xdb629599
	;; [unrolled: 3-line block ×6, first 2 shown]
	v_mad_u64_u32 v[8:9], s[4:5], v21, s4, v[8:9]
	v_cndmask_b32_e32 v7, v18, v14, vcc
	v_cndmask_b32_e32 v8, v8, v16, vcc
	;; [unrolled: 1-line block ×3, first 2 shown]
	v_cndmask_b32_e64 v11, v8, v7, s[0:1]
	v_cndmask_b32_e64 v8, v9, v8, s[0:1]
	v_cndmask_b32_e32 v9, v16, v12, vcc
	v_cndmask_b32_e64 v7, v7, v9, s[0:1]
	v_cndmask_b32_e32 v10, v14, v10, vcc
	v_cndmask_b32_e64 v8, v8, v11, s[2:3]
	v_cndmask_b32_e64 v11, v11, v7, s[2:3]
	v_sub_u32_e32 v13, 32, v20
	v_cndmask_b32_e64 v9, v9, v10, s[0:1]
	v_alignbit_b32 v15, v8, v11, v13
	v_cmp_eq_u32_e64 s[4:5], 0, v20
	v_cndmask_b32_e64 v7, v7, v9, s[2:3]
	v_alignbit_b32 v14, v11, v7, v13
	v_cndmask_b32_e64 v8, v15, v8, s[4:5]
	v_cndmask_b32_e32 v6, v12, v6, vcc
	v_cndmask_b32_e64 v11, v14, v11, s[4:5]
	v_bfe_u32 v16, v8, 29, 1
	v_cndmask_b32_e64 v6, v10, v6, s[0:1]
	v_alignbit_b32 v14, v8, v11, 30
	v_sub_u32_e32 v17, 0, v16
	v_cndmask_b32_e64 v6, v9, v6, s[2:3]
	v_xor_b32_e32 v14, v14, v17
	v_alignbit_b32 v9, v7, v6, v13
	v_cndmask_b32_e64 v7, v9, v7, s[4:5]
	v_ffbh_u32_e32 v10, v14
	v_alignbit_b32 v9, v11, v7, 30
	v_min_u32_e32 v10, 32, v10
	v_alignbit_b32 v6, v7, v6, 30
	v_xor_b32_e32 v9, v9, v17
	v_sub_u32_e32 v11, 31, v10
	v_xor_b32_e32 v6, v6, v17
	v_alignbit_b32 v12, v14, v9, v11
	v_alignbit_b32 v6, v9, v6, v11
	;; [unrolled: 1-line block ×3, first 2 shown]
	v_ffbh_u32_e32 v9, v7
	v_min_u32_e32 v9, 32, v9
	v_lshrrev_b32_e32 v15, 29, v8
	v_not_b32_e32 v11, v9
	v_alignbit_b32 v6, v7, v6, v11
	v_lshlrev_b32_e32 v7, 31, v15
	v_or_b32_e32 v11, 0x33000000, v7
	v_add_lshl_u32 v9, v9, v10, 23
	v_lshrrev_b32_e32 v6, 9, v6
	v_sub_u32_e32 v9, v11, v9
	v_or_b32_e32 v7, 0.5, v7
	v_lshlrev_b32_e32 v10, 23, v10
	v_or_b32_e32 v6, v9, v6
	v_lshrrev_b32_e32 v9, 9, v12
	v_sub_u32_e32 v7, v7, v10
	v_or_b32_e32 v7, v9, v7
	s_mov_b32 s0, 0x3fc90fda
	v_mul_f32_e32 v9, 0x3fc90fda, v7
	v_fma_f32 v10, v7, s0, -v9
	v_fmamk_f32 v7, v7, 0x33a22168, v10
	v_fmac_f32_e32 v7, 0x3fc90fda, v6
	v_add_f32_e32 v6, v9, v7
	v_lshrrev_b32_e32 v7, 30, v8
	v_add_u32_e32 v7, v16, v7
.LBB141_156:
	s_andn2_saveexec_b64 s[0:1], s[6:7]
	s_cbranch_execz .LBB141_158
; %bb.157:
	s_mov_b32 s2, 0x3f22f983
	v_mul_f32_e64 v6, |v1|, s2
	v_rndne_f32_e32 v6, v6
	s_mov_b32 s2, 0xbfc90fda
	v_cvt_i32_f32_e32 v7, v6
	v_fma_f32 v8, v6, s2, |v1|
	v_fmamk_f32 v8, v6, 0xb3a22168, v8
	v_fmamk_f32 v6, v6, 0xa7c234c4, v8
.LBB141_158:
	s_or_b64 exec, exec, s[0:1]
	v_and_b32_e32 v8, 0x7fffffff, v3
	s_brev_b32 s0, 18
	v_cmp_nlt_f32_e64 s[6:7], |v3|, s0
	v_lshrrev_b32_e32 v11, 23, v8
                                        ; implicit-def: $vgpr10
                                        ; implicit-def: $vgpr9
	s_and_saveexec_b64 s[0:1], s[6:7]
	s_xor_b64 s[8:9], exec, s[0:1]
	s_cbranch_execz .LBB141_160
; %bb.159:
	v_add_u32_e32 v9, 0xffffff88, v11
	v_not_b32_e32 v10, 63
	v_cmp_lt_u32_e32 vcc, 63, v9
	s_mov_b32 s4, 0xfe5163ab
	v_mov_b32_e32 v15, 0
	v_cndmask_b32_e32 v10, 0, v10, vcc
	v_add_u32_e32 v9, v10, v9
	v_not_b32_e32 v10, 31
	v_cmp_lt_u32_e64 s[0:1], 31, v9
	s_nop 1
	v_cndmask_b32_e64 v12, 0, v10, s[0:1]
	v_add_u32_e32 v9, v12, v9
	v_cmp_lt_u32_e64 s[2:3], 31, v9
	s_nop 1
	v_cndmask_b32_e64 v10, 0, v10, s[2:3]
	v_add_u32_e32 v9, v10, v9
	v_and_b32_e32 v10, 0x7fffff, v8
	v_or_b32_e32 v10, 0x800000, v10
	v_mad_u64_u32 v[12:13], s[4:5], v10, s4, 0
	v_mov_b32_e32 v14, v13
	s_mov_b32 s4, 0x3c439041
	v_mad_u64_u32 v[16:17], s[4:5], v10, s4, v[14:15]
	v_mov_b32_e32 v14, v17
	s_mov_b32 s4, 0xdb629599
	v_mad_u64_u32 v[18:19], s[4:5], v10, s4, v[14:15]
	v_mov_b32_e32 v14, v19
	s_mov_b32 s4, 0xf534ddc0
	v_mad_u64_u32 v[20:21], s[4:5], v10, s4, v[14:15]
	v_mov_b32_e32 v14, v21
	s_mov_b32 s4, 0xfc2757d1
	v_mad_u64_u32 v[22:23], s[4:5], v10, s4, v[14:15]
	v_mov_b32_e32 v14, v23
	s_mov_b32 s4, 0x4e441529
	v_mad_u64_u32 v[24:25], s[4:5], v10, s4, v[14:15]
	v_mov_b32_e32 v14, v25
	s_mov_b32 s4, 0xa2f9836e
	v_mad_u64_u32 v[14:15], s[4:5], v10, s4, v[14:15]
	v_cndmask_b32_e32 v13, v24, v20, vcc
	v_cndmask_b32_e32 v10, v14, v22, vcc
	;; [unrolled: 1-line block ×3, first 2 shown]
	v_cndmask_b32_e64 v14, v10, v13, s[0:1]
	v_cndmask_b32_e64 v10, v15, v10, s[0:1]
	v_cndmask_b32_e32 v15, v22, v18, vcc
	v_cndmask_b32_e64 v13, v13, v15, s[0:1]
	v_sub_u32_e32 v17, 32, v9
	v_cmp_eq_u32_e64 s[4:5], 0, v9
	v_cndmask_b32_e32 v9, v20, v16, vcc
	v_cndmask_b32_e64 v10, v10, v14, s[2:3]
	v_cndmask_b32_e64 v14, v14, v13, s[2:3]
	;; [unrolled: 1-line block ×3, first 2 shown]
	v_alignbit_b32 v19, v10, v14, v17
	v_cndmask_b32_e64 v13, v13, v15, s[2:3]
	v_cndmask_b32_e32 v12, v18, v12, vcc
	v_cndmask_b32_e64 v10, v19, v10, s[4:5]
	v_alignbit_b32 v16, v14, v13, v17
	v_cndmask_b32_e64 v9, v9, v12, s[0:1]
	v_cndmask_b32_e64 v14, v16, v14, s[4:5]
	v_bfe_u32 v20, v10, 29, 1
	v_cndmask_b32_e64 v9, v15, v9, s[2:3]
	v_alignbit_b32 v16, v10, v14, 30
	v_sub_u32_e32 v21, 0, v20
	v_alignbit_b32 v12, v13, v9, v17
	v_xor_b32_e32 v16, v16, v21
	v_cndmask_b32_e64 v12, v12, v13, s[4:5]
	v_alignbit_b32 v13, v14, v12, 30
	v_ffbh_u32_e32 v14, v16
	v_min_u32_e32 v14, 32, v14
	v_alignbit_b32 v9, v12, v9, 30
	v_xor_b32_e32 v13, v13, v21
	v_sub_u32_e32 v15, 31, v14
	v_xor_b32_e32 v9, v9, v21
	v_alignbit_b32 v16, v16, v13, v15
	v_alignbit_b32 v9, v13, v9, v15
	;; [unrolled: 1-line block ×3, first 2 shown]
	v_ffbh_u32_e32 v13, v12
	v_min_u32_e32 v13, 32, v13
	v_lshrrev_b32_e32 v19, 29, v10
	v_not_b32_e32 v15, v13
	v_alignbit_b32 v9, v12, v9, v15
	v_lshlrev_b32_e32 v12, 31, v19
	v_or_b32_e32 v15, 0x33000000, v12
	v_add_lshl_u32 v13, v13, v14, 23
	v_lshrrev_b32_e32 v9, 9, v9
	v_sub_u32_e32 v13, v15, v13
	v_or_b32_e32 v12, 0.5, v12
	v_lshlrev_b32_e32 v14, 23, v14
	v_or_b32_e32 v9, v13, v9
	v_lshrrev_b32_e32 v13, 9, v16
	v_sub_u32_e32 v12, v12, v14
	v_or_b32_e32 v12, v13, v12
	s_mov_b32 s0, 0x3fc90fda
	v_mul_f32_e32 v13, 0x3fc90fda, v12
	v_fma_f32 v14, v12, s0, -v13
	v_fmamk_f32 v12, v12, 0x33a22168, v14
	v_fmac_f32_e32 v12, 0x3fc90fda, v9
	v_lshrrev_b32_e32 v10, 30, v10
	v_add_f32_e32 v9, v13, v12
	v_add_u32_e32 v10, v20, v10
	s_andn2_saveexec_b64 s[0:1], s[8:9]
	s_cbranch_execz .LBB141_162
	s_branch .LBB141_161
.LBB141_160:
	s_andn2_saveexec_b64 s[0:1], s[8:9]
	s_cbranch_execz .LBB141_162
.LBB141_161:
	s_mov_b32 s2, 0x3f22f983
	v_mul_f32_e64 v9, |v3|, s2
	v_rndne_f32_e32 v9, v9
	s_mov_b32 s2, 0xbfc90fda
	v_cvt_i32_f32_e32 v10, v9
	v_fma_f32 v12, v9, s2, |v3|
	v_fmamk_f32 v12, v9, 0xb3a22168, v12
	v_fmamk_f32 v9, v9, 0xa7c234c4, v12
.LBB141_162:
	s_or_b64 exec, exec, s[0:1]
                                        ; implicit-def: $vgpr12
                                        ; implicit-def: $vgpr13
	s_and_saveexec_b64 s[0:1], s[6:7]
	s_xor_b64 s[6:7], exec, s[0:1]
	s_cbranch_execz .LBB141_164
; %bb.163:
	v_add_u32_e32 v11, 0xffffff88, v11
	v_not_b32_e32 v12, 63
	v_cmp_lt_u32_e32 vcc, 63, v11
	s_mov_b32 s4, 0xfe5163ab
	v_mov_b32_e32 v15, 0
	v_cndmask_b32_e32 v12, 0, v12, vcc
	v_add_u32_e32 v11, v12, v11
	v_not_b32_e32 v12, 31
	v_cmp_lt_u32_e64 s[0:1], 31, v11
	s_nop 1
	v_cndmask_b32_e64 v13, 0, v12, s[0:1]
	v_add_u32_e32 v11, v13, v11
	v_cmp_lt_u32_e64 s[2:3], 31, v11
	s_nop 1
	v_cndmask_b32_e64 v12, 0, v12, s[2:3]
	v_add_u32_e32 v11, v12, v11
	v_and_b32_e32 v12, 0x7fffff, v8
	v_or_b32_e32 v26, 0x800000, v12
	v_mad_u64_u32 v[12:13], s[4:5], v26, s4, 0
	v_mov_b32_e32 v14, v13
	s_mov_b32 s4, 0x3c439041
	v_mad_u64_u32 v[16:17], s[4:5], v26, s4, v[14:15]
	v_mov_b32_e32 v14, v17
	s_mov_b32 s4, 0xdb629599
	;; [unrolled: 3-line block ×6, first 2 shown]
	v_mad_u64_u32 v[14:15], s[4:5], v26, s4, v[14:15]
	v_cndmask_b32_e32 v13, v24, v20, vcc
	v_cndmask_b32_e32 v14, v14, v22, vcc
	;; [unrolled: 1-line block ×3, first 2 shown]
	v_cndmask_b32_e64 v17, v14, v13, s[0:1]
	v_cndmask_b32_e64 v14, v15, v14, s[0:1]
	v_cndmask_b32_e32 v15, v22, v18, vcc
	v_cndmask_b32_e64 v13, v13, v15, s[0:1]
	v_cndmask_b32_e64 v14, v14, v17, s[2:3]
	;; [unrolled: 1-line block ×3, first 2 shown]
	v_sub_u32_e32 v19, 32, v11
	v_alignbit_b32 v21, v14, v17, v19
	v_cmp_eq_u32_e64 s[4:5], 0, v11
	v_cndmask_b32_e32 v12, v18, v12, vcc
	s_nop 0
	v_cndmask_b32_e64 v11, v21, v14, s[4:5]
	v_cndmask_b32_e32 v14, v20, v16, vcc
	v_cndmask_b32_e64 v15, v15, v14, s[0:1]
	v_cndmask_b32_e64 v13, v13, v15, s[2:3]
	v_alignbit_b32 v16, v17, v13, v19
	v_cndmask_b32_e64 v16, v16, v17, s[4:5]
	v_bfe_u32 v21, v11, 29, 1
	v_cndmask_b32_e64 v12, v14, v12, s[0:1]
	v_alignbit_b32 v17, v11, v16, 30
	v_sub_u32_e32 v22, 0, v21
	v_cndmask_b32_e64 v12, v15, v12, s[2:3]
	v_xor_b32_e32 v17, v17, v22
	v_alignbit_b32 v14, v13, v12, v19
	v_cndmask_b32_e64 v13, v14, v13, s[4:5]
	v_ffbh_u32_e32 v15, v17
	v_alignbit_b32 v14, v16, v13, 30
	v_min_u32_e32 v15, 32, v15
	v_alignbit_b32 v12, v13, v12, 30
	v_xor_b32_e32 v14, v14, v22
	v_sub_u32_e32 v16, 31, v15
	v_xor_b32_e32 v12, v12, v22
	v_alignbit_b32 v17, v17, v14, v16
	v_alignbit_b32 v12, v14, v12, v16
	;; [unrolled: 1-line block ×3, first 2 shown]
	v_ffbh_u32_e32 v14, v13
	v_min_u32_e32 v14, 32, v14
	v_lshrrev_b32_e32 v20, 29, v11
	v_not_b32_e32 v16, v14
	v_alignbit_b32 v12, v13, v12, v16
	v_lshlrev_b32_e32 v13, 31, v20
	v_or_b32_e32 v16, 0x33000000, v13
	v_add_lshl_u32 v14, v14, v15, 23
	v_lshrrev_b32_e32 v12, 9, v12
	v_sub_u32_e32 v14, v16, v14
	v_or_b32_e32 v13, 0.5, v13
	v_lshlrev_b32_e32 v15, 23, v15
	v_or_b32_e32 v12, v14, v12
	v_lshrrev_b32_e32 v14, 9, v17
	v_sub_u32_e32 v13, v13, v15
	v_or_b32_e32 v13, v14, v13
	s_mov_b32 s0, 0x3fc90fda
	v_mul_f32_e32 v14, 0x3fc90fda, v13
	v_fma_f32 v15, v13, s0, -v14
	v_fmamk_f32 v13, v13, 0x33a22168, v15
	v_fmac_f32_e32 v13, 0x3fc90fda, v12
	v_lshrrev_b32_e32 v11, 30, v11
	v_add_f32_e32 v13, v14, v13
	v_add_u32_e32 v12, v21, v11
	s_andn2_saveexec_b64 s[0:1], s[6:7]
	s_cbranch_execnz .LBB141_165
	s_branch .LBB141_166
.LBB141_164:
	s_andn2_saveexec_b64 s[0:1], s[6:7]
	s_cbranch_execz .LBB141_166
.LBB141_165:
	s_mov_b32 s2, 0x3f22f983
	v_mul_f32_e64 v11, |v3|, s2
	v_rndne_f32_e32 v11, v11
	s_mov_b32 s2, 0xbfc90fda
	v_cvt_i32_f32_e32 v12, v11
	v_fma_f32 v13, v11, s2, |v3|
	v_fmamk_f32 v13, v11, 0xb3a22168, v13
	v_fmamk_f32 v13, v11, 0xa7c234c4, v13
.LBB141_166:
	s_or_b64 exec, exec, s[0:1]
	v_mul_f32_e32 v11, 0x3fb8aa3b, v2
	s_mov_b32 s0, 0x3fb8aa3b
	v_rndne_f32_e32 v14, v11
	v_sub_f32_e32 v15, v11, v14
	v_fma_f32 v11, v2, s0, -v11
	v_fmamk_f32 v11, v2, 0x32a5705f, v11
	v_add_f32_e32 v11, v15, v11
	v_exp_f32_e32 v11, v11
	v_cvt_i32_f32_e32 v15, v14
	s_mov_b32 s0, 0xc2ce8ed0
	v_cmp_ngt_f32_e32 vcc, s0, v2
	s_mov_b32 s0, 0x42b17218
	v_ldexp_f32 v11, v11, v15
	v_cndmask_b32_e32 v11, 0, v11, vcc
	v_mov_b32_e32 v16, 0x7f800000
	v_cmp_nlt_f32_e32 vcc, s0, v2
	s_mov_b32 s0, 0x43000000
	v_ldexp_f32 v15, 1.0, v15
	v_cndmask_b32_e32 v11, v16, v11, vcc
	v_mov_b32_e32 v17, 0x7f000000
	v_cmp_eq_f32_e32 vcc, s0, v14
	s_mov_b32 s0, 0x42b17217
	v_mov_b32_e32 v20, 0x3c0881c4
	v_cndmask_b32_e32 v15, v15, v17, vcc
	v_fmamk_f32 v17, v14, 0xbf317218, v2
	v_fmamk_f32 v14, v14, 0x3102e308, v17
	v_mov_b32_e32 v17, 0x3ab69700
	v_fmac_f32_e32 v17, 0x395133b1, v14
	v_fmaak_f32 v17, v14, v17, 0x3c0887f9
	v_fmaak_f32 v17, v14, v17, 0x3d2aaa81
	;; [unrolled: 1-line block ×3, first 2 shown]
	v_fma_f32 v17, v14, v17, 0.5
	v_mul_f32_e32 v17, v14, v17
	v_fmac_f32_e32 v14, v14, v17
	v_add_f32_e32 v17, -1.0, v15
	v_fmac_f32_e32 v17, v15, v14
	v_add_f32_e32 v14, v17, v17
	v_cndmask_b32_e32 v14, v17, v14, vcc
	v_cmp_nlt_f32_e32 vcc, s0, v2
	v_mul_f32_e32 v15, v9, v9
	s_mov_b32 s0, 0xc1880000
	v_cndmask_b32_e32 v14, v16, v14, vcc
	v_mov_b32_e32 v16, 0xbab64f3b
	v_fmamk_f32 v17, v15, 0x37d75334, v16
	v_fmaak_f32 v17, v15, v17, 0x3d2aabf7
	v_fmamk_f32 v21, v15, 0xb94c1982, v20
	v_cmp_ngt_f32_e32 vcc, s0, v2
	v_fmaak_f32 v17, v15, v17, 0xbf000004
	v_fmaak_f32 v21, v15, v21, 0xbe2aaa9d
	v_cndmask_b32_e32 v2, -1.0, v14, vcc
	v_lshlrev_b32_e32 v14, 30, v10
	v_and_b32_e32 v10, 1, v10
	v_fma_f32 v17, v15, v17, 1.0
	v_mul_f32_e32 v15, v15, v21
	v_fmac_f32_e32 v9, v9, v15
	v_cmp_eq_u32_e32 vcc, 0, v10
	s_brev_b32 s3, 1
	v_xor_b32_e32 v5, v5, v1
	v_cndmask_b32_e64 v9, -v9, v17, vcc
	v_bitop3_b32 v9, v14, v9, s3 bitop3:0x6c
	v_lshlrev_b32_e32 v14, 30, v7
	v_and_b32_e32 v14, 0x80000000, v14
	v_xor_b32_e32 v5, v5, v14
	v_mul_f32_e32 v14, v6, v6
	v_fmamk_f32 v15, v14, 0xb94c1982, v20
	v_fmaak_f32 v15, v14, v15, 0xbe2aaa9d
	v_mul_f32_e32 v15, v14, v15
	v_fmac_f32_e32 v6, v6, v15
	v_fmamk_f32 v15, v14, 0x37d75334, v16
	v_fmaak_f32 v15, v14, v15, 0x3d2aabf7
	v_and_b32_e32 v7, 1, v7
	v_fmaak_f32 v15, v14, v15, 0xbf000004
	v_fma_f32 v14, v14, v15, 1.0
	v_cmp_eq_u32_e64 s[0:1], 0, v7
	s_movk_i32 s2, 0x1f8
	v_mov_b32_e32 v10, 0x7fc00000
	v_cndmask_b32_e64 v6, v14, v6, s[0:1]
	v_xor_b32_e32 v5, v5, v6
	v_cmp_class_f32_e64 s[0:1], v1, s2
	v_cmp_class_f32_e64 vcc, v3, s2
	v_mov_b32_e32 v22, 0xbe2aaa9d
	v_cndmask_b32_e64 v1, v10, v5, s[0:1]
	v_add_f32_e32 v5, v1, v1
	v_cndmask_b32_e32 v9, v10, v9, vcc
	v_mul_f32_e32 v1, v1, v5
	v_fma_f32 v2, v2, v9, -v1
	v_mul_f32_e32 v1, v13, v13
	v_fmac_f32_e32 v20, 0xb94c1982, v1
	v_mov_b32_e32 v18, 0x3d2aabf7
	v_fmac_f32_e32 v22, v1, v20
	v_fmac_f32_e32 v16, 0x37d75334, v1
	v_mov_b32_e32 v19, 0xbf000004
	v_mul_f32_e32 v5, v1, v22
	v_fmac_f32_e32 v18, v1, v16
	v_fmac_f32_e32 v13, v13, v5
	;; [unrolled: 1-line block ×3, first 2 shown]
	v_and_b32_e32 v5, 1, v12
	v_fma_f32 v1, v1, v19, 1.0
	v_cmp_eq_u32_e64 s[0:1], 0, v5
	v_lshlrev_b32_e32 v5, 30, v12
	v_bitop3_b32 v5, v8, v5, s3 bitop3:0x78
	v_cndmask_b32_e64 v1, v1, v13, s[0:1]
	v_xor_b32_e32 v1, v5, v1
	v_xor_b32_e32 v1, v1, v3
	v_cndmask_b32_e32 v1, v10, v1, vcc
	v_mul_f32_e32 v3, v11, v1
	v_add_u32_e32 v4, 0x80, v4
	global_store_dwordx2 v0, v[2:3], s[16:17]
	s_or_b64 exec, exec, s[48:49]
	v_cmp_gt_i32_e32 vcc, s55, v4
	s_and_saveexec_b64 s[48:49], vcc
	s_cbranch_execz .LBB141_195
.LBB141_167:
	s_andn2_b64 vcc, exec, s[36:37]
	s_cbranch_vccnz .LBB141_173
; %bb.168:
	s_andn2_b64 vcc, exec, s[46:47]
	s_cbranch_vccnz .LBB141_174
; %bb.169:
	s_add_i32 s58, s56, 1
	s_cmp_eq_u32 s54, 2
	s_cbranch_scc1 .LBB141_175
; %bb.170:
	s_and_b32 s57, s58, 28
	s_mov_b32 s59, 0
	v_mov_b32_e32 v0, 0
	v_mov_b32_e32 v2, 0
	s_mov_b64 s[50:51], s[34:35]
	s_mov_b64 s[52:53], s[44:45]
	v_mov_b32_e32 v5, v4
.LBB141_171:                            ; =>This Inner Loop Header: Depth=1
	s_load_dwordx8 s[8:15], s[50:51], 0x4
	s_load_dwordx4 s[28:31], s[50:51], 0x24
	s_load_dwordx8 s[0:7], s[52:53], 0x0
	s_add_u32 s50, s50, 48
	s_addc_u32 s51, s51, 0
	s_waitcnt lgkmcnt(0)
	v_mul_hi_u32 v1, s9, v5
	v_add_u32_e32 v1, v5, v1
	v_lshrrev_b32_e32 v1, s10, v1
	v_mul_lo_u32 v3, v1, s8
	v_mul_hi_u32 v6, s12, v1
	v_sub_u32_e32 v3, v5, v3
	v_add_u32_e32 v5, v1, v6
	v_lshrrev_b32_e32 v5, s13, v5
	v_mul_lo_u32 v7, v5, s11
	v_mul_hi_u32 v8, s15, v5
	v_sub_u32_e32 v1, v1, v7
	v_add_u32_e32 v7, v5, v8
	v_mul_lo_u32 v6, v3, s1
	v_mul_lo_u32 v3, v3, s0
	;; [unrolled: 1-line block ×4, first 2 shown]
	v_lshrrev_b32_e32 v7, s28, v7
	v_add3_u32 v0, v3, v0, v1
	v_mul_hi_u32 v3, s30, v7
	v_add3_u32 v1, v6, v2, v8
	v_mul_lo_u32 v2, v7, s14
	v_add_u32_e32 v3, v7, v3
	v_sub_u32_e32 v2, v5, v2
	v_lshrrev_b32_e32 v5, s31, v3
	s_add_i32 s59, s59, 4
	v_mul_lo_u32 v3, v5, s29
	s_add_u32 s52, s52, 32
	v_sub_u32_e32 v3, v7, v3
	s_addc_u32 s53, s53, 0
	v_mul_lo_u32 v6, v2, s4
	v_mul_lo_u32 v2, v2, s5
	;; [unrolled: 1-line block ×4, first 2 shown]
	s_cmp_eq_u32 s57, s59
	v_add3_u32 v2, v2, v1, v3
	v_add3_u32 v0, v6, v0, v7
	s_cbranch_scc0 .LBB141_171
; %bb.172:
	v_mov_b32_e32 v1, v2
	s_branch .LBB141_176
.LBB141_173:
                                        ; implicit-def: $vgpr2
                                        ; implicit-def: $vgpr0
	s_branch .LBB141_180
.LBB141_174:
	v_mov_b32_e32 v2, 0
	v_mov_b32_e32 v0, 0
	s_branch .LBB141_179
.LBB141_175:
	v_mov_b32_e32 v0, 0
	s_mov_b32 s57, 0
	v_mov_b32_e32 v1, v0
                                        ; implicit-def: $vgpr2
	v_mov_b32_e32 v5, v4
.LBB141_176:
	s_and_b32 s4, s58, 3
	s_cmp_eq_u32 s4, 0
	s_cbranch_scc1 .LBB141_179
; %bb.177:
	s_lshl_b32 s0, s57, 3
	s_add_u32 s0, s34, s0
	s_addc_u32 s1, s35, 0
	s_add_u32 s0, s0, 0xc4
	s_addc_u32 s1, s1, 0
	s_mul_i32 s2, s57, 12
	s_add_u32 s2, s34, s2
	s_addc_u32 s3, s35, 0
.LBB141_178:                            ; =>This Inner Loop Header: Depth=1
	s_load_dwordx2 s[6:7], s[2:3], 0x4
	s_load_dword s5, s[2:3], 0xc
	s_load_dwordx2 s[8:9], s[0:1], 0x0
	v_mov_b32_e32 v2, v1
	s_add_u32 s2, s2, 12
	s_waitcnt lgkmcnt(0)
	v_mul_hi_u32 v1, s7, v5
	v_add_u32_e32 v1, v5, v1
	v_lshrrev_b32_e32 v1, s5, v1
	s_addc_u32 s3, s3, 0
	v_mul_lo_u32 v3, v1, s6
	s_add_u32 s0, s0, 8
	v_sub_u32_e32 v6, v5, v3
	s_addc_u32 s1, s1, 0
	s_add_i32 s4, s4, -1
	v_mov_b32_e32 v5, v1
	v_mad_u64_u32 v[2:3], s[6:7], v6, s9, v[2:3]
	v_mad_u64_u32 v[0:1], s[6:7], v6, s8, v[0:1]
	s_cmp_lg_u32 s4, 0
	v_mov_b32_e32 v1, v2
	s_cbranch_scc1 .LBB141_178
.LBB141_179:
	s_cbranch_execnz .LBB141_182
.LBB141_180:
	s_waitcnt lgkmcnt(0)
	v_mul_hi_u32 v0, s25, v4
	v_add_u32_e32 v0, v4, v0
	v_lshrrev_b32_e32 v1, s26, v0
	v_mul_lo_u32 v0, v1, s24
	v_sub_u32_e32 v0, v4, v0
	v_mul_lo_u32 v2, v0, s21
	s_andn2_b64 vcc, exec, s[42:43]
	v_mul_lo_u32 v0, v0, s20
	s_cbranch_vccnz .LBB141_182
; %bb.181:
	v_mul_hi_u32 v3, s40, v1
	v_add_u32_e32 v3, v1, v3
	v_lshrrev_b32_e32 v3, s41, v3
	v_mul_lo_u32 v3, v3, s27
	v_sub_u32_e32 v3, v1, v3
	v_mad_u64_u32 v[0:1], s[0:1], v3, s22, v[0:1]
	v_mad_u64_u32 v[2:3], s[0:1], v3, s23, v[2:3]
.LBB141_182:
	s_waitcnt lgkmcnt(0)
	global_load_dwordx2 v[2:3], v2, s[18:19]
	s_brev_b32 s0, 18
                                        ; implicit-def: $vgpr7
                                        ; implicit-def: $vgpr6
	s_waitcnt vmcnt(0)
	v_mul_f32_e32 v1, 0.5, v3
	v_and_b32_e32 v5, 0x7fffffff, v1
	v_cmp_nlt_f32_e64 s[0:1], |v1|, s0
	s_and_saveexec_b64 s[2:3], s[0:1]
	s_xor_b64 s[6:7], exec, s[2:3]
	s_cbranch_execz .LBB141_184
; %bb.183:
	v_lshrrev_b32_e32 v6, 23, v5
	v_add_u32_e32 v6, 0xffffff88, v6
	v_not_b32_e32 v7, 63
	v_cmp_lt_u32_e32 vcc, 63, v6
	s_mov_b32 s4, 0xfe5163ab
	v_mov_b32_e32 v9, 0
	v_cndmask_b32_e32 v7, 0, v7, vcc
	v_add_u32_e32 v6, v7, v6
	v_not_b32_e32 v7, 31
	v_cmp_lt_u32_e64 s[0:1], 31, v6
	s_nop 1
	v_cndmask_b32_e64 v8, 0, v7, s[0:1]
	v_add_u32_e32 v6, v8, v6
	v_cmp_lt_u32_e64 s[2:3], 31, v6
	s_nop 1
	v_cndmask_b32_e64 v7, 0, v7, s[2:3]
	v_add_u32_e32 v20, v7, v6
	v_and_b32_e32 v6, 0x7fffff, v5
	v_or_b32_e32 v21, 0x800000, v6
	v_mad_u64_u32 v[6:7], s[4:5], v21, s4, 0
	v_mov_b32_e32 v8, v7
	s_mov_b32 s4, 0x3c439041
	v_mad_u64_u32 v[10:11], s[4:5], v21, s4, v[8:9]
	v_mov_b32_e32 v8, v11
	s_mov_b32 s4, 0xdb629599
	;; [unrolled: 3-line block ×6, first 2 shown]
	v_mad_u64_u32 v[8:9], s[4:5], v21, s4, v[8:9]
	v_cndmask_b32_e32 v7, v18, v14, vcc
	v_cndmask_b32_e32 v8, v8, v16, vcc
	;; [unrolled: 1-line block ×3, first 2 shown]
	v_cndmask_b32_e64 v11, v8, v7, s[0:1]
	v_cndmask_b32_e64 v8, v9, v8, s[0:1]
	v_cndmask_b32_e32 v9, v16, v12, vcc
	v_cndmask_b32_e64 v7, v7, v9, s[0:1]
	v_cndmask_b32_e32 v10, v14, v10, vcc
	v_cndmask_b32_e64 v8, v8, v11, s[2:3]
	v_cndmask_b32_e64 v11, v11, v7, s[2:3]
	v_sub_u32_e32 v13, 32, v20
	v_cndmask_b32_e64 v9, v9, v10, s[0:1]
	v_alignbit_b32 v15, v8, v11, v13
	v_cmp_eq_u32_e64 s[4:5], 0, v20
	v_cndmask_b32_e64 v7, v7, v9, s[2:3]
	v_alignbit_b32 v14, v11, v7, v13
	v_cndmask_b32_e64 v8, v15, v8, s[4:5]
	v_cndmask_b32_e32 v6, v12, v6, vcc
	v_cndmask_b32_e64 v11, v14, v11, s[4:5]
	v_bfe_u32 v16, v8, 29, 1
	v_cndmask_b32_e64 v6, v10, v6, s[0:1]
	v_alignbit_b32 v14, v8, v11, 30
	v_sub_u32_e32 v17, 0, v16
	v_cndmask_b32_e64 v6, v9, v6, s[2:3]
	v_xor_b32_e32 v14, v14, v17
	v_alignbit_b32 v9, v7, v6, v13
	v_cndmask_b32_e64 v7, v9, v7, s[4:5]
	v_ffbh_u32_e32 v10, v14
	v_alignbit_b32 v9, v11, v7, 30
	v_min_u32_e32 v10, 32, v10
	v_alignbit_b32 v6, v7, v6, 30
	v_xor_b32_e32 v9, v9, v17
	v_sub_u32_e32 v11, 31, v10
	v_xor_b32_e32 v6, v6, v17
	v_alignbit_b32 v12, v14, v9, v11
	v_alignbit_b32 v6, v9, v6, v11
	;; [unrolled: 1-line block ×3, first 2 shown]
	v_ffbh_u32_e32 v9, v7
	v_min_u32_e32 v9, 32, v9
	v_lshrrev_b32_e32 v15, 29, v8
	v_not_b32_e32 v11, v9
	v_alignbit_b32 v6, v7, v6, v11
	v_lshlrev_b32_e32 v7, 31, v15
	v_or_b32_e32 v11, 0x33000000, v7
	v_add_lshl_u32 v9, v9, v10, 23
	v_lshrrev_b32_e32 v6, 9, v6
	v_sub_u32_e32 v9, v11, v9
	v_or_b32_e32 v7, 0.5, v7
	v_lshlrev_b32_e32 v10, 23, v10
	v_or_b32_e32 v6, v9, v6
	v_lshrrev_b32_e32 v9, 9, v12
	v_sub_u32_e32 v7, v7, v10
	v_or_b32_e32 v7, v9, v7
	s_mov_b32 s0, 0x3fc90fda
	v_mul_f32_e32 v9, 0x3fc90fda, v7
	v_fma_f32 v10, v7, s0, -v9
	v_fmamk_f32 v7, v7, 0x33a22168, v10
	v_fmac_f32_e32 v7, 0x3fc90fda, v6
	v_add_f32_e32 v6, v9, v7
	v_lshrrev_b32_e32 v7, 30, v8
	v_add_u32_e32 v7, v16, v7
.LBB141_184:
	s_andn2_saveexec_b64 s[0:1], s[6:7]
	s_cbranch_execz .LBB141_186
; %bb.185:
	s_mov_b32 s2, 0x3f22f983
	v_mul_f32_e64 v6, |v1|, s2
	v_rndne_f32_e32 v6, v6
	s_mov_b32 s2, 0xbfc90fda
	v_cvt_i32_f32_e32 v7, v6
	v_fma_f32 v8, v6, s2, |v1|
	v_fmamk_f32 v8, v6, 0xb3a22168, v8
	v_fmamk_f32 v6, v6, 0xa7c234c4, v8
.LBB141_186:
	s_or_b64 exec, exec, s[0:1]
	v_and_b32_e32 v8, 0x7fffffff, v3
	s_brev_b32 s0, 18
	v_cmp_nlt_f32_e64 s[6:7], |v3|, s0
	v_lshrrev_b32_e32 v11, 23, v8
                                        ; implicit-def: $vgpr10
                                        ; implicit-def: $vgpr9
	s_and_saveexec_b64 s[0:1], s[6:7]
	s_xor_b64 s[8:9], exec, s[0:1]
	s_cbranch_execz .LBB141_188
; %bb.187:
	v_add_u32_e32 v9, 0xffffff88, v11
	v_not_b32_e32 v10, 63
	v_cmp_lt_u32_e32 vcc, 63, v9
	s_mov_b32 s4, 0xfe5163ab
	v_mov_b32_e32 v15, 0
	v_cndmask_b32_e32 v10, 0, v10, vcc
	v_add_u32_e32 v9, v10, v9
	v_not_b32_e32 v10, 31
	v_cmp_lt_u32_e64 s[0:1], 31, v9
	s_nop 1
	v_cndmask_b32_e64 v12, 0, v10, s[0:1]
	v_add_u32_e32 v9, v12, v9
	v_cmp_lt_u32_e64 s[2:3], 31, v9
	s_nop 1
	v_cndmask_b32_e64 v10, 0, v10, s[2:3]
	v_add_u32_e32 v9, v10, v9
	v_and_b32_e32 v10, 0x7fffff, v8
	v_or_b32_e32 v10, 0x800000, v10
	v_mad_u64_u32 v[12:13], s[4:5], v10, s4, 0
	v_mov_b32_e32 v14, v13
	s_mov_b32 s4, 0x3c439041
	v_mad_u64_u32 v[16:17], s[4:5], v10, s4, v[14:15]
	v_mov_b32_e32 v14, v17
	s_mov_b32 s4, 0xdb629599
	;; [unrolled: 3-line block ×6, first 2 shown]
	v_mad_u64_u32 v[14:15], s[4:5], v10, s4, v[14:15]
	v_cndmask_b32_e32 v13, v24, v20, vcc
	v_cndmask_b32_e32 v10, v14, v22, vcc
	;; [unrolled: 1-line block ×3, first 2 shown]
	v_cndmask_b32_e64 v14, v10, v13, s[0:1]
	v_cndmask_b32_e64 v10, v15, v10, s[0:1]
	v_cndmask_b32_e32 v15, v22, v18, vcc
	v_cndmask_b32_e64 v13, v13, v15, s[0:1]
	v_sub_u32_e32 v17, 32, v9
	v_cmp_eq_u32_e64 s[4:5], 0, v9
	v_cndmask_b32_e32 v9, v20, v16, vcc
	v_cndmask_b32_e64 v10, v10, v14, s[2:3]
	v_cndmask_b32_e64 v14, v14, v13, s[2:3]
	;; [unrolled: 1-line block ×3, first 2 shown]
	v_alignbit_b32 v19, v10, v14, v17
	v_cndmask_b32_e64 v13, v13, v15, s[2:3]
	v_cndmask_b32_e32 v12, v18, v12, vcc
	v_cndmask_b32_e64 v10, v19, v10, s[4:5]
	v_alignbit_b32 v16, v14, v13, v17
	v_cndmask_b32_e64 v9, v9, v12, s[0:1]
	v_cndmask_b32_e64 v14, v16, v14, s[4:5]
	v_bfe_u32 v20, v10, 29, 1
	v_cndmask_b32_e64 v9, v15, v9, s[2:3]
	v_alignbit_b32 v16, v10, v14, 30
	v_sub_u32_e32 v21, 0, v20
	v_alignbit_b32 v12, v13, v9, v17
	v_xor_b32_e32 v16, v16, v21
	v_cndmask_b32_e64 v12, v12, v13, s[4:5]
	v_alignbit_b32 v13, v14, v12, 30
	v_ffbh_u32_e32 v14, v16
	v_min_u32_e32 v14, 32, v14
	v_alignbit_b32 v9, v12, v9, 30
	v_xor_b32_e32 v13, v13, v21
	v_sub_u32_e32 v15, 31, v14
	v_xor_b32_e32 v9, v9, v21
	v_alignbit_b32 v16, v16, v13, v15
	v_alignbit_b32 v9, v13, v9, v15
	;; [unrolled: 1-line block ×3, first 2 shown]
	v_ffbh_u32_e32 v13, v12
	v_min_u32_e32 v13, 32, v13
	v_lshrrev_b32_e32 v19, 29, v10
	v_not_b32_e32 v15, v13
	v_alignbit_b32 v9, v12, v9, v15
	v_lshlrev_b32_e32 v12, 31, v19
	v_or_b32_e32 v15, 0x33000000, v12
	v_add_lshl_u32 v13, v13, v14, 23
	v_lshrrev_b32_e32 v9, 9, v9
	v_sub_u32_e32 v13, v15, v13
	v_or_b32_e32 v12, 0.5, v12
	v_lshlrev_b32_e32 v14, 23, v14
	v_or_b32_e32 v9, v13, v9
	v_lshrrev_b32_e32 v13, 9, v16
	v_sub_u32_e32 v12, v12, v14
	v_or_b32_e32 v12, v13, v12
	s_mov_b32 s0, 0x3fc90fda
	v_mul_f32_e32 v13, 0x3fc90fda, v12
	v_fma_f32 v14, v12, s0, -v13
	v_fmamk_f32 v12, v12, 0x33a22168, v14
	v_fmac_f32_e32 v12, 0x3fc90fda, v9
	v_lshrrev_b32_e32 v10, 30, v10
	v_add_f32_e32 v9, v13, v12
	v_add_u32_e32 v10, v20, v10
	s_andn2_saveexec_b64 s[0:1], s[8:9]
	s_cbranch_execz .LBB141_190
	s_branch .LBB141_189
.LBB141_188:
	s_andn2_saveexec_b64 s[0:1], s[8:9]
	s_cbranch_execz .LBB141_190
.LBB141_189:
	s_mov_b32 s2, 0x3f22f983
	v_mul_f32_e64 v9, |v3|, s2
	v_rndne_f32_e32 v9, v9
	s_mov_b32 s2, 0xbfc90fda
	v_cvt_i32_f32_e32 v10, v9
	v_fma_f32 v12, v9, s2, |v3|
	v_fmamk_f32 v12, v9, 0xb3a22168, v12
	v_fmamk_f32 v9, v9, 0xa7c234c4, v12
.LBB141_190:
	s_or_b64 exec, exec, s[0:1]
                                        ; implicit-def: $vgpr12
                                        ; implicit-def: $vgpr13
	s_and_saveexec_b64 s[0:1], s[6:7]
	s_xor_b64 s[6:7], exec, s[0:1]
	s_cbranch_execz .LBB141_192
; %bb.191:
	v_add_u32_e32 v11, 0xffffff88, v11
	v_not_b32_e32 v12, 63
	v_cmp_lt_u32_e32 vcc, 63, v11
	s_mov_b32 s4, 0xfe5163ab
	v_mov_b32_e32 v15, 0
	v_cndmask_b32_e32 v12, 0, v12, vcc
	v_add_u32_e32 v11, v12, v11
	v_not_b32_e32 v12, 31
	v_cmp_lt_u32_e64 s[0:1], 31, v11
	s_nop 1
	v_cndmask_b32_e64 v13, 0, v12, s[0:1]
	v_add_u32_e32 v11, v13, v11
	v_cmp_lt_u32_e64 s[2:3], 31, v11
	s_nop 1
	v_cndmask_b32_e64 v12, 0, v12, s[2:3]
	v_add_u32_e32 v11, v12, v11
	v_and_b32_e32 v12, 0x7fffff, v8
	v_or_b32_e32 v26, 0x800000, v12
	v_mad_u64_u32 v[12:13], s[4:5], v26, s4, 0
	v_mov_b32_e32 v14, v13
	s_mov_b32 s4, 0x3c439041
	v_mad_u64_u32 v[16:17], s[4:5], v26, s4, v[14:15]
	v_mov_b32_e32 v14, v17
	s_mov_b32 s4, 0xdb629599
	;; [unrolled: 3-line block ×6, first 2 shown]
	v_mad_u64_u32 v[14:15], s[4:5], v26, s4, v[14:15]
	v_cndmask_b32_e32 v13, v24, v20, vcc
	v_cndmask_b32_e32 v14, v14, v22, vcc
	;; [unrolled: 1-line block ×3, first 2 shown]
	v_cndmask_b32_e64 v17, v14, v13, s[0:1]
	v_cndmask_b32_e64 v14, v15, v14, s[0:1]
	v_cndmask_b32_e32 v15, v22, v18, vcc
	v_cndmask_b32_e64 v13, v13, v15, s[0:1]
	v_cndmask_b32_e64 v14, v14, v17, s[2:3]
	;; [unrolled: 1-line block ×3, first 2 shown]
	v_sub_u32_e32 v19, 32, v11
	v_alignbit_b32 v21, v14, v17, v19
	v_cmp_eq_u32_e64 s[4:5], 0, v11
	v_cndmask_b32_e32 v12, v18, v12, vcc
	s_nop 0
	v_cndmask_b32_e64 v11, v21, v14, s[4:5]
	v_cndmask_b32_e32 v14, v20, v16, vcc
	v_cndmask_b32_e64 v15, v15, v14, s[0:1]
	v_cndmask_b32_e64 v13, v13, v15, s[2:3]
	v_alignbit_b32 v16, v17, v13, v19
	v_cndmask_b32_e64 v16, v16, v17, s[4:5]
	v_bfe_u32 v21, v11, 29, 1
	v_cndmask_b32_e64 v12, v14, v12, s[0:1]
	v_alignbit_b32 v17, v11, v16, 30
	v_sub_u32_e32 v22, 0, v21
	v_cndmask_b32_e64 v12, v15, v12, s[2:3]
	v_xor_b32_e32 v17, v17, v22
	v_alignbit_b32 v14, v13, v12, v19
	v_cndmask_b32_e64 v13, v14, v13, s[4:5]
	v_ffbh_u32_e32 v15, v17
	v_alignbit_b32 v14, v16, v13, 30
	v_min_u32_e32 v15, 32, v15
	v_alignbit_b32 v12, v13, v12, 30
	v_xor_b32_e32 v14, v14, v22
	v_sub_u32_e32 v16, 31, v15
	v_xor_b32_e32 v12, v12, v22
	v_alignbit_b32 v17, v17, v14, v16
	v_alignbit_b32 v12, v14, v12, v16
	;; [unrolled: 1-line block ×3, first 2 shown]
	v_ffbh_u32_e32 v14, v13
	v_min_u32_e32 v14, 32, v14
	v_lshrrev_b32_e32 v20, 29, v11
	v_not_b32_e32 v16, v14
	v_alignbit_b32 v12, v13, v12, v16
	v_lshlrev_b32_e32 v13, 31, v20
	v_or_b32_e32 v16, 0x33000000, v13
	v_add_lshl_u32 v14, v14, v15, 23
	v_lshrrev_b32_e32 v12, 9, v12
	v_sub_u32_e32 v14, v16, v14
	v_or_b32_e32 v13, 0.5, v13
	v_lshlrev_b32_e32 v15, 23, v15
	v_or_b32_e32 v12, v14, v12
	v_lshrrev_b32_e32 v14, 9, v17
	v_sub_u32_e32 v13, v13, v15
	v_or_b32_e32 v13, v14, v13
	s_mov_b32 s0, 0x3fc90fda
	v_mul_f32_e32 v14, 0x3fc90fda, v13
	v_fma_f32 v15, v13, s0, -v14
	v_fmamk_f32 v13, v13, 0x33a22168, v15
	v_fmac_f32_e32 v13, 0x3fc90fda, v12
	v_lshrrev_b32_e32 v11, 30, v11
	v_add_f32_e32 v13, v14, v13
	v_add_u32_e32 v12, v21, v11
	s_andn2_saveexec_b64 s[0:1], s[6:7]
	s_cbranch_execnz .LBB141_193
	s_branch .LBB141_194
.LBB141_192:
	s_andn2_saveexec_b64 s[0:1], s[6:7]
	s_cbranch_execz .LBB141_194
.LBB141_193:
	s_mov_b32 s2, 0x3f22f983
	v_mul_f32_e64 v11, |v3|, s2
	v_rndne_f32_e32 v11, v11
	s_mov_b32 s2, 0xbfc90fda
	v_cvt_i32_f32_e32 v12, v11
	v_fma_f32 v13, v11, s2, |v3|
	v_fmamk_f32 v13, v11, 0xb3a22168, v13
	v_fmamk_f32 v13, v11, 0xa7c234c4, v13
.LBB141_194:
	s_or_b64 exec, exec, s[0:1]
	v_mul_f32_e32 v11, 0x3fb8aa3b, v2
	s_mov_b32 s0, 0x3fb8aa3b
	v_rndne_f32_e32 v14, v11
	v_sub_f32_e32 v15, v11, v14
	v_fma_f32 v11, v2, s0, -v11
	v_fmamk_f32 v11, v2, 0x32a5705f, v11
	v_add_f32_e32 v11, v15, v11
	v_exp_f32_e32 v11, v11
	v_cvt_i32_f32_e32 v15, v14
	s_mov_b32 s0, 0xc2ce8ed0
	v_cmp_ngt_f32_e32 vcc, s0, v2
	s_mov_b32 s0, 0x42b17218
	v_ldexp_f32 v11, v11, v15
	v_cndmask_b32_e32 v11, 0, v11, vcc
	v_mov_b32_e32 v16, 0x7f800000
	v_cmp_nlt_f32_e32 vcc, s0, v2
	s_mov_b32 s0, 0x43000000
	v_ldexp_f32 v15, 1.0, v15
	v_cndmask_b32_e32 v11, v16, v11, vcc
	v_mov_b32_e32 v17, 0x7f000000
	v_cmp_eq_f32_e32 vcc, s0, v14
	s_mov_b32 s0, 0x42b17217
	v_mov_b32_e32 v20, 0x3c0881c4
	v_cndmask_b32_e32 v15, v15, v17, vcc
	v_fmamk_f32 v17, v14, 0xbf317218, v2
	v_fmamk_f32 v14, v14, 0x3102e308, v17
	v_mov_b32_e32 v17, 0x3ab69700
	v_fmac_f32_e32 v17, 0x395133b1, v14
	v_fmaak_f32 v17, v14, v17, 0x3c0887f9
	v_fmaak_f32 v17, v14, v17, 0x3d2aaa81
	;; [unrolled: 1-line block ×3, first 2 shown]
	v_fma_f32 v17, v14, v17, 0.5
	v_mul_f32_e32 v17, v14, v17
	v_fmac_f32_e32 v14, v14, v17
	v_add_f32_e32 v17, -1.0, v15
	v_fmac_f32_e32 v17, v15, v14
	v_add_f32_e32 v14, v17, v17
	v_cndmask_b32_e32 v14, v17, v14, vcc
	v_cmp_nlt_f32_e32 vcc, s0, v2
	v_mul_f32_e32 v15, v9, v9
	s_mov_b32 s0, 0xc1880000
	v_cndmask_b32_e32 v14, v16, v14, vcc
	v_mov_b32_e32 v16, 0xbab64f3b
	v_fmamk_f32 v17, v15, 0x37d75334, v16
	v_fmaak_f32 v17, v15, v17, 0x3d2aabf7
	v_fmamk_f32 v21, v15, 0xb94c1982, v20
	v_cmp_ngt_f32_e32 vcc, s0, v2
	v_fmaak_f32 v17, v15, v17, 0xbf000004
	v_fmaak_f32 v21, v15, v21, 0xbe2aaa9d
	v_cndmask_b32_e32 v2, -1.0, v14, vcc
	v_lshlrev_b32_e32 v14, 30, v10
	v_and_b32_e32 v10, 1, v10
	v_fma_f32 v17, v15, v17, 1.0
	v_mul_f32_e32 v15, v15, v21
	v_fmac_f32_e32 v9, v9, v15
	v_cmp_eq_u32_e32 vcc, 0, v10
	s_brev_b32 s3, 1
	v_xor_b32_e32 v5, v5, v1
	v_cndmask_b32_e64 v9, -v9, v17, vcc
	v_bitop3_b32 v9, v14, v9, s3 bitop3:0x6c
	v_lshlrev_b32_e32 v14, 30, v7
	v_and_b32_e32 v14, 0x80000000, v14
	v_xor_b32_e32 v5, v5, v14
	v_mul_f32_e32 v14, v6, v6
	v_fmamk_f32 v15, v14, 0xb94c1982, v20
	v_fmaak_f32 v15, v14, v15, 0xbe2aaa9d
	v_mul_f32_e32 v15, v14, v15
	v_fmac_f32_e32 v6, v6, v15
	v_fmamk_f32 v15, v14, 0x37d75334, v16
	v_fmaak_f32 v15, v14, v15, 0x3d2aabf7
	v_and_b32_e32 v7, 1, v7
	v_fmaak_f32 v15, v14, v15, 0xbf000004
	v_fma_f32 v14, v14, v15, 1.0
	v_cmp_eq_u32_e64 s[0:1], 0, v7
	s_movk_i32 s2, 0x1f8
	v_mov_b32_e32 v10, 0x7fc00000
	v_cndmask_b32_e64 v6, v14, v6, s[0:1]
	v_xor_b32_e32 v5, v5, v6
	v_cmp_class_f32_e64 s[0:1], v1, s2
	v_cmp_class_f32_e64 vcc, v3, s2
	v_mov_b32_e32 v22, 0xbe2aaa9d
	v_cndmask_b32_e64 v1, v10, v5, s[0:1]
	v_add_f32_e32 v5, v1, v1
	v_cndmask_b32_e32 v9, v10, v9, vcc
	v_mul_f32_e32 v1, v1, v5
	v_fma_f32 v2, v2, v9, -v1
	v_mul_f32_e32 v1, v13, v13
	v_fmac_f32_e32 v20, 0xb94c1982, v1
	v_mov_b32_e32 v18, 0x3d2aabf7
	v_fmac_f32_e32 v22, v1, v20
	v_fmac_f32_e32 v16, 0x37d75334, v1
	v_mov_b32_e32 v19, 0xbf000004
	v_mul_f32_e32 v5, v1, v22
	v_fmac_f32_e32 v18, v1, v16
	v_fmac_f32_e32 v13, v13, v5
	;; [unrolled: 1-line block ×3, first 2 shown]
	v_and_b32_e32 v5, 1, v12
	v_fma_f32 v1, v1, v19, 1.0
	v_cmp_eq_u32_e64 s[0:1], 0, v5
	v_lshlrev_b32_e32 v5, 30, v12
	v_bitop3_b32 v5, v8, v5, s3 bitop3:0x78
	v_cndmask_b32_e64 v1, v1, v13, s[0:1]
	v_xor_b32_e32 v1, v5, v1
	v_xor_b32_e32 v1, v1, v3
	v_cndmask_b32_e32 v1, v10, v1, vcc
	v_mul_f32_e32 v3, v11, v1
	v_add_u32_e32 v4, 0x80, v4
	global_store_dwordx2 v0, v[2:3], s[16:17]
.LBB141_195:
	s_or_b64 exec, exec, s[48:49]
	v_cmp_gt_i32_e32 vcc, s55, v4
	s_mov_b64 s[2:3], 0
                                        ; implicit-def: $vgpr1
                                        ; implicit-def: $vgpr8_vgpr9
	s_and_saveexec_b64 s[48:49], vcc
	s_cbranch_execz .LBB141_224
; %bb.196:
	s_andn2_b64 vcc, exec, s[36:37]
	s_cbranch_vccnz .LBB141_202
; %bb.197:
	s_andn2_b64 vcc, exec, s[46:47]
	s_cbranch_vccnz .LBB141_203
; %bb.198:
	s_add_i32 s56, s56, 1
	s_cmp_eq_u32 s54, 2
	s_cbranch_scc1 .LBB141_204
; %bb.199:
	s_and_b32 s50, s56, 28
	s_mov_b32 s51, 0
	v_mov_b32_e32 v0, 0
	v_mov_b32_e32 v2, 0
	s_mov_b64 s[46:47], s[34:35]
	v_mov_b32_e32 v5, v4
.LBB141_200:                            ; =>This Inner Loop Header: Depth=1
	s_load_dwordx8 s[8:15], s[46:47], 0x4
	s_load_dwordx4 s[28:31], s[46:47], 0x24
	s_load_dwordx8 s[0:7], s[44:45], 0x0
	s_add_u32 s46, s46, 48
	s_addc_u32 s47, s47, 0
	s_waitcnt lgkmcnt(0)
	v_mul_hi_u32 v1, s9, v5
	v_add_u32_e32 v1, v5, v1
	v_lshrrev_b32_e32 v1, s10, v1
	v_mul_lo_u32 v3, v1, s8
	v_mul_hi_u32 v6, s12, v1
	v_sub_u32_e32 v3, v5, v3
	v_add_u32_e32 v5, v1, v6
	v_lshrrev_b32_e32 v5, s13, v5
	v_mul_lo_u32 v7, v5, s11
	v_mul_hi_u32 v8, s15, v5
	v_sub_u32_e32 v1, v1, v7
	v_add_u32_e32 v7, v5, v8
	v_mul_lo_u32 v6, v3, s1
	v_mul_lo_u32 v3, v3, s0
	;; [unrolled: 1-line block ×4, first 2 shown]
	v_lshrrev_b32_e32 v7, s28, v7
	v_add3_u32 v0, v3, v0, v1
	v_mul_hi_u32 v3, s30, v7
	v_add3_u32 v1, v6, v2, v8
	v_mul_lo_u32 v2, v7, s14
	v_add_u32_e32 v3, v7, v3
	v_sub_u32_e32 v2, v5, v2
	v_lshrrev_b32_e32 v5, s31, v3
	s_add_i32 s51, s51, 4
	v_mul_lo_u32 v3, v5, s29
	s_add_u32 s44, s44, 32
	v_sub_u32_e32 v3, v7, v3
	s_addc_u32 s45, s45, 0
	v_mul_lo_u32 v6, v2, s4
	v_mul_lo_u32 v2, v2, s5
	;; [unrolled: 1-line block ×4, first 2 shown]
	s_cmp_eq_u32 s50, s51
	v_add3_u32 v2, v2, v1, v3
	v_add3_u32 v0, v6, v0, v7
	s_cbranch_scc0 .LBB141_200
; %bb.201:
	v_mov_b32_e32 v1, v2
	s_branch .LBB141_205
.LBB141_202:
                                        ; implicit-def: $vgpr2
                                        ; implicit-def: $vgpr0
	s_branch .LBB141_209
.LBB141_203:
	v_mov_b32_e32 v2, 0
	v_mov_b32_e32 v0, 0
	s_branch .LBB141_208
.LBB141_204:
	v_mov_b32_e32 v0, 0
	s_mov_b32 s50, 0
	v_mov_b32_e32 v1, v0
                                        ; implicit-def: $vgpr2
	v_mov_b32_e32 v5, v4
.LBB141_205:
	s_and_b32 s4, s56, 3
	s_cmp_eq_u32 s4, 0
	s_cbranch_scc1 .LBB141_208
; %bb.206:
	s_lshl_b32 s0, s50, 3
	s_add_u32 s0, s34, s0
	s_addc_u32 s1, s35, 0
	s_add_u32 s0, s0, 0xc4
	s_addc_u32 s1, s1, 0
	s_mul_i32 s2, s50, 12
	s_add_u32 s2, s34, s2
	s_addc_u32 s3, s35, 0
.LBB141_207:                            ; =>This Inner Loop Header: Depth=1
	s_load_dwordx2 s[6:7], s[2:3], 0x4
	s_load_dword s5, s[2:3], 0xc
	s_load_dwordx2 s[8:9], s[0:1], 0x0
	v_mov_b32_e32 v2, v1
	s_add_u32 s2, s2, 12
	s_waitcnt lgkmcnt(0)
	v_mul_hi_u32 v1, s7, v5
	v_add_u32_e32 v1, v5, v1
	v_lshrrev_b32_e32 v1, s5, v1
	s_addc_u32 s3, s3, 0
	v_mul_lo_u32 v3, v1, s6
	s_add_u32 s0, s0, 8
	v_sub_u32_e32 v6, v5, v3
	s_addc_u32 s1, s1, 0
	s_add_i32 s4, s4, -1
	v_mov_b32_e32 v5, v1
	v_mad_u64_u32 v[2:3], s[6:7], v6, s9, v[2:3]
	v_mad_u64_u32 v[0:1], s[6:7], v6, s8, v[0:1]
	s_cmp_lg_u32 s4, 0
	v_mov_b32_e32 v1, v2
	s_cbranch_scc1 .LBB141_207
.LBB141_208:
	s_cbranch_execnz .LBB141_211
.LBB141_209:
	s_waitcnt lgkmcnt(0)
	v_mul_hi_u32 v0, s25, v4
	v_add_u32_e32 v0, v4, v0
	v_lshrrev_b32_e32 v1, s26, v0
	v_mul_lo_u32 v0, v1, s24
	v_sub_u32_e32 v0, v4, v0
	v_mul_lo_u32 v2, v0, s21
	s_andn2_b64 vcc, exec, s[42:43]
	v_mul_lo_u32 v0, v0, s20
	s_cbranch_vccnz .LBB141_211
; %bb.210:
	v_mul_hi_u32 v3, s40, v1
	v_add_u32_e32 v3, v1, v3
	v_lshrrev_b32_e32 v3, s41, v3
	v_mul_lo_u32 v3, v3, s27
	v_sub_u32_e32 v3, v1, v3
	v_mad_u64_u32 v[0:1], s[0:1], v3, s22, v[0:1]
	v_mad_u64_u32 v[2:3], s[0:1], v3, s23, v[2:3]
.LBB141_211:
	s_waitcnt lgkmcnt(0)
	global_load_dwordx2 v[2:3], v2, s[18:19]
	s_brev_b32 s0, 18
                                        ; implicit-def: $vgpr7
                                        ; implicit-def: $vgpr6
	s_waitcnt vmcnt(0)
	v_mul_f32_e32 v4, 0.5, v3
	v_and_b32_e32 v5, 0x7fffffff, v4
	v_cmp_nlt_f32_e64 s[0:1], |v4|, s0
	s_and_saveexec_b64 s[2:3], s[0:1]
	s_xor_b64 s[6:7], exec, s[2:3]
	s_cbranch_execz .LBB141_213
; %bb.212:
	v_lshrrev_b32_e32 v1, 23, v5
	v_add_u32_e32 v1, 0xffffff88, v1
	v_not_b32_e32 v6, 63
	v_cmp_lt_u32_e32 vcc, 63, v1
	s_mov_b32 s4, 0xfe5163ab
	v_mov_b32_e32 v9, 0
	v_cndmask_b32_e32 v6, 0, v6, vcc
	v_add_u32_e32 v1, v6, v1
	v_not_b32_e32 v6, 31
	v_cmp_lt_u32_e64 s[0:1], 31, v1
	s_nop 1
	v_cndmask_b32_e64 v7, 0, v6, s[0:1]
	v_add_u32_e32 v1, v7, v1
	v_cmp_lt_u32_e64 s[2:3], 31, v1
	s_nop 1
	v_cndmask_b32_e64 v6, 0, v6, s[2:3]
	v_add_u32_e32 v1, v6, v1
	v_and_b32_e32 v6, 0x7fffff, v5
	v_or_b32_e32 v20, 0x800000, v6
	v_mad_u64_u32 v[6:7], s[4:5], v20, s4, 0
	v_mov_b32_e32 v8, v7
	s_mov_b32 s4, 0x3c439041
	v_mad_u64_u32 v[10:11], s[4:5], v20, s4, v[8:9]
	v_mov_b32_e32 v8, v11
	s_mov_b32 s4, 0xdb629599
	v_mad_u64_u32 v[12:13], s[4:5], v20, s4, v[8:9]
	v_mov_b32_e32 v8, v13
	s_mov_b32 s4, 0xf534ddc0
	v_mad_u64_u32 v[14:15], s[4:5], v20, s4, v[8:9]
	v_mov_b32_e32 v8, v15
	s_mov_b32 s4, 0xfc2757d1
	v_mad_u64_u32 v[16:17], s[4:5], v20, s4, v[8:9]
	v_mov_b32_e32 v8, v17
	s_mov_b32 s4, 0x4e441529
	v_mad_u64_u32 v[18:19], s[4:5], v20, s4, v[8:9]
	v_mov_b32_e32 v8, v19
	s_mov_b32 s4, 0xa2f9836e
	v_mad_u64_u32 v[8:9], s[4:5], v20, s4, v[8:9]
	v_cndmask_b32_e32 v7, v18, v14, vcc
	v_cndmask_b32_e32 v8, v8, v16, vcc
	;; [unrolled: 1-line block ×3, first 2 shown]
	v_cndmask_b32_e64 v11, v8, v7, s[0:1]
	v_cndmask_b32_e64 v8, v9, v8, s[0:1]
	v_cndmask_b32_e32 v9, v16, v12, vcc
	v_cndmask_b32_e64 v7, v7, v9, s[0:1]
	v_cndmask_b32_e64 v8, v8, v11, s[2:3]
	;; [unrolled: 1-line block ×3, first 2 shown]
	v_sub_u32_e32 v13, 32, v1
	v_alignbit_b32 v15, v8, v11, v13
	v_cmp_eq_u32_e64 s[4:5], 0, v1
	v_cndmask_b32_e32 v6, v12, v6, vcc
	s_nop 0
	v_cndmask_b32_e64 v1, v15, v8, s[4:5]
	v_cndmask_b32_e32 v8, v14, v10, vcc
	v_cndmask_b32_e64 v9, v9, v8, s[0:1]
	v_cndmask_b32_e64 v7, v7, v9, s[2:3]
	v_alignbit_b32 v10, v11, v7, v13
	v_cndmask_b32_e64 v10, v10, v11, s[4:5]
	v_bfe_u32 v15, v1, 29, 1
	v_cndmask_b32_e64 v6, v8, v6, s[0:1]
	v_alignbit_b32 v11, v1, v10, 30
	v_sub_u32_e32 v16, 0, v15
	v_cndmask_b32_e64 v6, v9, v6, s[2:3]
	v_xor_b32_e32 v11, v11, v16
	v_alignbit_b32 v8, v7, v6, v13
	v_cndmask_b32_e64 v7, v8, v7, s[4:5]
	v_ffbh_u32_e32 v9, v11
	v_alignbit_b32 v8, v10, v7, 30
	v_min_u32_e32 v9, 32, v9
	v_alignbit_b32 v6, v7, v6, 30
	v_xor_b32_e32 v8, v8, v16
	v_sub_u32_e32 v10, 31, v9
	v_xor_b32_e32 v6, v6, v16
	v_alignbit_b32 v11, v11, v8, v10
	v_alignbit_b32 v6, v8, v6, v10
	;; [unrolled: 1-line block ×3, first 2 shown]
	v_ffbh_u32_e32 v8, v7
	v_min_u32_e32 v8, 32, v8
	v_lshrrev_b32_e32 v14, 29, v1
	v_not_b32_e32 v10, v8
	v_alignbit_b32 v6, v7, v6, v10
	v_lshlrev_b32_e32 v7, 31, v14
	v_or_b32_e32 v10, 0x33000000, v7
	v_add_lshl_u32 v8, v8, v9, 23
	v_lshrrev_b32_e32 v6, 9, v6
	v_sub_u32_e32 v8, v10, v8
	v_or_b32_e32 v7, 0.5, v7
	v_lshlrev_b32_e32 v9, 23, v9
	v_or_b32_e32 v6, v8, v6
	v_lshrrev_b32_e32 v8, 9, v11
	v_sub_u32_e32 v7, v7, v9
	v_or_b32_e32 v7, v8, v7
	s_mov_b32 s0, 0x3fc90fda
	v_mul_f32_e32 v8, 0x3fc90fda, v7
	v_fma_f32 v9, v7, s0, -v8
	v_fmamk_f32 v7, v7, 0x33a22168, v9
	v_fmac_f32_e32 v7, 0x3fc90fda, v6
	v_lshrrev_b32_e32 v1, 30, v1
	v_add_f32_e32 v6, v8, v7
	v_add_u32_e32 v7, v15, v1
.LBB141_213:
	s_andn2_saveexec_b64 s[0:1], s[6:7]
	s_cbranch_execz .LBB141_215
; %bb.214:
	s_mov_b32 s2, 0x3f22f983
	v_mul_f32_e64 v1, |v4|, s2
	v_rndne_f32_e32 v1, v1
	s_mov_b32 s2, 0xbfc90fda
	v_cvt_i32_f32_e32 v7, v1
	v_fma_f32 v6, v1, s2, |v4|
	v_fmamk_f32 v6, v1, 0xb3a22168, v6
	v_fmamk_f32 v6, v1, 0xa7c234c4, v6
.LBB141_215:
	s_or_b64 exec, exec, s[0:1]
	v_and_b32_e32 v10, 0x7fffffff, v3
	s_brev_b32 s0, 18
	v_cmp_nlt_f32_e64 s[6:7], |v3|, s0
	v_lshrrev_b32_e32 v1, 23, v10
                                        ; implicit-def: $vgpr12
                                        ; implicit-def: $vgpr11
	s_and_saveexec_b64 s[0:1], s[6:7]
	s_xor_b64 s[8:9], exec, s[0:1]
	s_cbranch_execz .LBB141_217
; %bb.216:
	v_add_u32_e32 v8, 0xffffff88, v1
	v_not_b32_e32 v9, 63
	v_cmp_lt_u32_e32 vcc, 63, v8
	s_mov_b32 s4, 0xfe5163ab
	v_mov_b32_e32 v13, 0
	v_cndmask_b32_e32 v9, 0, v9, vcc
	v_add_u32_e32 v8, v9, v8
	v_not_b32_e32 v9, 31
	v_cmp_lt_u32_e64 s[0:1], 31, v8
	s_nop 1
	v_cndmask_b32_e64 v11, 0, v9, s[0:1]
	v_add_u32_e32 v8, v11, v8
	v_cmp_lt_u32_e64 s[2:3], 31, v8
	s_nop 1
	v_cndmask_b32_e64 v9, 0, v9, s[2:3]
	v_add_u32_e32 v11, v9, v8
	v_and_b32_e32 v8, 0x7fffff, v10
	v_or_b32_e32 v24, 0x800000, v8
	v_mad_u64_u32 v[8:9], s[4:5], v24, s4, 0
	v_mov_b32_e32 v12, v9
	s_mov_b32 s4, 0x3c439041
	v_mad_u64_u32 v[14:15], s[4:5], v24, s4, v[12:13]
	v_mov_b32_e32 v12, v15
	s_mov_b32 s4, 0xdb629599
	v_mad_u64_u32 v[16:17], s[4:5], v24, s4, v[12:13]
	v_mov_b32_e32 v12, v17
	s_mov_b32 s4, 0xf534ddc0
	v_mad_u64_u32 v[18:19], s[4:5], v24, s4, v[12:13]
	v_mov_b32_e32 v12, v19
	s_mov_b32 s4, 0xfc2757d1
	v_mad_u64_u32 v[20:21], s[4:5], v24, s4, v[12:13]
	v_mov_b32_e32 v12, v21
	s_mov_b32 s4, 0x4e441529
	v_mad_u64_u32 v[22:23], s[4:5], v24, s4, v[12:13]
	v_mov_b32_e32 v12, v23
	s_mov_b32 s4, 0xa2f9836e
	v_mad_u64_u32 v[12:13], s[4:5], v24, s4, v[12:13]
	v_cndmask_b32_e32 v9, v22, v18, vcc
	v_cndmask_b32_e32 v12, v12, v20, vcc
	;; [unrolled: 1-line block ×3, first 2 shown]
	v_cndmask_b32_e64 v15, v12, v9, s[0:1]
	v_cndmask_b32_e64 v12, v13, v12, s[0:1]
	v_cndmask_b32_e32 v13, v20, v16, vcc
	v_cndmask_b32_e64 v9, v9, v13, s[0:1]
	v_sub_u32_e32 v17, 32, v11
	v_cmp_eq_u32_e64 s[4:5], 0, v11
	v_cndmask_b32_e32 v11, v18, v14, vcc
	v_cndmask_b32_e64 v12, v12, v15, s[2:3]
	v_cndmask_b32_e64 v15, v15, v9, s[2:3]
	;; [unrolled: 1-line block ×3, first 2 shown]
	v_alignbit_b32 v19, v12, v15, v17
	v_cndmask_b32_e64 v9, v9, v13, s[2:3]
	v_cndmask_b32_e64 v12, v19, v12, s[4:5]
	v_alignbit_b32 v14, v15, v9, v17
	v_cndmask_b32_e32 v8, v16, v8, vcc
	v_cndmask_b32_e64 v14, v14, v15, s[4:5]
	v_bfe_u32 v19, v12, 29, 1
	v_cndmask_b32_e64 v8, v11, v8, s[0:1]
	v_alignbit_b32 v15, v12, v14, 30
	v_sub_u32_e32 v20, 0, v19
	v_cndmask_b32_e64 v8, v13, v8, s[2:3]
	v_xor_b32_e32 v15, v15, v20
	v_alignbit_b32 v11, v9, v8, v17
	v_cndmask_b32_e64 v9, v11, v9, s[4:5]
	v_ffbh_u32_e32 v13, v15
	v_alignbit_b32 v11, v14, v9, 30
	v_min_u32_e32 v13, 32, v13
	v_alignbit_b32 v8, v9, v8, 30
	v_xor_b32_e32 v11, v11, v20
	v_sub_u32_e32 v14, 31, v13
	v_xor_b32_e32 v8, v8, v20
	v_alignbit_b32 v15, v15, v11, v14
	v_alignbit_b32 v8, v11, v8, v14
	;; [unrolled: 1-line block ×3, first 2 shown]
	v_ffbh_u32_e32 v11, v9
	v_min_u32_e32 v11, 32, v11
	v_lshrrev_b32_e32 v18, 29, v12
	v_not_b32_e32 v14, v11
	v_alignbit_b32 v8, v9, v8, v14
	v_lshlrev_b32_e32 v9, 31, v18
	v_or_b32_e32 v14, 0x33000000, v9
	v_add_lshl_u32 v11, v11, v13, 23
	v_lshrrev_b32_e32 v8, 9, v8
	v_sub_u32_e32 v11, v14, v11
	v_or_b32_e32 v9, 0.5, v9
	v_lshlrev_b32_e32 v13, 23, v13
	v_or_b32_e32 v8, v11, v8
	v_lshrrev_b32_e32 v11, 9, v15
	v_sub_u32_e32 v9, v9, v13
	v_or_b32_e32 v9, v11, v9
	s_mov_b32 s0, 0x3fc90fda
	v_mul_f32_e32 v11, 0x3fc90fda, v9
	v_fma_f32 v13, v9, s0, -v11
	v_fmamk_f32 v9, v9, 0x33a22168, v13
	v_fmac_f32_e32 v9, 0x3fc90fda, v8
	v_lshrrev_b32_e32 v8, 30, v12
	v_add_f32_e32 v11, v11, v9
	v_add_u32_e32 v12, v19, v8
	s_andn2_saveexec_b64 s[0:1], s[8:9]
	s_cbranch_execz .LBB141_219
	s_branch .LBB141_218
.LBB141_217:
	s_andn2_saveexec_b64 s[0:1], s[8:9]
	s_cbranch_execz .LBB141_219
.LBB141_218:
	s_mov_b32 s2, 0x3f22f983
	v_mul_f32_e64 v8, |v3|, s2
	v_rndne_f32_e32 v8, v8
	s_mov_b32 s2, 0xbfc90fda
	v_cvt_i32_f32_e32 v12, v8
	v_fma_f32 v9, v8, s2, |v3|
	v_fmamk_f32 v9, v8, 0xb3a22168, v9
	v_fmamk_f32 v11, v8, 0xa7c234c4, v9
.LBB141_219:
	s_or_b64 exec, exec, s[0:1]
                                        ; implicit-def: $vgpr13
                                        ; implicit-def: $vgpr14
	s_and_saveexec_b64 s[0:1], s[6:7]
	s_xor_b64 s[6:7], exec, s[0:1]
	s_cbranch_execz .LBB141_221
; %bb.220:
	v_add_u32_e32 v1, 0xffffff88, v1
	v_not_b32_e32 v8, 63
	v_cmp_lt_u32_e32 vcc, 63, v1
	s_mov_b32 s4, 0xfe5163ab
	v_mov_b32_e32 v15, 0
	v_cndmask_b32_e32 v8, 0, v8, vcc
	v_add_u32_e32 v1, v8, v1
	v_not_b32_e32 v8, 31
	v_cmp_lt_u32_e64 s[0:1], 31, v1
	s_nop 1
	v_cndmask_b32_e64 v9, 0, v8, s[0:1]
	v_add_u32_e32 v1, v9, v1
	v_cmp_lt_u32_e64 s[2:3], 31, v1
	s_nop 1
	v_cndmask_b32_e64 v8, 0, v8, s[2:3]
	v_add_u32_e32 v1, v8, v1
	v_and_b32_e32 v8, 0x7fffff, v10
	v_or_b32_e32 v13, 0x800000, v8
	v_mad_u64_u32 v[8:9], s[4:5], v13, s4, 0
	v_mov_b32_e32 v14, v9
	s_mov_b32 s4, 0x3c439041
	v_mad_u64_u32 v[16:17], s[4:5], v13, s4, v[14:15]
	v_mov_b32_e32 v14, v17
	s_mov_b32 s4, 0xdb629599
	;; [unrolled: 3-line block ×6, first 2 shown]
	v_mad_u64_u32 v[14:15], s[4:5], v13, s4, v[14:15]
	v_cndmask_b32_e32 v9, v24, v20, vcc
	v_cndmask_b32_e32 v13, v14, v22, vcc
	;; [unrolled: 1-line block ×3, first 2 shown]
	v_cndmask_b32_e64 v14, v13, v9, s[0:1]
	v_cndmask_b32_e64 v13, v15, v13, s[0:1]
	v_cndmask_b32_e32 v15, v22, v18, vcc
	v_cndmask_b32_e64 v9, v9, v15, s[0:1]
	v_cndmask_b32_e64 v13, v13, v14, s[2:3]
	;; [unrolled: 1-line block ×3, first 2 shown]
	v_sub_u32_e32 v17, 32, v1
	v_alignbit_b32 v19, v13, v14, v17
	v_cmp_eq_u32_e64 s[4:5], 0, v1
	v_cndmask_b32_e32 v8, v18, v8, vcc
	s_nop 0
	v_cndmask_b32_e64 v1, v19, v13, s[4:5]
	v_cndmask_b32_e32 v13, v20, v16, vcc
	v_cndmask_b32_e64 v15, v15, v13, s[0:1]
	v_cndmask_b32_e64 v9, v9, v15, s[2:3]
	v_alignbit_b32 v16, v14, v9, v17
	v_cndmask_b32_e64 v8, v13, v8, s[0:1]
	v_cndmask_b32_e64 v14, v16, v14, s[4:5]
	v_bfe_u32 v20, v1, 29, 1
	v_cndmask_b32_e64 v8, v15, v8, s[2:3]
	v_alignbit_b32 v16, v1, v14, 30
	v_sub_u32_e32 v21, 0, v20
	v_alignbit_b32 v13, v9, v8, v17
	v_xor_b32_e32 v16, v16, v21
	v_cndmask_b32_e64 v9, v13, v9, s[4:5]
	v_alignbit_b32 v13, v14, v9, 30
	v_ffbh_u32_e32 v14, v16
	v_min_u32_e32 v14, 32, v14
	v_alignbit_b32 v8, v9, v8, 30
	v_xor_b32_e32 v13, v13, v21
	v_sub_u32_e32 v15, 31, v14
	v_xor_b32_e32 v8, v8, v21
	v_alignbit_b32 v16, v16, v13, v15
	v_alignbit_b32 v8, v13, v8, v15
	;; [unrolled: 1-line block ×3, first 2 shown]
	v_ffbh_u32_e32 v13, v9
	v_min_u32_e32 v13, 32, v13
	v_lshrrev_b32_e32 v19, 29, v1
	v_not_b32_e32 v15, v13
	v_alignbit_b32 v8, v9, v8, v15
	v_lshlrev_b32_e32 v9, 31, v19
	v_or_b32_e32 v15, 0x33000000, v9
	v_add_lshl_u32 v13, v13, v14, 23
	v_lshrrev_b32_e32 v8, 9, v8
	v_sub_u32_e32 v13, v15, v13
	v_or_b32_e32 v9, 0.5, v9
	v_lshlrev_b32_e32 v14, 23, v14
	v_or_b32_e32 v8, v13, v8
	v_lshrrev_b32_e32 v13, 9, v16
	v_sub_u32_e32 v9, v9, v14
	v_or_b32_e32 v9, v13, v9
	s_mov_b32 s0, 0x3fc90fda
	v_mul_f32_e32 v13, 0x3fc90fda, v9
	v_fma_f32 v14, v9, s0, -v13
	v_fmamk_f32 v9, v9, 0x33a22168, v14
	v_fmac_f32_e32 v9, 0x3fc90fda, v8
	v_lshrrev_b32_e32 v1, 30, v1
	v_add_f32_e32 v14, v13, v9
	v_add_u32_e32 v13, v20, v1
	s_andn2_saveexec_b64 s[0:1], s[6:7]
	s_cbranch_execnz .LBB141_222
	s_branch .LBB141_223
.LBB141_221:
	s_andn2_saveexec_b64 s[0:1], s[6:7]
	s_cbranch_execz .LBB141_223
.LBB141_222:
	s_mov_b32 s2, 0x3f22f983
	v_mul_f32_e64 v1, |v3|, s2
	v_rndne_f32_e32 v1, v1
	s_mov_b32 s2, 0xbfc90fda
	v_cvt_i32_f32_e32 v13, v1
	v_fma_f32 v8, v1, s2, |v3|
	v_fmamk_f32 v8, v1, 0xb3a22168, v8
	v_fmamk_f32 v14, v1, 0xa7c234c4, v8
.LBB141_223:
	s_or_b64 exec, exec, s[0:1]
	v_mul_f32_e32 v1, 0x3fb8aa3b, v2
	s_mov_b32 s0, 0x3fb8aa3b
	v_rndne_f32_e32 v15, v1
	v_sub_f32_e32 v8, v1, v15
	v_fma_f32 v1, v2, s0, -v1
	v_fmamk_f32 v1, v2, 0x32a5705f, v1
	v_add_f32_e32 v1, v8, v1
	v_exp_f32_e32 v16, v1
	v_cvt_i32_f32_e32 v17, v15
	v_mov_b32_e32 v1, 0
	s_mov_b32 s0, 0xc2ce8ed0
	v_lshl_add_u64 v[8:9], s[16:17], 0, v[0:1]
	v_ldexp_f32 v1, v16, v17
	v_cmp_ngt_f32_e32 vcc, s0, v2
	s_mov_b32 s0, 0x42b17218
	v_mov_b32_e32 v16, 0x7f800000
	v_cndmask_b32_e32 v1, 0, v1, vcc
	v_cmp_nlt_f32_e32 vcc, s0, v2
	s_mov_b32 s0, 0x43000000
	v_ldexp_f32 v17, 1.0, v17
	v_cndmask_b32_e32 v1, v16, v1, vcc
	v_mov_b32_e32 v18, 0x7f000000
	v_cmp_eq_f32_e32 vcc, s0, v15
	s_mov_b32 s0, 0x42b17217
	v_mov_b32_e32 v21, 0x3c0881c4
	v_cndmask_b32_e32 v17, v17, v18, vcc
	v_fmamk_f32 v18, v15, 0xbf317218, v2
	v_fmamk_f32 v15, v15, 0x3102e308, v18
	v_mov_b32_e32 v18, 0x3ab69700
	v_fmac_f32_e32 v18, 0x395133b1, v15
	v_fmaak_f32 v18, v15, v18, 0x3c0887f9
	v_fmaak_f32 v18, v15, v18, 0x3d2aaa81
	;; [unrolled: 1-line block ×3, first 2 shown]
	v_fma_f32 v18, v15, v18, 0.5
	v_mul_f32_e32 v18, v15, v18
	v_fmac_f32_e32 v15, v15, v18
	v_add_f32_e32 v18, -1.0, v17
	v_fmac_f32_e32 v18, v17, v15
	v_add_f32_e32 v15, v18, v18
	v_cndmask_b32_e32 v15, v18, v15, vcc
	v_cmp_nlt_f32_e32 vcc, s0, v2
	v_mov_b32_e32 v17, 0xbab64f3b
	s_mov_b32 s0, 0xc1880000
	v_cndmask_b32_e32 v15, v16, v15, vcc
	v_mul_f32_e32 v16, v11, v11
	v_fmamk_f32 v18, v16, 0x37d75334, v17
	v_fmaak_f32 v18, v16, v18, 0x3d2aabf7
	v_fmamk_f32 v22, v16, 0xb94c1982, v21
	v_cmp_ngt_f32_e32 vcc, s0, v2
	v_fmaak_f32 v18, v16, v18, 0xbf000004
	v_fmaak_f32 v22, v16, v22, 0xbe2aaa9d
	v_cndmask_b32_e32 v2, -1.0, v15, vcc
	v_lshlrev_b32_e32 v15, 30, v12
	v_and_b32_e32 v12, 1, v12
	v_fma_f32 v18, v16, v18, 1.0
	v_mul_f32_e32 v16, v16, v22
	v_fmac_f32_e32 v11, v11, v16
	v_cmp_eq_u32_e32 vcc, 0, v12
	s_brev_b32 s5, 1
	v_xor_b32_e32 v5, v5, v4
	v_cndmask_b32_e64 v11, -v11, v18, vcc
	v_bitop3_b32 v11, v15, v11, s5 bitop3:0x6c
	v_lshlrev_b32_e32 v15, 30, v7
	v_and_b32_e32 v15, 0x80000000, v15
	v_xor_b32_e32 v5, v5, v15
	v_mul_f32_e32 v15, v6, v6
	v_fmamk_f32 v16, v15, 0xb94c1982, v21
	v_fmaak_f32 v16, v15, v16, 0xbe2aaa9d
	v_mul_f32_e32 v16, v15, v16
	v_fmac_f32_e32 v6, v6, v16
	v_fmamk_f32 v16, v15, 0x37d75334, v17
	v_fmaak_f32 v16, v15, v16, 0x3d2aabf7
	v_and_b32_e32 v7, 1, v7
	v_fmaak_f32 v16, v15, v16, 0xbf000004
	v_fma_f32 v15, v15, v16, 1.0
	v_cmp_eq_u32_e64 s[0:1], 0, v7
	s_movk_i32 s4, 0x1f8
	v_mov_b32_e32 v12, 0x7fc00000
	v_cndmask_b32_e64 v6, v15, v6, s[0:1]
	v_xor_b32_e32 v5, v5, v6
	v_cmp_class_f32_e64 s[0:1], v4, s4
	v_cmp_class_f32_e64 vcc, v3, s4
	v_mov_b32_e32 v23, 0xbe2aaa9d
	v_cndmask_b32_e64 v4, v12, v5, s[0:1]
	v_add_f32_e32 v5, v4, v4
	v_cndmask_b32_e32 v11, v12, v11, vcc
	v_mul_f32_e32 v4, v4, v5
	v_fma_f32 v2, v2, v11, -v4
	v_mul_f32_e32 v4, v14, v14
	v_fmac_f32_e32 v21, 0xb94c1982, v4
	v_mov_b32_e32 v19, 0x3d2aabf7
	v_fmac_f32_e32 v23, v4, v21
	v_fmac_f32_e32 v17, 0x37d75334, v4
	v_mov_b32_e32 v20, 0xbf000004
	v_mul_f32_e32 v5, v4, v23
	v_fmac_f32_e32 v19, v4, v17
	v_fmac_f32_e32 v14, v14, v5
	;; [unrolled: 1-line block ×3, first 2 shown]
	v_and_b32_e32 v5, 1, v13
	v_fma_f32 v4, v4, v20, 1.0
	v_cmp_eq_u32_e64 s[0:1], 0, v5
	v_lshlrev_b32_e32 v5, 30, v13
	v_bitop3_b32 v5, v10, v5, s5 bitop3:0x78
	v_cndmask_b32_e64 v4, v4, v14, s[0:1]
	v_xor_b32_e32 v4, v5, v4
	v_xor_b32_e32 v3, v4, v3
	v_cndmask_b32_e32 v3, v12, v3, vcc
	s_mov_b64 s[2:3], exec
	v_mul_f32_e32 v1, v1, v3
	global_store_dword v0, v2, s[16:17]
.LBB141_224:
	s_or_b64 exec, exec, s[48:49]
	s_waitcnt lgkmcnt(0)
	s_and_b64 s[24:25], s[2:3], exec
                                        ; implicit-def: $vgpr16
                                        ; implicit-def: $vgpr4
	s_andn2_saveexec_b64 s[26:27], s[38:39]
	s_cbranch_execnz .LBB141_9
.LBB141_225:
	s_or_b64 exec, exec, s[26:27]
	s_and_saveexec_b64 s[0:1], s[24:25]
	s_cbranch_execz .LBB141_123
.LBB141_226:
	global_store_dword v[8:9], v1, off offset:4
	s_endpgm
	.section	.rodata,"a",@progbits
	.p2align	6, 0x0
	.amdhsa_kernel _ZN2at6native32elementwise_kernel_manual_unrollILi128ELi4EZNS0_22gpu_kernel_impl_nocastIZZZNS0_17expm1_kernel_cudaERNS_18TensorIteratorBaseEENKUlvE_clEvENKUlvE2_clEvEUlN3c107complexIfEEE_EEvS4_RKT_EUlibE_EEviT1_
		.amdhsa_group_segment_fixed_size 0
		.amdhsa_private_segment_fixed_size 0
		.amdhsa_kernarg_size 360
		.amdhsa_user_sgpr_count 2
		.amdhsa_user_sgpr_dispatch_ptr 0
		.amdhsa_user_sgpr_queue_ptr 0
		.amdhsa_user_sgpr_kernarg_segment_ptr 1
		.amdhsa_user_sgpr_dispatch_id 0
		.amdhsa_user_sgpr_kernarg_preload_length 0
		.amdhsa_user_sgpr_kernarg_preload_offset 0
		.amdhsa_user_sgpr_private_segment_size 0
		.amdhsa_uses_dynamic_stack 0
		.amdhsa_enable_private_segment 0
		.amdhsa_system_sgpr_workgroup_id_x 1
		.amdhsa_system_sgpr_workgroup_id_y 0
		.amdhsa_system_sgpr_workgroup_id_z 0
		.amdhsa_system_sgpr_workgroup_info 0
		.amdhsa_system_vgpr_workitem_id 0
		.amdhsa_next_free_vgpr 62
		.amdhsa_next_free_sgpr 60
		.amdhsa_accum_offset 64
		.amdhsa_reserve_vcc 1
		.amdhsa_float_round_mode_32 0
		.amdhsa_float_round_mode_16_64 0
		.amdhsa_float_denorm_mode_32 3
		.amdhsa_float_denorm_mode_16_64 3
		.amdhsa_dx10_clamp 1
		.amdhsa_ieee_mode 1
		.amdhsa_fp16_overflow 0
		.amdhsa_tg_split 0
		.amdhsa_exception_fp_ieee_invalid_op 0
		.amdhsa_exception_fp_denorm_src 0
		.amdhsa_exception_fp_ieee_div_zero 0
		.amdhsa_exception_fp_ieee_overflow 0
		.amdhsa_exception_fp_ieee_underflow 0
		.amdhsa_exception_fp_ieee_inexact 0
		.amdhsa_exception_int_div_zero 0
	.end_amdhsa_kernel
	.section	.text._ZN2at6native32elementwise_kernel_manual_unrollILi128ELi4EZNS0_22gpu_kernel_impl_nocastIZZZNS0_17expm1_kernel_cudaERNS_18TensorIteratorBaseEENKUlvE_clEvENKUlvE2_clEvEUlN3c107complexIfEEE_EEvS4_RKT_EUlibE_EEviT1_,"axG",@progbits,_ZN2at6native32elementwise_kernel_manual_unrollILi128ELi4EZNS0_22gpu_kernel_impl_nocastIZZZNS0_17expm1_kernel_cudaERNS_18TensorIteratorBaseEENKUlvE_clEvENKUlvE2_clEvEUlN3c107complexIfEEE_EEvS4_RKT_EUlibE_EEviT1_,comdat
.Lfunc_end141:
	.size	_ZN2at6native32elementwise_kernel_manual_unrollILi128ELi4EZNS0_22gpu_kernel_impl_nocastIZZZNS0_17expm1_kernel_cudaERNS_18TensorIteratorBaseEENKUlvE_clEvENKUlvE2_clEvEUlN3c107complexIfEEE_EEvS4_RKT_EUlibE_EEviT1_, .Lfunc_end141-_ZN2at6native32elementwise_kernel_manual_unrollILi128ELi4EZNS0_22gpu_kernel_impl_nocastIZZZNS0_17expm1_kernel_cudaERNS_18TensorIteratorBaseEENKUlvE_clEvENKUlvE2_clEvEUlN3c107complexIfEEE_EEvS4_RKT_EUlibE_EEviT1_
                                        ; -- End function
	.set _ZN2at6native32elementwise_kernel_manual_unrollILi128ELi4EZNS0_22gpu_kernel_impl_nocastIZZZNS0_17expm1_kernel_cudaERNS_18TensorIteratorBaseEENKUlvE_clEvENKUlvE2_clEvEUlN3c107complexIfEEE_EEvS4_RKT_EUlibE_EEviT1_.num_vgpr, 62
	.set _ZN2at6native32elementwise_kernel_manual_unrollILi128ELi4EZNS0_22gpu_kernel_impl_nocastIZZZNS0_17expm1_kernel_cudaERNS_18TensorIteratorBaseEENKUlvE_clEvENKUlvE2_clEvEUlN3c107complexIfEEE_EEvS4_RKT_EUlibE_EEviT1_.num_agpr, 0
	.set _ZN2at6native32elementwise_kernel_manual_unrollILi128ELi4EZNS0_22gpu_kernel_impl_nocastIZZZNS0_17expm1_kernel_cudaERNS_18TensorIteratorBaseEENKUlvE_clEvENKUlvE2_clEvEUlN3c107complexIfEEE_EEvS4_RKT_EUlibE_EEviT1_.numbered_sgpr, 60
	.set _ZN2at6native32elementwise_kernel_manual_unrollILi128ELi4EZNS0_22gpu_kernel_impl_nocastIZZZNS0_17expm1_kernel_cudaERNS_18TensorIteratorBaseEENKUlvE_clEvENKUlvE2_clEvEUlN3c107complexIfEEE_EEvS4_RKT_EUlibE_EEviT1_.num_named_barrier, 0
	.set _ZN2at6native32elementwise_kernel_manual_unrollILi128ELi4EZNS0_22gpu_kernel_impl_nocastIZZZNS0_17expm1_kernel_cudaERNS_18TensorIteratorBaseEENKUlvE_clEvENKUlvE2_clEvEUlN3c107complexIfEEE_EEvS4_RKT_EUlibE_EEviT1_.private_seg_size, 0
	.set _ZN2at6native32elementwise_kernel_manual_unrollILi128ELi4EZNS0_22gpu_kernel_impl_nocastIZZZNS0_17expm1_kernel_cudaERNS_18TensorIteratorBaseEENKUlvE_clEvENKUlvE2_clEvEUlN3c107complexIfEEE_EEvS4_RKT_EUlibE_EEviT1_.uses_vcc, 1
	.set _ZN2at6native32elementwise_kernel_manual_unrollILi128ELi4EZNS0_22gpu_kernel_impl_nocastIZZZNS0_17expm1_kernel_cudaERNS_18TensorIteratorBaseEENKUlvE_clEvENKUlvE2_clEvEUlN3c107complexIfEEE_EEvS4_RKT_EUlibE_EEviT1_.uses_flat_scratch, 0
	.set _ZN2at6native32elementwise_kernel_manual_unrollILi128ELi4EZNS0_22gpu_kernel_impl_nocastIZZZNS0_17expm1_kernel_cudaERNS_18TensorIteratorBaseEENKUlvE_clEvENKUlvE2_clEvEUlN3c107complexIfEEE_EEvS4_RKT_EUlibE_EEviT1_.has_dyn_sized_stack, 0
	.set _ZN2at6native32elementwise_kernel_manual_unrollILi128ELi4EZNS0_22gpu_kernel_impl_nocastIZZZNS0_17expm1_kernel_cudaERNS_18TensorIteratorBaseEENKUlvE_clEvENKUlvE2_clEvEUlN3c107complexIfEEE_EEvS4_RKT_EUlibE_EEviT1_.has_recursion, 0
	.set _ZN2at6native32elementwise_kernel_manual_unrollILi128ELi4EZNS0_22gpu_kernel_impl_nocastIZZZNS0_17expm1_kernel_cudaERNS_18TensorIteratorBaseEENKUlvE_clEvENKUlvE2_clEvEUlN3c107complexIfEEE_EEvS4_RKT_EUlibE_EEviT1_.has_indirect_call, 0
	.section	.AMDGPU.csdata,"",@progbits
; Kernel info:
; codeLenInByte = 27596
; TotalNumSgprs: 66
; NumVgprs: 62
; NumAgprs: 0
; TotalNumVgprs: 62
; ScratchSize: 0
; MemoryBound: 0
; FloatMode: 240
; IeeeMode: 1
; LDSByteSize: 0 bytes/workgroup (compile time only)
; SGPRBlocks: 8
; VGPRBlocks: 7
; NumSGPRsForWavesPerEU: 66
; NumVGPRsForWavesPerEU: 62
; AccumOffset: 64
; Occupancy: 8
; WaveLimiterHint : 1
; COMPUTE_PGM_RSRC2:SCRATCH_EN: 0
; COMPUTE_PGM_RSRC2:USER_SGPR: 2
; COMPUTE_PGM_RSRC2:TRAP_HANDLER: 0
; COMPUTE_PGM_RSRC2:TGID_X_EN: 1
; COMPUTE_PGM_RSRC2:TGID_Y_EN: 0
; COMPUTE_PGM_RSRC2:TGID_Z_EN: 0
; COMPUTE_PGM_RSRC2:TIDIG_COMP_CNT: 0
; COMPUTE_PGM_RSRC3_GFX90A:ACCUM_OFFSET: 15
; COMPUTE_PGM_RSRC3_GFX90A:TG_SPLIT: 0
	.text
	.p2align	2                               ; -- Begin function _ZN2at6native6invokeIZZZNS0_17expm1_kernel_cudaERNS_18TensorIteratorBaseEENKUlvE_clEvENKUlvE2_clEvEUlN3c107complexIfEEE_i15function_traitsIS9_EEENT1_11result_typeERKT_PrKPcPKT0_PKNS6_10ScalarTypeEi
	.type	_ZN2at6native6invokeIZZZNS0_17expm1_kernel_cudaERNS_18TensorIteratorBaseEENKUlvE_clEvENKUlvE2_clEvEUlN3c107complexIfEEE_i15function_traitsIS9_EEENT1_11result_typeERKT_PrKPcPKT0_PKNS6_10ScalarTypeEi,@function
_ZN2at6native6invokeIZZZNS0_17expm1_kernel_cudaERNS_18TensorIteratorBaseEENKUlvE_clEvENKUlvE2_clEvEUlN3c107complexIfEEE_i15function_traitsIS9_EEENT1_11result_typeERKT_PrKPcPKT0_PKNS6_10ScalarTypeEi: ; @_ZN2at6native6invokeIZZZNS0_17expm1_kernel_cudaERNS_18TensorIteratorBaseEENKUlvE_clEvENKUlvE2_clEvEUlN3c107complexIfEEE_i15function_traitsIS9_EEENT1_11result_typeERKT_PrKPcPKT0_PKNS6_10ScalarTypeEi
; %bb.0:
	s_waitcnt vmcnt(0) expcnt(0) lgkmcnt(0)
	v_mul_lo_u32 v4, v4, v2
	v_ashrrev_i32_e32 v5, 31, v4
	v_mov_b32_e32 v2, 10
	v_lshl_add_u64 v[0:1], v[0:1], 0, v[4:5]
	v_cmp_gt_i16_sdwa s[0:1], v3, v2 src0_sel:BYTE_0 src1_sel:DWORD
	s_mov_b64 s[2:3], 0
                                        ; implicit-def: $vgpr5
	s_and_saveexec_b64 s[4:5], s[0:1]
	s_xor_b64 s[0:1], exec, s[4:5]
	s_cbranch_execz .LBB142_46
; %bb.1:
	v_mov_b32_e32 v2, 25
	v_cmp_gt_i16_sdwa s[4:5], v3, v2 src0_sel:BYTE_0 src1_sel:DWORD
	s_mov_b64 s[8:9], 0
	s_mov_b64 s[6:7], 0
                                        ; implicit-def: $vgpr5
	s_and_saveexec_b64 s[10:11], s[4:5]
	s_xor_b64 s[4:5], exec, s[10:11]
	s_cbranch_execz .LBB142_89
; %bb.2:
	v_mov_b32_e32 v2, 28
	v_cmp_gt_i16_sdwa s[6:7], v3, v2 src0_sel:BYTE_0 src1_sel:DWORD
	s_mov_b64 s[10:11], 0
                                        ; implicit-def: $vgpr5
	s_and_saveexec_b64 s[12:13], s[6:7]
	s_xor_b64 s[6:7], exec, s[12:13]
	s_cbranch_execz .LBB142_18
; %bb.3:
	v_mov_b32_e32 v2, 43
	v_cmp_gt_i16_sdwa s[8:9], v3, v2 src0_sel:BYTE_0 src1_sel:DWORD
	s_mov_b64 s[12:13], 0
	s_mov_b64 s[14:15], 0
                                        ; implicit-def: $vgpr5
	s_and_saveexec_b64 s[10:11], s[8:9]
	s_xor_b64 s[8:9], exec, s[10:11]
	s_cbranch_execz .LBB142_13
; %bb.4:
	v_mov_b32_e32 v2, 45
	v_cmp_gt_i16_sdwa s[14:15], v3, v2 src0_sel:BYTE_0 src1_sel:DWORD
	s_mov_b64 s[10:11], 0
                                        ; implicit-def: $vgpr5
	s_and_saveexec_b64 s[16:17], s[14:15]
	s_xor_b64 s[14:15], exec, s[16:17]
	s_cbranch_execz .LBB142_8
; %bb.5:
	v_mov_b32_e32 v2, 46
	v_cmp_eq_u16_sdwa s[18:19], v3, v2 src0_sel:BYTE_0 src1_sel:DWORD
	s_mov_b64 s[16:17], -1
                                        ; implicit-def: $vgpr5
	s_and_saveexec_b64 s[12:13], s[18:19]
	s_cbranch_execz .LBB142_7
; %bb.6:
	flat_load_dword v2, v[0:1]
	s_mov_b64 s[10:11], exec
	s_xor_b64 s[16:17], exec, -1
	s_waitcnt vmcnt(0) lgkmcnt(0)
	v_and_b32_e32 v5, 0xffff0000, v2
	v_lshlrev_b32_e32 v4, 16, v2
.LBB142_7:
	s_or_b64 exec, exec, s[12:13]
	s_and_b64 s[12:13], s[10:11], exec
	s_and_b64 s[10:11], s[16:17], exec
                                        ; implicit-def: $vgpr3
.LBB142_8:
	s_andn2_saveexec_b64 s[14:15], s[14:15]
	s_cbranch_execz .LBB142_12
; %bb.9:
	v_mov_b32_e32 v2, 44
	v_cmp_eq_u16_sdwa s[22:23], v3, v2 src0_sel:BYTE_0 src1_sel:DWORD
	s_mov_b64 s[20:21], -1
	s_mov_b64 s[18:19], s[12:13]
                                        ; implicit-def: $vgpr4
	s_and_saveexec_b64 s[16:17], s[22:23]
	s_cbranch_execz .LBB142_11
; %bb.10:
	flat_load_ubyte v2, v[0:1]
	s_movk_i32 s20, 0xff
	v_mov_b32_e32 v3, 0x7f800001
	v_mov_b32_e32 v4, 0x400000
	s_or_b64 s[18:19], s[12:13], exec
	s_waitcnt vmcnt(0) lgkmcnt(0)
	v_lshlrev_b32_e32 v5, 23, v2
	v_cmp_ne_u32_e32 vcc, s20, v2
	s_xor_b64 s[20:21], exec, -1
	s_nop 0
	v_cndmask_b32_e32 v3, v3, v5, vcc
	v_cmp_ne_u32_e32 vcc, 0, v2
	s_nop 1
	v_cndmask_b32_e32 v4, v4, v3, vcc
.LBB142_11:
	s_or_b64 exec, exec, s[16:17]
	s_andn2_b64 s[12:13], s[12:13], exec
	s_and_b64 s[16:17], s[18:19], exec
	s_or_b64 s[12:13], s[12:13], s[16:17]
	s_andn2_b64 s[10:11], s[10:11], exec
	s_and_b64 s[16:17], s[20:21], exec
	v_mov_b32_e32 v5, 0
	s_or_b64 s[10:11], s[10:11], s[16:17]
.LBB142_12:
	s_or_b64 exec, exec, s[14:15]
	s_and_b64 s[14:15], s[12:13], exec
	s_and_b64 s[12:13], s[10:11], exec
                                        ; implicit-def: $vgpr3
.LBB142_13:
	s_andn2_saveexec_b64 s[8:9], s[8:9]
	s_cbranch_execz .LBB142_17
; %bb.14:
	v_mov_b32_e32 v2, 29
	v_cmp_eq_u16_sdwa s[20:21], v3, v2 src0_sel:BYTE_0 src1_sel:DWORD
	s_mov_b64 s[16:17], -1
	s_mov_b64 s[18:19], s[14:15]
                                        ; implicit-def: $vgpr4
	s_and_saveexec_b64 s[10:11], s[20:21]
	s_cbranch_execz .LBB142_16
; %bb.15:
	flat_load_dwordx2 v[2:3], v[0:1]
	s_or_b64 s[18:19], s[14:15], exec
	s_xor_b64 s[16:17], exec, -1
	s_waitcnt vmcnt(0) lgkmcnt(0)
	v_ffbh_u32_e32 v4, v3
	v_min_u32_e32 v4, 32, v4
	v_lshlrev_b64 v[2:3], v4, v[2:3]
	v_min_u32_e32 v2, 1, v2
	v_or_b32_e32 v2, v3, v2
	v_cvt_f32_u32_e32 v2, v2
	v_sub_u32_e32 v3, 32, v4
	v_ldexp_f32 v4, v2, v3
.LBB142_16:
	s_or_b64 exec, exec, s[10:11]
	s_andn2_b64 s[10:11], s[14:15], exec
	s_and_b64 s[14:15], s[18:19], exec
	s_or_b64 s[14:15], s[10:11], s[14:15]
	s_andn2_b64 s[10:11], s[12:13], exec
	s_and_b64 s[12:13], s[16:17], exec
	v_mov_b32_e32 v5, 0
	s_or_b64 s[12:13], s[10:11], s[12:13]
.LBB142_17:
	s_or_b64 exec, exec, s[8:9]
	s_and_b64 s[10:11], s[14:15], exec
	s_and_b64 s[8:9], s[12:13], exec
                                        ; implicit-def: $vgpr3
.LBB142_18:
	s_andn2_saveexec_b64 s[6:7], s[6:7]
	s_cbranch_execz .LBB142_34
; %bb.19:
	v_mov_b32_e32 v2, 26
	v_cmp_gt_i16_sdwa s[12:13], v3, v2 src0_sel:BYTE_0 src1_sel:DWORD
                                        ; implicit-def: $vgpr4
	s_and_saveexec_b64 s[14:15], s[12:13]
	s_xor_b64 s[12:13], exec, s[14:15]
	s_cbranch_execz .LBB142_25
; %bb.20:
	v_mov_b32_e32 v2, 27
	v_cmp_gt_i16_sdwa s[14:15], v3, v2 src0_sel:BYTE_0 src1_sel:DWORD
                                        ; implicit-def: $vgpr4
	s_and_saveexec_b64 s[16:17], s[14:15]
	s_xor_b64 s[14:15], exec, s[16:17]
	s_cbranch_execz .LBB142_22
; %bb.21:
	flat_load_dword v2, v[0:1]
	s_waitcnt vmcnt(0) lgkmcnt(0)
	v_cvt_f32_u32_e32 v4, v2
.LBB142_22:
	s_andn2_saveexec_b64 s[14:15], s[14:15]
	s_cbranch_execz .LBB142_24
; %bb.23:
	flat_load_ushort v2, v[0:1]
	s_waitcnt vmcnt(0) lgkmcnt(0)
	v_cvt_f32_u32_e32 v4, v2
.LBB142_24:
	s_or_b64 exec, exec, s[14:15]
.LBB142_25:
	s_andn2_saveexec_b64 s[12:13], s[12:13]
	s_cbranch_execz .LBB142_33
; %bb.26:
	flat_load_ubyte v2, v[0:1]
	s_movk_i32 s14, 0x7f
	s_waitcnt vmcnt(0) lgkmcnt(0)
	v_cmp_lt_i16_e32 vcc, s14, v2
	s_mov_b64 s[14:15], 0
	s_and_saveexec_b64 s[16:17], vcc
	s_xor_b64 s[16:17], exec, s[16:17]
	s_cbranch_execz .LBB142_123
; %bb.27:
	s_movk_i32 s14, 0x80
	v_cmp_eq_u16_e32 vcc, s14, v2
	s_mov_b64 s[14:15], -1
	s_and_saveexec_b64 s[18:19], vcc
; %bb.28:
	s_xor_b64 s[14:15], exec, -1
; %bb.29:
	s_or_b64 exec, exec, s[18:19]
	s_and_b64 s[14:15], s[14:15], exec
	s_or_saveexec_b64 s[16:17], s[16:17]
	v_mov_b32_e32 v4, 0x7f800001
	s_xor_b64 exec, exec, s[16:17]
	s_cbranch_execnz .LBB142_124
.LBB142_30:
	s_or_b64 exec, exec, s[16:17]
	s_and_saveexec_b64 s[16:17], s[14:15]
	s_cbranch_execz .LBB142_32
.LBB142_31:
	v_lshlrev_b32_e32 v3, 24, v2
	v_and_b32_e32 v2, 0xffff, v2
	v_and_b32_e32 v4, 7, v2
	v_ffbh_u32_e32 v6, v4
	v_min_u32_e32 v6, 32, v6
	v_subrev_u32_e32 v7, 28, v6
	v_bfe_u32 v5, v2, 3, 4
	v_lshlrev_b32_e32 v2, v7, v2
	v_sub_u32_e32 v6, 29, v6
	v_and_b32_e32 v2, 7, v2
	v_cmp_eq_u32_e32 vcc, 0, v5
	v_and_b32_e32 v3, 0x80000000, v3
	s_nop 0
	v_cndmask_b32_e32 v5, v5, v6, vcc
	v_cndmask_b32_e32 v2, v4, v2, vcc
	v_mov_b32_e32 v4, 0x3b800000
	v_lshlrev_b32_e32 v2, 20, v2
	v_lshl_add_u32 v4, v5, 23, v4
	v_or3_b32 v4, v3, v4, v2
.LBB142_32:
	s_or_b64 exec, exec, s[16:17]
.LBB142_33:
	s_or_b64 exec, exec, s[12:13]
	v_mov_b32_e32 v5, 0
	s_or_b64 s[10:11], s[10:11], exec
.LBB142_34:
	s_or_b64 exec, exec, s[6:7]
	s_and_b64 s[6:7], s[10:11], exec
	s_and_b64 s[8:9], s[8:9], exec
                                        ; implicit-def: $vgpr3
	s_andn2_saveexec_b64 s[4:5], s[4:5]
	s_cbranch_execnz .LBB142_90
.LBB142_35:
	s_or_b64 exec, exec, s[4:5]
	s_and_saveexec_b64 s[4:5], s[8:9]
	s_cbranch_execnz .LBB142_115
.LBB142_36:
	s_or_b64 exec, exec, s[4:5]
	s_and_saveexec_b64 s[4:5], s[2:3]
	s_xor_b64 s[2:3], exec, s[4:5]
	s_cbranch_execz .LBB142_38
.LBB142_37:
	flat_load_ubyte v0, v[0:1]
	v_mov_b32_e32 v5, 0
	s_or_b64 s[6:7], s[6:7], exec
	s_waitcnt vmcnt(0) lgkmcnt(0)
	v_cmp_ne_u16_e32 vcc, 0, v0
	s_nop 1
	v_cndmask_b32_e64 v4, 0, 1.0, vcc
.LBB142_38:
	s_or_b64 exec, exec, s[2:3]
	s_and_b64 s[2:3], s[6:7], exec
                                        ; implicit-def: $vgpr3
                                        ; implicit-def: $vgpr0_vgpr1
	s_andn2_saveexec_b64 s[0:1], s[0:1]
	s_cbranch_execnz .LBB142_47
.LBB142_39:
	s_or_b64 exec, exec, s[0:1]
                                        ; implicit-def: $vgpr0
                                        ; implicit-def: $vgpr1
	s_and_saveexec_b64 s[6:7], s[2:3]
	s_cbranch_execz .LBB142_88
.LBB142_40:
	s_waitcnt vmcnt(0) lgkmcnt(0)
	v_mul_f32_e32 v0, 0.5, v5
	s_brev_b32 s0, 18
	v_and_b32_e32 v1, 0x7fffffff, v0
	v_cmp_nlt_f32_e64 s[0:1], |v0|, s0
                                        ; implicit-def: $vgpr3
                                        ; implicit-def: $vgpr2
	s_and_saveexec_b64 s[2:3], s[0:1]
	s_xor_b64 s[8:9], exec, s[2:3]
	s_cbranch_execz .LBB142_42
; %bb.41:
	v_lshrrev_b32_e32 v2, 23, v1
	v_add_u32_e32 v2, 0xffffff88, v2
	v_not_b32_e32 v3, 63
	v_cmp_lt_u32_e32 vcc, 63, v2
	s_mov_b32 s4, 0xfe5163ab
	v_mov_b32_e32 v7, 0
	v_cndmask_b32_e32 v3, 0, v3, vcc
	v_add_u32_e32 v2, v3, v2
	v_not_b32_e32 v3, 31
	v_cmp_lt_u32_e64 s[0:1], 31, v2
	s_nop 1
	v_cndmask_b32_e64 v6, 0, v3, s[0:1]
	v_add_u32_e32 v2, v6, v2
	v_cmp_lt_u32_e64 s[2:3], 31, v2
	s_nop 1
	v_cndmask_b32_e64 v3, 0, v3, s[2:3]
	v_add_u32_e32 v18, v3, v2
	v_and_b32_e32 v2, 0x7fffff, v1
	v_or_b32_e32 v19, 0x800000, v2
	v_mad_u64_u32 v[2:3], s[4:5], v19, s4, 0
	v_mov_b32_e32 v6, v3
	s_mov_b32 s4, 0x3c439041
	v_mad_u64_u32 v[8:9], s[4:5], v19, s4, v[6:7]
	v_mov_b32_e32 v6, v9
	s_mov_b32 s4, 0xdb629599
	;; [unrolled: 3-line block ×6, first 2 shown]
	v_mad_u64_u32 v[6:7], s[4:5], v19, s4, v[6:7]
	v_cndmask_b32_e32 v3, v16, v12, vcc
	v_cndmask_b32_e32 v6, v6, v14, vcc
	;; [unrolled: 1-line block ×3, first 2 shown]
	v_cndmask_b32_e64 v9, v6, v3, s[0:1]
	v_cndmask_b32_e64 v6, v7, v6, s[0:1]
	v_cndmask_b32_e32 v7, v14, v10, vcc
	v_cndmask_b32_e64 v3, v3, v7, s[0:1]
	v_cndmask_b32_e32 v8, v12, v8, vcc
	v_cndmask_b32_e64 v6, v6, v9, s[2:3]
	v_cndmask_b32_e64 v9, v9, v3, s[2:3]
	v_sub_u32_e32 v11, 32, v18
	v_cndmask_b32_e64 v7, v7, v8, s[0:1]
	v_alignbit_b32 v13, v6, v9, v11
	v_cmp_eq_u32_e64 s[4:5], 0, v18
	v_cndmask_b32_e64 v3, v3, v7, s[2:3]
	v_alignbit_b32 v12, v9, v3, v11
	v_cndmask_b32_e64 v6, v13, v6, s[4:5]
	v_cndmask_b32_e32 v2, v10, v2, vcc
	v_cndmask_b32_e64 v9, v12, v9, s[4:5]
	v_bfe_u32 v14, v6, 29, 1
	v_cndmask_b32_e64 v2, v8, v2, s[0:1]
	v_alignbit_b32 v12, v6, v9, 30
	v_sub_u32_e32 v15, 0, v14
	v_cndmask_b32_e64 v2, v7, v2, s[2:3]
	v_xor_b32_e32 v12, v12, v15
	v_alignbit_b32 v7, v3, v2, v11
	v_cndmask_b32_e64 v3, v7, v3, s[4:5]
	v_ffbh_u32_e32 v8, v12
	v_alignbit_b32 v7, v9, v3, 30
	v_min_u32_e32 v8, 32, v8
	v_alignbit_b32 v2, v3, v2, 30
	v_xor_b32_e32 v7, v7, v15
	v_sub_u32_e32 v9, 31, v8
	v_xor_b32_e32 v2, v2, v15
	v_alignbit_b32 v10, v12, v7, v9
	v_alignbit_b32 v2, v7, v2, v9
	v_alignbit_b32 v3, v10, v2, 9
	v_ffbh_u32_e32 v7, v3
	v_min_u32_e32 v7, 32, v7
	v_lshrrev_b32_e32 v13, 29, v6
	v_not_b32_e32 v9, v7
	v_alignbit_b32 v2, v3, v2, v9
	v_lshlrev_b32_e32 v3, 31, v13
	v_or_b32_e32 v9, 0x33000000, v3
	v_add_lshl_u32 v7, v7, v8, 23
	v_lshrrev_b32_e32 v2, 9, v2
	v_sub_u32_e32 v7, v9, v7
	v_or_b32_e32 v3, 0.5, v3
	v_lshlrev_b32_e32 v8, 23, v8
	v_or_b32_e32 v2, v7, v2
	v_lshrrev_b32_e32 v7, 9, v10
	v_sub_u32_e32 v3, v3, v8
	v_or_b32_e32 v3, v7, v3
	s_mov_b32 s0, 0x3fc90fda
	v_mul_f32_e32 v7, 0x3fc90fda, v3
	v_fma_f32 v8, v3, s0, -v7
	v_fmamk_f32 v3, v3, 0x33a22168, v8
	v_fmac_f32_e32 v3, 0x3fc90fda, v2
	v_add_f32_e32 v2, v7, v3
	v_lshrrev_b32_e32 v3, 30, v6
	v_add_u32_e32 v3, v14, v3
.LBB142_42:
	s_andn2_saveexec_b64 s[0:1], s[8:9]
	s_cbranch_execz .LBB142_44
; %bb.43:
	s_mov_b32 s2, 0x3f22f983
	v_mul_f32_e64 v2, |v0|, s2
	v_rndne_f32_e32 v2, v2
	s_mov_b32 s2, 0xbfc90fda
	v_cvt_i32_f32_e32 v3, v2
	v_fma_f32 v6, v2, s2, |v0|
	v_fmamk_f32 v6, v2, 0xb3a22168, v6
	v_fmamk_f32 v2, v2, 0xa7c234c4, v6
.LBB142_44:
	s_or_b64 exec, exec, s[0:1]
	v_and_b32_e32 v6, 0x7fffffff, v5
	s_brev_b32 s0, 18
	v_cmp_nlt_f32_e64 s[8:9], |v5|, s0
	v_lshrrev_b32_e32 v9, 23, v6
                                        ; implicit-def: $vgpr8
                                        ; implicit-def: $vgpr7
	s_and_saveexec_b64 s[0:1], s[8:9]
	s_xor_b64 s[10:11], exec, s[0:1]
	s_cbranch_execz .LBB142_116
; %bb.45:
	v_add_u32_e32 v7, 0xffffff88, v9
	v_not_b32_e32 v8, 63
	v_cmp_lt_u32_e32 vcc, 63, v7
	s_mov_b32 s4, 0xfe5163ab
	v_mov_b32_e32 v13, 0
	v_cndmask_b32_e32 v8, 0, v8, vcc
	v_add_u32_e32 v7, v8, v7
	v_not_b32_e32 v8, 31
	v_cmp_lt_u32_e64 s[0:1], 31, v7
	s_nop 1
	v_cndmask_b32_e64 v10, 0, v8, s[0:1]
	v_add_u32_e32 v7, v10, v7
	v_cmp_lt_u32_e64 s[2:3], 31, v7
	s_nop 1
	v_cndmask_b32_e64 v8, 0, v8, s[2:3]
	v_add_u32_e32 v7, v8, v7
	v_and_b32_e32 v8, 0x7fffff, v6
	v_or_b32_e32 v8, 0x800000, v8
	v_mad_u64_u32 v[10:11], s[4:5], v8, s4, 0
	v_mov_b32_e32 v12, v11
	s_mov_b32 s4, 0x3c439041
	v_mad_u64_u32 v[14:15], s[4:5], v8, s4, v[12:13]
	v_mov_b32_e32 v12, v15
	s_mov_b32 s4, 0xdb629599
	;; [unrolled: 3-line block ×6, first 2 shown]
	v_mad_u64_u32 v[12:13], s[4:5], v8, s4, v[12:13]
	v_cndmask_b32_e32 v11, v22, v18, vcc
	v_cndmask_b32_e32 v8, v12, v20, vcc
	;; [unrolled: 1-line block ×3, first 2 shown]
	v_cndmask_b32_e64 v12, v8, v11, s[0:1]
	v_cndmask_b32_e64 v8, v13, v8, s[0:1]
	v_cndmask_b32_e32 v13, v20, v16, vcc
	v_cndmask_b32_e64 v11, v11, v13, s[0:1]
	v_sub_u32_e32 v15, 32, v7
	v_cmp_eq_u32_e64 s[4:5], 0, v7
	v_cndmask_b32_e32 v7, v18, v14, vcc
	v_cndmask_b32_e64 v8, v8, v12, s[2:3]
	v_cndmask_b32_e64 v12, v12, v11, s[2:3]
	;; [unrolled: 1-line block ×3, first 2 shown]
	v_alignbit_b32 v17, v8, v12, v15
	v_cndmask_b32_e64 v11, v11, v13, s[2:3]
	v_cndmask_b32_e32 v10, v16, v10, vcc
	v_cndmask_b32_e64 v8, v17, v8, s[4:5]
	v_alignbit_b32 v14, v12, v11, v15
	v_cndmask_b32_e64 v7, v7, v10, s[0:1]
	v_cndmask_b32_e64 v12, v14, v12, s[4:5]
	v_bfe_u32 v18, v8, 29, 1
	v_cndmask_b32_e64 v7, v13, v7, s[2:3]
	v_alignbit_b32 v14, v8, v12, 30
	v_sub_u32_e32 v19, 0, v18
	v_alignbit_b32 v10, v11, v7, v15
	v_xor_b32_e32 v14, v14, v19
	v_cndmask_b32_e64 v10, v10, v11, s[4:5]
	v_alignbit_b32 v11, v12, v10, 30
	v_ffbh_u32_e32 v12, v14
	v_min_u32_e32 v12, 32, v12
	v_alignbit_b32 v7, v10, v7, 30
	v_xor_b32_e32 v11, v11, v19
	v_sub_u32_e32 v13, 31, v12
	v_xor_b32_e32 v7, v7, v19
	v_alignbit_b32 v14, v14, v11, v13
	v_alignbit_b32 v7, v11, v7, v13
	;; [unrolled: 1-line block ×3, first 2 shown]
	v_ffbh_u32_e32 v11, v10
	v_min_u32_e32 v11, 32, v11
	v_lshrrev_b32_e32 v17, 29, v8
	v_not_b32_e32 v13, v11
	v_alignbit_b32 v7, v10, v7, v13
	v_lshlrev_b32_e32 v10, 31, v17
	v_or_b32_e32 v13, 0x33000000, v10
	v_add_lshl_u32 v11, v11, v12, 23
	v_lshrrev_b32_e32 v7, 9, v7
	v_sub_u32_e32 v11, v13, v11
	v_or_b32_e32 v10, 0.5, v10
	v_lshlrev_b32_e32 v12, 23, v12
	v_or_b32_e32 v7, v11, v7
	v_lshrrev_b32_e32 v11, 9, v14
	v_sub_u32_e32 v10, v10, v12
	v_or_b32_e32 v10, v11, v10
	s_mov_b32 s0, 0x3fc90fda
	v_mul_f32_e32 v11, 0x3fc90fda, v10
	v_fma_f32 v12, v10, s0, -v11
	v_fmamk_f32 v10, v10, 0x33a22168, v12
	v_fmac_f32_e32 v10, 0x3fc90fda, v7
	v_lshrrev_b32_e32 v8, 30, v8
	v_add_f32_e32 v7, v11, v10
	v_add_u32_e32 v8, v18, v8
	s_andn2_saveexec_b64 s[0:1], s[10:11]
	s_cbranch_execz .LBB142_118
	s_branch .LBB142_117
.LBB142_46:
	s_andn2_saveexec_b64 s[0:1], s[0:1]
	s_cbranch_execz .LBB142_39
.LBB142_47:
	v_mov_b32_e32 v2, 4
	v_cmp_gt_i16_sdwa s[4:5], v3, v2 src0_sel:BYTE_0 src1_sel:DWORD
                                        ; implicit-def: $vgpr5
	s_and_saveexec_b64 s[6:7], s[4:5]
	s_xor_b64 s[4:5], exec, s[6:7]
	s_cbranch_execz .LBB142_69
; %bb.48:
	v_mov_b32_e32 v2, 7
	v_cmp_gt_i16_sdwa s[6:7], v3, v2 src0_sel:BYTE_0 src1_sel:DWORD
                                        ; implicit-def: $vgpr5
	s_and_saveexec_b64 s[8:9], s[6:7]
	s_xor_b64 s[6:7], exec, s[8:9]
	s_cbranch_execz .LBB142_58
; %bb.49:
	;; [unrolled: 7-line block ×4, first 2 shown]
	flat_load_dwordx4 v[0:3], v[0:1]
	s_waitcnt vmcnt(0) lgkmcnt(0)
	v_cvt_f32_f64_e32 v4, v[0:1]
	v_cvt_f32_f64_e32 v5, v[2:3]
                                        ; implicit-def: $vgpr0_vgpr1
.LBB142_52:
	s_andn2_saveexec_b64 s[10:11], s[10:11]
	s_cbranch_execz .LBB142_54
; %bb.53:
	flat_load_dwordx2 v[4:5], v[0:1]
.LBB142_54:
	s_or_b64 exec, exec, s[10:11]
                                        ; implicit-def: $vgpr0_vgpr1
.LBB142_55:
	s_andn2_saveexec_b64 s[8:9], s[8:9]
	s_cbranch_execz .LBB142_57
; %bb.56:
	flat_load_dword v0, v[0:1]
	s_waitcnt vmcnt(0) lgkmcnt(0)
	v_cvt_f32_f16_sdwa v5, v0 dst_sel:DWORD dst_unused:UNUSED_PAD src0_sel:WORD_1
	v_cvt_f32_f16_e32 v4, v0
.LBB142_57:
	s_or_b64 exec, exec, s[8:9]
                                        ; implicit-def: $vgpr0_vgpr1
                                        ; implicit-def: $vgpr3
.LBB142_58:
	s_andn2_saveexec_b64 s[6:7], s[6:7]
	s_cbranch_execz .LBB142_68
; %bb.59:
	v_mov_b32_e32 v2, 5
	v_cmp_gt_i16_sdwa s[8:9], v3, v2 src0_sel:BYTE_0 src1_sel:DWORD
                                        ; implicit-def: $vgpr4
	s_and_saveexec_b64 s[10:11], s[8:9]
	s_xor_b64 s[8:9], exec, s[10:11]
	s_cbranch_execz .LBB142_65
; %bb.60:
	v_mov_b32_e32 v2, 6
	v_cmp_gt_i16_sdwa s[10:11], v3, v2 src0_sel:BYTE_0 src1_sel:DWORD
                                        ; implicit-def: $vgpr4
	s_and_saveexec_b64 s[12:13], s[10:11]
	s_xor_b64 s[10:11], exec, s[12:13]
	s_cbranch_execz .LBB142_62
; %bb.61:
	flat_load_dwordx2 v[0:1], v[0:1]
	s_waitcnt vmcnt(0) lgkmcnt(0)
	v_cvt_f32_f64_e32 v4, v[0:1]
                                        ; implicit-def: $vgpr0_vgpr1
.LBB142_62:
	s_andn2_saveexec_b64 s[10:11], s[10:11]
	s_cbranch_execz .LBB142_64
; %bb.63:
	s_waitcnt vmcnt(0) lgkmcnt(0)
	flat_load_dword v4, v[0:1]
.LBB142_64:
	s_or_b64 exec, exec, s[10:11]
                                        ; implicit-def: $vgpr0_vgpr1
.LBB142_65:
	s_andn2_saveexec_b64 s[8:9], s[8:9]
	s_cbranch_execz .LBB142_67
; %bb.66:
	flat_load_ushort v0, v[0:1]
	s_waitcnt vmcnt(0) lgkmcnt(0)
	v_cvt_f32_f16_e32 v4, v0
.LBB142_67:
	s_or_b64 exec, exec, s[8:9]
	s_waitcnt vmcnt(0) lgkmcnt(0)
	v_mov_b32_e32 v5, 0
.LBB142_68:
	s_or_b64 exec, exec, s[6:7]
                                        ; implicit-def: $vgpr3
                                        ; implicit-def: $vgpr0_vgpr1
.LBB142_69:
	s_andn2_saveexec_b64 s[4:5], s[4:5]
	s_cbranch_execz .LBB142_87
; %bb.70:
	v_mov_b32_e32 v2, 1
	v_cmp_gt_i16_sdwa s[6:7], v3, v2 src0_sel:BYTE_0 src1_sel:DWORD
                                        ; implicit-def: $vgpr4
	s_and_saveexec_b64 s[8:9], s[6:7]
	s_xor_b64 s[6:7], exec, s[8:9]
	s_cbranch_execz .LBB142_80
; %bb.71:
	v_mov_b32_e32 v2, 2
	v_cmp_gt_i16_sdwa s[8:9], v3, v2 src0_sel:BYTE_0 src1_sel:DWORD
                                        ; implicit-def: $vgpr4
	s_and_saveexec_b64 s[10:11], s[8:9]
	s_xor_b64 s[8:9], exec, s[10:11]
	;; [unrolled: 7-line block ×3, first 2 shown]
	s_cbranch_execz .LBB142_74
; %bb.73:
	flat_load_dwordx2 v[0:1], v[0:1]
	s_waitcnt vmcnt(0) lgkmcnt(0)
	v_xor_b32_e32 v3, v0, v1
	v_ffbh_i32_e32 v2, v1
	v_ashrrev_i32_e32 v3, 31, v3
	v_add_u32_e32 v2, -1, v2
	v_add_u32_e32 v3, 32, v3
	v_min_u32_e32 v2, v2, v3
	v_lshlrev_b64 v[0:1], v2, v[0:1]
	v_min_u32_e32 v0, 1, v0
	v_or_b32_e32 v0, v1, v0
	v_cvt_f32_i32_e32 v0, v0
	v_sub_u32_e32 v1, 32, v2
	v_ldexp_f32 v4, v0, v1
                                        ; implicit-def: $vgpr0_vgpr1
.LBB142_74:
	s_andn2_saveexec_b64 s[10:11], s[10:11]
	s_cbranch_execz .LBB142_76
; %bb.75:
	flat_load_dword v0, v[0:1]
	s_waitcnt vmcnt(0) lgkmcnt(0)
	v_cvt_f32_i32_e32 v4, v0
.LBB142_76:
	s_or_b64 exec, exec, s[10:11]
                                        ; implicit-def: $vgpr0_vgpr1
.LBB142_77:
	s_andn2_saveexec_b64 s[8:9], s[8:9]
	s_cbranch_execz .LBB142_79
; %bb.78:
	flat_load_sshort v0, v[0:1]
	s_waitcnt vmcnt(0) lgkmcnt(0)
	v_cvt_f32_i32_e32 v4, v0
.LBB142_79:
	s_or_b64 exec, exec, s[8:9]
                                        ; implicit-def: $vgpr0_vgpr1
                                        ; implicit-def: $vgpr3
.LBB142_80:
	s_andn2_saveexec_b64 s[6:7], s[6:7]
	s_cbranch_execz .LBB142_86
; %bb.81:
	v_mov_b32_e32 v2, 0
	v_cmp_gt_i16_sdwa s[8:9], v3, v2 src0_sel:BYTE_0 src1_sel:DWORD
                                        ; implicit-def: $vgpr4
	s_and_saveexec_b64 s[10:11], s[8:9]
	s_xor_b64 s[8:9], exec, s[10:11]
	s_cbranch_execz .LBB142_83
; %bb.82:
	flat_load_sbyte v0, v[0:1]
	s_waitcnt vmcnt(0) lgkmcnt(0)
	v_cvt_f32_i32_e32 v4, v0
                                        ; implicit-def: $vgpr0_vgpr1
.LBB142_83:
	s_andn2_saveexec_b64 s[8:9], s[8:9]
	s_cbranch_execz .LBB142_85
; %bb.84:
	flat_load_ubyte v0, v[0:1]
	s_waitcnt vmcnt(0) lgkmcnt(0)
	v_cvt_f32_ubyte0_e32 v4, v0
.LBB142_85:
	s_or_b64 exec, exec, s[8:9]
.LBB142_86:
	s_or_b64 exec, exec, s[6:7]
	s_waitcnt vmcnt(0) lgkmcnt(0)
	v_mov_b32_e32 v5, 0
.LBB142_87:
	s_or_b64 exec, exec, s[4:5]
	s_or_b64 s[2:3], s[2:3], exec
	s_or_b64 exec, exec, s[0:1]
                                        ; implicit-def: $vgpr0
                                        ; implicit-def: $vgpr1
	s_and_saveexec_b64 s[6:7], s[2:3]
	s_cbranch_execnz .LBB142_40
.LBB142_88:
	s_or_b64 exec, exec, s[6:7]
	s_waitcnt vmcnt(0) lgkmcnt(0)
	s_setpc_b64 s[30:31]
.LBB142_89:
	s_andn2_saveexec_b64 s[4:5], s[4:5]
	s_cbranch_execz .LBB142_35
.LBB142_90:
	v_mov_b32_e32 v2, 22
	v_cmp_gt_i16_sdwa s[2:3], v3, v2 src0_sel:BYTE_0 src1_sel:DWORD
	s_mov_b64 s[10:11], s[6:7]
                                        ; implicit-def: $vgpr4
	s_and_saveexec_b64 s[12:13], s[2:3]
	s_xor_b64 s[2:3], exec, s[12:13]
	s_cbranch_execz .LBB142_106
; %bb.91:
	v_mov_b32_e32 v2, 23
	v_cmp_gt_i16_sdwa s[10:11], v3, v2 src0_sel:BYTE_0 src1_sel:DWORD
                                        ; implicit-def: $vgpr4
	s_and_saveexec_b64 s[12:13], s[10:11]
	s_xor_b64 s[10:11], exec, s[12:13]
	s_cbranch_execz .LBB142_103
; %bb.92:
	v_mov_b32_e32 v2, 24
	v_cmp_gt_i16_sdwa s[12:13], v3, v2 src0_sel:BYTE_0 src1_sel:DWORD
                                        ; implicit-def: $vgpr4
	s_and_saveexec_b64 s[14:15], s[12:13]
	s_xor_b64 s[12:13], exec, s[14:15]
	s_cbranch_execz .LBB142_100
; %bb.93:
	flat_load_ubyte v2, v[0:1]
	s_movk_i32 s14, 0x7f
	s_waitcnt vmcnt(0) lgkmcnt(0)
	v_cmp_lt_i16_e32 vcc, s14, v2
	s_mov_b64 s[14:15], 0
	s_and_saveexec_b64 s[16:17], vcc
	s_xor_b64 s[16:17], exec, s[16:17]
	s_cbranch_execz .LBB142_125
; %bb.94:
	s_movk_i32 s14, 0x80
	v_cmp_eq_u16_e32 vcc, s14, v2
	s_mov_b64 s[14:15], -1
	s_and_saveexec_b64 s[18:19], vcc
; %bb.95:
	s_xor_b64 s[14:15], exec, -1
; %bb.96:
	s_or_b64 exec, exec, s[18:19]
	s_and_b64 s[14:15], s[14:15], exec
	s_or_saveexec_b64 s[16:17], s[16:17]
	v_mov_b32_e32 v4, 0x7f800001
	s_xor_b64 exec, exec, s[16:17]
	s_cbranch_execnz .LBB142_126
.LBB142_97:
	s_or_b64 exec, exec, s[16:17]
	s_and_saveexec_b64 s[16:17], s[14:15]
	s_cbranch_execz .LBB142_99
.LBB142_98:
	v_lshlrev_b32_e32 v3, 24, v2
	v_and_b32_e32 v2, 0xffff, v2
	v_and_b32_e32 v4, 3, v2
	v_ffbh_u32_e32 v6, v4
	v_min_u32_e32 v6, 32, v6
	v_subrev_u32_e32 v7, 29, v6
	v_bfe_u32 v5, v2, 2, 5
	v_lshlrev_b32_e32 v2, v7, v2
	v_sub_u32_e32 v6, 30, v6
	v_and_b32_e32 v2, 3, v2
	v_cmp_eq_u32_e32 vcc, 0, v5
	v_and_b32_e32 v3, 0x80000000, v3
	s_nop 0
	v_cndmask_b32_e32 v5, v5, v6, vcc
	v_cndmask_b32_e32 v2, v4, v2, vcc
	v_mov_b32_e32 v4, 0x37800000
	v_lshlrev_b32_e32 v2, 21, v2
	v_lshl_add_u32 v4, v5, 23, v4
	v_or3_b32 v4, v3, v4, v2
.LBB142_99:
	s_or_b64 exec, exec, s[16:17]
.LBB142_100:
	s_andn2_saveexec_b64 s[12:13], s[12:13]
	s_cbranch_execz .LBB142_102
; %bb.101:
	flat_load_ubyte v2, v[0:1]
	s_mov_b32 s14, 0x7f800000
	s_waitcnt vmcnt(0) lgkmcnt(0)
	v_lshlrev_b32_e32 v2, 24, v2
	v_and_b32_e32 v3, 0x7f000000, v2
	v_ffbh_u32_e32 v4, v3
	v_min_u32_e32 v4, 32, v4
	v_sub_u32_e64 v4, v4, 4 clamp
	v_lshlrev_b32_e32 v6, v4, v3
	v_lshlrev_b32_e32 v4, 23, v4
	v_lshrrev_b32_e32 v6, 4, v6
	v_add_u32_e32 v5, 0x1000000, v3
	v_sub_u32_e32 v4, v6, v4
	v_ashrrev_i32_e32 v5, 8, v5
	v_add_u32_e32 v4, 0x3c000000, v4
	v_and_or_b32 v4, v5, s14, v4
	v_cmp_ne_u32_e32 vcc, 0, v3
	s_brev_b32 s14, 1
	s_nop 0
	v_cndmask_b32_e32 v3, 0, v4, vcc
	v_and_or_b32 v4, v2, s14, v3
.LBB142_102:
	s_or_b64 exec, exec, s[12:13]
.LBB142_103:
	s_andn2_saveexec_b64 s[10:11], s[10:11]
	s_cbranch_execz .LBB142_105
; %bb.104:
	flat_load_ubyte v2, v[0:1]
	s_movk_i32 s12, 0x7f00
	s_brev_b32 s13, 16
	s_waitcnt vmcnt(0) lgkmcnt(0)
	v_lshlrev_b16_e32 v3, 8, v2
	v_lshlrev_b32_e32 v2, 25, v2
	v_lshrrev_b32_e32 v4, 4, v2
	v_and_or_b32 v5, v3, s12, 0.5
	v_or_b32_e32 v4, 0x70000000, v4
	v_add_f32_e32 v5, -0.5, v5
	v_mul_f32_e32 v4, 0x7800000, v4
	v_cmp_gt_u32_e32 vcc, s13, v2
	v_bfe_i32 v3, v3, 0, 16
	s_brev_b32 s12, 1
	v_cndmask_b32_e32 v2, v4, v5, vcc
	v_and_or_b32 v4, v3, s12, v2
.LBB142_105:
	s_or_b64 exec, exec, s[10:11]
	s_or_b64 s[10:11], s[6:7], exec
                                        ; implicit-def: $vgpr3
.LBB142_106:
	s_or_saveexec_b64 s[2:3], s[2:3]
	s_mov_b64 s[14:15], 0
	s_mov_b64 s[12:13], s[8:9]
	s_xor_b64 exec, exec, s[2:3]
	s_cbranch_execz .LBB142_114
; %bb.107:
	v_mov_b32_e32 v2, 14
	v_cmp_gt_i16_sdwa s[16:17], v3, v2 src0_sel:BYTE_0 src1_sel:DWORD
	s_mov_b64 s[12:13], s[8:9]
	s_mov_b64 s[14:15], s[10:11]
                                        ; implicit-def: $vgpr4
	s_and_saveexec_b64 s[18:19], s[16:17]
	s_xor_b64 s[16:17], exec, s[18:19]
	s_cbranch_execz .LBB142_111
; %bb.108:
	v_mov_b32_e32 v2, 15
	v_cmp_eq_u16_sdwa s[20:21], v3, v2 src0_sel:BYTE_0 src1_sel:DWORD
	s_mov_b64 s[12:13], -1
	s_mov_b64 s[14:15], s[10:11]
                                        ; implicit-def: $vgpr4
	s_and_saveexec_b64 s[18:19], s[20:21]
	s_cbranch_execz .LBB142_110
; %bb.109:
	flat_load_ushort v2, v[0:1]
	s_or_b64 s[14:15], s[10:11], exec
	s_xor_b64 s[12:13], exec, -1
	s_waitcnt vmcnt(0) lgkmcnt(0)
	v_lshlrev_b32_e32 v4, 16, v2
.LBB142_110:
	s_or_b64 exec, exec, s[18:19]
	s_andn2_b64 s[18:19], s[10:11], exec
	s_and_b64 s[14:15], s[14:15], exec
	s_or_b64 s[14:15], s[18:19], s[14:15]
	s_andn2_b64 s[18:19], s[8:9], exec
	s_and_b64 s[12:13], s[12:13], exec
	s_or_b64 s[12:13], s[18:19], s[12:13]
                                        ; implicit-def: $vgpr3
.LBB142_111:
	s_or_saveexec_b64 s[16:17], s[16:17]
	s_mov_b64 s[18:19], 0
	s_xor_b64 exec, exec, s[16:17]
; %bb.112:
	v_mov_b32_e32 v2, 11
	v_cmp_ne_u16_sdwa s[20:21], v3, v2 src0_sel:BYTE_0 src1_sel:DWORD
	s_andn2_b64 s[12:13], s[12:13], exec
	s_and_b64 s[20:21], s[20:21], exec
	s_mov_b64 s[18:19], exec
	s_or_b64 s[12:13], s[12:13], s[20:21]
; %bb.113:
	s_or_b64 exec, exec, s[16:17]
	s_andn2_b64 s[10:11], s[10:11], exec
	s_and_b64 s[14:15], s[14:15], exec
	s_andn2_b64 s[16:17], s[8:9], exec
	s_and_b64 s[12:13], s[12:13], exec
	s_or_b64 s[10:11], s[10:11], s[14:15]
	s_and_b64 s[14:15], s[18:19], exec
	s_or_b64 s[12:13], s[16:17], s[12:13]
.LBB142_114:
	s_or_b64 exec, exec, s[2:3]
	s_andn2_b64 s[2:3], s[6:7], exec
	s_and_b64 s[6:7], s[10:11], exec
	s_andn2_b64 s[8:9], s[8:9], exec
	s_and_b64 s[10:11], s[12:13], exec
	v_mov_b32_e32 v5, 0
	s_or_b64 s[6:7], s[2:3], s[6:7]
	s_and_b64 s[2:3], s[14:15], exec
	s_or_b64 s[8:9], s[8:9], s[10:11]
	s_or_b64 exec, exec, s[4:5]
	s_and_saveexec_b64 s[4:5], s[8:9]
	s_cbranch_execz .LBB142_36
.LBB142_115:
	s_trap 2
	; divergent unreachable
	s_andn2_b64 s[2:3], s[2:3], exec
	s_or_b64 exec, exec, s[4:5]
	s_and_saveexec_b64 s[4:5], s[2:3]
	s_xor_b64 s[2:3], exec, s[4:5]
	s_cbranch_execnz .LBB142_37
	s_branch .LBB142_38
.LBB142_116:
	s_andn2_saveexec_b64 s[0:1], s[10:11]
	s_cbranch_execz .LBB142_118
.LBB142_117:
	s_mov_b32 s2, 0x3f22f983
	v_mul_f32_e64 v7, |v5|, s2
	v_rndne_f32_e32 v7, v7
	s_mov_b32 s2, 0xbfc90fda
	v_cvt_i32_f32_e32 v8, v7
	v_fma_f32 v10, v7, s2, |v5|
	v_fmamk_f32 v10, v7, 0xb3a22168, v10
	v_fmamk_f32 v7, v7, 0xa7c234c4, v10
.LBB142_118:
	s_or_b64 exec, exec, s[0:1]
                                        ; implicit-def: $vgpr10
                                        ; implicit-def: $vgpr11
	s_and_saveexec_b64 s[0:1], s[8:9]
	s_xor_b64 s[8:9], exec, s[0:1]
	s_cbranch_execz .LBB142_120
; %bb.119:
	v_add_u32_e32 v9, 0xffffff88, v9
	v_not_b32_e32 v10, 63
	v_cmp_lt_u32_e32 vcc, 63, v9
	s_mov_b32 s4, 0xfe5163ab
	v_mov_b32_e32 v13, 0
	v_cndmask_b32_e32 v10, 0, v10, vcc
	v_add_u32_e32 v9, v10, v9
	v_not_b32_e32 v10, 31
	v_cmp_lt_u32_e64 s[0:1], 31, v9
	s_nop 1
	v_cndmask_b32_e64 v11, 0, v10, s[0:1]
	v_add_u32_e32 v9, v11, v9
	v_cmp_lt_u32_e64 s[2:3], 31, v9
	s_nop 1
	v_cndmask_b32_e64 v10, 0, v10, s[2:3]
	v_add_u32_e32 v9, v10, v9
	v_and_b32_e32 v10, 0x7fffff, v6
	v_or_b32_e32 v24, 0x800000, v10
	v_mad_u64_u32 v[10:11], s[4:5], v24, s4, 0
	v_mov_b32_e32 v12, v11
	s_mov_b32 s4, 0x3c439041
	v_mad_u64_u32 v[14:15], s[4:5], v24, s4, v[12:13]
	v_mov_b32_e32 v12, v15
	s_mov_b32 s4, 0xdb629599
	;; [unrolled: 3-line block ×6, first 2 shown]
	v_mad_u64_u32 v[12:13], s[4:5], v24, s4, v[12:13]
	v_cndmask_b32_e32 v11, v22, v18, vcc
	v_cndmask_b32_e32 v12, v12, v20, vcc
	;; [unrolled: 1-line block ×3, first 2 shown]
	v_cndmask_b32_e64 v15, v12, v11, s[0:1]
	v_cndmask_b32_e64 v12, v13, v12, s[0:1]
	v_cndmask_b32_e32 v13, v20, v16, vcc
	v_cndmask_b32_e64 v11, v11, v13, s[0:1]
	v_cndmask_b32_e64 v12, v12, v15, s[2:3]
	;; [unrolled: 1-line block ×3, first 2 shown]
	v_sub_u32_e32 v17, 32, v9
	v_alignbit_b32 v19, v12, v15, v17
	v_cmp_eq_u32_e64 s[4:5], 0, v9
	v_cndmask_b32_e32 v10, v16, v10, vcc
	s_nop 0
	v_cndmask_b32_e64 v9, v19, v12, s[4:5]
	v_cndmask_b32_e32 v12, v18, v14, vcc
	v_cndmask_b32_e64 v13, v13, v12, s[0:1]
	v_cndmask_b32_e64 v11, v11, v13, s[2:3]
	v_alignbit_b32 v14, v15, v11, v17
	v_cndmask_b32_e64 v14, v14, v15, s[4:5]
	v_bfe_u32 v19, v9, 29, 1
	v_cndmask_b32_e64 v10, v12, v10, s[0:1]
	v_alignbit_b32 v15, v9, v14, 30
	v_sub_u32_e32 v20, 0, v19
	v_cndmask_b32_e64 v10, v13, v10, s[2:3]
	v_xor_b32_e32 v15, v15, v20
	v_alignbit_b32 v12, v11, v10, v17
	v_cndmask_b32_e64 v11, v12, v11, s[4:5]
	v_ffbh_u32_e32 v13, v15
	v_alignbit_b32 v12, v14, v11, 30
	v_min_u32_e32 v13, 32, v13
	v_alignbit_b32 v10, v11, v10, 30
	v_xor_b32_e32 v12, v12, v20
	v_sub_u32_e32 v14, 31, v13
	v_xor_b32_e32 v10, v10, v20
	v_alignbit_b32 v15, v15, v12, v14
	v_alignbit_b32 v10, v12, v10, v14
	;; [unrolled: 1-line block ×3, first 2 shown]
	v_ffbh_u32_e32 v12, v11
	v_min_u32_e32 v12, 32, v12
	v_lshrrev_b32_e32 v18, 29, v9
	v_not_b32_e32 v14, v12
	v_alignbit_b32 v10, v11, v10, v14
	v_lshlrev_b32_e32 v11, 31, v18
	v_or_b32_e32 v14, 0x33000000, v11
	v_add_lshl_u32 v12, v12, v13, 23
	v_lshrrev_b32_e32 v10, 9, v10
	v_sub_u32_e32 v12, v14, v12
	v_or_b32_e32 v11, 0.5, v11
	v_lshlrev_b32_e32 v13, 23, v13
	v_or_b32_e32 v10, v12, v10
	v_lshrrev_b32_e32 v12, 9, v15
	v_sub_u32_e32 v11, v11, v13
	v_or_b32_e32 v11, v12, v11
	s_mov_b32 s0, 0x3fc90fda
	v_mul_f32_e32 v12, 0x3fc90fda, v11
	v_fma_f32 v13, v11, s0, -v12
	v_fmamk_f32 v11, v11, 0x33a22168, v13
	v_fmac_f32_e32 v11, 0x3fc90fda, v10
	v_lshrrev_b32_e32 v9, 30, v9
	v_add_f32_e32 v11, v12, v11
	v_add_u32_e32 v10, v19, v9
	s_andn2_saveexec_b64 s[0:1], s[8:9]
	s_cbranch_execnz .LBB142_121
	s_branch .LBB142_122
.LBB142_120:
	s_andn2_saveexec_b64 s[0:1], s[8:9]
	s_cbranch_execz .LBB142_122
.LBB142_121:
	s_mov_b32 s2, 0x3f22f983
	v_mul_f32_e64 v9, |v5|, s2
	v_rndne_f32_e32 v9, v9
	s_mov_b32 s2, 0xbfc90fda
	v_cvt_i32_f32_e32 v10, v9
	v_fma_f32 v11, v9, s2, |v5|
	v_fmamk_f32 v11, v9, 0xb3a22168, v11
	v_fmamk_f32 v11, v9, 0xa7c234c4, v11
.LBB142_122:
	s_or_b64 exec, exec, s[0:1]
	v_mul_f32_e32 v9, 0x3fb8aa3b, v4
	s_mov_b32 s0, 0x3fb8aa3b
	v_rndne_f32_e32 v12, v9
	v_sub_f32_e32 v13, v9, v12
	v_fma_f32 v9, v4, s0, -v9
	v_fmamk_f32 v9, v4, 0x32a5705f, v9
	v_add_f32_e32 v9, v13, v9
	v_exp_f32_e32 v9, v9
	v_cvt_i32_f32_e32 v13, v12
	s_mov_b32 s0, 0xc2ce8ed0
	v_cmp_ngt_f32_e32 vcc, s0, v4
	s_mov_b32 s0, 0x42b17218
	v_ldexp_f32 v9, v9, v13
	v_cndmask_b32_e32 v9, 0, v9, vcc
	v_mov_b32_e32 v14, 0x7f800000
	v_cmp_nlt_f32_e32 vcc, s0, v4
	s_mov_b32 s0, 0x43000000
	v_ldexp_f32 v13, 1.0, v13
	v_cndmask_b32_e32 v9, v14, v9, vcc
	v_mov_b32_e32 v15, 0x7f000000
	v_cmp_eq_f32_e32 vcc, s0, v12
	s_mov_b32 s0, 0x42b17217
	v_mov_b32_e32 v18, 0x3c0881c4
	v_cndmask_b32_e32 v13, v13, v15, vcc
	v_fmamk_f32 v15, v12, 0xbf317218, v4
	v_fmamk_f32 v12, v12, 0x3102e308, v15
	v_mov_b32_e32 v15, 0x3ab69700
	v_fmac_f32_e32 v15, 0x395133b1, v12
	v_fmaak_f32 v15, v12, v15, 0x3c0887f9
	v_fmaak_f32 v15, v12, v15, 0x3d2aaa81
	;; [unrolled: 1-line block ×3, first 2 shown]
	v_fma_f32 v15, v12, v15, 0.5
	v_mul_f32_e32 v15, v12, v15
	v_fmac_f32_e32 v12, v12, v15
	v_add_f32_e32 v15, -1.0, v13
	v_fmac_f32_e32 v15, v13, v12
	v_add_f32_e32 v12, v15, v15
	v_cndmask_b32_e32 v12, v15, v12, vcc
	v_cmp_nlt_f32_e32 vcc, s0, v4
	v_mul_f32_e32 v13, v7, v7
	s_mov_b32 s0, 0xc1880000
	v_cndmask_b32_e32 v12, v14, v12, vcc
	v_mov_b32_e32 v14, 0xbab64f3b
	v_fmamk_f32 v15, v13, 0x37d75334, v14
	v_fmaak_f32 v15, v13, v15, 0x3d2aabf7
	v_fmamk_f32 v19, v13, 0xb94c1982, v18
	v_cmp_ngt_f32_e32 vcc, s0, v4
	v_fmaak_f32 v15, v13, v15, 0xbf000004
	v_fmaak_f32 v19, v13, v19, 0xbe2aaa9d
	v_cndmask_b32_e32 v4, -1.0, v12, vcc
	v_lshlrev_b32_e32 v12, 30, v8
	v_and_b32_e32 v8, 1, v8
	v_fma_f32 v15, v13, v15, 1.0
	v_mul_f32_e32 v13, v13, v19
	v_fmac_f32_e32 v7, v7, v13
	v_cmp_eq_u32_e32 vcc, 0, v8
	s_brev_b32 s0, 1
	v_xor_b32_e32 v1, v1, v0
	v_cndmask_b32_e64 v7, -v7, v15, vcc
	v_bitop3_b32 v7, v12, v7, s0 bitop3:0x6c
	v_lshlrev_b32_e32 v12, 30, v3
	v_and_b32_e32 v12, 0x80000000, v12
	v_xor_b32_e32 v1, v1, v12
	v_mul_f32_e32 v12, v2, v2
	v_fmamk_f32 v13, v12, 0xb94c1982, v18
	v_fmaak_f32 v13, v12, v13, 0xbe2aaa9d
	v_mul_f32_e32 v13, v12, v13
	v_fmac_f32_e32 v2, v2, v13
	v_fmamk_f32 v13, v12, 0x37d75334, v14
	v_fmaak_f32 v13, v12, v13, 0x3d2aabf7
	v_and_b32_e32 v3, 1, v3
	v_fmaak_f32 v13, v12, v13, 0xbf000004
	v_fma_f32 v12, v12, v13, 1.0
	v_cmp_eq_u32_e64 s[0:1], 0, v3
	s_movk_i32 s2, 0x1f8
	v_mov_b32_e32 v8, 0x7fc00000
	v_cndmask_b32_e64 v2, v12, v2, s[0:1]
	v_xor_b32_e32 v1, v1, v2
	v_cmp_class_f32_e64 s[0:1], v0, s2
	v_mov_b32_e32 v20, 0xbe2aaa9d
	v_mov_b32_e32 v16, 0x3d2aabf7
	v_cndmask_b32_e64 v0, v8, v1, s[0:1]
	v_add_f32_e32 v1, v0, v0
	v_mul_f32_e32 v0, v0, v1
	v_mul_f32_e32 v1, v11, v11
	v_fmac_f32_e32 v18, 0xb94c1982, v1
	v_fmac_f32_e32 v20, v1, v18
	v_mul_f32_e32 v2, v1, v20
	v_fmac_f32_e32 v14, 0x37d75334, v1
	v_mov_b32_e32 v17, 0xbf000004
	v_fmac_f32_e32 v11, v11, v2
	v_fmac_f32_e32 v16, v1, v14
	v_and_b32_e32 v2, 1, v10
	v_fmac_f32_e32 v17, v1, v16
	v_cmp_eq_u32_e64 s[0:1], 0, v2
	v_lshlrev_b32_e32 v2, 30, v10
	v_fma_f32 v1, v1, v17, 1.0
	v_and_b32_e32 v2, 0x80000000, v2
	v_xor_b32_e32 v3, v6, v5
	v_cndmask_b32_e64 v1, v1, v11, s[0:1]
	v_xor_b32_e32 v2, v3, v2
	v_cmp_class_f32_e64 vcc, v5, s2
	v_xor_b32_e32 v1, v2, v1
	s_nop 0
	v_cndmask_b32_e32 v7, v8, v7, vcc
	v_cndmask_b32_e32 v1, v8, v1, vcc
	v_fma_f32 v0, v4, v7, -v0
	v_mul_f32_e32 v1, v9, v1
	s_or_b64 exec, exec, s[6:7]
	s_setpc_b64 s[30:31]
.LBB142_123:
	s_or_saveexec_b64 s[16:17], s[16:17]
	v_mov_b32_e32 v4, 0x7f800001
	s_xor_b64 exec, exec, s[16:17]
	s_cbranch_execz .LBB142_30
.LBB142_124:
	v_cmp_ne_u16_e32 vcc, 0, v2
	s_andn2_b64 s[14:15], s[14:15], exec
	s_and_b64 s[18:19], vcc, exec
	v_mov_b32_e32 v4, 0
	s_or_b64 s[14:15], s[14:15], s[18:19]
	s_or_b64 exec, exec, s[16:17]
	s_and_saveexec_b64 s[16:17], s[14:15]
	s_cbranch_execnz .LBB142_31
	s_branch .LBB142_32
.LBB142_125:
	s_or_saveexec_b64 s[16:17], s[16:17]
	v_mov_b32_e32 v4, 0x7f800001
	s_xor_b64 exec, exec, s[16:17]
	s_cbranch_execz .LBB142_97
.LBB142_126:
	v_cmp_ne_u16_e32 vcc, 0, v2
	s_andn2_b64 s[14:15], s[14:15], exec
	s_and_b64 s[18:19], vcc, exec
	v_mov_b32_e32 v4, 0
	s_or_b64 s[14:15], s[14:15], s[18:19]
	s_or_b64 exec, exec, s[16:17]
	s_and_saveexec_b64 s[16:17], s[14:15]
	s_cbranch_execnz .LBB142_98
	s_branch .LBB142_99
.Lfunc_end142:
	.size	_ZN2at6native6invokeIZZZNS0_17expm1_kernel_cudaERNS_18TensorIteratorBaseEENKUlvE_clEvENKUlvE2_clEvEUlN3c107complexIfEEE_i15function_traitsIS9_EEENT1_11result_typeERKT_PrKPcPKT0_PKNS6_10ScalarTypeEi, .Lfunc_end142-_ZN2at6native6invokeIZZZNS0_17expm1_kernel_cudaERNS_18TensorIteratorBaseEENKUlvE_clEvENKUlvE2_clEvEUlN3c107complexIfEEE_i15function_traitsIS9_EEENT1_11result_typeERKT_PrKPcPKT0_PKNS6_10ScalarTypeEi
                                        ; -- End function
	.set .L_ZN2at6native6invokeIZZZNS0_17expm1_kernel_cudaERNS_18TensorIteratorBaseEENKUlvE_clEvENKUlvE2_clEvEUlN3c107complexIfEEE_i15function_traitsIS9_EEENT1_11result_typeERKT_PrKPcPKT0_PKNS6_10ScalarTypeEi.num_vgpr, 25
	.set .L_ZN2at6native6invokeIZZZNS0_17expm1_kernel_cudaERNS_18TensorIteratorBaseEENKUlvE_clEvENKUlvE2_clEvEUlN3c107complexIfEEE_i15function_traitsIS9_EEENT1_11result_typeERKT_PrKPcPKT0_PKNS6_10ScalarTypeEi.num_agpr, 0
	.set .L_ZN2at6native6invokeIZZZNS0_17expm1_kernel_cudaERNS_18TensorIteratorBaseEENKUlvE_clEvENKUlvE2_clEvEUlN3c107complexIfEEE_i15function_traitsIS9_EEENT1_11result_typeERKT_PrKPcPKT0_PKNS6_10ScalarTypeEi.numbered_sgpr, 32
	.set .L_ZN2at6native6invokeIZZZNS0_17expm1_kernel_cudaERNS_18TensorIteratorBaseEENKUlvE_clEvENKUlvE2_clEvEUlN3c107complexIfEEE_i15function_traitsIS9_EEENT1_11result_typeERKT_PrKPcPKT0_PKNS6_10ScalarTypeEi.num_named_barrier, 0
	.set .L_ZN2at6native6invokeIZZZNS0_17expm1_kernel_cudaERNS_18TensorIteratorBaseEENKUlvE_clEvENKUlvE2_clEvEUlN3c107complexIfEEE_i15function_traitsIS9_EEENT1_11result_typeERKT_PrKPcPKT0_PKNS6_10ScalarTypeEi.private_seg_size, 0
	.set .L_ZN2at6native6invokeIZZZNS0_17expm1_kernel_cudaERNS_18TensorIteratorBaseEENKUlvE_clEvENKUlvE2_clEvEUlN3c107complexIfEEE_i15function_traitsIS9_EEENT1_11result_typeERKT_PrKPcPKT0_PKNS6_10ScalarTypeEi.uses_vcc, 1
	.set .L_ZN2at6native6invokeIZZZNS0_17expm1_kernel_cudaERNS_18TensorIteratorBaseEENKUlvE_clEvENKUlvE2_clEvEUlN3c107complexIfEEE_i15function_traitsIS9_EEENT1_11result_typeERKT_PrKPcPKT0_PKNS6_10ScalarTypeEi.uses_flat_scratch, 0
	.set .L_ZN2at6native6invokeIZZZNS0_17expm1_kernel_cudaERNS_18TensorIteratorBaseEENKUlvE_clEvENKUlvE2_clEvEUlN3c107complexIfEEE_i15function_traitsIS9_EEENT1_11result_typeERKT_PrKPcPKT0_PKNS6_10ScalarTypeEi.has_dyn_sized_stack, 0
	.set .L_ZN2at6native6invokeIZZZNS0_17expm1_kernel_cudaERNS_18TensorIteratorBaseEENKUlvE_clEvENKUlvE2_clEvEUlN3c107complexIfEEE_i15function_traitsIS9_EEENT1_11result_typeERKT_PrKPcPKT0_PKNS6_10ScalarTypeEi.has_recursion, 0
	.set .L_ZN2at6native6invokeIZZZNS0_17expm1_kernel_cudaERNS_18TensorIteratorBaseEENKUlvE_clEvENKUlvE2_clEvEUlN3c107complexIfEEE_i15function_traitsIS9_EEENT1_11result_typeERKT_PrKPcPKT0_PKNS6_10ScalarTypeEi.has_indirect_call, 0
	.section	.AMDGPU.csdata,"",@progbits
; Function info:
; codeLenInByte = 5288
; TotalNumSgprs: 38
; NumVgprs: 25
; NumAgprs: 0
; TotalNumVgprs: 25
; ScratchSize: 0
; MemoryBound: 1
	.section	.text._ZN2at6native32elementwise_kernel_manual_unrollILi128ELi4EZNS0_15gpu_kernel_implIZZZNS0_17expm1_kernel_cudaERNS_18TensorIteratorBaseEENKUlvE_clEvENKUlvE2_clEvEUlN3c107complexIfEEE_EEvS4_RKT_EUlibE_EEviT1_,"axG",@progbits,_ZN2at6native32elementwise_kernel_manual_unrollILi128ELi4EZNS0_15gpu_kernel_implIZZZNS0_17expm1_kernel_cudaERNS_18TensorIteratorBaseEENKUlvE_clEvENKUlvE2_clEvEUlN3c107complexIfEEE_EEvS4_RKT_EUlibE_EEviT1_,comdat
	.globl	_ZN2at6native32elementwise_kernel_manual_unrollILi128ELi4EZNS0_15gpu_kernel_implIZZZNS0_17expm1_kernel_cudaERNS_18TensorIteratorBaseEENKUlvE_clEvENKUlvE2_clEvEUlN3c107complexIfEEE_EEvS4_RKT_EUlibE_EEviT1_ ; -- Begin function _ZN2at6native32elementwise_kernel_manual_unrollILi128ELi4EZNS0_15gpu_kernel_implIZZZNS0_17expm1_kernel_cudaERNS_18TensorIteratorBaseEENKUlvE_clEvENKUlvE2_clEvEUlN3c107complexIfEEE_EEvS4_RKT_EUlibE_EEviT1_
	.p2align	8
	.type	_ZN2at6native32elementwise_kernel_manual_unrollILi128ELi4EZNS0_15gpu_kernel_implIZZZNS0_17expm1_kernel_cudaERNS_18TensorIteratorBaseEENKUlvE_clEvENKUlvE2_clEvEUlN3c107complexIfEEE_EEvS4_RKT_EUlibE_EEviT1_,@function
_ZN2at6native32elementwise_kernel_manual_unrollILi128ELi4EZNS0_15gpu_kernel_implIZZZNS0_17expm1_kernel_cudaERNS_18TensorIteratorBaseEENKUlvE_clEvENKUlvE2_clEvEUlN3c107complexIfEEE_EEvS4_RKT_EUlibE_EEviT1_: ; @_ZN2at6native32elementwise_kernel_manual_unrollILi128ELi4EZNS0_15gpu_kernel_implIZZZNS0_17expm1_kernel_cudaERNS_18TensorIteratorBaseEENKUlvE_clEvENKUlvE2_clEvEUlN3c107complexIfEEE_EEvS4_RKT_EUlibE_EEviT1_
; %bb.0:
	v_mov_b32_e32 v1, 0
	global_load_ushort v1, v1, s[0:1] offset:33
	s_load_dword s50, s[0:1], 0x0
	s_load_dwordx2 s[28:29], s[0:1], 0x18
	s_load_dwordx4 s[24:27], s[0:1], 0x8
	v_lshl_or_b32 v25, s2, 9, v0
	v_mov_b32_e32 v2, 8
	v_or_b32_e32 v33, 0x180, v25
	s_mov_b64 s[34:35], 0
	s_waitcnt lgkmcnt(0)
	v_cmp_le_i32_e32 vcc, s50, v33
	s_mov_b64 s[38:39], 0
	s_mov_b32 s32, 0
	s_waitcnt vmcnt(0)
	v_readfirstlane_b32 s33, v1
	v_lshrrev_b32_sdwa v32, v2, v1 dst_sel:DWORD dst_unused:UNUSED_PAD src0_sel:DWORD src1_sel:WORD_0
	s_and_saveexec_b64 s[0:1], vcc
	s_xor_b64 s[36:37], exec, s[0:1]
	s_cbranch_execz .LBB143_512
; %bb.1:
	v_cmp_gt_i32_e32 vcc, s50, v25
	s_mov_b64 s[0:1], -1
	s_mov_b64 s[44:45], 0
	s_and_saveexec_b64 s[40:41], vcc
	s_cbranch_execz .LBB143_124
; %bb.2:
	s_getpc_b64 s[0:1]
	s_add_u32 s0, s0, _ZN2at6native6invokeIZZZNS0_17expm1_kernel_cudaERNS_18TensorIteratorBaseEENKUlvE_clEvENKUlvE2_clEvEUlN3c107complexIfEEE_i15function_traitsIS9_EEENT1_11result_typeERKT_PrKPcPKT0_PKNS6_10ScalarTypeEi@rel32@lo+4
	s_addc_u32 s1, s1, _ZN2at6native6invokeIZZZNS0_17expm1_kernel_cudaERNS_18TensorIteratorBaseEENKUlvE_clEvENKUlvE2_clEvEUlN3c107complexIfEEE_i15function_traitsIS9_EEENT1_11result_typeERKT_PrKPcPKT0_PKNS6_10ScalarTypeEi@rel32@hi+12
	v_mov_b32_e32 v0, s26
	v_mov_b32_e32 v1, s27
	;; [unrolled: 1-line block ×5, first 2 shown]
	s_swappc_b64 s[30:31], s[0:1]
	v_mul_lo_u32 v2, v25, s28
	v_ashrrev_i32_e32 v3, 31, v2
	s_and_b32 s8, s33, 0xff
	s_cmp_lt_i32 s8, 11
	v_lshl_add_u64 v[2:3], s[24:25], 0, v[2:3]
	s_cbranch_scc1 .LBB143_9
; %bb.3:
	s_and_b32 s9, 0xffff, s8
	s_cmp_gt_i32 s9, 25
	s_cbranch_scc0 .LBB143_12
; %bb.4:
	s_cmp_gt_i32 s9, 28
	s_cbranch_scc0 .LBB143_13
; %bb.5:
	;; [unrolled: 3-line block ×4, first 2 shown]
	s_mov_b64 s[4:5], 0
	s_mov_b64 s[0:1], -1
	s_cmp_eq_u32 s9, 46
	s_mov_b64 s[2:3], 0
	s_cbranch_scc0 .LBB143_16
; %bb.8:
	s_movk_i32 s0, 0x7fff
	v_bfe_u32 v5, v1, 16, 1
	v_add3_u32 v5, v1, v5, s0
	v_bfe_u32 v4, v0, 16, 1
	v_and_b32_e32 v5, 0xffff0000, v5
	v_mov_b32_e32 v6, 0x7fc00000
	v_cmp_o_f32_e32 vcc, v1, v1
	v_add3_u32 v4, v0, v4, s0
	s_mov_b64 s[2:3], -1
	v_cndmask_b32_e32 v5, v6, v5, vcc
	v_cmp_o_f32_e32 vcc, v0, v0
	v_mov_b32_e32 v6, 0x7fc0
	s_mov_b64 s[0:1], 0
	v_cndmask_b32_sdwa v4, v6, v4, vcc dst_sel:DWORD dst_unused:UNUSED_PAD src0_sel:DWORD src1_sel:WORD_1
	v_or_b32_e32 v4, v5, v4
	global_store_dword v[2:3], v4, off
	s_branch .LBB143_16
.LBB143_9:
	s_mov_b64 s[0:1], 0
	s_mov_b64 s[2:3], 0
	s_cbranch_execnz .LBB143_84
.LBB143_10:
	s_andn2_b64 vcc, exec, s[2:3]
	s_cbranch_vccnz .LBB143_122
.LBB143_11:
	v_add_u32_e32 v25, 0x80, v25
	s_mov_b64 s[2:3], -1
	s_branch .LBB143_123
.LBB143_12:
	s_mov_b64 s[0:1], 0
	s_mov_b64 s[2:3], 0
	s_cbranch_execnz .LBB143_43
	s_branch .LBB143_83
.LBB143_13:
	s_mov_b64 s[4:5], -1
	s_mov_b64 s[0:1], 0
	s_mov_b64 s[2:3], 0
	s_branch .LBB143_26
.LBB143_14:
	s_mov_b64 s[4:5], -1
	s_mov_b64 s[0:1], 0
	s_mov_b64 s[2:3], 0
	s_branch .LBB143_22
.LBB143_15:
	s_mov_b64 s[4:5], -1
	s_mov_b64 s[0:1], 0
	s_mov_b64 s[2:3], 0
.LBB143_16:
	s_and_b64 vcc, exec, s[4:5]
	s_cbranch_vccz .LBB143_21
; %bb.17:
	s_cmp_eq_u32 s9, 44
	s_mov_b64 s[0:1], -1
	s_cbranch_scc0 .LBB143_21
; %bb.18:
	v_bfe_u32 v4, v0, 23, 8
	s_movk_i32 s0, 0xff
	v_cmp_ne_u32_e32 vcc, s0, v4
	v_mov_b32_e32 v5, 0xff
	s_and_saveexec_b64 s[2:3], vcc
; %bb.19:
	s_mov_b32 s0, 0x3fffff
	v_and_b32_e32 v6, 0x400000, v0
	v_and_or_b32 v4, v0, s0, v4
	v_cmp_ne_u32_e32 vcc, 0, v6
	v_cmp_ne_u32_e64 s[0:1], 0, v4
	s_and_b64 s[0:1], vcc, s[0:1]
	v_lshrrev_b32_e32 v5, 23, v0
	v_cndmask_b32_e64 v4, 0, 1, s[0:1]
	v_add_u32_e32 v5, v5, v4
; %bb.20:
	s_or_b64 exec, exec, s[2:3]
	s_mov_b64 s[2:3], -1
	s_mov_b64 s[0:1], 0
	global_store_byte v[2:3], v5, off
.LBB143_21:
	s_mov_b64 s[4:5], 0
.LBB143_22:
	s_and_b64 vcc, exec, s[4:5]
	s_cbranch_vccz .LBB143_25
; %bb.23:
	s_cmp_eq_u32 s9, 29
	s_mov_b64 s[0:1], -1
	s_cbranch_scc0 .LBB143_25
; %bb.24:
	v_trunc_f32_e32 v4, v0
	v_mul_f32_e32 v5, 0x2f800000, v4
	v_floor_f32_e32 v6, v5
	v_fmamk_f32 v4, v6, 0xcf800000, v4
	v_cvt_u32_f32_e32 v5, v6
	v_cvt_u32_f32_e32 v4, v4
	s_mov_b64 s[2:3], -1
	s_mov_b64 s[0:1], 0
	s_mov_b64 s[4:5], 0
	global_store_dwordx2 v[2:3], v[4:5], off
	s_branch .LBB143_26
.LBB143_25:
	s_mov_b64 s[4:5], 0
.LBB143_26:
	s_and_b64 vcc, exec, s[4:5]
	s_cbranch_vccz .LBB143_42
; %bb.27:
	s_cmp_lt_i32 s9, 27
	s_mov_b64 s[2:3], -1
	s_cbranch_scc1 .LBB143_33
; %bb.28:
	v_cvt_u32_f32_e32 v4, v0
	s_cmp_gt_i32 s9, 27
	s_cbranch_scc0 .LBB143_30
; %bb.29:
	s_mov_b64 s[2:3], 0
	global_store_dword v[2:3], v4, off
.LBB143_30:
	s_andn2_b64 vcc, exec, s[2:3]
	s_cbranch_vccnz .LBB143_32
; %bb.31:
	global_store_short v[2:3], v4, off
.LBB143_32:
	s_mov_b64 s[2:3], 0
.LBB143_33:
	s_andn2_b64 vcc, exec, s[2:3]
	s_cbranch_vccnz .LBB143_41
; %bb.34:
	v_and_b32_e32 v4, 0x7fffffff, v0
	s_mov_b32 s2, 0x43800000
	v_cmp_gt_u32_e32 vcc, s2, v4
	v_mov_b32_e32 v5, 0x80
	s_and_saveexec_b64 s[2:3], vcc
	s_cbranch_execz .LBB143_40
; %bb.35:
	s_mov_b32 s4, 0x3bffffff
	v_cmp_lt_u32_e32 vcc, s4, v4
	s_mov_b64 s[4:5], 0
                                        ; implicit-def: $vgpr4
	s_and_saveexec_b64 s[6:7], vcc
	s_xor_b64 s[6:7], exec, s[6:7]
	s_cbranch_execz .LBB143_141
; %bb.36:
	v_bfe_u32 v4, v0, 20, 1
	s_mov_b32 s10, 0x487ffff
	v_add3_u32 v4, v0, v4, s10
	s_mov_b64 s[4:5], exec
	v_lshrrev_b32_e32 v4, 20, v4
	s_andn2_saveexec_b64 s[6:7], s[6:7]
	s_cbranch_execnz .LBB143_142
.LBB143_37:
	s_or_b64 exec, exec, s[6:7]
	v_mov_b32_e32 v5, 0
	s_and_saveexec_b64 s[6:7], s[4:5]
.LBB143_38:
	v_lshrrev_b32_e32 v5, 24, v0
	s_movk_i32 s4, 0x80
	v_and_or_b32 v5, v5, s4, v4
.LBB143_39:
	s_or_b64 exec, exec, s[6:7]
.LBB143_40:
	s_or_b64 exec, exec, s[2:3]
	global_store_byte v[2:3], v5, off
.LBB143_41:
	s_mov_b64 s[2:3], -1
.LBB143_42:
	s_branch .LBB143_83
.LBB143_43:
	s_cmp_gt_i32 s9, 22
	s_mov_b64 s[4:5], -1
	s_cbranch_scc0 .LBB143_75
; %bb.44:
	s_cmp_lt_i32 s9, 24
	s_mov_b64 s[2:3], -1
	s_cbranch_scc1 .LBB143_64
; %bb.45:
	s_cmp_gt_i32 s9, 24
	s_cbranch_scc0 .LBB143_53
; %bb.46:
	v_and_b32_e32 v4, 0x7fffffff, v0
	s_mov_b32 s2, 0x47800000
	v_cmp_gt_u32_e32 vcc, s2, v4
	v_mov_b32_e32 v5, 0x80
	s_and_saveexec_b64 s[2:3], vcc
	s_cbranch_execz .LBB143_52
; %bb.47:
	s_mov_b32 s4, 0x37ffffff
	v_cmp_lt_u32_e32 vcc, s4, v4
	s_mov_b64 s[4:5], 0
                                        ; implicit-def: $vgpr4
	s_and_saveexec_b64 s[6:7], vcc
	s_xor_b64 s[6:7], exec, s[6:7]
	s_cbranch_execz .LBB143_144
; %bb.48:
	v_bfe_u32 v4, v0, 21, 1
	s_mov_b32 s10, 0x88fffff
	v_add3_u32 v4, v0, v4, s10
	s_mov_b64 s[4:5], exec
	v_lshrrev_b32_e32 v4, 21, v4
	s_andn2_saveexec_b64 s[6:7], s[6:7]
	s_cbranch_execnz .LBB143_145
.LBB143_49:
	s_or_b64 exec, exec, s[6:7]
	v_mov_b32_e32 v5, 0
	s_and_saveexec_b64 s[6:7], s[4:5]
.LBB143_50:
	v_lshrrev_b32_e32 v5, 24, v0
	s_movk_i32 s4, 0x80
	v_and_or_b32 v5, v5, s4, v4
.LBB143_51:
	s_or_b64 exec, exec, s[6:7]
.LBB143_52:
	s_or_b64 exec, exec, s[2:3]
	s_mov_b64 s[2:3], 0
	global_store_byte v[2:3], v5, off
.LBB143_53:
	s_and_b64 vcc, exec, s[2:3]
	s_cbranch_vccz .LBB143_63
; %bb.54:
	v_and_b32_e32 v5, 0x7fffffff, v0
	s_mov_b32 s2, 0x43f00000
	v_cmp_gt_u32_e32 vcc, s2, v5
                                        ; implicit-def: $vgpr4
	s_and_saveexec_b64 s[2:3], vcc
	s_xor_b64 s[2:3], exec, s[2:3]
	s_cbranch_execz .LBB143_60
; %bb.55:
	s_mov_b32 s4, 0x3c7fffff
	v_cmp_lt_u32_e32 vcc, s4, v5
                                        ; implicit-def: $vgpr4
	s_and_saveexec_b64 s[4:5], vcc
	s_xor_b64 s[4:5], exec, s[4:5]
; %bb.56:
	v_bfe_u32 v4, v0, 20, 1
	s_mov_b32 s6, 0x407ffff
	v_add3_u32 v4, v0, v4, s6
	v_lshrrev_b32_e32 v5, 20, v4
	v_and_b32_e32 v4, 0xff00000, v4
	s_mov_b32 s6, 0x7f00000
	v_mov_b32_e32 v6, 0x7e
	v_cmp_ne_u32_e32 vcc, s6, v4
	s_nop 1
	v_cndmask_b32_e32 v4, v6, v5, vcc
; %bb.57:
	s_andn2_saveexec_b64 s[4:5], s[4:5]
; %bb.58:
	s_mov_b32 s6, 0x46800000
	v_add_f32_e64 v4, |v0|, s6
; %bb.59:
	s_or_b64 exec, exec, s[4:5]
                                        ; implicit-def: $vgpr5
.LBB143_60:
	s_andn2_saveexec_b64 s[2:3], s[2:3]
; %bb.61:
	s_mov_b32 s4, 0x7f800000
	v_mov_b32_e32 v4, 0x7e
	v_mov_b32_e32 v6, 0x7f
	v_cmp_lt_u32_e32 vcc, s4, v5
	s_nop 1
	v_cndmask_b32_e32 v4, v4, v6, vcc
; %bb.62:
	s_or_b64 exec, exec, s[2:3]
	v_lshrrev_b32_e32 v5, 24, v0
	s_movk_i32 s2, 0x80
	v_and_or_b32 v4, v5, s2, v4
	global_store_byte v[2:3], v4, off
.LBB143_63:
	s_mov_b64 s[2:3], 0
.LBB143_64:
	s_andn2_b64 vcc, exec, s[2:3]
	s_cbranch_vccnz .LBB143_74
; %bb.65:
	v_and_b32_e32 v5, 0x7fffffff, v0
	s_mov_b32 s2, 0x47800000
	v_cmp_gt_u32_e32 vcc, s2, v5
                                        ; implicit-def: $vgpr4
	s_and_saveexec_b64 s[2:3], vcc
	s_xor_b64 s[2:3], exec, s[2:3]
	s_cbranch_execz .LBB143_71
; %bb.66:
	s_mov_b32 s4, 0x387fffff
	v_cmp_lt_u32_e32 vcc, s4, v5
                                        ; implicit-def: $vgpr4
	s_and_saveexec_b64 s[4:5], vcc
	s_xor_b64 s[4:5], exec, s[4:5]
; %bb.67:
	v_bfe_u32 v4, v0, 21, 1
	s_mov_b32 s6, 0x80fffff
	v_add3_u32 v4, v0, v4, s6
	v_lshrrev_b32_e32 v4, 21, v4
; %bb.68:
	s_andn2_saveexec_b64 s[4:5], s[4:5]
; %bb.69:
	s_mov_b32 s6, 0x43000000
	v_add_f32_e64 v4, |v0|, s6
; %bb.70:
	s_or_b64 exec, exec, s[4:5]
                                        ; implicit-def: $vgpr5
.LBB143_71:
	s_andn2_saveexec_b64 s[2:3], s[2:3]
; %bb.72:
	s_mov_b32 s4, 0x7f800000
	v_mov_b32_e32 v4, 0x7c
	v_mov_b32_e32 v6, 0x7f
	v_cmp_lt_u32_e32 vcc, s4, v5
	s_nop 1
	v_cndmask_b32_e32 v4, v4, v6, vcc
; %bb.73:
	s_or_b64 exec, exec, s[2:3]
	v_lshrrev_b32_e32 v5, 24, v0
	s_movk_i32 s2, 0x80
	v_and_or_b32 v4, v5, s2, v4
	global_store_byte v[2:3], v4, off
.LBB143_74:
	s_mov_b64 s[4:5], 0
	s_mov_b64 s[2:3], -1
.LBB143_75:
	s_andn2_b64 vcc, exec, s[4:5]
	s_cbranch_vccnz .LBB143_83
; %bb.76:
	s_cmp_gt_i32 s9, 14
	s_mov_b64 s[4:5], -1
	s_cbranch_scc0 .LBB143_80
; %bb.77:
	s_cmp_eq_u32 s9, 15
	s_mov_b64 s[0:1], -1
	s_cbranch_scc0 .LBB143_79
; %bb.78:
	v_bfe_u32 v4, v0, 16, 1
	s_movk_i32 s0, 0x7fff
	v_add3_u32 v4, v0, v4, s0
	v_cmp_o_f32_e32 vcc, v0, v0
	v_mov_b32_e32 v5, 0x7fc0
	s_mov_b64 s[2:3], -1
	v_cndmask_b32_sdwa v4, v5, v4, vcc dst_sel:DWORD dst_unused:UNUSED_PAD src0_sel:DWORD src1_sel:WORD_1
	global_store_short v[2:3], v4, off
	s_mov_b64 s[0:1], 0
.LBB143_79:
	s_mov_b64 s[4:5], 0
.LBB143_80:
	s_and_b64 vcc, exec, s[4:5]
	s_cbranch_vccz .LBB143_83
; %bb.81:
	s_cmp_eq_u32 s9, 11
	s_mov_b64 s[0:1], -1
	s_cbranch_scc0 .LBB143_83
; %bb.82:
	s_brev_b32 s0, -2
	v_bitop3_b32 v4, v0, s0, v1 bitop3:0xc8
	v_cmp_ne_u32_e32 vcc, 0, v4
	s_mov_b64 s[2:3], -1
	s_mov_b64 s[0:1], 0
	v_cndmask_b32_e64 v4, 0, 1, vcc
	global_store_byte v[2:3], v4, off
.LBB143_83:
	s_branch .LBB143_10
.LBB143_84:
	s_and_b32 s4, 0xffff, s8
	s_cmp_lt_i32 s4, 5
	s_mov_b64 s[2:3], -1
	s_cbranch_scc1 .LBB143_105
; %bb.85:
	s_cmp_lt_i32 s4, 8
	s_cbranch_scc1 .LBB143_95
; %bb.86:
	s_cmp_lt_i32 s4, 9
	s_cbranch_scc1 .LBB143_92
; %bb.87:
	s_cmp_gt_i32 s4, 9
	s_cbranch_scc0 .LBB143_89
; %bb.88:
	v_cvt_f64_f32_e32 v[4:5], v0
	v_cvt_f64_f32_e32 v[6:7], v1
	global_store_dwordx4 v[2:3], v[4:7], off
	s_mov_b64 s[2:3], 0
.LBB143_89:
	s_andn2_b64 vcc, exec, s[2:3]
	s_cbranch_vccnz .LBB143_91
; %bb.90:
	global_store_dwordx2 v[2:3], v[0:1], off
.LBB143_91:
	s_mov_b64 s[2:3], 0
.LBB143_92:
	s_andn2_b64 vcc, exec, s[2:3]
	s_cbranch_vccnz .LBB143_94
; %bb.93:
	v_cvt_f16_f32_e32 v4, v0
	v_cvt_f16_f32_sdwa v1, v1 dst_sel:WORD_1 dst_unused:UNUSED_PAD src0_sel:DWORD
	s_nop 0
	v_or_b32_e32 v1, v1, v4
	global_store_dword v[2:3], v1, off
.LBB143_94:
	s_mov_b64 s[2:3], 0
.LBB143_95:
	s_andn2_b64 vcc, exec, s[2:3]
	s_cbranch_vccnz .LBB143_104
; %bb.96:
	s_cmp_lt_i32 s4, 6
	s_mov_b64 s[2:3], -1
	s_cbranch_scc1 .LBB143_102
; %bb.97:
	s_cmp_gt_i32 s4, 6
	s_cbranch_scc0 .LBB143_99
; %bb.98:
	v_cvt_f64_f32_e32 v[4:5], v0
	global_store_dwordx2 v[2:3], v[4:5], off
	s_mov_b64 s[2:3], 0
.LBB143_99:
	s_andn2_b64 vcc, exec, s[2:3]
	s_cbranch_vccnz .LBB143_101
; %bb.100:
	global_store_dword v[2:3], v0, off
.LBB143_101:
	s_mov_b64 s[2:3], 0
.LBB143_102:
	s_andn2_b64 vcc, exec, s[2:3]
	s_cbranch_vccnz .LBB143_104
; %bb.103:
	v_cvt_f16_f32_e32 v1, v0
	global_store_short v[2:3], v1, off
.LBB143_104:
	s_mov_b64 s[2:3], 0
.LBB143_105:
	s_andn2_b64 vcc, exec, s[2:3]
	s_cbranch_vccnz .LBB143_121
; %bb.106:
	s_cmp_lt_i32 s4, 2
	s_mov_b64 s[2:3], -1
	s_cbranch_scc1 .LBB143_116
; %bb.107:
	s_cmp_lt_i32 s4, 3
	s_cbranch_scc1 .LBB143_113
; %bb.108:
	s_cmp_gt_i32 s4, 3
	s_cbranch_scc0 .LBB143_110
; %bb.109:
	v_trunc_f32_e32 v1, v0
	s_mov_b32 s2, 0x2f800000
	v_mul_f32_e64 v4, |v1|, s2
	v_floor_f32_e32 v4, v4
	s_mov_b32 s2, 0xcf800000
	v_cvt_u32_f32_e32 v5, v4
	v_fma_f32 v4, v4, s2, |v1|
	v_cvt_u32_f32_e32 v4, v4
	v_ashrrev_i32_e32 v1, 31, v1
	v_xor_b32_e32 v5, v5, v1
	s_mov_b64 s[2:3], 0
	v_xor_b32_e32 v4, v4, v1
	v_sub_co_u32_e32 v4, vcc, v4, v1
	s_nop 1
	v_subb_co_u32_e32 v5, vcc, v5, v1, vcc
	global_store_dwordx2 v[2:3], v[4:5], off
.LBB143_110:
	s_andn2_b64 vcc, exec, s[2:3]
	s_cbranch_vccnz .LBB143_112
; %bb.111:
	v_cvt_i32_f32_e32 v1, v0
	global_store_dword v[2:3], v1, off
.LBB143_112:
	s_mov_b64 s[2:3], 0
.LBB143_113:
	s_andn2_b64 vcc, exec, s[2:3]
	s_cbranch_vccnz .LBB143_115
; %bb.114:
	v_cvt_i32_f32_e32 v1, v0
	global_store_short v[2:3], v1, off
.LBB143_115:
	s_mov_b64 s[2:3], 0
.LBB143_116:
	s_andn2_b64 vcc, exec, s[2:3]
	s_cbranch_vccnz .LBB143_121
; %bb.117:
	s_cmp_gt_i32 s4, 0
	s_mov_b64 s[2:3], -1
	s_cbranch_scc0 .LBB143_119
; %bb.118:
	v_cvt_i32_f32_e32 v1, v0
	s_mov_b64 s[2:3], 0
	global_store_byte v[2:3], v1, off
.LBB143_119:
	s_andn2_b64 vcc, exec, s[2:3]
	s_cbranch_vccnz .LBB143_121
; %bb.120:
	v_trunc_f32_e32 v0, v0
	s_mov_b32 s2, 0x2f800000
	v_mul_f32_e64 v1, |v0|, s2
	v_floor_f32_e32 v1, v1
	s_mov_b32 s2, 0xcf800000
	v_fma_f32 v1, v1, s2, |v0|
	v_cvt_u32_f32_e32 v1, v1
	v_ashrrev_i32_e32 v0, 31, v0
	v_xor_b32_e32 v1, v1, v0
	v_sub_u32_e32 v0, v1, v0
	global_store_byte v[2:3], v0, off
.LBB143_121:
	s_branch .LBB143_11
.LBB143_122:
	s_mov_b64 s[2:3], 0
                                        ; implicit-def: $vgpr25
.LBB143_123:
	s_and_b64 s[38:39], s[0:1], exec
	s_orn2_b64 s[0:1], s[2:3], exec
.LBB143_124:
	s_or_b64 exec, exec, s[40:41]
	s_mov_b64 s[2:3], 0
                                        ; implicit-def: $sgpr10
                                        ; implicit-def: $vgpr2_vgpr3
                                        ; implicit-def: $vgpr0
	s_and_saveexec_b64 s[40:41], s[0:1]
	s_cbranch_execz .LBB143_133
; %bb.125:
	v_cmp_gt_i32_e32 vcc, s50, v25
	s_mov_b64 s[4:5], -1
	s_mov_b64 s[42:43], s[38:39]
	s_and_saveexec_b64 s[44:45], vcc
	s_cbranch_execz .LBB143_256
; %bb.126:
	s_getpc_b64 s[0:1]
	s_add_u32 s0, s0, _ZN2at6native6invokeIZZZNS0_17expm1_kernel_cudaERNS_18TensorIteratorBaseEENKUlvE_clEvENKUlvE2_clEvEUlN3c107complexIfEEE_i15function_traitsIS9_EEENT1_11result_typeERKT_PrKPcPKT0_PKNS6_10ScalarTypeEi@rel32@lo+4
	s_addc_u32 s1, s1, _ZN2at6native6invokeIZZZNS0_17expm1_kernel_cudaERNS_18TensorIteratorBaseEENKUlvE_clEvENKUlvE2_clEvEUlN3c107complexIfEEE_i15function_traitsIS9_EEENT1_11result_typeERKT_PrKPcPKT0_PKNS6_10ScalarTypeEi@rel32@hi+12
	v_mov_b32_e32 v0, s26
	v_mov_b32_e32 v1, s27
	;; [unrolled: 1-line block ×5, first 2 shown]
	s_swappc_b64 s[30:31], s[0:1]
	v_mul_lo_u32 v2, v25, s28
	v_ashrrev_i32_e32 v3, 31, v2
	s_and_b32 s8, s33, 0xff
	s_cmp_lt_i32 s8, 11
	v_lshl_add_u64 v[2:3], s[24:25], 0, v[2:3]
	s_cbranch_scc1 .LBB143_136
; %bb.127:
	s_and_b32 s9, 0xffff, s8
	s_cmp_gt_i32 s9, 25
	s_cbranch_scc0 .LBB143_139
; %bb.128:
	s_cmp_gt_i32 s9, 28
	s_cbranch_scc0 .LBB143_140
; %bb.129:
	;; [unrolled: 3-line block ×4, first 2 shown]
	s_mov_b64 s[4:5], 0
	s_mov_b64 s[0:1], -1
	s_cmp_eq_u32 s9, 46
	s_mov_b64 s[2:3], 0
	s_cbranch_scc0 .LBB143_147
; %bb.132:
	s_movk_i32 s0, 0x7fff
	v_bfe_u32 v5, v1, 16, 1
	v_add3_u32 v5, v1, v5, s0
	v_bfe_u32 v4, v0, 16, 1
	v_and_b32_e32 v5, 0xffff0000, v5
	v_mov_b32_e32 v6, 0x7fc00000
	v_cmp_o_f32_e32 vcc, v1, v1
	v_add3_u32 v4, v0, v4, s0
	s_mov_b64 s[2:3], -1
	v_cndmask_b32_e32 v5, v6, v5, vcc
	v_cmp_o_f32_e32 vcc, v0, v0
	v_mov_b32_e32 v6, 0x7fc0
	s_mov_b64 s[0:1], 0
	v_cndmask_b32_sdwa v4, v6, v4, vcc dst_sel:DWORD dst_unused:UNUSED_PAD src0_sel:DWORD src1_sel:WORD_1
	v_or_b32_e32 v4, v5, v4
	global_store_dword v[2:3], v4, off
	s_branch .LBB143_147
.LBB143_133:
	s_or_b64 exec, exec, s[40:41]
	s_mov_b64 s[0:1], 0
	s_and_saveexec_b64 s[4:5], s[38:39]
	s_cbranch_execnz .LBB143_472
.LBB143_134:
	s_or_b64 exec, exec, s[4:5]
	s_and_saveexec_b64 s[4:5], s[44:45]
	s_xor_b64 s[4:5], exec, s[4:5]
	s_cbranch_execz .LBB143_473
.LBB143_135:
	s_brev_b32 s6, -2
	v_bitop3_b32 v4, v0, s6, v1 bitop3:0xc8
	v_cmp_ne_u32_e32 vcc, 0, v4
	s_nop 1
	v_cndmask_b32_e64 v4, 0, 1, vcc
	global_store_byte v[2:3], v4, off
	s_or_b64 exec, exec, s[4:5]
	s_and_saveexec_b64 s[4:5], s[2:3]
	s_xor_b64 s[2:3], exec, s[4:5]
	s_cbranch_execz .LBB143_511
	s_branch .LBB143_474
.LBB143_136:
	s_mov_b64 s[2:3], 0
	s_mov_b64 s[0:1], s[38:39]
	s_cbranch_execnz .LBB143_216
.LBB143_137:
	s_andn2_b64 vcc, exec, s[2:3]
	s_cbranch_vccnz .LBB143_254
.LBB143_138:
	v_add_u32_e32 v25, 0x80, v25
	s_mov_b64 s[2:3], -1
	s_branch .LBB143_255
.LBB143_139:
	s_mov_b64 s[4:5], -1
	s_mov_b64 s[2:3], 0
	s_mov_b64 s[0:1], s[38:39]
	s_branch .LBB143_174
.LBB143_140:
	s_mov_b64 s[4:5], -1
	s_mov_b64 s[2:3], 0
	s_mov_b64 s[0:1], s[38:39]
	s_branch .LBB143_157
.LBB143_141:
	s_andn2_saveexec_b64 s[6:7], s[6:7]
	s_cbranch_execz .LBB143_37
.LBB143_142:
	s_mov_b32 s10, 0x46000000
	v_add_f32_e64 v4, |v0|, s10
	v_and_b32_e32 v4, 0xff, v4
	v_cmp_ne_u32_e32 vcc, 0, v4
	s_andn2_b64 s[4:5], s[4:5], exec
	s_and_b64 s[10:11], vcc, exec
	s_or_b64 s[4:5], s[4:5], s[10:11]
	s_or_b64 exec, exec, s[6:7]
	v_mov_b32_e32 v5, 0
	s_and_saveexec_b64 s[6:7], s[4:5]
	s_cbranch_execnz .LBB143_38
	s_branch .LBB143_39
.LBB143_143:
	s_mov_b64 s[4:5], -1
	s_mov_b64 s[2:3], 0
	s_mov_b64 s[0:1], s[38:39]
	s_branch .LBB143_153
.LBB143_144:
	s_andn2_saveexec_b64 s[6:7], s[6:7]
	s_cbranch_execz .LBB143_49
.LBB143_145:
	s_mov_b32 s10, 0x42800000
	v_add_f32_e64 v4, |v0|, s10
	v_and_b32_e32 v4, 0xff, v4
	v_cmp_ne_u32_e32 vcc, 0, v4
	s_andn2_b64 s[4:5], s[4:5], exec
	s_and_b64 s[10:11], vcc, exec
	s_or_b64 s[4:5], s[4:5], s[10:11]
	s_or_b64 exec, exec, s[6:7]
	v_mov_b32_e32 v5, 0
	s_and_saveexec_b64 s[6:7], s[4:5]
	s_cbranch_execnz .LBB143_50
	s_branch .LBB143_51
.LBB143_146:
	s_mov_b64 s[4:5], -1
	s_mov_b64 s[2:3], 0
	s_mov_b64 s[0:1], s[38:39]
.LBB143_147:
	s_and_b64 vcc, exec, s[4:5]
	s_cbranch_vccz .LBB143_152
; %bb.148:
	s_cmp_eq_u32 s9, 44
	s_mov_b64 s[0:1], -1
	s_cbranch_scc0 .LBB143_152
; %bb.149:
	v_bfe_u32 v4, v0, 23, 8
	s_movk_i32 s0, 0xff
	v_cmp_ne_u32_e32 vcc, s0, v4
	v_mov_b32_e32 v5, 0xff
	s_and_saveexec_b64 s[2:3], vcc
; %bb.150:
	s_mov_b32 s0, 0x3fffff
	v_and_b32_e32 v6, 0x400000, v0
	v_and_or_b32 v4, v0, s0, v4
	v_cmp_ne_u32_e32 vcc, 0, v6
	v_cmp_ne_u32_e64 s[0:1], 0, v4
	s_and_b64 s[0:1], vcc, s[0:1]
	v_lshrrev_b32_e32 v5, 23, v0
	v_cndmask_b32_e64 v4, 0, 1, s[0:1]
	v_add_u32_e32 v5, v5, v4
; %bb.151:
	s_or_b64 exec, exec, s[2:3]
	s_mov_b64 s[2:3], -1
	s_mov_b64 s[0:1], 0
	global_store_byte v[2:3], v5, off
.LBB143_152:
	s_mov_b64 s[4:5], 0
.LBB143_153:
	s_and_b64 vcc, exec, s[4:5]
	s_cbranch_vccz .LBB143_156
; %bb.154:
	s_cmp_eq_u32 s9, 29
	s_mov_b64 s[0:1], -1
	s_cbranch_scc0 .LBB143_156
; %bb.155:
	v_trunc_f32_e32 v4, v0
	v_mul_f32_e32 v5, 0x2f800000, v4
	v_floor_f32_e32 v6, v5
	v_fmamk_f32 v4, v6, 0xcf800000, v4
	v_cvt_u32_f32_e32 v5, v6
	v_cvt_u32_f32_e32 v4, v4
	s_mov_b64 s[2:3], -1
	s_mov_b64 s[0:1], 0
	s_mov_b64 s[4:5], 0
	global_store_dwordx2 v[2:3], v[4:5], off
	s_branch .LBB143_157
.LBB143_156:
	s_mov_b64 s[4:5], 0
.LBB143_157:
	s_and_b64 vcc, exec, s[4:5]
	s_cbranch_vccz .LBB143_173
; %bb.158:
	s_cmp_lt_i32 s9, 27
	s_mov_b64 s[2:3], -1
	s_cbranch_scc1 .LBB143_164
; %bb.159:
	v_cvt_u32_f32_e32 v4, v0
	s_cmp_gt_i32 s9, 27
	s_cbranch_scc0 .LBB143_161
; %bb.160:
	s_mov_b64 s[2:3], 0
	global_store_dword v[2:3], v4, off
.LBB143_161:
	s_andn2_b64 vcc, exec, s[2:3]
	s_cbranch_vccnz .LBB143_163
; %bb.162:
	global_store_short v[2:3], v4, off
.LBB143_163:
	s_mov_b64 s[2:3], 0
.LBB143_164:
	s_andn2_b64 vcc, exec, s[2:3]
	s_cbranch_vccnz .LBB143_172
; %bb.165:
	v_and_b32_e32 v4, 0x7fffffff, v0
	s_mov_b32 s2, 0x43800000
	v_cmp_gt_u32_e32 vcc, s2, v4
	v_mov_b32_e32 v5, 0x80
	s_and_saveexec_b64 s[2:3], vcc
	s_cbranch_execz .LBB143_171
; %bb.166:
	s_mov_b32 s4, 0x3bffffff
	v_cmp_lt_u32_e32 vcc, s4, v4
	s_mov_b64 s[4:5], 0
                                        ; implicit-def: $vgpr4
	s_and_saveexec_b64 s[6:7], vcc
	s_xor_b64 s[6:7], exec, s[6:7]
	s_cbranch_execz .LBB143_268
; %bb.167:
	v_bfe_u32 v4, v0, 20, 1
	s_mov_b32 s10, 0x487ffff
	v_add3_u32 v4, v0, v4, s10
	s_mov_b64 s[4:5], exec
	v_lshrrev_b32_e32 v4, 20, v4
	s_andn2_saveexec_b64 s[6:7], s[6:7]
	s_cbranch_execnz .LBB143_269
.LBB143_168:
	s_or_b64 exec, exec, s[6:7]
	v_mov_b32_e32 v5, 0
	s_and_saveexec_b64 s[6:7], s[4:5]
.LBB143_169:
	v_lshrrev_b32_e32 v5, 24, v0
	s_movk_i32 s4, 0x80
	v_and_or_b32 v5, v5, s4, v4
.LBB143_170:
	s_or_b64 exec, exec, s[6:7]
.LBB143_171:
	s_or_b64 exec, exec, s[2:3]
	global_store_byte v[2:3], v5, off
.LBB143_172:
	s_mov_b64 s[2:3], -1
.LBB143_173:
	s_mov_b64 s[4:5], 0
.LBB143_174:
	s_and_b64 vcc, exec, s[4:5]
	s_cbranch_vccz .LBB143_215
; %bb.175:
	s_cmp_gt_i32 s9, 22
	s_mov_b64 s[4:5], -1
	s_cbranch_scc0 .LBB143_207
; %bb.176:
	s_cmp_lt_i32 s9, 24
	s_mov_b64 s[2:3], -1
	s_cbranch_scc1 .LBB143_196
; %bb.177:
	s_cmp_gt_i32 s9, 24
	s_cbranch_scc0 .LBB143_185
; %bb.178:
	v_and_b32_e32 v4, 0x7fffffff, v0
	s_mov_b32 s2, 0x47800000
	v_cmp_gt_u32_e32 vcc, s2, v4
	v_mov_b32_e32 v5, 0x80
	s_and_saveexec_b64 s[2:3], vcc
	s_cbranch_execz .LBB143_184
; %bb.179:
	s_mov_b32 s4, 0x37ffffff
	v_cmp_lt_u32_e32 vcc, s4, v4
	s_mov_b64 s[4:5], 0
                                        ; implicit-def: $vgpr4
	s_and_saveexec_b64 s[6:7], vcc
	s_xor_b64 s[6:7], exec, s[6:7]
	s_cbranch_execz .LBB143_271
; %bb.180:
	v_bfe_u32 v4, v0, 21, 1
	s_mov_b32 s10, 0x88fffff
	v_add3_u32 v4, v0, v4, s10
	s_mov_b64 s[4:5], exec
	v_lshrrev_b32_e32 v4, 21, v4
	s_andn2_saveexec_b64 s[6:7], s[6:7]
	s_cbranch_execnz .LBB143_272
.LBB143_181:
	s_or_b64 exec, exec, s[6:7]
	v_mov_b32_e32 v5, 0
	s_and_saveexec_b64 s[6:7], s[4:5]
.LBB143_182:
	v_lshrrev_b32_e32 v5, 24, v0
	s_movk_i32 s4, 0x80
	v_and_or_b32 v5, v5, s4, v4
.LBB143_183:
	s_or_b64 exec, exec, s[6:7]
.LBB143_184:
	s_or_b64 exec, exec, s[2:3]
	s_mov_b64 s[2:3], 0
	global_store_byte v[2:3], v5, off
.LBB143_185:
	s_and_b64 vcc, exec, s[2:3]
	s_cbranch_vccz .LBB143_195
; %bb.186:
	v_and_b32_e32 v5, 0x7fffffff, v0
	s_mov_b32 s2, 0x43f00000
	v_cmp_gt_u32_e32 vcc, s2, v5
                                        ; implicit-def: $vgpr4
	s_and_saveexec_b64 s[2:3], vcc
	s_xor_b64 s[2:3], exec, s[2:3]
	s_cbranch_execz .LBB143_192
; %bb.187:
	s_mov_b32 s4, 0x3c7fffff
	v_cmp_lt_u32_e32 vcc, s4, v5
                                        ; implicit-def: $vgpr4
	s_and_saveexec_b64 s[4:5], vcc
	s_xor_b64 s[4:5], exec, s[4:5]
; %bb.188:
	v_bfe_u32 v4, v0, 20, 1
	s_mov_b32 s6, 0x407ffff
	v_add3_u32 v4, v0, v4, s6
	v_lshrrev_b32_e32 v5, 20, v4
	v_and_b32_e32 v4, 0xff00000, v4
	s_mov_b32 s6, 0x7f00000
	v_mov_b32_e32 v6, 0x7e
	v_cmp_ne_u32_e32 vcc, s6, v4
	s_nop 1
	v_cndmask_b32_e32 v4, v6, v5, vcc
; %bb.189:
	s_andn2_saveexec_b64 s[4:5], s[4:5]
; %bb.190:
	s_mov_b32 s6, 0x46800000
	v_add_f32_e64 v4, |v0|, s6
; %bb.191:
	s_or_b64 exec, exec, s[4:5]
                                        ; implicit-def: $vgpr5
.LBB143_192:
	s_andn2_saveexec_b64 s[2:3], s[2:3]
; %bb.193:
	s_mov_b32 s4, 0x7f800000
	v_mov_b32_e32 v4, 0x7e
	v_mov_b32_e32 v6, 0x7f
	v_cmp_lt_u32_e32 vcc, s4, v5
	s_nop 1
	v_cndmask_b32_e32 v4, v4, v6, vcc
; %bb.194:
	s_or_b64 exec, exec, s[2:3]
	v_lshrrev_b32_e32 v5, 24, v0
	s_movk_i32 s2, 0x80
	v_and_or_b32 v4, v5, s2, v4
	global_store_byte v[2:3], v4, off
.LBB143_195:
	s_mov_b64 s[2:3], 0
.LBB143_196:
	s_andn2_b64 vcc, exec, s[2:3]
	s_cbranch_vccnz .LBB143_206
; %bb.197:
	v_and_b32_e32 v5, 0x7fffffff, v0
	s_mov_b32 s2, 0x47800000
	v_cmp_gt_u32_e32 vcc, s2, v5
                                        ; implicit-def: $vgpr4
	s_and_saveexec_b64 s[2:3], vcc
	s_xor_b64 s[2:3], exec, s[2:3]
	s_cbranch_execz .LBB143_203
; %bb.198:
	s_mov_b32 s4, 0x387fffff
	v_cmp_lt_u32_e32 vcc, s4, v5
                                        ; implicit-def: $vgpr4
	s_and_saveexec_b64 s[4:5], vcc
	s_xor_b64 s[4:5], exec, s[4:5]
; %bb.199:
	v_bfe_u32 v4, v0, 21, 1
	s_mov_b32 s6, 0x80fffff
	v_add3_u32 v4, v0, v4, s6
	v_lshrrev_b32_e32 v4, 21, v4
; %bb.200:
	s_andn2_saveexec_b64 s[4:5], s[4:5]
; %bb.201:
	s_mov_b32 s6, 0x43000000
	v_add_f32_e64 v4, |v0|, s6
; %bb.202:
	s_or_b64 exec, exec, s[4:5]
                                        ; implicit-def: $vgpr5
.LBB143_203:
	s_andn2_saveexec_b64 s[2:3], s[2:3]
; %bb.204:
	s_mov_b32 s4, 0x7f800000
	v_mov_b32_e32 v4, 0x7c
	v_mov_b32_e32 v6, 0x7f
	v_cmp_lt_u32_e32 vcc, s4, v5
	s_nop 1
	v_cndmask_b32_e32 v4, v4, v6, vcc
; %bb.205:
	s_or_b64 exec, exec, s[2:3]
	v_lshrrev_b32_e32 v5, 24, v0
	s_movk_i32 s2, 0x80
	v_and_or_b32 v4, v5, s2, v4
	global_store_byte v[2:3], v4, off
.LBB143_206:
	s_mov_b64 s[4:5], 0
	s_mov_b64 s[2:3], -1
.LBB143_207:
	s_andn2_b64 vcc, exec, s[4:5]
	s_cbranch_vccnz .LBB143_215
; %bb.208:
	s_cmp_gt_i32 s9, 14
	s_mov_b64 s[4:5], -1
	s_cbranch_scc0 .LBB143_212
; %bb.209:
	s_cmp_eq_u32 s9, 15
	s_mov_b64 s[0:1], -1
	s_cbranch_scc0 .LBB143_211
; %bb.210:
	v_bfe_u32 v4, v0, 16, 1
	s_movk_i32 s0, 0x7fff
	v_add3_u32 v4, v0, v4, s0
	v_cmp_o_f32_e32 vcc, v0, v0
	v_mov_b32_e32 v5, 0x7fc0
	s_mov_b64 s[2:3], -1
	v_cndmask_b32_sdwa v4, v5, v4, vcc dst_sel:DWORD dst_unused:UNUSED_PAD src0_sel:DWORD src1_sel:WORD_1
	global_store_short v[2:3], v4, off
	s_mov_b64 s[0:1], 0
.LBB143_211:
	s_mov_b64 s[4:5], 0
.LBB143_212:
	s_and_b64 vcc, exec, s[4:5]
	s_cbranch_vccz .LBB143_215
; %bb.213:
	s_cmp_eq_u32 s9, 11
	s_mov_b64 s[0:1], -1
	s_cbranch_scc0 .LBB143_215
; %bb.214:
	s_brev_b32 s0, -2
	v_bitop3_b32 v4, v0, s0, v1 bitop3:0xc8
	v_cmp_ne_u32_e32 vcc, 0, v4
	s_mov_b64 s[2:3], -1
	s_mov_b64 s[0:1], 0
	v_cndmask_b32_e64 v4, 0, 1, vcc
	global_store_byte v[2:3], v4, off
.LBB143_215:
	s_branch .LBB143_137
.LBB143_216:
	s_and_b32 s4, 0xffff, s8
	s_cmp_lt_i32 s4, 5
	s_mov_b64 s[2:3], -1
	s_cbranch_scc1 .LBB143_237
; %bb.217:
	s_cmp_lt_i32 s4, 8
	s_cbranch_scc1 .LBB143_227
; %bb.218:
	s_cmp_lt_i32 s4, 9
	s_cbranch_scc1 .LBB143_224
; %bb.219:
	s_cmp_gt_i32 s4, 9
	s_cbranch_scc0 .LBB143_221
; %bb.220:
	v_cvt_f64_f32_e32 v[4:5], v0
	v_cvt_f64_f32_e32 v[6:7], v1
	s_mov_b64 s[2:3], 0
	global_store_dwordx4 v[2:3], v[4:7], off
.LBB143_221:
	s_andn2_b64 vcc, exec, s[2:3]
	s_cbranch_vccnz .LBB143_223
; %bb.222:
	global_store_dwordx2 v[2:3], v[0:1], off
.LBB143_223:
	s_mov_b64 s[2:3], 0
.LBB143_224:
	s_andn2_b64 vcc, exec, s[2:3]
	s_cbranch_vccnz .LBB143_226
; %bb.225:
	v_cvt_f16_f32_e32 v4, v0
	v_cvt_f16_f32_sdwa v1, v1 dst_sel:WORD_1 dst_unused:UNUSED_PAD src0_sel:DWORD
	s_nop 0
	v_or_b32_e32 v1, v1, v4
	global_store_dword v[2:3], v1, off
.LBB143_226:
	s_mov_b64 s[2:3], 0
.LBB143_227:
	s_andn2_b64 vcc, exec, s[2:3]
	s_cbranch_vccnz .LBB143_236
; %bb.228:
	s_cmp_lt_i32 s4, 6
	s_mov_b64 s[2:3], -1
	s_cbranch_scc1 .LBB143_234
; %bb.229:
	s_cmp_gt_i32 s4, 6
	s_cbranch_scc0 .LBB143_231
; %bb.230:
	v_cvt_f64_f32_e32 v[4:5], v0
	s_mov_b64 s[2:3], 0
	global_store_dwordx2 v[2:3], v[4:5], off
.LBB143_231:
	s_andn2_b64 vcc, exec, s[2:3]
	s_cbranch_vccnz .LBB143_233
; %bb.232:
	global_store_dword v[2:3], v0, off
.LBB143_233:
	s_mov_b64 s[2:3], 0
.LBB143_234:
	s_andn2_b64 vcc, exec, s[2:3]
	s_cbranch_vccnz .LBB143_236
; %bb.235:
	v_cvt_f16_f32_e32 v1, v0
	global_store_short v[2:3], v1, off
.LBB143_236:
	s_mov_b64 s[2:3], 0
.LBB143_237:
	s_andn2_b64 vcc, exec, s[2:3]
	s_cbranch_vccnz .LBB143_253
; %bb.238:
	s_cmp_lt_i32 s4, 2
	s_mov_b64 s[2:3], -1
	s_cbranch_scc1 .LBB143_248
; %bb.239:
	s_cmp_lt_i32 s4, 3
	s_cbranch_scc1 .LBB143_245
; %bb.240:
	s_cmp_gt_i32 s4, 3
	s_cbranch_scc0 .LBB143_242
; %bb.241:
	v_trunc_f32_e32 v1, v0
	s_mov_b32 s2, 0x2f800000
	v_mul_f32_e64 v4, |v1|, s2
	v_floor_f32_e32 v4, v4
	s_mov_b32 s2, 0xcf800000
	v_cvt_u32_f32_e32 v5, v4
	v_fma_f32 v4, v4, s2, |v1|
	v_cvt_u32_f32_e32 v4, v4
	v_ashrrev_i32_e32 v1, 31, v1
	v_xor_b32_e32 v5, v5, v1
	s_mov_b64 s[2:3], 0
	v_xor_b32_e32 v4, v4, v1
	v_sub_co_u32_e32 v4, vcc, v4, v1
	s_nop 1
	v_subb_co_u32_e32 v5, vcc, v5, v1, vcc
	global_store_dwordx2 v[2:3], v[4:5], off
.LBB143_242:
	s_andn2_b64 vcc, exec, s[2:3]
	s_cbranch_vccnz .LBB143_244
; %bb.243:
	v_cvt_i32_f32_e32 v1, v0
	global_store_dword v[2:3], v1, off
.LBB143_244:
	s_mov_b64 s[2:3], 0
.LBB143_245:
	s_andn2_b64 vcc, exec, s[2:3]
	s_cbranch_vccnz .LBB143_247
; %bb.246:
	v_cvt_i32_f32_e32 v1, v0
	global_store_short v[2:3], v1, off
.LBB143_247:
	s_mov_b64 s[2:3], 0
.LBB143_248:
	s_andn2_b64 vcc, exec, s[2:3]
	s_cbranch_vccnz .LBB143_253
; %bb.249:
	s_cmp_gt_i32 s4, 0
	s_mov_b64 s[2:3], -1
	s_cbranch_scc0 .LBB143_251
; %bb.250:
	v_cvt_i32_f32_e32 v1, v0
	s_mov_b64 s[2:3], 0
	global_store_byte v[2:3], v1, off
.LBB143_251:
	s_andn2_b64 vcc, exec, s[2:3]
	s_cbranch_vccnz .LBB143_253
; %bb.252:
	v_trunc_f32_e32 v0, v0
	s_mov_b32 s2, 0x2f800000
	v_mul_f32_e64 v1, |v0|, s2
	v_floor_f32_e32 v1, v1
	s_mov_b32 s2, 0xcf800000
	v_fma_f32 v1, v1, s2, |v0|
	v_cvt_u32_f32_e32 v1, v1
	v_ashrrev_i32_e32 v0, 31, v0
	v_xor_b32_e32 v1, v1, v0
	v_sub_u32_e32 v0, v1, v0
	global_store_byte v[2:3], v0, off
.LBB143_253:
	s_branch .LBB143_138
.LBB143_254:
	s_mov_b64 s[2:3], 0
                                        ; implicit-def: $vgpr25
.LBB143_255:
	s_andn2_b64 s[4:5], s[38:39], exec
	s_and_b64 s[0:1], s[0:1], exec
	s_or_b64 s[42:43], s[4:5], s[0:1]
	s_orn2_b64 s[4:5], s[2:3], exec
.LBB143_256:
	s_or_b64 exec, exec, s[44:45]
	s_mov_b64 s[0:1], 0
	s_mov_b64 s[2:3], 0
                                        ; implicit-def: $sgpr10
                                        ; implicit-def: $vgpr2_vgpr3
                                        ; implicit-def: $vgpr0
	s_and_saveexec_b64 s[44:45], s[4:5]
	s_cbranch_execz .LBB143_471
; %bb.257:
	v_cmp_gt_i32_e32 vcc, s50, v25
	s_mov_b64 s[2:3], -1
	s_mov_b64 s[48:49], s[42:43]
	s_and_saveexec_b64 s[46:47], vcc
	s_cbranch_execz .LBB143_386
; %bb.258:
	s_getpc_b64 s[0:1]
	s_add_u32 s0, s0, _ZN2at6native6invokeIZZZNS0_17expm1_kernel_cudaERNS_18TensorIteratorBaseEENKUlvE_clEvENKUlvE2_clEvEUlN3c107complexIfEEE_i15function_traitsIS9_EEENT1_11result_typeERKT_PrKPcPKT0_PKNS6_10ScalarTypeEi@rel32@lo+4
	s_addc_u32 s1, s1, _ZN2at6native6invokeIZZZNS0_17expm1_kernel_cudaERNS_18TensorIteratorBaseEENKUlvE_clEvENKUlvE2_clEvEUlN3c107complexIfEEE_i15function_traitsIS9_EEENT1_11result_typeERKT_PrKPcPKT0_PKNS6_10ScalarTypeEi@rel32@hi+12
	v_mov_b32_e32 v0, s26
	v_mov_b32_e32 v1, s27
	;; [unrolled: 1-line block ×5, first 2 shown]
	s_swappc_b64 s[30:31], s[0:1]
	v_mul_lo_u32 v2, v25, s28
	v_ashrrev_i32_e32 v3, 31, v2
	s_and_b32 s8, s33, 0xff
	s_cmp_lt_i32 s8, 11
	v_lshl_add_u64 v[2:3], s[24:25], 0, v[2:3]
	s_cbranch_scc1 .LBB143_265
; %bb.259:
	s_and_b32 s9, 0xffff, s8
	s_cmp_gt_i32 s9, 25
	s_cbranch_scc0 .LBB143_266
; %bb.260:
	s_cmp_gt_i32 s9, 28
	s_cbranch_scc0 .LBB143_267
; %bb.261:
	;; [unrolled: 3-line block ×4, first 2 shown]
	s_mov_b64 s[4:5], 0
	s_mov_b64 s[0:1], -1
	s_cmp_eq_u32 s9, 46
	s_mov_b64 s[2:3], 0
	s_cbranch_scc0 .LBB143_274
; %bb.264:
	s_movk_i32 s0, 0x7fff
	v_bfe_u32 v5, v1, 16, 1
	v_add3_u32 v5, v1, v5, s0
	v_bfe_u32 v4, v0, 16, 1
	v_and_b32_e32 v5, 0xffff0000, v5
	v_mov_b32_e32 v6, 0x7fc00000
	v_cmp_o_f32_e32 vcc, v1, v1
	v_add3_u32 v4, v0, v4, s0
	s_mov_b64 s[2:3], -1
	v_cndmask_b32_e32 v5, v6, v5, vcc
	v_cmp_o_f32_e32 vcc, v0, v0
	v_mov_b32_e32 v6, 0x7fc0
	s_mov_b64 s[0:1], 0
	v_cndmask_b32_sdwa v4, v6, v4, vcc dst_sel:DWORD dst_unused:UNUSED_PAD src0_sel:DWORD src1_sel:WORD_1
	v_or_b32_e32 v4, v5, v4
	global_store_dword v[2:3], v4, off
	s_branch .LBB143_274
.LBB143_265:
	s_mov_b64 s[4:5], -1
	s_mov_b64 s[2:3], 0
	s_mov_b64 s[0:1], s[42:43]
	s_branch .LBB143_343
.LBB143_266:
	s_mov_b64 s[4:5], -1
	s_mov_b64 s[2:3], 0
	s_mov_b64 s[0:1], s[42:43]
	s_branch .LBB143_301
.LBB143_267:
	s_mov_b64 s[4:5], -1
	s_mov_b64 s[2:3], 0
	s_mov_b64 s[0:1], s[42:43]
	s_branch .LBB143_284
.LBB143_268:
	s_andn2_saveexec_b64 s[6:7], s[6:7]
	s_cbranch_execz .LBB143_168
.LBB143_269:
	s_mov_b32 s10, 0x46000000
	v_add_f32_e64 v4, |v0|, s10
	v_and_b32_e32 v4, 0xff, v4
	v_cmp_ne_u32_e32 vcc, 0, v4
	s_andn2_b64 s[4:5], s[4:5], exec
	s_and_b64 s[10:11], vcc, exec
	s_or_b64 s[4:5], s[4:5], s[10:11]
	s_or_b64 exec, exec, s[6:7]
	v_mov_b32_e32 v5, 0
	s_and_saveexec_b64 s[6:7], s[4:5]
	s_cbranch_execnz .LBB143_169
	s_branch .LBB143_170
.LBB143_270:
	s_mov_b64 s[4:5], -1
	s_mov_b64 s[2:3], 0
	s_mov_b64 s[0:1], s[42:43]
	s_branch .LBB143_280
.LBB143_271:
	s_andn2_saveexec_b64 s[6:7], s[6:7]
	s_cbranch_execz .LBB143_181
.LBB143_272:
	s_mov_b32 s10, 0x42800000
	v_add_f32_e64 v4, |v0|, s10
	v_and_b32_e32 v4, 0xff, v4
	v_cmp_ne_u32_e32 vcc, 0, v4
	s_andn2_b64 s[4:5], s[4:5], exec
	s_and_b64 s[10:11], vcc, exec
	s_or_b64 s[4:5], s[4:5], s[10:11]
	s_or_b64 exec, exec, s[6:7]
	v_mov_b32_e32 v5, 0
	s_and_saveexec_b64 s[6:7], s[4:5]
	s_cbranch_execnz .LBB143_182
	s_branch .LBB143_183
.LBB143_273:
	s_mov_b64 s[4:5], -1
	s_mov_b64 s[2:3], 0
	s_mov_b64 s[0:1], s[42:43]
.LBB143_274:
	s_and_b64 vcc, exec, s[4:5]
	s_cbranch_vccz .LBB143_279
; %bb.275:
	s_cmp_eq_u32 s9, 44
	s_mov_b64 s[0:1], -1
	s_cbranch_scc0 .LBB143_279
; %bb.276:
	v_bfe_u32 v4, v0, 23, 8
	s_movk_i32 s0, 0xff
	v_cmp_ne_u32_e32 vcc, s0, v4
	v_mov_b32_e32 v5, 0xff
	s_and_saveexec_b64 s[2:3], vcc
; %bb.277:
	s_mov_b32 s0, 0x3fffff
	v_and_b32_e32 v6, 0x400000, v0
	v_and_or_b32 v4, v0, s0, v4
	v_cmp_ne_u32_e32 vcc, 0, v6
	v_cmp_ne_u32_e64 s[0:1], 0, v4
	s_and_b64 s[0:1], vcc, s[0:1]
	v_lshrrev_b32_e32 v5, 23, v0
	v_cndmask_b32_e64 v4, 0, 1, s[0:1]
	v_add_u32_e32 v5, v5, v4
; %bb.278:
	s_or_b64 exec, exec, s[2:3]
	s_mov_b64 s[2:3], -1
	s_mov_b64 s[0:1], 0
	global_store_byte v[2:3], v5, off
.LBB143_279:
	s_mov_b64 s[4:5], 0
.LBB143_280:
	s_and_b64 vcc, exec, s[4:5]
	s_cbranch_vccz .LBB143_283
; %bb.281:
	s_cmp_eq_u32 s9, 29
	s_mov_b64 s[0:1], -1
	s_cbranch_scc0 .LBB143_283
; %bb.282:
	v_trunc_f32_e32 v4, v0
	v_mul_f32_e32 v5, 0x2f800000, v4
	v_floor_f32_e32 v6, v5
	v_fmamk_f32 v4, v6, 0xcf800000, v4
	v_cvt_u32_f32_e32 v5, v6
	v_cvt_u32_f32_e32 v4, v4
	s_mov_b64 s[2:3], -1
	s_mov_b64 s[0:1], 0
	s_mov_b64 s[4:5], 0
	global_store_dwordx2 v[2:3], v[4:5], off
	s_branch .LBB143_284
.LBB143_283:
	s_mov_b64 s[4:5], 0
.LBB143_284:
	s_and_b64 vcc, exec, s[4:5]
	s_cbranch_vccz .LBB143_300
; %bb.285:
	s_cmp_lt_i32 s9, 27
	s_mov_b64 s[2:3], -1
	s_cbranch_scc1 .LBB143_291
; %bb.286:
	v_cvt_u32_f32_e32 v4, v0
	s_cmp_gt_i32 s9, 27
	s_cbranch_scc0 .LBB143_288
; %bb.287:
	s_mov_b64 s[2:3], 0
	global_store_dword v[2:3], v4, off
.LBB143_288:
	s_andn2_b64 vcc, exec, s[2:3]
	s_cbranch_vccnz .LBB143_290
; %bb.289:
	global_store_short v[2:3], v4, off
.LBB143_290:
	s_mov_b64 s[2:3], 0
.LBB143_291:
	s_andn2_b64 vcc, exec, s[2:3]
	s_cbranch_vccnz .LBB143_299
; %bb.292:
	v_and_b32_e32 v4, 0x7fffffff, v0
	s_mov_b32 s2, 0x43800000
	v_cmp_gt_u32_e32 vcc, s2, v4
	v_mov_b32_e32 v5, 0x80
	s_and_saveexec_b64 s[2:3], vcc
	s_cbranch_execz .LBB143_298
; %bb.293:
	s_mov_b32 s4, 0x3bffffff
	v_cmp_lt_u32_e32 vcc, s4, v4
	s_mov_b64 s[4:5], 0
                                        ; implicit-def: $vgpr4
	s_and_saveexec_b64 s[6:7], vcc
	s_xor_b64 s[6:7], exec, s[6:7]
	s_cbranch_execz .LBB143_396
; %bb.294:
	v_bfe_u32 v4, v0, 20, 1
	s_mov_b32 s10, 0x487ffff
	v_add3_u32 v4, v0, v4, s10
	s_mov_b64 s[4:5], exec
	v_lshrrev_b32_e32 v4, 20, v4
	s_andn2_saveexec_b64 s[6:7], s[6:7]
	s_cbranch_execnz .LBB143_397
.LBB143_295:
	s_or_b64 exec, exec, s[6:7]
	v_mov_b32_e32 v5, 0
	s_and_saveexec_b64 s[6:7], s[4:5]
.LBB143_296:
	v_lshrrev_b32_e32 v5, 24, v0
	s_movk_i32 s4, 0x80
	v_and_or_b32 v5, v5, s4, v4
.LBB143_297:
	s_or_b64 exec, exec, s[6:7]
.LBB143_298:
	s_or_b64 exec, exec, s[2:3]
	global_store_byte v[2:3], v5, off
.LBB143_299:
	s_mov_b64 s[2:3], -1
.LBB143_300:
	s_mov_b64 s[4:5], 0
.LBB143_301:
	s_and_b64 vcc, exec, s[4:5]
	s_cbranch_vccz .LBB143_342
; %bb.302:
	s_cmp_gt_i32 s9, 22
	s_mov_b64 s[4:5], -1
	s_cbranch_scc0 .LBB143_334
; %bb.303:
	s_cmp_lt_i32 s9, 24
	s_mov_b64 s[2:3], -1
	s_cbranch_scc1 .LBB143_323
; %bb.304:
	s_cmp_gt_i32 s9, 24
	s_cbranch_scc0 .LBB143_312
; %bb.305:
	v_and_b32_e32 v4, 0x7fffffff, v0
	s_mov_b32 s2, 0x47800000
	v_cmp_gt_u32_e32 vcc, s2, v4
	v_mov_b32_e32 v5, 0x80
	s_and_saveexec_b64 s[2:3], vcc
	s_cbranch_execz .LBB143_311
; %bb.306:
	s_mov_b32 s4, 0x37ffffff
	v_cmp_lt_u32_e32 vcc, s4, v4
	s_mov_b64 s[4:5], 0
                                        ; implicit-def: $vgpr4
	s_and_saveexec_b64 s[6:7], vcc
	s_xor_b64 s[6:7], exec, s[6:7]
	s_cbranch_execz .LBB143_398
; %bb.307:
	v_bfe_u32 v4, v0, 21, 1
	s_mov_b32 s10, 0x88fffff
	v_add3_u32 v4, v0, v4, s10
	s_mov_b64 s[4:5], exec
	v_lshrrev_b32_e32 v4, 21, v4
	s_andn2_saveexec_b64 s[6:7], s[6:7]
	s_cbranch_execnz .LBB143_399
.LBB143_308:
	s_or_b64 exec, exec, s[6:7]
	v_mov_b32_e32 v5, 0
	s_and_saveexec_b64 s[6:7], s[4:5]
.LBB143_309:
	v_lshrrev_b32_e32 v5, 24, v0
	s_movk_i32 s4, 0x80
	v_and_or_b32 v5, v5, s4, v4
.LBB143_310:
	s_or_b64 exec, exec, s[6:7]
.LBB143_311:
	s_or_b64 exec, exec, s[2:3]
	s_mov_b64 s[2:3], 0
	global_store_byte v[2:3], v5, off
.LBB143_312:
	s_and_b64 vcc, exec, s[2:3]
	s_cbranch_vccz .LBB143_322
; %bb.313:
	v_and_b32_e32 v5, 0x7fffffff, v0
	s_mov_b32 s2, 0x43f00000
	v_cmp_gt_u32_e32 vcc, s2, v5
                                        ; implicit-def: $vgpr4
	s_and_saveexec_b64 s[2:3], vcc
	s_xor_b64 s[2:3], exec, s[2:3]
	s_cbranch_execz .LBB143_319
; %bb.314:
	s_mov_b32 s4, 0x3c7fffff
	v_cmp_lt_u32_e32 vcc, s4, v5
                                        ; implicit-def: $vgpr4
	s_and_saveexec_b64 s[4:5], vcc
	s_xor_b64 s[4:5], exec, s[4:5]
; %bb.315:
	v_bfe_u32 v4, v0, 20, 1
	s_mov_b32 s6, 0x407ffff
	v_add3_u32 v4, v0, v4, s6
	v_lshrrev_b32_e32 v5, 20, v4
	v_and_b32_e32 v4, 0xff00000, v4
	s_mov_b32 s6, 0x7f00000
	v_mov_b32_e32 v6, 0x7e
	v_cmp_ne_u32_e32 vcc, s6, v4
	s_nop 1
	v_cndmask_b32_e32 v4, v6, v5, vcc
; %bb.316:
	s_andn2_saveexec_b64 s[4:5], s[4:5]
; %bb.317:
	s_mov_b32 s6, 0x46800000
	v_add_f32_e64 v4, |v0|, s6
; %bb.318:
	s_or_b64 exec, exec, s[4:5]
                                        ; implicit-def: $vgpr5
.LBB143_319:
	s_andn2_saveexec_b64 s[2:3], s[2:3]
; %bb.320:
	s_mov_b32 s4, 0x7f800000
	v_mov_b32_e32 v4, 0x7e
	v_mov_b32_e32 v6, 0x7f
	v_cmp_lt_u32_e32 vcc, s4, v5
	s_nop 1
	v_cndmask_b32_e32 v4, v4, v6, vcc
; %bb.321:
	s_or_b64 exec, exec, s[2:3]
	v_lshrrev_b32_e32 v5, 24, v0
	s_movk_i32 s2, 0x80
	v_and_or_b32 v4, v5, s2, v4
	global_store_byte v[2:3], v4, off
.LBB143_322:
	s_mov_b64 s[2:3], 0
.LBB143_323:
	s_andn2_b64 vcc, exec, s[2:3]
	s_cbranch_vccnz .LBB143_333
; %bb.324:
	v_and_b32_e32 v5, 0x7fffffff, v0
	s_mov_b32 s2, 0x47800000
	v_cmp_gt_u32_e32 vcc, s2, v5
                                        ; implicit-def: $vgpr4
	s_and_saveexec_b64 s[2:3], vcc
	s_xor_b64 s[2:3], exec, s[2:3]
	s_cbranch_execz .LBB143_330
; %bb.325:
	s_mov_b32 s4, 0x387fffff
	v_cmp_lt_u32_e32 vcc, s4, v5
                                        ; implicit-def: $vgpr4
	s_and_saveexec_b64 s[4:5], vcc
	s_xor_b64 s[4:5], exec, s[4:5]
; %bb.326:
	v_bfe_u32 v4, v0, 21, 1
	s_mov_b32 s6, 0x80fffff
	v_add3_u32 v4, v0, v4, s6
	v_lshrrev_b32_e32 v4, 21, v4
; %bb.327:
	s_andn2_saveexec_b64 s[4:5], s[4:5]
; %bb.328:
	s_mov_b32 s6, 0x43000000
	v_add_f32_e64 v4, |v0|, s6
; %bb.329:
	s_or_b64 exec, exec, s[4:5]
                                        ; implicit-def: $vgpr5
.LBB143_330:
	s_andn2_saveexec_b64 s[2:3], s[2:3]
; %bb.331:
	s_mov_b32 s4, 0x7f800000
	v_mov_b32_e32 v4, 0x7c
	v_mov_b32_e32 v6, 0x7f
	v_cmp_lt_u32_e32 vcc, s4, v5
	s_nop 1
	v_cndmask_b32_e32 v4, v4, v6, vcc
; %bb.332:
	s_or_b64 exec, exec, s[2:3]
	v_lshrrev_b32_e32 v5, 24, v0
	s_movk_i32 s2, 0x80
	v_and_or_b32 v4, v5, s2, v4
	global_store_byte v[2:3], v4, off
.LBB143_333:
	s_mov_b64 s[4:5], 0
	s_mov_b64 s[2:3], -1
.LBB143_334:
	s_andn2_b64 vcc, exec, s[4:5]
	s_cbranch_vccnz .LBB143_342
; %bb.335:
	s_cmp_gt_i32 s9, 14
	s_mov_b64 s[4:5], -1
	s_cbranch_scc0 .LBB143_339
; %bb.336:
	s_cmp_eq_u32 s9, 15
	s_mov_b64 s[0:1], -1
	s_cbranch_scc0 .LBB143_338
; %bb.337:
	v_bfe_u32 v4, v0, 16, 1
	s_movk_i32 s0, 0x7fff
	v_add3_u32 v4, v0, v4, s0
	v_cmp_o_f32_e32 vcc, v0, v0
	v_mov_b32_e32 v5, 0x7fc0
	s_mov_b64 s[2:3], -1
	v_cndmask_b32_sdwa v4, v5, v4, vcc dst_sel:DWORD dst_unused:UNUSED_PAD src0_sel:DWORD src1_sel:WORD_1
	global_store_short v[2:3], v4, off
	s_mov_b64 s[0:1], 0
.LBB143_338:
	s_mov_b64 s[4:5], 0
.LBB143_339:
	s_and_b64 vcc, exec, s[4:5]
	s_cbranch_vccz .LBB143_342
; %bb.340:
	s_cmp_eq_u32 s9, 11
	s_mov_b64 s[0:1], -1
	s_cbranch_scc0 .LBB143_342
; %bb.341:
	s_brev_b32 s0, -2
	v_bitop3_b32 v4, v0, s0, v1 bitop3:0xc8
	v_cmp_ne_u32_e32 vcc, 0, v4
	s_mov_b64 s[2:3], -1
	s_mov_b64 s[0:1], 0
	v_cndmask_b32_e64 v4, 0, 1, vcc
	global_store_byte v[2:3], v4, off
.LBB143_342:
	s_mov_b64 s[4:5], 0
.LBB143_343:
	s_and_b64 vcc, exec, s[4:5]
	s_cbranch_vccz .LBB143_382
; %bb.344:
	s_and_b32 s4, 0xffff, s8
	s_cmp_lt_i32 s4, 5
	s_mov_b64 s[2:3], -1
	s_cbranch_scc1 .LBB143_365
; %bb.345:
	s_cmp_lt_i32 s4, 8
	s_cbranch_scc1 .LBB143_355
; %bb.346:
	s_cmp_lt_i32 s4, 9
	s_cbranch_scc1 .LBB143_352
; %bb.347:
	s_cmp_gt_i32 s4, 9
	s_cbranch_scc0 .LBB143_349
; %bb.348:
	v_cvt_f64_f32_e32 v[4:5], v0
	v_cvt_f64_f32_e32 v[6:7], v1
	s_mov_b64 s[2:3], 0
	global_store_dwordx4 v[2:3], v[4:7], off
.LBB143_349:
	s_andn2_b64 vcc, exec, s[2:3]
	s_cbranch_vccnz .LBB143_351
; %bb.350:
	global_store_dwordx2 v[2:3], v[0:1], off
.LBB143_351:
	s_mov_b64 s[2:3], 0
.LBB143_352:
	s_andn2_b64 vcc, exec, s[2:3]
	s_cbranch_vccnz .LBB143_354
; %bb.353:
	v_cvt_f16_f32_e32 v4, v0
	v_cvt_f16_f32_sdwa v1, v1 dst_sel:WORD_1 dst_unused:UNUSED_PAD src0_sel:DWORD
	s_nop 0
	v_or_b32_e32 v1, v1, v4
	global_store_dword v[2:3], v1, off
.LBB143_354:
	s_mov_b64 s[2:3], 0
.LBB143_355:
	s_andn2_b64 vcc, exec, s[2:3]
	s_cbranch_vccnz .LBB143_364
; %bb.356:
	s_cmp_lt_i32 s4, 6
	s_mov_b64 s[2:3], -1
	s_cbranch_scc1 .LBB143_362
; %bb.357:
	s_cmp_gt_i32 s4, 6
	s_cbranch_scc0 .LBB143_359
; %bb.358:
	v_cvt_f64_f32_e32 v[4:5], v0
	s_mov_b64 s[2:3], 0
	global_store_dwordx2 v[2:3], v[4:5], off
.LBB143_359:
	s_andn2_b64 vcc, exec, s[2:3]
	s_cbranch_vccnz .LBB143_361
; %bb.360:
	global_store_dword v[2:3], v0, off
.LBB143_361:
	s_mov_b64 s[2:3], 0
.LBB143_362:
	s_andn2_b64 vcc, exec, s[2:3]
	s_cbranch_vccnz .LBB143_364
; %bb.363:
	v_cvt_f16_f32_e32 v1, v0
	global_store_short v[2:3], v1, off
.LBB143_364:
	s_mov_b64 s[2:3], 0
.LBB143_365:
	s_andn2_b64 vcc, exec, s[2:3]
	s_cbranch_vccnz .LBB143_381
; %bb.366:
	s_cmp_lt_i32 s4, 2
	s_mov_b64 s[2:3], -1
	s_cbranch_scc1 .LBB143_376
; %bb.367:
	s_cmp_lt_i32 s4, 3
	s_cbranch_scc1 .LBB143_373
; %bb.368:
	s_cmp_gt_i32 s4, 3
	s_cbranch_scc0 .LBB143_370
; %bb.369:
	v_trunc_f32_e32 v1, v0
	s_mov_b32 s2, 0x2f800000
	v_mul_f32_e64 v4, |v1|, s2
	v_floor_f32_e32 v4, v4
	s_mov_b32 s2, 0xcf800000
	v_cvt_u32_f32_e32 v5, v4
	v_fma_f32 v4, v4, s2, |v1|
	v_cvt_u32_f32_e32 v4, v4
	v_ashrrev_i32_e32 v1, 31, v1
	v_xor_b32_e32 v5, v5, v1
	s_mov_b64 s[2:3], 0
	v_xor_b32_e32 v4, v4, v1
	v_sub_co_u32_e32 v4, vcc, v4, v1
	s_nop 1
	v_subb_co_u32_e32 v5, vcc, v5, v1, vcc
	global_store_dwordx2 v[2:3], v[4:5], off
.LBB143_370:
	s_andn2_b64 vcc, exec, s[2:3]
	s_cbranch_vccnz .LBB143_372
; %bb.371:
	v_cvt_i32_f32_e32 v1, v0
	global_store_dword v[2:3], v1, off
.LBB143_372:
	s_mov_b64 s[2:3], 0
.LBB143_373:
	s_andn2_b64 vcc, exec, s[2:3]
	s_cbranch_vccnz .LBB143_375
; %bb.374:
	v_cvt_i32_f32_e32 v1, v0
	global_store_short v[2:3], v1, off
.LBB143_375:
	s_mov_b64 s[2:3], 0
.LBB143_376:
	s_andn2_b64 vcc, exec, s[2:3]
	s_cbranch_vccnz .LBB143_381
; %bb.377:
	s_cmp_gt_i32 s4, 0
	s_mov_b64 s[2:3], -1
	s_cbranch_scc0 .LBB143_379
; %bb.378:
	v_cvt_i32_f32_e32 v1, v0
	s_mov_b64 s[2:3], 0
	global_store_byte v[2:3], v1, off
.LBB143_379:
	s_andn2_b64 vcc, exec, s[2:3]
	s_cbranch_vccnz .LBB143_381
; %bb.380:
	v_trunc_f32_e32 v0, v0
	s_mov_b32 s2, 0x2f800000
	v_mul_f32_e64 v1, |v0|, s2
	v_floor_f32_e32 v1, v1
	s_mov_b32 s2, 0xcf800000
	v_fma_f32 v1, v1, s2, |v0|
	v_cvt_u32_f32_e32 v1, v1
	v_ashrrev_i32_e32 v0, 31, v0
	v_xor_b32_e32 v1, v1, v0
	v_sub_u32_e32 v0, v1, v0
	global_store_byte v[2:3], v0, off
.LBB143_381:
	s_mov_b64 s[2:3], -1
.LBB143_382:
	s_andn2_b64 vcc, exec, s[2:3]
	s_cbranch_vccnz .LBB143_384
; %bb.383:
	v_add_u32_e32 v25, 0x80, v25
	s_mov_b64 s[2:3], -1
	s_branch .LBB143_385
.LBB143_384:
	s_mov_b64 s[2:3], 0
                                        ; implicit-def: $vgpr25
.LBB143_385:
	s_andn2_b64 s[4:5], s[42:43], exec
	s_and_b64 s[0:1], s[0:1], exec
	s_or_b64 s[48:49], s[4:5], s[0:1]
	s_orn2_b64 s[2:3], s[2:3], exec
.LBB143_386:
	s_or_b64 exec, exec, s[46:47]
	s_mov_b64 s[0:1], 0
	s_mov_b64 s[6:7], 0
                                        ; implicit-def: $sgpr10
                                        ; implicit-def: $vgpr2_vgpr3
                                        ; implicit-def: $vgpr0
	s_and_saveexec_b64 s[46:47], s[2:3]
	s_cbranch_execz .LBB143_470
; %bb.387:
	v_cmp_gt_i32_e32 vcc, s50, v25
	s_mov_b64 s[2:3], 0
	s_mov_b64 s[4:5], s[48:49]
                                        ; implicit-def: $sgpr10
                                        ; implicit-def: $vgpr2_vgpr3
                                        ; implicit-def: $vgpr0
	s_and_saveexec_b64 s[50:51], vcc
	s_cbranch_execz .LBB143_469
; %bb.388:
	s_getpc_b64 s[0:1]
	s_add_u32 s0, s0, _ZN2at6native6invokeIZZZNS0_17expm1_kernel_cudaERNS_18TensorIteratorBaseEENKUlvE_clEvENKUlvE2_clEvEUlN3c107complexIfEEE_i15function_traitsIS9_EEENT1_11result_typeERKT_PrKPcPKT0_PKNS6_10ScalarTypeEi@rel32@lo+4
	s_addc_u32 s1, s1, _ZN2at6native6invokeIZZZNS0_17expm1_kernel_cudaERNS_18TensorIteratorBaseEENKUlvE_clEvENKUlvE2_clEvEUlN3c107complexIfEEE_i15function_traitsIS9_EEENT1_11result_typeERKT_PrKPcPKT0_PKNS6_10ScalarTypeEi@rel32@hi+12
	v_mov_b32_e32 v0, s26
	v_mov_b32_e32 v1, s27
	;; [unrolled: 1-line block ×5, first 2 shown]
	s_swappc_b64 s[30:31], s[0:1]
	v_mul_lo_u32 v2, v25, s28
	v_ashrrev_i32_e32 v3, 31, v2
	s_and_b32 s10, s33, 0xff
	s_cmp_lt_i32 s10, 11
	v_lshl_add_u64 v[2:3], s[24:25], 0, v[2:3]
	s_cbranch_scc1 .LBB143_395
; %bb.389:
	s_and_b32 s11, 0xffff, s10
	s_mov_b64 s[4:5], -1
	s_cmp_gt_i32 s11, 25
	s_mov_b64 s[0:1], s[48:49]
	s_cbranch_scc0 .LBB143_427
; %bb.390:
	s_mov_b64 s[2:3], -1
	s_cmp_gt_i32 s11, 28
	s_mov_b64 s[0:1], s[48:49]
	s_cbranch_scc0 .LBB143_411
; %bb.391:
	s_cmp_gt_i32 s11, 43
	s_mov_b64 s[0:1], s[48:49]
	s_cbranch_scc0 .LBB143_407
; %bb.392:
	;; [unrolled: 4-line block ×3, first 2 shown]
	s_cmp_eq_u32 s11, 46
	s_mov_b64 s[0:1], -1
	s_cbranch_scc0 .LBB143_400
; %bb.394:
	s_movk_i32 s0, 0x7fff
	v_bfe_u32 v5, v1, 16, 1
	v_add3_u32 v5, v1, v5, s0
	v_bfe_u32 v4, v0, 16, 1
	v_and_b32_e32 v5, 0xffff0000, v5
	v_mov_b32_e32 v6, 0x7fc00000
	v_cmp_o_f32_e32 vcc, v1, v1
	v_add3_u32 v4, v0, v4, s0
	s_mov_b64 s[0:1], 0
	v_cndmask_b32_e32 v5, v6, v5, vcc
	v_cmp_o_f32_e32 vcc, v0, v0
	v_mov_b32_e32 v6, 0x7fc0
	s_mov_b64 s[2:3], 0
	v_cndmask_b32_sdwa v4, v6, v4, vcc dst_sel:DWORD dst_unused:UNUSED_PAD src0_sel:DWORD src1_sel:WORD_1
	v_or_b32_e32 v4, v5, v4
	global_store_dword v[2:3], v4, off
	s_branch .LBB143_401
.LBB143_395:
	s_mov_b64 s[4:5], 0
	s_mov_b64 s[2:3], -1
	s_mov_b64 s[0:1], s[48:49]
	s_branch .LBB143_468
.LBB143_396:
	s_andn2_saveexec_b64 s[6:7], s[6:7]
	s_cbranch_execz .LBB143_295
.LBB143_397:
	s_mov_b32 s10, 0x46000000
	v_add_f32_e64 v4, |v0|, s10
	v_and_b32_e32 v4, 0xff, v4
	v_cmp_ne_u32_e32 vcc, 0, v4
	s_andn2_b64 s[4:5], s[4:5], exec
	s_and_b64 s[10:11], vcc, exec
	s_or_b64 s[4:5], s[4:5], s[10:11]
	s_or_b64 exec, exec, s[6:7]
	v_mov_b32_e32 v5, 0
	s_and_saveexec_b64 s[6:7], s[4:5]
	s_cbranch_execnz .LBB143_296
	s_branch .LBB143_297
.LBB143_398:
	s_andn2_saveexec_b64 s[6:7], s[6:7]
	s_cbranch_execz .LBB143_308
.LBB143_399:
	s_mov_b32 s10, 0x42800000
	v_add_f32_e64 v4, |v0|, s10
	v_and_b32_e32 v4, 0xff, v4
	v_cmp_ne_u32_e32 vcc, 0, v4
	s_andn2_b64 s[4:5], s[4:5], exec
	s_and_b64 s[10:11], vcc, exec
	s_or_b64 s[4:5], s[4:5], s[10:11]
	s_or_b64 exec, exec, s[6:7]
	v_mov_b32_e32 v5, 0
	s_and_saveexec_b64 s[6:7], s[4:5]
	s_cbranch_execnz .LBB143_309
	s_branch .LBB143_310
.LBB143_400:
	s_mov_b64 s[2:3], 0
.LBB143_401:
	s_and_b64 vcc, exec, s[2:3]
	s_cbranch_vccz .LBB143_406
; %bb.402:
	s_cmp_eq_u32 s11, 44
	s_mov_b64 s[0:1], -1
	s_cbranch_scc0 .LBB143_406
; %bb.403:
	v_bfe_u32 v4, v0, 23, 8
	s_movk_i32 s0, 0xff
	v_cmp_ne_u32_e32 vcc, s0, v4
	v_mov_b32_e32 v5, 0xff
	s_and_saveexec_b64 s[2:3], vcc
; %bb.404:
	s_mov_b32 s0, 0x3fffff
	v_and_b32_e32 v6, 0x400000, v0
	v_and_or_b32 v4, v0, s0, v4
	v_cmp_ne_u32_e32 vcc, 0, v6
	v_cmp_ne_u32_e64 s[0:1], 0, v4
	s_and_b64 s[0:1], vcc, s[0:1]
	v_lshrrev_b32_e32 v5, 23, v0
	v_cndmask_b32_e64 v4, 0, 1, s[0:1]
	v_add_u32_e32 v5, v5, v4
; %bb.405:
	s_or_b64 exec, exec, s[2:3]
	s_mov_b64 s[0:1], 0
	global_store_byte v[2:3], v5, off
.LBB143_406:
	s_mov_b64 s[2:3], 0
.LBB143_407:
	s_and_b64 vcc, exec, s[2:3]
	s_cbranch_vccz .LBB143_410
; %bb.408:
	s_cmp_eq_u32 s11, 29
	s_mov_b64 s[0:1], -1
	s_cbranch_scc0 .LBB143_410
; %bb.409:
	v_trunc_f32_e32 v4, v0
	v_mul_f32_e32 v5, 0x2f800000, v4
	v_floor_f32_e32 v6, v5
	v_fmamk_f32 v4, v6, 0xcf800000, v4
	v_cvt_u32_f32_e32 v5, v6
	v_cvt_u32_f32_e32 v4, v4
	s_mov_b64 s[0:1], 0
	s_mov_b64 s[2:3], 0
	global_store_dwordx2 v[2:3], v[4:5], off
	s_branch .LBB143_411
.LBB143_410:
	s_mov_b64 s[2:3], 0
.LBB143_411:
	s_and_b64 vcc, exec, s[2:3]
	s_cbranch_vccz .LBB143_426
; %bb.412:
	s_cmp_lt_i32 s11, 27
	s_mov_b64 s[2:3], -1
	s_cbranch_scc1 .LBB143_418
; %bb.413:
	v_cvt_u32_f32_e32 v4, v0
	s_cmp_gt_i32 s11, 27
	s_cbranch_scc0 .LBB143_415
; %bb.414:
	s_mov_b64 s[2:3], 0
	global_store_dword v[2:3], v4, off
.LBB143_415:
	s_andn2_b64 vcc, exec, s[2:3]
	s_cbranch_vccnz .LBB143_417
; %bb.416:
	global_store_short v[2:3], v4, off
.LBB143_417:
	s_mov_b64 s[2:3], 0
.LBB143_418:
	s_andn2_b64 vcc, exec, s[2:3]
	s_cbranch_vccnz .LBB143_426
; %bb.419:
	v_and_b32_e32 v4, 0x7fffffff, v0
	s_mov_b32 s2, 0x43800000
	v_cmp_gt_u32_e32 vcc, s2, v4
	v_mov_b32_e32 v5, 0x80
	s_and_saveexec_b64 s[2:3], vcc
	s_cbranch_execz .LBB143_425
; %bb.420:
	s_mov_b32 s4, 0x3bffffff
	v_cmp_lt_u32_e32 vcc, s4, v4
	s_mov_b64 s[4:5], 0
                                        ; implicit-def: $vgpr4
	s_and_saveexec_b64 s[6:7], vcc
	s_xor_b64 s[6:7], exec, s[6:7]
	s_cbranch_execz .LBB143_1007
; %bb.421:
	v_bfe_u32 v4, v0, 20, 1
	s_mov_b32 s8, 0x487ffff
	v_add3_u32 v4, v0, v4, s8
	s_mov_b64 s[4:5], exec
	v_lshrrev_b32_e32 v4, 20, v4
	s_andn2_saveexec_b64 s[6:7], s[6:7]
	s_cbranch_execnz .LBB143_1008
.LBB143_422:
	s_or_b64 exec, exec, s[6:7]
	v_mov_b32_e32 v5, 0
	s_and_saveexec_b64 s[6:7], s[4:5]
.LBB143_423:
	v_lshrrev_b32_e32 v5, 24, v0
	s_movk_i32 s4, 0x80
	v_and_or_b32 v5, v5, s4, v4
.LBB143_424:
	s_or_b64 exec, exec, s[6:7]
.LBB143_425:
	s_or_b64 exec, exec, s[2:3]
	global_store_byte v[2:3], v5, off
.LBB143_426:
	s_mov_b64 s[4:5], 0
.LBB143_427:
	s_mov_b64 s[2:3], 0
	s_and_b64 vcc, exec, s[4:5]
	s_cbranch_vccz .LBB143_467
; %bb.428:
	s_cmp_gt_i32 s11, 22
	s_mov_b64 s[4:5], -1
	s_cbranch_scc0 .LBB143_460
; %bb.429:
	s_cmp_lt_i32 s11, 24
	s_cbranch_scc1 .LBB143_449
; %bb.430:
	s_cmp_gt_i32 s11, 24
	s_cbranch_scc0 .LBB143_438
; %bb.431:
	v_and_b32_e32 v4, 0x7fffffff, v0
	s_mov_b32 s4, 0x47800000
	v_cmp_gt_u32_e32 vcc, s4, v4
	v_mov_b32_e32 v5, 0x80
	s_and_saveexec_b64 s[4:5], vcc
	s_cbranch_execz .LBB143_437
; %bb.432:
	s_mov_b32 s6, 0x37ffffff
	v_cmp_lt_u32_e32 vcc, s6, v4
	s_mov_b64 s[6:7], 0
                                        ; implicit-def: $vgpr4
	s_and_saveexec_b64 s[8:9], vcc
	s_xor_b64 s[8:9], exec, s[8:9]
	s_cbranch_execz .LBB143_1011
; %bb.433:
	v_bfe_u32 v4, v0, 21, 1
	s_mov_b32 s12, 0x88fffff
	v_add3_u32 v4, v0, v4, s12
	s_mov_b64 s[6:7], exec
	v_lshrrev_b32_e32 v4, 21, v4
	s_andn2_saveexec_b64 s[8:9], s[8:9]
	s_cbranch_execnz .LBB143_1012
.LBB143_434:
	s_or_b64 exec, exec, s[8:9]
	v_mov_b32_e32 v5, 0
	s_and_saveexec_b64 s[8:9], s[6:7]
.LBB143_435:
	v_lshrrev_b32_e32 v5, 24, v0
	s_movk_i32 s6, 0x80
	v_and_or_b32 v5, v5, s6, v4
.LBB143_436:
	s_or_b64 exec, exec, s[8:9]
.LBB143_437:
	s_or_b64 exec, exec, s[4:5]
	s_mov_b64 s[4:5], 0
	global_store_byte v[2:3], v5, off
.LBB143_438:
	s_and_b64 vcc, exec, s[4:5]
	s_cbranch_vccz .LBB143_448
; %bb.439:
	v_and_b32_e32 v5, 0x7fffffff, v0
	s_mov_b32 s4, 0x43f00000
	v_cmp_gt_u32_e32 vcc, s4, v5
                                        ; implicit-def: $vgpr4
	s_and_saveexec_b64 s[4:5], vcc
	s_xor_b64 s[4:5], exec, s[4:5]
	s_cbranch_execz .LBB143_445
; %bb.440:
	s_mov_b32 s6, 0x3c7fffff
	v_cmp_lt_u32_e32 vcc, s6, v5
                                        ; implicit-def: $vgpr4
	s_and_saveexec_b64 s[6:7], vcc
	s_xor_b64 s[6:7], exec, s[6:7]
; %bb.441:
	v_bfe_u32 v4, v0, 20, 1
	s_mov_b32 s8, 0x407ffff
	v_add3_u32 v4, v0, v4, s8
	v_lshrrev_b32_e32 v5, 20, v4
	v_and_b32_e32 v4, 0xff00000, v4
	s_mov_b32 s8, 0x7f00000
	v_mov_b32_e32 v6, 0x7e
	v_cmp_ne_u32_e32 vcc, s8, v4
	s_nop 1
	v_cndmask_b32_e32 v4, v6, v5, vcc
; %bb.442:
	s_andn2_saveexec_b64 s[6:7], s[6:7]
; %bb.443:
	s_mov_b32 s8, 0x46800000
	v_add_f32_e64 v4, |v0|, s8
; %bb.444:
	s_or_b64 exec, exec, s[6:7]
                                        ; implicit-def: $vgpr5
.LBB143_445:
	s_andn2_saveexec_b64 s[4:5], s[4:5]
; %bb.446:
	s_mov_b32 s6, 0x7f800000
	v_mov_b32_e32 v4, 0x7e
	v_mov_b32_e32 v6, 0x7f
	v_cmp_lt_u32_e32 vcc, s6, v5
	s_nop 1
	v_cndmask_b32_e32 v4, v4, v6, vcc
; %bb.447:
	s_or_b64 exec, exec, s[4:5]
	v_lshrrev_b32_e32 v5, 24, v0
	s_movk_i32 s4, 0x80
	v_and_or_b32 v4, v5, s4, v4
	global_store_byte v[2:3], v4, off
.LBB143_448:
	s_mov_b64 s[4:5], 0
.LBB143_449:
	s_andn2_b64 vcc, exec, s[4:5]
	s_cbranch_vccnz .LBB143_459
; %bb.450:
	v_and_b32_e32 v5, 0x7fffffff, v0
	s_mov_b32 s4, 0x47800000
	v_cmp_gt_u32_e32 vcc, s4, v5
                                        ; implicit-def: $vgpr4
	s_and_saveexec_b64 s[4:5], vcc
	s_xor_b64 s[4:5], exec, s[4:5]
	s_cbranch_execz .LBB143_456
; %bb.451:
	s_mov_b32 s6, 0x387fffff
	v_cmp_lt_u32_e32 vcc, s6, v5
                                        ; implicit-def: $vgpr4
	s_and_saveexec_b64 s[6:7], vcc
	s_xor_b64 s[6:7], exec, s[6:7]
; %bb.452:
	v_bfe_u32 v4, v0, 21, 1
	s_mov_b32 s8, 0x80fffff
	v_add3_u32 v4, v0, v4, s8
	v_lshrrev_b32_e32 v4, 21, v4
; %bb.453:
	s_andn2_saveexec_b64 s[6:7], s[6:7]
; %bb.454:
	s_mov_b32 s8, 0x43000000
	v_add_f32_e64 v4, |v0|, s8
; %bb.455:
	s_or_b64 exec, exec, s[6:7]
                                        ; implicit-def: $vgpr5
.LBB143_456:
	s_andn2_saveexec_b64 s[4:5], s[4:5]
; %bb.457:
	s_mov_b32 s6, 0x7f800000
	v_mov_b32_e32 v4, 0x7c
	v_mov_b32_e32 v6, 0x7f
	v_cmp_lt_u32_e32 vcc, s6, v5
	s_nop 1
	v_cndmask_b32_e32 v4, v4, v6, vcc
; %bb.458:
	s_or_b64 exec, exec, s[4:5]
	v_lshrrev_b32_e32 v5, 24, v0
	s_movk_i32 s4, 0x80
	v_and_or_b32 v4, v5, s4, v4
	global_store_byte v[2:3], v4, off
.LBB143_459:
	s_mov_b64 s[4:5], 0
.LBB143_460:
	s_andn2_b64 vcc, exec, s[4:5]
	s_mov_b64 s[4:5], 0
	s_cbranch_vccnz .LBB143_468
; %bb.461:
	s_cmp_gt_i32 s11, 14
	s_mov_b64 s[6:7], -1
	s_cbranch_scc0 .LBB143_465
; %bb.462:
	s_cmp_eq_u32 s11, 15
	s_mov_b64 s[0:1], -1
	s_cbranch_scc0 .LBB143_464
; %bb.463:
	v_bfe_u32 v4, v0, 16, 1
	s_movk_i32 s0, 0x7fff
	v_add3_u32 v4, v0, v4, s0
	v_cmp_o_f32_e32 vcc, v0, v0
	v_mov_b32_e32 v5, 0x7fc0
	s_mov_b64 s[0:1], 0
	v_cndmask_b32_sdwa v4, v5, v4, vcc dst_sel:DWORD dst_unused:UNUSED_PAD src0_sel:DWORD src1_sel:WORD_1
	global_store_short v[2:3], v4, off
.LBB143_464:
	s_mov_b64 s[6:7], 0
.LBB143_465:
	s_and_b64 vcc, exec, s[6:7]
	s_cbranch_vccz .LBB143_468
; %bb.466:
	s_cmp_lg_u32 s11, 11
	s_cselect_b64 s[6:7], -1, 0
	s_andn2_b64 s[0:1], s[0:1], exec
	s_and_b64 s[6:7], s[6:7], exec
	s_mov_b64 s[4:5], -1
	s_or_b64 s[0:1], s[0:1], s[6:7]
	s_branch .LBB143_468
.LBB143_467:
	s_mov_b64 s[4:5], 0
.LBB143_468:
	s_and_b64 s[6:7], s[2:3], exec
	s_and_b64 s[2:3], s[4:5], exec
	s_andn2_b64 s[4:5], s[48:49], exec
	s_and_b64 s[0:1], s[0:1], exec
	s_or_b64 s[4:5], s[4:5], s[0:1]
.LBB143_469:
	s_or_b64 exec, exec, s[50:51]
	s_and_b64 s[0:1], s[2:3], exec
	s_andn2_b64 s[2:3], s[48:49], exec
	s_and_b64 s[4:5], s[4:5], exec
	s_and_b64 s[6:7], s[6:7], exec
	s_or_b64 s[48:49], s[2:3], s[4:5]
.LBB143_470:
	s_or_b64 exec, exec, s[46:47]
	s_and_b64 s[2:3], s[6:7], exec
	s_andn2_b64 s[4:5], s[42:43], exec
	s_and_b64 s[6:7], s[48:49], exec
	s_and_b64 s[0:1], s[0:1], exec
	s_or_b64 s[42:43], s[4:5], s[6:7]
.LBB143_471:
	s_or_b64 exec, exec, s[44:45]
	s_and_b64 s[44:45], s[0:1], exec
	s_andn2_b64 s[0:1], s[38:39], exec
	s_and_b64 s[4:5], s[42:43], exec
	s_and_b64 s[2:3], s[2:3], exec
	s_or_b64 s[38:39], s[0:1], s[4:5]
	s_or_b64 exec, exec, s[40:41]
	s_mov_b64 s[0:1], 0
	s_and_saveexec_b64 s[4:5], s[38:39]
	s_cbranch_execz .LBB143_134
.LBB143_472:
	s_mov_b64 s[0:1], exec
	s_andn2_b64 s[44:45], s[44:45], exec
	s_trap 2
	s_or_b64 exec, exec, s[4:5]
	s_and_saveexec_b64 s[4:5], s[44:45]
	s_xor_b64 s[4:5], exec, s[4:5]
	s_cbranch_execnz .LBB143_135
.LBB143_473:
	s_or_b64 exec, exec, s[4:5]
	s_and_saveexec_b64 s[4:5], s[2:3]
	s_xor_b64 s[2:3], exec, s[4:5]
	s_cbranch_execz .LBB143_511
.LBB143_474:
	s_sext_i32_i16 s6, s10
	s_cmp_lt_i32 s6, 5
	s_mov_b64 s[4:5], -1
	s_cbranch_scc1 .LBB143_495
; %bb.475:
	s_cmp_lt_i32 s6, 8
	s_cbranch_scc1 .LBB143_485
; %bb.476:
	s_cmp_lt_i32 s6, 9
	s_cbranch_scc1 .LBB143_482
; %bb.477:
	s_cmp_gt_i32 s6, 9
	s_cbranch_scc0 .LBB143_479
; %bb.478:
	v_cvt_f64_f32_e32 v[4:5], v0
	v_cvt_f64_f32_e32 v[6:7], v1
	s_mov_b64 s[4:5], 0
	global_store_dwordx4 v[2:3], v[4:7], off
.LBB143_479:
	s_andn2_b64 vcc, exec, s[4:5]
	s_cbranch_vccnz .LBB143_481
; %bb.480:
	global_store_dwordx2 v[2:3], v[0:1], off
.LBB143_481:
	s_mov_b64 s[4:5], 0
.LBB143_482:
	s_andn2_b64 vcc, exec, s[4:5]
	s_cbranch_vccnz .LBB143_484
; %bb.483:
	v_cvt_f16_f32_e32 v4, v0
	v_cvt_f16_f32_sdwa v1, v1 dst_sel:WORD_1 dst_unused:UNUSED_PAD src0_sel:DWORD
	s_nop 0
	v_or_b32_e32 v1, v1, v4
	global_store_dword v[2:3], v1, off
.LBB143_484:
	s_mov_b64 s[4:5], 0
.LBB143_485:
	s_andn2_b64 vcc, exec, s[4:5]
	s_cbranch_vccnz .LBB143_494
; %bb.486:
	s_sext_i32_i16 s6, s10
	s_cmp_lt_i32 s6, 6
	s_mov_b64 s[4:5], -1
	s_cbranch_scc1 .LBB143_492
; %bb.487:
	s_cmp_gt_i32 s6, 6
	s_cbranch_scc0 .LBB143_489
; %bb.488:
	v_cvt_f64_f32_e32 v[4:5], v0
	s_mov_b64 s[4:5], 0
	global_store_dwordx2 v[2:3], v[4:5], off
.LBB143_489:
	s_andn2_b64 vcc, exec, s[4:5]
	s_cbranch_vccnz .LBB143_491
; %bb.490:
	global_store_dword v[2:3], v0, off
.LBB143_491:
	s_mov_b64 s[4:5], 0
.LBB143_492:
	s_andn2_b64 vcc, exec, s[4:5]
	s_cbranch_vccnz .LBB143_494
; %bb.493:
	v_cvt_f16_f32_e32 v1, v0
	global_store_short v[2:3], v1, off
.LBB143_494:
	s_mov_b64 s[4:5], 0
.LBB143_495:
	s_andn2_b64 vcc, exec, s[4:5]
	s_cbranch_vccnz .LBB143_511
; %bb.496:
	s_sext_i32_i16 s6, s10
	s_cmp_lt_i32 s6, 2
	s_mov_b64 s[4:5], -1
	s_cbranch_scc1 .LBB143_506
; %bb.497:
	s_cmp_lt_i32 s6, 3
	s_cbranch_scc1 .LBB143_503
; %bb.498:
	s_cmp_gt_i32 s6, 3
	s_cbranch_scc0 .LBB143_500
; %bb.499:
	v_trunc_f32_e32 v1, v0
	s_mov_b32 s4, 0x2f800000
	v_mul_f32_e64 v4, |v1|, s4
	v_floor_f32_e32 v4, v4
	s_mov_b32 s4, 0xcf800000
	v_cvt_u32_f32_e32 v5, v4
	v_fma_f32 v4, v4, s4, |v1|
	v_cvt_u32_f32_e32 v4, v4
	v_ashrrev_i32_e32 v1, 31, v1
	v_xor_b32_e32 v5, v5, v1
	s_mov_b64 s[4:5], 0
	v_xor_b32_e32 v4, v4, v1
	v_sub_co_u32_e32 v4, vcc, v4, v1
	s_nop 1
	v_subb_co_u32_e32 v5, vcc, v5, v1, vcc
	global_store_dwordx2 v[2:3], v[4:5], off
.LBB143_500:
	s_andn2_b64 vcc, exec, s[4:5]
	s_cbranch_vccnz .LBB143_502
; %bb.501:
	v_cvt_i32_f32_e32 v1, v0
	global_store_dword v[2:3], v1, off
.LBB143_502:
	s_mov_b64 s[4:5], 0
.LBB143_503:
	s_andn2_b64 vcc, exec, s[4:5]
	s_cbranch_vccnz .LBB143_505
; %bb.504:
	v_cvt_i32_f32_e32 v1, v0
	global_store_short v[2:3], v1, off
.LBB143_505:
	s_mov_b64 s[4:5], 0
.LBB143_506:
	s_andn2_b64 vcc, exec, s[4:5]
	s_cbranch_vccnz .LBB143_511
; %bb.507:
	s_sext_i32_i16 s4, s10
	s_cmp_gt_i32 s4, 0
	s_mov_b64 s[4:5], -1
	s_cbranch_scc0 .LBB143_509
; %bb.508:
	v_cvt_i32_f32_e32 v1, v0
	s_mov_b64 s[4:5], 0
	global_store_byte v[2:3], v1, off
.LBB143_509:
	s_andn2_b64 vcc, exec, s[4:5]
	s_cbranch_vccnz .LBB143_511
; %bb.510:
	v_trunc_f32_e32 v0, v0
	s_mov_b32 s4, 0x2f800000
	v_mul_f32_e64 v1, |v0|, s4
	v_floor_f32_e32 v1, v1
	s_mov_b32 s4, 0xcf800000
	v_fma_f32 v1, v1, s4, |v0|
	v_cvt_u32_f32_e32 v1, v1
	v_ashrrev_i32_e32 v0, 31, v0
	v_xor_b32_e32 v1, v1, v0
	v_sub_u32_e32 v0, v1, v0
	global_store_byte v[2:3], v0, off
.LBB143_511:
	s_or_b64 exec, exec, s[2:3]
	s_and_b64 s[38:39], s[0:1], exec
                                        ; implicit-def: $vgpr25
                                        ; implicit-def: $vgpr32
                                        ; implicit-def: $vgpr33
.LBB143_512:
	s_or_saveexec_b64 s[36:37], s[36:37]
	s_mov_b64 s[0:1], 0
                                        ; implicit-def: $sgpr12
                                        ; implicit-def: $vgpr2_vgpr3
                                        ; implicit-def: $vgpr0
	s_xor_b64 exec, exec, s[36:37]
	s_cbranch_execz .LBB143_945
; %bb.513:
	s_getpc_b64 s[34:35]
	s_add_u32 s34, s34, _ZN2at6native6invokeIZZZNS0_17expm1_kernel_cudaERNS_18TensorIteratorBaseEENKUlvE_clEvENKUlvE2_clEvEUlN3c107complexIfEEE_i15function_traitsIS9_EEENT1_11result_typeERKT_PrKPcPKT0_PKNS6_10ScalarTypeEi@rel32@lo+4
	s_addc_u32 s35, s35, _ZN2at6native6invokeIZZZNS0_17expm1_kernel_cudaERNS_18TensorIteratorBaseEENKUlvE_clEvENKUlvE2_clEvEUlN3c107complexIfEEE_i15function_traitsIS9_EEENT1_11result_typeERKT_PrKPcPKT0_PKNS6_10ScalarTypeEi@rel32@hi+12
	v_mov_b32_e32 v0, s26
	v_mov_b32_e32 v1, s27
	;; [unrolled: 1-line block ×5, first 2 shown]
	v_add_u32_e32 v26, 0x80, v25
	v_add_u32_e32 v27, 0x100, v25
	s_swappc_b64 s[30:31], s[34:35]
	v_mov_b32_e32 v30, v0
	v_mov_b32_e32 v31, v1
	v_mov_b32_e32 v0, s26
	v_mov_b32_e32 v1, s27
	v_mov_b32_e32 v2, s29
	v_mov_b32_e32 v3, v32
	v_mov_b32_e32 v4, v26
	s_swappc_b64 s[30:31], s[34:35]
	v_mov_b32_e32 v28, v0
	v_mov_b32_e32 v29, v1
	v_mov_b32_e32 v0, s26
	v_mov_b32_e32 v1, s27
	v_mov_b32_e32 v2, s29
	v_mov_b32_e32 v3, v32
	v_mov_b32_e32 v4, v27
	;; [unrolled: 8-line block ×3, first 2 shown]
	s_swappc_b64 s[30:31], s[34:35]
	v_mul_lo_u32 v2, s28, v25
	v_ashrrev_i32_e32 v3, 31, v2
	s_and_b32 s12, s33, 0xff
	s_cmp_lt_i32 s12, 11
	v_lshl_add_u64 v[4:5], s[24:25], 0, v[2:3]
	s_cbranch_scc1 .LBB143_592
; %bb.514:
	s_and_b32 s10, 0xffff, s12
	s_mov_b64 s[2:3], -1
	s_mov_b64 s[4:5], 0
	s_cmp_gt_i32 s10, 25
	s_mov_b64 s[6:7], 0
	s_mov_b64 s[0:1], 0
	s_cbranch_scc0 .LBB143_547
; %bb.515:
	s_cmp_gt_i32 s10, 28
	s_cbranch_scc0 .LBB143_530
; %bb.516:
	s_cmp_gt_i32 s10, 43
	;; [unrolled: 3-line block ×3, first 2 shown]
	s_cbranch_scc0 .LBB143_520
; %bb.518:
	s_mov_b64 s[0:1], -1
	s_mov_b64 s[2:3], 0
	s_cmp_eq_u32 s10, 46
	s_cbranch_scc0 .LBB143_520
; %bb.519:
	s_movk_i32 s0, 0x7fff
	v_bfe_u32 v6, v31, 16, 1
	v_add3_u32 v6, v31, v6, s0
	v_bfe_u32 v3, v30, 16, 1
	v_and_b32_e32 v6, 0xffff0000, v6
	v_mov_b32_e32 v7, 0x7fc00000
	v_cmp_o_f32_e32 vcc, v31, v31
	v_add3_u32 v3, v30, v3, s0
	s_mov_b64 s[0:1], 0
	v_cndmask_b32_e32 v6, v7, v6, vcc
	v_cmp_o_f32_e32 vcc, v30, v30
	v_mov_b32_e32 v7, 0x7fc0
	s_mov_b64 s[6:7], -1
	v_cndmask_b32_sdwa v3, v7, v3, vcc dst_sel:DWORD dst_unused:UNUSED_PAD src0_sel:DWORD src1_sel:WORD_1
	v_or_b32_e32 v3, v6, v3
	global_store_dword v[4:5], v3, off
.LBB143_520:
	s_and_b64 vcc, exec, s[2:3]
	s_cbranch_vccz .LBB143_525
; %bb.521:
	s_cmp_eq_u32 s10, 44
	s_mov_b64 s[0:1], -1
	s_cbranch_scc0 .LBB143_525
; %bb.522:
	v_bfe_u32 v3, v30, 23, 8
	s_movk_i32 s0, 0xff
	v_cmp_ne_u32_e32 vcc, s0, v3
	v_mov_b32_e32 v6, 0xff
	s_and_saveexec_b64 s[2:3], vcc
; %bb.523:
	s_mov_b32 s0, 0x3fffff
	v_and_b32_e32 v7, 0x400000, v30
	v_and_or_b32 v3, v30, s0, v3
	v_cmp_ne_u32_e32 vcc, 0, v7
	v_cmp_ne_u32_e64 s[0:1], 0, v3
	s_and_b64 s[0:1], vcc, s[0:1]
	v_lshrrev_b32_e32 v6, 23, v30
	v_cndmask_b32_e64 v3, 0, 1, s[0:1]
	v_add_u32_e32 v6, v6, v3
; %bb.524:
	s_or_b64 exec, exec, s[2:3]
	s_mov_b64 s[0:1], 0
	s_mov_b64 s[6:7], -1
	global_store_byte v[4:5], v6, off
.LBB143_525:
	s_mov_b64 s[2:3], 0
.LBB143_526:
	s_and_b64 vcc, exec, s[2:3]
	s_cbranch_vccz .LBB143_529
; %bb.527:
	s_cmp_eq_u32 s10, 29
	s_mov_b64 s[0:1], -1
	s_cbranch_scc0 .LBB143_529
; %bb.528:
	v_trunc_f32_e32 v3, v30
	v_mul_f32_e32 v6, 0x2f800000, v3
	v_floor_f32_e32 v6, v6
	v_fmamk_f32 v3, v6, 0xcf800000, v3
	v_cvt_u32_f32_e32 v7, v6
	v_cvt_u32_f32_e32 v6, v3
	s_mov_b64 s[0:1], 0
	s_mov_b64 s[6:7], -1
	global_store_dwordx2 v[4:5], v[6:7], off
.LBB143_529:
	s_mov_b64 s[2:3], 0
.LBB143_530:
	s_and_b64 vcc, exec, s[2:3]
	s_cbranch_vccz .LBB143_546
; %bb.531:
	s_cmp_lt_i32 s10, 27
	s_mov_b64 s[2:3], -1
	s_cbranch_scc1 .LBB143_537
; %bb.532:
	v_cvt_u32_f32_e32 v3, v30
	s_cmp_gt_i32 s10, 27
	s_cbranch_scc0 .LBB143_534
; %bb.533:
	s_mov_b64 s[2:3], 0
	global_store_dword v[4:5], v3, off
.LBB143_534:
	s_andn2_b64 vcc, exec, s[2:3]
	s_cbranch_vccnz .LBB143_536
; %bb.535:
	global_store_short v[4:5], v3, off
.LBB143_536:
	s_mov_b64 s[2:3], 0
.LBB143_537:
	s_andn2_b64 vcc, exec, s[2:3]
	s_cbranch_vccnz .LBB143_545
; %bb.538:
	v_and_b32_e32 v3, 0x7fffffff, v30
	s_mov_b32 s2, 0x43800000
	v_cmp_gt_u32_e32 vcc, s2, v3
	v_mov_b32_e32 v6, 0x80
	s_and_saveexec_b64 s[2:3], vcc
	s_cbranch_execz .LBB143_544
; %bb.539:
	s_mov_b32 s6, 0x3bffffff
	v_cmp_lt_u32_e32 vcc, s6, v3
	s_mov_b64 s[6:7], 0
                                        ; implicit-def: $vgpr3
	s_and_saveexec_b64 s[8:9], vcc
	s_xor_b64 s[8:9], exec, s[8:9]
	s_cbranch_execz .LBB143_989
; %bb.540:
	v_bfe_u32 v3, v30, 20, 1
	s_mov_b32 s11, 0x487ffff
	v_add3_u32 v3, v30, v3, s11
	s_mov_b64 s[6:7], exec
	v_lshrrev_b32_e32 v3, 20, v3
	s_andn2_saveexec_b64 s[8:9], s[8:9]
	s_cbranch_execnz .LBB143_990
.LBB143_541:
	s_or_b64 exec, exec, s[8:9]
	v_mov_b32_e32 v6, 0
	s_and_saveexec_b64 s[8:9], s[6:7]
.LBB143_542:
	v_lshrrev_b32_e32 v6, 24, v30
	s_movk_i32 s6, 0x80
	v_and_or_b32 v6, v6, s6, v3
.LBB143_543:
	s_or_b64 exec, exec, s[8:9]
.LBB143_544:
	s_or_b64 exec, exec, s[2:3]
	global_store_byte v[4:5], v6, off
.LBB143_545:
	s_mov_b64 s[6:7], -1
.LBB143_546:
	s_mov_b64 s[2:3], 0
.LBB143_547:
	s_and_b64 vcc, exec, s[2:3]
	s_cbranch_vccz .LBB143_587
; %bb.548:
	s_cmp_gt_i32 s10, 22
	s_mov_b64 s[2:3], -1
	s_cbranch_scc0 .LBB143_580
; %bb.549:
	s_cmp_lt_i32 s10, 24
	s_cbranch_scc1 .LBB143_569
; %bb.550:
	s_cmp_gt_i32 s10, 24
	s_cbranch_scc0 .LBB143_558
; %bb.551:
	v_and_b32_e32 v3, 0x7fffffff, v30
	s_mov_b32 s2, 0x47800000
	v_cmp_gt_u32_e32 vcc, s2, v3
	v_mov_b32_e32 v6, 0x80
	s_and_saveexec_b64 s[2:3], vcc
	s_cbranch_execz .LBB143_557
; %bb.552:
	s_mov_b32 s4, 0x37ffffff
	v_cmp_lt_u32_e32 vcc, s4, v3
	s_mov_b64 s[4:5], 0
                                        ; implicit-def: $vgpr3
	s_and_saveexec_b64 s[6:7], vcc
	s_xor_b64 s[6:7], exec, s[6:7]
	s_cbranch_execz .LBB143_992
; %bb.553:
	v_bfe_u32 v3, v30, 21, 1
	s_mov_b32 s8, 0x88fffff
	v_add3_u32 v3, v30, v3, s8
	s_mov_b64 s[4:5], exec
	v_lshrrev_b32_e32 v3, 21, v3
	s_andn2_saveexec_b64 s[6:7], s[6:7]
	s_cbranch_execnz .LBB143_993
.LBB143_554:
	s_or_b64 exec, exec, s[6:7]
	v_mov_b32_e32 v6, 0
	s_and_saveexec_b64 s[6:7], s[4:5]
.LBB143_555:
	v_lshrrev_b32_e32 v6, 24, v30
	s_movk_i32 s4, 0x80
	v_and_or_b32 v6, v6, s4, v3
.LBB143_556:
	s_or_b64 exec, exec, s[6:7]
.LBB143_557:
	s_or_b64 exec, exec, s[2:3]
	s_mov_b64 s[2:3], 0
	global_store_byte v[4:5], v6, off
.LBB143_558:
	s_and_b64 vcc, exec, s[2:3]
	s_cbranch_vccz .LBB143_568
; %bb.559:
	v_and_b32_e32 v6, 0x7fffffff, v30
	s_mov_b32 s2, 0x43f00000
	v_cmp_gt_u32_e32 vcc, s2, v6
                                        ; implicit-def: $vgpr3
	s_and_saveexec_b64 s[2:3], vcc
	s_xor_b64 s[2:3], exec, s[2:3]
	s_cbranch_execz .LBB143_565
; %bb.560:
	s_mov_b32 s4, 0x3c7fffff
	v_cmp_lt_u32_e32 vcc, s4, v6
                                        ; implicit-def: $vgpr3
	s_and_saveexec_b64 s[4:5], vcc
	s_xor_b64 s[4:5], exec, s[4:5]
; %bb.561:
	v_bfe_u32 v3, v30, 20, 1
	s_mov_b32 s6, 0x407ffff
	v_add3_u32 v3, v30, v3, s6
	v_lshrrev_b32_e32 v6, 20, v3
	v_and_b32_e32 v3, 0xff00000, v3
	s_mov_b32 s6, 0x7f00000
	v_mov_b32_e32 v7, 0x7e
	v_cmp_ne_u32_e32 vcc, s6, v3
	s_nop 1
	v_cndmask_b32_e32 v3, v7, v6, vcc
; %bb.562:
	s_andn2_saveexec_b64 s[4:5], s[4:5]
; %bb.563:
	s_mov_b32 s6, 0x46800000
	v_add_f32_e64 v3, |v30|, s6
; %bb.564:
	s_or_b64 exec, exec, s[4:5]
                                        ; implicit-def: $vgpr6
.LBB143_565:
	s_andn2_saveexec_b64 s[2:3], s[2:3]
; %bb.566:
	s_mov_b32 s4, 0x7f800000
	v_mov_b32_e32 v3, 0x7e
	v_mov_b32_e32 v7, 0x7f
	v_cmp_lt_u32_e32 vcc, s4, v6
	s_nop 1
	v_cndmask_b32_e32 v3, v3, v7, vcc
; %bb.567:
	s_or_b64 exec, exec, s[2:3]
	v_lshrrev_b32_e32 v6, 24, v30
	s_movk_i32 s2, 0x80
	v_and_or_b32 v3, v6, s2, v3
	global_store_byte v[4:5], v3, off
.LBB143_568:
	s_mov_b64 s[2:3], 0
.LBB143_569:
	s_andn2_b64 vcc, exec, s[2:3]
	s_cbranch_vccnz .LBB143_579
; %bb.570:
	v_and_b32_e32 v6, 0x7fffffff, v30
	s_mov_b32 s2, 0x47800000
	v_cmp_gt_u32_e32 vcc, s2, v6
                                        ; implicit-def: $vgpr3
	s_and_saveexec_b64 s[2:3], vcc
	s_xor_b64 s[2:3], exec, s[2:3]
	s_cbranch_execz .LBB143_576
; %bb.571:
	s_mov_b32 s4, 0x387fffff
	v_cmp_lt_u32_e32 vcc, s4, v6
                                        ; implicit-def: $vgpr3
	s_and_saveexec_b64 s[4:5], vcc
	s_xor_b64 s[4:5], exec, s[4:5]
; %bb.572:
	v_bfe_u32 v3, v30, 21, 1
	s_mov_b32 s6, 0x80fffff
	v_add3_u32 v3, v30, v3, s6
	v_lshrrev_b32_e32 v3, 21, v3
; %bb.573:
	s_andn2_saveexec_b64 s[4:5], s[4:5]
; %bb.574:
	s_mov_b32 s6, 0x43000000
	v_add_f32_e64 v3, |v30|, s6
; %bb.575:
	s_or_b64 exec, exec, s[4:5]
                                        ; implicit-def: $vgpr6
.LBB143_576:
	s_andn2_saveexec_b64 s[2:3], s[2:3]
; %bb.577:
	s_mov_b32 s4, 0x7f800000
	v_mov_b32_e32 v3, 0x7c
	v_mov_b32_e32 v7, 0x7f
	v_cmp_lt_u32_e32 vcc, s4, v6
	s_nop 1
	v_cndmask_b32_e32 v3, v3, v7, vcc
; %bb.578:
	s_or_b64 exec, exec, s[2:3]
	v_lshrrev_b32_e32 v6, 24, v30
	s_movk_i32 s2, 0x80
	v_and_or_b32 v3, v6, s2, v3
	global_store_byte v[4:5], v3, off
.LBB143_579:
	s_mov_b64 s[2:3], 0
	s_mov_b64 s[6:7], -1
.LBB143_580:
	s_andn2_b64 vcc, exec, s[2:3]
	s_mov_b64 s[4:5], 0
	s_cbranch_vccnz .LBB143_587
; %bb.581:
	s_cmp_gt_i32 s10, 14
	s_mov_b64 s[2:3], -1
	s_cbranch_scc0 .LBB143_585
; %bb.582:
	s_cmp_eq_u32 s10, 15
	s_mov_b64 s[0:1], -1
	s_cbranch_scc0 .LBB143_584
; %bb.583:
	v_bfe_u32 v3, v30, 16, 1
	s_movk_i32 s0, 0x7fff
	v_add3_u32 v3, v30, v3, s0
	v_cmp_o_f32_e32 vcc, v30, v30
	v_mov_b32_e32 v6, 0x7fc0
	s_mov_b64 s[0:1], 0
	v_cndmask_b32_sdwa v3, v6, v3, vcc dst_sel:DWORD dst_unused:UNUSED_PAD src0_sel:DWORD src1_sel:WORD_1
	global_store_short v[4:5], v3, off
	s_mov_b64 s[6:7], -1
.LBB143_584:
	s_mov_b64 s[2:3], 0
.LBB143_585:
	s_and_b64 vcc, exec, s[2:3]
	s_cbranch_vccz .LBB143_587
; %bb.586:
	s_cmp_lg_u32 s10, 11
	s_mov_b64 s[4:5], -1
	s_cselect_b64 s[0:1], -1, 0
.LBB143_587:
	s_and_b64 vcc, exec, s[0:1]
	s_mov_b64 s[2:3], s[38:39]
	s_cbranch_vccnz .LBB143_991
; %bb.588:
	s_andn2_b64 vcc, exec, s[4:5]
	s_cbranch_vccnz .LBB143_590
.LBB143_589:
	s_brev_b32 s0, -2
	v_bitop3_b32 v3, v30, s0, v31 bitop3:0xc8
	v_cmp_ne_u32_e32 vcc, 0, v3
	s_mov_b64 s[6:7], -1
	s_nop 0
	v_cndmask_b32_e64 v3, 0, 1, vcc
	global_store_byte v[4:5], v3, off
.LBB143_590:
.LBB143_591:
	s_andn2_b64 vcc, exec, s[6:7]
	s_cbranch_vccz .LBB143_631
	s_branch .LBB143_943
.LBB143_592:
	s_mov_b64 s[6:7], 0
	s_mov_b64 s[2:3], s[38:39]
	s_cbranch_execz .LBB143_591
; %bb.593:
	s_and_b32 s4, 0xffff, s12
	s_cmp_lt_i32 s4, 5
	s_mov_b64 s[0:1], -1
	s_cbranch_scc1 .LBB143_614
; %bb.594:
	s_cmp_lt_i32 s4, 8
	s_cbranch_scc1 .LBB143_604
; %bb.595:
	s_cmp_lt_i32 s4, 9
	s_cbranch_scc1 .LBB143_601
; %bb.596:
	s_cmp_gt_i32 s4, 9
	s_cbranch_scc0 .LBB143_598
; %bb.597:
	v_cvt_f64_f32_e32 v[6:7], v30
	v_cvt_f64_f32_e32 v[8:9], v31
	global_store_dwordx4 v[4:5], v[6:9], off
	s_mov_b64 s[0:1], 0
.LBB143_598:
	s_andn2_b64 vcc, exec, s[0:1]
	s_cbranch_vccnz .LBB143_600
; %bb.599:
	global_store_dwordx2 v[4:5], v[30:31], off
.LBB143_600:
	s_mov_b64 s[0:1], 0
.LBB143_601:
	s_andn2_b64 vcc, exec, s[0:1]
	s_cbranch_vccnz .LBB143_603
; %bb.602:
	v_cvt_f16_f32_e32 v3, v30
	v_cvt_f16_f32_sdwa v6, v31 dst_sel:WORD_1 dst_unused:UNUSED_PAD src0_sel:DWORD
	s_nop 0
	v_or_b32_e32 v3, v6, v3
	global_store_dword v[4:5], v3, off
.LBB143_603:
	s_mov_b64 s[0:1], 0
.LBB143_604:
	s_andn2_b64 vcc, exec, s[0:1]
	s_cbranch_vccnz .LBB143_613
; %bb.605:
	s_cmp_lt_i32 s4, 6
	s_mov_b64 s[0:1], -1
	s_cbranch_scc1 .LBB143_611
; %bb.606:
	s_cmp_gt_i32 s4, 6
	s_cbranch_scc0 .LBB143_608
; %bb.607:
	v_cvt_f64_f32_e32 v[6:7], v30
	global_store_dwordx2 v[4:5], v[6:7], off
	s_mov_b64 s[0:1], 0
.LBB143_608:
	s_andn2_b64 vcc, exec, s[0:1]
	s_cbranch_vccnz .LBB143_610
; %bb.609:
	global_store_dword v[4:5], v30, off
.LBB143_610:
	s_mov_b64 s[0:1], 0
.LBB143_611:
	s_andn2_b64 vcc, exec, s[0:1]
	s_cbranch_vccnz .LBB143_613
; %bb.612:
	v_cvt_f16_f32_e32 v3, v30
	global_store_short v[4:5], v3, off
.LBB143_613:
	s_mov_b64 s[0:1], 0
.LBB143_614:
	s_andn2_b64 vcc, exec, s[0:1]
	s_cbranch_vccnz .LBB143_630
; %bb.615:
	s_cmp_lt_i32 s4, 2
	s_mov_b64 s[0:1], -1
	s_cbranch_scc1 .LBB143_625
; %bb.616:
	s_cmp_lt_i32 s4, 3
	s_cbranch_scc1 .LBB143_622
; %bb.617:
	s_cmp_gt_i32 s4, 3
	s_cbranch_scc0 .LBB143_619
; %bb.618:
	v_trunc_f32_e32 v3, v30
	s_mov_b32 s0, 0x2f800000
	v_mul_f32_e64 v6, |v3|, s0
	v_floor_f32_e32 v6, v6
	s_mov_b32 s0, 0xcf800000
	v_cvt_u32_f32_e32 v7, v6
	v_fma_f32 v6, v6, s0, |v3|
	v_cvt_u32_f32_e32 v6, v6
	v_ashrrev_i32_e32 v3, 31, v3
	v_xor_b32_e32 v7, v7, v3
	s_mov_b64 s[0:1], 0
	v_xor_b32_e32 v6, v6, v3
	v_sub_co_u32_e32 v6, vcc, v6, v3
	s_nop 1
	v_subb_co_u32_e32 v7, vcc, v7, v3, vcc
	global_store_dwordx2 v[4:5], v[6:7], off
.LBB143_619:
	s_andn2_b64 vcc, exec, s[0:1]
	s_cbranch_vccnz .LBB143_621
; %bb.620:
	v_cvt_i32_f32_e32 v3, v30
	global_store_dword v[4:5], v3, off
.LBB143_621:
	s_mov_b64 s[0:1], 0
.LBB143_622:
	s_andn2_b64 vcc, exec, s[0:1]
	s_cbranch_vccnz .LBB143_624
; %bb.623:
	v_cvt_i32_f32_e32 v3, v30
	global_store_short v[4:5], v3, off
.LBB143_624:
	s_mov_b64 s[0:1], 0
.LBB143_625:
	s_andn2_b64 vcc, exec, s[0:1]
	s_cbranch_vccnz .LBB143_630
; %bb.626:
	s_cmp_gt_i32 s4, 0
	s_mov_b64 s[0:1], -1
	s_cbranch_scc0 .LBB143_628
; %bb.627:
	v_cvt_i32_f32_e32 v3, v30
	s_mov_b64 s[0:1], 0
	global_store_byte v[4:5], v3, off
.LBB143_628:
	s_andn2_b64 vcc, exec, s[0:1]
	s_cbranch_vccnz .LBB143_630
; %bb.629:
	v_trunc_f32_e32 v3, v30
	s_mov_b32 s0, 0x2f800000
	v_mul_f32_e64 v6, |v3|, s0
	v_floor_f32_e32 v6, v6
	s_mov_b32 s0, 0xcf800000
	v_fma_f32 v6, v6, s0, |v3|
	v_cvt_u32_f32_e32 v6, v6
	v_ashrrev_i32_e32 v3, 31, v3
	v_xor_b32_e32 v6, v6, v3
	v_sub_u32_e32 v3, v6, v3
	global_store_byte v[4:5], v3, off
.LBB143_630:
.LBB143_631:
	s_lshl_b32 s13, s28, 7
	v_add_u32_e32 v2, s13, v2
	v_ashrrev_i32_e32 v3, 31, v2
	s_cmp_lt_i32 s12, 11
	v_lshl_add_u64 v[4:5], s[24:25], 0, v[2:3]
	s_cbranch_scc1 .LBB143_710
; %bb.632:
	s_and_b32 s14, 0xffff, s12
	s_mov_b64 s[8:9], -1
	s_mov_b64 s[4:5], 0
	s_cmp_gt_i32 s14, 25
	s_mov_b64 s[6:7], 0
	s_mov_b64 s[0:1], 0
	s_cbranch_scc0 .LBB143_665
; %bb.633:
	s_cmp_gt_i32 s14, 28
	s_cbranch_scc0 .LBB143_648
; %bb.634:
	s_cmp_gt_i32 s14, 43
	;; [unrolled: 3-line block ×3, first 2 shown]
	s_cbranch_scc0 .LBB143_638
; %bb.636:
	s_mov_b64 s[0:1], -1
	s_mov_b64 s[8:9], 0
	s_cmp_eq_u32 s14, 46
	s_cbranch_scc0 .LBB143_638
; %bb.637:
	s_movk_i32 s0, 0x7fff
	v_bfe_u32 v6, v29, 16, 1
	v_add3_u32 v6, v29, v6, s0
	v_bfe_u32 v3, v28, 16, 1
	v_and_b32_e32 v6, 0xffff0000, v6
	v_mov_b32_e32 v7, 0x7fc00000
	v_cmp_o_f32_e32 vcc, v29, v29
	v_add3_u32 v3, v28, v3, s0
	s_mov_b64 s[0:1], 0
	v_cndmask_b32_e32 v6, v7, v6, vcc
	v_cmp_o_f32_e32 vcc, v28, v28
	v_mov_b32_e32 v7, 0x7fc0
	s_mov_b64 s[6:7], -1
	v_cndmask_b32_sdwa v3, v7, v3, vcc dst_sel:DWORD dst_unused:UNUSED_PAD src0_sel:DWORD src1_sel:WORD_1
	v_or_b32_e32 v3, v6, v3
	global_store_dword v[4:5], v3, off
.LBB143_638:
	s_and_b64 vcc, exec, s[8:9]
	s_cbranch_vccz .LBB143_643
; %bb.639:
	s_cmp_eq_u32 s14, 44
	s_mov_b64 s[0:1], -1
	s_cbranch_scc0 .LBB143_643
; %bb.640:
	v_bfe_u32 v3, v28, 23, 8
	s_movk_i32 s0, 0xff
	v_cmp_ne_u32_e32 vcc, s0, v3
	v_mov_b32_e32 v6, 0xff
	s_and_saveexec_b64 s[6:7], vcc
; %bb.641:
	s_mov_b32 s0, 0x3fffff
	v_and_b32_e32 v7, 0x400000, v28
	v_and_or_b32 v3, v28, s0, v3
	v_cmp_ne_u32_e32 vcc, 0, v7
	v_cmp_ne_u32_e64 s[0:1], 0, v3
	s_and_b64 s[0:1], vcc, s[0:1]
	v_lshrrev_b32_e32 v6, 23, v28
	v_cndmask_b32_e64 v3, 0, 1, s[0:1]
	v_add_u32_e32 v6, v6, v3
; %bb.642:
	s_or_b64 exec, exec, s[6:7]
	s_mov_b64 s[0:1], 0
	s_mov_b64 s[6:7], -1
	global_store_byte v[4:5], v6, off
.LBB143_643:
	s_mov_b64 s[8:9], 0
.LBB143_644:
	s_and_b64 vcc, exec, s[8:9]
	s_cbranch_vccz .LBB143_647
; %bb.645:
	s_cmp_eq_u32 s14, 29
	s_mov_b64 s[0:1], -1
	s_cbranch_scc0 .LBB143_647
; %bb.646:
	v_trunc_f32_e32 v3, v28
	v_mul_f32_e32 v6, 0x2f800000, v3
	v_floor_f32_e32 v6, v6
	v_fmamk_f32 v3, v6, 0xcf800000, v3
	v_cvt_u32_f32_e32 v7, v6
	v_cvt_u32_f32_e32 v6, v3
	s_mov_b64 s[0:1], 0
	s_mov_b64 s[6:7], -1
	global_store_dwordx2 v[4:5], v[6:7], off
.LBB143_647:
	s_mov_b64 s[8:9], 0
.LBB143_648:
	s_and_b64 vcc, exec, s[8:9]
	s_cbranch_vccz .LBB143_664
; %bb.649:
	s_cmp_lt_i32 s14, 27
	s_mov_b64 s[6:7], -1
	s_cbranch_scc1 .LBB143_655
; %bb.650:
	v_cvt_u32_f32_e32 v3, v28
	s_cmp_gt_i32 s14, 27
	s_cbranch_scc0 .LBB143_652
; %bb.651:
	s_mov_b64 s[6:7], 0
	global_store_dword v[4:5], v3, off
.LBB143_652:
	s_andn2_b64 vcc, exec, s[6:7]
	s_cbranch_vccnz .LBB143_654
; %bb.653:
	global_store_short v[4:5], v3, off
.LBB143_654:
	s_mov_b64 s[6:7], 0
.LBB143_655:
	s_andn2_b64 vcc, exec, s[6:7]
	s_cbranch_vccnz .LBB143_663
; %bb.656:
	v_and_b32_e32 v3, 0x7fffffff, v28
	s_mov_b32 s6, 0x43800000
	v_cmp_gt_u32_e32 vcc, s6, v3
	v_mov_b32_e32 v6, 0x80
	s_and_saveexec_b64 s[6:7], vcc
	s_cbranch_execz .LBB143_662
; %bb.657:
	s_mov_b32 s8, 0x3bffffff
	v_cmp_lt_u32_e32 vcc, s8, v3
	s_mov_b64 s[8:9], 0
                                        ; implicit-def: $vgpr3
	s_and_saveexec_b64 s[10:11], vcc
	s_xor_b64 s[10:11], exec, s[10:11]
	s_cbranch_execz .LBB143_994
; %bb.658:
	v_bfe_u32 v3, v28, 20, 1
	s_mov_b32 s15, 0x487ffff
	v_add3_u32 v3, v28, v3, s15
	s_mov_b64 s[8:9], exec
	v_lshrrev_b32_e32 v3, 20, v3
	s_andn2_saveexec_b64 s[10:11], s[10:11]
	s_cbranch_execnz .LBB143_995
.LBB143_659:
	s_or_b64 exec, exec, s[10:11]
	v_mov_b32_e32 v6, 0
	s_and_saveexec_b64 s[10:11], s[8:9]
.LBB143_660:
	v_lshrrev_b32_e32 v6, 24, v28
	s_movk_i32 s8, 0x80
	v_and_or_b32 v6, v6, s8, v3
.LBB143_661:
	s_or_b64 exec, exec, s[10:11]
.LBB143_662:
	s_or_b64 exec, exec, s[6:7]
	global_store_byte v[4:5], v6, off
.LBB143_663:
	s_mov_b64 s[6:7], -1
.LBB143_664:
	s_mov_b64 s[8:9], 0
.LBB143_665:
	s_and_b64 vcc, exec, s[8:9]
	s_cbranch_vccz .LBB143_705
; %bb.666:
	s_cmp_gt_i32 s14, 22
	s_mov_b64 s[4:5], -1
	s_cbranch_scc0 .LBB143_698
; %bb.667:
	s_cmp_lt_i32 s14, 24
	s_cbranch_scc1 .LBB143_687
; %bb.668:
	s_cmp_gt_i32 s14, 24
	s_cbranch_scc0 .LBB143_676
; %bb.669:
	v_and_b32_e32 v3, 0x7fffffff, v28
	s_mov_b32 s4, 0x47800000
	v_cmp_gt_u32_e32 vcc, s4, v3
	v_mov_b32_e32 v6, 0x80
	s_and_saveexec_b64 s[4:5], vcc
	s_cbranch_execz .LBB143_675
; %bb.670:
	s_mov_b32 s6, 0x37ffffff
	v_cmp_lt_u32_e32 vcc, s6, v3
	s_mov_b64 s[6:7], 0
                                        ; implicit-def: $vgpr3
	s_and_saveexec_b64 s[8:9], vcc
	s_xor_b64 s[8:9], exec, s[8:9]
	s_cbranch_execz .LBB143_997
; %bb.671:
	v_bfe_u32 v3, v28, 21, 1
	s_mov_b32 s10, 0x88fffff
	v_add3_u32 v3, v28, v3, s10
	s_mov_b64 s[6:7], exec
	v_lshrrev_b32_e32 v3, 21, v3
	s_andn2_saveexec_b64 s[8:9], s[8:9]
	s_cbranch_execnz .LBB143_998
.LBB143_672:
	s_or_b64 exec, exec, s[8:9]
	v_mov_b32_e32 v6, 0
	s_and_saveexec_b64 s[8:9], s[6:7]
.LBB143_673:
	v_lshrrev_b32_e32 v6, 24, v28
	s_movk_i32 s6, 0x80
	v_and_or_b32 v6, v6, s6, v3
.LBB143_674:
	s_or_b64 exec, exec, s[8:9]
.LBB143_675:
	s_or_b64 exec, exec, s[4:5]
	s_mov_b64 s[4:5], 0
	global_store_byte v[4:5], v6, off
.LBB143_676:
	s_and_b64 vcc, exec, s[4:5]
	s_cbranch_vccz .LBB143_686
; %bb.677:
	v_and_b32_e32 v6, 0x7fffffff, v28
	s_mov_b32 s4, 0x43f00000
	v_cmp_gt_u32_e32 vcc, s4, v6
                                        ; implicit-def: $vgpr3
	s_and_saveexec_b64 s[4:5], vcc
	s_xor_b64 s[4:5], exec, s[4:5]
	s_cbranch_execz .LBB143_683
; %bb.678:
	s_mov_b32 s6, 0x3c7fffff
	v_cmp_lt_u32_e32 vcc, s6, v6
                                        ; implicit-def: $vgpr3
	s_and_saveexec_b64 s[6:7], vcc
	s_xor_b64 s[6:7], exec, s[6:7]
; %bb.679:
	v_bfe_u32 v3, v28, 20, 1
	s_mov_b32 s8, 0x407ffff
	v_add3_u32 v3, v28, v3, s8
	v_lshrrev_b32_e32 v6, 20, v3
	v_and_b32_e32 v3, 0xff00000, v3
	s_mov_b32 s8, 0x7f00000
	v_mov_b32_e32 v7, 0x7e
	v_cmp_ne_u32_e32 vcc, s8, v3
	s_nop 1
	v_cndmask_b32_e32 v3, v7, v6, vcc
; %bb.680:
	s_andn2_saveexec_b64 s[6:7], s[6:7]
; %bb.681:
	s_mov_b32 s8, 0x46800000
	v_add_f32_e64 v3, |v28|, s8
; %bb.682:
	s_or_b64 exec, exec, s[6:7]
                                        ; implicit-def: $vgpr6
.LBB143_683:
	s_andn2_saveexec_b64 s[4:5], s[4:5]
; %bb.684:
	s_mov_b32 s6, 0x7f800000
	v_mov_b32_e32 v3, 0x7e
	v_mov_b32_e32 v7, 0x7f
	v_cmp_lt_u32_e32 vcc, s6, v6
	s_nop 1
	v_cndmask_b32_e32 v3, v3, v7, vcc
; %bb.685:
	s_or_b64 exec, exec, s[4:5]
	v_lshrrev_b32_e32 v6, 24, v28
	s_movk_i32 s4, 0x80
	v_and_or_b32 v3, v6, s4, v3
	global_store_byte v[4:5], v3, off
.LBB143_686:
	s_mov_b64 s[4:5], 0
.LBB143_687:
	s_andn2_b64 vcc, exec, s[4:5]
	s_cbranch_vccnz .LBB143_697
; %bb.688:
	v_and_b32_e32 v6, 0x7fffffff, v28
	s_mov_b32 s4, 0x47800000
	v_cmp_gt_u32_e32 vcc, s4, v6
                                        ; implicit-def: $vgpr3
	s_and_saveexec_b64 s[4:5], vcc
	s_xor_b64 s[4:5], exec, s[4:5]
	s_cbranch_execz .LBB143_694
; %bb.689:
	s_mov_b32 s6, 0x387fffff
	v_cmp_lt_u32_e32 vcc, s6, v6
                                        ; implicit-def: $vgpr3
	s_and_saveexec_b64 s[6:7], vcc
	s_xor_b64 s[6:7], exec, s[6:7]
; %bb.690:
	v_bfe_u32 v3, v28, 21, 1
	s_mov_b32 s8, 0x80fffff
	v_add3_u32 v3, v28, v3, s8
	v_lshrrev_b32_e32 v3, 21, v3
; %bb.691:
	s_andn2_saveexec_b64 s[6:7], s[6:7]
; %bb.692:
	s_mov_b32 s8, 0x43000000
	v_add_f32_e64 v3, |v28|, s8
; %bb.693:
	s_or_b64 exec, exec, s[6:7]
                                        ; implicit-def: $vgpr6
.LBB143_694:
	s_andn2_saveexec_b64 s[4:5], s[4:5]
; %bb.695:
	s_mov_b32 s6, 0x7f800000
	v_mov_b32_e32 v3, 0x7c
	v_mov_b32_e32 v7, 0x7f
	v_cmp_lt_u32_e32 vcc, s6, v6
	s_nop 1
	v_cndmask_b32_e32 v3, v3, v7, vcc
; %bb.696:
	s_or_b64 exec, exec, s[4:5]
	v_lshrrev_b32_e32 v6, 24, v28
	s_movk_i32 s4, 0x80
	v_and_or_b32 v3, v6, s4, v3
	global_store_byte v[4:5], v3, off
.LBB143_697:
	s_mov_b64 s[4:5], 0
	s_mov_b64 s[6:7], -1
.LBB143_698:
	s_andn2_b64 vcc, exec, s[4:5]
	s_mov_b64 s[4:5], 0
	s_cbranch_vccnz .LBB143_705
; %bb.699:
	s_cmp_gt_i32 s14, 14
	s_mov_b64 s[8:9], -1
	s_cbranch_scc0 .LBB143_703
; %bb.700:
	s_cmp_eq_u32 s14, 15
	s_mov_b64 s[0:1], -1
	s_cbranch_scc0 .LBB143_702
; %bb.701:
	v_bfe_u32 v3, v28, 16, 1
	s_movk_i32 s0, 0x7fff
	v_add3_u32 v3, v28, v3, s0
	v_cmp_o_f32_e32 vcc, v28, v28
	v_mov_b32_e32 v6, 0x7fc0
	s_mov_b64 s[0:1], 0
	v_cndmask_b32_sdwa v3, v6, v3, vcc dst_sel:DWORD dst_unused:UNUSED_PAD src0_sel:DWORD src1_sel:WORD_1
	global_store_short v[4:5], v3, off
	s_mov_b64 s[6:7], -1
.LBB143_702:
	s_mov_b64 s[8:9], 0
.LBB143_703:
	s_and_b64 vcc, exec, s[8:9]
	s_cbranch_vccz .LBB143_705
; %bb.704:
	s_cmp_lg_u32 s14, 11
	s_mov_b64 s[4:5], -1
	s_cselect_b64 s[0:1], -1, 0
.LBB143_705:
	s_and_b64 vcc, exec, s[0:1]
	s_cbranch_vccnz .LBB143_996
; %bb.706:
	s_andn2_b64 vcc, exec, s[4:5]
	s_cbranch_vccnz .LBB143_708
.LBB143_707:
	s_brev_b32 s0, -2
	v_bitop3_b32 v3, v28, s0, v29 bitop3:0xc8
	v_cmp_ne_u32_e32 vcc, 0, v3
	s_mov_b64 s[6:7], -1
	s_nop 0
	v_cndmask_b32_e64 v3, 0, 1, vcc
	global_store_byte v[4:5], v3, off
.LBB143_708:
.LBB143_709:
	s_andn2_b64 vcc, exec, s[6:7]
	s_cbranch_vccz .LBB143_749
	s_branch .LBB143_943
.LBB143_710:
	s_mov_b64 s[6:7], 0
	s_cbranch_execz .LBB143_709
; %bb.711:
	s_and_b32 s4, 0xffff, s12
	s_cmp_lt_i32 s4, 5
	s_mov_b64 s[0:1], -1
	s_cbranch_scc1 .LBB143_732
; %bb.712:
	s_cmp_lt_i32 s4, 8
	s_cbranch_scc1 .LBB143_722
; %bb.713:
	s_cmp_lt_i32 s4, 9
	s_cbranch_scc1 .LBB143_719
; %bb.714:
	s_cmp_gt_i32 s4, 9
	s_cbranch_scc0 .LBB143_716
; %bb.715:
	v_cvt_f64_f32_e32 v[6:7], v28
	v_cvt_f64_f32_e32 v[8:9], v29
	global_store_dwordx4 v[4:5], v[6:9], off
	s_mov_b64 s[0:1], 0
.LBB143_716:
	s_andn2_b64 vcc, exec, s[0:1]
	s_cbranch_vccnz .LBB143_718
; %bb.717:
	global_store_dwordx2 v[4:5], v[28:29], off
.LBB143_718:
	s_mov_b64 s[0:1], 0
.LBB143_719:
	s_andn2_b64 vcc, exec, s[0:1]
	s_cbranch_vccnz .LBB143_721
; %bb.720:
	v_cvt_f16_f32_e32 v3, v28
	v_cvt_f16_f32_sdwa v6, v29 dst_sel:WORD_1 dst_unused:UNUSED_PAD src0_sel:DWORD
	s_nop 0
	v_or_b32_e32 v3, v6, v3
	global_store_dword v[4:5], v3, off
.LBB143_721:
	s_mov_b64 s[0:1], 0
.LBB143_722:
	s_andn2_b64 vcc, exec, s[0:1]
	s_cbranch_vccnz .LBB143_731
; %bb.723:
	s_cmp_lt_i32 s4, 6
	s_mov_b64 s[0:1], -1
	s_cbranch_scc1 .LBB143_729
; %bb.724:
	s_cmp_gt_i32 s4, 6
	s_cbranch_scc0 .LBB143_726
; %bb.725:
	v_cvt_f64_f32_e32 v[6:7], v28
	global_store_dwordx2 v[4:5], v[6:7], off
	s_mov_b64 s[0:1], 0
.LBB143_726:
	s_andn2_b64 vcc, exec, s[0:1]
	s_cbranch_vccnz .LBB143_728
; %bb.727:
	global_store_dword v[4:5], v28, off
.LBB143_728:
	s_mov_b64 s[0:1], 0
.LBB143_729:
	s_andn2_b64 vcc, exec, s[0:1]
	s_cbranch_vccnz .LBB143_731
; %bb.730:
	v_cvt_f16_f32_e32 v3, v28
	global_store_short v[4:5], v3, off
.LBB143_731:
	s_mov_b64 s[0:1], 0
.LBB143_732:
	s_andn2_b64 vcc, exec, s[0:1]
	s_cbranch_vccnz .LBB143_748
; %bb.733:
	s_cmp_lt_i32 s4, 2
	s_mov_b64 s[0:1], -1
	s_cbranch_scc1 .LBB143_743
; %bb.734:
	s_cmp_lt_i32 s4, 3
	s_cbranch_scc1 .LBB143_740
; %bb.735:
	s_cmp_gt_i32 s4, 3
	s_cbranch_scc0 .LBB143_737
; %bb.736:
	v_trunc_f32_e32 v3, v28
	s_mov_b32 s0, 0x2f800000
	v_mul_f32_e64 v6, |v3|, s0
	v_floor_f32_e32 v6, v6
	s_mov_b32 s0, 0xcf800000
	v_cvt_u32_f32_e32 v7, v6
	v_fma_f32 v6, v6, s0, |v3|
	v_cvt_u32_f32_e32 v6, v6
	v_ashrrev_i32_e32 v3, 31, v3
	v_xor_b32_e32 v7, v7, v3
	s_mov_b64 s[0:1], 0
	v_xor_b32_e32 v6, v6, v3
	v_sub_co_u32_e32 v6, vcc, v6, v3
	s_nop 1
	v_subb_co_u32_e32 v7, vcc, v7, v3, vcc
	global_store_dwordx2 v[4:5], v[6:7], off
.LBB143_737:
	s_andn2_b64 vcc, exec, s[0:1]
	s_cbranch_vccnz .LBB143_739
; %bb.738:
	v_cvt_i32_f32_e32 v3, v28
	global_store_dword v[4:5], v3, off
.LBB143_739:
	s_mov_b64 s[0:1], 0
.LBB143_740:
	s_andn2_b64 vcc, exec, s[0:1]
	s_cbranch_vccnz .LBB143_742
; %bb.741:
	v_cvt_i32_f32_e32 v3, v28
	global_store_short v[4:5], v3, off
.LBB143_742:
	s_mov_b64 s[0:1], 0
.LBB143_743:
	s_andn2_b64 vcc, exec, s[0:1]
	s_cbranch_vccnz .LBB143_748
; %bb.744:
	s_cmp_gt_i32 s4, 0
	s_mov_b64 s[0:1], -1
	s_cbranch_scc0 .LBB143_746
; %bb.745:
	v_cvt_i32_f32_e32 v3, v28
	s_mov_b64 s[0:1], 0
	global_store_byte v[4:5], v3, off
.LBB143_746:
	s_andn2_b64 vcc, exec, s[0:1]
	s_cbranch_vccnz .LBB143_748
; %bb.747:
	v_trunc_f32_e32 v3, v28
	s_mov_b32 s0, 0x2f800000
	v_mul_f32_e64 v6, |v3|, s0
	v_floor_f32_e32 v6, v6
	s_mov_b32 s0, 0xcf800000
	v_fma_f32 v6, v6, s0, |v3|
	v_cvt_u32_f32_e32 v6, v6
	v_ashrrev_i32_e32 v3, 31, v3
	v_xor_b32_e32 v6, v6, v3
	v_sub_u32_e32 v3, v6, v3
	global_store_byte v[4:5], v3, off
.LBB143_748:
.LBB143_749:
	v_add_u32_e32 v2, s13, v2
	v_ashrrev_i32_e32 v3, 31, v2
	s_cmp_lt_i32 s12, 11
	v_lshl_add_u64 v[4:5], s[24:25], 0, v[2:3]
	s_cbranch_scc1 .LBB143_904
; %bb.750:
	s_and_b32 s14, 0xffff, s12
	s_mov_b64 s[8:9], -1
	s_mov_b64 s[4:5], 0
	s_cmp_gt_i32 s14, 25
	s_mov_b64 s[6:7], 0
	s_mov_b64 s[0:1], 0
	s_cbranch_scc0 .LBB143_783
; %bb.751:
	s_cmp_gt_i32 s14, 28
	s_cbranch_scc0 .LBB143_766
; %bb.752:
	s_cmp_gt_i32 s14, 43
	s_cbranch_scc0 .LBB143_762
; %bb.753:
	s_cmp_gt_i32 s14, 45
	s_cbranch_scc0 .LBB143_756
; %bb.754:
	s_mov_b64 s[0:1], -1
	s_mov_b64 s[8:9], 0
	s_cmp_eq_u32 s14, 46
	s_cbranch_scc0 .LBB143_756
; %bb.755:
	s_movk_i32 s0, 0x7fff
	v_bfe_u32 v6, v27, 16, 1
	v_add3_u32 v6, v27, v6, s0
	v_bfe_u32 v3, v26, 16, 1
	v_and_b32_e32 v6, 0xffff0000, v6
	v_mov_b32_e32 v7, 0x7fc00000
	v_cmp_o_f32_e32 vcc, v27, v27
	v_add3_u32 v3, v26, v3, s0
	s_mov_b64 s[0:1], 0
	v_cndmask_b32_e32 v6, v7, v6, vcc
	v_cmp_o_f32_e32 vcc, v26, v26
	v_mov_b32_e32 v7, 0x7fc0
	s_mov_b64 s[6:7], -1
	v_cndmask_b32_sdwa v3, v7, v3, vcc dst_sel:DWORD dst_unused:UNUSED_PAD src0_sel:DWORD src1_sel:WORD_1
	v_or_b32_e32 v3, v6, v3
	global_store_dword v[4:5], v3, off
.LBB143_756:
	s_and_b64 vcc, exec, s[8:9]
	s_cbranch_vccz .LBB143_761
; %bb.757:
	s_cmp_eq_u32 s14, 44
	s_mov_b64 s[0:1], -1
	s_cbranch_scc0 .LBB143_761
; %bb.758:
	v_bfe_u32 v3, v26, 23, 8
	s_movk_i32 s0, 0xff
	v_cmp_ne_u32_e32 vcc, s0, v3
	v_mov_b32_e32 v6, 0xff
	s_and_saveexec_b64 s[6:7], vcc
; %bb.759:
	s_mov_b32 s0, 0x3fffff
	v_and_b32_e32 v7, 0x400000, v26
	v_and_or_b32 v3, v26, s0, v3
	v_cmp_ne_u32_e32 vcc, 0, v7
	v_cmp_ne_u32_e64 s[0:1], 0, v3
	s_and_b64 s[0:1], vcc, s[0:1]
	v_lshrrev_b32_e32 v6, 23, v26
	v_cndmask_b32_e64 v3, 0, 1, s[0:1]
	v_add_u32_e32 v6, v6, v3
; %bb.760:
	s_or_b64 exec, exec, s[6:7]
	s_mov_b64 s[0:1], 0
	s_mov_b64 s[6:7], -1
	global_store_byte v[4:5], v6, off
.LBB143_761:
	s_mov_b64 s[8:9], 0
.LBB143_762:
	s_and_b64 vcc, exec, s[8:9]
	s_cbranch_vccz .LBB143_765
; %bb.763:
	s_cmp_eq_u32 s14, 29
	s_mov_b64 s[0:1], -1
	s_cbranch_scc0 .LBB143_765
; %bb.764:
	v_trunc_f32_e32 v3, v26
	v_mul_f32_e32 v6, 0x2f800000, v3
	v_floor_f32_e32 v6, v6
	v_fmamk_f32 v3, v6, 0xcf800000, v3
	v_cvt_u32_f32_e32 v7, v6
	v_cvt_u32_f32_e32 v6, v3
	s_mov_b64 s[0:1], 0
	s_mov_b64 s[6:7], -1
	global_store_dwordx2 v[4:5], v[6:7], off
.LBB143_765:
	s_mov_b64 s[8:9], 0
.LBB143_766:
	s_and_b64 vcc, exec, s[8:9]
	s_cbranch_vccz .LBB143_782
; %bb.767:
	s_cmp_lt_i32 s14, 27
	s_mov_b64 s[6:7], -1
	s_cbranch_scc1 .LBB143_773
; %bb.768:
	v_cvt_u32_f32_e32 v3, v26
	s_cmp_gt_i32 s14, 27
	s_cbranch_scc0 .LBB143_770
; %bb.769:
	s_mov_b64 s[6:7], 0
	global_store_dword v[4:5], v3, off
.LBB143_770:
	s_andn2_b64 vcc, exec, s[6:7]
	s_cbranch_vccnz .LBB143_772
; %bb.771:
	global_store_short v[4:5], v3, off
.LBB143_772:
	s_mov_b64 s[6:7], 0
.LBB143_773:
	s_andn2_b64 vcc, exec, s[6:7]
	s_cbranch_vccnz .LBB143_781
; %bb.774:
	v_and_b32_e32 v3, 0x7fffffff, v26
	s_mov_b32 s6, 0x43800000
	v_cmp_gt_u32_e32 vcc, s6, v3
	v_mov_b32_e32 v6, 0x80
	s_and_saveexec_b64 s[6:7], vcc
	s_cbranch_execz .LBB143_780
; %bb.775:
	s_mov_b32 s8, 0x3bffffff
	v_cmp_lt_u32_e32 vcc, s8, v3
	s_mov_b64 s[8:9], 0
                                        ; implicit-def: $vgpr3
	s_and_saveexec_b64 s[10:11], vcc
	s_xor_b64 s[10:11], exec, s[10:11]
	s_cbranch_execz .LBB143_999
; %bb.776:
	v_bfe_u32 v3, v26, 20, 1
	s_mov_b32 s15, 0x487ffff
	v_add3_u32 v3, v26, v3, s15
	s_mov_b64 s[8:9], exec
	v_lshrrev_b32_e32 v3, 20, v3
	s_andn2_saveexec_b64 s[10:11], s[10:11]
	s_cbranch_execnz .LBB143_1000
.LBB143_777:
	s_or_b64 exec, exec, s[10:11]
	v_mov_b32_e32 v6, 0
	s_and_saveexec_b64 s[10:11], s[8:9]
.LBB143_778:
	v_lshrrev_b32_e32 v6, 24, v26
	s_movk_i32 s8, 0x80
	v_and_or_b32 v6, v6, s8, v3
.LBB143_779:
	s_or_b64 exec, exec, s[10:11]
.LBB143_780:
	s_or_b64 exec, exec, s[6:7]
	global_store_byte v[4:5], v6, off
.LBB143_781:
	s_mov_b64 s[6:7], -1
.LBB143_782:
	s_mov_b64 s[8:9], 0
.LBB143_783:
	s_and_b64 vcc, exec, s[8:9]
	s_cbranch_vccz .LBB143_823
; %bb.784:
	s_cmp_gt_i32 s14, 22
	s_mov_b64 s[4:5], -1
	s_cbranch_scc0 .LBB143_816
; %bb.785:
	s_cmp_lt_i32 s14, 24
	s_cbranch_scc1 .LBB143_805
; %bb.786:
	s_cmp_gt_i32 s14, 24
	s_cbranch_scc0 .LBB143_794
; %bb.787:
	v_and_b32_e32 v3, 0x7fffffff, v26
	s_mov_b32 s4, 0x47800000
	v_cmp_gt_u32_e32 vcc, s4, v3
	v_mov_b32_e32 v6, 0x80
	s_and_saveexec_b64 s[4:5], vcc
	s_cbranch_execz .LBB143_793
; %bb.788:
	s_mov_b32 s6, 0x37ffffff
	v_cmp_lt_u32_e32 vcc, s6, v3
	s_mov_b64 s[6:7], 0
                                        ; implicit-def: $vgpr3
	s_and_saveexec_b64 s[8:9], vcc
	s_xor_b64 s[8:9], exec, s[8:9]
	s_cbranch_execz .LBB143_1002
; %bb.789:
	v_bfe_u32 v3, v26, 21, 1
	s_mov_b32 s10, 0x88fffff
	v_add3_u32 v3, v26, v3, s10
	s_mov_b64 s[6:7], exec
	v_lshrrev_b32_e32 v3, 21, v3
	s_andn2_saveexec_b64 s[8:9], s[8:9]
	s_cbranch_execnz .LBB143_1003
.LBB143_790:
	s_or_b64 exec, exec, s[8:9]
	v_mov_b32_e32 v6, 0
	s_and_saveexec_b64 s[8:9], s[6:7]
.LBB143_791:
	v_lshrrev_b32_e32 v6, 24, v26
	s_movk_i32 s6, 0x80
	v_and_or_b32 v6, v6, s6, v3
.LBB143_792:
	s_or_b64 exec, exec, s[8:9]
.LBB143_793:
	s_or_b64 exec, exec, s[4:5]
	s_mov_b64 s[4:5], 0
	global_store_byte v[4:5], v6, off
.LBB143_794:
	s_and_b64 vcc, exec, s[4:5]
	s_cbranch_vccz .LBB143_804
; %bb.795:
	v_and_b32_e32 v6, 0x7fffffff, v26
	s_mov_b32 s4, 0x43f00000
	v_cmp_gt_u32_e32 vcc, s4, v6
                                        ; implicit-def: $vgpr3
	s_and_saveexec_b64 s[4:5], vcc
	s_xor_b64 s[4:5], exec, s[4:5]
	s_cbranch_execz .LBB143_801
; %bb.796:
	s_mov_b32 s6, 0x3c7fffff
	v_cmp_lt_u32_e32 vcc, s6, v6
                                        ; implicit-def: $vgpr3
	s_and_saveexec_b64 s[6:7], vcc
	s_xor_b64 s[6:7], exec, s[6:7]
; %bb.797:
	v_bfe_u32 v3, v26, 20, 1
	s_mov_b32 s8, 0x407ffff
	v_add3_u32 v3, v26, v3, s8
	v_lshrrev_b32_e32 v6, 20, v3
	v_and_b32_e32 v3, 0xff00000, v3
	s_mov_b32 s8, 0x7f00000
	v_mov_b32_e32 v7, 0x7e
	v_cmp_ne_u32_e32 vcc, s8, v3
	s_nop 1
	v_cndmask_b32_e32 v3, v7, v6, vcc
; %bb.798:
	s_andn2_saveexec_b64 s[6:7], s[6:7]
; %bb.799:
	s_mov_b32 s8, 0x46800000
	v_add_f32_e64 v3, |v26|, s8
; %bb.800:
	s_or_b64 exec, exec, s[6:7]
                                        ; implicit-def: $vgpr6
.LBB143_801:
	s_andn2_saveexec_b64 s[4:5], s[4:5]
; %bb.802:
	s_mov_b32 s6, 0x7f800000
	v_mov_b32_e32 v3, 0x7e
	v_mov_b32_e32 v7, 0x7f
	v_cmp_lt_u32_e32 vcc, s6, v6
	s_nop 1
	v_cndmask_b32_e32 v3, v3, v7, vcc
; %bb.803:
	s_or_b64 exec, exec, s[4:5]
	v_lshrrev_b32_e32 v6, 24, v26
	s_movk_i32 s4, 0x80
	v_and_or_b32 v3, v6, s4, v3
	global_store_byte v[4:5], v3, off
.LBB143_804:
	s_mov_b64 s[4:5], 0
.LBB143_805:
	s_andn2_b64 vcc, exec, s[4:5]
	s_cbranch_vccnz .LBB143_815
; %bb.806:
	v_and_b32_e32 v6, 0x7fffffff, v26
	s_mov_b32 s4, 0x47800000
	v_cmp_gt_u32_e32 vcc, s4, v6
                                        ; implicit-def: $vgpr3
	s_and_saveexec_b64 s[4:5], vcc
	s_xor_b64 s[4:5], exec, s[4:5]
	s_cbranch_execz .LBB143_812
; %bb.807:
	s_mov_b32 s6, 0x387fffff
	v_cmp_lt_u32_e32 vcc, s6, v6
                                        ; implicit-def: $vgpr3
	s_and_saveexec_b64 s[6:7], vcc
	s_xor_b64 s[6:7], exec, s[6:7]
; %bb.808:
	v_bfe_u32 v3, v26, 21, 1
	s_mov_b32 s8, 0x80fffff
	v_add3_u32 v3, v26, v3, s8
	v_lshrrev_b32_e32 v3, 21, v3
; %bb.809:
	s_andn2_saveexec_b64 s[6:7], s[6:7]
; %bb.810:
	s_mov_b32 s8, 0x43000000
	v_add_f32_e64 v3, |v26|, s8
; %bb.811:
	s_or_b64 exec, exec, s[6:7]
                                        ; implicit-def: $vgpr6
.LBB143_812:
	s_andn2_saveexec_b64 s[4:5], s[4:5]
; %bb.813:
	s_mov_b32 s6, 0x7f800000
	v_mov_b32_e32 v3, 0x7c
	v_mov_b32_e32 v7, 0x7f
	v_cmp_lt_u32_e32 vcc, s6, v6
	s_nop 1
	v_cndmask_b32_e32 v3, v3, v7, vcc
; %bb.814:
	s_or_b64 exec, exec, s[4:5]
	v_lshrrev_b32_e32 v6, 24, v26
	s_movk_i32 s4, 0x80
	v_and_or_b32 v3, v6, s4, v3
	global_store_byte v[4:5], v3, off
.LBB143_815:
	s_mov_b64 s[4:5], 0
	s_mov_b64 s[6:7], -1
.LBB143_816:
	s_andn2_b64 vcc, exec, s[4:5]
	s_mov_b64 s[4:5], 0
	s_cbranch_vccnz .LBB143_823
; %bb.817:
	s_cmp_gt_i32 s14, 14
	s_mov_b64 s[8:9], -1
	s_cbranch_scc0 .LBB143_821
; %bb.818:
	s_cmp_eq_u32 s14, 15
	s_mov_b64 s[0:1], -1
	s_cbranch_scc0 .LBB143_820
; %bb.819:
	v_bfe_u32 v3, v26, 16, 1
	s_movk_i32 s0, 0x7fff
	v_add3_u32 v3, v26, v3, s0
	v_cmp_o_f32_e32 vcc, v26, v26
	v_mov_b32_e32 v6, 0x7fc0
	s_mov_b64 s[0:1], 0
	v_cndmask_b32_sdwa v3, v6, v3, vcc dst_sel:DWORD dst_unused:UNUSED_PAD src0_sel:DWORD src1_sel:WORD_1
	global_store_short v[4:5], v3, off
	s_mov_b64 s[6:7], -1
.LBB143_820:
	s_mov_b64 s[8:9], 0
.LBB143_821:
	s_and_b64 vcc, exec, s[8:9]
	s_cbranch_vccz .LBB143_823
; %bb.822:
	s_cmp_lg_u32 s14, 11
	s_mov_b64 s[4:5], -1
	s_cselect_b64 s[0:1], -1, 0
.LBB143_823:
	s_and_b64 vcc, exec, s[0:1]
	s_cbranch_vccnz .LBB143_1001
; %bb.824:
	s_andn2_b64 vcc, exec, s[4:5]
	s_cbranch_vccnz .LBB143_826
.LBB143_825:
	s_brev_b32 s0, -2
	v_bitop3_b32 v3, v26, s0, v27 bitop3:0xc8
	v_cmp_ne_u32_e32 vcc, 0, v3
	s_mov_b64 s[6:7], -1
	s_nop 0
	v_cndmask_b32_e64 v3, 0, 1, vcc
	global_store_byte v[4:5], v3, off
.LBB143_826:
.LBB143_827:
	s_andn2_b64 vcc, exec, s[6:7]
	s_cbranch_vccnz .LBB143_943
.LBB143_828:
	v_add_u32_e32 v2, s13, v2
	v_ashrrev_i32_e32 v3, 31, v2
	s_cmp_lt_i32 s12, 11
	v_lshl_add_u64 v[2:3], s[24:25], 0, v[2:3]
	s_cbranch_scc1 .LBB143_988
; %bb.829:
	s_and_b32 s13, 0xffff, s12
	s_mov_b64 s[6:7], -1
	s_mov_b64 s[4:5], 0
	s_cmp_gt_i32 s13, 25
	s_mov_b64 s[0:1], 0
	s_cbranch_scc0 .LBB143_862
; %bb.830:
	s_cmp_gt_i32 s13, 28
	s_cbranch_scc0 .LBB143_846
; %bb.831:
	s_cmp_gt_i32 s13, 43
	;; [unrolled: 3-line block ×3, first 2 shown]
	s_cbranch_scc0 .LBB143_836
; %bb.833:
	s_cmp_eq_u32 s13, 46
	s_mov_b64 s[0:1], -1
	s_cbranch_scc0 .LBB143_835
; %bb.834:
	s_movk_i32 s0, 0x7fff
	v_bfe_u32 v5, v1, 16, 1
	v_add3_u32 v5, v1, v5, s0
	v_bfe_u32 v4, v0, 16, 1
	v_and_b32_e32 v5, 0xffff0000, v5
	v_mov_b32_e32 v6, 0x7fc00000
	v_cmp_o_f32_e32 vcc, v1, v1
	v_add3_u32 v4, v0, v4, s0
	s_mov_b64 s[0:1], 0
	v_cndmask_b32_e32 v5, v6, v5, vcc
	v_cmp_o_f32_e32 vcc, v0, v0
	v_mov_b32_e32 v6, 0x7fc0
	s_nop 0
	v_cndmask_b32_sdwa v4, v6, v4, vcc dst_sel:DWORD dst_unused:UNUSED_PAD src0_sel:DWORD src1_sel:WORD_1
	v_or_b32_e32 v4, v5, v4
	global_store_dword v[2:3], v4, off
.LBB143_835:
	s_mov_b64 s[6:7], 0
.LBB143_836:
	s_and_b64 vcc, exec, s[6:7]
	s_cbranch_vccz .LBB143_841
; %bb.837:
	s_cmp_eq_u32 s13, 44
	s_mov_b64 s[0:1], -1
	s_cbranch_scc0 .LBB143_841
; %bb.838:
	v_bfe_u32 v4, v0, 23, 8
	s_movk_i32 s0, 0xff
	v_cmp_ne_u32_e32 vcc, s0, v4
	v_mov_b32_e32 v5, 0xff
	s_and_saveexec_b64 s[6:7], vcc
; %bb.839:
	s_mov_b32 s0, 0x3fffff
	v_and_b32_e32 v6, 0x400000, v0
	v_and_or_b32 v4, v0, s0, v4
	v_cmp_ne_u32_e32 vcc, 0, v6
	v_cmp_ne_u32_e64 s[0:1], 0, v4
	s_and_b64 s[0:1], vcc, s[0:1]
	v_lshrrev_b32_e32 v5, 23, v0
	v_cndmask_b32_e64 v4, 0, 1, s[0:1]
	v_add_u32_e32 v5, v5, v4
; %bb.840:
	s_or_b64 exec, exec, s[6:7]
	s_mov_b64 s[0:1], 0
	global_store_byte v[2:3], v5, off
.LBB143_841:
	s_mov_b64 s[6:7], 0
.LBB143_842:
	s_and_b64 vcc, exec, s[6:7]
	s_cbranch_vccz .LBB143_845
; %bb.843:
	s_cmp_eq_u32 s13, 29
	s_mov_b64 s[0:1], -1
	s_cbranch_scc0 .LBB143_845
; %bb.844:
	v_trunc_f32_e32 v4, v0
	v_mul_f32_e32 v5, 0x2f800000, v4
	v_floor_f32_e32 v6, v5
	v_fmamk_f32 v4, v6, 0xcf800000, v4
	v_cvt_u32_f32_e32 v5, v6
	v_cvt_u32_f32_e32 v4, v4
	s_mov_b64 s[0:1], 0
	global_store_dwordx2 v[2:3], v[4:5], off
.LBB143_845:
	s_mov_b64 s[6:7], 0
.LBB143_846:
	s_and_b64 vcc, exec, s[6:7]
	s_cbranch_vccz .LBB143_861
; %bb.847:
	s_cmp_lt_i32 s13, 27
	s_mov_b64 s[6:7], -1
	s_cbranch_scc1 .LBB143_853
; %bb.848:
	v_cvt_u32_f32_e32 v4, v0
	s_cmp_gt_i32 s13, 27
	s_cbranch_scc0 .LBB143_850
; %bb.849:
	global_store_dword v[2:3], v4, off
	s_mov_b64 s[6:7], 0
.LBB143_850:
	s_andn2_b64 vcc, exec, s[6:7]
	s_cbranch_vccnz .LBB143_852
; %bb.851:
	global_store_short v[2:3], v4, off
.LBB143_852:
	s_mov_b64 s[6:7], 0
.LBB143_853:
	s_andn2_b64 vcc, exec, s[6:7]
	s_cbranch_vccnz .LBB143_861
; %bb.854:
	v_and_b32_e32 v4, 0x7fffffff, v0
	s_mov_b32 s6, 0x43800000
	v_cmp_gt_u32_e32 vcc, s6, v4
	v_mov_b32_e32 v5, 0x80
	s_and_saveexec_b64 s[6:7], vcc
	s_cbranch_execz .LBB143_860
; %bb.855:
	s_mov_b32 s8, 0x3bffffff
	v_cmp_lt_u32_e32 vcc, s8, v4
	s_mov_b64 s[8:9], 0
                                        ; implicit-def: $vgpr4
	s_and_saveexec_b64 s[10:11], vcc
	s_xor_b64 s[10:11], exec, s[10:11]
	s_cbranch_execz .LBB143_1004
; %bb.856:
	v_bfe_u32 v4, v0, 20, 1
	s_mov_b32 s14, 0x487ffff
	v_add3_u32 v4, v0, v4, s14
	s_mov_b64 s[8:9], exec
	v_lshrrev_b32_e32 v4, 20, v4
	s_andn2_saveexec_b64 s[10:11], s[10:11]
	s_cbranch_execnz .LBB143_1005
.LBB143_857:
	s_or_b64 exec, exec, s[10:11]
	v_mov_b32_e32 v5, 0
	s_and_saveexec_b64 s[10:11], s[8:9]
.LBB143_858:
	v_lshrrev_b32_e32 v5, 24, v0
	s_movk_i32 s8, 0x80
	v_and_or_b32 v5, v5, s8, v4
.LBB143_859:
	s_or_b64 exec, exec, s[10:11]
.LBB143_860:
	s_or_b64 exec, exec, s[6:7]
	global_store_byte v[2:3], v5, off
.LBB143_861:
	s_mov_b64 s[6:7], 0
.LBB143_862:
	s_and_b64 vcc, exec, s[6:7]
	s_cbranch_vccz .LBB143_902
; %bb.863:
	s_cmp_gt_i32 s13, 22
	s_mov_b64 s[4:5], -1
	s_cbranch_scc0 .LBB143_895
; %bb.864:
	s_cmp_lt_i32 s13, 24
	s_cbranch_scc1 .LBB143_884
; %bb.865:
	s_cmp_gt_i32 s13, 24
	s_cbranch_scc0 .LBB143_873
; %bb.866:
	v_and_b32_e32 v4, 0x7fffffff, v0
	s_mov_b32 s4, 0x47800000
	v_cmp_gt_u32_e32 vcc, s4, v4
	v_mov_b32_e32 v5, 0x80
	s_and_saveexec_b64 s[4:5], vcc
	s_cbranch_execz .LBB143_872
; %bb.867:
	s_mov_b32 s6, 0x37ffffff
	v_cmp_lt_u32_e32 vcc, s6, v4
	s_mov_b64 s[6:7], 0
                                        ; implicit-def: $vgpr4
	s_and_saveexec_b64 s[8:9], vcc
	s_xor_b64 s[8:9], exec, s[8:9]
	s_cbranch_execz .LBB143_1009
; %bb.868:
	v_bfe_u32 v4, v0, 21, 1
	s_mov_b32 s10, 0x88fffff
	v_add3_u32 v4, v0, v4, s10
	s_mov_b64 s[6:7], exec
	v_lshrrev_b32_e32 v4, 21, v4
	s_andn2_saveexec_b64 s[8:9], s[8:9]
	s_cbranch_execnz .LBB143_1010
.LBB143_869:
	s_or_b64 exec, exec, s[8:9]
	v_mov_b32_e32 v5, 0
	s_and_saveexec_b64 s[8:9], s[6:7]
.LBB143_870:
	v_lshrrev_b32_e32 v5, 24, v0
	s_movk_i32 s6, 0x80
	v_and_or_b32 v5, v5, s6, v4
.LBB143_871:
	s_or_b64 exec, exec, s[8:9]
.LBB143_872:
	s_or_b64 exec, exec, s[4:5]
	s_mov_b64 s[4:5], 0
	global_store_byte v[2:3], v5, off
.LBB143_873:
	s_and_b64 vcc, exec, s[4:5]
	s_cbranch_vccz .LBB143_883
; %bb.874:
	v_and_b32_e32 v5, 0x7fffffff, v0
	s_mov_b32 s4, 0x43f00000
	v_cmp_gt_u32_e32 vcc, s4, v5
                                        ; implicit-def: $vgpr4
	s_and_saveexec_b64 s[4:5], vcc
	s_xor_b64 s[4:5], exec, s[4:5]
	s_cbranch_execz .LBB143_880
; %bb.875:
	s_mov_b32 s6, 0x3c7fffff
	v_cmp_lt_u32_e32 vcc, s6, v5
                                        ; implicit-def: $vgpr4
	s_and_saveexec_b64 s[6:7], vcc
	s_xor_b64 s[6:7], exec, s[6:7]
; %bb.876:
	v_bfe_u32 v4, v0, 20, 1
	s_mov_b32 s8, 0x407ffff
	v_add3_u32 v4, v0, v4, s8
	v_lshrrev_b32_e32 v5, 20, v4
	v_and_b32_e32 v4, 0xff00000, v4
	s_mov_b32 s8, 0x7f00000
	v_mov_b32_e32 v6, 0x7e
	v_cmp_ne_u32_e32 vcc, s8, v4
	s_nop 1
	v_cndmask_b32_e32 v4, v6, v5, vcc
; %bb.877:
	s_andn2_saveexec_b64 s[6:7], s[6:7]
; %bb.878:
	s_mov_b32 s8, 0x46800000
	v_add_f32_e64 v4, |v0|, s8
; %bb.879:
	s_or_b64 exec, exec, s[6:7]
                                        ; implicit-def: $vgpr5
.LBB143_880:
	s_andn2_saveexec_b64 s[4:5], s[4:5]
; %bb.881:
	s_mov_b32 s6, 0x7f800000
	v_mov_b32_e32 v4, 0x7e
	v_mov_b32_e32 v6, 0x7f
	v_cmp_lt_u32_e32 vcc, s6, v5
	s_nop 1
	v_cndmask_b32_e32 v4, v4, v6, vcc
; %bb.882:
	s_or_b64 exec, exec, s[4:5]
	v_lshrrev_b32_e32 v5, 24, v0
	s_movk_i32 s4, 0x80
	v_and_or_b32 v4, v5, s4, v4
	global_store_byte v[2:3], v4, off
.LBB143_883:
	s_mov_b64 s[4:5], 0
.LBB143_884:
	s_andn2_b64 vcc, exec, s[4:5]
	s_cbranch_vccnz .LBB143_894
; %bb.885:
	v_and_b32_e32 v5, 0x7fffffff, v0
	s_mov_b32 s4, 0x47800000
	v_cmp_gt_u32_e32 vcc, s4, v5
                                        ; implicit-def: $vgpr4
	s_and_saveexec_b64 s[4:5], vcc
	s_xor_b64 s[4:5], exec, s[4:5]
	s_cbranch_execz .LBB143_891
; %bb.886:
	s_mov_b32 s6, 0x387fffff
	v_cmp_lt_u32_e32 vcc, s6, v5
                                        ; implicit-def: $vgpr4
	s_and_saveexec_b64 s[6:7], vcc
	s_xor_b64 s[6:7], exec, s[6:7]
; %bb.887:
	v_bfe_u32 v4, v0, 21, 1
	s_mov_b32 s8, 0x80fffff
	v_add3_u32 v4, v0, v4, s8
	v_lshrrev_b32_e32 v4, 21, v4
; %bb.888:
	s_andn2_saveexec_b64 s[6:7], s[6:7]
; %bb.889:
	s_mov_b32 s8, 0x43000000
	v_add_f32_e64 v4, |v0|, s8
; %bb.890:
	s_or_b64 exec, exec, s[6:7]
                                        ; implicit-def: $vgpr5
.LBB143_891:
	s_andn2_saveexec_b64 s[4:5], s[4:5]
; %bb.892:
	s_mov_b32 s6, 0x7f800000
	v_mov_b32_e32 v4, 0x7c
	v_mov_b32_e32 v6, 0x7f
	v_cmp_lt_u32_e32 vcc, s6, v5
	s_nop 1
	v_cndmask_b32_e32 v4, v4, v6, vcc
; %bb.893:
	s_or_b64 exec, exec, s[4:5]
	v_lshrrev_b32_e32 v5, 24, v0
	s_movk_i32 s4, 0x80
	v_and_or_b32 v4, v5, s4, v4
	global_store_byte v[2:3], v4, off
.LBB143_894:
	s_mov_b64 s[4:5], 0
.LBB143_895:
	s_andn2_b64 vcc, exec, s[4:5]
	s_mov_b64 s[4:5], 0
	s_cbranch_vccnz .LBB143_902
; %bb.896:
	s_cmp_gt_i32 s13, 14
	s_mov_b64 s[6:7], -1
	s_cbranch_scc0 .LBB143_900
; %bb.897:
	s_cmp_eq_u32 s13, 15
	s_mov_b64 s[0:1], -1
	s_cbranch_scc0 .LBB143_899
; %bb.898:
	v_bfe_u32 v4, v0, 16, 1
	s_movk_i32 s0, 0x7fff
	v_add3_u32 v4, v0, v4, s0
	v_cmp_o_f32_e32 vcc, v0, v0
	v_mov_b32_e32 v5, 0x7fc0
	s_mov_b64 s[0:1], 0
	v_cndmask_b32_sdwa v4, v5, v4, vcc dst_sel:DWORD dst_unused:UNUSED_PAD src0_sel:DWORD src1_sel:WORD_1
	global_store_short v[2:3], v4, off
.LBB143_899:
	s_mov_b64 s[6:7], 0
.LBB143_900:
	s_and_b64 vcc, exec, s[6:7]
	s_cbranch_vccz .LBB143_902
; %bb.901:
	s_cmp_lg_u32 s13, 11
	s_mov_b64 s[4:5], -1
	s_cselect_b64 s[0:1], -1, 0
.LBB143_902:
	s_and_b64 vcc, exec, s[0:1]
	s_cbranch_vccnz .LBB143_1006
.LBB143_903:
	s_mov_b64 s[0:1], 0
	s_branch .LBB143_944
.LBB143_904:
	s_mov_b64 s[6:7], 0
	s_cbranch_execz .LBB143_827
; %bb.905:
	s_and_b32 s4, 0xffff, s12
	s_cmp_lt_i32 s4, 5
	s_mov_b64 s[0:1], -1
	s_cbranch_scc1 .LBB143_926
; %bb.906:
	s_cmp_lt_i32 s4, 8
	s_cbranch_scc1 .LBB143_916
; %bb.907:
	s_cmp_lt_i32 s4, 9
	s_cbranch_scc1 .LBB143_913
; %bb.908:
	s_cmp_gt_i32 s4, 9
	s_cbranch_scc0 .LBB143_910
; %bb.909:
	v_cvt_f64_f32_e32 v[6:7], v26
	v_cvt_f64_f32_e32 v[8:9], v27
	global_store_dwordx4 v[4:5], v[6:9], off
	s_mov_b64 s[0:1], 0
.LBB143_910:
	s_andn2_b64 vcc, exec, s[0:1]
	s_cbranch_vccnz .LBB143_912
; %bb.911:
	global_store_dwordx2 v[4:5], v[26:27], off
.LBB143_912:
	s_mov_b64 s[0:1], 0
.LBB143_913:
	s_andn2_b64 vcc, exec, s[0:1]
	s_cbranch_vccnz .LBB143_915
; %bb.914:
	v_cvt_f16_f32_e32 v3, v26
	v_cvt_f16_f32_sdwa v6, v27 dst_sel:WORD_1 dst_unused:UNUSED_PAD src0_sel:DWORD
	s_nop 0
	v_or_b32_e32 v3, v6, v3
	global_store_dword v[4:5], v3, off
.LBB143_915:
	s_mov_b64 s[0:1], 0
.LBB143_916:
	s_andn2_b64 vcc, exec, s[0:1]
	s_cbranch_vccnz .LBB143_925
; %bb.917:
	s_cmp_lt_i32 s4, 6
	s_mov_b64 s[0:1], -1
	s_cbranch_scc1 .LBB143_923
; %bb.918:
	s_cmp_gt_i32 s4, 6
	s_cbranch_scc0 .LBB143_920
; %bb.919:
	v_cvt_f64_f32_e32 v[6:7], v26
	global_store_dwordx2 v[4:5], v[6:7], off
	s_mov_b64 s[0:1], 0
.LBB143_920:
	s_andn2_b64 vcc, exec, s[0:1]
	s_cbranch_vccnz .LBB143_922
; %bb.921:
	global_store_dword v[4:5], v26, off
.LBB143_922:
	s_mov_b64 s[0:1], 0
.LBB143_923:
	s_andn2_b64 vcc, exec, s[0:1]
	s_cbranch_vccnz .LBB143_925
; %bb.924:
	v_cvt_f16_f32_e32 v3, v26
	global_store_short v[4:5], v3, off
.LBB143_925:
	s_mov_b64 s[0:1], 0
.LBB143_926:
	s_andn2_b64 vcc, exec, s[0:1]
	s_cbranch_vccnz .LBB143_942
; %bb.927:
	s_cmp_lt_i32 s4, 2
	s_mov_b64 s[0:1], -1
	s_cbranch_scc1 .LBB143_937
; %bb.928:
	s_cmp_lt_i32 s4, 3
	s_cbranch_scc1 .LBB143_934
; %bb.929:
	s_cmp_gt_i32 s4, 3
	s_cbranch_scc0 .LBB143_931
; %bb.930:
	v_trunc_f32_e32 v3, v26
	s_mov_b32 s0, 0x2f800000
	v_mul_f32_e64 v6, |v3|, s0
	v_floor_f32_e32 v6, v6
	s_mov_b32 s0, 0xcf800000
	v_cvt_u32_f32_e32 v7, v6
	v_fma_f32 v6, v6, s0, |v3|
	v_cvt_u32_f32_e32 v6, v6
	v_ashrrev_i32_e32 v3, 31, v3
	v_xor_b32_e32 v7, v7, v3
	s_mov_b64 s[0:1], 0
	v_xor_b32_e32 v6, v6, v3
	v_sub_co_u32_e32 v6, vcc, v6, v3
	s_nop 1
	v_subb_co_u32_e32 v7, vcc, v7, v3, vcc
	global_store_dwordx2 v[4:5], v[6:7], off
.LBB143_931:
	s_andn2_b64 vcc, exec, s[0:1]
	s_cbranch_vccnz .LBB143_933
; %bb.932:
	v_cvt_i32_f32_e32 v3, v26
	global_store_dword v[4:5], v3, off
.LBB143_933:
	s_mov_b64 s[0:1], 0
.LBB143_934:
	s_andn2_b64 vcc, exec, s[0:1]
	s_cbranch_vccnz .LBB143_936
; %bb.935:
	v_cvt_i32_f32_e32 v3, v26
	global_store_short v[4:5], v3, off
.LBB143_936:
	s_mov_b64 s[0:1], 0
.LBB143_937:
	s_andn2_b64 vcc, exec, s[0:1]
	s_cbranch_vccnz .LBB143_942
; %bb.938:
	s_cmp_gt_i32 s4, 0
	s_mov_b64 s[0:1], -1
	s_cbranch_scc0 .LBB143_940
; %bb.939:
	v_cvt_i32_f32_e32 v3, v26
	s_mov_b64 s[0:1], 0
	global_store_byte v[4:5], v3, off
.LBB143_940:
	s_andn2_b64 vcc, exec, s[0:1]
	s_cbranch_vccnz .LBB143_942
; %bb.941:
	v_trunc_f32_e32 v3, v26
	s_mov_b32 s0, 0x2f800000
	v_mul_f32_e64 v6, |v3|, s0
	v_floor_f32_e32 v6, v6
	s_mov_b32 s0, 0xcf800000
	v_fma_f32 v6, v6, s0, |v3|
	v_cvt_u32_f32_e32 v6, v6
	v_ashrrev_i32_e32 v3, 31, v3
	v_xor_b32_e32 v6, v6, v3
	v_sub_u32_e32 v3, v6, v3
	global_store_byte v[4:5], v3, off
.LBB143_942:
	s_branch .LBB143_828
.LBB143_943:
	s_mov_b64 s[0:1], 0
	s_mov_b64 s[4:5], 0
                                        ; implicit-def: $sgpr12
                                        ; implicit-def: $vgpr2_vgpr3
.LBB143_944:
	s_and_b64 s[34:35], s[4:5], exec
	s_andn2_b64 s[4:5], s[38:39], exec
	s_and_b64 s[2:3], s[2:3], exec
	s_and_b64 s[0:1], s[0:1], exec
	s_or_b64 s[38:39], s[4:5], s[2:3]
.LBB143_945:
	s_or_b64 exec, exec, s[36:37]
	s_and_saveexec_b64 s[2:3], s[38:39]
	s_cbranch_execz .LBB143_948
; %bb.946:
	; divergent unreachable
	s_or_b64 exec, exec, s[2:3]
	s_and_saveexec_b64 s[2:3], s[34:35]
	s_xor_b64 s[2:3], exec, s[2:3]
	s_cbranch_execnz .LBB143_949
.LBB143_947:
	s_or_b64 exec, exec, s[2:3]
	s_and_saveexec_b64 s[2:3], s[0:1]
	s_cbranch_execnz .LBB143_950
	s_branch .LBB143_987
.LBB143_948:
	s_or_b64 exec, exec, s[2:3]
	s_and_saveexec_b64 s[2:3], s[34:35]
	s_xor_b64 s[2:3], exec, s[2:3]
	s_cbranch_execz .LBB143_947
.LBB143_949:
	s_brev_b32 s4, -2
	v_bitop3_b32 v4, v0, s4, v1 bitop3:0xc8
	v_cmp_ne_u32_e32 vcc, 0, v4
	s_nop 1
	v_cndmask_b32_e64 v4, 0, 1, vcc
	global_store_byte v[2:3], v4, off
	s_or_b64 exec, exec, s[2:3]
	s_and_saveexec_b64 s[2:3], s[0:1]
	s_cbranch_execz .LBB143_987
.LBB143_950:
	s_sext_i32_i16 s2, s12
	s_cmp_lt_i32 s2, 5
	s_mov_b64 s[0:1], -1
	s_cbranch_scc1 .LBB143_971
; %bb.951:
	s_cmp_lt_i32 s2, 8
	s_cbranch_scc1 .LBB143_961
; %bb.952:
	s_cmp_lt_i32 s2, 9
	s_cbranch_scc1 .LBB143_958
; %bb.953:
	s_cmp_gt_i32 s2, 9
	s_cbranch_scc0 .LBB143_955
; %bb.954:
	v_cvt_f64_f32_e32 v[4:5], v0
	v_cvt_f64_f32_e32 v[6:7], v1
	global_store_dwordx4 v[2:3], v[4:7], off
	s_mov_b64 s[0:1], 0
.LBB143_955:
	s_andn2_b64 vcc, exec, s[0:1]
	s_cbranch_vccnz .LBB143_957
; %bb.956:
	global_store_dwordx2 v[2:3], v[0:1], off
.LBB143_957:
	s_mov_b64 s[0:1], 0
.LBB143_958:
	s_andn2_b64 vcc, exec, s[0:1]
	s_cbranch_vccnz .LBB143_960
; %bb.959:
	v_cvt_f16_f32_e32 v4, v0
	v_cvt_f16_f32_sdwa v1, v1 dst_sel:WORD_1 dst_unused:UNUSED_PAD src0_sel:DWORD
	s_nop 0
	v_or_b32_e32 v1, v1, v4
	global_store_dword v[2:3], v1, off
.LBB143_960:
	s_mov_b64 s[0:1], 0
.LBB143_961:
	s_andn2_b64 vcc, exec, s[0:1]
	s_cbranch_vccnz .LBB143_970
; %bb.962:
	s_sext_i32_i16 s2, s12
	s_cmp_lt_i32 s2, 6
	s_mov_b64 s[0:1], -1
	s_cbranch_scc1 .LBB143_968
; %bb.963:
	s_cmp_gt_i32 s2, 6
	s_cbranch_scc0 .LBB143_965
; %bb.964:
	v_cvt_f64_f32_e32 v[4:5], v0
	global_store_dwordx2 v[2:3], v[4:5], off
	s_mov_b64 s[0:1], 0
.LBB143_965:
	s_andn2_b64 vcc, exec, s[0:1]
	s_cbranch_vccnz .LBB143_967
; %bb.966:
	global_store_dword v[2:3], v0, off
.LBB143_967:
	s_mov_b64 s[0:1], 0
.LBB143_968:
	s_andn2_b64 vcc, exec, s[0:1]
	s_cbranch_vccnz .LBB143_970
; %bb.969:
	v_cvt_f16_f32_e32 v1, v0
	global_store_short v[2:3], v1, off
.LBB143_970:
	s_mov_b64 s[0:1], 0
.LBB143_971:
	s_andn2_b64 vcc, exec, s[0:1]
	s_cbranch_vccnz .LBB143_987
; %bb.972:
	s_sext_i32_i16 s2, s12
	s_cmp_lt_i32 s2, 2
	s_mov_b64 s[0:1], -1
	s_cbranch_scc1 .LBB143_982
; %bb.973:
	s_cmp_lt_i32 s2, 3
	s_cbranch_scc1 .LBB143_979
; %bb.974:
	s_cmp_gt_i32 s2, 3
	s_cbranch_scc0 .LBB143_976
; %bb.975:
	v_trunc_f32_e32 v1, v0
	s_mov_b32 s0, 0x2f800000
	v_mul_f32_e64 v4, |v1|, s0
	v_floor_f32_e32 v4, v4
	s_mov_b32 s0, 0xcf800000
	v_cvt_u32_f32_e32 v5, v4
	v_fma_f32 v4, v4, s0, |v1|
	v_cvt_u32_f32_e32 v4, v4
	v_ashrrev_i32_e32 v1, 31, v1
	v_xor_b32_e32 v5, v5, v1
	s_mov_b64 s[0:1], 0
	v_xor_b32_e32 v4, v4, v1
	v_sub_co_u32_e32 v4, vcc, v4, v1
	s_nop 1
	v_subb_co_u32_e32 v5, vcc, v5, v1, vcc
	global_store_dwordx2 v[2:3], v[4:5], off
.LBB143_976:
	s_andn2_b64 vcc, exec, s[0:1]
	s_cbranch_vccnz .LBB143_978
; %bb.977:
	v_cvt_i32_f32_e32 v1, v0
	global_store_dword v[2:3], v1, off
.LBB143_978:
	s_mov_b64 s[0:1], 0
.LBB143_979:
	s_andn2_b64 vcc, exec, s[0:1]
	s_cbranch_vccnz .LBB143_981
; %bb.980:
	v_cvt_i32_f32_e32 v1, v0
	global_store_short v[2:3], v1, off
.LBB143_981:
	s_mov_b64 s[0:1], 0
.LBB143_982:
	s_andn2_b64 vcc, exec, s[0:1]
	s_cbranch_vccnz .LBB143_987
; %bb.983:
	s_sext_i32_i16 s0, s12
	s_cmp_gt_i32 s0, 0
	s_mov_b64 s[0:1], -1
	s_cbranch_scc0 .LBB143_985
; %bb.984:
	v_cvt_i32_f32_e32 v1, v0
	s_mov_b64 s[0:1], 0
	global_store_byte v[2:3], v1, off
.LBB143_985:
	s_andn2_b64 vcc, exec, s[0:1]
	s_cbranch_vccnz .LBB143_987
; %bb.986:
	v_trunc_f32_e32 v0, v0
	s_mov_b32 s0, 0x2f800000
	v_mul_f32_e64 v1, |v0|, s0
	v_floor_f32_e32 v1, v1
	s_mov_b32 s0, 0xcf800000
	v_fma_f32 v1, v1, s0, |v0|
	v_cvt_u32_f32_e32 v1, v1
	v_ashrrev_i32_e32 v0, 31, v0
	v_xor_b32_e32 v1, v1, v0
	v_sub_u32_e32 v0, v1, v0
	global_store_byte v[2:3], v0, off
	s_endpgm
.LBB143_987:
	s_endpgm
.LBB143_988:
	s_mov_b64 s[4:5], 0
	s_mov_b64 s[0:1], -1
	s_branch .LBB143_944
.LBB143_989:
	s_andn2_saveexec_b64 s[8:9], s[8:9]
	s_cbranch_execz .LBB143_541
.LBB143_990:
	s_mov_b32 s11, 0x46000000
	v_add_f32_e64 v3, |v30|, s11
	v_and_b32_e32 v3, 0xff, v3
	v_cmp_ne_u32_e32 vcc, 0, v3
	s_andn2_b64 s[6:7], s[6:7], exec
	s_and_b64 s[14:15], vcc, exec
	s_or_b64 s[6:7], s[6:7], s[14:15]
	s_or_b64 exec, exec, s[8:9]
	v_mov_b32_e32 v6, 0
	s_and_saveexec_b64 s[8:9], s[6:7]
	s_cbranch_execnz .LBB143_542
	s_branch .LBB143_543
.LBB143_991:
	s_or_b64 s[2:3], s[38:39], exec
	s_trap 2
	s_cbranch_execz .LBB143_589
	s_branch .LBB143_590
.LBB143_992:
	s_andn2_saveexec_b64 s[6:7], s[6:7]
	s_cbranch_execz .LBB143_554
.LBB143_993:
	s_mov_b32 s8, 0x42800000
	v_add_f32_e64 v3, |v30|, s8
	v_and_b32_e32 v3, 0xff, v3
	v_cmp_ne_u32_e32 vcc, 0, v3
	s_andn2_b64 s[4:5], s[4:5], exec
	s_and_b64 s[8:9], vcc, exec
	s_or_b64 s[4:5], s[4:5], s[8:9]
	s_or_b64 exec, exec, s[6:7]
	v_mov_b32_e32 v6, 0
	s_and_saveexec_b64 s[6:7], s[4:5]
	s_cbranch_execnz .LBB143_555
	s_branch .LBB143_556
.LBB143_994:
	s_andn2_saveexec_b64 s[10:11], s[10:11]
	s_cbranch_execz .LBB143_659
.LBB143_995:
	s_mov_b32 s15, 0x46000000
	v_add_f32_e64 v3, |v28|, s15
	v_and_b32_e32 v3, 0xff, v3
	v_cmp_ne_u32_e32 vcc, 0, v3
	s_andn2_b64 s[8:9], s[8:9], exec
	s_and_b64 s[16:17], vcc, exec
	s_or_b64 s[8:9], s[8:9], s[16:17]
	s_or_b64 exec, exec, s[10:11]
	v_mov_b32_e32 v6, 0
	s_and_saveexec_b64 s[10:11], s[8:9]
	s_cbranch_execnz .LBB143_660
	s_branch .LBB143_661
.LBB143_996:
	s_trap 2
	s_or_b64 s[2:3], s[2:3], exec
	s_cbranch_execz .LBB143_707
	s_branch .LBB143_708
.LBB143_997:
	s_andn2_saveexec_b64 s[8:9], s[8:9]
	s_cbranch_execz .LBB143_672
.LBB143_998:
	s_mov_b32 s10, 0x42800000
	v_add_f32_e64 v3, |v28|, s10
	v_and_b32_e32 v3, 0xff, v3
	v_cmp_ne_u32_e32 vcc, 0, v3
	s_andn2_b64 s[6:7], s[6:7], exec
	s_and_b64 s[10:11], vcc, exec
	s_or_b64 s[6:7], s[6:7], s[10:11]
	s_or_b64 exec, exec, s[8:9]
	v_mov_b32_e32 v6, 0
	s_and_saveexec_b64 s[8:9], s[6:7]
	s_cbranch_execnz .LBB143_673
	s_branch .LBB143_674
.LBB143_999:
	s_andn2_saveexec_b64 s[10:11], s[10:11]
	s_cbranch_execz .LBB143_777
.LBB143_1000:
	s_mov_b32 s15, 0x46000000
	v_add_f32_e64 v3, |v26|, s15
	v_and_b32_e32 v3, 0xff, v3
	v_cmp_ne_u32_e32 vcc, 0, v3
	s_andn2_b64 s[8:9], s[8:9], exec
	s_and_b64 s[16:17], vcc, exec
	s_or_b64 s[8:9], s[8:9], s[16:17]
	s_or_b64 exec, exec, s[10:11]
	v_mov_b32_e32 v6, 0
	s_and_saveexec_b64 s[10:11], s[8:9]
	s_cbranch_execnz .LBB143_778
	s_branch .LBB143_779
.LBB143_1001:
	s_trap 2
	s_or_b64 s[2:3], s[2:3], exec
	s_cbranch_execz .LBB143_825
	s_branch .LBB143_826
.LBB143_1002:
	s_andn2_saveexec_b64 s[8:9], s[8:9]
	s_cbranch_execz .LBB143_790
.LBB143_1003:
	s_mov_b32 s10, 0x42800000
	v_add_f32_e64 v3, |v26|, s10
	v_and_b32_e32 v3, 0xff, v3
	v_cmp_ne_u32_e32 vcc, 0, v3
	s_andn2_b64 s[6:7], s[6:7], exec
	s_and_b64 s[10:11], vcc, exec
	s_or_b64 s[6:7], s[6:7], s[10:11]
	s_or_b64 exec, exec, s[8:9]
	v_mov_b32_e32 v6, 0
	s_and_saveexec_b64 s[8:9], s[6:7]
	s_cbranch_execnz .LBB143_791
	s_branch .LBB143_792
.LBB143_1004:
	s_andn2_saveexec_b64 s[10:11], s[10:11]
	s_cbranch_execz .LBB143_857
.LBB143_1005:
	s_mov_b32 s14, 0x46000000
	v_add_f32_e64 v4, |v0|, s14
	v_and_b32_e32 v4, 0xff, v4
	v_cmp_ne_u32_e32 vcc, 0, v4
	s_andn2_b64 s[8:9], s[8:9], exec
	s_and_b64 s[14:15], vcc, exec
	s_or_b64 s[8:9], s[8:9], s[14:15]
	s_or_b64 exec, exec, s[10:11]
	v_mov_b32_e32 v5, 0
	s_and_saveexec_b64 s[10:11], s[8:9]
	s_cbranch_execnz .LBB143_858
	s_branch .LBB143_859
.LBB143_1006:
	s_mov_b64 s[4:5], 0
	s_or_b64 s[2:3], s[2:3], exec
	s_trap 2
	s_branch .LBB143_903
.LBB143_1007:
	s_andn2_saveexec_b64 s[6:7], s[6:7]
	s_cbranch_execz .LBB143_422
.LBB143_1008:
	s_mov_b32 s8, 0x46000000
	v_add_f32_e64 v4, |v0|, s8
	v_and_b32_e32 v4, 0xff, v4
	v_cmp_ne_u32_e32 vcc, 0, v4
	s_andn2_b64 s[4:5], s[4:5], exec
	s_and_b64 s[8:9], vcc, exec
	s_or_b64 s[4:5], s[4:5], s[8:9]
	s_or_b64 exec, exec, s[6:7]
	v_mov_b32_e32 v5, 0
	s_and_saveexec_b64 s[6:7], s[4:5]
	s_cbranch_execnz .LBB143_423
	s_branch .LBB143_424
.LBB143_1009:
	s_andn2_saveexec_b64 s[8:9], s[8:9]
	s_cbranch_execz .LBB143_869
.LBB143_1010:
	s_mov_b32 s10, 0x42800000
	v_add_f32_e64 v4, |v0|, s10
	v_and_b32_e32 v4, 0xff, v4
	v_cmp_ne_u32_e32 vcc, 0, v4
	s_andn2_b64 s[6:7], s[6:7], exec
	s_and_b64 s[10:11], vcc, exec
	s_or_b64 s[6:7], s[6:7], s[10:11]
	s_or_b64 exec, exec, s[8:9]
	v_mov_b32_e32 v5, 0
	s_and_saveexec_b64 s[8:9], s[6:7]
	s_cbranch_execnz .LBB143_870
	s_branch .LBB143_871
.LBB143_1011:
	s_andn2_saveexec_b64 s[8:9], s[8:9]
	s_cbranch_execz .LBB143_434
.LBB143_1012:
	s_mov_b32 s12, 0x42800000
	v_add_f32_e64 v4, |v0|, s12
	v_and_b32_e32 v4, 0xff, v4
	v_cmp_ne_u32_e32 vcc, 0, v4
	s_andn2_b64 s[6:7], s[6:7], exec
	s_and_b64 s[12:13], vcc, exec
	s_or_b64 s[6:7], s[6:7], s[12:13]
	s_or_b64 exec, exec, s[8:9]
	v_mov_b32_e32 v5, 0
	s_and_saveexec_b64 s[8:9], s[6:7]
	s_cbranch_execnz .LBB143_435
	s_branch .LBB143_436
	.section	.rodata,"a",@progbits
	.p2align	6, 0x0
	.amdhsa_kernel _ZN2at6native32elementwise_kernel_manual_unrollILi128ELi4EZNS0_15gpu_kernel_implIZZZNS0_17expm1_kernel_cudaERNS_18TensorIteratorBaseEENKUlvE_clEvENKUlvE2_clEvEUlN3c107complexIfEEE_EEvS4_RKT_EUlibE_EEviT1_
		.amdhsa_group_segment_fixed_size 0
		.amdhsa_private_segment_fixed_size 0
		.amdhsa_kernarg_size 40
		.amdhsa_user_sgpr_count 2
		.amdhsa_user_sgpr_dispatch_ptr 0
		.amdhsa_user_sgpr_queue_ptr 0
		.amdhsa_user_sgpr_kernarg_segment_ptr 1
		.amdhsa_user_sgpr_dispatch_id 0
		.amdhsa_user_sgpr_kernarg_preload_length 0
		.amdhsa_user_sgpr_kernarg_preload_offset 0
		.amdhsa_user_sgpr_private_segment_size 0
		.amdhsa_uses_dynamic_stack 0
		.amdhsa_enable_private_segment 0
		.amdhsa_system_sgpr_workgroup_id_x 1
		.amdhsa_system_sgpr_workgroup_id_y 0
		.amdhsa_system_sgpr_workgroup_id_z 0
		.amdhsa_system_sgpr_workgroup_info 0
		.amdhsa_system_vgpr_workitem_id 0
		.amdhsa_next_free_vgpr 34
		.amdhsa_next_free_sgpr 52
		.amdhsa_accum_offset 36
		.amdhsa_reserve_vcc 1
		.amdhsa_float_round_mode_32 0
		.amdhsa_float_round_mode_16_64 0
		.amdhsa_float_denorm_mode_32 3
		.amdhsa_float_denorm_mode_16_64 3
		.amdhsa_dx10_clamp 1
		.amdhsa_ieee_mode 1
		.amdhsa_fp16_overflow 0
		.amdhsa_tg_split 0
		.amdhsa_exception_fp_ieee_invalid_op 0
		.amdhsa_exception_fp_denorm_src 0
		.amdhsa_exception_fp_ieee_div_zero 0
		.amdhsa_exception_fp_ieee_overflow 0
		.amdhsa_exception_fp_ieee_underflow 0
		.amdhsa_exception_fp_ieee_inexact 0
		.amdhsa_exception_int_div_zero 0
	.end_amdhsa_kernel
	.section	.text._ZN2at6native32elementwise_kernel_manual_unrollILi128ELi4EZNS0_15gpu_kernel_implIZZZNS0_17expm1_kernel_cudaERNS_18TensorIteratorBaseEENKUlvE_clEvENKUlvE2_clEvEUlN3c107complexIfEEE_EEvS4_RKT_EUlibE_EEviT1_,"axG",@progbits,_ZN2at6native32elementwise_kernel_manual_unrollILi128ELi4EZNS0_15gpu_kernel_implIZZZNS0_17expm1_kernel_cudaERNS_18TensorIteratorBaseEENKUlvE_clEvENKUlvE2_clEvEUlN3c107complexIfEEE_EEvS4_RKT_EUlibE_EEviT1_,comdat
.Lfunc_end143:
	.size	_ZN2at6native32elementwise_kernel_manual_unrollILi128ELi4EZNS0_15gpu_kernel_implIZZZNS0_17expm1_kernel_cudaERNS_18TensorIteratorBaseEENKUlvE_clEvENKUlvE2_clEvEUlN3c107complexIfEEE_EEvS4_RKT_EUlibE_EEviT1_, .Lfunc_end143-_ZN2at6native32elementwise_kernel_manual_unrollILi128ELi4EZNS0_15gpu_kernel_implIZZZNS0_17expm1_kernel_cudaERNS_18TensorIteratorBaseEENKUlvE_clEvENKUlvE2_clEvEUlN3c107complexIfEEE_EEvS4_RKT_EUlibE_EEviT1_
                                        ; -- End function
	.set _ZN2at6native32elementwise_kernel_manual_unrollILi128ELi4EZNS0_15gpu_kernel_implIZZZNS0_17expm1_kernel_cudaERNS_18TensorIteratorBaseEENKUlvE_clEvENKUlvE2_clEvEUlN3c107complexIfEEE_EEvS4_RKT_EUlibE_EEviT1_.num_vgpr, max(34, .L_ZN2at6native6invokeIZZZNS0_17expm1_kernel_cudaERNS_18TensorIteratorBaseEENKUlvE_clEvENKUlvE2_clEvEUlN3c107complexIfEEE_i15function_traitsIS9_EEENT1_11result_typeERKT_PrKPcPKT0_PKNS6_10ScalarTypeEi.num_vgpr)
	.set _ZN2at6native32elementwise_kernel_manual_unrollILi128ELi4EZNS0_15gpu_kernel_implIZZZNS0_17expm1_kernel_cudaERNS_18TensorIteratorBaseEENKUlvE_clEvENKUlvE2_clEvEUlN3c107complexIfEEE_EEvS4_RKT_EUlibE_EEviT1_.num_agpr, max(0, .L_ZN2at6native6invokeIZZZNS0_17expm1_kernel_cudaERNS_18TensorIteratorBaseEENKUlvE_clEvENKUlvE2_clEvEUlN3c107complexIfEEE_i15function_traitsIS9_EEENT1_11result_typeERKT_PrKPcPKT0_PKNS6_10ScalarTypeEi.num_agpr)
	.set _ZN2at6native32elementwise_kernel_manual_unrollILi128ELi4EZNS0_15gpu_kernel_implIZZZNS0_17expm1_kernel_cudaERNS_18TensorIteratorBaseEENKUlvE_clEvENKUlvE2_clEvEUlN3c107complexIfEEE_EEvS4_RKT_EUlibE_EEviT1_.numbered_sgpr, max(52, .L_ZN2at6native6invokeIZZZNS0_17expm1_kernel_cudaERNS_18TensorIteratorBaseEENKUlvE_clEvENKUlvE2_clEvEUlN3c107complexIfEEE_i15function_traitsIS9_EEENT1_11result_typeERKT_PrKPcPKT0_PKNS6_10ScalarTypeEi.numbered_sgpr)
	.set _ZN2at6native32elementwise_kernel_manual_unrollILi128ELi4EZNS0_15gpu_kernel_implIZZZNS0_17expm1_kernel_cudaERNS_18TensorIteratorBaseEENKUlvE_clEvENKUlvE2_clEvEUlN3c107complexIfEEE_EEvS4_RKT_EUlibE_EEviT1_.num_named_barrier, max(0, .L_ZN2at6native6invokeIZZZNS0_17expm1_kernel_cudaERNS_18TensorIteratorBaseEENKUlvE_clEvENKUlvE2_clEvEUlN3c107complexIfEEE_i15function_traitsIS9_EEENT1_11result_typeERKT_PrKPcPKT0_PKNS6_10ScalarTypeEi.num_named_barrier)
	.set _ZN2at6native32elementwise_kernel_manual_unrollILi128ELi4EZNS0_15gpu_kernel_implIZZZNS0_17expm1_kernel_cudaERNS_18TensorIteratorBaseEENKUlvE_clEvENKUlvE2_clEvEUlN3c107complexIfEEE_EEvS4_RKT_EUlibE_EEviT1_.private_seg_size, 0+max(.L_ZN2at6native6invokeIZZZNS0_17expm1_kernel_cudaERNS_18TensorIteratorBaseEENKUlvE_clEvENKUlvE2_clEvEUlN3c107complexIfEEE_i15function_traitsIS9_EEENT1_11result_typeERKT_PrKPcPKT0_PKNS6_10ScalarTypeEi.private_seg_size)
	.set _ZN2at6native32elementwise_kernel_manual_unrollILi128ELi4EZNS0_15gpu_kernel_implIZZZNS0_17expm1_kernel_cudaERNS_18TensorIteratorBaseEENKUlvE_clEvENKUlvE2_clEvEUlN3c107complexIfEEE_EEvS4_RKT_EUlibE_EEviT1_.uses_vcc, or(1, .L_ZN2at6native6invokeIZZZNS0_17expm1_kernel_cudaERNS_18TensorIteratorBaseEENKUlvE_clEvENKUlvE2_clEvEUlN3c107complexIfEEE_i15function_traitsIS9_EEENT1_11result_typeERKT_PrKPcPKT0_PKNS6_10ScalarTypeEi.uses_vcc)
	.set _ZN2at6native32elementwise_kernel_manual_unrollILi128ELi4EZNS0_15gpu_kernel_implIZZZNS0_17expm1_kernel_cudaERNS_18TensorIteratorBaseEENKUlvE_clEvENKUlvE2_clEvEUlN3c107complexIfEEE_EEvS4_RKT_EUlibE_EEviT1_.uses_flat_scratch, or(0, .L_ZN2at6native6invokeIZZZNS0_17expm1_kernel_cudaERNS_18TensorIteratorBaseEENKUlvE_clEvENKUlvE2_clEvEUlN3c107complexIfEEE_i15function_traitsIS9_EEENT1_11result_typeERKT_PrKPcPKT0_PKNS6_10ScalarTypeEi.uses_flat_scratch)
	.set _ZN2at6native32elementwise_kernel_manual_unrollILi128ELi4EZNS0_15gpu_kernel_implIZZZNS0_17expm1_kernel_cudaERNS_18TensorIteratorBaseEENKUlvE_clEvENKUlvE2_clEvEUlN3c107complexIfEEE_EEvS4_RKT_EUlibE_EEviT1_.has_dyn_sized_stack, or(0, .L_ZN2at6native6invokeIZZZNS0_17expm1_kernel_cudaERNS_18TensorIteratorBaseEENKUlvE_clEvENKUlvE2_clEvEUlN3c107complexIfEEE_i15function_traitsIS9_EEENT1_11result_typeERKT_PrKPcPKT0_PKNS6_10ScalarTypeEi.has_dyn_sized_stack)
	.set _ZN2at6native32elementwise_kernel_manual_unrollILi128ELi4EZNS0_15gpu_kernel_implIZZZNS0_17expm1_kernel_cudaERNS_18TensorIteratorBaseEENKUlvE_clEvENKUlvE2_clEvEUlN3c107complexIfEEE_EEvS4_RKT_EUlibE_EEviT1_.has_recursion, or(0, .L_ZN2at6native6invokeIZZZNS0_17expm1_kernel_cudaERNS_18TensorIteratorBaseEENKUlvE_clEvENKUlvE2_clEvEUlN3c107complexIfEEE_i15function_traitsIS9_EEENT1_11result_typeERKT_PrKPcPKT0_PKNS6_10ScalarTypeEi.has_recursion)
	.set _ZN2at6native32elementwise_kernel_manual_unrollILi128ELi4EZNS0_15gpu_kernel_implIZZZNS0_17expm1_kernel_cudaERNS_18TensorIteratorBaseEENKUlvE_clEvENKUlvE2_clEvEUlN3c107complexIfEEE_EEvS4_RKT_EUlibE_EEviT1_.has_indirect_call, or(0, .L_ZN2at6native6invokeIZZZNS0_17expm1_kernel_cudaERNS_18TensorIteratorBaseEENKUlvE_clEvENKUlvE2_clEvEUlN3c107complexIfEEE_i15function_traitsIS9_EEENT1_11result_typeERKT_PrKPcPKT0_PKNS6_10ScalarTypeEi.has_indirect_call)
	.section	.AMDGPU.csdata,"",@progbits
; Kernel info:
; codeLenInByte = 17572
; TotalNumSgprs: 58
; NumVgprs: 34
; NumAgprs: 0
; TotalNumVgprs: 34
; ScratchSize: 0
; MemoryBound: 0
; FloatMode: 240
; IeeeMode: 1
; LDSByteSize: 0 bytes/workgroup (compile time only)
; SGPRBlocks: 7
; VGPRBlocks: 4
; NumSGPRsForWavesPerEU: 58
; NumVGPRsForWavesPerEU: 34
; AccumOffset: 36
; Occupancy: 8
; WaveLimiterHint : 0
; COMPUTE_PGM_RSRC2:SCRATCH_EN: 0
; COMPUTE_PGM_RSRC2:USER_SGPR: 2
; COMPUTE_PGM_RSRC2:TRAP_HANDLER: 0
; COMPUTE_PGM_RSRC2:TGID_X_EN: 1
; COMPUTE_PGM_RSRC2:TGID_Y_EN: 0
; COMPUTE_PGM_RSRC2:TGID_Z_EN: 0
; COMPUTE_PGM_RSRC2:TIDIG_COMP_CNT: 0
; COMPUTE_PGM_RSRC3_GFX90A:ACCUM_OFFSET: 8
; COMPUTE_PGM_RSRC3_GFX90A:TG_SPLIT: 0
	.text
	.p2align	2                               ; -- Begin function _ZN2at6native6invokeIZZZNS0_17expm1_kernel_cudaERNS_18TensorIteratorBaseEENKUlvE_clEvENKUlvE2_clEvEUlN3c107complexIfEEE_j15function_traitsIS9_EEENT1_11result_typeERKT_PrKPcPKT0_PKNS6_10ScalarTypeEi
	.type	_ZN2at6native6invokeIZZZNS0_17expm1_kernel_cudaERNS_18TensorIteratorBaseEENKUlvE_clEvENKUlvE2_clEvEUlN3c107complexIfEEE_j15function_traitsIS9_EEENT1_11result_typeERKT_PrKPcPKT0_PKNS6_10ScalarTypeEi,@function
_ZN2at6native6invokeIZZZNS0_17expm1_kernel_cudaERNS_18TensorIteratorBaseEENKUlvE_clEvENKUlvE2_clEvEUlN3c107complexIfEEE_j15function_traitsIS9_EEENT1_11result_typeERKT_PrKPcPKT0_PKNS6_10ScalarTypeEi: ; @_ZN2at6native6invokeIZZZNS0_17expm1_kernel_cudaERNS_18TensorIteratorBaseEENKUlvE_clEvENKUlvE2_clEvEUlN3c107complexIfEEE_j15function_traitsIS9_EEENT1_11result_typeERKT_PrKPcPKT0_PKNS6_10ScalarTypeEi
; %bb.0:
	s_waitcnt vmcnt(0) expcnt(0) lgkmcnt(0)
	v_mov_b32_e32 v4, v3
	v_mov_b32_e32 v3, 0
	v_lshl_add_u64 v[0:1], v[0:1], 0, v[2:3]
	v_mov_b32_e32 v2, 10
	v_cmp_gt_i16_sdwa s[0:1], v4, v2 src0_sel:BYTE_0 src1_sel:DWORD
	s_mov_b64 s[2:3], 0
                                        ; implicit-def: $vgpr3
	s_and_saveexec_b64 s[4:5], s[0:1]
	s_xor_b64 s[0:1], exec, s[4:5]
	s_cbranch_execz .LBB144_46
; %bb.1:
	v_mov_b32_e32 v2, 25
	v_cmp_gt_i16_sdwa s[4:5], v4, v2 src0_sel:BYTE_0 src1_sel:DWORD
	s_mov_b64 s[8:9], 0
	s_mov_b64 s[6:7], 0
                                        ; implicit-def: $vgpr3
	s_and_saveexec_b64 s[10:11], s[4:5]
	s_xor_b64 s[4:5], exec, s[10:11]
	s_cbranch_execz .LBB144_89
; %bb.2:
	v_mov_b32_e32 v2, 28
	v_cmp_gt_i16_sdwa s[6:7], v4, v2 src0_sel:BYTE_0 src1_sel:DWORD
	s_mov_b64 s[10:11], 0
                                        ; implicit-def: $vgpr3
	s_and_saveexec_b64 s[12:13], s[6:7]
	s_xor_b64 s[6:7], exec, s[12:13]
	s_cbranch_execz .LBB144_18
; %bb.3:
	v_mov_b32_e32 v2, 43
	v_cmp_gt_i16_sdwa s[8:9], v4, v2 src0_sel:BYTE_0 src1_sel:DWORD
	s_mov_b64 s[12:13], 0
	s_mov_b64 s[14:15], 0
                                        ; implicit-def: $vgpr3
	s_and_saveexec_b64 s[10:11], s[8:9]
	s_xor_b64 s[8:9], exec, s[10:11]
	s_cbranch_execz .LBB144_13
; %bb.4:
	v_mov_b32_e32 v2, 45
	v_cmp_gt_i16_sdwa s[14:15], v4, v2 src0_sel:BYTE_0 src1_sel:DWORD
	s_mov_b64 s[10:11], 0
                                        ; implicit-def: $vgpr3
	s_and_saveexec_b64 s[16:17], s[14:15]
	s_xor_b64 s[14:15], exec, s[16:17]
	s_cbranch_execz .LBB144_8
; %bb.5:
	v_mov_b32_e32 v2, 46
	v_cmp_eq_u16_sdwa s[18:19], v4, v2 src0_sel:BYTE_0 src1_sel:DWORD
	s_mov_b64 s[16:17], -1
                                        ; implicit-def: $vgpr3
	s_and_saveexec_b64 s[12:13], s[18:19]
	s_cbranch_execz .LBB144_7
; %bb.6:
	flat_load_dword v2, v[0:1]
	s_mov_b64 s[10:11], exec
	s_xor_b64 s[16:17], exec, -1
	s_waitcnt vmcnt(0) lgkmcnt(0)
	v_and_b32_e32 v3, 0xffff0000, v2
	v_lshlrev_b32_e32 v2, 16, v2
.LBB144_7:
	s_or_b64 exec, exec, s[12:13]
	s_and_b64 s[12:13], s[10:11], exec
	s_and_b64 s[10:11], s[16:17], exec
                                        ; implicit-def: $vgpr4
.LBB144_8:
	s_andn2_saveexec_b64 s[14:15], s[14:15]
	s_cbranch_execz .LBB144_12
; %bb.9:
	v_mov_b32_e32 v2, 44
	v_cmp_eq_u16_sdwa s[22:23], v4, v2 src0_sel:BYTE_0 src1_sel:DWORD
	s_mov_b64 s[20:21], -1
	s_mov_b64 s[18:19], s[12:13]
                                        ; implicit-def: $vgpr2
	s_and_saveexec_b64 s[16:17], s[22:23]
	s_cbranch_execz .LBB144_11
; %bb.10:
	flat_load_ubyte v2, v[0:1]
	s_movk_i32 s20, 0xff
	v_mov_b32_e32 v3, 0x7f800001
	v_mov_b32_e32 v4, 0x400000
	s_or_b64 s[18:19], s[12:13], exec
	s_waitcnt vmcnt(0) lgkmcnt(0)
	v_lshlrev_b32_e32 v5, 23, v2
	v_cmp_ne_u32_e32 vcc, s20, v2
	s_xor_b64 s[20:21], exec, -1
	s_nop 0
	v_cndmask_b32_e32 v3, v3, v5, vcc
	v_cmp_ne_u32_e32 vcc, 0, v2
	s_nop 1
	v_cndmask_b32_e32 v2, v4, v3, vcc
.LBB144_11:
	s_or_b64 exec, exec, s[16:17]
	s_andn2_b64 s[12:13], s[12:13], exec
	s_and_b64 s[16:17], s[18:19], exec
	s_or_b64 s[12:13], s[12:13], s[16:17]
	s_andn2_b64 s[10:11], s[10:11], exec
	s_and_b64 s[16:17], s[20:21], exec
	v_mov_b32_e32 v3, 0
	s_or_b64 s[10:11], s[10:11], s[16:17]
.LBB144_12:
	s_or_b64 exec, exec, s[14:15]
	s_and_b64 s[14:15], s[12:13], exec
	s_and_b64 s[12:13], s[10:11], exec
                                        ; implicit-def: $vgpr4
.LBB144_13:
	s_andn2_saveexec_b64 s[8:9], s[8:9]
	s_cbranch_execz .LBB144_17
; %bb.14:
	v_mov_b32_e32 v2, 29
	v_cmp_eq_u16_sdwa s[20:21], v4, v2 src0_sel:BYTE_0 src1_sel:DWORD
	s_mov_b64 s[16:17], -1
	s_mov_b64 s[18:19], s[14:15]
                                        ; implicit-def: $vgpr2
	s_and_saveexec_b64 s[10:11], s[20:21]
	s_cbranch_execz .LBB144_16
; %bb.15:
	flat_load_dwordx2 v[2:3], v[0:1]
	s_or_b64 s[18:19], s[14:15], exec
	s_xor_b64 s[16:17], exec, -1
	s_waitcnt vmcnt(0) lgkmcnt(0)
	v_ffbh_u32_e32 v4, v3
	v_min_u32_e32 v4, 32, v4
	v_lshlrev_b64 v[2:3], v4, v[2:3]
	v_min_u32_e32 v2, 1, v2
	v_or_b32_e32 v2, v3, v2
	v_cvt_f32_u32_e32 v2, v2
	v_sub_u32_e32 v3, 32, v4
	v_ldexp_f32 v2, v2, v3
.LBB144_16:
	s_or_b64 exec, exec, s[10:11]
	s_andn2_b64 s[10:11], s[14:15], exec
	s_and_b64 s[14:15], s[18:19], exec
	s_or_b64 s[14:15], s[10:11], s[14:15]
	s_andn2_b64 s[10:11], s[12:13], exec
	s_and_b64 s[12:13], s[16:17], exec
	v_mov_b32_e32 v3, 0
	s_or_b64 s[12:13], s[10:11], s[12:13]
.LBB144_17:
	s_or_b64 exec, exec, s[8:9]
	s_and_b64 s[10:11], s[14:15], exec
	s_and_b64 s[8:9], s[12:13], exec
                                        ; implicit-def: $vgpr4
.LBB144_18:
	s_andn2_saveexec_b64 s[6:7], s[6:7]
	s_cbranch_execz .LBB144_34
; %bb.19:
	v_mov_b32_e32 v2, 26
	v_cmp_gt_i16_sdwa s[12:13], v4, v2 src0_sel:BYTE_0 src1_sel:DWORD
                                        ; implicit-def: $vgpr2
	s_and_saveexec_b64 s[14:15], s[12:13]
	s_xor_b64 s[12:13], exec, s[14:15]
	s_cbranch_execz .LBB144_25
; %bb.20:
	v_mov_b32_e32 v2, 27
	v_cmp_gt_i16_sdwa s[14:15], v4, v2 src0_sel:BYTE_0 src1_sel:DWORD
                                        ; implicit-def: $vgpr2
	s_and_saveexec_b64 s[16:17], s[14:15]
	s_xor_b64 s[14:15], exec, s[16:17]
	s_cbranch_execz .LBB144_22
; %bb.21:
	flat_load_dword v2, v[0:1]
	s_waitcnt vmcnt(0) lgkmcnt(0)
	v_cvt_f32_u32_e32 v2, v2
.LBB144_22:
	s_andn2_saveexec_b64 s[14:15], s[14:15]
	s_cbranch_execz .LBB144_24
; %bb.23:
	flat_load_ushort v2, v[0:1]
	s_waitcnt vmcnt(0) lgkmcnt(0)
	v_cvt_f32_u32_e32 v2, v2
.LBB144_24:
	s_or_b64 exec, exec, s[14:15]
.LBB144_25:
	s_andn2_saveexec_b64 s[12:13], s[12:13]
	s_cbranch_execz .LBB144_33
; %bb.26:
	flat_load_ubyte v3, v[0:1]
	s_movk_i32 s14, 0x7f
	s_waitcnt vmcnt(0) lgkmcnt(0)
	v_cmp_lt_i16_e32 vcc, s14, v3
	s_mov_b64 s[14:15], 0
	s_and_saveexec_b64 s[16:17], vcc
	s_xor_b64 s[16:17], exec, s[16:17]
	s_cbranch_execz .LBB144_123
; %bb.27:
	s_movk_i32 s14, 0x80
	v_cmp_eq_u16_e32 vcc, s14, v3
	s_mov_b64 s[14:15], -1
	s_and_saveexec_b64 s[18:19], vcc
; %bb.28:
	s_xor_b64 s[14:15], exec, -1
; %bb.29:
	s_or_b64 exec, exec, s[18:19]
	s_and_b64 s[14:15], s[14:15], exec
	s_or_saveexec_b64 s[16:17], s[16:17]
	v_mov_b32_e32 v2, 0x7f800001
	s_xor_b64 exec, exec, s[16:17]
	s_cbranch_execnz .LBB144_124
.LBB144_30:
	s_or_b64 exec, exec, s[16:17]
	s_and_saveexec_b64 s[16:17], s[14:15]
	s_cbranch_execz .LBB144_32
.LBB144_31:
	v_lshlrev_b32_e32 v2, 24, v3
	v_and_b32_e32 v3, 0xffff, v3
	v_and_b32_e32 v4, 7, v3
	v_ffbh_u32_e32 v6, v4
	v_min_u32_e32 v6, 32, v6
	v_subrev_u32_e32 v7, 28, v6
	v_bfe_u32 v5, v3, 3, 4
	v_lshlrev_b32_e32 v3, v7, v3
	v_sub_u32_e32 v6, 29, v6
	v_and_b32_e32 v3, 7, v3
	v_cmp_eq_u32_e32 vcc, 0, v5
	v_and_b32_e32 v2, 0x80000000, v2
	s_nop 0
	v_cndmask_b32_e32 v5, v5, v6, vcc
	v_cndmask_b32_e32 v3, v4, v3, vcc
	v_mov_b32_e32 v4, 0x3b800000
	v_lshlrev_b32_e32 v3, 20, v3
	v_lshl_add_u32 v4, v5, 23, v4
	v_or3_b32 v2, v2, v4, v3
.LBB144_32:
	s_or_b64 exec, exec, s[16:17]
.LBB144_33:
	s_or_b64 exec, exec, s[12:13]
	v_mov_b32_e32 v3, 0
	s_or_b64 s[10:11], s[10:11], exec
.LBB144_34:
	s_or_b64 exec, exec, s[6:7]
	s_and_b64 s[6:7], s[10:11], exec
	s_and_b64 s[8:9], s[8:9], exec
                                        ; implicit-def: $vgpr4
	s_andn2_saveexec_b64 s[4:5], s[4:5]
	s_cbranch_execnz .LBB144_90
.LBB144_35:
	s_or_b64 exec, exec, s[4:5]
	s_and_saveexec_b64 s[4:5], s[8:9]
	s_cbranch_execnz .LBB144_115
.LBB144_36:
	s_or_b64 exec, exec, s[4:5]
	s_and_saveexec_b64 s[4:5], s[2:3]
	s_xor_b64 s[2:3], exec, s[4:5]
	s_cbranch_execz .LBB144_38
.LBB144_37:
	flat_load_ubyte v0, v[0:1]
	v_mov_b32_e32 v3, 0
	s_or_b64 s[6:7], s[6:7], exec
	s_waitcnt vmcnt(0) lgkmcnt(0)
	v_cmp_ne_u16_e32 vcc, 0, v0
	s_nop 1
	v_cndmask_b32_e64 v2, 0, 1.0, vcc
.LBB144_38:
	s_or_b64 exec, exec, s[2:3]
	s_and_b64 s[2:3], s[6:7], exec
                                        ; implicit-def: $vgpr4
                                        ; implicit-def: $vgpr0_vgpr1
	s_andn2_saveexec_b64 s[0:1], s[0:1]
	s_cbranch_execnz .LBB144_47
.LBB144_39:
	s_or_b64 exec, exec, s[0:1]
                                        ; implicit-def: $vgpr0
                                        ; implicit-def: $vgpr1
	s_and_saveexec_b64 s[6:7], s[2:3]
	s_cbranch_execz .LBB144_88
.LBB144_40:
	s_waitcnt vmcnt(0) lgkmcnt(0)
	v_mul_f32_e32 v0, 0.5, v3
	s_brev_b32 s0, 18
	v_and_b32_e32 v1, 0x7fffffff, v0
	v_cmp_nlt_f32_e64 s[0:1], |v0|, s0
                                        ; implicit-def: $vgpr5
                                        ; implicit-def: $vgpr4
	s_and_saveexec_b64 s[2:3], s[0:1]
	s_xor_b64 s[8:9], exec, s[2:3]
	s_cbranch_execz .LBB144_42
; %bb.41:
	v_lshrrev_b32_e32 v4, 23, v1
	v_add_u32_e32 v4, 0xffffff88, v4
	v_not_b32_e32 v5, 63
	v_cmp_lt_u32_e32 vcc, 63, v4
	s_mov_b32 s4, 0xfe5163ab
	v_mov_b32_e32 v7, 0
	v_cndmask_b32_e32 v5, 0, v5, vcc
	v_add_u32_e32 v4, v5, v4
	v_not_b32_e32 v5, 31
	v_cmp_lt_u32_e64 s[0:1], 31, v4
	s_nop 1
	v_cndmask_b32_e64 v6, 0, v5, s[0:1]
	v_add_u32_e32 v4, v6, v4
	v_cmp_lt_u32_e64 s[2:3], 31, v4
	s_nop 1
	v_cndmask_b32_e64 v5, 0, v5, s[2:3]
	v_add_u32_e32 v18, v5, v4
	v_and_b32_e32 v4, 0x7fffff, v1
	v_or_b32_e32 v19, 0x800000, v4
	v_mad_u64_u32 v[4:5], s[4:5], v19, s4, 0
	v_mov_b32_e32 v6, v5
	s_mov_b32 s4, 0x3c439041
	v_mad_u64_u32 v[8:9], s[4:5], v19, s4, v[6:7]
	v_mov_b32_e32 v6, v9
	s_mov_b32 s4, 0xdb629599
	;; [unrolled: 3-line block ×6, first 2 shown]
	v_mad_u64_u32 v[6:7], s[4:5], v19, s4, v[6:7]
	v_cndmask_b32_e32 v5, v16, v12, vcc
	v_cndmask_b32_e32 v6, v6, v14, vcc
	;; [unrolled: 1-line block ×3, first 2 shown]
	v_cndmask_b32_e64 v9, v6, v5, s[0:1]
	v_cndmask_b32_e64 v6, v7, v6, s[0:1]
	v_cndmask_b32_e32 v7, v14, v10, vcc
	v_cndmask_b32_e64 v5, v5, v7, s[0:1]
	v_cndmask_b32_e32 v8, v12, v8, vcc
	v_cndmask_b32_e64 v6, v6, v9, s[2:3]
	v_cndmask_b32_e64 v9, v9, v5, s[2:3]
	v_sub_u32_e32 v11, 32, v18
	v_cndmask_b32_e64 v7, v7, v8, s[0:1]
	v_alignbit_b32 v13, v6, v9, v11
	v_cmp_eq_u32_e64 s[4:5], 0, v18
	v_cndmask_b32_e64 v5, v5, v7, s[2:3]
	v_alignbit_b32 v12, v9, v5, v11
	v_cndmask_b32_e64 v6, v13, v6, s[4:5]
	v_cndmask_b32_e32 v4, v10, v4, vcc
	v_cndmask_b32_e64 v9, v12, v9, s[4:5]
	v_bfe_u32 v14, v6, 29, 1
	v_cndmask_b32_e64 v4, v8, v4, s[0:1]
	v_alignbit_b32 v12, v6, v9, 30
	v_sub_u32_e32 v15, 0, v14
	v_cndmask_b32_e64 v4, v7, v4, s[2:3]
	v_xor_b32_e32 v12, v12, v15
	v_alignbit_b32 v7, v5, v4, v11
	v_cndmask_b32_e64 v5, v7, v5, s[4:5]
	v_ffbh_u32_e32 v8, v12
	v_alignbit_b32 v7, v9, v5, 30
	v_min_u32_e32 v8, 32, v8
	v_alignbit_b32 v4, v5, v4, 30
	v_xor_b32_e32 v7, v7, v15
	v_sub_u32_e32 v9, 31, v8
	v_xor_b32_e32 v4, v4, v15
	v_alignbit_b32 v10, v12, v7, v9
	v_alignbit_b32 v4, v7, v4, v9
	v_alignbit_b32 v5, v10, v4, 9
	v_ffbh_u32_e32 v7, v5
	v_min_u32_e32 v7, 32, v7
	v_lshrrev_b32_e32 v13, 29, v6
	v_not_b32_e32 v9, v7
	v_alignbit_b32 v4, v5, v4, v9
	v_lshlrev_b32_e32 v5, 31, v13
	v_or_b32_e32 v9, 0x33000000, v5
	v_add_lshl_u32 v7, v7, v8, 23
	v_lshrrev_b32_e32 v4, 9, v4
	v_sub_u32_e32 v7, v9, v7
	v_or_b32_e32 v5, 0.5, v5
	v_lshlrev_b32_e32 v8, 23, v8
	v_or_b32_e32 v4, v7, v4
	v_lshrrev_b32_e32 v7, 9, v10
	v_sub_u32_e32 v5, v5, v8
	v_or_b32_e32 v5, v7, v5
	s_mov_b32 s0, 0x3fc90fda
	v_mul_f32_e32 v7, 0x3fc90fda, v5
	v_fma_f32 v8, v5, s0, -v7
	v_fmamk_f32 v5, v5, 0x33a22168, v8
	v_fmac_f32_e32 v5, 0x3fc90fda, v4
	v_add_f32_e32 v4, v7, v5
	v_lshrrev_b32_e32 v5, 30, v6
	v_add_u32_e32 v5, v14, v5
.LBB144_42:
	s_andn2_saveexec_b64 s[0:1], s[8:9]
	s_cbranch_execz .LBB144_44
; %bb.43:
	s_mov_b32 s2, 0x3f22f983
	v_mul_f32_e64 v4, |v0|, s2
	v_rndne_f32_e32 v4, v4
	s_mov_b32 s2, 0xbfc90fda
	v_cvt_i32_f32_e32 v5, v4
	v_fma_f32 v6, v4, s2, |v0|
	v_fmamk_f32 v6, v4, 0xb3a22168, v6
	v_fmamk_f32 v4, v4, 0xa7c234c4, v6
.LBB144_44:
	s_or_b64 exec, exec, s[0:1]
	v_and_b32_e32 v6, 0x7fffffff, v3
	s_brev_b32 s0, 18
	v_cmp_nlt_f32_e64 s[8:9], |v3|, s0
	v_lshrrev_b32_e32 v9, 23, v6
                                        ; implicit-def: $vgpr8
                                        ; implicit-def: $vgpr7
	s_and_saveexec_b64 s[0:1], s[8:9]
	s_xor_b64 s[10:11], exec, s[0:1]
	s_cbranch_execz .LBB144_116
; %bb.45:
	v_add_u32_e32 v7, 0xffffff88, v9
	v_not_b32_e32 v8, 63
	v_cmp_lt_u32_e32 vcc, 63, v7
	s_mov_b32 s4, 0xfe5163ab
	v_mov_b32_e32 v13, 0
	v_cndmask_b32_e32 v8, 0, v8, vcc
	v_add_u32_e32 v7, v8, v7
	v_not_b32_e32 v8, 31
	v_cmp_lt_u32_e64 s[0:1], 31, v7
	s_nop 1
	v_cndmask_b32_e64 v10, 0, v8, s[0:1]
	v_add_u32_e32 v7, v10, v7
	v_cmp_lt_u32_e64 s[2:3], 31, v7
	s_nop 1
	v_cndmask_b32_e64 v8, 0, v8, s[2:3]
	v_add_u32_e32 v7, v8, v7
	v_and_b32_e32 v8, 0x7fffff, v6
	v_or_b32_e32 v8, 0x800000, v8
	v_mad_u64_u32 v[10:11], s[4:5], v8, s4, 0
	v_mov_b32_e32 v12, v11
	s_mov_b32 s4, 0x3c439041
	v_mad_u64_u32 v[14:15], s[4:5], v8, s4, v[12:13]
	v_mov_b32_e32 v12, v15
	s_mov_b32 s4, 0xdb629599
	;; [unrolled: 3-line block ×6, first 2 shown]
	v_mad_u64_u32 v[12:13], s[4:5], v8, s4, v[12:13]
	v_cndmask_b32_e32 v11, v22, v18, vcc
	v_cndmask_b32_e32 v8, v12, v20, vcc
	v_cndmask_b32_e32 v13, v13, v22, vcc
	v_cndmask_b32_e64 v12, v8, v11, s[0:1]
	v_cndmask_b32_e64 v8, v13, v8, s[0:1]
	v_cndmask_b32_e32 v13, v20, v16, vcc
	v_cndmask_b32_e64 v11, v11, v13, s[0:1]
	v_sub_u32_e32 v15, 32, v7
	v_cmp_eq_u32_e64 s[4:5], 0, v7
	v_cndmask_b32_e32 v7, v18, v14, vcc
	v_cndmask_b32_e64 v8, v8, v12, s[2:3]
	v_cndmask_b32_e64 v12, v12, v11, s[2:3]
	;; [unrolled: 1-line block ×3, first 2 shown]
	v_alignbit_b32 v17, v8, v12, v15
	v_cndmask_b32_e64 v11, v11, v13, s[2:3]
	v_cndmask_b32_e32 v10, v16, v10, vcc
	v_cndmask_b32_e64 v8, v17, v8, s[4:5]
	v_alignbit_b32 v14, v12, v11, v15
	v_cndmask_b32_e64 v7, v7, v10, s[0:1]
	v_cndmask_b32_e64 v12, v14, v12, s[4:5]
	v_bfe_u32 v18, v8, 29, 1
	v_cndmask_b32_e64 v7, v13, v7, s[2:3]
	v_alignbit_b32 v14, v8, v12, 30
	v_sub_u32_e32 v19, 0, v18
	v_alignbit_b32 v10, v11, v7, v15
	v_xor_b32_e32 v14, v14, v19
	v_cndmask_b32_e64 v10, v10, v11, s[4:5]
	v_alignbit_b32 v11, v12, v10, 30
	v_ffbh_u32_e32 v12, v14
	v_min_u32_e32 v12, 32, v12
	v_alignbit_b32 v7, v10, v7, 30
	v_xor_b32_e32 v11, v11, v19
	v_sub_u32_e32 v13, 31, v12
	v_xor_b32_e32 v7, v7, v19
	v_alignbit_b32 v14, v14, v11, v13
	v_alignbit_b32 v7, v11, v7, v13
	;; [unrolled: 1-line block ×3, first 2 shown]
	v_ffbh_u32_e32 v11, v10
	v_min_u32_e32 v11, 32, v11
	v_lshrrev_b32_e32 v17, 29, v8
	v_not_b32_e32 v13, v11
	v_alignbit_b32 v7, v10, v7, v13
	v_lshlrev_b32_e32 v10, 31, v17
	v_or_b32_e32 v13, 0x33000000, v10
	v_add_lshl_u32 v11, v11, v12, 23
	v_lshrrev_b32_e32 v7, 9, v7
	v_sub_u32_e32 v11, v13, v11
	v_or_b32_e32 v10, 0.5, v10
	v_lshlrev_b32_e32 v12, 23, v12
	v_or_b32_e32 v7, v11, v7
	v_lshrrev_b32_e32 v11, 9, v14
	v_sub_u32_e32 v10, v10, v12
	v_or_b32_e32 v10, v11, v10
	s_mov_b32 s0, 0x3fc90fda
	v_mul_f32_e32 v11, 0x3fc90fda, v10
	v_fma_f32 v12, v10, s0, -v11
	v_fmamk_f32 v10, v10, 0x33a22168, v12
	v_fmac_f32_e32 v10, 0x3fc90fda, v7
	v_lshrrev_b32_e32 v8, 30, v8
	v_add_f32_e32 v7, v11, v10
	v_add_u32_e32 v8, v18, v8
	s_andn2_saveexec_b64 s[0:1], s[10:11]
	s_cbranch_execz .LBB144_118
	s_branch .LBB144_117
.LBB144_46:
	s_andn2_saveexec_b64 s[0:1], s[0:1]
	s_cbranch_execz .LBB144_39
.LBB144_47:
	v_mov_b32_e32 v2, 4
	v_cmp_gt_i16_sdwa s[4:5], v4, v2 src0_sel:BYTE_0 src1_sel:DWORD
                                        ; implicit-def: $vgpr3
	s_and_saveexec_b64 s[6:7], s[4:5]
	s_xor_b64 s[4:5], exec, s[6:7]
	s_cbranch_execz .LBB144_69
; %bb.48:
	v_mov_b32_e32 v2, 7
	v_cmp_gt_i16_sdwa s[6:7], v4, v2 src0_sel:BYTE_0 src1_sel:DWORD
                                        ; implicit-def: $vgpr3
	s_and_saveexec_b64 s[8:9], s[6:7]
	s_xor_b64 s[6:7], exec, s[8:9]
	s_cbranch_execz .LBB144_58
; %bb.49:
	;; [unrolled: 7-line block ×4, first 2 shown]
	flat_load_dwordx4 v[2:5], v[0:1]
                                        ; implicit-def: $vgpr0_vgpr1
	s_waitcnt vmcnt(0) lgkmcnt(0)
	v_cvt_f32_f64_e32 v2, v[2:3]
	v_cvt_f32_f64_e32 v3, v[4:5]
.LBB144_52:
	s_andn2_saveexec_b64 s[10:11], s[10:11]
	s_cbranch_execz .LBB144_54
; %bb.53:
	flat_load_dwordx2 v[2:3], v[0:1]
.LBB144_54:
	s_or_b64 exec, exec, s[10:11]
                                        ; implicit-def: $vgpr0_vgpr1
.LBB144_55:
	s_andn2_saveexec_b64 s[8:9], s[8:9]
	s_cbranch_execz .LBB144_57
; %bb.56:
	flat_load_dword v0, v[0:1]
	s_waitcnt vmcnt(0) lgkmcnt(0)
	v_cvt_f32_f16_sdwa v3, v0 dst_sel:DWORD dst_unused:UNUSED_PAD src0_sel:WORD_1
	v_cvt_f32_f16_e32 v2, v0
.LBB144_57:
	s_or_b64 exec, exec, s[8:9]
                                        ; implicit-def: $vgpr0_vgpr1
                                        ; implicit-def: $vgpr4
.LBB144_58:
	s_andn2_saveexec_b64 s[6:7], s[6:7]
	s_cbranch_execz .LBB144_68
; %bb.59:
	s_waitcnt vmcnt(0) lgkmcnt(0)
	v_mov_b32_e32 v2, 5
	v_cmp_gt_i16_sdwa s[8:9], v4, v2 src0_sel:BYTE_0 src1_sel:DWORD
                                        ; implicit-def: $vgpr2
	s_and_saveexec_b64 s[10:11], s[8:9]
	s_xor_b64 s[8:9], exec, s[10:11]
	s_cbranch_execz .LBB144_65
; %bb.60:
	v_mov_b32_e32 v2, 6
	v_cmp_gt_i16_sdwa s[10:11], v4, v2 src0_sel:BYTE_0 src1_sel:DWORD
                                        ; implicit-def: $vgpr2
	s_and_saveexec_b64 s[12:13], s[10:11]
	s_xor_b64 s[10:11], exec, s[12:13]
	s_cbranch_execz .LBB144_62
; %bb.61:
	flat_load_dwordx2 v[0:1], v[0:1]
	s_waitcnt vmcnt(0) lgkmcnt(0)
	v_cvt_f32_f64_e32 v2, v[0:1]
                                        ; implicit-def: $vgpr0_vgpr1
.LBB144_62:
	s_andn2_saveexec_b64 s[10:11], s[10:11]
	s_cbranch_execz .LBB144_64
; %bb.63:
	flat_load_dword v2, v[0:1]
.LBB144_64:
	s_or_b64 exec, exec, s[10:11]
                                        ; implicit-def: $vgpr0_vgpr1
.LBB144_65:
	s_andn2_saveexec_b64 s[8:9], s[8:9]
	s_cbranch_execz .LBB144_67
; %bb.66:
	flat_load_ushort v0, v[0:1]
	s_waitcnt vmcnt(0) lgkmcnt(0)
	v_cvt_f32_f16_e32 v2, v0
.LBB144_67:
	s_or_b64 exec, exec, s[8:9]
	v_mov_b32_e32 v3, 0
.LBB144_68:
	s_or_b64 exec, exec, s[6:7]
                                        ; implicit-def: $vgpr4
                                        ; implicit-def: $vgpr0_vgpr1
.LBB144_69:
	s_andn2_saveexec_b64 s[4:5], s[4:5]
	s_cbranch_execz .LBB144_87
; %bb.70:
	s_waitcnt vmcnt(0) lgkmcnt(0)
	v_mov_b32_e32 v2, 1
	v_cmp_gt_i16_sdwa s[6:7], v4, v2 src0_sel:BYTE_0 src1_sel:DWORD
                                        ; implicit-def: $vgpr2
	s_and_saveexec_b64 s[8:9], s[6:7]
	s_xor_b64 s[6:7], exec, s[8:9]
	s_cbranch_execz .LBB144_80
; %bb.71:
	v_mov_b32_e32 v2, 2
	v_cmp_gt_i16_sdwa s[8:9], v4, v2 src0_sel:BYTE_0 src1_sel:DWORD
                                        ; implicit-def: $vgpr2
	s_and_saveexec_b64 s[10:11], s[8:9]
	s_xor_b64 s[8:9], exec, s[10:11]
	s_cbranch_execz .LBB144_77
; %bb.72:
	;; [unrolled: 7-line block ×3, first 2 shown]
	flat_load_dwordx2 v[0:1], v[0:1]
	s_waitcnt vmcnt(0) lgkmcnt(0)
	v_xor_b32_e32 v3, v0, v1
	v_ffbh_i32_e32 v2, v1
	v_ashrrev_i32_e32 v3, 31, v3
	v_add_u32_e32 v2, -1, v2
	v_add_u32_e32 v3, 32, v3
	v_min_u32_e32 v2, v2, v3
	v_lshlrev_b64 v[0:1], v2, v[0:1]
	v_min_u32_e32 v0, 1, v0
	v_or_b32_e32 v0, v1, v0
	v_cvt_f32_i32_e32 v0, v0
	v_sub_u32_e32 v1, 32, v2
	v_ldexp_f32 v2, v0, v1
                                        ; implicit-def: $vgpr0_vgpr1
.LBB144_74:
	s_andn2_saveexec_b64 s[10:11], s[10:11]
	s_cbranch_execz .LBB144_76
; %bb.75:
	flat_load_dword v0, v[0:1]
	s_waitcnt vmcnt(0) lgkmcnt(0)
	v_cvt_f32_i32_e32 v2, v0
.LBB144_76:
	s_or_b64 exec, exec, s[10:11]
                                        ; implicit-def: $vgpr0_vgpr1
.LBB144_77:
	s_andn2_saveexec_b64 s[8:9], s[8:9]
	s_cbranch_execz .LBB144_79
; %bb.78:
	flat_load_sshort v0, v[0:1]
	s_waitcnt vmcnt(0) lgkmcnt(0)
	v_cvt_f32_i32_e32 v2, v0
.LBB144_79:
	s_or_b64 exec, exec, s[8:9]
                                        ; implicit-def: $vgpr0_vgpr1
                                        ; implicit-def: $vgpr4
.LBB144_80:
	s_andn2_saveexec_b64 s[6:7], s[6:7]
	s_cbranch_execz .LBB144_86
; %bb.81:
	v_mov_b32_e32 v2, 0
	v_cmp_gt_i16_sdwa s[8:9], v4, v2 src0_sel:BYTE_0 src1_sel:DWORD
                                        ; implicit-def: $vgpr2
	s_and_saveexec_b64 s[10:11], s[8:9]
	s_xor_b64 s[8:9], exec, s[10:11]
	s_cbranch_execz .LBB144_83
; %bb.82:
	flat_load_sbyte v0, v[0:1]
	s_waitcnt vmcnt(0) lgkmcnt(0)
	v_cvt_f32_i32_e32 v2, v0
                                        ; implicit-def: $vgpr0_vgpr1
.LBB144_83:
	s_andn2_saveexec_b64 s[8:9], s[8:9]
	s_cbranch_execz .LBB144_85
; %bb.84:
	flat_load_ubyte v0, v[0:1]
	s_waitcnt vmcnt(0) lgkmcnt(0)
	v_cvt_f32_ubyte0_e32 v2, v0
.LBB144_85:
	s_or_b64 exec, exec, s[8:9]
.LBB144_86:
	s_or_b64 exec, exec, s[6:7]
	v_mov_b32_e32 v3, 0
.LBB144_87:
	s_or_b64 exec, exec, s[4:5]
	s_or_b64 s[2:3], s[2:3], exec
	s_or_b64 exec, exec, s[0:1]
                                        ; implicit-def: $vgpr0
                                        ; implicit-def: $vgpr1
	s_and_saveexec_b64 s[6:7], s[2:3]
	s_cbranch_execnz .LBB144_40
.LBB144_88:
	s_or_b64 exec, exec, s[6:7]
	s_waitcnt vmcnt(0) lgkmcnt(0)
	s_setpc_b64 s[30:31]
.LBB144_89:
	s_andn2_saveexec_b64 s[4:5], s[4:5]
	s_cbranch_execz .LBB144_35
.LBB144_90:
	v_mov_b32_e32 v2, 22
	v_cmp_gt_i16_sdwa s[2:3], v4, v2 src0_sel:BYTE_0 src1_sel:DWORD
	s_mov_b64 s[10:11], s[6:7]
                                        ; implicit-def: $vgpr2
	s_and_saveexec_b64 s[12:13], s[2:3]
	s_xor_b64 s[2:3], exec, s[12:13]
	s_cbranch_execz .LBB144_106
; %bb.91:
	v_mov_b32_e32 v2, 23
	v_cmp_gt_i16_sdwa s[10:11], v4, v2 src0_sel:BYTE_0 src1_sel:DWORD
                                        ; implicit-def: $vgpr2
	s_and_saveexec_b64 s[12:13], s[10:11]
	s_xor_b64 s[10:11], exec, s[12:13]
	s_cbranch_execz .LBB144_103
; %bb.92:
	v_mov_b32_e32 v2, 24
	v_cmp_gt_i16_sdwa s[12:13], v4, v2 src0_sel:BYTE_0 src1_sel:DWORD
                                        ; implicit-def: $vgpr2
	s_and_saveexec_b64 s[14:15], s[12:13]
	s_xor_b64 s[12:13], exec, s[14:15]
	s_cbranch_execz .LBB144_100
; %bb.93:
	flat_load_ubyte v3, v[0:1]
	s_movk_i32 s14, 0x7f
	s_waitcnt vmcnt(0) lgkmcnt(0)
	v_cmp_lt_i16_e32 vcc, s14, v3
	s_mov_b64 s[14:15], 0
	s_and_saveexec_b64 s[16:17], vcc
	s_xor_b64 s[16:17], exec, s[16:17]
	s_cbranch_execz .LBB144_125
; %bb.94:
	s_movk_i32 s14, 0x80
	v_cmp_eq_u16_e32 vcc, s14, v3
	s_mov_b64 s[14:15], -1
	s_and_saveexec_b64 s[18:19], vcc
; %bb.95:
	s_xor_b64 s[14:15], exec, -1
; %bb.96:
	s_or_b64 exec, exec, s[18:19]
	s_and_b64 s[14:15], s[14:15], exec
	s_or_saveexec_b64 s[16:17], s[16:17]
	v_mov_b32_e32 v2, 0x7f800001
	s_xor_b64 exec, exec, s[16:17]
	s_cbranch_execnz .LBB144_126
.LBB144_97:
	s_or_b64 exec, exec, s[16:17]
	s_and_saveexec_b64 s[16:17], s[14:15]
	s_cbranch_execz .LBB144_99
.LBB144_98:
	v_lshlrev_b32_e32 v2, 24, v3
	v_and_b32_e32 v3, 0xffff, v3
	v_and_b32_e32 v4, 3, v3
	v_ffbh_u32_e32 v6, v4
	v_min_u32_e32 v6, 32, v6
	v_subrev_u32_e32 v7, 29, v6
	v_bfe_u32 v5, v3, 2, 5
	v_lshlrev_b32_e32 v3, v7, v3
	v_sub_u32_e32 v6, 30, v6
	v_and_b32_e32 v3, 3, v3
	v_cmp_eq_u32_e32 vcc, 0, v5
	v_and_b32_e32 v2, 0x80000000, v2
	s_nop 0
	v_cndmask_b32_e32 v5, v5, v6, vcc
	v_cndmask_b32_e32 v3, v4, v3, vcc
	v_mov_b32_e32 v4, 0x37800000
	v_lshlrev_b32_e32 v3, 21, v3
	v_lshl_add_u32 v4, v5, 23, v4
	v_or3_b32 v2, v2, v4, v3
.LBB144_99:
	s_or_b64 exec, exec, s[16:17]
.LBB144_100:
	s_andn2_saveexec_b64 s[12:13], s[12:13]
	s_cbranch_execz .LBB144_102
; %bb.101:
	flat_load_ubyte v2, v[0:1]
	s_mov_b32 s14, 0x7f800000
	s_waitcnt vmcnt(0) lgkmcnt(0)
	v_lshlrev_b32_e32 v2, 24, v2
	v_and_b32_e32 v3, 0x7f000000, v2
	v_ffbh_u32_e32 v4, v3
	v_min_u32_e32 v4, 32, v4
	v_sub_u32_e64 v4, v4, 4 clamp
	v_lshlrev_b32_e32 v6, v4, v3
	v_lshlrev_b32_e32 v4, 23, v4
	v_lshrrev_b32_e32 v6, 4, v6
	v_add_u32_e32 v5, 0x1000000, v3
	v_sub_u32_e32 v4, v6, v4
	v_ashrrev_i32_e32 v5, 8, v5
	v_add_u32_e32 v4, 0x3c000000, v4
	v_and_or_b32 v4, v5, s14, v4
	v_cmp_ne_u32_e32 vcc, 0, v3
	s_brev_b32 s14, 1
	s_nop 0
	v_cndmask_b32_e32 v3, 0, v4, vcc
	v_and_or_b32 v2, v2, s14, v3
.LBB144_102:
	s_or_b64 exec, exec, s[12:13]
.LBB144_103:
	s_andn2_saveexec_b64 s[10:11], s[10:11]
	s_cbranch_execz .LBB144_105
; %bb.104:
	flat_load_ubyte v2, v[0:1]
	s_movk_i32 s12, 0x7f00
	s_brev_b32 s13, 16
	s_waitcnt vmcnt(0) lgkmcnt(0)
	v_lshlrev_b16_e32 v3, 8, v2
	v_lshlrev_b32_e32 v2, 25, v2
	v_lshrrev_b32_e32 v4, 4, v2
	v_and_or_b32 v5, v3, s12, 0.5
	v_or_b32_e32 v4, 0x70000000, v4
	v_add_f32_e32 v5, -0.5, v5
	v_mul_f32_e32 v4, 0x7800000, v4
	v_cmp_gt_u32_e32 vcc, s13, v2
	v_bfe_i32 v3, v3, 0, 16
	s_brev_b32 s12, 1
	v_cndmask_b32_e32 v2, v4, v5, vcc
	v_and_or_b32 v2, v3, s12, v2
.LBB144_105:
	s_or_b64 exec, exec, s[10:11]
	s_or_b64 s[10:11], s[6:7], exec
                                        ; implicit-def: $vgpr4
.LBB144_106:
	s_or_saveexec_b64 s[2:3], s[2:3]
	s_mov_b64 s[14:15], 0
	s_mov_b64 s[12:13], s[8:9]
	s_xor_b64 exec, exec, s[2:3]
	s_cbranch_execz .LBB144_114
; %bb.107:
	v_mov_b32_e32 v2, 14
	v_cmp_gt_i16_sdwa s[16:17], v4, v2 src0_sel:BYTE_0 src1_sel:DWORD
	s_mov_b64 s[12:13], s[8:9]
	s_mov_b64 s[14:15], s[10:11]
                                        ; implicit-def: $vgpr2
	s_and_saveexec_b64 s[18:19], s[16:17]
	s_xor_b64 s[16:17], exec, s[18:19]
	s_cbranch_execz .LBB144_111
; %bb.108:
	v_mov_b32_e32 v2, 15
	v_cmp_eq_u16_sdwa s[20:21], v4, v2 src0_sel:BYTE_0 src1_sel:DWORD
	s_mov_b64 s[12:13], -1
	s_mov_b64 s[14:15], s[10:11]
                                        ; implicit-def: $vgpr2
	s_and_saveexec_b64 s[18:19], s[20:21]
	s_cbranch_execz .LBB144_110
; %bb.109:
	flat_load_ushort v2, v[0:1]
	s_or_b64 s[14:15], s[10:11], exec
	s_xor_b64 s[12:13], exec, -1
	s_waitcnt vmcnt(0) lgkmcnt(0)
	v_lshlrev_b32_e32 v2, 16, v2
.LBB144_110:
	s_or_b64 exec, exec, s[18:19]
	s_andn2_b64 s[18:19], s[10:11], exec
	s_and_b64 s[14:15], s[14:15], exec
	s_or_b64 s[14:15], s[18:19], s[14:15]
	s_andn2_b64 s[18:19], s[8:9], exec
	s_and_b64 s[12:13], s[12:13], exec
	s_or_b64 s[12:13], s[18:19], s[12:13]
                                        ; implicit-def: $vgpr4
.LBB144_111:
	s_or_saveexec_b64 s[16:17], s[16:17]
	s_mov_b64 s[18:19], 0
	s_xor_b64 exec, exec, s[16:17]
; %bb.112:
	v_mov_b32_e32 v3, 11
	v_cmp_ne_u16_sdwa s[20:21], v4, v3 src0_sel:BYTE_0 src1_sel:DWORD
	s_andn2_b64 s[12:13], s[12:13], exec
	s_and_b64 s[20:21], s[20:21], exec
	s_mov_b64 s[18:19], exec
	s_or_b64 s[12:13], s[12:13], s[20:21]
; %bb.113:
	s_or_b64 exec, exec, s[16:17]
	s_andn2_b64 s[10:11], s[10:11], exec
	s_and_b64 s[14:15], s[14:15], exec
	s_andn2_b64 s[16:17], s[8:9], exec
	s_and_b64 s[12:13], s[12:13], exec
	s_or_b64 s[10:11], s[10:11], s[14:15]
	s_and_b64 s[14:15], s[18:19], exec
	s_or_b64 s[12:13], s[16:17], s[12:13]
.LBB144_114:
	s_or_b64 exec, exec, s[2:3]
	s_andn2_b64 s[2:3], s[6:7], exec
	s_and_b64 s[6:7], s[10:11], exec
	s_andn2_b64 s[8:9], s[8:9], exec
	s_and_b64 s[10:11], s[12:13], exec
	v_mov_b32_e32 v3, 0
	s_or_b64 s[6:7], s[2:3], s[6:7]
	s_and_b64 s[2:3], s[14:15], exec
	s_or_b64 s[8:9], s[8:9], s[10:11]
	s_or_b64 exec, exec, s[4:5]
	s_and_saveexec_b64 s[4:5], s[8:9]
	s_cbranch_execz .LBB144_36
.LBB144_115:
	s_trap 2
	; divergent unreachable
	s_andn2_b64 s[2:3], s[2:3], exec
	s_or_b64 exec, exec, s[4:5]
	s_and_saveexec_b64 s[4:5], s[2:3]
	s_xor_b64 s[2:3], exec, s[4:5]
	s_cbranch_execnz .LBB144_37
	s_branch .LBB144_38
.LBB144_116:
	s_andn2_saveexec_b64 s[0:1], s[10:11]
	s_cbranch_execz .LBB144_118
.LBB144_117:
	s_mov_b32 s2, 0x3f22f983
	v_mul_f32_e64 v7, |v3|, s2
	v_rndne_f32_e32 v7, v7
	s_mov_b32 s2, 0xbfc90fda
	v_cvt_i32_f32_e32 v8, v7
	v_fma_f32 v10, v7, s2, |v3|
	v_fmamk_f32 v10, v7, 0xb3a22168, v10
	v_fmamk_f32 v7, v7, 0xa7c234c4, v10
.LBB144_118:
	s_or_b64 exec, exec, s[0:1]
                                        ; implicit-def: $vgpr10
                                        ; implicit-def: $vgpr11
	s_and_saveexec_b64 s[0:1], s[8:9]
	s_xor_b64 s[8:9], exec, s[0:1]
	s_cbranch_execz .LBB144_120
; %bb.119:
	v_add_u32_e32 v9, 0xffffff88, v9
	v_not_b32_e32 v10, 63
	v_cmp_lt_u32_e32 vcc, 63, v9
	s_mov_b32 s4, 0xfe5163ab
	v_mov_b32_e32 v13, 0
	v_cndmask_b32_e32 v10, 0, v10, vcc
	v_add_u32_e32 v9, v10, v9
	v_not_b32_e32 v10, 31
	v_cmp_lt_u32_e64 s[0:1], 31, v9
	s_nop 1
	v_cndmask_b32_e64 v11, 0, v10, s[0:1]
	v_add_u32_e32 v9, v11, v9
	v_cmp_lt_u32_e64 s[2:3], 31, v9
	s_nop 1
	v_cndmask_b32_e64 v10, 0, v10, s[2:3]
	v_add_u32_e32 v9, v10, v9
	v_and_b32_e32 v10, 0x7fffff, v6
	v_or_b32_e32 v24, 0x800000, v10
	v_mad_u64_u32 v[10:11], s[4:5], v24, s4, 0
	v_mov_b32_e32 v12, v11
	s_mov_b32 s4, 0x3c439041
	v_mad_u64_u32 v[14:15], s[4:5], v24, s4, v[12:13]
	v_mov_b32_e32 v12, v15
	s_mov_b32 s4, 0xdb629599
	;; [unrolled: 3-line block ×6, first 2 shown]
	v_mad_u64_u32 v[12:13], s[4:5], v24, s4, v[12:13]
	v_cndmask_b32_e32 v11, v22, v18, vcc
	v_cndmask_b32_e32 v12, v12, v20, vcc
	v_cndmask_b32_e32 v13, v13, v22, vcc
	v_cndmask_b32_e64 v15, v12, v11, s[0:1]
	v_cndmask_b32_e64 v12, v13, v12, s[0:1]
	v_cndmask_b32_e32 v13, v20, v16, vcc
	v_cndmask_b32_e64 v11, v11, v13, s[0:1]
	v_cndmask_b32_e64 v12, v12, v15, s[2:3]
	;; [unrolled: 1-line block ×3, first 2 shown]
	v_sub_u32_e32 v17, 32, v9
	v_alignbit_b32 v19, v12, v15, v17
	v_cmp_eq_u32_e64 s[4:5], 0, v9
	v_cndmask_b32_e32 v10, v16, v10, vcc
	s_nop 0
	v_cndmask_b32_e64 v9, v19, v12, s[4:5]
	v_cndmask_b32_e32 v12, v18, v14, vcc
	v_cndmask_b32_e64 v13, v13, v12, s[0:1]
	v_cndmask_b32_e64 v11, v11, v13, s[2:3]
	v_alignbit_b32 v14, v15, v11, v17
	v_cndmask_b32_e64 v14, v14, v15, s[4:5]
	v_bfe_u32 v19, v9, 29, 1
	v_cndmask_b32_e64 v10, v12, v10, s[0:1]
	v_alignbit_b32 v15, v9, v14, 30
	v_sub_u32_e32 v20, 0, v19
	v_cndmask_b32_e64 v10, v13, v10, s[2:3]
	v_xor_b32_e32 v15, v15, v20
	v_alignbit_b32 v12, v11, v10, v17
	v_cndmask_b32_e64 v11, v12, v11, s[4:5]
	v_ffbh_u32_e32 v13, v15
	v_alignbit_b32 v12, v14, v11, 30
	v_min_u32_e32 v13, 32, v13
	v_alignbit_b32 v10, v11, v10, 30
	v_xor_b32_e32 v12, v12, v20
	v_sub_u32_e32 v14, 31, v13
	v_xor_b32_e32 v10, v10, v20
	v_alignbit_b32 v15, v15, v12, v14
	v_alignbit_b32 v10, v12, v10, v14
	;; [unrolled: 1-line block ×3, first 2 shown]
	v_ffbh_u32_e32 v12, v11
	v_min_u32_e32 v12, 32, v12
	v_lshrrev_b32_e32 v18, 29, v9
	v_not_b32_e32 v14, v12
	v_alignbit_b32 v10, v11, v10, v14
	v_lshlrev_b32_e32 v11, 31, v18
	v_or_b32_e32 v14, 0x33000000, v11
	v_add_lshl_u32 v12, v12, v13, 23
	v_lshrrev_b32_e32 v10, 9, v10
	v_sub_u32_e32 v12, v14, v12
	v_or_b32_e32 v11, 0.5, v11
	v_lshlrev_b32_e32 v13, 23, v13
	v_or_b32_e32 v10, v12, v10
	v_lshrrev_b32_e32 v12, 9, v15
	v_sub_u32_e32 v11, v11, v13
	v_or_b32_e32 v11, v12, v11
	s_mov_b32 s0, 0x3fc90fda
	v_mul_f32_e32 v12, 0x3fc90fda, v11
	v_fma_f32 v13, v11, s0, -v12
	v_fmamk_f32 v11, v11, 0x33a22168, v13
	v_fmac_f32_e32 v11, 0x3fc90fda, v10
	v_lshrrev_b32_e32 v9, 30, v9
	v_add_f32_e32 v11, v12, v11
	v_add_u32_e32 v10, v19, v9
	s_andn2_saveexec_b64 s[0:1], s[8:9]
	s_cbranch_execnz .LBB144_121
	s_branch .LBB144_122
.LBB144_120:
	s_andn2_saveexec_b64 s[0:1], s[8:9]
	s_cbranch_execz .LBB144_122
.LBB144_121:
	s_mov_b32 s2, 0x3f22f983
	v_mul_f32_e64 v9, |v3|, s2
	v_rndne_f32_e32 v9, v9
	s_mov_b32 s2, 0xbfc90fda
	v_cvt_i32_f32_e32 v10, v9
	v_fma_f32 v11, v9, s2, |v3|
	v_fmamk_f32 v11, v9, 0xb3a22168, v11
	v_fmamk_f32 v11, v9, 0xa7c234c4, v11
.LBB144_122:
	s_or_b64 exec, exec, s[0:1]
	v_mul_f32_e32 v9, 0x3fb8aa3b, v2
	s_mov_b32 s0, 0x3fb8aa3b
	v_rndne_f32_e32 v12, v9
	v_sub_f32_e32 v13, v9, v12
	v_fma_f32 v9, v2, s0, -v9
	v_fmamk_f32 v9, v2, 0x32a5705f, v9
	v_add_f32_e32 v9, v13, v9
	v_exp_f32_e32 v9, v9
	v_cvt_i32_f32_e32 v13, v12
	s_mov_b32 s0, 0xc2ce8ed0
	v_cmp_ngt_f32_e32 vcc, s0, v2
	s_mov_b32 s0, 0x42b17218
	v_ldexp_f32 v9, v9, v13
	v_cndmask_b32_e32 v9, 0, v9, vcc
	v_mov_b32_e32 v14, 0x7f800000
	v_cmp_nlt_f32_e32 vcc, s0, v2
	s_mov_b32 s0, 0x43000000
	v_ldexp_f32 v13, 1.0, v13
	v_cndmask_b32_e32 v9, v14, v9, vcc
	v_mov_b32_e32 v15, 0x7f000000
	v_cmp_eq_f32_e32 vcc, s0, v12
	s_mov_b32 s0, 0x42b17217
	v_mov_b32_e32 v18, 0x3c0881c4
	v_cndmask_b32_e32 v13, v13, v15, vcc
	v_fmamk_f32 v15, v12, 0xbf317218, v2
	v_fmamk_f32 v12, v12, 0x3102e308, v15
	v_mov_b32_e32 v15, 0x3ab69700
	v_fmac_f32_e32 v15, 0x395133b1, v12
	v_fmaak_f32 v15, v12, v15, 0x3c0887f9
	v_fmaak_f32 v15, v12, v15, 0x3d2aaa81
	;; [unrolled: 1-line block ×3, first 2 shown]
	v_fma_f32 v15, v12, v15, 0.5
	v_mul_f32_e32 v15, v12, v15
	v_fmac_f32_e32 v12, v12, v15
	v_add_f32_e32 v15, -1.0, v13
	v_fmac_f32_e32 v15, v13, v12
	v_add_f32_e32 v12, v15, v15
	v_cndmask_b32_e32 v12, v15, v12, vcc
	v_cmp_nlt_f32_e32 vcc, s0, v2
	v_mul_f32_e32 v13, v7, v7
	s_mov_b32 s0, 0xc1880000
	v_cndmask_b32_e32 v12, v14, v12, vcc
	v_mov_b32_e32 v14, 0xbab64f3b
	v_fmamk_f32 v15, v13, 0x37d75334, v14
	v_fmaak_f32 v15, v13, v15, 0x3d2aabf7
	v_fmamk_f32 v19, v13, 0xb94c1982, v18
	v_cmp_ngt_f32_e32 vcc, s0, v2
	v_fmaak_f32 v15, v13, v15, 0xbf000004
	v_fmaak_f32 v19, v13, v19, 0xbe2aaa9d
	v_cndmask_b32_e32 v2, -1.0, v12, vcc
	v_lshlrev_b32_e32 v12, 30, v8
	v_and_b32_e32 v8, 1, v8
	v_fma_f32 v15, v13, v15, 1.0
	v_mul_f32_e32 v13, v13, v19
	v_fmac_f32_e32 v7, v7, v13
	v_cmp_eq_u32_e32 vcc, 0, v8
	s_brev_b32 s0, 1
	v_xor_b32_e32 v1, v1, v0
	v_cndmask_b32_e64 v7, -v7, v15, vcc
	v_bitop3_b32 v7, v12, v7, s0 bitop3:0x6c
	v_lshlrev_b32_e32 v12, 30, v5
	v_and_b32_e32 v12, 0x80000000, v12
	v_xor_b32_e32 v1, v1, v12
	v_mul_f32_e32 v12, v4, v4
	v_fmamk_f32 v13, v12, 0xb94c1982, v18
	v_fmaak_f32 v13, v12, v13, 0xbe2aaa9d
	v_mul_f32_e32 v13, v12, v13
	v_fmac_f32_e32 v4, v4, v13
	v_fmamk_f32 v13, v12, 0x37d75334, v14
	v_fmaak_f32 v13, v12, v13, 0x3d2aabf7
	v_and_b32_e32 v5, 1, v5
	v_fmaak_f32 v13, v12, v13, 0xbf000004
	v_fma_f32 v12, v12, v13, 1.0
	v_cmp_eq_u32_e64 s[0:1], 0, v5
	s_movk_i32 s2, 0x1f8
	v_mov_b32_e32 v8, 0x7fc00000
	v_cndmask_b32_e64 v4, v12, v4, s[0:1]
	v_xor_b32_e32 v1, v1, v4
	v_cmp_class_f32_e64 s[0:1], v0, s2
	v_mov_b32_e32 v20, 0xbe2aaa9d
	v_cmp_class_f32_e64 vcc, v3, s2
	v_cndmask_b32_e64 v0, v8, v1, s[0:1]
	v_add_f32_e32 v1, v0, v0
	v_mul_f32_e32 v0, v0, v1
	v_mul_f32_e32 v1, v11, v11
	v_fmac_f32_e32 v18, 0xb94c1982, v1
	v_cndmask_b32_e32 v7, v8, v7, vcc
	v_fmac_f32_e32 v20, v1, v18
	v_mov_b32_e32 v16, 0x3d2aabf7
	v_fma_f32 v0, v2, v7, -v0
	v_mul_f32_e32 v2, v1, v20
	v_fmac_f32_e32 v14, 0x37d75334, v1
	v_mov_b32_e32 v17, 0xbf000004
	v_fmac_f32_e32 v11, v11, v2
	v_fmac_f32_e32 v16, v1, v14
	v_and_b32_e32 v2, 1, v10
	v_fmac_f32_e32 v17, v1, v16
	v_cmp_eq_u32_e64 s[0:1], 0, v2
	v_lshlrev_b32_e32 v2, 30, v10
	v_fma_f32 v1, v1, v17, 1.0
	v_and_b32_e32 v2, 0x80000000, v2
	v_xor_b32_e32 v3, v6, v3
	v_cndmask_b32_e64 v1, v1, v11, s[0:1]
	v_xor_b32_e32 v2, v3, v2
	v_xor_b32_e32 v1, v2, v1
	v_cndmask_b32_e32 v1, v8, v1, vcc
	v_mul_f32_e32 v1, v9, v1
	s_or_b64 exec, exec, s[6:7]
	s_setpc_b64 s[30:31]
.LBB144_123:
	s_or_saveexec_b64 s[16:17], s[16:17]
	v_mov_b32_e32 v2, 0x7f800001
	s_xor_b64 exec, exec, s[16:17]
	s_cbranch_execz .LBB144_30
.LBB144_124:
	v_cmp_ne_u16_e32 vcc, 0, v3
	s_andn2_b64 s[14:15], s[14:15], exec
	s_and_b64 s[18:19], vcc, exec
	v_mov_b32_e32 v2, 0
	s_or_b64 s[14:15], s[14:15], s[18:19]
	s_or_b64 exec, exec, s[16:17]
	s_and_saveexec_b64 s[16:17], s[14:15]
	s_cbranch_execnz .LBB144_31
	s_branch .LBB144_32
.LBB144_125:
	s_or_saveexec_b64 s[16:17], s[16:17]
	v_mov_b32_e32 v2, 0x7f800001
	s_xor_b64 exec, exec, s[16:17]
	s_cbranch_execz .LBB144_97
.LBB144_126:
	v_cmp_ne_u16_e32 vcc, 0, v3
	s_andn2_b64 s[14:15], s[14:15], exec
	s_and_b64 s[18:19], vcc, exec
	v_mov_b32_e32 v2, 0
	s_or_b64 s[14:15], s[14:15], s[18:19]
	s_or_b64 exec, exec, s[16:17]
	s_and_saveexec_b64 s[16:17], s[14:15]
	s_cbranch_execnz .LBB144_98
	s_branch .LBB144_99
.Lfunc_end144:
	.size	_ZN2at6native6invokeIZZZNS0_17expm1_kernel_cudaERNS_18TensorIteratorBaseEENKUlvE_clEvENKUlvE2_clEvEUlN3c107complexIfEEE_j15function_traitsIS9_EEENT1_11result_typeERKT_PrKPcPKT0_PKNS6_10ScalarTypeEi, .Lfunc_end144-_ZN2at6native6invokeIZZZNS0_17expm1_kernel_cudaERNS_18TensorIteratorBaseEENKUlvE_clEvENKUlvE2_clEvEUlN3c107complexIfEEE_j15function_traitsIS9_EEENT1_11result_typeERKT_PrKPcPKT0_PKNS6_10ScalarTypeEi
                                        ; -- End function
	.set .L_ZN2at6native6invokeIZZZNS0_17expm1_kernel_cudaERNS_18TensorIteratorBaseEENKUlvE_clEvENKUlvE2_clEvEUlN3c107complexIfEEE_j15function_traitsIS9_EEENT1_11result_typeERKT_PrKPcPKT0_PKNS6_10ScalarTypeEi.num_vgpr, 25
	.set .L_ZN2at6native6invokeIZZZNS0_17expm1_kernel_cudaERNS_18TensorIteratorBaseEENKUlvE_clEvENKUlvE2_clEvEUlN3c107complexIfEEE_j15function_traitsIS9_EEENT1_11result_typeERKT_PrKPcPKT0_PKNS6_10ScalarTypeEi.num_agpr, 0
	.set .L_ZN2at6native6invokeIZZZNS0_17expm1_kernel_cudaERNS_18TensorIteratorBaseEENKUlvE_clEvENKUlvE2_clEvEUlN3c107complexIfEEE_j15function_traitsIS9_EEENT1_11result_typeERKT_PrKPcPKT0_PKNS6_10ScalarTypeEi.numbered_sgpr, 32
	.set .L_ZN2at6native6invokeIZZZNS0_17expm1_kernel_cudaERNS_18TensorIteratorBaseEENKUlvE_clEvENKUlvE2_clEvEUlN3c107complexIfEEE_j15function_traitsIS9_EEENT1_11result_typeERKT_PrKPcPKT0_PKNS6_10ScalarTypeEi.num_named_barrier, 0
	.set .L_ZN2at6native6invokeIZZZNS0_17expm1_kernel_cudaERNS_18TensorIteratorBaseEENKUlvE_clEvENKUlvE2_clEvEUlN3c107complexIfEEE_j15function_traitsIS9_EEENT1_11result_typeERKT_PrKPcPKT0_PKNS6_10ScalarTypeEi.private_seg_size, 0
	.set .L_ZN2at6native6invokeIZZZNS0_17expm1_kernel_cudaERNS_18TensorIteratorBaseEENKUlvE_clEvENKUlvE2_clEvEUlN3c107complexIfEEE_j15function_traitsIS9_EEENT1_11result_typeERKT_PrKPcPKT0_PKNS6_10ScalarTypeEi.uses_vcc, 1
	.set .L_ZN2at6native6invokeIZZZNS0_17expm1_kernel_cudaERNS_18TensorIteratorBaseEENKUlvE_clEvENKUlvE2_clEvEUlN3c107complexIfEEE_j15function_traitsIS9_EEENT1_11result_typeERKT_PrKPcPKT0_PKNS6_10ScalarTypeEi.uses_flat_scratch, 0
	.set .L_ZN2at6native6invokeIZZZNS0_17expm1_kernel_cudaERNS_18TensorIteratorBaseEENKUlvE_clEvENKUlvE2_clEvEUlN3c107complexIfEEE_j15function_traitsIS9_EEENT1_11result_typeERKT_PrKPcPKT0_PKNS6_10ScalarTypeEi.has_dyn_sized_stack, 0
	.set .L_ZN2at6native6invokeIZZZNS0_17expm1_kernel_cudaERNS_18TensorIteratorBaseEENKUlvE_clEvENKUlvE2_clEvEUlN3c107complexIfEEE_j15function_traitsIS9_EEENT1_11result_typeERKT_PrKPcPKT0_PKNS6_10ScalarTypeEi.has_recursion, 0
	.set .L_ZN2at6native6invokeIZZZNS0_17expm1_kernel_cudaERNS_18TensorIteratorBaseEENKUlvE_clEvENKUlvE2_clEvEUlN3c107complexIfEEE_j15function_traitsIS9_EEENT1_11result_typeERKT_PrKPcPKT0_PKNS6_10ScalarTypeEi.has_indirect_call, 0
	.section	.AMDGPU.csdata,"",@progbits
; Function info:
; codeLenInByte = 5276
; TotalNumSgprs: 38
; NumVgprs: 25
; NumAgprs: 0
; TotalNumVgprs: 25
; ScratchSize: 0
; MemoryBound: 1
	.section	.text._ZN2at6native32elementwise_kernel_manual_unrollILi128ELi4EZNS0_15gpu_kernel_implIZZZNS0_17expm1_kernel_cudaERNS_18TensorIteratorBaseEENKUlvE_clEvENKUlvE2_clEvEUlN3c107complexIfEEE_EEvS4_RKT_EUlibE0_EEviT1_,"axG",@progbits,_ZN2at6native32elementwise_kernel_manual_unrollILi128ELi4EZNS0_15gpu_kernel_implIZZZNS0_17expm1_kernel_cudaERNS_18TensorIteratorBaseEENKUlvE_clEvENKUlvE2_clEvEUlN3c107complexIfEEE_EEvS4_RKT_EUlibE0_EEviT1_,comdat
	.globl	_ZN2at6native32elementwise_kernel_manual_unrollILi128ELi4EZNS0_15gpu_kernel_implIZZZNS0_17expm1_kernel_cudaERNS_18TensorIteratorBaseEENKUlvE_clEvENKUlvE2_clEvEUlN3c107complexIfEEE_EEvS4_RKT_EUlibE0_EEviT1_ ; -- Begin function _ZN2at6native32elementwise_kernel_manual_unrollILi128ELi4EZNS0_15gpu_kernel_implIZZZNS0_17expm1_kernel_cudaERNS_18TensorIteratorBaseEENKUlvE_clEvENKUlvE2_clEvEUlN3c107complexIfEEE_EEvS4_RKT_EUlibE0_EEviT1_
	.p2align	8
	.type	_ZN2at6native32elementwise_kernel_manual_unrollILi128ELi4EZNS0_15gpu_kernel_implIZZZNS0_17expm1_kernel_cudaERNS_18TensorIteratorBaseEENKUlvE_clEvENKUlvE2_clEvEUlN3c107complexIfEEE_EEvS4_RKT_EUlibE0_EEviT1_,@function
_ZN2at6native32elementwise_kernel_manual_unrollILi128ELi4EZNS0_15gpu_kernel_implIZZZNS0_17expm1_kernel_cudaERNS_18TensorIteratorBaseEENKUlvE_clEvENKUlvE2_clEvEUlN3c107complexIfEEE_EEvS4_RKT_EUlibE0_EEviT1_: ; @_ZN2at6native32elementwise_kernel_manual_unrollILi128ELi4EZNS0_15gpu_kernel_implIZZZNS0_17expm1_kernel_cudaERNS_18TensorIteratorBaseEENKUlvE_clEvENKUlvE2_clEvEUlN3c107complexIfEEE_EEvS4_RKT_EUlibE0_EEviT1_
; %bb.0:
	s_load_dword s70, s[0:1], 0x0
	s_load_dword s33, s[0:1], 0x8
	s_mov_b64 s[24:25], s[0:1]
	s_add_u32 s26, s24, 8
	s_addc_u32 s27, s25, 0
	v_lshl_or_b32 v28, s2, 9, v0
	s_waitcnt lgkmcnt(0)
	s_add_i32 s72, s33, -1
	v_or_b32_e32 v4, 0x180, v28
	s_cmp_gt_u32 s72, 1
	v_cmp_le_i32_e32 vcc, s70, v4
	s_cselect_b64 s[34:35], -1, 0
	s_mov_b64 s[28:29], 0
	s_mov_b64 s[40:41], 0
	s_mov_b32 s32, 0
	s_and_saveexec_b64 s[0:1], vcc
	s_xor_b64 s[48:49], exec, s[0:1]
	s_cbranch_execz .LBB145_574
; %bb.1:
	v_mov_b32_e32 v0, 0
	global_load_ushort v0, v0, s[26:27] offset:345
	s_load_dwordx4 s[44:47], s[26:27], 0x4
	s_load_dwordx2 s[50:51], s[26:27], 0x14
	s_load_dwordx4 s[40:43], s[26:27], 0xc4
	s_load_dwordx4 s[36:39], s[26:27], 0x148
	s_cmp_lg_u32 s33, 0
	s_cselect_b64 s[56:57], -1, 0
	s_add_u32 s54, s26, 0xc4
	s_addc_u32 s55, s27, 0
	s_min_u32 s74, s72, 15
	v_mov_b32_e32 v1, 8
	s_cmp_gt_u32 s33, 1
	v_cmp_gt_i32_e32 vcc, s70, v28
	s_mov_b64 s[0:1], -1
	s_mov_b64 s[64:65], 0
	s_cselect_b64 s[52:53], -1, 0
	s_mov_b64 s[58:59], 0
	s_waitcnt vmcnt(0)
	v_readfirstlane_b32 s73, v0
	v_lshrrev_b32_sdwa v25, v1, v0 dst_sel:DWORD dst_unused:UNUSED_PAD src0_sel:DWORD src1_sel:WORD_0
	s_and_saveexec_b64 s[60:61], vcc
	s_cbranch_execz .LBB145_139
; %bb.2:
	s_andn2_b64 vcc, exec, s[34:35]
	s_cbranch_vccnz .LBB145_8
; %bb.3:
	s_andn2_b64 vcc, exec, s[56:57]
	s_cbranch_vccnz .LBB145_9
; %bb.4:
	s_add_i32 s31, s74, 1
	s_cmp_eq_u32 s72, 2
	s_cbranch_scc1 .LBB145_10
; %bb.5:
	s_and_b32 s30, s31, 28
	s_mov_b32 s58, 0
	v_mov_b32_e32 v26, 0
	v_mov_b32_e32 v2, 0
	s_mov_b64 s[20:21], s[26:27]
	s_mov_b64 s[22:23], s[54:55]
	v_mov_b32_e32 v0, v28
.LBB145_6:                              ; =>This Inner Loop Header: Depth=1
	s_load_dwordx8 s[8:15], s[20:21], 0x4
	s_load_dwordx4 s[16:19], s[20:21], 0x24
	s_load_dwordx8 s[0:7], s[22:23], 0x0
	s_add_u32 s20, s20, 48
	s_addc_u32 s21, s21, 0
	s_waitcnt lgkmcnt(0)
	v_mul_hi_u32 v1, s9, v0
	v_add_u32_e32 v1, v0, v1
	v_lshrrev_b32_e32 v1, s10, v1
	v_mul_lo_u32 v3, v1, s8
	v_mul_hi_u32 v4, s12, v1
	v_sub_u32_e32 v0, v0, v3
	v_add_u32_e32 v3, v1, v4
	v_lshrrev_b32_e32 v3, s13, v3
	v_mul_lo_u32 v5, v3, s11
	v_mul_hi_u32 v6, s15, v3
	v_sub_u32_e32 v1, v1, v5
	v_add_u32_e32 v5, v3, v6
	v_mul_lo_u32 v4, v0, s1
	v_mul_lo_u32 v0, v0, s0
	;; [unrolled: 1-line block ×4, first 2 shown]
	v_lshrrev_b32_e32 v5, s16, v5
	v_add3_u32 v1, v0, v26, v1
	v_add3_u32 v2, v4, v2, v6
	v_mul_lo_u32 v0, v5, s14
	v_mul_hi_u32 v4, s18, v5
	v_sub_u32_e32 v0, v3, v0
	v_add_u32_e32 v3, v5, v4
	v_mul_lo_u32 v4, v0, s4
	v_mul_lo_u32 v6, v0, s5
	v_lshrrev_b32_e32 v0, s19, v3
	s_add_i32 s58, s58, 4
	v_mul_lo_u32 v3, v0, s17
	s_add_u32 s22, s22, 32
	v_sub_u32_e32 v3, v5, v3
	s_addc_u32 s23, s23, 0
	v_mul_lo_u32 v5, v3, s6
	v_mul_lo_u32 v3, v3, s7
	s_cmp_lg_u32 s30, s58
	v_add3_u32 v2, v6, v2, v3
	v_add3_u32 v26, v4, v1, v5
	s_cbranch_scc1 .LBB145_6
; %bb.7:
	v_mov_b32_e32 v1, v2
	s_branch .LBB145_11
.LBB145_8:
                                        ; implicit-def: $vgpr2
                                        ; implicit-def: $vgpr26
	s_andn2_b64 vcc, exec, s[0:1]
	s_cbranch_vccz .LBB145_15
	s_branch .LBB145_17
.LBB145_9:
	v_mov_b32_e32 v2, 0
	v_mov_b32_e32 v26, 0
	s_branch .LBB145_14
.LBB145_10:
	v_mov_b32_e32 v26, 0
	s_mov_b32 s30, 0
	v_mov_b32_e32 v1, v26
                                        ; implicit-def: $vgpr2
	v_mov_b32_e32 v0, v28
.LBB145_11:
	s_and_b32 s4, s31, 3
	s_cmp_eq_u32 s4, 0
	s_cbranch_scc1 .LBB145_14
; %bb.12:
	s_lshl_b32 s0, s30, 3
	s_add_u32 s0, s26, s0
	s_addc_u32 s1, s27, 0
	s_add_u32 s0, s0, 0xc4
	s_addc_u32 s1, s1, 0
	s_mul_i32 s2, s30, 12
	s_add_u32 s2, s26, s2
	s_addc_u32 s3, s27, 0
.LBB145_13:                             ; =>This Inner Loop Header: Depth=1
	s_load_dwordx2 s[6:7], s[2:3], 0x4
	s_load_dword s5, s[2:3], 0xc
	s_load_dwordx2 s[8:9], s[0:1], 0x0
	v_mov_b32_e32 v2, v1
	s_add_u32 s2, s2, 12
	s_waitcnt lgkmcnt(0)
	v_mul_hi_u32 v1, s7, v0
	v_add_u32_e32 v1, v0, v1
	v_lshrrev_b32_e32 v1, s5, v1
	s_addc_u32 s3, s3, 0
	v_mul_lo_u32 v3, v1, s6
	s_add_u32 s0, s0, 8
	v_sub_u32_e32 v4, v0, v3
	s_addc_u32 s1, s1, 0
	s_add_i32 s4, s4, -1
	v_mad_u64_u32 v[2:3], s[6:7], v4, s9, v[2:3]
	s_cmp_lg_u32 s4, 0
	v_mov_b32_e32 v0, v1
	v_mad_u64_u32 v[26:27], s[6:7], v4, s8, v[26:27]
	v_mov_b32_e32 v1, v2
	s_cbranch_scc1 .LBB145_13
.LBB145_14:
	s_cbranch_execnz .LBB145_17
.LBB145_15:
	s_waitcnt lgkmcnt(0)
	v_mul_hi_u32 v0, s45, v28
	v_add_u32_e32 v0, v28, v0
	v_lshrrev_b32_e32 v0, s46, v0
	v_mul_lo_u32 v1, v0, s44
	v_sub_u32_e32 v1, v28, v1
	v_mul_lo_u32 v2, v1, s41
	s_andn2_b64 vcc, exec, s[52:53]
	v_mul_lo_u32 v26, v1, s40
	s_cbranch_vccnz .LBB145_17
; %bb.16:
	v_mul_hi_u32 v1, s50, v0
	v_add_u32_e32 v1, v0, v1
	v_lshrrev_b32_e32 v1, s51, v1
	v_mul_lo_u32 v1, v1, s47
	v_sub_u32_e32 v0, v0, v1
	v_mad_u64_u32 v[26:27], s[0:1], v0, s42, v[26:27]
	v_mad_u64_u32 v[2:3], s[0:1], v0, s43, v[2:3]
.LBB145_17:
	s_getpc_b64 s[0:1]
	s_add_u32 s0, s0, _ZN2at6native6invokeIZZZNS0_17expm1_kernel_cudaERNS_18TensorIteratorBaseEENKUlvE_clEvENKUlvE2_clEvEUlN3c107complexIfEEE_j15function_traitsIS9_EEENT1_11result_typeERKT_PrKPcPKT0_PKNS6_10ScalarTypeEi@rel32@lo+4
	s_addc_u32 s1, s1, _ZN2at6native6invokeIZZZNS0_17expm1_kernel_cudaERNS_18TensorIteratorBaseEENKUlvE_clEvENKUlvE2_clEvEUlN3c107complexIfEEE_j15function_traitsIS9_EEENT1_11result_typeERKT_PrKPcPKT0_PKNS6_10ScalarTypeEi@rel32@hi+12
	s_waitcnt lgkmcnt(0)
	v_mov_b32_e32 v0, s38
	v_mov_b32_e32 v1, s39
	;; [unrolled: 1-line block ×3, first 2 shown]
	s_swappc_b64 s[30:31], s[0:1]
	v_mov_b32_e32 v27, 0
	s_and_b32 s8, s73, 0xff
	s_cmp_lt_i32 s8, 11
	v_lshl_add_u64 v[2:3], s[36:37], 0, v[26:27]
	s_cbranch_scc1 .LBB145_24
; %bb.18:
	s_and_b32 s9, 0xffff, s8
	s_cmp_gt_i32 s9, 25
	s_cbranch_scc0 .LBB145_27
; %bb.19:
	s_cmp_gt_i32 s9, 28
	s_cbranch_scc0 .LBB145_28
; %bb.20:
	s_cmp_gt_i32 s9, 43
	s_cbranch_scc0 .LBB145_29
; %bb.21:
	s_cmp_gt_i32 s9, 45
	s_cbranch_scc0 .LBB145_30
; %bb.22:
	s_mov_b64 s[4:5], 0
	s_mov_b64 s[0:1], -1
	s_cmp_eq_u32 s9, 46
	s_mov_b64 s[2:3], 0
	s_cbranch_scc0 .LBB145_31
; %bb.23:
	s_movk_i32 s0, 0x7fff
	v_bfe_u32 v5, v1, 16, 1
	v_add3_u32 v5, v1, v5, s0
	v_bfe_u32 v4, v0, 16, 1
	v_and_b32_e32 v5, 0xffff0000, v5
	v_mov_b32_e32 v6, 0x7fc00000
	v_cmp_o_f32_e32 vcc, v1, v1
	v_add3_u32 v4, v0, v4, s0
	s_mov_b64 s[2:3], -1
	v_cndmask_b32_e32 v5, v6, v5, vcc
	v_cmp_o_f32_e32 vcc, v0, v0
	v_mov_b32_e32 v6, 0x7fc0
	s_mov_b64 s[0:1], 0
	v_cndmask_b32_sdwa v4, v6, v4, vcc dst_sel:DWORD dst_unused:UNUSED_PAD src0_sel:DWORD src1_sel:WORD_1
	v_or_b32_e32 v4, v5, v4
	global_store_dword v[2:3], v4, off
	s_branch .LBB145_31
.LBB145_24:
	s_mov_b64 s[0:1], 0
	s_mov_b64 s[2:3], 0
	s_cbranch_execnz .LBB145_99
.LBB145_25:
	s_andn2_b64 vcc, exec, s[2:3]
	s_cbranch_vccnz .LBB145_137
.LBB145_26:
	v_add_u32_e32 v28, 0x80, v28
	s_mov_b64 s[2:3], -1
	s_branch .LBB145_138
.LBB145_27:
	s_mov_b64 s[0:1], 0
	s_mov_b64 s[2:3], 0
	s_cbranch_execnz .LBB145_58
	s_branch .LBB145_98
.LBB145_28:
	s_mov_b64 s[4:5], -1
	s_mov_b64 s[0:1], 0
	s_mov_b64 s[2:3], 0
	s_branch .LBB145_41
.LBB145_29:
	s_mov_b64 s[4:5], -1
	s_mov_b64 s[0:1], 0
	s_mov_b64 s[2:3], 0
	s_branch .LBB145_37
.LBB145_30:
	s_mov_b64 s[4:5], -1
	s_mov_b64 s[0:1], 0
	s_mov_b64 s[2:3], 0
.LBB145_31:
	s_and_b64 vcc, exec, s[4:5]
	s_cbranch_vccz .LBB145_36
; %bb.32:
	s_cmp_eq_u32 s9, 44
	s_mov_b64 s[0:1], -1
	s_cbranch_scc0 .LBB145_36
; %bb.33:
	v_bfe_u32 v4, v0, 23, 8
	s_movk_i32 s0, 0xff
	v_cmp_ne_u32_e32 vcc, s0, v4
	v_mov_b32_e32 v5, 0xff
	s_and_saveexec_b64 s[2:3], vcc
; %bb.34:
	s_mov_b32 s0, 0x3fffff
	v_and_b32_e32 v6, 0x400000, v0
	v_and_or_b32 v4, v0, s0, v4
	v_cmp_ne_u32_e32 vcc, 0, v6
	v_cmp_ne_u32_e64 s[0:1], 0, v4
	s_and_b64 s[0:1], vcc, s[0:1]
	v_lshrrev_b32_e32 v5, 23, v0
	v_cndmask_b32_e64 v4, 0, 1, s[0:1]
	v_add_u32_e32 v5, v5, v4
; %bb.35:
	s_or_b64 exec, exec, s[2:3]
	s_mov_b64 s[2:3], -1
	s_mov_b64 s[0:1], 0
	global_store_byte v[2:3], v5, off
.LBB145_36:
	s_mov_b64 s[4:5], 0
.LBB145_37:
	s_and_b64 vcc, exec, s[4:5]
	s_cbranch_vccz .LBB145_40
; %bb.38:
	s_cmp_eq_u32 s9, 29
	s_mov_b64 s[0:1], -1
	s_cbranch_scc0 .LBB145_40
; %bb.39:
	v_trunc_f32_e32 v4, v0
	v_mul_f32_e32 v5, 0x2f800000, v4
	v_floor_f32_e32 v6, v5
	v_fmamk_f32 v4, v6, 0xcf800000, v4
	v_cvt_u32_f32_e32 v5, v6
	v_cvt_u32_f32_e32 v4, v4
	s_mov_b64 s[2:3], -1
	s_mov_b64 s[0:1], 0
	s_mov_b64 s[4:5], 0
	global_store_dwordx2 v[2:3], v[4:5], off
	s_branch .LBB145_41
.LBB145_40:
	s_mov_b64 s[4:5], 0
.LBB145_41:
	s_and_b64 vcc, exec, s[4:5]
	s_cbranch_vccz .LBB145_57
; %bb.42:
	s_cmp_lt_i32 s9, 27
	s_mov_b64 s[2:3], -1
	s_cbranch_scc1 .LBB145_48
; %bb.43:
	s_cmp_gt_i32 s9, 27
	s_cbranch_scc0 .LBB145_45
; %bb.44:
	v_cvt_u32_f32_e32 v4, v0
	s_mov_b64 s[2:3], 0
	global_store_dword v[2:3], v4, off
.LBB145_45:
	s_andn2_b64 vcc, exec, s[2:3]
	s_cbranch_vccnz .LBB145_47
; %bb.46:
	v_cvt_u32_f32_e32 v4, v0
	global_store_short v[2:3], v4, off
.LBB145_47:
	s_mov_b64 s[2:3], 0
.LBB145_48:
	s_andn2_b64 vcc, exec, s[2:3]
	s_cbranch_vccnz .LBB145_56
; %bb.49:
	v_and_b32_e32 v4, 0x7fffffff, v0
	s_mov_b32 s2, 0x43800000
	v_cmp_gt_u32_e32 vcc, s2, v4
	v_mov_b32_e32 v5, 0x80
	s_and_saveexec_b64 s[2:3], vcc
	s_cbranch_execz .LBB145_55
; %bb.50:
	s_mov_b32 s4, 0x3bffffff
	v_cmp_lt_u32_e32 vcc, s4, v4
	s_mov_b64 s[4:5], 0
                                        ; implicit-def: $vgpr4
	s_and_saveexec_b64 s[6:7], vcc
	s_xor_b64 s[6:7], exec, s[6:7]
	s_cbranch_execz .LBB145_171
; %bb.51:
	v_bfe_u32 v4, v0, 20, 1
	s_mov_b32 s10, 0x487ffff
	v_add3_u32 v4, v0, v4, s10
	s_mov_b64 s[4:5], exec
	v_lshrrev_b32_e32 v4, 20, v4
	s_andn2_saveexec_b64 s[6:7], s[6:7]
	s_cbranch_execnz .LBB145_172
.LBB145_52:
	s_or_b64 exec, exec, s[6:7]
	v_mov_b32_e32 v5, 0
	s_and_saveexec_b64 s[6:7], s[4:5]
.LBB145_53:
	v_lshrrev_b32_e32 v5, 24, v0
	s_movk_i32 s4, 0x80
	v_and_or_b32 v5, v5, s4, v4
.LBB145_54:
	s_or_b64 exec, exec, s[6:7]
.LBB145_55:
	s_or_b64 exec, exec, s[2:3]
	global_store_byte v[2:3], v5, off
.LBB145_56:
	s_mov_b64 s[2:3], -1
.LBB145_57:
	s_branch .LBB145_98
.LBB145_58:
	s_cmp_gt_i32 s9, 22
	s_mov_b64 s[4:5], -1
	s_cbranch_scc0 .LBB145_90
; %bb.59:
	s_cmp_lt_i32 s9, 24
	s_mov_b64 s[2:3], -1
	s_cbranch_scc1 .LBB145_79
; %bb.60:
	s_cmp_gt_i32 s9, 24
	s_cbranch_scc0 .LBB145_68
; %bb.61:
	v_and_b32_e32 v4, 0x7fffffff, v0
	s_mov_b32 s2, 0x47800000
	v_cmp_gt_u32_e32 vcc, s2, v4
	v_mov_b32_e32 v5, 0x80
	s_and_saveexec_b64 s[2:3], vcc
	s_cbranch_execz .LBB145_67
; %bb.62:
	s_mov_b32 s4, 0x37ffffff
	v_cmp_lt_u32_e32 vcc, s4, v4
	s_mov_b64 s[4:5], 0
                                        ; implicit-def: $vgpr4
	s_and_saveexec_b64 s[6:7], vcc
	s_xor_b64 s[6:7], exec, s[6:7]
	s_cbranch_execz .LBB145_174
; %bb.63:
	v_bfe_u32 v4, v0, 21, 1
	s_mov_b32 s10, 0x88fffff
	v_add3_u32 v4, v0, v4, s10
	s_mov_b64 s[4:5], exec
	v_lshrrev_b32_e32 v4, 21, v4
	s_andn2_saveexec_b64 s[6:7], s[6:7]
	s_cbranch_execnz .LBB145_175
.LBB145_64:
	s_or_b64 exec, exec, s[6:7]
	v_mov_b32_e32 v5, 0
	s_and_saveexec_b64 s[6:7], s[4:5]
.LBB145_65:
	v_lshrrev_b32_e32 v5, 24, v0
	s_movk_i32 s4, 0x80
	v_and_or_b32 v5, v5, s4, v4
.LBB145_66:
	s_or_b64 exec, exec, s[6:7]
.LBB145_67:
	s_or_b64 exec, exec, s[2:3]
	s_mov_b64 s[2:3], 0
	global_store_byte v[2:3], v5, off
.LBB145_68:
	s_and_b64 vcc, exec, s[2:3]
	s_cbranch_vccz .LBB145_78
; %bb.69:
	v_and_b32_e32 v5, 0x7fffffff, v0
	s_mov_b32 s2, 0x43f00000
	v_cmp_gt_u32_e32 vcc, s2, v5
                                        ; implicit-def: $vgpr4
	s_and_saveexec_b64 s[2:3], vcc
	s_xor_b64 s[2:3], exec, s[2:3]
	s_cbranch_execz .LBB145_75
; %bb.70:
	s_mov_b32 s4, 0x3c7fffff
	v_cmp_lt_u32_e32 vcc, s4, v5
                                        ; implicit-def: $vgpr4
	s_and_saveexec_b64 s[4:5], vcc
	s_xor_b64 s[4:5], exec, s[4:5]
; %bb.71:
	v_bfe_u32 v4, v0, 20, 1
	s_mov_b32 s6, 0x407ffff
	v_add3_u32 v4, v0, v4, s6
	v_lshrrev_b32_e32 v5, 20, v4
	v_and_b32_e32 v4, 0xff00000, v4
	s_mov_b32 s6, 0x7f00000
	v_mov_b32_e32 v6, 0x7e
	v_cmp_ne_u32_e32 vcc, s6, v4
	s_nop 1
	v_cndmask_b32_e32 v4, v6, v5, vcc
; %bb.72:
	s_andn2_saveexec_b64 s[4:5], s[4:5]
; %bb.73:
	s_mov_b32 s6, 0x46800000
	v_add_f32_e64 v4, |v0|, s6
; %bb.74:
	s_or_b64 exec, exec, s[4:5]
                                        ; implicit-def: $vgpr5
.LBB145_75:
	s_andn2_saveexec_b64 s[2:3], s[2:3]
; %bb.76:
	s_mov_b32 s4, 0x7f800000
	v_mov_b32_e32 v4, 0x7e
	v_mov_b32_e32 v6, 0x7f
	v_cmp_lt_u32_e32 vcc, s4, v5
	s_nop 1
	v_cndmask_b32_e32 v4, v4, v6, vcc
; %bb.77:
	s_or_b64 exec, exec, s[2:3]
	v_lshrrev_b32_e32 v5, 24, v0
	s_movk_i32 s2, 0x80
	v_and_or_b32 v4, v5, s2, v4
	global_store_byte v[2:3], v4, off
.LBB145_78:
	s_mov_b64 s[2:3], 0
.LBB145_79:
	s_andn2_b64 vcc, exec, s[2:3]
	s_cbranch_vccnz .LBB145_89
; %bb.80:
	v_and_b32_e32 v5, 0x7fffffff, v0
	s_mov_b32 s2, 0x47800000
	v_cmp_gt_u32_e32 vcc, s2, v5
                                        ; implicit-def: $vgpr4
	s_and_saveexec_b64 s[2:3], vcc
	s_xor_b64 s[2:3], exec, s[2:3]
	s_cbranch_execz .LBB145_86
; %bb.81:
	s_mov_b32 s4, 0x387fffff
	v_cmp_lt_u32_e32 vcc, s4, v5
                                        ; implicit-def: $vgpr4
	s_and_saveexec_b64 s[4:5], vcc
	s_xor_b64 s[4:5], exec, s[4:5]
; %bb.82:
	v_bfe_u32 v4, v0, 21, 1
	s_mov_b32 s6, 0x80fffff
	v_add3_u32 v4, v0, v4, s6
	v_lshrrev_b32_e32 v4, 21, v4
; %bb.83:
	s_andn2_saveexec_b64 s[4:5], s[4:5]
; %bb.84:
	s_mov_b32 s6, 0x43000000
	v_add_f32_e64 v4, |v0|, s6
; %bb.85:
	s_or_b64 exec, exec, s[4:5]
                                        ; implicit-def: $vgpr5
.LBB145_86:
	s_andn2_saveexec_b64 s[2:3], s[2:3]
; %bb.87:
	s_mov_b32 s4, 0x7f800000
	v_mov_b32_e32 v4, 0x7c
	v_mov_b32_e32 v6, 0x7f
	v_cmp_lt_u32_e32 vcc, s4, v5
	s_nop 1
	v_cndmask_b32_e32 v4, v4, v6, vcc
; %bb.88:
	s_or_b64 exec, exec, s[2:3]
	v_lshrrev_b32_e32 v5, 24, v0
	s_movk_i32 s2, 0x80
	v_and_or_b32 v4, v5, s2, v4
	global_store_byte v[2:3], v4, off
.LBB145_89:
	s_mov_b64 s[4:5], 0
	s_mov_b64 s[2:3], -1
.LBB145_90:
	s_andn2_b64 vcc, exec, s[4:5]
	s_cbranch_vccnz .LBB145_98
; %bb.91:
	s_cmp_gt_i32 s9, 14
	s_mov_b64 s[4:5], -1
	s_cbranch_scc0 .LBB145_95
; %bb.92:
	s_cmp_eq_u32 s9, 15
	s_mov_b64 s[0:1], -1
	s_cbranch_scc0 .LBB145_94
; %bb.93:
	v_bfe_u32 v4, v0, 16, 1
	s_movk_i32 s0, 0x7fff
	v_add3_u32 v4, v0, v4, s0
	v_cmp_o_f32_e32 vcc, v0, v0
	v_mov_b32_e32 v5, 0x7fc0
	s_mov_b64 s[2:3], -1
	v_cndmask_b32_sdwa v4, v5, v4, vcc dst_sel:DWORD dst_unused:UNUSED_PAD src0_sel:DWORD src1_sel:WORD_1
	global_store_short v[2:3], v4, off
	s_mov_b64 s[0:1], 0
.LBB145_94:
	s_mov_b64 s[4:5], 0
.LBB145_95:
	s_and_b64 vcc, exec, s[4:5]
	s_cbranch_vccz .LBB145_98
; %bb.96:
	s_cmp_eq_u32 s9, 11
	s_mov_b64 s[0:1], -1
	s_cbranch_scc0 .LBB145_98
; %bb.97:
	s_brev_b32 s0, -2
	v_bitop3_b32 v4, v0, s0, v1 bitop3:0xc8
	v_cmp_ne_u32_e32 vcc, 0, v4
	s_mov_b64 s[2:3], -1
	s_mov_b64 s[0:1], 0
	v_cndmask_b32_e64 v4, 0, 1, vcc
	global_store_byte v[2:3], v4, off
.LBB145_98:
	s_branch .LBB145_25
.LBB145_99:
	s_and_b32 s4, 0xffff, s8
	s_cmp_lt_i32 s4, 5
	s_mov_b64 s[2:3], -1
	s_cbranch_scc1 .LBB145_120
; %bb.100:
	s_cmp_lt_i32 s4, 8
	s_cbranch_scc1 .LBB145_110
; %bb.101:
	s_cmp_lt_i32 s4, 9
	s_cbranch_scc1 .LBB145_107
; %bb.102:
	s_cmp_gt_i32 s4, 9
	s_cbranch_scc0 .LBB145_104
; %bb.103:
	v_cvt_f64_f32_e32 v[4:5], v0
	v_cvt_f64_f32_e32 v[6:7], v1
	global_store_dwordx4 v[2:3], v[4:7], off
	s_mov_b64 s[2:3], 0
.LBB145_104:
	s_andn2_b64 vcc, exec, s[2:3]
	s_cbranch_vccnz .LBB145_106
; %bb.105:
	global_store_dwordx2 v[2:3], v[0:1], off
.LBB145_106:
	s_mov_b64 s[2:3], 0
.LBB145_107:
	s_andn2_b64 vcc, exec, s[2:3]
	s_cbranch_vccnz .LBB145_109
; %bb.108:
	v_cvt_f16_f32_e32 v4, v0
	v_cvt_f16_f32_sdwa v1, v1 dst_sel:WORD_1 dst_unused:UNUSED_PAD src0_sel:DWORD
	s_nop 0
	v_or_b32_e32 v1, v1, v4
	global_store_dword v[2:3], v1, off
.LBB145_109:
	s_mov_b64 s[2:3], 0
.LBB145_110:
	s_andn2_b64 vcc, exec, s[2:3]
	s_cbranch_vccnz .LBB145_119
; %bb.111:
	s_cmp_lt_i32 s4, 6
	s_mov_b64 s[2:3], -1
	s_cbranch_scc1 .LBB145_117
; %bb.112:
	s_cmp_gt_i32 s4, 6
	s_cbranch_scc0 .LBB145_114
; %bb.113:
	v_cvt_f64_f32_e32 v[4:5], v0
	global_store_dwordx2 v[2:3], v[4:5], off
	s_mov_b64 s[2:3], 0
.LBB145_114:
	s_andn2_b64 vcc, exec, s[2:3]
	s_cbranch_vccnz .LBB145_116
; %bb.115:
	global_store_dword v[2:3], v0, off
.LBB145_116:
	s_mov_b64 s[2:3], 0
.LBB145_117:
	s_andn2_b64 vcc, exec, s[2:3]
	s_cbranch_vccnz .LBB145_119
; %bb.118:
	v_cvt_f16_f32_e32 v1, v0
	global_store_short v[2:3], v1, off
.LBB145_119:
	s_mov_b64 s[2:3], 0
.LBB145_120:
	s_andn2_b64 vcc, exec, s[2:3]
	s_cbranch_vccnz .LBB145_136
; %bb.121:
	s_cmp_lt_i32 s4, 2
	s_mov_b64 s[2:3], -1
	s_cbranch_scc1 .LBB145_131
; %bb.122:
	s_cmp_lt_i32 s4, 3
	s_cbranch_scc1 .LBB145_128
; %bb.123:
	s_cmp_gt_i32 s4, 3
	s_cbranch_scc0 .LBB145_125
; %bb.124:
	v_trunc_f32_e32 v1, v0
	s_mov_b32 s2, 0x2f800000
	v_mul_f32_e64 v4, |v1|, s2
	v_floor_f32_e32 v4, v4
	s_mov_b32 s2, 0xcf800000
	v_cvt_u32_f32_e32 v5, v4
	v_fma_f32 v4, v4, s2, |v1|
	v_cvt_u32_f32_e32 v4, v4
	v_ashrrev_i32_e32 v1, 31, v1
	v_xor_b32_e32 v5, v5, v1
	s_mov_b64 s[2:3], 0
	v_xor_b32_e32 v4, v4, v1
	v_sub_co_u32_e32 v4, vcc, v4, v1
	s_nop 1
	v_subb_co_u32_e32 v5, vcc, v5, v1, vcc
	global_store_dwordx2 v[2:3], v[4:5], off
.LBB145_125:
	s_andn2_b64 vcc, exec, s[2:3]
	s_cbranch_vccnz .LBB145_127
; %bb.126:
	v_cvt_i32_f32_e32 v1, v0
	global_store_dword v[2:3], v1, off
.LBB145_127:
	s_mov_b64 s[2:3], 0
.LBB145_128:
	s_andn2_b64 vcc, exec, s[2:3]
	s_cbranch_vccnz .LBB145_130
; %bb.129:
	v_cvt_i32_f32_e32 v1, v0
	global_store_short v[2:3], v1, off
.LBB145_130:
	s_mov_b64 s[2:3], 0
.LBB145_131:
	s_andn2_b64 vcc, exec, s[2:3]
	s_cbranch_vccnz .LBB145_136
; %bb.132:
	s_cmp_gt_i32 s4, 0
	s_mov_b64 s[2:3], -1
	s_cbranch_scc0 .LBB145_134
; %bb.133:
	v_cvt_i32_f32_e32 v1, v0
	s_mov_b64 s[2:3], 0
	global_store_byte v[2:3], v1, off
.LBB145_134:
	s_andn2_b64 vcc, exec, s[2:3]
	s_cbranch_vccnz .LBB145_136
; %bb.135:
	v_trunc_f32_e32 v0, v0
	s_mov_b32 s2, 0x2f800000
	v_mul_f32_e64 v1, |v0|, s2
	v_floor_f32_e32 v1, v1
	s_mov_b32 s2, 0xcf800000
	v_fma_f32 v1, v1, s2, |v0|
	v_cvt_u32_f32_e32 v1, v1
	v_ashrrev_i32_e32 v0, 31, v0
	v_xor_b32_e32 v1, v1, v0
	v_sub_u32_e32 v0, v1, v0
	global_store_byte v[2:3], v0, off
.LBB145_136:
	s_branch .LBB145_26
.LBB145_137:
	s_mov_b64 s[2:3], 0
                                        ; implicit-def: $vgpr28
.LBB145_138:
	s_and_b64 s[58:59], s[0:1], exec
	s_orn2_b64 s[0:1], s[2:3], exec
.LBB145_139:
	s_or_b64 exec, exec, s[60:61]
	s_mov_b64 s[2:3], 0
                                        ; implicit-def: $sgpr10
                                        ; implicit-def: $vgpr2_vgpr3
                                        ; implicit-def: $vgpr0
	s_and_saveexec_b64 s[60:61], s[0:1]
	s_cbranch_execz .LBB145_147
; %bb.140:
	v_cmp_gt_i32_e32 vcc, s70, v28
	s_mov_b64 s[4:5], -1
	s_mov_b64 s[62:63], s[58:59]
	s_and_saveexec_b64 s[64:65], vcc
	s_cbranch_execz .LBB145_286
; %bb.141:
	s_andn2_b64 vcc, exec, s[34:35]
	s_cbranch_vccnz .LBB145_150
; %bb.142:
	s_andn2_b64 vcc, exec, s[56:57]
	s_cbranch_vccnz .LBB145_151
; %bb.143:
	s_add_i32 s31, s74, 1
	s_cmp_eq_u32 s72, 2
	s_cbranch_scc1 .LBB145_152
; %bb.144:
	s_and_b32 s30, s31, 28
	s_mov_b32 s62, 0
	v_mov_b32_e32 v26, 0
	v_mov_b32_e32 v2, 0
	s_mov_b64 s[20:21], s[26:27]
	s_mov_b64 s[22:23], s[54:55]
	v_mov_b32_e32 v0, v28
.LBB145_145:                            ; =>This Inner Loop Header: Depth=1
	s_load_dwordx8 s[8:15], s[20:21], 0x4
	s_load_dwordx4 s[16:19], s[20:21], 0x24
	s_load_dwordx8 s[0:7], s[22:23], 0x0
	s_add_u32 s20, s20, 48
	s_addc_u32 s21, s21, 0
	s_waitcnt lgkmcnt(0)
	v_mul_hi_u32 v1, s9, v0
	v_add_u32_e32 v1, v0, v1
	v_lshrrev_b32_e32 v1, s10, v1
	v_mul_lo_u32 v3, v1, s8
	v_mul_hi_u32 v4, s12, v1
	v_sub_u32_e32 v0, v0, v3
	v_add_u32_e32 v3, v1, v4
	v_lshrrev_b32_e32 v3, s13, v3
	v_mul_lo_u32 v5, v3, s11
	v_mul_hi_u32 v6, s15, v3
	v_sub_u32_e32 v1, v1, v5
	v_add_u32_e32 v5, v3, v6
	v_mul_lo_u32 v4, v0, s1
	v_mul_lo_u32 v0, v0, s0
	;; [unrolled: 1-line block ×4, first 2 shown]
	v_lshrrev_b32_e32 v5, s16, v5
	v_add3_u32 v1, v0, v26, v1
	v_add3_u32 v2, v4, v2, v6
	v_mul_lo_u32 v0, v5, s14
	v_mul_hi_u32 v4, s18, v5
	v_sub_u32_e32 v0, v3, v0
	v_add_u32_e32 v3, v5, v4
	v_mul_lo_u32 v4, v0, s4
	v_mul_lo_u32 v6, v0, s5
	v_lshrrev_b32_e32 v0, s19, v3
	s_add_i32 s62, s62, 4
	v_mul_lo_u32 v3, v0, s17
	s_add_u32 s22, s22, 32
	v_sub_u32_e32 v3, v5, v3
	s_addc_u32 s23, s23, 0
	v_mul_lo_u32 v5, v3, s6
	v_mul_lo_u32 v3, v3, s7
	s_cmp_eq_u32 s30, s62
	v_add3_u32 v2, v6, v2, v3
	v_add3_u32 v26, v4, v1, v5
	s_cbranch_scc0 .LBB145_145
; %bb.146:
	v_mov_b32_e32 v1, v2
	s_branch .LBB145_153
.LBB145_147:
	s_or_b64 exec, exec, s[60:61]
	s_mov_b64 s[0:1], 0
	s_and_saveexec_b64 s[4:5], s[58:59]
	s_cbranch_execnz .LBB145_534
.LBB145_148:
	s_or_b64 exec, exec, s[4:5]
	s_and_saveexec_b64 s[4:5], s[64:65]
	s_xor_b64 s[4:5], exec, s[4:5]
	s_cbranch_execz .LBB145_535
.LBB145_149:
	s_brev_b32 s6, -2
	v_bitop3_b32 v4, v0, s6, v1 bitop3:0xc8
	v_cmp_ne_u32_e32 vcc, 0, v4
	s_nop 1
	v_cndmask_b32_e64 v4, 0, 1, vcc
	global_store_byte v[2:3], v4, off
	s_or_b64 exec, exec, s[4:5]
	s_and_saveexec_b64 s[4:5], s[2:3]
	s_xor_b64 s[2:3], exec, s[4:5]
	s_cbranch_execz .LBB145_573
	s_branch .LBB145_536
.LBB145_150:
                                        ; implicit-def: $vgpr2
                                        ; implicit-def: $vgpr26
	s_branch .LBB145_157
.LBB145_151:
	v_mov_b32_e32 v2, 0
	v_mov_b32_e32 v26, 0
	s_branch .LBB145_156
.LBB145_152:
	v_mov_b32_e32 v26, 0
	s_mov_b32 s30, 0
	v_mov_b32_e32 v1, v26
                                        ; implicit-def: $vgpr2
	v_mov_b32_e32 v0, v28
.LBB145_153:
	s_and_b32 s4, s31, 3
	s_cmp_eq_u32 s4, 0
	s_cbranch_scc1 .LBB145_156
; %bb.154:
	s_lshl_b32 s0, s30, 3
	s_add_u32 s0, s26, s0
	s_addc_u32 s1, s27, 0
	s_add_u32 s0, s0, 0xc4
	s_addc_u32 s1, s1, 0
	s_mul_i32 s2, s30, 12
	s_add_u32 s2, s26, s2
	s_addc_u32 s3, s27, 0
.LBB145_155:                            ; =>This Inner Loop Header: Depth=1
	s_load_dwordx2 s[6:7], s[2:3], 0x4
	s_load_dword s5, s[2:3], 0xc
	s_load_dwordx2 s[8:9], s[0:1], 0x0
	v_mov_b32_e32 v2, v1
	s_add_u32 s2, s2, 12
	s_waitcnt lgkmcnt(0)
	v_mul_hi_u32 v1, s7, v0
	v_add_u32_e32 v1, v0, v1
	v_lshrrev_b32_e32 v1, s5, v1
	s_addc_u32 s3, s3, 0
	v_mul_lo_u32 v3, v1, s6
	s_add_u32 s0, s0, 8
	v_sub_u32_e32 v4, v0, v3
	s_addc_u32 s1, s1, 0
	s_add_i32 s4, s4, -1
	v_mad_u64_u32 v[2:3], s[6:7], v4, s9, v[2:3]
	s_cmp_lg_u32 s4, 0
	v_mov_b32_e32 v0, v1
	v_mad_u64_u32 v[26:27], s[6:7], v4, s8, v[26:27]
	v_mov_b32_e32 v1, v2
	s_cbranch_scc1 .LBB145_155
.LBB145_156:
	s_cbranch_execnz .LBB145_159
.LBB145_157:
	s_waitcnt lgkmcnt(0)
	v_mul_hi_u32 v0, s45, v28
	v_add_u32_e32 v0, v28, v0
	v_lshrrev_b32_e32 v0, s46, v0
	v_mul_lo_u32 v1, v0, s44
	v_sub_u32_e32 v1, v28, v1
	v_mul_lo_u32 v2, v1, s41
	s_andn2_b64 vcc, exec, s[52:53]
	v_mul_lo_u32 v26, v1, s40
	s_cbranch_vccnz .LBB145_159
; %bb.158:
	v_mul_hi_u32 v1, s50, v0
	v_add_u32_e32 v1, v0, v1
	v_lshrrev_b32_e32 v1, s51, v1
	v_mul_lo_u32 v1, v1, s47
	v_sub_u32_e32 v0, v0, v1
	v_mad_u64_u32 v[26:27], s[0:1], v0, s42, v[26:27]
	v_mad_u64_u32 v[2:3], s[0:1], v0, s43, v[2:3]
.LBB145_159:
	s_getpc_b64 s[0:1]
	s_add_u32 s0, s0, _ZN2at6native6invokeIZZZNS0_17expm1_kernel_cudaERNS_18TensorIteratorBaseEENKUlvE_clEvENKUlvE2_clEvEUlN3c107complexIfEEE_j15function_traitsIS9_EEENT1_11result_typeERKT_PrKPcPKT0_PKNS6_10ScalarTypeEi@rel32@lo+4
	s_addc_u32 s1, s1, _ZN2at6native6invokeIZZZNS0_17expm1_kernel_cudaERNS_18TensorIteratorBaseEENKUlvE_clEvENKUlvE2_clEvEUlN3c107complexIfEEE_j15function_traitsIS9_EEENT1_11result_typeERKT_PrKPcPKT0_PKNS6_10ScalarTypeEi@rel32@hi+12
	s_waitcnt lgkmcnt(0)
	v_mov_b32_e32 v0, s38
	v_mov_b32_e32 v1, s39
	;; [unrolled: 1-line block ×3, first 2 shown]
	s_swappc_b64 s[30:31], s[0:1]
	v_mov_b32_e32 v27, 0
	s_and_b32 s8, s73, 0xff
	s_cmp_lt_i32 s8, 11
	v_lshl_add_u64 v[2:3], s[36:37], 0, v[26:27]
	s_cbranch_scc1 .LBB145_166
; %bb.160:
	s_and_b32 s9, 0xffff, s8
	s_cmp_gt_i32 s9, 25
	s_cbranch_scc0 .LBB145_169
; %bb.161:
	s_cmp_gt_i32 s9, 28
	s_cbranch_scc0 .LBB145_170
; %bb.162:
	;; [unrolled: 3-line block ×4, first 2 shown]
	s_mov_b64 s[4:5], 0
	s_mov_b64 s[0:1], -1
	s_cmp_eq_u32 s9, 46
	s_mov_b64 s[2:3], 0
	s_cbranch_scc0 .LBB145_177
; %bb.165:
	s_movk_i32 s0, 0x7fff
	v_bfe_u32 v5, v1, 16, 1
	v_add3_u32 v5, v1, v5, s0
	v_bfe_u32 v4, v0, 16, 1
	v_and_b32_e32 v5, 0xffff0000, v5
	v_mov_b32_e32 v6, 0x7fc00000
	v_cmp_o_f32_e32 vcc, v1, v1
	v_add3_u32 v4, v0, v4, s0
	s_mov_b64 s[2:3], -1
	v_cndmask_b32_e32 v5, v6, v5, vcc
	v_cmp_o_f32_e32 vcc, v0, v0
	v_mov_b32_e32 v6, 0x7fc0
	s_mov_b64 s[0:1], 0
	v_cndmask_b32_sdwa v4, v6, v4, vcc dst_sel:DWORD dst_unused:UNUSED_PAD src0_sel:DWORD src1_sel:WORD_1
	v_or_b32_e32 v4, v5, v4
	global_store_dword v[2:3], v4, off
	s_branch .LBB145_177
.LBB145_166:
	s_mov_b64 s[2:3], 0
	s_mov_b64 s[0:1], s[58:59]
	s_cbranch_execnz .LBB145_246
.LBB145_167:
	s_andn2_b64 vcc, exec, s[2:3]
	s_cbranch_vccnz .LBB145_284
.LBB145_168:
	v_add_u32_e32 v28, 0x80, v28
	s_mov_b64 s[2:3], -1
	s_branch .LBB145_285
.LBB145_169:
	s_mov_b64 s[4:5], -1
	s_mov_b64 s[2:3], 0
	s_mov_b64 s[0:1], s[58:59]
	s_branch .LBB145_204
.LBB145_170:
	s_mov_b64 s[4:5], -1
	s_mov_b64 s[2:3], 0
	s_mov_b64 s[0:1], s[58:59]
	s_branch .LBB145_187
.LBB145_171:
	s_andn2_saveexec_b64 s[6:7], s[6:7]
	s_cbranch_execz .LBB145_52
.LBB145_172:
	s_mov_b32 s10, 0x46000000
	v_add_f32_e64 v4, |v0|, s10
	v_and_b32_e32 v4, 0xff, v4
	v_cmp_ne_u32_e32 vcc, 0, v4
	s_andn2_b64 s[4:5], s[4:5], exec
	s_and_b64 s[10:11], vcc, exec
	s_or_b64 s[4:5], s[4:5], s[10:11]
	s_or_b64 exec, exec, s[6:7]
	v_mov_b32_e32 v5, 0
	s_and_saveexec_b64 s[6:7], s[4:5]
	s_cbranch_execnz .LBB145_53
	s_branch .LBB145_54
.LBB145_173:
	s_mov_b64 s[4:5], -1
	s_mov_b64 s[2:3], 0
	s_mov_b64 s[0:1], s[58:59]
	s_branch .LBB145_183
.LBB145_174:
	s_andn2_saveexec_b64 s[6:7], s[6:7]
	s_cbranch_execz .LBB145_64
.LBB145_175:
	s_mov_b32 s10, 0x42800000
	v_add_f32_e64 v4, |v0|, s10
	v_and_b32_e32 v4, 0xff, v4
	v_cmp_ne_u32_e32 vcc, 0, v4
	s_andn2_b64 s[4:5], s[4:5], exec
	s_and_b64 s[10:11], vcc, exec
	s_or_b64 s[4:5], s[4:5], s[10:11]
	s_or_b64 exec, exec, s[6:7]
	v_mov_b32_e32 v5, 0
	s_and_saveexec_b64 s[6:7], s[4:5]
	s_cbranch_execnz .LBB145_65
	s_branch .LBB145_66
.LBB145_176:
	s_mov_b64 s[4:5], -1
	s_mov_b64 s[2:3], 0
	s_mov_b64 s[0:1], s[58:59]
.LBB145_177:
	s_and_b64 vcc, exec, s[4:5]
	s_cbranch_vccz .LBB145_182
; %bb.178:
	s_cmp_eq_u32 s9, 44
	s_mov_b64 s[0:1], -1
	s_cbranch_scc0 .LBB145_182
; %bb.179:
	v_bfe_u32 v4, v0, 23, 8
	s_movk_i32 s0, 0xff
	v_cmp_ne_u32_e32 vcc, s0, v4
	v_mov_b32_e32 v5, 0xff
	s_and_saveexec_b64 s[2:3], vcc
; %bb.180:
	s_mov_b32 s0, 0x3fffff
	v_and_b32_e32 v6, 0x400000, v0
	v_and_or_b32 v4, v0, s0, v4
	v_cmp_ne_u32_e32 vcc, 0, v6
	v_cmp_ne_u32_e64 s[0:1], 0, v4
	s_and_b64 s[0:1], vcc, s[0:1]
	v_lshrrev_b32_e32 v5, 23, v0
	v_cndmask_b32_e64 v4, 0, 1, s[0:1]
	v_add_u32_e32 v5, v5, v4
; %bb.181:
	s_or_b64 exec, exec, s[2:3]
	s_mov_b64 s[2:3], -1
	s_mov_b64 s[0:1], 0
	global_store_byte v[2:3], v5, off
.LBB145_182:
	s_mov_b64 s[4:5], 0
.LBB145_183:
	s_and_b64 vcc, exec, s[4:5]
	s_cbranch_vccz .LBB145_186
; %bb.184:
	s_cmp_eq_u32 s9, 29
	s_mov_b64 s[0:1], -1
	s_cbranch_scc0 .LBB145_186
; %bb.185:
	v_trunc_f32_e32 v4, v0
	v_mul_f32_e32 v5, 0x2f800000, v4
	v_floor_f32_e32 v6, v5
	v_fmamk_f32 v4, v6, 0xcf800000, v4
	v_cvt_u32_f32_e32 v5, v6
	v_cvt_u32_f32_e32 v4, v4
	s_mov_b64 s[2:3], -1
	s_mov_b64 s[0:1], 0
	s_mov_b64 s[4:5], 0
	global_store_dwordx2 v[2:3], v[4:5], off
	s_branch .LBB145_187
.LBB145_186:
	s_mov_b64 s[4:5], 0
.LBB145_187:
	s_and_b64 vcc, exec, s[4:5]
	s_cbranch_vccz .LBB145_203
; %bb.188:
	s_cmp_lt_i32 s9, 27
	s_mov_b64 s[2:3], -1
	s_cbranch_scc1 .LBB145_194
; %bb.189:
	v_cvt_u32_f32_e32 v4, v0
	s_cmp_gt_i32 s9, 27
	s_cbranch_scc0 .LBB145_191
; %bb.190:
	s_mov_b64 s[2:3], 0
	global_store_dword v[2:3], v4, off
.LBB145_191:
	s_andn2_b64 vcc, exec, s[2:3]
	s_cbranch_vccnz .LBB145_193
; %bb.192:
	global_store_short v[2:3], v4, off
.LBB145_193:
	s_mov_b64 s[2:3], 0
.LBB145_194:
	s_andn2_b64 vcc, exec, s[2:3]
	s_cbranch_vccnz .LBB145_202
; %bb.195:
	v_and_b32_e32 v4, 0x7fffffff, v0
	s_mov_b32 s2, 0x43800000
	v_cmp_gt_u32_e32 vcc, s2, v4
	v_mov_b32_e32 v5, 0x80
	s_and_saveexec_b64 s[2:3], vcc
	s_cbranch_execz .LBB145_201
; %bb.196:
	s_mov_b32 s4, 0x3bffffff
	v_cmp_lt_u32_e32 vcc, s4, v4
	s_mov_b64 s[4:5], 0
                                        ; implicit-def: $vgpr4
	s_and_saveexec_b64 s[6:7], vcc
	s_xor_b64 s[6:7], exec, s[6:7]
	s_cbranch_execz .LBB145_314
; %bb.197:
	v_bfe_u32 v4, v0, 20, 1
	s_mov_b32 s10, 0x487ffff
	v_add3_u32 v4, v0, v4, s10
	s_mov_b64 s[4:5], exec
	v_lshrrev_b32_e32 v4, 20, v4
	s_andn2_saveexec_b64 s[6:7], s[6:7]
	s_cbranch_execnz .LBB145_315
.LBB145_198:
	s_or_b64 exec, exec, s[6:7]
	v_mov_b32_e32 v5, 0
	s_and_saveexec_b64 s[6:7], s[4:5]
.LBB145_199:
	v_lshrrev_b32_e32 v5, 24, v0
	s_movk_i32 s4, 0x80
	v_and_or_b32 v5, v5, s4, v4
.LBB145_200:
	s_or_b64 exec, exec, s[6:7]
.LBB145_201:
	s_or_b64 exec, exec, s[2:3]
	global_store_byte v[2:3], v5, off
.LBB145_202:
	s_mov_b64 s[2:3], -1
.LBB145_203:
	s_mov_b64 s[4:5], 0
.LBB145_204:
	s_and_b64 vcc, exec, s[4:5]
	s_cbranch_vccz .LBB145_245
; %bb.205:
	s_cmp_gt_i32 s9, 22
	s_mov_b64 s[4:5], -1
	s_cbranch_scc0 .LBB145_237
; %bb.206:
	s_cmp_lt_i32 s9, 24
	s_mov_b64 s[2:3], -1
	s_cbranch_scc1 .LBB145_226
; %bb.207:
	s_cmp_gt_i32 s9, 24
	s_cbranch_scc0 .LBB145_215
; %bb.208:
	v_and_b32_e32 v4, 0x7fffffff, v0
	s_mov_b32 s2, 0x47800000
	v_cmp_gt_u32_e32 vcc, s2, v4
	v_mov_b32_e32 v5, 0x80
	s_and_saveexec_b64 s[2:3], vcc
	s_cbranch_execz .LBB145_214
; %bb.209:
	s_mov_b32 s4, 0x37ffffff
	v_cmp_lt_u32_e32 vcc, s4, v4
	s_mov_b64 s[4:5], 0
                                        ; implicit-def: $vgpr4
	s_and_saveexec_b64 s[6:7], vcc
	s_xor_b64 s[6:7], exec, s[6:7]
	s_cbranch_execz .LBB145_317
; %bb.210:
	v_bfe_u32 v4, v0, 21, 1
	s_mov_b32 s10, 0x88fffff
	v_add3_u32 v4, v0, v4, s10
	s_mov_b64 s[4:5], exec
	v_lshrrev_b32_e32 v4, 21, v4
	s_andn2_saveexec_b64 s[6:7], s[6:7]
	s_cbranch_execnz .LBB145_318
.LBB145_211:
	s_or_b64 exec, exec, s[6:7]
	v_mov_b32_e32 v5, 0
	s_and_saveexec_b64 s[6:7], s[4:5]
.LBB145_212:
	v_lshrrev_b32_e32 v5, 24, v0
	s_movk_i32 s4, 0x80
	v_and_or_b32 v5, v5, s4, v4
.LBB145_213:
	s_or_b64 exec, exec, s[6:7]
.LBB145_214:
	s_or_b64 exec, exec, s[2:3]
	s_mov_b64 s[2:3], 0
	global_store_byte v[2:3], v5, off
.LBB145_215:
	s_and_b64 vcc, exec, s[2:3]
	s_cbranch_vccz .LBB145_225
; %bb.216:
	v_and_b32_e32 v5, 0x7fffffff, v0
	s_mov_b32 s2, 0x43f00000
	v_cmp_gt_u32_e32 vcc, s2, v5
                                        ; implicit-def: $vgpr4
	s_and_saveexec_b64 s[2:3], vcc
	s_xor_b64 s[2:3], exec, s[2:3]
	s_cbranch_execz .LBB145_222
; %bb.217:
	s_mov_b32 s4, 0x3c7fffff
	v_cmp_lt_u32_e32 vcc, s4, v5
                                        ; implicit-def: $vgpr4
	s_and_saveexec_b64 s[4:5], vcc
	s_xor_b64 s[4:5], exec, s[4:5]
; %bb.218:
	v_bfe_u32 v4, v0, 20, 1
	s_mov_b32 s6, 0x407ffff
	v_add3_u32 v4, v0, v4, s6
	v_lshrrev_b32_e32 v5, 20, v4
	v_and_b32_e32 v4, 0xff00000, v4
	s_mov_b32 s6, 0x7f00000
	v_mov_b32_e32 v6, 0x7e
	v_cmp_ne_u32_e32 vcc, s6, v4
	s_nop 1
	v_cndmask_b32_e32 v4, v6, v5, vcc
; %bb.219:
	s_andn2_saveexec_b64 s[4:5], s[4:5]
; %bb.220:
	s_mov_b32 s6, 0x46800000
	v_add_f32_e64 v4, |v0|, s6
; %bb.221:
	s_or_b64 exec, exec, s[4:5]
                                        ; implicit-def: $vgpr5
.LBB145_222:
	s_andn2_saveexec_b64 s[2:3], s[2:3]
; %bb.223:
	s_mov_b32 s4, 0x7f800000
	v_mov_b32_e32 v4, 0x7e
	v_mov_b32_e32 v6, 0x7f
	v_cmp_lt_u32_e32 vcc, s4, v5
	s_nop 1
	v_cndmask_b32_e32 v4, v4, v6, vcc
; %bb.224:
	s_or_b64 exec, exec, s[2:3]
	v_lshrrev_b32_e32 v5, 24, v0
	s_movk_i32 s2, 0x80
	v_and_or_b32 v4, v5, s2, v4
	global_store_byte v[2:3], v4, off
.LBB145_225:
	s_mov_b64 s[2:3], 0
.LBB145_226:
	s_andn2_b64 vcc, exec, s[2:3]
	s_cbranch_vccnz .LBB145_236
; %bb.227:
	v_and_b32_e32 v5, 0x7fffffff, v0
	s_mov_b32 s2, 0x47800000
	v_cmp_gt_u32_e32 vcc, s2, v5
                                        ; implicit-def: $vgpr4
	s_and_saveexec_b64 s[2:3], vcc
	s_xor_b64 s[2:3], exec, s[2:3]
	s_cbranch_execz .LBB145_233
; %bb.228:
	s_mov_b32 s4, 0x387fffff
	v_cmp_lt_u32_e32 vcc, s4, v5
                                        ; implicit-def: $vgpr4
	s_and_saveexec_b64 s[4:5], vcc
	s_xor_b64 s[4:5], exec, s[4:5]
; %bb.229:
	v_bfe_u32 v4, v0, 21, 1
	s_mov_b32 s6, 0x80fffff
	v_add3_u32 v4, v0, v4, s6
	v_lshrrev_b32_e32 v4, 21, v4
; %bb.230:
	s_andn2_saveexec_b64 s[4:5], s[4:5]
; %bb.231:
	s_mov_b32 s6, 0x43000000
	v_add_f32_e64 v4, |v0|, s6
; %bb.232:
	s_or_b64 exec, exec, s[4:5]
                                        ; implicit-def: $vgpr5
.LBB145_233:
	s_andn2_saveexec_b64 s[2:3], s[2:3]
; %bb.234:
	s_mov_b32 s4, 0x7f800000
	v_mov_b32_e32 v4, 0x7c
	v_mov_b32_e32 v6, 0x7f
	v_cmp_lt_u32_e32 vcc, s4, v5
	s_nop 1
	v_cndmask_b32_e32 v4, v4, v6, vcc
; %bb.235:
	s_or_b64 exec, exec, s[2:3]
	v_lshrrev_b32_e32 v5, 24, v0
	s_movk_i32 s2, 0x80
	v_and_or_b32 v4, v5, s2, v4
	global_store_byte v[2:3], v4, off
.LBB145_236:
	s_mov_b64 s[4:5], 0
	s_mov_b64 s[2:3], -1
.LBB145_237:
	s_andn2_b64 vcc, exec, s[4:5]
	s_cbranch_vccnz .LBB145_245
; %bb.238:
	s_cmp_gt_i32 s9, 14
	s_mov_b64 s[4:5], -1
	s_cbranch_scc0 .LBB145_242
; %bb.239:
	s_cmp_eq_u32 s9, 15
	s_mov_b64 s[0:1], -1
	s_cbranch_scc0 .LBB145_241
; %bb.240:
	v_bfe_u32 v4, v0, 16, 1
	s_movk_i32 s0, 0x7fff
	v_add3_u32 v4, v0, v4, s0
	v_cmp_o_f32_e32 vcc, v0, v0
	v_mov_b32_e32 v5, 0x7fc0
	s_mov_b64 s[2:3], -1
	v_cndmask_b32_sdwa v4, v5, v4, vcc dst_sel:DWORD dst_unused:UNUSED_PAD src0_sel:DWORD src1_sel:WORD_1
	global_store_short v[2:3], v4, off
	s_mov_b64 s[0:1], 0
.LBB145_241:
	s_mov_b64 s[4:5], 0
.LBB145_242:
	s_and_b64 vcc, exec, s[4:5]
	s_cbranch_vccz .LBB145_245
; %bb.243:
	s_cmp_eq_u32 s9, 11
	s_mov_b64 s[0:1], -1
	s_cbranch_scc0 .LBB145_245
; %bb.244:
	s_brev_b32 s0, -2
	v_bitop3_b32 v4, v0, s0, v1 bitop3:0xc8
	v_cmp_ne_u32_e32 vcc, 0, v4
	s_mov_b64 s[2:3], -1
	s_mov_b64 s[0:1], 0
	v_cndmask_b32_e64 v4, 0, 1, vcc
	global_store_byte v[2:3], v4, off
.LBB145_245:
	s_branch .LBB145_167
.LBB145_246:
	s_and_b32 s4, 0xffff, s8
	s_cmp_lt_i32 s4, 5
	s_mov_b64 s[2:3], -1
	s_cbranch_scc1 .LBB145_267
; %bb.247:
	s_cmp_lt_i32 s4, 8
	s_cbranch_scc1 .LBB145_257
; %bb.248:
	s_cmp_lt_i32 s4, 9
	s_cbranch_scc1 .LBB145_254
; %bb.249:
	s_cmp_gt_i32 s4, 9
	s_cbranch_scc0 .LBB145_251
; %bb.250:
	v_cvt_f64_f32_e32 v[4:5], v0
	v_cvt_f64_f32_e32 v[6:7], v1
	s_mov_b64 s[2:3], 0
	global_store_dwordx4 v[2:3], v[4:7], off
.LBB145_251:
	s_andn2_b64 vcc, exec, s[2:3]
	s_cbranch_vccnz .LBB145_253
; %bb.252:
	global_store_dwordx2 v[2:3], v[0:1], off
.LBB145_253:
	s_mov_b64 s[2:3], 0
.LBB145_254:
	s_andn2_b64 vcc, exec, s[2:3]
	s_cbranch_vccnz .LBB145_256
; %bb.255:
	v_cvt_f16_f32_e32 v4, v0
	v_cvt_f16_f32_sdwa v1, v1 dst_sel:WORD_1 dst_unused:UNUSED_PAD src0_sel:DWORD
	s_nop 0
	v_or_b32_e32 v1, v1, v4
	global_store_dword v[2:3], v1, off
.LBB145_256:
	s_mov_b64 s[2:3], 0
.LBB145_257:
	s_andn2_b64 vcc, exec, s[2:3]
	s_cbranch_vccnz .LBB145_266
; %bb.258:
	s_cmp_lt_i32 s4, 6
	s_mov_b64 s[2:3], -1
	s_cbranch_scc1 .LBB145_264
; %bb.259:
	s_cmp_gt_i32 s4, 6
	s_cbranch_scc0 .LBB145_261
; %bb.260:
	v_cvt_f64_f32_e32 v[4:5], v0
	s_mov_b64 s[2:3], 0
	global_store_dwordx2 v[2:3], v[4:5], off
.LBB145_261:
	s_andn2_b64 vcc, exec, s[2:3]
	s_cbranch_vccnz .LBB145_263
; %bb.262:
	global_store_dword v[2:3], v0, off
.LBB145_263:
	s_mov_b64 s[2:3], 0
.LBB145_264:
	s_andn2_b64 vcc, exec, s[2:3]
	s_cbranch_vccnz .LBB145_266
; %bb.265:
	v_cvt_f16_f32_e32 v1, v0
	global_store_short v[2:3], v1, off
.LBB145_266:
	s_mov_b64 s[2:3], 0
.LBB145_267:
	s_andn2_b64 vcc, exec, s[2:3]
	s_cbranch_vccnz .LBB145_283
; %bb.268:
	s_cmp_lt_i32 s4, 2
	s_mov_b64 s[2:3], -1
	s_cbranch_scc1 .LBB145_278
; %bb.269:
	s_cmp_lt_i32 s4, 3
	s_cbranch_scc1 .LBB145_275
; %bb.270:
	s_cmp_gt_i32 s4, 3
	s_cbranch_scc0 .LBB145_272
; %bb.271:
	v_trunc_f32_e32 v1, v0
	s_mov_b32 s2, 0x2f800000
	v_mul_f32_e64 v4, |v1|, s2
	v_floor_f32_e32 v4, v4
	s_mov_b32 s2, 0xcf800000
	v_cvt_u32_f32_e32 v5, v4
	v_fma_f32 v4, v4, s2, |v1|
	v_cvt_u32_f32_e32 v4, v4
	v_ashrrev_i32_e32 v1, 31, v1
	v_xor_b32_e32 v5, v5, v1
	s_mov_b64 s[2:3], 0
	v_xor_b32_e32 v4, v4, v1
	v_sub_co_u32_e32 v4, vcc, v4, v1
	s_nop 1
	v_subb_co_u32_e32 v5, vcc, v5, v1, vcc
	global_store_dwordx2 v[2:3], v[4:5], off
.LBB145_272:
	s_andn2_b64 vcc, exec, s[2:3]
	s_cbranch_vccnz .LBB145_274
; %bb.273:
	v_cvt_i32_f32_e32 v1, v0
	global_store_dword v[2:3], v1, off
.LBB145_274:
	s_mov_b64 s[2:3], 0
.LBB145_275:
	s_andn2_b64 vcc, exec, s[2:3]
	s_cbranch_vccnz .LBB145_277
; %bb.276:
	v_cvt_i32_f32_e32 v1, v0
	global_store_short v[2:3], v1, off
.LBB145_277:
	s_mov_b64 s[2:3], 0
.LBB145_278:
	s_andn2_b64 vcc, exec, s[2:3]
	s_cbranch_vccnz .LBB145_283
; %bb.279:
	s_cmp_gt_i32 s4, 0
	s_mov_b64 s[2:3], -1
	s_cbranch_scc0 .LBB145_281
; %bb.280:
	v_cvt_i32_f32_e32 v1, v0
	s_mov_b64 s[2:3], 0
	global_store_byte v[2:3], v1, off
.LBB145_281:
	s_andn2_b64 vcc, exec, s[2:3]
	s_cbranch_vccnz .LBB145_283
; %bb.282:
	v_trunc_f32_e32 v0, v0
	s_mov_b32 s2, 0x2f800000
	v_mul_f32_e64 v1, |v0|, s2
	v_floor_f32_e32 v1, v1
	s_mov_b32 s2, 0xcf800000
	v_fma_f32 v1, v1, s2, |v0|
	v_cvt_u32_f32_e32 v1, v1
	v_ashrrev_i32_e32 v0, 31, v0
	v_xor_b32_e32 v1, v1, v0
	v_sub_u32_e32 v0, v1, v0
	global_store_byte v[2:3], v0, off
.LBB145_283:
	s_branch .LBB145_168
.LBB145_284:
	s_mov_b64 s[2:3], 0
                                        ; implicit-def: $vgpr28
.LBB145_285:
	s_andn2_b64 s[4:5], s[58:59], exec
	s_and_b64 s[0:1], s[0:1], exec
	s_or_b64 s[62:63], s[4:5], s[0:1]
	s_orn2_b64 s[4:5], s[2:3], exec
.LBB145_286:
	s_or_b64 exec, exec, s[64:65]
	s_mov_b64 s[0:1], 0
	s_mov_b64 s[2:3], 0
                                        ; implicit-def: $sgpr10
                                        ; implicit-def: $vgpr2_vgpr3
                                        ; implicit-def: $vgpr0
	s_and_saveexec_b64 s[64:65], s[4:5]
	s_cbranch_execz .LBB145_533
; %bb.287:
	v_cmp_gt_i32_e32 vcc, s70, v28
	s_mov_b64 s[2:3], -1
	s_mov_b64 s[68:69], s[62:63]
	s_and_saveexec_b64 s[66:67], vcc
	s_cbranch_execz .LBB145_432
; %bb.288:
	s_andn2_b64 vcc, exec, s[34:35]
	s_cbranch_vccnz .LBB145_294
; %bb.289:
	s_andn2_b64 vcc, exec, s[56:57]
	s_cbranch_vccnz .LBB145_295
; %bb.290:
	s_add_i32 s31, s74, 1
	s_cmp_eq_u32 s72, 2
	s_cbranch_scc1 .LBB145_296
; %bb.291:
	s_and_b32 s30, s31, 28
	s_mov_b32 s68, 0
	v_mov_b32_e32 v26, 0
	v_mov_b32_e32 v2, 0
	s_mov_b64 s[20:21], s[26:27]
	s_mov_b64 s[22:23], s[54:55]
	v_mov_b32_e32 v0, v28
.LBB145_292:                            ; =>This Inner Loop Header: Depth=1
	s_load_dwordx8 s[8:15], s[20:21], 0x4
	s_load_dwordx4 s[16:19], s[20:21], 0x24
	s_load_dwordx8 s[0:7], s[22:23], 0x0
	s_add_u32 s20, s20, 48
	s_addc_u32 s21, s21, 0
	s_waitcnt lgkmcnt(0)
	v_mul_hi_u32 v1, s9, v0
	v_add_u32_e32 v1, v0, v1
	v_lshrrev_b32_e32 v1, s10, v1
	v_mul_lo_u32 v3, v1, s8
	v_mul_hi_u32 v4, s12, v1
	v_sub_u32_e32 v0, v0, v3
	v_add_u32_e32 v3, v1, v4
	v_lshrrev_b32_e32 v3, s13, v3
	v_mul_lo_u32 v5, v3, s11
	v_mul_hi_u32 v6, s15, v3
	v_sub_u32_e32 v1, v1, v5
	v_add_u32_e32 v5, v3, v6
	v_mul_lo_u32 v4, v0, s1
	v_mul_lo_u32 v0, v0, s0
	;; [unrolled: 1-line block ×4, first 2 shown]
	v_lshrrev_b32_e32 v5, s16, v5
	v_add3_u32 v1, v0, v26, v1
	v_add3_u32 v2, v4, v2, v6
	v_mul_lo_u32 v0, v5, s14
	v_mul_hi_u32 v4, s18, v5
	v_sub_u32_e32 v0, v3, v0
	v_add_u32_e32 v3, v5, v4
	v_mul_lo_u32 v4, v0, s4
	v_mul_lo_u32 v6, v0, s5
	v_lshrrev_b32_e32 v0, s19, v3
	s_add_i32 s68, s68, 4
	v_mul_lo_u32 v3, v0, s17
	s_add_u32 s22, s22, 32
	v_sub_u32_e32 v3, v5, v3
	s_addc_u32 s23, s23, 0
	v_mul_lo_u32 v5, v3, s6
	v_mul_lo_u32 v3, v3, s7
	s_cmp_eq_u32 s30, s68
	v_add3_u32 v2, v6, v2, v3
	v_add3_u32 v26, v4, v1, v5
	s_cbranch_scc0 .LBB145_292
; %bb.293:
	v_mov_b32_e32 v1, v2
	s_branch .LBB145_297
.LBB145_294:
	s_mov_b64 s[0:1], -1
                                        ; implicit-def: $vgpr2
                                        ; implicit-def: $vgpr26
	s_branch .LBB145_301
.LBB145_295:
	v_mov_b32_e32 v2, 0
	v_mov_b32_e32 v26, 0
	s_branch .LBB145_300
.LBB145_296:
	v_mov_b32_e32 v26, 0
	s_mov_b32 s30, 0
	v_mov_b32_e32 v1, v26
                                        ; implicit-def: $vgpr2
	v_mov_b32_e32 v0, v28
.LBB145_297:
	s_and_b32 s4, s31, 3
	s_cmp_eq_u32 s4, 0
	s_cbranch_scc1 .LBB145_300
; %bb.298:
	s_lshl_b32 s0, s30, 3
	s_add_u32 s0, s26, s0
	s_addc_u32 s1, s27, 0
	s_add_u32 s0, s0, 0xc4
	s_addc_u32 s1, s1, 0
	s_mul_i32 s2, s30, 12
	s_add_u32 s2, s26, s2
	s_addc_u32 s3, s27, 0
.LBB145_299:                            ; =>This Inner Loop Header: Depth=1
	s_load_dwordx2 s[6:7], s[2:3], 0x4
	s_load_dword s5, s[2:3], 0xc
	s_load_dwordx2 s[8:9], s[0:1], 0x0
	v_mov_b32_e32 v2, v1
	s_add_u32 s2, s2, 12
	s_waitcnt lgkmcnt(0)
	v_mul_hi_u32 v1, s7, v0
	v_add_u32_e32 v1, v0, v1
	v_lshrrev_b32_e32 v1, s5, v1
	s_addc_u32 s3, s3, 0
	v_mul_lo_u32 v3, v1, s6
	s_add_u32 s0, s0, 8
	v_sub_u32_e32 v4, v0, v3
	s_addc_u32 s1, s1, 0
	s_add_i32 s4, s4, -1
	v_mad_u64_u32 v[2:3], s[6:7], v4, s9, v[2:3]
	s_cmp_lg_u32 s4, 0
	v_mov_b32_e32 v0, v1
	v_mad_u64_u32 v[26:27], s[6:7], v4, s8, v[26:27]
	v_mov_b32_e32 v1, v2
	s_cbranch_scc1 .LBB145_299
.LBB145_300:
	s_mov_b64 s[0:1], 0
.LBB145_301:
	s_andn2_b64 vcc, exec, s[0:1]
	s_cbranch_vccnz .LBB145_304
; %bb.302:
	s_waitcnt lgkmcnt(0)
	v_mul_hi_u32 v0, s45, v28
	v_add_u32_e32 v0, v28, v0
	v_lshrrev_b32_e32 v0, s46, v0
	v_mul_lo_u32 v1, v0, s44
	v_sub_u32_e32 v1, v28, v1
	v_mul_lo_u32 v2, v1, s41
	s_andn2_b64 vcc, exec, s[52:53]
	v_mul_lo_u32 v26, v1, s40
	s_cbranch_vccnz .LBB145_304
; %bb.303:
	v_mul_hi_u32 v1, s50, v0
	v_add_u32_e32 v1, v0, v1
	v_lshrrev_b32_e32 v1, s51, v1
	v_mul_lo_u32 v1, v1, s47
	v_sub_u32_e32 v0, v0, v1
	v_mad_u64_u32 v[26:27], s[0:1], v0, s42, v[26:27]
	v_mad_u64_u32 v[2:3], s[0:1], v0, s43, v[2:3]
.LBB145_304:
	s_getpc_b64 s[0:1]
	s_add_u32 s0, s0, _ZN2at6native6invokeIZZZNS0_17expm1_kernel_cudaERNS_18TensorIteratorBaseEENKUlvE_clEvENKUlvE2_clEvEUlN3c107complexIfEEE_j15function_traitsIS9_EEENT1_11result_typeERKT_PrKPcPKT0_PKNS6_10ScalarTypeEi@rel32@lo+4
	s_addc_u32 s1, s1, _ZN2at6native6invokeIZZZNS0_17expm1_kernel_cudaERNS_18TensorIteratorBaseEENKUlvE_clEvENKUlvE2_clEvEUlN3c107complexIfEEE_j15function_traitsIS9_EEENT1_11result_typeERKT_PrKPcPKT0_PKNS6_10ScalarTypeEi@rel32@hi+12
	s_waitcnt lgkmcnt(0)
	v_mov_b32_e32 v0, s38
	v_mov_b32_e32 v1, s39
	v_mov_b32_e32 v3, v25
	s_swappc_b64 s[30:31], s[0:1]
	v_mov_b32_e32 v27, 0
	s_and_b32 s8, s73, 0xff
	s_cmp_lt_i32 s8, 11
	v_lshl_add_u64 v[2:3], s[36:37], 0, v[26:27]
	s_cbranch_scc1 .LBB145_311
; %bb.305:
	s_and_b32 s9, 0xffff, s8
	s_cmp_gt_i32 s9, 25
	s_cbranch_scc0 .LBB145_312
; %bb.306:
	s_cmp_gt_i32 s9, 28
	s_cbranch_scc0 .LBB145_313
; %bb.307:
	;; [unrolled: 3-line block ×4, first 2 shown]
	s_mov_b64 s[4:5], 0
	s_mov_b64 s[0:1], -1
	s_cmp_eq_u32 s9, 46
	s_mov_b64 s[2:3], 0
	s_cbranch_scc0 .LBB145_320
; %bb.310:
	s_movk_i32 s0, 0x7fff
	v_bfe_u32 v5, v1, 16, 1
	v_add3_u32 v5, v1, v5, s0
	v_bfe_u32 v4, v0, 16, 1
	v_and_b32_e32 v5, 0xffff0000, v5
	v_mov_b32_e32 v6, 0x7fc00000
	v_cmp_o_f32_e32 vcc, v1, v1
	v_add3_u32 v4, v0, v4, s0
	s_mov_b64 s[2:3], -1
	v_cndmask_b32_e32 v5, v6, v5, vcc
	v_cmp_o_f32_e32 vcc, v0, v0
	v_mov_b32_e32 v6, 0x7fc0
	s_mov_b64 s[0:1], 0
	v_cndmask_b32_sdwa v4, v6, v4, vcc dst_sel:DWORD dst_unused:UNUSED_PAD src0_sel:DWORD src1_sel:WORD_1
	v_or_b32_e32 v4, v5, v4
	global_store_dword v[2:3], v4, off
	s_branch .LBB145_320
.LBB145_311:
	s_mov_b64 s[4:5], -1
	s_mov_b64 s[2:3], 0
	s_mov_b64 s[0:1], s[62:63]
	s_branch .LBB145_389
.LBB145_312:
	s_mov_b64 s[4:5], -1
	s_mov_b64 s[2:3], 0
	s_mov_b64 s[0:1], s[62:63]
	s_branch .LBB145_347
.LBB145_313:
	s_mov_b64 s[4:5], -1
	s_mov_b64 s[2:3], 0
	s_mov_b64 s[0:1], s[62:63]
	s_branch .LBB145_330
.LBB145_314:
	s_andn2_saveexec_b64 s[6:7], s[6:7]
	s_cbranch_execz .LBB145_198
.LBB145_315:
	s_mov_b32 s10, 0x46000000
	v_add_f32_e64 v4, |v0|, s10
	v_and_b32_e32 v4, 0xff, v4
	v_cmp_ne_u32_e32 vcc, 0, v4
	s_andn2_b64 s[4:5], s[4:5], exec
	s_and_b64 s[10:11], vcc, exec
	s_or_b64 s[4:5], s[4:5], s[10:11]
	s_or_b64 exec, exec, s[6:7]
	v_mov_b32_e32 v5, 0
	s_and_saveexec_b64 s[6:7], s[4:5]
	s_cbranch_execnz .LBB145_199
	s_branch .LBB145_200
.LBB145_316:
	s_mov_b64 s[4:5], -1
	s_mov_b64 s[2:3], 0
	s_mov_b64 s[0:1], s[62:63]
	s_branch .LBB145_326
.LBB145_317:
	s_andn2_saveexec_b64 s[6:7], s[6:7]
	s_cbranch_execz .LBB145_211
.LBB145_318:
	s_mov_b32 s10, 0x42800000
	v_add_f32_e64 v4, |v0|, s10
	v_and_b32_e32 v4, 0xff, v4
	v_cmp_ne_u32_e32 vcc, 0, v4
	s_andn2_b64 s[4:5], s[4:5], exec
	s_and_b64 s[10:11], vcc, exec
	s_or_b64 s[4:5], s[4:5], s[10:11]
	s_or_b64 exec, exec, s[6:7]
	v_mov_b32_e32 v5, 0
	s_and_saveexec_b64 s[6:7], s[4:5]
	s_cbranch_execnz .LBB145_212
	s_branch .LBB145_213
.LBB145_319:
	s_mov_b64 s[4:5], -1
	s_mov_b64 s[2:3], 0
	s_mov_b64 s[0:1], s[62:63]
.LBB145_320:
	s_and_b64 vcc, exec, s[4:5]
	s_cbranch_vccz .LBB145_325
; %bb.321:
	s_cmp_eq_u32 s9, 44
	s_mov_b64 s[0:1], -1
	s_cbranch_scc0 .LBB145_325
; %bb.322:
	v_bfe_u32 v4, v0, 23, 8
	s_movk_i32 s0, 0xff
	v_cmp_ne_u32_e32 vcc, s0, v4
	v_mov_b32_e32 v5, 0xff
	s_and_saveexec_b64 s[2:3], vcc
; %bb.323:
	s_mov_b32 s0, 0x3fffff
	v_and_b32_e32 v6, 0x400000, v0
	v_and_or_b32 v4, v0, s0, v4
	v_cmp_ne_u32_e32 vcc, 0, v6
	v_cmp_ne_u32_e64 s[0:1], 0, v4
	s_and_b64 s[0:1], vcc, s[0:1]
	v_lshrrev_b32_e32 v5, 23, v0
	v_cndmask_b32_e64 v4, 0, 1, s[0:1]
	v_add_u32_e32 v5, v5, v4
; %bb.324:
	s_or_b64 exec, exec, s[2:3]
	s_mov_b64 s[2:3], -1
	s_mov_b64 s[0:1], 0
	global_store_byte v[2:3], v5, off
.LBB145_325:
	s_mov_b64 s[4:5], 0
.LBB145_326:
	s_and_b64 vcc, exec, s[4:5]
	s_cbranch_vccz .LBB145_329
; %bb.327:
	s_cmp_eq_u32 s9, 29
	s_mov_b64 s[0:1], -1
	s_cbranch_scc0 .LBB145_329
; %bb.328:
	v_trunc_f32_e32 v4, v0
	v_mul_f32_e32 v5, 0x2f800000, v4
	v_floor_f32_e32 v6, v5
	v_fmamk_f32 v4, v6, 0xcf800000, v4
	v_cvt_u32_f32_e32 v5, v6
	v_cvt_u32_f32_e32 v4, v4
	s_mov_b64 s[2:3], -1
	s_mov_b64 s[0:1], 0
	s_mov_b64 s[4:5], 0
	global_store_dwordx2 v[2:3], v[4:5], off
	s_branch .LBB145_330
.LBB145_329:
	s_mov_b64 s[4:5], 0
.LBB145_330:
	s_and_b64 vcc, exec, s[4:5]
	s_cbranch_vccz .LBB145_346
; %bb.331:
	s_cmp_lt_i32 s9, 27
	s_mov_b64 s[2:3], -1
	s_cbranch_scc1 .LBB145_337
; %bb.332:
	v_cvt_u32_f32_e32 v4, v0
	s_cmp_gt_i32 s9, 27
	s_cbranch_scc0 .LBB145_334
; %bb.333:
	s_mov_b64 s[2:3], 0
	global_store_dword v[2:3], v4, off
.LBB145_334:
	s_andn2_b64 vcc, exec, s[2:3]
	s_cbranch_vccnz .LBB145_336
; %bb.335:
	global_store_short v[2:3], v4, off
.LBB145_336:
	s_mov_b64 s[2:3], 0
.LBB145_337:
	s_andn2_b64 vcc, exec, s[2:3]
	s_cbranch_vccnz .LBB145_345
; %bb.338:
	v_and_b32_e32 v4, 0x7fffffff, v0
	s_mov_b32 s2, 0x43800000
	v_cmp_gt_u32_e32 vcc, s2, v4
	v_mov_b32_e32 v5, 0x80
	s_and_saveexec_b64 s[2:3], vcc
	s_cbranch_execz .LBB145_344
; %bb.339:
	s_mov_b32 s4, 0x3bffffff
	v_cmp_lt_u32_e32 vcc, s4, v4
	s_mov_b64 s[4:5], 0
                                        ; implicit-def: $vgpr4
	s_and_saveexec_b64 s[6:7], vcc
	s_xor_b64 s[6:7], exec, s[6:7]
	s_cbranch_execz .LBB145_458
; %bb.340:
	v_bfe_u32 v4, v0, 20, 1
	s_mov_b32 s10, 0x487ffff
	v_add3_u32 v4, v0, v4, s10
	s_mov_b64 s[4:5], exec
	v_lshrrev_b32_e32 v4, 20, v4
	s_andn2_saveexec_b64 s[6:7], s[6:7]
	s_cbranch_execnz .LBB145_459
.LBB145_341:
	s_or_b64 exec, exec, s[6:7]
	v_mov_b32_e32 v5, 0
	s_and_saveexec_b64 s[6:7], s[4:5]
.LBB145_342:
	v_lshrrev_b32_e32 v5, 24, v0
	s_movk_i32 s4, 0x80
	v_and_or_b32 v5, v5, s4, v4
.LBB145_343:
	s_or_b64 exec, exec, s[6:7]
.LBB145_344:
	s_or_b64 exec, exec, s[2:3]
	global_store_byte v[2:3], v5, off
.LBB145_345:
	s_mov_b64 s[2:3], -1
.LBB145_346:
	s_mov_b64 s[4:5], 0
.LBB145_347:
	s_and_b64 vcc, exec, s[4:5]
	s_cbranch_vccz .LBB145_388
; %bb.348:
	s_cmp_gt_i32 s9, 22
	s_mov_b64 s[4:5], -1
	s_cbranch_scc0 .LBB145_380
; %bb.349:
	s_cmp_lt_i32 s9, 24
	s_mov_b64 s[2:3], -1
	s_cbranch_scc1 .LBB145_369
; %bb.350:
	s_cmp_gt_i32 s9, 24
	s_cbranch_scc0 .LBB145_358
; %bb.351:
	v_and_b32_e32 v4, 0x7fffffff, v0
	s_mov_b32 s2, 0x47800000
	v_cmp_gt_u32_e32 vcc, s2, v4
	v_mov_b32_e32 v5, 0x80
	s_and_saveexec_b64 s[2:3], vcc
	s_cbranch_execz .LBB145_357
; %bb.352:
	s_mov_b32 s4, 0x37ffffff
	v_cmp_lt_u32_e32 vcc, s4, v4
	s_mov_b64 s[4:5], 0
                                        ; implicit-def: $vgpr4
	s_and_saveexec_b64 s[6:7], vcc
	s_xor_b64 s[6:7], exec, s[6:7]
	s_cbranch_execz .LBB145_460
; %bb.353:
	v_bfe_u32 v4, v0, 21, 1
	s_mov_b32 s10, 0x88fffff
	v_add3_u32 v4, v0, v4, s10
	s_mov_b64 s[4:5], exec
	v_lshrrev_b32_e32 v4, 21, v4
	s_andn2_saveexec_b64 s[6:7], s[6:7]
	s_cbranch_execnz .LBB145_461
.LBB145_354:
	s_or_b64 exec, exec, s[6:7]
	v_mov_b32_e32 v5, 0
	s_and_saveexec_b64 s[6:7], s[4:5]
.LBB145_355:
	v_lshrrev_b32_e32 v5, 24, v0
	s_movk_i32 s4, 0x80
	v_and_or_b32 v5, v5, s4, v4
.LBB145_356:
	s_or_b64 exec, exec, s[6:7]
.LBB145_357:
	s_or_b64 exec, exec, s[2:3]
	s_mov_b64 s[2:3], 0
	global_store_byte v[2:3], v5, off
.LBB145_358:
	s_and_b64 vcc, exec, s[2:3]
	s_cbranch_vccz .LBB145_368
; %bb.359:
	v_and_b32_e32 v5, 0x7fffffff, v0
	s_mov_b32 s2, 0x43f00000
	v_cmp_gt_u32_e32 vcc, s2, v5
                                        ; implicit-def: $vgpr4
	s_and_saveexec_b64 s[2:3], vcc
	s_xor_b64 s[2:3], exec, s[2:3]
	s_cbranch_execz .LBB145_365
; %bb.360:
	s_mov_b32 s4, 0x3c7fffff
	v_cmp_lt_u32_e32 vcc, s4, v5
                                        ; implicit-def: $vgpr4
	s_and_saveexec_b64 s[4:5], vcc
	s_xor_b64 s[4:5], exec, s[4:5]
; %bb.361:
	v_bfe_u32 v4, v0, 20, 1
	s_mov_b32 s6, 0x407ffff
	v_add3_u32 v4, v0, v4, s6
	v_lshrrev_b32_e32 v5, 20, v4
	v_and_b32_e32 v4, 0xff00000, v4
	s_mov_b32 s6, 0x7f00000
	v_mov_b32_e32 v6, 0x7e
	v_cmp_ne_u32_e32 vcc, s6, v4
	s_nop 1
	v_cndmask_b32_e32 v4, v6, v5, vcc
; %bb.362:
	s_andn2_saveexec_b64 s[4:5], s[4:5]
; %bb.363:
	s_mov_b32 s6, 0x46800000
	v_add_f32_e64 v4, |v0|, s6
; %bb.364:
	s_or_b64 exec, exec, s[4:5]
                                        ; implicit-def: $vgpr5
.LBB145_365:
	s_andn2_saveexec_b64 s[2:3], s[2:3]
; %bb.366:
	s_mov_b32 s4, 0x7f800000
	v_mov_b32_e32 v4, 0x7e
	v_mov_b32_e32 v6, 0x7f
	v_cmp_lt_u32_e32 vcc, s4, v5
	s_nop 1
	v_cndmask_b32_e32 v4, v4, v6, vcc
; %bb.367:
	s_or_b64 exec, exec, s[2:3]
	v_lshrrev_b32_e32 v5, 24, v0
	s_movk_i32 s2, 0x80
	v_and_or_b32 v4, v5, s2, v4
	global_store_byte v[2:3], v4, off
.LBB145_368:
	s_mov_b64 s[2:3], 0
.LBB145_369:
	s_andn2_b64 vcc, exec, s[2:3]
	s_cbranch_vccnz .LBB145_379
; %bb.370:
	v_and_b32_e32 v5, 0x7fffffff, v0
	s_mov_b32 s2, 0x47800000
	v_cmp_gt_u32_e32 vcc, s2, v5
                                        ; implicit-def: $vgpr4
	s_and_saveexec_b64 s[2:3], vcc
	s_xor_b64 s[2:3], exec, s[2:3]
	s_cbranch_execz .LBB145_376
; %bb.371:
	s_mov_b32 s4, 0x387fffff
	v_cmp_lt_u32_e32 vcc, s4, v5
                                        ; implicit-def: $vgpr4
	s_and_saveexec_b64 s[4:5], vcc
	s_xor_b64 s[4:5], exec, s[4:5]
; %bb.372:
	v_bfe_u32 v4, v0, 21, 1
	s_mov_b32 s6, 0x80fffff
	v_add3_u32 v4, v0, v4, s6
	v_lshrrev_b32_e32 v4, 21, v4
; %bb.373:
	s_andn2_saveexec_b64 s[4:5], s[4:5]
; %bb.374:
	s_mov_b32 s6, 0x43000000
	v_add_f32_e64 v4, |v0|, s6
; %bb.375:
	s_or_b64 exec, exec, s[4:5]
                                        ; implicit-def: $vgpr5
.LBB145_376:
	s_andn2_saveexec_b64 s[2:3], s[2:3]
; %bb.377:
	s_mov_b32 s4, 0x7f800000
	v_mov_b32_e32 v4, 0x7c
	v_mov_b32_e32 v6, 0x7f
	v_cmp_lt_u32_e32 vcc, s4, v5
	s_nop 1
	v_cndmask_b32_e32 v4, v4, v6, vcc
; %bb.378:
	s_or_b64 exec, exec, s[2:3]
	v_lshrrev_b32_e32 v5, 24, v0
	s_movk_i32 s2, 0x80
	v_and_or_b32 v4, v5, s2, v4
	global_store_byte v[2:3], v4, off
.LBB145_379:
	s_mov_b64 s[4:5], 0
	s_mov_b64 s[2:3], -1
.LBB145_380:
	s_andn2_b64 vcc, exec, s[4:5]
	s_cbranch_vccnz .LBB145_388
; %bb.381:
	s_cmp_gt_i32 s9, 14
	s_mov_b64 s[4:5], -1
	s_cbranch_scc0 .LBB145_385
; %bb.382:
	s_cmp_eq_u32 s9, 15
	s_mov_b64 s[0:1], -1
	s_cbranch_scc0 .LBB145_384
; %bb.383:
	v_bfe_u32 v4, v0, 16, 1
	s_movk_i32 s0, 0x7fff
	v_add3_u32 v4, v0, v4, s0
	v_cmp_o_f32_e32 vcc, v0, v0
	v_mov_b32_e32 v5, 0x7fc0
	s_mov_b64 s[2:3], -1
	v_cndmask_b32_sdwa v4, v5, v4, vcc dst_sel:DWORD dst_unused:UNUSED_PAD src0_sel:DWORD src1_sel:WORD_1
	global_store_short v[2:3], v4, off
	s_mov_b64 s[0:1], 0
.LBB145_384:
	s_mov_b64 s[4:5], 0
.LBB145_385:
	s_and_b64 vcc, exec, s[4:5]
	s_cbranch_vccz .LBB145_388
; %bb.386:
	s_cmp_eq_u32 s9, 11
	s_mov_b64 s[0:1], -1
	s_cbranch_scc0 .LBB145_388
; %bb.387:
	s_brev_b32 s0, -2
	v_bitop3_b32 v4, v0, s0, v1 bitop3:0xc8
	v_cmp_ne_u32_e32 vcc, 0, v4
	s_mov_b64 s[2:3], -1
	s_mov_b64 s[0:1], 0
	v_cndmask_b32_e64 v4, 0, 1, vcc
	global_store_byte v[2:3], v4, off
.LBB145_388:
	s_mov_b64 s[4:5], 0
.LBB145_389:
	s_and_b64 vcc, exec, s[4:5]
	s_cbranch_vccz .LBB145_428
; %bb.390:
	s_and_b32 s4, 0xffff, s8
	s_cmp_lt_i32 s4, 5
	s_mov_b64 s[2:3], -1
	s_cbranch_scc1 .LBB145_411
; %bb.391:
	s_cmp_lt_i32 s4, 8
	s_cbranch_scc1 .LBB145_401
; %bb.392:
	s_cmp_lt_i32 s4, 9
	s_cbranch_scc1 .LBB145_398
; %bb.393:
	s_cmp_gt_i32 s4, 9
	s_cbranch_scc0 .LBB145_395
; %bb.394:
	v_cvt_f64_f32_e32 v[4:5], v0
	v_cvt_f64_f32_e32 v[6:7], v1
	s_mov_b64 s[2:3], 0
	global_store_dwordx4 v[2:3], v[4:7], off
.LBB145_395:
	s_andn2_b64 vcc, exec, s[2:3]
	s_cbranch_vccnz .LBB145_397
; %bb.396:
	global_store_dwordx2 v[2:3], v[0:1], off
.LBB145_397:
	s_mov_b64 s[2:3], 0
.LBB145_398:
	s_andn2_b64 vcc, exec, s[2:3]
	s_cbranch_vccnz .LBB145_400
; %bb.399:
	v_cvt_f16_f32_e32 v4, v0
	v_cvt_f16_f32_sdwa v1, v1 dst_sel:WORD_1 dst_unused:UNUSED_PAD src0_sel:DWORD
	s_nop 0
	v_or_b32_e32 v1, v1, v4
	global_store_dword v[2:3], v1, off
.LBB145_400:
	s_mov_b64 s[2:3], 0
.LBB145_401:
	s_andn2_b64 vcc, exec, s[2:3]
	s_cbranch_vccnz .LBB145_410
; %bb.402:
	s_cmp_lt_i32 s4, 6
	s_mov_b64 s[2:3], -1
	s_cbranch_scc1 .LBB145_408
; %bb.403:
	s_cmp_gt_i32 s4, 6
	s_cbranch_scc0 .LBB145_405
; %bb.404:
	v_cvt_f64_f32_e32 v[4:5], v0
	s_mov_b64 s[2:3], 0
	global_store_dwordx2 v[2:3], v[4:5], off
.LBB145_405:
	s_andn2_b64 vcc, exec, s[2:3]
	s_cbranch_vccnz .LBB145_407
; %bb.406:
	global_store_dword v[2:3], v0, off
.LBB145_407:
	s_mov_b64 s[2:3], 0
.LBB145_408:
	s_andn2_b64 vcc, exec, s[2:3]
	s_cbranch_vccnz .LBB145_410
; %bb.409:
	v_cvt_f16_f32_e32 v1, v0
	global_store_short v[2:3], v1, off
.LBB145_410:
	s_mov_b64 s[2:3], 0
.LBB145_411:
	s_andn2_b64 vcc, exec, s[2:3]
	s_cbranch_vccnz .LBB145_427
; %bb.412:
	s_cmp_lt_i32 s4, 2
	s_mov_b64 s[2:3], -1
	s_cbranch_scc1 .LBB145_422
; %bb.413:
	s_cmp_lt_i32 s4, 3
	s_cbranch_scc1 .LBB145_419
; %bb.414:
	s_cmp_gt_i32 s4, 3
	s_cbranch_scc0 .LBB145_416
; %bb.415:
	v_trunc_f32_e32 v1, v0
	s_mov_b32 s2, 0x2f800000
	v_mul_f32_e64 v4, |v1|, s2
	v_floor_f32_e32 v4, v4
	s_mov_b32 s2, 0xcf800000
	v_cvt_u32_f32_e32 v5, v4
	v_fma_f32 v4, v4, s2, |v1|
	v_cvt_u32_f32_e32 v4, v4
	v_ashrrev_i32_e32 v1, 31, v1
	v_xor_b32_e32 v5, v5, v1
	s_mov_b64 s[2:3], 0
	v_xor_b32_e32 v4, v4, v1
	v_sub_co_u32_e32 v4, vcc, v4, v1
	s_nop 1
	v_subb_co_u32_e32 v5, vcc, v5, v1, vcc
	global_store_dwordx2 v[2:3], v[4:5], off
.LBB145_416:
	s_andn2_b64 vcc, exec, s[2:3]
	s_cbranch_vccnz .LBB145_418
; %bb.417:
	v_cvt_i32_f32_e32 v1, v0
	global_store_dword v[2:3], v1, off
.LBB145_418:
	s_mov_b64 s[2:3], 0
.LBB145_419:
	s_andn2_b64 vcc, exec, s[2:3]
	s_cbranch_vccnz .LBB145_421
; %bb.420:
	v_cvt_i32_f32_e32 v1, v0
	global_store_short v[2:3], v1, off
.LBB145_421:
	s_mov_b64 s[2:3], 0
.LBB145_422:
	s_andn2_b64 vcc, exec, s[2:3]
	s_cbranch_vccnz .LBB145_427
; %bb.423:
	s_cmp_gt_i32 s4, 0
	s_mov_b64 s[2:3], -1
	s_cbranch_scc0 .LBB145_425
; %bb.424:
	v_cvt_i32_f32_e32 v1, v0
	s_mov_b64 s[2:3], 0
	global_store_byte v[2:3], v1, off
.LBB145_425:
	s_andn2_b64 vcc, exec, s[2:3]
	s_cbranch_vccnz .LBB145_427
; %bb.426:
	v_trunc_f32_e32 v0, v0
	s_mov_b32 s2, 0x2f800000
	v_mul_f32_e64 v1, |v0|, s2
	v_floor_f32_e32 v1, v1
	s_mov_b32 s2, 0xcf800000
	v_fma_f32 v1, v1, s2, |v0|
	v_cvt_u32_f32_e32 v1, v1
	v_ashrrev_i32_e32 v0, 31, v0
	v_xor_b32_e32 v1, v1, v0
	v_sub_u32_e32 v0, v1, v0
	global_store_byte v[2:3], v0, off
.LBB145_427:
	s_mov_b64 s[2:3], -1
.LBB145_428:
	s_andn2_b64 vcc, exec, s[2:3]
	s_cbranch_vccnz .LBB145_430
; %bb.429:
	v_add_u32_e32 v28, 0x80, v28
	s_mov_b64 s[2:3], -1
	s_branch .LBB145_431
.LBB145_430:
	s_mov_b64 s[2:3], 0
                                        ; implicit-def: $vgpr28
.LBB145_431:
	s_andn2_b64 s[4:5], s[62:63], exec
	s_and_b64 s[0:1], s[0:1], exec
	s_or_b64 s[68:69], s[4:5], s[0:1]
	s_orn2_b64 s[2:3], s[2:3], exec
.LBB145_432:
	s_or_b64 exec, exec, s[66:67]
	s_mov_b64 s[0:1], 0
	s_mov_b64 s[6:7], 0
                                        ; implicit-def: $sgpr10
                                        ; implicit-def: $vgpr2_vgpr3
                                        ; implicit-def: $vgpr0
	s_and_saveexec_b64 s[66:67], s[2:3]
	s_cbranch_execz .LBB145_532
; %bb.433:
	v_cmp_gt_i32_e32 vcc, s70, v28
	s_mov_b64 s[2:3], 0
	s_mov_b64 s[4:5], s[68:69]
                                        ; implicit-def: $sgpr10
                                        ; implicit-def: $vgpr2_vgpr3
                                        ; implicit-def: $vgpr0
	s_and_saveexec_b64 s[70:71], vcc
	s_cbranch_execz .LBB145_531
; %bb.434:
	s_andn2_b64 vcc, exec, s[34:35]
	s_cbranch_vccnz .LBB145_440
; %bb.435:
	s_andn2_b64 vcc, exec, s[56:57]
	s_cbranch_vccnz .LBB145_441
; %bb.436:
	s_add_i32 s74, s74, 1
	s_cmp_eq_u32 s72, 2
	s_cbranch_scc1 .LBB145_442
; %bb.437:
	s_and_b32 s22, s74, 28
	s_mov_b32 s23, 0
	v_mov_b32_e32 v26, 0
	v_mov_b32_e32 v2, 0
	s_mov_b64 s[20:21], s[26:27]
	v_mov_b32_e32 v0, v28
.LBB145_438:                            ; =>This Inner Loop Header: Depth=1
	s_load_dwordx8 s[8:15], s[20:21], 0x4
	s_load_dwordx4 s[16:19], s[20:21], 0x24
	s_load_dwordx8 s[0:7], s[54:55], 0x0
	s_add_u32 s20, s20, 48
	s_addc_u32 s21, s21, 0
	s_waitcnt lgkmcnt(0)
	v_mul_hi_u32 v1, s9, v0
	v_add_u32_e32 v1, v0, v1
	v_lshrrev_b32_e32 v1, s10, v1
	v_mul_lo_u32 v3, v1, s8
	v_mul_hi_u32 v4, s12, v1
	v_sub_u32_e32 v0, v0, v3
	v_add_u32_e32 v3, v1, v4
	v_lshrrev_b32_e32 v3, s13, v3
	v_mul_lo_u32 v5, v3, s11
	v_mul_hi_u32 v6, s15, v3
	v_sub_u32_e32 v1, v1, v5
	v_add_u32_e32 v5, v3, v6
	v_mul_lo_u32 v4, v0, s1
	v_mul_lo_u32 v0, v0, s0
	;; [unrolled: 1-line block ×4, first 2 shown]
	v_lshrrev_b32_e32 v5, s16, v5
	v_add3_u32 v1, v0, v26, v1
	v_add3_u32 v2, v4, v2, v6
	v_mul_lo_u32 v0, v5, s14
	v_mul_hi_u32 v4, s18, v5
	v_sub_u32_e32 v0, v3, v0
	v_add_u32_e32 v3, v5, v4
	v_mul_lo_u32 v4, v0, s4
	v_mul_lo_u32 v6, v0, s5
	v_lshrrev_b32_e32 v0, s19, v3
	s_add_i32 s23, s23, 4
	v_mul_lo_u32 v3, v0, s17
	s_add_u32 s54, s54, 32
	v_sub_u32_e32 v3, v5, v3
	s_addc_u32 s55, s55, 0
	v_mul_lo_u32 v5, v3, s6
	v_mul_lo_u32 v3, v3, s7
	s_cmp_eq_u32 s22, s23
	v_add3_u32 v2, v6, v2, v3
	v_add3_u32 v26, v4, v1, v5
	s_cbranch_scc0 .LBB145_438
; %bb.439:
	v_mov_b32_e32 v1, v2
	s_branch .LBB145_443
.LBB145_440:
	s_mov_b64 s[0:1], -1
                                        ; implicit-def: $vgpr2
                                        ; implicit-def: $vgpr26
	s_branch .LBB145_447
.LBB145_441:
	v_mov_b32_e32 v2, 0
	v_mov_b32_e32 v26, 0
	s_branch .LBB145_446
.LBB145_442:
	v_mov_b32_e32 v26, 0
	s_mov_b32 s22, 0
	v_mov_b32_e32 v1, v26
                                        ; implicit-def: $vgpr2
	v_mov_b32_e32 v0, v28
.LBB145_443:
	s_and_b32 s4, s74, 3
	s_cmp_eq_u32 s4, 0
	s_cbranch_scc1 .LBB145_446
; %bb.444:
	s_lshl_b32 s0, s22, 3
	s_add_u32 s0, s26, s0
	s_addc_u32 s1, s27, 0
	s_add_u32 s0, s0, 0xc4
	s_addc_u32 s1, s1, 0
	s_mul_i32 s2, s22, 12
	s_add_u32 s2, s26, s2
	s_addc_u32 s3, s27, 0
.LBB145_445:                            ; =>This Inner Loop Header: Depth=1
	s_load_dwordx2 s[6:7], s[2:3], 0x4
	s_load_dword s5, s[2:3], 0xc
	s_load_dwordx2 s[8:9], s[0:1], 0x0
	v_mov_b32_e32 v2, v1
	s_add_u32 s2, s2, 12
	s_waitcnt lgkmcnt(0)
	v_mul_hi_u32 v1, s7, v0
	v_add_u32_e32 v1, v0, v1
	v_lshrrev_b32_e32 v1, s5, v1
	s_addc_u32 s3, s3, 0
	v_mul_lo_u32 v3, v1, s6
	s_add_u32 s0, s0, 8
	v_sub_u32_e32 v4, v0, v3
	s_addc_u32 s1, s1, 0
	s_add_i32 s4, s4, -1
	v_mad_u64_u32 v[2:3], s[6:7], v4, s9, v[2:3]
	s_cmp_lg_u32 s4, 0
	v_mov_b32_e32 v0, v1
	v_mad_u64_u32 v[26:27], s[6:7], v4, s8, v[26:27]
	v_mov_b32_e32 v1, v2
	s_cbranch_scc1 .LBB145_445
.LBB145_446:
	s_mov_b64 s[0:1], 0
.LBB145_447:
	s_andn2_b64 vcc, exec, s[0:1]
	s_cbranch_vccnz .LBB145_450
; %bb.448:
	s_waitcnt lgkmcnt(0)
	v_mul_hi_u32 v0, s45, v28
	v_add_u32_e32 v0, v28, v0
	v_lshrrev_b32_e32 v0, s46, v0
	v_mul_lo_u32 v1, v0, s44
	v_sub_u32_e32 v1, v28, v1
	v_mul_lo_u32 v2, v1, s41
	s_andn2_b64 vcc, exec, s[52:53]
	v_mul_lo_u32 v26, v1, s40
	s_cbranch_vccnz .LBB145_450
; %bb.449:
	v_mul_hi_u32 v1, s50, v0
	v_add_u32_e32 v1, v0, v1
	v_lshrrev_b32_e32 v1, s51, v1
	v_mul_lo_u32 v1, v1, s47
	v_sub_u32_e32 v0, v0, v1
	v_mad_u64_u32 v[26:27], s[0:1], v0, s42, v[26:27]
	v_mad_u64_u32 v[2:3], s[0:1], v0, s43, v[2:3]
.LBB145_450:
	s_getpc_b64 s[0:1]
	s_add_u32 s0, s0, _ZN2at6native6invokeIZZZNS0_17expm1_kernel_cudaERNS_18TensorIteratorBaseEENKUlvE_clEvENKUlvE2_clEvEUlN3c107complexIfEEE_j15function_traitsIS9_EEENT1_11result_typeERKT_PrKPcPKT0_PKNS6_10ScalarTypeEi@rel32@lo+4
	s_addc_u32 s1, s1, _ZN2at6native6invokeIZZZNS0_17expm1_kernel_cudaERNS_18TensorIteratorBaseEENKUlvE_clEvENKUlvE2_clEvEUlN3c107complexIfEEE_j15function_traitsIS9_EEENT1_11result_typeERKT_PrKPcPKT0_PKNS6_10ScalarTypeEi@rel32@hi+12
	s_waitcnt lgkmcnt(0)
	v_mov_b32_e32 v0, s38
	v_mov_b32_e32 v1, s39
	v_mov_b32_e32 v3, v25
	s_swappc_b64 s[30:31], s[0:1]
	v_mov_b32_e32 v27, 0
	s_and_b32 s10, s73, 0xff
	s_cmp_lt_i32 s10, 11
	v_lshl_add_u64 v[2:3], s[36:37], 0, v[26:27]
	s_cbranch_scc1 .LBB145_457
; %bb.451:
	s_and_b32 s11, 0xffff, s10
	s_mov_b64 s[4:5], -1
	s_cmp_gt_i32 s11, 25
	s_mov_b64 s[0:1], s[68:69]
	s_cbranch_scc0 .LBB145_489
; %bb.452:
	s_mov_b64 s[2:3], -1
	s_cmp_gt_i32 s11, 28
	s_mov_b64 s[0:1], s[68:69]
	s_cbranch_scc0 .LBB145_473
; %bb.453:
	s_cmp_gt_i32 s11, 43
	s_mov_b64 s[0:1], s[68:69]
	s_cbranch_scc0 .LBB145_469
; %bb.454:
	;; [unrolled: 4-line block ×3, first 2 shown]
	s_cmp_eq_u32 s11, 46
	s_mov_b64 s[0:1], -1
	s_cbranch_scc0 .LBB145_462
; %bb.456:
	s_movk_i32 s0, 0x7fff
	v_bfe_u32 v5, v1, 16, 1
	v_add3_u32 v5, v1, v5, s0
	v_bfe_u32 v4, v0, 16, 1
	v_and_b32_e32 v5, 0xffff0000, v5
	v_mov_b32_e32 v6, 0x7fc00000
	v_cmp_o_f32_e32 vcc, v1, v1
	v_add3_u32 v4, v0, v4, s0
	s_mov_b64 s[0:1], 0
	v_cndmask_b32_e32 v5, v6, v5, vcc
	v_cmp_o_f32_e32 vcc, v0, v0
	v_mov_b32_e32 v6, 0x7fc0
	s_mov_b64 s[2:3], 0
	v_cndmask_b32_sdwa v4, v6, v4, vcc dst_sel:DWORD dst_unused:UNUSED_PAD src0_sel:DWORD src1_sel:WORD_1
	v_or_b32_e32 v4, v5, v4
	global_store_dword v[2:3], v4, off
	s_branch .LBB145_463
.LBB145_457:
	s_mov_b64 s[4:5], 0
	s_mov_b64 s[2:3], -1
	s_mov_b64 s[0:1], s[68:69]
	s_branch .LBB145_530
.LBB145_458:
	s_andn2_saveexec_b64 s[6:7], s[6:7]
	s_cbranch_execz .LBB145_341
.LBB145_459:
	s_mov_b32 s10, 0x46000000
	v_add_f32_e64 v4, |v0|, s10
	v_and_b32_e32 v4, 0xff, v4
	v_cmp_ne_u32_e32 vcc, 0, v4
	s_andn2_b64 s[4:5], s[4:5], exec
	s_and_b64 s[10:11], vcc, exec
	s_or_b64 s[4:5], s[4:5], s[10:11]
	s_or_b64 exec, exec, s[6:7]
	v_mov_b32_e32 v5, 0
	s_and_saveexec_b64 s[6:7], s[4:5]
	s_cbranch_execnz .LBB145_342
	s_branch .LBB145_343
.LBB145_460:
	s_andn2_saveexec_b64 s[6:7], s[6:7]
	s_cbranch_execz .LBB145_354
.LBB145_461:
	s_mov_b32 s10, 0x42800000
	v_add_f32_e64 v4, |v0|, s10
	v_and_b32_e32 v4, 0xff, v4
	v_cmp_ne_u32_e32 vcc, 0, v4
	s_andn2_b64 s[4:5], s[4:5], exec
	s_and_b64 s[10:11], vcc, exec
	s_or_b64 s[4:5], s[4:5], s[10:11]
	s_or_b64 exec, exec, s[6:7]
	v_mov_b32_e32 v5, 0
	s_and_saveexec_b64 s[6:7], s[4:5]
	s_cbranch_execnz .LBB145_355
	s_branch .LBB145_356
.LBB145_462:
	s_mov_b64 s[2:3], 0
.LBB145_463:
	s_and_b64 vcc, exec, s[2:3]
	s_cbranch_vccz .LBB145_468
; %bb.464:
	s_cmp_eq_u32 s11, 44
	s_mov_b64 s[0:1], -1
	s_cbranch_scc0 .LBB145_468
; %bb.465:
	v_bfe_u32 v4, v0, 23, 8
	s_movk_i32 s0, 0xff
	v_cmp_ne_u32_e32 vcc, s0, v4
	v_mov_b32_e32 v5, 0xff
	s_and_saveexec_b64 s[2:3], vcc
; %bb.466:
	s_mov_b32 s0, 0x3fffff
	v_and_b32_e32 v6, 0x400000, v0
	v_and_or_b32 v4, v0, s0, v4
	v_cmp_ne_u32_e32 vcc, 0, v6
	v_cmp_ne_u32_e64 s[0:1], 0, v4
	s_and_b64 s[0:1], vcc, s[0:1]
	v_lshrrev_b32_e32 v5, 23, v0
	v_cndmask_b32_e64 v4, 0, 1, s[0:1]
	v_add_u32_e32 v5, v5, v4
; %bb.467:
	s_or_b64 exec, exec, s[2:3]
	s_mov_b64 s[0:1], 0
	global_store_byte v[2:3], v5, off
.LBB145_468:
	s_mov_b64 s[2:3], 0
.LBB145_469:
	s_and_b64 vcc, exec, s[2:3]
	s_cbranch_vccz .LBB145_472
; %bb.470:
	s_cmp_eq_u32 s11, 29
	s_mov_b64 s[0:1], -1
	s_cbranch_scc0 .LBB145_472
; %bb.471:
	v_trunc_f32_e32 v4, v0
	v_mul_f32_e32 v5, 0x2f800000, v4
	v_floor_f32_e32 v6, v5
	v_fmamk_f32 v4, v6, 0xcf800000, v4
	v_cvt_u32_f32_e32 v5, v6
	v_cvt_u32_f32_e32 v4, v4
	s_mov_b64 s[0:1], 0
	s_mov_b64 s[2:3], 0
	global_store_dwordx2 v[2:3], v[4:5], off
	s_branch .LBB145_473
.LBB145_472:
	s_mov_b64 s[2:3], 0
.LBB145_473:
	s_and_b64 vcc, exec, s[2:3]
	s_cbranch_vccz .LBB145_488
; %bb.474:
	s_cmp_lt_i32 s11, 27
	s_mov_b64 s[2:3], -1
	s_cbranch_scc1 .LBB145_480
; %bb.475:
	v_cvt_u32_f32_e32 v4, v0
	s_cmp_gt_i32 s11, 27
	s_cbranch_scc0 .LBB145_477
; %bb.476:
	s_mov_b64 s[2:3], 0
	global_store_dword v[2:3], v4, off
.LBB145_477:
	s_andn2_b64 vcc, exec, s[2:3]
	s_cbranch_vccnz .LBB145_479
; %bb.478:
	global_store_short v[2:3], v4, off
.LBB145_479:
	s_mov_b64 s[2:3], 0
.LBB145_480:
	s_andn2_b64 vcc, exec, s[2:3]
	s_cbranch_vccnz .LBB145_488
; %bb.481:
	v_and_b32_e32 v4, 0x7fffffff, v0
	s_mov_b32 s2, 0x43800000
	v_cmp_gt_u32_e32 vcc, s2, v4
	v_mov_b32_e32 v5, 0x80
	s_and_saveexec_b64 s[2:3], vcc
	s_cbranch_execz .LBB145_487
; %bb.482:
	s_mov_b32 s4, 0x3bffffff
	v_cmp_lt_u32_e32 vcc, s4, v4
	s_mov_b64 s[4:5], 0
                                        ; implicit-def: $vgpr4
	s_and_saveexec_b64 s[6:7], vcc
	s_xor_b64 s[6:7], exec, s[6:7]
	s_cbranch_execz .LBB145_1125
; %bb.483:
	v_bfe_u32 v4, v0, 20, 1
	s_mov_b32 s8, 0x487ffff
	v_add3_u32 v4, v0, v4, s8
	s_mov_b64 s[4:5], exec
	v_lshrrev_b32_e32 v4, 20, v4
	s_andn2_saveexec_b64 s[6:7], s[6:7]
	s_cbranch_execnz .LBB145_1126
.LBB145_484:
	s_or_b64 exec, exec, s[6:7]
	v_mov_b32_e32 v5, 0
	s_and_saveexec_b64 s[6:7], s[4:5]
.LBB145_485:
	v_lshrrev_b32_e32 v5, 24, v0
	s_movk_i32 s4, 0x80
	v_and_or_b32 v5, v5, s4, v4
.LBB145_486:
	s_or_b64 exec, exec, s[6:7]
.LBB145_487:
	s_or_b64 exec, exec, s[2:3]
	global_store_byte v[2:3], v5, off
.LBB145_488:
	s_mov_b64 s[4:5], 0
.LBB145_489:
	s_mov_b64 s[2:3], 0
	s_and_b64 vcc, exec, s[4:5]
	s_cbranch_vccz .LBB145_529
; %bb.490:
	s_cmp_gt_i32 s11, 22
	s_mov_b64 s[4:5], -1
	s_cbranch_scc0 .LBB145_522
; %bb.491:
	s_cmp_lt_i32 s11, 24
	s_cbranch_scc1 .LBB145_511
; %bb.492:
	s_cmp_gt_i32 s11, 24
	s_cbranch_scc0 .LBB145_500
; %bb.493:
	v_and_b32_e32 v4, 0x7fffffff, v0
	s_mov_b32 s4, 0x47800000
	v_cmp_gt_u32_e32 vcc, s4, v4
	v_mov_b32_e32 v5, 0x80
	s_and_saveexec_b64 s[4:5], vcc
	s_cbranch_execz .LBB145_499
; %bb.494:
	s_mov_b32 s6, 0x37ffffff
	v_cmp_lt_u32_e32 vcc, s6, v4
	s_mov_b64 s[6:7], 0
                                        ; implicit-def: $vgpr4
	s_and_saveexec_b64 s[8:9], vcc
	s_xor_b64 s[8:9], exec, s[8:9]
	s_cbranch_execz .LBB145_1129
; %bb.495:
	v_bfe_u32 v4, v0, 21, 1
	s_mov_b32 s12, 0x88fffff
	v_add3_u32 v4, v0, v4, s12
	s_mov_b64 s[6:7], exec
	v_lshrrev_b32_e32 v4, 21, v4
	s_andn2_saveexec_b64 s[8:9], s[8:9]
	s_cbranch_execnz .LBB145_1130
.LBB145_496:
	s_or_b64 exec, exec, s[8:9]
	v_mov_b32_e32 v5, 0
	s_and_saveexec_b64 s[8:9], s[6:7]
.LBB145_497:
	v_lshrrev_b32_e32 v5, 24, v0
	s_movk_i32 s6, 0x80
	v_and_or_b32 v5, v5, s6, v4
.LBB145_498:
	s_or_b64 exec, exec, s[8:9]
.LBB145_499:
	s_or_b64 exec, exec, s[4:5]
	s_mov_b64 s[4:5], 0
	global_store_byte v[2:3], v5, off
.LBB145_500:
	s_and_b64 vcc, exec, s[4:5]
	s_cbranch_vccz .LBB145_510
; %bb.501:
	v_and_b32_e32 v5, 0x7fffffff, v0
	s_mov_b32 s4, 0x43f00000
	v_cmp_gt_u32_e32 vcc, s4, v5
                                        ; implicit-def: $vgpr4
	s_and_saveexec_b64 s[4:5], vcc
	s_xor_b64 s[4:5], exec, s[4:5]
	s_cbranch_execz .LBB145_507
; %bb.502:
	s_mov_b32 s6, 0x3c7fffff
	v_cmp_lt_u32_e32 vcc, s6, v5
                                        ; implicit-def: $vgpr4
	s_and_saveexec_b64 s[6:7], vcc
	s_xor_b64 s[6:7], exec, s[6:7]
; %bb.503:
	v_bfe_u32 v4, v0, 20, 1
	s_mov_b32 s8, 0x407ffff
	v_add3_u32 v4, v0, v4, s8
	v_lshrrev_b32_e32 v5, 20, v4
	v_and_b32_e32 v4, 0xff00000, v4
	s_mov_b32 s8, 0x7f00000
	v_mov_b32_e32 v6, 0x7e
	v_cmp_ne_u32_e32 vcc, s8, v4
	s_nop 1
	v_cndmask_b32_e32 v4, v6, v5, vcc
; %bb.504:
	s_andn2_saveexec_b64 s[6:7], s[6:7]
; %bb.505:
	s_mov_b32 s8, 0x46800000
	v_add_f32_e64 v4, |v0|, s8
; %bb.506:
	s_or_b64 exec, exec, s[6:7]
                                        ; implicit-def: $vgpr5
.LBB145_507:
	s_andn2_saveexec_b64 s[4:5], s[4:5]
; %bb.508:
	s_mov_b32 s6, 0x7f800000
	v_mov_b32_e32 v4, 0x7e
	v_mov_b32_e32 v6, 0x7f
	v_cmp_lt_u32_e32 vcc, s6, v5
	s_nop 1
	v_cndmask_b32_e32 v4, v4, v6, vcc
; %bb.509:
	s_or_b64 exec, exec, s[4:5]
	v_lshrrev_b32_e32 v5, 24, v0
	s_movk_i32 s4, 0x80
	v_and_or_b32 v4, v5, s4, v4
	global_store_byte v[2:3], v4, off
.LBB145_510:
	s_mov_b64 s[4:5], 0
.LBB145_511:
	s_andn2_b64 vcc, exec, s[4:5]
	s_cbranch_vccnz .LBB145_521
; %bb.512:
	v_and_b32_e32 v5, 0x7fffffff, v0
	s_mov_b32 s4, 0x47800000
	v_cmp_gt_u32_e32 vcc, s4, v5
                                        ; implicit-def: $vgpr4
	s_and_saveexec_b64 s[4:5], vcc
	s_xor_b64 s[4:5], exec, s[4:5]
	s_cbranch_execz .LBB145_518
; %bb.513:
	s_mov_b32 s6, 0x387fffff
	v_cmp_lt_u32_e32 vcc, s6, v5
                                        ; implicit-def: $vgpr4
	s_and_saveexec_b64 s[6:7], vcc
	s_xor_b64 s[6:7], exec, s[6:7]
; %bb.514:
	v_bfe_u32 v4, v0, 21, 1
	s_mov_b32 s8, 0x80fffff
	v_add3_u32 v4, v0, v4, s8
	v_lshrrev_b32_e32 v4, 21, v4
; %bb.515:
	s_andn2_saveexec_b64 s[6:7], s[6:7]
; %bb.516:
	s_mov_b32 s8, 0x43000000
	v_add_f32_e64 v4, |v0|, s8
; %bb.517:
	s_or_b64 exec, exec, s[6:7]
                                        ; implicit-def: $vgpr5
.LBB145_518:
	s_andn2_saveexec_b64 s[4:5], s[4:5]
; %bb.519:
	s_mov_b32 s6, 0x7f800000
	v_mov_b32_e32 v4, 0x7c
	v_mov_b32_e32 v6, 0x7f
	v_cmp_lt_u32_e32 vcc, s6, v5
	s_nop 1
	v_cndmask_b32_e32 v4, v4, v6, vcc
; %bb.520:
	s_or_b64 exec, exec, s[4:5]
	v_lshrrev_b32_e32 v5, 24, v0
	s_movk_i32 s4, 0x80
	v_and_or_b32 v4, v5, s4, v4
	global_store_byte v[2:3], v4, off
.LBB145_521:
	s_mov_b64 s[4:5], 0
.LBB145_522:
	s_andn2_b64 vcc, exec, s[4:5]
	s_mov_b64 s[4:5], 0
	s_cbranch_vccnz .LBB145_530
; %bb.523:
	s_cmp_gt_i32 s11, 14
	s_mov_b64 s[6:7], -1
	s_cbranch_scc0 .LBB145_527
; %bb.524:
	s_cmp_eq_u32 s11, 15
	s_mov_b64 s[0:1], -1
	s_cbranch_scc0 .LBB145_526
; %bb.525:
	v_bfe_u32 v4, v0, 16, 1
	s_movk_i32 s0, 0x7fff
	v_add3_u32 v4, v0, v4, s0
	v_cmp_o_f32_e32 vcc, v0, v0
	v_mov_b32_e32 v5, 0x7fc0
	s_mov_b64 s[0:1], 0
	v_cndmask_b32_sdwa v4, v5, v4, vcc dst_sel:DWORD dst_unused:UNUSED_PAD src0_sel:DWORD src1_sel:WORD_1
	global_store_short v[2:3], v4, off
.LBB145_526:
	s_mov_b64 s[6:7], 0
.LBB145_527:
	s_and_b64 vcc, exec, s[6:7]
	s_cbranch_vccz .LBB145_530
; %bb.528:
	s_cmp_lg_u32 s11, 11
	s_cselect_b64 s[6:7], -1, 0
	s_andn2_b64 s[0:1], s[0:1], exec
	s_and_b64 s[6:7], s[6:7], exec
	s_mov_b64 s[4:5], -1
	s_or_b64 s[0:1], s[0:1], s[6:7]
	s_branch .LBB145_530
.LBB145_529:
	s_mov_b64 s[4:5], 0
.LBB145_530:
	s_and_b64 s[6:7], s[2:3], exec
	s_and_b64 s[2:3], s[4:5], exec
	s_andn2_b64 s[4:5], s[68:69], exec
	s_and_b64 s[0:1], s[0:1], exec
	s_or_b64 s[4:5], s[4:5], s[0:1]
.LBB145_531:
	s_or_b64 exec, exec, s[70:71]
	s_and_b64 s[0:1], s[2:3], exec
	s_andn2_b64 s[2:3], s[68:69], exec
	s_and_b64 s[4:5], s[4:5], exec
	s_and_b64 s[6:7], s[6:7], exec
	s_or_b64 s[68:69], s[2:3], s[4:5]
.LBB145_532:
	s_or_b64 exec, exec, s[66:67]
	s_and_b64 s[2:3], s[6:7], exec
	s_andn2_b64 s[4:5], s[62:63], exec
	s_and_b64 s[6:7], s[68:69], exec
	s_and_b64 s[0:1], s[0:1], exec
	s_or_b64 s[62:63], s[4:5], s[6:7]
.LBB145_533:
	s_or_b64 exec, exec, s[64:65]
	s_and_b64 s[64:65], s[0:1], exec
	s_andn2_b64 s[0:1], s[58:59], exec
	s_and_b64 s[4:5], s[62:63], exec
	s_and_b64 s[2:3], s[2:3], exec
	s_or_b64 s[58:59], s[0:1], s[4:5]
	s_or_b64 exec, exec, s[60:61]
	s_mov_b64 s[0:1], 0
	s_and_saveexec_b64 s[4:5], s[58:59]
	s_cbranch_execz .LBB145_148
.LBB145_534:
	s_mov_b64 s[0:1], exec
	s_andn2_b64 s[64:65], s[64:65], exec
	s_trap 2
	s_or_b64 exec, exec, s[4:5]
	s_and_saveexec_b64 s[4:5], s[64:65]
	s_xor_b64 s[4:5], exec, s[4:5]
	s_cbranch_execnz .LBB145_149
.LBB145_535:
	s_or_b64 exec, exec, s[4:5]
	s_and_saveexec_b64 s[4:5], s[2:3]
	s_xor_b64 s[2:3], exec, s[4:5]
	s_cbranch_execz .LBB145_573
.LBB145_536:
	s_sext_i32_i16 s6, s10
	s_cmp_lt_i32 s6, 5
	s_mov_b64 s[4:5], -1
	s_cbranch_scc1 .LBB145_557
; %bb.537:
	s_cmp_lt_i32 s6, 8
	s_cbranch_scc1 .LBB145_547
; %bb.538:
	s_cmp_lt_i32 s6, 9
	s_cbranch_scc1 .LBB145_544
; %bb.539:
	s_cmp_gt_i32 s6, 9
	s_cbranch_scc0 .LBB145_541
; %bb.540:
	v_cvt_f64_f32_e32 v[4:5], v0
	v_cvt_f64_f32_e32 v[6:7], v1
	s_mov_b64 s[4:5], 0
	global_store_dwordx4 v[2:3], v[4:7], off
.LBB145_541:
	s_andn2_b64 vcc, exec, s[4:5]
	s_cbranch_vccnz .LBB145_543
; %bb.542:
	global_store_dwordx2 v[2:3], v[0:1], off
.LBB145_543:
	s_mov_b64 s[4:5], 0
.LBB145_544:
	s_andn2_b64 vcc, exec, s[4:5]
	s_cbranch_vccnz .LBB145_546
; %bb.545:
	v_cvt_f16_f32_e32 v4, v0
	v_cvt_f16_f32_sdwa v1, v1 dst_sel:WORD_1 dst_unused:UNUSED_PAD src0_sel:DWORD
	s_nop 0
	v_or_b32_e32 v1, v1, v4
	global_store_dword v[2:3], v1, off
.LBB145_546:
	s_mov_b64 s[4:5], 0
.LBB145_547:
	s_andn2_b64 vcc, exec, s[4:5]
	s_cbranch_vccnz .LBB145_556
; %bb.548:
	s_sext_i32_i16 s6, s10
	s_cmp_lt_i32 s6, 6
	s_mov_b64 s[4:5], -1
	s_cbranch_scc1 .LBB145_554
; %bb.549:
	s_cmp_gt_i32 s6, 6
	s_cbranch_scc0 .LBB145_551
; %bb.550:
	v_cvt_f64_f32_e32 v[4:5], v0
	s_mov_b64 s[4:5], 0
	global_store_dwordx2 v[2:3], v[4:5], off
.LBB145_551:
	s_andn2_b64 vcc, exec, s[4:5]
	s_cbranch_vccnz .LBB145_553
; %bb.552:
	global_store_dword v[2:3], v0, off
.LBB145_553:
	s_mov_b64 s[4:5], 0
.LBB145_554:
	s_andn2_b64 vcc, exec, s[4:5]
	s_cbranch_vccnz .LBB145_556
; %bb.555:
	v_cvt_f16_f32_e32 v1, v0
	global_store_short v[2:3], v1, off
.LBB145_556:
	s_mov_b64 s[4:5], 0
.LBB145_557:
	s_andn2_b64 vcc, exec, s[4:5]
	s_cbranch_vccnz .LBB145_573
; %bb.558:
	s_sext_i32_i16 s6, s10
	s_cmp_lt_i32 s6, 2
	s_mov_b64 s[4:5], -1
	s_cbranch_scc1 .LBB145_568
; %bb.559:
	s_cmp_lt_i32 s6, 3
	s_cbranch_scc1 .LBB145_565
; %bb.560:
	s_cmp_gt_i32 s6, 3
	s_cbranch_scc0 .LBB145_562
; %bb.561:
	v_trunc_f32_e32 v1, v0
	s_mov_b32 s4, 0x2f800000
	v_mul_f32_e64 v4, |v1|, s4
	v_floor_f32_e32 v4, v4
	s_mov_b32 s4, 0xcf800000
	v_cvt_u32_f32_e32 v5, v4
	v_fma_f32 v4, v4, s4, |v1|
	v_cvt_u32_f32_e32 v4, v4
	v_ashrrev_i32_e32 v1, 31, v1
	v_xor_b32_e32 v5, v5, v1
	s_mov_b64 s[4:5], 0
	v_xor_b32_e32 v4, v4, v1
	v_sub_co_u32_e32 v4, vcc, v4, v1
	s_nop 1
	v_subb_co_u32_e32 v5, vcc, v5, v1, vcc
	global_store_dwordx2 v[2:3], v[4:5], off
.LBB145_562:
	s_andn2_b64 vcc, exec, s[4:5]
	s_cbranch_vccnz .LBB145_564
; %bb.563:
	v_cvt_i32_f32_e32 v1, v0
	global_store_dword v[2:3], v1, off
.LBB145_564:
	s_mov_b64 s[4:5], 0
.LBB145_565:
	s_andn2_b64 vcc, exec, s[4:5]
	s_cbranch_vccnz .LBB145_567
; %bb.566:
	v_cvt_i32_f32_e32 v1, v0
	global_store_short v[2:3], v1, off
.LBB145_567:
	s_mov_b64 s[4:5], 0
.LBB145_568:
	s_andn2_b64 vcc, exec, s[4:5]
	s_cbranch_vccnz .LBB145_573
; %bb.569:
	s_sext_i32_i16 s4, s10
	s_cmp_gt_i32 s4, 0
	s_mov_b64 s[4:5], -1
	s_cbranch_scc0 .LBB145_571
; %bb.570:
	v_cvt_i32_f32_e32 v1, v0
	s_mov_b64 s[4:5], 0
	global_store_byte v[2:3], v1, off
.LBB145_571:
	s_andn2_b64 vcc, exec, s[4:5]
	s_cbranch_vccnz .LBB145_573
; %bb.572:
	v_trunc_f32_e32 v0, v0
	s_mov_b32 s4, 0x2f800000
	v_mul_f32_e64 v1, |v0|, s4
	v_floor_f32_e32 v1, v1
	s_mov_b32 s4, 0xcf800000
	v_fma_f32 v1, v1, s4, |v0|
	v_cvt_u32_f32_e32 v1, v1
	v_ashrrev_i32_e32 v0, 31, v0
	v_xor_b32_e32 v1, v1, v0
	v_sub_u32_e32 v0, v1, v0
	global_store_byte v[2:3], v0, off
.LBB145_573:
	s_or_b64 exec, exec, s[2:3]
	s_waitcnt lgkmcnt(0)
	s_and_b64 s[40:41], s[0:1], exec
                                        ; implicit-def: $vgpr4
                                        ; implicit-def: $vgpr28
.LBB145_574:
	s_or_saveexec_b64 s[42:43], s[48:49]
	s_mov_b64 s[0:1], 0
                                        ; implicit-def: $sgpr12
                                        ; implicit-def: $vgpr2_vgpr3
                                        ; implicit-def: $vgpr0
	s_xor_b64 exec, exec, s[42:43]
	s_cbranch_execz .LBB145_1063
; %bb.575:
	v_cndmask_b32_e64 v0, 0, 1, s[34:35]
	v_cmp_ne_u32_e64 s[0:1], 1, v0
	s_andn2_b64 vcc, exec, s[34:35]
	s_cbranch_vccnz .LBB145_581
; %bb.576:
	s_cmp_lg_u32 s33, 0
	s_mov_b32 s30, 0
	s_cbranch_scc0 .LBB145_582
; %bb.577:
	s_min_u32 s31, s72, 15
	s_add_i32 s31, s31, 1
	s_cmp_eq_u32 s72, 2
	s_cbranch_scc1 .LBB145_583
; %bb.578:
	s_and_b32 s30, s31, 28
	s_add_u32 s2, s26, 0xc4
	s_addc_u32 s3, s27, 0
	s_mov_b32 s34, 0
	v_mov_b32_e32 v42, 0
	v_mov_b32_e32 v2, 0
	s_mov_b64 s[28:29], s[26:27]
	v_mov_b32_e32 v0, v28
.LBB145_579:                            ; =>This Inner Loop Header: Depth=1
	s_load_dwordx8 s[12:19], s[28:29], 0x4
	s_load_dwordx4 s[20:23], s[28:29], 0x24
	s_load_dwordx8 s[4:11], s[2:3], 0x0
	s_add_u32 s28, s28, 48
	s_addc_u32 s29, s29, 0
	s_waitcnt lgkmcnt(0)
	v_mul_hi_u32 v1, s13, v0
	v_add_u32_e32 v1, v0, v1
	v_lshrrev_b32_e32 v1, s14, v1
	v_mul_lo_u32 v3, v1, s12
	v_mul_hi_u32 v5, s16, v1
	v_sub_u32_e32 v0, v0, v3
	v_add_u32_e32 v3, v1, v5
	v_lshrrev_b32_e32 v3, s17, v3
	v_mul_lo_u32 v6, v3, s15
	v_mul_hi_u32 v7, s19, v3
	v_sub_u32_e32 v1, v1, v6
	v_add_u32_e32 v6, v3, v7
	v_mul_lo_u32 v5, v0, s5
	v_mul_lo_u32 v0, v0, s4
	;; [unrolled: 1-line block ×4, first 2 shown]
	v_lshrrev_b32_e32 v6, s20, v6
	v_add3_u32 v1, v0, v42, v1
	v_add3_u32 v2, v5, v2, v7
	v_mul_lo_u32 v0, v6, s18
	v_mul_hi_u32 v5, s22, v6
	v_sub_u32_e32 v0, v3, v0
	v_add_u32_e32 v3, v6, v5
	v_mul_lo_u32 v5, v0, s8
	v_mul_lo_u32 v7, v0, s9
	v_lshrrev_b32_e32 v0, s23, v3
	s_add_i32 s34, s34, 4
	v_mul_lo_u32 v3, v0, s21
	s_add_u32 s2, s2, 32
	v_sub_u32_e32 v3, v6, v3
	s_addc_u32 s3, s3, 0
	v_mul_lo_u32 v6, v3, s10
	v_mul_lo_u32 v3, v3, s11
	s_cmp_lg_u32 s30, s34
	v_add3_u32 v2, v7, v2, v3
	v_add3_u32 v42, v5, v1, v6
	s_cbranch_scc1 .LBB145_579
; %bb.580:
	v_mov_b32_e32 v1, v2
	s_and_b32 s6, s31, 3
	s_cmp_eq_u32 s6, 0
	s_cbranch_scc0 .LBB145_584
	s_branch .LBB145_586
.LBB145_581:
                                        ; implicit-def: $vgpr2
                                        ; implicit-def: $vgpr42
	s_branch .LBB145_587
.LBB145_582:
	v_mov_b32_e32 v2, 0
	v_mov_b32_e32 v42, 0
	s_branch .LBB145_586
.LBB145_583:
	v_mov_b32_e32 v42, 0
                                        ; implicit-def: $vgpr2
	v_mov_b32_e32 v1, v42
	v_mov_b32_e32 v0, v28
	s_and_b32 s6, s31, 3
	s_cmp_eq_u32 s6, 0
	s_cbranch_scc1 .LBB145_586
.LBB145_584:
	s_lshl_b32 s2, s30, 3
	s_add_u32 s2, s26, s2
	s_addc_u32 s3, s27, 0
	s_add_u32 s2, s2, 0xc4
	s_addc_u32 s3, s3, 0
	s_mul_i32 s4, s30, 12
	s_add_u32 s4, s26, s4
	s_addc_u32 s5, s27, 0
.LBB145_585:                            ; =>This Inner Loop Header: Depth=1
	s_load_dwordx2 s[8:9], s[4:5], 0x4
	s_load_dword s7, s[4:5], 0xc
	s_load_dwordx2 s[10:11], s[2:3], 0x0
	v_mov_b32_e32 v2, v1
	s_add_u32 s4, s4, 12
	s_waitcnt lgkmcnt(0)
	v_mul_hi_u32 v1, s9, v0
	v_add_u32_e32 v1, v0, v1
	v_lshrrev_b32_e32 v1, s7, v1
	s_addc_u32 s5, s5, 0
	v_mul_lo_u32 v3, v1, s8
	s_add_u32 s2, s2, 8
	v_sub_u32_e32 v5, v0, v3
	s_addc_u32 s3, s3, 0
	s_add_i32 s6, s6, -1
	v_mad_u64_u32 v[2:3], s[8:9], v5, s11, v[2:3]
	s_cmp_lg_u32 s6, 0
	v_mov_b32_e32 v0, v1
	v_mad_u64_u32 v[42:43], s[8:9], v5, s10, v[42:43]
	v_mov_b32_e32 v1, v2
	s_cbranch_scc1 .LBB145_585
.LBB145_586:
	s_cbranch_execnz .LBB145_589
.LBB145_587:
	s_load_dwordx4 s[4:7], s[26:27], 0x4
	s_load_dwordx2 s[2:3], s[26:27], 0xc4
	s_cmp_lt_u32 s33, 2
	s_waitcnt lgkmcnt(0)
	v_mul_hi_u32 v0, s5, v28
	v_add_u32_e32 v0, v28, v0
	v_lshrrev_b32_e32 v0, s6, v0
	v_mul_lo_u32 v1, v0, s4
	v_sub_u32_e32 v1, v28, v1
	v_mul_lo_u32 v2, v1, s3
	v_mul_lo_u32 v42, v1, s2
	s_cbranch_scc1 .LBB145_589
; %bb.588:
	s_load_dwordx4 s[4:7], s[26:27], 0x10
	s_load_dwordx2 s[2:3], s[26:27], 0xcc
	s_waitcnt lgkmcnt(0)
	v_mul_hi_u32 v1, s5, v0
	v_add_u32_e32 v1, v0, v1
	v_lshrrev_b32_e32 v1, s6, v1
	v_mul_lo_u32 v1, v1, s4
	v_sub_u32_e32 v0, v0, v1
	v_mad_u64_u32 v[42:43], s[4:5], v0, s2, v[42:43]
	v_mad_u64_u32 v[2:3], s[2:3], v0, s3, v[2:3]
.LBB145_589:
	s_and_b64 vcc, exec, s[0:1]
	v_add_u32_e32 v0, 0x80, v28
	s_cbranch_vccnz .LBB145_595
; %bb.590:
	s_cmp_lg_u32 s33, 0
	s_mov_b32 s30, 0
	s_cbranch_scc0 .LBB145_596
; %bb.591:
	s_min_u32 s31, s72, 15
	s_add_i32 s31, s31, 1
	s_cmp_eq_u32 s72, 2
	s_cbranch_scc1 .LBB145_597
; %bb.592:
	s_and_b32 s30, s31, 28
	s_add_u32 s2, s26, 0xc4
	s_addc_u32 s3, s27, 0
	s_mov_b32 s34, 0
	v_mov_b32_e32 v40, 0
	v_mov_b32_e32 v26, 0
	s_mov_b64 s[28:29], s[26:27]
	v_mov_b32_e32 v3, v0
.LBB145_593:                            ; =>This Inner Loop Header: Depth=1
	s_load_dwordx8 s[12:19], s[28:29], 0x4
	s_load_dwordx4 s[20:23], s[28:29], 0x24
	s_load_dwordx8 s[4:11], s[2:3], 0x0
	s_add_u32 s28, s28, 48
	s_addc_u32 s29, s29, 0
	s_waitcnt lgkmcnt(0)
	v_mul_hi_u32 v1, s13, v3
	v_add_u32_e32 v1, v3, v1
	v_lshrrev_b32_e32 v1, s14, v1
	v_mul_lo_u32 v5, v1, s12
	v_mul_hi_u32 v6, s16, v1
	v_sub_u32_e32 v3, v3, v5
	v_add_u32_e32 v5, v1, v6
	v_lshrrev_b32_e32 v5, s17, v5
	v_mul_lo_u32 v7, v5, s15
	v_mul_hi_u32 v8, s19, v5
	v_sub_u32_e32 v1, v1, v7
	v_add_u32_e32 v7, v5, v8
	v_mul_lo_u32 v6, v3, s5
	v_mul_lo_u32 v3, v3, s4
	;; [unrolled: 1-line block ×4, first 2 shown]
	v_lshrrev_b32_e32 v7, s20, v7
	v_add3_u32 v1, v3, v40, v1
	v_add3_u32 v6, v6, v26, v8
	v_mul_lo_u32 v3, v7, s18
	v_mul_hi_u32 v8, s22, v7
	v_sub_u32_e32 v3, v5, v3
	v_add_u32_e32 v5, v7, v8
	v_mul_lo_u32 v8, v3, s8
	v_mul_lo_u32 v9, v3, s9
	v_lshrrev_b32_e32 v3, s23, v5
	s_add_i32 s34, s34, 4
	v_mul_lo_u32 v5, v3, s21
	s_add_u32 s2, s2, 32
	v_sub_u32_e32 v5, v7, v5
	s_addc_u32 s3, s3, 0
	v_mul_lo_u32 v7, v5, s10
	v_mul_lo_u32 v5, v5, s11
	s_cmp_lg_u32 s30, s34
	v_add3_u32 v26, v9, v6, v5
	v_add3_u32 v40, v8, v1, v7
	s_cbranch_scc1 .LBB145_593
; %bb.594:
	v_mov_b32_e32 v1, v26
	s_and_b32 s6, s31, 3
	s_cmp_eq_u32 s6, 0
	s_cbranch_scc0 .LBB145_598
	s_branch .LBB145_600
.LBB145_595:
                                        ; implicit-def: $vgpr26
                                        ; implicit-def: $vgpr40
	s_branch .LBB145_601
.LBB145_596:
	v_mov_b32_e32 v26, 0
	v_mov_b32_e32 v40, 0
	s_branch .LBB145_600
.LBB145_597:
	v_mov_b32_e32 v40, 0
                                        ; implicit-def: $vgpr26
	v_mov_b32_e32 v1, v40
	v_mov_b32_e32 v3, v0
	s_and_b32 s6, s31, 3
	s_cmp_eq_u32 s6, 0
	s_cbranch_scc1 .LBB145_600
.LBB145_598:
	s_lshl_b32 s2, s30, 3
	s_add_u32 s2, s26, s2
	s_addc_u32 s3, s27, 0
	s_add_u32 s2, s2, 0xc4
	s_addc_u32 s3, s3, 0
	s_mul_i32 s4, s30, 12
	s_add_u32 s4, s26, s4
	s_addc_u32 s5, s27, 0
.LBB145_599:                            ; =>This Inner Loop Header: Depth=1
	s_load_dwordx2 s[8:9], s[4:5], 0x4
	s_load_dword s7, s[4:5], 0xc
	s_load_dwordx2 s[10:11], s[2:3], 0x0
	v_mov_b32_e32 v6, v1
	s_add_u32 s4, s4, 12
	s_waitcnt lgkmcnt(0)
	v_mul_hi_u32 v1, s9, v3
	v_add_u32_e32 v1, v3, v1
	v_lshrrev_b32_e32 v1, s7, v1
	s_addc_u32 s5, s5, 0
	v_mul_lo_u32 v5, v1, s8
	s_add_u32 s2, s2, 8
	v_sub_u32_e32 v5, v3, v5
	s_addc_u32 s3, s3, 0
	s_add_i32 s6, s6, -1
	v_mad_u64_u32 v[26:27], s[8:9], v5, s11, v[6:7]
	s_cmp_lg_u32 s6, 0
	v_mov_b32_e32 v3, v1
	v_mad_u64_u32 v[40:41], s[8:9], v5, s10, v[40:41]
	v_mov_b32_e32 v1, v26
	s_cbranch_scc1 .LBB145_599
.LBB145_600:
	s_cbranch_execnz .LBB145_603
.LBB145_601:
	s_load_dwordx4 s[4:7], s[26:27], 0x4
	s_load_dwordx2 s[2:3], s[26:27], 0xc4
	s_cmp_lt_u32 s33, 2
	s_waitcnt lgkmcnt(0)
	v_mul_hi_u32 v1, s5, v0
	v_add_u32_e32 v1, v0, v1
	v_lshrrev_b32_e32 v1, s6, v1
	v_mul_lo_u32 v3, v1, s4
	v_sub_u32_e32 v0, v0, v3
	v_mul_lo_u32 v26, v0, s3
	v_mul_lo_u32 v40, v0, s2
	s_cbranch_scc1 .LBB145_603
; %bb.602:
	s_load_dwordx4 s[4:7], s[26:27], 0x10
	s_load_dwordx2 s[2:3], s[26:27], 0xcc
	s_waitcnt lgkmcnt(0)
	v_mul_hi_u32 v0, s5, v1
	v_add_u32_e32 v0, v1, v0
	v_lshrrev_b32_e32 v0, s6, v0
	v_mul_lo_u32 v0, v0, s4
	v_sub_u32_e32 v0, v1, v0
	v_mad_u64_u32 v[40:41], s[4:5], v0, s2, v[40:41]
	v_mad_u64_u32 v[26:27], s[2:3], v0, s3, v[26:27]
.LBB145_603:
	s_and_b64 vcc, exec, s[0:1]
	v_add_u32_e32 v0, 0x100, v28
	s_cbranch_vccnz .LBB145_609
; %bb.604:
	s_cmp_lg_u32 s33, 0
	s_mov_b32 s30, 0
	s_cbranch_scc0 .LBB145_610
; %bb.605:
	s_min_u32 s31, s72, 15
	s_add_i32 s31, s31, 1
	s_cmp_eq_u32 s72, 2
	s_cbranch_scc1 .LBB145_611
; %bb.606:
	s_and_b32 s30, s31, 28
	s_add_u32 s2, s26, 0xc4
	s_addc_u32 s3, s27, 0
	s_mov_b32 s34, 0
	v_mov_b32_e32 v38, 0
	v_mov_b32_e32 v32, 0
	s_mov_b64 s[28:29], s[26:27]
	v_mov_b32_e32 v3, v0
.LBB145_607:                            ; =>This Inner Loop Header: Depth=1
	s_load_dwordx8 s[12:19], s[28:29], 0x4
	s_load_dwordx4 s[20:23], s[28:29], 0x24
	s_load_dwordx8 s[4:11], s[2:3], 0x0
	s_add_u32 s28, s28, 48
	s_addc_u32 s29, s29, 0
	s_waitcnt lgkmcnt(0)
	v_mul_hi_u32 v1, s13, v3
	v_add_u32_e32 v1, v3, v1
	v_lshrrev_b32_e32 v1, s14, v1
	v_mul_lo_u32 v5, v1, s12
	v_mul_hi_u32 v6, s16, v1
	v_sub_u32_e32 v3, v3, v5
	v_add_u32_e32 v5, v1, v6
	v_lshrrev_b32_e32 v5, s17, v5
	v_mul_lo_u32 v7, v5, s15
	v_mul_hi_u32 v8, s19, v5
	v_sub_u32_e32 v1, v1, v7
	v_add_u32_e32 v7, v5, v8
	v_mul_lo_u32 v6, v3, s5
	v_mul_lo_u32 v3, v3, s4
	;; [unrolled: 1-line block ×4, first 2 shown]
	v_lshrrev_b32_e32 v7, s20, v7
	v_add3_u32 v1, v3, v38, v1
	v_add3_u32 v6, v6, v32, v8
	v_mul_lo_u32 v3, v7, s18
	v_mul_hi_u32 v8, s22, v7
	v_sub_u32_e32 v3, v5, v3
	v_add_u32_e32 v5, v7, v8
	v_mul_lo_u32 v8, v3, s8
	v_mul_lo_u32 v9, v3, s9
	v_lshrrev_b32_e32 v3, s23, v5
	s_add_i32 s34, s34, 4
	v_mul_lo_u32 v5, v3, s21
	s_add_u32 s2, s2, 32
	v_sub_u32_e32 v5, v7, v5
	s_addc_u32 s3, s3, 0
	v_mul_lo_u32 v7, v5, s10
	v_mul_lo_u32 v5, v5, s11
	s_cmp_lg_u32 s30, s34
	v_add3_u32 v32, v9, v6, v5
	v_add3_u32 v38, v8, v1, v7
	s_cbranch_scc1 .LBB145_607
; %bb.608:
	v_mov_b32_e32 v1, v32
	s_and_b32 s6, s31, 3
	s_cmp_eq_u32 s6, 0
	s_cbranch_scc0 .LBB145_612
	s_branch .LBB145_614
.LBB145_609:
                                        ; implicit-def: $vgpr32
                                        ; implicit-def: $vgpr38
	s_branch .LBB145_615
.LBB145_610:
	v_mov_b32_e32 v32, 0
	v_mov_b32_e32 v38, 0
	s_branch .LBB145_614
.LBB145_611:
	v_mov_b32_e32 v38, 0
                                        ; implicit-def: $vgpr32
	v_mov_b32_e32 v1, v38
	v_mov_b32_e32 v3, v0
	s_and_b32 s6, s31, 3
	s_cmp_eq_u32 s6, 0
	s_cbranch_scc1 .LBB145_614
.LBB145_612:
	s_lshl_b32 s2, s30, 3
	s_add_u32 s2, s26, s2
	s_addc_u32 s3, s27, 0
	s_add_u32 s2, s2, 0xc4
	s_addc_u32 s3, s3, 0
	s_mul_i32 s4, s30, 12
	s_add_u32 s4, s26, s4
	s_addc_u32 s5, s27, 0
.LBB145_613:                            ; =>This Inner Loop Header: Depth=1
	s_load_dwordx2 s[8:9], s[4:5], 0x4
	s_load_dword s7, s[4:5], 0xc
	s_load_dwordx2 s[10:11], s[2:3], 0x0
	v_mov_b32_e32 v6, v1
	s_add_u32 s4, s4, 12
	s_waitcnt lgkmcnt(0)
	v_mul_hi_u32 v1, s9, v3
	v_add_u32_e32 v1, v3, v1
	v_lshrrev_b32_e32 v1, s7, v1
	s_addc_u32 s5, s5, 0
	v_mul_lo_u32 v5, v1, s8
	s_add_u32 s2, s2, 8
	v_sub_u32_e32 v5, v3, v5
	s_addc_u32 s3, s3, 0
	s_add_i32 s6, s6, -1
	v_mad_u64_u32 v[32:33], s[8:9], v5, s11, v[6:7]
	s_cmp_lg_u32 s6, 0
	v_mov_b32_e32 v3, v1
	v_mad_u64_u32 v[38:39], s[8:9], v5, s10, v[38:39]
	v_mov_b32_e32 v1, v32
	s_cbranch_scc1 .LBB145_613
.LBB145_614:
	s_cbranch_execnz .LBB145_617
.LBB145_615:
	s_load_dwordx4 s[4:7], s[26:27], 0x4
	s_load_dwordx2 s[2:3], s[26:27], 0xc4
	s_cmp_lt_u32 s33, 2
	s_waitcnt lgkmcnt(0)
	v_mul_hi_u32 v1, s5, v0
	v_add_u32_e32 v1, v0, v1
	v_lshrrev_b32_e32 v1, s6, v1
	v_mul_lo_u32 v3, v1, s4
	v_sub_u32_e32 v0, v0, v3
	v_mul_lo_u32 v32, v0, s3
	v_mul_lo_u32 v38, v0, s2
	s_cbranch_scc1 .LBB145_617
; %bb.616:
	s_load_dwordx4 s[4:7], s[26:27], 0x10
	s_load_dwordx2 s[2:3], s[26:27], 0xcc
	s_waitcnt lgkmcnt(0)
	v_mul_hi_u32 v0, s5, v1
	v_add_u32_e32 v0, v1, v0
	v_lshrrev_b32_e32 v0, s6, v0
	v_mul_lo_u32 v0, v0, s4
	v_sub_u32_e32 v0, v1, v0
	v_mad_u64_u32 v[38:39], s[4:5], v0, s2, v[38:39]
	v_mad_u64_u32 v[32:33], s[2:3], v0, s3, v[32:33]
.LBB145_617:
	s_and_b64 vcc, exec, s[0:1]
	s_cbranch_vccnz .LBB145_623
; %bb.618:
	s_cmp_lg_u32 s33, 0
	s_mov_b32 s28, 0
	s_cbranch_scc0 .LBB145_624
; %bb.619:
	s_min_u32 s29, s72, 15
	s_add_i32 s29, s29, 1
	s_cmp_eq_u32 s72, 2
	s_cbranch_scc1 .LBB145_625
; %bb.620:
	s_and_b32 s28, s29, 28
	s_add_u32 s20, s26, 0xc4
	s_addc_u32 s21, s27, 0
	s_mov_b32 s30, 0
	v_mov_b32_e32 v36, 0
	v_mov_b32_e32 v34, 0
	s_mov_b64 s[22:23], s[26:27]
	v_mov_b32_e32 v0, v4
.LBB145_621:                            ; =>This Inner Loop Header: Depth=1
	s_load_dwordx8 s[8:15], s[22:23], 0x4
	s_load_dwordx4 s[16:19], s[22:23], 0x24
	s_load_dwordx8 s[0:7], s[20:21], 0x0
	s_add_u32 s22, s22, 48
	s_addc_u32 s23, s23, 0
	s_waitcnt lgkmcnt(0)
	v_mul_hi_u32 v1, s9, v0
	v_add_u32_e32 v1, v0, v1
	v_lshrrev_b32_e32 v1, s10, v1
	v_mul_lo_u32 v3, v1, s8
	v_mul_hi_u32 v5, s12, v1
	v_sub_u32_e32 v0, v0, v3
	v_add_u32_e32 v3, v1, v5
	v_lshrrev_b32_e32 v3, s13, v3
	v_mul_lo_u32 v6, v3, s11
	v_mul_hi_u32 v7, s15, v3
	v_sub_u32_e32 v1, v1, v6
	v_add_u32_e32 v6, v3, v7
	v_mul_lo_u32 v5, v0, s1
	v_mul_lo_u32 v0, v0, s0
	;; [unrolled: 1-line block ×4, first 2 shown]
	v_lshrrev_b32_e32 v6, s16, v6
	v_add3_u32 v1, v0, v36, v1
	v_add3_u32 v5, v5, v34, v7
	v_mul_lo_u32 v0, v6, s14
	v_mul_hi_u32 v7, s18, v6
	v_sub_u32_e32 v0, v3, v0
	v_add_u32_e32 v3, v6, v7
	v_mul_lo_u32 v7, v0, s4
	v_mul_lo_u32 v8, v0, s5
	v_lshrrev_b32_e32 v0, s19, v3
	s_add_i32 s30, s30, 4
	v_mul_lo_u32 v3, v0, s17
	s_add_u32 s20, s20, 32
	v_sub_u32_e32 v3, v6, v3
	s_addc_u32 s21, s21, 0
	v_mul_lo_u32 v6, v3, s6
	v_mul_lo_u32 v3, v3, s7
	s_cmp_lg_u32 s28, s30
	v_add3_u32 v34, v8, v5, v3
	v_add3_u32 v36, v7, v1, v6
	s_cbranch_scc1 .LBB145_621
; %bb.622:
	v_mov_b32_e32 v1, v34
	s_and_b32 s4, s29, 3
	s_cmp_eq_u32 s4, 0
	s_cbranch_scc0 .LBB145_626
	s_branch .LBB145_628
.LBB145_623:
                                        ; implicit-def: $vgpr34
                                        ; implicit-def: $vgpr36
	s_branch .LBB145_629
.LBB145_624:
	v_mov_b32_e32 v34, 0
	v_mov_b32_e32 v36, 0
	s_branch .LBB145_628
.LBB145_625:
	v_mov_b32_e32 v36, 0
                                        ; implicit-def: $vgpr34
	v_mov_b32_e32 v1, v36
	v_mov_b32_e32 v0, v4
	s_and_b32 s4, s29, 3
	s_cmp_eq_u32 s4, 0
	s_cbranch_scc1 .LBB145_628
.LBB145_626:
	s_lshl_b32 s0, s28, 3
	s_add_u32 s0, s26, s0
	s_addc_u32 s1, s27, 0
	s_add_u32 s0, s0, 0xc4
	s_addc_u32 s1, s1, 0
	s_mul_i32 s2, s28, 12
	s_add_u32 s2, s26, s2
	s_addc_u32 s3, s27, 0
.LBB145_627:                            ; =>This Inner Loop Header: Depth=1
	s_load_dwordx2 s[6:7], s[2:3], 0x4
	s_load_dword s5, s[2:3], 0xc
	s_load_dwordx2 s[8:9], s[0:1], 0x0
	v_mov_b32_e32 v6, v1
	s_add_u32 s2, s2, 12
	s_waitcnt lgkmcnt(0)
	v_mul_hi_u32 v1, s7, v0
	v_add_u32_e32 v1, v0, v1
	v_lshrrev_b32_e32 v1, s5, v1
	s_addc_u32 s3, s3, 0
	v_mul_lo_u32 v3, v1, s6
	s_add_u32 s0, s0, 8
	v_sub_u32_e32 v3, v0, v3
	s_addc_u32 s1, s1, 0
	s_add_i32 s4, s4, -1
	v_mad_u64_u32 v[34:35], s[6:7], v3, s9, v[6:7]
	s_cmp_lg_u32 s4, 0
	v_mov_b32_e32 v0, v1
	v_mad_u64_u32 v[36:37], s[6:7], v3, s8, v[36:37]
	v_mov_b32_e32 v1, v34
	s_cbranch_scc1 .LBB145_627
.LBB145_628:
	s_cbranch_execnz .LBB145_631
.LBB145_629:
	s_load_dwordx4 s[0:3], s[26:27], 0x4
	s_load_dwordx2 s[4:5], s[26:27], 0xc4
	s_cmp_lt_u32 s33, 2
	s_waitcnt lgkmcnt(0)
	v_mul_hi_u32 v0, s1, v4
	v_add_u32_e32 v0, v4, v0
	v_lshrrev_b32_e32 v0, s2, v0
	v_mul_lo_u32 v1, v0, s0
	v_sub_u32_e32 v1, v4, v1
	v_mul_lo_u32 v34, v1, s5
	v_mul_lo_u32 v36, v1, s4
	s_cbranch_scc1 .LBB145_631
; %bb.630:
	s_load_dwordx4 s[0:3], s[26:27], 0x10
	s_load_dwordx2 s[4:5], s[26:27], 0xcc
	s_waitcnt lgkmcnt(0)
	v_mul_hi_u32 v1, s1, v0
	v_add_u32_e32 v1, v0, v1
	v_lshrrev_b32_e32 v1, s2, v1
	v_mul_lo_u32 v1, v1, s0
	v_sub_u32_e32 v0, v0, v1
	v_mad_u64_u32 v[36:37], s[0:1], v0, s4, v[36:37]
	v_mad_u64_u32 v[34:35], s[0:1], v0, s5, v[34:35]
.LBB145_631:
	s_load_dword s28, s[24:25], 0x160
	s_load_dwordx4 s[36:39], s[26:27], 0x148
	s_getpc_b64 s[24:25]
	s_add_u32 s24, s24, _ZN2at6native6invokeIZZZNS0_17expm1_kernel_cudaERNS_18TensorIteratorBaseEENKUlvE_clEvENKUlvE2_clEvEUlN3c107complexIfEEE_j15function_traitsIS9_EEENT1_11result_typeERKT_PrKPcPKT0_PKNS6_10ScalarTypeEi@rel32@lo+4
	s_addc_u32 s25, s25, _ZN2at6native6invokeIZZZNS0_17expm1_kernel_cudaERNS_18TensorIteratorBaseEENKUlvE_clEvENKUlvE2_clEvEUlN3c107complexIfEEE_j15function_traitsIS9_EEENT1_11result_typeERKT_PrKPcPKT0_PKNS6_10ScalarTypeEi@rel32@hi+12
	s_waitcnt lgkmcnt(0)
	s_lshr_b32 s26, s28, 16
	v_mov_b32_e32 v0, s38
	v_mov_b32_e32 v1, s39
	v_mov_b32_e32 v3, s26
	s_swappc_b64 s[30:31], s[24:25]
	v_mov_b32_e32 v30, v0
	v_mov_b32_e32 v31, v1
	v_mov_b32_e32 v0, s38
	v_mov_b32_e32 v1, s39
	v_mov_b32_e32 v2, v26
	v_mov_b32_e32 v3, s26
	s_swappc_b64 s[30:31], s[24:25]
	v_mov_b32_e32 v28, v0
	v_mov_b32_e32 v29, v1
	v_mov_b32_e32 v0, s38
	;; [unrolled: 7-line block ×3, first 2 shown]
	v_mov_b32_e32 v1, s39
	v_mov_b32_e32 v2, v34
	;; [unrolled: 1-line block ×3, first 2 shown]
	s_swappc_b64 s[30:31], s[24:25]
	v_mov_b32_e32 v43, 0
	s_bfe_u32 s10, s28, 0x80008
	s_cmp_lt_i32 s10, 11
	v_lshl_add_u64 v[2:3], s[36:37], 0, v[42:43]
	s_cbranch_scc1 .LBB145_710
; %bb.632:
	s_and_b32 s11, 0xffff, s10
	s_mov_b64 s[2:3], -1
	s_mov_b64 s[4:5], 0
	s_cmp_gt_i32 s11, 25
	s_mov_b64 s[6:7], 0
	s_mov_b64 s[0:1], 0
	s_cbranch_scc0 .LBB145_665
; %bb.633:
	s_cmp_gt_i32 s11, 28
	s_cbranch_scc0 .LBB145_648
; %bb.634:
	s_cmp_gt_i32 s11, 43
	s_cbranch_scc0 .LBB145_644
; %bb.635:
	s_cmp_gt_i32 s11, 45
	s_cbranch_scc0 .LBB145_638
; %bb.636:
	s_mov_b64 s[0:1], -1
	s_mov_b64 s[2:3], 0
	s_cmp_eq_u32 s11, 46
	s_cbranch_scc0 .LBB145_638
; %bb.637:
	s_movk_i32 s0, 0x7fff
	v_bfe_u32 v5, v31, 16, 1
	v_add3_u32 v5, v31, v5, s0
	v_bfe_u32 v4, v30, 16, 1
	v_and_b32_e32 v5, 0xffff0000, v5
	v_mov_b32_e32 v6, 0x7fc00000
	v_cmp_o_f32_e32 vcc, v31, v31
	v_add3_u32 v4, v30, v4, s0
	s_mov_b64 s[0:1], 0
	v_cndmask_b32_e32 v5, v6, v5, vcc
	v_cmp_o_f32_e32 vcc, v30, v30
	v_mov_b32_e32 v6, 0x7fc0
	s_mov_b64 s[6:7], -1
	v_cndmask_b32_sdwa v4, v6, v4, vcc dst_sel:DWORD dst_unused:UNUSED_PAD src0_sel:DWORD src1_sel:WORD_1
	v_or_b32_e32 v4, v5, v4
	global_store_dword v[2:3], v4, off
.LBB145_638:
	s_and_b64 vcc, exec, s[2:3]
	s_cbranch_vccz .LBB145_643
; %bb.639:
	s_cmp_eq_u32 s11, 44
	s_mov_b64 s[0:1], -1
	s_cbranch_scc0 .LBB145_643
; %bb.640:
	v_bfe_u32 v4, v30, 23, 8
	s_movk_i32 s0, 0xff
	v_cmp_ne_u32_e32 vcc, s0, v4
	v_mov_b32_e32 v5, 0xff
	s_and_saveexec_b64 s[2:3], vcc
; %bb.641:
	s_mov_b32 s0, 0x3fffff
	v_and_b32_e32 v6, 0x400000, v30
	v_and_or_b32 v4, v30, s0, v4
	v_cmp_ne_u32_e32 vcc, 0, v6
	v_cmp_ne_u32_e64 s[0:1], 0, v4
	s_and_b64 s[0:1], vcc, s[0:1]
	v_lshrrev_b32_e32 v5, 23, v30
	v_cndmask_b32_e64 v4, 0, 1, s[0:1]
	v_add_u32_e32 v5, v5, v4
; %bb.642:
	s_or_b64 exec, exec, s[2:3]
	s_mov_b64 s[0:1], 0
	s_mov_b64 s[6:7], -1
	global_store_byte v[2:3], v5, off
.LBB145_643:
	s_mov_b64 s[2:3], 0
.LBB145_644:
	s_and_b64 vcc, exec, s[2:3]
	s_cbranch_vccz .LBB145_647
; %bb.645:
	s_cmp_eq_u32 s11, 29
	s_mov_b64 s[0:1], -1
	s_cbranch_scc0 .LBB145_647
; %bb.646:
	v_trunc_f32_e32 v4, v30
	v_mul_f32_e32 v5, 0x2f800000, v4
	v_floor_f32_e32 v6, v5
	v_fmamk_f32 v4, v6, 0xcf800000, v4
	v_cvt_u32_f32_e32 v5, v6
	v_cvt_u32_f32_e32 v4, v4
	s_mov_b64 s[0:1], 0
	s_mov_b64 s[6:7], -1
	global_store_dwordx2 v[2:3], v[4:5], off
.LBB145_647:
	s_mov_b64 s[2:3], 0
.LBB145_648:
	s_and_b64 vcc, exec, s[2:3]
	s_cbranch_vccz .LBB145_664
; %bb.649:
	s_cmp_lt_i32 s11, 27
	s_mov_b64 s[2:3], -1
	s_cbranch_scc1 .LBB145_655
; %bb.650:
	s_cmp_gt_i32 s11, 27
	s_cbranch_scc0 .LBB145_652
; %bb.651:
	v_cvt_u32_f32_e32 v4, v30
	s_mov_b64 s[2:3], 0
	global_store_dword v[2:3], v4, off
.LBB145_652:
	s_andn2_b64 vcc, exec, s[2:3]
	s_cbranch_vccnz .LBB145_654
; %bb.653:
	v_cvt_u32_f32_e32 v4, v30
	global_store_short v[2:3], v4, off
.LBB145_654:
	s_mov_b64 s[2:3], 0
.LBB145_655:
	s_andn2_b64 vcc, exec, s[2:3]
	s_cbranch_vccnz .LBB145_663
; %bb.656:
	v_and_b32_e32 v4, 0x7fffffff, v30
	s_mov_b32 s2, 0x43800000
	v_cmp_gt_u32_e32 vcc, s2, v4
	v_mov_b32_e32 v5, 0x80
	s_and_saveexec_b64 s[2:3], vcc
	s_cbranch_execz .LBB145_662
; %bb.657:
	s_mov_b32 s6, 0x3bffffff
	v_cmp_lt_u32_e32 vcc, s6, v4
	s_mov_b64 s[6:7], 0
                                        ; implicit-def: $vgpr4
	s_and_saveexec_b64 s[8:9], vcc
	s_xor_b64 s[8:9], exec, s[8:9]
	s_cbranch_execz .LBB145_1107
; %bb.658:
	v_bfe_u32 v4, v30, 20, 1
	s_mov_b32 s12, 0x487ffff
	v_add3_u32 v4, v30, v4, s12
	s_mov_b64 s[6:7], exec
	v_lshrrev_b32_e32 v4, 20, v4
	s_andn2_saveexec_b64 s[8:9], s[8:9]
	s_cbranch_execnz .LBB145_1108
.LBB145_659:
	s_or_b64 exec, exec, s[8:9]
	v_mov_b32_e32 v5, 0
	s_and_saveexec_b64 s[8:9], s[6:7]
.LBB145_660:
	v_lshrrev_b32_e32 v5, 24, v30
	s_movk_i32 s6, 0x80
	v_and_or_b32 v5, v5, s6, v4
.LBB145_661:
	s_or_b64 exec, exec, s[8:9]
.LBB145_662:
	s_or_b64 exec, exec, s[2:3]
	global_store_byte v[2:3], v5, off
.LBB145_663:
	s_mov_b64 s[6:7], -1
.LBB145_664:
	s_mov_b64 s[2:3], 0
.LBB145_665:
	s_and_b64 vcc, exec, s[2:3]
	s_cbranch_vccz .LBB145_705
; %bb.666:
	s_cmp_gt_i32 s11, 22
	s_mov_b64 s[2:3], -1
	s_cbranch_scc0 .LBB145_698
; %bb.667:
	s_cmp_lt_i32 s11, 24
	s_cbranch_scc1 .LBB145_687
; %bb.668:
	s_cmp_gt_i32 s11, 24
	s_cbranch_scc0 .LBB145_676
; %bb.669:
	v_and_b32_e32 v4, 0x7fffffff, v30
	s_mov_b32 s2, 0x47800000
	v_cmp_gt_u32_e32 vcc, s2, v4
	v_mov_b32_e32 v5, 0x80
	s_and_saveexec_b64 s[2:3], vcc
	s_cbranch_execz .LBB145_675
; %bb.670:
	s_mov_b32 s4, 0x37ffffff
	v_cmp_lt_u32_e32 vcc, s4, v4
	s_mov_b64 s[4:5], 0
                                        ; implicit-def: $vgpr4
	s_and_saveexec_b64 s[6:7], vcc
	s_xor_b64 s[6:7], exec, s[6:7]
	s_cbranch_execz .LBB145_1110
; %bb.671:
	v_bfe_u32 v4, v30, 21, 1
	s_mov_b32 s8, 0x88fffff
	v_add3_u32 v4, v30, v4, s8
	s_mov_b64 s[4:5], exec
	v_lshrrev_b32_e32 v4, 21, v4
	s_andn2_saveexec_b64 s[6:7], s[6:7]
	s_cbranch_execnz .LBB145_1111
.LBB145_672:
	s_or_b64 exec, exec, s[6:7]
	v_mov_b32_e32 v5, 0
	s_and_saveexec_b64 s[6:7], s[4:5]
.LBB145_673:
	v_lshrrev_b32_e32 v5, 24, v30
	s_movk_i32 s4, 0x80
	v_and_or_b32 v5, v5, s4, v4
.LBB145_674:
	s_or_b64 exec, exec, s[6:7]
.LBB145_675:
	s_or_b64 exec, exec, s[2:3]
	s_mov_b64 s[2:3], 0
	global_store_byte v[2:3], v5, off
.LBB145_676:
	s_and_b64 vcc, exec, s[2:3]
	s_cbranch_vccz .LBB145_686
; %bb.677:
	v_and_b32_e32 v5, 0x7fffffff, v30
	s_mov_b32 s2, 0x43f00000
	v_cmp_gt_u32_e32 vcc, s2, v5
                                        ; implicit-def: $vgpr4
	s_and_saveexec_b64 s[2:3], vcc
	s_xor_b64 s[2:3], exec, s[2:3]
	s_cbranch_execz .LBB145_683
; %bb.678:
	s_mov_b32 s4, 0x3c7fffff
	v_cmp_lt_u32_e32 vcc, s4, v5
                                        ; implicit-def: $vgpr4
	s_and_saveexec_b64 s[4:5], vcc
	s_xor_b64 s[4:5], exec, s[4:5]
; %bb.679:
	v_bfe_u32 v4, v30, 20, 1
	s_mov_b32 s6, 0x407ffff
	v_add3_u32 v4, v30, v4, s6
	v_lshrrev_b32_e32 v5, 20, v4
	v_and_b32_e32 v4, 0xff00000, v4
	s_mov_b32 s6, 0x7f00000
	v_mov_b32_e32 v6, 0x7e
	v_cmp_ne_u32_e32 vcc, s6, v4
	s_nop 1
	v_cndmask_b32_e32 v4, v6, v5, vcc
; %bb.680:
	s_andn2_saveexec_b64 s[4:5], s[4:5]
; %bb.681:
	s_mov_b32 s6, 0x46800000
	v_add_f32_e64 v4, |v30|, s6
; %bb.682:
	s_or_b64 exec, exec, s[4:5]
                                        ; implicit-def: $vgpr5
.LBB145_683:
	s_andn2_saveexec_b64 s[2:3], s[2:3]
; %bb.684:
	s_mov_b32 s4, 0x7f800000
	v_mov_b32_e32 v4, 0x7e
	v_mov_b32_e32 v6, 0x7f
	v_cmp_lt_u32_e32 vcc, s4, v5
	s_nop 1
	v_cndmask_b32_e32 v4, v4, v6, vcc
; %bb.685:
	s_or_b64 exec, exec, s[2:3]
	v_lshrrev_b32_e32 v5, 24, v30
	s_movk_i32 s2, 0x80
	v_and_or_b32 v4, v5, s2, v4
	global_store_byte v[2:3], v4, off
.LBB145_686:
	s_mov_b64 s[2:3], 0
.LBB145_687:
	s_andn2_b64 vcc, exec, s[2:3]
	s_cbranch_vccnz .LBB145_697
; %bb.688:
	v_and_b32_e32 v5, 0x7fffffff, v30
	s_mov_b32 s2, 0x47800000
	v_cmp_gt_u32_e32 vcc, s2, v5
                                        ; implicit-def: $vgpr4
	s_and_saveexec_b64 s[2:3], vcc
	s_xor_b64 s[2:3], exec, s[2:3]
	s_cbranch_execz .LBB145_694
; %bb.689:
	s_mov_b32 s4, 0x387fffff
	v_cmp_lt_u32_e32 vcc, s4, v5
                                        ; implicit-def: $vgpr4
	s_and_saveexec_b64 s[4:5], vcc
	s_xor_b64 s[4:5], exec, s[4:5]
; %bb.690:
	v_bfe_u32 v4, v30, 21, 1
	s_mov_b32 s6, 0x80fffff
	v_add3_u32 v4, v30, v4, s6
	v_lshrrev_b32_e32 v4, 21, v4
; %bb.691:
	s_andn2_saveexec_b64 s[4:5], s[4:5]
; %bb.692:
	s_mov_b32 s6, 0x43000000
	v_add_f32_e64 v4, |v30|, s6
; %bb.693:
	s_or_b64 exec, exec, s[4:5]
                                        ; implicit-def: $vgpr5
.LBB145_694:
	s_andn2_saveexec_b64 s[2:3], s[2:3]
; %bb.695:
	s_mov_b32 s4, 0x7f800000
	v_mov_b32_e32 v4, 0x7c
	v_mov_b32_e32 v6, 0x7f
	v_cmp_lt_u32_e32 vcc, s4, v5
	s_nop 1
	v_cndmask_b32_e32 v4, v4, v6, vcc
; %bb.696:
	s_or_b64 exec, exec, s[2:3]
	v_lshrrev_b32_e32 v5, 24, v30
	s_movk_i32 s2, 0x80
	v_and_or_b32 v4, v5, s2, v4
	global_store_byte v[2:3], v4, off
.LBB145_697:
	s_mov_b64 s[2:3], 0
	s_mov_b64 s[6:7], -1
.LBB145_698:
	s_andn2_b64 vcc, exec, s[2:3]
	s_mov_b64 s[4:5], 0
	s_cbranch_vccnz .LBB145_705
; %bb.699:
	s_cmp_gt_i32 s11, 14
	s_mov_b64 s[2:3], -1
	s_cbranch_scc0 .LBB145_703
; %bb.700:
	s_cmp_eq_u32 s11, 15
	s_mov_b64 s[0:1], -1
	s_cbranch_scc0 .LBB145_702
; %bb.701:
	v_bfe_u32 v4, v30, 16, 1
	s_movk_i32 s0, 0x7fff
	v_add3_u32 v4, v30, v4, s0
	v_cmp_o_f32_e32 vcc, v30, v30
	v_mov_b32_e32 v5, 0x7fc0
	s_mov_b64 s[0:1], 0
	v_cndmask_b32_sdwa v4, v5, v4, vcc dst_sel:DWORD dst_unused:UNUSED_PAD src0_sel:DWORD src1_sel:WORD_1
	global_store_short v[2:3], v4, off
	s_mov_b64 s[6:7], -1
.LBB145_702:
	s_mov_b64 s[2:3], 0
.LBB145_703:
	s_and_b64 vcc, exec, s[2:3]
	s_cbranch_vccz .LBB145_705
; %bb.704:
	s_cmp_lg_u32 s11, 11
	s_mov_b64 s[4:5], -1
	s_cselect_b64 s[0:1], -1, 0
.LBB145_705:
	s_and_b64 vcc, exec, s[0:1]
	s_mov_b64 s[2:3], s[40:41]
	s_cbranch_vccnz .LBB145_1109
; %bb.706:
	s_andn2_b64 vcc, exec, s[4:5]
	s_cbranch_vccnz .LBB145_708
.LBB145_707:
	s_brev_b32 s0, -2
	v_bitop3_b32 v4, v30, s0, v31 bitop3:0xc8
	v_cmp_ne_u32_e32 vcc, 0, v4
	s_mov_b64 s[6:7], -1
	s_nop 0
	v_cndmask_b32_e64 v4, 0, 1, vcc
	global_store_byte v[2:3], v4, off
.LBB145_708:
.LBB145_709:
	s_andn2_b64 vcc, exec, s[6:7]
	s_cbranch_vccz .LBB145_749
	s_branch .LBB145_1061
.LBB145_710:
	s_mov_b64 s[6:7], 0
	s_mov_b64 s[2:3], s[40:41]
	s_cbranch_execz .LBB145_709
; %bb.711:
	s_and_b32 s4, 0xffff, s10
	s_cmp_lt_i32 s4, 5
	s_mov_b64 s[0:1], -1
	s_cbranch_scc1 .LBB145_732
; %bb.712:
	s_cmp_lt_i32 s4, 8
	s_cbranch_scc1 .LBB145_722
; %bb.713:
	s_cmp_lt_i32 s4, 9
	s_cbranch_scc1 .LBB145_719
; %bb.714:
	s_cmp_gt_i32 s4, 9
	s_cbranch_scc0 .LBB145_716
; %bb.715:
	v_cvt_f64_f32_e32 v[4:5], v30
	v_cvt_f64_f32_e32 v[6:7], v31
	global_store_dwordx4 v[2:3], v[4:7], off
	s_mov_b64 s[0:1], 0
.LBB145_716:
	s_andn2_b64 vcc, exec, s[0:1]
	s_cbranch_vccnz .LBB145_718
; %bb.717:
	global_store_dwordx2 v[2:3], v[30:31], off
.LBB145_718:
	s_mov_b64 s[0:1], 0
.LBB145_719:
	s_andn2_b64 vcc, exec, s[0:1]
	s_cbranch_vccnz .LBB145_721
; %bb.720:
	v_cvt_f16_f32_e32 v4, v30
	v_cvt_f16_f32_sdwa v5, v31 dst_sel:WORD_1 dst_unused:UNUSED_PAD src0_sel:DWORD
	s_nop 0
	v_or_b32_e32 v4, v5, v4
	global_store_dword v[2:3], v4, off
.LBB145_721:
	s_mov_b64 s[0:1], 0
.LBB145_722:
	s_andn2_b64 vcc, exec, s[0:1]
	s_cbranch_vccnz .LBB145_731
; %bb.723:
	s_cmp_lt_i32 s4, 6
	s_mov_b64 s[0:1], -1
	s_cbranch_scc1 .LBB145_729
; %bb.724:
	s_cmp_gt_i32 s4, 6
	s_cbranch_scc0 .LBB145_726
; %bb.725:
	v_cvt_f64_f32_e32 v[4:5], v30
	global_store_dwordx2 v[2:3], v[4:5], off
	s_mov_b64 s[0:1], 0
.LBB145_726:
	s_andn2_b64 vcc, exec, s[0:1]
	s_cbranch_vccnz .LBB145_728
; %bb.727:
	global_store_dword v[2:3], v30, off
.LBB145_728:
	s_mov_b64 s[0:1], 0
.LBB145_729:
	s_andn2_b64 vcc, exec, s[0:1]
	s_cbranch_vccnz .LBB145_731
; %bb.730:
	v_cvt_f16_f32_e32 v4, v30
	global_store_short v[2:3], v4, off
.LBB145_731:
	s_mov_b64 s[0:1], 0
.LBB145_732:
	s_andn2_b64 vcc, exec, s[0:1]
	s_cbranch_vccnz .LBB145_748
; %bb.733:
	s_cmp_lt_i32 s4, 2
	s_mov_b64 s[0:1], -1
	s_cbranch_scc1 .LBB145_743
; %bb.734:
	s_cmp_lt_i32 s4, 3
	s_cbranch_scc1 .LBB145_740
; %bb.735:
	s_cmp_gt_i32 s4, 3
	s_cbranch_scc0 .LBB145_737
; %bb.736:
	v_trunc_f32_e32 v4, v30
	s_mov_b32 s0, 0x2f800000
	v_mul_f32_e64 v5, |v4|, s0
	v_floor_f32_e32 v5, v5
	s_mov_b32 s0, 0xcf800000
	v_cvt_u32_f32_e32 v6, v5
	v_fma_f32 v5, v5, s0, |v4|
	v_cvt_u32_f32_e32 v5, v5
	v_ashrrev_i32_e32 v7, 31, v4
	v_xor_b32_e32 v6, v6, v7
	s_mov_b64 s[0:1], 0
	v_xor_b32_e32 v4, v5, v7
	v_sub_co_u32_e32 v4, vcc, v4, v7
	s_nop 1
	v_subb_co_u32_e32 v5, vcc, v6, v7, vcc
	global_store_dwordx2 v[2:3], v[4:5], off
.LBB145_737:
	s_andn2_b64 vcc, exec, s[0:1]
	s_cbranch_vccnz .LBB145_739
; %bb.738:
	v_cvt_i32_f32_e32 v4, v30
	global_store_dword v[2:3], v4, off
.LBB145_739:
	s_mov_b64 s[0:1], 0
.LBB145_740:
	s_andn2_b64 vcc, exec, s[0:1]
	s_cbranch_vccnz .LBB145_742
; %bb.741:
	v_cvt_i32_f32_e32 v4, v30
	global_store_short v[2:3], v4, off
.LBB145_742:
	s_mov_b64 s[0:1], 0
.LBB145_743:
	s_andn2_b64 vcc, exec, s[0:1]
	s_cbranch_vccnz .LBB145_748
; %bb.744:
	s_cmp_gt_i32 s4, 0
	s_mov_b64 s[0:1], -1
	s_cbranch_scc0 .LBB145_746
; %bb.745:
	v_cvt_i32_f32_e32 v4, v30
	s_mov_b64 s[0:1], 0
	global_store_byte v[2:3], v4, off
.LBB145_746:
	s_andn2_b64 vcc, exec, s[0:1]
	s_cbranch_vccnz .LBB145_748
; %bb.747:
	v_trunc_f32_e32 v4, v30
	s_mov_b32 s0, 0x2f800000
	v_mul_f32_e64 v5, |v4|, s0
	v_floor_f32_e32 v5, v5
	s_mov_b32 s0, 0xcf800000
	v_fma_f32 v5, v5, s0, |v4|
	v_cvt_u32_f32_e32 v5, v5
	v_ashrrev_i32_e32 v4, 31, v4
	v_xor_b32_e32 v5, v5, v4
	v_sub_u32_e32 v4, v5, v4
	global_store_byte v[2:3], v4, off
.LBB145_748:
.LBB145_749:
	s_lshr_b32 s0, s28, 8
	v_mov_b32_e32 v41, 0
	s_and_b32 s12, s0, 0xff
	s_cmp_lt_i32 s12, 11
	v_lshl_add_u64 v[2:3], s[36:37], 0, v[40:41]
	s_cbranch_scc1 .LBB145_828
; %bb.750:
	s_and_b32 s13, 0xffff, s12
	s_mov_b64 s[8:9], -1
	s_mov_b64 s[4:5], 0
	s_cmp_gt_i32 s13, 25
	s_mov_b64 s[6:7], 0
	s_mov_b64 s[0:1], 0
	s_cbranch_scc0 .LBB145_783
; %bb.751:
	s_cmp_gt_i32 s13, 28
	s_cbranch_scc0 .LBB145_766
; %bb.752:
	s_cmp_gt_i32 s13, 43
	;; [unrolled: 3-line block ×3, first 2 shown]
	s_cbranch_scc0 .LBB145_756
; %bb.754:
	s_mov_b64 s[0:1], -1
	s_mov_b64 s[8:9], 0
	s_cmp_eq_u32 s13, 46
	s_cbranch_scc0 .LBB145_756
; %bb.755:
	s_movk_i32 s0, 0x7fff
	v_bfe_u32 v5, v29, 16, 1
	v_add3_u32 v5, v29, v5, s0
	v_bfe_u32 v4, v28, 16, 1
	v_and_b32_e32 v5, 0xffff0000, v5
	v_mov_b32_e32 v6, 0x7fc00000
	v_cmp_o_f32_e32 vcc, v29, v29
	v_add3_u32 v4, v28, v4, s0
	s_mov_b64 s[0:1], 0
	v_cndmask_b32_e32 v5, v6, v5, vcc
	v_cmp_o_f32_e32 vcc, v28, v28
	v_mov_b32_e32 v6, 0x7fc0
	s_mov_b64 s[6:7], -1
	v_cndmask_b32_sdwa v4, v6, v4, vcc dst_sel:DWORD dst_unused:UNUSED_PAD src0_sel:DWORD src1_sel:WORD_1
	v_or_b32_e32 v4, v5, v4
	global_store_dword v[2:3], v4, off
.LBB145_756:
	s_and_b64 vcc, exec, s[8:9]
	s_cbranch_vccz .LBB145_761
; %bb.757:
	s_cmp_eq_u32 s13, 44
	s_mov_b64 s[0:1], -1
	s_cbranch_scc0 .LBB145_761
; %bb.758:
	v_bfe_u32 v4, v28, 23, 8
	s_movk_i32 s0, 0xff
	v_cmp_ne_u32_e32 vcc, s0, v4
	v_mov_b32_e32 v5, 0xff
	s_and_saveexec_b64 s[6:7], vcc
; %bb.759:
	s_mov_b32 s0, 0x3fffff
	v_and_b32_e32 v6, 0x400000, v28
	v_and_or_b32 v4, v28, s0, v4
	v_cmp_ne_u32_e32 vcc, 0, v6
	v_cmp_ne_u32_e64 s[0:1], 0, v4
	s_and_b64 s[0:1], vcc, s[0:1]
	v_lshrrev_b32_e32 v5, 23, v28
	v_cndmask_b32_e64 v4, 0, 1, s[0:1]
	v_add_u32_e32 v5, v5, v4
; %bb.760:
	s_or_b64 exec, exec, s[6:7]
	s_mov_b64 s[0:1], 0
	s_mov_b64 s[6:7], -1
	global_store_byte v[2:3], v5, off
.LBB145_761:
	s_mov_b64 s[8:9], 0
.LBB145_762:
	s_and_b64 vcc, exec, s[8:9]
	s_cbranch_vccz .LBB145_765
; %bb.763:
	s_cmp_eq_u32 s13, 29
	s_mov_b64 s[0:1], -1
	s_cbranch_scc0 .LBB145_765
; %bb.764:
	v_trunc_f32_e32 v4, v28
	v_mul_f32_e32 v5, 0x2f800000, v4
	v_floor_f32_e32 v6, v5
	v_fmamk_f32 v4, v6, 0xcf800000, v4
	v_cvt_u32_f32_e32 v5, v6
	v_cvt_u32_f32_e32 v4, v4
	s_mov_b64 s[0:1], 0
	s_mov_b64 s[6:7], -1
	global_store_dwordx2 v[2:3], v[4:5], off
.LBB145_765:
	s_mov_b64 s[8:9], 0
.LBB145_766:
	s_and_b64 vcc, exec, s[8:9]
	s_cbranch_vccz .LBB145_782
; %bb.767:
	s_cmp_lt_i32 s13, 27
	s_mov_b64 s[6:7], -1
	s_cbranch_scc1 .LBB145_773
; %bb.768:
	s_cmp_gt_i32 s13, 27
	s_cbranch_scc0 .LBB145_770
; %bb.769:
	v_cvt_u32_f32_e32 v4, v28
	s_mov_b64 s[6:7], 0
	global_store_dword v[2:3], v4, off
.LBB145_770:
	s_andn2_b64 vcc, exec, s[6:7]
	s_cbranch_vccnz .LBB145_772
; %bb.771:
	v_cvt_u32_f32_e32 v4, v28
	global_store_short v[2:3], v4, off
.LBB145_772:
	s_mov_b64 s[6:7], 0
.LBB145_773:
	s_andn2_b64 vcc, exec, s[6:7]
	s_cbranch_vccnz .LBB145_781
; %bb.774:
	v_and_b32_e32 v4, 0x7fffffff, v28
	s_mov_b32 s6, 0x43800000
	v_cmp_gt_u32_e32 vcc, s6, v4
	v_mov_b32_e32 v5, 0x80
	s_and_saveexec_b64 s[6:7], vcc
	s_cbranch_execz .LBB145_780
; %bb.775:
	s_mov_b32 s8, 0x3bffffff
	v_cmp_lt_u32_e32 vcc, s8, v4
	s_mov_b64 s[8:9], 0
                                        ; implicit-def: $vgpr4
	s_and_saveexec_b64 s[10:11], vcc
	s_xor_b64 s[10:11], exec, s[10:11]
	s_cbranch_execz .LBB145_1112
; %bb.776:
	v_bfe_u32 v4, v28, 20, 1
	s_mov_b32 s14, 0x487ffff
	v_add3_u32 v4, v28, v4, s14
	s_mov_b64 s[8:9], exec
	v_lshrrev_b32_e32 v4, 20, v4
	s_andn2_saveexec_b64 s[10:11], s[10:11]
	s_cbranch_execnz .LBB145_1113
.LBB145_777:
	s_or_b64 exec, exec, s[10:11]
	v_mov_b32_e32 v5, 0
	s_and_saveexec_b64 s[10:11], s[8:9]
.LBB145_778:
	v_lshrrev_b32_e32 v5, 24, v28
	s_movk_i32 s8, 0x80
	v_and_or_b32 v5, v5, s8, v4
.LBB145_779:
	s_or_b64 exec, exec, s[10:11]
.LBB145_780:
	s_or_b64 exec, exec, s[6:7]
	global_store_byte v[2:3], v5, off
.LBB145_781:
	s_mov_b64 s[6:7], -1
.LBB145_782:
	s_mov_b64 s[8:9], 0
.LBB145_783:
	s_and_b64 vcc, exec, s[8:9]
	s_cbranch_vccz .LBB145_823
; %bb.784:
	s_cmp_gt_i32 s13, 22
	s_mov_b64 s[4:5], -1
	s_cbranch_scc0 .LBB145_816
; %bb.785:
	s_cmp_lt_i32 s13, 24
	s_cbranch_scc1 .LBB145_805
; %bb.786:
	s_cmp_gt_i32 s13, 24
	s_cbranch_scc0 .LBB145_794
; %bb.787:
	v_and_b32_e32 v4, 0x7fffffff, v28
	s_mov_b32 s4, 0x47800000
	v_cmp_gt_u32_e32 vcc, s4, v4
	v_mov_b32_e32 v5, 0x80
	s_and_saveexec_b64 s[4:5], vcc
	s_cbranch_execz .LBB145_793
; %bb.788:
	s_mov_b32 s6, 0x37ffffff
	v_cmp_lt_u32_e32 vcc, s6, v4
	s_mov_b64 s[6:7], 0
                                        ; implicit-def: $vgpr4
	s_and_saveexec_b64 s[8:9], vcc
	s_xor_b64 s[8:9], exec, s[8:9]
	s_cbranch_execz .LBB145_1115
; %bb.789:
	v_bfe_u32 v4, v28, 21, 1
	s_mov_b32 s10, 0x88fffff
	v_add3_u32 v4, v28, v4, s10
	s_mov_b64 s[6:7], exec
	v_lshrrev_b32_e32 v4, 21, v4
	s_andn2_saveexec_b64 s[8:9], s[8:9]
	s_cbranch_execnz .LBB145_1116
.LBB145_790:
	s_or_b64 exec, exec, s[8:9]
	v_mov_b32_e32 v5, 0
	s_and_saveexec_b64 s[8:9], s[6:7]
.LBB145_791:
	v_lshrrev_b32_e32 v5, 24, v28
	s_movk_i32 s6, 0x80
	v_and_or_b32 v5, v5, s6, v4
.LBB145_792:
	s_or_b64 exec, exec, s[8:9]
.LBB145_793:
	s_or_b64 exec, exec, s[4:5]
	s_mov_b64 s[4:5], 0
	global_store_byte v[2:3], v5, off
.LBB145_794:
	s_and_b64 vcc, exec, s[4:5]
	s_cbranch_vccz .LBB145_804
; %bb.795:
	v_and_b32_e32 v5, 0x7fffffff, v28
	s_mov_b32 s4, 0x43f00000
	v_cmp_gt_u32_e32 vcc, s4, v5
                                        ; implicit-def: $vgpr4
	s_and_saveexec_b64 s[4:5], vcc
	s_xor_b64 s[4:5], exec, s[4:5]
	s_cbranch_execz .LBB145_801
; %bb.796:
	s_mov_b32 s6, 0x3c7fffff
	v_cmp_lt_u32_e32 vcc, s6, v5
                                        ; implicit-def: $vgpr4
	s_and_saveexec_b64 s[6:7], vcc
	s_xor_b64 s[6:7], exec, s[6:7]
; %bb.797:
	v_bfe_u32 v4, v28, 20, 1
	s_mov_b32 s8, 0x407ffff
	v_add3_u32 v4, v28, v4, s8
	v_lshrrev_b32_e32 v5, 20, v4
	v_and_b32_e32 v4, 0xff00000, v4
	s_mov_b32 s8, 0x7f00000
	v_mov_b32_e32 v6, 0x7e
	v_cmp_ne_u32_e32 vcc, s8, v4
	s_nop 1
	v_cndmask_b32_e32 v4, v6, v5, vcc
; %bb.798:
	s_andn2_saveexec_b64 s[6:7], s[6:7]
; %bb.799:
	s_mov_b32 s8, 0x46800000
	v_add_f32_e64 v4, |v28|, s8
; %bb.800:
	s_or_b64 exec, exec, s[6:7]
                                        ; implicit-def: $vgpr5
.LBB145_801:
	s_andn2_saveexec_b64 s[4:5], s[4:5]
; %bb.802:
	s_mov_b32 s6, 0x7f800000
	v_mov_b32_e32 v4, 0x7e
	v_mov_b32_e32 v6, 0x7f
	v_cmp_lt_u32_e32 vcc, s6, v5
	s_nop 1
	v_cndmask_b32_e32 v4, v4, v6, vcc
; %bb.803:
	s_or_b64 exec, exec, s[4:5]
	v_lshrrev_b32_e32 v5, 24, v28
	s_movk_i32 s4, 0x80
	v_and_or_b32 v4, v5, s4, v4
	global_store_byte v[2:3], v4, off
.LBB145_804:
	s_mov_b64 s[4:5], 0
.LBB145_805:
	s_andn2_b64 vcc, exec, s[4:5]
	s_cbranch_vccnz .LBB145_815
; %bb.806:
	v_and_b32_e32 v5, 0x7fffffff, v28
	s_mov_b32 s4, 0x47800000
	v_cmp_gt_u32_e32 vcc, s4, v5
                                        ; implicit-def: $vgpr4
	s_and_saveexec_b64 s[4:5], vcc
	s_xor_b64 s[4:5], exec, s[4:5]
	s_cbranch_execz .LBB145_812
; %bb.807:
	s_mov_b32 s6, 0x387fffff
	v_cmp_lt_u32_e32 vcc, s6, v5
                                        ; implicit-def: $vgpr4
	s_and_saveexec_b64 s[6:7], vcc
	s_xor_b64 s[6:7], exec, s[6:7]
; %bb.808:
	v_bfe_u32 v4, v28, 21, 1
	s_mov_b32 s8, 0x80fffff
	v_add3_u32 v4, v28, v4, s8
	v_lshrrev_b32_e32 v4, 21, v4
; %bb.809:
	s_andn2_saveexec_b64 s[6:7], s[6:7]
; %bb.810:
	s_mov_b32 s8, 0x43000000
	v_add_f32_e64 v4, |v28|, s8
; %bb.811:
	s_or_b64 exec, exec, s[6:7]
                                        ; implicit-def: $vgpr5
.LBB145_812:
	s_andn2_saveexec_b64 s[4:5], s[4:5]
; %bb.813:
	s_mov_b32 s6, 0x7f800000
	v_mov_b32_e32 v4, 0x7c
	v_mov_b32_e32 v6, 0x7f
	v_cmp_lt_u32_e32 vcc, s6, v5
	s_nop 1
	v_cndmask_b32_e32 v4, v4, v6, vcc
; %bb.814:
	s_or_b64 exec, exec, s[4:5]
	v_lshrrev_b32_e32 v5, 24, v28
	s_movk_i32 s4, 0x80
	v_and_or_b32 v4, v5, s4, v4
	global_store_byte v[2:3], v4, off
.LBB145_815:
	s_mov_b64 s[4:5], 0
	s_mov_b64 s[6:7], -1
.LBB145_816:
	s_andn2_b64 vcc, exec, s[4:5]
	s_mov_b64 s[4:5], 0
	s_cbranch_vccnz .LBB145_823
; %bb.817:
	s_cmp_gt_i32 s13, 14
	s_mov_b64 s[8:9], -1
	s_cbranch_scc0 .LBB145_821
; %bb.818:
	s_cmp_eq_u32 s13, 15
	s_mov_b64 s[0:1], -1
	s_cbranch_scc0 .LBB145_820
; %bb.819:
	v_bfe_u32 v4, v28, 16, 1
	s_movk_i32 s0, 0x7fff
	v_add3_u32 v4, v28, v4, s0
	v_cmp_o_f32_e32 vcc, v28, v28
	v_mov_b32_e32 v5, 0x7fc0
	s_mov_b64 s[0:1], 0
	v_cndmask_b32_sdwa v4, v5, v4, vcc dst_sel:DWORD dst_unused:UNUSED_PAD src0_sel:DWORD src1_sel:WORD_1
	global_store_short v[2:3], v4, off
	s_mov_b64 s[6:7], -1
.LBB145_820:
	s_mov_b64 s[8:9], 0
.LBB145_821:
	s_and_b64 vcc, exec, s[8:9]
	s_cbranch_vccz .LBB145_823
; %bb.822:
	s_cmp_lg_u32 s13, 11
	s_mov_b64 s[4:5], -1
	s_cselect_b64 s[0:1], -1, 0
.LBB145_823:
	s_and_b64 vcc, exec, s[0:1]
	s_cbranch_vccnz .LBB145_1114
; %bb.824:
	s_andn2_b64 vcc, exec, s[4:5]
	s_cbranch_vccnz .LBB145_826
.LBB145_825:
	s_brev_b32 s0, -2
	v_bitop3_b32 v4, v28, s0, v29 bitop3:0xc8
	v_cmp_ne_u32_e32 vcc, 0, v4
	s_mov_b64 s[6:7], -1
	s_nop 0
	v_cndmask_b32_e64 v4, 0, 1, vcc
	global_store_byte v[2:3], v4, off
.LBB145_826:
.LBB145_827:
	s_andn2_b64 vcc, exec, s[6:7]
	s_cbranch_vccz .LBB145_867
	s_branch .LBB145_1061
.LBB145_828:
	s_mov_b64 s[6:7], 0
	s_cbranch_execz .LBB145_827
; %bb.829:
	s_and_b32 s4, 0xffff, s12
	s_cmp_lt_i32 s4, 5
	s_mov_b64 s[0:1], -1
	s_cbranch_scc1 .LBB145_850
; %bb.830:
	s_cmp_lt_i32 s4, 8
	s_cbranch_scc1 .LBB145_840
; %bb.831:
	s_cmp_lt_i32 s4, 9
	s_cbranch_scc1 .LBB145_837
; %bb.832:
	s_cmp_gt_i32 s4, 9
	s_cbranch_scc0 .LBB145_834
; %bb.833:
	v_cvt_f64_f32_e32 v[4:5], v28
	v_cvt_f64_f32_e32 v[6:7], v29
	global_store_dwordx4 v[2:3], v[4:7], off
	s_mov_b64 s[0:1], 0
.LBB145_834:
	s_andn2_b64 vcc, exec, s[0:1]
	s_cbranch_vccnz .LBB145_836
; %bb.835:
	global_store_dwordx2 v[2:3], v[28:29], off
.LBB145_836:
	s_mov_b64 s[0:1], 0
.LBB145_837:
	s_andn2_b64 vcc, exec, s[0:1]
	s_cbranch_vccnz .LBB145_839
; %bb.838:
	v_cvt_f16_f32_e32 v4, v28
	v_cvt_f16_f32_sdwa v5, v29 dst_sel:WORD_1 dst_unused:UNUSED_PAD src0_sel:DWORD
	s_nop 0
	v_or_b32_e32 v4, v5, v4
	global_store_dword v[2:3], v4, off
.LBB145_839:
	s_mov_b64 s[0:1], 0
.LBB145_840:
	s_andn2_b64 vcc, exec, s[0:1]
	s_cbranch_vccnz .LBB145_849
; %bb.841:
	s_cmp_lt_i32 s4, 6
	s_mov_b64 s[0:1], -1
	s_cbranch_scc1 .LBB145_847
; %bb.842:
	s_cmp_gt_i32 s4, 6
	s_cbranch_scc0 .LBB145_844
; %bb.843:
	v_cvt_f64_f32_e32 v[4:5], v28
	global_store_dwordx2 v[2:3], v[4:5], off
	s_mov_b64 s[0:1], 0
.LBB145_844:
	s_andn2_b64 vcc, exec, s[0:1]
	s_cbranch_vccnz .LBB145_846
; %bb.845:
	global_store_dword v[2:3], v28, off
.LBB145_846:
	s_mov_b64 s[0:1], 0
.LBB145_847:
	s_andn2_b64 vcc, exec, s[0:1]
	s_cbranch_vccnz .LBB145_849
; %bb.848:
	v_cvt_f16_f32_e32 v4, v28
	global_store_short v[2:3], v4, off
.LBB145_849:
	s_mov_b64 s[0:1], 0
.LBB145_850:
	s_andn2_b64 vcc, exec, s[0:1]
	s_cbranch_vccnz .LBB145_866
; %bb.851:
	s_cmp_lt_i32 s4, 2
	s_mov_b64 s[0:1], -1
	s_cbranch_scc1 .LBB145_861
; %bb.852:
	s_cmp_lt_i32 s4, 3
	s_cbranch_scc1 .LBB145_858
; %bb.853:
	s_cmp_gt_i32 s4, 3
	s_cbranch_scc0 .LBB145_855
; %bb.854:
	v_trunc_f32_e32 v4, v28
	s_mov_b32 s0, 0x2f800000
	v_mul_f32_e64 v5, |v4|, s0
	v_floor_f32_e32 v5, v5
	s_mov_b32 s0, 0xcf800000
	v_cvt_u32_f32_e32 v6, v5
	v_fma_f32 v5, v5, s0, |v4|
	v_cvt_u32_f32_e32 v5, v5
	v_ashrrev_i32_e32 v7, 31, v4
	v_xor_b32_e32 v6, v6, v7
	s_mov_b64 s[0:1], 0
	v_xor_b32_e32 v4, v5, v7
	v_sub_co_u32_e32 v4, vcc, v4, v7
	s_nop 1
	v_subb_co_u32_e32 v5, vcc, v6, v7, vcc
	global_store_dwordx2 v[2:3], v[4:5], off
.LBB145_855:
	s_andn2_b64 vcc, exec, s[0:1]
	s_cbranch_vccnz .LBB145_857
; %bb.856:
	v_cvt_i32_f32_e32 v4, v28
	global_store_dword v[2:3], v4, off
.LBB145_857:
	s_mov_b64 s[0:1], 0
.LBB145_858:
	s_andn2_b64 vcc, exec, s[0:1]
	s_cbranch_vccnz .LBB145_860
; %bb.859:
	v_cvt_i32_f32_e32 v4, v28
	global_store_short v[2:3], v4, off
.LBB145_860:
	s_mov_b64 s[0:1], 0
.LBB145_861:
	s_andn2_b64 vcc, exec, s[0:1]
	s_cbranch_vccnz .LBB145_866
; %bb.862:
	s_cmp_gt_i32 s4, 0
	s_mov_b64 s[0:1], -1
	s_cbranch_scc0 .LBB145_864
; %bb.863:
	v_cvt_i32_f32_e32 v4, v28
	s_mov_b64 s[0:1], 0
	global_store_byte v[2:3], v4, off
.LBB145_864:
	s_andn2_b64 vcc, exec, s[0:1]
	s_cbranch_vccnz .LBB145_866
; %bb.865:
	v_trunc_f32_e32 v4, v28
	s_mov_b32 s0, 0x2f800000
	v_mul_f32_e64 v5, |v4|, s0
	v_floor_f32_e32 v5, v5
	s_mov_b32 s0, 0xcf800000
	v_fma_f32 v5, v5, s0, |v4|
	v_cvt_u32_f32_e32 v5, v5
	v_ashrrev_i32_e32 v4, 31, v4
	v_xor_b32_e32 v5, v5, v4
	v_sub_u32_e32 v4, v5, v4
	global_store_byte v[2:3], v4, off
.LBB145_866:
.LBB145_867:
	v_mov_b32_e32 v39, 0
	s_cmp_lt_i32 s12, 11
	v_lshl_add_u64 v[2:3], s[36:37], 0, v[38:39]
	s_cbranch_scc1 .LBB145_1022
; %bb.868:
	s_and_b32 s13, 0xffff, s12
	s_mov_b64 s[8:9], -1
	s_mov_b64 s[4:5], 0
	s_cmp_gt_i32 s13, 25
	s_mov_b64 s[6:7], 0
	s_mov_b64 s[0:1], 0
	s_cbranch_scc0 .LBB145_901
; %bb.869:
	s_cmp_gt_i32 s13, 28
	s_cbranch_scc0 .LBB145_884
; %bb.870:
	s_cmp_gt_i32 s13, 43
	;; [unrolled: 3-line block ×3, first 2 shown]
	s_cbranch_scc0 .LBB145_874
; %bb.872:
	s_mov_b64 s[0:1], -1
	s_mov_b64 s[8:9], 0
	s_cmp_eq_u32 s13, 46
	s_cbranch_scc0 .LBB145_874
; %bb.873:
	s_movk_i32 s0, 0x7fff
	v_bfe_u32 v5, v27, 16, 1
	v_add3_u32 v5, v27, v5, s0
	v_bfe_u32 v4, v26, 16, 1
	v_and_b32_e32 v5, 0xffff0000, v5
	v_mov_b32_e32 v6, 0x7fc00000
	v_cmp_o_f32_e32 vcc, v27, v27
	v_add3_u32 v4, v26, v4, s0
	s_mov_b64 s[0:1], 0
	v_cndmask_b32_e32 v5, v6, v5, vcc
	v_cmp_o_f32_e32 vcc, v26, v26
	v_mov_b32_e32 v6, 0x7fc0
	s_mov_b64 s[6:7], -1
	v_cndmask_b32_sdwa v4, v6, v4, vcc dst_sel:DWORD dst_unused:UNUSED_PAD src0_sel:DWORD src1_sel:WORD_1
	v_or_b32_e32 v4, v5, v4
	global_store_dword v[2:3], v4, off
.LBB145_874:
	s_and_b64 vcc, exec, s[8:9]
	s_cbranch_vccz .LBB145_879
; %bb.875:
	s_cmp_eq_u32 s13, 44
	s_mov_b64 s[0:1], -1
	s_cbranch_scc0 .LBB145_879
; %bb.876:
	v_bfe_u32 v4, v26, 23, 8
	s_movk_i32 s0, 0xff
	v_cmp_ne_u32_e32 vcc, s0, v4
	v_mov_b32_e32 v5, 0xff
	s_and_saveexec_b64 s[6:7], vcc
; %bb.877:
	s_mov_b32 s0, 0x3fffff
	v_and_b32_e32 v6, 0x400000, v26
	v_and_or_b32 v4, v26, s0, v4
	v_cmp_ne_u32_e32 vcc, 0, v6
	v_cmp_ne_u32_e64 s[0:1], 0, v4
	s_and_b64 s[0:1], vcc, s[0:1]
	v_lshrrev_b32_e32 v5, 23, v26
	v_cndmask_b32_e64 v4, 0, 1, s[0:1]
	v_add_u32_e32 v5, v5, v4
; %bb.878:
	s_or_b64 exec, exec, s[6:7]
	s_mov_b64 s[0:1], 0
	s_mov_b64 s[6:7], -1
	global_store_byte v[2:3], v5, off
.LBB145_879:
	s_mov_b64 s[8:9], 0
.LBB145_880:
	s_and_b64 vcc, exec, s[8:9]
	s_cbranch_vccz .LBB145_883
; %bb.881:
	s_cmp_eq_u32 s13, 29
	s_mov_b64 s[0:1], -1
	s_cbranch_scc0 .LBB145_883
; %bb.882:
	v_trunc_f32_e32 v4, v26
	v_mul_f32_e32 v5, 0x2f800000, v4
	v_floor_f32_e32 v6, v5
	v_fmamk_f32 v4, v6, 0xcf800000, v4
	v_cvt_u32_f32_e32 v5, v6
	v_cvt_u32_f32_e32 v4, v4
	s_mov_b64 s[0:1], 0
	s_mov_b64 s[6:7], -1
	global_store_dwordx2 v[2:3], v[4:5], off
.LBB145_883:
	s_mov_b64 s[8:9], 0
.LBB145_884:
	s_and_b64 vcc, exec, s[8:9]
	s_cbranch_vccz .LBB145_900
; %bb.885:
	s_cmp_lt_i32 s13, 27
	s_mov_b64 s[6:7], -1
	s_cbranch_scc1 .LBB145_891
; %bb.886:
	v_cvt_u32_f32_e32 v4, v26
	s_cmp_gt_i32 s13, 27
	s_cbranch_scc0 .LBB145_888
; %bb.887:
	s_mov_b64 s[6:7], 0
	global_store_dword v[2:3], v4, off
.LBB145_888:
	s_andn2_b64 vcc, exec, s[6:7]
	s_cbranch_vccnz .LBB145_890
; %bb.889:
	global_store_short v[2:3], v4, off
.LBB145_890:
	s_mov_b64 s[6:7], 0
.LBB145_891:
	s_andn2_b64 vcc, exec, s[6:7]
	s_cbranch_vccnz .LBB145_899
; %bb.892:
	v_and_b32_e32 v4, 0x7fffffff, v26
	s_mov_b32 s6, 0x43800000
	v_cmp_gt_u32_e32 vcc, s6, v4
	v_mov_b32_e32 v5, 0x80
	s_and_saveexec_b64 s[6:7], vcc
	s_cbranch_execz .LBB145_898
; %bb.893:
	s_mov_b32 s8, 0x3bffffff
	v_cmp_lt_u32_e32 vcc, s8, v4
	s_mov_b64 s[8:9], 0
                                        ; implicit-def: $vgpr4
	s_and_saveexec_b64 s[10:11], vcc
	s_xor_b64 s[10:11], exec, s[10:11]
	s_cbranch_execz .LBB145_1117
; %bb.894:
	v_bfe_u32 v4, v26, 20, 1
	s_mov_b32 s14, 0x487ffff
	v_add3_u32 v4, v26, v4, s14
	s_mov_b64 s[8:9], exec
	v_lshrrev_b32_e32 v4, 20, v4
	s_andn2_saveexec_b64 s[10:11], s[10:11]
	s_cbranch_execnz .LBB145_1118
.LBB145_895:
	s_or_b64 exec, exec, s[10:11]
	v_mov_b32_e32 v5, 0
	s_and_saveexec_b64 s[10:11], s[8:9]
.LBB145_896:
	v_lshrrev_b32_e32 v5, 24, v26
	s_movk_i32 s8, 0x80
	v_and_or_b32 v5, v5, s8, v4
.LBB145_897:
	s_or_b64 exec, exec, s[10:11]
.LBB145_898:
	s_or_b64 exec, exec, s[6:7]
	global_store_byte v[2:3], v5, off
.LBB145_899:
	s_mov_b64 s[6:7], -1
.LBB145_900:
	s_mov_b64 s[8:9], 0
.LBB145_901:
	s_and_b64 vcc, exec, s[8:9]
	s_cbranch_vccz .LBB145_941
; %bb.902:
	s_cmp_gt_i32 s13, 22
	s_mov_b64 s[4:5], -1
	s_cbranch_scc0 .LBB145_934
; %bb.903:
	s_cmp_lt_i32 s13, 24
	s_cbranch_scc1 .LBB145_923
; %bb.904:
	s_cmp_gt_i32 s13, 24
	s_cbranch_scc0 .LBB145_912
; %bb.905:
	v_and_b32_e32 v4, 0x7fffffff, v26
	s_mov_b32 s4, 0x47800000
	v_cmp_gt_u32_e32 vcc, s4, v4
	v_mov_b32_e32 v5, 0x80
	s_and_saveexec_b64 s[4:5], vcc
	s_cbranch_execz .LBB145_911
; %bb.906:
	s_mov_b32 s6, 0x37ffffff
	v_cmp_lt_u32_e32 vcc, s6, v4
	s_mov_b64 s[6:7], 0
                                        ; implicit-def: $vgpr4
	s_and_saveexec_b64 s[8:9], vcc
	s_xor_b64 s[8:9], exec, s[8:9]
	s_cbranch_execz .LBB145_1120
; %bb.907:
	v_bfe_u32 v4, v26, 21, 1
	s_mov_b32 s10, 0x88fffff
	v_add3_u32 v4, v26, v4, s10
	s_mov_b64 s[6:7], exec
	v_lshrrev_b32_e32 v4, 21, v4
	s_andn2_saveexec_b64 s[8:9], s[8:9]
	s_cbranch_execnz .LBB145_1121
.LBB145_908:
	s_or_b64 exec, exec, s[8:9]
	v_mov_b32_e32 v5, 0
	s_and_saveexec_b64 s[8:9], s[6:7]
.LBB145_909:
	v_lshrrev_b32_e32 v5, 24, v26
	s_movk_i32 s6, 0x80
	v_and_or_b32 v5, v5, s6, v4
.LBB145_910:
	s_or_b64 exec, exec, s[8:9]
.LBB145_911:
	s_or_b64 exec, exec, s[4:5]
	s_mov_b64 s[4:5], 0
	global_store_byte v[2:3], v5, off
.LBB145_912:
	s_and_b64 vcc, exec, s[4:5]
	s_cbranch_vccz .LBB145_922
; %bb.913:
	v_and_b32_e32 v5, 0x7fffffff, v26
	s_mov_b32 s4, 0x43f00000
	v_cmp_gt_u32_e32 vcc, s4, v5
                                        ; implicit-def: $vgpr4
	s_and_saveexec_b64 s[4:5], vcc
	s_xor_b64 s[4:5], exec, s[4:5]
	s_cbranch_execz .LBB145_919
; %bb.914:
	s_mov_b32 s6, 0x3c7fffff
	v_cmp_lt_u32_e32 vcc, s6, v5
                                        ; implicit-def: $vgpr4
	s_and_saveexec_b64 s[6:7], vcc
	s_xor_b64 s[6:7], exec, s[6:7]
; %bb.915:
	v_bfe_u32 v4, v26, 20, 1
	s_mov_b32 s8, 0x407ffff
	v_add3_u32 v4, v26, v4, s8
	v_lshrrev_b32_e32 v5, 20, v4
	v_and_b32_e32 v4, 0xff00000, v4
	s_mov_b32 s8, 0x7f00000
	v_mov_b32_e32 v6, 0x7e
	v_cmp_ne_u32_e32 vcc, s8, v4
	s_nop 1
	v_cndmask_b32_e32 v4, v6, v5, vcc
; %bb.916:
	s_andn2_saveexec_b64 s[6:7], s[6:7]
; %bb.917:
	s_mov_b32 s8, 0x46800000
	v_add_f32_e64 v4, |v26|, s8
; %bb.918:
	s_or_b64 exec, exec, s[6:7]
                                        ; implicit-def: $vgpr5
.LBB145_919:
	s_andn2_saveexec_b64 s[4:5], s[4:5]
; %bb.920:
	s_mov_b32 s6, 0x7f800000
	v_mov_b32_e32 v4, 0x7e
	v_mov_b32_e32 v6, 0x7f
	v_cmp_lt_u32_e32 vcc, s6, v5
	s_nop 1
	v_cndmask_b32_e32 v4, v4, v6, vcc
; %bb.921:
	s_or_b64 exec, exec, s[4:5]
	v_lshrrev_b32_e32 v5, 24, v26
	s_movk_i32 s4, 0x80
	v_and_or_b32 v4, v5, s4, v4
	global_store_byte v[2:3], v4, off
.LBB145_922:
	s_mov_b64 s[4:5], 0
.LBB145_923:
	s_andn2_b64 vcc, exec, s[4:5]
	s_cbranch_vccnz .LBB145_933
; %bb.924:
	v_and_b32_e32 v5, 0x7fffffff, v26
	s_mov_b32 s4, 0x47800000
	v_cmp_gt_u32_e32 vcc, s4, v5
                                        ; implicit-def: $vgpr4
	s_and_saveexec_b64 s[4:5], vcc
	s_xor_b64 s[4:5], exec, s[4:5]
	s_cbranch_execz .LBB145_930
; %bb.925:
	s_mov_b32 s6, 0x387fffff
	v_cmp_lt_u32_e32 vcc, s6, v5
                                        ; implicit-def: $vgpr4
	s_and_saveexec_b64 s[6:7], vcc
	s_xor_b64 s[6:7], exec, s[6:7]
; %bb.926:
	v_bfe_u32 v4, v26, 21, 1
	s_mov_b32 s8, 0x80fffff
	v_add3_u32 v4, v26, v4, s8
	v_lshrrev_b32_e32 v4, 21, v4
; %bb.927:
	s_andn2_saveexec_b64 s[6:7], s[6:7]
; %bb.928:
	s_mov_b32 s8, 0x43000000
	v_add_f32_e64 v4, |v26|, s8
; %bb.929:
	s_or_b64 exec, exec, s[6:7]
                                        ; implicit-def: $vgpr5
.LBB145_930:
	s_andn2_saveexec_b64 s[4:5], s[4:5]
; %bb.931:
	s_mov_b32 s6, 0x7f800000
	v_mov_b32_e32 v4, 0x7c
	v_mov_b32_e32 v6, 0x7f
	v_cmp_lt_u32_e32 vcc, s6, v5
	s_nop 1
	v_cndmask_b32_e32 v4, v4, v6, vcc
; %bb.932:
	s_or_b64 exec, exec, s[4:5]
	v_lshrrev_b32_e32 v5, 24, v26
	s_movk_i32 s4, 0x80
	v_and_or_b32 v4, v5, s4, v4
	global_store_byte v[2:3], v4, off
.LBB145_933:
	s_mov_b64 s[4:5], 0
	s_mov_b64 s[6:7], -1
.LBB145_934:
	s_andn2_b64 vcc, exec, s[4:5]
	s_mov_b64 s[4:5], 0
	s_cbranch_vccnz .LBB145_941
; %bb.935:
	s_cmp_gt_i32 s13, 14
	s_mov_b64 s[8:9], -1
	s_cbranch_scc0 .LBB145_939
; %bb.936:
	s_cmp_eq_u32 s13, 15
	s_mov_b64 s[0:1], -1
	s_cbranch_scc0 .LBB145_938
; %bb.937:
	v_bfe_u32 v4, v26, 16, 1
	s_movk_i32 s0, 0x7fff
	v_add3_u32 v4, v26, v4, s0
	v_cmp_o_f32_e32 vcc, v26, v26
	v_mov_b32_e32 v5, 0x7fc0
	s_mov_b64 s[0:1], 0
	v_cndmask_b32_sdwa v4, v5, v4, vcc dst_sel:DWORD dst_unused:UNUSED_PAD src0_sel:DWORD src1_sel:WORD_1
	global_store_short v[2:3], v4, off
	s_mov_b64 s[6:7], -1
.LBB145_938:
	s_mov_b64 s[8:9], 0
.LBB145_939:
	s_and_b64 vcc, exec, s[8:9]
	s_cbranch_vccz .LBB145_941
; %bb.940:
	s_cmp_lg_u32 s13, 11
	s_mov_b64 s[4:5], -1
	s_cselect_b64 s[0:1], -1, 0
.LBB145_941:
	s_and_b64 vcc, exec, s[0:1]
	s_cbranch_vccnz .LBB145_1119
; %bb.942:
	s_andn2_b64 vcc, exec, s[4:5]
	s_cbranch_vccnz .LBB145_944
.LBB145_943:
	s_brev_b32 s0, -2
	v_bitop3_b32 v4, v26, s0, v27 bitop3:0xc8
	v_cmp_ne_u32_e32 vcc, 0, v4
	s_mov_b64 s[6:7], -1
	s_nop 0
	v_cndmask_b32_e64 v4, 0, 1, vcc
	global_store_byte v[2:3], v4, off
.LBB145_944:
.LBB145_945:
	s_andn2_b64 vcc, exec, s[6:7]
	s_cbranch_vccnz .LBB145_1061
.LBB145_946:
	v_mov_b32_e32 v37, 0
	s_cmp_lt_i32 s12, 11
	v_lshl_add_u64 v[2:3], s[36:37], 0, v[36:37]
	s_cbranch_scc1 .LBB145_1106
; %bb.947:
	s_and_b32 s13, 0xffff, s12
	s_mov_b64 s[6:7], -1
	s_mov_b64 s[4:5], 0
	s_cmp_gt_i32 s13, 25
	s_mov_b64 s[0:1], 0
	s_cbranch_scc0 .LBB145_980
; %bb.948:
	s_cmp_gt_i32 s13, 28
	s_cbranch_scc0 .LBB145_964
; %bb.949:
	s_cmp_gt_i32 s13, 43
	;; [unrolled: 3-line block ×3, first 2 shown]
	s_cbranch_scc0 .LBB145_954
; %bb.951:
	s_cmp_eq_u32 s13, 46
	s_mov_b64 s[0:1], -1
	s_cbranch_scc0 .LBB145_953
; %bb.952:
	s_movk_i32 s0, 0x7fff
	v_bfe_u32 v5, v1, 16, 1
	v_add3_u32 v5, v1, v5, s0
	v_bfe_u32 v4, v0, 16, 1
	v_and_b32_e32 v5, 0xffff0000, v5
	v_mov_b32_e32 v6, 0x7fc00000
	v_cmp_o_f32_e32 vcc, v1, v1
	v_add3_u32 v4, v0, v4, s0
	s_mov_b64 s[0:1], 0
	v_cndmask_b32_e32 v5, v6, v5, vcc
	v_cmp_o_f32_e32 vcc, v0, v0
	v_mov_b32_e32 v6, 0x7fc0
	s_nop 0
	v_cndmask_b32_sdwa v4, v6, v4, vcc dst_sel:DWORD dst_unused:UNUSED_PAD src0_sel:DWORD src1_sel:WORD_1
	v_or_b32_e32 v4, v5, v4
	global_store_dword v[2:3], v4, off
.LBB145_953:
	s_mov_b64 s[6:7], 0
.LBB145_954:
	s_and_b64 vcc, exec, s[6:7]
	s_cbranch_vccz .LBB145_959
; %bb.955:
	s_cmp_eq_u32 s13, 44
	s_mov_b64 s[0:1], -1
	s_cbranch_scc0 .LBB145_959
; %bb.956:
	v_bfe_u32 v4, v0, 23, 8
	s_movk_i32 s0, 0xff
	v_cmp_ne_u32_e32 vcc, s0, v4
	v_mov_b32_e32 v5, 0xff
	s_and_saveexec_b64 s[6:7], vcc
; %bb.957:
	s_mov_b32 s0, 0x3fffff
	v_and_b32_e32 v6, 0x400000, v0
	v_and_or_b32 v4, v0, s0, v4
	v_cmp_ne_u32_e32 vcc, 0, v6
	v_cmp_ne_u32_e64 s[0:1], 0, v4
	s_and_b64 s[0:1], vcc, s[0:1]
	v_lshrrev_b32_e32 v5, 23, v0
	v_cndmask_b32_e64 v4, 0, 1, s[0:1]
	v_add_u32_e32 v5, v5, v4
; %bb.958:
	s_or_b64 exec, exec, s[6:7]
	s_mov_b64 s[0:1], 0
	global_store_byte v[2:3], v5, off
.LBB145_959:
	s_mov_b64 s[6:7], 0
.LBB145_960:
	s_and_b64 vcc, exec, s[6:7]
	s_cbranch_vccz .LBB145_963
; %bb.961:
	s_cmp_eq_u32 s13, 29
	s_mov_b64 s[0:1], -1
	s_cbranch_scc0 .LBB145_963
; %bb.962:
	v_trunc_f32_e32 v4, v0
	v_mul_f32_e32 v5, 0x2f800000, v4
	v_floor_f32_e32 v6, v5
	v_fmamk_f32 v4, v6, 0xcf800000, v4
	v_cvt_u32_f32_e32 v5, v6
	v_cvt_u32_f32_e32 v4, v4
	s_mov_b64 s[0:1], 0
	global_store_dwordx2 v[2:3], v[4:5], off
.LBB145_963:
	s_mov_b64 s[6:7], 0
.LBB145_964:
	s_and_b64 vcc, exec, s[6:7]
	s_cbranch_vccz .LBB145_979
; %bb.965:
	s_cmp_lt_i32 s13, 27
	s_mov_b64 s[6:7], -1
	s_cbranch_scc1 .LBB145_971
; %bb.966:
	v_cvt_u32_f32_e32 v4, v0
	s_cmp_gt_i32 s13, 27
	s_cbranch_scc0 .LBB145_968
; %bb.967:
	global_store_dword v[2:3], v4, off
	s_mov_b64 s[6:7], 0
.LBB145_968:
	s_andn2_b64 vcc, exec, s[6:7]
	s_cbranch_vccnz .LBB145_970
; %bb.969:
	global_store_short v[2:3], v4, off
.LBB145_970:
	s_mov_b64 s[6:7], 0
.LBB145_971:
	s_andn2_b64 vcc, exec, s[6:7]
	s_cbranch_vccnz .LBB145_979
; %bb.972:
	v_and_b32_e32 v4, 0x7fffffff, v0
	s_mov_b32 s6, 0x43800000
	v_cmp_gt_u32_e32 vcc, s6, v4
	v_mov_b32_e32 v5, 0x80
	s_and_saveexec_b64 s[6:7], vcc
	s_cbranch_execz .LBB145_978
; %bb.973:
	s_mov_b32 s8, 0x3bffffff
	v_cmp_lt_u32_e32 vcc, s8, v4
	s_mov_b64 s[8:9], 0
                                        ; implicit-def: $vgpr4
	s_and_saveexec_b64 s[10:11], vcc
	s_xor_b64 s[10:11], exec, s[10:11]
	s_cbranch_execz .LBB145_1122
; %bb.974:
	v_bfe_u32 v4, v0, 20, 1
	s_mov_b32 s14, 0x487ffff
	v_add3_u32 v4, v0, v4, s14
	s_mov_b64 s[8:9], exec
	v_lshrrev_b32_e32 v4, 20, v4
	s_andn2_saveexec_b64 s[10:11], s[10:11]
	s_cbranch_execnz .LBB145_1123
.LBB145_975:
	s_or_b64 exec, exec, s[10:11]
	v_mov_b32_e32 v5, 0
	s_and_saveexec_b64 s[10:11], s[8:9]
.LBB145_976:
	v_lshrrev_b32_e32 v5, 24, v0
	s_movk_i32 s8, 0x80
	v_and_or_b32 v5, v5, s8, v4
.LBB145_977:
	s_or_b64 exec, exec, s[10:11]
.LBB145_978:
	s_or_b64 exec, exec, s[6:7]
	global_store_byte v[2:3], v5, off
.LBB145_979:
	s_mov_b64 s[6:7], 0
.LBB145_980:
	s_and_b64 vcc, exec, s[6:7]
	s_cbranch_vccz .LBB145_1020
; %bb.981:
	s_cmp_gt_i32 s13, 22
	s_mov_b64 s[4:5], -1
	s_cbranch_scc0 .LBB145_1013
; %bb.982:
	s_cmp_lt_i32 s13, 24
	s_cbranch_scc1 .LBB145_1002
; %bb.983:
	s_cmp_gt_i32 s13, 24
	s_cbranch_scc0 .LBB145_991
; %bb.984:
	v_and_b32_e32 v4, 0x7fffffff, v0
	s_mov_b32 s4, 0x47800000
	v_cmp_gt_u32_e32 vcc, s4, v4
	v_mov_b32_e32 v5, 0x80
	s_and_saveexec_b64 s[4:5], vcc
	s_cbranch_execz .LBB145_990
; %bb.985:
	s_mov_b32 s6, 0x37ffffff
	v_cmp_lt_u32_e32 vcc, s6, v4
	s_mov_b64 s[6:7], 0
                                        ; implicit-def: $vgpr4
	s_and_saveexec_b64 s[8:9], vcc
	s_xor_b64 s[8:9], exec, s[8:9]
	s_cbranch_execz .LBB145_1127
; %bb.986:
	v_bfe_u32 v4, v0, 21, 1
	s_mov_b32 s10, 0x88fffff
	v_add3_u32 v4, v0, v4, s10
	s_mov_b64 s[6:7], exec
	v_lshrrev_b32_e32 v4, 21, v4
	s_andn2_saveexec_b64 s[8:9], s[8:9]
	s_cbranch_execnz .LBB145_1128
.LBB145_987:
	s_or_b64 exec, exec, s[8:9]
	v_mov_b32_e32 v5, 0
	s_and_saveexec_b64 s[8:9], s[6:7]
.LBB145_988:
	v_lshrrev_b32_e32 v5, 24, v0
	s_movk_i32 s6, 0x80
	v_and_or_b32 v5, v5, s6, v4
.LBB145_989:
	s_or_b64 exec, exec, s[8:9]
.LBB145_990:
	s_or_b64 exec, exec, s[4:5]
	s_mov_b64 s[4:5], 0
	global_store_byte v[2:3], v5, off
.LBB145_991:
	s_and_b64 vcc, exec, s[4:5]
	s_cbranch_vccz .LBB145_1001
; %bb.992:
	v_and_b32_e32 v5, 0x7fffffff, v0
	s_mov_b32 s4, 0x43f00000
	v_cmp_gt_u32_e32 vcc, s4, v5
                                        ; implicit-def: $vgpr4
	s_and_saveexec_b64 s[4:5], vcc
	s_xor_b64 s[4:5], exec, s[4:5]
	s_cbranch_execz .LBB145_998
; %bb.993:
	s_mov_b32 s6, 0x3c7fffff
	v_cmp_lt_u32_e32 vcc, s6, v5
                                        ; implicit-def: $vgpr4
	s_and_saveexec_b64 s[6:7], vcc
	s_xor_b64 s[6:7], exec, s[6:7]
; %bb.994:
	v_bfe_u32 v4, v0, 20, 1
	s_mov_b32 s8, 0x407ffff
	v_add3_u32 v4, v0, v4, s8
	v_lshrrev_b32_e32 v5, 20, v4
	v_and_b32_e32 v4, 0xff00000, v4
	s_mov_b32 s8, 0x7f00000
	v_mov_b32_e32 v6, 0x7e
	v_cmp_ne_u32_e32 vcc, s8, v4
	s_nop 1
	v_cndmask_b32_e32 v4, v6, v5, vcc
; %bb.995:
	s_andn2_saveexec_b64 s[6:7], s[6:7]
; %bb.996:
	s_mov_b32 s8, 0x46800000
	v_add_f32_e64 v4, |v0|, s8
; %bb.997:
	s_or_b64 exec, exec, s[6:7]
                                        ; implicit-def: $vgpr5
.LBB145_998:
	s_andn2_saveexec_b64 s[4:5], s[4:5]
; %bb.999:
	s_mov_b32 s6, 0x7f800000
	v_mov_b32_e32 v4, 0x7e
	v_mov_b32_e32 v6, 0x7f
	v_cmp_lt_u32_e32 vcc, s6, v5
	s_nop 1
	v_cndmask_b32_e32 v4, v4, v6, vcc
; %bb.1000:
	s_or_b64 exec, exec, s[4:5]
	v_lshrrev_b32_e32 v5, 24, v0
	s_movk_i32 s4, 0x80
	v_and_or_b32 v4, v5, s4, v4
	global_store_byte v[2:3], v4, off
.LBB145_1001:
	s_mov_b64 s[4:5], 0
.LBB145_1002:
	s_andn2_b64 vcc, exec, s[4:5]
	s_cbranch_vccnz .LBB145_1012
; %bb.1003:
	v_and_b32_e32 v5, 0x7fffffff, v0
	s_mov_b32 s4, 0x47800000
	v_cmp_gt_u32_e32 vcc, s4, v5
                                        ; implicit-def: $vgpr4
	s_and_saveexec_b64 s[4:5], vcc
	s_xor_b64 s[4:5], exec, s[4:5]
	s_cbranch_execz .LBB145_1009
; %bb.1004:
	s_mov_b32 s6, 0x387fffff
	v_cmp_lt_u32_e32 vcc, s6, v5
                                        ; implicit-def: $vgpr4
	s_and_saveexec_b64 s[6:7], vcc
	s_xor_b64 s[6:7], exec, s[6:7]
; %bb.1005:
	v_bfe_u32 v4, v0, 21, 1
	s_mov_b32 s8, 0x80fffff
	v_add3_u32 v4, v0, v4, s8
	v_lshrrev_b32_e32 v4, 21, v4
; %bb.1006:
	s_andn2_saveexec_b64 s[6:7], s[6:7]
; %bb.1007:
	s_mov_b32 s8, 0x43000000
	v_add_f32_e64 v4, |v0|, s8
; %bb.1008:
	s_or_b64 exec, exec, s[6:7]
                                        ; implicit-def: $vgpr5
.LBB145_1009:
	s_andn2_saveexec_b64 s[4:5], s[4:5]
; %bb.1010:
	s_mov_b32 s6, 0x7f800000
	v_mov_b32_e32 v4, 0x7c
	v_mov_b32_e32 v6, 0x7f
	v_cmp_lt_u32_e32 vcc, s6, v5
	s_nop 1
	v_cndmask_b32_e32 v4, v4, v6, vcc
; %bb.1011:
	s_or_b64 exec, exec, s[4:5]
	v_lshrrev_b32_e32 v5, 24, v0
	s_movk_i32 s4, 0x80
	v_and_or_b32 v4, v5, s4, v4
	global_store_byte v[2:3], v4, off
.LBB145_1012:
	s_mov_b64 s[4:5], 0
.LBB145_1013:
	s_andn2_b64 vcc, exec, s[4:5]
	s_mov_b64 s[4:5], 0
	s_cbranch_vccnz .LBB145_1020
; %bb.1014:
	s_cmp_gt_i32 s13, 14
	s_mov_b64 s[6:7], -1
	s_cbranch_scc0 .LBB145_1018
; %bb.1015:
	s_cmp_eq_u32 s13, 15
	s_mov_b64 s[0:1], -1
	s_cbranch_scc0 .LBB145_1017
; %bb.1016:
	v_bfe_u32 v4, v0, 16, 1
	s_movk_i32 s0, 0x7fff
	v_add3_u32 v4, v0, v4, s0
	v_cmp_o_f32_e32 vcc, v0, v0
	v_mov_b32_e32 v5, 0x7fc0
	s_mov_b64 s[0:1], 0
	v_cndmask_b32_sdwa v4, v5, v4, vcc dst_sel:DWORD dst_unused:UNUSED_PAD src0_sel:DWORD src1_sel:WORD_1
	global_store_short v[2:3], v4, off
.LBB145_1017:
	s_mov_b64 s[6:7], 0
.LBB145_1018:
	s_and_b64 vcc, exec, s[6:7]
	s_cbranch_vccz .LBB145_1020
; %bb.1019:
	s_cmp_lg_u32 s13, 11
	s_mov_b64 s[4:5], -1
	s_cselect_b64 s[0:1], -1, 0
.LBB145_1020:
	s_and_b64 vcc, exec, s[0:1]
	s_cbranch_vccnz .LBB145_1124
.LBB145_1021:
	s_mov_b64 s[0:1], 0
	s_branch .LBB145_1062
.LBB145_1022:
	s_mov_b64 s[6:7], 0
	s_cbranch_execz .LBB145_945
; %bb.1023:
	s_and_b32 s4, 0xffff, s12
	s_cmp_lt_i32 s4, 5
	s_mov_b64 s[0:1], -1
	s_cbranch_scc1 .LBB145_1044
; %bb.1024:
	s_cmp_lt_i32 s4, 8
	s_cbranch_scc1 .LBB145_1034
; %bb.1025:
	s_cmp_lt_i32 s4, 9
	s_cbranch_scc1 .LBB145_1031
; %bb.1026:
	s_cmp_gt_i32 s4, 9
	s_cbranch_scc0 .LBB145_1028
; %bb.1027:
	v_cvt_f64_f32_e32 v[4:5], v26
	v_cvt_f64_f32_e32 v[6:7], v27
	global_store_dwordx4 v[2:3], v[4:7], off
	s_mov_b64 s[0:1], 0
.LBB145_1028:
	s_andn2_b64 vcc, exec, s[0:1]
	s_cbranch_vccnz .LBB145_1030
; %bb.1029:
	global_store_dwordx2 v[2:3], v[26:27], off
.LBB145_1030:
	s_mov_b64 s[0:1], 0
.LBB145_1031:
	s_andn2_b64 vcc, exec, s[0:1]
	s_cbranch_vccnz .LBB145_1033
; %bb.1032:
	v_cvt_f16_f32_e32 v4, v26
	v_cvt_f16_f32_sdwa v5, v27 dst_sel:WORD_1 dst_unused:UNUSED_PAD src0_sel:DWORD
	s_nop 0
	v_or_b32_e32 v4, v5, v4
	global_store_dword v[2:3], v4, off
.LBB145_1033:
	s_mov_b64 s[0:1], 0
.LBB145_1034:
	s_andn2_b64 vcc, exec, s[0:1]
	s_cbranch_vccnz .LBB145_1043
; %bb.1035:
	s_cmp_lt_i32 s4, 6
	s_mov_b64 s[0:1], -1
	s_cbranch_scc1 .LBB145_1041
; %bb.1036:
	s_cmp_gt_i32 s4, 6
	s_cbranch_scc0 .LBB145_1038
; %bb.1037:
	v_cvt_f64_f32_e32 v[4:5], v26
	global_store_dwordx2 v[2:3], v[4:5], off
	s_mov_b64 s[0:1], 0
.LBB145_1038:
	s_andn2_b64 vcc, exec, s[0:1]
	s_cbranch_vccnz .LBB145_1040
; %bb.1039:
	global_store_dword v[2:3], v26, off
.LBB145_1040:
	s_mov_b64 s[0:1], 0
.LBB145_1041:
	s_andn2_b64 vcc, exec, s[0:1]
	s_cbranch_vccnz .LBB145_1043
; %bb.1042:
	v_cvt_f16_f32_e32 v4, v26
	global_store_short v[2:3], v4, off
.LBB145_1043:
	s_mov_b64 s[0:1], 0
.LBB145_1044:
	s_andn2_b64 vcc, exec, s[0:1]
	s_cbranch_vccnz .LBB145_1060
; %bb.1045:
	s_cmp_lt_i32 s4, 2
	s_mov_b64 s[0:1], -1
	s_cbranch_scc1 .LBB145_1055
; %bb.1046:
	s_cmp_lt_i32 s4, 3
	s_cbranch_scc1 .LBB145_1052
; %bb.1047:
	s_cmp_gt_i32 s4, 3
	s_cbranch_scc0 .LBB145_1049
; %bb.1048:
	v_trunc_f32_e32 v4, v26
	s_mov_b32 s0, 0x2f800000
	v_mul_f32_e64 v5, |v4|, s0
	v_floor_f32_e32 v5, v5
	s_mov_b32 s0, 0xcf800000
	v_cvt_u32_f32_e32 v6, v5
	v_fma_f32 v5, v5, s0, |v4|
	v_cvt_u32_f32_e32 v5, v5
	v_ashrrev_i32_e32 v7, 31, v4
	v_xor_b32_e32 v6, v6, v7
	s_mov_b64 s[0:1], 0
	v_xor_b32_e32 v4, v5, v7
	v_sub_co_u32_e32 v4, vcc, v4, v7
	s_nop 1
	v_subb_co_u32_e32 v5, vcc, v6, v7, vcc
	global_store_dwordx2 v[2:3], v[4:5], off
.LBB145_1049:
	s_andn2_b64 vcc, exec, s[0:1]
	s_cbranch_vccnz .LBB145_1051
; %bb.1050:
	v_cvt_i32_f32_e32 v4, v26
	global_store_dword v[2:3], v4, off
.LBB145_1051:
	s_mov_b64 s[0:1], 0
.LBB145_1052:
	s_andn2_b64 vcc, exec, s[0:1]
	s_cbranch_vccnz .LBB145_1054
; %bb.1053:
	v_cvt_i32_f32_e32 v4, v26
	global_store_short v[2:3], v4, off
.LBB145_1054:
	s_mov_b64 s[0:1], 0
.LBB145_1055:
	s_andn2_b64 vcc, exec, s[0:1]
	s_cbranch_vccnz .LBB145_1060
; %bb.1056:
	s_cmp_gt_i32 s4, 0
	s_mov_b64 s[0:1], -1
	s_cbranch_scc0 .LBB145_1058
; %bb.1057:
	v_cvt_i32_f32_e32 v4, v26
	s_mov_b64 s[0:1], 0
	global_store_byte v[2:3], v4, off
.LBB145_1058:
	s_andn2_b64 vcc, exec, s[0:1]
	s_cbranch_vccnz .LBB145_1060
; %bb.1059:
	v_trunc_f32_e32 v4, v26
	s_mov_b32 s0, 0x2f800000
	v_mul_f32_e64 v5, |v4|, s0
	v_floor_f32_e32 v5, v5
	s_mov_b32 s0, 0xcf800000
	v_fma_f32 v5, v5, s0, |v4|
	v_cvt_u32_f32_e32 v5, v5
	v_ashrrev_i32_e32 v4, 31, v4
	v_xor_b32_e32 v5, v5, v4
	v_sub_u32_e32 v4, v5, v4
	global_store_byte v[2:3], v4, off
.LBB145_1060:
	s_branch .LBB145_946
.LBB145_1061:
	s_mov_b64 s[0:1], 0
	s_mov_b64 s[4:5], 0
                                        ; implicit-def: $sgpr12
                                        ; implicit-def: $vgpr2_vgpr3
.LBB145_1062:
	s_and_b64 s[28:29], s[4:5], exec
	s_andn2_b64 s[4:5], s[40:41], exec
	s_and_b64 s[2:3], s[2:3], exec
	s_and_b64 s[0:1], s[0:1], exec
	s_or_b64 s[40:41], s[4:5], s[2:3]
.LBB145_1063:
	s_or_b64 exec, exec, s[42:43]
	s_and_saveexec_b64 s[2:3], s[40:41]
	s_cbranch_execz .LBB145_1066
; %bb.1064:
	; divergent unreachable
	s_or_b64 exec, exec, s[2:3]
	s_and_saveexec_b64 s[2:3], s[28:29]
	s_xor_b64 s[2:3], exec, s[2:3]
	s_cbranch_execnz .LBB145_1067
.LBB145_1065:
	s_or_b64 exec, exec, s[2:3]
	s_and_saveexec_b64 s[2:3], s[0:1]
	s_cbranch_execnz .LBB145_1068
	s_branch .LBB145_1105
.LBB145_1066:
	s_or_b64 exec, exec, s[2:3]
	s_and_saveexec_b64 s[2:3], s[28:29]
	s_xor_b64 s[2:3], exec, s[2:3]
	s_cbranch_execz .LBB145_1065
.LBB145_1067:
	s_brev_b32 s4, -2
	v_bitop3_b32 v4, v0, s4, v1 bitop3:0xc8
	v_cmp_ne_u32_e32 vcc, 0, v4
	s_nop 1
	v_cndmask_b32_e64 v4, 0, 1, vcc
	global_store_byte v[2:3], v4, off
	s_or_b64 exec, exec, s[2:3]
	s_and_saveexec_b64 s[2:3], s[0:1]
	s_cbranch_execz .LBB145_1105
.LBB145_1068:
	s_sext_i32_i16 s2, s12
	s_cmp_lt_i32 s2, 5
	s_mov_b64 s[0:1], -1
	s_cbranch_scc1 .LBB145_1089
; %bb.1069:
	s_cmp_lt_i32 s2, 8
	s_cbranch_scc1 .LBB145_1079
; %bb.1070:
	s_cmp_lt_i32 s2, 9
	s_cbranch_scc1 .LBB145_1076
; %bb.1071:
	s_cmp_gt_i32 s2, 9
	s_cbranch_scc0 .LBB145_1073
; %bb.1072:
	v_cvt_f64_f32_e32 v[4:5], v0
	v_cvt_f64_f32_e32 v[6:7], v1
	global_store_dwordx4 v[2:3], v[4:7], off
	s_mov_b64 s[0:1], 0
.LBB145_1073:
	s_andn2_b64 vcc, exec, s[0:1]
	s_cbranch_vccnz .LBB145_1075
; %bb.1074:
	global_store_dwordx2 v[2:3], v[0:1], off
.LBB145_1075:
	s_mov_b64 s[0:1], 0
.LBB145_1076:
	s_andn2_b64 vcc, exec, s[0:1]
	s_cbranch_vccnz .LBB145_1078
; %bb.1077:
	v_cvt_f16_f32_e32 v4, v0
	v_cvt_f16_f32_sdwa v1, v1 dst_sel:WORD_1 dst_unused:UNUSED_PAD src0_sel:DWORD
	s_nop 0
	v_or_b32_e32 v1, v1, v4
	global_store_dword v[2:3], v1, off
.LBB145_1078:
	s_mov_b64 s[0:1], 0
.LBB145_1079:
	s_andn2_b64 vcc, exec, s[0:1]
	s_cbranch_vccnz .LBB145_1088
; %bb.1080:
	s_sext_i32_i16 s2, s12
	s_cmp_lt_i32 s2, 6
	s_mov_b64 s[0:1], -1
	s_cbranch_scc1 .LBB145_1086
; %bb.1081:
	s_cmp_gt_i32 s2, 6
	s_cbranch_scc0 .LBB145_1083
; %bb.1082:
	v_cvt_f64_f32_e32 v[4:5], v0
	global_store_dwordx2 v[2:3], v[4:5], off
	s_mov_b64 s[0:1], 0
.LBB145_1083:
	s_andn2_b64 vcc, exec, s[0:1]
	s_cbranch_vccnz .LBB145_1085
; %bb.1084:
	global_store_dword v[2:3], v0, off
.LBB145_1085:
	s_mov_b64 s[0:1], 0
.LBB145_1086:
	s_andn2_b64 vcc, exec, s[0:1]
	s_cbranch_vccnz .LBB145_1088
; %bb.1087:
	v_cvt_f16_f32_e32 v1, v0
	global_store_short v[2:3], v1, off
.LBB145_1088:
	s_mov_b64 s[0:1], 0
.LBB145_1089:
	s_andn2_b64 vcc, exec, s[0:1]
	s_cbranch_vccnz .LBB145_1105
; %bb.1090:
	s_sext_i32_i16 s2, s12
	s_cmp_lt_i32 s2, 2
	s_mov_b64 s[0:1], -1
	s_cbranch_scc1 .LBB145_1100
; %bb.1091:
	s_cmp_lt_i32 s2, 3
	s_cbranch_scc1 .LBB145_1097
; %bb.1092:
	s_cmp_gt_i32 s2, 3
	s_cbranch_scc0 .LBB145_1094
; %bb.1093:
	v_trunc_f32_e32 v1, v0
	s_mov_b32 s0, 0x2f800000
	v_mul_f32_e64 v4, |v1|, s0
	v_floor_f32_e32 v4, v4
	s_mov_b32 s0, 0xcf800000
	v_cvt_u32_f32_e32 v5, v4
	v_fma_f32 v4, v4, s0, |v1|
	v_cvt_u32_f32_e32 v4, v4
	v_ashrrev_i32_e32 v1, 31, v1
	v_xor_b32_e32 v5, v5, v1
	s_mov_b64 s[0:1], 0
	v_xor_b32_e32 v4, v4, v1
	v_sub_co_u32_e32 v4, vcc, v4, v1
	s_nop 1
	v_subb_co_u32_e32 v5, vcc, v5, v1, vcc
	global_store_dwordx2 v[2:3], v[4:5], off
.LBB145_1094:
	s_andn2_b64 vcc, exec, s[0:1]
	s_cbranch_vccnz .LBB145_1096
; %bb.1095:
	v_cvt_i32_f32_e32 v1, v0
	global_store_dword v[2:3], v1, off
.LBB145_1096:
	s_mov_b64 s[0:1], 0
.LBB145_1097:
	s_andn2_b64 vcc, exec, s[0:1]
	s_cbranch_vccnz .LBB145_1099
; %bb.1098:
	v_cvt_i32_f32_e32 v1, v0
	global_store_short v[2:3], v1, off
.LBB145_1099:
	s_mov_b64 s[0:1], 0
.LBB145_1100:
	s_andn2_b64 vcc, exec, s[0:1]
	s_cbranch_vccnz .LBB145_1105
; %bb.1101:
	s_sext_i32_i16 s0, s12
	s_cmp_gt_i32 s0, 0
	s_mov_b64 s[0:1], -1
	s_cbranch_scc0 .LBB145_1103
; %bb.1102:
	v_cvt_i32_f32_e32 v1, v0
	s_mov_b64 s[0:1], 0
	global_store_byte v[2:3], v1, off
.LBB145_1103:
	s_andn2_b64 vcc, exec, s[0:1]
	s_cbranch_vccnz .LBB145_1105
; %bb.1104:
	v_trunc_f32_e32 v0, v0
	s_mov_b32 s0, 0x2f800000
	v_mul_f32_e64 v1, |v0|, s0
	v_floor_f32_e32 v1, v1
	s_mov_b32 s0, 0xcf800000
	v_fma_f32 v1, v1, s0, |v0|
	v_cvt_u32_f32_e32 v1, v1
	v_ashrrev_i32_e32 v0, 31, v0
	v_xor_b32_e32 v1, v1, v0
	v_sub_u32_e32 v0, v1, v0
	global_store_byte v[2:3], v0, off
	s_endpgm
.LBB145_1105:
	s_endpgm
.LBB145_1106:
	s_mov_b64 s[4:5], 0
	s_mov_b64 s[0:1], -1
	s_branch .LBB145_1062
.LBB145_1107:
	s_andn2_saveexec_b64 s[8:9], s[8:9]
	s_cbranch_execz .LBB145_659
.LBB145_1108:
	s_mov_b32 s12, 0x46000000
	v_add_f32_e64 v4, |v30|, s12
	v_and_b32_e32 v4, 0xff, v4
	v_cmp_ne_u32_e32 vcc, 0, v4
	s_andn2_b64 s[6:7], s[6:7], exec
	s_and_b64 s[12:13], vcc, exec
	s_or_b64 s[6:7], s[6:7], s[12:13]
	s_or_b64 exec, exec, s[8:9]
	v_mov_b32_e32 v5, 0
	s_and_saveexec_b64 s[8:9], s[6:7]
	s_cbranch_execnz .LBB145_660
	s_branch .LBB145_661
.LBB145_1109:
	s_or_b64 s[2:3], s[40:41], exec
	s_trap 2
	s_cbranch_execz .LBB145_707
	s_branch .LBB145_708
.LBB145_1110:
	s_andn2_saveexec_b64 s[6:7], s[6:7]
	s_cbranch_execz .LBB145_672
.LBB145_1111:
	s_mov_b32 s8, 0x42800000
	v_add_f32_e64 v4, |v30|, s8
	v_and_b32_e32 v4, 0xff, v4
	v_cmp_ne_u32_e32 vcc, 0, v4
	s_andn2_b64 s[4:5], s[4:5], exec
	s_and_b64 s[8:9], vcc, exec
	s_or_b64 s[4:5], s[4:5], s[8:9]
	s_or_b64 exec, exec, s[6:7]
	v_mov_b32_e32 v5, 0
	s_and_saveexec_b64 s[6:7], s[4:5]
	s_cbranch_execnz .LBB145_673
	s_branch .LBB145_674
.LBB145_1112:
	s_andn2_saveexec_b64 s[10:11], s[10:11]
	s_cbranch_execz .LBB145_777
.LBB145_1113:
	s_mov_b32 s14, 0x46000000
	v_add_f32_e64 v4, |v28|, s14
	v_and_b32_e32 v4, 0xff, v4
	v_cmp_ne_u32_e32 vcc, 0, v4
	s_andn2_b64 s[8:9], s[8:9], exec
	s_and_b64 s[14:15], vcc, exec
	s_or_b64 s[8:9], s[8:9], s[14:15]
	s_or_b64 exec, exec, s[10:11]
	v_mov_b32_e32 v5, 0
	s_and_saveexec_b64 s[10:11], s[8:9]
	s_cbranch_execnz .LBB145_778
	s_branch .LBB145_779
.LBB145_1114:
	s_trap 2
	s_or_b64 s[2:3], s[2:3], exec
	s_cbranch_execz .LBB145_825
	s_branch .LBB145_826
.LBB145_1115:
	s_andn2_saveexec_b64 s[8:9], s[8:9]
	s_cbranch_execz .LBB145_790
.LBB145_1116:
	s_mov_b32 s10, 0x42800000
	v_add_f32_e64 v4, |v28|, s10
	v_and_b32_e32 v4, 0xff, v4
	v_cmp_ne_u32_e32 vcc, 0, v4
	s_andn2_b64 s[6:7], s[6:7], exec
	s_and_b64 s[10:11], vcc, exec
	s_or_b64 s[6:7], s[6:7], s[10:11]
	s_or_b64 exec, exec, s[8:9]
	v_mov_b32_e32 v5, 0
	s_and_saveexec_b64 s[8:9], s[6:7]
	s_cbranch_execnz .LBB145_791
	s_branch .LBB145_792
.LBB145_1117:
	s_andn2_saveexec_b64 s[10:11], s[10:11]
	s_cbranch_execz .LBB145_895
.LBB145_1118:
	s_mov_b32 s14, 0x46000000
	v_add_f32_e64 v4, |v26|, s14
	v_and_b32_e32 v4, 0xff, v4
	v_cmp_ne_u32_e32 vcc, 0, v4
	s_andn2_b64 s[8:9], s[8:9], exec
	s_and_b64 s[14:15], vcc, exec
	s_or_b64 s[8:9], s[8:9], s[14:15]
	s_or_b64 exec, exec, s[10:11]
	v_mov_b32_e32 v5, 0
	s_and_saveexec_b64 s[10:11], s[8:9]
	s_cbranch_execnz .LBB145_896
	s_branch .LBB145_897
.LBB145_1119:
	s_trap 2
	s_or_b64 s[2:3], s[2:3], exec
	s_cbranch_execz .LBB145_943
	s_branch .LBB145_944
.LBB145_1120:
	s_andn2_saveexec_b64 s[8:9], s[8:9]
	s_cbranch_execz .LBB145_908
.LBB145_1121:
	s_mov_b32 s10, 0x42800000
	v_add_f32_e64 v4, |v26|, s10
	v_and_b32_e32 v4, 0xff, v4
	v_cmp_ne_u32_e32 vcc, 0, v4
	s_andn2_b64 s[6:7], s[6:7], exec
	s_and_b64 s[10:11], vcc, exec
	s_or_b64 s[6:7], s[6:7], s[10:11]
	s_or_b64 exec, exec, s[8:9]
	v_mov_b32_e32 v5, 0
	s_and_saveexec_b64 s[8:9], s[6:7]
	s_cbranch_execnz .LBB145_909
	s_branch .LBB145_910
.LBB145_1122:
	s_andn2_saveexec_b64 s[10:11], s[10:11]
	s_cbranch_execz .LBB145_975
.LBB145_1123:
	s_mov_b32 s14, 0x46000000
	v_add_f32_e64 v4, |v0|, s14
	v_and_b32_e32 v4, 0xff, v4
	v_cmp_ne_u32_e32 vcc, 0, v4
	s_andn2_b64 s[8:9], s[8:9], exec
	s_and_b64 s[14:15], vcc, exec
	s_or_b64 s[8:9], s[8:9], s[14:15]
	s_or_b64 exec, exec, s[10:11]
	v_mov_b32_e32 v5, 0
	s_and_saveexec_b64 s[10:11], s[8:9]
	s_cbranch_execnz .LBB145_976
	s_branch .LBB145_977
.LBB145_1124:
	s_mov_b64 s[4:5], 0
	s_or_b64 s[2:3], s[2:3], exec
	s_trap 2
	s_branch .LBB145_1021
.LBB145_1125:
	s_andn2_saveexec_b64 s[6:7], s[6:7]
	s_cbranch_execz .LBB145_484
.LBB145_1126:
	s_mov_b32 s8, 0x46000000
	v_add_f32_e64 v4, |v0|, s8
	v_and_b32_e32 v4, 0xff, v4
	v_cmp_ne_u32_e32 vcc, 0, v4
	s_andn2_b64 s[4:5], s[4:5], exec
	s_and_b64 s[8:9], vcc, exec
	s_or_b64 s[4:5], s[4:5], s[8:9]
	s_or_b64 exec, exec, s[6:7]
	v_mov_b32_e32 v5, 0
	s_and_saveexec_b64 s[6:7], s[4:5]
	s_cbranch_execnz .LBB145_485
	s_branch .LBB145_486
.LBB145_1127:
	s_andn2_saveexec_b64 s[8:9], s[8:9]
	s_cbranch_execz .LBB145_987
.LBB145_1128:
	s_mov_b32 s10, 0x42800000
	v_add_f32_e64 v4, |v0|, s10
	v_and_b32_e32 v4, 0xff, v4
	v_cmp_ne_u32_e32 vcc, 0, v4
	s_andn2_b64 s[6:7], s[6:7], exec
	s_and_b64 s[10:11], vcc, exec
	s_or_b64 s[6:7], s[6:7], s[10:11]
	s_or_b64 exec, exec, s[8:9]
	v_mov_b32_e32 v5, 0
	s_and_saveexec_b64 s[8:9], s[6:7]
	s_cbranch_execnz .LBB145_988
	s_branch .LBB145_989
.LBB145_1129:
	s_andn2_saveexec_b64 s[8:9], s[8:9]
	s_cbranch_execz .LBB145_496
.LBB145_1130:
	s_mov_b32 s12, 0x42800000
	v_add_f32_e64 v4, |v0|, s12
	v_and_b32_e32 v4, 0xff, v4
	v_cmp_ne_u32_e32 vcc, 0, v4
	s_andn2_b64 s[6:7], s[6:7], exec
	s_and_b64 s[12:13], vcc, exec
	s_or_b64 s[6:7], s[6:7], s[12:13]
	s_or_b64 exec, exec, s[8:9]
	v_mov_b32_e32 v5, 0
	s_and_saveexec_b64 s[8:9], s[6:7]
	s_cbranch_execnz .LBB145_497
	s_branch .LBB145_498
	.section	.rodata,"a",@progbits
	.p2align	6, 0x0
	.amdhsa_kernel _ZN2at6native32elementwise_kernel_manual_unrollILi128ELi4EZNS0_15gpu_kernel_implIZZZNS0_17expm1_kernel_cudaERNS_18TensorIteratorBaseEENKUlvE_clEvENKUlvE2_clEvEUlN3c107complexIfEEE_EEvS4_RKT_EUlibE0_EEviT1_
		.amdhsa_group_segment_fixed_size 0
		.amdhsa_private_segment_fixed_size 0
		.amdhsa_kernarg_size 360
		.amdhsa_user_sgpr_count 2
		.amdhsa_user_sgpr_dispatch_ptr 0
		.amdhsa_user_sgpr_queue_ptr 0
		.amdhsa_user_sgpr_kernarg_segment_ptr 1
		.amdhsa_user_sgpr_dispatch_id 0
		.amdhsa_user_sgpr_kernarg_preload_length 0
		.amdhsa_user_sgpr_kernarg_preload_offset 0
		.amdhsa_user_sgpr_private_segment_size 0
		.amdhsa_uses_dynamic_stack 0
		.amdhsa_enable_private_segment 0
		.amdhsa_system_sgpr_workgroup_id_x 1
		.amdhsa_system_sgpr_workgroup_id_y 0
		.amdhsa_system_sgpr_workgroup_id_z 0
		.amdhsa_system_sgpr_workgroup_info 0
		.amdhsa_system_vgpr_workitem_id 0
		.amdhsa_next_free_vgpr 44
		.amdhsa_next_free_sgpr 75
		.amdhsa_accum_offset 44
		.amdhsa_reserve_vcc 1
		.amdhsa_float_round_mode_32 0
		.amdhsa_float_round_mode_16_64 0
		.amdhsa_float_denorm_mode_32 3
		.amdhsa_float_denorm_mode_16_64 3
		.amdhsa_dx10_clamp 1
		.amdhsa_ieee_mode 1
		.amdhsa_fp16_overflow 0
		.amdhsa_tg_split 0
		.amdhsa_exception_fp_ieee_invalid_op 0
		.amdhsa_exception_fp_denorm_src 0
		.amdhsa_exception_fp_ieee_div_zero 0
		.amdhsa_exception_fp_ieee_overflow 0
		.amdhsa_exception_fp_ieee_underflow 0
		.amdhsa_exception_fp_ieee_inexact 0
		.amdhsa_exception_int_div_zero 0
	.end_amdhsa_kernel
	.section	.text._ZN2at6native32elementwise_kernel_manual_unrollILi128ELi4EZNS0_15gpu_kernel_implIZZZNS0_17expm1_kernel_cudaERNS_18TensorIteratorBaseEENKUlvE_clEvENKUlvE2_clEvEUlN3c107complexIfEEE_EEvS4_RKT_EUlibE0_EEviT1_,"axG",@progbits,_ZN2at6native32elementwise_kernel_manual_unrollILi128ELi4EZNS0_15gpu_kernel_implIZZZNS0_17expm1_kernel_cudaERNS_18TensorIteratorBaseEENKUlvE_clEvENKUlvE2_clEvEUlN3c107complexIfEEE_EEvS4_RKT_EUlibE0_EEviT1_,comdat
.Lfunc_end145:
	.size	_ZN2at6native32elementwise_kernel_manual_unrollILi128ELi4EZNS0_15gpu_kernel_implIZZZNS0_17expm1_kernel_cudaERNS_18TensorIteratorBaseEENKUlvE_clEvENKUlvE2_clEvEUlN3c107complexIfEEE_EEvS4_RKT_EUlibE0_EEviT1_, .Lfunc_end145-_ZN2at6native32elementwise_kernel_manual_unrollILi128ELi4EZNS0_15gpu_kernel_implIZZZNS0_17expm1_kernel_cudaERNS_18TensorIteratorBaseEENKUlvE_clEvENKUlvE2_clEvEUlN3c107complexIfEEE_EEvS4_RKT_EUlibE0_EEviT1_
                                        ; -- End function
	.set _ZN2at6native32elementwise_kernel_manual_unrollILi128ELi4EZNS0_15gpu_kernel_implIZZZNS0_17expm1_kernel_cudaERNS_18TensorIteratorBaseEENKUlvE_clEvENKUlvE2_clEvEUlN3c107complexIfEEE_EEvS4_RKT_EUlibE0_EEviT1_.num_vgpr, max(44, .L_ZN2at6native6invokeIZZZNS0_17expm1_kernel_cudaERNS_18TensorIteratorBaseEENKUlvE_clEvENKUlvE2_clEvEUlN3c107complexIfEEE_j15function_traitsIS9_EEENT1_11result_typeERKT_PrKPcPKT0_PKNS6_10ScalarTypeEi.num_vgpr)
	.set _ZN2at6native32elementwise_kernel_manual_unrollILi128ELi4EZNS0_15gpu_kernel_implIZZZNS0_17expm1_kernel_cudaERNS_18TensorIteratorBaseEENKUlvE_clEvENKUlvE2_clEvEUlN3c107complexIfEEE_EEvS4_RKT_EUlibE0_EEviT1_.num_agpr, max(0, .L_ZN2at6native6invokeIZZZNS0_17expm1_kernel_cudaERNS_18TensorIteratorBaseEENKUlvE_clEvENKUlvE2_clEvEUlN3c107complexIfEEE_j15function_traitsIS9_EEENT1_11result_typeERKT_PrKPcPKT0_PKNS6_10ScalarTypeEi.num_agpr)
	.set _ZN2at6native32elementwise_kernel_manual_unrollILi128ELi4EZNS0_15gpu_kernel_implIZZZNS0_17expm1_kernel_cudaERNS_18TensorIteratorBaseEENKUlvE_clEvENKUlvE2_clEvEUlN3c107complexIfEEE_EEvS4_RKT_EUlibE0_EEviT1_.numbered_sgpr, max(75, .L_ZN2at6native6invokeIZZZNS0_17expm1_kernel_cudaERNS_18TensorIteratorBaseEENKUlvE_clEvENKUlvE2_clEvEUlN3c107complexIfEEE_j15function_traitsIS9_EEENT1_11result_typeERKT_PrKPcPKT0_PKNS6_10ScalarTypeEi.numbered_sgpr)
	.set _ZN2at6native32elementwise_kernel_manual_unrollILi128ELi4EZNS0_15gpu_kernel_implIZZZNS0_17expm1_kernel_cudaERNS_18TensorIteratorBaseEENKUlvE_clEvENKUlvE2_clEvEUlN3c107complexIfEEE_EEvS4_RKT_EUlibE0_EEviT1_.num_named_barrier, max(0, .L_ZN2at6native6invokeIZZZNS0_17expm1_kernel_cudaERNS_18TensorIteratorBaseEENKUlvE_clEvENKUlvE2_clEvEUlN3c107complexIfEEE_j15function_traitsIS9_EEENT1_11result_typeERKT_PrKPcPKT0_PKNS6_10ScalarTypeEi.num_named_barrier)
	.set _ZN2at6native32elementwise_kernel_manual_unrollILi128ELi4EZNS0_15gpu_kernel_implIZZZNS0_17expm1_kernel_cudaERNS_18TensorIteratorBaseEENKUlvE_clEvENKUlvE2_clEvEUlN3c107complexIfEEE_EEvS4_RKT_EUlibE0_EEviT1_.private_seg_size, 0+max(.L_ZN2at6native6invokeIZZZNS0_17expm1_kernel_cudaERNS_18TensorIteratorBaseEENKUlvE_clEvENKUlvE2_clEvEUlN3c107complexIfEEE_j15function_traitsIS9_EEENT1_11result_typeERKT_PrKPcPKT0_PKNS6_10ScalarTypeEi.private_seg_size)
	.set _ZN2at6native32elementwise_kernel_manual_unrollILi128ELi4EZNS0_15gpu_kernel_implIZZZNS0_17expm1_kernel_cudaERNS_18TensorIteratorBaseEENKUlvE_clEvENKUlvE2_clEvEUlN3c107complexIfEEE_EEvS4_RKT_EUlibE0_EEviT1_.uses_vcc, or(1, .L_ZN2at6native6invokeIZZZNS0_17expm1_kernel_cudaERNS_18TensorIteratorBaseEENKUlvE_clEvENKUlvE2_clEvEUlN3c107complexIfEEE_j15function_traitsIS9_EEENT1_11result_typeERKT_PrKPcPKT0_PKNS6_10ScalarTypeEi.uses_vcc)
	.set _ZN2at6native32elementwise_kernel_manual_unrollILi128ELi4EZNS0_15gpu_kernel_implIZZZNS0_17expm1_kernel_cudaERNS_18TensorIteratorBaseEENKUlvE_clEvENKUlvE2_clEvEUlN3c107complexIfEEE_EEvS4_RKT_EUlibE0_EEviT1_.uses_flat_scratch, or(0, .L_ZN2at6native6invokeIZZZNS0_17expm1_kernel_cudaERNS_18TensorIteratorBaseEENKUlvE_clEvENKUlvE2_clEvEUlN3c107complexIfEEE_j15function_traitsIS9_EEENT1_11result_typeERKT_PrKPcPKT0_PKNS6_10ScalarTypeEi.uses_flat_scratch)
	.set _ZN2at6native32elementwise_kernel_manual_unrollILi128ELi4EZNS0_15gpu_kernel_implIZZZNS0_17expm1_kernel_cudaERNS_18TensorIteratorBaseEENKUlvE_clEvENKUlvE2_clEvEUlN3c107complexIfEEE_EEvS4_RKT_EUlibE0_EEviT1_.has_dyn_sized_stack, or(0, .L_ZN2at6native6invokeIZZZNS0_17expm1_kernel_cudaERNS_18TensorIteratorBaseEENKUlvE_clEvENKUlvE2_clEvEUlN3c107complexIfEEE_j15function_traitsIS9_EEENT1_11result_typeERKT_PrKPcPKT0_PKNS6_10ScalarTypeEi.has_dyn_sized_stack)
	.set _ZN2at6native32elementwise_kernel_manual_unrollILi128ELi4EZNS0_15gpu_kernel_implIZZZNS0_17expm1_kernel_cudaERNS_18TensorIteratorBaseEENKUlvE_clEvENKUlvE2_clEvEUlN3c107complexIfEEE_EEvS4_RKT_EUlibE0_EEviT1_.has_recursion, or(0, .L_ZN2at6native6invokeIZZZNS0_17expm1_kernel_cudaERNS_18TensorIteratorBaseEENKUlvE_clEvENKUlvE2_clEvEUlN3c107complexIfEEE_j15function_traitsIS9_EEENT1_11result_typeERKT_PrKPcPKT0_PKNS6_10ScalarTypeEi.has_recursion)
	.set _ZN2at6native32elementwise_kernel_manual_unrollILi128ELi4EZNS0_15gpu_kernel_implIZZZNS0_17expm1_kernel_cudaERNS_18TensorIteratorBaseEENKUlvE_clEvENKUlvE2_clEvEUlN3c107complexIfEEE_EEvS4_RKT_EUlibE0_EEviT1_.has_indirect_call, or(0, .L_ZN2at6native6invokeIZZZNS0_17expm1_kernel_cudaERNS_18TensorIteratorBaseEENKUlvE_clEvENKUlvE2_clEvEUlN3c107complexIfEEE_j15function_traitsIS9_EEENT1_11result_typeERKT_PrKPcPKT0_PKNS6_10ScalarTypeEi.has_indirect_call)
	.section	.AMDGPU.csdata,"",@progbits
; Kernel info:
; codeLenInByte = 22892
; TotalNumSgprs: 81
; NumVgprs: 44
; NumAgprs: 0
; TotalNumVgprs: 44
; ScratchSize: 0
; MemoryBound: 0
; FloatMode: 240
; IeeeMode: 1
; LDSByteSize: 0 bytes/workgroup (compile time only)
; SGPRBlocks: 10
; VGPRBlocks: 5
; NumSGPRsForWavesPerEU: 81
; NumVGPRsForWavesPerEU: 44
; AccumOffset: 44
; Occupancy: 8
; WaveLimiterHint : 1
; COMPUTE_PGM_RSRC2:SCRATCH_EN: 0
; COMPUTE_PGM_RSRC2:USER_SGPR: 2
; COMPUTE_PGM_RSRC2:TRAP_HANDLER: 0
; COMPUTE_PGM_RSRC2:TGID_X_EN: 1
; COMPUTE_PGM_RSRC2:TGID_Y_EN: 0
; COMPUTE_PGM_RSRC2:TGID_Z_EN: 0
; COMPUTE_PGM_RSRC2:TIDIG_COMP_CNT: 0
; COMPUTE_PGM_RSRC3_GFX90A:ACCUM_OFFSET: 10
; COMPUTE_PGM_RSRC3_GFX90A:TG_SPLIT: 0
	.section	.text._ZN2at6native29vectorized_elementwise_kernelILi16EZZZNS0_17expm1_kernel_cudaERNS_18TensorIteratorBaseEENKUlvE_clEvENKUlvE3_clEvEUlN3c108BFloat16EE_St5arrayIPcLm2EEEEviT0_T1_,"axG",@progbits,_ZN2at6native29vectorized_elementwise_kernelILi16EZZZNS0_17expm1_kernel_cudaERNS_18TensorIteratorBaseEENKUlvE_clEvENKUlvE3_clEvEUlN3c108BFloat16EE_St5arrayIPcLm2EEEEviT0_T1_,comdat
	.globl	_ZN2at6native29vectorized_elementwise_kernelILi16EZZZNS0_17expm1_kernel_cudaERNS_18TensorIteratorBaseEENKUlvE_clEvENKUlvE3_clEvEUlN3c108BFloat16EE_St5arrayIPcLm2EEEEviT0_T1_ ; -- Begin function _ZN2at6native29vectorized_elementwise_kernelILi16EZZZNS0_17expm1_kernel_cudaERNS_18TensorIteratorBaseEENKUlvE_clEvENKUlvE3_clEvEUlN3c108BFloat16EE_St5arrayIPcLm2EEEEviT0_T1_
	.p2align	8
	.type	_ZN2at6native29vectorized_elementwise_kernelILi16EZZZNS0_17expm1_kernel_cudaERNS_18TensorIteratorBaseEENKUlvE_clEvENKUlvE3_clEvEUlN3c108BFloat16EE_St5arrayIPcLm2EEEEviT0_T1_,@function
_ZN2at6native29vectorized_elementwise_kernelILi16EZZZNS0_17expm1_kernel_cudaERNS_18TensorIteratorBaseEENKUlvE_clEvENKUlvE3_clEvEUlN3c108BFloat16EE_St5arrayIPcLm2EEEEviT0_T1_: ; @_ZN2at6native29vectorized_elementwise_kernelILi16EZZZNS0_17expm1_kernel_cudaERNS_18TensorIteratorBaseEENKUlvE_clEvENKUlvE3_clEvEUlN3c108BFloat16EE_St5arrayIPcLm2EEEEviT0_T1_
; %bb.0:
	s_load_dword s3, s[0:1], 0x0
	s_load_dwordx4 s[8:11], s[0:1], 0x8
	s_lshl_b32 s6, s2, 11
	s_mov_b64 s[0:1], -1
	s_waitcnt lgkmcnt(0)
	s_sub_i32 s15, s3, s6
	s_cmpk_gt_i32 s15, 0x7ff
	s_cbranch_scc0 .LBB146_2
; %bb.1:
	s_ashr_i32 s7, s6, 31
	s_lshl_b64 s[0:1], s[6:7], 1
	s_add_u32 s2, s10, s0
	s_addc_u32 s3, s11, s1
	v_lshlrev_b32_e32 v1, 4, v0
	global_load_dwordx4 v[2:5], v1, s[2:3]
	s_mov_b32 s14, 0x3f317218
	s_mov_b32 s16, 0xb102e308
	;; [unrolled: 1-line block ×6, first 2 shown]
	v_mov_b64_e32 v[6:7], s[2:3]
	s_mov_b32 s20, 0x3c0887f9
	s_movk_i32 s21, 0x7fff
	s_mov_b32 s22, 0x3d2aaa81
	s_mov_b32 s24, 0x3e2aaaab
	;; [unrolled: 1-line block ×3, first 2 shown]
	s_add_u32 s12, s8, s0
	v_mov_b32_e32 v26, 0x7f000000
	s_addc_u32 s13, s9, s1
	v_mov_b32_e32 v27, 0x7f800000
	s_waitcnt vmcnt(0)
	v_and_b32_e32 v9, 0xffff0000, v3
	v_lshlrev_b32_e32 v8, 16, v3
	v_and_b32_e32 v3, 0xffff0000, v2
	v_lshlrev_b32_e32 v2, 16, v2
	v_mul_f32_e32 v10, 0x3fb8aa3b, v2
	v_mul_f32_e32 v11, 0x3fb8aa3b, v3
	;; [unrolled: 1-line block ×4, first 2 shown]
	v_rndne_f32_e32 v20, v10
	v_rndne_f32_e32 v21, v11
	;; [unrolled: 1-line block ×4, first 2 shown]
	v_xor_b32_e32 v11, 0x80000000, v19
	v_xor_b32_e32 v10, 0x80000000, v18
	;; [unrolled: 1-line block ×4, first 2 shown]
	v_pk_fma_f32 v[14:15], v[12:13], s[14:15], v[2:3] op_sel_hi:[1,0,1]
	v_pk_fma_f32 v[16:17], v[10:11], s[14:15], v[8:9] op_sel_hi:[1,0,1]
	;; [unrolled: 1-line block ×4, first 2 shown]
	v_cvt_i32_f32_e32 v22, v20
	v_cvt_i32_f32_e32 v23, v21
	;; [unrolled: 1-line block ×4, first 2 shown]
	v_pk_fma_f32 v[14:15], v[12:13], s[18:19], v[6:7] op_sel_hi:[1,0,0]
	v_pk_fma_f32 v[16:17], v[10:11], s[18:19], v[6:7] op_sel_hi:[1,0,0]
	;; [unrolled: 1-line block ×8, first 2 shown]
	v_ldexp_f32 v22, 1.0, v22
	v_ldexp_f32 v23, 1.0, v23
	;; [unrolled: 1-line block ×4, first 2 shown]
	v_cmp_eq_f32_e32 vcc, s7, v19
	v_cmp_eq_f32_e64 s[0:1], s7, v18
	v_cmp_eq_f32_e64 s[2:3], s7, v21
	;; [unrolled: 1-line block ×3, first 2 shown]
	v_pk_fma_f32 v[14:15], v[12:13], v[14:15], 0.5 op_sel_hi:[1,1,0]
	v_pk_fma_f32 v[16:17], v[10:11], v[16:17], 0.5 op_sel_hi:[1,1,0]
	v_cndmask_b32_e32 v19, v25, v26, vcc
	v_cndmask_b32_e64 v18, v24, v26, s[0:1]
	v_cndmask_b32_e64 v21, v23, v26, s[2:3]
	;; [unrolled: 1-line block ×3, first 2 shown]
	v_pk_mul_f32 v[16:17], v[10:11], v[16:17]
	v_pk_mul_f32 v[14:15], v[12:13], v[14:15]
	v_pk_add_f32 v[22:23], v[20:21], -1.0 op_sel_hi:[1,0]
	v_pk_add_f32 v[24:25], v[18:19], -1.0 op_sel_hi:[1,0]
	v_pk_fma_f32 v[12:13], v[12:13], v[14:15], v[12:13]
	v_pk_fma_f32 v[10:11], v[10:11], v[16:17], v[10:11]
	;; [unrolled: 1-line block ×4, first 2 shown]
	v_pk_add_f32 v[14:15], v[12:13], v[12:13]
	v_pk_add_f32 v[16:17], v[10:11], v[10:11]
	v_cndmask_b32_e64 v12, v12, v14, s[4:5]
	v_cndmask_b32_e32 v11, v11, v17, vcc
	v_cmp_nlt_f32_e32 vcc, s17, v2
	v_cndmask_b32_e64 v13, v13, v15, s[2:3]
	v_cndmask_b32_e64 v10, v10, v16, s[0:1]
	v_cndmask_b32_e32 v12, v27, v12, vcc
	v_cmp_nlt_f32_e32 vcc, s17, v3
	v_mov_b32_e32 v18, 0x7fc0
	s_nop 0
	v_cndmask_b32_e32 v13, v27, v13, vcc
	v_cmp_nlt_f32_e32 vcc, s17, v8
	s_nop 1
	v_cndmask_b32_e32 v10, v27, v10, vcc
	v_cmp_nlt_f32_e32 vcc, s17, v9
	s_nop 1
	v_cndmask_b32_e32 v11, v27, v11, vcc
	v_cmp_ngt_f32_e32 vcc, s19, v9
	s_nop 1
	v_cndmask_b32_e32 v9, -1.0, v11, vcc
	v_cmp_ngt_f32_e32 vcc, s19, v8
	s_nop 1
	v_cndmask_b32_e32 v8, -1.0, v10, vcc
	;; [unrolled: 3-line block ×3, first 2 shown]
	v_cmp_ngt_f32_e32 vcc, s19, v2
	v_bfe_u32 v11, v3, 16, 1
	v_add3_u32 v11, v3, v11, s21
	v_cndmask_b32_e32 v2, -1.0, v12, vcc
	v_bfe_u32 v10, v2, 16, 1
	v_add3_u32 v10, v2, v10, s21
	v_lshrrev_b32_e32 v10, 16, v10
	v_cmp_o_f32_e32 vcc, v2, v2
	v_bfe_u32 v12, v8, 16, 1
	v_lshrrev_b32_e32 v11, 16, v11
	v_cndmask_b32_e32 v19, v18, v10, vcc
	v_cmp_o_f32_e32 vcc, v3, v3
	v_and_b32_e32 v3, 0xffff0000, v5
	v_lshlrev_b32_e32 v2, 16, v5
	v_and_b32_e32 v5, 0xffff0000, v4
	v_lshlrev_b32_e32 v4, 16, v4
	v_add3_u32 v12, v8, v12, s21
	v_cndmask_b32_e32 v20, v18, v11, vcc
	v_cmp_o_f32_e32 vcc, v8, v8
	v_mul_f32_e32 v8, 0x3fb8aa3b, v4
	v_rndne_f32_e32 v16, v8
	v_mul_f32_e32 v8, 0x3fb8aa3b, v5
	v_rndne_f32_e32 v17, v8
	v_mul_f32_e32 v8, 0x3fb8aa3b, v2
	v_bfe_u32 v13, v9, 16, 1
	v_rndne_f32_e32 v23, v8
	v_mul_f32_e32 v8, 0x3fb8aa3b, v3
	v_add3_u32 v13, v9, v13, s21
	v_lshrrev_b32_e32 v12, 16, v12
	v_rndne_f32_e32 v24, v8
	v_lshrrev_b32_e32 v13, 16, v13
	v_cndmask_b32_e32 v21, v18, v12, vcc
	v_cmp_o_f32_e32 vcc, v9, v9
	v_xor_b32_e32 v9, 0x80000000, v24
	v_xor_b32_e32 v8, 0x80000000, v23
	;; [unrolled: 1-line block ×4, first 2 shown]
	v_cndmask_b32_e32 v22, v18, v13, vcc
	v_pk_fma_f32 v[12:13], v[10:11], s[14:15], v[4:5] op_sel_hi:[1,0,1]
	v_pk_fma_f32 v[14:15], v[8:9], s[14:15], v[2:3] op_sel_hi:[1,0,1]
	;; [unrolled: 1-line block ×6, first 2 shown]
	v_cvt_i32_f32_e32 v14, v16
	v_pk_fma_f32 v[6:7], v[8:9], v[6:7], s[20:21] op_sel_hi:[1,1,0]
	v_cvt_i32_f32_e32 v15, v17
	v_cvt_i32_f32_e32 v25, v23
	v_pk_fma_f32 v[12:13], v[10:11], v[12:13], s[20:21] op_sel_hi:[1,1,0]
	v_pk_fma_f32 v[6:7], v[8:9], v[6:7], s[22:23] op_sel_hi:[1,1,0]
	v_cvt_i32_f32_e32 v28, v24
	v_pk_fma_f32 v[12:13], v[10:11], v[12:13], s[22:23] op_sel_hi:[1,1,0]
	v_pk_fma_f32 v[6:7], v[8:9], v[6:7], s[24:25] op_sel_hi:[1,1,0]
	;; [unrolled: 1-line block ×3, first 2 shown]
	v_pk_fma_f32 v[6:7], v[8:9], v[6:7], 0.5 op_sel_hi:[1,1,0]
	v_pk_fma_f32 v[12:13], v[10:11], v[12:13], 0.5 op_sel_hi:[1,1,0]
	v_pk_mul_f32 v[6:7], v[8:9], v[6:7]
	v_ldexp_f32 v14, 1.0, v14
	v_ldexp_f32 v15, 1.0, v15
	;; [unrolled: 1-line block ×3, first 2 shown]
	v_pk_mul_f32 v[12:13], v[10:11], v[12:13]
	v_pk_fma_f32 v[6:7], v[8:9], v[6:7], v[8:9]
	v_ldexp_f32 v8, 1.0, v28
	v_cmp_eq_f32_e32 vcc, s7, v24
	v_cmp_eq_f32_e64 s[0:1], s7, v23
	v_cmp_eq_f32_e64 s[2:3], s7, v17
	v_cmp_eq_f32_e64 s[4:5], s7, v16
	v_pk_fma_f32 v[10:11], v[10:11], v[12:13], v[10:11]
	v_cndmask_b32_e32 v9, v8, v26, vcc
	v_cndmask_b32_e64 v8, v25, v26, s[0:1]
	v_cndmask_b32_e64 v13, v15, v26, s[2:3]
	v_cndmask_b32_e64 v12, v14, v26, s[4:5]
	v_pk_add_f32 v[14:15], v[12:13], -1.0 op_sel_hi:[1,0]
	v_pk_add_f32 v[16:17], v[8:9], -1.0 op_sel_hi:[1,0]
	s_nop 0
	v_pk_fma_f32 v[6:7], v[8:9], v[6:7], v[16:17]
	v_pk_fma_f32 v[8:9], v[12:13], v[10:11], v[14:15]
	v_pk_add_f32 v[12:13], v[6:7], v[6:7]
	v_pk_add_f32 v[10:11], v[8:9], v[8:9]
	v_cndmask_b32_e32 v7, v7, v13, vcc
	v_cndmask_b32_e64 v8, v8, v10, s[4:5]
	v_cmp_nlt_f32_e32 vcc, s17, v4
	v_cndmask_b32_e64 v9, v9, v11, s[2:3]
	v_cndmask_b32_e64 v6, v6, v12, s[0:1]
	v_cndmask_b32_e32 v8, v27, v8, vcc
	v_cmp_nlt_f32_e32 vcc, s17, v5
	s_mov_b32 s0, 0x5040100
	s_nop 0
	v_cndmask_b32_e32 v9, v27, v9, vcc
	v_cmp_nlt_f32_e32 vcc, s17, v2
	s_nop 1
	v_cndmask_b32_e32 v6, v27, v6, vcc
	v_cmp_nlt_f32_e32 vcc, s17, v3
	s_nop 1
	v_cndmask_b32_e32 v7, v27, v7, vcc
	v_cmp_ngt_f32_e32 vcc, s19, v3
	s_nop 1
	v_cndmask_b32_e32 v3, -1.0, v7, vcc
	v_cmp_ngt_f32_e32 vcc, s19, v2
	s_nop 1
	v_cndmask_b32_e32 v2, -1.0, v6, vcc
	;; [unrolled: 3-line block ×3, first 2 shown]
	v_cmp_ngt_f32_e32 vcc, s19, v4
	v_bfe_u32 v7, v5, 16, 1
	v_add3_u32 v7, v5, v7, s21
	v_cndmask_b32_e32 v4, -1.0, v8, vcc
	v_bfe_u32 v6, v4, 16, 1
	v_add3_u32 v6, v4, v6, s21
	v_cmp_o_f32_e32 vcc, v4, v4
	v_bfe_u32 v8, v2, 16, 1
	v_bfe_u32 v9, v3, 16, 1
	v_cndmask_b32_sdwa v4, v18, v6, vcc dst_sel:DWORD dst_unused:UNUSED_PAD src0_sel:DWORD src1_sel:WORD_1
	v_cmp_o_f32_e32 vcc, v5, v5
	v_add3_u32 v8, v2, v8, s21
	v_add3_u32 v9, v3, v9, s21
	v_cndmask_b32_sdwa v6, v18, v7, vcc dst_sel:DWORD dst_unused:UNUSED_PAD src0_sel:DWORD src1_sel:WORD_1
	v_cmp_o_f32_e32 vcc, v2, v2
	v_perm_b32 v4, v6, v4, s0
	s_nop 0
	v_cndmask_b32_sdwa v2, v18, v8, vcc dst_sel:DWORD dst_unused:UNUSED_PAD src0_sel:DWORD src1_sel:WORD_1
	v_cmp_o_f32_e32 vcc, v3, v3
	s_nop 1
	v_cndmask_b32_sdwa v3, v18, v9, vcc dst_sel:DWORD dst_unused:UNUSED_PAD src0_sel:DWORD src1_sel:WORD_1
	v_perm_b32 v5, v3, v2, s0
	v_perm_b32 v3, v22, v21, s0
	;; [unrolled: 1-line block ×3, first 2 shown]
	global_store_dwordx4 v1, v[2:5], s[12:13]
	s_mov_b64 s[0:1], 0
.LBB146_2:
	s_andn2_b64 vcc, exec, s[0:1]
	s_cbranch_vccnz .LBB146_41
; %bb.3:
	v_cmp_gt_i32_e64 s[0:1], s15, v0
	v_mov_b32_e32 v9, 0
	v_or_b32_e32 v2, s6, v0
	v_mov_b32_e32 v5, 0
	v_mov_b32_e32 v4, v0
	s_and_saveexec_b64 s[2:3], s[0:1]
	s_cbranch_execz .LBB146_5
; %bb.4:
	v_mov_b32_e32 v3, 0
	v_lshl_add_u64 v[4:5], v[2:3], 1, s[10:11]
	global_load_ushort v1, v[4:5], off
	v_or_b32_e32 v4, 0x100, v0
	s_waitcnt vmcnt(0)
	v_lshlrev_b32_e32 v5, 16, v1
.LBB146_5:
	s_or_b64 exec, exec, s[2:3]
	v_cmp_gt_i32_e32 vcc, s15, v4
	s_and_saveexec_b64 s[2:3], vcc
	s_cbranch_execz .LBB146_7
; %bb.6:
	v_add_u32_e32 v6, s6, v4
	v_mov_b32_e32 v7, 0
	v_lshl_add_u64 v[6:7], v[6:7], 1, s[10:11]
	global_load_ushort v1, v[6:7], off
	v_add_u32_e32 v4, 0x100, v4
	s_waitcnt vmcnt(0)
	v_lshlrev_b32_e32 v9, 16, v1
.LBB146_7:
	s_or_b64 exec, exec, s[2:3]
	v_cmp_gt_i32_e32 vcc, s15, v4
	v_mov_b32_e32 v10, 0
	v_mov_b32_e32 v11, 0
	s_and_saveexec_b64 s[2:3], vcc
	s_cbranch_execz .LBB146_9
; %bb.8:
	v_add_u32_e32 v6, s6, v4
	v_mov_b32_e32 v7, 0
	v_lshl_add_u64 v[6:7], v[6:7], 1, s[10:11]
	global_load_ushort v1, v[6:7], off
	v_add_u32_e32 v4, 0x100, v4
	s_waitcnt vmcnt(0)
	v_lshlrev_b32_e32 v11, 16, v1
.LBB146_9:
	s_or_b64 exec, exec, s[2:3]
	v_cmp_gt_i32_e32 vcc, s15, v4
	s_and_saveexec_b64 s[2:3], vcc
	s_cbranch_execz .LBB146_11
; %bb.10:
	v_add_u32_e32 v6, s6, v4
	v_mov_b32_e32 v7, 0
	v_lshl_add_u64 v[6:7], v[6:7], 1, s[10:11]
	global_load_ushort v1, v[6:7], off
	v_add_u32_e32 v4, 0x100, v4
	s_waitcnt vmcnt(0)
	v_lshlrev_b32_e32 v10, 16, v1
.LBB146_11:
	s_or_b64 exec, exec, s[2:3]
	v_cmp_gt_i32_e32 vcc, s15, v4
	v_mov_b32_e32 v6, 0
	v_mov_b32_e32 v8, 0
	s_and_saveexec_b64 s[2:3], vcc
	s_cbranch_execz .LBB146_13
; %bb.12:
	v_add_u32_e32 v12, s6, v4
	v_mov_b32_e32 v13, 0
	v_lshl_add_u64 v[12:13], v[12:13], 1, s[10:11]
	global_load_ushort v1, v[12:13], off
	v_add_u32_e32 v4, 0x100, v4
	s_waitcnt vmcnt(0)
	v_lshlrev_b32_e32 v8, 16, v1
.LBB146_13:
	s_or_b64 exec, exec, s[2:3]
	v_cmp_gt_i32_e32 vcc, s15, v4
	s_and_saveexec_b64 s[2:3], vcc
	s_cbranch_execz .LBB146_15
; %bb.14:
	v_add_u32_e32 v6, s6, v4
	v_mov_b32_e32 v7, 0
	v_lshl_add_u64 v[6:7], v[6:7], 1, s[10:11]
	global_load_ushort v1, v[6:7], off
	v_add_u32_e32 v4, 0x100, v4
	s_waitcnt vmcnt(0)
	v_lshlrev_b32_e32 v6, 16, v1
.LBB146_15:
	s_or_b64 exec, exec, s[2:3]
	v_cmp_gt_i32_e32 vcc, s15, v4
	v_mov_b32_e32 v1, 0
	v_mov_b32_e32 v3, 0
	s_and_saveexec_b64 s[2:3], vcc
	s_cbranch_execnz .LBB146_42
; %bb.16:
	s_or_b64 exec, exec, s[2:3]
	v_cmp_gt_i32_e32 vcc, s15, v4
	s_and_saveexec_b64 s[2:3], vcc
	s_cbranch_execnz .LBB146_43
.LBB146_17:
	s_or_b64 exec, exec, s[2:3]
                                        ; implicit-def: $vgpr4
	s_and_saveexec_b64 s[2:3], s[0:1]
	s_cbranch_execz .LBB146_19
.LBB146_18:
	v_mul_f32_e32 v4, 0x3fb8aa3b, v5
	v_rndne_f32_e32 v4, v4
	v_fmamk_f32 v7, v4, 0xbf317218, v5
	v_fmamk_f32 v7, v4, 0x3102e308, v7
	v_mov_b32_e32 v12, 0x3ab69700
	v_fmac_f32_e32 v12, 0x395133b1, v7
	v_fmaak_f32 v12, v7, v12, 0x3c0887f9
	v_fmaak_f32 v12, v7, v12, 0x3d2aaa81
	v_cvt_i32_f32_e32 v13, v4
	v_fmaak_f32 v12, v7, v12, 0x3e2aaaab
	v_fma_f32 v12, v7, v12, 0.5
	v_mul_f32_e32 v12, v7, v12
	s_mov_b32 s4, 0x43000000
	v_fmac_f32_e32 v7, v7, v12
	v_ldexp_f32 v12, 1.0, v13
	v_mov_b32_e32 v13, 0x7f000000
	v_cmp_eq_f32_e32 vcc, s4, v4
	s_mov_b32 s4, 0x42b17217
	s_nop 0
	v_cndmask_b32_e32 v4, v12, v13, vcc
	v_add_f32_e32 v12, -1.0, v4
	v_fmac_f32_e32 v12, v4, v7
	v_add_f32_e32 v4, v12, v12
	v_cndmask_b32_e32 v4, v12, v4, vcc
	v_mov_b32_e32 v7, 0x7f800000
	v_cmp_nlt_f32_e32 vcc, s4, v5
	s_mov_b32 s4, 0xc1880000
	s_nop 0
	v_cndmask_b32_e32 v4, v7, v4, vcc
	v_cmp_ngt_f32_e32 vcc, s4, v5
	s_movk_i32 s4, 0x7fff
	s_nop 0
	v_cndmask_b32_e32 v4, -1.0, v4, vcc
	v_bfe_u32 v5, v4, 16, 1
	v_add3_u32 v5, v4, v5, s4
	v_cmp_o_f32_e32 vcc, v4, v4
	v_mov_b32_e32 v4, 0x7fc0
	s_nop 0
	v_cndmask_b32_sdwa v4, v4, v5, vcc dst_sel:DWORD dst_unused:UNUSED_PAD src0_sel:DWORD src1_sel:WORD_1
.LBB146_19:
	s_or_b64 exec, exec, s[2:3]
	v_or_b32_e32 v5, 0x100, v0
	v_cmp_gt_i32_e32 vcc, s15, v5
                                        ; implicit-def: $vgpr7
	s_and_saveexec_b64 s[2:3], vcc
	s_cbranch_execz .LBB146_21
; %bb.20:
	v_mul_f32_e32 v7, 0x3fb8aa3b, v9
	v_rndne_f32_e32 v7, v7
	v_fmamk_f32 v12, v7, 0xbf317218, v9
	v_fmamk_f32 v12, v7, 0x3102e308, v12
	v_mov_b32_e32 v13, 0x3ab69700
	v_fmac_f32_e32 v13, 0x395133b1, v12
	v_fmaak_f32 v13, v12, v13, 0x3c0887f9
	v_fmaak_f32 v13, v12, v13, 0x3d2aaa81
	v_cvt_i32_f32_e32 v14, v7
	v_fmaak_f32 v13, v12, v13, 0x3e2aaaab
	v_fma_f32 v13, v12, v13, 0.5
	v_mul_f32_e32 v13, v12, v13
	s_mov_b32 s4, 0x43000000
	v_fmac_f32_e32 v12, v12, v13
	v_ldexp_f32 v13, 1.0, v14
	v_mov_b32_e32 v14, 0x7f000000
	v_cmp_eq_f32_e32 vcc, s4, v7
	s_mov_b32 s4, 0x42b17217
	s_nop 0
	v_cndmask_b32_e32 v7, v13, v14, vcc
	v_add_f32_e32 v13, -1.0, v7
	v_fmac_f32_e32 v13, v7, v12
	v_add_f32_e32 v7, v13, v13
	v_cndmask_b32_e32 v7, v13, v7, vcc
	v_mov_b32_e32 v12, 0x7f800000
	v_cmp_nlt_f32_e32 vcc, s4, v9
	s_mov_b32 s4, 0xc1880000
	s_nop 0
	v_cndmask_b32_e32 v7, v12, v7, vcc
	v_cmp_ngt_f32_e32 vcc, s4, v9
	s_movk_i32 s4, 0x7fff
	s_nop 0
	v_cndmask_b32_e32 v7, -1.0, v7, vcc
	v_bfe_u32 v9, v7, 16, 1
	v_add3_u32 v9, v7, v9, s4
	v_cmp_o_f32_e32 vcc, v7, v7
	v_mov_b32_e32 v7, 0x7fc0
	s_nop 0
	v_cndmask_b32_sdwa v7, v7, v9, vcc dst_sel:DWORD dst_unused:UNUSED_PAD src0_sel:DWORD src1_sel:WORD_1
.LBB146_21:
	s_or_b64 exec, exec, s[2:3]
	v_or_b32_e32 v9, 0x200, v0
	v_cmp_gt_i32_e32 vcc, s15, v9
                                        ; implicit-def: $vgpr9
	s_and_saveexec_b64 s[2:3], vcc
	s_cbranch_execz .LBB146_23
; %bb.22:
	v_mul_f32_e32 v9, 0x3fb8aa3b, v11
	v_rndne_f32_e32 v9, v9
	v_fmamk_f32 v12, v9, 0xbf317218, v11
	v_fmamk_f32 v12, v9, 0x3102e308, v12
	v_mov_b32_e32 v13, 0x3ab69700
	v_fmac_f32_e32 v13, 0x395133b1, v12
	v_fmaak_f32 v13, v12, v13, 0x3c0887f9
	v_fmaak_f32 v13, v12, v13, 0x3d2aaa81
	v_cvt_i32_f32_e32 v14, v9
	v_fmaak_f32 v13, v12, v13, 0x3e2aaaab
	v_fma_f32 v13, v12, v13, 0.5
	v_mul_f32_e32 v13, v12, v13
	s_mov_b32 s4, 0x43000000
	v_fmac_f32_e32 v12, v12, v13
	v_ldexp_f32 v13, 1.0, v14
	v_mov_b32_e32 v14, 0x7f000000
	v_cmp_eq_f32_e32 vcc, s4, v9
	s_mov_b32 s4, 0x42b17217
	s_nop 0
	v_cndmask_b32_e32 v9, v13, v14, vcc
	v_add_f32_e32 v13, -1.0, v9
	v_fmac_f32_e32 v13, v9, v12
	v_add_f32_e32 v9, v13, v13
	v_cndmask_b32_e32 v9, v13, v9, vcc
	v_mov_b32_e32 v12, 0x7f800000
	v_cmp_nlt_f32_e32 vcc, s4, v11
	s_mov_b32 s4, 0xc1880000
	s_nop 0
	v_cndmask_b32_e32 v9, v12, v9, vcc
	v_cmp_ngt_f32_e32 vcc, s4, v11
	s_movk_i32 s4, 0x7fff
	s_nop 0
	v_cndmask_b32_e32 v9, -1.0, v9, vcc
	v_bfe_u32 v11, v9, 16, 1
	v_add3_u32 v11, v9, v11, s4
	v_cmp_o_f32_e32 vcc, v9, v9
	v_mov_b32_e32 v9, 0x7fc0
	s_nop 0
	v_cndmask_b32_sdwa v9, v9, v11, vcc dst_sel:DWORD dst_unused:UNUSED_PAD src0_sel:DWORD src1_sel:WORD_1
.LBB146_23:
	s_or_b64 exec, exec, s[2:3]
	v_or_b32_e32 v11, 0x300, v0
	v_cmp_gt_i32_e32 vcc, s15, v11
                                        ; implicit-def: $vgpr11
	s_and_saveexec_b64 s[2:3], vcc
	s_cbranch_execz .LBB146_25
; %bb.24:
	v_mul_f32_e32 v11, 0x3fb8aa3b, v10
	v_rndne_f32_e32 v11, v11
	v_fmamk_f32 v12, v11, 0xbf317218, v10
	v_fmamk_f32 v12, v11, 0x3102e308, v12
	v_mov_b32_e32 v13, 0x3ab69700
	v_fmac_f32_e32 v13, 0x395133b1, v12
	v_fmaak_f32 v13, v12, v13, 0x3c0887f9
	v_fmaak_f32 v13, v12, v13, 0x3d2aaa81
	v_cvt_i32_f32_e32 v14, v11
	v_fmaak_f32 v13, v12, v13, 0x3e2aaaab
	v_fma_f32 v13, v12, v13, 0.5
	v_mul_f32_e32 v13, v12, v13
	s_mov_b32 s4, 0x43000000
	v_fmac_f32_e32 v12, v12, v13
	v_ldexp_f32 v13, 1.0, v14
	v_mov_b32_e32 v14, 0x7f000000
	v_cmp_eq_f32_e32 vcc, s4, v11
	s_mov_b32 s4, 0x42b17217
	s_nop 0
	v_cndmask_b32_e32 v11, v13, v14, vcc
	v_add_f32_e32 v13, -1.0, v11
	v_fmac_f32_e32 v13, v11, v12
	v_add_f32_e32 v11, v13, v13
	v_cndmask_b32_e32 v11, v13, v11, vcc
	v_mov_b32_e32 v12, 0x7f800000
	v_cmp_nlt_f32_e32 vcc, s4, v10
	s_mov_b32 s4, 0xc1880000
	s_nop 0
	v_cndmask_b32_e32 v11, v12, v11, vcc
	v_cmp_ngt_f32_e32 vcc, s4, v10
	s_movk_i32 s4, 0x7fff
	s_nop 0
	v_cndmask_b32_e32 v10, -1.0, v11, vcc
	v_bfe_u32 v11, v10, 16, 1
	v_add3_u32 v11, v10, v11, s4
	v_cmp_o_f32_e32 vcc, v10, v10
	v_mov_b32_e32 v10, 0x7fc0
	s_nop 0
	v_cndmask_b32_sdwa v11, v10, v11, vcc dst_sel:DWORD dst_unused:UNUSED_PAD src0_sel:DWORD src1_sel:WORD_1
.LBB146_25:
	s_or_b64 exec, exec, s[2:3]
	v_or_b32_e32 v10, 0x400, v0
	v_cmp_gt_i32_e32 vcc, s15, v10
                                        ; implicit-def: $vgpr10
	s_and_saveexec_b64 s[2:3], vcc
	s_cbranch_execz .LBB146_27
; %bb.26:
	v_mul_f32_e32 v10, 0x3fb8aa3b, v8
	v_rndne_f32_e32 v10, v10
	v_fmamk_f32 v12, v10, 0xbf317218, v8
	v_fmamk_f32 v12, v10, 0x3102e308, v12
	v_mov_b32_e32 v13, 0x3ab69700
	v_fmac_f32_e32 v13, 0x395133b1, v12
	v_fmaak_f32 v13, v12, v13, 0x3c0887f9
	v_fmaak_f32 v13, v12, v13, 0x3d2aaa81
	v_cvt_i32_f32_e32 v14, v10
	v_fmaak_f32 v13, v12, v13, 0x3e2aaaab
	v_fma_f32 v13, v12, v13, 0.5
	v_mul_f32_e32 v13, v12, v13
	s_mov_b32 s4, 0x43000000
	v_fmac_f32_e32 v12, v12, v13
	v_ldexp_f32 v13, 1.0, v14
	v_mov_b32_e32 v14, 0x7f000000
	v_cmp_eq_f32_e32 vcc, s4, v10
	s_mov_b32 s4, 0x42b17217
	s_nop 0
	v_cndmask_b32_e32 v10, v13, v14, vcc
	v_add_f32_e32 v13, -1.0, v10
	v_fmac_f32_e32 v13, v10, v12
	v_add_f32_e32 v10, v13, v13
	v_cndmask_b32_e32 v10, v13, v10, vcc
	v_mov_b32_e32 v12, 0x7f800000
	v_cmp_nlt_f32_e32 vcc, s4, v8
	s_mov_b32 s4, 0xc1880000
	s_nop 0
	v_cndmask_b32_e32 v10, v12, v10, vcc
	v_cmp_ngt_f32_e32 vcc, s4, v8
	s_movk_i32 s4, 0x7fff
	s_nop 0
	v_cndmask_b32_e32 v8, -1.0, v10, vcc
	v_bfe_u32 v10, v8, 16, 1
	v_add3_u32 v10, v8, v10, s4
	v_cmp_o_f32_e32 vcc, v8, v8
	v_mov_b32_e32 v8, 0x7fc0
	s_nop 0
	v_cndmask_b32_sdwa v10, v8, v10, vcc dst_sel:DWORD dst_unused:UNUSED_PAD src0_sel:DWORD src1_sel:WORD_1
.LBB146_27:
	s_or_b64 exec, exec, s[2:3]
	v_or_b32_e32 v8, 0x500, v0
	v_cmp_gt_i32_e32 vcc, s15, v8
                                        ; implicit-def: $vgpr8
	s_and_saveexec_b64 s[2:3], vcc
	s_cbranch_execz .LBB146_29
; %bb.28:
	v_mul_f32_e32 v8, 0x3fb8aa3b, v6
	v_rndne_f32_e32 v8, v8
	v_fmamk_f32 v12, v8, 0xbf317218, v6
	v_fmamk_f32 v12, v8, 0x3102e308, v12
	v_mov_b32_e32 v13, 0x3ab69700
	v_fmac_f32_e32 v13, 0x395133b1, v12
	v_fmaak_f32 v13, v12, v13, 0x3c0887f9
	v_fmaak_f32 v13, v12, v13, 0x3d2aaa81
	v_cvt_i32_f32_e32 v14, v8
	v_fmaak_f32 v13, v12, v13, 0x3e2aaaab
	v_fma_f32 v13, v12, v13, 0.5
	v_mul_f32_e32 v13, v12, v13
	s_mov_b32 s4, 0x43000000
	v_fmac_f32_e32 v12, v12, v13
	v_ldexp_f32 v13, 1.0, v14
	v_mov_b32_e32 v14, 0x7f000000
	v_cmp_eq_f32_e32 vcc, s4, v8
	s_mov_b32 s4, 0x42b17217
	s_nop 0
	v_cndmask_b32_e32 v8, v13, v14, vcc
	v_add_f32_e32 v13, -1.0, v8
	v_fmac_f32_e32 v13, v8, v12
	v_add_f32_e32 v8, v13, v13
	v_cndmask_b32_e32 v8, v13, v8, vcc
	v_mov_b32_e32 v12, 0x7f800000
	v_cmp_nlt_f32_e32 vcc, s4, v6
	s_mov_b32 s4, 0xc1880000
	s_nop 0
	v_cndmask_b32_e32 v8, v12, v8, vcc
	v_cmp_ngt_f32_e32 vcc, s4, v6
	s_movk_i32 s4, 0x7fff
	s_nop 0
	v_cndmask_b32_e32 v6, -1.0, v8, vcc
	v_bfe_u32 v8, v6, 16, 1
	v_add3_u32 v8, v6, v8, s4
	v_cmp_o_f32_e32 vcc, v6, v6
	v_mov_b32_e32 v6, 0x7fc0
	s_nop 0
	v_cndmask_b32_sdwa v8, v6, v8, vcc dst_sel:DWORD dst_unused:UNUSED_PAD src0_sel:DWORD src1_sel:WORD_1
.LBB146_29:
	s_or_b64 exec, exec, s[2:3]
	v_or_b32_e32 v6, 0x600, v0
	v_cmp_gt_i32_e32 vcc, s15, v6
                                        ; implicit-def: $vgpr6
	s_and_saveexec_b64 s[2:3], vcc
	s_cbranch_execz .LBB146_31
; %bb.30:
	v_mul_f32_e32 v6, 0x3fb8aa3b, v3
	v_rndne_f32_e32 v6, v6
	v_fmamk_f32 v12, v6, 0xbf317218, v3
	v_fmamk_f32 v12, v6, 0x3102e308, v12
	v_mov_b32_e32 v13, 0x3ab69700
	v_fmac_f32_e32 v13, 0x395133b1, v12
	v_fmaak_f32 v13, v12, v13, 0x3c0887f9
	v_fmaak_f32 v13, v12, v13, 0x3d2aaa81
	v_cvt_i32_f32_e32 v14, v6
	v_fmaak_f32 v13, v12, v13, 0x3e2aaaab
	v_fma_f32 v13, v12, v13, 0.5
	v_mul_f32_e32 v13, v12, v13
	s_mov_b32 s4, 0x43000000
	v_fmac_f32_e32 v12, v12, v13
	v_ldexp_f32 v13, 1.0, v14
	v_mov_b32_e32 v14, 0x7f000000
	v_cmp_eq_f32_e32 vcc, s4, v6
	s_mov_b32 s4, 0x42b17217
	s_nop 0
	v_cndmask_b32_e32 v6, v13, v14, vcc
	v_add_f32_e32 v13, -1.0, v6
	v_fmac_f32_e32 v13, v6, v12
	v_add_f32_e32 v6, v13, v13
	v_cndmask_b32_e32 v6, v13, v6, vcc
	v_mov_b32_e32 v12, 0x7f800000
	v_cmp_nlt_f32_e32 vcc, s4, v3
	s_mov_b32 s4, 0xc1880000
	s_nop 0
	v_cndmask_b32_e32 v6, v12, v6, vcc
	v_cmp_ngt_f32_e32 vcc, s4, v3
	s_movk_i32 s4, 0x7fff
	s_nop 0
	v_cndmask_b32_e32 v3, -1.0, v6, vcc
	v_bfe_u32 v6, v3, 16, 1
	v_add3_u32 v6, v3, v6, s4
	v_cmp_o_f32_e32 vcc, v3, v3
	v_mov_b32_e32 v3, 0x7fc0
	s_nop 0
	v_cndmask_b32_sdwa v6, v3, v6, vcc dst_sel:DWORD dst_unused:UNUSED_PAD src0_sel:DWORD src1_sel:WORD_1
.LBB146_31:
	s_or_b64 exec, exec, s[2:3]
	v_or_b32_e32 v3, 0x700, v0
	v_cmp_gt_i32_e32 vcc, s15, v3
                                        ; implicit-def: $vgpr12
	s_and_saveexec_b64 s[2:3], vcc
	s_cbranch_execnz .LBB146_44
; %bb.32:
	s_or_b64 exec, exec, s[2:3]
	s_and_saveexec_b64 s[2:3], s[0:1]
	s_xor_b64 s[0:1], exec, s[2:3]
	s_cbranch_execnz .LBB146_45
.LBB146_33:
	s_or_b64 exec, exec, s[0:1]
	v_cmp_gt_i32_e32 vcc, s15, v0
	s_and_saveexec_b64 s[0:1], vcc
	s_cbranch_execnz .LBB146_46
.LBB146_34:
	s_or_b64 exec, exec, s[0:1]
	v_cmp_gt_i32_e32 vcc, s15, v0
	s_and_saveexec_b64 s[0:1], vcc
	s_cbranch_execnz .LBB146_47
.LBB146_35:
	s_or_b64 exec, exec, s[0:1]
	v_cmp_gt_i32_e32 vcc, s15, v0
	s_and_saveexec_b64 s[0:1], vcc
	s_cbranch_execnz .LBB146_48
.LBB146_36:
	s_or_b64 exec, exec, s[0:1]
	v_cmp_gt_i32_e32 vcc, s15, v0
	s_and_saveexec_b64 s[0:1], vcc
	s_cbranch_execnz .LBB146_49
.LBB146_37:
	s_or_b64 exec, exec, s[0:1]
	v_cmp_gt_i32_e32 vcc, s15, v0
	s_and_saveexec_b64 s[0:1], vcc
	s_cbranch_execnz .LBB146_50
.LBB146_38:
	s_or_b64 exec, exec, s[0:1]
	v_cmp_gt_i32_e32 vcc, s15, v0
	s_and_saveexec_b64 s[0:1], vcc
	s_cbranch_execnz .LBB146_51
.LBB146_39:
	s_or_b64 exec, exec, s[0:1]
	v_cmp_gt_i32_e32 vcc, s15, v0
	s_and_saveexec_b64 s[0:1], vcc
	s_cbranch_execz .LBB146_41
.LBB146_40:
	v_add_u32_e32 v0, s6, v0
	v_mov_b32_e32 v1, 0
	v_lshl_add_u64 v[0:1], v[0:1], 1, s[8:9]
	global_store_short v[0:1], v12, off
.LBB146_41:
	s_endpgm
.LBB146_42:
	v_add_u32_e32 v12, s6, v4
	v_mov_b32_e32 v13, 0
	v_lshl_add_u64 v[12:13], v[12:13], 1, s[10:11]
	global_load_ushort v3, v[12:13], off
	v_add_u32_e32 v4, 0x100, v4
	s_waitcnt vmcnt(0)
	v_lshlrev_b32_e32 v3, 16, v3
	s_or_b64 exec, exec, s[2:3]
	v_cmp_gt_i32_e32 vcc, s15, v4
	s_and_saveexec_b64 s[2:3], vcc
	s_cbranch_execz .LBB146_17
.LBB146_43:
	v_add_u32_e32 v12, s6, v4
	v_mov_b32_e32 v13, 0
	v_lshl_add_u64 v[12:13], v[12:13], 1, s[10:11]
	global_load_ushort v1, v[12:13], off
	s_waitcnt vmcnt(0)
	v_lshlrev_b32_e32 v1, 16, v1
	s_or_b64 exec, exec, s[2:3]
                                        ; implicit-def: $vgpr4
	s_and_saveexec_b64 s[2:3], s[0:1]
	s_cbranch_execnz .LBB146_18
	s_branch .LBB146_19
.LBB146_44:
	v_mul_f32_e32 v3, 0x3fb8aa3b, v1
	v_rndne_f32_e32 v3, v3
	v_fmamk_f32 v12, v3, 0xbf317218, v1
	v_fmamk_f32 v12, v3, 0x3102e308, v12
	v_mov_b32_e32 v13, 0x3ab69700
	v_fmac_f32_e32 v13, 0x395133b1, v12
	v_fmaak_f32 v13, v12, v13, 0x3c0887f9
	v_fmaak_f32 v13, v12, v13, 0x3d2aaa81
	v_cvt_i32_f32_e32 v14, v3
	v_fmaak_f32 v13, v12, v13, 0x3e2aaaab
	v_fma_f32 v13, v12, v13, 0.5
	v_mul_f32_e32 v13, v12, v13
	s_mov_b32 s4, 0x43000000
	v_fmac_f32_e32 v12, v12, v13
	v_ldexp_f32 v13, 1.0, v14
	v_mov_b32_e32 v14, 0x7f000000
	v_cmp_eq_f32_e32 vcc, s4, v3
	s_mov_b32 s4, 0x42b17217
	s_nop 0
	v_cndmask_b32_e32 v3, v13, v14, vcc
	v_add_f32_e32 v13, -1.0, v3
	v_fmac_f32_e32 v13, v3, v12
	v_add_f32_e32 v3, v13, v13
	v_cndmask_b32_e32 v3, v13, v3, vcc
	v_mov_b32_e32 v12, 0x7f800000
	v_cmp_nlt_f32_e32 vcc, s4, v1
	s_mov_b32 s4, 0xc1880000
	s_nop 0
	v_cndmask_b32_e32 v3, v12, v3, vcc
	v_cmp_ngt_f32_e32 vcc, s4, v1
	s_movk_i32 s4, 0x7fff
	s_nop 0
	v_cndmask_b32_e32 v1, -1.0, v3, vcc
	v_bfe_u32 v3, v1, 16, 1
	v_add3_u32 v3, v1, v3, s4
	v_cmp_o_f32_e32 vcc, v1, v1
	v_mov_b32_e32 v1, 0x7fc0
	s_nop 0
	v_cndmask_b32_sdwa v12, v1, v3, vcc dst_sel:DWORD dst_unused:UNUSED_PAD src0_sel:DWORD src1_sel:WORD_1
	s_or_b64 exec, exec, s[2:3]
	s_and_saveexec_b64 s[2:3], s[0:1]
	s_xor_b64 s[0:1], exec, s[2:3]
	s_cbranch_execz .LBB146_33
.LBB146_45:
	v_mov_b32_e32 v3, 0
	v_lshl_add_u64 v[0:1], v[2:3], 1, s[8:9]
	global_store_short v[0:1], v4, off
	v_mov_b32_e32 v0, v5
	s_or_b64 exec, exec, s[0:1]
	v_cmp_gt_i32_e32 vcc, s15, v0
	s_and_saveexec_b64 s[0:1], vcc
	s_cbranch_execz .LBB146_34
.LBB146_46:
	v_add_u32_e32 v2, s6, v0
	v_mov_b32_e32 v3, 0
	v_lshl_add_u64 v[2:3], v[2:3], 1, s[8:9]
	v_add_u32_e32 v0, 0x100, v0
	global_store_short v[2:3], v7, off
	s_or_b64 exec, exec, s[0:1]
	v_cmp_gt_i32_e32 vcc, s15, v0
	s_and_saveexec_b64 s[0:1], vcc
	s_cbranch_execz .LBB146_35
.LBB146_47:
	v_add_u32_e32 v2, s6, v0
	v_mov_b32_e32 v3, 0
	v_lshl_add_u64 v[2:3], v[2:3], 1, s[8:9]
	v_add_u32_e32 v0, 0x100, v0
	global_store_short v[2:3], v9, off
	s_or_b64 exec, exec, s[0:1]
	v_cmp_gt_i32_e32 vcc, s15, v0
	s_and_saveexec_b64 s[0:1], vcc
	s_cbranch_execz .LBB146_36
.LBB146_48:
	v_add_u32_e32 v2, s6, v0
	v_mov_b32_e32 v3, 0
	v_lshl_add_u64 v[2:3], v[2:3], 1, s[8:9]
	v_add_u32_e32 v0, 0x100, v0
	global_store_short v[2:3], v11, off
	s_or_b64 exec, exec, s[0:1]
	v_cmp_gt_i32_e32 vcc, s15, v0
	s_and_saveexec_b64 s[0:1], vcc
	s_cbranch_execz .LBB146_37
.LBB146_49:
	v_add_u32_e32 v2, s6, v0
	v_mov_b32_e32 v3, 0
	v_lshl_add_u64 v[2:3], v[2:3], 1, s[8:9]
	v_add_u32_e32 v0, 0x100, v0
	global_store_short v[2:3], v10, off
	s_or_b64 exec, exec, s[0:1]
	v_cmp_gt_i32_e32 vcc, s15, v0
	s_and_saveexec_b64 s[0:1], vcc
	s_cbranch_execz .LBB146_38
.LBB146_50:
	v_add_u32_e32 v2, s6, v0
	v_mov_b32_e32 v3, 0
	v_lshl_add_u64 v[2:3], v[2:3], 1, s[8:9]
	v_add_u32_e32 v0, 0x100, v0
	global_store_short v[2:3], v8, off
	s_or_b64 exec, exec, s[0:1]
	v_cmp_gt_i32_e32 vcc, s15, v0
	s_and_saveexec_b64 s[0:1], vcc
	s_cbranch_execz .LBB146_39
.LBB146_51:
	v_add_u32_e32 v2, s6, v0
	v_mov_b32_e32 v3, 0
	v_lshl_add_u64 v[2:3], v[2:3], 1, s[8:9]
	v_add_u32_e32 v0, 0x100, v0
	global_store_short v[2:3], v6, off
	s_or_b64 exec, exec, s[0:1]
	v_cmp_gt_i32_e32 vcc, s15, v0
	s_and_saveexec_b64 s[0:1], vcc
	s_cbranch_execnz .LBB146_40
	s_branch .LBB146_41
	.section	.rodata,"a",@progbits
	.p2align	6, 0x0
	.amdhsa_kernel _ZN2at6native29vectorized_elementwise_kernelILi16EZZZNS0_17expm1_kernel_cudaERNS_18TensorIteratorBaseEENKUlvE_clEvENKUlvE3_clEvEUlN3c108BFloat16EE_St5arrayIPcLm2EEEEviT0_T1_
		.amdhsa_group_segment_fixed_size 0
		.amdhsa_private_segment_fixed_size 0
		.amdhsa_kernarg_size 24
		.amdhsa_user_sgpr_count 2
		.amdhsa_user_sgpr_dispatch_ptr 0
		.amdhsa_user_sgpr_queue_ptr 0
		.amdhsa_user_sgpr_kernarg_segment_ptr 1
		.amdhsa_user_sgpr_dispatch_id 0
		.amdhsa_user_sgpr_kernarg_preload_length 0
		.amdhsa_user_sgpr_kernarg_preload_offset 0
		.amdhsa_user_sgpr_private_segment_size 0
		.amdhsa_uses_dynamic_stack 0
		.amdhsa_enable_private_segment 0
		.amdhsa_system_sgpr_workgroup_id_x 1
		.amdhsa_system_sgpr_workgroup_id_y 0
		.amdhsa_system_sgpr_workgroup_id_z 0
		.amdhsa_system_sgpr_workgroup_info 0
		.amdhsa_system_vgpr_workitem_id 0
		.amdhsa_next_free_vgpr 29
		.amdhsa_next_free_sgpr 26
		.amdhsa_accum_offset 32
		.amdhsa_reserve_vcc 1
		.amdhsa_float_round_mode_32 0
		.amdhsa_float_round_mode_16_64 0
		.amdhsa_float_denorm_mode_32 3
		.amdhsa_float_denorm_mode_16_64 3
		.amdhsa_dx10_clamp 1
		.amdhsa_ieee_mode 1
		.amdhsa_fp16_overflow 0
		.amdhsa_tg_split 0
		.amdhsa_exception_fp_ieee_invalid_op 0
		.amdhsa_exception_fp_denorm_src 0
		.amdhsa_exception_fp_ieee_div_zero 0
		.amdhsa_exception_fp_ieee_overflow 0
		.amdhsa_exception_fp_ieee_underflow 0
		.amdhsa_exception_fp_ieee_inexact 0
		.amdhsa_exception_int_div_zero 0
	.end_amdhsa_kernel
	.section	.text._ZN2at6native29vectorized_elementwise_kernelILi16EZZZNS0_17expm1_kernel_cudaERNS_18TensorIteratorBaseEENKUlvE_clEvENKUlvE3_clEvEUlN3c108BFloat16EE_St5arrayIPcLm2EEEEviT0_T1_,"axG",@progbits,_ZN2at6native29vectorized_elementwise_kernelILi16EZZZNS0_17expm1_kernel_cudaERNS_18TensorIteratorBaseEENKUlvE_clEvENKUlvE3_clEvEUlN3c108BFloat16EE_St5arrayIPcLm2EEEEviT0_T1_,comdat
.Lfunc_end146:
	.size	_ZN2at6native29vectorized_elementwise_kernelILi16EZZZNS0_17expm1_kernel_cudaERNS_18TensorIteratorBaseEENKUlvE_clEvENKUlvE3_clEvEUlN3c108BFloat16EE_St5arrayIPcLm2EEEEviT0_T1_, .Lfunc_end146-_ZN2at6native29vectorized_elementwise_kernelILi16EZZZNS0_17expm1_kernel_cudaERNS_18TensorIteratorBaseEENKUlvE_clEvENKUlvE3_clEvEUlN3c108BFloat16EE_St5arrayIPcLm2EEEEviT0_T1_
                                        ; -- End function
	.set _ZN2at6native29vectorized_elementwise_kernelILi16EZZZNS0_17expm1_kernel_cudaERNS_18TensorIteratorBaseEENKUlvE_clEvENKUlvE3_clEvEUlN3c108BFloat16EE_St5arrayIPcLm2EEEEviT0_T1_.num_vgpr, 29
	.set _ZN2at6native29vectorized_elementwise_kernelILi16EZZZNS0_17expm1_kernel_cudaERNS_18TensorIteratorBaseEENKUlvE_clEvENKUlvE3_clEvEUlN3c108BFloat16EE_St5arrayIPcLm2EEEEviT0_T1_.num_agpr, 0
	.set _ZN2at6native29vectorized_elementwise_kernelILi16EZZZNS0_17expm1_kernel_cudaERNS_18TensorIteratorBaseEENKUlvE_clEvENKUlvE3_clEvEUlN3c108BFloat16EE_St5arrayIPcLm2EEEEviT0_T1_.numbered_sgpr, 26
	.set _ZN2at6native29vectorized_elementwise_kernelILi16EZZZNS0_17expm1_kernel_cudaERNS_18TensorIteratorBaseEENKUlvE_clEvENKUlvE3_clEvEUlN3c108BFloat16EE_St5arrayIPcLm2EEEEviT0_T1_.num_named_barrier, 0
	.set _ZN2at6native29vectorized_elementwise_kernelILi16EZZZNS0_17expm1_kernel_cudaERNS_18TensorIteratorBaseEENKUlvE_clEvENKUlvE3_clEvEUlN3c108BFloat16EE_St5arrayIPcLm2EEEEviT0_T1_.private_seg_size, 0
	.set _ZN2at6native29vectorized_elementwise_kernelILi16EZZZNS0_17expm1_kernel_cudaERNS_18TensorIteratorBaseEENKUlvE_clEvENKUlvE3_clEvEUlN3c108BFloat16EE_St5arrayIPcLm2EEEEviT0_T1_.uses_vcc, 1
	.set _ZN2at6native29vectorized_elementwise_kernelILi16EZZZNS0_17expm1_kernel_cudaERNS_18TensorIteratorBaseEENKUlvE_clEvENKUlvE3_clEvEUlN3c108BFloat16EE_St5arrayIPcLm2EEEEviT0_T1_.uses_flat_scratch, 0
	.set _ZN2at6native29vectorized_elementwise_kernelILi16EZZZNS0_17expm1_kernel_cudaERNS_18TensorIteratorBaseEENKUlvE_clEvENKUlvE3_clEvEUlN3c108BFloat16EE_St5arrayIPcLm2EEEEviT0_T1_.has_dyn_sized_stack, 0
	.set _ZN2at6native29vectorized_elementwise_kernelILi16EZZZNS0_17expm1_kernel_cudaERNS_18TensorIteratorBaseEENKUlvE_clEvENKUlvE3_clEvEUlN3c108BFloat16EE_St5arrayIPcLm2EEEEviT0_T1_.has_recursion, 0
	.set _ZN2at6native29vectorized_elementwise_kernelILi16EZZZNS0_17expm1_kernel_cudaERNS_18TensorIteratorBaseEENKUlvE_clEvENKUlvE3_clEvEUlN3c108BFloat16EE_St5arrayIPcLm2EEEEviT0_T1_.has_indirect_call, 0
	.section	.AMDGPU.csdata,"",@progbits
; Kernel info:
; codeLenInByte = 4568
; TotalNumSgprs: 32
; NumVgprs: 29
; NumAgprs: 0
; TotalNumVgprs: 29
; ScratchSize: 0
; MemoryBound: 0
; FloatMode: 240
; IeeeMode: 1
; LDSByteSize: 0 bytes/workgroup (compile time only)
; SGPRBlocks: 3
; VGPRBlocks: 3
; NumSGPRsForWavesPerEU: 32
; NumVGPRsForWavesPerEU: 29
; AccumOffset: 32
; Occupancy: 8
; WaveLimiterHint : 0
; COMPUTE_PGM_RSRC2:SCRATCH_EN: 0
; COMPUTE_PGM_RSRC2:USER_SGPR: 2
; COMPUTE_PGM_RSRC2:TRAP_HANDLER: 0
; COMPUTE_PGM_RSRC2:TGID_X_EN: 1
; COMPUTE_PGM_RSRC2:TGID_Y_EN: 0
; COMPUTE_PGM_RSRC2:TGID_Z_EN: 0
; COMPUTE_PGM_RSRC2:TIDIG_COMP_CNT: 0
; COMPUTE_PGM_RSRC3_GFX90A:ACCUM_OFFSET: 7
; COMPUTE_PGM_RSRC3_GFX90A:TG_SPLIT: 0
	.section	.text._ZN2at6native29vectorized_elementwise_kernelILi8EZZZNS0_17expm1_kernel_cudaERNS_18TensorIteratorBaseEENKUlvE_clEvENKUlvE3_clEvEUlN3c108BFloat16EE_St5arrayIPcLm2EEEEviT0_T1_,"axG",@progbits,_ZN2at6native29vectorized_elementwise_kernelILi8EZZZNS0_17expm1_kernel_cudaERNS_18TensorIteratorBaseEENKUlvE_clEvENKUlvE3_clEvEUlN3c108BFloat16EE_St5arrayIPcLm2EEEEviT0_T1_,comdat
	.globl	_ZN2at6native29vectorized_elementwise_kernelILi8EZZZNS0_17expm1_kernel_cudaERNS_18TensorIteratorBaseEENKUlvE_clEvENKUlvE3_clEvEUlN3c108BFloat16EE_St5arrayIPcLm2EEEEviT0_T1_ ; -- Begin function _ZN2at6native29vectorized_elementwise_kernelILi8EZZZNS0_17expm1_kernel_cudaERNS_18TensorIteratorBaseEENKUlvE_clEvENKUlvE3_clEvEUlN3c108BFloat16EE_St5arrayIPcLm2EEEEviT0_T1_
	.p2align	8
	.type	_ZN2at6native29vectorized_elementwise_kernelILi8EZZZNS0_17expm1_kernel_cudaERNS_18TensorIteratorBaseEENKUlvE_clEvENKUlvE3_clEvEUlN3c108BFloat16EE_St5arrayIPcLm2EEEEviT0_T1_,@function
_ZN2at6native29vectorized_elementwise_kernelILi8EZZZNS0_17expm1_kernel_cudaERNS_18TensorIteratorBaseEENKUlvE_clEvENKUlvE3_clEvEUlN3c108BFloat16EE_St5arrayIPcLm2EEEEviT0_T1_: ; @_ZN2at6native29vectorized_elementwise_kernelILi8EZZZNS0_17expm1_kernel_cudaERNS_18TensorIteratorBaseEENKUlvE_clEvENKUlvE3_clEvEUlN3c108BFloat16EE_St5arrayIPcLm2EEEEviT0_T1_
; %bb.0:
	s_load_dword s3, s[0:1], 0x0
	s_load_dwordx4 s[8:11], s[0:1], 0x8
	s_lshl_b32 s6, s2, 11
	s_mov_b64 s[0:1], -1
	s_waitcnt lgkmcnt(0)
	s_sub_i32 s15, s3, s6
	s_cmpk_gt_i32 s15, 0x7ff
	s_cbranch_scc0 .LBB147_2
; %bb.1:
	s_ashr_i32 s7, s6, 31
	s_lshl_b64 s[0:1], s[6:7], 1
	s_add_u32 s2, s10, s0
	s_addc_u32 s3, s11, s1
	v_lshlrev_b32_e32 v1, 4, v0
	global_load_dwordx4 v[2:5], v1, s[2:3]
	s_mov_b32 s14, 0x3f317218
	s_mov_b32 s16, 0xb102e308
	s_mov_b32 s2, 0x3ab69700
	s_mov_b32 s17, 0x42b17217
	s_mov_b32 s18, 0x395133b1
	s_mov_b32 s19, 0xc1880000
	v_mov_b64_e32 v[6:7], s[2:3]
	s_mov_b32 s20, 0x3c0887f9
	s_movk_i32 s21, 0x7fff
	s_mov_b32 s22, 0x3d2aaa81
	s_mov_b32 s24, 0x3e2aaaab
	;; [unrolled: 1-line block ×3, first 2 shown]
	s_add_u32 s12, s8, s0
	v_mov_b32_e32 v26, 0x7f000000
	s_addc_u32 s13, s9, s1
	v_mov_b32_e32 v27, 0x7f800000
	s_waitcnt vmcnt(0)
	v_and_b32_e32 v9, 0xffff0000, v3
	v_lshlrev_b32_e32 v8, 16, v3
	v_and_b32_e32 v3, 0xffff0000, v2
	v_lshlrev_b32_e32 v2, 16, v2
	v_mul_f32_e32 v10, 0x3fb8aa3b, v2
	v_mul_f32_e32 v11, 0x3fb8aa3b, v3
	;; [unrolled: 1-line block ×4, first 2 shown]
	v_rndne_f32_e32 v20, v10
	v_rndne_f32_e32 v21, v11
	;; [unrolled: 1-line block ×4, first 2 shown]
	v_xor_b32_e32 v11, 0x80000000, v19
	v_xor_b32_e32 v10, 0x80000000, v18
	;; [unrolled: 1-line block ×4, first 2 shown]
	v_pk_fma_f32 v[14:15], v[12:13], s[14:15], v[2:3] op_sel_hi:[1,0,1]
	v_pk_fma_f32 v[16:17], v[10:11], s[14:15], v[8:9] op_sel_hi:[1,0,1]
	;; [unrolled: 1-line block ×4, first 2 shown]
	v_cvt_i32_f32_e32 v22, v20
	v_cvt_i32_f32_e32 v23, v21
	;; [unrolled: 1-line block ×4, first 2 shown]
	v_pk_fma_f32 v[14:15], v[12:13], s[18:19], v[6:7] op_sel_hi:[1,0,0]
	v_pk_fma_f32 v[16:17], v[10:11], s[18:19], v[6:7] op_sel_hi:[1,0,0]
	;; [unrolled: 1-line block ×8, first 2 shown]
	v_ldexp_f32 v22, 1.0, v22
	v_ldexp_f32 v23, 1.0, v23
	;; [unrolled: 1-line block ×4, first 2 shown]
	v_cmp_eq_f32_e32 vcc, s7, v19
	v_cmp_eq_f32_e64 s[0:1], s7, v18
	v_cmp_eq_f32_e64 s[2:3], s7, v21
	;; [unrolled: 1-line block ×3, first 2 shown]
	v_pk_fma_f32 v[14:15], v[12:13], v[14:15], 0.5 op_sel_hi:[1,1,0]
	v_pk_fma_f32 v[16:17], v[10:11], v[16:17], 0.5 op_sel_hi:[1,1,0]
	v_cndmask_b32_e32 v19, v25, v26, vcc
	v_cndmask_b32_e64 v18, v24, v26, s[0:1]
	v_cndmask_b32_e64 v21, v23, v26, s[2:3]
	;; [unrolled: 1-line block ×3, first 2 shown]
	v_pk_mul_f32 v[16:17], v[10:11], v[16:17]
	v_pk_mul_f32 v[14:15], v[12:13], v[14:15]
	v_pk_add_f32 v[22:23], v[20:21], -1.0 op_sel_hi:[1,0]
	v_pk_add_f32 v[24:25], v[18:19], -1.0 op_sel_hi:[1,0]
	v_pk_fma_f32 v[12:13], v[12:13], v[14:15], v[12:13]
	v_pk_fma_f32 v[10:11], v[10:11], v[16:17], v[10:11]
	;; [unrolled: 1-line block ×4, first 2 shown]
	v_pk_add_f32 v[14:15], v[12:13], v[12:13]
	v_pk_add_f32 v[16:17], v[10:11], v[10:11]
	v_cndmask_b32_e64 v12, v12, v14, s[4:5]
	v_cndmask_b32_e32 v11, v11, v17, vcc
	v_cmp_nlt_f32_e32 vcc, s17, v2
	v_cndmask_b32_e64 v13, v13, v15, s[2:3]
	v_cndmask_b32_e64 v10, v10, v16, s[0:1]
	v_cndmask_b32_e32 v12, v27, v12, vcc
	v_cmp_nlt_f32_e32 vcc, s17, v3
	v_mov_b32_e32 v18, 0x7fc0
	s_nop 0
	v_cndmask_b32_e32 v13, v27, v13, vcc
	v_cmp_nlt_f32_e32 vcc, s17, v8
	s_nop 1
	v_cndmask_b32_e32 v10, v27, v10, vcc
	v_cmp_nlt_f32_e32 vcc, s17, v9
	s_nop 1
	v_cndmask_b32_e32 v11, v27, v11, vcc
	v_cmp_ngt_f32_e32 vcc, s19, v9
	s_nop 1
	v_cndmask_b32_e32 v9, -1.0, v11, vcc
	v_cmp_ngt_f32_e32 vcc, s19, v8
	s_nop 1
	v_cndmask_b32_e32 v8, -1.0, v10, vcc
	;; [unrolled: 3-line block ×3, first 2 shown]
	v_cmp_ngt_f32_e32 vcc, s19, v2
	v_bfe_u32 v11, v3, 16, 1
	v_add3_u32 v11, v3, v11, s21
	v_cndmask_b32_e32 v2, -1.0, v12, vcc
	v_bfe_u32 v10, v2, 16, 1
	v_add3_u32 v10, v2, v10, s21
	v_lshrrev_b32_e32 v10, 16, v10
	v_cmp_o_f32_e32 vcc, v2, v2
	v_bfe_u32 v12, v8, 16, 1
	v_lshrrev_b32_e32 v11, 16, v11
	v_cndmask_b32_e32 v19, v18, v10, vcc
	v_cmp_o_f32_e32 vcc, v3, v3
	v_and_b32_e32 v3, 0xffff0000, v5
	v_lshlrev_b32_e32 v2, 16, v5
	v_and_b32_e32 v5, 0xffff0000, v4
	v_lshlrev_b32_e32 v4, 16, v4
	v_add3_u32 v12, v8, v12, s21
	v_cndmask_b32_e32 v20, v18, v11, vcc
	v_cmp_o_f32_e32 vcc, v8, v8
	v_mul_f32_e32 v8, 0x3fb8aa3b, v4
	v_rndne_f32_e32 v16, v8
	v_mul_f32_e32 v8, 0x3fb8aa3b, v5
	v_rndne_f32_e32 v17, v8
	v_mul_f32_e32 v8, 0x3fb8aa3b, v2
	v_bfe_u32 v13, v9, 16, 1
	v_rndne_f32_e32 v23, v8
	v_mul_f32_e32 v8, 0x3fb8aa3b, v3
	v_add3_u32 v13, v9, v13, s21
	v_lshrrev_b32_e32 v12, 16, v12
	v_rndne_f32_e32 v24, v8
	v_lshrrev_b32_e32 v13, 16, v13
	v_cndmask_b32_e32 v21, v18, v12, vcc
	v_cmp_o_f32_e32 vcc, v9, v9
	v_xor_b32_e32 v9, 0x80000000, v24
	v_xor_b32_e32 v8, 0x80000000, v23
	;; [unrolled: 1-line block ×4, first 2 shown]
	v_cndmask_b32_e32 v22, v18, v13, vcc
	v_pk_fma_f32 v[12:13], v[10:11], s[14:15], v[4:5] op_sel_hi:[1,0,1]
	v_pk_fma_f32 v[14:15], v[8:9], s[14:15], v[2:3] op_sel_hi:[1,0,1]
	;; [unrolled: 1-line block ×6, first 2 shown]
	v_cvt_i32_f32_e32 v14, v16
	v_pk_fma_f32 v[6:7], v[8:9], v[6:7], s[20:21] op_sel_hi:[1,1,0]
	v_cvt_i32_f32_e32 v15, v17
	v_cvt_i32_f32_e32 v25, v23
	v_pk_fma_f32 v[12:13], v[10:11], v[12:13], s[20:21] op_sel_hi:[1,1,0]
	v_pk_fma_f32 v[6:7], v[8:9], v[6:7], s[22:23] op_sel_hi:[1,1,0]
	v_cvt_i32_f32_e32 v28, v24
	v_pk_fma_f32 v[12:13], v[10:11], v[12:13], s[22:23] op_sel_hi:[1,1,0]
	v_pk_fma_f32 v[6:7], v[8:9], v[6:7], s[24:25] op_sel_hi:[1,1,0]
	;; [unrolled: 1-line block ×3, first 2 shown]
	v_pk_fma_f32 v[6:7], v[8:9], v[6:7], 0.5 op_sel_hi:[1,1,0]
	v_pk_fma_f32 v[12:13], v[10:11], v[12:13], 0.5 op_sel_hi:[1,1,0]
	v_pk_mul_f32 v[6:7], v[8:9], v[6:7]
	v_ldexp_f32 v14, 1.0, v14
	v_ldexp_f32 v15, 1.0, v15
	;; [unrolled: 1-line block ×3, first 2 shown]
	v_pk_mul_f32 v[12:13], v[10:11], v[12:13]
	v_pk_fma_f32 v[6:7], v[8:9], v[6:7], v[8:9]
	v_ldexp_f32 v8, 1.0, v28
	v_cmp_eq_f32_e32 vcc, s7, v24
	v_cmp_eq_f32_e64 s[0:1], s7, v23
	v_cmp_eq_f32_e64 s[2:3], s7, v17
	;; [unrolled: 1-line block ×3, first 2 shown]
	v_pk_fma_f32 v[10:11], v[10:11], v[12:13], v[10:11]
	v_cndmask_b32_e32 v9, v8, v26, vcc
	v_cndmask_b32_e64 v8, v25, v26, s[0:1]
	v_cndmask_b32_e64 v13, v15, v26, s[2:3]
	;; [unrolled: 1-line block ×3, first 2 shown]
	v_pk_add_f32 v[14:15], v[12:13], -1.0 op_sel_hi:[1,0]
	v_pk_add_f32 v[16:17], v[8:9], -1.0 op_sel_hi:[1,0]
	s_nop 0
	v_pk_fma_f32 v[6:7], v[8:9], v[6:7], v[16:17]
	v_pk_fma_f32 v[8:9], v[12:13], v[10:11], v[14:15]
	v_pk_add_f32 v[12:13], v[6:7], v[6:7]
	v_pk_add_f32 v[10:11], v[8:9], v[8:9]
	v_cndmask_b32_e32 v7, v7, v13, vcc
	v_cndmask_b32_e64 v8, v8, v10, s[4:5]
	v_cmp_nlt_f32_e32 vcc, s17, v4
	v_cndmask_b32_e64 v9, v9, v11, s[2:3]
	v_cndmask_b32_e64 v6, v6, v12, s[0:1]
	v_cndmask_b32_e32 v8, v27, v8, vcc
	v_cmp_nlt_f32_e32 vcc, s17, v5
	s_mov_b32 s0, 0x5040100
	s_nop 0
	v_cndmask_b32_e32 v9, v27, v9, vcc
	v_cmp_nlt_f32_e32 vcc, s17, v2
	s_nop 1
	v_cndmask_b32_e32 v6, v27, v6, vcc
	v_cmp_nlt_f32_e32 vcc, s17, v3
	s_nop 1
	v_cndmask_b32_e32 v7, v27, v7, vcc
	v_cmp_ngt_f32_e32 vcc, s19, v3
	s_nop 1
	v_cndmask_b32_e32 v3, -1.0, v7, vcc
	v_cmp_ngt_f32_e32 vcc, s19, v2
	s_nop 1
	v_cndmask_b32_e32 v2, -1.0, v6, vcc
	;; [unrolled: 3-line block ×3, first 2 shown]
	v_cmp_ngt_f32_e32 vcc, s19, v4
	v_bfe_u32 v7, v5, 16, 1
	v_add3_u32 v7, v5, v7, s21
	v_cndmask_b32_e32 v4, -1.0, v8, vcc
	v_bfe_u32 v6, v4, 16, 1
	v_add3_u32 v6, v4, v6, s21
	v_cmp_o_f32_e32 vcc, v4, v4
	v_bfe_u32 v8, v2, 16, 1
	v_bfe_u32 v9, v3, 16, 1
	v_cndmask_b32_sdwa v4, v18, v6, vcc dst_sel:DWORD dst_unused:UNUSED_PAD src0_sel:DWORD src1_sel:WORD_1
	v_cmp_o_f32_e32 vcc, v5, v5
	v_add3_u32 v8, v2, v8, s21
	v_add3_u32 v9, v3, v9, s21
	v_cndmask_b32_sdwa v6, v18, v7, vcc dst_sel:DWORD dst_unused:UNUSED_PAD src0_sel:DWORD src1_sel:WORD_1
	v_cmp_o_f32_e32 vcc, v2, v2
	v_perm_b32 v4, v6, v4, s0
	s_nop 0
	v_cndmask_b32_sdwa v2, v18, v8, vcc dst_sel:DWORD dst_unused:UNUSED_PAD src0_sel:DWORD src1_sel:WORD_1
	v_cmp_o_f32_e32 vcc, v3, v3
	s_nop 1
	v_cndmask_b32_sdwa v3, v18, v9, vcc dst_sel:DWORD dst_unused:UNUSED_PAD src0_sel:DWORD src1_sel:WORD_1
	v_perm_b32 v5, v3, v2, s0
	v_perm_b32 v3, v22, v21, s0
	;; [unrolled: 1-line block ×3, first 2 shown]
	global_store_dwordx4 v1, v[2:5], s[12:13]
	s_mov_b64 s[0:1], 0
.LBB147_2:
	s_andn2_b64 vcc, exec, s[0:1]
	s_cbranch_vccnz .LBB147_41
; %bb.3:
	v_cmp_gt_i32_e64 s[0:1], s15, v0
	v_mov_b32_e32 v9, 0
	v_or_b32_e32 v2, s6, v0
	v_mov_b32_e32 v5, 0
	v_mov_b32_e32 v4, v0
	s_and_saveexec_b64 s[2:3], s[0:1]
	s_cbranch_execz .LBB147_5
; %bb.4:
	v_mov_b32_e32 v3, 0
	v_lshl_add_u64 v[4:5], v[2:3], 1, s[10:11]
	global_load_ushort v1, v[4:5], off
	v_or_b32_e32 v4, 0x100, v0
	s_waitcnt vmcnt(0)
	v_lshlrev_b32_e32 v5, 16, v1
.LBB147_5:
	s_or_b64 exec, exec, s[2:3]
	v_cmp_gt_i32_e32 vcc, s15, v4
	s_and_saveexec_b64 s[2:3], vcc
	s_cbranch_execz .LBB147_7
; %bb.6:
	v_add_u32_e32 v6, s6, v4
	v_mov_b32_e32 v7, 0
	v_lshl_add_u64 v[6:7], v[6:7], 1, s[10:11]
	global_load_ushort v1, v[6:7], off
	v_add_u32_e32 v4, 0x100, v4
	s_waitcnt vmcnt(0)
	v_lshlrev_b32_e32 v9, 16, v1
.LBB147_7:
	s_or_b64 exec, exec, s[2:3]
	v_cmp_gt_i32_e32 vcc, s15, v4
	v_mov_b32_e32 v10, 0
	v_mov_b32_e32 v11, 0
	s_and_saveexec_b64 s[2:3], vcc
	s_cbranch_execz .LBB147_9
; %bb.8:
	v_add_u32_e32 v6, s6, v4
	v_mov_b32_e32 v7, 0
	v_lshl_add_u64 v[6:7], v[6:7], 1, s[10:11]
	global_load_ushort v1, v[6:7], off
	v_add_u32_e32 v4, 0x100, v4
	s_waitcnt vmcnt(0)
	v_lshlrev_b32_e32 v11, 16, v1
.LBB147_9:
	s_or_b64 exec, exec, s[2:3]
	v_cmp_gt_i32_e32 vcc, s15, v4
	s_and_saveexec_b64 s[2:3], vcc
	s_cbranch_execz .LBB147_11
; %bb.10:
	v_add_u32_e32 v6, s6, v4
	v_mov_b32_e32 v7, 0
	v_lshl_add_u64 v[6:7], v[6:7], 1, s[10:11]
	global_load_ushort v1, v[6:7], off
	v_add_u32_e32 v4, 0x100, v4
	s_waitcnt vmcnt(0)
	v_lshlrev_b32_e32 v10, 16, v1
.LBB147_11:
	s_or_b64 exec, exec, s[2:3]
	v_cmp_gt_i32_e32 vcc, s15, v4
	v_mov_b32_e32 v6, 0
	v_mov_b32_e32 v8, 0
	s_and_saveexec_b64 s[2:3], vcc
	s_cbranch_execz .LBB147_13
; %bb.12:
	v_add_u32_e32 v12, s6, v4
	v_mov_b32_e32 v13, 0
	v_lshl_add_u64 v[12:13], v[12:13], 1, s[10:11]
	global_load_ushort v1, v[12:13], off
	v_add_u32_e32 v4, 0x100, v4
	s_waitcnt vmcnt(0)
	v_lshlrev_b32_e32 v8, 16, v1
.LBB147_13:
	s_or_b64 exec, exec, s[2:3]
	v_cmp_gt_i32_e32 vcc, s15, v4
	s_and_saveexec_b64 s[2:3], vcc
	s_cbranch_execz .LBB147_15
; %bb.14:
	v_add_u32_e32 v6, s6, v4
	v_mov_b32_e32 v7, 0
	v_lshl_add_u64 v[6:7], v[6:7], 1, s[10:11]
	global_load_ushort v1, v[6:7], off
	v_add_u32_e32 v4, 0x100, v4
	s_waitcnt vmcnt(0)
	v_lshlrev_b32_e32 v6, 16, v1
.LBB147_15:
	s_or_b64 exec, exec, s[2:3]
	v_cmp_gt_i32_e32 vcc, s15, v4
	v_mov_b32_e32 v1, 0
	v_mov_b32_e32 v3, 0
	s_and_saveexec_b64 s[2:3], vcc
	s_cbranch_execnz .LBB147_42
; %bb.16:
	s_or_b64 exec, exec, s[2:3]
	v_cmp_gt_i32_e32 vcc, s15, v4
	s_and_saveexec_b64 s[2:3], vcc
	s_cbranch_execnz .LBB147_43
.LBB147_17:
	s_or_b64 exec, exec, s[2:3]
                                        ; implicit-def: $vgpr4
	s_and_saveexec_b64 s[2:3], s[0:1]
	s_cbranch_execz .LBB147_19
.LBB147_18:
	v_mul_f32_e32 v4, 0x3fb8aa3b, v5
	v_rndne_f32_e32 v4, v4
	v_fmamk_f32 v7, v4, 0xbf317218, v5
	v_fmamk_f32 v7, v4, 0x3102e308, v7
	v_mov_b32_e32 v12, 0x3ab69700
	v_fmac_f32_e32 v12, 0x395133b1, v7
	v_fmaak_f32 v12, v7, v12, 0x3c0887f9
	v_fmaak_f32 v12, v7, v12, 0x3d2aaa81
	v_cvt_i32_f32_e32 v13, v4
	v_fmaak_f32 v12, v7, v12, 0x3e2aaaab
	v_fma_f32 v12, v7, v12, 0.5
	v_mul_f32_e32 v12, v7, v12
	s_mov_b32 s4, 0x43000000
	v_fmac_f32_e32 v7, v7, v12
	v_ldexp_f32 v12, 1.0, v13
	v_mov_b32_e32 v13, 0x7f000000
	v_cmp_eq_f32_e32 vcc, s4, v4
	s_mov_b32 s4, 0x42b17217
	s_nop 0
	v_cndmask_b32_e32 v4, v12, v13, vcc
	v_add_f32_e32 v12, -1.0, v4
	v_fmac_f32_e32 v12, v4, v7
	v_add_f32_e32 v4, v12, v12
	v_cndmask_b32_e32 v4, v12, v4, vcc
	v_mov_b32_e32 v7, 0x7f800000
	v_cmp_nlt_f32_e32 vcc, s4, v5
	s_mov_b32 s4, 0xc1880000
	s_nop 0
	v_cndmask_b32_e32 v4, v7, v4, vcc
	v_cmp_ngt_f32_e32 vcc, s4, v5
	s_movk_i32 s4, 0x7fff
	s_nop 0
	v_cndmask_b32_e32 v4, -1.0, v4, vcc
	v_bfe_u32 v5, v4, 16, 1
	v_add3_u32 v5, v4, v5, s4
	v_cmp_o_f32_e32 vcc, v4, v4
	v_mov_b32_e32 v4, 0x7fc0
	s_nop 0
	v_cndmask_b32_sdwa v4, v4, v5, vcc dst_sel:DWORD dst_unused:UNUSED_PAD src0_sel:DWORD src1_sel:WORD_1
.LBB147_19:
	s_or_b64 exec, exec, s[2:3]
	v_or_b32_e32 v5, 0x100, v0
	v_cmp_gt_i32_e32 vcc, s15, v5
                                        ; implicit-def: $vgpr7
	s_and_saveexec_b64 s[2:3], vcc
	s_cbranch_execz .LBB147_21
; %bb.20:
	v_mul_f32_e32 v7, 0x3fb8aa3b, v9
	v_rndne_f32_e32 v7, v7
	v_fmamk_f32 v12, v7, 0xbf317218, v9
	v_fmamk_f32 v12, v7, 0x3102e308, v12
	v_mov_b32_e32 v13, 0x3ab69700
	v_fmac_f32_e32 v13, 0x395133b1, v12
	v_fmaak_f32 v13, v12, v13, 0x3c0887f9
	v_fmaak_f32 v13, v12, v13, 0x3d2aaa81
	v_cvt_i32_f32_e32 v14, v7
	v_fmaak_f32 v13, v12, v13, 0x3e2aaaab
	v_fma_f32 v13, v12, v13, 0.5
	v_mul_f32_e32 v13, v12, v13
	s_mov_b32 s4, 0x43000000
	v_fmac_f32_e32 v12, v12, v13
	v_ldexp_f32 v13, 1.0, v14
	v_mov_b32_e32 v14, 0x7f000000
	v_cmp_eq_f32_e32 vcc, s4, v7
	s_mov_b32 s4, 0x42b17217
	s_nop 0
	v_cndmask_b32_e32 v7, v13, v14, vcc
	v_add_f32_e32 v13, -1.0, v7
	v_fmac_f32_e32 v13, v7, v12
	v_add_f32_e32 v7, v13, v13
	v_cndmask_b32_e32 v7, v13, v7, vcc
	v_mov_b32_e32 v12, 0x7f800000
	v_cmp_nlt_f32_e32 vcc, s4, v9
	s_mov_b32 s4, 0xc1880000
	s_nop 0
	v_cndmask_b32_e32 v7, v12, v7, vcc
	v_cmp_ngt_f32_e32 vcc, s4, v9
	s_movk_i32 s4, 0x7fff
	s_nop 0
	v_cndmask_b32_e32 v7, -1.0, v7, vcc
	v_bfe_u32 v9, v7, 16, 1
	v_add3_u32 v9, v7, v9, s4
	v_cmp_o_f32_e32 vcc, v7, v7
	v_mov_b32_e32 v7, 0x7fc0
	s_nop 0
	v_cndmask_b32_sdwa v7, v7, v9, vcc dst_sel:DWORD dst_unused:UNUSED_PAD src0_sel:DWORD src1_sel:WORD_1
.LBB147_21:
	s_or_b64 exec, exec, s[2:3]
	v_or_b32_e32 v9, 0x200, v0
	v_cmp_gt_i32_e32 vcc, s15, v9
                                        ; implicit-def: $vgpr9
	s_and_saveexec_b64 s[2:3], vcc
	s_cbranch_execz .LBB147_23
; %bb.22:
	v_mul_f32_e32 v9, 0x3fb8aa3b, v11
	v_rndne_f32_e32 v9, v9
	v_fmamk_f32 v12, v9, 0xbf317218, v11
	v_fmamk_f32 v12, v9, 0x3102e308, v12
	v_mov_b32_e32 v13, 0x3ab69700
	v_fmac_f32_e32 v13, 0x395133b1, v12
	v_fmaak_f32 v13, v12, v13, 0x3c0887f9
	v_fmaak_f32 v13, v12, v13, 0x3d2aaa81
	v_cvt_i32_f32_e32 v14, v9
	v_fmaak_f32 v13, v12, v13, 0x3e2aaaab
	v_fma_f32 v13, v12, v13, 0.5
	v_mul_f32_e32 v13, v12, v13
	s_mov_b32 s4, 0x43000000
	v_fmac_f32_e32 v12, v12, v13
	v_ldexp_f32 v13, 1.0, v14
	v_mov_b32_e32 v14, 0x7f000000
	v_cmp_eq_f32_e32 vcc, s4, v9
	s_mov_b32 s4, 0x42b17217
	s_nop 0
	v_cndmask_b32_e32 v9, v13, v14, vcc
	v_add_f32_e32 v13, -1.0, v9
	v_fmac_f32_e32 v13, v9, v12
	v_add_f32_e32 v9, v13, v13
	v_cndmask_b32_e32 v9, v13, v9, vcc
	v_mov_b32_e32 v12, 0x7f800000
	v_cmp_nlt_f32_e32 vcc, s4, v11
	s_mov_b32 s4, 0xc1880000
	s_nop 0
	v_cndmask_b32_e32 v9, v12, v9, vcc
	v_cmp_ngt_f32_e32 vcc, s4, v11
	s_movk_i32 s4, 0x7fff
	s_nop 0
	v_cndmask_b32_e32 v9, -1.0, v9, vcc
	v_bfe_u32 v11, v9, 16, 1
	v_add3_u32 v11, v9, v11, s4
	v_cmp_o_f32_e32 vcc, v9, v9
	v_mov_b32_e32 v9, 0x7fc0
	s_nop 0
	v_cndmask_b32_sdwa v9, v9, v11, vcc dst_sel:DWORD dst_unused:UNUSED_PAD src0_sel:DWORD src1_sel:WORD_1
.LBB147_23:
	s_or_b64 exec, exec, s[2:3]
	v_or_b32_e32 v11, 0x300, v0
	v_cmp_gt_i32_e32 vcc, s15, v11
                                        ; implicit-def: $vgpr11
	s_and_saveexec_b64 s[2:3], vcc
	s_cbranch_execz .LBB147_25
; %bb.24:
	v_mul_f32_e32 v11, 0x3fb8aa3b, v10
	v_rndne_f32_e32 v11, v11
	v_fmamk_f32 v12, v11, 0xbf317218, v10
	v_fmamk_f32 v12, v11, 0x3102e308, v12
	v_mov_b32_e32 v13, 0x3ab69700
	v_fmac_f32_e32 v13, 0x395133b1, v12
	v_fmaak_f32 v13, v12, v13, 0x3c0887f9
	v_fmaak_f32 v13, v12, v13, 0x3d2aaa81
	v_cvt_i32_f32_e32 v14, v11
	v_fmaak_f32 v13, v12, v13, 0x3e2aaaab
	v_fma_f32 v13, v12, v13, 0.5
	v_mul_f32_e32 v13, v12, v13
	s_mov_b32 s4, 0x43000000
	v_fmac_f32_e32 v12, v12, v13
	v_ldexp_f32 v13, 1.0, v14
	v_mov_b32_e32 v14, 0x7f000000
	v_cmp_eq_f32_e32 vcc, s4, v11
	s_mov_b32 s4, 0x42b17217
	s_nop 0
	v_cndmask_b32_e32 v11, v13, v14, vcc
	v_add_f32_e32 v13, -1.0, v11
	v_fmac_f32_e32 v13, v11, v12
	v_add_f32_e32 v11, v13, v13
	v_cndmask_b32_e32 v11, v13, v11, vcc
	v_mov_b32_e32 v12, 0x7f800000
	v_cmp_nlt_f32_e32 vcc, s4, v10
	s_mov_b32 s4, 0xc1880000
	s_nop 0
	v_cndmask_b32_e32 v11, v12, v11, vcc
	v_cmp_ngt_f32_e32 vcc, s4, v10
	s_movk_i32 s4, 0x7fff
	s_nop 0
	v_cndmask_b32_e32 v10, -1.0, v11, vcc
	v_bfe_u32 v11, v10, 16, 1
	v_add3_u32 v11, v10, v11, s4
	v_cmp_o_f32_e32 vcc, v10, v10
	v_mov_b32_e32 v10, 0x7fc0
	s_nop 0
	v_cndmask_b32_sdwa v11, v10, v11, vcc dst_sel:DWORD dst_unused:UNUSED_PAD src0_sel:DWORD src1_sel:WORD_1
.LBB147_25:
	s_or_b64 exec, exec, s[2:3]
	v_or_b32_e32 v10, 0x400, v0
	v_cmp_gt_i32_e32 vcc, s15, v10
                                        ; implicit-def: $vgpr10
	s_and_saveexec_b64 s[2:3], vcc
	s_cbranch_execz .LBB147_27
; %bb.26:
	v_mul_f32_e32 v10, 0x3fb8aa3b, v8
	v_rndne_f32_e32 v10, v10
	v_fmamk_f32 v12, v10, 0xbf317218, v8
	v_fmamk_f32 v12, v10, 0x3102e308, v12
	v_mov_b32_e32 v13, 0x3ab69700
	v_fmac_f32_e32 v13, 0x395133b1, v12
	v_fmaak_f32 v13, v12, v13, 0x3c0887f9
	v_fmaak_f32 v13, v12, v13, 0x3d2aaa81
	v_cvt_i32_f32_e32 v14, v10
	v_fmaak_f32 v13, v12, v13, 0x3e2aaaab
	v_fma_f32 v13, v12, v13, 0.5
	v_mul_f32_e32 v13, v12, v13
	s_mov_b32 s4, 0x43000000
	v_fmac_f32_e32 v12, v12, v13
	v_ldexp_f32 v13, 1.0, v14
	v_mov_b32_e32 v14, 0x7f000000
	v_cmp_eq_f32_e32 vcc, s4, v10
	s_mov_b32 s4, 0x42b17217
	s_nop 0
	v_cndmask_b32_e32 v10, v13, v14, vcc
	v_add_f32_e32 v13, -1.0, v10
	v_fmac_f32_e32 v13, v10, v12
	v_add_f32_e32 v10, v13, v13
	v_cndmask_b32_e32 v10, v13, v10, vcc
	v_mov_b32_e32 v12, 0x7f800000
	v_cmp_nlt_f32_e32 vcc, s4, v8
	s_mov_b32 s4, 0xc1880000
	s_nop 0
	v_cndmask_b32_e32 v10, v12, v10, vcc
	v_cmp_ngt_f32_e32 vcc, s4, v8
	s_movk_i32 s4, 0x7fff
	s_nop 0
	v_cndmask_b32_e32 v8, -1.0, v10, vcc
	v_bfe_u32 v10, v8, 16, 1
	v_add3_u32 v10, v8, v10, s4
	v_cmp_o_f32_e32 vcc, v8, v8
	v_mov_b32_e32 v8, 0x7fc0
	s_nop 0
	v_cndmask_b32_sdwa v10, v8, v10, vcc dst_sel:DWORD dst_unused:UNUSED_PAD src0_sel:DWORD src1_sel:WORD_1
.LBB147_27:
	s_or_b64 exec, exec, s[2:3]
	v_or_b32_e32 v8, 0x500, v0
	v_cmp_gt_i32_e32 vcc, s15, v8
                                        ; implicit-def: $vgpr8
	s_and_saveexec_b64 s[2:3], vcc
	s_cbranch_execz .LBB147_29
; %bb.28:
	v_mul_f32_e32 v8, 0x3fb8aa3b, v6
	v_rndne_f32_e32 v8, v8
	v_fmamk_f32 v12, v8, 0xbf317218, v6
	v_fmamk_f32 v12, v8, 0x3102e308, v12
	v_mov_b32_e32 v13, 0x3ab69700
	v_fmac_f32_e32 v13, 0x395133b1, v12
	v_fmaak_f32 v13, v12, v13, 0x3c0887f9
	v_fmaak_f32 v13, v12, v13, 0x3d2aaa81
	v_cvt_i32_f32_e32 v14, v8
	v_fmaak_f32 v13, v12, v13, 0x3e2aaaab
	v_fma_f32 v13, v12, v13, 0.5
	v_mul_f32_e32 v13, v12, v13
	s_mov_b32 s4, 0x43000000
	v_fmac_f32_e32 v12, v12, v13
	v_ldexp_f32 v13, 1.0, v14
	v_mov_b32_e32 v14, 0x7f000000
	v_cmp_eq_f32_e32 vcc, s4, v8
	s_mov_b32 s4, 0x42b17217
	s_nop 0
	v_cndmask_b32_e32 v8, v13, v14, vcc
	v_add_f32_e32 v13, -1.0, v8
	v_fmac_f32_e32 v13, v8, v12
	v_add_f32_e32 v8, v13, v13
	v_cndmask_b32_e32 v8, v13, v8, vcc
	v_mov_b32_e32 v12, 0x7f800000
	v_cmp_nlt_f32_e32 vcc, s4, v6
	s_mov_b32 s4, 0xc1880000
	s_nop 0
	v_cndmask_b32_e32 v8, v12, v8, vcc
	v_cmp_ngt_f32_e32 vcc, s4, v6
	s_movk_i32 s4, 0x7fff
	s_nop 0
	v_cndmask_b32_e32 v6, -1.0, v8, vcc
	v_bfe_u32 v8, v6, 16, 1
	v_add3_u32 v8, v6, v8, s4
	v_cmp_o_f32_e32 vcc, v6, v6
	v_mov_b32_e32 v6, 0x7fc0
	s_nop 0
	v_cndmask_b32_sdwa v8, v6, v8, vcc dst_sel:DWORD dst_unused:UNUSED_PAD src0_sel:DWORD src1_sel:WORD_1
.LBB147_29:
	s_or_b64 exec, exec, s[2:3]
	v_or_b32_e32 v6, 0x600, v0
	v_cmp_gt_i32_e32 vcc, s15, v6
                                        ; implicit-def: $vgpr6
	s_and_saveexec_b64 s[2:3], vcc
	s_cbranch_execz .LBB147_31
; %bb.30:
	v_mul_f32_e32 v6, 0x3fb8aa3b, v3
	v_rndne_f32_e32 v6, v6
	v_fmamk_f32 v12, v6, 0xbf317218, v3
	v_fmamk_f32 v12, v6, 0x3102e308, v12
	v_mov_b32_e32 v13, 0x3ab69700
	v_fmac_f32_e32 v13, 0x395133b1, v12
	v_fmaak_f32 v13, v12, v13, 0x3c0887f9
	v_fmaak_f32 v13, v12, v13, 0x3d2aaa81
	v_cvt_i32_f32_e32 v14, v6
	v_fmaak_f32 v13, v12, v13, 0x3e2aaaab
	v_fma_f32 v13, v12, v13, 0.5
	v_mul_f32_e32 v13, v12, v13
	s_mov_b32 s4, 0x43000000
	v_fmac_f32_e32 v12, v12, v13
	v_ldexp_f32 v13, 1.0, v14
	v_mov_b32_e32 v14, 0x7f000000
	v_cmp_eq_f32_e32 vcc, s4, v6
	s_mov_b32 s4, 0x42b17217
	s_nop 0
	v_cndmask_b32_e32 v6, v13, v14, vcc
	v_add_f32_e32 v13, -1.0, v6
	v_fmac_f32_e32 v13, v6, v12
	v_add_f32_e32 v6, v13, v13
	v_cndmask_b32_e32 v6, v13, v6, vcc
	v_mov_b32_e32 v12, 0x7f800000
	v_cmp_nlt_f32_e32 vcc, s4, v3
	s_mov_b32 s4, 0xc1880000
	s_nop 0
	v_cndmask_b32_e32 v6, v12, v6, vcc
	v_cmp_ngt_f32_e32 vcc, s4, v3
	s_movk_i32 s4, 0x7fff
	s_nop 0
	v_cndmask_b32_e32 v3, -1.0, v6, vcc
	v_bfe_u32 v6, v3, 16, 1
	v_add3_u32 v6, v3, v6, s4
	v_cmp_o_f32_e32 vcc, v3, v3
	v_mov_b32_e32 v3, 0x7fc0
	s_nop 0
	v_cndmask_b32_sdwa v6, v3, v6, vcc dst_sel:DWORD dst_unused:UNUSED_PAD src0_sel:DWORD src1_sel:WORD_1
.LBB147_31:
	s_or_b64 exec, exec, s[2:3]
	v_or_b32_e32 v3, 0x700, v0
	v_cmp_gt_i32_e32 vcc, s15, v3
                                        ; implicit-def: $vgpr12
	s_and_saveexec_b64 s[2:3], vcc
	s_cbranch_execnz .LBB147_44
; %bb.32:
	s_or_b64 exec, exec, s[2:3]
	s_and_saveexec_b64 s[2:3], s[0:1]
	s_xor_b64 s[0:1], exec, s[2:3]
	s_cbranch_execnz .LBB147_45
.LBB147_33:
	s_or_b64 exec, exec, s[0:1]
	v_cmp_gt_i32_e32 vcc, s15, v0
	s_and_saveexec_b64 s[0:1], vcc
	s_cbranch_execnz .LBB147_46
.LBB147_34:
	s_or_b64 exec, exec, s[0:1]
	v_cmp_gt_i32_e32 vcc, s15, v0
	s_and_saveexec_b64 s[0:1], vcc
	s_cbranch_execnz .LBB147_47
.LBB147_35:
	s_or_b64 exec, exec, s[0:1]
	v_cmp_gt_i32_e32 vcc, s15, v0
	s_and_saveexec_b64 s[0:1], vcc
	s_cbranch_execnz .LBB147_48
.LBB147_36:
	s_or_b64 exec, exec, s[0:1]
	v_cmp_gt_i32_e32 vcc, s15, v0
	s_and_saveexec_b64 s[0:1], vcc
	s_cbranch_execnz .LBB147_49
.LBB147_37:
	s_or_b64 exec, exec, s[0:1]
	v_cmp_gt_i32_e32 vcc, s15, v0
	s_and_saveexec_b64 s[0:1], vcc
	s_cbranch_execnz .LBB147_50
.LBB147_38:
	s_or_b64 exec, exec, s[0:1]
	v_cmp_gt_i32_e32 vcc, s15, v0
	s_and_saveexec_b64 s[0:1], vcc
	s_cbranch_execnz .LBB147_51
.LBB147_39:
	s_or_b64 exec, exec, s[0:1]
	v_cmp_gt_i32_e32 vcc, s15, v0
	s_and_saveexec_b64 s[0:1], vcc
	s_cbranch_execz .LBB147_41
.LBB147_40:
	v_add_u32_e32 v0, s6, v0
	v_mov_b32_e32 v1, 0
	v_lshl_add_u64 v[0:1], v[0:1], 1, s[8:9]
	global_store_short v[0:1], v12, off
.LBB147_41:
	s_endpgm
.LBB147_42:
	v_add_u32_e32 v12, s6, v4
	v_mov_b32_e32 v13, 0
	v_lshl_add_u64 v[12:13], v[12:13], 1, s[10:11]
	global_load_ushort v3, v[12:13], off
	v_add_u32_e32 v4, 0x100, v4
	s_waitcnt vmcnt(0)
	v_lshlrev_b32_e32 v3, 16, v3
	s_or_b64 exec, exec, s[2:3]
	v_cmp_gt_i32_e32 vcc, s15, v4
	s_and_saveexec_b64 s[2:3], vcc
	s_cbranch_execz .LBB147_17
.LBB147_43:
	v_add_u32_e32 v12, s6, v4
	v_mov_b32_e32 v13, 0
	v_lshl_add_u64 v[12:13], v[12:13], 1, s[10:11]
	global_load_ushort v1, v[12:13], off
	s_waitcnt vmcnt(0)
	v_lshlrev_b32_e32 v1, 16, v1
	s_or_b64 exec, exec, s[2:3]
                                        ; implicit-def: $vgpr4
	s_and_saveexec_b64 s[2:3], s[0:1]
	s_cbranch_execnz .LBB147_18
	s_branch .LBB147_19
.LBB147_44:
	v_mul_f32_e32 v3, 0x3fb8aa3b, v1
	v_rndne_f32_e32 v3, v3
	v_fmamk_f32 v12, v3, 0xbf317218, v1
	v_fmamk_f32 v12, v3, 0x3102e308, v12
	v_mov_b32_e32 v13, 0x3ab69700
	v_fmac_f32_e32 v13, 0x395133b1, v12
	v_fmaak_f32 v13, v12, v13, 0x3c0887f9
	v_fmaak_f32 v13, v12, v13, 0x3d2aaa81
	v_cvt_i32_f32_e32 v14, v3
	v_fmaak_f32 v13, v12, v13, 0x3e2aaaab
	v_fma_f32 v13, v12, v13, 0.5
	v_mul_f32_e32 v13, v12, v13
	s_mov_b32 s4, 0x43000000
	v_fmac_f32_e32 v12, v12, v13
	v_ldexp_f32 v13, 1.0, v14
	v_mov_b32_e32 v14, 0x7f000000
	v_cmp_eq_f32_e32 vcc, s4, v3
	s_mov_b32 s4, 0x42b17217
	s_nop 0
	v_cndmask_b32_e32 v3, v13, v14, vcc
	v_add_f32_e32 v13, -1.0, v3
	v_fmac_f32_e32 v13, v3, v12
	v_add_f32_e32 v3, v13, v13
	v_cndmask_b32_e32 v3, v13, v3, vcc
	v_mov_b32_e32 v12, 0x7f800000
	v_cmp_nlt_f32_e32 vcc, s4, v1
	s_mov_b32 s4, 0xc1880000
	s_nop 0
	v_cndmask_b32_e32 v3, v12, v3, vcc
	v_cmp_ngt_f32_e32 vcc, s4, v1
	s_movk_i32 s4, 0x7fff
	s_nop 0
	v_cndmask_b32_e32 v1, -1.0, v3, vcc
	v_bfe_u32 v3, v1, 16, 1
	v_add3_u32 v3, v1, v3, s4
	v_cmp_o_f32_e32 vcc, v1, v1
	v_mov_b32_e32 v1, 0x7fc0
	s_nop 0
	v_cndmask_b32_sdwa v12, v1, v3, vcc dst_sel:DWORD dst_unused:UNUSED_PAD src0_sel:DWORD src1_sel:WORD_1
	s_or_b64 exec, exec, s[2:3]
	s_and_saveexec_b64 s[2:3], s[0:1]
	s_xor_b64 s[0:1], exec, s[2:3]
	s_cbranch_execz .LBB147_33
.LBB147_45:
	v_mov_b32_e32 v3, 0
	v_lshl_add_u64 v[0:1], v[2:3], 1, s[8:9]
	global_store_short v[0:1], v4, off
	v_mov_b32_e32 v0, v5
	s_or_b64 exec, exec, s[0:1]
	v_cmp_gt_i32_e32 vcc, s15, v0
	s_and_saveexec_b64 s[0:1], vcc
	s_cbranch_execz .LBB147_34
.LBB147_46:
	v_add_u32_e32 v2, s6, v0
	v_mov_b32_e32 v3, 0
	v_lshl_add_u64 v[2:3], v[2:3], 1, s[8:9]
	v_add_u32_e32 v0, 0x100, v0
	global_store_short v[2:3], v7, off
	s_or_b64 exec, exec, s[0:1]
	v_cmp_gt_i32_e32 vcc, s15, v0
	s_and_saveexec_b64 s[0:1], vcc
	s_cbranch_execz .LBB147_35
.LBB147_47:
	v_add_u32_e32 v2, s6, v0
	v_mov_b32_e32 v3, 0
	v_lshl_add_u64 v[2:3], v[2:3], 1, s[8:9]
	v_add_u32_e32 v0, 0x100, v0
	global_store_short v[2:3], v9, off
	s_or_b64 exec, exec, s[0:1]
	v_cmp_gt_i32_e32 vcc, s15, v0
	s_and_saveexec_b64 s[0:1], vcc
	s_cbranch_execz .LBB147_36
.LBB147_48:
	v_add_u32_e32 v2, s6, v0
	v_mov_b32_e32 v3, 0
	v_lshl_add_u64 v[2:3], v[2:3], 1, s[8:9]
	v_add_u32_e32 v0, 0x100, v0
	global_store_short v[2:3], v11, off
	s_or_b64 exec, exec, s[0:1]
	v_cmp_gt_i32_e32 vcc, s15, v0
	s_and_saveexec_b64 s[0:1], vcc
	s_cbranch_execz .LBB147_37
.LBB147_49:
	v_add_u32_e32 v2, s6, v0
	v_mov_b32_e32 v3, 0
	v_lshl_add_u64 v[2:3], v[2:3], 1, s[8:9]
	v_add_u32_e32 v0, 0x100, v0
	global_store_short v[2:3], v10, off
	s_or_b64 exec, exec, s[0:1]
	v_cmp_gt_i32_e32 vcc, s15, v0
	s_and_saveexec_b64 s[0:1], vcc
	s_cbranch_execz .LBB147_38
.LBB147_50:
	v_add_u32_e32 v2, s6, v0
	v_mov_b32_e32 v3, 0
	v_lshl_add_u64 v[2:3], v[2:3], 1, s[8:9]
	v_add_u32_e32 v0, 0x100, v0
	global_store_short v[2:3], v8, off
	s_or_b64 exec, exec, s[0:1]
	v_cmp_gt_i32_e32 vcc, s15, v0
	s_and_saveexec_b64 s[0:1], vcc
	s_cbranch_execz .LBB147_39
.LBB147_51:
	v_add_u32_e32 v2, s6, v0
	v_mov_b32_e32 v3, 0
	v_lshl_add_u64 v[2:3], v[2:3], 1, s[8:9]
	v_add_u32_e32 v0, 0x100, v0
	global_store_short v[2:3], v6, off
	s_or_b64 exec, exec, s[0:1]
	v_cmp_gt_i32_e32 vcc, s15, v0
	s_and_saveexec_b64 s[0:1], vcc
	s_cbranch_execnz .LBB147_40
	s_branch .LBB147_41
	.section	.rodata,"a",@progbits
	.p2align	6, 0x0
	.amdhsa_kernel _ZN2at6native29vectorized_elementwise_kernelILi8EZZZNS0_17expm1_kernel_cudaERNS_18TensorIteratorBaseEENKUlvE_clEvENKUlvE3_clEvEUlN3c108BFloat16EE_St5arrayIPcLm2EEEEviT0_T1_
		.amdhsa_group_segment_fixed_size 0
		.amdhsa_private_segment_fixed_size 0
		.amdhsa_kernarg_size 24
		.amdhsa_user_sgpr_count 2
		.amdhsa_user_sgpr_dispatch_ptr 0
		.amdhsa_user_sgpr_queue_ptr 0
		.amdhsa_user_sgpr_kernarg_segment_ptr 1
		.amdhsa_user_sgpr_dispatch_id 0
		.amdhsa_user_sgpr_kernarg_preload_length 0
		.amdhsa_user_sgpr_kernarg_preload_offset 0
		.amdhsa_user_sgpr_private_segment_size 0
		.amdhsa_uses_dynamic_stack 0
		.amdhsa_enable_private_segment 0
		.amdhsa_system_sgpr_workgroup_id_x 1
		.amdhsa_system_sgpr_workgroup_id_y 0
		.amdhsa_system_sgpr_workgroup_id_z 0
		.amdhsa_system_sgpr_workgroup_info 0
		.amdhsa_system_vgpr_workitem_id 0
		.amdhsa_next_free_vgpr 29
		.amdhsa_next_free_sgpr 26
		.amdhsa_accum_offset 32
		.amdhsa_reserve_vcc 1
		.amdhsa_float_round_mode_32 0
		.amdhsa_float_round_mode_16_64 0
		.amdhsa_float_denorm_mode_32 3
		.amdhsa_float_denorm_mode_16_64 3
		.amdhsa_dx10_clamp 1
		.amdhsa_ieee_mode 1
		.amdhsa_fp16_overflow 0
		.amdhsa_tg_split 0
		.amdhsa_exception_fp_ieee_invalid_op 0
		.amdhsa_exception_fp_denorm_src 0
		.amdhsa_exception_fp_ieee_div_zero 0
		.amdhsa_exception_fp_ieee_overflow 0
		.amdhsa_exception_fp_ieee_underflow 0
		.amdhsa_exception_fp_ieee_inexact 0
		.amdhsa_exception_int_div_zero 0
	.end_amdhsa_kernel
	.section	.text._ZN2at6native29vectorized_elementwise_kernelILi8EZZZNS0_17expm1_kernel_cudaERNS_18TensorIteratorBaseEENKUlvE_clEvENKUlvE3_clEvEUlN3c108BFloat16EE_St5arrayIPcLm2EEEEviT0_T1_,"axG",@progbits,_ZN2at6native29vectorized_elementwise_kernelILi8EZZZNS0_17expm1_kernel_cudaERNS_18TensorIteratorBaseEENKUlvE_clEvENKUlvE3_clEvEUlN3c108BFloat16EE_St5arrayIPcLm2EEEEviT0_T1_,comdat
.Lfunc_end147:
	.size	_ZN2at6native29vectorized_elementwise_kernelILi8EZZZNS0_17expm1_kernel_cudaERNS_18TensorIteratorBaseEENKUlvE_clEvENKUlvE3_clEvEUlN3c108BFloat16EE_St5arrayIPcLm2EEEEviT0_T1_, .Lfunc_end147-_ZN2at6native29vectorized_elementwise_kernelILi8EZZZNS0_17expm1_kernel_cudaERNS_18TensorIteratorBaseEENKUlvE_clEvENKUlvE3_clEvEUlN3c108BFloat16EE_St5arrayIPcLm2EEEEviT0_T1_
                                        ; -- End function
	.set _ZN2at6native29vectorized_elementwise_kernelILi8EZZZNS0_17expm1_kernel_cudaERNS_18TensorIteratorBaseEENKUlvE_clEvENKUlvE3_clEvEUlN3c108BFloat16EE_St5arrayIPcLm2EEEEviT0_T1_.num_vgpr, 29
	.set _ZN2at6native29vectorized_elementwise_kernelILi8EZZZNS0_17expm1_kernel_cudaERNS_18TensorIteratorBaseEENKUlvE_clEvENKUlvE3_clEvEUlN3c108BFloat16EE_St5arrayIPcLm2EEEEviT0_T1_.num_agpr, 0
	.set _ZN2at6native29vectorized_elementwise_kernelILi8EZZZNS0_17expm1_kernel_cudaERNS_18TensorIteratorBaseEENKUlvE_clEvENKUlvE3_clEvEUlN3c108BFloat16EE_St5arrayIPcLm2EEEEviT0_T1_.numbered_sgpr, 26
	.set _ZN2at6native29vectorized_elementwise_kernelILi8EZZZNS0_17expm1_kernel_cudaERNS_18TensorIteratorBaseEENKUlvE_clEvENKUlvE3_clEvEUlN3c108BFloat16EE_St5arrayIPcLm2EEEEviT0_T1_.num_named_barrier, 0
	.set _ZN2at6native29vectorized_elementwise_kernelILi8EZZZNS0_17expm1_kernel_cudaERNS_18TensorIteratorBaseEENKUlvE_clEvENKUlvE3_clEvEUlN3c108BFloat16EE_St5arrayIPcLm2EEEEviT0_T1_.private_seg_size, 0
	.set _ZN2at6native29vectorized_elementwise_kernelILi8EZZZNS0_17expm1_kernel_cudaERNS_18TensorIteratorBaseEENKUlvE_clEvENKUlvE3_clEvEUlN3c108BFloat16EE_St5arrayIPcLm2EEEEviT0_T1_.uses_vcc, 1
	.set _ZN2at6native29vectorized_elementwise_kernelILi8EZZZNS0_17expm1_kernel_cudaERNS_18TensorIteratorBaseEENKUlvE_clEvENKUlvE3_clEvEUlN3c108BFloat16EE_St5arrayIPcLm2EEEEviT0_T1_.uses_flat_scratch, 0
	.set _ZN2at6native29vectorized_elementwise_kernelILi8EZZZNS0_17expm1_kernel_cudaERNS_18TensorIteratorBaseEENKUlvE_clEvENKUlvE3_clEvEUlN3c108BFloat16EE_St5arrayIPcLm2EEEEviT0_T1_.has_dyn_sized_stack, 0
	.set _ZN2at6native29vectorized_elementwise_kernelILi8EZZZNS0_17expm1_kernel_cudaERNS_18TensorIteratorBaseEENKUlvE_clEvENKUlvE3_clEvEUlN3c108BFloat16EE_St5arrayIPcLm2EEEEviT0_T1_.has_recursion, 0
	.set _ZN2at6native29vectorized_elementwise_kernelILi8EZZZNS0_17expm1_kernel_cudaERNS_18TensorIteratorBaseEENKUlvE_clEvENKUlvE3_clEvEUlN3c108BFloat16EE_St5arrayIPcLm2EEEEviT0_T1_.has_indirect_call, 0
	.section	.AMDGPU.csdata,"",@progbits
; Kernel info:
; codeLenInByte = 4568
; TotalNumSgprs: 32
; NumVgprs: 29
; NumAgprs: 0
; TotalNumVgprs: 29
; ScratchSize: 0
; MemoryBound: 0
; FloatMode: 240
; IeeeMode: 1
; LDSByteSize: 0 bytes/workgroup (compile time only)
; SGPRBlocks: 3
; VGPRBlocks: 3
; NumSGPRsForWavesPerEU: 32
; NumVGPRsForWavesPerEU: 29
; AccumOffset: 32
; Occupancy: 8
; WaveLimiterHint : 0
; COMPUTE_PGM_RSRC2:SCRATCH_EN: 0
; COMPUTE_PGM_RSRC2:USER_SGPR: 2
; COMPUTE_PGM_RSRC2:TRAP_HANDLER: 0
; COMPUTE_PGM_RSRC2:TGID_X_EN: 1
; COMPUTE_PGM_RSRC2:TGID_Y_EN: 0
; COMPUTE_PGM_RSRC2:TGID_Z_EN: 0
; COMPUTE_PGM_RSRC2:TIDIG_COMP_CNT: 0
; COMPUTE_PGM_RSRC3_GFX90A:ACCUM_OFFSET: 7
; COMPUTE_PGM_RSRC3_GFX90A:TG_SPLIT: 0
	.section	.text._ZN2at6native29vectorized_elementwise_kernelILi4EZZZNS0_17expm1_kernel_cudaERNS_18TensorIteratorBaseEENKUlvE_clEvENKUlvE3_clEvEUlN3c108BFloat16EE_St5arrayIPcLm2EEEEviT0_T1_,"axG",@progbits,_ZN2at6native29vectorized_elementwise_kernelILi4EZZZNS0_17expm1_kernel_cudaERNS_18TensorIteratorBaseEENKUlvE_clEvENKUlvE3_clEvEUlN3c108BFloat16EE_St5arrayIPcLm2EEEEviT0_T1_,comdat
	.globl	_ZN2at6native29vectorized_elementwise_kernelILi4EZZZNS0_17expm1_kernel_cudaERNS_18TensorIteratorBaseEENKUlvE_clEvENKUlvE3_clEvEUlN3c108BFloat16EE_St5arrayIPcLm2EEEEviT0_T1_ ; -- Begin function _ZN2at6native29vectorized_elementwise_kernelILi4EZZZNS0_17expm1_kernel_cudaERNS_18TensorIteratorBaseEENKUlvE_clEvENKUlvE3_clEvEUlN3c108BFloat16EE_St5arrayIPcLm2EEEEviT0_T1_
	.p2align	8
	.type	_ZN2at6native29vectorized_elementwise_kernelILi4EZZZNS0_17expm1_kernel_cudaERNS_18TensorIteratorBaseEENKUlvE_clEvENKUlvE3_clEvEUlN3c108BFloat16EE_St5arrayIPcLm2EEEEviT0_T1_,@function
_ZN2at6native29vectorized_elementwise_kernelILi4EZZZNS0_17expm1_kernel_cudaERNS_18TensorIteratorBaseEENKUlvE_clEvENKUlvE3_clEvEUlN3c108BFloat16EE_St5arrayIPcLm2EEEEviT0_T1_: ; @_ZN2at6native29vectorized_elementwise_kernelILi4EZZZNS0_17expm1_kernel_cudaERNS_18TensorIteratorBaseEENKUlvE_clEvENKUlvE3_clEvEUlN3c108BFloat16EE_St5arrayIPcLm2EEEEviT0_T1_
; %bb.0:
	s_load_dword s3, s[0:1], 0x0
	s_load_dwordx4 s[8:11], s[0:1], 0x8
	s_lshl_b32 s6, s2, 11
	s_mov_b64 s[0:1], -1
	s_waitcnt lgkmcnt(0)
	s_sub_i32 s15, s3, s6
	s_cmpk_gt_i32 s15, 0x7ff
	s_cbranch_scc0 .LBB148_2
; %bb.1:
	s_ashr_i32 s7, s6, 31
	s_lshl_b64 s[12:13], s[6:7], 1
	s_add_u32 s0, s10, s12
	s_addc_u32 s1, s11, s13
	v_lshlrev_b32_e32 v1, 3, v0
	global_load_dwordx2 v[2:3], v1, s[0:1]
	global_load_dwordx2 v[6:7], v1, s[0:1] offset:2048
	s_mov_b32 s14, 0x3f317218
	s_mov_b32 s16, 0xb102e308
	;; [unrolled: 1-line block ×5, first 2 shown]
	s_movk_i32 s19, 0x7fff
	v_mov_b64_e32 v[4:5], s[2:3]
	s_mov_b32 s20, 0x3c0887f9
	s_mov_b32 s21, 0xc1880000
	s_mov_b32 s22, 0x3d2aaa81
	s_mov_b32 s24, 0x3e2aaaab
	s_mov_b32 s7, 0x43000000
	v_mov_b32_e32 v26, 0x7f000000
	v_mov_b32_e32 v27, 0x7f800000
	;; [unrolled: 1-line block ×4, first 2 shown]
	s_waitcnt vmcnt(1)
	v_lshlrev_b32_e32 v9, 16, v2
	v_and_b32_e32 v8, 0xffff0000, v2
	v_and_b32_e32 v10, 0xffff0000, v3
	v_mul_f32_e32 v2, 0x3fb8aa3b, v9
	v_mul_f32_e32 v12, 0x3fb8aa3b, v8
	v_lshlrev_b32_e32 v11, 16, v3
	v_mul_f32_e32 v14, 0x3fb8aa3b, v10
	v_rndne_f32_e32 v3, v2
	v_rndne_f32_e32 v2, v12
	v_mul_f32_e32 v13, 0x3fb8aa3b, v11
	v_rndne_f32_e32 v12, v14
	v_pk_fma_f32 v[14:15], v[2:3], s[14:15], v[8:9] op_sel_hi:[1,0,1] neg_lo:[1,0,0] neg_hi:[1,0,0]
	v_rndne_f32_e32 v13, v13
	v_pk_fma_f32 v[14:15], v[2:3], s[16:17], v[14:15] op_sel_hi:[1,0,1] neg_lo:[1,0,0] neg_hi:[1,0,0]
	v_cvt_i32_f32_e32 v22, v3
	v_cvt_i32_f32_e32 v23, v2
	v_pk_fma_f32 v[16:17], v[12:13], s[14:15], v[10:11] op_sel_hi:[1,0,1] neg_lo:[1,0,0] neg_hi:[1,0,0]
	v_pk_fma_f32 v[18:19], v[14:15], s[18:19], v[4:5] op_sel_hi:[1,0,0]
	v_pk_fma_f32 v[16:17], v[12:13], s[16:17], v[16:17] op_sel_hi:[1,0,1] neg_lo:[1,0,0] neg_hi:[1,0,0]
	v_pk_fma_f32 v[18:19], v[14:15], v[18:19], s[20:21] op_sel_hi:[1,1,0]
	v_cvt_i32_f32_e32 v24, v13
	v_cvt_i32_f32_e32 v25, v12
	v_pk_fma_f32 v[20:21], v[16:17], s[18:19], v[4:5] op_sel_hi:[1,0,0]
	v_pk_fma_f32 v[18:19], v[14:15], v[18:19], s[22:23] op_sel_hi:[1,1,0]
	;; [unrolled: 1-line block ×4, first 2 shown]
	v_ldexp_f32 v22, 1.0, v22
	v_ldexp_f32 v23, 1.0, v23
	v_pk_fma_f32 v[20:21], v[16:17], v[20:21], s[22:23] op_sel_hi:[1,1,0]
	v_cmp_eq_f32_e32 vcc, s7, v3
	v_cmp_eq_f32_e64 s[0:1], s7, v2
	v_pk_fma_f32 v[18:19], v[14:15], v[18:19], 0.5 op_sel_hi:[1,1,0]
	v_cndmask_b32_e32 v3, v22, v26, vcc
	v_cndmask_b32_e64 v2, v23, v26, s[0:1]
	v_pk_fma_f32 v[20:21], v[16:17], v[20:21], s[24:25] op_sel_hi:[1,1,0]
	v_pk_mul_f32 v[18:19], v[14:15], v[18:19]
	v_ldexp_f32 v24, 1.0, v24
	v_ldexp_f32 v25, 1.0, v25
	v_cmp_eq_f32_e64 s[2:3], s7, v13
	v_cmp_eq_f32_e64 s[4:5], s7, v12
	v_pk_add_f32 v[22:23], v[2:3], -1.0 op_sel_hi:[1,0]
	v_pk_fma_f32 v[20:21], v[16:17], v[20:21], 0.5 op_sel_hi:[1,1,0]
	v_pk_fma_f32 v[14:15], v[14:15], v[18:19], v[14:15]
	v_cndmask_b32_e64 v13, v24, v26, s[2:3]
	v_cndmask_b32_e64 v12, v25, v26, s[4:5]
	v_pk_mul_f32 v[20:21], v[16:17], v[20:21]
	v_pk_fma_f32 v[2:3], v[2:3], v[14:15], v[22:23]
	v_pk_add_f32 v[24:25], v[12:13], -1.0 op_sel_hi:[1,0]
	v_pk_fma_f32 v[16:17], v[16:17], v[20:21], v[16:17]
	v_pk_add_f32 v[14:15], v[2:3], v[2:3]
	v_pk_fma_f32 v[12:13], v[12:13], v[16:17], v[24:25]
	v_cndmask_b32_e32 v3, v3, v15, vcc
	v_cmp_nlt_f32_e32 vcc, s17, v9
	v_pk_add_f32 v[16:17], v[12:13], v[12:13]
	v_cndmask_b32_e64 v2, v2, v14, s[0:1]
	v_cndmask_b32_e32 v3, v27, v3, vcc
	v_cmp_nlt_f32_e32 vcc, s17, v8
	v_cndmask_b32_e64 v13, v13, v17, s[2:3]
	v_cndmask_b32_e64 v12, v12, v16, s[4:5]
	v_cndmask_b32_e32 v2, v27, v2, vcc
	v_cmp_nlt_f32_e32 vcc, s17, v11
	s_nop 1
	v_cndmask_b32_e32 v13, v27, v13, vcc
	v_cmp_nlt_f32_e32 vcc, s17, v10
	s_nop 1
	v_cndmask_b32_e32 v12, v27, v12, vcc
	v_cmp_ngt_f32_e32 vcc, s21, v8
	s_nop 1
	v_cndmask_b32_e32 v2, -1.0, v2, vcc
	v_cmp_ngt_f32_e32 vcc, s21, v9
	s_nop 1
	v_cndmask_b32_e32 v3, -1.0, v3, vcc
	v_cmp_ngt_f32_e32 vcc, s21, v10
	v_bfe_u32 v10, v3, 16, 1
	v_add3_u32 v10, v3, v10, s19
	v_cndmask_b32_e32 v8, -1.0, v12, vcc
	v_cmp_ngt_f32_e32 vcc, s21, v11
	v_bfe_u32 v11, v2, 16, 1
	v_add3_u32 v11, v2, v11, s19
	v_cndmask_b32_e32 v9, -1.0, v13, vcc
	v_lshrrev_b32_e32 v10, 16, v10
	v_cmp_o_f32_e32 vcc, v3, v3
	v_and_b32_e32 v11, 0xffff0000, v11
	s_nop 0
	v_cndmask_b32_e32 v3, v28, v10, vcc
	v_cmp_o_f32_e32 vcc, v2, v2
	s_nop 1
	v_cndmask_b32_e32 v2, v29, v11, vcc
	v_or_b32_e32 v2, v3, v2
	v_bfe_u32 v3, v9, 16, 1
	v_add3_u32 v3, v9, v3, s19
	v_cmp_o_f32_e32 vcc, v9, v9
	v_bfe_u32 v9, v8, 16, 1
	v_lshrrev_b32_e32 v3, 16, v3
	v_add3_u32 v9, v8, v9, s19
	v_cndmask_b32_e32 v3, v28, v3, vcc
	v_and_b32_e32 v9, 0xffff0000, v9
	v_cmp_o_f32_e32 vcc, v8, v8
	v_or3_b32 v2, v2, 0, 0
	s_nop 0
	v_cndmask_b32_e32 v8, v29, v9, vcc
	s_waitcnt vmcnt(0)
	v_lshlrev_b32_e32 v9, 16, v6
	v_or3_b32 v3, 0, v3, v8
	v_and_b32_e32 v8, 0xffff0000, v6
	v_mul_f32_e32 v6, 0x3fb8aa3b, v9
	v_rndne_f32_e32 v11, v6
	v_mul_f32_e32 v6, 0x3fb8aa3b, v8
	v_cvt_i32_f32_e32 v14, v11
	v_rndne_f32_e32 v10, v6
	v_pk_fma_f32 v[12:13], v[10:11], s[14:15], v[8:9] op_sel_hi:[1,0,1] neg_lo:[1,0,0] neg_hi:[1,0,0]
	v_cvt_i32_f32_e32 v16, v10
	v_pk_fma_f32 v[12:13], v[10:11], s[16:17], v[12:13] op_sel_hi:[1,0,1] neg_lo:[1,0,0] neg_hi:[1,0,0]
	v_ldexp_f32 v6, 1.0, v14
	v_pk_fma_f32 v[14:15], v[12:13], s[18:19], v[4:5] op_sel_hi:[1,0,0]
	v_cmp_eq_f32_e32 vcc, s7, v11
	v_pk_fma_f32 v[14:15], v[12:13], v[14:15], s[20:21] op_sel_hi:[1,1,0]
	v_cmp_eq_f32_e64 s[0:1], s7, v10
	v_pk_fma_f32 v[14:15], v[12:13], v[14:15], s[22:23] op_sel_hi:[1,1,0]
	v_cndmask_b32_e32 v11, v6, v26, vcc
	v_pk_fma_f32 v[14:15], v[12:13], v[14:15], s[24:25] op_sel_hi:[1,1,0]
	s_nop 0
	v_pk_fma_f32 v[14:15], v[12:13], v[14:15], 0.5 op_sel_hi:[1,1,0]
	s_nop 0
	v_pk_mul_f32 v[14:15], v[12:13], v[14:15]
	s_nop 0
	v_pk_fma_f32 v[12:13], v[12:13], v[14:15], v[12:13]
	v_ldexp_f32 v14, 1.0, v16
	v_cndmask_b32_e64 v10, v14, v26, s[0:1]
	v_pk_add_f32 v[14:15], v[10:11], -1.0 op_sel_hi:[1,0]
	s_nop 0
	v_pk_fma_f32 v[10:11], v[10:11], v[12:13], v[14:15]
	s_nop 0
	v_pk_add_f32 v[12:13], v[10:11], v[10:11]
	s_nop 0
	v_cndmask_b32_e64 v6, v10, v12, s[0:1]
	v_cndmask_b32_e32 v10, v11, v13, vcc
	v_cmp_nlt_f32_e32 vcc, s17, v9
	s_nop 1
	v_cndmask_b32_e32 v10, v27, v10, vcc
	v_cmp_nlt_f32_e32 vcc, s17, v8
	s_nop 1
	v_cndmask_b32_e32 v6, v27, v6, vcc
	v_cmp_ngt_f32_e32 vcc, s21, v8
	s_nop 1
	v_cndmask_b32_e32 v6, -1.0, v6, vcc
	v_cmp_ngt_f32_e32 vcc, s21, v9
	s_nop 1
	v_cndmask_b32_e32 v8, -1.0, v10, vcc
	v_bfe_u32 v9, v8, 16, 1
	v_add3_u32 v9, v8, v9, s19
	v_lshrrev_b32_e32 v9, 16, v9
	v_cmp_o_f32_e32 vcc, v8, v8
	s_nop 1
	v_cndmask_b32_e32 v8, v28, v9, vcc
	v_bfe_u32 v9, v6, 16, 1
	v_add3_u32 v9, v6, v9, s19
	v_and_b32_e32 v9, 0xffff0000, v9
	v_cmp_o_f32_e32 vcc, v6, v6
	s_nop 1
	v_cndmask_b32_e32 v6, v29, v9, vcc
	v_lshlrev_b32_e32 v9, 16, v7
	v_or_b32_e32 v12, v8, v6
	v_and_b32_e32 v8, 0xffff0000, v7
	v_mul_f32_e32 v6, 0x3fb8aa3b, v9
	v_rndne_f32_e32 v7, v6
	v_mul_f32_e32 v6, 0x3fb8aa3b, v8
	v_rndne_f32_e32 v6, v6
	v_pk_fma_f32 v[10:11], v[6:7], s[14:15], v[8:9] op_sel_hi:[1,0,1] neg_lo:[1,0,0] neg_hi:[1,0,0]
	v_cvt_i32_f32_e32 v13, v7
	v_pk_fma_f32 v[10:11], v[6:7], s[16:17], v[10:11] op_sel_hi:[1,0,1] neg_lo:[1,0,0] neg_hi:[1,0,0]
	v_cvt_i32_f32_e32 v14, v6
	v_pk_fma_f32 v[4:5], v[10:11], s[18:19], v[4:5] op_sel_hi:[1,0,0]
	v_ldexp_f32 v13, 1.0, v13
	v_pk_fma_f32 v[4:5], v[10:11], v[4:5], s[20:21] op_sel_hi:[1,1,0]
	v_cmp_eq_f32_e32 vcc, s7, v7
	v_pk_fma_f32 v[4:5], v[10:11], v[4:5], s[22:23] op_sel_hi:[1,1,0]
	v_cmp_eq_f32_e64 s[0:1], s7, v6
	v_pk_fma_f32 v[4:5], v[10:11], v[4:5], s[24:25] op_sel_hi:[1,1,0]
	v_cndmask_b32_e32 v7, v13, v26, vcc
	v_pk_fma_f32 v[4:5], v[10:11], v[4:5], 0.5 op_sel_hi:[1,1,0]
	s_nop 0
	v_pk_mul_f32 v[4:5], v[10:11], v[4:5]
	s_nop 0
	v_pk_fma_f32 v[4:5], v[10:11], v[4:5], v[10:11]
	v_ldexp_f32 v10, 1.0, v14
	v_cndmask_b32_e64 v6, v10, v26, s[0:1]
	v_pk_add_f32 v[10:11], v[6:7], -1.0 op_sel_hi:[1,0]
	s_nop 0
	v_pk_fma_f32 v[4:5], v[6:7], v[4:5], v[10:11]
	s_nop 0
	v_pk_add_f32 v[6:7], v[4:5], v[4:5]
	s_nop 0
	v_cndmask_b32_e32 v5, v5, v7, vcc
	v_cmp_nlt_f32_e32 vcc, s17, v9
	v_cndmask_b32_e64 v4, v4, v6, s[0:1]
	s_add_u32 s0, s8, s12
	v_cndmask_b32_e32 v5, v27, v5, vcc
	v_cmp_nlt_f32_e32 vcc, s17, v8
	s_addc_u32 s1, s9, s13
	s_nop 0
	v_cndmask_b32_e32 v4, v27, v4, vcc
	v_cmp_ngt_f32_e32 vcc, s21, v8
	s_nop 1
	v_cndmask_b32_e32 v4, -1.0, v4, vcc
	v_cmp_ngt_f32_e32 vcc, s21, v9
	s_nop 1
	v_cndmask_b32_e32 v5, -1.0, v5, vcc
	v_bfe_u32 v6, v5, 16, 1
	v_add3_u32 v6, v5, v6, s19
	v_lshrrev_b32_e32 v6, 16, v6
	v_cmp_o_f32_e32 vcc, v5, v5
	s_nop 1
	v_cndmask_b32_e32 v5, v28, v6, vcc
	v_bfe_u32 v6, v4, 16, 1
	v_add3_u32 v6, v4, v6, s19
	v_and_b32_e32 v6, 0xffff0000, v6
	v_cmp_o_f32_e32 vcc, v4, v4
	s_nop 1
	v_cndmask_b32_e32 v4, v29, v6, vcc
	v_or3_b32 v5, 0, v5, v4
	v_or3_b32 v4, v12, 0, 0
	global_store_dwordx2 v1, v[2:3], s[0:1]
	global_store_dwordx2 v1, v[4:5], s[0:1] offset:2048
	s_mov_b64 s[0:1], 0
.LBB148_2:
	s_andn2_b64 vcc, exec, s[0:1]
	s_cbranch_vccnz .LBB148_41
; %bb.3:
	v_cmp_gt_i32_e64 s[0:1], s15, v0
	v_mov_b32_e32 v9, 0
	v_or_b32_e32 v2, s6, v0
	v_mov_b32_e32 v5, 0
	v_mov_b32_e32 v4, v0
	s_and_saveexec_b64 s[2:3], s[0:1]
	s_cbranch_execz .LBB148_5
; %bb.4:
	v_mov_b32_e32 v3, 0
	v_lshl_add_u64 v[4:5], v[2:3], 1, s[10:11]
	global_load_ushort v1, v[4:5], off
	v_or_b32_e32 v4, 0x100, v0
	s_waitcnt vmcnt(0)
	v_lshlrev_b32_e32 v5, 16, v1
.LBB148_5:
	s_or_b64 exec, exec, s[2:3]
	v_cmp_gt_i32_e32 vcc, s15, v4
	s_and_saveexec_b64 s[2:3], vcc
	s_cbranch_execz .LBB148_7
; %bb.6:
	v_add_u32_e32 v6, s6, v4
	v_mov_b32_e32 v7, 0
	v_lshl_add_u64 v[6:7], v[6:7], 1, s[10:11]
	global_load_ushort v1, v[6:7], off
	v_add_u32_e32 v4, 0x100, v4
	s_waitcnt vmcnt(0)
	v_lshlrev_b32_e32 v9, 16, v1
.LBB148_7:
	s_or_b64 exec, exec, s[2:3]
	v_cmp_gt_i32_e32 vcc, s15, v4
	v_mov_b32_e32 v10, 0
	v_mov_b32_e32 v11, 0
	s_and_saveexec_b64 s[2:3], vcc
	s_cbranch_execz .LBB148_9
; %bb.8:
	v_add_u32_e32 v6, s6, v4
	v_mov_b32_e32 v7, 0
	v_lshl_add_u64 v[6:7], v[6:7], 1, s[10:11]
	global_load_ushort v1, v[6:7], off
	v_add_u32_e32 v4, 0x100, v4
	s_waitcnt vmcnt(0)
	v_lshlrev_b32_e32 v11, 16, v1
.LBB148_9:
	s_or_b64 exec, exec, s[2:3]
	v_cmp_gt_i32_e32 vcc, s15, v4
	s_and_saveexec_b64 s[2:3], vcc
	s_cbranch_execz .LBB148_11
; %bb.10:
	v_add_u32_e32 v6, s6, v4
	v_mov_b32_e32 v7, 0
	v_lshl_add_u64 v[6:7], v[6:7], 1, s[10:11]
	global_load_ushort v1, v[6:7], off
	v_add_u32_e32 v4, 0x100, v4
	s_waitcnt vmcnt(0)
	v_lshlrev_b32_e32 v10, 16, v1
.LBB148_11:
	s_or_b64 exec, exec, s[2:3]
	v_cmp_gt_i32_e32 vcc, s15, v4
	v_mov_b32_e32 v6, 0
	v_mov_b32_e32 v8, 0
	s_and_saveexec_b64 s[2:3], vcc
	s_cbranch_execz .LBB148_13
; %bb.12:
	v_add_u32_e32 v12, s6, v4
	v_mov_b32_e32 v13, 0
	v_lshl_add_u64 v[12:13], v[12:13], 1, s[10:11]
	global_load_ushort v1, v[12:13], off
	v_add_u32_e32 v4, 0x100, v4
	s_waitcnt vmcnt(0)
	v_lshlrev_b32_e32 v8, 16, v1
.LBB148_13:
	s_or_b64 exec, exec, s[2:3]
	v_cmp_gt_i32_e32 vcc, s15, v4
	s_and_saveexec_b64 s[2:3], vcc
	s_cbranch_execz .LBB148_15
; %bb.14:
	v_add_u32_e32 v6, s6, v4
	v_mov_b32_e32 v7, 0
	v_lshl_add_u64 v[6:7], v[6:7], 1, s[10:11]
	global_load_ushort v1, v[6:7], off
	v_add_u32_e32 v4, 0x100, v4
	s_waitcnt vmcnt(0)
	v_lshlrev_b32_e32 v6, 16, v1
.LBB148_15:
	s_or_b64 exec, exec, s[2:3]
	v_cmp_gt_i32_e32 vcc, s15, v4
	v_mov_b32_e32 v1, 0
	v_mov_b32_e32 v3, 0
	s_and_saveexec_b64 s[2:3], vcc
	s_cbranch_execnz .LBB148_42
; %bb.16:
	s_or_b64 exec, exec, s[2:3]
	v_cmp_gt_i32_e32 vcc, s15, v4
	s_and_saveexec_b64 s[2:3], vcc
	s_cbranch_execnz .LBB148_43
.LBB148_17:
	s_or_b64 exec, exec, s[2:3]
                                        ; implicit-def: $vgpr4
	s_and_saveexec_b64 s[2:3], s[0:1]
	s_cbranch_execz .LBB148_19
.LBB148_18:
	v_mul_f32_e32 v4, 0x3fb8aa3b, v5
	v_rndne_f32_e32 v4, v4
	v_fmamk_f32 v7, v4, 0xbf317218, v5
	v_fmamk_f32 v7, v4, 0x3102e308, v7
	v_mov_b32_e32 v12, 0x3ab69700
	v_fmac_f32_e32 v12, 0x395133b1, v7
	v_fmaak_f32 v12, v7, v12, 0x3c0887f9
	v_fmaak_f32 v12, v7, v12, 0x3d2aaa81
	v_cvt_i32_f32_e32 v13, v4
	v_fmaak_f32 v12, v7, v12, 0x3e2aaaab
	v_fma_f32 v12, v7, v12, 0.5
	v_mul_f32_e32 v12, v7, v12
	s_mov_b32 s4, 0x43000000
	v_fmac_f32_e32 v7, v7, v12
	v_ldexp_f32 v12, 1.0, v13
	v_mov_b32_e32 v13, 0x7f000000
	v_cmp_eq_f32_e32 vcc, s4, v4
	s_mov_b32 s4, 0x42b17217
	s_nop 0
	v_cndmask_b32_e32 v4, v12, v13, vcc
	v_add_f32_e32 v12, -1.0, v4
	v_fmac_f32_e32 v12, v4, v7
	v_add_f32_e32 v4, v12, v12
	v_cndmask_b32_e32 v4, v12, v4, vcc
	v_mov_b32_e32 v7, 0x7f800000
	v_cmp_nlt_f32_e32 vcc, s4, v5
	s_mov_b32 s4, 0xc1880000
	s_nop 0
	v_cndmask_b32_e32 v4, v7, v4, vcc
	v_cmp_ngt_f32_e32 vcc, s4, v5
	s_movk_i32 s4, 0x7fff
	s_nop 0
	v_cndmask_b32_e32 v4, -1.0, v4, vcc
	v_bfe_u32 v5, v4, 16, 1
	v_add3_u32 v5, v4, v5, s4
	v_cmp_o_f32_e32 vcc, v4, v4
	v_mov_b32_e32 v4, 0x7fc0
	s_nop 0
	v_cndmask_b32_sdwa v4, v4, v5, vcc dst_sel:DWORD dst_unused:UNUSED_PAD src0_sel:DWORD src1_sel:WORD_1
.LBB148_19:
	s_or_b64 exec, exec, s[2:3]
	v_or_b32_e32 v5, 0x100, v0
	v_cmp_gt_i32_e32 vcc, s15, v5
                                        ; implicit-def: $vgpr7
	s_and_saveexec_b64 s[2:3], vcc
	s_cbranch_execz .LBB148_21
; %bb.20:
	v_mul_f32_e32 v7, 0x3fb8aa3b, v9
	v_rndne_f32_e32 v7, v7
	v_fmamk_f32 v12, v7, 0xbf317218, v9
	v_fmamk_f32 v12, v7, 0x3102e308, v12
	v_mov_b32_e32 v13, 0x3ab69700
	v_fmac_f32_e32 v13, 0x395133b1, v12
	v_fmaak_f32 v13, v12, v13, 0x3c0887f9
	v_fmaak_f32 v13, v12, v13, 0x3d2aaa81
	v_cvt_i32_f32_e32 v14, v7
	v_fmaak_f32 v13, v12, v13, 0x3e2aaaab
	v_fma_f32 v13, v12, v13, 0.5
	v_mul_f32_e32 v13, v12, v13
	s_mov_b32 s4, 0x43000000
	v_fmac_f32_e32 v12, v12, v13
	v_ldexp_f32 v13, 1.0, v14
	v_mov_b32_e32 v14, 0x7f000000
	v_cmp_eq_f32_e32 vcc, s4, v7
	s_mov_b32 s4, 0x42b17217
	s_nop 0
	v_cndmask_b32_e32 v7, v13, v14, vcc
	v_add_f32_e32 v13, -1.0, v7
	v_fmac_f32_e32 v13, v7, v12
	v_add_f32_e32 v7, v13, v13
	v_cndmask_b32_e32 v7, v13, v7, vcc
	v_mov_b32_e32 v12, 0x7f800000
	v_cmp_nlt_f32_e32 vcc, s4, v9
	s_mov_b32 s4, 0xc1880000
	s_nop 0
	v_cndmask_b32_e32 v7, v12, v7, vcc
	v_cmp_ngt_f32_e32 vcc, s4, v9
	s_movk_i32 s4, 0x7fff
	s_nop 0
	v_cndmask_b32_e32 v7, -1.0, v7, vcc
	v_bfe_u32 v9, v7, 16, 1
	v_add3_u32 v9, v7, v9, s4
	v_cmp_o_f32_e32 vcc, v7, v7
	v_mov_b32_e32 v7, 0x7fc0
	s_nop 0
	v_cndmask_b32_sdwa v7, v7, v9, vcc dst_sel:DWORD dst_unused:UNUSED_PAD src0_sel:DWORD src1_sel:WORD_1
.LBB148_21:
	s_or_b64 exec, exec, s[2:3]
	v_or_b32_e32 v9, 0x200, v0
	v_cmp_gt_i32_e32 vcc, s15, v9
                                        ; implicit-def: $vgpr9
	s_and_saveexec_b64 s[2:3], vcc
	s_cbranch_execz .LBB148_23
; %bb.22:
	v_mul_f32_e32 v9, 0x3fb8aa3b, v11
	v_rndne_f32_e32 v9, v9
	v_fmamk_f32 v12, v9, 0xbf317218, v11
	v_fmamk_f32 v12, v9, 0x3102e308, v12
	v_mov_b32_e32 v13, 0x3ab69700
	v_fmac_f32_e32 v13, 0x395133b1, v12
	v_fmaak_f32 v13, v12, v13, 0x3c0887f9
	v_fmaak_f32 v13, v12, v13, 0x3d2aaa81
	v_cvt_i32_f32_e32 v14, v9
	v_fmaak_f32 v13, v12, v13, 0x3e2aaaab
	v_fma_f32 v13, v12, v13, 0.5
	v_mul_f32_e32 v13, v12, v13
	s_mov_b32 s4, 0x43000000
	v_fmac_f32_e32 v12, v12, v13
	v_ldexp_f32 v13, 1.0, v14
	v_mov_b32_e32 v14, 0x7f000000
	v_cmp_eq_f32_e32 vcc, s4, v9
	s_mov_b32 s4, 0x42b17217
	s_nop 0
	v_cndmask_b32_e32 v9, v13, v14, vcc
	v_add_f32_e32 v13, -1.0, v9
	v_fmac_f32_e32 v13, v9, v12
	v_add_f32_e32 v9, v13, v13
	v_cndmask_b32_e32 v9, v13, v9, vcc
	v_mov_b32_e32 v12, 0x7f800000
	v_cmp_nlt_f32_e32 vcc, s4, v11
	s_mov_b32 s4, 0xc1880000
	s_nop 0
	v_cndmask_b32_e32 v9, v12, v9, vcc
	v_cmp_ngt_f32_e32 vcc, s4, v11
	s_movk_i32 s4, 0x7fff
	s_nop 0
	v_cndmask_b32_e32 v9, -1.0, v9, vcc
	v_bfe_u32 v11, v9, 16, 1
	v_add3_u32 v11, v9, v11, s4
	v_cmp_o_f32_e32 vcc, v9, v9
	v_mov_b32_e32 v9, 0x7fc0
	s_nop 0
	v_cndmask_b32_sdwa v9, v9, v11, vcc dst_sel:DWORD dst_unused:UNUSED_PAD src0_sel:DWORD src1_sel:WORD_1
.LBB148_23:
	s_or_b64 exec, exec, s[2:3]
	v_or_b32_e32 v11, 0x300, v0
	v_cmp_gt_i32_e32 vcc, s15, v11
                                        ; implicit-def: $vgpr11
	s_and_saveexec_b64 s[2:3], vcc
	s_cbranch_execz .LBB148_25
; %bb.24:
	v_mul_f32_e32 v11, 0x3fb8aa3b, v10
	v_rndne_f32_e32 v11, v11
	v_fmamk_f32 v12, v11, 0xbf317218, v10
	v_fmamk_f32 v12, v11, 0x3102e308, v12
	v_mov_b32_e32 v13, 0x3ab69700
	v_fmac_f32_e32 v13, 0x395133b1, v12
	v_fmaak_f32 v13, v12, v13, 0x3c0887f9
	v_fmaak_f32 v13, v12, v13, 0x3d2aaa81
	v_cvt_i32_f32_e32 v14, v11
	v_fmaak_f32 v13, v12, v13, 0x3e2aaaab
	v_fma_f32 v13, v12, v13, 0.5
	v_mul_f32_e32 v13, v12, v13
	s_mov_b32 s4, 0x43000000
	v_fmac_f32_e32 v12, v12, v13
	v_ldexp_f32 v13, 1.0, v14
	v_mov_b32_e32 v14, 0x7f000000
	v_cmp_eq_f32_e32 vcc, s4, v11
	s_mov_b32 s4, 0x42b17217
	s_nop 0
	v_cndmask_b32_e32 v11, v13, v14, vcc
	v_add_f32_e32 v13, -1.0, v11
	v_fmac_f32_e32 v13, v11, v12
	v_add_f32_e32 v11, v13, v13
	v_cndmask_b32_e32 v11, v13, v11, vcc
	v_mov_b32_e32 v12, 0x7f800000
	v_cmp_nlt_f32_e32 vcc, s4, v10
	s_mov_b32 s4, 0xc1880000
	s_nop 0
	v_cndmask_b32_e32 v11, v12, v11, vcc
	v_cmp_ngt_f32_e32 vcc, s4, v10
	s_movk_i32 s4, 0x7fff
	s_nop 0
	v_cndmask_b32_e32 v10, -1.0, v11, vcc
	v_bfe_u32 v11, v10, 16, 1
	v_add3_u32 v11, v10, v11, s4
	v_cmp_o_f32_e32 vcc, v10, v10
	v_mov_b32_e32 v10, 0x7fc0
	s_nop 0
	v_cndmask_b32_sdwa v11, v10, v11, vcc dst_sel:DWORD dst_unused:UNUSED_PAD src0_sel:DWORD src1_sel:WORD_1
.LBB148_25:
	s_or_b64 exec, exec, s[2:3]
	v_or_b32_e32 v10, 0x400, v0
	v_cmp_gt_i32_e32 vcc, s15, v10
                                        ; implicit-def: $vgpr10
	s_and_saveexec_b64 s[2:3], vcc
	s_cbranch_execz .LBB148_27
; %bb.26:
	v_mul_f32_e32 v10, 0x3fb8aa3b, v8
	v_rndne_f32_e32 v10, v10
	v_fmamk_f32 v12, v10, 0xbf317218, v8
	v_fmamk_f32 v12, v10, 0x3102e308, v12
	v_mov_b32_e32 v13, 0x3ab69700
	v_fmac_f32_e32 v13, 0x395133b1, v12
	v_fmaak_f32 v13, v12, v13, 0x3c0887f9
	v_fmaak_f32 v13, v12, v13, 0x3d2aaa81
	v_cvt_i32_f32_e32 v14, v10
	v_fmaak_f32 v13, v12, v13, 0x3e2aaaab
	v_fma_f32 v13, v12, v13, 0.5
	v_mul_f32_e32 v13, v12, v13
	s_mov_b32 s4, 0x43000000
	v_fmac_f32_e32 v12, v12, v13
	v_ldexp_f32 v13, 1.0, v14
	v_mov_b32_e32 v14, 0x7f000000
	v_cmp_eq_f32_e32 vcc, s4, v10
	s_mov_b32 s4, 0x42b17217
	s_nop 0
	v_cndmask_b32_e32 v10, v13, v14, vcc
	v_add_f32_e32 v13, -1.0, v10
	v_fmac_f32_e32 v13, v10, v12
	v_add_f32_e32 v10, v13, v13
	v_cndmask_b32_e32 v10, v13, v10, vcc
	v_mov_b32_e32 v12, 0x7f800000
	v_cmp_nlt_f32_e32 vcc, s4, v8
	s_mov_b32 s4, 0xc1880000
	s_nop 0
	v_cndmask_b32_e32 v10, v12, v10, vcc
	v_cmp_ngt_f32_e32 vcc, s4, v8
	s_movk_i32 s4, 0x7fff
	s_nop 0
	v_cndmask_b32_e32 v8, -1.0, v10, vcc
	v_bfe_u32 v10, v8, 16, 1
	v_add3_u32 v10, v8, v10, s4
	v_cmp_o_f32_e32 vcc, v8, v8
	v_mov_b32_e32 v8, 0x7fc0
	s_nop 0
	v_cndmask_b32_sdwa v10, v8, v10, vcc dst_sel:DWORD dst_unused:UNUSED_PAD src0_sel:DWORD src1_sel:WORD_1
.LBB148_27:
	s_or_b64 exec, exec, s[2:3]
	v_or_b32_e32 v8, 0x500, v0
	v_cmp_gt_i32_e32 vcc, s15, v8
                                        ; implicit-def: $vgpr8
	s_and_saveexec_b64 s[2:3], vcc
	s_cbranch_execz .LBB148_29
; %bb.28:
	v_mul_f32_e32 v8, 0x3fb8aa3b, v6
	v_rndne_f32_e32 v8, v8
	v_fmamk_f32 v12, v8, 0xbf317218, v6
	v_fmamk_f32 v12, v8, 0x3102e308, v12
	v_mov_b32_e32 v13, 0x3ab69700
	v_fmac_f32_e32 v13, 0x395133b1, v12
	v_fmaak_f32 v13, v12, v13, 0x3c0887f9
	v_fmaak_f32 v13, v12, v13, 0x3d2aaa81
	v_cvt_i32_f32_e32 v14, v8
	v_fmaak_f32 v13, v12, v13, 0x3e2aaaab
	v_fma_f32 v13, v12, v13, 0.5
	v_mul_f32_e32 v13, v12, v13
	s_mov_b32 s4, 0x43000000
	v_fmac_f32_e32 v12, v12, v13
	v_ldexp_f32 v13, 1.0, v14
	v_mov_b32_e32 v14, 0x7f000000
	v_cmp_eq_f32_e32 vcc, s4, v8
	s_mov_b32 s4, 0x42b17217
	s_nop 0
	v_cndmask_b32_e32 v8, v13, v14, vcc
	v_add_f32_e32 v13, -1.0, v8
	v_fmac_f32_e32 v13, v8, v12
	v_add_f32_e32 v8, v13, v13
	v_cndmask_b32_e32 v8, v13, v8, vcc
	v_mov_b32_e32 v12, 0x7f800000
	v_cmp_nlt_f32_e32 vcc, s4, v6
	s_mov_b32 s4, 0xc1880000
	s_nop 0
	v_cndmask_b32_e32 v8, v12, v8, vcc
	v_cmp_ngt_f32_e32 vcc, s4, v6
	s_movk_i32 s4, 0x7fff
	s_nop 0
	v_cndmask_b32_e32 v6, -1.0, v8, vcc
	v_bfe_u32 v8, v6, 16, 1
	v_add3_u32 v8, v6, v8, s4
	v_cmp_o_f32_e32 vcc, v6, v6
	v_mov_b32_e32 v6, 0x7fc0
	s_nop 0
	v_cndmask_b32_sdwa v8, v6, v8, vcc dst_sel:DWORD dst_unused:UNUSED_PAD src0_sel:DWORD src1_sel:WORD_1
.LBB148_29:
	s_or_b64 exec, exec, s[2:3]
	v_or_b32_e32 v6, 0x600, v0
	v_cmp_gt_i32_e32 vcc, s15, v6
                                        ; implicit-def: $vgpr6
	s_and_saveexec_b64 s[2:3], vcc
	s_cbranch_execz .LBB148_31
; %bb.30:
	v_mul_f32_e32 v6, 0x3fb8aa3b, v3
	v_rndne_f32_e32 v6, v6
	v_fmamk_f32 v12, v6, 0xbf317218, v3
	v_fmamk_f32 v12, v6, 0x3102e308, v12
	v_mov_b32_e32 v13, 0x3ab69700
	v_fmac_f32_e32 v13, 0x395133b1, v12
	v_fmaak_f32 v13, v12, v13, 0x3c0887f9
	v_fmaak_f32 v13, v12, v13, 0x3d2aaa81
	v_cvt_i32_f32_e32 v14, v6
	v_fmaak_f32 v13, v12, v13, 0x3e2aaaab
	v_fma_f32 v13, v12, v13, 0.5
	v_mul_f32_e32 v13, v12, v13
	s_mov_b32 s4, 0x43000000
	v_fmac_f32_e32 v12, v12, v13
	v_ldexp_f32 v13, 1.0, v14
	v_mov_b32_e32 v14, 0x7f000000
	v_cmp_eq_f32_e32 vcc, s4, v6
	s_mov_b32 s4, 0x42b17217
	s_nop 0
	v_cndmask_b32_e32 v6, v13, v14, vcc
	v_add_f32_e32 v13, -1.0, v6
	v_fmac_f32_e32 v13, v6, v12
	v_add_f32_e32 v6, v13, v13
	v_cndmask_b32_e32 v6, v13, v6, vcc
	v_mov_b32_e32 v12, 0x7f800000
	v_cmp_nlt_f32_e32 vcc, s4, v3
	s_mov_b32 s4, 0xc1880000
	s_nop 0
	v_cndmask_b32_e32 v6, v12, v6, vcc
	v_cmp_ngt_f32_e32 vcc, s4, v3
	s_movk_i32 s4, 0x7fff
	s_nop 0
	v_cndmask_b32_e32 v3, -1.0, v6, vcc
	v_bfe_u32 v6, v3, 16, 1
	v_add3_u32 v6, v3, v6, s4
	v_cmp_o_f32_e32 vcc, v3, v3
	v_mov_b32_e32 v3, 0x7fc0
	s_nop 0
	v_cndmask_b32_sdwa v6, v3, v6, vcc dst_sel:DWORD dst_unused:UNUSED_PAD src0_sel:DWORD src1_sel:WORD_1
.LBB148_31:
	s_or_b64 exec, exec, s[2:3]
	v_or_b32_e32 v3, 0x700, v0
	v_cmp_gt_i32_e32 vcc, s15, v3
                                        ; implicit-def: $vgpr12
	s_and_saveexec_b64 s[2:3], vcc
	s_cbranch_execnz .LBB148_44
; %bb.32:
	s_or_b64 exec, exec, s[2:3]
	s_and_saveexec_b64 s[2:3], s[0:1]
	s_xor_b64 s[0:1], exec, s[2:3]
	s_cbranch_execnz .LBB148_45
.LBB148_33:
	s_or_b64 exec, exec, s[0:1]
	v_cmp_gt_i32_e32 vcc, s15, v0
	s_and_saveexec_b64 s[0:1], vcc
	s_cbranch_execnz .LBB148_46
.LBB148_34:
	s_or_b64 exec, exec, s[0:1]
	v_cmp_gt_i32_e32 vcc, s15, v0
	s_and_saveexec_b64 s[0:1], vcc
	s_cbranch_execnz .LBB148_47
.LBB148_35:
	s_or_b64 exec, exec, s[0:1]
	v_cmp_gt_i32_e32 vcc, s15, v0
	s_and_saveexec_b64 s[0:1], vcc
	s_cbranch_execnz .LBB148_48
.LBB148_36:
	s_or_b64 exec, exec, s[0:1]
	v_cmp_gt_i32_e32 vcc, s15, v0
	s_and_saveexec_b64 s[0:1], vcc
	s_cbranch_execnz .LBB148_49
.LBB148_37:
	s_or_b64 exec, exec, s[0:1]
	v_cmp_gt_i32_e32 vcc, s15, v0
	s_and_saveexec_b64 s[0:1], vcc
	s_cbranch_execnz .LBB148_50
.LBB148_38:
	s_or_b64 exec, exec, s[0:1]
	v_cmp_gt_i32_e32 vcc, s15, v0
	s_and_saveexec_b64 s[0:1], vcc
	s_cbranch_execnz .LBB148_51
.LBB148_39:
	s_or_b64 exec, exec, s[0:1]
	v_cmp_gt_i32_e32 vcc, s15, v0
	s_and_saveexec_b64 s[0:1], vcc
	s_cbranch_execz .LBB148_41
.LBB148_40:
	v_add_u32_e32 v0, s6, v0
	v_mov_b32_e32 v1, 0
	v_lshl_add_u64 v[0:1], v[0:1], 1, s[8:9]
	global_store_short v[0:1], v12, off
.LBB148_41:
	s_endpgm
.LBB148_42:
	v_add_u32_e32 v12, s6, v4
	v_mov_b32_e32 v13, 0
	v_lshl_add_u64 v[12:13], v[12:13], 1, s[10:11]
	global_load_ushort v3, v[12:13], off
	v_add_u32_e32 v4, 0x100, v4
	s_waitcnt vmcnt(0)
	v_lshlrev_b32_e32 v3, 16, v3
	s_or_b64 exec, exec, s[2:3]
	v_cmp_gt_i32_e32 vcc, s15, v4
	s_and_saveexec_b64 s[2:3], vcc
	s_cbranch_execz .LBB148_17
.LBB148_43:
	v_add_u32_e32 v12, s6, v4
	v_mov_b32_e32 v13, 0
	v_lshl_add_u64 v[12:13], v[12:13], 1, s[10:11]
	global_load_ushort v1, v[12:13], off
	s_waitcnt vmcnt(0)
	v_lshlrev_b32_e32 v1, 16, v1
	s_or_b64 exec, exec, s[2:3]
                                        ; implicit-def: $vgpr4
	s_and_saveexec_b64 s[2:3], s[0:1]
	s_cbranch_execnz .LBB148_18
	s_branch .LBB148_19
.LBB148_44:
	v_mul_f32_e32 v3, 0x3fb8aa3b, v1
	v_rndne_f32_e32 v3, v3
	v_fmamk_f32 v12, v3, 0xbf317218, v1
	v_fmamk_f32 v12, v3, 0x3102e308, v12
	v_mov_b32_e32 v13, 0x3ab69700
	v_fmac_f32_e32 v13, 0x395133b1, v12
	v_fmaak_f32 v13, v12, v13, 0x3c0887f9
	v_fmaak_f32 v13, v12, v13, 0x3d2aaa81
	v_cvt_i32_f32_e32 v14, v3
	v_fmaak_f32 v13, v12, v13, 0x3e2aaaab
	v_fma_f32 v13, v12, v13, 0.5
	v_mul_f32_e32 v13, v12, v13
	s_mov_b32 s4, 0x43000000
	v_fmac_f32_e32 v12, v12, v13
	v_ldexp_f32 v13, 1.0, v14
	v_mov_b32_e32 v14, 0x7f000000
	v_cmp_eq_f32_e32 vcc, s4, v3
	s_mov_b32 s4, 0x42b17217
	s_nop 0
	v_cndmask_b32_e32 v3, v13, v14, vcc
	v_add_f32_e32 v13, -1.0, v3
	v_fmac_f32_e32 v13, v3, v12
	v_add_f32_e32 v3, v13, v13
	v_cndmask_b32_e32 v3, v13, v3, vcc
	v_mov_b32_e32 v12, 0x7f800000
	v_cmp_nlt_f32_e32 vcc, s4, v1
	s_mov_b32 s4, 0xc1880000
	s_nop 0
	v_cndmask_b32_e32 v3, v12, v3, vcc
	v_cmp_ngt_f32_e32 vcc, s4, v1
	s_movk_i32 s4, 0x7fff
	s_nop 0
	v_cndmask_b32_e32 v1, -1.0, v3, vcc
	v_bfe_u32 v3, v1, 16, 1
	v_add3_u32 v3, v1, v3, s4
	v_cmp_o_f32_e32 vcc, v1, v1
	v_mov_b32_e32 v1, 0x7fc0
	s_nop 0
	v_cndmask_b32_sdwa v12, v1, v3, vcc dst_sel:DWORD dst_unused:UNUSED_PAD src0_sel:DWORD src1_sel:WORD_1
	s_or_b64 exec, exec, s[2:3]
	s_and_saveexec_b64 s[2:3], s[0:1]
	s_xor_b64 s[0:1], exec, s[2:3]
	s_cbranch_execz .LBB148_33
.LBB148_45:
	v_mov_b32_e32 v3, 0
	v_lshl_add_u64 v[0:1], v[2:3], 1, s[8:9]
	global_store_short v[0:1], v4, off
	v_mov_b32_e32 v0, v5
	s_or_b64 exec, exec, s[0:1]
	v_cmp_gt_i32_e32 vcc, s15, v0
	s_and_saveexec_b64 s[0:1], vcc
	s_cbranch_execz .LBB148_34
.LBB148_46:
	v_add_u32_e32 v2, s6, v0
	v_mov_b32_e32 v3, 0
	v_lshl_add_u64 v[2:3], v[2:3], 1, s[8:9]
	v_add_u32_e32 v0, 0x100, v0
	global_store_short v[2:3], v7, off
	s_or_b64 exec, exec, s[0:1]
	v_cmp_gt_i32_e32 vcc, s15, v0
	s_and_saveexec_b64 s[0:1], vcc
	s_cbranch_execz .LBB148_35
.LBB148_47:
	v_add_u32_e32 v2, s6, v0
	v_mov_b32_e32 v3, 0
	v_lshl_add_u64 v[2:3], v[2:3], 1, s[8:9]
	v_add_u32_e32 v0, 0x100, v0
	global_store_short v[2:3], v9, off
	s_or_b64 exec, exec, s[0:1]
	v_cmp_gt_i32_e32 vcc, s15, v0
	s_and_saveexec_b64 s[0:1], vcc
	s_cbranch_execz .LBB148_36
.LBB148_48:
	v_add_u32_e32 v2, s6, v0
	v_mov_b32_e32 v3, 0
	v_lshl_add_u64 v[2:3], v[2:3], 1, s[8:9]
	v_add_u32_e32 v0, 0x100, v0
	global_store_short v[2:3], v11, off
	s_or_b64 exec, exec, s[0:1]
	v_cmp_gt_i32_e32 vcc, s15, v0
	s_and_saveexec_b64 s[0:1], vcc
	s_cbranch_execz .LBB148_37
.LBB148_49:
	v_add_u32_e32 v2, s6, v0
	v_mov_b32_e32 v3, 0
	v_lshl_add_u64 v[2:3], v[2:3], 1, s[8:9]
	v_add_u32_e32 v0, 0x100, v0
	global_store_short v[2:3], v10, off
	s_or_b64 exec, exec, s[0:1]
	v_cmp_gt_i32_e32 vcc, s15, v0
	s_and_saveexec_b64 s[0:1], vcc
	s_cbranch_execz .LBB148_38
.LBB148_50:
	v_add_u32_e32 v2, s6, v0
	v_mov_b32_e32 v3, 0
	v_lshl_add_u64 v[2:3], v[2:3], 1, s[8:9]
	v_add_u32_e32 v0, 0x100, v0
	global_store_short v[2:3], v8, off
	s_or_b64 exec, exec, s[0:1]
	v_cmp_gt_i32_e32 vcc, s15, v0
	s_and_saveexec_b64 s[0:1], vcc
	s_cbranch_execz .LBB148_39
.LBB148_51:
	v_add_u32_e32 v2, s6, v0
	v_mov_b32_e32 v3, 0
	v_lshl_add_u64 v[2:3], v[2:3], 1, s[8:9]
	v_add_u32_e32 v0, 0x100, v0
	global_store_short v[2:3], v6, off
	s_or_b64 exec, exec, s[0:1]
	v_cmp_gt_i32_e32 vcc, s15, v0
	s_and_saveexec_b64 s[0:1], vcc
	s_cbranch_execnz .LBB148_40
	s_branch .LBB148_41
	.section	.rodata,"a",@progbits
	.p2align	6, 0x0
	.amdhsa_kernel _ZN2at6native29vectorized_elementwise_kernelILi4EZZZNS0_17expm1_kernel_cudaERNS_18TensorIteratorBaseEENKUlvE_clEvENKUlvE3_clEvEUlN3c108BFloat16EE_St5arrayIPcLm2EEEEviT0_T1_
		.amdhsa_group_segment_fixed_size 0
		.amdhsa_private_segment_fixed_size 0
		.amdhsa_kernarg_size 24
		.amdhsa_user_sgpr_count 2
		.amdhsa_user_sgpr_dispatch_ptr 0
		.amdhsa_user_sgpr_queue_ptr 0
		.amdhsa_user_sgpr_kernarg_segment_ptr 1
		.amdhsa_user_sgpr_dispatch_id 0
		.amdhsa_user_sgpr_kernarg_preload_length 0
		.amdhsa_user_sgpr_kernarg_preload_offset 0
		.amdhsa_user_sgpr_private_segment_size 0
		.amdhsa_uses_dynamic_stack 0
		.amdhsa_enable_private_segment 0
		.amdhsa_system_sgpr_workgroup_id_x 1
		.amdhsa_system_sgpr_workgroup_id_y 0
		.amdhsa_system_sgpr_workgroup_id_z 0
		.amdhsa_system_sgpr_workgroup_info 0
		.amdhsa_system_vgpr_workitem_id 0
		.amdhsa_next_free_vgpr 30
		.amdhsa_next_free_sgpr 26
		.amdhsa_accum_offset 32
		.amdhsa_reserve_vcc 1
		.amdhsa_float_round_mode_32 0
		.amdhsa_float_round_mode_16_64 0
		.amdhsa_float_denorm_mode_32 3
		.amdhsa_float_denorm_mode_16_64 3
		.amdhsa_dx10_clamp 1
		.amdhsa_ieee_mode 1
		.amdhsa_fp16_overflow 0
		.amdhsa_tg_split 0
		.amdhsa_exception_fp_ieee_invalid_op 0
		.amdhsa_exception_fp_denorm_src 0
		.amdhsa_exception_fp_ieee_div_zero 0
		.amdhsa_exception_fp_ieee_overflow 0
		.amdhsa_exception_fp_ieee_underflow 0
		.amdhsa_exception_fp_ieee_inexact 0
		.amdhsa_exception_int_div_zero 0
	.end_amdhsa_kernel
	.section	.text._ZN2at6native29vectorized_elementwise_kernelILi4EZZZNS0_17expm1_kernel_cudaERNS_18TensorIteratorBaseEENKUlvE_clEvENKUlvE3_clEvEUlN3c108BFloat16EE_St5arrayIPcLm2EEEEviT0_T1_,"axG",@progbits,_ZN2at6native29vectorized_elementwise_kernelILi4EZZZNS0_17expm1_kernel_cudaERNS_18TensorIteratorBaseEENKUlvE_clEvENKUlvE3_clEvEUlN3c108BFloat16EE_St5arrayIPcLm2EEEEviT0_T1_,comdat
.Lfunc_end148:
	.size	_ZN2at6native29vectorized_elementwise_kernelILi4EZZZNS0_17expm1_kernel_cudaERNS_18TensorIteratorBaseEENKUlvE_clEvENKUlvE3_clEvEUlN3c108BFloat16EE_St5arrayIPcLm2EEEEviT0_T1_, .Lfunc_end148-_ZN2at6native29vectorized_elementwise_kernelILi4EZZZNS0_17expm1_kernel_cudaERNS_18TensorIteratorBaseEENKUlvE_clEvENKUlvE3_clEvEUlN3c108BFloat16EE_St5arrayIPcLm2EEEEviT0_T1_
                                        ; -- End function
	.set _ZN2at6native29vectorized_elementwise_kernelILi4EZZZNS0_17expm1_kernel_cudaERNS_18TensorIteratorBaseEENKUlvE_clEvENKUlvE3_clEvEUlN3c108BFloat16EE_St5arrayIPcLm2EEEEviT0_T1_.num_vgpr, 30
	.set _ZN2at6native29vectorized_elementwise_kernelILi4EZZZNS0_17expm1_kernel_cudaERNS_18TensorIteratorBaseEENKUlvE_clEvENKUlvE3_clEvEUlN3c108BFloat16EE_St5arrayIPcLm2EEEEviT0_T1_.num_agpr, 0
	.set _ZN2at6native29vectorized_elementwise_kernelILi4EZZZNS0_17expm1_kernel_cudaERNS_18TensorIteratorBaseEENKUlvE_clEvENKUlvE3_clEvEUlN3c108BFloat16EE_St5arrayIPcLm2EEEEviT0_T1_.numbered_sgpr, 26
	.set _ZN2at6native29vectorized_elementwise_kernelILi4EZZZNS0_17expm1_kernel_cudaERNS_18TensorIteratorBaseEENKUlvE_clEvENKUlvE3_clEvEUlN3c108BFloat16EE_St5arrayIPcLm2EEEEviT0_T1_.num_named_barrier, 0
	.set _ZN2at6native29vectorized_elementwise_kernelILi4EZZZNS0_17expm1_kernel_cudaERNS_18TensorIteratorBaseEENKUlvE_clEvENKUlvE3_clEvEUlN3c108BFloat16EE_St5arrayIPcLm2EEEEviT0_T1_.private_seg_size, 0
	.set _ZN2at6native29vectorized_elementwise_kernelILi4EZZZNS0_17expm1_kernel_cudaERNS_18TensorIteratorBaseEENKUlvE_clEvENKUlvE3_clEvEUlN3c108BFloat16EE_St5arrayIPcLm2EEEEviT0_T1_.uses_vcc, 1
	.set _ZN2at6native29vectorized_elementwise_kernelILi4EZZZNS0_17expm1_kernel_cudaERNS_18TensorIteratorBaseEENKUlvE_clEvENKUlvE3_clEvEUlN3c108BFloat16EE_St5arrayIPcLm2EEEEviT0_T1_.uses_flat_scratch, 0
	.set _ZN2at6native29vectorized_elementwise_kernelILi4EZZZNS0_17expm1_kernel_cudaERNS_18TensorIteratorBaseEENKUlvE_clEvENKUlvE3_clEvEUlN3c108BFloat16EE_St5arrayIPcLm2EEEEviT0_T1_.has_dyn_sized_stack, 0
	.set _ZN2at6native29vectorized_elementwise_kernelILi4EZZZNS0_17expm1_kernel_cudaERNS_18TensorIteratorBaseEENKUlvE_clEvENKUlvE3_clEvEUlN3c108BFloat16EE_St5arrayIPcLm2EEEEviT0_T1_.has_recursion, 0
	.set _ZN2at6native29vectorized_elementwise_kernelILi4EZZZNS0_17expm1_kernel_cudaERNS_18TensorIteratorBaseEENKUlvE_clEvENKUlvE3_clEvEUlN3c108BFloat16EE_St5arrayIPcLm2EEEEviT0_T1_.has_indirect_call, 0
	.section	.AMDGPU.csdata,"",@progbits
; Kernel info:
; codeLenInByte = 4592
; TotalNumSgprs: 32
; NumVgprs: 30
; NumAgprs: 0
; TotalNumVgprs: 30
; ScratchSize: 0
; MemoryBound: 0
; FloatMode: 240
; IeeeMode: 1
; LDSByteSize: 0 bytes/workgroup (compile time only)
; SGPRBlocks: 3
; VGPRBlocks: 3
; NumSGPRsForWavesPerEU: 32
; NumVGPRsForWavesPerEU: 30
; AccumOffset: 32
; Occupancy: 8
; WaveLimiterHint : 1
; COMPUTE_PGM_RSRC2:SCRATCH_EN: 0
; COMPUTE_PGM_RSRC2:USER_SGPR: 2
; COMPUTE_PGM_RSRC2:TRAP_HANDLER: 0
; COMPUTE_PGM_RSRC2:TGID_X_EN: 1
; COMPUTE_PGM_RSRC2:TGID_Y_EN: 0
; COMPUTE_PGM_RSRC2:TGID_Z_EN: 0
; COMPUTE_PGM_RSRC2:TIDIG_COMP_CNT: 0
; COMPUTE_PGM_RSRC3_GFX90A:ACCUM_OFFSET: 7
; COMPUTE_PGM_RSRC3_GFX90A:TG_SPLIT: 0
	.section	.text._ZN2at6native29vectorized_elementwise_kernelILi2EZZZNS0_17expm1_kernel_cudaERNS_18TensorIteratorBaseEENKUlvE_clEvENKUlvE3_clEvEUlN3c108BFloat16EE_St5arrayIPcLm2EEEEviT0_T1_,"axG",@progbits,_ZN2at6native29vectorized_elementwise_kernelILi2EZZZNS0_17expm1_kernel_cudaERNS_18TensorIteratorBaseEENKUlvE_clEvENKUlvE3_clEvEUlN3c108BFloat16EE_St5arrayIPcLm2EEEEviT0_T1_,comdat
	.globl	_ZN2at6native29vectorized_elementwise_kernelILi2EZZZNS0_17expm1_kernel_cudaERNS_18TensorIteratorBaseEENKUlvE_clEvENKUlvE3_clEvEUlN3c108BFloat16EE_St5arrayIPcLm2EEEEviT0_T1_ ; -- Begin function _ZN2at6native29vectorized_elementwise_kernelILi2EZZZNS0_17expm1_kernel_cudaERNS_18TensorIteratorBaseEENKUlvE_clEvENKUlvE3_clEvEUlN3c108BFloat16EE_St5arrayIPcLm2EEEEviT0_T1_
	.p2align	8
	.type	_ZN2at6native29vectorized_elementwise_kernelILi2EZZZNS0_17expm1_kernel_cudaERNS_18TensorIteratorBaseEENKUlvE_clEvENKUlvE3_clEvEUlN3c108BFloat16EE_St5arrayIPcLm2EEEEviT0_T1_,@function
_ZN2at6native29vectorized_elementwise_kernelILi2EZZZNS0_17expm1_kernel_cudaERNS_18TensorIteratorBaseEENKUlvE_clEvENKUlvE3_clEvEUlN3c108BFloat16EE_St5arrayIPcLm2EEEEviT0_T1_: ; @_ZN2at6native29vectorized_elementwise_kernelILi2EZZZNS0_17expm1_kernel_cudaERNS_18TensorIteratorBaseEENKUlvE_clEvENKUlvE3_clEvEUlN3c108BFloat16EE_St5arrayIPcLm2EEEEviT0_T1_
; %bb.0:
	s_load_dword s3, s[0:1], 0x0
	s_load_dwordx4 s[8:11], s[0:1], 0x8
	s_lshl_b32 s6, s2, 11
	s_mov_b64 s[0:1], -1
	s_waitcnt lgkmcnt(0)
	s_sub_i32 s15, s3, s6
	s_cmpk_gt_i32 s15, 0x7ff
	s_cbranch_scc0 .LBB149_2
; %bb.1:
	s_ashr_i32 s7, s6, 31
	s_lshl_b64 s[12:13], s[6:7], 1
	s_add_u32 s0, s10, s12
	s_addc_u32 s1, s11, s13
	v_lshlrev_b32_e32 v1, 2, v0
	global_load_dword v4, v1, s[0:1]
	global_load_dword v6, v1, s[0:1] offset:1024
	global_load_dword v28, v1, s[0:1] offset:2048
	;; [unrolled: 1-line block ×3, first 2 shown]
	s_mov_b32 s14, 0x3f317218
	s_mov_b32 s16, 0xb102e308
	;; [unrolled: 1-line block ×5, first 2 shown]
	s_movk_i32 s19, 0x7fff
	v_mov_b64_e32 v[2:3], s[2:3]
	s_mov_b32 s20, 0x3c0887f9
	s_mov_b32 s21, 0xc1880000
	;; [unrolled: 1-line block ×5, first 2 shown]
	v_mov_b32_e32 v24, 0x7f000000
	v_mov_b32_e32 v25, 0x7f800000
	;; [unrolled: 1-line block ×4, first 2 shown]
	s_waitcnt vmcnt(3)
	v_lshlrev_b32_e32 v5, 16, v4
	v_and_b32_e32 v4, 0xffff0000, v4
	s_waitcnt vmcnt(2)
	v_lshlrev_b32_e32 v7, 16, v6
	v_and_b32_e32 v6, 0xffff0000, v6
	v_mul_f32_e32 v8, 0x3fb8aa3b, v5
	v_mul_f32_e32 v10, 0x3fb8aa3b, v4
	;; [unrolled: 1-line block ×3, first 2 shown]
	v_rndne_f32_e32 v9, v8
	v_rndne_f32_e32 v8, v10
	v_mul_f32_e32 v11, 0x3fb8aa3b, v7
	v_rndne_f32_e32 v10, v12
	v_pk_fma_f32 v[12:13], v[8:9], s[14:15], v[4:5] op_sel_hi:[1,0,1] neg_lo:[1,0,0] neg_hi:[1,0,0]
	v_rndne_f32_e32 v11, v11
	v_pk_fma_f32 v[12:13], v[8:9], s[16:17], v[12:13] op_sel_hi:[1,0,1] neg_lo:[1,0,0] neg_hi:[1,0,0]
	v_cvt_i32_f32_e32 v20, v9
	v_cvt_i32_f32_e32 v21, v8
	v_pk_fma_f32 v[14:15], v[10:11], s[14:15], v[6:7] op_sel_hi:[1,0,1] neg_lo:[1,0,0] neg_hi:[1,0,0]
	v_pk_fma_f32 v[16:17], v[12:13], s[18:19], v[2:3] op_sel_hi:[1,0,0]
	v_pk_fma_f32 v[14:15], v[10:11], s[16:17], v[14:15] op_sel_hi:[1,0,1] neg_lo:[1,0,0] neg_hi:[1,0,0]
	v_pk_fma_f32 v[16:17], v[12:13], v[16:17], s[20:21] op_sel_hi:[1,1,0]
	v_cvt_i32_f32_e32 v22, v11
	v_cvt_i32_f32_e32 v23, v10
	v_pk_fma_f32 v[18:19], v[14:15], s[18:19], v[2:3] op_sel_hi:[1,0,0]
	v_pk_fma_f32 v[16:17], v[12:13], v[16:17], s[22:23] op_sel_hi:[1,1,0]
	;; [unrolled: 1-line block ×4, first 2 shown]
	v_ldexp_f32 v20, 1.0, v20
	v_ldexp_f32 v21, 1.0, v21
	v_pk_fma_f32 v[18:19], v[14:15], v[18:19], s[22:23] op_sel_hi:[1,1,0]
	v_cmp_eq_f32_e32 vcc, s7, v9
	v_cmp_eq_f32_e64 s[0:1], s7, v8
	v_pk_fma_f32 v[16:17], v[12:13], v[16:17], 0.5 op_sel_hi:[1,1,0]
	v_cndmask_b32_e32 v9, v20, v24, vcc
	v_cndmask_b32_e64 v8, v21, v24, s[0:1]
	v_pk_fma_f32 v[18:19], v[14:15], v[18:19], s[24:25] op_sel_hi:[1,1,0]
	v_pk_mul_f32 v[16:17], v[12:13], v[16:17]
	v_ldexp_f32 v22, 1.0, v22
	v_ldexp_f32 v23, 1.0, v23
	v_cmp_eq_f32_e64 s[2:3], s7, v11
	v_cmp_eq_f32_e64 s[4:5], s7, v10
	v_pk_add_f32 v[20:21], v[8:9], -1.0 op_sel_hi:[1,0]
	v_pk_fma_f32 v[18:19], v[14:15], v[18:19], 0.5 op_sel_hi:[1,1,0]
	v_pk_fma_f32 v[12:13], v[12:13], v[16:17], v[12:13]
	v_cndmask_b32_e64 v11, v22, v24, s[2:3]
	v_cndmask_b32_e64 v10, v23, v24, s[4:5]
	v_pk_mul_f32 v[18:19], v[14:15], v[18:19]
	v_pk_fma_f32 v[8:9], v[8:9], v[12:13], v[20:21]
	v_pk_add_f32 v[22:23], v[10:11], -1.0 op_sel_hi:[1,0]
	v_pk_fma_f32 v[14:15], v[14:15], v[18:19], v[14:15]
	v_pk_add_f32 v[12:13], v[8:9], v[8:9]
	v_pk_fma_f32 v[10:11], v[10:11], v[14:15], v[22:23]
	v_cndmask_b32_e32 v9, v9, v13, vcc
	v_cmp_nlt_f32_e32 vcc, s17, v5
	v_pk_add_f32 v[14:15], v[10:11], v[10:11]
	v_cndmask_b32_e64 v8, v8, v12, s[0:1]
	v_cndmask_b32_e32 v9, v25, v9, vcc
	v_cmp_nlt_f32_e32 vcc, s17, v4
	v_cndmask_b32_e64 v11, v11, v15, s[2:3]
	v_cndmask_b32_e64 v10, v10, v14, s[4:5]
	v_cndmask_b32_e32 v8, v25, v8, vcc
	v_cmp_nlt_f32_e32 vcc, s17, v7
	s_nop 1
	v_cndmask_b32_e32 v11, v25, v11, vcc
	v_cmp_nlt_f32_e32 vcc, s17, v6
	s_nop 1
	v_cndmask_b32_e32 v10, v25, v10, vcc
	v_cmp_ngt_f32_e32 vcc, s21, v4
	s_nop 1
	v_cndmask_b32_e32 v4, -1.0, v8, vcc
	v_cmp_ngt_f32_e32 vcc, s21, v5
	s_nop 1
	v_cndmask_b32_e32 v5, -1.0, v9, vcc
	v_bfe_u32 v8, v5, 16, 1
	v_cmp_ngt_f32_e32 vcc, s21, v6
	v_bfe_u32 v9, v4, 16, 1
	v_add3_u32 v8, v5, v8, s19
	v_cndmask_b32_e32 v6, -1.0, v10, vcc
	v_add3_u32 v9, v4, v9, s19
	v_lshrrev_b32_e32 v8, 16, v8
	v_cmp_o_f32_e32 vcc, v5, v5
	v_and_b32_e32 v9, 0xffff0000, v9
	s_nop 0
	v_cndmask_b32_e32 v5, v26, v8, vcc
	v_cmp_o_f32_e32 vcc, v4, v4
	s_nop 1
	v_cndmask_b32_e32 v4, v27, v9, vcc
	v_cmp_ngt_f32_e32 vcc, s21, v7
	v_or_b32_e32 v12, v5, v4
	s_nop 0
	v_cndmask_b32_e32 v4, -1.0, v11, vcc
	v_bfe_u32 v5, v4, 16, 1
	v_add3_u32 v5, v4, v5, s19
	v_lshrrev_b32_e32 v5, 16, v5
	v_cmp_o_f32_e32 vcc, v4, v4
	s_nop 1
	v_cndmask_b32_e32 v4, v26, v5, vcc
	v_bfe_u32 v5, v6, 16, 1
	v_add3_u32 v5, v6, v5, s19
	v_and_b32_e32 v5, 0xffff0000, v5
	v_cmp_o_f32_e32 vcc, v6, v6
	s_nop 1
	v_cndmask_b32_e32 v5, v27, v5, vcc
	v_or_b32_e32 v13, v4, v5
	s_waitcnt vmcnt(1)
	v_lshlrev_b32_e32 v5, 16, v28
	v_mul_f32_e32 v6, 0x3fb8aa3b, v5
	v_and_b32_e32 v4, 0xffff0000, v28
	v_rndne_f32_e32 v7, v6
	v_mul_f32_e32 v6, 0x3fb8aa3b, v4
	v_cvt_i32_f32_e32 v10, v7
	v_rndne_f32_e32 v6, v6
	v_pk_fma_f32 v[8:9], v[6:7], s[14:15], v[4:5] op_sel_hi:[1,0,1] neg_lo:[1,0,0] neg_hi:[1,0,0]
	v_cvt_i32_f32_e32 v15, v6
	v_pk_fma_f32 v[8:9], v[6:7], s[16:17], v[8:9] op_sel_hi:[1,0,1] neg_lo:[1,0,0] neg_hi:[1,0,0]
	v_ldexp_f32 v14, 1.0, v10
	v_pk_fma_f32 v[10:11], v[8:9], s[18:19], v[2:3] op_sel_hi:[1,0,0]
	v_cmp_eq_f32_e32 vcc, s7, v7
	v_pk_fma_f32 v[10:11], v[8:9], v[10:11], s[20:21] op_sel_hi:[1,1,0]
	v_cmp_eq_f32_e64 s[0:1], s7, v6
	v_pk_fma_f32 v[10:11], v[8:9], v[10:11], s[22:23] op_sel_hi:[1,1,0]
	v_cndmask_b32_e32 v7, v14, v24, vcc
	v_pk_fma_f32 v[10:11], v[8:9], v[10:11], s[24:25] op_sel_hi:[1,1,0]
	s_nop 0
	v_pk_fma_f32 v[10:11], v[8:9], v[10:11], 0.5 op_sel_hi:[1,1,0]
	s_nop 0
	v_pk_mul_f32 v[10:11], v[8:9], v[10:11]
	s_nop 0
	v_pk_fma_f32 v[8:9], v[8:9], v[10:11], v[8:9]
	v_ldexp_f32 v10, 1.0, v15
	v_cndmask_b32_e64 v6, v10, v24, s[0:1]
	v_pk_add_f32 v[10:11], v[6:7], -1.0 op_sel_hi:[1,0]
	s_nop 0
	v_pk_fma_f32 v[6:7], v[6:7], v[8:9], v[10:11]
	s_nop 0
	v_pk_add_f32 v[8:9], v[6:7], v[6:7]
	s_nop 0
	v_cndmask_b32_e32 v7, v7, v9, vcc
	v_cmp_nlt_f32_e32 vcc, s17, v5
	v_cndmask_b32_e64 v6, v6, v8, s[0:1]
	s_nop 0
	v_cndmask_b32_e32 v7, v25, v7, vcc
	v_cmp_nlt_f32_e32 vcc, s17, v4
	s_nop 1
	v_cndmask_b32_e32 v6, v25, v6, vcc
	v_cmp_ngt_f32_e32 vcc, s21, v4
	s_nop 1
	v_cndmask_b32_e32 v4, -1.0, v6, vcc
	v_cmp_ngt_f32_e32 vcc, s21, v5
	s_nop 1
	v_cndmask_b32_e32 v5, -1.0, v7, vcc
	v_bfe_u32 v6, v5, 16, 1
	v_add3_u32 v6, v5, v6, s19
	v_lshrrev_b32_e32 v6, 16, v6
	v_cmp_o_f32_e32 vcc, v5, v5
	s_nop 1
	v_cndmask_b32_e32 v5, v26, v6, vcc
	v_bfe_u32 v6, v4, 16, 1
	v_add3_u32 v6, v4, v6, s19
	v_and_b32_e32 v6, 0xffff0000, v6
	v_cmp_o_f32_e32 vcc, v4, v4
	s_nop 1
	v_cndmask_b32_e32 v4, v27, v6, vcc
	v_or_b32_e32 v10, v5, v4
	s_waitcnt vmcnt(0)
	v_lshlrev_b32_e32 v5, 16, v29
	v_and_b32_e32 v4, 0xffff0000, v29
	v_mul_f32_e32 v6, 0x3fb8aa3b, v5
	v_rndne_f32_e32 v7, v6
	v_mul_f32_e32 v6, 0x3fb8aa3b, v4
	v_rndne_f32_e32 v6, v6
	v_pk_fma_f32 v[8:9], v[6:7], s[14:15], v[4:5] op_sel_hi:[1,0,1] neg_lo:[1,0,0] neg_hi:[1,0,0]
	v_cvt_i32_f32_e32 v11, v7
	v_pk_fma_f32 v[8:9], v[6:7], s[16:17], v[8:9] op_sel_hi:[1,0,1] neg_lo:[1,0,0] neg_hi:[1,0,0]
	v_cvt_i32_f32_e32 v14, v6
	v_pk_fma_f32 v[2:3], v[8:9], s[18:19], v[2:3] op_sel_hi:[1,0,0]
	v_ldexp_f32 v11, 1.0, v11
	v_pk_fma_f32 v[2:3], v[8:9], v[2:3], s[20:21] op_sel_hi:[1,1,0]
	v_cmp_eq_f32_e32 vcc, s7, v7
	v_pk_fma_f32 v[2:3], v[8:9], v[2:3], s[22:23] op_sel_hi:[1,1,0]
	v_cmp_eq_f32_e64 s[0:1], s7, v6
	v_pk_fma_f32 v[2:3], v[8:9], v[2:3], s[24:25] op_sel_hi:[1,1,0]
	v_cndmask_b32_e32 v7, v11, v24, vcc
	v_pk_fma_f32 v[2:3], v[8:9], v[2:3], 0.5 op_sel_hi:[1,1,0]
	s_nop 0
	v_pk_mul_f32 v[2:3], v[8:9], v[2:3]
	s_nop 0
	v_pk_fma_f32 v[2:3], v[8:9], v[2:3], v[8:9]
	v_ldexp_f32 v8, 1.0, v14
	v_cndmask_b32_e64 v6, v8, v24, s[0:1]
	v_pk_add_f32 v[8:9], v[6:7], -1.0 op_sel_hi:[1,0]
	s_nop 0
	v_pk_fma_f32 v[2:3], v[6:7], v[2:3], v[8:9]
	s_nop 0
	v_pk_add_f32 v[6:7], v[2:3], v[2:3]
	s_nop 0
	v_cndmask_b32_e32 v3, v3, v7, vcc
	v_cmp_nlt_f32_e32 vcc, s17, v5
	v_cndmask_b32_e64 v2, v2, v6, s[0:1]
	s_add_u32 s0, s8, s12
	v_cndmask_b32_e32 v3, v25, v3, vcc
	v_cmp_nlt_f32_e32 vcc, s17, v4
	s_addc_u32 s1, s9, s13
	s_nop 0
	v_cndmask_b32_e32 v2, v25, v2, vcc
	v_cmp_ngt_f32_e32 vcc, s21, v4
	s_nop 1
	v_cndmask_b32_e32 v2, -1.0, v2, vcc
	v_cmp_ngt_f32_e32 vcc, s21, v5
	s_nop 1
	v_cndmask_b32_e32 v3, -1.0, v3, vcc
	v_bfe_u32 v4, v3, 16, 1
	v_add3_u32 v4, v3, v4, s19
	v_lshrrev_b32_e32 v4, 16, v4
	v_cmp_o_f32_e32 vcc, v3, v3
	s_nop 1
	v_cndmask_b32_e32 v3, v26, v4, vcc
	v_bfe_u32 v4, v2, 16, 1
	v_add3_u32 v4, v2, v4, s19
	v_and_b32_e32 v4, 0xffff0000, v4
	v_cmp_o_f32_e32 vcc, v2, v2
	s_nop 1
	v_cndmask_b32_e32 v2, v27, v4, vcc
	v_or_b32_e32 v2, v3, v2
	global_store_dword v1, v12, s[0:1]
	global_store_dword v1, v13, s[0:1] offset:1024
	global_store_dword v1, v10, s[0:1] offset:2048
	;; [unrolled: 1-line block ×3, first 2 shown]
	s_mov_b64 s[0:1], 0
.LBB149_2:
	s_andn2_b64 vcc, exec, s[0:1]
	s_cbranch_vccnz .LBB149_41
; %bb.3:
	v_cmp_gt_i32_e64 s[0:1], s15, v0
	v_mov_b32_e32 v9, 0
	v_or_b32_e32 v2, s6, v0
	v_mov_b32_e32 v5, 0
	v_mov_b32_e32 v4, v0
	s_and_saveexec_b64 s[2:3], s[0:1]
	s_cbranch_execz .LBB149_5
; %bb.4:
	v_mov_b32_e32 v3, 0
	v_lshl_add_u64 v[4:5], v[2:3], 1, s[10:11]
	global_load_ushort v1, v[4:5], off
	v_or_b32_e32 v4, 0x100, v0
	s_waitcnt vmcnt(0)
	v_lshlrev_b32_e32 v5, 16, v1
.LBB149_5:
	s_or_b64 exec, exec, s[2:3]
	v_cmp_gt_i32_e32 vcc, s15, v4
	s_and_saveexec_b64 s[2:3], vcc
	s_cbranch_execz .LBB149_7
; %bb.6:
	v_add_u32_e32 v6, s6, v4
	v_mov_b32_e32 v7, 0
	v_lshl_add_u64 v[6:7], v[6:7], 1, s[10:11]
	global_load_ushort v1, v[6:7], off
	v_add_u32_e32 v4, 0x100, v4
	s_waitcnt vmcnt(0)
	v_lshlrev_b32_e32 v9, 16, v1
.LBB149_7:
	s_or_b64 exec, exec, s[2:3]
	v_cmp_gt_i32_e32 vcc, s15, v4
	v_mov_b32_e32 v10, 0
	v_mov_b32_e32 v11, 0
	s_and_saveexec_b64 s[2:3], vcc
	s_cbranch_execz .LBB149_9
; %bb.8:
	v_add_u32_e32 v6, s6, v4
	v_mov_b32_e32 v7, 0
	v_lshl_add_u64 v[6:7], v[6:7], 1, s[10:11]
	global_load_ushort v1, v[6:7], off
	v_add_u32_e32 v4, 0x100, v4
	s_waitcnt vmcnt(0)
	v_lshlrev_b32_e32 v11, 16, v1
.LBB149_9:
	s_or_b64 exec, exec, s[2:3]
	v_cmp_gt_i32_e32 vcc, s15, v4
	s_and_saveexec_b64 s[2:3], vcc
	s_cbranch_execz .LBB149_11
; %bb.10:
	v_add_u32_e32 v6, s6, v4
	v_mov_b32_e32 v7, 0
	v_lshl_add_u64 v[6:7], v[6:7], 1, s[10:11]
	global_load_ushort v1, v[6:7], off
	v_add_u32_e32 v4, 0x100, v4
	s_waitcnt vmcnt(0)
	v_lshlrev_b32_e32 v10, 16, v1
.LBB149_11:
	s_or_b64 exec, exec, s[2:3]
	v_cmp_gt_i32_e32 vcc, s15, v4
	v_mov_b32_e32 v6, 0
	v_mov_b32_e32 v8, 0
	s_and_saveexec_b64 s[2:3], vcc
	s_cbranch_execz .LBB149_13
; %bb.12:
	v_add_u32_e32 v12, s6, v4
	v_mov_b32_e32 v13, 0
	v_lshl_add_u64 v[12:13], v[12:13], 1, s[10:11]
	global_load_ushort v1, v[12:13], off
	v_add_u32_e32 v4, 0x100, v4
	s_waitcnt vmcnt(0)
	v_lshlrev_b32_e32 v8, 16, v1
.LBB149_13:
	s_or_b64 exec, exec, s[2:3]
	v_cmp_gt_i32_e32 vcc, s15, v4
	s_and_saveexec_b64 s[2:3], vcc
	s_cbranch_execz .LBB149_15
; %bb.14:
	v_add_u32_e32 v6, s6, v4
	v_mov_b32_e32 v7, 0
	v_lshl_add_u64 v[6:7], v[6:7], 1, s[10:11]
	global_load_ushort v1, v[6:7], off
	v_add_u32_e32 v4, 0x100, v4
	s_waitcnt vmcnt(0)
	v_lshlrev_b32_e32 v6, 16, v1
.LBB149_15:
	s_or_b64 exec, exec, s[2:3]
	v_cmp_gt_i32_e32 vcc, s15, v4
	v_mov_b32_e32 v1, 0
	v_mov_b32_e32 v3, 0
	s_and_saveexec_b64 s[2:3], vcc
	s_cbranch_execnz .LBB149_42
; %bb.16:
	s_or_b64 exec, exec, s[2:3]
	v_cmp_gt_i32_e32 vcc, s15, v4
	s_and_saveexec_b64 s[2:3], vcc
	s_cbranch_execnz .LBB149_43
.LBB149_17:
	s_or_b64 exec, exec, s[2:3]
                                        ; implicit-def: $vgpr4
	s_and_saveexec_b64 s[2:3], s[0:1]
	s_cbranch_execz .LBB149_19
.LBB149_18:
	v_mul_f32_e32 v4, 0x3fb8aa3b, v5
	v_rndne_f32_e32 v4, v4
	v_fmamk_f32 v7, v4, 0xbf317218, v5
	v_fmamk_f32 v7, v4, 0x3102e308, v7
	v_mov_b32_e32 v12, 0x3ab69700
	v_fmac_f32_e32 v12, 0x395133b1, v7
	v_fmaak_f32 v12, v7, v12, 0x3c0887f9
	v_fmaak_f32 v12, v7, v12, 0x3d2aaa81
	v_cvt_i32_f32_e32 v13, v4
	v_fmaak_f32 v12, v7, v12, 0x3e2aaaab
	v_fma_f32 v12, v7, v12, 0.5
	v_mul_f32_e32 v12, v7, v12
	s_mov_b32 s4, 0x43000000
	v_fmac_f32_e32 v7, v7, v12
	v_ldexp_f32 v12, 1.0, v13
	v_mov_b32_e32 v13, 0x7f000000
	v_cmp_eq_f32_e32 vcc, s4, v4
	s_mov_b32 s4, 0x42b17217
	s_nop 0
	v_cndmask_b32_e32 v4, v12, v13, vcc
	v_add_f32_e32 v12, -1.0, v4
	v_fmac_f32_e32 v12, v4, v7
	v_add_f32_e32 v4, v12, v12
	v_cndmask_b32_e32 v4, v12, v4, vcc
	v_mov_b32_e32 v7, 0x7f800000
	v_cmp_nlt_f32_e32 vcc, s4, v5
	s_mov_b32 s4, 0xc1880000
	s_nop 0
	v_cndmask_b32_e32 v4, v7, v4, vcc
	v_cmp_ngt_f32_e32 vcc, s4, v5
	s_movk_i32 s4, 0x7fff
	s_nop 0
	v_cndmask_b32_e32 v4, -1.0, v4, vcc
	v_bfe_u32 v5, v4, 16, 1
	v_add3_u32 v5, v4, v5, s4
	v_cmp_o_f32_e32 vcc, v4, v4
	v_mov_b32_e32 v4, 0x7fc0
	s_nop 0
	v_cndmask_b32_sdwa v4, v4, v5, vcc dst_sel:DWORD dst_unused:UNUSED_PAD src0_sel:DWORD src1_sel:WORD_1
.LBB149_19:
	s_or_b64 exec, exec, s[2:3]
	v_or_b32_e32 v5, 0x100, v0
	v_cmp_gt_i32_e32 vcc, s15, v5
                                        ; implicit-def: $vgpr7
	s_and_saveexec_b64 s[2:3], vcc
	s_cbranch_execz .LBB149_21
; %bb.20:
	v_mul_f32_e32 v7, 0x3fb8aa3b, v9
	v_rndne_f32_e32 v7, v7
	v_fmamk_f32 v12, v7, 0xbf317218, v9
	v_fmamk_f32 v12, v7, 0x3102e308, v12
	v_mov_b32_e32 v13, 0x3ab69700
	v_fmac_f32_e32 v13, 0x395133b1, v12
	v_fmaak_f32 v13, v12, v13, 0x3c0887f9
	v_fmaak_f32 v13, v12, v13, 0x3d2aaa81
	v_cvt_i32_f32_e32 v14, v7
	v_fmaak_f32 v13, v12, v13, 0x3e2aaaab
	v_fma_f32 v13, v12, v13, 0.5
	v_mul_f32_e32 v13, v12, v13
	s_mov_b32 s4, 0x43000000
	v_fmac_f32_e32 v12, v12, v13
	v_ldexp_f32 v13, 1.0, v14
	v_mov_b32_e32 v14, 0x7f000000
	v_cmp_eq_f32_e32 vcc, s4, v7
	s_mov_b32 s4, 0x42b17217
	s_nop 0
	v_cndmask_b32_e32 v7, v13, v14, vcc
	v_add_f32_e32 v13, -1.0, v7
	v_fmac_f32_e32 v13, v7, v12
	v_add_f32_e32 v7, v13, v13
	v_cndmask_b32_e32 v7, v13, v7, vcc
	v_mov_b32_e32 v12, 0x7f800000
	v_cmp_nlt_f32_e32 vcc, s4, v9
	s_mov_b32 s4, 0xc1880000
	s_nop 0
	v_cndmask_b32_e32 v7, v12, v7, vcc
	v_cmp_ngt_f32_e32 vcc, s4, v9
	s_movk_i32 s4, 0x7fff
	s_nop 0
	v_cndmask_b32_e32 v7, -1.0, v7, vcc
	v_bfe_u32 v9, v7, 16, 1
	v_add3_u32 v9, v7, v9, s4
	v_cmp_o_f32_e32 vcc, v7, v7
	v_mov_b32_e32 v7, 0x7fc0
	s_nop 0
	v_cndmask_b32_sdwa v7, v7, v9, vcc dst_sel:DWORD dst_unused:UNUSED_PAD src0_sel:DWORD src1_sel:WORD_1
.LBB149_21:
	s_or_b64 exec, exec, s[2:3]
	v_or_b32_e32 v9, 0x200, v0
	v_cmp_gt_i32_e32 vcc, s15, v9
                                        ; implicit-def: $vgpr9
	s_and_saveexec_b64 s[2:3], vcc
	s_cbranch_execz .LBB149_23
; %bb.22:
	v_mul_f32_e32 v9, 0x3fb8aa3b, v11
	v_rndne_f32_e32 v9, v9
	v_fmamk_f32 v12, v9, 0xbf317218, v11
	v_fmamk_f32 v12, v9, 0x3102e308, v12
	v_mov_b32_e32 v13, 0x3ab69700
	v_fmac_f32_e32 v13, 0x395133b1, v12
	v_fmaak_f32 v13, v12, v13, 0x3c0887f9
	v_fmaak_f32 v13, v12, v13, 0x3d2aaa81
	v_cvt_i32_f32_e32 v14, v9
	v_fmaak_f32 v13, v12, v13, 0x3e2aaaab
	v_fma_f32 v13, v12, v13, 0.5
	v_mul_f32_e32 v13, v12, v13
	s_mov_b32 s4, 0x43000000
	v_fmac_f32_e32 v12, v12, v13
	v_ldexp_f32 v13, 1.0, v14
	v_mov_b32_e32 v14, 0x7f000000
	v_cmp_eq_f32_e32 vcc, s4, v9
	s_mov_b32 s4, 0x42b17217
	s_nop 0
	v_cndmask_b32_e32 v9, v13, v14, vcc
	v_add_f32_e32 v13, -1.0, v9
	v_fmac_f32_e32 v13, v9, v12
	v_add_f32_e32 v9, v13, v13
	v_cndmask_b32_e32 v9, v13, v9, vcc
	v_mov_b32_e32 v12, 0x7f800000
	v_cmp_nlt_f32_e32 vcc, s4, v11
	s_mov_b32 s4, 0xc1880000
	s_nop 0
	v_cndmask_b32_e32 v9, v12, v9, vcc
	v_cmp_ngt_f32_e32 vcc, s4, v11
	s_movk_i32 s4, 0x7fff
	s_nop 0
	v_cndmask_b32_e32 v9, -1.0, v9, vcc
	v_bfe_u32 v11, v9, 16, 1
	v_add3_u32 v11, v9, v11, s4
	v_cmp_o_f32_e32 vcc, v9, v9
	v_mov_b32_e32 v9, 0x7fc0
	s_nop 0
	v_cndmask_b32_sdwa v9, v9, v11, vcc dst_sel:DWORD dst_unused:UNUSED_PAD src0_sel:DWORD src1_sel:WORD_1
.LBB149_23:
	s_or_b64 exec, exec, s[2:3]
	v_or_b32_e32 v11, 0x300, v0
	v_cmp_gt_i32_e32 vcc, s15, v11
                                        ; implicit-def: $vgpr11
	s_and_saveexec_b64 s[2:3], vcc
	s_cbranch_execz .LBB149_25
; %bb.24:
	v_mul_f32_e32 v11, 0x3fb8aa3b, v10
	v_rndne_f32_e32 v11, v11
	v_fmamk_f32 v12, v11, 0xbf317218, v10
	v_fmamk_f32 v12, v11, 0x3102e308, v12
	v_mov_b32_e32 v13, 0x3ab69700
	v_fmac_f32_e32 v13, 0x395133b1, v12
	v_fmaak_f32 v13, v12, v13, 0x3c0887f9
	v_fmaak_f32 v13, v12, v13, 0x3d2aaa81
	v_cvt_i32_f32_e32 v14, v11
	v_fmaak_f32 v13, v12, v13, 0x3e2aaaab
	v_fma_f32 v13, v12, v13, 0.5
	v_mul_f32_e32 v13, v12, v13
	s_mov_b32 s4, 0x43000000
	v_fmac_f32_e32 v12, v12, v13
	v_ldexp_f32 v13, 1.0, v14
	v_mov_b32_e32 v14, 0x7f000000
	v_cmp_eq_f32_e32 vcc, s4, v11
	s_mov_b32 s4, 0x42b17217
	s_nop 0
	v_cndmask_b32_e32 v11, v13, v14, vcc
	v_add_f32_e32 v13, -1.0, v11
	v_fmac_f32_e32 v13, v11, v12
	v_add_f32_e32 v11, v13, v13
	v_cndmask_b32_e32 v11, v13, v11, vcc
	v_mov_b32_e32 v12, 0x7f800000
	v_cmp_nlt_f32_e32 vcc, s4, v10
	s_mov_b32 s4, 0xc1880000
	s_nop 0
	v_cndmask_b32_e32 v11, v12, v11, vcc
	v_cmp_ngt_f32_e32 vcc, s4, v10
	s_movk_i32 s4, 0x7fff
	s_nop 0
	v_cndmask_b32_e32 v10, -1.0, v11, vcc
	v_bfe_u32 v11, v10, 16, 1
	v_add3_u32 v11, v10, v11, s4
	v_cmp_o_f32_e32 vcc, v10, v10
	v_mov_b32_e32 v10, 0x7fc0
	s_nop 0
	v_cndmask_b32_sdwa v11, v10, v11, vcc dst_sel:DWORD dst_unused:UNUSED_PAD src0_sel:DWORD src1_sel:WORD_1
.LBB149_25:
	s_or_b64 exec, exec, s[2:3]
	v_or_b32_e32 v10, 0x400, v0
	v_cmp_gt_i32_e32 vcc, s15, v10
                                        ; implicit-def: $vgpr10
	s_and_saveexec_b64 s[2:3], vcc
	s_cbranch_execz .LBB149_27
; %bb.26:
	v_mul_f32_e32 v10, 0x3fb8aa3b, v8
	v_rndne_f32_e32 v10, v10
	v_fmamk_f32 v12, v10, 0xbf317218, v8
	v_fmamk_f32 v12, v10, 0x3102e308, v12
	v_mov_b32_e32 v13, 0x3ab69700
	v_fmac_f32_e32 v13, 0x395133b1, v12
	v_fmaak_f32 v13, v12, v13, 0x3c0887f9
	v_fmaak_f32 v13, v12, v13, 0x3d2aaa81
	v_cvt_i32_f32_e32 v14, v10
	v_fmaak_f32 v13, v12, v13, 0x3e2aaaab
	v_fma_f32 v13, v12, v13, 0.5
	v_mul_f32_e32 v13, v12, v13
	s_mov_b32 s4, 0x43000000
	v_fmac_f32_e32 v12, v12, v13
	v_ldexp_f32 v13, 1.0, v14
	v_mov_b32_e32 v14, 0x7f000000
	v_cmp_eq_f32_e32 vcc, s4, v10
	s_mov_b32 s4, 0x42b17217
	s_nop 0
	v_cndmask_b32_e32 v10, v13, v14, vcc
	v_add_f32_e32 v13, -1.0, v10
	v_fmac_f32_e32 v13, v10, v12
	v_add_f32_e32 v10, v13, v13
	v_cndmask_b32_e32 v10, v13, v10, vcc
	v_mov_b32_e32 v12, 0x7f800000
	v_cmp_nlt_f32_e32 vcc, s4, v8
	s_mov_b32 s4, 0xc1880000
	s_nop 0
	v_cndmask_b32_e32 v10, v12, v10, vcc
	v_cmp_ngt_f32_e32 vcc, s4, v8
	s_movk_i32 s4, 0x7fff
	s_nop 0
	v_cndmask_b32_e32 v8, -1.0, v10, vcc
	v_bfe_u32 v10, v8, 16, 1
	v_add3_u32 v10, v8, v10, s4
	v_cmp_o_f32_e32 vcc, v8, v8
	v_mov_b32_e32 v8, 0x7fc0
	s_nop 0
	v_cndmask_b32_sdwa v10, v8, v10, vcc dst_sel:DWORD dst_unused:UNUSED_PAD src0_sel:DWORD src1_sel:WORD_1
.LBB149_27:
	s_or_b64 exec, exec, s[2:3]
	v_or_b32_e32 v8, 0x500, v0
	v_cmp_gt_i32_e32 vcc, s15, v8
                                        ; implicit-def: $vgpr8
	s_and_saveexec_b64 s[2:3], vcc
	s_cbranch_execz .LBB149_29
; %bb.28:
	v_mul_f32_e32 v8, 0x3fb8aa3b, v6
	v_rndne_f32_e32 v8, v8
	v_fmamk_f32 v12, v8, 0xbf317218, v6
	v_fmamk_f32 v12, v8, 0x3102e308, v12
	v_mov_b32_e32 v13, 0x3ab69700
	v_fmac_f32_e32 v13, 0x395133b1, v12
	v_fmaak_f32 v13, v12, v13, 0x3c0887f9
	v_fmaak_f32 v13, v12, v13, 0x3d2aaa81
	v_cvt_i32_f32_e32 v14, v8
	v_fmaak_f32 v13, v12, v13, 0x3e2aaaab
	v_fma_f32 v13, v12, v13, 0.5
	v_mul_f32_e32 v13, v12, v13
	s_mov_b32 s4, 0x43000000
	v_fmac_f32_e32 v12, v12, v13
	v_ldexp_f32 v13, 1.0, v14
	v_mov_b32_e32 v14, 0x7f000000
	v_cmp_eq_f32_e32 vcc, s4, v8
	s_mov_b32 s4, 0x42b17217
	s_nop 0
	v_cndmask_b32_e32 v8, v13, v14, vcc
	v_add_f32_e32 v13, -1.0, v8
	v_fmac_f32_e32 v13, v8, v12
	v_add_f32_e32 v8, v13, v13
	v_cndmask_b32_e32 v8, v13, v8, vcc
	v_mov_b32_e32 v12, 0x7f800000
	v_cmp_nlt_f32_e32 vcc, s4, v6
	s_mov_b32 s4, 0xc1880000
	s_nop 0
	v_cndmask_b32_e32 v8, v12, v8, vcc
	v_cmp_ngt_f32_e32 vcc, s4, v6
	s_movk_i32 s4, 0x7fff
	s_nop 0
	v_cndmask_b32_e32 v6, -1.0, v8, vcc
	v_bfe_u32 v8, v6, 16, 1
	v_add3_u32 v8, v6, v8, s4
	v_cmp_o_f32_e32 vcc, v6, v6
	v_mov_b32_e32 v6, 0x7fc0
	s_nop 0
	v_cndmask_b32_sdwa v8, v6, v8, vcc dst_sel:DWORD dst_unused:UNUSED_PAD src0_sel:DWORD src1_sel:WORD_1
.LBB149_29:
	s_or_b64 exec, exec, s[2:3]
	v_or_b32_e32 v6, 0x600, v0
	v_cmp_gt_i32_e32 vcc, s15, v6
                                        ; implicit-def: $vgpr6
	s_and_saveexec_b64 s[2:3], vcc
	s_cbranch_execz .LBB149_31
; %bb.30:
	v_mul_f32_e32 v6, 0x3fb8aa3b, v3
	v_rndne_f32_e32 v6, v6
	v_fmamk_f32 v12, v6, 0xbf317218, v3
	v_fmamk_f32 v12, v6, 0x3102e308, v12
	v_mov_b32_e32 v13, 0x3ab69700
	v_fmac_f32_e32 v13, 0x395133b1, v12
	v_fmaak_f32 v13, v12, v13, 0x3c0887f9
	v_fmaak_f32 v13, v12, v13, 0x3d2aaa81
	v_cvt_i32_f32_e32 v14, v6
	v_fmaak_f32 v13, v12, v13, 0x3e2aaaab
	v_fma_f32 v13, v12, v13, 0.5
	v_mul_f32_e32 v13, v12, v13
	s_mov_b32 s4, 0x43000000
	v_fmac_f32_e32 v12, v12, v13
	v_ldexp_f32 v13, 1.0, v14
	v_mov_b32_e32 v14, 0x7f000000
	v_cmp_eq_f32_e32 vcc, s4, v6
	s_mov_b32 s4, 0x42b17217
	s_nop 0
	v_cndmask_b32_e32 v6, v13, v14, vcc
	v_add_f32_e32 v13, -1.0, v6
	v_fmac_f32_e32 v13, v6, v12
	v_add_f32_e32 v6, v13, v13
	v_cndmask_b32_e32 v6, v13, v6, vcc
	v_mov_b32_e32 v12, 0x7f800000
	v_cmp_nlt_f32_e32 vcc, s4, v3
	s_mov_b32 s4, 0xc1880000
	s_nop 0
	v_cndmask_b32_e32 v6, v12, v6, vcc
	v_cmp_ngt_f32_e32 vcc, s4, v3
	s_movk_i32 s4, 0x7fff
	s_nop 0
	v_cndmask_b32_e32 v3, -1.0, v6, vcc
	v_bfe_u32 v6, v3, 16, 1
	v_add3_u32 v6, v3, v6, s4
	v_cmp_o_f32_e32 vcc, v3, v3
	v_mov_b32_e32 v3, 0x7fc0
	s_nop 0
	v_cndmask_b32_sdwa v6, v3, v6, vcc dst_sel:DWORD dst_unused:UNUSED_PAD src0_sel:DWORD src1_sel:WORD_1
.LBB149_31:
	s_or_b64 exec, exec, s[2:3]
	v_or_b32_e32 v3, 0x700, v0
	v_cmp_gt_i32_e32 vcc, s15, v3
                                        ; implicit-def: $vgpr12
	s_and_saveexec_b64 s[2:3], vcc
	s_cbranch_execnz .LBB149_44
; %bb.32:
	s_or_b64 exec, exec, s[2:3]
	s_and_saveexec_b64 s[2:3], s[0:1]
	s_xor_b64 s[0:1], exec, s[2:3]
	s_cbranch_execnz .LBB149_45
.LBB149_33:
	s_or_b64 exec, exec, s[0:1]
	v_cmp_gt_i32_e32 vcc, s15, v0
	s_and_saveexec_b64 s[0:1], vcc
	s_cbranch_execnz .LBB149_46
.LBB149_34:
	s_or_b64 exec, exec, s[0:1]
	v_cmp_gt_i32_e32 vcc, s15, v0
	s_and_saveexec_b64 s[0:1], vcc
	s_cbranch_execnz .LBB149_47
.LBB149_35:
	s_or_b64 exec, exec, s[0:1]
	v_cmp_gt_i32_e32 vcc, s15, v0
	s_and_saveexec_b64 s[0:1], vcc
	s_cbranch_execnz .LBB149_48
.LBB149_36:
	s_or_b64 exec, exec, s[0:1]
	v_cmp_gt_i32_e32 vcc, s15, v0
	s_and_saveexec_b64 s[0:1], vcc
	s_cbranch_execnz .LBB149_49
.LBB149_37:
	s_or_b64 exec, exec, s[0:1]
	v_cmp_gt_i32_e32 vcc, s15, v0
	s_and_saveexec_b64 s[0:1], vcc
	s_cbranch_execnz .LBB149_50
.LBB149_38:
	s_or_b64 exec, exec, s[0:1]
	v_cmp_gt_i32_e32 vcc, s15, v0
	s_and_saveexec_b64 s[0:1], vcc
	s_cbranch_execnz .LBB149_51
.LBB149_39:
	s_or_b64 exec, exec, s[0:1]
	v_cmp_gt_i32_e32 vcc, s15, v0
	s_and_saveexec_b64 s[0:1], vcc
	s_cbranch_execz .LBB149_41
.LBB149_40:
	v_add_u32_e32 v0, s6, v0
	v_mov_b32_e32 v1, 0
	v_lshl_add_u64 v[0:1], v[0:1], 1, s[8:9]
	global_store_short v[0:1], v12, off
.LBB149_41:
	s_endpgm
.LBB149_42:
	v_add_u32_e32 v12, s6, v4
	v_mov_b32_e32 v13, 0
	v_lshl_add_u64 v[12:13], v[12:13], 1, s[10:11]
	global_load_ushort v3, v[12:13], off
	v_add_u32_e32 v4, 0x100, v4
	s_waitcnt vmcnt(0)
	v_lshlrev_b32_e32 v3, 16, v3
	s_or_b64 exec, exec, s[2:3]
	v_cmp_gt_i32_e32 vcc, s15, v4
	s_and_saveexec_b64 s[2:3], vcc
	s_cbranch_execz .LBB149_17
.LBB149_43:
	v_add_u32_e32 v12, s6, v4
	v_mov_b32_e32 v13, 0
	v_lshl_add_u64 v[12:13], v[12:13], 1, s[10:11]
	global_load_ushort v1, v[12:13], off
	s_waitcnt vmcnt(0)
	v_lshlrev_b32_e32 v1, 16, v1
	s_or_b64 exec, exec, s[2:3]
                                        ; implicit-def: $vgpr4
	s_and_saveexec_b64 s[2:3], s[0:1]
	s_cbranch_execnz .LBB149_18
	s_branch .LBB149_19
.LBB149_44:
	v_mul_f32_e32 v3, 0x3fb8aa3b, v1
	v_rndne_f32_e32 v3, v3
	v_fmamk_f32 v12, v3, 0xbf317218, v1
	v_fmamk_f32 v12, v3, 0x3102e308, v12
	v_mov_b32_e32 v13, 0x3ab69700
	v_fmac_f32_e32 v13, 0x395133b1, v12
	v_fmaak_f32 v13, v12, v13, 0x3c0887f9
	v_fmaak_f32 v13, v12, v13, 0x3d2aaa81
	v_cvt_i32_f32_e32 v14, v3
	v_fmaak_f32 v13, v12, v13, 0x3e2aaaab
	v_fma_f32 v13, v12, v13, 0.5
	v_mul_f32_e32 v13, v12, v13
	s_mov_b32 s4, 0x43000000
	v_fmac_f32_e32 v12, v12, v13
	v_ldexp_f32 v13, 1.0, v14
	v_mov_b32_e32 v14, 0x7f000000
	v_cmp_eq_f32_e32 vcc, s4, v3
	s_mov_b32 s4, 0x42b17217
	s_nop 0
	v_cndmask_b32_e32 v3, v13, v14, vcc
	v_add_f32_e32 v13, -1.0, v3
	v_fmac_f32_e32 v13, v3, v12
	v_add_f32_e32 v3, v13, v13
	v_cndmask_b32_e32 v3, v13, v3, vcc
	v_mov_b32_e32 v12, 0x7f800000
	v_cmp_nlt_f32_e32 vcc, s4, v1
	s_mov_b32 s4, 0xc1880000
	s_nop 0
	v_cndmask_b32_e32 v3, v12, v3, vcc
	v_cmp_ngt_f32_e32 vcc, s4, v1
	s_movk_i32 s4, 0x7fff
	s_nop 0
	v_cndmask_b32_e32 v1, -1.0, v3, vcc
	v_bfe_u32 v3, v1, 16, 1
	v_add3_u32 v3, v1, v3, s4
	v_cmp_o_f32_e32 vcc, v1, v1
	v_mov_b32_e32 v1, 0x7fc0
	s_nop 0
	v_cndmask_b32_sdwa v12, v1, v3, vcc dst_sel:DWORD dst_unused:UNUSED_PAD src0_sel:DWORD src1_sel:WORD_1
	s_or_b64 exec, exec, s[2:3]
	s_and_saveexec_b64 s[2:3], s[0:1]
	s_xor_b64 s[0:1], exec, s[2:3]
	s_cbranch_execz .LBB149_33
.LBB149_45:
	v_mov_b32_e32 v3, 0
	v_lshl_add_u64 v[0:1], v[2:3], 1, s[8:9]
	global_store_short v[0:1], v4, off
	v_mov_b32_e32 v0, v5
	s_or_b64 exec, exec, s[0:1]
	v_cmp_gt_i32_e32 vcc, s15, v0
	s_and_saveexec_b64 s[0:1], vcc
	s_cbranch_execz .LBB149_34
.LBB149_46:
	v_add_u32_e32 v2, s6, v0
	v_mov_b32_e32 v3, 0
	v_lshl_add_u64 v[2:3], v[2:3], 1, s[8:9]
	v_add_u32_e32 v0, 0x100, v0
	global_store_short v[2:3], v7, off
	s_or_b64 exec, exec, s[0:1]
	v_cmp_gt_i32_e32 vcc, s15, v0
	s_and_saveexec_b64 s[0:1], vcc
	s_cbranch_execz .LBB149_35
.LBB149_47:
	v_add_u32_e32 v2, s6, v0
	v_mov_b32_e32 v3, 0
	v_lshl_add_u64 v[2:3], v[2:3], 1, s[8:9]
	v_add_u32_e32 v0, 0x100, v0
	global_store_short v[2:3], v9, off
	s_or_b64 exec, exec, s[0:1]
	v_cmp_gt_i32_e32 vcc, s15, v0
	s_and_saveexec_b64 s[0:1], vcc
	s_cbranch_execz .LBB149_36
.LBB149_48:
	v_add_u32_e32 v2, s6, v0
	v_mov_b32_e32 v3, 0
	v_lshl_add_u64 v[2:3], v[2:3], 1, s[8:9]
	v_add_u32_e32 v0, 0x100, v0
	global_store_short v[2:3], v11, off
	s_or_b64 exec, exec, s[0:1]
	v_cmp_gt_i32_e32 vcc, s15, v0
	s_and_saveexec_b64 s[0:1], vcc
	s_cbranch_execz .LBB149_37
.LBB149_49:
	v_add_u32_e32 v2, s6, v0
	v_mov_b32_e32 v3, 0
	v_lshl_add_u64 v[2:3], v[2:3], 1, s[8:9]
	v_add_u32_e32 v0, 0x100, v0
	global_store_short v[2:3], v10, off
	s_or_b64 exec, exec, s[0:1]
	v_cmp_gt_i32_e32 vcc, s15, v0
	s_and_saveexec_b64 s[0:1], vcc
	s_cbranch_execz .LBB149_38
.LBB149_50:
	v_add_u32_e32 v2, s6, v0
	v_mov_b32_e32 v3, 0
	v_lshl_add_u64 v[2:3], v[2:3], 1, s[8:9]
	v_add_u32_e32 v0, 0x100, v0
	global_store_short v[2:3], v8, off
	s_or_b64 exec, exec, s[0:1]
	v_cmp_gt_i32_e32 vcc, s15, v0
	s_and_saveexec_b64 s[0:1], vcc
	s_cbranch_execz .LBB149_39
.LBB149_51:
	v_add_u32_e32 v2, s6, v0
	v_mov_b32_e32 v3, 0
	v_lshl_add_u64 v[2:3], v[2:3], 1, s[8:9]
	v_add_u32_e32 v0, 0x100, v0
	global_store_short v[2:3], v6, off
	s_or_b64 exec, exec, s[0:1]
	v_cmp_gt_i32_e32 vcc, s15, v0
	s_and_saveexec_b64 s[0:1], vcc
	s_cbranch_execnz .LBB149_40
	s_branch .LBB149_41
	.section	.rodata,"a",@progbits
	.p2align	6, 0x0
	.amdhsa_kernel _ZN2at6native29vectorized_elementwise_kernelILi2EZZZNS0_17expm1_kernel_cudaERNS_18TensorIteratorBaseEENKUlvE_clEvENKUlvE3_clEvEUlN3c108BFloat16EE_St5arrayIPcLm2EEEEviT0_T1_
		.amdhsa_group_segment_fixed_size 0
		.amdhsa_private_segment_fixed_size 0
		.amdhsa_kernarg_size 24
		.amdhsa_user_sgpr_count 2
		.amdhsa_user_sgpr_dispatch_ptr 0
		.amdhsa_user_sgpr_queue_ptr 0
		.amdhsa_user_sgpr_kernarg_segment_ptr 1
		.amdhsa_user_sgpr_dispatch_id 0
		.amdhsa_user_sgpr_kernarg_preload_length 0
		.amdhsa_user_sgpr_kernarg_preload_offset 0
		.amdhsa_user_sgpr_private_segment_size 0
		.amdhsa_uses_dynamic_stack 0
		.amdhsa_enable_private_segment 0
		.amdhsa_system_sgpr_workgroup_id_x 1
		.amdhsa_system_sgpr_workgroup_id_y 0
		.amdhsa_system_sgpr_workgroup_id_z 0
		.amdhsa_system_sgpr_workgroup_info 0
		.amdhsa_system_vgpr_workitem_id 0
		.amdhsa_next_free_vgpr 30
		.amdhsa_next_free_sgpr 26
		.amdhsa_accum_offset 32
		.amdhsa_reserve_vcc 1
		.amdhsa_float_round_mode_32 0
		.amdhsa_float_round_mode_16_64 0
		.amdhsa_float_denorm_mode_32 3
		.amdhsa_float_denorm_mode_16_64 3
		.amdhsa_dx10_clamp 1
		.amdhsa_ieee_mode 1
		.amdhsa_fp16_overflow 0
		.amdhsa_tg_split 0
		.amdhsa_exception_fp_ieee_invalid_op 0
		.amdhsa_exception_fp_denorm_src 0
		.amdhsa_exception_fp_ieee_div_zero 0
		.amdhsa_exception_fp_ieee_overflow 0
		.amdhsa_exception_fp_ieee_underflow 0
		.amdhsa_exception_fp_ieee_inexact 0
		.amdhsa_exception_int_div_zero 0
	.end_amdhsa_kernel
	.section	.text._ZN2at6native29vectorized_elementwise_kernelILi2EZZZNS0_17expm1_kernel_cudaERNS_18TensorIteratorBaseEENKUlvE_clEvENKUlvE3_clEvEUlN3c108BFloat16EE_St5arrayIPcLm2EEEEviT0_T1_,"axG",@progbits,_ZN2at6native29vectorized_elementwise_kernelILi2EZZZNS0_17expm1_kernel_cudaERNS_18TensorIteratorBaseEENKUlvE_clEvENKUlvE3_clEvEUlN3c108BFloat16EE_St5arrayIPcLm2EEEEviT0_T1_,comdat
.Lfunc_end149:
	.size	_ZN2at6native29vectorized_elementwise_kernelILi2EZZZNS0_17expm1_kernel_cudaERNS_18TensorIteratorBaseEENKUlvE_clEvENKUlvE3_clEvEUlN3c108BFloat16EE_St5arrayIPcLm2EEEEviT0_T1_, .Lfunc_end149-_ZN2at6native29vectorized_elementwise_kernelILi2EZZZNS0_17expm1_kernel_cudaERNS_18TensorIteratorBaseEENKUlvE_clEvENKUlvE3_clEvEUlN3c108BFloat16EE_St5arrayIPcLm2EEEEviT0_T1_
                                        ; -- End function
	.set _ZN2at6native29vectorized_elementwise_kernelILi2EZZZNS0_17expm1_kernel_cudaERNS_18TensorIteratorBaseEENKUlvE_clEvENKUlvE3_clEvEUlN3c108BFloat16EE_St5arrayIPcLm2EEEEviT0_T1_.num_vgpr, 30
	.set _ZN2at6native29vectorized_elementwise_kernelILi2EZZZNS0_17expm1_kernel_cudaERNS_18TensorIteratorBaseEENKUlvE_clEvENKUlvE3_clEvEUlN3c108BFloat16EE_St5arrayIPcLm2EEEEviT0_T1_.num_agpr, 0
	.set _ZN2at6native29vectorized_elementwise_kernelILi2EZZZNS0_17expm1_kernel_cudaERNS_18TensorIteratorBaseEENKUlvE_clEvENKUlvE3_clEvEUlN3c108BFloat16EE_St5arrayIPcLm2EEEEviT0_T1_.numbered_sgpr, 26
	.set _ZN2at6native29vectorized_elementwise_kernelILi2EZZZNS0_17expm1_kernel_cudaERNS_18TensorIteratorBaseEENKUlvE_clEvENKUlvE3_clEvEUlN3c108BFloat16EE_St5arrayIPcLm2EEEEviT0_T1_.num_named_barrier, 0
	.set _ZN2at6native29vectorized_elementwise_kernelILi2EZZZNS0_17expm1_kernel_cudaERNS_18TensorIteratorBaseEENKUlvE_clEvENKUlvE3_clEvEUlN3c108BFloat16EE_St5arrayIPcLm2EEEEviT0_T1_.private_seg_size, 0
	.set _ZN2at6native29vectorized_elementwise_kernelILi2EZZZNS0_17expm1_kernel_cudaERNS_18TensorIteratorBaseEENKUlvE_clEvENKUlvE3_clEvEUlN3c108BFloat16EE_St5arrayIPcLm2EEEEviT0_T1_.uses_vcc, 1
	.set _ZN2at6native29vectorized_elementwise_kernelILi2EZZZNS0_17expm1_kernel_cudaERNS_18TensorIteratorBaseEENKUlvE_clEvENKUlvE3_clEvEUlN3c108BFloat16EE_St5arrayIPcLm2EEEEviT0_T1_.uses_flat_scratch, 0
	.set _ZN2at6native29vectorized_elementwise_kernelILi2EZZZNS0_17expm1_kernel_cudaERNS_18TensorIteratorBaseEENKUlvE_clEvENKUlvE3_clEvEUlN3c108BFloat16EE_St5arrayIPcLm2EEEEviT0_T1_.has_dyn_sized_stack, 0
	.set _ZN2at6native29vectorized_elementwise_kernelILi2EZZZNS0_17expm1_kernel_cudaERNS_18TensorIteratorBaseEENKUlvE_clEvENKUlvE3_clEvEUlN3c108BFloat16EE_St5arrayIPcLm2EEEEviT0_T1_.has_recursion, 0
	.set _ZN2at6native29vectorized_elementwise_kernelILi2EZZZNS0_17expm1_kernel_cudaERNS_18TensorIteratorBaseEENKUlvE_clEvENKUlvE3_clEvEUlN3c108BFloat16EE_St5arrayIPcLm2EEEEviT0_T1_.has_indirect_call, 0
	.section	.AMDGPU.csdata,"",@progbits
; Kernel info:
; codeLenInByte = 4616
; TotalNumSgprs: 32
; NumVgprs: 30
; NumAgprs: 0
; TotalNumVgprs: 30
; ScratchSize: 0
; MemoryBound: 0
; FloatMode: 240
; IeeeMode: 1
; LDSByteSize: 0 bytes/workgroup (compile time only)
; SGPRBlocks: 3
; VGPRBlocks: 3
; NumSGPRsForWavesPerEU: 32
; NumVGPRsForWavesPerEU: 30
; AccumOffset: 32
; Occupancy: 8
; WaveLimiterHint : 1
; COMPUTE_PGM_RSRC2:SCRATCH_EN: 0
; COMPUTE_PGM_RSRC2:USER_SGPR: 2
; COMPUTE_PGM_RSRC2:TRAP_HANDLER: 0
; COMPUTE_PGM_RSRC2:TGID_X_EN: 1
; COMPUTE_PGM_RSRC2:TGID_Y_EN: 0
; COMPUTE_PGM_RSRC2:TGID_Z_EN: 0
; COMPUTE_PGM_RSRC2:TIDIG_COMP_CNT: 0
; COMPUTE_PGM_RSRC3_GFX90A:ACCUM_OFFSET: 7
; COMPUTE_PGM_RSRC3_GFX90A:TG_SPLIT: 0
	.section	.text._ZN2at6native27unrolled_elementwise_kernelIZZZNS0_17expm1_kernel_cudaERNS_18TensorIteratorBaseEENKUlvE_clEvENKUlvE3_clEvEUlN3c108BFloat16EE_St5arrayIPcLm2EELi4E23TrivialOffsetCalculatorILi1EjESD_NS0_6memory15LoadWithoutCastENSE_16StoreWithoutCastEEEviT_T0_T2_T3_T4_T5_,"axG",@progbits,_ZN2at6native27unrolled_elementwise_kernelIZZZNS0_17expm1_kernel_cudaERNS_18TensorIteratorBaseEENKUlvE_clEvENKUlvE3_clEvEUlN3c108BFloat16EE_St5arrayIPcLm2EELi4E23TrivialOffsetCalculatorILi1EjESD_NS0_6memory15LoadWithoutCastENSE_16StoreWithoutCastEEEviT_T0_T2_T3_T4_T5_,comdat
	.globl	_ZN2at6native27unrolled_elementwise_kernelIZZZNS0_17expm1_kernel_cudaERNS_18TensorIteratorBaseEENKUlvE_clEvENKUlvE3_clEvEUlN3c108BFloat16EE_St5arrayIPcLm2EELi4E23TrivialOffsetCalculatorILi1EjESD_NS0_6memory15LoadWithoutCastENSE_16StoreWithoutCastEEEviT_T0_T2_T3_T4_T5_ ; -- Begin function _ZN2at6native27unrolled_elementwise_kernelIZZZNS0_17expm1_kernel_cudaERNS_18TensorIteratorBaseEENKUlvE_clEvENKUlvE3_clEvEUlN3c108BFloat16EE_St5arrayIPcLm2EELi4E23TrivialOffsetCalculatorILi1EjESD_NS0_6memory15LoadWithoutCastENSE_16StoreWithoutCastEEEviT_T0_T2_T3_T4_T5_
	.p2align	8
	.type	_ZN2at6native27unrolled_elementwise_kernelIZZZNS0_17expm1_kernel_cudaERNS_18TensorIteratorBaseEENKUlvE_clEvENKUlvE3_clEvEUlN3c108BFloat16EE_St5arrayIPcLm2EELi4E23TrivialOffsetCalculatorILi1EjESD_NS0_6memory15LoadWithoutCastENSE_16StoreWithoutCastEEEviT_T0_T2_T3_T4_T5_,@function
_ZN2at6native27unrolled_elementwise_kernelIZZZNS0_17expm1_kernel_cudaERNS_18TensorIteratorBaseEENKUlvE_clEvENKUlvE3_clEvEUlN3c108BFloat16EE_St5arrayIPcLm2EELi4E23TrivialOffsetCalculatorILi1EjESD_NS0_6memory15LoadWithoutCastENSE_16StoreWithoutCastEEEviT_T0_T2_T3_T4_T5_: ; @_ZN2at6native27unrolled_elementwise_kernelIZZZNS0_17expm1_kernel_cudaERNS_18TensorIteratorBaseEENKUlvE_clEvENKUlvE3_clEvEUlN3c108BFloat16EE_St5arrayIPcLm2EELi4E23TrivialOffsetCalculatorILi1EjESD_NS0_6memory15LoadWithoutCastENSE_16StoreWithoutCastEEEviT_T0_T2_T3_T4_T5_
; %bb.0:
	s_load_dword s3, s[0:1], 0x0
	s_load_dwordx4 s[4:7], s[0:1], 0x8
	s_lshl_b32 s8, s2, 10
	v_mov_b32_e32 v6, 0
	v_or_b32_e32 v2, s8, v0
	s_waitcnt lgkmcnt(0)
	s_sub_i32 s9, s3, s8
	v_cmp_gt_i32_e64 s[0:1], s9, v0
	v_mov_b32_e32 v5, 0
	v_mov_b32_e32 v4, v0
	s_and_saveexec_b64 s[2:3], s[0:1]
	s_cbranch_execz .LBB150_2
; %bb.1:
	v_mov_b32_e32 v3, 0
	v_lshl_add_u64 v[4:5], v[2:3], 1, s[6:7]
	global_load_ushort v1, v[4:5], off
	v_or_b32_e32 v4, 0x100, v0
	s_waitcnt vmcnt(0)
	v_lshlrev_b32_e32 v5, 16, v1
.LBB150_2:
	s_or_b64 exec, exec, s[2:3]
	v_cmp_gt_i32_e32 vcc, s9, v4
	s_and_saveexec_b64 s[2:3], vcc
	s_cbranch_execz .LBB150_4
; %bb.3:
	v_add_u32_e32 v6, s8, v4
	v_mov_b32_e32 v7, 0
	v_lshl_add_u64 v[6:7], v[6:7], 1, s[6:7]
	global_load_ushort v1, v[6:7], off
	v_add_u32_e32 v4, 0x100, v4
	s_waitcnt vmcnt(0)
	v_lshlrev_b32_e32 v6, 16, v1
.LBB150_4:
	s_or_b64 exec, exec, s[2:3]
	v_cmp_gt_i32_e32 vcc, s9, v4
	v_mov_b32_e32 v1, 0
	v_mov_b32_e32 v3, 0
	s_and_saveexec_b64 s[2:3], vcc
	s_cbranch_execnz .LBB150_18
; %bb.5:
	s_or_b64 exec, exec, s[2:3]
	v_cmp_gt_i32_e32 vcc, s9, v4
	s_and_saveexec_b64 s[2:3], vcc
	s_cbranch_execnz .LBB150_19
.LBB150_6:
	s_or_b64 exec, exec, s[2:3]
                                        ; implicit-def: $vgpr4
	s_and_saveexec_b64 s[2:3], s[0:1]
	s_cbranch_execz .LBB150_8
.LBB150_7:
	v_mul_f32_e32 v4, 0x3fb8aa3b, v5
	v_rndne_f32_e32 v4, v4
	v_fmamk_f32 v7, v4, 0xbf317218, v5
	v_fmamk_f32 v7, v4, 0x3102e308, v7
	v_mov_b32_e32 v8, 0x3ab69700
	v_fmac_f32_e32 v8, 0x395133b1, v7
	v_fmaak_f32 v8, v7, v8, 0x3c0887f9
	v_fmaak_f32 v8, v7, v8, 0x3d2aaa81
	v_cvt_i32_f32_e32 v9, v4
	v_fmaak_f32 v8, v7, v8, 0x3e2aaaab
	v_fma_f32 v8, v7, v8, 0.5
	v_mul_f32_e32 v8, v7, v8
	s_mov_b32 s6, 0x43000000
	v_fmac_f32_e32 v7, v7, v8
	v_ldexp_f32 v8, 1.0, v9
	v_mov_b32_e32 v9, 0x7f000000
	v_cmp_eq_f32_e32 vcc, s6, v4
	s_mov_b32 s6, 0x42b17217
	s_nop 0
	v_cndmask_b32_e32 v4, v8, v9, vcc
	v_add_f32_e32 v8, -1.0, v4
	v_fmac_f32_e32 v8, v4, v7
	v_add_f32_e32 v4, v8, v8
	v_cndmask_b32_e32 v4, v8, v4, vcc
	v_mov_b32_e32 v7, 0x7f800000
	v_cmp_nlt_f32_e32 vcc, s6, v5
	s_mov_b32 s6, 0xc1880000
	s_nop 0
	v_cndmask_b32_e32 v4, v7, v4, vcc
	v_cmp_ngt_f32_e32 vcc, s6, v5
	s_movk_i32 s6, 0x7fff
	s_nop 0
	v_cndmask_b32_e32 v4, -1.0, v4, vcc
	v_bfe_u32 v5, v4, 16, 1
	v_add3_u32 v5, v4, v5, s6
	v_cmp_o_f32_e32 vcc, v4, v4
	v_mov_b32_e32 v4, 0x7fc0
	s_nop 0
	v_cndmask_b32_sdwa v4, v4, v5, vcc dst_sel:DWORD dst_unused:UNUSED_PAD src0_sel:DWORD src1_sel:WORD_1
.LBB150_8:
	s_or_b64 exec, exec, s[2:3]
	v_or_b32_e32 v5, 0x100, v0
	v_cmp_gt_i32_e32 vcc, s9, v5
                                        ; implicit-def: $vgpr7
	s_and_saveexec_b64 s[2:3], vcc
	s_cbranch_execz .LBB150_10
; %bb.9:
	v_mul_f32_e32 v7, 0x3fb8aa3b, v6
	v_rndne_f32_e32 v7, v7
	v_fmamk_f32 v8, v7, 0xbf317218, v6
	v_fmamk_f32 v8, v7, 0x3102e308, v8
	v_mov_b32_e32 v9, 0x3ab69700
	v_fmac_f32_e32 v9, 0x395133b1, v8
	v_fmaak_f32 v9, v8, v9, 0x3c0887f9
	v_fmaak_f32 v9, v8, v9, 0x3d2aaa81
	v_cvt_i32_f32_e32 v10, v7
	v_fmaak_f32 v9, v8, v9, 0x3e2aaaab
	v_fma_f32 v9, v8, v9, 0.5
	v_mul_f32_e32 v9, v8, v9
	s_mov_b32 s6, 0x43000000
	v_fmac_f32_e32 v8, v8, v9
	v_ldexp_f32 v9, 1.0, v10
	v_mov_b32_e32 v10, 0x7f000000
	v_cmp_eq_f32_e32 vcc, s6, v7
	s_mov_b32 s6, 0x42b17217
	s_nop 0
	v_cndmask_b32_e32 v7, v9, v10, vcc
	v_add_f32_e32 v9, -1.0, v7
	v_fmac_f32_e32 v9, v7, v8
	v_add_f32_e32 v7, v9, v9
	v_cndmask_b32_e32 v7, v9, v7, vcc
	v_mov_b32_e32 v8, 0x7f800000
	v_cmp_nlt_f32_e32 vcc, s6, v6
	s_mov_b32 s6, 0xc1880000
	s_nop 0
	v_cndmask_b32_e32 v7, v8, v7, vcc
	v_cmp_ngt_f32_e32 vcc, s6, v6
	s_movk_i32 s6, 0x7fff
	s_nop 0
	v_cndmask_b32_e32 v6, -1.0, v7, vcc
	v_bfe_u32 v7, v6, 16, 1
	v_add3_u32 v7, v6, v7, s6
	v_cmp_o_f32_e32 vcc, v6, v6
	v_mov_b32_e32 v6, 0x7fc0
	s_nop 0
	v_cndmask_b32_sdwa v7, v6, v7, vcc dst_sel:DWORD dst_unused:UNUSED_PAD src0_sel:DWORD src1_sel:WORD_1
.LBB150_10:
	s_or_b64 exec, exec, s[2:3]
	v_or_b32_e32 v6, 0x200, v0
	v_cmp_gt_i32_e32 vcc, s9, v6
                                        ; implicit-def: $vgpr6
	s_and_saveexec_b64 s[2:3], vcc
	s_cbranch_execz .LBB150_12
; %bb.11:
	v_mul_f32_e32 v6, 0x3fb8aa3b, v3
	v_rndne_f32_e32 v6, v6
	v_fmamk_f32 v8, v6, 0xbf317218, v3
	v_fmamk_f32 v8, v6, 0x3102e308, v8
	v_mov_b32_e32 v9, 0x3ab69700
	v_fmac_f32_e32 v9, 0x395133b1, v8
	v_fmaak_f32 v9, v8, v9, 0x3c0887f9
	v_fmaak_f32 v9, v8, v9, 0x3d2aaa81
	v_cvt_i32_f32_e32 v10, v6
	v_fmaak_f32 v9, v8, v9, 0x3e2aaaab
	v_fma_f32 v9, v8, v9, 0.5
	v_mul_f32_e32 v9, v8, v9
	s_mov_b32 s6, 0x43000000
	v_fmac_f32_e32 v8, v8, v9
	v_ldexp_f32 v9, 1.0, v10
	v_mov_b32_e32 v10, 0x7f000000
	v_cmp_eq_f32_e32 vcc, s6, v6
	s_mov_b32 s6, 0x42b17217
	s_nop 0
	v_cndmask_b32_e32 v6, v9, v10, vcc
	v_add_f32_e32 v9, -1.0, v6
	v_fmac_f32_e32 v9, v6, v8
	v_add_f32_e32 v6, v9, v9
	v_cndmask_b32_e32 v6, v9, v6, vcc
	v_mov_b32_e32 v8, 0x7f800000
	v_cmp_nlt_f32_e32 vcc, s6, v3
	s_mov_b32 s6, 0xc1880000
	s_nop 0
	v_cndmask_b32_e32 v6, v8, v6, vcc
	v_cmp_ngt_f32_e32 vcc, s6, v3
	s_movk_i32 s6, 0x7fff
	s_nop 0
	v_cndmask_b32_e32 v3, -1.0, v6, vcc
	v_bfe_u32 v6, v3, 16, 1
	v_add3_u32 v6, v3, v6, s6
	v_cmp_o_f32_e32 vcc, v3, v3
	v_mov_b32_e32 v3, 0x7fc0
	s_nop 0
	v_cndmask_b32_sdwa v6, v3, v6, vcc dst_sel:DWORD dst_unused:UNUSED_PAD src0_sel:DWORD src1_sel:WORD_1
.LBB150_12:
	s_or_b64 exec, exec, s[2:3]
	v_or_b32_e32 v3, 0x300, v0
	v_cmp_gt_i32_e32 vcc, s9, v3
                                        ; implicit-def: $vgpr8
	s_and_saveexec_b64 s[2:3], vcc
	s_cbranch_execnz .LBB150_20
; %bb.13:
	s_or_b64 exec, exec, s[2:3]
	s_and_saveexec_b64 s[2:3], s[0:1]
	s_xor_b64 s[0:1], exec, s[2:3]
	s_cbranch_execnz .LBB150_21
.LBB150_14:
	s_or_b64 exec, exec, s[0:1]
	v_cmp_gt_i32_e32 vcc, s9, v0
	s_and_saveexec_b64 s[0:1], vcc
	s_cbranch_execnz .LBB150_22
.LBB150_15:
	s_or_b64 exec, exec, s[0:1]
	v_cmp_gt_i32_e32 vcc, s9, v0
	s_and_saveexec_b64 s[0:1], vcc
	s_cbranch_execnz .LBB150_23
.LBB150_16:
	s_or_b64 exec, exec, s[0:1]
	v_cmp_gt_i32_e32 vcc, s9, v0
	s_and_saveexec_b64 s[0:1], vcc
	s_cbranch_execnz .LBB150_24
.LBB150_17:
	s_endpgm
.LBB150_18:
	v_add_u32_e32 v8, s8, v4
	v_mov_b32_e32 v9, 0
	v_lshl_add_u64 v[8:9], v[8:9], 1, s[6:7]
	global_load_ushort v3, v[8:9], off
	v_add_u32_e32 v4, 0x100, v4
	s_waitcnt vmcnt(0)
	v_lshlrev_b32_e32 v3, 16, v3
	s_or_b64 exec, exec, s[2:3]
	v_cmp_gt_i32_e32 vcc, s9, v4
	s_and_saveexec_b64 s[2:3], vcc
	s_cbranch_execz .LBB150_6
.LBB150_19:
	v_add_u32_e32 v8, s8, v4
	v_mov_b32_e32 v9, 0
	v_lshl_add_u64 v[8:9], v[8:9], 1, s[6:7]
	global_load_ushort v1, v[8:9], off
	s_waitcnt vmcnt(0)
	v_lshlrev_b32_e32 v1, 16, v1
	s_or_b64 exec, exec, s[2:3]
                                        ; implicit-def: $vgpr4
	s_and_saveexec_b64 s[2:3], s[0:1]
	s_cbranch_execnz .LBB150_7
	s_branch .LBB150_8
.LBB150_20:
	v_mul_f32_e32 v3, 0x3fb8aa3b, v1
	v_rndne_f32_e32 v3, v3
	v_fmamk_f32 v8, v3, 0xbf317218, v1
	v_fmamk_f32 v8, v3, 0x3102e308, v8
	v_mov_b32_e32 v9, 0x3ab69700
	v_fmac_f32_e32 v9, 0x395133b1, v8
	v_fmaak_f32 v9, v8, v9, 0x3c0887f9
	v_fmaak_f32 v9, v8, v9, 0x3d2aaa81
	v_cvt_i32_f32_e32 v10, v3
	v_fmaak_f32 v9, v8, v9, 0x3e2aaaab
	v_fma_f32 v9, v8, v9, 0.5
	v_mul_f32_e32 v9, v8, v9
	s_mov_b32 s6, 0x43000000
	v_fmac_f32_e32 v8, v8, v9
	v_ldexp_f32 v9, 1.0, v10
	v_mov_b32_e32 v10, 0x7f000000
	v_cmp_eq_f32_e32 vcc, s6, v3
	s_mov_b32 s6, 0x42b17217
	s_nop 0
	v_cndmask_b32_e32 v3, v9, v10, vcc
	v_add_f32_e32 v9, -1.0, v3
	v_fmac_f32_e32 v9, v3, v8
	v_add_f32_e32 v3, v9, v9
	v_cndmask_b32_e32 v3, v9, v3, vcc
	v_mov_b32_e32 v8, 0x7f800000
	v_cmp_nlt_f32_e32 vcc, s6, v1
	s_mov_b32 s6, 0xc1880000
	s_nop 0
	v_cndmask_b32_e32 v3, v8, v3, vcc
	v_cmp_ngt_f32_e32 vcc, s6, v1
	s_movk_i32 s6, 0x7fff
	s_nop 0
	v_cndmask_b32_e32 v1, -1.0, v3, vcc
	v_bfe_u32 v3, v1, 16, 1
	v_add3_u32 v3, v1, v3, s6
	v_cmp_o_f32_e32 vcc, v1, v1
	v_mov_b32_e32 v1, 0x7fc0
	s_nop 0
	v_cndmask_b32_sdwa v8, v1, v3, vcc dst_sel:DWORD dst_unused:UNUSED_PAD src0_sel:DWORD src1_sel:WORD_1
	s_or_b64 exec, exec, s[2:3]
	s_and_saveexec_b64 s[2:3], s[0:1]
	s_xor_b64 s[0:1], exec, s[2:3]
	s_cbranch_execz .LBB150_14
.LBB150_21:
	v_mov_b32_e32 v3, 0
	v_lshl_add_u64 v[0:1], v[2:3], 1, s[4:5]
	global_store_short v[0:1], v4, off
	v_mov_b32_e32 v0, v5
	s_or_b64 exec, exec, s[0:1]
	v_cmp_gt_i32_e32 vcc, s9, v0
	s_and_saveexec_b64 s[0:1], vcc
	s_cbranch_execz .LBB150_15
.LBB150_22:
	v_add_u32_e32 v2, 0x100, v0
	v_add_u32_e32 v0, s8, v0
	v_mov_b32_e32 v1, 0
	v_lshl_add_u64 v[0:1], v[0:1], 1, s[4:5]
	global_store_short v[0:1], v7, off
	v_mov_b32_e32 v0, v2
	s_or_b64 exec, exec, s[0:1]
	v_cmp_gt_i32_e32 vcc, s9, v0
	s_and_saveexec_b64 s[0:1], vcc
	s_cbranch_execz .LBB150_16
.LBB150_23:
	v_add_u32_e32 v2, 0x100, v0
	v_add_u32_e32 v0, s8, v0
	v_mov_b32_e32 v1, 0
	v_lshl_add_u64 v[0:1], v[0:1], 1, s[4:5]
	global_store_short v[0:1], v6, off
	v_mov_b32_e32 v0, v2
	s_or_b64 exec, exec, s[0:1]
	v_cmp_gt_i32_e32 vcc, s9, v0
	s_and_saveexec_b64 s[0:1], vcc
	s_cbranch_execz .LBB150_17
.LBB150_24:
	v_add_u32_e32 v0, s8, v0
	v_mov_b32_e32 v1, 0
	v_lshl_add_u64 v[0:1], v[0:1], 1, s[4:5]
	global_store_short v[0:1], v8, off
	s_endpgm
	.section	.rodata,"a",@progbits
	.p2align	6, 0x0
	.amdhsa_kernel _ZN2at6native27unrolled_elementwise_kernelIZZZNS0_17expm1_kernel_cudaERNS_18TensorIteratorBaseEENKUlvE_clEvENKUlvE3_clEvEUlN3c108BFloat16EE_St5arrayIPcLm2EELi4E23TrivialOffsetCalculatorILi1EjESD_NS0_6memory15LoadWithoutCastENSE_16StoreWithoutCastEEEviT_T0_T2_T3_T4_T5_
		.amdhsa_group_segment_fixed_size 0
		.amdhsa_private_segment_fixed_size 0
		.amdhsa_kernarg_size 28
		.amdhsa_user_sgpr_count 2
		.amdhsa_user_sgpr_dispatch_ptr 0
		.amdhsa_user_sgpr_queue_ptr 0
		.amdhsa_user_sgpr_kernarg_segment_ptr 1
		.amdhsa_user_sgpr_dispatch_id 0
		.amdhsa_user_sgpr_kernarg_preload_length 0
		.amdhsa_user_sgpr_kernarg_preload_offset 0
		.amdhsa_user_sgpr_private_segment_size 0
		.amdhsa_uses_dynamic_stack 0
		.amdhsa_enable_private_segment 0
		.amdhsa_system_sgpr_workgroup_id_x 1
		.amdhsa_system_sgpr_workgroup_id_y 0
		.amdhsa_system_sgpr_workgroup_id_z 0
		.amdhsa_system_sgpr_workgroup_info 0
		.amdhsa_system_vgpr_workitem_id 0
		.amdhsa_next_free_vgpr 11
		.amdhsa_next_free_sgpr 10
		.amdhsa_accum_offset 12
		.amdhsa_reserve_vcc 1
		.amdhsa_float_round_mode_32 0
		.amdhsa_float_round_mode_16_64 0
		.amdhsa_float_denorm_mode_32 3
		.amdhsa_float_denorm_mode_16_64 3
		.amdhsa_dx10_clamp 1
		.amdhsa_ieee_mode 1
		.amdhsa_fp16_overflow 0
		.amdhsa_tg_split 0
		.amdhsa_exception_fp_ieee_invalid_op 0
		.amdhsa_exception_fp_denorm_src 0
		.amdhsa_exception_fp_ieee_div_zero 0
		.amdhsa_exception_fp_ieee_overflow 0
		.amdhsa_exception_fp_ieee_underflow 0
		.amdhsa_exception_fp_ieee_inexact 0
		.amdhsa_exception_int_div_zero 0
	.end_amdhsa_kernel
	.section	.text._ZN2at6native27unrolled_elementwise_kernelIZZZNS0_17expm1_kernel_cudaERNS_18TensorIteratorBaseEENKUlvE_clEvENKUlvE3_clEvEUlN3c108BFloat16EE_St5arrayIPcLm2EELi4E23TrivialOffsetCalculatorILi1EjESD_NS0_6memory15LoadWithoutCastENSE_16StoreWithoutCastEEEviT_T0_T2_T3_T4_T5_,"axG",@progbits,_ZN2at6native27unrolled_elementwise_kernelIZZZNS0_17expm1_kernel_cudaERNS_18TensorIteratorBaseEENKUlvE_clEvENKUlvE3_clEvEUlN3c108BFloat16EE_St5arrayIPcLm2EELi4E23TrivialOffsetCalculatorILi1EjESD_NS0_6memory15LoadWithoutCastENSE_16StoreWithoutCastEEEviT_T0_T2_T3_T4_T5_,comdat
.Lfunc_end150:
	.size	_ZN2at6native27unrolled_elementwise_kernelIZZZNS0_17expm1_kernel_cudaERNS_18TensorIteratorBaseEENKUlvE_clEvENKUlvE3_clEvEUlN3c108BFloat16EE_St5arrayIPcLm2EELi4E23TrivialOffsetCalculatorILi1EjESD_NS0_6memory15LoadWithoutCastENSE_16StoreWithoutCastEEEviT_T0_T2_T3_T4_T5_, .Lfunc_end150-_ZN2at6native27unrolled_elementwise_kernelIZZZNS0_17expm1_kernel_cudaERNS_18TensorIteratorBaseEENKUlvE_clEvENKUlvE3_clEvEUlN3c108BFloat16EE_St5arrayIPcLm2EELi4E23TrivialOffsetCalculatorILi1EjESD_NS0_6memory15LoadWithoutCastENSE_16StoreWithoutCastEEEviT_T0_T2_T3_T4_T5_
                                        ; -- End function
	.set _ZN2at6native27unrolled_elementwise_kernelIZZZNS0_17expm1_kernel_cudaERNS_18TensorIteratorBaseEENKUlvE_clEvENKUlvE3_clEvEUlN3c108BFloat16EE_St5arrayIPcLm2EELi4E23TrivialOffsetCalculatorILi1EjESD_NS0_6memory15LoadWithoutCastENSE_16StoreWithoutCastEEEviT_T0_T2_T3_T4_T5_.num_vgpr, 11
	.set _ZN2at6native27unrolled_elementwise_kernelIZZZNS0_17expm1_kernel_cudaERNS_18TensorIteratorBaseEENKUlvE_clEvENKUlvE3_clEvEUlN3c108BFloat16EE_St5arrayIPcLm2EELi4E23TrivialOffsetCalculatorILi1EjESD_NS0_6memory15LoadWithoutCastENSE_16StoreWithoutCastEEEviT_T0_T2_T3_T4_T5_.num_agpr, 0
	.set _ZN2at6native27unrolled_elementwise_kernelIZZZNS0_17expm1_kernel_cudaERNS_18TensorIteratorBaseEENKUlvE_clEvENKUlvE3_clEvEUlN3c108BFloat16EE_St5arrayIPcLm2EELi4E23TrivialOffsetCalculatorILi1EjESD_NS0_6memory15LoadWithoutCastENSE_16StoreWithoutCastEEEviT_T0_T2_T3_T4_T5_.numbered_sgpr, 10
	.set _ZN2at6native27unrolled_elementwise_kernelIZZZNS0_17expm1_kernel_cudaERNS_18TensorIteratorBaseEENKUlvE_clEvENKUlvE3_clEvEUlN3c108BFloat16EE_St5arrayIPcLm2EELi4E23TrivialOffsetCalculatorILi1EjESD_NS0_6memory15LoadWithoutCastENSE_16StoreWithoutCastEEEviT_T0_T2_T3_T4_T5_.num_named_barrier, 0
	.set _ZN2at6native27unrolled_elementwise_kernelIZZZNS0_17expm1_kernel_cudaERNS_18TensorIteratorBaseEENKUlvE_clEvENKUlvE3_clEvEUlN3c108BFloat16EE_St5arrayIPcLm2EELi4E23TrivialOffsetCalculatorILi1EjESD_NS0_6memory15LoadWithoutCastENSE_16StoreWithoutCastEEEviT_T0_T2_T3_T4_T5_.private_seg_size, 0
	.set _ZN2at6native27unrolled_elementwise_kernelIZZZNS0_17expm1_kernel_cudaERNS_18TensorIteratorBaseEENKUlvE_clEvENKUlvE3_clEvEUlN3c108BFloat16EE_St5arrayIPcLm2EELi4E23TrivialOffsetCalculatorILi1EjESD_NS0_6memory15LoadWithoutCastENSE_16StoreWithoutCastEEEviT_T0_T2_T3_T4_T5_.uses_vcc, 1
	.set _ZN2at6native27unrolled_elementwise_kernelIZZZNS0_17expm1_kernel_cudaERNS_18TensorIteratorBaseEENKUlvE_clEvENKUlvE3_clEvEUlN3c108BFloat16EE_St5arrayIPcLm2EELi4E23TrivialOffsetCalculatorILi1EjESD_NS0_6memory15LoadWithoutCastENSE_16StoreWithoutCastEEEviT_T0_T2_T3_T4_T5_.uses_flat_scratch, 0
	.set _ZN2at6native27unrolled_elementwise_kernelIZZZNS0_17expm1_kernel_cudaERNS_18TensorIteratorBaseEENKUlvE_clEvENKUlvE3_clEvEUlN3c108BFloat16EE_St5arrayIPcLm2EELi4E23TrivialOffsetCalculatorILi1EjESD_NS0_6memory15LoadWithoutCastENSE_16StoreWithoutCastEEEviT_T0_T2_T3_T4_T5_.has_dyn_sized_stack, 0
	.set _ZN2at6native27unrolled_elementwise_kernelIZZZNS0_17expm1_kernel_cudaERNS_18TensorIteratorBaseEENKUlvE_clEvENKUlvE3_clEvEUlN3c108BFloat16EE_St5arrayIPcLm2EELi4E23TrivialOffsetCalculatorILi1EjESD_NS0_6memory15LoadWithoutCastENSE_16StoreWithoutCastEEEviT_T0_T2_T3_T4_T5_.has_recursion, 0
	.set _ZN2at6native27unrolled_elementwise_kernelIZZZNS0_17expm1_kernel_cudaERNS_18TensorIteratorBaseEENKUlvE_clEvENKUlvE3_clEvEUlN3c108BFloat16EE_St5arrayIPcLm2EELi4E23TrivialOffsetCalculatorILi1EjESD_NS0_6memory15LoadWithoutCastENSE_16StoreWithoutCastEEEviT_T0_T2_T3_T4_T5_.has_indirect_call, 0
	.section	.AMDGPU.csdata,"",@progbits
; Kernel info:
; codeLenInByte = 1564
; TotalNumSgprs: 16
; NumVgprs: 11
; NumAgprs: 0
; TotalNumVgprs: 11
; ScratchSize: 0
; MemoryBound: 0
; FloatMode: 240
; IeeeMode: 1
; LDSByteSize: 0 bytes/workgroup (compile time only)
; SGPRBlocks: 1
; VGPRBlocks: 1
; NumSGPRsForWavesPerEU: 16
; NumVGPRsForWavesPerEU: 11
; AccumOffset: 12
; Occupancy: 8
; WaveLimiterHint : 0
; COMPUTE_PGM_RSRC2:SCRATCH_EN: 0
; COMPUTE_PGM_RSRC2:USER_SGPR: 2
; COMPUTE_PGM_RSRC2:TRAP_HANDLER: 0
; COMPUTE_PGM_RSRC2:TGID_X_EN: 1
; COMPUTE_PGM_RSRC2:TGID_Y_EN: 0
; COMPUTE_PGM_RSRC2:TGID_Z_EN: 0
; COMPUTE_PGM_RSRC2:TIDIG_COMP_CNT: 0
; COMPUTE_PGM_RSRC3_GFX90A:ACCUM_OFFSET: 2
; COMPUTE_PGM_RSRC3_GFX90A:TG_SPLIT: 0
	.section	.text._ZN2at6native32elementwise_kernel_manual_unrollILi128ELi8EZNS0_22gpu_kernel_impl_nocastIZZZNS0_17expm1_kernel_cudaERNS_18TensorIteratorBaseEENKUlvE_clEvENKUlvE3_clEvEUlN3c108BFloat16EE_EEvS4_RKT_EUlibE_EEviT1_,"axG",@progbits,_ZN2at6native32elementwise_kernel_manual_unrollILi128ELi8EZNS0_22gpu_kernel_impl_nocastIZZZNS0_17expm1_kernel_cudaERNS_18TensorIteratorBaseEENKUlvE_clEvENKUlvE3_clEvEUlN3c108BFloat16EE_EEvS4_RKT_EUlibE_EEviT1_,comdat
	.globl	_ZN2at6native32elementwise_kernel_manual_unrollILi128ELi8EZNS0_22gpu_kernel_impl_nocastIZZZNS0_17expm1_kernel_cudaERNS_18TensorIteratorBaseEENKUlvE_clEvENKUlvE3_clEvEUlN3c108BFloat16EE_EEvS4_RKT_EUlibE_EEviT1_ ; -- Begin function _ZN2at6native32elementwise_kernel_manual_unrollILi128ELi8EZNS0_22gpu_kernel_impl_nocastIZZZNS0_17expm1_kernel_cudaERNS_18TensorIteratorBaseEENKUlvE_clEvENKUlvE3_clEvEUlN3c108BFloat16EE_EEvS4_RKT_EUlibE_EEviT1_
	.p2align	8
	.type	_ZN2at6native32elementwise_kernel_manual_unrollILi128ELi8EZNS0_22gpu_kernel_impl_nocastIZZZNS0_17expm1_kernel_cudaERNS_18TensorIteratorBaseEENKUlvE_clEvENKUlvE3_clEvEUlN3c108BFloat16EE_EEvS4_RKT_EUlibE_EEviT1_,@function
_ZN2at6native32elementwise_kernel_manual_unrollILi128ELi8EZNS0_22gpu_kernel_impl_nocastIZZZNS0_17expm1_kernel_cudaERNS_18TensorIteratorBaseEENKUlvE_clEvENKUlvE3_clEvEUlN3c108BFloat16EE_EEvS4_RKT_EUlibE_EEviT1_: ; @_ZN2at6native32elementwise_kernel_manual_unrollILi128ELi8EZNS0_22gpu_kernel_impl_nocastIZZZNS0_17expm1_kernel_cudaERNS_18TensorIteratorBaseEENKUlvE_clEvENKUlvE3_clEvEUlN3c108BFloat16EE_EEvS4_RKT_EUlibE_EEviT1_
; %bb.0:
	s_load_dword s55, s[0:1], 0x0
	s_load_dword s33, s[0:1], 0x8
	s_add_u32 s34, s0, 8
	s_addc_u32 s35, s1, 0
	v_lshl_or_b32 v24, s2, 10, v0
	v_or_b32_e32 v32, 0x380, v24
	s_waitcnt lgkmcnt(0)
	s_add_i32 s54, s33, -1
	s_cmp_gt_u32 s54, 1
	v_cmp_le_i32_e32 vcc, s55, v32
	s_cselect_b64 s[36:37], -1, 0
	s_and_saveexec_b64 s[0:1], vcc
	s_xor_b64 s[38:39], exec, s[0:1]
	s_cbranch_execz .LBB151_8
; %bb.1:
	s_load_dwordx4 s[24:27], s[34:35], 0x4
	s_load_dwordx2 s[40:41], s[34:35], 0x14
	s_load_dwordx4 s[20:23], s[34:35], 0xc4
	s_load_dwordx4 s[16:19], s[34:35], 0x148
	s_cmp_lg_u32 s33, 0
	s_cselect_b64 s[46:47], -1, 0
	s_add_u32 s44, s34, 0xc4
	s_addc_u32 s45, s35, 0
	s_min_u32 s56, s54, 15
	s_cmp_gt_u32 s33, 1
	s_cselect_b64 s[42:43], -1, 0
	v_cmp_gt_i32_e32 vcc, s55, v24
	s_and_saveexec_b64 s[48:49], vcc
	s_cbranch_execz .LBB151_15
; %bb.2:
	s_andn2_b64 vcc, exec, s[36:37]
	s_cbranch_vccnz .LBB151_23
; %bb.3:
	s_andn2_b64 vcc, exec, s[46:47]
	s_cbranch_vccnz .LBB151_131
; %bb.4:
	s_add_i32 s58, s56, 1
	s_cmp_eq_u32 s54, 2
	s_cbranch_scc1 .LBB151_133
; %bb.5:
	s_and_b32 s57, s58, 28
	s_mov_b32 s59, 0
	v_mov_b32_e32 v0, 0
	v_mov_b32_e32 v2, 0
	s_mov_b64 s[50:51], s[34:35]
	s_mov_b64 s[52:53], s[44:45]
	v_mov_b32_e32 v4, v24
.LBB151_6:                              ; =>This Inner Loop Header: Depth=1
	s_load_dwordx8 s[8:15], s[50:51], 0x4
	s_load_dwordx4 s[28:31], s[50:51], 0x24
	s_load_dwordx8 s[0:7], s[52:53], 0x0
	s_add_u32 s50, s50, 48
	s_addc_u32 s51, s51, 0
	s_waitcnt lgkmcnt(0)
	v_mul_hi_u32 v1, s9, v4
	v_add_u32_e32 v1, v4, v1
	v_lshrrev_b32_e32 v1, s10, v1
	v_mul_lo_u32 v3, v1, s8
	v_mul_hi_u32 v5, s12, v1
	v_sub_u32_e32 v3, v4, v3
	v_add_u32_e32 v4, v1, v5
	v_lshrrev_b32_e32 v4, s13, v4
	v_mul_lo_u32 v6, v4, s11
	v_mul_hi_u32 v7, s15, v4
	v_sub_u32_e32 v1, v1, v6
	v_add_u32_e32 v6, v4, v7
	v_mul_lo_u32 v5, v3, s1
	v_mul_lo_u32 v3, v3, s0
	;; [unrolled: 1-line block ×4, first 2 shown]
	v_lshrrev_b32_e32 v6, s28, v6
	v_add3_u32 v0, v3, v0, v1
	v_mul_hi_u32 v3, s30, v6
	v_add3_u32 v1, v5, v2, v7
	v_mul_lo_u32 v2, v6, s14
	v_add_u32_e32 v3, v6, v3
	v_sub_u32_e32 v2, v4, v2
	v_lshrrev_b32_e32 v4, s31, v3
	s_add_i32 s59, s59, 4
	v_mul_lo_u32 v3, v4, s29
	s_add_u32 s52, s52, 32
	v_sub_u32_e32 v3, v6, v3
	s_addc_u32 s53, s53, 0
	v_mul_lo_u32 v5, v2, s4
	v_mul_lo_u32 v2, v2, s5
	;; [unrolled: 1-line block ×4, first 2 shown]
	s_cmp_lg_u32 s57, s59
	v_add3_u32 v2, v2, v1, v3
	v_add3_u32 v0, v5, v0, v6
	s_cbranch_scc1 .LBB151_6
; %bb.7:
	v_mov_b32_e32 v1, v2
	s_branch .LBB151_134
.LBB151_8:
	s_andn2_saveexec_b64 s[0:1], s[38:39]
	s_cbranch_execz .LBB151_228
.LBB151_9:
	v_cndmask_b32_e64 v0, 0, 1, s[36:37]
	v_cmp_ne_u32_e64 s[0:1], 1, v0
	s_andn2_b64 vcc, exec, s[36:37]
	s_cbranch_vccnz .LBB151_22
; %bb.10:
	s_cmp_lg_u32 s33, 0
	s_waitcnt lgkmcnt(0)
	s_mov_b32 s26, 0
	s_cbranch_scc0 .LBB151_25
; %bb.11:
	s_min_u32 s27, s54, 15
	s_add_i32 s27, s27, 1
	s_cmp_eq_u32 s54, 2
	s_cbranch_scc1 .LBB151_26
; %bb.12:
	s_and_b32 s26, s27, 28
	s_add_u32 s2, s34, 0xc4
	s_addc_u32 s3, s35, 0
	s_mov_b32 s28, 0
	v_mov_b32_e32 v0, 0
	v_mov_b32_e32 v4, 0
	s_mov_b64 s[24:25], s[34:35]
	v_mov_b32_e32 v2, v24
.LBB151_13:                             ; =>This Inner Loop Header: Depth=1
	s_load_dwordx8 s[12:19], s[24:25], 0x4
	s_load_dwordx4 s[20:23], s[24:25], 0x24
	s_load_dwordx8 s[4:11], s[2:3], 0x0
	s_add_u32 s24, s24, 48
	s_addc_u32 s25, s25, 0
	s_waitcnt lgkmcnt(0)
	v_mul_hi_u32 v1, s13, v2
	v_add_u32_e32 v1, v2, v1
	v_lshrrev_b32_e32 v1, s14, v1
	v_mul_lo_u32 v3, v1, s12
	v_mul_hi_u32 v5, s16, v1
	v_sub_u32_e32 v2, v2, v3
	v_add_u32_e32 v3, v1, v5
	v_lshrrev_b32_e32 v3, s17, v3
	v_mul_lo_u32 v6, v3, s15
	v_mul_hi_u32 v7, s19, v3
	v_sub_u32_e32 v1, v1, v6
	v_add_u32_e32 v6, v3, v7
	v_mul_lo_u32 v5, v2, s5
	v_mul_lo_u32 v2, v2, s4
	v_mul_lo_u32 v7, v1, s7
	v_mul_lo_u32 v1, v1, s6
	v_lshrrev_b32_e32 v6, s20, v6
	v_add3_u32 v0, v2, v0, v1
	v_add3_u32 v1, v5, v4, v7
	v_mul_lo_u32 v2, v6, s18
	v_mul_hi_u32 v4, s22, v6
	v_sub_u32_e32 v2, v3, v2
	v_add_u32_e32 v3, v6, v4
	v_mul_lo_u32 v5, v2, s8
	v_mul_lo_u32 v4, v2, s9
	v_lshrrev_b32_e32 v2, s23, v3
	s_add_i32 s28, s28, 4
	v_mul_lo_u32 v3, v2, s21
	s_add_u32 s2, s2, 32
	v_sub_u32_e32 v3, v6, v3
	s_addc_u32 s3, s3, 0
	v_mul_lo_u32 v6, v3, s10
	v_mul_lo_u32 v3, v3, s11
	s_cmp_lg_u32 s26, s28
	v_add3_u32 v4, v4, v1, v3
	v_add3_u32 v0, v5, v0, v6
	s_cbranch_scc1 .LBB151_13
; %bb.14:
	v_mov_b32_e32 v1, v4
	s_and_b32 s6, s27, 3
	s_cmp_eq_u32 s6, 0
	s_cbranch_scc0 .LBB151_27
	s_branch .LBB151_29
.LBB151_15:
	s_or_b64 exec, exec, s[48:49]
	v_cmp_gt_i32_e32 vcc, s55, v24
	s_and_saveexec_b64 s[48:49], vcc
	s_cbranch_execz .LBB151_141
.LBB151_16:
	s_andn2_b64 vcc, exec, s[36:37]
	s_cbranch_vccnz .LBB151_24
; %bb.17:
	s_andn2_b64 vcc, exec, s[46:47]
	s_cbranch_vccnz .LBB151_132
; %bb.18:
	s_add_i32 s58, s56, 1
	s_cmp_eq_u32 s54, 2
	s_cbranch_scc1 .LBB151_150
; %bb.19:
	s_and_b32 s57, s58, 28
	s_mov_b32 s59, 0
	v_mov_b32_e32 v0, 0
	v_mov_b32_e32 v2, 0
	s_mov_b64 s[50:51], s[34:35]
	s_mov_b64 s[52:53], s[44:45]
	v_mov_b32_e32 v4, v24
.LBB151_20:                             ; =>This Inner Loop Header: Depth=1
	s_load_dwordx8 s[8:15], s[50:51], 0x4
	s_load_dwordx4 s[28:31], s[50:51], 0x24
	s_load_dwordx8 s[0:7], s[52:53], 0x0
	s_add_u32 s50, s50, 48
	s_addc_u32 s51, s51, 0
	s_waitcnt lgkmcnt(0)
	v_mul_hi_u32 v1, s9, v4
	v_add_u32_e32 v1, v4, v1
	v_lshrrev_b32_e32 v1, s10, v1
	v_mul_lo_u32 v3, v1, s8
	v_mul_hi_u32 v5, s12, v1
	v_sub_u32_e32 v3, v4, v3
	v_add_u32_e32 v4, v1, v5
	v_lshrrev_b32_e32 v4, s13, v4
	v_mul_lo_u32 v6, v4, s11
	v_mul_hi_u32 v7, s15, v4
	v_sub_u32_e32 v1, v1, v6
	v_add_u32_e32 v6, v4, v7
	v_mul_lo_u32 v5, v3, s1
	v_mul_lo_u32 v3, v3, s0
	;; [unrolled: 1-line block ×4, first 2 shown]
	v_lshrrev_b32_e32 v6, s28, v6
	v_add3_u32 v0, v3, v0, v1
	v_mul_hi_u32 v3, s30, v6
	v_add3_u32 v1, v5, v2, v7
	v_mul_lo_u32 v2, v6, s14
	v_add_u32_e32 v3, v6, v3
	v_sub_u32_e32 v2, v4, v2
	v_lshrrev_b32_e32 v4, s31, v3
	s_add_i32 s59, s59, 4
	v_mul_lo_u32 v3, v4, s29
	s_add_u32 s52, s52, 32
	v_sub_u32_e32 v3, v6, v3
	s_addc_u32 s53, s53, 0
	v_mul_lo_u32 v5, v2, s4
	v_mul_lo_u32 v2, v2, s5
	;; [unrolled: 1-line block ×4, first 2 shown]
	s_cmp_eq_u32 s57, s59
	v_add3_u32 v2, v2, v1, v3
	v_add3_u32 v0, v5, v0, v6
	s_cbranch_scc0 .LBB151_20
; %bb.21:
	v_mov_b32_e32 v1, v2
	s_branch .LBB151_151
.LBB151_22:
                                        ; implicit-def: $vgpr4
                                        ; implicit-def: $vgpr0
	s_branch .LBB151_30
.LBB151_23:
                                        ; implicit-def: $vgpr2
                                        ; implicit-def: $vgpr0
	s_branch .LBB151_138
.LBB151_24:
                                        ; implicit-def: $vgpr2
                                        ; implicit-def: $vgpr0
	s_branch .LBB151_155
.LBB151_25:
	v_mov_b32_e32 v4, 0
	v_mov_b32_e32 v0, 0
	s_branch .LBB151_29
.LBB151_26:
	v_mov_b32_e32 v0, 0
                                        ; implicit-def: $vgpr4
	v_mov_b32_e32 v1, v0
	v_mov_b32_e32 v2, v24
	s_and_b32 s6, s27, 3
	s_cmp_eq_u32 s6, 0
	s_cbranch_scc1 .LBB151_29
.LBB151_27:
	s_lshl_b32 s2, s26, 3
	s_add_u32 s2, s34, s2
	s_addc_u32 s3, s35, 0
	s_add_u32 s2, s2, 0xc4
	s_addc_u32 s3, s3, 0
	s_mul_i32 s4, s26, 12
	s_add_u32 s4, s34, s4
	s_addc_u32 s5, s35, 0
.LBB151_28:                             ; =>This Inner Loop Header: Depth=1
	s_load_dwordx2 s[8:9], s[4:5], 0x4
	s_load_dword s7, s[4:5], 0xc
	s_load_dwordx2 s[10:11], s[2:3], 0x0
	v_mov_b32_e32 v4, v1
	s_add_u32 s4, s4, 12
	s_waitcnt lgkmcnt(0)
	v_mul_hi_u32 v1, s9, v2
	v_add_u32_e32 v1, v2, v1
	v_lshrrev_b32_e32 v1, s7, v1
	s_addc_u32 s5, s5, 0
	v_mul_lo_u32 v3, v1, s8
	s_add_u32 s2, s2, 8
	v_sub_u32_e32 v3, v2, v3
	s_addc_u32 s3, s3, 0
	s_add_i32 s6, s6, -1
	v_mov_b32_e32 v2, v1
	v_mad_u64_u32 v[4:5], s[8:9], v3, s11, v[4:5]
	v_mad_u64_u32 v[0:1], s[8:9], v3, s10, v[0:1]
	s_cmp_lg_u32 s6, 0
	v_mov_b32_e32 v1, v4
	s_cbranch_scc1 .LBB151_28
.LBB151_29:
	s_cbranch_execnz .LBB151_32
.LBB151_30:
	s_load_dwordx4 s[4:7], s[34:35], 0x4
	s_load_dwordx2 s[2:3], s[34:35], 0xc4
	s_cmp_lt_u32 s33, 2
	s_waitcnt lgkmcnt(0)
	v_mul_hi_u32 v0, s5, v24
	v_add_u32_e32 v0, v24, v0
	v_lshrrev_b32_e32 v1, s6, v0
	v_mul_lo_u32 v0, v1, s4
	v_sub_u32_e32 v0, v24, v0
	v_mul_lo_u32 v4, v0, s3
	v_mul_lo_u32 v0, v0, s2
	s_cbranch_scc1 .LBB151_32
; %bb.31:
	s_load_dwordx4 s[4:7], s[34:35], 0x10
	s_load_dwordx2 s[2:3], s[34:35], 0xcc
	s_waitcnt lgkmcnt(0)
	v_mul_hi_u32 v2, s5, v1
	v_add_u32_e32 v2, v1, v2
	v_lshrrev_b32_e32 v2, s6, v2
	v_mul_lo_u32 v2, v2, s4
	v_sub_u32_e32 v2, v1, v2
	v_mad_u64_u32 v[0:1], s[4:5], v2, s2, v[0:1]
	v_mad_u64_u32 v[4:5], s[2:3], v2, s3, v[4:5]
.LBB151_32:
	s_and_b64 vcc, exec, s[0:1]
	v_add_u32_e32 v5, 0x80, v24
	s_cbranch_vccnz .LBB151_38
; %bb.33:
	s_cmp_lg_u32 s33, 0
	s_waitcnt lgkmcnt(0)
	s_mov_b32 s26, 0
	s_cbranch_scc0 .LBB151_39
; %bb.34:
	s_min_u32 s27, s54, 15
	s_add_i32 s27, s27, 1
	s_cmp_eq_u32 s54, 2
	s_cbranch_scc1 .LBB151_40
; %bb.35:
	s_and_b32 s26, s27, 28
	s_add_u32 s2, s34, 0xc4
	s_addc_u32 s3, s35, 0
	s_mov_b32 s28, 0
	v_mov_b32_e32 v2, 0
	v_mov_b32_e32 v8, 0
	s_mov_b64 s[24:25], s[34:35]
	v_mov_b32_e32 v6, v5
.LBB151_36:                             ; =>This Inner Loop Header: Depth=1
	s_load_dwordx8 s[12:19], s[24:25], 0x4
	s_load_dwordx4 s[20:23], s[24:25], 0x24
	s_load_dwordx8 s[4:11], s[2:3], 0x0
	s_add_u32 s24, s24, 48
	s_addc_u32 s25, s25, 0
	s_waitcnt lgkmcnt(0)
	v_mul_hi_u32 v1, s13, v6
	v_add_u32_e32 v1, v6, v1
	v_lshrrev_b32_e32 v1, s14, v1
	v_mul_lo_u32 v3, v1, s12
	v_mul_hi_u32 v7, s16, v1
	v_sub_u32_e32 v3, v6, v3
	v_add_u32_e32 v6, v1, v7
	v_lshrrev_b32_e32 v6, s17, v6
	v_mul_lo_u32 v9, v6, s15
	v_mul_hi_u32 v10, s19, v6
	v_sub_u32_e32 v1, v1, v9
	v_add_u32_e32 v9, v6, v10
	v_mul_lo_u32 v7, v3, s5
	v_mul_lo_u32 v3, v3, s4
	;; [unrolled: 1-line block ×4, first 2 shown]
	v_lshrrev_b32_e32 v9, s20, v9
	v_add3_u32 v1, v3, v2, v1
	v_add3_u32 v2, v7, v8, v10
	v_mul_lo_u32 v3, v9, s18
	v_mul_hi_u32 v7, s22, v9
	v_sub_u32_e32 v3, v6, v3
	v_add_u32_e32 v6, v9, v7
	v_lshrrev_b32_e32 v6, s23, v6
	s_add_i32 s28, s28, 4
	v_mul_lo_u32 v8, v6, s21
	s_add_u32 s2, s2, 32
	v_sub_u32_e32 v8, v9, v8
	s_addc_u32 s3, s3, 0
	v_mul_lo_u32 v7, v3, s8
	v_mul_lo_u32 v3, v3, s9
	;; [unrolled: 1-line block ×4, first 2 shown]
	s_cmp_lg_u32 s26, s28
	v_add3_u32 v8, v3, v2, v8
	v_add3_u32 v2, v7, v1, v9
	s_cbranch_scc1 .LBB151_36
; %bb.37:
	v_mov_b32_e32 v1, v8
	s_and_b32 s6, s27, 3
	s_cmp_eq_u32 s6, 0
	s_cbranch_scc0 .LBB151_41
	s_branch .LBB151_43
.LBB151_38:
                                        ; implicit-def: $vgpr8
                                        ; implicit-def: $vgpr2
	s_branch .LBB151_44
.LBB151_39:
	v_mov_b32_e32 v8, 0
	v_mov_b32_e32 v2, 0
	s_branch .LBB151_43
.LBB151_40:
	v_mov_b32_e32 v2, 0
                                        ; implicit-def: $vgpr8
	v_mov_b32_e32 v1, v2
	v_mov_b32_e32 v6, v5
	s_and_b32 s6, s27, 3
	s_cmp_eq_u32 s6, 0
	s_cbranch_scc1 .LBB151_43
.LBB151_41:
	s_lshl_b32 s2, s26, 3
	s_add_u32 s2, s34, s2
	s_addc_u32 s3, s35, 0
	s_add_u32 s2, s2, 0xc4
	s_addc_u32 s3, s3, 0
	s_mul_i32 s4, s26, 12
	s_add_u32 s4, s34, s4
	s_addc_u32 s5, s35, 0
.LBB151_42:                             ; =>This Inner Loop Header: Depth=1
	s_load_dwordx2 s[8:9], s[4:5], 0x4
	s_load_dword s7, s[4:5], 0xc
	s_load_dwordx2 s[10:11], s[2:3], 0x0
	v_mov_b32_e32 v8, v1
	s_add_u32 s4, s4, 12
	s_waitcnt lgkmcnt(0)
	v_mul_hi_u32 v1, s9, v6
	v_add_u32_e32 v1, v6, v1
	v_lshrrev_b32_e32 v1, s7, v1
	s_addc_u32 s5, s5, 0
	v_mul_lo_u32 v3, v1, s8
	s_add_u32 s2, s2, 8
	v_sub_u32_e32 v3, v6, v3
	s_addc_u32 s3, s3, 0
	s_add_i32 s6, s6, -1
	v_mad_u64_u32 v[8:9], s[8:9], v3, s11, v[8:9]
	s_cmp_lg_u32 s6, 0
	v_mov_b32_e32 v6, v1
	v_mad_u64_u32 v[2:3], s[8:9], v3, s10, v[2:3]
	v_mov_b32_e32 v1, v8
	s_cbranch_scc1 .LBB151_42
.LBB151_43:
	s_cbranch_execnz .LBB151_46
.LBB151_44:
	s_load_dwordx4 s[4:7], s[34:35], 0x4
	s_load_dwordx2 s[2:3], s[34:35], 0xc4
	s_cmp_lt_u32 s33, 2
	s_waitcnt lgkmcnt(0)
	v_mul_hi_u32 v1, s5, v5
	v_add_u32_e32 v1, v5, v1
	v_lshrrev_b32_e32 v1, s6, v1
	v_mul_lo_u32 v2, v1, s4
	v_sub_u32_e32 v2, v5, v2
	v_mul_lo_u32 v8, v2, s3
	v_mul_lo_u32 v2, v2, s2
	s_cbranch_scc1 .LBB151_46
; %bb.45:
	s_load_dwordx4 s[4:7], s[34:35], 0x10
	s_load_dwordx2 s[2:3], s[34:35], 0xcc
	s_waitcnt lgkmcnt(0)
	v_mul_hi_u32 v3, s5, v1
	v_add_u32_e32 v3, v1, v3
	v_lshrrev_b32_e32 v3, s6, v3
	v_mul_lo_u32 v3, v3, s4
	v_sub_u32_e32 v1, v1, v3
	v_mad_u64_u32 v[2:3], s[4:5], v1, s2, v[2:3]
	v_mad_u64_u32 v[8:9], s[2:3], v1, s3, v[8:9]
.LBB151_46:
	s_and_b64 vcc, exec, s[0:1]
	v_add_u32_e32 v3, 0x100, v24
	s_cbranch_vccnz .LBB151_52
; %bb.47:
	s_cmp_lg_u32 s33, 0
	s_waitcnt lgkmcnt(0)
	s_mov_b32 s26, 0
	s_cbranch_scc0 .LBB151_53
; %bb.48:
	s_min_u32 s27, s54, 15
	s_add_i32 s27, s27, 1
	s_cmp_eq_u32 s54, 2
	s_cbranch_scc1 .LBB151_54
; %bb.49:
	s_and_b32 s26, s27, 28
	s_add_u32 s2, s34, 0xc4
	s_addc_u32 s3, s35, 0
	s_mov_b32 s28, 0
	v_mov_b32_e32 v6, 0
	v_mov_b32_e32 v12, 0
	s_mov_b64 s[24:25], s[34:35]
	v_mov_b32_e32 v5, v3
.LBB151_50:                             ; =>This Inner Loop Header: Depth=1
	s_load_dwordx8 s[12:19], s[24:25], 0x4
	s_load_dwordx4 s[20:23], s[24:25], 0x24
	s_load_dwordx8 s[4:11], s[2:3], 0x0
	s_add_u32 s24, s24, 48
	s_addc_u32 s25, s25, 0
	s_waitcnt lgkmcnt(0)
	v_mul_hi_u32 v1, s13, v5
	v_add_u32_e32 v1, v5, v1
	v_lshrrev_b32_e32 v1, s14, v1
	v_mul_lo_u32 v7, v1, s12
	v_mul_hi_u32 v9, s16, v1
	v_sub_u32_e32 v5, v5, v7
	v_add_u32_e32 v7, v1, v9
	v_lshrrev_b32_e32 v7, s17, v7
	v_mul_lo_u32 v10, v7, s15
	v_mul_hi_u32 v11, s19, v7
	v_sub_u32_e32 v1, v1, v10
	v_add_u32_e32 v10, v7, v11
	v_mul_lo_u32 v9, v5, s5
	v_mul_lo_u32 v5, v5, s4
	;; [unrolled: 1-line block ×4, first 2 shown]
	v_lshrrev_b32_e32 v10, s20, v10
	v_add3_u32 v1, v5, v6, v1
	v_add3_u32 v6, v9, v12, v11
	v_mul_lo_u32 v5, v10, s18
	v_mul_hi_u32 v9, s22, v10
	v_sub_u32_e32 v5, v7, v5
	v_add_u32_e32 v7, v10, v9
	v_mul_lo_u32 v9, v5, s8
	v_mul_lo_u32 v11, v5, s9
	v_lshrrev_b32_e32 v5, s23, v7
	s_add_i32 s28, s28, 4
	v_mul_lo_u32 v7, v5, s21
	s_add_u32 s2, s2, 32
	v_sub_u32_e32 v7, v10, v7
	s_addc_u32 s3, s3, 0
	v_mul_lo_u32 v10, v7, s10
	v_mul_lo_u32 v7, v7, s11
	s_cmp_lg_u32 s26, s28
	v_add3_u32 v12, v11, v6, v7
	v_add3_u32 v6, v9, v1, v10
	s_cbranch_scc1 .LBB151_50
; %bb.51:
	v_mov_b32_e32 v1, v12
	s_and_b32 s6, s27, 3
	s_cmp_eq_u32 s6, 0
	s_cbranch_scc0 .LBB151_55
	s_branch .LBB151_57
.LBB151_52:
                                        ; implicit-def: $vgpr12
                                        ; implicit-def: $vgpr6
	s_branch .LBB151_58
.LBB151_53:
	v_mov_b32_e32 v12, 0
	v_mov_b32_e32 v6, 0
	s_branch .LBB151_57
.LBB151_54:
	v_mov_b32_e32 v6, 0
                                        ; implicit-def: $vgpr12
	v_mov_b32_e32 v1, v6
	v_mov_b32_e32 v5, v3
	s_and_b32 s6, s27, 3
	s_cmp_eq_u32 s6, 0
	s_cbranch_scc1 .LBB151_57
.LBB151_55:
	s_lshl_b32 s2, s26, 3
	s_add_u32 s2, s34, s2
	s_addc_u32 s3, s35, 0
	s_add_u32 s2, s2, 0xc4
	s_addc_u32 s3, s3, 0
	s_mul_i32 s4, s26, 12
	s_add_u32 s4, s34, s4
	s_addc_u32 s5, s35, 0
.LBB151_56:                             ; =>This Inner Loop Header: Depth=1
	s_load_dwordx2 s[8:9], s[4:5], 0x4
	s_load_dword s7, s[4:5], 0xc
	s_load_dwordx2 s[10:11], s[2:3], 0x0
	v_mov_b32_e32 v10, v1
	s_add_u32 s4, s4, 12
	s_waitcnt lgkmcnt(0)
	v_mul_hi_u32 v1, s9, v5
	v_add_u32_e32 v1, v5, v1
	v_lshrrev_b32_e32 v1, s7, v1
	s_addc_u32 s5, s5, 0
	v_mul_lo_u32 v7, v1, s8
	s_add_u32 s2, s2, 8
	v_sub_u32_e32 v7, v5, v7
	s_addc_u32 s3, s3, 0
	s_add_i32 s6, s6, -1
	v_mad_u64_u32 v[12:13], s[8:9], v7, s11, v[10:11]
	s_cmp_lg_u32 s6, 0
	v_mov_b32_e32 v5, v1
	v_mad_u64_u32 v[6:7], s[8:9], v7, s10, v[6:7]
	v_mov_b32_e32 v1, v12
	s_cbranch_scc1 .LBB151_56
.LBB151_57:
	s_cbranch_execnz .LBB151_60
.LBB151_58:
	s_load_dwordx4 s[4:7], s[34:35], 0x4
	s_load_dwordx2 s[2:3], s[34:35], 0xc4
	s_cmp_lt_u32 s33, 2
	s_waitcnt lgkmcnt(0)
	v_mul_hi_u32 v1, s5, v3
	v_add_u32_e32 v1, v3, v1
	v_lshrrev_b32_e32 v1, s6, v1
	v_mul_lo_u32 v5, v1, s4
	v_sub_u32_e32 v3, v3, v5
	v_mul_lo_u32 v12, v3, s3
	v_mul_lo_u32 v6, v3, s2
	s_cbranch_scc1 .LBB151_60
; %bb.59:
	s_load_dwordx4 s[4:7], s[34:35], 0x10
	s_load_dwordx2 s[2:3], s[34:35], 0xcc
	s_waitcnt lgkmcnt(0)
	v_mul_hi_u32 v3, s5, v1
	v_add_u32_e32 v3, v1, v3
	v_lshrrev_b32_e32 v3, s6, v3
	v_mul_lo_u32 v3, v3, s4
	v_sub_u32_e32 v1, v1, v3
	v_mad_u64_u32 v[6:7], s[4:5], v1, s2, v[6:7]
	v_mad_u64_u32 v[12:13], s[2:3], v1, s3, v[12:13]
.LBB151_60:
	s_and_b64 vcc, exec, s[0:1]
	v_add_u32_e32 v3, 0x180, v24
	s_cbranch_vccnz .LBB151_66
; %bb.61:
	s_cmp_lg_u32 s33, 0
	s_waitcnt lgkmcnt(0)
	s_mov_b32 s26, 0
	s_cbranch_scc0 .LBB151_67
; %bb.62:
	s_min_u32 s27, s54, 15
	s_add_i32 s27, s27, 1
	s_cmp_eq_u32 s54, 2
	s_cbranch_scc1 .LBB151_68
; %bb.63:
	s_and_b32 s26, s27, 28
	s_add_u32 s2, s34, 0xc4
	s_addc_u32 s3, s35, 0
	s_mov_b32 s28, 0
	v_mov_b32_e32 v10, 0
	v_mov_b32_e32 v16, 0
	s_mov_b64 s[24:25], s[34:35]
	v_mov_b32_e32 v5, v3
.LBB151_64:                             ; =>This Inner Loop Header: Depth=1
	s_load_dwordx8 s[12:19], s[24:25], 0x4
	s_load_dwordx4 s[20:23], s[24:25], 0x24
	s_load_dwordx8 s[4:11], s[2:3], 0x0
	s_add_u32 s24, s24, 48
	s_addc_u32 s25, s25, 0
	s_waitcnt lgkmcnt(0)
	v_mul_hi_u32 v1, s13, v5
	v_add_u32_e32 v1, v5, v1
	v_lshrrev_b32_e32 v1, s14, v1
	v_mul_lo_u32 v7, v1, s12
	v_mul_hi_u32 v9, s16, v1
	v_sub_u32_e32 v5, v5, v7
	v_add_u32_e32 v7, v1, v9
	v_lshrrev_b32_e32 v7, s17, v7
	v_mul_lo_u32 v11, v7, s15
	v_mul_hi_u32 v13, s19, v7
	v_sub_u32_e32 v1, v1, v11
	v_add_u32_e32 v11, v7, v13
	v_mul_lo_u32 v9, v5, s5
	v_mul_lo_u32 v5, v5, s4
	;; [unrolled: 1-line block ×4, first 2 shown]
	v_lshrrev_b32_e32 v11, s20, v11
	v_add3_u32 v1, v5, v10, v1
	v_mul_lo_u32 v5, v11, s18
	v_mul_hi_u32 v10, s22, v11
	v_sub_u32_e32 v5, v7, v5
	v_add_u32_e32 v7, v11, v10
	v_add3_u32 v9, v9, v16, v13
	v_mul_lo_u32 v10, v5, s8
	v_mul_lo_u32 v13, v5, s9
	v_lshrrev_b32_e32 v5, s23, v7
	s_add_i32 s28, s28, 4
	v_mul_lo_u32 v7, v5, s21
	s_add_u32 s2, s2, 32
	v_sub_u32_e32 v7, v11, v7
	s_addc_u32 s3, s3, 0
	v_mul_lo_u32 v11, v7, s10
	v_mul_lo_u32 v7, v7, s11
	s_cmp_lg_u32 s26, s28
	v_add3_u32 v16, v13, v9, v7
	v_add3_u32 v10, v10, v1, v11
	s_cbranch_scc1 .LBB151_64
; %bb.65:
	v_mov_b32_e32 v1, v16
	s_and_b32 s6, s27, 3
	s_cmp_eq_u32 s6, 0
	s_cbranch_scc0 .LBB151_69
	s_branch .LBB151_71
.LBB151_66:
                                        ; implicit-def: $vgpr16
                                        ; implicit-def: $vgpr10
	s_branch .LBB151_72
.LBB151_67:
	v_mov_b32_e32 v16, 0
	v_mov_b32_e32 v10, 0
	s_branch .LBB151_71
.LBB151_68:
	v_mov_b32_e32 v10, 0
                                        ; implicit-def: $vgpr16
	v_mov_b32_e32 v1, v10
	v_mov_b32_e32 v5, v3
	s_and_b32 s6, s27, 3
	s_cmp_eq_u32 s6, 0
	s_cbranch_scc1 .LBB151_71
.LBB151_69:
	s_lshl_b32 s2, s26, 3
	s_add_u32 s2, s34, s2
	s_addc_u32 s3, s35, 0
	s_add_u32 s2, s2, 0xc4
	s_addc_u32 s3, s3, 0
	s_mul_i32 s4, s26, 12
	s_add_u32 s4, s34, s4
	s_addc_u32 s5, s35, 0
.LBB151_70:                             ; =>This Inner Loop Header: Depth=1
	s_load_dwordx2 s[8:9], s[4:5], 0x4
	s_load_dword s7, s[4:5], 0xc
	s_load_dwordx2 s[10:11], s[2:3], 0x0
	v_mov_b32_e32 v14, v1
	s_add_u32 s4, s4, 12
	s_waitcnt lgkmcnt(0)
	v_mul_hi_u32 v1, s9, v5
	v_add_u32_e32 v1, v5, v1
	v_lshrrev_b32_e32 v1, s7, v1
	s_addc_u32 s5, s5, 0
	v_mul_lo_u32 v7, v1, s8
	s_add_u32 s2, s2, 8
	v_sub_u32_e32 v7, v5, v7
	s_addc_u32 s3, s3, 0
	s_add_i32 s6, s6, -1
	v_mad_u64_u32 v[16:17], s[8:9], v7, s11, v[14:15]
	s_cmp_lg_u32 s6, 0
	v_mov_b32_e32 v5, v1
	v_mad_u64_u32 v[10:11], s[8:9], v7, s10, v[10:11]
	v_mov_b32_e32 v1, v16
	s_cbranch_scc1 .LBB151_70
.LBB151_71:
	s_cbranch_execnz .LBB151_74
.LBB151_72:
	s_load_dwordx4 s[4:7], s[34:35], 0x4
	s_load_dwordx2 s[2:3], s[34:35], 0xc4
	s_cmp_lt_u32 s33, 2
	s_waitcnt lgkmcnt(0)
	v_mul_hi_u32 v1, s5, v3
	v_add_u32_e32 v1, v3, v1
	v_lshrrev_b32_e32 v1, s6, v1
	v_mul_lo_u32 v5, v1, s4
	v_sub_u32_e32 v3, v3, v5
	v_mul_lo_u32 v16, v3, s3
	v_mul_lo_u32 v10, v3, s2
	s_cbranch_scc1 .LBB151_74
; %bb.73:
	s_load_dwordx4 s[4:7], s[34:35], 0x10
	s_load_dwordx2 s[2:3], s[34:35], 0xcc
	s_waitcnt lgkmcnt(0)
	v_mul_hi_u32 v3, s5, v1
	v_add_u32_e32 v3, v1, v3
	v_lshrrev_b32_e32 v3, s6, v3
	v_mul_lo_u32 v3, v3, s4
	v_sub_u32_e32 v1, v1, v3
	v_mad_u64_u32 v[10:11], s[4:5], v1, s2, v[10:11]
	v_mad_u64_u32 v[16:17], s[2:3], v1, s3, v[16:17]
.LBB151_74:
	s_and_b64 vcc, exec, s[0:1]
	v_add_u32_e32 v3, 0x200, v24
	s_cbranch_vccnz .LBB151_80
; %bb.75:
	s_cmp_lg_u32 s33, 0
	s_waitcnt lgkmcnt(0)
	s_mov_b32 s26, 0
	s_cbranch_scc0 .LBB151_81
; %bb.76:
	s_min_u32 s27, s54, 15
	s_add_i32 s27, s27, 1
	s_cmp_eq_u32 s54, 2
	s_cbranch_scc1 .LBB151_82
; %bb.77:
	s_and_b32 s26, s27, 28
	s_add_u32 s2, s34, 0xc4
	s_addc_u32 s3, s35, 0
	s_mov_b32 s28, 0
	v_mov_b32_e32 v14, 0
	v_mov_b32_e32 v18, 0
	s_mov_b64 s[24:25], s[34:35]
	v_mov_b32_e32 v5, v3
.LBB151_78:                             ; =>This Inner Loop Header: Depth=1
	s_load_dwordx8 s[12:19], s[24:25], 0x4
	s_load_dwordx4 s[20:23], s[24:25], 0x24
	s_load_dwordx8 s[4:11], s[2:3], 0x0
	s_add_u32 s24, s24, 48
	s_addc_u32 s25, s25, 0
	s_waitcnt lgkmcnt(0)
	v_mul_hi_u32 v1, s13, v5
	v_add_u32_e32 v1, v5, v1
	v_lshrrev_b32_e32 v1, s14, v1
	v_mul_lo_u32 v7, v1, s12
	v_mul_hi_u32 v9, s16, v1
	v_sub_u32_e32 v5, v5, v7
	v_add_u32_e32 v7, v1, v9
	v_lshrrev_b32_e32 v7, s17, v7
	v_mul_lo_u32 v11, v7, s15
	v_mul_hi_u32 v13, s19, v7
	v_sub_u32_e32 v1, v1, v11
	v_add_u32_e32 v11, v7, v13
	v_mul_lo_u32 v9, v5, s5
	v_mul_lo_u32 v5, v5, s4
	;; [unrolled: 1-line block ×4, first 2 shown]
	v_lshrrev_b32_e32 v11, s20, v11
	v_add3_u32 v1, v5, v14, v1
	v_add3_u32 v9, v9, v18, v13
	v_mul_lo_u32 v5, v11, s18
	v_mul_hi_u32 v13, s22, v11
	v_sub_u32_e32 v5, v7, v5
	v_add_u32_e32 v7, v11, v13
	v_mul_lo_u32 v13, v5, s8
	v_mul_lo_u32 v14, v5, s9
	v_lshrrev_b32_e32 v5, s23, v7
	s_add_i32 s28, s28, 4
	v_mul_lo_u32 v7, v5, s21
	s_add_u32 s2, s2, 32
	v_sub_u32_e32 v7, v11, v7
	s_addc_u32 s3, s3, 0
	v_mul_lo_u32 v11, v7, s10
	v_mul_lo_u32 v7, v7, s11
	s_cmp_lg_u32 s26, s28
	v_add3_u32 v18, v14, v9, v7
	v_add3_u32 v14, v13, v1, v11
	s_cbranch_scc1 .LBB151_78
; %bb.79:
	v_mov_b32_e32 v1, v18
	s_and_b32 s6, s27, 3
	s_cmp_eq_u32 s6, 0
	s_cbranch_scc0 .LBB151_83
	s_branch .LBB151_85
.LBB151_80:
                                        ; implicit-def: $vgpr18
                                        ; implicit-def: $vgpr14
	s_branch .LBB151_86
.LBB151_81:
	v_mov_b32_e32 v18, 0
	v_mov_b32_e32 v14, 0
	s_branch .LBB151_85
.LBB151_82:
	v_mov_b32_e32 v14, 0
                                        ; implicit-def: $vgpr18
	v_mov_b32_e32 v1, v14
	v_mov_b32_e32 v5, v3
	s_and_b32 s6, s27, 3
	s_cmp_eq_u32 s6, 0
	s_cbranch_scc1 .LBB151_85
.LBB151_83:
	s_lshl_b32 s2, s26, 3
	s_add_u32 s2, s34, s2
	s_addc_u32 s3, s35, 0
	s_add_u32 s2, s2, 0xc4
	s_addc_u32 s3, s3, 0
	s_mul_i32 s4, s26, 12
	s_add_u32 s4, s34, s4
	s_addc_u32 s5, s35, 0
.LBB151_84:                             ; =>This Inner Loop Header: Depth=1
	s_load_dwordx2 s[8:9], s[4:5], 0x4
	s_load_dword s7, s[4:5], 0xc
	s_load_dwordx2 s[10:11], s[2:3], 0x0
	v_mov_b32_e32 v18, v1
	s_add_u32 s4, s4, 12
	s_waitcnt lgkmcnt(0)
	v_mul_hi_u32 v1, s9, v5
	v_add_u32_e32 v1, v5, v1
	v_lshrrev_b32_e32 v1, s7, v1
	s_addc_u32 s5, s5, 0
	v_mul_lo_u32 v7, v1, s8
	s_add_u32 s2, s2, 8
	v_sub_u32_e32 v7, v5, v7
	s_addc_u32 s3, s3, 0
	s_add_i32 s6, s6, -1
	v_mad_u64_u32 v[18:19], s[8:9], v7, s11, v[18:19]
	s_cmp_lg_u32 s6, 0
	v_mov_b32_e32 v5, v1
	v_mad_u64_u32 v[14:15], s[8:9], v7, s10, v[14:15]
	v_mov_b32_e32 v1, v18
	s_cbranch_scc1 .LBB151_84
.LBB151_85:
	s_cbranch_execnz .LBB151_88
.LBB151_86:
	s_load_dwordx4 s[4:7], s[34:35], 0x4
	s_load_dwordx2 s[2:3], s[34:35], 0xc4
	s_cmp_lt_u32 s33, 2
	s_waitcnt lgkmcnt(0)
	v_mul_hi_u32 v1, s5, v3
	v_add_u32_e32 v1, v3, v1
	v_lshrrev_b32_e32 v1, s6, v1
	v_mul_lo_u32 v5, v1, s4
	v_sub_u32_e32 v3, v3, v5
	v_mul_lo_u32 v18, v3, s3
	v_mul_lo_u32 v14, v3, s2
	s_cbranch_scc1 .LBB151_88
; %bb.87:
	s_load_dwordx4 s[4:7], s[34:35], 0x10
	s_load_dwordx2 s[2:3], s[34:35], 0xcc
	s_waitcnt lgkmcnt(0)
	v_mul_hi_u32 v3, s5, v1
	v_add_u32_e32 v3, v1, v3
	v_lshrrev_b32_e32 v3, s6, v3
	v_mul_lo_u32 v3, v3, s4
	v_sub_u32_e32 v1, v1, v3
	v_mad_u64_u32 v[14:15], s[4:5], v1, s2, v[14:15]
	v_mad_u64_u32 v[18:19], s[2:3], v1, s3, v[18:19]
.LBB151_88:
	s_and_b64 vcc, exec, s[0:1]
	v_add_u32_e32 v3, 0x280, v24
	s_cbranch_vccnz .LBB151_94
; %bb.89:
	s_cmp_lg_u32 s33, 0
	s_waitcnt lgkmcnt(0)
	s_mov_b32 s26, 0
	s_cbranch_scc0 .LBB151_95
; %bb.90:
	s_min_u32 s27, s54, 15
	s_add_i32 s27, s27, 1
	s_cmp_eq_u32 s54, 2
	s_cbranch_scc1 .LBB151_96
; %bb.91:
	s_and_b32 s26, s27, 28
	s_add_u32 s2, s34, 0xc4
	s_addc_u32 s3, s35, 0
	s_mov_b32 s28, 0
	v_mov_b32_e32 v20, 0
	v_mov_b32_e32 v22, 0
	s_mov_b64 s[24:25], s[34:35]
	v_mov_b32_e32 v5, v3
.LBB151_92:                             ; =>This Inner Loop Header: Depth=1
	s_load_dwordx8 s[12:19], s[24:25], 0x4
	s_load_dwordx4 s[20:23], s[24:25], 0x24
	s_load_dwordx8 s[4:11], s[2:3], 0x0
	s_add_u32 s24, s24, 48
	s_addc_u32 s25, s25, 0
	s_waitcnt lgkmcnt(0)
	v_mul_hi_u32 v1, s13, v5
	v_add_u32_e32 v1, v5, v1
	v_lshrrev_b32_e32 v1, s14, v1
	v_mul_lo_u32 v7, v1, s12
	v_mul_hi_u32 v9, s16, v1
	v_sub_u32_e32 v5, v5, v7
	v_add_u32_e32 v7, v1, v9
	v_lshrrev_b32_e32 v7, s17, v7
	v_mul_lo_u32 v11, v7, s15
	v_mul_hi_u32 v13, s19, v7
	v_sub_u32_e32 v1, v1, v11
	v_add_u32_e32 v11, v7, v13
	v_mul_lo_u32 v9, v5, s5
	v_mul_lo_u32 v5, v5, s4
	;; [unrolled: 1-line block ×4, first 2 shown]
	v_lshrrev_b32_e32 v11, s20, v11
	v_add3_u32 v1, v5, v20, v1
	v_add3_u32 v9, v9, v22, v13
	v_mul_lo_u32 v5, v11, s18
	v_mul_hi_u32 v13, s22, v11
	v_sub_u32_e32 v5, v7, v5
	v_add_u32_e32 v7, v11, v13
	v_mul_lo_u32 v13, v5, s8
	v_mul_lo_u32 v15, v5, s9
	v_lshrrev_b32_e32 v5, s23, v7
	s_add_i32 s28, s28, 4
	v_mul_lo_u32 v7, v5, s21
	s_add_u32 s2, s2, 32
	v_sub_u32_e32 v7, v11, v7
	s_addc_u32 s3, s3, 0
	v_mul_lo_u32 v11, v7, s10
	v_mul_lo_u32 v7, v7, s11
	s_cmp_lg_u32 s26, s28
	v_add3_u32 v22, v15, v9, v7
	v_add3_u32 v20, v13, v1, v11
	s_cbranch_scc1 .LBB151_92
; %bb.93:
	v_mov_b32_e32 v1, v22
	s_and_b32 s6, s27, 3
	s_cmp_eq_u32 s6, 0
	s_cbranch_scc0 .LBB151_97
	s_branch .LBB151_99
.LBB151_94:
                                        ; implicit-def: $vgpr22
                                        ; implicit-def: $vgpr20
	s_branch .LBB151_100
.LBB151_95:
	v_mov_b32_e32 v22, 0
	v_mov_b32_e32 v20, 0
	s_branch .LBB151_99
.LBB151_96:
	v_mov_b32_e32 v20, 0
                                        ; implicit-def: $vgpr22
	v_mov_b32_e32 v1, v20
	v_mov_b32_e32 v5, v3
	s_and_b32 s6, s27, 3
	s_cmp_eq_u32 s6, 0
	s_cbranch_scc1 .LBB151_99
.LBB151_97:
	s_lshl_b32 s2, s26, 3
	s_add_u32 s2, s34, s2
	s_addc_u32 s3, s35, 0
	s_add_u32 s2, s2, 0xc4
	s_addc_u32 s3, s3, 0
	s_mul_i32 s4, s26, 12
	s_add_u32 s4, s34, s4
	s_addc_u32 s5, s35, 0
.LBB151_98:                             ; =>This Inner Loop Header: Depth=1
	s_load_dwordx2 s[8:9], s[4:5], 0x4
	s_load_dword s7, s[4:5], 0xc
	s_load_dwordx2 s[10:11], s[2:3], 0x0
	v_mov_b32_e32 v22, v1
	s_add_u32 s4, s4, 12
	s_waitcnt lgkmcnt(0)
	v_mul_hi_u32 v1, s9, v5
	v_add_u32_e32 v1, v5, v1
	v_lshrrev_b32_e32 v1, s7, v1
	s_addc_u32 s5, s5, 0
	v_mul_lo_u32 v7, v1, s8
	s_add_u32 s2, s2, 8
	v_sub_u32_e32 v7, v5, v7
	s_addc_u32 s3, s3, 0
	s_add_i32 s6, s6, -1
	v_mad_u64_u32 v[22:23], s[8:9], v7, s11, v[22:23]
	s_cmp_lg_u32 s6, 0
	v_mov_b32_e32 v5, v1
	v_mad_u64_u32 v[20:21], s[8:9], v7, s10, v[20:21]
	v_mov_b32_e32 v1, v22
	s_cbranch_scc1 .LBB151_98
.LBB151_99:
	s_cbranch_execnz .LBB151_102
.LBB151_100:
	s_load_dwordx4 s[4:7], s[34:35], 0x4
	s_load_dwordx2 s[2:3], s[34:35], 0xc4
	s_cmp_lt_u32 s33, 2
	s_waitcnt lgkmcnt(0)
	v_mul_hi_u32 v1, s5, v3
	v_add_u32_e32 v1, v3, v1
	v_lshrrev_b32_e32 v1, s6, v1
	v_mul_lo_u32 v5, v1, s4
	v_sub_u32_e32 v3, v3, v5
	v_mul_lo_u32 v22, v3, s3
	v_mul_lo_u32 v20, v3, s2
	s_cbranch_scc1 .LBB151_102
; %bb.101:
	s_load_dwordx4 s[4:7], s[34:35], 0x10
	s_load_dwordx2 s[2:3], s[34:35], 0xcc
	s_waitcnt lgkmcnt(0)
	v_mul_hi_u32 v3, s5, v1
	v_add_u32_e32 v3, v1, v3
	v_lshrrev_b32_e32 v3, s6, v3
	v_mul_lo_u32 v3, v3, s4
	v_sub_u32_e32 v1, v1, v3
	v_mad_u64_u32 v[20:21], s[4:5], v1, s2, v[20:21]
	v_mad_u64_u32 v[22:23], s[2:3], v1, s3, v[22:23]
.LBB151_102:
	s_and_b64 vcc, exec, s[0:1]
	v_add_u32_e32 v3, 0x300, v24
	s_cbranch_vccnz .LBB151_108
; %bb.103:
	s_cmp_lg_u32 s33, 0
	s_waitcnt lgkmcnt(0)
	s_mov_b32 s26, 0
	s_cbranch_scc0 .LBB151_109
; %bb.104:
	s_min_u32 s27, s54, 15
	s_add_i32 s27, s27, 1
	s_cmp_eq_u32 s54, 2
	s_cbranch_scc1 .LBB151_110
; %bb.105:
	s_and_b32 s26, s27, 28
	s_add_u32 s2, s34, 0xc4
	s_addc_u32 s3, s35, 0
	s_mov_b32 s28, 0
	v_mov_b32_e32 v24, 0
	v_mov_b32_e32 v26, 0
	s_mov_b64 s[24:25], s[34:35]
	v_mov_b32_e32 v5, v3
.LBB151_106:                            ; =>This Inner Loop Header: Depth=1
	s_load_dwordx8 s[12:19], s[24:25], 0x4
	s_load_dwordx4 s[20:23], s[24:25], 0x24
	s_load_dwordx8 s[4:11], s[2:3], 0x0
	s_add_u32 s24, s24, 48
	s_addc_u32 s25, s25, 0
	s_waitcnt lgkmcnt(0)
	v_mul_hi_u32 v1, s13, v5
	v_add_u32_e32 v1, v5, v1
	v_lshrrev_b32_e32 v1, s14, v1
	v_mul_lo_u32 v7, v1, s12
	v_mul_hi_u32 v9, s16, v1
	v_sub_u32_e32 v5, v5, v7
	v_add_u32_e32 v7, v1, v9
	v_lshrrev_b32_e32 v7, s17, v7
	v_mul_lo_u32 v11, v7, s15
	v_mul_hi_u32 v13, s19, v7
	v_sub_u32_e32 v1, v1, v11
	v_add_u32_e32 v11, v7, v13
	v_mul_lo_u32 v9, v5, s5
	v_mul_lo_u32 v5, v5, s4
	;; [unrolled: 1-line block ×4, first 2 shown]
	v_lshrrev_b32_e32 v11, s20, v11
	v_add3_u32 v1, v5, v24, v1
	v_add3_u32 v9, v9, v26, v13
	v_mul_lo_u32 v5, v11, s18
	v_mul_hi_u32 v13, s22, v11
	v_sub_u32_e32 v5, v7, v5
	v_add_u32_e32 v7, v11, v13
	v_mul_lo_u32 v13, v5, s8
	v_mul_lo_u32 v15, v5, s9
	v_lshrrev_b32_e32 v5, s23, v7
	s_add_i32 s28, s28, 4
	v_mul_lo_u32 v7, v5, s21
	s_add_u32 s2, s2, 32
	v_sub_u32_e32 v7, v11, v7
	s_addc_u32 s3, s3, 0
	v_mul_lo_u32 v11, v7, s10
	v_mul_lo_u32 v7, v7, s11
	s_cmp_lg_u32 s26, s28
	v_add3_u32 v26, v15, v9, v7
	v_add3_u32 v24, v13, v1, v11
	s_cbranch_scc1 .LBB151_106
; %bb.107:
	v_mov_b32_e32 v1, v26
	s_and_b32 s6, s27, 3
	s_cmp_eq_u32 s6, 0
	s_cbranch_scc0 .LBB151_111
	s_branch .LBB151_113
.LBB151_108:
                                        ; implicit-def: $vgpr26
                                        ; implicit-def: $vgpr24
	s_branch .LBB151_114
.LBB151_109:
	v_mov_b32_e32 v26, 0
	v_mov_b32_e32 v24, 0
	s_branch .LBB151_113
.LBB151_110:
	v_mov_b32_e32 v24, 0
                                        ; implicit-def: $vgpr26
	v_mov_b32_e32 v1, v24
	v_mov_b32_e32 v5, v3
	s_and_b32 s6, s27, 3
	s_cmp_eq_u32 s6, 0
	s_cbranch_scc1 .LBB151_113
.LBB151_111:
	s_lshl_b32 s2, s26, 3
	s_add_u32 s2, s34, s2
	s_addc_u32 s3, s35, 0
	s_add_u32 s2, s2, 0xc4
	s_addc_u32 s3, s3, 0
	s_mul_i32 s4, s26, 12
	s_add_u32 s4, s34, s4
	s_addc_u32 s5, s35, 0
.LBB151_112:                            ; =>This Inner Loop Header: Depth=1
	s_load_dwordx2 s[8:9], s[4:5], 0x4
	s_load_dword s7, s[4:5], 0xc
	s_load_dwordx2 s[10:11], s[2:3], 0x0
	v_mov_b32_e32 v26, v1
	s_add_u32 s4, s4, 12
	s_waitcnt lgkmcnt(0)
	v_mul_hi_u32 v1, s9, v5
	v_add_u32_e32 v1, v5, v1
	v_lshrrev_b32_e32 v1, s7, v1
	s_addc_u32 s5, s5, 0
	v_mul_lo_u32 v7, v1, s8
	s_add_u32 s2, s2, 8
	v_sub_u32_e32 v7, v5, v7
	s_addc_u32 s3, s3, 0
	s_add_i32 s6, s6, -1
	v_mad_u64_u32 v[26:27], s[8:9], v7, s11, v[26:27]
	s_cmp_lg_u32 s6, 0
	v_mov_b32_e32 v5, v1
	v_mad_u64_u32 v[24:25], s[8:9], v7, s10, v[24:25]
	v_mov_b32_e32 v1, v26
	s_cbranch_scc1 .LBB151_112
.LBB151_113:
	s_cbranch_execnz .LBB151_116
.LBB151_114:
	s_load_dwordx4 s[4:7], s[34:35], 0x4
	s_load_dwordx2 s[2:3], s[34:35], 0xc4
	s_cmp_lt_u32 s33, 2
	s_waitcnt lgkmcnt(0)
	v_mul_hi_u32 v1, s5, v3
	v_add_u32_e32 v1, v3, v1
	v_lshrrev_b32_e32 v1, s6, v1
	v_mul_lo_u32 v5, v1, s4
	v_sub_u32_e32 v3, v3, v5
	v_mul_lo_u32 v26, v3, s3
	v_mul_lo_u32 v24, v3, s2
	s_cbranch_scc1 .LBB151_116
; %bb.115:
	s_load_dwordx4 s[4:7], s[34:35], 0x10
	s_load_dwordx2 s[2:3], s[34:35], 0xcc
	s_waitcnt lgkmcnt(0)
	v_mul_hi_u32 v3, s5, v1
	v_add_u32_e32 v3, v1, v3
	v_lshrrev_b32_e32 v3, s6, v3
	v_mul_lo_u32 v3, v3, s4
	v_sub_u32_e32 v1, v1, v3
	v_mad_u64_u32 v[24:25], s[4:5], v1, s2, v[24:25]
	v_mad_u64_u32 v[26:27], s[2:3], v1, s3, v[26:27]
.LBB151_116:
	s_and_b64 vcc, exec, s[0:1]
	s_cbranch_vccnz .LBB151_122
; %bb.117:
	s_cmp_lg_u32 s33, 0
	s_waitcnt lgkmcnt(0)
	s_mov_b32 s24, 0
	s_cbranch_scc0 .LBB151_123
; %bb.118:
	s_min_u32 s25, s54, 15
	s_add_i32 s25, s25, 1
	s_cmp_eq_u32 s54, 2
	s_cbranch_scc1 .LBB151_124
; %bb.119:
	s_and_b32 s24, s25, 28
	s_add_u32 s20, s34, 0xc4
	s_addc_u32 s21, s35, 0
	s_mov_b32 s26, 0
	v_mov_b32_e32 v28, 0
	v_mov_b32_e32 v30, 0
	s_mov_b64 s[22:23], s[34:35]
	v_mov_b32_e32 v3, v32
.LBB151_120:                            ; =>This Inner Loop Header: Depth=1
	s_load_dwordx8 s[8:15], s[22:23], 0x4
	s_load_dwordx4 s[16:19], s[22:23], 0x24
	s_load_dwordx8 s[0:7], s[20:21], 0x0
	s_add_u32 s22, s22, 48
	s_addc_u32 s23, s23, 0
	s_waitcnt lgkmcnt(0)
	v_mul_hi_u32 v1, s9, v3
	v_add_u32_e32 v1, v3, v1
	v_lshrrev_b32_e32 v1, s10, v1
	v_mul_lo_u32 v5, v1, s8
	v_mul_hi_u32 v7, s12, v1
	v_sub_u32_e32 v3, v3, v5
	v_add_u32_e32 v5, v1, v7
	v_lshrrev_b32_e32 v5, s13, v5
	v_mul_lo_u32 v9, v5, s11
	v_mul_hi_u32 v11, s15, v5
	v_sub_u32_e32 v1, v1, v9
	v_add_u32_e32 v9, v5, v11
	v_mul_lo_u32 v7, v3, s1
	v_mul_lo_u32 v3, v3, s0
	;; [unrolled: 1-line block ×4, first 2 shown]
	v_lshrrev_b32_e32 v9, s16, v9
	v_add3_u32 v1, v3, v28, v1
	v_add3_u32 v7, v7, v30, v11
	v_mul_lo_u32 v3, v9, s14
	v_mul_hi_u32 v11, s18, v9
	v_sub_u32_e32 v3, v5, v3
	v_add_u32_e32 v5, v9, v11
	v_mul_lo_u32 v11, v3, s4
	v_mul_lo_u32 v13, v3, s5
	v_lshrrev_b32_e32 v3, s19, v5
	s_add_i32 s26, s26, 4
	v_mul_lo_u32 v5, v3, s17
	s_add_u32 s20, s20, 32
	v_sub_u32_e32 v5, v9, v5
	s_addc_u32 s21, s21, 0
	v_mul_lo_u32 v9, v5, s6
	v_mul_lo_u32 v5, v5, s7
	s_cmp_lg_u32 s24, s26
	v_add3_u32 v30, v13, v7, v5
	v_add3_u32 v28, v11, v1, v9
	s_cbranch_scc1 .LBB151_120
; %bb.121:
	v_mov_b32_e32 v1, v30
	s_and_b32 s4, s25, 3
	s_cmp_eq_u32 s4, 0
	s_cbranch_scc0 .LBB151_125
	s_branch .LBB151_127
.LBB151_122:
                                        ; implicit-def: $vgpr30
                                        ; implicit-def: $vgpr28
	s_branch .LBB151_128
.LBB151_123:
	v_mov_b32_e32 v30, 0
	v_mov_b32_e32 v28, 0
	s_branch .LBB151_127
.LBB151_124:
	v_mov_b32_e32 v28, 0
                                        ; implicit-def: $vgpr30
	v_mov_b32_e32 v1, v28
	v_mov_b32_e32 v3, v32
	s_and_b32 s4, s25, 3
	s_cmp_eq_u32 s4, 0
	s_cbranch_scc1 .LBB151_127
.LBB151_125:
	s_lshl_b32 s0, s24, 3
	s_add_u32 s0, s34, s0
	s_addc_u32 s1, s35, 0
	s_add_u32 s0, s0, 0xc4
	s_addc_u32 s1, s1, 0
	s_mul_i32 s2, s24, 12
	s_add_u32 s2, s34, s2
	s_addc_u32 s3, s35, 0
.LBB151_126:                            ; =>This Inner Loop Header: Depth=1
	s_load_dwordx2 s[6:7], s[2:3], 0x4
	s_load_dword s5, s[2:3], 0xc
	s_load_dwordx2 s[8:9], s[0:1], 0x0
	v_mov_b32_e32 v30, v1
	s_add_u32 s2, s2, 12
	s_waitcnt lgkmcnt(0)
	v_mul_hi_u32 v1, s7, v3
	v_add_u32_e32 v1, v3, v1
	v_lshrrev_b32_e32 v1, s5, v1
	s_addc_u32 s3, s3, 0
	v_mul_lo_u32 v5, v1, s6
	s_add_u32 s0, s0, 8
	v_sub_u32_e32 v5, v3, v5
	s_addc_u32 s1, s1, 0
	s_add_i32 s4, s4, -1
	v_mad_u64_u32 v[30:31], s[6:7], v5, s9, v[30:31]
	s_cmp_lg_u32 s4, 0
	v_mov_b32_e32 v3, v1
	v_mad_u64_u32 v[28:29], s[6:7], v5, s8, v[28:29]
	v_mov_b32_e32 v1, v30
	s_cbranch_scc1 .LBB151_126
.LBB151_127:
	s_cbranch_execnz .LBB151_130
.LBB151_128:
	s_load_dwordx4 s[0:3], s[34:35], 0x4
	s_load_dwordx2 s[4:5], s[34:35], 0xc4
	s_cmp_lt_u32 s33, 2
	s_waitcnt lgkmcnt(0)
	v_mul_hi_u32 v1, s1, v32
	v_add_u32_e32 v1, v32, v1
	v_lshrrev_b32_e32 v1, s2, v1
	v_mul_lo_u32 v3, v1, s0
	v_sub_u32_e32 v3, v32, v3
	v_mul_lo_u32 v30, v3, s5
	v_mul_lo_u32 v28, v3, s4
	s_cbranch_scc1 .LBB151_130
; %bb.129:
	s_load_dwordx4 s[0:3], s[34:35], 0x10
	s_load_dwordx2 s[4:5], s[34:35], 0xcc
	s_waitcnt lgkmcnt(0)
	v_mul_hi_u32 v3, s1, v1
	v_add_u32_e32 v3, v1, v3
	v_lshrrev_b32_e32 v3, s2, v3
	v_mul_lo_u32 v3, v3, s0
	v_sub_u32_e32 v1, v1, v3
	v_mad_u64_u32 v[28:29], s[0:1], v1, s4, v[28:29]
	v_mad_u64_u32 v[30:31], s[0:1], v1, s5, v[30:31]
.LBB151_130:
	s_load_dwordx4 s[8:11], s[34:35], 0x148
	s_mov_b32 s6, 0x3f317218
	s_movk_i32 s7, 0x7fff
	s_mov_b32 s12, 0xb102e308
	s_mov_b32 s0, 0x3ab69700
	s_waitcnt lgkmcnt(0)
	global_load_ushort v9, v4, s[10:11]
	global_load_ushort v11, v8, s[10:11]
	;; [unrolled: 1-line block ×8, first 2 shown]
	s_mov_b32 s13, 0xc1880000
	s_mov_b32 s14, 0x395133b1
	;; [unrolled: 1-line block ×3, first 2 shown]
	v_mov_b64_e32 v[4:5], s[0:1]
	s_mov_b32 s16, 0x3c0887f9
	s_mov_b32 s17, 0x43000000
	;; [unrolled: 1-line block ×4, first 2 shown]
	v_mov_b32_e32 v7, 0x7f000000
	v_mov_b32_e32 v3, 0x7f800000
	;; [unrolled: 1-line block ×3, first 2 shown]
	s_waitcnt vmcnt(7)
	v_lshlrev_b32_e32 v9, 16, v9
	s_waitcnt vmcnt(6)
	v_lshlrev_b32_e32 v8, 16, v11
	;; [unrolled: 2-line block ×4, first 2 shown]
	v_mul_f32_e32 v11, 0x3fb8aa3b, v9
	v_mul_f32_e32 v15, 0x3fb8aa3b, v8
	;; [unrolled: 1-line block ×4, first 2 shown]
	v_rndne_f32_e32 v17, v11
	v_rndne_f32_e32 v16, v15
	v_rndne_f32_e32 v19, v18
	v_rndne_f32_e32 v18, v22
	v_pk_fma_f32 v[22:23], v[16:17], s[6:7], v[8:9] op_sel_hi:[1,0,1] neg_lo:[1,0,0] neg_hi:[1,0,0]
	v_cvt_i32_f32_e32 v11, v17
	v_pk_fma_f32 v[22:23], v[16:17], s[12:13], v[22:23] op_sel_hi:[1,0,1] neg_lo:[1,0,0] neg_hi:[1,0,0]
	v_cvt_i32_f32_e32 v15, v16
	v_pk_fma_f32 v[26:27], v[18:19], s[6:7], v[12:13] op_sel_hi:[1,0,1] neg_lo:[1,0,0] neg_hi:[1,0,0]
	v_pk_fma_f32 v[30:31], v[22:23], s[14:15], v[4:5] op_sel_hi:[1,0,0]
	v_cvt_i32_f32_e32 v34, v19
	v_cvt_i32_f32_e32 v35, v18
	v_pk_fma_f32 v[26:27], v[18:19], s[12:13], v[26:27] op_sel_hi:[1,0,1] neg_lo:[1,0,0] neg_hi:[1,0,0]
	v_pk_fma_f32 v[30:31], v[22:23], v[30:31], s[16:17] op_sel_hi:[1,1,0]
	v_pk_fma_f32 v[32:33], v[26:27], s[14:15], v[4:5] op_sel_hi:[1,0,0]
	;; [unrolled: 1-line block ×5, first 2 shown]
	v_ldexp_f32 v11, 1.0, v11
	v_ldexp_f32 v15, 1.0, v15
	v_pk_fma_f32 v[32:33], v[26:27], v[32:33], s[18:19] op_sel_hi:[1,1,0]
	v_cmp_eq_f32_e32 vcc, s17, v17
	v_cmp_eq_f32_e64 s[0:1], s17, v16
	v_pk_fma_f32 v[30:31], v[22:23], v[30:31], 0.5 op_sel_hi:[1,1,0]
	v_ldexp_f32 v34, 1.0, v34
	v_ldexp_f32 v35, 1.0, v35
	v_cndmask_b32_e32 v17, v11, v7, vcc
	v_cndmask_b32_e64 v16, v15, v7, s[0:1]
	v_pk_fma_f32 v[32:33], v[26:27], v[32:33], s[20:21] op_sel_hi:[1,1,0]
	v_cmp_eq_f32_e64 s[2:3], s17, v19
	v_cmp_eq_f32_e64 s[4:5], s17, v18
	v_pk_mul_f32 v[30:31], v[22:23], v[30:31]
	v_cndmask_b32_e64 v19, v34, v7, s[2:3]
	v_cndmask_b32_e64 v18, v35, v7, s[4:5]
	v_pk_add_f32 v[34:35], v[16:17], -1.0 op_sel_hi:[1,0]
	v_pk_fma_f32 v[32:33], v[26:27], v[32:33], 0.5 op_sel_hi:[1,1,0]
	v_pk_fma_f32 v[22:23], v[22:23], v[30:31], v[22:23]
	v_pk_mul_f32 v[32:33], v[26:27], v[32:33]
	v_pk_fma_f32 v[16:17], v[16:17], v[22:23], v[34:35]
	v_pk_add_f32 v[36:37], v[18:19], -1.0 op_sel_hi:[1,0]
	v_pk_fma_f32 v[26:27], v[26:27], v[32:33], v[26:27]
	v_pk_add_f32 v[22:23], v[16:17], v[16:17]
	v_pk_fma_f32 v[18:19], v[18:19], v[26:27], v[36:37]
	v_cndmask_b32_e32 v15, v17, v23, vcc
	v_cmp_nlt_f32_e32 vcc, s15, v9
	v_pk_add_f32 v[26:27], v[18:19], v[18:19]
	v_cndmask_b32_e64 v11, v16, v22, s[0:1]
	v_cndmask_b32_e32 v15, v3, v15, vcc
	v_cmp_nlt_f32_e32 vcc, s15, v8
	v_cndmask_b32_e64 v17, v19, v27, s[2:3]
	v_cndmask_b32_e64 v16, v18, v26, s[4:5]
	v_cndmask_b32_e32 v11, v3, v11, vcc
	v_cmp_nlt_f32_e32 vcc, s15, v13
	s_nop 1
	v_cndmask_b32_e32 v17, v3, v17, vcc
	v_cmp_nlt_f32_e32 vcc, s15, v12
	s_nop 1
	v_cndmask_b32_e32 v16, v3, v16, vcc
	v_cmp_ngt_f32_e32 vcc, s13, v8
	s_nop 1
	v_cndmask_b32_e32 v8, -1.0, v11, vcc
	v_cmp_ngt_f32_e32 vcc, s13, v9
	s_nop 1
	v_cndmask_b32_e32 v9, -1.0, v15, vcc
	v_cmp_ngt_f32_e32 vcc, s13, v12
	v_bfe_u32 v15, v8, 16, 1
	v_add3_u32 v15, v8, v15, s7
	v_cndmask_b32_e32 v11, -1.0, v16, vcc
	v_cmp_ngt_f32_e32 vcc, s13, v13
	v_bfe_u32 v13, v9, 16, 1
	v_add3_u32 v13, v9, v13, s7
	v_cndmask_b32_e32 v12, -1.0, v17, vcc
	v_lshrrev_b32_e32 v13, 16, v13
	v_cmp_o_f32_e32 vcc, v9, v9
	v_lshrrev_b32_e32 v15, 16, v15
	s_waitcnt vmcnt(2)
	v_lshlrev_b32_e32 v9, 16, v25
	v_cndmask_b32_e32 v22, v1, v13, vcc
	v_cmp_o_f32_e32 vcc, v8, v8
	v_bfe_u32 v8, v12, 16, 1
	v_add3_u32 v8, v12, v8, s7
	v_cndmask_b32_e32 v15, v1, v15, vcc
	v_lshrrev_b32_e32 v8, 16, v8
	v_cmp_o_f32_e32 vcc, v12, v12
	v_mul_f32_e32 v12, 0x3fb8aa3b, v9
	v_rndne_f32_e32 v13, v12
	v_cndmask_b32_e32 v23, v1, v8, vcc
	v_bfe_u32 v8, v11, 16, 1
	v_add3_u32 v8, v11, v8, s7
	v_lshrrev_b32_e32 v8, 16, v8
	v_cmp_o_f32_e32 vcc, v11, v11
	v_cvt_i32_f32_e32 v18, v13
	s_nop 0
	v_cndmask_b32_e32 v11, v1, v8, vcc
	v_lshlrev_b32_e32 v8, 16, v21
	v_mul_f32_e32 v12, 0x3fb8aa3b, v8
	v_rndne_f32_e32 v12, v12
	v_pk_fma_f32 v[16:17], v[12:13], s[6:7], v[8:9] op_sel_hi:[1,0,1] neg_lo:[1,0,0] neg_hi:[1,0,0]
	v_ldexp_f32 v21, 1.0, v18
	v_pk_fma_f32 v[16:17], v[12:13], s[12:13], v[16:17] op_sel_hi:[1,0,1] neg_lo:[1,0,0] neg_hi:[1,0,0]
	v_cvt_i32_f32_e32 v25, v12
	v_pk_fma_f32 v[18:19], v[16:17], s[14:15], v[4:5] op_sel_hi:[1,0,0]
	v_cmp_eq_f32_e32 vcc, s17, v13
	v_pk_fma_f32 v[18:19], v[16:17], v[18:19], s[16:17] op_sel_hi:[1,1,0]
	v_cmp_eq_f32_e64 s[0:1], s17, v12
	v_pk_fma_f32 v[18:19], v[16:17], v[18:19], s[18:19] op_sel_hi:[1,1,0]
	v_cndmask_b32_e32 v13, v21, v7, vcc
	v_pk_fma_f32 v[18:19], v[16:17], v[18:19], s[20:21] op_sel_hi:[1,1,0]
	s_nop 0
	v_pk_fma_f32 v[18:19], v[16:17], v[18:19], 0.5 op_sel_hi:[1,1,0]
	s_nop 0
	v_pk_mul_f32 v[18:19], v[16:17], v[18:19]
	s_nop 0
	v_pk_fma_f32 v[16:17], v[16:17], v[18:19], v[16:17]
	v_ldexp_f32 v18, 1.0, v25
	v_cndmask_b32_e64 v12, v18, v7, s[0:1]
	v_pk_add_f32 v[18:19], v[12:13], -1.0 op_sel_hi:[1,0]
	s_nop 0
	v_pk_fma_f32 v[12:13], v[12:13], v[16:17], v[18:19]
	s_nop 0
	v_pk_add_f32 v[16:17], v[12:13], v[12:13]
	s_nop 0
	v_cndmask_b32_e32 v13, v13, v17, vcc
	v_cmp_nlt_f32_e32 vcc, s15, v9
	v_cndmask_b32_e64 v12, v12, v16, s[0:1]
	s_nop 0
	v_cndmask_b32_e32 v13, v3, v13, vcc
	v_cmp_nlt_f32_e32 vcc, s15, v8
	s_nop 1
	v_cndmask_b32_e32 v12, v3, v12, vcc
	v_cmp_ngt_f32_e32 vcc, s13, v8
	s_nop 1
	v_cndmask_b32_e32 v8, -1.0, v12, vcc
	v_cmp_ngt_f32_e32 vcc, s13, v9
	s_nop 1
	v_cndmask_b32_e32 v9, -1.0, v13, vcc
	v_bfe_u32 v12, v9, 16, 1
	v_add3_u32 v12, v9, v12, s7
	v_cmp_o_f32_e32 vcc, v9, v9
	v_bfe_u32 v9, v8, 16, 1
	v_lshrrev_b32_e32 v12, 16, v12
	v_add3_u32 v9, v8, v9, s7
	v_cndmask_b32_e32 v18, v1, v12, vcc
	v_lshrrev_b32_e32 v9, 16, v9
	v_cmp_o_f32_e32 vcc, v8, v8
	s_waitcnt vmcnt(1)
	v_lshlrev_b32_e32 v8, 16, v29
	v_cndmask_b32_e32 v19, v1, v9, vcc
	s_waitcnt vmcnt(0)
	v_lshlrev_b32_e32 v9, 16, v38
	v_mul_f32_e32 v12, 0x3fb8aa3b, v9
	v_rndne_f32_e32 v13, v12
	v_mul_f32_e32 v12, 0x3fb8aa3b, v8
	v_rndne_f32_e32 v12, v12
	v_pk_fma_f32 v[16:17], v[12:13], s[6:7], v[8:9] op_sel_hi:[1,0,1] neg_lo:[1,0,0] neg_hi:[1,0,0]
	v_cvt_i32_f32_e32 v21, v13
	v_pk_fma_f32 v[16:17], v[12:13], s[12:13], v[16:17] op_sel_hi:[1,0,1] neg_lo:[1,0,0] neg_hi:[1,0,0]
	v_cvt_i32_f32_e32 v25, v12
	v_pk_fma_f32 v[4:5], v[16:17], s[14:15], v[4:5] op_sel_hi:[1,0,0]
	v_ldexp_f32 v21, 1.0, v21
	v_pk_fma_f32 v[4:5], v[16:17], v[4:5], s[16:17] op_sel_hi:[1,1,0]
	v_cmp_eq_f32_e32 vcc, s17, v13
	v_pk_fma_f32 v[4:5], v[16:17], v[4:5], s[18:19] op_sel_hi:[1,1,0]
	v_cmp_eq_f32_e64 s[0:1], s17, v12
	v_pk_fma_f32 v[4:5], v[16:17], v[4:5], s[20:21] op_sel_hi:[1,1,0]
	v_cndmask_b32_e32 v13, v21, v7, vcc
	v_pk_fma_f32 v[4:5], v[16:17], v[4:5], 0.5 op_sel_hi:[1,1,0]
	s_nop 0
	v_pk_mul_f32 v[4:5], v[16:17], v[4:5]
	s_nop 0
	v_pk_fma_f32 v[4:5], v[16:17], v[4:5], v[16:17]
	v_ldexp_f32 v16, 1.0, v25
	v_cndmask_b32_e64 v12, v16, v7, s[0:1]
	v_pk_add_f32 v[16:17], v[12:13], -1.0 op_sel_hi:[1,0]
	s_nop 0
	v_pk_fma_f32 v[4:5], v[12:13], v[4:5], v[16:17]
	s_nop 0
	v_pk_add_f32 v[12:13], v[4:5], v[4:5]
	s_nop 0
	v_cndmask_b32_e32 v5, v5, v13, vcc
	v_cmp_nlt_f32_e32 vcc, s15, v9
	v_cndmask_b32_e64 v4, v4, v12, s[0:1]
	s_nop 0
	v_cndmask_b32_e32 v5, v3, v5, vcc
	v_cmp_nlt_f32_e32 vcc, s15, v8
	s_nop 1
	v_cndmask_b32_e32 v3, v3, v4, vcc
	v_cmp_ngt_f32_e32 vcc, s13, v8
	s_nop 1
	v_cndmask_b32_e32 v3, -1.0, v3, vcc
	v_cmp_ngt_f32_e32 vcc, s13, v9
	s_nop 1
	v_cndmask_b32_e32 v4, -1.0, v5, vcc
	v_bfe_u32 v5, v4, 16, 1
	v_add3_u32 v5, v4, v5, s7
	v_cmp_o_f32_e32 vcc, v4, v4
	s_nop 1
	v_cndmask_b32_sdwa v4, v1, v5, vcc dst_sel:DWORD dst_unused:UNUSED_PAD src0_sel:DWORD src1_sel:WORD_1
	v_bfe_u32 v5, v3, 16, 1
	v_add3_u32 v5, v3, v5, s7
	v_cmp_o_f32_e32 vcc, v3, v3
	s_nop 1
	v_cndmask_b32_sdwa v1, v1, v5, vcc dst_sel:DWORD dst_unused:UNUSED_PAD src0_sel:DWORD src1_sel:WORD_1
	global_store_short v0, v22, s[8:9]
	global_store_short v2, v15, s[8:9]
	;; [unrolled: 1-line block ×8, first 2 shown]
	s_endpgm
.LBB151_131:
	v_mov_b32_e32 v2, 0
	v_mov_b32_e32 v0, 0
	s_branch .LBB151_137
.LBB151_132:
	v_mov_b32_e32 v2, 0
	v_mov_b32_e32 v0, 0
	s_branch .LBB151_154
.LBB151_133:
	v_mov_b32_e32 v0, 0
	s_mov_b32 s57, 0
	v_mov_b32_e32 v1, v0
                                        ; implicit-def: $vgpr2
	v_mov_b32_e32 v4, v24
.LBB151_134:
	s_and_b32 s4, s58, 3
	s_cmp_eq_u32 s4, 0
	s_cbranch_scc1 .LBB151_137
; %bb.135:
	s_lshl_b32 s0, s57, 3
	s_add_u32 s0, s34, s0
	s_addc_u32 s1, s35, 0
	s_add_u32 s0, s0, 0xc4
	s_addc_u32 s1, s1, 0
	s_mul_i32 s2, s57, 12
	s_add_u32 s2, s34, s2
	s_addc_u32 s3, s35, 0
.LBB151_136:                            ; =>This Inner Loop Header: Depth=1
	s_load_dwordx2 s[6:7], s[2:3], 0x4
	s_load_dword s5, s[2:3], 0xc
	s_load_dwordx2 s[8:9], s[0:1], 0x0
	v_mov_b32_e32 v2, v1
	s_add_u32 s2, s2, 12
	s_waitcnt lgkmcnt(0)
	v_mul_hi_u32 v1, s7, v4
	v_add_u32_e32 v1, v4, v1
	v_lshrrev_b32_e32 v1, s5, v1
	s_addc_u32 s3, s3, 0
	v_mul_lo_u32 v3, v1, s6
	s_add_u32 s0, s0, 8
	v_sub_u32_e32 v5, v4, v3
	s_addc_u32 s1, s1, 0
	s_add_i32 s4, s4, -1
	v_mov_b32_e32 v4, v1
	v_mad_u64_u32 v[2:3], s[6:7], v5, s9, v[2:3]
	v_mad_u64_u32 v[0:1], s[6:7], v5, s8, v[0:1]
	s_cmp_lg_u32 s4, 0
	v_mov_b32_e32 v1, v2
	s_cbranch_scc1 .LBB151_136
.LBB151_137:
	s_cbranch_execnz .LBB151_140
.LBB151_138:
	s_waitcnt lgkmcnt(0)
	v_mul_hi_u32 v0, s25, v24
	v_add_u32_e32 v0, v24, v0
	v_lshrrev_b32_e32 v1, s26, v0
	v_mul_lo_u32 v0, v1, s24
	v_sub_u32_e32 v0, v24, v0
	v_mul_lo_u32 v2, v0, s21
	s_andn2_b64 vcc, exec, s[42:43]
	v_mul_lo_u32 v0, v0, s20
	s_cbranch_vccnz .LBB151_140
; %bb.139:
	v_mul_hi_u32 v3, s40, v1
	v_add_u32_e32 v3, v1, v3
	v_lshrrev_b32_e32 v3, s41, v3
	v_mul_lo_u32 v3, v3, s27
	v_sub_u32_e32 v3, v1, v3
	v_mad_u64_u32 v[0:1], s[0:1], v3, s22, v[0:1]
	v_mad_u64_u32 v[2:3], s[0:1], v3, s23, v[2:3]
.LBB151_140:
	s_waitcnt lgkmcnt(0)
	global_load_ushort v1, v2, s[18:19]
	v_mov_b32_e32 v2, 0x3ab69700
	s_mov_b32 s0, 0x43000000
	v_mov_b32_e32 v3, 0x7f000000
	s_mov_b32 s1, 0x42b17217
	;; [unrolled: 2-line block ×3, first 2 shown]
	s_movk_i32 s3, 0x7fff
	v_mov_b32_e32 v5, 0x7fc0
	v_add_u32_e32 v24, 0x80, v24
	s_waitcnt vmcnt(0)
	v_lshlrev_b32_e32 v1, 16, v1
	v_mul_f32_e32 v6, 0x3fb8aa3b, v1
	v_rndne_f32_e32 v6, v6
	v_fmamk_f32 v7, v6, 0xbf317218, v1
	v_fmamk_f32 v7, v6, 0x3102e308, v7
	v_cvt_i32_f32_e32 v8, v6
	v_fmac_f32_e32 v2, 0x395133b1, v7
	v_fmaak_f32 v2, v7, v2, 0x3c0887f9
	v_fmaak_f32 v2, v7, v2, 0x3d2aaa81
	;; [unrolled: 1-line block ×3, first 2 shown]
	v_ldexp_f32 v8, 1.0, v8
	v_cmp_eq_f32_e32 vcc, s0, v6
	v_fma_f32 v2, v7, v2, 0.5
	v_mul_f32_e32 v2, v7, v2
	v_cndmask_b32_e32 v3, v8, v3, vcc
	v_add_f32_e32 v6, -1.0, v3
	v_fmac_f32_e32 v7, v7, v2
	v_fmac_f32_e32 v6, v3, v7
	v_add_f32_e32 v2, v6, v6
	v_cndmask_b32_e32 v2, v6, v2, vcc
	v_cmp_nlt_f32_e32 vcc, s1, v1
	s_nop 1
	v_cndmask_b32_e32 v2, v4, v2, vcc
	v_cmp_ngt_f32_e32 vcc, s2, v1
	s_nop 1
	v_cndmask_b32_e32 v1, -1.0, v2, vcc
	v_bfe_u32 v2, v1, 16, 1
	v_cmp_o_f32_e32 vcc, v1, v1
	v_add3_u32 v1, v1, v2, s3
	s_nop 0
	v_cndmask_b32_sdwa v1, v5, v1, vcc dst_sel:DWORD dst_unused:UNUSED_PAD src0_sel:DWORD src1_sel:WORD_1
	global_store_short v0, v1, s[16:17]
	s_or_b64 exec, exec, s[48:49]
	v_cmp_gt_i32_e32 vcc, s55, v24
	s_and_saveexec_b64 s[48:49], vcc
	s_cbranch_execnz .LBB151_16
.LBB151_141:
	s_or_b64 exec, exec, s[48:49]
	v_cmp_gt_i32_e32 vcc, s55, v24
	s_and_saveexec_b64 s[48:49], vcc
	s_cbranch_execz .LBB151_158
.LBB151_142:
	s_andn2_b64 vcc, exec, s[36:37]
	s_cbranch_vccnz .LBB151_148
; %bb.143:
	s_andn2_b64 vcc, exec, s[46:47]
	s_cbranch_vccnz .LBB151_149
; %bb.144:
	s_add_i32 s58, s56, 1
	s_cmp_eq_u32 s54, 2
	s_cbranch_scc1 .LBB151_167
; %bb.145:
	s_and_b32 s57, s58, 28
	s_mov_b32 s59, 0
	v_mov_b32_e32 v0, 0
	v_mov_b32_e32 v2, 0
	s_mov_b64 s[50:51], s[34:35]
	s_mov_b64 s[52:53], s[44:45]
	v_mov_b32_e32 v4, v24
.LBB151_146:                            ; =>This Inner Loop Header: Depth=1
	s_load_dwordx8 s[8:15], s[50:51], 0x4
	s_load_dwordx4 s[28:31], s[50:51], 0x24
	s_load_dwordx8 s[0:7], s[52:53], 0x0
	s_add_u32 s50, s50, 48
	s_addc_u32 s51, s51, 0
	s_waitcnt lgkmcnt(0)
	v_mul_hi_u32 v1, s9, v4
	v_add_u32_e32 v1, v4, v1
	v_lshrrev_b32_e32 v1, s10, v1
	v_mul_lo_u32 v3, v1, s8
	v_mul_hi_u32 v5, s12, v1
	v_sub_u32_e32 v3, v4, v3
	v_add_u32_e32 v4, v1, v5
	v_lshrrev_b32_e32 v4, s13, v4
	v_mul_lo_u32 v6, v4, s11
	v_mul_hi_u32 v7, s15, v4
	v_sub_u32_e32 v1, v1, v6
	v_add_u32_e32 v6, v4, v7
	v_mul_lo_u32 v5, v3, s1
	v_mul_lo_u32 v3, v3, s0
	;; [unrolled: 1-line block ×4, first 2 shown]
	v_lshrrev_b32_e32 v6, s28, v6
	v_add3_u32 v0, v3, v0, v1
	v_mul_hi_u32 v3, s30, v6
	v_add3_u32 v1, v5, v2, v7
	v_mul_lo_u32 v2, v6, s14
	v_add_u32_e32 v3, v6, v3
	v_sub_u32_e32 v2, v4, v2
	v_lshrrev_b32_e32 v4, s31, v3
	s_add_i32 s59, s59, 4
	v_mul_lo_u32 v3, v4, s29
	s_add_u32 s52, s52, 32
	v_sub_u32_e32 v3, v6, v3
	s_addc_u32 s53, s53, 0
	v_mul_lo_u32 v5, v2, s4
	v_mul_lo_u32 v2, v2, s5
	;; [unrolled: 1-line block ×4, first 2 shown]
	s_cmp_eq_u32 s57, s59
	v_add3_u32 v2, v2, v1, v3
	v_add3_u32 v0, v5, v0, v6
	s_cbranch_scc0 .LBB151_146
; %bb.147:
	v_mov_b32_e32 v1, v2
	s_branch .LBB151_168
.LBB151_148:
                                        ; implicit-def: $vgpr2
                                        ; implicit-def: $vgpr0
	s_branch .LBB151_172
.LBB151_149:
	v_mov_b32_e32 v2, 0
	v_mov_b32_e32 v0, 0
	s_branch .LBB151_171
.LBB151_150:
	v_mov_b32_e32 v0, 0
	s_mov_b32 s57, 0
	v_mov_b32_e32 v1, v0
                                        ; implicit-def: $vgpr2
	v_mov_b32_e32 v4, v24
.LBB151_151:
	s_and_b32 s4, s58, 3
	s_cmp_eq_u32 s4, 0
	s_cbranch_scc1 .LBB151_154
; %bb.152:
	s_lshl_b32 s0, s57, 3
	s_add_u32 s0, s34, s0
	s_addc_u32 s1, s35, 0
	s_add_u32 s0, s0, 0xc4
	s_addc_u32 s1, s1, 0
	s_mul_i32 s2, s57, 12
	s_add_u32 s2, s34, s2
	s_addc_u32 s3, s35, 0
.LBB151_153:                            ; =>This Inner Loop Header: Depth=1
	s_load_dwordx2 s[6:7], s[2:3], 0x4
	s_load_dword s5, s[2:3], 0xc
	s_load_dwordx2 s[8:9], s[0:1], 0x0
	v_mov_b32_e32 v2, v1
	s_add_u32 s2, s2, 12
	s_waitcnt lgkmcnt(0)
	v_mul_hi_u32 v1, s7, v4
	v_add_u32_e32 v1, v4, v1
	v_lshrrev_b32_e32 v1, s5, v1
	s_addc_u32 s3, s3, 0
	v_mul_lo_u32 v3, v1, s6
	s_add_u32 s0, s0, 8
	v_sub_u32_e32 v5, v4, v3
	s_addc_u32 s1, s1, 0
	s_add_i32 s4, s4, -1
	v_mov_b32_e32 v4, v1
	v_mad_u64_u32 v[2:3], s[6:7], v5, s9, v[2:3]
	v_mad_u64_u32 v[0:1], s[6:7], v5, s8, v[0:1]
	s_cmp_lg_u32 s4, 0
	v_mov_b32_e32 v1, v2
	s_cbranch_scc1 .LBB151_153
.LBB151_154:
	s_cbranch_execnz .LBB151_157
.LBB151_155:
	s_waitcnt lgkmcnt(0)
	v_mul_hi_u32 v0, s25, v24
	v_add_u32_e32 v0, v24, v0
	v_lshrrev_b32_e32 v1, s26, v0
	v_mul_lo_u32 v0, v1, s24
	v_sub_u32_e32 v0, v24, v0
	v_mul_lo_u32 v2, v0, s21
	s_andn2_b64 vcc, exec, s[42:43]
	v_mul_lo_u32 v0, v0, s20
	s_cbranch_vccnz .LBB151_157
; %bb.156:
	v_mul_hi_u32 v3, s40, v1
	v_add_u32_e32 v3, v1, v3
	v_lshrrev_b32_e32 v3, s41, v3
	v_mul_lo_u32 v3, v3, s27
	v_sub_u32_e32 v3, v1, v3
	v_mad_u64_u32 v[0:1], s[0:1], v3, s22, v[0:1]
	v_mad_u64_u32 v[2:3], s[0:1], v3, s23, v[2:3]
.LBB151_157:
	s_waitcnt lgkmcnt(0)
	global_load_ushort v1, v2, s[18:19]
	v_mov_b32_e32 v2, 0x3ab69700
	s_mov_b32 s0, 0x43000000
	v_mov_b32_e32 v3, 0x7f000000
	s_mov_b32 s1, 0x42b17217
	;; [unrolled: 2-line block ×3, first 2 shown]
	s_movk_i32 s3, 0x7fff
	v_mov_b32_e32 v5, 0x7fc0
	v_add_u32_e32 v24, 0x80, v24
	s_waitcnt vmcnt(0)
	v_lshlrev_b32_e32 v1, 16, v1
	v_mul_f32_e32 v6, 0x3fb8aa3b, v1
	v_rndne_f32_e32 v6, v6
	v_fmamk_f32 v7, v6, 0xbf317218, v1
	v_fmamk_f32 v7, v6, 0x3102e308, v7
	v_cvt_i32_f32_e32 v8, v6
	v_fmac_f32_e32 v2, 0x395133b1, v7
	v_fmaak_f32 v2, v7, v2, 0x3c0887f9
	v_fmaak_f32 v2, v7, v2, 0x3d2aaa81
	;; [unrolled: 1-line block ×3, first 2 shown]
	v_ldexp_f32 v8, 1.0, v8
	v_cmp_eq_f32_e32 vcc, s0, v6
	v_fma_f32 v2, v7, v2, 0.5
	v_mul_f32_e32 v2, v7, v2
	v_cndmask_b32_e32 v3, v8, v3, vcc
	v_add_f32_e32 v6, -1.0, v3
	v_fmac_f32_e32 v7, v7, v2
	v_fmac_f32_e32 v6, v3, v7
	v_add_f32_e32 v2, v6, v6
	v_cndmask_b32_e32 v2, v6, v2, vcc
	v_cmp_nlt_f32_e32 vcc, s1, v1
	s_nop 1
	v_cndmask_b32_e32 v2, v4, v2, vcc
	v_cmp_ngt_f32_e32 vcc, s2, v1
	s_nop 1
	v_cndmask_b32_e32 v1, -1.0, v2, vcc
	v_bfe_u32 v2, v1, 16, 1
	v_cmp_o_f32_e32 vcc, v1, v1
	v_add3_u32 v1, v1, v2, s3
	s_nop 0
	v_cndmask_b32_sdwa v1, v5, v1, vcc dst_sel:DWORD dst_unused:UNUSED_PAD src0_sel:DWORD src1_sel:WORD_1
	global_store_short v0, v1, s[16:17]
	s_or_b64 exec, exec, s[48:49]
	v_cmp_gt_i32_e32 vcc, s55, v24
	s_and_saveexec_b64 s[48:49], vcc
	s_cbranch_execnz .LBB151_142
.LBB151_158:
	s_or_b64 exec, exec, s[48:49]
	v_cmp_gt_i32_e32 vcc, s55, v24
	s_and_saveexec_b64 s[48:49], vcc
	s_cbranch_execz .LBB151_175
.LBB151_159:
	s_andn2_b64 vcc, exec, s[36:37]
	s_cbranch_vccnz .LBB151_165
; %bb.160:
	s_andn2_b64 vcc, exec, s[46:47]
	s_cbranch_vccnz .LBB151_166
; %bb.161:
	s_add_i32 s58, s56, 1
	s_cmp_eq_u32 s54, 2
	s_cbranch_scc1 .LBB151_184
; %bb.162:
	s_and_b32 s57, s58, 28
	s_mov_b32 s59, 0
	v_mov_b32_e32 v0, 0
	v_mov_b32_e32 v2, 0
	s_mov_b64 s[50:51], s[34:35]
	s_mov_b64 s[52:53], s[44:45]
	v_mov_b32_e32 v4, v24
.LBB151_163:                            ; =>This Inner Loop Header: Depth=1
	s_load_dwordx8 s[8:15], s[50:51], 0x4
	s_load_dwordx4 s[28:31], s[50:51], 0x24
	s_load_dwordx8 s[0:7], s[52:53], 0x0
	s_add_u32 s50, s50, 48
	s_addc_u32 s51, s51, 0
	s_waitcnt lgkmcnt(0)
	v_mul_hi_u32 v1, s9, v4
	v_add_u32_e32 v1, v4, v1
	v_lshrrev_b32_e32 v1, s10, v1
	v_mul_lo_u32 v3, v1, s8
	v_mul_hi_u32 v5, s12, v1
	v_sub_u32_e32 v3, v4, v3
	v_add_u32_e32 v4, v1, v5
	v_lshrrev_b32_e32 v4, s13, v4
	v_mul_lo_u32 v6, v4, s11
	v_mul_hi_u32 v7, s15, v4
	v_sub_u32_e32 v1, v1, v6
	v_add_u32_e32 v6, v4, v7
	v_mul_lo_u32 v5, v3, s1
	v_mul_lo_u32 v3, v3, s0
	;; [unrolled: 1-line block ×4, first 2 shown]
	v_lshrrev_b32_e32 v6, s28, v6
	v_add3_u32 v0, v3, v0, v1
	v_mul_hi_u32 v3, s30, v6
	v_add3_u32 v1, v5, v2, v7
	v_mul_lo_u32 v2, v6, s14
	v_add_u32_e32 v3, v6, v3
	v_sub_u32_e32 v2, v4, v2
	v_lshrrev_b32_e32 v4, s31, v3
	s_add_i32 s59, s59, 4
	v_mul_lo_u32 v3, v4, s29
	s_add_u32 s52, s52, 32
	v_sub_u32_e32 v3, v6, v3
	s_addc_u32 s53, s53, 0
	v_mul_lo_u32 v5, v2, s4
	v_mul_lo_u32 v2, v2, s5
	;; [unrolled: 1-line block ×4, first 2 shown]
	s_cmp_eq_u32 s57, s59
	v_add3_u32 v2, v2, v1, v3
	v_add3_u32 v0, v5, v0, v6
	s_cbranch_scc0 .LBB151_163
; %bb.164:
	v_mov_b32_e32 v1, v2
	s_branch .LBB151_185
.LBB151_165:
                                        ; implicit-def: $vgpr2
                                        ; implicit-def: $vgpr0
	s_branch .LBB151_189
.LBB151_166:
	v_mov_b32_e32 v2, 0
	v_mov_b32_e32 v0, 0
	s_branch .LBB151_188
.LBB151_167:
	v_mov_b32_e32 v0, 0
	s_mov_b32 s57, 0
	v_mov_b32_e32 v1, v0
                                        ; implicit-def: $vgpr2
	v_mov_b32_e32 v4, v24
.LBB151_168:
	s_and_b32 s4, s58, 3
	s_cmp_eq_u32 s4, 0
	s_cbranch_scc1 .LBB151_171
; %bb.169:
	s_lshl_b32 s0, s57, 3
	s_add_u32 s0, s34, s0
	s_addc_u32 s1, s35, 0
	s_add_u32 s0, s0, 0xc4
	s_addc_u32 s1, s1, 0
	s_mul_i32 s2, s57, 12
	s_add_u32 s2, s34, s2
	s_addc_u32 s3, s35, 0
.LBB151_170:                            ; =>This Inner Loop Header: Depth=1
	s_load_dwordx2 s[6:7], s[2:3], 0x4
	s_load_dword s5, s[2:3], 0xc
	s_load_dwordx2 s[8:9], s[0:1], 0x0
	v_mov_b32_e32 v2, v1
	s_add_u32 s2, s2, 12
	s_waitcnt lgkmcnt(0)
	v_mul_hi_u32 v1, s7, v4
	v_add_u32_e32 v1, v4, v1
	v_lshrrev_b32_e32 v1, s5, v1
	s_addc_u32 s3, s3, 0
	v_mul_lo_u32 v3, v1, s6
	s_add_u32 s0, s0, 8
	v_sub_u32_e32 v5, v4, v3
	s_addc_u32 s1, s1, 0
	s_add_i32 s4, s4, -1
	v_mov_b32_e32 v4, v1
	v_mad_u64_u32 v[2:3], s[6:7], v5, s9, v[2:3]
	v_mad_u64_u32 v[0:1], s[6:7], v5, s8, v[0:1]
	s_cmp_lg_u32 s4, 0
	v_mov_b32_e32 v1, v2
	s_cbranch_scc1 .LBB151_170
.LBB151_171:
	s_cbranch_execnz .LBB151_174
.LBB151_172:
	s_waitcnt lgkmcnt(0)
	v_mul_hi_u32 v0, s25, v24
	v_add_u32_e32 v0, v24, v0
	v_lshrrev_b32_e32 v1, s26, v0
	v_mul_lo_u32 v0, v1, s24
	v_sub_u32_e32 v0, v24, v0
	v_mul_lo_u32 v2, v0, s21
	s_andn2_b64 vcc, exec, s[42:43]
	v_mul_lo_u32 v0, v0, s20
	s_cbranch_vccnz .LBB151_174
; %bb.173:
	v_mul_hi_u32 v3, s40, v1
	v_add_u32_e32 v3, v1, v3
	v_lshrrev_b32_e32 v3, s41, v3
	v_mul_lo_u32 v3, v3, s27
	v_sub_u32_e32 v3, v1, v3
	v_mad_u64_u32 v[0:1], s[0:1], v3, s22, v[0:1]
	v_mad_u64_u32 v[2:3], s[0:1], v3, s23, v[2:3]
.LBB151_174:
	s_waitcnt lgkmcnt(0)
	global_load_ushort v1, v2, s[18:19]
	v_mov_b32_e32 v2, 0x3ab69700
	s_mov_b32 s0, 0x43000000
	v_mov_b32_e32 v3, 0x7f000000
	s_mov_b32 s1, 0x42b17217
	v_mov_b32_e32 v4, 0x7f800000
	s_mov_b32 s2, 0xc1880000
	s_movk_i32 s3, 0x7fff
	v_mov_b32_e32 v5, 0x7fc0
	v_add_u32_e32 v24, 0x80, v24
	s_waitcnt vmcnt(0)
	v_lshlrev_b32_e32 v1, 16, v1
	v_mul_f32_e32 v6, 0x3fb8aa3b, v1
	v_rndne_f32_e32 v6, v6
	v_fmamk_f32 v7, v6, 0xbf317218, v1
	v_fmamk_f32 v7, v6, 0x3102e308, v7
	v_cvt_i32_f32_e32 v8, v6
	v_fmac_f32_e32 v2, 0x395133b1, v7
	v_fmaak_f32 v2, v7, v2, 0x3c0887f9
	v_fmaak_f32 v2, v7, v2, 0x3d2aaa81
	;; [unrolled: 1-line block ×3, first 2 shown]
	v_ldexp_f32 v8, 1.0, v8
	v_cmp_eq_f32_e32 vcc, s0, v6
	v_fma_f32 v2, v7, v2, 0.5
	v_mul_f32_e32 v2, v7, v2
	v_cndmask_b32_e32 v3, v8, v3, vcc
	v_add_f32_e32 v6, -1.0, v3
	v_fmac_f32_e32 v7, v7, v2
	v_fmac_f32_e32 v6, v3, v7
	v_add_f32_e32 v2, v6, v6
	v_cndmask_b32_e32 v2, v6, v2, vcc
	v_cmp_nlt_f32_e32 vcc, s1, v1
	s_nop 1
	v_cndmask_b32_e32 v2, v4, v2, vcc
	v_cmp_ngt_f32_e32 vcc, s2, v1
	s_nop 1
	v_cndmask_b32_e32 v1, -1.0, v2, vcc
	v_bfe_u32 v2, v1, 16, 1
	v_cmp_o_f32_e32 vcc, v1, v1
	v_add3_u32 v1, v1, v2, s3
	s_nop 0
	v_cndmask_b32_sdwa v1, v5, v1, vcc dst_sel:DWORD dst_unused:UNUSED_PAD src0_sel:DWORD src1_sel:WORD_1
	global_store_short v0, v1, s[16:17]
	s_or_b64 exec, exec, s[48:49]
	v_cmp_gt_i32_e32 vcc, s55, v24
	s_and_saveexec_b64 s[48:49], vcc
	s_cbranch_execnz .LBB151_159
.LBB151_175:
	s_or_b64 exec, exec, s[48:49]
	v_cmp_gt_i32_e32 vcc, s55, v24
	s_and_saveexec_b64 s[48:49], vcc
	s_cbranch_execz .LBB151_192
.LBB151_176:
	s_andn2_b64 vcc, exec, s[36:37]
	s_cbranch_vccnz .LBB151_182
; %bb.177:
	s_andn2_b64 vcc, exec, s[46:47]
	s_cbranch_vccnz .LBB151_183
; %bb.178:
	s_add_i32 s58, s56, 1
	s_cmp_eq_u32 s54, 2
	s_cbranch_scc1 .LBB151_201
; %bb.179:
	s_and_b32 s57, s58, 28
	s_mov_b32 s59, 0
	v_mov_b32_e32 v0, 0
	v_mov_b32_e32 v2, 0
	s_mov_b64 s[50:51], s[34:35]
	s_mov_b64 s[52:53], s[44:45]
	v_mov_b32_e32 v4, v24
.LBB151_180:                            ; =>This Inner Loop Header: Depth=1
	s_load_dwordx8 s[8:15], s[50:51], 0x4
	s_load_dwordx4 s[28:31], s[50:51], 0x24
	s_load_dwordx8 s[0:7], s[52:53], 0x0
	s_add_u32 s50, s50, 48
	s_addc_u32 s51, s51, 0
	s_waitcnt lgkmcnt(0)
	v_mul_hi_u32 v1, s9, v4
	v_add_u32_e32 v1, v4, v1
	v_lshrrev_b32_e32 v1, s10, v1
	v_mul_lo_u32 v3, v1, s8
	v_mul_hi_u32 v5, s12, v1
	v_sub_u32_e32 v3, v4, v3
	v_add_u32_e32 v4, v1, v5
	v_lshrrev_b32_e32 v4, s13, v4
	v_mul_lo_u32 v6, v4, s11
	v_mul_hi_u32 v7, s15, v4
	v_sub_u32_e32 v1, v1, v6
	v_add_u32_e32 v6, v4, v7
	v_mul_lo_u32 v5, v3, s1
	v_mul_lo_u32 v3, v3, s0
	;; [unrolled: 1-line block ×4, first 2 shown]
	v_lshrrev_b32_e32 v6, s28, v6
	v_add3_u32 v0, v3, v0, v1
	v_mul_hi_u32 v3, s30, v6
	v_add3_u32 v1, v5, v2, v7
	v_mul_lo_u32 v2, v6, s14
	v_add_u32_e32 v3, v6, v3
	v_sub_u32_e32 v2, v4, v2
	v_lshrrev_b32_e32 v4, s31, v3
	s_add_i32 s59, s59, 4
	v_mul_lo_u32 v3, v4, s29
	s_add_u32 s52, s52, 32
	v_sub_u32_e32 v3, v6, v3
	s_addc_u32 s53, s53, 0
	v_mul_lo_u32 v5, v2, s4
	v_mul_lo_u32 v2, v2, s5
	;; [unrolled: 1-line block ×4, first 2 shown]
	s_cmp_eq_u32 s57, s59
	v_add3_u32 v2, v2, v1, v3
	v_add3_u32 v0, v5, v0, v6
	s_cbranch_scc0 .LBB151_180
; %bb.181:
	v_mov_b32_e32 v1, v2
	s_branch .LBB151_202
.LBB151_182:
                                        ; implicit-def: $vgpr2
                                        ; implicit-def: $vgpr0
	s_branch .LBB151_206
.LBB151_183:
	v_mov_b32_e32 v2, 0
	v_mov_b32_e32 v0, 0
	s_branch .LBB151_205
.LBB151_184:
	v_mov_b32_e32 v0, 0
	s_mov_b32 s57, 0
	v_mov_b32_e32 v1, v0
                                        ; implicit-def: $vgpr2
	v_mov_b32_e32 v4, v24
.LBB151_185:
	s_and_b32 s4, s58, 3
	s_cmp_eq_u32 s4, 0
	s_cbranch_scc1 .LBB151_188
; %bb.186:
	s_lshl_b32 s0, s57, 3
	s_add_u32 s0, s34, s0
	s_addc_u32 s1, s35, 0
	s_add_u32 s0, s0, 0xc4
	s_addc_u32 s1, s1, 0
	s_mul_i32 s2, s57, 12
	s_add_u32 s2, s34, s2
	s_addc_u32 s3, s35, 0
.LBB151_187:                            ; =>This Inner Loop Header: Depth=1
	s_load_dwordx2 s[6:7], s[2:3], 0x4
	s_load_dword s5, s[2:3], 0xc
	s_load_dwordx2 s[8:9], s[0:1], 0x0
	v_mov_b32_e32 v2, v1
	s_add_u32 s2, s2, 12
	s_waitcnt lgkmcnt(0)
	v_mul_hi_u32 v1, s7, v4
	v_add_u32_e32 v1, v4, v1
	v_lshrrev_b32_e32 v1, s5, v1
	s_addc_u32 s3, s3, 0
	v_mul_lo_u32 v3, v1, s6
	s_add_u32 s0, s0, 8
	v_sub_u32_e32 v5, v4, v3
	s_addc_u32 s1, s1, 0
	s_add_i32 s4, s4, -1
	v_mov_b32_e32 v4, v1
	v_mad_u64_u32 v[2:3], s[6:7], v5, s9, v[2:3]
	v_mad_u64_u32 v[0:1], s[6:7], v5, s8, v[0:1]
	s_cmp_lg_u32 s4, 0
	v_mov_b32_e32 v1, v2
	s_cbranch_scc1 .LBB151_187
.LBB151_188:
	s_cbranch_execnz .LBB151_191
.LBB151_189:
	s_waitcnt lgkmcnt(0)
	v_mul_hi_u32 v0, s25, v24
	v_add_u32_e32 v0, v24, v0
	v_lshrrev_b32_e32 v1, s26, v0
	v_mul_lo_u32 v0, v1, s24
	v_sub_u32_e32 v0, v24, v0
	v_mul_lo_u32 v2, v0, s21
	s_andn2_b64 vcc, exec, s[42:43]
	v_mul_lo_u32 v0, v0, s20
	s_cbranch_vccnz .LBB151_191
; %bb.190:
	v_mul_hi_u32 v3, s40, v1
	v_add_u32_e32 v3, v1, v3
	v_lshrrev_b32_e32 v3, s41, v3
	v_mul_lo_u32 v3, v3, s27
	v_sub_u32_e32 v3, v1, v3
	v_mad_u64_u32 v[0:1], s[0:1], v3, s22, v[0:1]
	v_mad_u64_u32 v[2:3], s[0:1], v3, s23, v[2:3]
.LBB151_191:
	s_waitcnt lgkmcnt(0)
	global_load_ushort v1, v2, s[18:19]
	v_mov_b32_e32 v2, 0x3ab69700
	s_mov_b32 s0, 0x43000000
	v_mov_b32_e32 v3, 0x7f000000
	s_mov_b32 s1, 0x42b17217
	;; [unrolled: 2-line block ×3, first 2 shown]
	s_movk_i32 s3, 0x7fff
	v_mov_b32_e32 v5, 0x7fc0
	v_add_u32_e32 v24, 0x80, v24
	s_waitcnt vmcnt(0)
	v_lshlrev_b32_e32 v1, 16, v1
	v_mul_f32_e32 v6, 0x3fb8aa3b, v1
	v_rndne_f32_e32 v6, v6
	v_fmamk_f32 v7, v6, 0xbf317218, v1
	v_fmamk_f32 v7, v6, 0x3102e308, v7
	v_cvt_i32_f32_e32 v8, v6
	v_fmac_f32_e32 v2, 0x395133b1, v7
	v_fmaak_f32 v2, v7, v2, 0x3c0887f9
	v_fmaak_f32 v2, v7, v2, 0x3d2aaa81
	;; [unrolled: 1-line block ×3, first 2 shown]
	v_ldexp_f32 v8, 1.0, v8
	v_cmp_eq_f32_e32 vcc, s0, v6
	v_fma_f32 v2, v7, v2, 0.5
	v_mul_f32_e32 v2, v7, v2
	v_cndmask_b32_e32 v3, v8, v3, vcc
	v_add_f32_e32 v6, -1.0, v3
	v_fmac_f32_e32 v7, v7, v2
	v_fmac_f32_e32 v6, v3, v7
	v_add_f32_e32 v2, v6, v6
	v_cndmask_b32_e32 v2, v6, v2, vcc
	v_cmp_nlt_f32_e32 vcc, s1, v1
	s_nop 1
	v_cndmask_b32_e32 v2, v4, v2, vcc
	v_cmp_ngt_f32_e32 vcc, s2, v1
	s_nop 1
	v_cndmask_b32_e32 v1, -1.0, v2, vcc
	v_bfe_u32 v2, v1, 16, 1
	v_cmp_o_f32_e32 vcc, v1, v1
	v_add3_u32 v1, v1, v2, s3
	s_nop 0
	v_cndmask_b32_sdwa v1, v5, v1, vcc dst_sel:DWORD dst_unused:UNUSED_PAD src0_sel:DWORD src1_sel:WORD_1
	global_store_short v0, v1, s[16:17]
	s_or_b64 exec, exec, s[48:49]
	v_cmp_gt_i32_e32 vcc, s55, v24
	s_and_saveexec_b64 s[48:49], vcc
	s_cbranch_execnz .LBB151_176
.LBB151_192:
	s_or_b64 exec, exec, s[48:49]
	v_cmp_gt_i32_e32 vcc, s55, v24
	s_and_saveexec_b64 s[48:49], vcc
	s_cbranch_execz .LBB151_209
.LBB151_193:
	s_andn2_b64 vcc, exec, s[36:37]
	s_cbranch_vccnz .LBB151_199
; %bb.194:
	s_andn2_b64 vcc, exec, s[46:47]
	s_cbranch_vccnz .LBB151_200
; %bb.195:
	s_add_i32 s58, s56, 1
	s_cmp_eq_u32 s54, 2
	s_cbranch_scc1 .LBB151_218
; %bb.196:
	s_and_b32 s57, s58, 28
	s_mov_b32 s59, 0
	v_mov_b32_e32 v0, 0
	v_mov_b32_e32 v2, 0
	s_mov_b64 s[50:51], s[34:35]
	s_mov_b64 s[52:53], s[44:45]
	v_mov_b32_e32 v4, v24
.LBB151_197:                            ; =>This Inner Loop Header: Depth=1
	s_load_dwordx8 s[8:15], s[50:51], 0x4
	s_load_dwordx4 s[28:31], s[50:51], 0x24
	s_load_dwordx8 s[0:7], s[52:53], 0x0
	s_add_u32 s50, s50, 48
	s_addc_u32 s51, s51, 0
	s_waitcnt lgkmcnt(0)
	v_mul_hi_u32 v1, s9, v4
	v_add_u32_e32 v1, v4, v1
	v_lshrrev_b32_e32 v1, s10, v1
	v_mul_lo_u32 v3, v1, s8
	v_mul_hi_u32 v5, s12, v1
	v_sub_u32_e32 v3, v4, v3
	v_add_u32_e32 v4, v1, v5
	v_lshrrev_b32_e32 v4, s13, v4
	v_mul_lo_u32 v6, v4, s11
	v_mul_hi_u32 v7, s15, v4
	v_sub_u32_e32 v1, v1, v6
	v_add_u32_e32 v6, v4, v7
	v_mul_lo_u32 v5, v3, s1
	v_mul_lo_u32 v3, v3, s0
	;; [unrolled: 1-line block ×4, first 2 shown]
	v_lshrrev_b32_e32 v6, s28, v6
	v_add3_u32 v0, v3, v0, v1
	v_mul_hi_u32 v3, s30, v6
	v_add3_u32 v1, v5, v2, v7
	v_mul_lo_u32 v2, v6, s14
	v_add_u32_e32 v3, v6, v3
	v_sub_u32_e32 v2, v4, v2
	v_lshrrev_b32_e32 v4, s31, v3
	s_add_i32 s59, s59, 4
	v_mul_lo_u32 v3, v4, s29
	s_add_u32 s52, s52, 32
	v_sub_u32_e32 v3, v6, v3
	s_addc_u32 s53, s53, 0
	v_mul_lo_u32 v5, v2, s4
	v_mul_lo_u32 v2, v2, s5
	;; [unrolled: 1-line block ×4, first 2 shown]
	s_cmp_eq_u32 s57, s59
	v_add3_u32 v2, v2, v1, v3
	v_add3_u32 v0, v5, v0, v6
	s_cbranch_scc0 .LBB151_197
; %bb.198:
	v_mov_b32_e32 v1, v2
	s_branch .LBB151_219
.LBB151_199:
                                        ; implicit-def: $vgpr2
                                        ; implicit-def: $vgpr0
	s_branch .LBB151_223
.LBB151_200:
	v_mov_b32_e32 v2, 0
	v_mov_b32_e32 v0, 0
	s_branch .LBB151_222
.LBB151_201:
	v_mov_b32_e32 v0, 0
	s_mov_b32 s57, 0
	v_mov_b32_e32 v1, v0
                                        ; implicit-def: $vgpr2
	v_mov_b32_e32 v4, v24
.LBB151_202:
	s_and_b32 s4, s58, 3
	s_cmp_eq_u32 s4, 0
	s_cbranch_scc1 .LBB151_205
; %bb.203:
	s_lshl_b32 s0, s57, 3
	s_add_u32 s0, s34, s0
	s_addc_u32 s1, s35, 0
	s_add_u32 s0, s0, 0xc4
	s_addc_u32 s1, s1, 0
	s_mul_i32 s2, s57, 12
	s_add_u32 s2, s34, s2
	s_addc_u32 s3, s35, 0
.LBB151_204:                            ; =>This Inner Loop Header: Depth=1
	s_load_dwordx2 s[6:7], s[2:3], 0x4
	s_load_dword s5, s[2:3], 0xc
	s_load_dwordx2 s[8:9], s[0:1], 0x0
	v_mov_b32_e32 v2, v1
	s_add_u32 s2, s2, 12
	s_waitcnt lgkmcnt(0)
	v_mul_hi_u32 v1, s7, v4
	v_add_u32_e32 v1, v4, v1
	v_lshrrev_b32_e32 v1, s5, v1
	s_addc_u32 s3, s3, 0
	v_mul_lo_u32 v3, v1, s6
	s_add_u32 s0, s0, 8
	v_sub_u32_e32 v5, v4, v3
	s_addc_u32 s1, s1, 0
	s_add_i32 s4, s4, -1
	v_mov_b32_e32 v4, v1
	v_mad_u64_u32 v[2:3], s[6:7], v5, s9, v[2:3]
	v_mad_u64_u32 v[0:1], s[6:7], v5, s8, v[0:1]
	s_cmp_lg_u32 s4, 0
	v_mov_b32_e32 v1, v2
	s_cbranch_scc1 .LBB151_204
.LBB151_205:
	s_cbranch_execnz .LBB151_208
.LBB151_206:
	s_waitcnt lgkmcnt(0)
	v_mul_hi_u32 v0, s25, v24
	v_add_u32_e32 v0, v24, v0
	v_lshrrev_b32_e32 v1, s26, v0
	v_mul_lo_u32 v0, v1, s24
	v_sub_u32_e32 v0, v24, v0
	v_mul_lo_u32 v2, v0, s21
	s_andn2_b64 vcc, exec, s[42:43]
	v_mul_lo_u32 v0, v0, s20
	s_cbranch_vccnz .LBB151_208
; %bb.207:
	v_mul_hi_u32 v3, s40, v1
	v_add_u32_e32 v3, v1, v3
	v_lshrrev_b32_e32 v3, s41, v3
	v_mul_lo_u32 v3, v3, s27
	v_sub_u32_e32 v3, v1, v3
	v_mad_u64_u32 v[0:1], s[0:1], v3, s22, v[0:1]
	v_mad_u64_u32 v[2:3], s[0:1], v3, s23, v[2:3]
.LBB151_208:
	s_waitcnt lgkmcnt(0)
	global_load_ushort v1, v2, s[18:19]
	v_mov_b32_e32 v2, 0x3ab69700
	s_mov_b32 s0, 0x43000000
	v_mov_b32_e32 v3, 0x7f000000
	s_mov_b32 s1, 0x42b17217
	;; [unrolled: 2-line block ×3, first 2 shown]
	s_movk_i32 s3, 0x7fff
	v_mov_b32_e32 v5, 0x7fc0
	v_add_u32_e32 v24, 0x80, v24
	s_waitcnt vmcnt(0)
	v_lshlrev_b32_e32 v1, 16, v1
	v_mul_f32_e32 v6, 0x3fb8aa3b, v1
	v_rndne_f32_e32 v6, v6
	v_fmamk_f32 v7, v6, 0xbf317218, v1
	v_fmamk_f32 v7, v6, 0x3102e308, v7
	v_cvt_i32_f32_e32 v8, v6
	v_fmac_f32_e32 v2, 0x395133b1, v7
	v_fmaak_f32 v2, v7, v2, 0x3c0887f9
	v_fmaak_f32 v2, v7, v2, 0x3d2aaa81
	v_fmaak_f32 v2, v7, v2, 0x3e2aaaab
	v_ldexp_f32 v8, 1.0, v8
	v_cmp_eq_f32_e32 vcc, s0, v6
	v_fma_f32 v2, v7, v2, 0.5
	v_mul_f32_e32 v2, v7, v2
	v_cndmask_b32_e32 v3, v8, v3, vcc
	v_add_f32_e32 v6, -1.0, v3
	v_fmac_f32_e32 v7, v7, v2
	v_fmac_f32_e32 v6, v3, v7
	v_add_f32_e32 v2, v6, v6
	v_cndmask_b32_e32 v2, v6, v2, vcc
	v_cmp_nlt_f32_e32 vcc, s1, v1
	s_nop 1
	v_cndmask_b32_e32 v2, v4, v2, vcc
	v_cmp_ngt_f32_e32 vcc, s2, v1
	s_nop 1
	v_cndmask_b32_e32 v1, -1.0, v2, vcc
	v_bfe_u32 v2, v1, 16, 1
	v_cmp_o_f32_e32 vcc, v1, v1
	v_add3_u32 v1, v1, v2, s3
	s_nop 0
	v_cndmask_b32_sdwa v1, v5, v1, vcc dst_sel:DWORD dst_unused:UNUSED_PAD src0_sel:DWORD src1_sel:WORD_1
	global_store_short v0, v1, s[16:17]
	s_or_b64 exec, exec, s[48:49]
	v_cmp_gt_i32_e32 vcc, s55, v24
	s_and_saveexec_b64 s[48:49], vcc
	s_cbranch_execnz .LBB151_193
.LBB151_209:
	s_or_b64 exec, exec, s[48:49]
	v_cmp_gt_i32_e32 vcc, s55, v24
	s_and_saveexec_b64 s[48:49], vcc
	s_cbranch_execz .LBB151_226
.LBB151_210:
	s_andn2_b64 vcc, exec, s[36:37]
	s_cbranch_vccnz .LBB151_216
; %bb.211:
	s_andn2_b64 vcc, exec, s[46:47]
	s_cbranch_vccnz .LBB151_217
; %bb.212:
	s_add_i32 s58, s56, 1
	s_cmp_eq_u32 s54, 2
	s_cbranch_scc1 .LBB151_229
; %bb.213:
	s_and_b32 s57, s58, 28
	s_mov_b32 s59, 0
	v_mov_b32_e32 v0, 0
	v_mov_b32_e32 v2, 0
	s_mov_b64 s[50:51], s[34:35]
	s_mov_b64 s[52:53], s[44:45]
	v_mov_b32_e32 v4, v24
.LBB151_214:                            ; =>This Inner Loop Header: Depth=1
	s_load_dwordx8 s[8:15], s[50:51], 0x4
	s_load_dwordx4 s[28:31], s[50:51], 0x24
	s_load_dwordx8 s[0:7], s[52:53], 0x0
	s_add_u32 s50, s50, 48
	s_addc_u32 s51, s51, 0
	s_waitcnt lgkmcnt(0)
	v_mul_hi_u32 v1, s9, v4
	v_add_u32_e32 v1, v4, v1
	v_lshrrev_b32_e32 v1, s10, v1
	v_mul_lo_u32 v3, v1, s8
	v_mul_hi_u32 v5, s12, v1
	v_sub_u32_e32 v3, v4, v3
	v_add_u32_e32 v4, v1, v5
	v_lshrrev_b32_e32 v4, s13, v4
	v_mul_lo_u32 v6, v4, s11
	v_mul_hi_u32 v7, s15, v4
	v_sub_u32_e32 v1, v1, v6
	v_add_u32_e32 v6, v4, v7
	v_mul_lo_u32 v5, v3, s1
	v_mul_lo_u32 v3, v3, s0
	;; [unrolled: 1-line block ×4, first 2 shown]
	v_lshrrev_b32_e32 v6, s28, v6
	v_add3_u32 v0, v3, v0, v1
	v_mul_hi_u32 v3, s30, v6
	v_add3_u32 v1, v5, v2, v7
	v_mul_lo_u32 v2, v6, s14
	v_add_u32_e32 v3, v6, v3
	v_sub_u32_e32 v2, v4, v2
	v_lshrrev_b32_e32 v4, s31, v3
	s_add_i32 s59, s59, 4
	v_mul_lo_u32 v3, v4, s29
	s_add_u32 s52, s52, 32
	v_sub_u32_e32 v3, v6, v3
	s_addc_u32 s53, s53, 0
	v_mul_lo_u32 v5, v2, s4
	v_mul_lo_u32 v2, v2, s5
	;; [unrolled: 1-line block ×4, first 2 shown]
	s_cmp_eq_u32 s57, s59
	v_add3_u32 v2, v2, v1, v3
	v_add3_u32 v0, v5, v0, v6
	s_cbranch_scc0 .LBB151_214
; %bb.215:
	v_mov_b32_e32 v1, v2
	s_branch .LBB151_230
.LBB151_216:
                                        ; implicit-def: $vgpr2
                                        ; implicit-def: $vgpr0
	s_branch .LBB151_234
.LBB151_217:
	v_mov_b32_e32 v2, 0
	v_mov_b32_e32 v0, 0
	s_branch .LBB151_233
.LBB151_218:
	v_mov_b32_e32 v0, 0
	s_mov_b32 s57, 0
	v_mov_b32_e32 v1, v0
                                        ; implicit-def: $vgpr2
	v_mov_b32_e32 v4, v24
.LBB151_219:
	s_and_b32 s4, s58, 3
	s_cmp_eq_u32 s4, 0
	s_cbranch_scc1 .LBB151_222
; %bb.220:
	s_lshl_b32 s0, s57, 3
	s_add_u32 s0, s34, s0
	s_addc_u32 s1, s35, 0
	s_add_u32 s0, s0, 0xc4
	s_addc_u32 s1, s1, 0
	s_mul_i32 s2, s57, 12
	s_add_u32 s2, s34, s2
	s_addc_u32 s3, s35, 0
.LBB151_221:                            ; =>This Inner Loop Header: Depth=1
	s_load_dwordx2 s[6:7], s[2:3], 0x4
	s_load_dword s5, s[2:3], 0xc
	s_load_dwordx2 s[8:9], s[0:1], 0x0
	v_mov_b32_e32 v2, v1
	s_add_u32 s2, s2, 12
	s_waitcnt lgkmcnt(0)
	v_mul_hi_u32 v1, s7, v4
	v_add_u32_e32 v1, v4, v1
	v_lshrrev_b32_e32 v1, s5, v1
	s_addc_u32 s3, s3, 0
	v_mul_lo_u32 v3, v1, s6
	s_add_u32 s0, s0, 8
	v_sub_u32_e32 v5, v4, v3
	s_addc_u32 s1, s1, 0
	s_add_i32 s4, s4, -1
	v_mov_b32_e32 v4, v1
	v_mad_u64_u32 v[2:3], s[6:7], v5, s9, v[2:3]
	v_mad_u64_u32 v[0:1], s[6:7], v5, s8, v[0:1]
	s_cmp_lg_u32 s4, 0
	v_mov_b32_e32 v1, v2
	s_cbranch_scc1 .LBB151_221
.LBB151_222:
	s_cbranch_execnz .LBB151_225
.LBB151_223:
	s_waitcnt lgkmcnt(0)
	v_mul_hi_u32 v0, s25, v24
	v_add_u32_e32 v0, v24, v0
	v_lshrrev_b32_e32 v1, s26, v0
	v_mul_lo_u32 v0, v1, s24
	v_sub_u32_e32 v0, v24, v0
	v_mul_lo_u32 v2, v0, s21
	s_andn2_b64 vcc, exec, s[42:43]
	v_mul_lo_u32 v0, v0, s20
	s_cbranch_vccnz .LBB151_225
; %bb.224:
	v_mul_hi_u32 v3, s40, v1
	v_add_u32_e32 v3, v1, v3
	v_lshrrev_b32_e32 v3, s41, v3
	v_mul_lo_u32 v3, v3, s27
	v_sub_u32_e32 v3, v1, v3
	v_mad_u64_u32 v[0:1], s[0:1], v3, s22, v[0:1]
	v_mad_u64_u32 v[2:3], s[0:1], v3, s23, v[2:3]
.LBB151_225:
	s_waitcnt lgkmcnt(0)
	global_load_ushort v1, v2, s[18:19]
	v_mov_b32_e32 v2, 0x3ab69700
	s_mov_b32 s0, 0x43000000
	v_mov_b32_e32 v3, 0x7f000000
	s_mov_b32 s1, 0x42b17217
	;; [unrolled: 2-line block ×3, first 2 shown]
	s_movk_i32 s3, 0x7fff
	v_mov_b32_e32 v5, 0x7fc0
	v_add_u32_e32 v24, 0x80, v24
	s_waitcnt vmcnt(0)
	v_lshlrev_b32_e32 v1, 16, v1
	v_mul_f32_e32 v6, 0x3fb8aa3b, v1
	v_rndne_f32_e32 v6, v6
	v_fmamk_f32 v7, v6, 0xbf317218, v1
	v_fmamk_f32 v7, v6, 0x3102e308, v7
	v_cvt_i32_f32_e32 v8, v6
	v_fmac_f32_e32 v2, 0x395133b1, v7
	v_fmaak_f32 v2, v7, v2, 0x3c0887f9
	v_fmaak_f32 v2, v7, v2, 0x3d2aaa81
	;; [unrolled: 1-line block ×3, first 2 shown]
	v_ldexp_f32 v8, 1.0, v8
	v_cmp_eq_f32_e32 vcc, s0, v6
	v_fma_f32 v2, v7, v2, 0.5
	v_mul_f32_e32 v2, v7, v2
	v_cndmask_b32_e32 v3, v8, v3, vcc
	v_add_f32_e32 v6, -1.0, v3
	v_fmac_f32_e32 v7, v7, v2
	v_fmac_f32_e32 v6, v3, v7
	v_add_f32_e32 v2, v6, v6
	v_cndmask_b32_e32 v2, v6, v2, vcc
	v_cmp_nlt_f32_e32 vcc, s1, v1
	s_nop 1
	v_cndmask_b32_e32 v2, v4, v2, vcc
	v_cmp_ngt_f32_e32 vcc, s2, v1
	s_nop 1
	v_cndmask_b32_e32 v1, -1.0, v2, vcc
	v_bfe_u32 v2, v1, 16, 1
	v_cmp_o_f32_e32 vcc, v1, v1
	v_add3_u32 v1, v1, v2, s3
	s_nop 0
	v_cndmask_b32_sdwa v1, v5, v1, vcc dst_sel:DWORD dst_unused:UNUSED_PAD src0_sel:DWORD src1_sel:WORD_1
	global_store_short v0, v1, s[16:17]
	s_or_b64 exec, exec, s[48:49]
	v_cmp_gt_i32_e32 vcc, s55, v24
	s_and_saveexec_b64 s[48:49], vcc
	s_cbranch_execnz .LBB151_210
.LBB151_226:
	s_or_b64 exec, exec, s[48:49]
	v_cmp_gt_i32_e32 vcc, s55, v24
	s_and_saveexec_b64 s[48:49], vcc
	s_cbranch_execnz .LBB151_237
.LBB151_227:
	s_or_b64 exec, exec, s[48:49]
                                        ; implicit-def: $vgpr32
                                        ; implicit-def: $vgpr24
	s_andn2_saveexec_b64 s[0:1], s[38:39]
	s_cbranch_execnz .LBB151_9
.LBB151_228:
	s_endpgm
.LBB151_229:
	v_mov_b32_e32 v0, 0
	s_mov_b32 s57, 0
	v_mov_b32_e32 v1, v0
                                        ; implicit-def: $vgpr2
	v_mov_b32_e32 v4, v24
.LBB151_230:
	s_and_b32 s4, s58, 3
	s_cmp_eq_u32 s4, 0
	s_cbranch_scc1 .LBB151_233
; %bb.231:
	s_lshl_b32 s0, s57, 3
	s_add_u32 s0, s34, s0
	s_addc_u32 s1, s35, 0
	s_add_u32 s0, s0, 0xc4
	s_addc_u32 s1, s1, 0
	s_mul_i32 s2, s57, 12
	s_add_u32 s2, s34, s2
	s_addc_u32 s3, s35, 0
.LBB151_232:                            ; =>This Inner Loop Header: Depth=1
	s_load_dwordx2 s[6:7], s[2:3], 0x4
	s_load_dword s5, s[2:3], 0xc
	s_load_dwordx2 s[8:9], s[0:1], 0x0
	v_mov_b32_e32 v2, v1
	s_add_u32 s2, s2, 12
	s_waitcnt lgkmcnt(0)
	v_mul_hi_u32 v1, s7, v4
	v_add_u32_e32 v1, v4, v1
	v_lshrrev_b32_e32 v1, s5, v1
	s_addc_u32 s3, s3, 0
	v_mul_lo_u32 v3, v1, s6
	s_add_u32 s0, s0, 8
	v_sub_u32_e32 v5, v4, v3
	s_addc_u32 s1, s1, 0
	s_add_i32 s4, s4, -1
	v_mov_b32_e32 v4, v1
	v_mad_u64_u32 v[2:3], s[6:7], v5, s9, v[2:3]
	v_mad_u64_u32 v[0:1], s[6:7], v5, s8, v[0:1]
	s_cmp_lg_u32 s4, 0
	v_mov_b32_e32 v1, v2
	s_cbranch_scc1 .LBB151_232
.LBB151_233:
	s_cbranch_execnz .LBB151_236
.LBB151_234:
	s_waitcnt lgkmcnt(0)
	v_mul_hi_u32 v0, s25, v24
	v_add_u32_e32 v0, v24, v0
	v_lshrrev_b32_e32 v1, s26, v0
	v_mul_lo_u32 v0, v1, s24
	v_sub_u32_e32 v0, v24, v0
	v_mul_lo_u32 v2, v0, s21
	s_andn2_b64 vcc, exec, s[42:43]
	v_mul_lo_u32 v0, v0, s20
	s_cbranch_vccnz .LBB151_236
; %bb.235:
	v_mul_hi_u32 v3, s40, v1
	v_add_u32_e32 v3, v1, v3
	v_lshrrev_b32_e32 v3, s41, v3
	v_mul_lo_u32 v3, v3, s27
	v_sub_u32_e32 v3, v1, v3
	v_mad_u64_u32 v[0:1], s[0:1], v3, s22, v[0:1]
	v_mad_u64_u32 v[2:3], s[0:1], v3, s23, v[2:3]
.LBB151_236:
	s_waitcnt lgkmcnt(0)
	global_load_ushort v1, v2, s[18:19]
	v_mov_b32_e32 v2, 0x3ab69700
	s_mov_b32 s0, 0x43000000
	v_mov_b32_e32 v3, 0x7f000000
	s_mov_b32 s1, 0x42b17217
	;; [unrolled: 2-line block ×3, first 2 shown]
	s_movk_i32 s3, 0x7fff
	v_mov_b32_e32 v5, 0x7fc0
	v_add_u32_e32 v24, 0x80, v24
	s_waitcnt vmcnt(0)
	v_lshlrev_b32_e32 v1, 16, v1
	v_mul_f32_e32 v6, 0x3fb8aa3b, v1
	v_rndne_f32_e32 v6, v6
	v_fmamk_f32 v7, v6, 0xbf317218, v1
	v_fmamk_f32 v7, v6, 0x3102e308, v7
	v_cvt_i32_f32_e32 v8, v6
	v_fmac_f32_e32 v2, 0x395133b1, v7
	v_fmaak_f32 v2, v7, v2, 0x3c0887f9
	v_fmaak_f32 v2, v7, v2, 0x3d2aaa81
	;; [unrolled: 1-line block ×3, first 2 shown]
	v_ldexp_f32 v8, 1.0, v8
	v_cmp_eq_f32_e32 vcc, s0, v6
	v_fma_f32 v2, v7, v2, 0.5
	v_mul_f32_e32 v2, v7, v2
	v_cndmask_b32_e32 v3, v8, v3, vcc
	v_add_f32_e32 v6, -1.0, v3
	v_fmac_f32_e32 v7, v7, v2
	v_fmac_f32_e32 v6, v3, v7
	v_add_f32_e32 v2, v6, v6
	v_cndmask_b32_e32 v2, v6, v2, vcc
	v_cmp_nlt_f32_e32 vcc, s1, v1
	s_nop 1
	v_cndmask_b32_e32 v2, v4, v2, vcc
	v_cmp_ngt_f32_e32 vcc, s2, v1
	s_nop 1
	v_cndmask_b32_e32 v1, -1.0, v2, vcc
	v_bfe_u32 v2, v1, 16, 1
	v_cmp_o_f32_e32 vcc, v1, v1
	v_add3_u32 v1, v1, v2, s3
	s_nop 0
	v_cndmask_b32_sdwa v1, v5, v1, vcc dst_sel:DWORD dst_unused:UNUSED_PAD src0_sel:DWORD src1_sel:WORD_1
	global_store_short v0, v1, s[16:17]
	s_or_b64 exec, exec, s[48:49]
	v_cmp_gt_i32_e32 vcc, s55, v24
	s_and_saveexec_b64 s[48:49], vcc
	s_cbranch_execz .LBB151_227
.LBB151_237:
	s_andn2_b64 vcc, exec, s[36:37]
	s_cbranch_vccnz .LBB151_243
; %bb.238:
	s_andn2_b64 vcc, exec, s[46:47]
	s_cbranch_vccnz .LBB151_244
; %bb.239:
	s_add_i32 s56, s56, 1
	s_cmp_eq_u32 s54, 2
	s_cbranch_scc1 .LBB151_245
; %bb.240:
	s_and_b32 s50, s56, 28
	s_mov_b32 s51, 0
	v_mov_b32_e32 v0, 0
	v_mov_b32_e32 v2, 0
	s_mov_b64 s[46:47], s[34:35]
	v_mov_b32_e32 v4, v24
.LBB151_241:                            ; =>This Inner Loop Header: Depth=1
	s_load_dwordx8 s[8:15], s[46:47], 0x4
	s_load_dwordx4 s[28:31], s[46:47], 0x24
	s_load_dwordx8 s[0:7], s[44:45], 0x0
	s_add_u32 s46, s46, 48
	s_addc_u32 s47, s47, 0
	s_waitcnt lgkmcnt(0)
	v_mul_hi_u32 v1, s9, v4
	v_add_u32_e32 v1, v4, v1
	v_lshrrev_b32_e32 v1, s10, v1
	v_mul_lo_u32 v3, v1, s8
	v_mul_hi_u32 v5, s12, v1
	v_sub_u32_e32 v3, v4, v3
	v_add_u32_e32 v4, v1, v5
	v_lshrrev_b32_e32 v4, s13, v4
	v_mul_lo_u32 v6, v4, s11
	v_mul_hi_u32 v7, s15, v4
	v_sub_u32_e32 v1, v1, v6
	v_add_u32_e32 v6, v4, v7
	v_mul_lo_u32 v5, v3, s1
	v_mul_lo_u32 v3, v3, s0
	;; [unrolled: 1-line block ×4, first 2 shown]
	v_lshrrev_b32_e32 v6, s28, v6
	v_add3_u32 v0, v3, v0, v1
	v_mul_hi_u32 v3, s30, v6
	v_add3_u32 v1, v5, v2, v7
	v_mul_lo_u32 v2, v6, s14
	v_add_u32_e32 v3, v6, v3
	v_sub_u32_e32 v2, v4, v2
	v_lshrrev_b32_e32 v4, s31, v3
	s_add_i32 s51, s51, 4
	v_mul_lo_u32 v3, v4, s29
	s_add_u32 s44, s44, 32
	v_sub_u32_e32 v3, v6, v3
	s_addc_u32 s45, s45, 0
	v_mul_lo_u32 v5, v2, s4
	v_mul_lo_u32 v2, v2, s5
	;; [unrolled: 1-line block ×4, first 2 shown]
	s_cmp_eq_u32 s50, s51
	v_add3_u32 v2, v2, v1, v3
	v_add3_u32 v0, v5, v0, v6
	s_cbranch_scc0 .LBB151_241
; %bb.242:
	v_mov_b32_e32 v1, v2
	s_branch .LBB151_246
.LBB151_243:
                                        ; implicit-def: $vgpr2
                                        ; implicit-def: $vgpr0
	s_branch .LBB151_250
.LBB151_244:
	v_mov_b32_e32 v2, 0
	v_mov_b32_e32 v0, 0
	s_branch .LBB151_249
.LBB151_245:
	v_mov_b32_e32 v0, 0
	s_mov_b32 s50, 0
	v_mov_b32_e32 v1, v0
                                        ; implicit-def: $vgpr2
	v_mov_b32_e32 v4, v24
.LBB151_246:
	s_and_b32 s4, s56, 3
	s_cmp_eq_u32 s4, 0
	s_cbranch_scc1 .LBB151_249
; %bb.247:
	s_lshl_b32 s0, s50, 3
	s_add_u32 s0, s34, s0
	s_addc_u32 s1, s35, 0
	s_add_u32 s0, s0, 0xc4
	s_addc_u32 s1, s1, 0
	s_mul_i32 s2, s50, 12
	s_add_u32 s2, s34, s2
	s_addc_u32 s3, s35, 0
.LBB151_248:                            ; =>This Inner Loop Header: Depth=1
	s_load_dwordx2 s[6:7], s[2:3], 0x4
	s_load_dword s5, s[2:3], 0xc
	s_load_dwordx2 s[8:9], s[0:1], 0x0
	v_mov_b32_e32 v2, v1
	s_add_u32 s2, s2, 12
	s_waitcnt lgkmcnt(0)
	v_mul_hi_u32 v1, s7, v4
	v_add_u32_e32 v1, v4, v1
	v_lshrrev_b32_e32 v1, s5, v1
	s_addc_u32 s3, s3, 0
	v_mul_lo_u32 v3, v1, s6
	s_add_u32 s0, s0, 8
	v_sub_u32_e32 v5, v4, v3
	s_addc_u32 s1, s1, 0
	s_add_i32 s4, s4, -1
	v_mov_b32_e32 v4, v1
	v_mad_u64_u32 v[2:3], s[6:7], v5, s9, v[2:3]
	v_mad_u64_u32 v[0:1], s[6:7], v5, s8, v[0:1]
	s_cmp_lg_u32 s4, 0
	v_mov_b32_e32 v1, v2
	s_cbranch_scc1 .LBB151_248
.LBB151_249:
	s_cbranch_execnz .LBB151_252
.LBB151_250:
	s_waitcnt lgkmcnt(0)
	v_mul_hi_u32 v0, s25, v24
	v_add_u32_e32 v0, v24, v0
	v_lshrrev_b32_e32 v1, s26, v0
	v_mul_lo_u32 v0, v1, s24
	v_sub_u32_e32 v0, v24, v0
	v_mul_lo_u32 v2, v0, s21
	s_andn2_b64 vcc, exec, s[42:43]
	v_mul_lo_u32 v0, v0, s20
	s_cbranch_vccnz .LBB151_252
; %bb.251:
	v_mul_hi_u32 v3, s40, v1
	v_add_u32_e32 v3, v1, v3
	v_lshrrev_b32_e32 v3, s41, v3
	v_mul_lo_u32 v3, v3, s27
	v_sub_u32_e32 v3, v1, v3
	v_mad_u64_u32 v[0:1], s[0:1], v3, s22, v[0:1]
	v_mad_u64_u32 v[2:3], s[0:1], v3, s23, v[2:3]
.LBB151_252:
	s_waitcnt lgkmcnt(0)
	global_load_ushort v1, v2, s[18:19]
	v_mov_b32_e32 v2, 0x3ab69700
	s_mov_b32 s0, 0x43000000
	v_mov_b32_e32 v3, 0x7f000000
	s_mov_b32 s1, 0x42b17217
	;; [unrolled: 2-line block ×3, first 2 shown]
	s_movk_i32 s3, 0x7fff
	v_mov_b32_e32 v5, 0x7fc0
	s_waitcnt vmcnt(0)
	v_lshlrev_b32_e32 v1, 16, v1
	v_mul_f32_e32 v6, 0x3fb8aa3b, v1
	v_rndne_f32_e32 v6, v6
	v_fmamk_f32 v7, v6, 0xbf317218, v1
	v_fmamk_f32 v7, v6, 0x3102e308, v7
	v_cvt_i32_f32_e32 v8, v6
	v_fmac_f32_e32 v2, 0x395133b1, v7
	v_fmaak_f32 v2, v7, v2, 0x3c0887f9
	v_fmaak_f32 v2, v7, v2, 0x3d2aaa81
	v_fmaak_f32 v2, v7, v2, 0x3e2aaaab
	v_ldexp_f32 v8, 1.0, v8
	v_cmp_eq_f32_e32 vcc, s0, v6
	v_fma_f32 v2, v7, v2, 0.5
	v_mul_f32_e32 v2, v7, v2
	v_cndmask_b32_e32 v3, v8, v3, vcc
	v_add_f32_e32 v6, -1.0, v3
	v_fmac_f32_e32 v7, v7, v2
	v_fmac_f32_e32 v6, v3, v7
	v_add_f32_e32 v2, v6, v6
	v_cndmask_b32_e32 v2, v6, v2, vcc
	v_cmp_nlt_f32_e32 vcc, s1, v1
	s_nop 1
	v_cndmask_b32_e32 v2, v4, v2, vcc
	v_cmp_ngt_f32_e32 vcc, s2, v1
	s_nop 1
	v_cndmask_b32_e32 v1, -1.0, v2, vcc
	v_bfe_u32 v2, v1, 16, 1
	v_cmp_o_f32_e32 vcc, v1, v1
	v_add3_u32 v1, v1, v2, s3
	s_nop 0
	v_cndmask_b32_sdwa v1, v5, v1, vcc dst_sel:DWORD dst_unused:UNUSED_PAD src0_sel:DWORD src1_sel:WORD_1
	global_store_short v0, v1, s[16:17]
	s_or_b64 exec, exec, s[48:49]
                                        ; implicit-def: $vgpr32
                                        ; implicit-def: $vgpr24
	s_andn2_saveexec_b64 s[0:1], s[38:39]
	s_cbranch_execz .LBB151_228
	s_branch .LBB151_9
	.section	.rodata,"a",@progbits
	.p2align	6, 0x0
	.amdhsa_kernel _ZN2at6native32elementwise_kernel_manual_unrollILi128ELi8EZNS0_22gpu_kernel_impl_nocastIZZZNS0_17expm1_kernel_cudaERNS_18TensorIteratorBaseEENKUlvE_clEvENKUlvE3_clEvEUlN3c108BFloat16EE_EEvS4_RKT_EUlibE_EEviT1_
		.amdhsa_group_segment_fixed_size 0
		.amdhsa_private_segment_fixed_size 0
		.amdhsa_kernarg_size 360
		.amdhsa_user_sgpr_count 2
		.amdhsa_user_sgpr_dispatch_ptr 0
		.amdhsa_user_sgpr_queue_ptr 0
		.amdhsa_user_sgpr_kernarg_segment_ptr 1
		.amdhsa_user_sgpr_dispatch_id 0
		.amdhsa_user_sgpr_kernarg_preload_length 0
		.amdhsa_user_sgpr_kernarg_preload_offset 0
		.amdhsa_user_sgpr_private_segment_size 0
		.amdhsa_uses_dynamic_stack 0
		.amdhsa_enable_private_segment 0
		.amdhsa_system_sgpr_workgroup_id_x 1
		.amdhsa_system_sgpr_workgroup_id_y 0
		.amdhsa_system_sgpr_workgroup_id_z 0
		.amdhsa_system_sgpr_workgroup_info 0
		.amdhsa_system_vgpr_workitem_id 0
		.amdhsa_next_free_vgpr 39
		.amdhsa_next_free_sgpr 60
		.amdhsa_accum_offset 40
		.amdhsa_reserve_vcc 1
		.amdhsa_float_round_mode_32 0
		.amdhsa_float_round_mode_16_64 0
		.amdhsa_float_denorm_mode_32 3
		.amdhsa_float_denorm_mode_16_64 3
		.amdhsa_dx10_clamp 1
		.amdhsa_ieee_mode 1
		.amdhsa_fp16_overflow 0
		.amdhsa_tg_split 0
		.amdhsa_exception_fp_ieee_invalid_op 0
		.amdhsa_exception_fp_denorm_src 0
		.amdhsa_exception_fp_ieee_div_zero 0
		.amdhsa_exception_fp_ieee_overflow 0
		.amdhsa_exception_fp_ieee_underflow 0
		.amdhsa_exception_fp_ieee_inexact 0
		.amdhsa_exception_int_div_zero 0
	.end_amdhsa_kernel
	.section	.text._ZN2at6native32elementwise_kernel_manual_unrollILi128ELi8EZNS0_22gpu_kernel_impl_nocastIZZZNS0_17expm1_kernel_cudaERNS_18TensorIteratorBaseEENKUlvE_clEvENKUlvE3_clEvEUlN3c108BFloat16EE_EEvS4_RKT_EUlibE_EEviT1_,"axG",@progbits,_ZN2at6native32elementwise_kernel_manual_unrollILi128ELi8EZNS0_22gpu_kernel_impl_nocastIZZZNS0_17expm1_kernel_cudaERNS_18TensorIteratorBaseEENKUlvE_clEvENKUlvE3_clEvEUlN3c108BFloat16EE_EEvS4_RKT_EUlibE_EEviT1_,comdat
.Lfunc_end151:
	.size	_ZN2at6native32elementwise_kernel_manual_unrollILi128ELi8EZNS0_22gpu_kernel_impl_nocastIZZZNS0_17expm1_kernel_cudaERNS_18TensorIteratorBaseEENKUlvE_clEvENKUlvE3_clEvEUlN3c108BFloat16EE_EEvS4_RKT_EUlibE_EEviT1_, .Lfunc_end151-_ZN2at6native32elementwise_kernel_manual_unrollILi128ELi8EZNS0_22gpu_kernel_impl_nocastIZZZNS0_17expm1_kernel_cudaERNS_18TensorIteratorBaseEENKUlvE_clEvENKUlvE3_clEvEUlN3c108BFloat16EE_EEvS4_RKT_EUlibE_EEviT1_
                                        ; -- End function
	.set _ZN2at6native32elementwise_kernel_manual_unrollILi128ELi8EZNS0_22gpu_kernel_impl_nocastIZZZNS0_17expm1_kernel_cudaERNS_18TensorIteratorBaseEENKUlvE_clEvENKUlvE3_clEvEUlN3c108BFloat16EE_EEvS4_RKT_EUlibE_EEviT1_.num_vgpr, 39
	.set _ZN2at6native32elementwise_kernel_manual_unrollILi128ELi8EZNS0_22gpu_kernel_impl_nocastIZZZNS0_17expm1_kernel_cudaERNS_18TensorIteratorBaseEENKUlvE_clEvENKUlvE3_clEvEUlN3c108BFloat16EE_EEvS4_RKT_EUlibE_EEviT1_.num_agpr, 0
	.set _ZN2at6native32elementwise_kernel_manual_unrollILi128ELi8EZNS0_22gpu_kernel_impl_nocastIZZZNS0_17expm1_kernel_cudaERNS_18TensorIteratorBaseEENKUlvE_clEvENKUlvE3_clEvEUlN3c108BFloat16EE_EEvS4_RKT_EUlibE_EEviT1_.numbered_sgpr, 60
	.set _ZN2at6native32elementwise_kernel_manual_unrollILi128ELi8EZNS0_22gpu_kernel_impl_nocastIZZZNS0_17expm1_kernel_cudaERNS_18TensorIteratorBaseEENKUlvE_clEvENKUlvE3_clEvEUlN3c108BFloat16EE_EEvS4_RKT_EUlibE_EEviT1_.num_named_barrier, 0
	.set _ZN2at6native32elementwise_kernel_manual_unrollILi128ELi8EZNS0_22gpu_kernel_impl_nocastIZZZNS0_17expm1_kernel_cudaERNS_18TensorIteratorBaseEENKUlvE_clEvENKUlvE3_clEvEUlN3c108BFloat16EE_EEvS4_RKT_EUlibE_EEviT1_.private_seg_size, 0
	.set _ZN2at6native32elementwise_kernel_manual_unrollILi128ELi8EZNS0_22gpu_kernel_impl_nocastIZZZNS0_17expm1_kernel_cudaERNS_18TensorIteratorBaseEENKUlvE_clEvENKUlvE3_clEvEUlN3c108BFloat16EE_EEvS4_RKT_EUlibE_EEviT1_.uses_vcc, 1
	.set _ZN2at6native32elementwise_kernel_manual_unrollILi128ELi8EZNS0_22gpu_kernel_impl_nocastIZZZNS0_17expm1_kernel_cudaERNS_18TensorIteratorBaseEENKUlvE_clEvENKUlvE3_clEvEUlN3c108BFloat16EE_EEvS4_RKT_EUlibE_EEviT1_.uses_flat_scratch, 0
	.set _ZN2at6native32elementwise_kernel_manual_unrollILi128ELi8EZNS0_22gpu_kernel_impl_nocastIZZZNS0_17expm1_kernel_cudaERNS_18TensorIteratorBaseEENKUlvE_clEvENKUlvE3_clEvEUlN3c108BFloat16EE_EEvS4_RKT_EUlibE_EEviT1_.has_dyn_sized_stack, 0
	.set _ZN2at6native32elementwise_kernel_manual_unrollILi128ELi8EZNS0_22gpu_kernel_impl_nocastIZZZNS0_17expm1_kernel_cudaERNS_18TensorIteratorBaseEENKUlvE_clEvENKUlvE3_clEvEUlN3c108BFloat16EE_EEvS4_RKT_EUlibE_EEviT1_.has_recursion, 0
	.set _ZN2at6native32elementwise_kernel_manual_unrollILi128ELi8EZNS0_22gpu_kernel_impl_nocastIZZZNS0_17expm1_kernel_cudaERNS_18TensorIteratorBaseEENKUlvE_clEvENKUlvE3_clEvEUlN3c108BFloat16EE_EEvS4_RKT_EUlibE_EEviT1_.has_indirect_call, 0
	.section	.AMDGPU.csdata,"",@progbits
; Kernel info:
; codeLenInByte = 14576
; TotalNumSgprs: 66
; NumVgprs: 39
; NumAgprs: 0
; TotalNumVgprs: 39
; ScratchSize: 0
; MemoryBound: 0
; FloatMode: 240
; IeeeMode: 1
; LDSByteSize: 0 bytes/workgroup (compile time only)
; SGPRBlocks: 8
; VGPRBlocks: 4
; NumSGPRsForWavesPerEU: 66
; NumVGPRsForWavesPerEU: 39
; AccumOffset: 40
; Occupancy: 8
; WaveLimiterHint : 1
; COMPUTE_PGM_RSRC2:SCRATCH_EN: 0
; COMPUTE_PGM_RSRC2:USER_SGPR: 2
; COMPUTE_PGM_RSRC2:TRAP_HANDLER: 0
; COMPUTE_PGM_RSRC2:TGID_X_EN: 1
; COMPUTE_PGM_RSRC2:TGID_Y_EN: 0
; COMPUTE_PGM_RSRC2:TGID_Z_EN: 0
; COMPUTE_PGM_RSRC2:TIDIG_COMP_CNT: 0
; COMPUTE_PGM_RSRC3_GFX90A:ACCUM_OFFSET: 9
; COMPUTE_PGM_RSRC3_GFX90A:TG_SPLIT: 0
	.section	.text._ZN2at6native32elementwise_kernel_manual_unrollILi128ELi4EZNS0_15gpu_kernel_implIZZZNS0_17expm1_kernel_cudaERNS_18TensorIteratorBaseEENKUlvE_clEvENKUlvE3_clEvEUlN3c108BFloat16EE_EEvS4_RKT_EUlibE_EEviT1_,"axG",@progbits,_ZN2at6native32elementwise_kernel_manual_unrollILi128ELi4EZNS0_15gpu_kernel_implIZZZNS0_17expm1_kernel_cudaERNS_18TensorIteratorBaseEENKUlvE_clEvENKUlvE3_clEvEUlN3c108BFloat16EE_EEvS4_RKT_EUlibE_EEviT1_,comdat
	.globl	_ZN2at6native32elementwise_kernel_manual_unrollILi128ELi4EZNS0_15gpu_kernel_implIZZZNS0_17expm1_kernel_cudaERNS_18TensorIteratorBaseEENKUlvE_clEvENKUlvE3_clEvEUlN3c108BFloat16EE_EEvS4_RKT_EUlibE_EEviT1_ ; -- Begin function _ZN2at6native32elementwise_kernel_manual_unrollILi128ELi4EZNS0_15gpu_kernel_implIZZZNS0_17expm1_kernel_cudaERNS_18TensorIteratorBaseEENKUlvE_clEvENKUlvE3_clEvEUlN3c108BFloat16EE_EEvS4_RKT_EUlibE_EEviT1_
	.p2align	8
	.type	_ZN2at6native32elementwise_kernel_manual_unrollILi128ELi4EZNS0_15gpu_kernel_implIZZZNS0_17expm1_kernel_cudaERNS_18TensorIteratorBaseEENKUlvE_clEvENKUlvE3_clEvEUlN3c108BFloat16EE_EEvS4_RKT_EUlibE_EEviT1_,@function
_ZN2at6native32elementwise_kernel_manual_unrollILi128ELi4EZNS0_15gpu_kernel_implIZZZNS0_17expm1_kernel_cudaERNS_18TensorIteratorBaseEENKUlvE_clEvENKUlvE3_clEvEUlN3c108BFloat16EE_EEvS4_RKT_EUlibE_EEviT1_: ; @_ZN2at6native32elementwise_kernel_manual_unrollILi128ELi4EZNS0_15gpu_kernel_implIZZZNS0_17expm1_kernel_cudaERNS_18TensorIteratorBaseEENKUlvE_clEvENKUlvE3_clEvEUlN3c108BFloat16EE_EEvS4_RKT_EUlibE_EEviT1_
; %bb.0:
	v_mov_b32_e32 v1, 0
	global_load_ushort v1, v1, s[0:1] offset:33
	s_load_dwordx4 s[4:7], s[0:1], 0x8
	s_load_dwordx2 s[8:9], s[0:1], 0x18
	s_load_dword s38, s[0:1], 0x0
	v_lshl_or_b32 v4, s2, 9, v0
	v_or_b32_e32 v0, 0x180, v4
	s_mov_b64 s[10:11], 0
	s_mov_b64 s[12:13], 0
	s_waitcnt lgkmcnt(0)
	v_cmp_le_i32_e32 vcc, s38, v0
	s_waitcnt vmcnt(0)
	v_readfirstlane_b32 s33, v1
	s_and_b32 s0, 0xffff, s33
	s_lshr_b32 s42, s0, 8
	s_and_saveexec_b64 s[0:1], vcc
	s_xor_b64 s[2:3], exec, s[0:1]
	s_cbranch_execz .LBB152_1029
; %bb.1:
	v_cmp_gt_i32_e32 vcc, s38, v4
	s_mov_b64 s[18:19], -1
	s_mov_b64 s[20:21], 0
	s_mov_b64 s[14:15], 0
	s_and_saveexec_b64 s[16:17], vcc
	s_cbranch_execz .LBB152_252
; %bb.2:
	v_mul_lo_u32 v0, v4, s9
	v_ashrrev_i32_e32 v1, 31, v0
	s_and_b32 s22, 0xffff, s42
	s_cmp_lt_i32 s22, 11
	v_lshl_add_u64 v[0:1], s[6:7], 0, v[0:1]
	s_cbranch_scc1 .LBB152_9
; %bb.3:
	s_cmp_gt_i32 s22, 25
	s_cbranch_scc0 .LBB152_18
; %bb.4:
	s_cmp_gt_i32 s22, 28
	s_cbranch_scc0 .LBB152_22
	;; [unrolled: 3-line block ×4, first 2 shown]
; %bb.7:
	s_cmp_eq_u32 s22, 46
	s_cbranch_scc0 .LBB152_28
; %bb.8:
	global_load_dword v2, v[0:1], off
	s_mov_b64 s[0:1], -1
	s_branch .LBB152_30
.LBB152_9:
                                        ; implicit-def: $vgpr2
	s_mov_b64 s[0:1], 0
	s_cbranch_execnz .LBB152_203
.LBB152_10:
	s_andn2_b64 vcc, exec, s[0:1]
	s_cbranch_vccnz .LBB152_250
.LBB152_11:
	s_waitcnt vmcnt(0)
	v_lshlrev_b32_e32 v0, 16, v2
	v_mul_f32_e32 v1, 0x3fb8aa3b, v0
	v_rndne_f32_e32 v1, v1
	v_fmamk_f32 v2, v1, 0xbf317218, v0
	v_fmamk_f32 v2, v1, 0x3102e308, v2
	v_mov_b32_e32 v3, 0x3ab69700
	v_fmac_f32_e32 v3, 0x395133b1, v2
	v_fmaak_f32 v3, v2, v3, 0x3c0887f9
	v_fmaak_f32 v3, v2, v3, 0x3d2aaa81
	v_cvt_i32_f32_e32 v5, v1
	v_fmaak_f32 v3, v2, v3, 0x3e2aaaab
	v_fma_f32 v3, v2, v3, 0.5
	v_mul_f32_e32 v3, v2, v3
	s_mov_b32 s0, 0x43000000
	v_fmac_f32_e32 v2, v2, v3
	v_ldexp_f32 v3, 1.0, v5
	v_mov_b32_e32 v5, 0x7f000000
	v_cmp_eq_f32_e32 vcc, s0, v1
	s_mov_b32 s0, 0x42b17217
	s_and_b32 s24, s33, 0xff
	v_cndmask_b32_e32 v1, v3, v5, vcc
	v_add_f32_e32 v3, -1.0, v1
	v_fmac_f32_e32 v3, v1, v2
	v_add_f32_e32 v1, v3, v3
	v_cndmask_b32_e32 v1, v3, v1, vcc
	v_mov_b32_e32 v2, 0x7f800000
	v_cmp_nlt_f32_e32 vcc, s0, v0
	s_mov_b32 s0, 0xc1880000
	s_cmp_lt_i32 s24, 11
	v_cndmask_b32_e32 v1, v2, v1, vcc
	v_cmp_ngt_f32_e32 vcc, s0, v0
	s_movk_i32 s0, 0x7fff
	s_nop 0
	v_cndmask_b32_e32 v0, -1.0, v1, vcc
	v_bfe_u32 v1, v0, 16, 1
	v_add3_u32 v1, v0, v1, s0
	v_cmp_o_f32_e32 vcc, v0, v0
	v_mov_b32_e32 v0, 0x7fc0
	s_nop 0
	v_cndmask_b32_sdwa v2, v0, v1, vcc dst_sel:DWORD dst_unused:UNUSED_PAD src0_sel:DWORD src1_sel:WORD_1
	v_mul_lo_u32 v0, v4, s8
	v_ashrrev_i32_e32 v1, 31, v0
	v_lshl_add_u64 v[0:1], s[4:5], 0, v[0:1]
	s_cbranch_scc1 .LBB152_19
; %bb.12:
	s_and_b32 s25, 0xffff, s24
	s_cmp_gt_i32 s25, 25
	s_cbranch_scc0 .LBB152_23
; %bb.13:
	s_cmp_gt_i32 s25, 28
	s_cbranch_scc0 .LBB152_25
; %bb.14:
	s_cmp_gt_i32 s25, 43
	s_cbranch_scc0 .LBB152_27
; %bb.15:
	s_cmp_gt_i32 s25, 45
	s_cbranch_scc0 .LBB152_33
; %bb.16:
	s_mov_b64 s[18:19], 0
	s_mov_b64 s[0:1], -1
	s_cmp_eq_u32 s25, 46
	s_mov_b64 s[12:13], 0
	s_cbranch_scc0 .LBB152_34
; %bb.17:
	v_and_b32_e32 v3, 0xffff, v2
	global_store_dword v[0:1], v3, off
	s_mov_b64 s[12:13], -1
	s_mov_b64 s[0:1], 0
	s_branch .LBB152_34
.LBB152_18:
	s_mov_b64 s[0:1], 0
                                        ; implicit-def: $vgpr2
	s_cbranch_execnz .LBB152_168
	s_branch .LBB152_202
.LBB152_19:
	s_mov_b64 s[0:1], 0
	s_mov_b64 s[12:13], 0
	s_cbranch_execnz .LBB152_103
.LBB152_20:
	s_andn2_b64 vcc, exec, s[12:13]
	s_cbranch_vccnz .LBB152_141
.LBB152_21:
	v_add_u32_e32 v4, 0x80, v4
	s_mov_b64 s[18:19], -1
	s_branch .LBB152_251
.LBB152_22:
	s_mov_b64 s[12:13], -1
	s_mov_b64 s[0:1], 0
                                        ; implicit-def: $vgpr2
	s_branch .LBB152_149
.LBB152_23:
	s_mov_b64 s[18:19], -1
	s_mov_b64 s[0:1], 0
	s_mov_b64 s[12:13], 0
	s_branch .LBB152_61
.LBB152_24:
	s_mov_b64 s[12:13], -1
	s_mov_b64 s[0:1], 0
                                        ; implicit-def: $vgpr2
	s_branch .LBB152_144
.LBB152_25:
	s_mov_b64 s[18:19], -1
	s_mov_b64 s[0:1], 0
	s_mov_b64 s[12:13], 0
	s_branch .LBB152_44
.LBB152_26:
	s_mov_b64 s[12:13], -1
	s_branch .LBB152_29
.LBB152_27:
	s_mov_b64 s[18:19], -1
	s_mov_b64 s[0:1], 0
	s_mov_b64 s[12:13], 0
	s_branch .LBB152_40
.LBB152_28:
	s_mov_b64 s[14:15], -1
.LBB152_29:
	s_mov_b64 s[0:1], 0
                                        ; implicit-def: $vgpr2
.LBB152_30:
	s_and_b64 vcc, exec, s[12:13]
	s_cbranch_vccz .LBB152_143
; %bb.31:
	s_cmp_eq_u32 s22, 44
	s_cbranch_scc0 .LBB152_142
; %bb.32:
	global_load_ubyte v2, v[0:1], off
	s_movk_i32 s12, 0xff
	v_mov_b32_e32 v3, 0x7f800001
	v_mov_b32_e32 v5, 0x400000
	;; [unrolled: 1-line block ×3, first 2 shown]
	s_mov_b64 s[0:1], -1
	s_mov_b64 s[14:15], 0
	s_waitcnt vmcnt(0)
	v_lshlrev_b32_e32 v7, 23, v2
	v_cmp_ne_u32_e32 vcc, s12, v2
	s_nop 1
	v_cndmask_b32_e32 v3, v3, v7, vcc
	v_cmp_ne_u32_e32 vcc, 0, v2
	s_nop 1
	v_cndmask_b32_e32 v2, v5, v3, vcc
	v_add_u32_e32 v3, 0x7fff, v2
	v_cmp_o_f32_e32 vcc, v2, v2
	s_nop 1
	v_cndmask_b32_sdwa v2, v6, v3, vcc dst_sel:DWORD dst_unused:UNUSED_PAD src0_sel:DWORD src1_sel:WORD_1
	s_branch .LBB152_143
.LBB152_33:
	s_mov_b64 s[18:19], -1
	s_mov_b64 s[0:1], 0
	s_mov_b64 s[12:13], 0
.LBB152_34:
	s_and_b64 vcc, exec, s[18:19]
	s_cbranch_vccz .LBB152_39
; %bb.35:
	s_cmp_eq_u32 s25, 44
	s_mov_b64 s[0:1], -1
	s_cbranch_scc0 .LBB152_39
; %bb.36:
	v_and_b32_e32 v5, 0xffff, v2
	v_bfe_u32 v3, v5, 7, 8
	s_movk_i32 s0, 0xff
	v_cmp_ne_u32_e32 vcc, s0, v3
	v_mov_b32_e32 v6, 0xff
	s_and_saveexec_b64 s[12:13], vcc
	s_cbranch_execz .LBB152_38
; %bb.37:
	v_lshlrev_b32_e32 v7, 16, v5
	s_mov_b32 s0, 0x3f0000
	v_lshrrev_b32_e32 v6, 7, v5
	v_and_b32_e32 v5, 64, v5
	v_and_or_b32 v3, v7, s0, v3
	v_cmp_ne_u32_e32 vcc, 0, v5
	v_cmp_ne_u32_e64 s[0:1], 0, v3
	s_and_b64 s[0:1], vcc, s[0:1]
	s_nop 0
	v_cndmask_b32_e64 v3, 0, 1, s[0:1]
	v_add_u32_e32 v6, v6, v3
.LBB152_38:
	s_or_b64 exec, exec, s[12:13]
	s_mov_b64 s[12:13], -1
	s_mov_b64 s[0:1], 0
	global_store_byte v[0:1], v6, off
.LBB152_39:
	s_mov_b64 s[18:19], 0
.LBB152_40:
	s_and_b64 vcc, exec, s[18:19]
	s_cbranch_vccz .LBB152_43
; %bb.41:
	s_cmp_eq_u32 s25, 29
	s_mov_b64 s[0:1], -1
	s_cbranch_scc0 .LBB152_43
; %bb.42:
	v_lshlrev_b32_e32 v3, 16, v2
	v_trunc_f32_e32 v3, v3
	v_mul_f32_e32 v5, 0x2f800000, v3
	v_floor_f32_e32 v5, v5
	v_fmamk_f32 v3, v5, 0xcf800000, v3
	v_cvt_u32_f32_e32 v7, v5
	v_cvt_u32_f32_e32 v6, v3
	s_mov_b64 s[12:13], -1
	s_mov_b64 s[0:1], 0
	s_mov_b64 s[18:19], 0
	global_store_dwordx2 v[0:1], v[6:7], off
	s_branch .LBB152_44
.LBB152_43:
	s_mov_b64 s[18:19], 0
.LBB152_44:
	s_and_b64 vcc, exec, s[18:19]
	s_cbranch_vccz .LBB152_60
; %bb.45:
	s_cmp_lt_i32 s25, 27
	s_mov_b64 s[12:13], -1
	s_cbranch_scc1 .LBB152_51
; %bb.46:
	s_cmp_gt_i32 s25, 27
	s_cbranch_scc0 .LBB152_48
; %bb.47:
	v_lshlrev_b32_e32 v3, 16, v2
	v_cvt_u32_f32_e32 v3, v3
	s_mov_b64 s[12:13], 0
	global_store_dword v[0:1], v3, off
.LBB152_48:
	s_andn2_b64 vcc, exec, s[12:13]
	s_cbranch_vccnz .LBB152_50
; %bb.49:
	v_lshlrev_b32_e32 v3, 16, v2
	v_cvt_u32_f32_e32 v3, v3
	global_store_short v[0:1], v3, off
.LBB152_50:
	s_mov_b64 s[12:13], 0
.LBB152_51:
	s_andn2_b64 vcc, exec, s[12:13]
	s_cbranch_vccnz .LBB152_59
; %bb.52:
	v_lshlrev_b32_e32 v6, 16, v2
	v_and_b32_e32 v5, 0x7fffffff, v6
	s_mov_b32 s12, 0x43800000
	v_cmp_gt_u32_e32 vcc, s12, v5
	v_mov_b32_e32 v7, 0x80
	s_and_saveexec_b64 s[12:13], vcc
	s_cbranch_execz .LBB152_58
; %bb.53:
	s_mov_b32 s18, 0x3bffffff
	v_and_b32_e32 v3, 0xffff, v2
	v_cmp_lt_u32_e32 vcc, s18, v5
	s_mov_b64 s[18:19], 0
                                        ; implicit-def: $vgpr5
	s_and_saveexec_b64 s[22:23], vcc
	s_xor_b64 s[22:23], exec, s[22:23]
	s_cbranch_execz .LBB152_279
; %bb.54:
	v_bfe_u32 v5, v3, 4, 1
	s_mov_b32 s26, 0x487ffff
	v_add3_u32 v5, v6, v5, s26
	s_mov_b64 s[18:19], exec
	v_lshrrev_b32_e32 v5, 20, v5
                                        ; implicit-def: $vgpr6
	s_andn2_saveexec_b64 s[22:23], s[22:23]
	s_cbranch_execnz .LBB152_280
.LBB152_55:
	s_or_b64 exec, exec, s[22:23]
	v_mov_b32_e32 v7, 0
	s_and_saveexec_b64 s[22:23], s[18:19]
.LBB152_56:
	v_lshrrev_b32_e32 v3, 8, v3
	s_movk_i32 s18, 0x80
	v_and_or_b32 v7, v3, s18, v5
.LBB152_57:
	s_or_b64 exec, exec, s[22:23]
.LBB152_58:
	s_or_b64 exec, exec, s[12:13]
	global_store_byte v[0:1], v7, off
.LBB152_59:
	s_mov_b64 s[12:13], -1
.LBB152_60:
	s_mov_b64 s[18:19], 0
.LBB152_61:
	s_and_b64 vcc, exec, s[18:19]
	s_cbranch_vccz .LBB152_102
; %bb.62:
	s_cmp_gt_i32 s25, 22
	s_mov_b64 s[18:19], -1
	s_cbranch_scc0 .LBB152_94
; %bb.63:
	s_cmp_lt_i32 s25, 24
	s_mov_b64 s[12:13], -1
	s_cbranch_scc1 .LBB152_83
; %bb.64:
	s_cmp_gt_i32 s25, 24
	s_cbranch_scc0 .LBB152_72
; %bb.65:
	v_lshlrev_b32_e32 v6, 16, v2
	v_and_b32_e32 v5, 0x7fffffff, v6
	s_mov_b32 s12, 0x47800000
	v_cmp_gt_u32_e32 vcc, s12, v5
	v_mov_b32_e32 v7, 0x80
	s_and_saveexec_b64 s[12:13], vcc
	s_cbranch_execz .LBB152_71
; %bb.66:
	s_mov_b32 s18, 0x37ffffff
	v_and_b32_e32 v3, 0xffff, v2
	v_cmp_lt_u32_e32 vcc, s18, v5
	s_mov_b64 s[18:19], 0
                                        ; implicit-def: $vgpr5
	s_and_saveexec_b64 s[22:23], vcc
	s_xor_b64 s[22:23], exec, s[22:23]
	s_cbranch_execz .LBB152_283
; %bb.67:
	v_bfe_u32 v5, v3, 5, 1
	s_mov_b32 s26, 0x88fffff
	v_add3_u32 v5, v6, v5, s26
	s_mov_b64 s[18:19], exec
	v_lshrrev_b32_e32 v5, 21, v5
                                        ; implicit-def: $vgpr6
	s_andn2_saveexec_b64 s[22:23], s[22:23]
	s_cbranch_execnz .LBB152_284
.LBB152_68:
	s_or_b64 exec, exec, s[22:23]
	v_mov_b32_e32 v7, 0
	s_and_saveexec_b64 s[22:23], s[18:19]
.LBB152_69:
	v_lshrrev_b32_e32 v3, 8, v3
	s_movk_i32 s18, 0x80
	v_and_or_b32 v7, v3, s18, v5
.LBB152_70:
	s_or_b64 exec, exec, s[22:23]
.LBB152_71:
	s_or_b64 exec, exec, s[12:13]
	s_mov_b64 s[12:13], 0
	global_store_byte v[0:1], v7, off
.LBB152_72:
	s_and_b64 vcc, exec, s[12:13]
	s_cbranch_vccz .LBB152_82
; %bb.73:
	v_lshlrev_b32_e32 v6, 16, v2
	v_and_b32_e32 v7, 0x7fffffff, v6
	s_mov_b32 s12, 0x43f00000
	v_and_b32_e32 v3, 0xffff, v2
	v_cmp_gt_u32_e32 vcc, s12, v7
                                        ; implicit-def: $vgpr5
	s_and_saveexec_b64 s[12:13], vcc
	s_xor_b64 s[12:13], exec, s[12:13]
	s_cbranch_execz .LBB152_79
; %bb.74:
	s_mov_b32 s18, 0x3c7fffff
	v_cmp_lt_u32_e32 vcc, s18, v7
                                        ; implicit-def: $vgpr5
	s_and_saveexec_b64 s[18:19], vcc
	s_xor_b64 s[18:19], exec, s[18:19]
; %bb.75:
	v_bfe_u32 v5, v3, 4, 1
	s_mov_b32 s22, 0x407ffff
	v_add3_u32 v5, v6, v5, s22
	v_lshrrev_b32_e32 v6, 20, v5
	v_and_b32_e32 v5, 0xff00000, v5
	s_mov_b32 s22, 0x7f00000
	v_mov_b32_e32 v7, 0x7e
	v_cmp_ne_u32_e32 vcc, s22, v5
	s_nop 1
	v_cndmask_b32_e32 v5, v7, v6, vcc
                                        ; implicit-def: $vgpr6
; %bb.76:
	s_andn2_saveexec_b64 s[18:19], s[18:19]
; %bb.77:
	s_mov_b32 s22, 0x46800000
	v_add_f32_e64 v5, |v6|, s22
; %bb.78:
	s_or_b64 exec, exec, s[18:19]
                                        ; implicit-def: $vgpr7
.LBB152_79:
	s_andn2_saveexec_b64 s[12:13], s[12:13]
; %bb.80:
	s_mov_b32 s18, 0x7f800000
	v_mov_b32_e32 v5, 0x7e
	v_mov_b32_e32 v6, 0x7f
	v_cmp_lt_u32_e32 vcc, s18, v7
	s_nop 1
	v_cndmask_b32_e32 v5, v5, v6, vcc
; %bb.81:
	s_or_b64 exec, exec, s[12:13]
	v_lshrrev_b32_e32 v3, 8, v3
	s_movk_i32 s12, 0x80
	v_and_or_b32 v3, v3, s12, v5
	global_store_byte v[0:1], v3, off
.LBB152_82:
	s_mov_b64 s[12:13], 0
.LBB152_83:
	s_andn2_b64 vcc, exec, s[12:13]
	s_cbranch_vccnz .LBB152_93
; %bb.84:
	v_lshlrev_b32_e32 v6, 16, v2
	v_and_b32_e32 v7, 0x7fffffff, v6
	s_mov_b32 s12, 0x47800000
	v_and_b32_e32 v3, 0xffff, v2
	v_cmp_gt_u32_e32 vcc, s12, v7
                                        ; implicit-def: $vgpr5
	s_and_saveexec_b64 s[12:13], vcc
	s_xor_b64 s[12:13], exec, s[12:13]
	s_cbranch_execz .LBB152_90
; %bb.85:
	s_mov_b32 s18, 0x387fffff
	v_cmp_lt_u32_e32 vcc, s18, v7
                                        ; implicit-def: $vgpr5
	s_and_saveexec_b64 s[18:19], vcc
	s_xor_b64 s[18:19], exec, s[18:19]
; %bb.86:
	v_bfe_u32 v5, v3, 5, 1
	s_mov_b32 s22, 0x80fffff
	v_add3_u32 v5, v6, v5, s22
	v_lshrrev_b32_e32 v5, 21, v5
                                        ; implicit-def: $vgpr6
; %bb.87:
	s_andn2_saveexec_b64 s[18:19], s[18:19]
; %bb.88:
	s_mov_b32 s22, 0x43000000
	v_add_f32_e64 v5, |v6|, s22
; %bb.89:
	s_or_b64 exec, exec, s[18:19]
                                        ; implicit-def: $vgpr7
.LBB152_90:
	s_andn2_saveexec_b64 s[12:13], s[12:13]
; %bb.91:
	s_mov_b32 s18, 0x7f800000
	v_mov_b32_e32 v5, 0x7c
	v_mov_b32_e32 v6, 0x7f
	v_cmp_lt_u32_e32 vcc, s18, v7
	s_nop 1
	v_cndmask_b32_e32 v5, v5, v6, vcc
; %bb.92:
	s_or_b64 exec, exec, s[12:13]
	v_lshrrev_b32_e32 v3, 8, v3
	s_movk_i32 s12, 0x80
	v_and_or_b32 v3, v3, s12, v5
	global_store_byte v[0:1], v3, off
.LBB152_93:
	s_mov_b64 s[18:19], 0
	s_mov_b64 s[12:13], -1
.LBB152_94:
	s_andn2_b64 vcc, exec, s[18:19]
	s_cbranch_vccnz .LBB152_102
; %bb.95:
	s_cmp_gt_i32 s25, 14
	s_mov_b64 s[18:19], -1
	s_cbranch_scc0 .LBB152_99
; %bb.96:
	s_cmp_eq_u32 s25, 15
	s_mov_b64 s[0:1], -1
	s_cbranch_scc0 .LBB152_98
; %bb.97:
	global_store_short v[0:1], v2, off
	s_mov_b64 s[12:13], -1
	s_mov_b64 s[0:1], 0
.LBB152_98:
	s_mov_b64 s[18:19], 0
.LBB152_99:
	s_and_b64 vcc, exec, s[18:19]
	s_cbranch_vccz .LBB152_102
; %bb.100:
	s_cmp_eq_u32 s25, 11
	s_mov_b64 s[0:1], -1
	s_cbranch_scc0 .LBB152_102
; %bb.101:
	v_and_b32_e32 v3, 0x7fff, v2
	v_cmp_ne_u16_e32 vcc, 0, v3
	s_mov_b64 s[12:13], -1
	s_mov_b64 s[0:1], 0
	v_cndmask_b32_e64 v3, 0, 1, vcc
	global_store_byte v[0:1], v3, off
.LBB152_102:
	s_branch .LBB152_20
.LBB152_103:
	s_and_b32 s18, 0xffff, s24
	s_cmp_lt_i32 s18, 5
	s_mov_b64 s[12:13], -1
	s_cbranch_scc1 .LBB152_124
; %bb.104:
	s_cmp_lt_i32 s18, 8
	s_cbranch_scc1 .LBB152_114
; %bb.105:
	s_cmp_lt_i32 s18, 9
	s_cbranch_scc1 .LBB152_111
; %bb.106:
	s_cmp_gt_i32 s18, 9
	s_cbranch_scc0 .LBB152_108
; %bb.107:
	v_lshlrev_b32_e32 v3, 16, v2
	v_mov_b32_e32 v8, 0
	v_cvt_f64_f32_e32 v[6:7], v3
	v_mov_b32_e32 v9, v8
	global_store_dwordx4 v[0:1], v[6:9], off
	s_mov_b64 s[12:13], 0
.LBB152_108:
	s_andn2_b64 vcc, exec, s[12:13]
	s_cbranch_vccnz .LBB152_110
; %bb.109:
	v_lshlrev_b32_e32 v6, 16, v2
	v_mov_b32_e32 v7, 0
	global_store_dwordx2 v[0:1], v[6:7], off
.LBB152_110:
	s_mov_b64 s[12:13], 0
.LBB152_111:
	s_andn2_b64 vcc, exec, s[12:13]
	s_cbranch_vccnz .LBB152_113
; %bb.112:
	v_lshlrev_b32_e32 v3, 16, v2
	v_cvt_f16_f32_e32 v3, v3
	global_store_dword v[0:1], v3, off
.LBB152_113:
	s_mov_b64 s[12:13], 0
.LBB152_114:
	s_andn2_b64 vcc, exec, s[12:13]
	s_cbranch_vccnz .LBB152_123
; %bb.115:
	s_cmp_lt_i32 s18, 6
	s_mov_b64 s[12:13], -1
	s_cbranch_scc1 .LBB152_121
; %bb.116:
	s_cmp_gt_i32 s18, 6
	s_cbranch_scc0 .LBB152_118
; %bb.117:
	v_lshlrev_b32_e32 v3, 16, v2
	v_cvt_f64_f32_e32 v[6:7], v3
	global_store_dwordx2 v[0:1], v[6:7], off
	s_mov_b64 s[12:13], 0
.LBB152_118:
	s_andn2_b64 vcc, exec, s[12:13]
	s_cbranch_vccnz .LBB152_120
; %bb.119:
	v_lshlrev_b32_e32 v3, 16, v2
	global_store_dword v[0:1], v3, off
.LBB152_120:
	s_mov_b64 s[12:13], 0
.LBB152_121:
	s_andn2_b64 vcc, exec, s[12:13]
	s_cbranch_vccnz .LBB152_123
; %bb.122:
	v_lshlrev_b32_e32 v3, 16, v2
	v_cvt_f16_f32_e32 v3, v3
	global_store_short v[0:1], v3, off
.LBB152_123:
	s_mov_b64 s[12:13], 0
.LBB152_124:
	s_andn2_b64 vcc, exec, s[12:13]
	s_cbranch_vccnz .LBB152_140
; %bb.125:
	s_cmp_lt_i32 s18, 2
	s_mov_b64 s[12:13], -1
	s_cbranch_scc1 .LBB152_135
; %bb.126:
	s_cmp_lt_i32 s18, 3
	s_cbranch_scc1 .LBB152_132
; %bb.127:
	s_cmp_gt_i32 s18, 3
	s_cbranch_scc0 .LBB152_129
; %bb.128:
	v_lshlrev_b32_e32 v3, 16, v2
	v_trunc_f32_e32 v3, v3
	s_mov_b32 s12, 0x2f800000
	v_mul_f32_e64 v5, |v3|, s12
	v_floor_f32_e32 v5, v5
	s_mov_b32 s12, 0xcf800000
	v_cvt_u32_f32_e32 v6, v5
	v_fma_f32 v5, v5, s12, |v3|
	v_cvt_u32_f32_e32 v5, v5
	v_ashrrev_i32_e32 v3, 31, v3
	v_xor_b32_e32 v7, v6, v3
	s_mov_b64 s[12:13], 0
	v_xor_b32_e32 v5, v5, v3
	v_sub_co_u32_e32 v6, vcc, v5, v3
	s_nop 1
	v_subb_co_u32_e32 v7, vcc, v7, v3, vcc
	global_store_dwordx2 v[0:1], v[6:7], off
.LBB152_129:
	s_andn2_b64 vcc, exec, s[12:13]
	s_cbranch_vccnz .LBB152_131
; %bb.130:
	v_lshlrev_b32_e32 v3, 16, v2
	v_cvt_i32_f32_e32 v3, v3
	global_store_dword v[0:1], v3, off
.LBB152_131:
	s_mov_b64 s[12:13], 0
.LBB152_132:
	s_andn2_b64 vcc, exec, s[12:13]
	s_cbranch_vccnz .LBB152_134
; %bb.133:
	v_lshlrev_b32_e32 v3, 16, v2
	v_cvt_i32_f32_e32 v3, v3
	global_store_short v[0:1], v3, off
.LBB152_134:
	s_mov_b64 s[12:13], 0
.LBB152_135:
	s_andn2_b64 vcc, exec, s[12:13]
	s_cbranch_vccnz .LBB152_140
; %bb.136:
	s_mov_b64 s[12:13], -1
	s_cmp_gt_i32 s18, 0
	v_lshlrev_b32_e32 v2, 16, v2
	s_cbranch_scc0 .LBB152_138
; %bb.137:
	v_cvt_i32_f32_e32 v3, v2
	s_mov_b64 s[12:13], 0
	global_store_byte v[0:1], v3, off
.LBB152_138:
	s_andn2_b64 vcc, exec, s[12:13]
	s_cbranch_vccnz .LBB152_140
; %bb.139:
	v_trunc_f32_e32 v2, v2
	s_mov_b32 s12, 0x2f800000
	v_mul_f32_e64 v3, |v2|, s12
	v_floor_f32_e32 v3, v3
	s_mov_b32 s12, 0xcf800000
	v_fma_f32 v3, v3, s12, |v2|
	v_cvt_u32_f32_e32 v3, v3
	v_ashrrev_i32_e32 v2, 31, v2
	v_xor_b32_e32 v3, v3, v2
	v_sub_u32_e32 v2, v3, v2
	global_store_byte v[0:1], v2, off
.LBB152_140:
	s_branch .LBB152_21
.LBB152_141:
	s_mov_b64 s[18:19], 0
                                        ; implicit-def: $vgpr4
	s_branch .LBB152_251
.LBB152_142:
	s_mov_b64 s[14:15], -1
                                        ; implicit-def: $vgpr2
.LBB152_143:
	s_mov_b64 s[12:13], 0
.LBB152_144:
	s_and_b64 vcc, exec, s[12:13]
	s_cbranch_vccz .LBB152_148
; %bb.145:
	s_cmp_eq_u32 s22, 29
	s_cbranch_scc0 .LBB152_147
; %bb.146:
	global_load_dwordx2 v[2:3], v[0:1], off
	s_movk_i32 s12, 0x7fff
	s_mov_b64 s[0:1], -1
	s_mov_b64 s[14:15], 0
	s_waitcnt vmcnt(0)
	v_ffbh_u32_e32 v5, v3
	v_min_u32_e32 v5, 32, v5
	v_lshlrev_b64 v[2:3], v5, v[2:3]
	v_min_u32_e32 v2, 1, v2
	v_or_b32_e32 v2, v3, v2
	v_cvt_f32_u32_e32 v2, v2
	v_sub_u32_e32 v3, 32, v5
	v_ldexp_f32 v2, v2, v3
	v_bfe_u32 v3, v2, 16, 1
	v_add3_u32 v2, v2, v3, s12
	v_lshrrev_b32_e32 v2, 16, v2
	s_branch .LBB152_148
.LBB152_147:
	s_mov_b64 s[14:15], -1
                                        ; implicit-def: $vgpr2
.LBB152_148:
	s_mov_b64 s[12:13], 0
.LBB152_149:
	s_and_b64 vcc, exec, s[12:13]
	s_cbranch_vccz .LBB152_167
; %bb.150:
	s_cmp_lt_i32 s22, 27
	s_cbranch_scc1 .LBB152_153
; %bb.151:
	s_cmp_gt_i32 s22, 27
	s_cbranch_scc0 .LBB152_154
; %bb.152:
	global_load_dword v2, v[0:1], off
	s_movk_i32 s0, 0x7fff
	s_waitcnt vmcnt(0)
	v_cvt_f32_u32_e32 v2, v2
	v_bfe_u32 v3, v2, 16, 1
	v_add3_u32 v2, v2, v3, s0
	v_lshrrev_b32_e32 v2, 16, v2
	s_mov_b64 s[0:1], 0
	s_branch .LBB152_155
.LBB152_153:
	s_mov_b64 s[0:1], -1
                                        ; implicit-def: $vgpr2
	s_branch .LBB152_158
.LBB152_154:
	s_mov_b64 s[0:1], -1
                                        ; implicit-def: $vgpr2
.LBB152_155:
	s_andn2_b64 vcc, exec, s[0:1]
	s_cbranch_vccnz .LBB152_157
; %bb.156:
	global_load_ushort v2, v[0:1], off
	s_movk_i32 s0, 0x7fff
	s_waitcnt vmcnt(0)
	v_cvt_f32_u32_e32 v2, v2
	v_bfe_u32 v3, v2, 16, 1
	v_add3_u32 v2, v2, v3, s0
	v_lshrrev_b32_e32 v2, 16, v2
.LBB152_157:
	s_mov_b64 s[0:1], 0
.LBB152_158:
	s_andn2_b64 vcc, exec, s[0:1]
	s_cbranch_vccnz .LBB152_166
; %bb.159:
	global_load_ubyte v2, v[0:1], off
	s_movk_i32 s0, 0x7f
	s_waitcnt vmcnt(0)
	v_cmp_lt_i16_e32 vcc, s0, v2
	s_mov_b64 s[0:1], 0
	s_and_saveexec_b64 s[12:13], vcc
	s_xor_b64 s[12:13], exec, s[12:13]
	s_cbranch_execz .LBB152_179
; %bb.160:
	s_movk_i32 s0, 0x80
	v_cmp_eq_u16_e32 vcc, s0, v2
	s_mov_b64 s[0:1], -1
	s_and_saveexec_b64 s[18:19], vcc
; %bb.161:
	s_xor_b64 s[0:1], exec, -1
; %bb.162:
	s_or_b64 exec, exec, s[18:19]
	s_and_b64 s[0:1], s[0:1], exec
	s_or_saveexec_b64 s[12:13], s[12:13]
	v_mov_b32_e32 v3, 0x7f800001
	s_xor_b64 exec, exec, s[12:13]
	s_cbranch_execnz .LBB152_180
.LBB152_163:
	s_or_b64 exec, exec, s[12:13]
	s_and_saveexec_b64 s[12:13], s[0:1]
	s_cbranch_execz .LBB152_165
.LBB152_164:
	v_lshlrev_b32_e32 v3, 24, v2
	v_and_b32_e32 v2, 0xffff, v2
	v_and_b32_e32 v5, 7, v2
	v_ffbh_u32_e32 v7, v5
	v_min_u32_e32 v7, 32, v7
	v_subrev_u32_e32 v8, 28, v7
	v_bfe_u32 v6, v2, 3, 4
	v_lshlrev_b32_e32 v2, v8, v2
	v_sub_u32_e32 v7, 29, v7
	v_and_b32_e32 v2, 7, v2
	v_cmp_eq_u32_e32 vcc, 0, v6
	v_and_b32_e32 v3, 0x80000000, v3
	s_nop 0
	v_cndmask_b32_e32 v6, v6, v7, vcc
	v_cndmask_b32_e32 v2, v5, v2, vcc
	v_mov_b32_e32 v5, 0x3b800000
	v_lshlrev_b32_e32 v2, 20, v2
	v_lshl_add_u32 v5, v6, 23, v5
	v_or3_b32 v3, v3, v5, v2
.LBB152_165:
	s_or_b64 exec, exec, s[12:13]
	v_bfe_u32 v2, v3, 16, 1
	s_movk_i32 s0, 0x7fff
	v_add3_u32 v2, v3, v2, s0
	v_cmp_o_f32_e32 vcc, v3, v3
	v_mov_b32_e32 v3, 0x7fc0
	s_nop 0
	v_cndmask_b32_sdwa v2, v3, v2, vcc dst_sel:DWORD dst_unused:UNUSED_PAD src0_sel:DWORD src1_sel:WORD_1
.LBB152_166:
	s_mov_b64 s[0:1], -1
.LBB152_167:
	s_branch .LBB152_202
.LBB152_168:
	s_cmp_gt_i32 s22, 22
	s_cbranch_scc0 .LBB152_178
; %bb.169:
	s_cmp_lt_i32 s22, 24
	s_cbranch_scc1 .LBB152_181
; %bb.170:
	s_cmp_gt_i32 s22, 24
	s_cbranch_scc0 .LBB152_182
; %bb.171:
	global_load_ubyte v2, v[0:1], off
	s_movk_i32 s0, 0x7f
	s_waitcnt vmcnt(0)
	v_cmp_lt_i16_e32 vcc, s0, v2
	s_mov_b64 s[0:1], 0
	s_and_saveexec_b64 s[12:13], vcc
	s_xor_b64 s[12:13], exec, s[12:13]
	s_cbranch_execz .LBB152_194
; %bb.172:
	s_movk_i32 s0, 0x80
	v_cmp_eq_u16_e32 vcc, s0, v2
	s_mov_b64 s[0:1], -1
	s_and_saveexec_b64 s[18:19], vcc
; %bb.173:
	s_xor_b64 s[0:1], exec, -1
; %bb.174:
	s_or_b64 exec, exec, s[18:19]
	s_and_b64 s[0:1], s[0:1], exec
	s_or_saveexec_b64 s[12:13], s[12:13]
	v_mov_b32_e32 v3, 0x7f800001
	s_xor_b64 exec, exec, s[12:13]
	s_cbranch_execnz .LBB152_195
.LBB152_175:
	s_or_b64 exec, exec, s[12:13]
	s_and_saveexec_b64 s[12:13], s[0:1]
	s_cbranch_execz .LBB152_177
.LBB152_176:
	v_lshlrev_b32_e32 v3, 24, v2
	v_and_b32_e32 v2, 0xffff, v2
	v_and_b32_e32 v5, 3, v2
	v_ffbh_u32_e32 v7, v5
	v_min_u32_e32 v7, 32, v7
	v_subrev_u32_e32 v8, 29, v7
	v_bfe_u32 v6, v2, 2, 5
	v_lshlrev_b32_e32 v2, v8, v2
	v_sub_u32_e32 v7, 30, v7
	v_and_b32_e32 v2, 3, v2
	v_cmp_eq_u32_e32 vcc, 0, v6
	v_and_b32_e32 v3, 0x80000000, v3
	s_nop 0
	v_cndmask_b32_e32 v6, v6, v7, vcc
	v_cndmask_b32_e32 v2, v5, v2, vcc
	v_mov_b32_e32 v5, 0x37800000
	v_lshlrev_b32_e32 v2, 21, v2
	v_lshl_add_u32 v5, v6, 23, v5
	v_or3_b32 v3, v3, v5, v2
.LBB152_177:
	s_or_b64 exec, exec, s[12:13]
	v_bfe_u32 v2, v3, 16, 1
	s_movk_i32 s0, 0x7fff
	v_add3_u32 v2, v3, v2, s0
	v_cmp_o_f32_e32 vcc, v3, v3
	v_mov_b32_e32 v3, 0x7fc0
	s_mov_b64 s[0:1], 0
	v_cndmask_b32_sdwa v2, v3, v2, vcc dst_sel:DWORD dst_unused:UNUSED_PAD src0_sel:DWORD src1_sel:WORD_1
	s_branch .LBB152_183
.LBB152_178:
	s_mov_b64 s[12:13], -1
                                        ; implicit-def: $vgpr2
	s_branch .LBB152_189
.LBB152_179:
	s_or_saveexec_b64 s[12:13], s[12:13]
	v_mov_b32_e32 v3, 0x7f800001
	s_xor_b64 exec, exec, s[12:13]
	s_cbranch_execz .LBB152_163
.LBB152_180:
	v_cmp_ne_u16_e32 vcc, 0, v2
	s_andn2_b64 s[0:1], s[0:1], exec
	s_and_b64 s[18:19], vcc, exec
	v_mov_b32_e32 v3, 0
	s_or_b64 s[0:1], s[0:1], s[18:19]
	s_or_b64 exec, exec, s[12:13]
	s_and_saveexec_b64 s[12:13], s[0:1]
	s_cbranch_execnz .LBB152_164
	s_branch .LBB152_165
.LBB152_181:
	s_mov_b64 s[0:1], -1
                                        ; implicit-def: $vgpr2
	s_branch .LBB152_186
.LBB152_182:
	s_mov_b64 s[0:1], -1
                                        ; implicit-def: $vgpr2
.LBB152_183:
	s_and_b64 vcc, exec, s[0:1]
	s_cbranch_vccz .LBB152_185
; %bb.184:
	global_load_ubyte v2, v[0:1], off
	s_mov_b32 s0, 0x7f800000
	s_brev_b32 s1, 1
	s_movk_i32 s12, 0x7fff
	s_waitcnt vmcnt(0)
	v_lshlrev_b32_e32 v2, 24, v2
	v_and_b32_e32 v3, 0x7f000000, v2
	v_ffbh_u32_e32 v5, v3
	v_min_u32_e32 v5, 32, v5
	v_sub_u32_e64 v5, v5, 4 clamp
	v_lshlrev_b32_e32 v7, v5, v3
	v_lshlrev_b32_e32 v5, 23, v5
	v_lshrrev_b32_e32 v7, 4, v7
	v_add_u32_e32 v6, 0x1000000, v3
	v_sub_u32_e32 v5, v7, v5
	v_ashrrev_i32_e32 v6, 8, v6
	v_add_u32_e32 v5, 0x3c000000, v5
	v_and_or_b32 v5, v6, s0, v5
	v_cmp_ne_u32_e32 vcc, 0, v3
	s_nop 1
	v_cndmask_b32_e32 v3, 0, v5, vcc
	v_and_or_b32 v2, v2, s1, v3
	v_bfe_u32 v3, v3, 16, 1
	v_add3_u32 v3, v2, v3, s12
	v_cmp_o_f32_e32 vcc, v2, v2
	v_mov_b32_e32 v2, 0x7fc0
	s_nop 0
	v_cndmask_b32_sdwa v2, v2, v3, vcc dst_sel:DWORD dst_unused:UNUSED_PAD src0_sel:DWORD src1_sel:WORD_1
.LBB152_185:
	s_mov_b64 s[0:1], 0
.LBB152_186:
	s_andn2_b64 vcc, exec, s[0:1]
	s_cbranch_vccnz .LBB152_188
; %bb.187:
	global_load_ubyte v2, v[0:1], off
	s_movk_i32 s0, 0x7f00
	s_brev_b32 s1, 16
	s_brev_b32 s12, 1
	s_movk_i32 s13, 0x7fff
	s_waitcnt vmcnt(0)
	v_lshlrev_b16_e32 v3, 8, v2
	v_lshlrev_b32_e32 v2, 25, v2
	v_lshrrev_b32_e32 v5, 4, v2
	v_and_or_b32 v6, v3, s0, 0.5
	v_or_b32_e32 v5, 0x70000000, v5
	v_add_f32_e32 v6, -0.5, v6
	v_mul_f32_e32 v5, 0x7800000, v5
	v_cmp_gt_u32_e32 vcc, s1, v2
	v_bfe_i32 v3, v3, 0, 16
	s_nop 0
	v_cndmask_b32_e32 v2, v5, v6, vcc
	v_and_or_b32 v3, v3, s12, v2
	v_bfe_u32 v2, v2, 16, 1
	v_add3_u32 v2, v3, v2, s13
	v_cmp_o_f32_e32 vcc, v3, v3
	v_mov_b32_e32 v3, 0x7fc0
	s_nop 0
	v_cndmask_b32_sdwa v2, v3, v2, vcc dst_sel:DWORD dst_unused:UNUSED_PAD src0_sel:DWORD src1_sel:WORD_1
.LBB152_188:
	s_mov_b64 s[12:13], 0
	s_mov_b64 s[0:1], -1
.LBB152_189:
	s_andn2_b64 vcc, exec, s[12:13]
	s_cbranch_vccnz .LBB152_202
; %bb.190:
	s_cmp_gt_i32 s22, 14
	s_cbranch_scc0 .LBB152_193
; %bb.191:
	s_cmp_eq_u32 s22, 15
	s_cbranch_scc0 .LBB152_196
; %bb.192:
	global_load_ushort v2, v[0:1], off
	s_mov_b64 s[0:1], -1
	s_mov_b64 s[14:15], 0
	s_branch .LBB152_197
.LBB152_193:
	s_mov_b64 s[12:13], -1
                                        ; implicit-def: $vgpr2
	s_branch .LBB152_198
.LBB152_194:
	s_or_saveexec_b64 s[12:13], s[12:13]
	v_mov_b32_e32 v3, 0x7f800001
	s_xor_b64 exec, exec, s[12:13]
	s_cbranch_execz .LBB152_175
.LBB152_195:
	v_cmp_ne_u16_e32 vcc, 0, v2
	s_andn2_b64 s[0:1], s[0:1], exec
	s_and_b64 s[18:19], vcc, exec
	v_mov_b32_e32 v3, 0
	s_or_b64 s[0:1], s[0:1], s[18:19]
	s_or_b64 exec, exec, s[12:13]
	s_and_saveexec_b64 s[12:13], s[0:1]
	s_cbranch_execnz .LBB152_176
	s_branch .LBB152_177
.LBB152_196:
	s_mov_b64 s[14:15], -1
                                        ; implicit-def: $vgpr2
.LBB152_197:
	s_mov_b64 s[12:13], 0
.LBB152_198:
	s_and_b64 vcc, exec, s[12:13]
	s_cbranch_vccz .LBB152_202
; %bb.199:
	s_cmp_eq_u32 s22, 11
	s_cbranch_scc0 .LBB152_201
; %bb.200:
	global_load_ubyte v2, v[0:1], off
	s_mov_b64 s[0:1], -1
	s_mov_b64 s[14:15], 0
	s_waitcnt vmcnt(0)
	v_cmp_ne_u16_e32 vcc, 0, v2
	s_nop 1
	v_cndmask_b32_e64 v2, 0, 1.0, vcc
	v_lshrrev_b32_e32 v2, 16, v2
	s_branch .LBB152_202
.LBB152_201:
	s_mov_b64 s[14:15], -1
                                        ; implicit-def: $vgpr2
.LBB152_202:
	s_branch .LBB152_10
.LBB152_203:
	s_cmp_lt_i32 s22, 5
	s_cbranch_scc1 .LBB152_208
; %bb.204:
	s_cmp_lt_i32 s22, 8
	s_cbranch_scc1 .LBB152_209
; %bb.205:
	;; [unrolled: 3-line block ×3, first 2 shown]
	s_cmp_gt_i32 s22, 9
	s_cbranch_scc0 .LBB152_211
; %bb.207:
	global_load_dwordx2 v[2:3], v[0:1], off
	s_movk_i32 s0, 0x7fff
	v_mov_b32_e32 v5, 0x7fc0
	s_waitcnt vmcnt(0)
	v_cvt_f32_f64_e32 v2, v[2:3]
	v_bfe_u32 v3, v2, 16, 1
	v_cmp_o_f32_e32 vcc, v2, v2
	v_add3_u32 v2, v2, v3, s0
	s_mov_b64 s[0:1], 0
	v_cndmask_b32_sdwa v2, v5, v2, vcc dst_sel:DWORD dst_unused:UNUSED_PAD src0_sel:DWORD src1_sel:WORD_1
	s_branch .LBB152_212
.LBB152_208:
                                        ; implicit-def: $vgpr2
	s_branch .LBB152_230
.LBB152_209:
	s_mov_b64 s[0:1], -1
                                        ; implicit-def: $vgpr2
	s_branch .LBB152_218
.LBB152_210:
	s_mov_b64 s[0:1], -1
                                        ; implicit-def: $vgpr2
	s_branch .LBB152_215
.LBB152_211:
	s_mov_b64 s[0:1], -1
                                        ; implicit-def: $vgpr2
.LBB152_212:
	s_andn2_b64 vcc, exec, s[0:1]
	s_cbranch_vccnz .LBB152_214
; %bb.213:
	global_load_dword v2, v[0:1], off
	s_movk_i32 s0, 0x7fff
	v_mov_b32_e32 v3, 0x7fc0
	s_waitcnt vmcnt(0)
	v_bfe_u32 v5, v2, 16, 1
	v_cmp_o_f32_e32 vcc, v2, v2
	v_add3_u32 v2, v2, v5, s0
	s_nop 0
	v_cndmask_b32_sdwa v2, v3, v2, vcc dst_sel:DWORD dst_unused:UNUSED_PAD src0_sel:DWORD src1_sel:WORD_1
.LBB152_214:
	s_mov_b64 s[0:1], 0
.LBB152_215:
	s_andn2_b64 vcc, exec, s[0:1]
	s_cbranch_vccnz .LBB152_217
; %bb.216:
	global_load_dword v2, v[0:1], off
	s_movk_i32 s0, 0x7fff
	v_mov_b32_e32 v5, 0x7fc0
	s_waitcnt vmcnt(0)
	v_cvt_f32_f16_e32 v3, v2
	v_cmp_o_f16_e32 vcc, v2, v2
	v_bfe_u32 v2, v3, 16, 1
	v_add3_u32 v2, v3, v2, s0
	v_cndmask_b32_sdwa v2, v5, v2, vcc dst_sel:DWORD dst_unused:UNUSED_PAD src0_sel:DWORD src1_sel:WORD_1
.LBB152_217:
	s_mov_b64 s[0:1], 0
.LBB152_218:
	s_andn2_b64 vcc, exec, s[0:1]
	s_cbranch_vccnz .LBB152_229
; %bb.219:
	s_cmp_lt_i32 s22, 6
	s_cbranch_scc1 .LBB152_222
; %bb.220:
	s_cmp_gt_i32 s22, 6
	s_cbranch_scc0 .LBB152_223
; %bb.221:
	global_load_dwordx2 v[2:3], v[0:1], off
	s_movk_i32 s0, 0x7fff
	v_mov_b32_e32 v5, 0x7fc0
	s_waitcnt vmcnt(0)
	v_cvt_f32_f64_e32 v2, v[2:3]
	v_bfe_u32 v3, v2, 16, 1
	v_cmp_o_f32_e32 vcc, v2, v2
	v_add3_u32 v2, v2, v3, s0
	s_mov_b64 s[0:1], 0
	v_cndmask_b32_sdwa v2, v5, v2, vcc dst_sel:DWORD dst_unused:UNUSED_PAD src0_sel:DWORD src1_sel:WORD_1
	s_branch .LBB152_224
.LBB152_222:
	s_mov_b64 s[0:1], -1
                                        ; implicit-def: $vgpr2
	s_branch .LBB152_227
.LBB152_223:
	s_mov_b64 s[0:1], -1
                                        ; implicit-def: $vgpr2
.LBB152_224:
	s_andn2_b64 vcc, exec, s[0:1]
	s_cbranch_vccnz .LBB152_226
; %bb.225:
	global_load_dword v2, v[0:1], off
	s_movk_i32 s0, 0x7fff
	v_mov_b32_e32 v3, 0x7fc0
	s_waitcnt vmcnt(0)
	v_bfe_u32 v5, v2, 16, 1
	v_cmp_o_f32_e32 vcc, v2, v2
	v_add3_u32 v2, v2, v5, s0
	s_nop 0
	v_cndmask_b32_sdwa v2, v3, v2, vcc dst_sel:DWORD dst_unused:UNUSED_PAD src0_sel:DWORD src1_sel:WORD_1
.LBB152_226:
	s_mov_b64 s[0:1], 0
.LBB152_227:
	s_andn2_b64 vcc, exec, s[0:1]
	s_cbranch_vccnz .LBB152_229
; %bb.228:
	global_load_ushort v2, v[0:1], off
	s_movk_i32 s0, 0x7fff
	v_mov_b32_e32 v5, 0x7fc0
	s_waitcnt vmcnt(0)
	v_cvt_f32_f16_e32 v3, v2
	v_cmp_o_f16_e32 vcc, v2, v2
	v_bfe_u32 v2, v3, 16, 1
	v_add3_u32 v2, v3, v2, s0
	v_cndmask_b32_sdwa v2, v5, v2, vcc dst_sel:DWORD dst_unused:UNUSED_PAD src0_sel:DWORD src1_sel:WORD_1
.LBB152_229:
	s_cbranch_execnz .LBB152_249
.LBB152_230:
	s_cmp_lt_i32 s22, 2
	s_cbranch_scc1 .LBB152_234
; %bb.231:
	s_cmp_lt_i32 s22, 3
	s_cbranch_scc1 .LBB152_235
; %bb.232:
	s_cmp_gt_i32 s22, 3
	s_cbranch_scc0 .LBB152_236
; %bb.233:
	global_load_dwordx2 v[2:3], v[0:1], off
	s_movk_i32 s0, 0x7fff
	s_waitcnt vmcnt(0)
	v_xor_b32_e32 v6, v2, v3
	v_ffbh_i32_e32 v5, v3
	v_ashrrev_i32_e32 v6, 31, v6
	v_add_u32_e32 v5, -1, v5
	v_add_u32_e32 v6, 32, v6
	v_min_u32_e32 v5, v5, v6
	v_lshlrev_b64 v[2:3], v5, v[2:3]
	v_min_u32_e32 v2, 1, v2
	v_or_b32_e32 v2, v3, v2
	v_cvt_f32_i32_e32 v2, v2
	v_sub_u32_e32 v3, 32, v5
	v_ldexp_f32 v2, v2, v3
	v_bfe_u32 v3, v2, 16, 1
	v_add3_u32 v2, v2, v3, s0
	v_lshrrev_b32_e32 v2, 16, v2
	s_mov_b64 s[0:1], 0
	s_branch .LBB152_237
.LBB152_234:
	s_mov_b64 s[0:1], -1
                                        ; implicit-def: $vgpr2
	s_branch .LBB152_243
.LBB152_235:
	s_mov_b64 s[0:1], -1
                                        ; implicit-def: $vgpr2
	s_branch .LBB152_240
.LBB152_236:
	s_mov_b64 s[0:1], -1
                                        ; implicit-def: $vgpr2
.LBB152_237:
	s_andn2_b64 vcc, exec, s[0:1]
	s_cbranch_vccnz .LBB152_239
; %bb.238:
	global_load_dword v2, v[0:1], off
	s_movk_i32 s0, 0x7fff
	s_waitcnt vmcnt(0)
	v_cvt_f32_i32_e32 v2, v2
	v_bfe_u32 v3, v2, 16, 1
	v_add3_u32 v2, v2, v3, s0
	v_lshrrev_b32_e32 v2, 16, v2
.LBB152_239:
	s_mov_b64 s[0:1], 0
.LBB152_240:
	s_andn2_b64 vcc, exec, s[0:1]
	s_cbranch_vccnz .LBB152_242
; %bb.241:
	global_load_sshort v2, v[0:1], off
	s_movk_i32 s0, 0x7fff
	s_waitcnt vmcnt(0)
	v_cvt_f32_i32_e32 v2, v2
	v_bfe_u32 v3, v2, 16, 1
	v_add3_u32 v2, v2, v3, s0
	v_lshrrev_b32_e32 v2, 16, v2
.LBB152_242:
	s_mov_b64 s[0:1], 0
.LBB152_243:
	s_andn2_b64 vcc, exec, s[0:1]
	s_cbranch_vccnz .LBB152_249
; %bb.244:
	s_cmp_gt_i32 s22, 0
	s_cbranch_scc0 .LBB152_246
; %bb.245:
	global_load_sbyte v2, v[0:1], off
	s_movk_i32 s0, 0x7fff
	s_waitcnt vmcnt(0)
	v_cvt_f32_i32_e32 v2, v2
	v_bfe_u32 v3, v2, 16, 1
	v_add3_u32 v2, v2, v3, s0
	v_lshrrev_b32_e32 v2, 16, v2
	s_mov_b64 s[0:1], 0
	s_branch .LBB152_247
.LBB152_246:
	s_mov_b64 s[0:1], -1
                                        ; implicit-def: $vgpr2
.LBB152_247:
	s_andn2_b64 vcc, exec, s[0:1]
	s_cbranch_vccnz .LBB152_249
; %bb.248:
	global_load_ubyte v0, v[0:1], off
	s_movk_i32 s0, 0x7fff
	s_waitcnt vmcnt(0)
	v_cvt_f32_ubyte0_e32 v0, v0
	v_bfe_u32 v1, v0, 16, 1
	v_add3_u32 v0, v0, v1, s0
	v_lshrrev_b32_e32 v2, 16, v0
.LBB152_249:
	s_branch .LBB152_11
.LBB152_250:
	s_mov_b64 s[0:1], 0
                                        ; implicit-def: $vgpr4
	s_mov_b64 s[18:19], 0
.LBB152_251:
	s_and_b64 s[12:13], s[0:1], exec
	s_and_b64 s[14:15], s[14:15], exec
	s_orn2_b64 s[18:19], s[18:19], exec
.LBB152_252:
	s_or_b64 exec, exec, s[16:17]
	s_mov_b64 s[22:23], 0
	s_mov_b64 s[0:1], 0
                                        ; implicit-def: $vgpr0_vgpr1
                                        ; implicit-def: $vgpr3
	s_and_saveexec_b64 s[16:17], s[18:19]
	s_cbranch_execz .LBB152_261
; %bb.253:
	v_cmp_gt_i32_e32 vcc, s38, v4
	s_mov_b64 s[0:1], -1
	s_mov_b64 s[18:19], s[14:15]
	s_mov_b64 s[20:21], s[12:13]
	s_and_saveexec_b64 s[22:23], vcc
	s_cbranch_execz .LBB152_514
; %bb.254:
	v_mul_lo_u32 v0, v4, s9
	v_ashrrev_i32_e32 v1, 31, v0
	s_and_b32 s26, 0xffff, s42
	s_cmp_lt_i32 s26, 11
	v_lshl_add_u64 v[0:1], s[6:7], 0, v[0:1]
	s_cbranch_scc1 .LBB152_264
; %bb.255:
	s_cmp_gt_i32 s26, 25
	s_cbranch_scc0 .LBB152_273
; %bb.256:
	s_cmp_gt_i32 s26, 28
	s_cbranch_scc0 .LBB152_275
	;; [unrolled: 3-line block ×4, first 2 shown]
; %bb.259:
	s_cmp_eq_u32 s26, 46
	s_mov_b64 s[20:21], 0
	s_cbranch_scc0 .LBB152_285
; %bb.260:
	global_load_dword v2, v[0:1], off
	s_mov_b64 s[18:19], 0
	s_branch .LBB152_286
.LBB152_261:
	s_or_b64 exec, exec, s[16:17]
	s_mov_b64 s[16:17], 0
	s_and_saveexec_b64 s[18:19], s[14:15]
	s_cbranch_execnz .LBB152_861
.LBB152_262:
	s_or_b64 exec, exec, s[18:19]
	s_and_saveexec_b64 s[14:15], s[20:21]
	s_xor_b64 s[14:15], exec, s[14:15]
	s_cbranch_execz .LBB152_862
.LBB152_263:
	global_load_ubyte v2, v[0:1], off
	s_or_b64 s[0:1], s[0:1], exec
	s_waitcnt vmcnt(0)
	v_cmp_ne_u16_e32 vcc, 0, v2
	s_nop 1
	v_cndmask_b32_e64 v2, 0, 1.0, vcc
	v_lshrrev_b32_e32 v3, 16, v2
	s_or_b64 exec, exec, s[14:15]
	s_and_saveexec_b64 s[14:15], s[22:23]
	s_cbranch_execz .LBB152_908
	s_branch .LBB152_863
.LBB152_264:
	s_mov_b64 s[0:1], 0
                                        ; implicit-def: $vgpr2
	s_mov_b64 s[18:19], s[14:15]
	s_cbranch_execnz .LBB152_463
.LBB152_265:
	s_andn2_b64 vcc, exec, s[0:1]
	s_cbranch_vccnz .LBB152_511
.LBB152_266:
	s_waitcnt vmcnt(0)
	v_lshlrev_b32_e32 v0, 16, v2
	v_mul_f32_e32 v1, 0x3fb8aa3b, v0
	v_rndne_f32_e32 v1, v1
	v_fmamk_f32 v2, v1, 0xbf317218, v0
	v_fmamk_f32 v2, v1, 0x3102e308, v2
	v_mov_b32_e32 v3, 0x3ab69700
	v_fmac_f32_e32 v3, 0x395133b1, v2
	v_fmaak_f32 v3, v2, v3, 0x3c0887f9
	v_fmaak_f32 v3, v2, v3, 0x3d2aaa81
	v_cvt_i32_f32_e32 v5, v1
	v_fmaak_f32 v3, v2, v3, 0x3e2aaaab
	v_fma_f32 v3, v2, v3, 0.5
	v_mul_f32_e32 v3, v2, v3
	s_mov_b32 s0, 0x43000000
	v_fmac_f32_e32 v2, v2, v3
	v_ldexp_f32 v3, 1.0, v5
	v_mov_b32_e32 v5, 0x7f000000
	v_cmp_eq_f32_e32 vcc, s0, v1
	s_mov_b32 s0, 0x42b17217
	s_and_b32 s28, s33, 0xff
	v_cndmask_b32_e32 v1, v3, v5, vcc
	v_add_f32_e32 v3, -1.0, v1
	v_fmac_f32_e32 v3, v1, v2
	v_add_f32_e32 v1, v3, v3
	v_cndmask_b32_e32 v1, v3, v1, vcc
	v_mov_b32_e32 v2, 0x7f800000
	v_cmp_nlt_f32_e32 vcc, s0, v0
	s_mov_b32 s0, 0xc1880000
	s_cmp_lt_i32 s28, 11
	v_cndmask_b32_e32 v1, v2, v1, vcc
	v_cmp_ngt_f32_e32 vcc, s0, v0
	s_movk_i32 s0, 0x7fff
	s_nop 0
	v_cndmask_b32_e32 v0, -1.0, v1, vcc
	v_bfe_u32 v1, v0, 16, 1
	v_add3_u32 v1, v0, v1, s0
	v_cmp_o_f32_e32 vcc, v0, v0
	v_mov_b32_e32 v0, 0x7fc0
	s_nop 0
	v_cndmask_b32_sdwa v2, v0, v1, vcc dst_sel:DWORD dst_unused:UNUSED_PAD src0_sel:DWORD src1_sel:WORD_1
	v_mul_lo_u32 v0, v4, s8
	v_ashrrev_i32_e32 v1, 31, v0
	v_lshl_add_u64 v[0:1], s[4:5], 0, v[0:1]
	s_cbranch_scc1 .LBB152_274
; %bb.267:
	s_and_b32 s29, 0xffff, s28
	s_cmp_gt_i32 s29, 25
	s_cbranch_scc0 .LBB152_276
; %bb.268:
	s_cmp_gt_i32 s29, 28
	s_cbranch_scc0 .LBB152_278
; %bb.269:
	;; [unrolled: 3-line block ×4, first 2 shown]
	s_mov_b64 s[24:25], 0
	s_mov_b64 s[0:1], -1
	s_cmp_eq_u32 s29, 46
	s_mov_b64 s[20:21], 0
	s_cbranch_scc0 .LBB152_290
; %bb.272:
	v_and_b32_e32 v3, 0xffff, v2
	global_store_dword v[0:1], v3, off
	s_mov_b64 s[20:21], -1
	s_mov_b64 s[0:1], 0
	s_branch .LBB152_290
.LBB152_273:
	s_mov_b64 s[20:21], -1
	s_mov_b64 s[0:1], 0
	s_mov_b64 s[18:19], s[14:15]
                                        ; implicit-def: $vgpr2
	s_branch .LBB152_427
.LBB152_274:
	s_mov_b64 s[24:25], -1
	s_mov_b64 s[20:21], 0
	s_mov_b64 s[0:1], s[12:13]
	s_branch .LBB152_359
.LBB152_275:
	s_mov_b64 s[20:21], -1
	s_mov_b64 s[0:1], 0
	s_mov_b64 s[18:19], s[14:15]
                                        ; implicit-def: $vgpr2
	s_branch .LBB152_408
.LBB152_276:
	s_mov_b64 s[24:25], -1
	s_mov_b64 s[20:21], 0
	s_mov_b64 s[0:1], s[12:13]
	s_branch .LBB152_317
.LBB152_277:
	s_mov_b64 s[20:21], -1
	s_mov_b64 s[0:1], 0
	s_mov_b64 s[18:19], s[14:15]
                                        ; implicit-def: $vgpr2
	s_branch .LBB152_403
.LBB152_278:
	s_mov_b64 s[24:25], -1
	s_mov_b64 s[20:21], 0
	s_mov_b64 s[0:1], s[12:13]
	s_branch .LBB152_300
.LBB152_279:
	s_andn2_saveexec_b64 s[22:23], s[22:23]
	s_cbranch_execz .LBB152_55
.LBB152_280:
	s_mov_b32 s26, 0x46000000
	v_add_f32_e64 v5, |v6|, s26
	v_and_b32_e32 v5, 0xff, v5
	v_cmp_ne_u32_e32 vcc, 0, v5
	s_andn2_b64 s[18:19], s[18:19], exec
	s_and_b64 s[26:27], vcc, exec
	s_or_b64 s[18:19], s[18:19], s[26:27]
	s_or_b64 exec, exec, s[22:23]
	v_mov_b32_e32 v7, 0
	s_and_saveexec_b64 s[22:23], s[18:19]
	s_cbranch_execnz .LBB152_56
	s_branch .LBB152_57
.LBB152_281:
	s_mov_b64 s[20:21], -1
	s_mov_b64 s[0:1], 0
	s_mov_b64 s[18:19], s[14:15]
                                        ; implicit-def: $vgpr2
	s_branch .LBB152_286
.LBB152_282:
	s_mov_b64 s[24:25], -1
	s_mov_b64 s[20:21], 0
	s_mov_b64 s[0:1], s[12:13]
	s_branch .LBB152_296
.LBB152_283:
	s_andn2_saveexec_b64 s[22:23], s[22:23]
	s_cbranch_execz .LBB152_68
.LBB152_284:
	s_mov_b32 s26, 0x42800000
	v_add_f32_e64 v5, |v6|, s26
	v_and_b32_e32 v5, 0xff, v5
	v_cmp_ne_u32_e32 vcc, 0, v5
	s_andn2_b64 s[18:19], s[18:19], exec
	s_and_b64 s[26:27], vcc, exec
	s_or_b64 s[18:19], s[18:19], s[26:27]
	s_or_b64 exec, exec, s[22:23]
	v_mov_b32_e32 v7, 0
	s_and_saveexec_b64 s[22:23], s[18:19]
	s_cbranch_execnz .LBB152_69
	s_branch .LBB152_70
.LBB152_285:
	s_mov_b64 s[18:19], -1
                                        ; implicit-def: $vgpr2
	s_mov_b64 s[0:1], 0
.LBB152_286:
	s_and_b64 vcc, exec, s[20:21]
	s_cbranch_vccz .LBB152_402
; %bb.287:
	s_cmp_eq_u32 s26, 44
	s_cbranch_scc0 .LBB152_401
; %bb.288:
	global_load_ubyte v2, v[0:1], off
	s_movk_i32 s18, 0xff
	v_mov_b32_e32 v3, 0x7f800001
	v_mov_b32_e32 v5, 0x400000
	;; [unrolled: 1-line block ×3, first 2 shown]
	s_mov_b64 s[0:1], -1
	s_waitcnt vmcnt(0)
	v_lshlrev_b32_e32 v7, 23, v2
	v_cmp_ne_u32_e32 vcc, s18, v2
	s_mov_b64 s[18:19], 0
	s_nop 0
	v_cndmask_b32_e32 v3, v3, v7, vcc
	v_cmp_ne_u32_e32 vcc, 0, v2
	s_nop 1
	v_cndmask_b32_e32 v2, v5, v3, vcc
	v_add_u32_e32 v3, 0x7fff, v2
	v_cmp_o_f32_e32 vcc, v2, v2
	s_nop 1
	v_cndmask_b32_sdwa v2, v6, v3, vcc dst_sel:DWORD dst_unused:UNUSED_PAD src0_sel:DWORD src1_sel:WORD_1
	s_branch .LBB152_402
.LBB152_289:
	s_mov_b64 s[24:25], -1
	s_mov_b64 s[20:21], 0
	s_mov_b64 s[0:1], s[12:13]
.LBB152_290:
	s_and_b64 vcc, exec, s[24:25]
	s_cbranch_vccz .LBB152_295
; %bb.291:
	s_cmp_eq_u32 s29, 44
	s_mov_b64 s[0:1], -1
	s_cbranch_scc0 .LBB152_295
; %bb.292:
	v_and_b32_e32 v5, 0xffff, v2
	v_bfe_u32 v3, v5, 7, 8
	s_movk_i32 s0, 0xff
	v_cmp_ne_u32_e32 vcc, s0, v3
	v_mov_b32_e32 v6, 0xff
	s_and_saveexec_b64 s[20:21], vcc
	s_cbranch_execz .LBB152_294
; %bb.293:
	v_lshlrev_b32_e32 v7, 16, v5
	s_mov_b32 s0, 0x3f0000
	v_lshrrev_b32_e32 v6, 7, v5
	v_and_b32_e32 v5, 64, v5
	v_and_or_b32 v3, v7, s0, v3
	v_cmp_ne_u32_e32 vcc, 0, v5
	v_cmp_ne_u32_e64 s[0:1], 0, v3
	s_and_b64 s[0:1], vcc, s[0:1]
	s_nop 0
	v_cndmask_b32_e64 v3, 0, 1, s[0:1]
	v_add_u32_e32 v6, v6, v3
.LBB152_294:
	s_or_b64 exec, exec, s[20:21]
	s_mov_b64 s[20:21], -1
	s_mov_b64 s[0:1], 0
	global_store_byte v[0:1], v6, off
.LBB152_295:
	s_mov_b64 s[24:25], 0
.LBB152_296:
	s_and_b64 vcc, exec, s[24:25]
	s_cbranch_vccz .LBB152_299
; %bb.297:
	s_cmp_eq_u32 s29, 29
	s_mov_b64 s[0:1], -1
	s_cbranch_scc0 .LBB152_299
; %bb.298:
	v_lshlrev_b32_e32 v3, 16, v2
	v_trunc_f32_e32 v3, v3
	v_mul_f32_e32 v5, 0x2f800000, v3
	v_floor_f32_e32 v5, v5
	v_fmamk_f32 v3, v5, 0xcf800000, v3
	v_cvt_u32_f32_e32 v7, v5
	v_cvt_u32_f32_e32 v6, v3
	s_mov_b64 s[20:21], -1
	s_mov_b64 s[0:1], 0
	s_mov_b64 s[24:25], 0
	global_store_dwordx2 v[0:1], v[6:7], off
	s_branch .LBB152_300
.LBB152_299:
	s_mov_b64 s[24:25], 0
.LBB152_300:
	s_and_b64 vcc, exec, s[24:25]
	s_cbranch_vccz .LBB152_316
; %bb.301:
	s_cmp_lt_i32 s29, 27
	s_mov_b64 s[20:21], -1
	s_cbranch_scc1 .LBB152_307
; %bb.302:
	s_cmp_gt_i32 s29, 27
	s_cbranch_scc0 .LBB152_304
; %bb.303:
	v_lshlrev_b32_e32 v3, 16, v2
	v_cvt_u32_f32_e32 v3, v3
	s_mov_b64 s[20:21], 0
	global_store_dword v[0:1], v3, off
.LBB152_304:
	s_andn2_b64 vcc, exec, s[20:21]
	s_cbranch_vccnz .LBB152_306
; %bb.305:
	v_lshlrev_b32_e32 v3, 16, v2
	v_cvt_u32_f32_e32 v3, v3
	global_store_short v[0:1], v3, off
.LBB152_306:
	s_mov_b64 s[20:21], 0
.LBB152_307:
	s_andn2_b64 vcc, exec, s[20:21]
	s_cbranch_vccnz .LBB152_315
; %bb.308:
	v_lshlrev_b32_e32 v6, 16, v2
	v_and_b32_e32 v5, 0x7fffffff, v6
	s_mov_b32 s20, 0x43800000
	v_cmp_gt_u32_e32 vcc, s20, v5
	v_mov_b32_e32 v7, 0x80
	s_and_saveexec_b64 s[20:21], vcc
	s_cbranch_execz .LBB152_314
; %bb.309:
	s_mov_b32 s24, 0x3bffffff
	v_and_b32_e32 v3, 0xffff, v2
	v_cmp_lt_u32_e32 vcc, s24, v5
	s_mov_b64 s[24:25], 0
                                        ; implicit-def: $vgpr5
	s_and_saveexec_b64 s[26:27], vcc
	s_xor_b64 s[26:27], exec, s[26:27]
	s_cbranch_execz .LBB152_527
; %bb.310:
	v_bfe_u32 v5, v3, 4, 1
	s_mov_b32 s30, 0x487ffff
	v_add3_u32 v5, v6, v5, s30
	s_mov_b64 s[24:25], exec
	v_lshrrev_b32_e32 v5, 20, v5
                                        ; implicit-def: $vgpr6
	s_andn2_saveexec_b64 s[26:27], s[26:27]
	s_cbranch_execnz .LBB152_528
.LBB152_311:
	s_or_b64 exec, exec, s[26:27]
	v_mov_b32_e32 v7, 0
	s_and_saveexec_b64 s[26:27], s[24:25]
.LBB152_312:
	v_lshrrev_b32_e32 v3, 8, v3
	s_movk_i32 s24, 0x80
	v_and_or_b32 v7, v3, s24, v5
.LBB152_313:
	s_or_b64 exec, exec, s[26:27]
.LBB152_314:
	s_or_b64 exec, exec, s[20:21]
	global_store_byte v[0:1], v7, off
.LBB152_315:
	s_mov_b64 s[20:21], -1
.LBB152_316:
	s_mov_b64 s[24:25], 0
.LBB152_317:
	s_and_b64 vcc, exec, s[24:25]
	s_cbranch_vccz .LBB152_358
; %bb.318:
	s_cmp_gt_i32 s29, 22
	s_mov_b64 s[24:25], -1
	s_cbranch_scc0 .LBB152_350
; %bb.319:
	s_cmp_lt_i32 s29, 24
	s_mov_b64 s[20:21], -1
	s_cbranch_scc1 .LBB152_339
; %bb.320:
	s_cmp_gt_i32 s29, 24
	s_cbranch_scc0 .LBB152_328
; %bb.321:
	v_lshlrev_b32_e32 v6, 16, v2
	v_and_b32_e32 v5, 0x7fffffff, v6
	s_mov_b32 s20, 0x47800000
	v_cmp_gt_u32_e32 vcc, s20, v5
	v_mov_b32_e32 v7, 0x80
	s_and_saveexec_b64 s[20:21], vcc
	s_cbranch_execz .LBB152_327
; %bb.322:
	s_mov_b32 s24, 0x37ffffff
	v_and_b32_e32 v3, 0xffff, v2
	v_cmp_lt_u32_e32 vcc, s24, v5
	s_mov_b64 s[24:25], 0
                                        ; implicit-def: $vgpr5
	s_and_saveexec_b64 s[26:27], vcc
	s_xor_b64 s[26:27], exec, s[26:27]
	s_cbranch_execz .LBB152_530
; %bb.323:
	v_bfe_u32 v5, v3, 5, 1
	s_mov_b32 s30, 0x88fffff
	v_add3_u32 v5, v6, v5, s30
	s_mov_b64 s[24:25], exec
	v_lshrrev_b32_e32 v5, 21, v5
                                        ; implicit-def: $vgpr6
	s_andn2_saveexec_b64 s[26:27], s[26:27]
	s_cbranch_execnz .LBB152_531
.LBB152_324:
	s_or_b64 exec, exec, s[26:27]
	v_mov_b32_e32 v7, 0
	s_and_saveexec_b64 s[26:27], s[24:25]
.LBB152_325:
	v_lshrrev_b32_e32 v3, 8, v3
	s_movk_i32 s24, 0x80
	v_and_or_b32 v7, v3, s24, v5
.LBB152_326:
	s_or_b64 exec, exec, s[26:27]
.LBB152_327:
	s_or_b64 exec, exec, s[20:21]
	s_mov_b64 s[20:21], 0
	global_store_byte v[0:1], v7, off
.LBB152_328:
	s_and_b64 vcc, exec, s[20:21]
	s_cbranch_vccz .LBB152_338
; %bb.329:
	v_lshlrev_b32_e32 v6, 16, v2
	v_and_b32_e32 v7, 0x7fffffff, v6
	s_mov_b32 s20, 0x43f00000
	v_and_b32_e32 v3, 0xffff, v2
	v_cmp_gt_u32_e32 vcc, s20, v7
                                        ; implicit-def: $vgpr5
	s_and_saveexec_b64 s[20:21], vcc
	s_xor_b64 s[20:21], exec, s[20:21]
	s_cbranch_execz .LBB152_335
; %bb.330:
	s_mov_b32 s24, 0x3c7fffff
	v_cmp_lt_u32_e32 vcc, s24, v7
                                        ; implicit-def: $vgpr5
	s_and_saveexec_b64 s[24:25], vcc
	s_xor_b64 s[24:25], exec, s[24:25]
; %bb.331:
	v_bfe_u32 v5, v3, 4, 1
	s_mov_b32 s26, 0x407ffff
	v_add3_u32 v5, v6, v5, s26
	v_lshrrev_b32_e32 v6, 20, v5
	v_and_b32_e32 v5, 0xff00000, v5
	s_mov_b32 s26, 0x7f00000
	v_mov_b32_e32 v7, 0x7e
	v_cmp_ne_u32_e32 vcc, s26, v5
	s_nop 1
	v_cndmask_b32_e32 v5, v7, v6, vcc
                                        ; implicit-def: $vgpr6
; %bb.332:
	s_andn2_saveexec_b64 s[24:25], s[24:25]
; %bb.333:
	s_mov_b32 s26, 0x46800000
	v_add_f32_e64 v5, |v6|, s26
; %bb.334:
	s_or_b64 exec, exec, s[24:25]
                                        ; implicit-def: $vgpr7
.LBB152_335:
	s_andn2_saveexec_b64 s[20:21], s[20:21]
; %bb.336:
	s_mov_b32 s24, 0x7f800000
	v_mov_b32_e32 v5, 0x7e
	v_mov_b32_e32 v6, 0x7f
	v_cmp_lt_u32_e32 vcc, s24, v7
	s_nop 1
	v_cndmask_b32_e32 v5, v5, v6, vcc
; %bb.337:
	s_or_b64 exec, exec, s[20:21]
	v_lshrrev_b32_e32 v3, 8, v3
	s_movk_i32 s20, 0x80
	v_and_or_b32 v3, v3, s20, v5
	global_store_byte v[0:1], v3, off
.LBB152_338:
	s_mov_b64 s[20:21], 0
.LBB152_339:
	s_andn2_b64 vcc, exec, s[20:21]
	s_cbranch_vccnz .LBB152_349
; %bb.340:
	v_lshlrev_b32_e32 v6, 16, v2
	v_and_b32_e32 v7, 0x7fffffff, v6
	s_mov_b32 s20, 0x47800000
	v_and_b32_e32 v3, 0xffff, v2
	v_cmp_gt_u32_e32 vcc, s20, v7
                                        ; implicit-def: $vgpr5
	s_and_saveexec_b64 s[20:21], vcc
	s_xor_b64 s[20:21], exec, s[20:21]
	s_cbranch_execz .LBB152_346
; %bb.341:
	s_mov_b32 s24, 0x387fffff
	v_cmp_lt_u32_e32 vcc, s24, v7
                                        ; implicit-def: $vgpr5
	s_and_saveexec_b64 s[24:25], vcc
	s_xor_b64 s[24:25], exec, s[24:25]
; %bb.342:
	v_bfe_u32 v5, v3, 5, 1
	s_mov_b32 s26, 0x80fffff
	v_add3_u32 v5, v6, v5, s26
	v_lshrrev_b32_e32 v5, 21, v5
                                        ; implicit-def: $vgpr6
; %bb.343:
	s_andn2_saveexec_b64 s[24:25], s[24:25]
; %bb.344:
	s_mov_b32 s26, 0x43000000
	v_add_f32_e64 v5, |v6|, s26
; %bb.345:
	s_or_b64 exec, exec, s[24:25]
                                        ; implicit-def: $vgpr7
.LBB152_346:
	s_andn2_saveexec_b64 s[20:21], s[20:21]
; %bb.347:
	s_mov_b32 s24, 0x7f800000
	v_mov_b32_e32 v5, 0x7c
	v_mov_b32_e32 v6, 0x7f
	v_cmp_lt_u32_e32 vcc, s24, v7
	s_nop 1
	v_cndmask_b32_e32 v5, v5, v6, vcc
; %bb.348:
	s_or_b64 exec, exec, s[20:21]
	v_lshrrev_b32_e32 v3, 8, v3
	s_movk_i32 s20, 0x80
	v_and_or_b32 v3, v3, s20, v5
	global_store_byte v[0:1], v3, off
.LBB152_349:
	s_mov_b64 s[24:25], 0
	s_mov_b64 s[20:21], -1
.LBB152_350:
	s_andn2_b64 vcc, exec, s[24:25]
	s_cbranch_vccnz .LBB152_358
; %bb.351:
	s_cmp_gt_i32 s29, 14
	s_mov_b64 s[24:25], -1
	s_cbranch_scc0 .LBB152_355
; %bb.352:
	s_cmp_eq_u32 s29, 15
	s_mov_b64 s[0:1], -1
	s_cbranch_scc0 .LBB152_354
; %bb.353:
	global_store_short v[0:1], v2, off
	s_mov_b64 s[20:21], -1
	s_mov_b64 s[0:1], 0
.LBB152_354:
	s_mov_b64 s[24:25], 0
.LBB152_355:
	s_and_b64 vcc, exec, s[24:25]
	s_cbranch_vccz .LBB152_358
; %bb.356:
	s_cmp_eq_u32 s29, 11
	s_mov_b64 s[0:1], -1
	s_cbranch_scc0 .LBB152_358
; %bb.357:
	v_and_b32_e32 v3, 0x7fff, v2
	v_cmp_ne_u16_e32 vcc, 0, v3
	s_mov_b64 s[20:21], -1
	s_mov_b64 s[0:1], 0
	v_cndmask_b32_e64 v3, 0, 1, vcc
	global_store_byte v[0:1], v3, off
.LBB152_358:
	s_mov_b64 s[24:25], 0
.LBB152_359:
	s_and_b64 vcc, exec, s[24:25]
	s_cbranch_vccz .LBB152_398
; %bb.360:
	s_and_b32 s24, 0xffff, s28
	s_cmp_lt_i32 s24, 5
	s_mov_b64 s[20:21], -1
	s_cbranch_scc1 .LBB152_381
; %bb.361:
	s_cmp_lt_i32 s24, 8
	s_cbranch_scc1 .LBB152_371
; %bb.362:
	s_cmp_lt_i32 s24, 9
	s_cbranch_scc1 .LBB152_368
; %bb.363:
	s_cmp_gt_i32 s24, 9
	s_cbranch_scc0 .LBB152_365
; %bb.364:
	v_lshlrev_b32_e32 v3, 16, v2
	v_mov_b32_e32 v8, 0
	v_cvt_f64_f32_e32 v[6:7], v3
	v_mov_b32_e32 v9, v8
	s_mov_b64 s[20:21], 0
	global_store_dwordx4 v[0:1], v[6:9], off
.LBB152_365:
	s_andn2_b64 vcc, exec, s[20:21]
	s_cbranch_vccnz .LBB152_367
; %bb.366:
	v_lshlrev_b32_e32 v6, 16, v2
	v_mov_b32_e32 v7, 0
	global_store_dwordx2 v[0:1], v[6:7], off
.LBB152_367:
	s_mov_b64 s[20:21], 0
.LBB152_368:
	s_andn2_b64 vcc, exec, s[20:21]
	s_cbranch_vccnz .LBB152_370
; %bb.369:
	v_lshlrev_b32_e32 v3, 16, v2
	v_cvt_f16_f32_e32 v3, v3
	global_store_dword v[0:1], v3, off
.LBB152_370:
	s_mov_b64 s[20:21], 0
.LBB152_371:
	s_andn2_b64 vcc, exec, s[20:21]
	s_cbranch_vccnz .LBB152_380
; %bb.372:
	s_cmp_lt_i32 s24, 6
	s_mov_b64 s[20:21], -1
	s_cbranch_scc1 .LBB152_378
; %bb.373:
	s_cmp_gt_i32 s24, 6
	s_cbranch_scc0 .LBB152_375
; %bb.374:
	v_lshlrev_b32_e32 v3, 16, v2
	v_cvt_f64_f32_e32 v[6:7], v3
	s_mov_b64 s[20:21], 0
	global_store_dwordx2 v[0:1], v[6:7], off
.LBB152_375:
	s_andn2_b64 vcc, exec, s[20:21]
	s_cbranch_vccnz .LBB152_377
; %bb.376:
	v_lshlrev_b32_e32 v3, 16, v2
	global_store_dword v[0:1], v3, off
.LBB152_377:
	s_mov_b64 s[20:21], 0
.LBB152_378:
	s_andn2_b64 vcc, exec, s[20:21]
	s_cbranch_vccnz .LBB152_380
; %bb.379:
	v_lshlrev_b32_e32 v3, 16, v2
	v_cvt_f16_f32_e32 v3, v3
	global_store_short v[0:1], v3, off
.LBB152_380:
	s_mov_b64 s[20:21], 0
.LBB152_381:
	s_andn2_b64 vcc, exec, s[20:21]
	s_cbranch_vccnz .LBB152_397
; %bb.382:
	s_cmp_lt_i32 s24, 2
	s_mov_b64 s[20:21], -1
	s_cbranch_scc1 .LBB152_392
; %bb.383:
	s_cmp_lt_i32 s24, 3
	s_cbranch_scc1 .LBB152_389
; %bb.384:
	s_cmp_gt_i32 s24, 3
	s_cbranch_scc0 .LBB152_386
; %bb.385:
	v_lshlrev_b32_e32 v3, 16, v2
	v_trunc_f32_e32 v3, v3
	s_mov_b32 s20, 0x2f800000
	v_mul_f32_e64 v5, |v3|, s20
	v_floor_f32_e32 v5, v5
	s_mov_b32 s20, 0xcf800000
	v_cvt_u32_f32_e32 v6, v5
	v_fma_f32 v5, v5, s20, |v3|
	v_cvt_u32_f32_e32 v5, v5
	v_ashrrev_i32_e32 v3, 31, v3
	v_xor_b32_e32 v7, v6, v3
	s_mov_b64 s[20:21], 0
	v_xor_b32_e32 v5, v5, v3
	v_sub_co_u32_e32 v6, vcc, v5, v3
	s_nop 1
	v_subb_co_u32_e32 v7, vcc, v7, v3, vcc
	global_store_dwordx2 v[0:1], v[6:7], off
.LBB152_386:
	s_andn2_b64 vcc, exec, s[20:21]
	s_cbranch_vccnz .LBB152_388
; %bb.387:
	v_lshlrev_b32_e32 v3, 16, v2
	v_cvt_i32_f32_e32 v3, v3
	global_store_dword v[0:1], v3, off
.LBB152_388:
	s_mov_b64 s[20:21], 0
.LBB152_389:
	s_andn2_b64 vcc, exec, s[20:21]
	s_cbranch_vccnz .LBB152_391
; %bb.390:
	v_lshlrev_b32_e32 v3, 16, v2
	v_cvt_i32_f32_e32 v3, v3
	global_store_short v[0:1], v3, off
.LBB152_391:
	s_mov_b64 s[20:21], 0
.LBB152_392:
	s_andn2_b64 vcc, exec, s[20:21]
	s_cbranch_vccnz .LBB152_397
; %bb.393:
	s_mov_b64 s[20:21], -1
	s_cmp_gt_i32 s24, 0
	v_lshlrev_b32_e32 v2, 16, v2
	s_cbranch_scc0 .LBB152_395
; %bb.394:
	v_cvt_i32_f32_e32 v3, v2
	s_mov_b64 s[20:21], 0
	global_store_byte v[0:1], v3, off
.LBB152_395:
	s_andn2_b64 vcc, exec, s[20:21]
	s_cbranch_vccnz .LBB152_397
; %bb.396:
	v_trunc_f32_e32 v2, v2
	s_mov_b32 s20, 0x2f800000
	v_mul_f32_e64 v3, |v2|, s20
	v_floor_f32_e32 v3, v3
	s_mov_b32 s20, 0xcf800000
	v_fma_f32 v3, v3, s20, |v2|
	v_cvt_u32_f32_e32 v3, v3
	v_ashrrev_i32_e32 v2, 31, v2
	v_xor_b32_e32 v3, v3, v2
	v_sub_u32_e32 v2, v3, v2
	global_store_byte v[0:1], v2, off
.LBB152_397:
	s_mov_b64 s[20:21], -1
.LBB152_398:
	s_andn2_b64 vcc, exec, s[20:21]
	s_cbranch_vccnz .LBB152_400
; %bb.399:
	v_add_u32_e32 v4, 0x80, v4
	s_mov_b64 s[24:25], -1
	s_branch .LBB152_513
.LBB152_400:
	s_mov_b64 s[24:25], 0
	s_branch .LBB152_512
.LBB152_401:
	s_mov_b64 s[18:19], -1
                                        ; implicit-def: $vgpr2
.LBB152_402:
	s_mov_b64 s[20:21], 0
.LBB152_403:
	s_and_b64 vcc, exec, s[20:21]
	s_cbranch_vccz .LBB152_407
; %bb.404:
	s_cmp_eq_u32 s26, 29
	s_cbranch_scc0 .LBB152_406
; %bb.405:
	global_load_dwordx2 v[2:3], v[0:1], off
	s_movk_i32 s18, 0x7fff
	s_mov_b64 s[0:1], -1
	s_mov_b64 s[20:21], 0
	s_waitcnt vmcnt(0)
	v_ffbh_u32_e32 v5, v3
	v_min_u32_e32 v5, 32, v5
	v_lshlrev_b64 v[2:3], v5, v[2:3]
	v_min_u32_e32 v2, 1, v2
	v_or_b32_e32 v2, v3, v2
	v_cvt_f32_u32_e32 v2, v2
	v_sub_u32_e32 v3, 32, v5
	v_ldexp_f32 v2, v2, v3
	v_bfe_u32 v3, v2, 16, 1
	v_add3_u32 v2, v2, v3, s18
	v_lshrrev_b32_e32 v2, 16, v2
	s_mov_b64 s[18:19], 0
	s_branch .LBB152_408
.LBB152_406:
	s_mov_b64 s[18:19], -1
                                        ; implicit-def: $vgpr2
.LBB152_407:
	s_mov_b64 s[20:21], 0
.LBB152_408:
	s_and_b64 vcc, exec, s[20:21]
	s_cbranch_vccz .LBB152_426
; %bb.409:
	s_cmp_lt_i32 s26, 27
	s_cbranch_scc1 .LBB152_412
; %bb.410:
	s_cmp_gt_i32 s26, 27
	s_cbranch_scc0 .LBB152_413
; %bb.411:
	global_load_dword v2, v[0:1], off
	s_movk_i32 s0, 0x7fff
	s_waitcnt vmcnt(0)
	v_cvt_f32_u32_e32 v2, v2
	v_bfe_u32 v3, v2, 16, 1
	v_add3_u32 v2, v2, v3, s0
	v_lshrrev_b32_e32 v2, 16, v2
	s_mov_b64 s[0:1], 0
	s_branch .LBB152_414
.LBB152_412:
	s_mov_b64 s[0:1], -1
                                        ; implicit-def: $vgpr2
	s_branch .LBB152_417
.LBB152_413:
	s_mov_b64 s[0:1], -1
                                        ; implicit-def: $vgpr2
.LBB152_414:
	s_andn2_b64 vcc, exec, s[0:1]
	s_cbranch_vccnz .LBB152_416
; %bb.415:
	global_load_ushort v2, v[0:1], off
	s_movk_i32 s0, 0x7fff
	s_waitcnt vmcnt(0)
	v_cvt_f32_u32_e32 v2, v2
	v_bfe_u32 v3, v2, 16, 1
	v_add3_u32 v2, v2, v3, s0
	v_lshrrev_b32_e32 v2, 16, v2
.LBB152_416:
	s_mov_b64 s[0:1], 0
.LBB152_417:
	s_andn2_b64 vcc, exec, s[0:1]
	s_cbranch_vccnz .LBB152_425
; %bb.418:
	global_load_ubyte v2, v[0:1], off
	s_movk_i32 s0, 0x7f
	s_waitcnt vmcnt(0)
	v_cmp_lt_i16_e32 vcc, s0, v2
	s_mov_b64 s[0:1], 0
	s_and_saveexec_b64 s[20:21], vcc
	s_xor_b64 s[20:21], exec, s[20:21]
	s_cbranch_execz .LBB152_439
; %bb.419:
	s_movk_i32 s0, 0x80
	v_cmp_eq_u16_e32 vcc, s0, v2
	s_mov_b64 s[0:1], -1
	s_and_saveexec_b64 s[24:25], vcc
; %bb.420:
	s_xor_b64 s[0:1], exec, -1
; %bb.421:
	s_or_b64 exec, exec, s[24:25]
	s_and_b64 s[0:1], s[0:1], exec
	s_or_saveexec_b64 s[20:21], s[20:21]
	v_mov_b32_e32 v3, 0x7f800001
	s_xor_b64 exec, exec, s[20:21]
	s_cbranch_execnz .LBB152_440
.LBB152_422:
	s_or_b64 exec, exec, s[20:21]
	s_and_saveexec_b64 s[20:21], s[0:1]
	s_cbranch_execz .LBB152_424
.LBB152_423:
	v_lshlrev_b32_e32 v3, 24, v2
	v_and_b32_e32 v2, 0xffff, v2
	v_and_b32_e32 v5, 7, v2
	v_ffbh_u32_e32 v7, v5
	v_min_u32_e32 v7, 32, v7
	v_subrev_u32_e32 v8, 28, v7
	v_bfe_u32 v6, v2, 3, 4
	v_lshlrev_b32_e32 v2, v8, v2
	v_sub_u32_e32 v7, 29, v7
	v_and_b32_e32 v2, 7, v2
	v_cmp_eq_u32_e32 vcc, 0, v6
	v_and_b32_e32 v3, 0x80000000, v3
	s_nop 0
	v_cndmask_b32_e32 v6, v6, v7, vcc
	v_cndmask_b32_e32 v2, v5, v2, vcc
	v_mov_b32_e32 v5, 0x3b800000
	v_lshlrev_b32_e32 v2, 20, v2
	v_lshl_add_u32 v5, v6, 23, v5
	v_or3_b32 v3, v3, v5, v2
.LBB152_424:
	s_or_b64 exec, exec, s[20:21]
	v_bfe_u32 v2, v3, 16, 1
	s_movk_i32 s0, 0x7fff
	v_add3_u32 v2, v3, v2, s0
	v_cmp_o_f32_e32 vcc, v3, v3
	v_mov_b32_e32 v3, 0x7fc0
	s_nop 0
	v_cndmask_b32_sdwa v2, v3, v2, vcc dst_sel:DWORD dst_unused:UNUSED_PAD src0_sel:DWORD src1_sel:WORD_1
.LBB152_425:
	s_mov_b64 s[0:1], -1
.LBB152_426:
	s_mov_b64 s[20:21], 0
.LBB152_427:
	s_and_b64 vcc, exec, s[20:21]
	s_cbranch_vccz .LBB152_462
; %bb.428:
	s_cmp_gt_i32 s26, 22
	s_cbranch_scc0 .LBB152_438
; %bb.429:
	s_cmp_lt_i32 s26, 24
	s_cbranch_scc1 .LBB152_441
; %bb.430:
	s_cmp_gt_i32 s26, 24
	s_cbranch_scc0 .LBB152_442
; %bb.431:
	global_load_ubyte v2, v[0:1], off
	s_movk_i32 s0, 0x7f
	s_waitcnt vmcnt(0)
	v_cmp_lt_i16_e32 vcc, s0, v2
	s_mov_b64 s[0:1], 0
	s_and_saveexec_b64 s[20:21], vcc
	s_xor_b64 s[20:21], exec, s[20:21]
	s_cbranch_execz .LBB152_454
; %bb.432:
	s_movk_i32 s0, 0x80
	v_cmp_eq_u16_e32 vcc, s0, v2
	s_mov_b64 s[0:1], -1
	s_and_saveexec_b64 s[24:25], vcc
; %bb.433:
	s_xor_b64 s[0:1], exec, -1
; %bb.434:
	s_or_b64 exec, exec, s[24:25]
	s_and_b64 s[0:1], s[0:1], exec
	s_or_saveexec_b64 s[20:21], s[20:21]
	v_mov_b32_e32 v3, 0x7f800001
	s_xor_b64 exec, exec, s[20:21]
	s_cbranch_execnz .LBB152_455
.LBB152_435:
	s_or_b64 exec, exec, s[20:21]
	s_and_saveexec_b64 s[20:21], s[0:1]
	s_cbranch_execz .LBB152_437
.LBB152_436:
	v_lshlrev_b32_e32 v3, 24, v2
	v_and_b32_e32 v2, 0xffff, v2
	v_and_b32_e32 v5, 3, v2
	v_ffbh_u32_e32 v7, v5
	v_min_u32_e32 v7, 32, v7
	v_subrev_u32_e32 v8, 29, v7
	v_bfe_u32 v6, v2, 2, 5
	v_lshlrev_b32_e32 v2, v8, v2
	v_sub_u32_e32 v7, 30, v7
	v_and_b32_e32 v2, 3, v2
	v_cmp_eq_u32_e32 vcc, 0, v6
	v_and_b32_e32 v3, 0x80000000, v3
	s_nop 0
	v_cndmask_b32_e32 v6, v6, v7, vcc
	v_cndmask_b32_e32 v2, v5, v2, vcc
	v_mov_b32_e32 v5, 0x37800000
	v_lshlrev_b32_e32 v2, 21, v2
	v_lshl_add_u32 v5, v6, 23, v5
	v_or3_b32 v3, v3, v5, v2
.LBB152_437:
	s_or_b64 exec, exec, s[20:21]
	v_bfe_u32 v2, v3, 16, 1
	s_movk_i32 s0, 0x7fff
	v_add3_u32 v2, v3, v2, s0
	v_cmp_o_f32_e32 vcc, v3, v3
	v_mov_b32_e32 v3, 0x7fc0
	s_mov_b64 s[0:1], 0
	v_cndmask_b32_sdwa v2, v3, v2, vcc dst_sel:DWORD dst_unused:UNUSED_PAD src0_sel:DWORD src1_sel:WORD_1
	s_branch .LBB152_443
.LBB152_438:
	s_mov_b64 s[20:21], -1
                                        ; implicit-def: $vgpr2
	s_branch .LBB152_449
.LBB152_439:
	s_or_saveexec_b64 s[20:21], s[20:21]
	v_mov_b32_e32 v3, 0x7f800001
	s_xor_b64 exec, exec, s[20:21]
	s_cbranch_execz .LBB152_422
.LBB152_440:
	v_cmp_ne_u16_e32 vcc, 0, v2
	s_andn2_b64 s[0:1], s[0:1], exec
	s_and_b64 s[24:25], vcc, exec
	v_mov_b32_e32 v3, 0
	s_or_b64 s[0:1], s[0:1], s[24:25]
	s_or_b64 exec, exec, s[20:21]
	s_and_saveexec_b64 s[20:21], s[0:1]
	s_cbranch_execnz .LBB152_423
	s_branch .LBB152_424
.LBB152_441:
	s_mov_b64 s[0:1], -1
                                        ; implicit-def: $vgpr2
	s_branch .LBB152_446
.LBB152_442:
	s_mov_b64 s[0:1], -1
                                        ; implicit-def: $vgpr2
.LBB152_443:
	s_and_b64 vcc, exec, s[0:1]
	s_cbranch_vccz .LBB152_445
; %bb.444:
	global_load_ubyte v2, v[0:1], off
	s_mov_b32 s0, 0x7f800000
	s_brev_b32 s1, 1
	s_movk_i32 s20, 0x7fff
	s_waitcnt vmcnt(0)
	v_lshlrev_b32_e32 v2, 24, v2
	v_and_b32_e32 v3, 0x7f000000, v2
	v_ffbh_u32_e32 v5, v3
	v_min_u32_e32 v5, 32, v5
	v_sub_u32_e64 v5, v5, 4 clamp
	v_lshlrev_b32_e32 v7, v5, v3
	v_lshlrev_b32_e32 v5, 23, v5
	v_lshrrev_b32_e32 v7, 4, v7
	v_add_u32_e32 v6, 0x1000000, v3
	v_sub_u32_e32 v5, v7, v5
	v_ashrrev_i32_e32 v6, 8, v6
	v_add_u32_e32 v5, 0x3c000000, v5
	v_and_or_b32 v5, v6, s0, v5
	v_cmp_ne_u32_e32 vcc, 0, v3
	s_nop 1
	v_cndmask_b32_e32 v3, 0, v5, vcc
	v_and_or_b32 v2, v2, s1, v3
	v_bfe_u32 v3, v3, 16, 1
	v_add3_u32 v3, v2, v3, s20
	v_cmp_o_f32_e32 vcc, v2, v2
	v_mov_b32_e32 v2, 0x7fc0
	s_nop 0
	v_cndmask_b32_sdwa v2, v2, v3, vcc dst_sel:DWORD dst_unused:UNUSED_PAD src0_sel:DWORD src1_sel:WORD_1
.LBB152_445:
	s_mov_b64 s[0:1], 0
.LBB152_446:
	s_andn2_b64 vcc, exec, s[0:1]
	s_cbranch_vccnz .LBB152_448
; %bb.447:
	global_load_ubyte v2, v[0:1], off
	s_movk_i32 s0, 0x7f00
	s_brev_b32 s1, 16
	s_brev_b32 s20, 1
	s_movk_i32 s21, 0x7fff
	s_waitcnt vmcnt(0)
	v_lshlrev_b16_e32 v3, 8, v2
	v_lshlrev_b32_e32 v2, 25, v2
	v_lshrrev_b32_e32 v5, 4, v2
	v_and_or_b32 v6, v3, s0, 0.5
	v_or_b32_e32 v5, 0x70000000, v5
	v_add_f32_e32 v6, -0.5, v6
	v_mul_f32_e32 v5, 0x7800000, v5
	v_cmp_gt_u32_e32 vcc, s1, v2
	v_bfe_i32 v3, v3, 0, 16
	s_nop 0
	v_cndmask_b32_e32 v2, v5, v6, vcc
	v_and_or_b32 v3, v3, s20, v2
	v_bfe_u32 v2, v2, 16, 1
	v_add3_u32 v2, v3, v2, s21
	v_cmp_o_f32_e32 vcc, v3, v3
	v_mov_b32_e32 v3, 0x7fc0
	s_nop 0
	v_cndmask_b32_sdwa v2, v3, v2, vcc dst_sel:DWORD dst_unused:UNUSED_PAD src0_sel:DWORD src1_sel:WORD_1
.LBB152_448:
	s_mov_b64 s[20:21], 0
	s_mov_b64 s[0:1], -1
.LBB152_449:
	s_andn2_b64 vcc, exec, s[20:21]
	s_cbranch_vccnz .LBB152_462
; %bb.450:
	s_cmp_gt_i32 s26, 14
	s_cbranch_scc0 .LBB152_453
; %bb.451:
	s_cmp_eq_u32 s26, 15
	s_cbranch_scc0 .LBB152_456
; %bb.452:
	global_load_ushort v2, v[0:1], off
	s_mov_b64 s[0:1], -1
	s_mov_b64 s[18:19], 0
	s_branch .LBB152_457
.LBB152_453:
	s_mov_b64 s[20:21], -1
                                        ; implicit-def: $vgpr2
	s_branch .LBB152_458
.LBB152_454:
	s_or_saveexec_b64 s[20:21], s[20:21]
	v_mov_b32_e32 v3, 0x7f800001
	s_xor_b64 exec, exec, s[20:21]
	s_cbranch_execz .LBB152_435
.LBB152_455:
	v_cmp_ne_u16_e32 vcc, 0, v2
	s_andn2_b64 s[0:1], s[0:1], exec
	s_and_b64 s[24:25], vcc, exec
	v_mov_b32_e32 v3, 0
	s_or_b64 s[0:1], s[0:1], s[24:25]
	s_or_b64 exec, exec, s[20:21]
	s_and_saveexec_b64 s[20:21], s[0:1]
	s_cbranch_execnz .LBB152_436
	s_branch .LBB152_437
.LBB152_456:
	s_mov_b64 s[18:19], -1
                                        ; implicit-def: $vgpr2
.LBB152_457:
	s_mov_b64 s[20:21], 0
.LBB152_458:
	s_and_b64 vcc, exec, s[20:21]
	s_cbranch_vccz .LBB152_462
; %bb.459:
	s_cmp_eq_u32 s26, 11
	s_cbranch_scc0 .LBB152_461
; %bb.460:
	global_load_ubyte v2, v[0:1], off
	s_mov_b64 s[0:1], -1
	s_mov_b64 s[18:19], 0
	s_waitcnt vmcnt(0)
	v_cmp_ne_u16_e32 vcc, 0, v2
	s_nop 1
	v_cndmask_b32_e64 v2, 0, 1.0, vcc
	v_lshrrev_b32_e32 v2, 16, v2
	s_branch .LBB152_462
.LBB152_461:
	s_mov_b64 s[18:19], -1
                                        ; implicit-def: $vgpr2
.LBB152_462:
	s_branch .LBB152_265
.LBB152_463:
	s_cmp_lt_i32 s26, 5
	s_cbranch_scc1 .LBB152_468
; %bb.464:
	s_cmp_lt_i32 s26, 8
	s_cbranch_scc1 .LBB152_469
; %bb.465:
	;; [unrolled: 3-line block ×3, first 2 shown]
	s_cmp_gt_i32 s26, 9
	s_cbranch_scc0 .LBB152_471
; %bb.467:
	global_load_dwordx2 v[2:3], v[0:1], off
	s_movk_i32 s0, 0x7fff
	v_mov_b32_e32 v5, 0x7fc0
	s_waitcnt vmcnt(0)
	v_cvt_f32_f64_e32 v2, v[2:3]
	v_bfe_u32 v3, v2, 16, 1
	v_cmp_o_f32_e32 vcc, v2, v2
	v_add3_u32 v2, v2, v3, s0
	s_mov_b64 s[0:1], 0
	v_cndmask_b32_sdwa v2, v5, v2, vcc dst_sel:DWORD dst_unused:UNUSED_PAD src0_sel:DWORD src1_sel:WORD_1
	s_branch .LBB152_472
.LBB152_468:
	s_mov_b64 s[0:1], -1
                                        ; implicit-def: $vgpr2
	s_branch .LBB152_490
.LBB152_469:
	s_mov_b64 s[0:1], -1
                                        ; implicit-def: $vgpr2
	s_branch .LBB152_478
.LBB152_470:
	s_mov_b64 s[0:1], -1
                                        ; implicit-def: $vgpr2
	s_branch .LBB152_475
.LBB152_471:
	s_mov_b64 s[0:1], -1
                                        ; implicit-def: $vgpr2
.LBB152_472:
	s_andn2_b64 vcc, exec, s[0:1]
	s_cbranch_vccnz .LBB152_474
; %bb.473:
	global_load_dword v2, v[0:1], off
	s_movk_i32 s0, 0x7fff
	v_mov_b32_e32 v3, 0x7fc0
	s_waitcnt vmcnt(0)
	v_bfe_u32 v5, v2, 16, 1
	v_cmp_o_f32_e32 vcc, v2, v2
	v_add3_u32 v2, v2, v5, s0
	s_nop 0
	v_cndmask_b32_sdwa v2, v3, v2, vcc dst_sel:DWORD dst_unused:UNUSED_PAD src0_sel:DWORD src1_sel:WORD_1
.LBB152_474:
	s_mov_b64 s[0:1], 0
.LBB152_475:
	s_andn2_b64 vcc, exec, s[0:1]
	s_cbranch_vccnz .LBB152_477
; %bb.476:
	global_load_dword v2, v[0:1], off
	s_movk_i32 s0, 0x7fff
	v_mov_b32_e32 v5, 0x7fc0
	s_waitcnt vmcnt(0)
	v_cvt_f32_f16_e32 v3, v2
	v_cmp_o_f16_e32 vcc, v2, v2
	v_bfe_u32 v2, v3, 16, 1
	v_add3_u32 v2, v3, v2, s0
	v_cndmask_b32_sdwa v2, v5, v2, vcc dst_sel:DWORD dst_unused:UNUSED_PAD src0_sel:DWORD src1_sel:WORD_1
.LBB152_477:
	s_mov_b64 s[0:1], 0
.LBB152_478:
	s_andn2_b64 vcc, exec, s[0:1]
	s_cbranch_vccnz .LBB152_489
; %bb.479:
	s_cmp_lt_i32 s26, 6
	s_cbranch_scc1 .LBB152_482
; %bb.480:
	s_cmp_gt_i32 s26, 6
	s_cbranch_scc0 .LBB152_483
; %bb.481:
	global_load_dwordx2 v[2:3], v[0:1], off
	s_movk_i32 s0, 0x7fff
	v_mov_b32_e32 v5, 0x7fc0
	s_waitcnt vmcnt(0)
	v_cvt_f32_f64_e32 v2, v[2:3]
	v_bfe_u32 v3, v2, 16, 1
	v_cmp_o_f32_e32 vcc, v2, v2
	v_add3_u32 v2, v2, v3, s0
	s_mov_b64 s[0:1], 0
	v_cndmask_b32_sdwa v2, v5, v2, vcc dst_sel:DWORD dst_unused:UNUSED_PAD src0_sel:DWORD src1_sel:WORD_1
	s_branch .LBB152_484
.LBB152_482:
	s_mov_b64 s[0:1], -1
                                        ; implicit-def: $vgpr2
	s_branch .LBB152_487
.LBB152_483:
	s_mov_b64 s[0:1], -1
                                        ; implicit-def: $vgpr2
.LBB152_484:
	s_andn2_b64 vcc, exec, s[0:1]
	s_cbranch_vccnz .LBB152_486
; %bb.485:
	global_load_dword v2, v[0:1], off
	s_movk_i32 s0, 0x7fff
	v_mov_b32_e32 v3, 0x7fc0
	s_waitcnt vmcnt(0)
	v_bfe_u32 v5, v2, 16, 1
	v_cmp_o_f32_e32 vcc, v2, v2
	v_add3_u32 v2, v2, v5, s0
	s_nop 0
	v_cndmask_b32_sdwa v2, v3, v2, vcc dst_sel:DWORD dst_unused:UNUSED_PAD src0_sel:DWORD src1_sel:WORD_1
.LBB152_486:
	s_mov_b64 s[0:1], 0
.LBB152_487:
	s_andn2_b64 vcc, exec, s[0:1]
	s_cbranch_vccnz .LBB152_489
; %bb.488:
	global_load_ushort v2, v[0:1], off
	s_movk_i32 s0, 0x7fff
	v_mov_b32_e32 v5, 0x7fc0
	s_waitcnt vmcnt(0)
	v_cvt_f32_f16_e32 v3, v2
	v_cmp_o_f16_e32 vcc, v2, v2
	v_bfe_u32 v2, v3, 16, 1
	v_add3_u32 v2, v3, v2, s0
	v_cndmask_b32_sdwa v2, v5, v2, vcc dst_sel:DWORD dst_unused:UNUSED_PAD src0_sel:DWORD src1_sel:WORD_1
.LBB152_489:
	s_mov_b64 s[0:1], 0
.LBB152_490:
	s_andn2_b64 vcc, exec, s[0:1]
	s_cbranch_vccnz .LBB152_510
; %bb.491:
	s_cmp_lt_i32 s26, 2
	s_cbranch_scc1 .LBB152_495
; %bb.492:
	s_cmp_lt_i32 s26, 3
	s_cbranch_scc1 .LBB152_496
; %bb.493:
	s_cmp_gt_i32 s26, 3
	s_cbranch_scc0 .LBB152_497
; %bb.494:
	global_load_dwordx2 v[2:3], v[0:1], off
	s_movk_i32 s0, 0x7fff
	s_waitcnt vmcnt(0)
	v_xor_b32_e32 v6, v2, v3
	v_ffbh_i32_e32 v5, v3
	v_ashrrev_i32_e32 v6, 31, v6
	v_add_u32_e32 v5, -1, v5
	v_add_u32_e32 v6, 32, v6
	v_min_u32_e32 v5, v5, v6
	v_lshlrev_b64 v[2:3], v5, v[2:3]
	v_min_u32_e32 v2, 1, v2
	v_or_b32_e32 v2, v3, v2
	v_cvt_f32_i32_e32 v2, v2
	v_sub_u32_e32 v3, 32, v5
	v_ldexp_f32 v2, v2, v3
	v_bfe_u32 v3, v2, 16, 1
	v_add3_u32 v2, v2, v3, s0
	v_lshrrev_b32_e32 v2, 16, v2
	s_mov_b64 s[0:1], 0
	s_branch .LBB152_498
.LBB152_495:
	s_mov_b64 s[0:1], -1
                                        ; implicit-def: $vgpr2
	s_branch .LBB152_504
.LBB152_496:
	s_mov_b64 s[0:1], -1
                                        ; implicit-def: $vgpr2
	s_branch .LBB152_501
.LBB152_497:
	s_mov_b64 s[0:1], -1
                                        ; implicit-def: $vgpr2
.LBB152_498:
	s_andn2_b64 vcc, exec, s[0:1]
	s_cbranch_vccnz .LBB152_500
; %bb.499:
	global_load_dword v2, v[0:1], off
	s_movk_i32 s0, 0x7fff
	s_waitcnt vmcnt(0)
	v_cvt_f32_i32_e32 v2, v2
	v_bfe_u32 v3, v2, 16, 1
	v_add3_u32 v2, v2, v3, s0
	v_lshrrev_b32_e32 v2, 16, v2
.LBB152_500:
	s_mov_b64 s[0:1], 0
.LBB152_501:
	s_andn2_b64 vcc, exec, s[0:1]
	s_cbranch_vccnz .LBB152_503
; %bb.502:
	global_load_sshort v2, v[0:1], off
	s_movk_i32 s0, 0x7fff
	s_waitcnt vmcnt(0)
	v_cvt_f32_i32_e32 v2, v2
	v_bfe_u32 v3, v2, 16, 1
	v_add3_u32 v2, v2, v3, s0
	v_lshrrev_b32_e32 v2, 16, v2
.LBB152_503:
	s_mov_b64 s[0:1], 0
.LBB152_504:
	s_andn2_b64 vcc, exec, s[0:1]
	s_cbranch_vccnz .LBB152_510
; %bb.505:
	s_cmp_gt_i32 s26, 0
	s_cbranch_scc0 .LBB152_507
; %bb.506:
	global_load_sbyte v2, v[0:1], off
	s_movk_i32 s0, 0x7fff
	s_waitcnt vmcnt(0)
	v_cvt_f32_i32_e32 v2, v2
	v_bfe_u32 v3, v2, 16, 1
	v_add3_u32 v2, v2, v3, s0
	v_lshrrev_b32_e32 v2, 16, v2
	s_mov_b64 s[0:1], 0
	s_branch .LBB152_508
.LBB152_507:
	s_mov_b64 s[0:1], -1
                                        ; implicit-def: $vgpr2
.LBB152_508:
	s_andn2_b64 vcc, exec, s[0:1]
	s_cbranch_vccnz .LBB152_510
; %bb.509:
	global_load_ubyte v0, v[0:1], off
	s_movk_i32 s0, 0x7fff
	s_waitcnt vmcnt(0)
	v_cvt_f32_ubyte0_e32 v0, v0
	v_bfe_u32 v1, v0, 16, 1
	v_add3_u32 v0, v0, v1, s0
	v_lshrrev_b32_e32 v2, 16, v0
.LBB152_510:
	s_branch .LBB152_266
.LBB152_511:
	s_mov_b64 s[24:25], 0
	s_mov_b64 s[0:1], s[12:13]
.LBB152_512:
                                        ; implicit-def: $vgpr4
.LBB152_513:
	s_andn2_b64 s[20:21], s[12:13], exec
	s_and_b64 s[0:1], s[0:1], exec
	s_or_b64 s[20:21], s[20:21], s[0:1]
	s_andn2_b64 s[0:1], s[14:15], exec
	s_and_b64 s[18:19], s[18:19], exec
	s_or_b64 s[18:19], s[0:1], s[18:19]
	s_orn2_b64 s[0:1], s[24:25], exec
.LBB152_514:
	s_or_b64 exec, exec, s[22:23]
	s_mov_b64 s[24:25], 0
	s_mov_b64 s[26:27], 0
	;; [unrolled: 1-line block ×3, first 2 shown]
                                        ; implicit-def: $vgpr0_vgpr1
                                        ; implicit-def: $vgpr3
	s_and_saveexec_b64 s[22:23], s[0:1]
	s_cbranch_execz .LBB152_860
; %bb.515:
	v_cmp_gt_i32_e32 vcc, s38, v4
	s_mov_b64 s[34:35], -1
	s_mov_b64 s[0:1], s[18:19]
	s_mov_b64 s[28:29], s[20:21]
	s_and_saveexec_b64 s[24:25], vcc
	s_cbranch_execz .LBB152_774
; %bb.516:
	v_mul_lo_u32 v0, v4, s9
	v_ashrrev_i32_e32 v1, 31, v0
	s_and_b32 s34, 0xffff, s42
	s_cmp_lt_i32 s34, 11
	v_lshl_add_u64 v[0:1], s[6:7], 0, v[0:1]
	s_cbranch_scc1 .LBB152_523
; %bb.517:
	s_cmp_gt_i32 s34, 25
	s_cbranch_scc0 .LBB152_524
; %bb.518:
	s_cmp_gt_i32 s34, 28
	s_cbranch_scc0 .LBB152_525
	;; [unrolled: 3-line block ×4, first 2 shown]
; %bb.521:
	s_cmp_eq_u32 s34, 46
	s_mov_b64 s[28:29], 0
	s_cbranch_scc0 .LBB152_532
; %bb.522:
	global_load_dword v2, v[0:1], off
	s_mov_b64 s[0:1], -1
	s_branch .LBB152_533
.LBB152_523:
	s_mov_b64 s[28:29], -1
	s_mov_b64 s[0:1], 0
                                        ; implicit-def: $vgpr2
	s_mov_b64 s[26:27], s[18:19]
	s_branch .LBB152_598
.LBB152_524:
	s_mov_b64 s[28:29], -1
	s_mov_b64 s[0:1], 0
	s_mov_b64 s[26:27], s[18:19]
                                        ; implicit-def: $vgpr2
	s_branch .LBB152_562
.LBB152_525:
	s_mov_b64 s[28:29], -1
	s_mov_b64 s[0:1], 0
	s_mov_b64 s[26:27], s[18:19]
                                        ; implicit-def: $vgpr2
	s_branch .LBB152_543
.LBB152_526:
	s_mov_b64 s[28:29], -1
	s_mov_b64 s[0:1], 0
	s_mov_b64 s[26:27], s[18:19]
                                        ; implicit-def: $vgpr2
	s_branch .LBB152_538
.LBB152_527:
	s_andn2_saveexec_b64 s[26:27], s[26:27]
	s_cbranch_execz .LBB152_311
.LBB152_528:
	s_mov_b32 s30, 0x46000000
	v_add_f32_e64 v5, |v6|, s30
	v_and_b32_e32 v5, 0xff, v5
	v_cmp_ne_u32_e32 vcc, 0, v5
	s_andn2_b64 s[24:25], s[24:25], exec
	s_and_b64 s[30:31], vcc, exec
	s_or_b64 s[24:25], s[24:25], s[30:31]
	s_or_b64 exec, exec, s[26:27]
	v_mov_b32_e32 v7, 0
	s_and_saveexec_b64 s[26:27], s[24:25]
	s_cbranch_execnz .LBB152_312
	s_branch .LBB152_313
.LBB152_529:
	s_mov_b64 s[28:29], -1
	s_mov_b64 s[0:1], 0
	s_mov_b64 s[26:27], s[18:19]
                                        ; implicit-def: $vgpr2
	s_branch .LBB152_533
.LBB152_530:
	s_andn2_saveexec_b64 s[26:27], s[26:27]
	s_cbranch_execz .LBB152_324
.LBB152_531:
	s_mov_b32 s30, 0x42800000
	v_add_f32_e64 v5, |v6|, s30
	v_and_b32_e32 v5, 0xff, v5
	v_cmp_ne_u32_e32 vcc, 0, v5
	s_andn2_b64 s[24:25], s[24:25], exec
	s_and_b64 s[30:31], vcc, exec
	s_or_b64 s[24:25], s[24:25], s[30:31]
	s_or_b64 exec, exec, s[26:27]
	v_mov_b32_e32 v7, 0
	s_and_saveexec_b64 s[26:27], s[24:25]
	s_cbranch_execnz .LBB152_325
	s_branch .LBB152_326
.LBB152_532:
	s_mov_b64 s[26:27], -1
                                        ; implicit-def: $vgpr2
	s_mov_b64 s[0:1], 0
.LBB152_533:
	s_and_b64 vcc, exec, s[28:29]
	s_cbranch_vccz .LBB152_537
; %bb.534:
	s_cmp_eq_u32 s34, 44
	s_cbranch_scc0 .LBB152_536
; %bb.535:
	global_load_ubyte v2, v[0:1], off
	s_movk_i32 s26, 0xff
	v_mov_b32_e32 v3, 0x7f800001
	v_mov_b32_e32 v5, 0x400000
	v_mov_b32_e32 v6, 0x7fc0
	s_mov_b64 s[0:1], -1
	s_waitcnt vmcnt(0)
	v_lshlrev_b32_e32 v7, 23, v2
	v_cmp_ne_u32_e32 vcc, s26, v2
	s_mov_b64 s[26:27], 0
	s_nop 0
	v_cndmask_b32_e32 v3, v3, v7, vcc
	v_cmp_ne_u32_e32 vcc, 0, v2
	s_nop 1
	v_cndmask_b32_e32 v2, v5, v3, vcc
	v_add_u32_e32 v3, 0x7fff, v2
	v_cmp_o_f32_e32 vcc, v2, v2
	s_nop 1
	v_cndmask_b32_sdwa v2, v6, v3, vcc dst_sel:DWORD dst_unused:UNUSED_PAD src0_sel:DWORD src1_sel:WORD_1
	s_branch .LBB152_537
.LBB152_536:
	s_mov_b64 s[26:27], -1
                                        ; implicit-def: $vgpr2
.LBB152_537:
	s_mov_b64 s[28:29], 0
.LBB152_538:
	s_and_b64 vcc, exec, s[28:29]
	s_cbranch_vccz .LBB152_542
; %bb.539:
	s_cmp_eq_u32 s34, 29
	s_cbranch_scc0 .LBB152_541
; %bb.540:
	global_load_dwordx2 v[2:3], v[0:1], off
	s_movk_i32 s26, 0x7fff
	s_mov_b64 s[0:1], -1
	s_mov_b64 s[28:29], 0
	s_waitcnt vmcnt(0)
	v_ffbh_u32_e32 v5, v3
	v_min_u32_e32 v5, 32, v5
	v_lshlrev_b64 v[2:3], v5, v[2:3]
	v_min_u32_e32 v2, 1, v2
	v_or_b32_e32 v2, v3, v2
	v_cvt_f32_u32_e32 v2, v2
	v_sub_u32_e32 v3, 32, v5
	v_ldexp_f32 v2, v2, v3
	v_bfe_u32 v3, v2, 16, 1
	v_add3_u32 v2, v2, v3, s26
	v_lshrrev_b32_e32 v2, 16, v2
	s_mov_b64 s[26:27], 0
	s_branch .LBB152_543
.LBB152_541:
	s_mov_b64 s[26:27], -1
                                        ; implicit-def: $vgpr2
.LBB152_542:
	s_mov_b64 s[28:29], 0
.LBB152_543:
	s_and_b64 vcc, exec, s[28:29]
	s_cbranch_vccz .LBB152_561
; %bb.544:
	s_cmp_lt_i32 s34, 27
	s_cbranch_scc1 .LBB152_547
; %bb.545:
	s_cmp_gt_i32 s34, 27
	s_cbranch_scc0 .LBB152_548
; %bb.546:
	global_load_dword v2, v[0:1], off
	s_movk_i32 s0, 0x7fff
	s_waitcnt vmcnt(0)
	v_cvt_f32_u32_e32 v2, v2
	v_bfe_u32 v3, v2, 16, 1
	v_add3_u32 v2, v2, v3, s0
	v_lshrrev_b32_e32 v2, 16, v2
	s_mov_b64 s[0:1], 0
	s_branch .LBB152_549
.LBB152_547:
	s_mov_b64 s[0:1], -1
                                        ; implicit-def: $vgpr2
	s_branch .LBB152_552
.LBB152_548:
	s_mov_b64 s[0:1], -1
                                        ; implicit-def: $vgpr2
.LBB152_549:
	s_andn2_b64 vcc, exec, s[0:1]
	s_cbranch_vccnz .LBB152_551
; %bb.550:
	global_load_ushort v2, v[0:1], off
	s_movk_i32 s0, 0x7fff
	s_waitcnt vmcnt(0)
	v_cvt_f32_u32_e32 v2, v2
	v_bfe_u32 v3, v2, 16, 1
	v_add3_u32 v2, v2, v3, s0
	v_lshrrev_b32_e32 v2, 16, v2
.LBB152_551:
	s_mov_b64 s[0:1], 0
.LBB152_552:
	s_andn2_b64 vcc, exec, s[0:1]
	s_cbranch_vccnz .LBB152_560
; %bb.553:
	global_load_ubyte v2, v[0:1], off
	s_movk_i32 s0, 0x7f
	s_waitcnt vmcnt(0)
	v_cmp_lt_i16_e32 vcc, s0, v2
	s_mov_b64 s[0:1], 0
	s_and_saveexec_b64 s[28:29], vcc
	s_xor_b64 s[28:29], exec, s[28:29]
	s_cbranch_execz .LBB152_574
; %bb.554:
	s_movk_i32 s0, 0x80
	v_cmp_eq_u16_e32 vcc, s0, v2
	s_mov_b64 s[0:1], -1
	s_and_saveexec_b64 s[30:31], vcc
; %bb.555:
	s_xor_b64 s[0:1], exec, -1
; %bb.556:
	s_or_b64 exec, exec, s[30:31]
	s_and_b64 s[0:1], s[0:1], exec
	s_or_saveexec_b64 s[28:29], s[28:29]
	v_mov_b32_e32 v3, 0x7f800001
	s_xor_b64 exec, exec, s[28:29]
	s_cbranch_execnz .LBB152_575
.LBB152_557:
	s_or_b64 exec, exec, s[28:29]
	s_and_saveexec_b64 s[28:29], s[0:1]
	s_cbranch_execz .LBB152_559
.LBB152_558:
	v_lshlrev_b32_e32 v3, 24, v2
	v_and_b32_e32 v2, 0xffff, v2
	v_and_b32_e32 v5, 7, v2
	v_ffbh_u32_e32 v7, v5
	v_min_u32_e32 v7, 32, v7
	v_subrev_u32_e32 v8, 28, v7
	v_bfe_u32 v6, v2, 3, 4
	v_lshlrev_b32_e32 v2, v8, v2
	v_sub_u32_e32 v7, 29, v7
	v_and_b32_e32 v2, 7, v2
	v_cmp_eq_u32_e32 vcc, 0, v6
	v_and_b32_e32 v3, 0x80000000, v3
	s_nop 0
	v_cndmask_b32_e32 v6, v6, v7, vcc
	v_cndmask_b32_e32 v2, v5, v2, vcc
	v_mov_b32_e32 v5, 0x3b800000
	v_lshlrev_b32_e32 v2, 20, v2
	v_lshl_add_u32 v5, v6, 23, v5
	v_or3_b32 v3, v3, v5, v2
.LBB152_559:
	s_or_b64 exec, exec, s[28:29]
	v_bfe_u32 v2, v3, 16, 1
	s_movk_i32 s0, 0x7fff
	v_add3_u32 v2, v3, v2, s0
	v_cmp_o_f32_e32 vcc, v3, v3
	v_mov_b32_e32 v3, 0x7fc0
	s_nop 0
	v_cndmask_b32_sdwa v2, v3, v2, vcc dst_sel:DWORD dst_unused:UNUSED_PAD src0_sel:DWORD src1_sel:WORD_1
.LBB152_560:
	s_mov_b64 s[0:1], -1
.LBB152_561:
	s_mov_b64 s[28:29], 0
.LBB152_562:
	s_and_b64 vcc, exec, s[28:29]
	s_cbranch_vccz .LBB152_597
; %bb.563:
	s_cmp_gt_i32 s34, 22
	s_cbranch_scc0 .LBB152_573
; %bb.564:
	s_cmp_lt_i32 s34, 24
	s_cbranch_scc1 .LBB152_576
; %bb.565:
	s_cmp_gt_i32 s34, 24
	s_cbranch_scc0 .LBB152_577
; %bb.566:
	global_load_ubyte v2, v[0:1], off
	s_movk_i32 s0, 0x7f
	s_waitcnt vmcnt(0)
	v_cmp_lt_i16_e32 vcc, s0, v2
	s_mov_b64 s[0:1], 0
	s_and_saveexec_b64 s[28:29], vcc
	s_xor_b64 s[28:29], exec, s[28:29]
	s_cbranch_execz .LBB152_589
; %bb.567:
	s_movk_i32 s0, 0x80
	v_cmp_eq_u16_e32 vcc, s0, v2
	s_mov_b64 s[0:1], -1
	s_and_saveexec_b64 s[30:31], vcc
; %bb.568:
	s_xor_b64 s[0:1], exec, -1
; %bb.569:
	s_or_b64 exec, exec, s[30:31]
	s_and_b64 s[0:1], s[0:1], exec
	s_or_saveexec_b64 s[28:29], s[28:29]
	v_mov_b32_e32 v3, 0x7f800001
	s_xor_b64 exec, exec, s[28:29]
	s_cbranch_execnz .LBB152_590
.LBB152_570:
	s_or_b64 exec, exec, s[28:29]
	s_and_saveexec_b64 s[28:29], s[0:1]
	s_cbranch_execz .LBB152_572
.LBB152_571:
	v_lshlrev_b32_e32 v3, 24, v2
	v_and_b32_e32 v2, 0xffff, v2
	v_and_b32_e32 v5, 3, v2
	v_ffbh_u32_e32 v7, v5
	v_min_u32_e32 v7, 32, v7
	v_subrev_u32_e32 v8, 29, v7
	v_bfe_u32 v6, v2, 2, 5
	v_lshlrev_b32_e32 v2, v8, v2
	v_sub_u32_e32 v7, 30, v7
	v_and_b32_e32 v2, 3, v2
	v_cmp_eq_u32_e32 vcc, 0, v6
	v_and_b32_e32 v3, 0x80000000, v3
	s_nop 0
	v_cndmask_b32_e32 v6, v6, v7, vcc
	v_cndmask_b32_e32 v2, v5, v2, vcc
	v_mov_b32_e32 v5, 0x37800000
	v_lshlrev_b32_e32 v2, 21, v2
	v_lshl_add_u32 v5, v6, 23, v5
	v_or3_b32 v3, v3, v5, v2
.LBB152_572:
	s_or_b64 exec, exec, s[28:29]
	v_bfe_u32 v2, v3, 16, 1
	s_movk_i32 s0, 0x7fff
	v_add3_u32 v2, v3, v2, s0
	v_cmp_o_f32_e32 vcc, v3, v3
	v_mov_b32_e32 v3, 0x7fc0
	s_mov_b64 s[0:1], 0
	v_cndmask_b32_sdwa v2, v3, v2, vcc dst_sel:DWORD dst_unused:UNUSED_PAD src0_sel:DWORD src1_sel:WORD_1
	s_branch .LBB152_578
.LBB152_573:
	s_mov_b64 s[28:29], -1
                                        ; implicit-def: $vgpr2
	s_branch .LBB152_584
.LBB152_574:
	s_or_saveexec_b64 s[28:29], s[28:29]
	v_mov_b32_e32 v3, 0x7f800001
	s_xor_b64 exec, exec, s[28:29]
	s_cbranch_execz .LBB152_557
.LBB152_575:
	v_cmp_ne_u16_e32 vcc, 0, v2
	s_andn2_b64 s[0:1], s[0:1], exec
	s_and_b64 s[30:31], vcc, exec
	v_mov_b32_e32 v3, 0
	s_or_b64 s[0:1], s[0:1], s[30:31]
	s_or_b64 exec, exec, s[28:29]
	s_and_saveexec_b64 s[28:29], s[0:1]
	s_cbranch_execnz .LBB152_558
	s_branch .LBB152_559
.LBB152_576:
	s_mov_b64 s[0:1], -1
                                        ; implicit-def: $vgpr2
	s_branch .LBB152_581
.LBB152_577:
	s_mov_b64 s[0:1], -1
                                        ; implicit-def: $vgpr2
.LBB152_578:
	s_and_b64 vcc, exec, s[0:1]
	s_cbranch_vccz .LBB152_580
; %bb.579:
	global_load_ubyte v2, v[0:1], off
	s_mov_b32 s0, 0x7f800000
	s_brev_b32 s1, 1
	s_movk_i32 s28, 0x7fff
	s_waitcnt vmcnt(0)
	v_lshlrev_b32_e32 v2, 24, v2
	v_and_b32_e32 v3, 0x7f000000, v2
	v_ffbh_u32_e32 v5, v3
	v_min_u32_e32 v5, 32, v5
	v_sub_u32_e64 v5, v5, 4 clamp
	v_lshlrev_b32_e32 v7, v5, v3
	v_lshlrev_b32_e32 v5, 23, v5
	v_lshrrev_b32_e32 v7, 4, v7
	v_add_u32_e32 v6, 0x1000000, v3
	v_sub_u32_e32 v5, v7, v5
	v_ashrrev_i32_e32 v6, 8, v6
	v_add_u32_e32 v5, 0x3c000000, v5
	v_and_or_b32 v5, v6, s0, v5
	v_cmp_ne_u32_e32 vcc, 0, v3
	s_nop 1
	v_cndmask_b32_e32 v3, 0, v5, vcc
	v_and_or_b32 v2, v2, s1, v3
	v_bfe_u32 v3, v3, 16, 1
	v_add3_u32 v3, v2, v3, s28
	v_cmp_o_f32_e32 vcc, v2, v2
	v_mov_b32_e32 v2, 0x7fc0
	s_nop 0
	v_cndmask_b32_sdwa v2, v2, v3, vcc dst_sel:DWORD dst_unused:UNUSED_PAD src0_sel:DWORD src1_sel:WORD_1
.LBB152_580:
	s_mov_b64 s[0:1], 0
.LBB152_581:
	s_andn2_b64 vcc, exec, s[0:1]
	s_cbranch_vccnz .LBB152_583
; %bb.582:
	global_load_ubyte v2, v[0:1], off
	s_movk_i32 s0, 0x7f00
	s_brev_b32 s1, 16
	s_brev_b32 s28, 1
	s_movk_i32 s29, 0x7fff
	s_waitcnt vmcnt(0)
	v_lshlrev_b16_e32 v3, 8, v2
	v_lshlrev_b32_e32 v2, 25, v2
	v_lshrrev_b32_e32 v5, 4, v2
	v_and_or_b32 v6, v3, s0, 0.5
	v_or_b32_e32 v5, 0x70000000, v5
	v_add_f32_e32 v6, -0.5, v6
	v_mul_f32_e32 v5, 0x7800000, v5
	v_cmp_gt_u32_e32 vcc, s1, v2
	v_bfe_i32 v3, v3, 0, 16
	s_nop 0
	v_cndmask_b32_e32 v2, v5, v6, vcc
	v_and_or_b32 v3, v3, s28, v2
	v_bfe_u32 v2, v2, 16, 1
	v_add3_u32 v2, v3, v2, s29
	v_cmp_o_f32_e32 vcc, v3, v3
	v_mov_b32_e32 v3, 0x7fc0
	s_nop 0
	v_cndmask_b32_sdwa v2, v3, v2, vcc dst_sel:DWORD dst_unused:UNUSED_PAD src0_sel:DWORD src1_sel:WORD_1
.LBB152_583:
	s_mov_b64 s[28:29], 0
	s_mov_b64 s[0:1], -1
.LBB152_584:
	s_andn2_b64 vcc, exec, s[28:29]
	s_cbranch_vccnz .LBB152_597
; %bb.585:
	s_cmp_gt_i32 s34, 14
	s_cbranch_scc0 .LBB152_588
; %bb.586:
	s_cmp_eq_u32 s34, 15
	s_cbranch_scc0 .LBB152_591
; %bb.587:
	global_load_ushort v2, v[0:1], off
	s_mov_b64 s[0:1], -1
	s_mov_b64 s[26:27], 0
	s_branch .LBB152_592
.LBB152_588:
	s_mov_b64 s[28:29], -1
                                        ; implicit-def: $vgpr2
	s_branch .LBB152_593
.LBB152_589:
	s_or_saveexec_b64 s[28:29], s[28:29]
	v_mov_b32_e32 v3, 0x7f800001
	s_xor_b64 exec, exec, s[28:29]
	s_cbranch_execz .LBB152_570
.LBB152_590:
	v_cmp_ne_u16_e32 vcc, 0, v2
	s_andn2_b64 s[0:1], s[0:1], exec
	s_and_b64 s[30:31], vcc, exec
	v_mov_b32_e32 v3, 0
	s_or_b64 s[0:1], s[0:1], s[30:31]
	s_or_b64 exec, exec, s[28:29]
	s_and_saveexec_b64 s[28:29], s[0:1]
	s_cbranch_execnz .LBB152_571
	s_branch .LBB152_572
.LBB152_591:
	s_mov_b64 s[26:27], -1
                                        ; implicit-def: $vgpr2
.LBB152_592:
	s_mov_b64 s[28:29], 0
.LBB152_593:
	s_and_b64 vcc, exec, s[28:29]
	s_cbranch_vccz .LBB152_597
; %bb.594:
	s_cmp_eq_u32 s34, 11
	s_cbranch_scc0 .LBB152_596
; %bb.595:
	global_load_ubyte v2, v[0:1], off
	s_mov_b64 s[0:1], -1
	s_mov_b64 s[26:27], 0
	s_waitcnt vmcnt(0)
	v_cmp_ne_u16_e32 vcc, 0, v2
	s_nop 1
	v_cndmask_b32_e64 v2, 0, 1.0, vcc
	v_lshrrev_b32_e32 v2, 16, v2
	s_branch .LBB152_597
.LBB152_596:
	s_mov_b64 s[26:27], -1
                                        ; implicit-def: $vgpr2
.LBB152_597:
	s_mov_b64 s[28:29], 0
.LBB152_598:
	s_and_b64 vcc, exec, s[28:29]
	s_cbranch_vccz .LBB152_647
; %bb.599:
	s_cmp_lt_i32 s34, 5
	s_cbranch_scc1 .LBB152_604
; %bb.600:
	s_cmp_lt_i32 s34, 8
	s_cbranch_scc1 .LBB152_605
	;; [unrolled: 3-line block ×3, first 2 shown]
; %bb.602:
	s_cmp_gt_i32 s34, 9
	s_cbranch_scc0 .LBB152_607
; %bb.603:
	global_load_dwordx2 v[2:3], v[0:1], off
	s_movk_i32 s0, 0x7fff
	v_mov_b32_e32 v5, 0x7fc0
	s_waitcnt vmcnt(0)
	v_cvt_f32_f64_e32 v2, v[2:3]
	v_bfe_u32 v3, v2, 16, 1
	v_cmp_o_f32_e32 vcc, v2, v2
	v_add3_u32 v2, v2, v3, s0
	s_mov_b64 s[0:1], 0
	v_cndmask_b32_sdwa v2, v5, v2, vcc dst_sel:DWORD dst_unused:UNUSED_PAD src0_sel:DWORD src1_sel:WORD_1
	s_branch .LBB152_608
.LBB152_604:
	s_mov_b64 s[0:1], -1
                                        ; implicit-def: $vgpr2
	s_branch .LBB152_626
.LBB152_605:
	s_mov_b64 s[0:1], -1
                                        ; implicit-def: $vgpr2
	s_branch .LBB152_614
.LBB152_606:
	s_mov_b64 s[0:1], -1
                                        ; implicit-def: $vgpr2
	s_branch .LBB152_611
.LBB152_607:
	s_mov_b64 s[0:1], -1
                                        ; implicit-def: $vgpr2
.LBB152_608:
	s_andn2_b64 vcc, exec, s[0:1]
	s_cbranch_vccnz .LBB152_610
; %bb.609:
	global_load_dword v2, v[0:1], off
	s_movk_i32 s0, 0x7fff
	v_mov_b32_e32 v3, 0x7fc0
	s_waitcnt vmcnt(0)
	v_bfe_u32 v5, v2, 16, 1
	v_cmp_o_f32_e32 vcc, v2, v2
	v_add3_u32 v2, v2, v5, s0
	s_nop 0
	v_cndmask_b32_sdwa v2, v3, v2, vcc dst_sel:DWORD dst_unused:UNUSED_PAD src0_sel:DWORD src1_sel:WORD_1
.LBB152_610:
	s_mov_b64 s[0:1], 0
.LBB152_611:
	s_andn2_b64 vcc, exec, s[0:1]
	s_cbranch_vccnz .LBB152_613
; %bb.612:
	global_load_dword v2, v[0:1], off
	s_movk_i32 s0, 0x7fff
	v_mov_b32_e32 v5, 0x7fc0
	s_waitcnt vmcnt(0)
	v_cvt_f32_f16_e32 v3, v2
	v_cmp_o_f16_e32 vcc, v2, v2
	v_bfe_u32 v2, v3, 16, 1
	v_add3_u32 v2, v3, v2, s0
	v_cndmask_b32_sdwa v2, v5, v2, vcc dst_sel:DWORD dst_unused:UNUSED_PAD src0_sel:DWORD src1_sel:WORD_1
.LBB152_613:
	s_mov_b64 s[0:1], 0
.LBB152_614:
	s_andn2_b64 vcc, exec, s[0:1]
	s_cbranch_vccnz .LBB152_625
; %bb.615:
	s_cmp_lt_i32 s34, 6
	s_cbranch_scc1 .LBB152_618
; %bb.616:
	s_cmp_gt_i32 s34, 6
	s_cbranch_scc0 .LBB152_619
; %bb.617:
	global_load_dwordx2 v[2:3], v[0:1], off
	s_movk_i32 s0, 0x7fff
	v_mov_b32_e32 v5, 0x7fc0
	s_waitcnt vmcnt(0)
	v_cvt_f32_f64_e32 v2, v[2:3]
	v_bfe_u32 v3, v2, 16, 1
	v_cmp_o_f32_e32 vcc, v2, v2
	v_add3_u32 v2, v2, v3, s0
	s_mov_b64 s[0:1], 0
	v_cndmask_b32_sdwa v2, v5, v2, vcc dst_sel:DWORD dst_unused:UNUSED_PAD src0_sel:DWORD src1_sel:WORD_1
	s_branch .LBB152_620
.LBB152_618:
	s_mov_b64 s[0:1], -1
                                        ; implicit-def: $vgpr2
	s_branch .LBB152_623
.LBB152_619:
	s_mov_b64 s[0:1], -1
                                        ; implicit-def: $vgpr2
.LBB152_620:
	s_andn2_b64 vcc, exec, s[0:1]
	s_cbranch_vccnz .LBB152_622
; %bb.621:
	global_load_dword v2, v[0:1], off
	s_movk_i32 s0, 0x7fff
	v_mov_b32_e32 v3, 0x7fc0
	s_waitcnt vmcnt(0)
	v_bfe_u32 v5, v2, 16, 1
	v_cmp_o_f32_e32 vcc, v2, v2
	v_add3_u32 v2, v2, v5, s0
	s_nop 0
	v_cndmask_b32_sdwa v2, v3, v2, vcc dst_sel:DWORD dst_unused:UNUSED_PAD src0_sel:DWORD src1_sel:WORD_1
.LBB152_622:
	s_mov_b64 s[0:1], 0
.LBB152_623:
	s_andn2_b64 vcc, exec, s[0:1]
	s_cbranch_vccnz .LBB152_625
; %bb.624:
	global_load_ushort v2, v[0:1], off
	s_movk_i32 s0, 0x7fff
	v_mov_b32_e32 v5, 0x7fc0
	s_waitcnt vmcnt(0)
	v_cvt_f32_f16_e32 v3, v2
	v_cmp_o_f16_e32 vcc, v2, v2
	v_bfe_u32 v2, v3, 16, 1
	v_add3_u32 v2, v3, v2, s0
	v_cndmask_b32_sdwa v2, v5, v2, vcc dst_sel:DWORD dst_unused:UNUSED_PAD src0_sel:DWORD src1_sel:WORD_1
.LBB152_625:
	s_mov_b64 s[0:1], 0
.LBB152_626:
	s_andn2_b64 vcc, exec, s[0:1]
	s_cbranch_vccnz .LBB152_646
; %bb.627:
	s_cmp_lt_i32 s34, 2
	s_cbranch_scc1 .LBB152_631
; %bb.628:
	s_cmp_lt_i32 s34, 3
	s_cbranch_scc1 .LBB152_632
; %bb.629:
	s_cmp_gt_i32 s34, 3
	s_cbranch_scc0 .LBB152_633
; %bb.630:
	global_load_dwordx2 v[2:3], v[0:1], off
	s_movk_i32 s0, 0x7fff
	s_waitcnt vmcnt(0)
	v_xor_b32_e32 v6, v2, v3
	v_ffbh_i32_e32 v5, v3
	v_ashrrev_i32_e32 v6, 31, v6
	v_add_u32_e32 v5, -1, v5
	v_add_u32_e32 v6, 32, v6
	v_min_u32_e32 v5, v5, v6
	v_lshlrev_b64 v[2:3], v5, v[2:3]
	v_min_u32_e32 v2, 1, v2
	v_or_b32_e32 v2, v3, v2
	v_cvt_f32_i32_e32 v2, v2
	v_sub_u32_e32 v3, 32, v5
	v_ldexp_f32 v2, v2, v3
	v_bfe_u32 v3, v2, 16, 1
	v_add3_u32 v2, v2, v3, s0
	v_lshrrev_b32_e32 v2, 16, v2
	s_mov_b64 s[0:1], 0
	s_branch .LBB152_634
.LBB152_631:
	s_mov_b64 s[0:1], -1
                                        ; implicit-def: $vgpr2
	s_branch .LBB152_640
.LBB152_632:
	s_mov_b64 s[0:1], -1
                                        ; implicit-def: $vgpr2
	s_branch .LBB152_637
.LBB152_633:
	s_mov_b64 s[0:1], -1
                                        ; implicit-def: $vgpr2
.LBB152_634:
	s_andn2_b64 vcc, exec, s[0:1]
	s_cbranch_vccnz .LBB152_636
; %bb.635:
	global_load_dword v2, v[0:1], off
	s_movk_i32 s0, 0x7fff
	s_waitcnt vmcnt(0)
	v_cvt_f32_i32_e32 v2, v2
	v_bfe_u32 v3, v2, 16, 1
	v_add3_u32 v2, v2, v3, s0
	v_lshrrev_b32_e32 v2, 16, v2
.LBB152_636:
	s_mov_b64 s[0:1], 0
.LBB152_637:
	s_andn2_b64 vcc, exec, s[0:1]
	s_cbranch_vccnz .LBB152_639
; %bb.638:
	global_load_sshort v2, v[0:1], off
	s_movk_i32 s0, 0x7fff
	s_waitcnt vmcnt(0)
	v_cvt_f32_i32_e32 v2, v2
	v_bfe_u32 v3, v2, 16, 1
	v_add3_u32 v2, v2, v3, s0
	v_lshrrev_b32_e32 v2, 16, v2
.LBB152_639:
	s_mov_b64 s[0:1], 0
.LBB152_640:
	s_andn2_b64 vcc, exec, s[0:1]
	s_cbranch_vccnz .LBB152_646
; %bb.641:
	s_cmp_gt_i32 s34, 0
	s_cbranch_scc0 .LBB152_643
; %bb.642:
	global_load_sbyte v2, v[0:1], off
	s_movk_i32 s0, 0x7fff
	s_waitcnt vmcnt(0)
	v_cvt_f32_i32_e32 v2, v2
	v_bfe_u32 v3, v2, 16, 1
	v_add3_u32 v2, v2, v3, s0
	v_lshrrev_b32_e32 v2, 16, v2
	s_mov_b64 s[0:1], 0
	s_branch .LBB152_644
.LBB152_643:
	s_mov_b64 s[0:1], -1
                                        ; implicit-def: $vgpr2
.LBB152_644:
	s_andn2_b64 vcc, exec, s[0:1]
	s_cbranch_vccnz .LBB152_646
; %bb.645:
	global_load_ubyte v0, v[0:1], off
	s_movk_i32 s0, 0x7fff
	s_waitcnt vmcnt(0)
	v_cvt_f32_ubyte0_e32 v0, v0
	v_bfe_u32 v1, v0, 16, 1
	v_add3_u32 v0, v0, v1, s0
	v_lshrrev_b32_e32 v2, 16, v0
.LBB152_646:
	s_mov_b64 s[0:1], -1
.LBB152_647:
	s_andn2_b64 vcc, exec, s[0:1]
	s_cbranch_vccnz .LBB152_655
; %bb.648:
	s_waitcnt vmcnt(0)
	v_lshlrev_b32_e32 v0, 16, v2
	v_mul_f32_e32 v1, 0x3fb8aa3b, v0
	v_rndne_f32_e32 v1, v1
	v_fmamk_f32 v2, v1, 0xbf317218, v0
	v_fmamk_f32 v2, v1, 0x3102e308, v2
	v_mov_b32_e32 v3, 0x3ab69700
	v_fmac_f32_e32 v3, 0x395133b1, v2
	v_fmaak_f32 v3, v2, v3, 0x3c0887f9
	v_fmaak_f32 v3, v2, v3, 0x3d2aaa81
	v_cvt_i32_f32_e32 v5, v1
	v_fmaak_f32 v3, v2, v3, 0x3e2aaaab
	v_fma_f32 v3, v2, v3, 0.5
	v_mul_f32_e32 v3, v2, v3
	s_mov_b32 s0, 0x43000000
	v_fmac_f32_e32 v2, v2, v3
	v_ldexp_f32 v3, 1.0, v5
	v_mov_b32_e32 v5, 0x7f000000
	v_cmp_eq_f32_e32 vcc, s0, v1
	s_mov_b32 s0, 0x42b17217
	s_and_b32 s36, s33, 0xff
	v_cndmask_b32_e32 v1, v3, v5, vcc
	v_add_f32_e32 v3, -1.0, v1
	v_fmac_f32_e32 v3, v1, v2
	v_add_f32_e32 v1, v3, v3
	v_cndmask_b32_e32 v1, v3, v1, vcc
	v_mov_b32_e32 v2, 0x7f800000
	v_cmp_nlt_f32_e32 vcc, s0, v0
	s_mov_b32 s0, 0xc1880000
	s_cmp_lt_i32 s36, 11
	v_cndmask_b32_e32 v1, v2, v1, vcc
	v_cmp_ngt_f32_e32 vcc, s0, v0
	s_movk_i32 s0, 0x7fff
	s_nop 0
	v_cndmask_b32_e32 v0, -1.0, v1, vcc
	v_bfe_u32 v1, v0, 16, 1
	v_add3_u32 v1, v0, v1, s0
	v_cmp_o_f32_e32 vcc, v0, v0
	v_mov_b32_e32 v0, 0x7fc0
	s_nop 0
	v_cndmask_b32_sdwa v2, v0, v1, vcc dst_sel:DWORD dst_unused:UNUSED_PAD src0_sel:DWORD src1_sel:WORD_1
	v_mul_lo_u32 v0, v4, s8
	v_ashrrev_i32_e32 v1, 31, v0
	v_lshl_add_u64 v[0:1], s[4:5], 0, v[0:1]
	s_cbranch_scc1 .LBB152_656
; %bb.649:
	s_and_b32 s37, 0xffff, s36
	s_cmp_gt_i32 s37, 25
	s_cbranch_scc0 .LBB152_657
; %bb.650:
	s_cmp_gt_i32 s37, 28
	s_cbranch_scc0 .LBB152_658
; %bb.651:
	;; [unrolled: 3-line block ×4, first 2 shown]
	s_mov_b64 s[30:31], 0
	s_mov_b64 s[0:1], -1
	s_cmp_eq_u32 s37, 46
	s_mov_b64 s[28:29], 0
	s_cbranch_scc0 .LBB152_661
; %bb.654:
	v_and_b32_e32 v3, 0xffff, v2
	global_store_dword v[0:1], v3, off
	s_mov_b64 s[28:29], -1
	s_mov_b64 s[0:1], 0
	s_branch .LBB152_661
.LBB152_655:
	s_mov_b64 s[30:31], 0
	s_mov_b64 s[0:1], s[20:21]
	s_branch .LBB152_772
.LBB152_656:
	s_mov_b64 s[30:31], -1
	s_mov_b64 s[28:29], 0
	s_mov_b64 s[0:1], s[20:21]
	s_branch .LBB152_730
.LBB152_657:
	s_mov_b64 s[30:31], -1
	s_mov_b64 s[28:29], 0
	s_mov_b64 s[0:1], s[20:21]
	s_branch .LBB152_688
.LBB152_658:
	s_mov_b64 s[30:31], -1
	s_mov_b64 s[28:29], 0
	s_mov_b64 s[0:1], s[20:21]
	s_branch .LBB152_671
.LBB152_659:
	s_mov_b64 s[30:31], -1
	s_mov_b64 s[28:29], 0
	s_mov_b64 s[0:1], s[20:21]
	s_branch .LBB152_667
.LBB152_660:
	s_mov_b64 s[30:31], -1
	s_mov_b64 s[28:29], 0
	s_mov_b64 s[0:1], s[20:21]
.LBB152_661:
	s_and_b64 vcc, exec, s[30:31]
	s_cbranch_vccz .LBB152_666
; %bb.662:
	s_cmp_eq_u32 s37, 44
	s_mov_b64 s[0:1], -1
	s_cbranch_scc0 .LBB152_666
; %bb.663:
	v_and_b32_e32 v5, 0xffff, v2
	v_bfe_u32 v3, v5, 7, 8
	s_movk_i32 s0, 0xff
	v_cmp_ne_u32_e32 vcc, s0, v3
	v_mov_b32_e32 v6, 0xff
	s_and_saveexec_b64 s[28:29], vcc
	s_cbranch_execz .LBB152_665
; %bb.664:
	v_lshlrev_b32_e32 v7, 16, v5
	s_mov_b32 s0, 0x3f0000
	v_lshrrev_b32_e32 v6, 7, v5
	v_and_b32_e32 v5, 64, v5
	v_and_or_b32 v3, v7, s0, v3
	v_cmp_ne_u32_e32 vcc, 0, v5
	v_cmp_ne_u32_e64 s[0:1], 0, v3
	s_and_b64 s[0:1], vcc, s[0:1]
	s_nop 0
	v_cndmask_b32_e64 v3, 0, 1, s[0:1]
	v_add_u32_e32 v6, v6, v3
.LBB152_665:
	s_or_b64 exec, exec, s[28:29]
	s_mov_b64 s[28:29], -1
	s_mov_b64 s[0:1], 0
	global_store_byte v[0:1], v6, off
.LBB152_666:
	s_mov_b64 s[30:31], 0
.LBB152_667:
	s_and_b64 vcc, exec, s[30:31]
	s_cbranch_vccz .LBB152_670
; %bb.668:
	s_cmp_eq_u32 s37, 29
	s_mov_b64 s[0:1], -1
	s_cbranch_scc0 .LBB152_670
; %bb.669:
	v_lshlrev_b32_e32 v3, 16, v2
	v_trunc_f32_e32 v3, v3
	v_mul_f32_e32 v5, 0x2f800000, v3
	v_floor_f32_e32 v5, v5
	v_fmamk_f32 v3, v5, 0xcf800000, v3
	v_cvt_u32_f32_e32 v7, v5
	v_cvt_u32_f32_e32 v6, v3
	s_mov_b64 s[28:29], -1
	s_mov_b64 s[0:1], 0
	s_mov_b64 s[30:31], 0
	global_store_dwordx2 v[0:1], v[6:7], off
	s_branch .LBB152_671
.LBB152_670:
	s_mov_b64 s[30:31], 0
.LBB152_671:
	s_and_b64 vcc, exec, s[30:31]
	s_cbranch_vccz .LBB152_687
; %bb.672:
	s_cmp_lt_i32 s37, 27
	s_mov_b64 s[28:29], -1
	s_cbranch_scc1 .LBB152_678
; %bb.673:
	s_cmp_gt_i32 s37, 27
	s_cbranch_scc0 .LBB152_675
; %bb.674:
	v_lshlrev_b32_e32 v3, 16, v2
	v_cvt_u32_f32_e32 v3, v3
	s_mov_b64 s[28:29], 0
	global_store_dword v[0:1], v3, off
.LBB152_675:
	s_andn2_b64 vcc, exec, s[28:29]
	s_cbranch_vccnz .LBB152_677
; %bb.676:
	v_lshlrev_b32_e32 v3, 16, v2
	v_cvt_u32_f32_e32 v3, v3
	global_store_short v[0:1], v3, off
.LBB152_677:
	s_mov_b64 s[28:29], 0
.LBB152_678:
	s_andn2_b64 vcc, exec, s[28:29]
	s_cbranch_vccnz .LBB152_686
; %bb.679:
	v_lshlrev_b32_e32 v6, 16, v2
	v_and_b32_e32 v5, 0x7fffffff, v6
	s_mov_b32 s28, 0x43800000
	v_cmp_gt_u32_e32 vcc, s28, v5
	v_mov_b32_e32 v7, 0x80
	s_and_saveexec_b64 s[28:29], vcc
	s_cbranch_execz .LBB152_685
; %bb.680:
	s_mov_b32 s30, 0x3bffffff
	v_and_b32_e32 v3, 0xffff, v2
	v_cmp_lt_u32_e32 vcc, s30, v5
	s_mov_b64 s[30:31], 0
                                        ; implicit-def: $vgpr5
	s_and_saveexec_b64 s[34:35], vcc
	s_xor_b64 s[34:35], exec, s[34:35]
	s_cbranch_execz .LBB152_787
; %bb.681:
	v_bfe_u32 v5, v3, 4, 1
	s_mov_b32 s39, 0x487ffff
	v_add3_u32 v5, v6, v5, s39
	s_mov_b64 s[30:31], exec
	v_lshrrev_b32_e32 v5, 20, v5
                                        ; implicit-def: $vgpr6
	s_andn2_saveexec_b64 s[34:35], s[34:35]
	s_cbranch_execnz .LBB152_788
.LBB152_682:
	s_or_b64 exec, exec, s[34:35]
	v_mov_b32_e32 v7, 0
	s_and_saveexec_b64 s[34:35], s[30:31]
.LBB152_683:
	v_lshrrev_b32_e32 v3, 8, v3
	s_movk_i32 s30, 0x80
	v_and_or_b32 v7, v3, s30, v5
.LBB152_684:
	s_or_b64 exec, exec, s[34:35]
.LBB152_685:
	s_or_b64 exec, exec, s[28:29]
	global_store_byte v[0:1], v7, off
.LBB152_686:
	s_mov_b64 s[28:29], -1
.LBB152_687:
	s_mov_b64 s[30:31], 0
.LBB152_688:
	s_and_b64 vcc, exec, s[30:31]
	s_cbranch_vccz .LBB152_729
; %bb.689:
	s_cmp_gt_i32 s37, 22
	s_mov_b64 s[30:31], -1
	s_cbranch_scc0 .LBB152_721
; %bb.690:
	s_cmp_lt_i32 s37, 24
	s_mov_b64 s[28:29], -1
	s_cbranch_scc1 .LBB152_710
; %bb.691:
	s_cmp_gt_i32 s37, 24
	s_cbranch_scc0 .LBB152_699
; %bb.692:
	v_lshlrev_b32_e32 v6, 16, v2
	v_and_b32_e32 v5, 0x7fffffff, v6
	s_mov_b32 s28, 0x47800000
	v_cmp_gt_u32_e32 vcc, s28, v5
	v_mov_b32_e32 v7, 0x80
	s_and_saveexec_b64 s[28:29], vcc
	s_cbranch_execz .LBB152_698
; %bb.693:
	s_mov_b32 s30, 0x37ffffff
	v_and_b32_e32 v3, 0xffff, v2
	v_cmp_lt_u32_e32 vcc, s30, v5
	s_mov_b64 s[30:31], 0
                                        ; implicit-def: $vgpr5
	s_and_saveexec_b64 s[34:35], vcc
	s_xor_b64 s[34:35], exec, s[34:35]
	s_cbranch_execz .LBB152_790
; %bb.694:
	v_bfe_u32 v5, v3, 5, 1
	s_mov_b32 s39, 0x88fffff
	v_add3_u32 v5, v6, v5, s39
	s_mov_b64 s[30:31], exec
	v_lshrrev_b32_e32 v5, 21, v5
                                        ; implicit-def: $vgpr6
	s_andn2_saveexec_b64 s[34:35], s[34:35]
	s_cbranch_execnz .LBB152_791
.LBB152_695:
	s_or_b64 exec, exec, s[34:35]
	v_mov_b32_e32 v7, 0
	s_and_saveexec_b64 s[34:35], s[30:31]
.LBB152_696:
	v_lshrrev_b32_e32 v3, 8, v3
	s_movk_i32 s30, 0x80
	v_and_or_b32 v7, v3, s30, v5
.LBB152_697:
	s_or_b64 exec, exec, s[34:35]
.LBB152_698:
	s_or_b64 exec, exec, s[28:29]
	s_mov_b64 s[28:29], 0
	global_store_byte v[0:1], v7, off
.LBB152_699:
	s_and_b64 vcc, exec, s[28:29]
	s_cbranch_vccz .LBB152_709
; %bb.700:
	v_lshlrev_b32_e32 v6, 16, v2
	v_and_b32_e32 v7, 0x7fffffff, v6
	s_mov_b32 s28, 0x43f00000
	v_and_b32_e32 v3, 0xffff, v2
	v_cmp_gt_u32_e32 vcc, s28, v7
                                        ; implicit-def: $vgpr5
	s_and_saveexec_b64 s[28:29], vcc
	s_xor_b64 s[28:29], exec, s[28:29]
	s_cbranch_execz .LBB152_706
; %bb.701:
	s_mov_b32 s30, 0x3c7fffff
	v_cmp_lt_u32_e32 vcc, s30, v7
                                        ; implicit-def: $vgpr5
	s_and_saveexec_b64 s[30:31], vcc
	s_xor_b64 s[30:31], exec, s[30:31]
; %bb.702:
	v_bfe_u32 v5, v3, 4, 1
	s_mov_b32 s34, 0x407ffff
	v_add3_u32 v5, v6, v5, s34
	v_lshrrev_b32_e32 v6, 20, v5
	v_and_b32_e32 v5, 0xff00000, v5
	s_mov_b32 s34, 0x7f00000
	v_mov_b32_e32 v7, 0x7e
	v_cmp_ne_u32_e32 vcc, s34, v5
	s_nop 1
	v_cndmask_b32_e32 v5, v7, v6, vcc
                                        ; implicit-def: $vgpr6
; %bb.703:
	s_andn2_saveexec_b64 s[30:31], s[30:31]
; %bb.704:
	s_mov_b32 s34, 0x46800000
	v_add_f32_e64 v5, |v6|, s34
; %bb.705:
	s_or_b64 exec, exec, s[30:31]
                                        ; implicit-def: $vgpr7
.LBB152_706:
	s_andn2_saveexec_b64 s[28:29], s[28:29]
; %bb.707:
	s_mov_b32 s30, 0x7f800000
	v_mov_b32_e32 v5, 0x7e
	v_mov_b32_e32 v6, 0x7f
	v_cmp_lt_u32_e32 vcc, s30, v7
	s_nop 1
	v_cndmask_b32_e32 v5, v5, v6, vcc
; %bb.708:
	s_or_b64 exec, exec, s[28:29]
	v_lshrrev_b32_e32 v3, 8, v3
	s_movk_i32 s28, 0x80
	v_and_or_b32 v3, v3, s28, v5
	global_store_byte v[0:1], v3, off
.LBB152_709:
	s_mov_b64 s[28:29], 0
.LBB152_710:
	s_andn2_b64 vcc, exec, s[28:29]
	s_cbranch_vccnz .LBB152_720
; %bb.711:
	v_lshlrev_b32_e32 v6, 16, v2
	v_and_b32_e32 v7, 0x7fffffff, v6
	s_mov_b32 s28, 0x47800000
	v_and_b32_e32 v3, 0xffff, v2
	v_cmp_gt_u32_e32 vcc, s28, v7
                                        ; implicit-def: $vgpr5
	s_and_saveexec_b64 s[28:29], vcc
	s_xor_b64 s[28:29], exec, s[28:29]
	s_cbranch_execz .LBB152_717
; %bb.712:
	s_mov_b32 s30, 0x387fffff
	v_cmp_lt_u32_e32 vcc, s30, v7
                                        ; implicit-def: $vgpr5
	s_and_saveexec_b64 s[30:31], vcc
	s_xor_b64 s[30:31], exec, s[30:31]
; %bb.713:
	v_bfe_u32 v5, v3, 5, 1
	s_mov_b32 s34, 0x80fffff
	v_add3_u32 v5, v6, v5, s34
	v_lshrrev_b32_e32 v5, 21, v5
                                        ; implicit-def: $vgpr6
; %bb.714:
	s_andn2_saveexec_b64 s[30:31], s[30:31]
; %bb.715:
	s_mov_b32 s34, 0x43000000
	v_add_f32_e64 v5, |v6|, s34
; %bb.716:
	s_or_b64 exec, exec, s[30:31]
                                        ; implicit-def: $vgpr7
.LBB152_717:
	s_andn2_saveexec_b64 s[28:29], s[28:29]
; %bb.718:
	s_mov_b32 s30, 0x7f800000
	v_mov_b32_e32 v5, 0x7c
	v_mov_b32_e32 v6, 0x7f
	v_cmp_lt_u32_e32 vcc, s30, v7
	s_nop 1
	v_cndmask_b32_e32 v5, v5, v6, vcc
; %bb.719:
	s_or_b64 exec, exec, s[28:29]
	v_lshrrev_b32_e32 v3, 8, v3
	s_movk_i32 s28, 0x80
	v_and_or_b32 v3, v3, s28, v5
	global_store_byte v[0:1], v3, off
.LBB152_720:
	s_mov_b64 s[30:31], 0
	s_mov_b64 s[28:29], -1
.LBB152_721:
	s_andn2_b64 vcc, exec, s[30:31]
	s_cbranch_vccnz .LBB152_729
; %bb.722:
	s_cmp_gt_i32 s37, 14
	s_mov_b64 s[30:31], -1
	s_cbranch_scc0 .LBB152_726
; %bb.723:
	s_cmp_eq_u32 s37, 15
	s_mov_b64 s[0:1], -1
	s_cbranch_scc0 .LBB152_725
; %bb.724:
	global_store_short v[0:1], v2, off
	s_mov_b64 s[28:29], -1
	s_mov_b64 s[0:1], 0
.LBB152_725:
	s_mov_b64 s[30:31], 0
.LBB152_726:
	s_and_b64 vcc, exec, s[30:31]
	s_cbranch_vccz .LBB152_729
; %bb.727:
	s_cmp_eq_u32 s37, 11
	s_mov_b64 s[0:1], -1
	s_cbranch_scc0 .LBB152_729
; %bb.728:
	v_and_b32_e32 v3, 0x7fff, v2
	v_cmp_ne_u16_e32 vcc, 0, v3
	s_mov_b64 s[28:29], -1
	s_mov_b64 s[0:1], 0
	v_cndmask_b32_e64 v3, 0, 1, vcc
	global_store_byte v[0:1], v3, off
.LBB152_729:
	s_mov_b64 s[30:31], 0
.LBB152_730:
	s_and_b64 vcc, exec, s[30:31]
	s_cbranch_vccz .LBB152_769
; %bb.731:
	s_and_b32 s30, 0xffff, s36
	s_cmp_lt_i32 s30, 5
	s_mov_b64 s[28:29], -1
	s_cbranch_scc1 .LBB152_752
; %bb.732:
	s_cmp_lt_i32 s30, 8
	s_cbranch_scc1 .LBB152_742
; %bb.733:
	s_cmp_lt_i32 s30, 9
	s_cbranch_scc1 .LBB152_739
; %bb.734:
	s_cmp_gt_i32 s30, 9
	s_cbranch_scc0 .LBB152_736
; %bb.735:
	v_lshlrev_b32_e32 v3, 16, v2
	v_mov_b32_e32 v8, 0
	v_cvt_f64_f32_e32 v[6:7], v3
	v_mov_b32_e32 v9, v8
	s_mov_b64 s[28:29], 0
	global_store_dwordx4 v[0:1], v[6:9], off
.LBB152_736:
	s_andn2_b64 vcc, exec, s[28:29]
	s_cbranch_vccnz .LBB152_738
; %bb.737:
	v_lshlrev_b32_e32 v6, 16, v2
	v_mov_b32_e32 v7, 0
	global_store_dwordx2 v[0:1], v[6:7], off
.LBB152_738:
	s_mov_b64 s[28:29], 0
.LBB152_739:
	s_andn2_b64 vcc, exec, s[28:29]
	s_cbranch_vccnz .LBB152_741
; %bb.740:
	v_lshlrev_b32_e32 v3, 16, v2
	v_cvt_f16_f32_e32 v3, v3
	global_store_dword v[0:1], v3, off
.LBB152_741:
	s_mov_b64 s[28:29], 0
.LBB152_742:
	s_andn2_b64 vcc, exec, s[28:29]
	s_cbranch_vccnz .LBB152_751
; %bb.743:
	s_cmp_lt_i32 s30, 6
	s_mov_b64 s[28:29], -1
	s_cbranch_scc1 .LBB152_749
; %bb.744:
	s_cmp_gt_i32 s30, 6
	s_cbranch_scc0 .LBB152_746
; %bb.745:
	v_lshlrev_b32_e32 v3, 16, v2
	v_cvt_f64_f32_e32 v[6:7], v3
	s_mov_b64 s[28:29], 0
	global_store_dwordx2 v[0:1], v[6:7], off
.LBB152_746:
	s_andn2_b64 vcc, exec, s[28:29]
	s_cbranch_vccnz .LBB152_748
; %bb.747:
	v_lshlrev_b32_e32 v3, 16, v2
	global_store_dword v[0:1], v3, off
.LBB152_748:
	s_mov_b64 s[28:29], 0
.LBB152_749:
	s_andn2_b64 vcc, exec, s[28:29]
	s_cbranch_vccnz .LBB152_751
; %bb.750:
	v_lshlrev_b32_e32 v3, 16, v2
	v_cvt_f16_f32_e32 v3, v3
	global_store_short v[0:1], v3, off
.LBB152_751:
	s_mov_b64 s[28:29], 0
.LBB152_752:
	s_andn2_b64 vcc, exec, s[28:29]
	s_cbranch_vccnz .LBB152_768
; %bb.753:
	s_cmp_lt_i32 s30, 2
	s_mov_b64 s[28:29], -1
	s_cbranch_scc1 .LBB152_763
; %bb.754:
	s_cmp_lt_i32 s30, 3
	s_cbranch_scc1 .LBB152_760
; %bb.755:
	s_cmp_gt_i32 s30, 3
	s_cbranch_scc0 .LBB152_757
; %bb.756:
	v_lshlrev_b32_e32 v3, 16, v2
	v_trunc_f32_e32 v3, v3
	s_mov_b32 s28, 0x2f800000
	v_mul_f32_e64 v5, |v3|, s28
	v_floor_f32_e32 v5, v5
	s_mov_b32 s28, 0xcf800000
	v_cvt_u32_f32_e32 v6, v5
	v_fma_f32 v5, v5, s28, |v3|
	v_cvt_u32_f32_e32 v5, v5
	v_ashrrev_i32_e32 v3, 31, v3
	v_xor_b32_e32 v7, v6, v3
	s_mov_b64 s[28:29], 0
	v_xor_b32_e32 v5, v5, v3
	v_sub_co_u32_e32 v6, vcc, v5, v3
	s_nop 1
	v_subb_co_u32_e32 v7, vcc, v7, v3, vcc
	global_store_dwordx2 v[0:1], v[6:7], off
.LBB152_757:
	s_andn2_b64 vcc, exec, s[28:29]
	s_cbranch_vccnz .LBB152_759
; %bb.758:
	v_lshlrev_b32_e32 v3, 16, v2
	v_cvt_i32_f32_e32 v3, v3
	global_store_dword v[0:1], v3, off
.LBB152_759:
	s_mov_b64 s[28:29], 0
.LBB152_760:
	s_andn2_b64 vcc, exec, s[28:29]
	s_cbranch_vccnz .LBB152_762
; %bb.761:
	v_lshlrev_b32_e32 v3, 16, v2
	v_cvt_i32_f32_e32 v3, v3
	global_store_short v[0:1], v3, off
.LBB152_762:
	s_mov_b64 s[28:29], 0
.LBB152_763:
	s_andn2_b64 vcc, exec, s[28:29]
	s_cbranch_vccnz .LBB152_768
; %bb.764:
	s_mov_b64 s[28:29], -1
	s_cmp_gt_i32 s30, 0
	v_lshlrev_b32_e32 v2, 16, v2
	s_cbranch_scc0 .LBB152_766
; %bb.765:
	v_cvt_i32_f32_e32 v3, v2
	s_mov_b64 s[28:29], 0
	global_store_byte v[0:1], v3, off
.LBB152_766:
	s_andn2_b64 vcc, exec, s[28:29]
	s_cbranch_vccnz .LBB152_768
; %bb.767:
	v_trunc_f32_e32 v2, v2
	s_mov_b32 s28, 0x2f800000
	v_mul_f32_e64 v3, |v2|, s28
	v_floor_f32_e32 v3, v3
	s_mov_b32 s28, 0xcf800000
	v_fma_f32 v3, v3, s28, |v2|
	v_cvt_u32_f32_e32 v3, v3
	v_ashrrev_i32_e32 v2, 31, v2
	v_xor_b32_e32 v3, v3, v2
	v_sub_u32_e32 v2, v3, v2
	global_store_byte v[0:1], v2, off
.LBB152_768:
	s_mov_b64 s[28:29], -1
.LBB152_769:
	s_andn2_b64 vcc, exec, s[28:29]
	s_cbranch_vccnz .LBB152_771
; %bb.770:
	v_add_u32_e32 v4, 0x80, v4
	s_mov_b64 s[30:31], -1
	s_branch .LBB152_773
.LBB152_771:
	s_mov_b64 s[30:31], 0
.LBB152_772:
                                        ; implicit-def: $vgpr4
.LBB152_773:
	s_andn2_b64 s[28:29], s[20:21], exec
	s_and_b64 s[0:1], s[0:1], exec
	s_or_b64 s[28:29], s[28:29], s[0:1]
	s_andn2_b64 s[0:1], s[18:19], exec
	s_and_b64 s[26:27], s[26:27], exec
	s_or_b64 s[0:1], s[0:1], s[26:27]
	s_orn2_b64 s[34:35], s[30:31], exec
.LBB152_774:
	s_or_b64 exec, exec, s[24:25]
	s_mov_b64 s[30:31], 0
	s_mov_b64 s[26:27], 0
	;; [unrolled: 1-line block ×3, first 2 shown]
                                        ; implicit-def: $vgpr0_vgpr1
                                        ; implicit-def: $vgpr3
	s_and_saveexec_b64 s[24:25], s[34:35]
	s_cbranch_execz .LBB152_859
; %bb.775:
	v_cmp_gt_i32_e32 vcc, s38, v4
	s_mov_b64 s[34:35], 0
	s_mov_b64 s[38:39], s[0:1]
	;; [unrolled: 1-line block ×3, first 2 shown]
                                        ; implicit-def: $vgpr0_vgpr1
                                        ; implicit-def: $vgpr3
	s_and_saveexec_b64 s[26:27], vcc
	s_cbranch_execz .LBB152_858
; %bb.776:
	v_mul_lo_u32 v0, v4, s9
	v_ashrrev_i32_e32 v1, 31, v0
	s_and_b32 s43, 0xffff, s42
	s_cmp_lt_i32 s43, 11
	v_lshl_add_u64 v[0:1], s[6:7], 0, v[0:1]
	s_cbranch_scc1 .LBB152_783
; %bb.777:
	s_cmp_gt_i32 s43, 25
	s_cbranch_scc0 .LBB152_784
; %bb.778:
	s_cmp_gt_i32 s43, 28
	s_cbranch_scc0 .LBB152_785
	;; [unrolled: 3-line block ×4, first 2 shown]
; %bb.781:
	s_cmp_eq_u32 s43, 46
	s_mov_b64 s[38:39], 0
	s_cbranch_scc0 .LBB152_792
; %bb.782:
	global_load_dword v3, v[0:1], off
	s_mov_b64 s[36:37], -1
	s_branch .LBB152_794
.LBB152_783:
	s_mov_b64 s[38:39], -1
                                        ; implicit-def: $vgpr3
	s_mov_b64 s[30:31], s[0:1]
	s_branch .LBB152_857
.LBB152_784:
	s_mov_b64 s[38:39], -1
	s_mov_b64 s[30:31], s[0:1]
                                        ; implicit-def: $vgpr3
	s_branch .LBB152_823
.LBB152_785:
	s_mov_b64 s[38:39], -1
	s_mov_b64 s[30:31], s[0:1]
                                        ; implicit-def: $vgpr3
	s_branch .LBB152_804
.LBB152_786:
	s_mov_b64 s[38:39], -1
	s_mov_b64 s[30:31], s[0:1]
                                        ; implicit-def: $vgpr3
	s_branch .LBB152_799
.LBB152_787:
	s_andn2_saveexec_b64 s[34:35], s[34:35]
	s_cbranch_execz .LBB152_682
.LBB152_788:
	s_mov_b32 s39, 0x46000000
	v_add_f32_e64 v5, |v6|, s39
	v_and_b32_e32 v5, 0xff, v5
	v_cmp_ne_u32_e32 vcc, 0, v5
	s_andn2_b64 s[30:31], s[30:31], exec
	s_and_b64 s[40:41], vcc, exec
	s_or_b64 s[30:31], s[30:31], s[40:41]
	s_or_b64 exec, exec, s[34:35]
	v_mov_b32_e32 v7, 0
	s_and_saveexec_b64 s[34:35], s[30:31]
	s_cbranch_execnz .LBB152_683
	s_branch .LBB152_684
.LBB152_789:
	s_mov_b64 s[38:39], -1
	s_mov_b64 s[30:31], s[0:1]
	s_branch .LBB152_793
.LBB152_790:
	s_andn2_saveexec_b64 s[34:35], s[34:35]
	s_cbranch_execz .LBB152_695
.LBB152_791:
	s_mov_b32 s39, 0x42800000
	v_add_f32_e64 v5, |v6|, s39
	v_and_b32_e32 v5, 0xff, v5
	v_cmp_ne_u32_e32 vcc, 0, v5
	s_andn2_b64 s[30:31], s[30:31], exec
	s_and_b64 s[40:41], vcc, exec
	s_or_b64 s[30:31], s[30:31], s[40:41]
	s_or_b64 exec, exec, s[34:35]
	v_mov_b32_e32 v7, 0
	s_and_saveexec_b64 s[34:35], s[30:31]
	s_cbranch_execnz .LBB152_696
	s_branch .LBB152_697
.LBB152_792:
	s_mov_b64 s[30:31], -1
.LBB152_793:
                                        ; implicit-def: $vgpr3
.LBB152_794:
	s_and_b64 vcc, exec, s[38:39]
	s_cbranch_vccz .LBB152_798
; %bb.795:
	s_cmp_eq_u32 s43, 44
	s_cbranch_scc0 .LBB152_797
; %bb.796:
	global_load_ubyte v2, v[0:1], off
	s_movk_i32 s36, 0xff
	s_waitcnt vmcnt(1)
	v_mov_b32_e32 v3, 0x7f800001
	v_mov_b32_e32 v5, 0x400000
	;; [unrolled: 1-line block ×3, first 2 shown]
	s_mov_b64 s[30:31], 0
	s_waitcnt vmcnt(0)
	v_lshlrev_b32_e32 v7, 23, v2
	v_cmp_ne_u32_e32 vcc, s36, v2
	s_mov_b64 s[36:37], -1
	s_nop 0
	v_cndmask_b32_e32 v3, v3, v7, vcc
	v_cmp_ne_u32_e32 vcc, 0, v2
	s_nop 1
	v_cndmask_b32_e32 v2, v5, v3, vcc
	v_add_u32_e32 v3, 0x7fff, v2
	v_cmp_o_f32_e32 vcc, v2, v2
	s_nop 1
	v_cndmask_b32_sdwa v3, v6, v3, vcc dst_sel:DWORD dst_unused:UNUSED_PAD src0_sel:DWORD src1_sel:WORD_1
	s_branch .LBB152_798
.LBB152_797:
	s_mov_b64 s[30:31], -1
                                        ; implicit-def: $vgpr3
.LBB152_798:
	s_mov_b64 s[38:39], 0
.LBB152_799:
	s_and_b64 vcc, exec, s[38:39]
	s_cbranch_vccz .LBB152_803
; %bb.800:
	s_cmp_eq_u32 s43, 29
	s_cbranch_scc0 .LBB152_802
; %bb.801:
	global_load_dwordx2 v[2:3], v[0:1], off
	s_movk_i32 s36, 0x7fff
	s_mov_b64 s[30:31], 0
	s_mov_b64 s[38:39], 0
	s_waitcnt vmcnt(0)
	v_ffbh_u32_e32 v5, v3
	v_min_u32_e32 v5, 32, v5
	v_lshlrev_b64 v[2:3], v5, v[2:3]
	v_min_u32_e32 v2, 1, v2
	v_or_b32_e32 v2, v3, v2
	v_cvt_f32_u32_e32 v2, v2
	v_sub_u32_e32 v3, 32, v5
	v_ldexp_f32 v2, v2, v3
	v_bfe_u32 v3, v2, 16, 1
	v_add3_u32 v2, v2, v3, s36
	v_lshrrev_b32_e32 v3, 16, v2
	s_mov_b64 s[36:37], -1
	s_branch .LBB152_804
.LBB152_802:
	s_mov_b64 s[30:31], -1
                                        ; implicit-def: $vgpr3
.LBB152_803:
	s_mov_b64 s[38:39], 0
.LBB152_804:
	s_and_b64 vcc, exec, s[38:39]
	s_cbranch_vccz .LBB152_822
; %bb.805:
	s_cmp_lt_i32 s43, 27
	s_cbranch_scc1 .LBB152_808
; %bb.806:
	s_cmp_gt_i32 s43, 27
	s_cbranch_scc0 .LBB152_809
; %bb.807:
	global_load_dword v2, v[0:1], off
	s_movk_i32 s36, 0x7fff
	s_waitcnt vmcnt(0)
	v_cvt_f32_u32_e32 v2, v2
	v_bfe_u32 v3, v2, 16, 1
	v_add3_u32 v2, v2, v3, s36
	v_lshrrev_b32_e32 v3, 16, v2
	s_mov_b64 s[36:37], 0
	s_branch .LBB152_810
.LBB152_808:
	s_mov_b64 s[36:37], -1
                                        ; implicit-def: $vgpr3
	s_branch .LBB152_813
.LBB152_809:
	s_mov_b64 s[36:37], -1
                                        ; implicit-def: $vgpr3
.LBB152_810:
	s_andn2_b64 vcc, exec, s[36:37]
	s_cbranch_vccnz .LBB152_812
; %bb.811:
	global_load_ushort v2, v[0:1], off
	s_movk_i32 s36, 0x7fff
	s_waitcnt vmcnt(0)
	v_cvt_f32_u32_e32 v2, v2
	v_bfe_u32 v3, v2, 16, 1
	v_add3_u32 v2, v2, v3, s36
	v_lshrrev_b32_e32 v3, 16, v2
.LBB152_812:
	s_mov_b64 s[36:37], 0
.LBB152_813:
	s_andn2_b64 vcc, exec, s[36:37]
	s_cbranch_vccnz .LBB152_821
; %bb.814:
	global_load_ubyte v2, v[0:1], off
	s_movk_i32 s36, 0x7f
	s_waitcnt vmcnt(0)
	v_cmp_lt_i16_e32 vcc, s36, v2
	s_mov_b64 s[36:37], 0
	s_and_saveexec_b64 s[38:39], vcc
	s_xor_b64 s[38:39], exec, s[38:39]
	s_cbranch_execz .LBB152_835
; %bb.815:
	s_movk_i32 s36, 0x80
	v_cmp_eq_u16_e32 vcc, s36, v2
	s_mov_b64 s[36:37], -1
	s_and_saveexec_b64 s[40:41], vcc
; %bb.816:
	s_xor_b64 s[36:37], exec, -1
; %bb.817:
	s_or_b64 exec, exec, s[40:41]
	s_and_b64 s[36:37], s[36:37], exec
	s_or_saveexec_b64 s[38:39], s[38:39]
	v_mov_b32_e32 v3, 0x7f800001
	s_xor_b64 exec, exec, s[38:39]
	s_cbranch_execnz .LBB152_836
.LBB152_818:
	s_or_b64 exec, exec, s[38:39]
	s_and_saveexec_b64 s[38:39], s[36:37]
	s_cbranch_execz .LBB152_820
.LBB152_819:
	v_lshlrev_b32_e32 v3, 24, v2
	v_and_b32_e32 v2, 0xffff, v2
	v_and_b32_e32 v5, 7, v2
	v_ffbh_u32_e32 v7, v5
	v_min_u32_e32 v7, 32, v7
	v_subrev_u32_e32 v8, 28, v7
	v_bfe_u32 v6, v2, 3, 4
	v_lshlrev_b32_e32 v2, v8, v2
	v_sub_u32_e32 v7, 29, v7
	v_and_b32_e32 v2, 7, v2
	v_cmp_eq_u32_e32 vcc, 0, v6
	v_and_b32_e32 v3, 0x80000000, v3
	s_nop 0
	v_cndmask_b32_e32 v6, v6, v7, vcc
	v_cndmask_b32_e32 v2, v5, v2, vcc
	v_mov_b32_e32 v5, 0x3b800000
	v_lshlrev_b32_e32 v2, 20, v2
	v_lshl_add_u32 v5, v6, 23, v5
	v_or3_b32 v3, v3, v5, v2
.LBB152_820:
	s_or_b64 exec, exec, s[38:39]
	v_bfe_u32 v2, v3, 16, 1
	s_movk_i32 s36, 0x7fff
	v_add3_u32 v2, v3, v2, s36
	v_cmp_o_f32_e32 vcc, v3, v3
	v_mov_b32_e32 v3, 0x7fc0
	s_nop 0
	v_cndmask_b32_sdwa v3, v3, v2, vcc dst_sel:DWORD dst_unused:UNUSED_PAD src0_sel:DWORD src1_sel:WORD_1
.LBB152_821:
	s_mov_b64 s[36:37], -1
.LBB152_822:
	s_mov_b64 s[38:39], 0
.LBB152_823:
	s_and_b64 vcc, exec, s[38:39]
	s_cbranch_vccz .LBB152_856
; %bb.824:
	s_cmp_gt_i32 s43, 22
	s_cbranch_scc0 .LBB152_834
; %bb.825:
	s_cmp_lt_i32 s43, 24
	s_cbranch_scc1 .LBB152_837
; %bb.826:
	s_cmp_gt_i32 s43, 24
	s_cbranch_scc0 .LBB152_838
; %bb.827:
	global_load_ubyte v2, v[0:1], off
	s_movk_i32 s34, 0x7f
	s_waitcnt vmcnt(0)
	v_cmp_lt_i16_e32 vcc, s34, v2
	s_mov_b64 s[34:35], 0
	s_and_saveexec_b64 s[36:37], vcc
	s_xor_b64 s[36:37], exec, s[36:37]
	s_cbranch_execz .LBB152_850
; %bb.828:
	s_movk_i32 s34, 0x80
	v_cmp_eq_u16_e32 vcc, s34, v2
	s_mov_b64 s[34:35], -1
	s_and_saveexec_b64 s[38:39], vcc
; %bb.829:
	s_xor_b64 s[34:35], exec, -1
; %bb.830:
	s_or_b64 exec, exec, s[38:39]
	s_and_b64 s[34:35], s[34:35], exec
	s_or_saveexec_b64 s[36:37], s[36:37]
	v_mov_b32_e32 v3, 0x7f800001
	s_xor_b64 exec, exec, s[36:37]
	s_cbranch_execnz .LBB152_851
.LBB152_831:
	s_or_b64 exec, exec, s[36:37]
	s_and_saveexec_b64 s[36:37], s[34:35]
	s_cbranch_execz .LBB152_833
.LBB152_832:
	v_lshlrev_b32_e32 v3, 24, v2
	v_and_b32_e32 v2, 0xffff, v2
	v_and_b32_e32 v5, 3, v2
	v_ffbh_u32_e32 v7, v5
	v_min_u32_e32 v7, 32, v7
	v_subrev_u32_e32 v8, 29, v7
	v_bfe_u32 v6, v2, 2, 5
	v_lshlrev_b32_e32 v2, v8, v2
	v_sub_u32_e32 v7, 30, v7
	v_and_b32_e32 v2, 3, v2
	v_cmp_eq_u32_e32 vcc, 0, v6
	v_and_b32_e32 v3, 0x80000000, v3
	s_nop 0
	v_cndmask_b32_e32 v6, v6, v7, vcc
	v_cndmask_b32_e32 v2, v5, v2, vcc
	v_mov_b32_e32 v5, 0x37800000
	v_lshlrev_b32_e32 v2, 21, v2
	v_lshl_add_u32 v5, v6, 23, v5
	v_or3_b32 v3, v3, v5, v2
.LBB152_833:
	s_or_b64 exec, exec, s[36:37]
	v_bfe_u32 v2, v3, 16, 1
	s_movk_i32 s34, 0x7fff
	v_add3_u32 v2, v3, v2, s34
	v_cmp_o_f32_e32 vcc, v3, v3
	v_mov_b32_e32 v3, 0x7fc0
	s_mov_b64 s[34:35], 0
	v_cndmask_b32_sdwa v3, v3, v2, vcc dst_sel:DWORD dst_unused:UNUSED_PAD src0_sel:DWORD src1_sel:WORD_1
	s_branch .LBB152_839
.LBB152_834:
	s_mov_b64 s[34:35], -1
                                        ; implicit-def: $vgpr3
	s_branch .LBB152_845
.LBB152_835:
	s_or_saveexec_b64 s[38:39], s[38:39]
	v_mov_b32_e32 v3, 0x7f800001
	s_xor_b64 exec, exec, s[38:39]
	s_cbranch_execz .LBB152_818
.LBB152_836:
	v_cmp_ne_u16_e32 vcc, 0, v2
	s_andn2_b64 s[36:37], s[36:37], exec
	s_and_b64 s[40:41], vcc, exec
	v_mov_b32_e32 v3, 0
	s_or_b64 s[36:37], s[36:37], s[40:41]
	s_or_b64 exec, exec, s[38:39]
	s_and_saveexec_b64 s[38:39], s[36:37]
	s_cbranch_execnz .LBB152_819
	s_branch .LBB152_820
.LBB152_837:
	s_mov_b64 s[34:35], -1
                                        ; implicit-def: $vgpr3
	s_branch .LBB152_842
.LBB152_838:
	s_mov_b64 s[34:35], -1
                                        ; implicit-def: $vgpr3
.LBB152_839:
	s_and_b64 vcc, exec, s[34:35]
	s_cbranch_vccz .LBB152_841
; %bb.840:
	global_load_ubyte v2, v[0:1], off
	s_mov_b32 s34, 0x7f800000
	s_brev_b32 s35, 1
	s_movk_i32 s36, 0x7fff
	s_waitcnt vmcnt(0)
	v_lshlrev_b32_e32 v2, 24, v2
	v_and_b32_e32 v3, 0x7f000000, v2
	v_ffbh_u32_e32 v5, v3
	v_min_u32_e32 v5, 32, v5
	v_sub_u32_e64 v5, v5, 4 clamp
	v_lshlrev_b32_e32 v7, v5, v3
	v_lshlrev_b32_e32 v5, 23, v5
	v_lshrrev_b32_e32 v7, 4, v7
	v_add_u32_e32 v6, 0x1000000, v3
	v_sub_u32_e32 v5, v7, v5
	v_ashrrev_i32_e32 v6, 8, v6
	v_add_u32_e32 v5, 0x3c000000, v5
	v_and_or_b32 v5, v6, s34, v5
	v_cmp_ne_u32_e32 vcc, 0, v3
	s_nop 1
	v_cndmask_b32_e32 v3, 0, v5, vcc
	v_and_or_b32 v2, v2, s35, v3
	v_bfe_u32 v3, v3, 16, 1
	v_add3_u32 v3, v2, v3, s36
	v_cmp_o_f32_e32 vcc, v2, v2
	v_mov_b32_e32 v2, 0x7fc0
	s_nop 0
	v_cndmask_b32_sdwa v3, v2, v3, vcc dst_sel:DWORD dst_unused:UNUSED_PAD src0_sel:DWORD src1_sel:WORD_1
.LBB152_841:
	s_mov_b64 s[34:35], 0
.LBB152_842:
	s_andn2_b64 vcc, exec, s[34:35]
	s_cbranch_vccnz .LBB152_844
; %bb.843:
	global_load_ubyte v2, v[0:1], off
	s_movk_i32 s34, 0x7f00
	s_brev_b32 s35, 16
	s_brev_b32 s36, 1
	s_movk_i32 s37, 0x7fff
	s_waitcnt vmcnt(0)
	v_lshlrev_b16_e32 v3, 8, v2
	v_lshlrev_b32_e32 v2, 25, v2
	v_lshrrev_b32_e32 v5, 4, v2
	v_and_or_b32 v6, v3, s34, 0.5
	v_or_b32_e32 v5, 0x70000000, v5
	v_add_f32_e32 v6, -0.5, v6
	v_mul_f32_e32 v5, 0x7800000, v5
	v_cmp_gt_u32_e32 vcc, s35, v2
	v_bfe_i32 v3, v3, 0, 16
	s_nop 0
	v_cndmask_b32_e32 v2, v5, v6, vcc
	v_and_or_b32 v3, v3, s36, v2
	v_bfe_u32 v2, v2, 16, 1
	v_add3_u32 v2, v3, v2, s37
	v_cmp_o_f32_e32 vcc, v3, v3
	v_mov_b32_e32 v3, 0x7fc0
	s_nop 0
	v_cndmask_b32_sdwa v3, v3, v2, vcc dst_sel:DWORD dst_unused:UNUSED_PAD src0_sel:DWORD src1_sel:WORD_1
.LBB152_844:
	s_mov_b64 s[34:35], 0
	s_mov_b64 s[36:37], -1
.LBB152_845:
	s_andn2_b64 vcc, exec, s[34:35]
	s_mov_b64 s[34:35], 0
	s_cbranch_vccnz .LBB152_856
; %bb.846:
	s_cmp_gt_i32 s43, 14
	s_cbranch_scc0 .LBB152_849
; %bb.847:
	s_cmp_eq_u32 s43, 15
	s_cbranch_scc0 .LBB152_852
; %bb.848:
	global_load_ushort v3, v[0:1], off
	s_mov_b64 s[30:31], 0
	s_mov_b64 s[36:37], -1
	s_branch .LBB152_853
.LBB152_849:
	s_mov_b64 s[38:39], -1
                                        ; implicit-def: $vgpr3
	s_branch .LBB152_854
.LBB152_850:
	s_or_saveexec_b64 s[36:37], s[36:37]
	v_mov_b32_e32 v3, 0x7f800001
	s_xor_b64 exec, exec, s[36:37]
	s_cbranch_execz .LBB152_831
.LBB152_851:
	v_cmp_ne_u16_e32 vcc, 0, v2
	s_andn2_b64 s[34:35], s[34:35], exec
	s_and_b64 s[38:39], vcc, exec
	v_mov_b32_e32 v3, 0
	s_or_b64 s[34:35], s[34:35], s[38:39]
	s_or_b64 exec, exec, s[36:37]
	s_and_saveexec_b64 s[36:37], s[34:35]
	s_cbranch_execnz .LBB152_832
	s_branch .LBB152_833
.LBB152_852:
	s_mov_b64 s[30:31], -1
                                        ; implicit-def: $vgpr3
.LBB152_853:
	s_mov_b64 s[38:39], 0
.LBB152_854:
	s_and_b64 vcc, exec, s[38:39]
	s_cbranch_vccz .LBB152_856
; %bb.855:
	s_cmp_lg_u32 s43, 11
	s_cselect_b64 s[38:39], -1, 0
	s_andn2_b64 s[30:31], s[30:31], exec
	s_and_b64 s[38:39], s[38:39], exec
	s_mov_b64 s[34:35], -1
	s_or_b64 s[30:31], s[30:31], s[38:39]
.LBB152_856:
	s_mov_b64 s[38:39], 0
.LBB152_857:
	s_and_b64 s[40:41], s[38:39], exec
	s_andn2_b64 s[38:39], s[0:1], exec
	s_and_b64 s[30:31], s[30:31], exec
	s_and_b64 s[36:37], s[36:37], exec
	;; [unrolled: 1-line block ×3, first 2 shown]
	s_or_b64 s[38:39], s[38:39], s[30:31]
.LBB152_858:
	s_or_b64 exec, exec, s[26:27]
	s_and_b64 s[30:31], s[34:35], exec
	s_andn2_b64 s[0:1], s[0:1], exec
	s_and_b64 s[34:35], s[38:39], exec
	s_and_b64 s[36:37], s[36:37], exec
	;; [unrolled: 1-line block ×3, first 2 shown]
	s_or_b64 s[0:1], s[0:1], s[34:35]
.LBB152_859:
	s_or_b64 exec, exec, s[24:25]
	s_andn2_b64 s[20:21], s[20:21], exec
	s_and_b64 s[24:25], s[28:29], exec
	s_andn2_b64 s[18:19], s[18:19], exec
	s_and_b64 s[0:1], s[0:1], exec
	s_or_b64 s[20:21], s[20:21], s[24:25]
	s_and_b64 s[28:29], s[36:37], exec
	s_and_b64 s[26:27], s[26:27], exec
	;; [unrolled: 1-line block ×3, first 2 shown]
	s_or_b64 s[18:19], s[18:19], s[0:1]
.LBB152_860:
	s_or_b64 exec, exec, s[22:23]
	s_andn2_b64 s[0:1], s[12:13], exec
	s_and_b64 s[12:13], s[20:21], exec
	s_andn2_b64 s[14:15], s[14:15], exec
	s_and_b64 s[18:19], s[18:19], exec
	s_or_b64 s[12:13], s[0:1], s[12:13]
	s_and_b64 s[0:1], s[28:29], exec
	s_and_b64 s[22:23], s[26:27], exec
	;; [unrolled: 1-line block ×3, first 2 shown]
	s_or_b64 s[14:15], s[14:15], s[18:19]
	s_or_b64 exec, exec, s[16:17]
	s_mov_b64 s[16:17], 0
	s_and_saveexec_b64 s[18:19], s[14:15]
	s_cbranch_execz .LBB152_262
.LBB152_861:
	s_mov_b64 s[16:17], exec
	s_andn2_b64 s[20:21], s[20:21], exec
	s_trap 2
	s_or_b64 exec, exec, s[18:19]
	s_and_saveexec_b64 s[14:15], s[20:21]
	s_xor_b64 s[14:15], exec, s[14:15]
	s_cbranch_execnz .LBB152_263
.LBB152_862:
	s_or_b64 exec, exec, s[14:15]
	s_and_saveexec_b64 s[14:15], s[22:23]
	s_cbranch_execz .LBB152_908
.LBB152_863:
	s_sext_i32_i16 s18, s42
	s_cmp_lt_i32 s18, 5
	s_cbranch_scc1 .LBB152_868
; %bb.864:
	s_cmp_lt_i32 s18, 8
	s_cbranch_scc1 .LBB152_869
; %bb.865:
	;; [unrolled: 3-line block ×3, first 2 shown]
	s_cmp_gt_i32 s18, 9
	s_cbranch_scc0 .LBB152_871
; %bb.867:
	global_load_dwordx2 v[2:3], v[0:1], off
	s_movk_i32 s18, 0x7fff
	v_mov_b32_e32 v5, 0x7fc0
	s_waitcnt vmcnt(0)
	v_cvt_f32_f64_e32 v2, v[2:3]
	v_bfe_u32 v3, v2, 16, 1
	v_cmp_o_f32_e32 vcc, v2, v2
	v_add3_u32 v2, v2, v3, s18
	s_mov_b64 s[18:19], 0
	v_cndmask_b32_sdwa v3, v5, v2, vcc dst_sel:DWORD dst_unused:UNUSED_PAD src0_sel:DWORD src1_sel:WORD_1
	s_branch .LBB152_872
.LBB152_868:
                                        ; implicit-def: $vgpr3
	s_branch .LBB152_889
.LBB152_869:
                                        ; implicit-def: $vgpr3
	s_branch .LBB152_878
.LBB152_870:
	s_mov_b64 s[18:19], -1
                                        ; implicit-def: $vgpr3
	s_branch .LBB152_875
.LBB152_871:
	s_mov_b64 s[18:19], -1
                                        ; implicit-def: $vgpr3
.LBB152_872:
	s_andn2_b64 vcc, exec, s[18:19]
	s_cbranch_vccnz .LBB152_874
; %bb.873:
	global_load_dword v2, v[0:1], off
	s_movk_i32 s18, 0x7fff
	s_waitcnt vmcnt(1)
	v_mov_b32_e32 v3, 0x7fc0
	s_waitcnt vmcnt(0)
	v_bfe_u32 v5, v2, 16, 1
	v_cmp_o_f32_e32 vcc, v2, v2
	v_add3_u32 v2, v2, v5, s18
	s_nop 0
	v_cndmask_b32_sdwa v3, v3, v2, vcc dst_sel:DWORD dst_unused:UNUSED_PAD src0_sel:DWORD src1_sel:WORD_1
.LBB152_874:
	s_mov_b64 s[18:19], 0
.LBB152_875:
	s_andn2_b64 vcc, exec, s[18:19]
	s_cbranch_vccnz .LBB152_877
; %bb.876:
	global_load_dword v2, v[0:1], off
	s_movk_i32 s18, 0x7fff
	v_mov_b32_e32 v5, 0x7fc0
	s_waitcnt vmcnt(0)
	v_cvt_f32_f16_e32 v3, v2
	v_cmp_o_f16_e32 vcc, v2, v2
	v_bfe_u32 v2, v3, 16, 1
	v_add3_u32 v2, v3, v2, s18
	v_cndmask_b32_sdwa v3, v5, v2, vcc dst_sel:DWORD dst_unused:UNUSED_PAD src0_sel:DWORD src1_sel:WORD_1
.LBB152_877:
	s_cbranch_execnz .LBB152_888
.LBB152_878:
	s_sext_i32_i16 s18, s42
	s_cmp_lt_i32 s18, 6
	s_cbranch_scc1 .LBB152_881
; %bb.879:
	s_cmp_gt_i32 s18, 6
	s_cbranch_scc0 .LBB152_882
; %bb.880:
	global_load_dwordx2 v[2:3], v[0:1], off
	s_movk_i32 s18, 0x7fff
	v_mov_b32_e32 v5, 0x7fc0
	s_waitcnt vmcnt(0)
	v_cvt_f32_f64_e32 v2, v[2:3]
	v_bfe_u32 v3, v2, 16, 1
	v_cmp_o_f32_e32 vcc, v2, v2
	v_add3_u32 v2, v2, v3, s18
	s_mov_b64 s[18:19], 0
	v_cndmask_b32_sdwa v3, v5, v2, vcc dst_sel:DWORD dst_unused:UNUSED_PAD src0_sel:DWORD src1_sel:WORD_1
	s_branch .LBB152_883
.LBB152_881:
	s_mov_b64 s[18:19], -1
                                        ; implicit-def: $vgpr3
	s_branch .LBB152_886
.LBB152_882:
	s_mov_b64 s[18:19], -1
                                        ; implicit-def: $vgpr3
.LBB152_883:
	s_andn2_b64 vcc, exec, s[18:19]
	s_cbranch_vccnz .LBB152_885
; %bb.884:
	global_load_dword v2, v[0:1], off
	s_movk_i32 s18, 0x7fff
	s_waitcnt vmcnt(1)
	v_mov_b32_e32 v3, 0x7fc0
	s_waitcnt vmcnt(0)
	v_bfe_u32 v5, v2, 16, 1
	v_cmp_o_f32_e32 vcc, v2, v2
	v_add3_u32 v2, v2, v5, s18
	s_nop 0
	v_cndmask_b32_sdwa v3, v3, v2, vcc dst_sel:DWORD dst_unused:UNUSED_PAD src0_sel:DWORD src1_sel:WORD_1
.LBB152_885:
	s_mov_b64 s[18:19], 0
.LBB152_886:
	s_andn2_b64 vcc, exec, s[18:19]
	s_cbranch_vccnz .LBB152_888
; %bb.887:
	global_load_ushort v2, v[0:1], off
	s_movk_i32 s18, 0x7fff
	v_mov_b32_e32 v5, 0x7fc0
	s_waitcnt vmcnt(0)
	v_cvt_f32_f16_e32 v3, v2
	v_cmp_o_f16_e32 vcc, v2, v2
	v_bfe_u32 v2, v3, 16, 1
	v_add3_u32 v2, v3, v2, s18
	v_cndmask_b32_sdwa v3, v5, v2, vcc dst_sel:DWORD dst_unused:UNUSED_PAD src0_sel:DWORD src1_sel:WORD_1
.LBB152_888:
	s_cbranch_execnz .LBB152_907
.LBB152_889:
	s_sext_i32_i16 s18, s42
	s_cmp_lt_i32 s18, 2
	s_cbranch_scc1 .LBB152_893
; %bb.890:
	s_cmp_lt_i32 s18, 3
	s_cbranch_scc1 .LBB152_894
; %bb.891:
	s_cmp_gt_i32 s18, 3
	s_cbranch_scc0 .LBB152_895
; %bb.892:
	global_load_dwordx2 v[2:3], v[0:1], off
	s_movk_i32 s18, 0x7fff
	s_waitcnt vmcnt(0)
	v_xor_b32_e32 v6, v2, v3
	v_ffbh_i32_e32 v5, v3
	v_ashrrev_i32_e32 v6, 31, v6
	v_add_u32_e32 v5, -1, v5
	v_add_u32_e32 v6, 32, v6
	v_min_u32_e32 v5, v5, v6
	v_lshlrev_b64 v[2:3], v5, v[2:3]
	v_min_u32_e32 v2, 1, v2
	v_or_b32_e32 v2, v3, v2
	v_cvt_f32_i32_e32 v2, v2
	v_sub_u32_e32 v3, 32, v5
	v_ldexp_f32 v2, v2, v3
	v_bfe_u32 v3, v2, 16, 1
	v_add3_u32 v2, v2, v3, s18
	v_lshrrev_b32_e32 v3, 16, v2
	s_mov_b64 s[18:19], 0
	s_branch .LBB152_896
.LBB152_893:
                                        ; implicit-def: $vgpr3
	s_branch .LBB152_902
.LBB152_894:
	s_mov_b64 s[18:19], -1
                                        ; implicit-def: $vgpr3
	s_branch .LBB152_899
.LBB152_895:
	s_mov_b64 s[18:19], -1
                                        ; implicit-def: $vgpr3
.LBB152_896:
	s_andn2_b64 vcc, exec, s[18:19]
	s_cbranch_vccnz .LBB152_898
; %bb.897:
	global_load_dword v2, v[0:1], off
	s_movk_i32 s18, 0x7fff
	s_waitcnt vmcnt(0)
	v_cvt_f32_i32_e32 v2, v2
	v_bfe_u32 v3, v2, 16, 1
	v_add3_u32 v2, v2, v3, s18
	v_lshrrev_b32_e32 v3, 16, v2
.LBB152_898:
	s_mov_b64 s[18:19], 0
.LBB152_899:
	s_andn2_b64 vcc, exec, s[18:19]
	s_cbranch_vccnz .LBB152_901
; %bb.900:
	global_load_sshort v2, v[0:1], off
	s_movk_i32 s18, 0x7fff
	s_waitcnt vmcnt(0)
	v_cvt_f32_i32_e32 v2, v2
	v_bfe_u32 v3, v2, 16, 1
	v_add3_u32 v2, v2, v3, s18
	v_lshrrev_b32_e32 v3, 16, v2
.LBB152_901:
	s_cbranch_execnz .LBB152_907
.LBB152_902:
	s_sext_i32_i16 s18, s42
	s_cmp_gt_i32 s18, 0
	s_cbranch_scc0 .LBB152_904
; %bb.903:
	global_load_sbyte v2, v[0:1], off
	s_movk_i32 s18, 0x7fff
	s_waitcnt vmcnt(0)
	v_cvt_f32_i32_e32 v2, v2
	v_bfe_u32 v3, v2, 16, 1
	v_add3_u32 v2, v2, v3, s18
	v_lshrrev_b32_e32 v3, 16, v2
	s_mov_b64 s[18:19], 0
	s_branch .LBB152_905
.LBB152_904:
	s_mov_b64 s[18:19], -1
                                        ; implicit-def: $vgpr3
.LBB152_905:
	s_andn2_b64 vcc, exec, s[18:19]
	s_cbranch_vccnz .LBB152_907
; %bb.906:
	global_load_ubyte v0, v[0:1], off
	s_movk_i32 s18, 0x7fff
	s_waitcnt vmcnt(0)
	v_cvt_f32_ubyte0_e32 v0, v0
	v_bfe_u32 v1, v0, 16, 1
	v_add3_u32 v0, v0, v1, s18
	v_lshrrev_b32_e32 v3, 16, v0
.LBB152_907:
	s_or_b64 s[0:1], s[0:1], exec
.LBB152_908:
	s_or_b64 exec, exec, s[14:15]
	s_mov_b64 s[20:21], 0
	s_mov_b64 s[18:19], 0
                                        ; implicit-def: $sgpr26
                                        ; implicit-def: $vgpr0_vgpr1
                                        ; implicit-def: $vgpr2
	s_and_saveexec_b64 s[14:15], s[0:1]
	s_cbranch_execz .LBB152_926
; %bb.909:
	s_waitcnt vmcnt(0)
	v_lshlrev_b32_e32 v0, 16, v3
	v_mul_f32_e32 v1, 0x3fb8aa3b, v0
	v_rndne_f32_e32 v1, v1
	v_fmamk_f32 v2, v1, 0xbf317218, v0
	v_fmamk_f32 v2, v1, 0x3102e308, v2
	v_mov_b32_e32 v3, 0x3ab69700
	v_fmac_f32_e32 v3, 0x395133b1, v2
	v_fmaak_f32 v3, v2, v3, 0x3c0887f9
	v_fmaak_f32 v3, v2, v3, 0x3d2aaa81
	v_cvt_i32_f32_e32 v5, v1
	v_fmaak_f32 v3, v2, v3, 0x3e2aaaab
	v_fma_f32 v3, v2, v3, 0.5
	v_mul_f32_e32 v3, v2, v3
	s_mov_b32 s0, 0x43000000
	v_fmac_f32_e32 v2, v2, v3
	v_ldexp_f32 v3, 1.0, v5
	v_mov_b32_e32 v5, 0x7f000000
	v_cmp_eq_f32_e32 vcc, s0, v1
	s_mov_b32 s0, 0x42b17217
	s_and_b32 s26, s33, 0xff
	v_cndmask_b32_e32 v1, v3, v5, vcc
	v_add_f32_e32 v3, -1.0, v1
	v_fmac_f32_e32 v3, v1, v2
	v_add_f32_e32 v1, v3, v3
	v_cndmask_b32_e32 v1, v3, v1, vcc
	v_mov_b32_e32 v2, 0x7f800000
	v_cmp_nlt_f32_e32 vcc, s0, v0
	s_mov_b32 s0, 0xc1880000
	s_cmp_lt_i32 s26, 11
	v_cndmask_b32_e32 v1, v2, v1, vcc
	v_cmp_ngt_f32_e32 vcc, s0, v0
	s_movk_i32 s0, 0x7fff
	s_nop 0
	v_cndmask_b32_e32 v0, -1.0, v1, vcc
	v_bfe_u32 v1, v0, 16, 1
	v_add3_u32 v1, v0, v1, s0
	v_cmp_o_f32_e32 vcc, v0, v0
	v_mov_b32_e32 v0, 0x7fc0
	s_nop 0
	v_cndmask_b32_sdwa v2, v0, v1, vcc dst_sel:DWORD dst_unused:UNUSED_PAD src0_sel:DWORD src1_sel:WORD_1
	v_mul_lo_u32 v0, v4, s8
	v_ashrrev_i32_e32 v1, 31, v0
	v_lshl_add_u64 v[0:1], s[4:5], 0, v[0:1]
	s_cbranch_scc1 .LBB152_929
; %bb.910:
	s_and_b32 s27, 0xffff, s26
	s_mov_b64 s[20:21], -1
	s_cmp_gt_i32 s27, 25
	s_mov_b64 s[0:1], s[12:13]
	s_cbranch_scc0 .LBB152_947
; %bb.911:
	s_mov_b64 s[18:19], -1
	s_cmp_gt_i32 s27, 28
	s_mov_b64 s[0:1], s[12:13]
	s_cbranch_scc0 .LBB152_931
; %bb.912:
	s_cmp_gt_i32 s27, 43
	s_mov_b64 s[0:1], s[12:13]
	s_cbranch_scc0 .LBB152_923
; %bb.913:
	;; [unrolled: 4-line block ×3, first 2 shown]
	s_cmp_eq_u32 s27, 46
	s_mov_b64 s[0:1], -1
	s_cbranch_scc0 .LBB152_916
; %bb.915:
	v_and_b32_e32 v3, 0xffff, v2
	global_store_dword v[0:1], v3, off
	s_mov_b64 s[0:1], 0
.LBB152_916:
	s_mov_b64 s[18:19], 0
.LBB152_917:
	s_and_b64 vcc, exec, s[18:19]
	s_cbranch_vccz .LBB152_922
; %bb.918:
	s_cmp_eq_u32 s27, 44
	s_mov_b64 s[0:1], -1
	s_cbranch_scc0 .LBB152_922
; %bb.919:
	v_and_b32_e32 v4, 0xffff, v2
	v_bfe_u32 v3, v4, 7, 8
	s_movk_i32 s0, 0xff
	v_cmp_ne_u32_e32 vcc, s0, v3
	v_mov_b32_e32 v5, 0xff
	s_and_saveexec_b64 s[18:19], vcc
	s_cbranch_execz .LBB152_921
; %bb.920:
	v_lshlrev_b32_e32 v6, 16, v4
	s_mov_b32 s0, 0x3f0000
	v_lshrrev_b32_e32 v5, 7, v4
	v_and_b32_e32 v4, 64, v4
	v_and_or_b32 v3, v6, s0, v3
	v_cmp_ne_u32_e32 vcc, 0, v4
	v_cmp_ne_u32_e64 s[0:1], 0, v3
	s_and_b64 s[0:1], vcc, s[0:1]
	s_nop 0
	v_cndmask_b32_e64 v3, 0, 1, s[0:1]
	v_add_u32_e32 v5, v5, v3
.LBB152_921:
	s_or_b64 exec, exec, s[18:19]
	s_mov_b64 s[0:1], 0
	global_store_byte v[0:1], v5, off
.LBB152_922:
	s_mov_b64 s[18:19], 0
.LBB152_923:
	s_and_b64 vcc, exec, s[18:19]
	s_cbranch_vccz .LBB152_930
; %bb.924:
	s_cmp_eq_u32 s27, 29
	s_mov_b64 s[0:1], -1
	s_cbranch_scc0 .LBB152_930
; %bb.925:
	v_lshlrev_b32_e32 v3, 16, v2
	v_trunc_f32_e32 v3, v3
	v_mul_f32_e32 v4, 0x2f800000, v3
	v_floor_f32_e32 v4, v4
	v_fmamk_f32 v3, v4, 0xcf800000, v3
	v_cvt_u32_f32_e32 v5, v4
	v_cvt_u32_f32_e32 v4, v3
	s_mov_b64 s[0:1], 0
	s_mov_b64 s[18:19], 0
	global_store_dwordx2 v[0:1], v[4:5], off
	s_branch .LBB152_931
.LBB152_926:
	s_or_b64 exec, exec, s[14:15]
	s_and_saveexec_b64 s[0:1], s[12:13]
	s_cbranch_execnz .LBB152_989
.LBB152_927:
	s_or_b64 exec, exec, s[0:1]
	s_and_saveexec_b64 s[0:1], s[20:21]
	s_xor_b64 s[0:1], exec, s[0:1]
	s_cbranch_execz .LBB152_990
.LBB152_928:
	s_waitcnt vmcnt(0)
	v_and_b32_e32 v3, 0x7fff, v2
	v_cmp_ne_u16_e32 vcc, 0, v3
	s_nop 1
	v_cndmask_b32_e64 v3, 0, 1, vcc
	global_store_byte v[0:1], v3, off
	s_or_b64 exec, exec, s[0:1]
	s_and_saveexec_b64 s[0:1], s[18:19]
	s_xor_b64 s[0:1], exec, s[0:1]
	s_cbranch_execz .LBB152_1028
	s_branch .LBB152_991
.LBB152_929:
	s_mov_b64 s[18:19], -1
	s_mov_b64 s[0:1], s[12:13]
	s_branch .LBB152_988
.LBB152_930:
	s_mov_b64 s[18:19], 0
.LBB152_931:
	s_and_b64 vcc, exec, s[18:19]
	s_cbranch_vccz .LBB152_946
; %bb.932:
	s_cmp_lt_i32 s27, 27
	s_mov_b64 s[18:19], -1
	s_cbranch_scc1 .LBB152_938
; %bb.933:
	s_cmp_gt_i32 s27, 27
	s_cbranch_scc0 .LBB152_935
; %bb.934:
	v_lshlrev_b32_e32 v3, 16, v2
	v_cvt_u32_f32_e32 v3, v3
	s_mov_b64 s[18:19], 0
	global_store_dword v[0:1], v3, off
.LBB152_935:
	s_andn2_b64 vcc, exec, s[18:19]
	s_cbranch_vccnz .LBB152_937
; %bb.936:
	v_lshlrev_b32_e32 v3, 16, v2
	v_cvt_u32_f32_e32 v3, v3
	global_store_short v[0:1], v3, off
.LBB152_937:
	s_mov_b64 s[18:19], 0
.LBB152_938:
	s_andn2_b64 vcc, exec, s[18:19]
	s_cbranch_vccnz .LBB152_946
; %bb.939:
	v_lshlrev_b32_e32 v5, 16, v2
	v_and_b32_e32 v4, 0x7fffffff, v5
	s_mov_b32 s18, 0x43800000
	v_cmp_gt_u32_e32 vcc, s18, v4
	v_mov_b32_e32 v6, 0x80
	s_and_saveexec_b64 s[18:19], vcc
	s_cbranch_execz .LBB152_945
; %bb.940:
	s_mov_b32 s20, 0x3bffffff
	v_and_b32_e32 v3, 0xffff, v2
	v_cmp_lt_u32_e32 vcc, s20, v4
	s_mov_b64 s[20:21], 0
                                        ; implicit-def: $vgpr4
	s_and_saveexec_b64 s[22:23], vcc
	s_xor_b64 s[22:23], exec, s[22:23]
	s_cbranch_execz .LBB152_1043
; %bb.941:
	v_bfe_u32 v4, v3, 4, 1
	s_mov_b32 s24, 0x487ffff
	v_add3_u32 v4, v5, v4, s24
	s_mov_b64 s[20:21], exec
	v_lshrrev_b32_e32 v4, 20, v4
                                        ; implicit-def: $vgpr5
	s_andn2_saveexec_b64 s[22:23], s[22:23]
	s_cbranch_execnz .LBB152_1044
.LBB152_942:
	s_or_b64 exec, exec, s[22:23]
	v_mov_b32_e32 v6, 0
	s_and_saveexec_b64 s[22:23], s[20:21]
.LBB152_943:
	v_lshrrev_b32_e32 v3, 8, v3
	s_movk_i32 s20, 0x80
	v_and_or_b32 v6, v3, s20, v4
.LBB152_944:
	s_or_b64 exec, exec, s[22:23]
.LBB152_945:
	s_or_b64 exec, exec, s[18:19]
	global_store_byte v[0:1], v6, off
.LBB152_946:
	s_mov_b64 s[20:21], 0
.LBB152_947:
	s_mov_b64 s[18:19], 0
	s_and_b64 vcc, exec, s[20:21]
	s_cbranch_vccz .LBB152_987
; %bb.948:
	s_cmp_gt_i32 s27, 22
	s_mov_b64 s[20:21], -1
	s_cbranch_scc0 .LBB152_980
; %bb.949:
	s_cmp_lt_i32 s27, 24
	s_cbranch_scc1 .LBB152_969
; %bb.950:
	s_cmp_gt_i32 s27, 24
	s_cbranch_scc0 .LBB152_958
; %bb.951:
	v_lshlrev_b32_e32 v5, 16, v2
	v_and_b32_e32 v4, 0x7fffffff, v5
	s_mov_b32 s20, 0x47800000
	v_cmp_gt_u32_e32 vcc, s20, v4
	v_mov_b32_e32 v6, 0x80
	s_and_saveexec_b64 s[20:21], vcc
	s_cbranch_execz .LBB152_957
; %bb.952:
	s_mov_b32 s22, 0x37ffffff
	v_and_b32_e32 v3, 0xffff, v2
	v_cmp_lt_u32_e32 vcc, s22, v4
	s_mov_b64 s[22:23], 0
                                        ; implicit-def: $vgpr4
	s_and_saveexec_b64 s[24:25], vcc
	s_xor_b64 s[24:25], exec, s[24:25]
	s_cbranch_execz .LBB152_1167
; %bb.953:
	v_bfe_u32 v4, v3, 5, 1
	s_mov_b32 s28, 0x88fffff
	v_add3_u32 v4, v5, v4, s28
	s_mov_b64 s[22:23], exec
	v_lshrrev_b32_e32 v4, 21, v4
                                        ; implicit-def: $vgpr5
	s_andn2_saveexec_b64 s[24:25], s[24:25]
	s_cbranch_execnz .LBB152_1168
.LBB152_954:
	s_or_b64 exec, exec, s[24:25]
	v_mov_b32_e32 v6, 0
	s_and_saveexec_b64 s[24:25], s[22:23]
.LBB152_955:
	v_lshrrev_b32_e32 v3, 8, v3
	s_movk_i32 s22, 0x80
	v_and_or_b32 v6, v3, s22, v4
.LBB152_956:
	s_or_b64 exec, exec, s[24:25]
.LBB152_957:
	s_or_b64 exec, exec, s[20:21]
	s_mov_b64 s[20:21], 0
	global_store_byte v[0:1], v6, off
.LBB152_958:
	s_and_b64 vcc, exec, s[20:21]
	s_cbranch_vccz .LBB152_968
; %bb.959:
	v_lshlrev_b32_e32 v5, 16, v2
	v_and_b32_e32 v6, 0x7fffffff, v5
	s_mov_b32 s20, 0x43f00000
	v_and_b32_e32 v3, 0xffff, v2
	v_cmp_gt_u32_e32 vcc, s20, v6
                                        ; implicit-def: $vgpr4
	s_and_saveexec_b64 s[20:21], vcc
	s_xor_b64 s[20:21], exec, s[20:21]
	s_cbranch_execz .LBB152_965
; %bb.960:
	s_mov_b32 s22, 0x3c7fffff
	v_cmp_lt_u32_e32 vcc, s22, v6
                                        ; implicit-def: $vgpr4
	s_and_saveexec_b64 s[22:23], vcc
	s_xor_b64 s[22:23], exec, s[22:23]
; %bb.961:
	v_bfe_u32 v4, v3, 4, 1
	s_mov_b32 s24, 0x407ffff
	v_add3_u32 v4, v5, v4, s24
	v_lshrrev_b32_e32 v5, 20, v4
	v_and_b32_e32 v4, 0xff00000, v4
	s_mov_b32 s24, 0x7f00000
	v_mov_b32_e32 v6, 0x7e
	v_cmp_ne_u32_e32 vcc, s24, v4
	s_nop 1
	v_cndmask_b32_e32 v4, v6, v5, vcc
                                        ; implicit-def: $vgpr5
; %bb.962:
	s_andn2_saveexec_b64 s[22:23], s[22:23]
; %bb.963:
	s_mov_b32 s24, 0x46800000
	v_add_f32_e64 v4, |v5|, s24
; %bb.964:
	s_or_b64 exec, exec, s[22:23]
                                        ; implicit-def: $vgpr6
.LBB152_965:
	s_andn2_saveexec_b64 s[20:21], s[20:21]
; %bb.966:
	s_mov_b32 s22, 0x7f800000
	v_mov_b32_e32 v4, 0x7e
	v_mov_b32_e32 v5, 0x7f
	v_cmp_lt_u32_e32 vcc, s22, v6
	s_nop 1
	v_cndmask_b32_e32 v4, v4, v5, vcc
; %bb.967:
	s_or_b64 exec, exec, s[20:21]
	v_lshrrev_b32_e32 v3, 8, v3
	s_movk_i32 s20, 0x80
	v_and_or_b32 v3, v3, s20, v4
	global_store_byte v[0:1], v3, off
.LBB152_968:
	s_mov_b64 s[20:21], 0
.LBB152_969:
	s_andn2_b64 vcc, exec, s[20:21]
	s_cbranch_vccnz .LBB152_979
; %bb.970:
	v_lshlrev_b32_e32 v5, 16, v2
	v_and_b32_e32 v6, 0x7fffffff, v5
	s_mov_b32 s20, 0x47800000
	v_and_b32_e32 v3, 0xffff, v2
	v_cmp_gt_u32_e32 vcc, s20, v6
                                        ; implicit-def: $vgpr4
	s_and_saveexec_b64 s[20:21], vcc
	s_xor_b64 s[20:21], exec, s[20:21]
	s_cbranch_execz .LBB152_976
; %bb.971:
	s_mov_b32 s22, 0x387fffff
	v_cmp_lt_u32_e32 vcc, s22, v6
                                        ; implicit-def: $vgpr4
	s_and_saveexec_b64 s[22:23], vcc
	s_xor_b64 s[22:23], exec, s[22:23]
; %bb.972:
	v_bfe_u32 v4, v3, 5, 1
	s_mov_b32 s24, 0x80fffff
	v_add3_u32 v4, v5, v4, s24
	v_lshrrev_b32_e32 v4, 21, v4
                                        ; implicit-def: $vgpr5
; %bb.973:
	s_andn2_saveexec_b64 s[22:23], s[22:23]
; %bb.974:
	s_mov_b32 s24, 0x43000000
	v_add_f32_e64 v4, |v5|, s24
; %bb.975:
	s_or_b64 exec, exec, s[22:23]
                                        ; implicit-def: $vgpr6
.LBB152_976:
	s_andn2_saveexec_b64 s[20:21], s[20:21]
; %bb.977:
	s_mov_b32 s22, 0x7f800000
	v_mov_b32_e32 v4, 0x7c
	v_mov_b32_e32 v5, 0x7f
	v_cmp_lt_u32_e32 vcc, s22, v6
	s_nop 1
	v_cndmask_b32_e32 v4, v4, v5, vcc
; %bb.978:
	s_or_b64 exec, exec, s[20:21]
	v_lshrrev_b32_e32 v3, 8, v3
	s_movk_i32 s20, 0x80
	v_and_or_b32 v3, v3, s20, v4
	global_store_byte v[0:1], v3, off
.LBB152_979:
	s_mov_b64 s[20:21], 0
.LBB152_980:
	s_andn2_b64 vcc, exec, s[20:21]
	s_mov_b64 s[20:21], 0
	s_cbranch_vccnz .LBB152_988
; %bb.981:
	s_cmp_gt_i32 s27, 14
	s_mov_b64 s[22:23], -1
	s_cbranch_scc0 .LBB152_985
; %bb.982:
	s_cmp_eq_u32 s27, 15
	s_mov_b64 s[0:1], -1
	s_cbranch_scc0 .LBB152_984
; %bb.983:
	global_store_short v[0:1], v2, off
	s_mov_b64 s[0:1], 0
.LBB152_984:
	s_mov_b64 s[22:23], 0
.LBB152_985:
	s_and_b64 vcc, exec, s[22:23]
	s_cbranch_vccz .LBB152_988
; %bb.986:
	s_cmp_lg_u32 s27, 11
	s_cselect_b64 s[22:23], -1, 0
	s_andn2_b64 s[0:1], s[0:1], exec
	s_and_b64 s[22:23], s[22:23], exec
	s_mov_b64 s[20:21], -1
	s_or_b64 s[0:1], s[0:1], s[22:23]
	s_branch .LBB152_988
.LBB152_987:
	s_mov_b64 s[20:21], 0
.LBB152_988:
	s_andn2_b64 s[12:13], s[12:13], exec
	s_and_b64 s[0:1], s[0:1], exec
	s_and_b64 s[18:19], s[18:19], exec
	;; [unrolled: 1-line block ×3, first 2 shown]
	s_or_b64 s[12:13], s[12:13], s[0:1]
	s_or_b64 exec, exec, s[14:15]
	s_and_saveexec_b64 s[0:1], s[12:13]
	s_cbranch_execz .LBB152_927
.LBB152_989:
	s_or_b64 s[16:17], s[16:17], exec
	s_andn2_b64 s[20:21], s[20:21], exec
	s_trap 2
	s_or_b64 exec, exec, s[0:1]
	s_and_saveexec_b64 s[0:1], s[20:21]
	s_xor_b64 s[0:1], exec, s[0:1]
	s_cbranch_execnz .LBB152_928
.LBB152_990:
	s_or_b64 exec, exec, s[0:1]
	s_and_saveexec_b64 s[0:1], s[18:19]
	s_xor_b64 s[0:1], exec, s[0:1]
	s_cbranch_execz .LBB152_1028
.LBB152_991:
	s_sext_i32_i16 s14, s26
	s_cmp_lt_i32 s14, 5
	s_mov_b64 s[12:13], -1
	s_cbranch_scc1 .LBB152_1012
; %bb.992:
	s_cmp_lt_i32 s14, 8
	s_cbranch_scc1 .LBB152_1002
; %bb.993:
	s_cmp_lt_i32 s14, 9
	s_cbranch_scc1 .LBB152_999
; %bb.994:
	s_cmp_gt_i32 s14, 9
	s_cbranch_scc0 .LBB152_996
; %bb.995:
	s_waitcnt vmcnt(0)
	v_lshlrev_b32_e32 v3, 16, v2
	v_mov_b32_e32 v6, 0
	v_cvt_f64_f32_e32 v[4:5], v3
	v_mov_b32_e32 v7, v6
	s_mov_b64 s[12:13], 0
	global_store_dwordx4 v[0:1], v[4:7], off
.LBB152_996:
	s_andn2_b64 vcc, exec, s[12:13]
	s_cbranch_vccnz .LBB152_998
; %bb.997:
	s_waitcnt vmcnt(0)
	v_lshlrev_b32_e32 v4, 16, v2
	v_mov_b32_e32 v5, 0
	global_store_dwordx2 v[0:1], v[4:5], off
.LBB152_998:
	s_mov_b64 s[12:13], 0
.LBB152_999:
	s_andn2_b64 vcc, exec, s[12:13]
	s_cbranch_vccnz .LBB152_1001
; %bb.1000:
	s_waitcnt vmcnt(0)
	v_lshlrev_b32_e32 v3, 16, v2
	v_cvt_f16_f32_e32 v3, v3
	global_store_dword v[0:1], v3, off
.LBB152_1001:
	s_mov_b64 s[12:13], 0
.LBB152_1002:
	s_andn2_b64 vcc, exec, s[12:13]
	s_cbranch_vccnz .LBB152_1011
; %bb.1003:
	s_sext_i32_i16 s14, s26
	s_cmp_lt_i32 s14, 6
	s_mov_b64 s[12:13], -1
	s_cbranch_scc1 .LBB152_1009
; %bb.1004:
	s_cmp_gt_i32 s14, 6
	s_cbranch_scc0 .LBB152_1006
; %bb.1005:
	s_waitcnt vmcnt(0)
	v_lshlrev_b32_e32 v3, 16, v2
	v_cvt_f64_f32_e32 v[4:5], v3
	s_mov_b64 s[12:13], 0
	global_store_dwordx2 v[0:1], v[4:5], off
.LBB152_1006:
	s_andn2_b64 vcc, exec, s[12:13]
	s_cbranch_vccnz .LBB152_1008
; %bb.1007:
	s_waitcnt vmcnt(0)
	v_lshlrev_b32_e32 v3, 16, v2
	global_store_dword v[0:1], v3, off
.LBB152_1008:
	s_mov_b64 s[12:13], 0
.LBB152_1009:
	s_andn2_b64 vcc, exec, s[12:13]
	s_cbranch_vccnz .LBB152_1011
; %bb.1010:
	s_waitcnt vmcnt(0)
	v_lshlrev_b32_e32 v3, 16, v2
	v_cvt_f16_f32_e32 v3, v3
	global_store_short v[0:1], v3, off
.LBB152_1011:
	s_mov_b64 s[12:13], 0
.LBB152_1012:
	s_andn2_b64 vcc, exec, s[12:13]
	s_cbranch_vccnz .LBB152_1028
; %bb.1013:
	s_sext_i32_i16 s14, s26
	s_cmp_lt_i32 s14, 2
	s_mov_b64 s[12:13], -1
	s_cbranch_scc1 .LBB152_1023
; %bb.1014:
	s_cmp_lt_i32 s14, 3
	s_cbranch_scc1 .LBB152_1020
; %bb.1015:
	s_cmp_gt_i32 s14, 3
	s_cbranch_scc0 .LBB152_1017
; %bb.1016:
	s_waitcnt vmcnt(0)
	v_lshlrev_b32_e32 v3, 16, v2
	v_trunc_f32_e32 v3, v3
	s_mov_b32 s12, 0x2f800000
	v_mul_f32_e64 v4, |v3|, s12
	v_floor_f32_e32 v4, v4
	s_mov_b32 s12, 0xcf800000
	v_cvt_u32_f32_e32 v5, v4
	v_fma_f32 v4, v4, s12, |v3|
	v_cvt_u32_f32_e32 v4, v4
	v_ashrrev_i32_e32 v3, 31, v3
	v_xor_b32_e32 v5, v5, v3
	s_mov_b64 s[12:13], 0
	v_xor_b32_e32 v4, v4, v3
	v_sub_co_u32_e32 v4, vcc, v4, v3
	s_nop 1
	v_subb_co_u32_e32 v5, vcc, v5, v3, vcc
	global_store_dwordx2 v[0:1], v[4:5], off
.LBB152_1017:
	s_andn2_b64 vcc, exec, s[12:13]
	s_cbranch_vccnz .LBB152_1019
; %bb.1018:
	s_waitcnt vmcnt(0)
	v_lshlrev_b32_e32 v3, 16, v2
	v_cvt_i32_f32_e32 v3, v3
	global_store_dword v[0:1], v3, off
.LBB152_1019:
	s_mov_b64 s[12:13], 0
.LBB152_1020:
	s_andn2_b64 vcc, exec, s[12:13]
	s_cbranch_vccnz .LBB152_1022
; %bb.1021:
	s_waitcnt vmcnt(0)
	v_lshlrev_b32_e32 v3, 16, v2
	v_cvt_i32_f32_e32 v3, v3
	global_store_short v[0:1], v3, off
.LBB152_1022:
	s_mov_b64 s[12:13], 0
.LBB152_1023:
	s_andn2_b64 vcc, exec, s[12:13]
	s_cbranch_vccnz .LBB152_1028
; %bb.1024:
	s_sext_i32_i16 s14, s26
	s_mov_b64 s[12:13], -1
	s_cmp_gt_i32 s14, 0
	s_waitcnt vmcnt(0)
	v_lshlrev_b32_e32 v2, 16, v2
	s_cbranch_scc0 .LBB152_1026
; %bb.1025:
	v_cvt_i32_f32_e32 v3, v2
	s_mov_b64 s[12:13], 0
	global_store_byte v[0:1], v3, off
.LBB152_1026:
	s_andn2_b64 vcc, exec, s[12:13]
	s_cbranch_vccnz .LBB152_1028
; %bb.1027:
	v_trunc_f32_e32 v2, v2
	s_mov_b32 s12, 0x2f800000
	v_mul_f32_e64 v3, |v2|, s12
	v_floor_f32_e32 v3, v3
	s_mov_b32 s12, 0xcf800000
	v_fma_f32 v3, v3, s12, |v2|
	v_cvt_u32_f32_e32 v3, v3
	v_ashrrev_i32_e32 v2, 31, v2
	v_xor_b32_e32 v3, v3, v2
	v_sub_u32_e32 v2, v3, v2
	global_store_byte v[0:1], v2, off
.LBB152_1028:
	s_or_b64 exec, exec, s[0:1]
	s_and_b64 s[12:13], s[16:17], exec
                                        ; implicit-def: $vgpr4
.LBB152_1029:
	s_or_saveexec_b64 s[2:3], s[2:3]
	s_mov_b64 s[0:1], 0
                                        ; implicit-def: $sgpr20
                                        ; implicit-def: $vgpr0_vgpr1
                                        ; implicit-def: $vgpr2
	s_xor_b64 exec, exec, s[2:3]
	s_cbranch_execz .LBB152_1976
; %bb.1030:
	v_mul_lo_u32 v0, s9, v4
	v_ashrrev_i32_e32 v1, 31, v0
	s_and_b32 s22, 0xffff, s42
	s_cmp_lt_i32 s22, 11
	s_waitcnt vmcnt(0)
	v_lshl_add_u64 v[2:3], s[6:7], 0, v[0:1]
	s_cbranch_scc1 .LBB152_1037
; %bb.1031:
	s_cmp_gt_i32 s22, 25
	s_cbranch_scc0 .LBB152_1039
; %bb.1032:
	s_cmp_gt_i32 s22, 28
	s_cbranch_scc0 .LBB152_1040
	;; [unrolled: 3-line block ×4, first 2 shown]
; %bb.1035:
	s_cmp_eq_u32 s22, 46
	s_mov_b64 s[14:15], 0
	s_cbranch_scc0 .LBB152_1045
; %bb.1036:
	global_load_dword v5, v[2:3], off
	s_mov_b64 s[16:17], -1
	s_branch .LBB152_1046
.LBB152_1037:
	s_mov_b64 s[16:17], 0
                                        ; implicit-def: $vgpr5
	s_mov_b64 s[14:15], s[12:13]
	s_cbranch_execnz .LBB152_1108
.LBB152_1038:
	s_andn2_b64 vcc, exec, s[16:17]
	s_cbranch_vccz .LBB152_1153
	s_branch .LBB152_1974
.LBB152_1039:
	s_mov_b64 s[16:17], 0
                                        ; implicit-def: $vgpr5
	s_cbranch_execnz .LBB152_1073
	s_branch .LBB152_1104
.LBB152_1040:
	s_mov_b64 s[16:17], 0
                                        ; implicit-def: $vgpr5
	s_cbranch_execz .LBB152_1072
	s_branch .LBB152_1055
.LBB152_1041:
	s_mov_b64 s[16:17], 0
                                        ; implicit-def: $vgpr5
	s_cbranch_execnz .LBB152_1051
	s_branch .LBB152_1054
.LBB152_1042:
	s_mov_b64 s[14:15], -1
	s_mov_b64 s[16:17], 0
                                        ; implicit-def: $vgpr5
	s_branch .LBB152_1046
.LBB152_1043:
	s_andn2_saveexec_b64 s[22:23], s[22:23]
	s_cbranch_execz .LBB152_942
.LBB152_1044:
	s_mov_b32 s24, 0x46000000
	v_add_f32_e64 v4, |v5|, s24
	v_and_b32_e32 v4, 0xff, v4
	v_cmp_ne_u32_e32 vcc, 0, v4
	s_andn2_b64 s[20:21], s[20:21], exec
	s_and_b64 s[24:25], vcc, exec
	s_or_b64 s[20:21], s[20:21], s[24:25]
	s_or_b64 exec, exec, s[22:23]
	v_mov_b32_e32 v6, 0
	s_and_saveexec_b64 s[22:23], s[20:21]
	s_cbranch_execnz .LBB152_943
	s_branch .LBB152_944
.LBB152_1045:
	s_mov_b64 s[0:1], -1
                                        ; implicit-def: $vgpr5
	s_mov_b64 s[16:17], 0
.LBB152_1046:
	s_and_b64 vcc, exec, s[14:15]
	s_cbranch_vccz .LBB152_1049
; %bb.1047:
	s_cmp_eq_u32 s22, 44
	s_cbranch_scc0 .LBB152_1050
; %bb.1048:
	global_load_ubyte v1, v[2:3], off
	s_movk_i32 s14, 0xff
	s_waitcnt vmcnt(1)
	v_mov_b32_e32 v5, 0x7f800001
	v_mov_b32_e32 v6, 0x400000
	;; [unrolled: 1-line block ×3, first 2 shown]
	s_mov_b64 s[0:1], 0
	s_mov_b64 s[16:17], -1
	s_waitcnt vmcnt(0)
	v_lshlrev_b32_e32 v8, 23, v1
	v_cmp_ne_u32_e32 vcc, s14, v1
	s_nop 1
	v_cndmask_b32_e32 v5, v5, v8, vcc
	v_cmp_ne_u32_e32 vcc, 0, v1
	s_nop 1
	v_cndmask_b32_e32 v1, v6, v5, vcc
	v_add_u32_e32 v5, 0x7fff, v1
	v_cmp_o_f32_e32 vcc, v1, v1
	s_nop 1
	v_cndmask_b32_sdwa v5, v7, v5, vcc dst_sel:DWORD dst_unused:UNUSED_PAD src0_sel:DWORD src1_sel:WORD_1
.LBB152_1049:
	s_branch .LBB152_1054
.LBB152_1050:
	s_mov_b64 s[0:1], -1
                                        ; implicit-def: $vgpr5
	s_branch .LBB152_1054
.LBB152_1051:
	s_cmp_eq_u32 s22, 29
	s_cbranch_scc0 .LBB152_1053
; %bb.1052:
	global_load_dwordx2 v[6:7], v[2:3], off
	s_movk_i32 s14, 0x7fff
	s_mov_b64 s[0:1], 0
	s_mov_b64 s[16:17], -1
	s_waitcnt vmcnt(0)
	v_ffbh_u32_e32 v1, v7
	v_min_u32_e32 v1, 32, v1
	v_lshlrev_b64 v[6:7], v1, v[6:7]
	v_min_u32_e32 v5, 1, v6
	v_or_b32_e32 v5, v7, v5
	v_cvt_f32_u32_e32 v5, v5
	v_sub_u32_e32 v1, 32, v1
	v_ldexp_f32 v1, v5, v1
	v_bfe_u32 v5, v1, 16, 1
	v_add3_u32 v1, v1, v5, s14
	v_lshrrev_b32_e32 v5, 16, v1
	s_branch .LBB152_1054
.LBB152_1053:
	s_mov_b64 s[0:1], -1
                                        ; implicit-def: $vgpr5
.LBB152_1054:
	s_branch .LBB152_1072
.LBB152_1055:
	s_cmp_lt_i32 s22, 27
	s_cbranch_scc1 .LBB152_1058
; %bb.1056:
	s_cmp_gt_i32 s22, 27
	s_cbranch_scc0 .LBB152_1059
; %bb.1057:
	global_load_dword v1, v[2:3], off
	s_movk_i32 s14, 0x7fff
	s_waitcnt vmcnt(0)
	v_cvt_f32_u32_e32 v1, v1
	v_bfe_u32 v5, v1, 16, 1
	v_add3_u32 v1, v1, v5, s14
	v_lshrrev_b32_e32 v5, 16, v1
	s_mov_b64 s[14:15], 0
	s_branch .LBB152_1060
.LBB152_1058:
	s_mov_b64 s[14:15], -1
                                        ; implicit-def: $vgpr5
	s_branch .LBB152_1063
.LBB152_1059:
	s_mov_b64 s[14:15], -1
                                        ; implicit-def: $vgpr5
.LBB152_1060:
	s_andn2_b64 vcc, exec, s[14:15]
	s_cbranch_vccnz .LBB152_1062
; %bb.1061:
	global_load_ushort v1, v[2:3], off
	s_movk_i32 s14, 0x7fff
	s_waitcnt vmcnt(0)
	v_cvt_f32_u32_e32 v1, v1
	v_bfe_u32 v5, v1, 16, 1
	v_add3_u32 v1, v1, v5, s14
	v_lshrrev_b32_e32 v5, 16, v1
.LBB152_1062:
	s_mov_b64 s[14:15], 0
.LBB152_1063:
	s_andn2_b64 vcc, exec, s[14:15]
	s_cbranch_vccnz .LBB152_1071
; %bb.1064:
	global_load_ubyte v1, v[2:3], off
	s_movk_i32 s14, 0x7f
	s_waitcnt vmcnt(0)
	v_cmp_lt_i16_e32 vcc, s14, v1
	s_mov_b64 s[14:15], 0
	s_and_saveexec_b64 s[16:17], vcc
	s_xor_b64 s[16:17], exec, s[16:17]
	s_cbranch_execz .LBB152_1084
; %bb.1065:
	s_movk_i32 s14, 0x80
	v_cmp_eq_u16_e32 vcc, s14, v1
	s_mov_b64 s[14:15], -1
	s_and_saveexec_b64 s[18:19], vcc
; %bb.1066:
	s_xor_b64 s[14:15], exec, -1
; %bb.1067:
	s_or_b64 exec, exec, s[18:19]
	s_and_b64 s[14:15], s[14:15], exec
	s_or_saveexec_b64 s[16:17], s[16:17]
	v_mov_b32_e32 v5, 0x7f800001
	s_xor_b64 exec, exec, s[16:17]
	s_cbranch_execnz .LBB152_1085
.LBB152_1068:
	s_or_b64 exec, exec, s[16:17]
	s_and_saveexec_b64 s[16:17], s[14:15]
	s_cbranch_execz .LBB152_1070
.LBB152_1069:
	v_lshlrev_b32_e32 v5, 24, v1
	v_and_b32_e32 v1, 0xffff, v1
	v_and_b32_e32 v6, 7, v1
	v_ffbh_u32_e32 v8, v6
	v_min_u32_e32 v8, 32, v8
	v_subrev_u32_e32 v9, 28, v8
	v_bfe_u32 v7, v1, 3, 4
	v_lshlrev_b32_e32 v1, v9, v1
	v_sub_u32_e32 v8, 29, v8
	v_and_b32_e32 v1, 7, v1
	v_cmp_eq_u32_e32 vcc, 0, v7
	v_and_b32_e32 v5, 0x80000000, v5
	s_nop 0
	v_cndmask_b32_e32 v7, v7, v8, vcc
	v_cndmask_b32_e32 v1, v6, v1, vcc
	v_mov_b32_e32 v6, 0x3b800000
	v_lshlrev_b32_e32 v1, 20, v1
	v_lshl_add_u32 v6, v7, 23, v6
	v_or3_b32 v5, v5, v6, v1
.LBB152_1070:
	s_or_b64 exec, exec, s[16:17]
	v_bfe_u32 v1, v5, 16, 1
	s_movk_i32 s14, 0x7fff
	v_add3_u32 v1, v5, v1, s14
	v_cmp_o_f32_e32 vcc, v5, v5
	v_mov_b32_e32 v5, 0x7fc0
	s_nop 0
	v_cndmask_b32_sdwa v5, v5, v1, vcc dst_sel:DWORD dst_unused:UNUSED_PAD src0_sel:DWORD src1_sel:WORD_1
.LBB152_1071:
	s_mov_b64 s[16:17], -1
.LBB152_1072:
	s_branch .LBB152_1104
.LBB152_1073:
	s_cmp_gt_i32 s22, 22
	s_cbranch_scc0 .LBB152_1083
; %bb.1074:
	s_cmp_lt_i32 s22, 24
	s_cbranch_scc1 .LBB152_1086
; %bb.1075:
	s_cmp_gt_i32 s22, 24
	s_cbranch_scc0 .LBB152_1087
; %bb.1076:
	global_load_ubyte v1, v[2:3], off
	s_movk_i32 s10, 0x7f
	s_waitcnt vmcnt(0)
	v_cmp_lt_i16_e32 vcc, s10, v1
	s_mov_b64 s[10:11], 0
	s_and_saveexec_b64 s[14:15], vcc
	s_xor_b64 s[14:15], exec, s[14:15]
	s_cbranch_execz .LBB152_1098
; %bb.1077:
	s_movk_i32 s10, 0x80
	v_cmp_eq_u16_e32 vcc, s10, v1
	s_mov_b64 s[10:11], -1
	s_and_saveexec_b64 s[16:17], vcc
; %bb.1078:
	s_xor_b64 s[10:11], exec, -1
; %bb.1079:
	s_or_b64 exec, exec, s[16:17]
	s_and_b64 s[10:11], s[10:11], exec
	s_or_saveexec_b64 s[14:15], s[14:15]
	v_mov_b32_e32 v5, 0x7f800001
	s_xor_b64 exec, exec, s[14:15]
	s_cbranch_execnz .LBB152_1099
.LBB152_1080:
	s_or_b64 exec, exec, s[14:15]
	s_and_saveexec_b64 s[14:15], s[10:11]
	s_cbranch_execz .LBB152_1082
.LBB152_1081:
	v_lshlrev_b32_e32 v5, 24, v1
	v_and_b32_e32 v1, 0xffff, v1
	v_and_b32_e32 v6, 3, v1
	v_ffbh_u32_e32 v8, v6
	v_min_u32_e32 v8, 32, v8
	v_subrev_u32_e32 v9, 29, v8
	v_bfe_u32 v7, v1, 2, 5
	v_lshlrev_b32_e32 v1, v9, v1
	v_sub_u32_e32 v8, 30, v8
	v_and_b32_e32 v1, 3, v1
	v_cmp_eq_u32_e32 vcc, 0, v7
	v_and_b32_e32 v5, 0x80000000, v5
	s_nop 0
	v_cndmask_b32_e32 v7, v7, v8, vcc
	v_cndmask_b32_e32 v1, v6, v1, vcc
	v_mov_b32_e32 v6, 0x37800000
	v_lshlrev_b32_e32 v1, 21, v1
	v_lshl_add_u32 v6, v7, 23, v6
	v_or3_b32 v5, v5, v6, v1
.LBB152_1082:
	s_or_b64 exec, exec, s[14:15]
	v_bfe_u32 v1, v5, 16, 1
	s_movk_i32 s10, 0x7fff
	v_add3_u32 v1, v5, v1, s10
	v_cmp_o_f32_e32 vcc, v5, v5
	v_mov_b32_e32 v5, 0x7fc0
	s_mov_b64 s[10:11], 0
	v_cndmask_b32_sdwa v5, v5, v1, vcc dst_sel:DWORD dst_unused:UNUSED_PAD src0_sel:DWORD src1_sel:WORD_1
	s_branch .LBB152_1088
.LBB152_1083:
                                        ; implicit-def: $vgpr5
	s_mov_b64 s[10:11], 0
	s_branch .LBB152_1094
.LBB152_1084:
	s_or_saveexec_b64 s[16:17], s[16:17]
	v_mov_b32_e32 v5, 0x7f800001
	s_xor_b64 exec, exec, s[16:17]
	s_cbranch_execz .LBB152_1068
.LBB152_1085:
	v_cmp_ne_u16_e32 vcc, 0, v1
	s_andn2_b64 s[14:15], s[14:15], exec
	s_and_b64 s[18:19], vcc, exec
	v_mov_b32_e32 v5, 0
	s_or_b64 s[14:15], s[14:15], s[18:19]
	s_or_b64 exec, exec, s[16:17]
	s_and_saveexec_b64 s[16:17], s[14:15]
	s_cbranch_execnz .LBB152_1069
	s_branch .LBB152_1070
.LBB152_1086:
	s_mov_b64 s[10:11], -1
                                        ; implicit-def: $vgpr5
	s_branch .LBB152_1091
.LBB152_1087:
	s_mov_b64 s[10:11], -1
                                        ; implicit-def: $vgpr5
.LBB152_1088:
	s_and_b64 vcc, exec, s[10:11]
	s_cbranch_vccz .LBB152_1090
; %bb.1089:
	global_load_ubyte v1, v[2:3], off
	s_mov_b32 s10, 0x7f800000
	s_brev_b32 s11, 1
	s_movk_i32 s14, 0x7fff
	s_waitcnt vmcnt(0)
	v_lshlrev_b32_e32 v1, 24, v1
	v_and_b32_e32 v5, 0x7f000000, v1
	v_ffbh_u32_e32 v6, v5
	v_min_u32_e32 v6, 32, v6
	v_sub_u32_e64 v6, v6, 4 clamp
	v_lshlrev_b32_e32 v8, v6, v5
	v_lshlrev_b32_e32 v6, 23, v6
	v_lshrrev_b32_e32 v8, 4, v8
	v_add_u32_e32 v7, 0x1000000, v5
	v_sub_u32_e32 v6, v8, v6
	v_ashrrev_i32_e32 v7, 8, v7
	v_add_u32_e32 v6, 0x3c000000, v6
	v_and_or_b32 v6, v7, s10, v6
	v_cmp_ne_u32_e32 vcc, 0, v5
	s_nop 1
	v_cndmask_b32_e32 v5, 0, v6, vcc
	v_and_or_b32 v1, v1, s11, v5
	v_bfe_u32 v5, v5, 16, 1
	v_add3_u32 v5, v1, v5, s14
	v_cmp_o_f32_e32 vcc, v1, v1
	v_mov_b32_e32 v1, 0x7fc0
	s_nop 0
	v_cndmask_b32_sdwa v5, v1, v5, vcc dst_sel:DWORD dst_unused:UNUSED_PAD src0_sel:DWORD src1_sel:WORD_1
.LBB152_1090:
	s_mov_b64 s[10:11], 0
.LBB152_1091:
	s_andn2_b64 vcc, exec, s[10:11]
	s_cbranch_vccnz .LBB152_1093
; %bb.1092:
	global_load_ubyte v1, v[2:3], off
	s_movk_i32 s10, 0x7f00
	s_brev_b32 s11, 16
	s_brev_b32 s14, 1
	s_movk_i32 s15, 0x7fff
	s_waitcnt vmcnt(0)
	v_lshlrev_b16_e32 v5, 8, v1
	v_lshlrev_b32_e32 v1, 25, v1
	v_lshrrev_b32_e32 v6, 4, v1
	v_and_or_b32 v7, v5, s10, 0.5
	v_or_b32_e32 v6, 0x70000000, v6
	v_add_f32_e32 v7, -0.5, v7
	v_mul_f32_e32 v6, 0x7800000, v6
	v_cmp_gt_u32_e32 vcc, s11, v1
	v_bfe_i32 v5, v5, 0, 16
	s_nop 0
	v_cndmask_b32_e32 v1, v6, v7, vcc
	v_and_or_b32 v5, v5, s14, v1
	v_bfe_u32 v1, v1, 16, 1
	v_add3_u32 v1, v5, v1, s15
	v_cmp_o_f32_e32 vcc, v5, v5
	v_mov_b32_e32 v5, 0x7fc0
	s_nop 0
	v_cndmask_b32_sdwa v5, v5, v1, vcc dst_sel:DWORD dst_unused:UNUSED_PAD src0_sel:DWORD src1_sel:WORD_1
.LBB152_1093:
	s_mov_b64 s[16:17], -1
	s_mov_b64 s[10:11], 0
	s_cbranch_execnz .LBB152_1104
.LBB152_1094:
	s_cmp_gt_i32 s22, 14
	s_cbranch_scc0 .LBB152_1097
; %bb.1095:
	s_cmp_eq_u32 s22, 15
	s_cbranch_scc0 .LBB152_1100
; %bb.1096:
	global_load_ushort v5, v[2:3], off
	s_mov_b64 s[0:1], 0
	s_mov_b64 s[16:17], -1
	s_branch .LBB152_1101
.LBB152_1097:
	s_mov_b64 s[14:15], -1
                                        ; implicit-def: $vgpr5
	s_branch .LBB152_1102
.LBB152_1098:
	s_or_saveexec_b64 s[14:15], s[14:15]
	v_mov_b32_e32 v5, 0x7f800001
	s_xor_b64 exec, exec, s[14:15]
	s_cbranch_execz .LBB152_1080
.LBB152_1099:
	v_cmp_ne_u16_e32 vcc, 0, v1
	s_andn2_b64 s[10:11], s[10:11], exec
	s_and_b64 s[16:17], vcc, exec
	v_mov_b32_e32 v5, 0
	s_or_b64 s[10:11], s[10:11], s[16:17]
	s_or_b64 exec, exec, s[14:15]
	s_and_saveexec_b64 s[14:15], s[10:11]
	s_cbranch_execnz .LBB152_1081
	s_branch .LBB152_1082
.LBB152_1100:
	s_mov_b64 s[0:1], -1
                                        ; implicit-def: $vgpr5
.LBB152_1101:
	s_mov_b64 s[14:15], 0
.LBB152_1102:
	s_and_b64 vcc, exec, s[14:15]
	s_cbranch_vccz .LBB152_1104
; %bb.1103:
	s_cmp_lg_u32 s22, 11
	s_mov_b64 s[10:11], -1
	s_cselect_b64 s[0:1], -1, 0
.LBB152_1104:
	s_and_b64 vcc, exec, s[0:1]
	s_mov_b64 s[14:15], s[12:13]
	s_cbranch_vccnz .LBB152_1165
; %bb.1105:
	s_andn2_b64 vcc, exec, s[10:11]
	s_cbranch_vccnz .LBB152_1107
.LBB152_1106:
	global_load_ubyte v1, v[2:3], off
	s_mov_b64 s[16:17], -1
	s_waitcnt vmcnt(0)
	v_cmp_ne_u16_e32 vcc, 0, v1
	s_nop 1
	v_cndmask_b32_e64 v1, 0, 1.0, vcc
	v_lshrrev_b32_e32 v5, 16, v1
.LBB152_1107:
	s_branch .LBB152_1038
.LBB152_1108:
	s_cmp_lt_i32 s22, 5
	s_cbranch_scc1 .LBB152_1113
; %bb.1109:
	s_cmp_lt_i32 s22, 8
	s_cbranch_scc1 .LBB152_1114
; %bb.1110:
	;; [unrolled: 3-line block ×3, first 2 shown]
	s_cmp_gt_i32 s22, 9
	s_cbranch_scc0 .LBB152_1116
; %bb.1112:
	global_load_dwordx2 v[6:7], v[2:3], off
	s_movk_i32 s0, 0x7fff
	v_mov_b32_e32 v1, 0x7fc0
	s_waitcnt vmcnt(0)
	v_cvt_f32_f64_e32 v5, v[6:7]
	v_bfe_u32 v6, v5, 16, 1
	v_cmp_o_f32_e32 vcc, v5, v5
	v_add3_u32 v5, v5, v6, s0
	s_mov_b64 s[0:1], 0
	v_cndmask_b32_sdwa v5, v1, v5, vcc dst_sel:DWORD dst_unused:UNUSED_PAD src0_sel:DWORD src1_sel:WORD_1
	s_branch .LBB152_1117
.LBB152_1113:
                                        ; implicit-def: $vgpr5
	s_branch .LBB152_1134
.LBB152_1114:
                                        ; implicit-def: $vgpr5
	s_branch .LBB152_1123
.LBB152_1115:
	s_mov_b64 s[0:1], -1
                                        ; implicit-def: $vgpr5
	s_branch .LBB152_1120
.LBB152_1116:
	s_mov_b64 s[0:1], -1
                                        ; implicit-def: $vgpr5
.LBB152_1117:
	s_andn2_b64 vcc, exec, s[0:1]
	s_cbranch_vccnz .LBB152_1119
; %bb.1118:
	global_load_dword v1, v[2:3], off
	s_movk_i32 s0, 0x7fff
	s_waitcnt vmcnt(1)
	v_mov_b32_e32 v5, 0x7fc0
	s_waitcnt vmcnt(0)
	v_bfe_u32 v6, v1, 16, 1
	v_cmp_o_f32_e32 vcc, v1, v1
	v_add3_u32 v1, v1, v6, s0
	s_nop 0
	v_cndmask_b32_sdwa v5, v5, v1, vcc dst_sel:DWORD dst_unused:UNUSED_PAD src0_sel:DWORD src1_sel:WORD_1
.LBB152_1119:
	s_mov_b64 s[0:1], 0
.LBB152_1120:
	s_andn2_b64 vcc, exec, s[0:1]
	s_cbranch_vccnz .LBB152_1122
; %bb.1121:
	global_load_dword v1, v[2:3], off
	s_movk_i32 s0, 0x7fff
	v_mov_b32_e32 v6, 0x7fc0
	s_waitcnt vmcnt(0)
	v_cvt_f32_f16_e32 v5, v1
	v_cmp_o_f16_e32 vcc, v1, v1
	v_bfe_u32 v1, v5, 16, 1
	v_add3_u32 v1, v5, v1, s0
	v_cndmask_b32_sdwa v5, v6, v1, vcc dst_sel:DWORD dst_unused:UNUSED_PAD src0_sel:DWORD src1_sel:WORD_1
.LBB152_1122:
	s_cbranch_execnz .LBB152_1133
.LBB152_1123:
	s_cmp_lt_i32 s22, 6
	s_cbranch_scc1 .LBB152_1126
; %bb.1124:
	s_cmp_gt_i32 s22, 6
	s_cbranch_scc0 .LBB152_1127
; %bb.1125:
	global_load_dwordx2 v[6:7], v[2:3], off
	s_movk_i32 s0, 0x7fff
	v_mov_b32_e32 v1, 0x7fc0
	s_waitcnt vmcnt(0)
	v_cvt_f32_f64_e32 v5, v[6:7]
	v_bfe_u32 v6, v5, 16, 1
	v_cmp_o_f32_e32 vcc, v5, v5
	v_add3_u32 v5, v5, v6, s0
	s_mov_b64 s[0:1], 0
	v_cndmask_b32_sdwa v5, v1, v5, vcc dst_sel:DWORD dst_unused:UNUSED_PAD src0_sel:DWORD src1_sel:WORD_1
	s_branch .LBB152_1128
.LBB152_1126:
	s_mov_b64 s[0:1], -1
                                        ; implicit-def: $vgpr5
	s_branch .LBB152_1131
.LBB152_1127:
	s_mov_b64 s[0:1], -1
                                        ; implicit-def: $vgpr5
.LBB152_1128:
	s_andn2_b64 vcc, exec, s[0:1]
	s_cbranch_vccnz .LBB152_1130
; %bb.1129:
	global_load_dword v1, v[2:3], off
	s_movk_i32 s0, 0x7fff
	s_waitcnt vmcnt(1)
	v_mov_b32_e32 v5, 0x7fc0
	s_waitcnt vmcnt(0)
	v_bfe_u32 v6, v1, 16, 1
	v_cmp_o_f32_e32 vcc, v1, v1
	v_add3_u32 v1, v1, v6, s0
	s_nop 0
	v_cndmask_b32_sdwa v5, v5, v1, vcc dst_sel:DWORD dst_unused:UNUSED_PAD src0_sel:DWORD src1_sel:WORD_1
.LBB152_1130:
	s_mov_b64 s[0:1], 0
.LBB152_1131:
	s_andn2_b64 vcc, exec, s[0:1]
	s_cbranch_vccnz .LBB152_1133
; %bb.1132:
	global_load_ushort v1, v[2:3], off
	s_movk_i32 s0, 0x7fff
	v_mov_b32_e32 v6, 0x7fc0
	s_waitcnt vmcnt(0)
	v_cvt_f32_f16_e32 v5, v1
	v_cmp_o_f16_e32 vcc, v1, v1
	v_bfe_u32 v1, v5, 16, 1
	v_add3_u32 v1, v5, v1, s0
	v_cndmask_b32_sdwa v5, v6, v1, vcc dst_sel:DWORD dst_unused:UNUSED_PAD src0_sel:DWORD src1_sel:WORD_1
.LBB152_1133:
	s_cbranch_execnz .LBB152_1152
.LBB152_1134:
	s_cmp_lt_i32 s22, 2
	s_cbranch_scc1 .LBB152_1138
; %bb.1135:
	s_cmp_lt_i32 s22, 3
	s_cbranch_scc1 .LBB152_1139
; %bb.1136:
	s_cmp_gt_i32 s22, 3
	s_cbranch_scc0 .LBB152_1140
; %bb.1137:
	global_load_dwordx2 v[6:7], v[2:3], off
	s_movk_i32 s0, 0x7fff
	s_waitcnt vmcnt(0)
	v_xor_b32_e32 v5, v6, v7
	v_ffbh_i32_e32 v1, v7
	v_ashrrev_i32_e32 v5, 31, v5
	v_add_u32_e32 v1, -1, v1
	v_add_u32_e32 v5, 32, v5
	v_min_u32_e32 v1, v1, v5
	v_lshlrev_b64 v[6:7], v1, v[6:7]
	v_min_u32_e32 v5, 1, v6
	v_or_b32_e32 v5, v7, v5
	v_cvt_f32_i32_e32 v5, v5
	v_sub_u32_e32 v1, 32, v1
	v_ldexp_f32 v1, v5, v1
	v_bfe_u32 v5, v1, 16, 1
	v_add3_u32 v1, v1, v5, s0
	v_lshrrev_b32_e32 v5, 16, v1
	s_mov_b64 s[0:1], 0
	s_branch .LBB152_1141
.LBB152_1138:
                                        ; implicit-def: $vgpr5
	s_branch .LBB152_1147
.LBB152_1139:
	s_mov_b64 s[0:1], -1
                                        ; implicit-def: $vgpr5
	s_branch .LBB152_1144
.LBB152_1140:
	s_mov_b64 s[0:1], -1
                                        ; implicit-def: $vgpr5
.LBB152_1141:
	s_andn2_b64 vcc, exec, s[0:1]
	s_cbranch_vccnz .LBB152_1143
; %bb.1142:
	global_load_dword v1, v[2:3], off
	s_movk_i32 s0, 0x7fff
	s_waitcnt vmcnt(0)
	v_cvt_f32_i32_e32 v1, v1
	v_bfe_u32 v5, v1, 16, 1
	v_add3_u32 v1, v1, v5, s0
	v_lshrrev_b32_e32 v5, 16, v1
.LBB152_1143:
	s_mov_b64 s[0:1], 0
.LBB152_1144:
	s_andn2_b64 vcc, exec, s[0:1]
	s_cbranch_vccnz .LBB152_1146
; %bb.1145:
	global_load_sshort v1, v[2:3], off
	s_movk_i32 s0, 0x7fff
	s_waitcnt vmcnt(0)
	v_cvt_f32_i32_e32 v1, v1
	v_bfe_u32 v5, v1, 16, 1
	v_add3_u32 v1, v1, v5, s0
	v_lshrrev_b32_e32 v5, 16, v1
.LBB152_1146:
	s_cbranch_execnz .LBB152_1152
.LBB152_1147:
	s_cmp_gt_i32 s22, 0
	s_cbranch_scc0 .LBB152_1149
; %bb.1148:
	global_load_sbyte v1, v[2:3], off
	s_movk_i32 s0, 0x7fff
	s_waitcnt vmcnt(0)
	v_cvt_f32_i32_e32 v1, v1
	v_bfe_u32 v5, v1, 16, 1
	v_add3_u32 v1, v1, v5, s0
	v_lshrrev_b32_e32 v5, 16, v1
	s_mov_b64 s[0:1], 0
	s_branch .LBB152_1150
.LBB152_1149:
	s_mov_b64 s[0:1], -1
                                        ; implicit-def: $vgpr5
.LBB152_1150:
	s_andn2_b64 vcc, exec, s[0:1]
	s_cbranch_vccnz .LBB152_1152
; %bb.1151:
	global_load_ubyte v1, v[2:3], off
	s_movk_i32 s0, 0x7fff
	s_waitcnt vmcnt(0)
	v_cvt_f32_ubyte0_e32 v1, v1
	v_bfe_u32 v2, v1, 16, 1
	v_add3_u32 v1, v1, v2, s0
	v_lshrrev_b32_e32 v5, 16, v1
.LBB152_1152:
.LBB152_1153:
	s_lshl_b32 s9, s9, 7
	v_add_u32_e32 v0, s9, v0
	v_ashrrev_i32_e32 v1, 31, v0
	s_cmp_lt_i32 s22, 11
	v_lshl_add_u64 v[2:3], s[6:7], 0, v[0:1]
	s_cbranch_scc1 .LBB152_1160
; %bb.1154:
	s_cmp_gt_i32 s22, 25
	s_mov_b64 s[10:11], 0
	s_cbranch_scc0 .LBB152_1162
; %bb.1155:
	s_cmp_gt_i32 s22, 28
	s_cbranch_scc0 .LBB152_1163
; %bb.1156:
	s_cmp_gt_i32 s22, 43
	;; [unrolled: 3-line block ×3, first 2 shown]
	s_cbranch_scc0 .LBB152_1166
; %bb.1158:
	s_cmp_eq_u32 s22, 46
	s_mov_b64 s[18:19], 0
	s_cbranch_scc0 .LBB152_1169
; %bb.1159:
	global_load_dword v6, v[2:3], off
	s_mov_b64 s[0:1], 0
	s_mov_b64 s[16:17], -1
	s_branch .LBB152_1170
.LBB152_1160:
	s_mov_b64 s[16:17], 0
                                        ; implicit-def: $vgpr6
	s_cbranch_execnz .LBB152_1235
.LBB152_1161:
	s_andn2_b64 vcc, exec, s[16:17]
	s_cbranch_vccnz .LBB152_1974
	s_branch .LBB152_1282
.LBB152_1162:
	s_mov_b64 s[16:17], 0
	s_mov_b64 s[0:1], 0
                                        ; implicit-def: $vgpr6
	s_cbranch_execnz .LBB152_1199
	s_branch .LBB152_1231
.LBB152_1163:
	s_mov_b64 s[18:19], -1
	s_mov_b64 s[16:17], 0
	s_mov_b64 s[0:1], 0
                                        ; implicit-def: $vgpr6
	s_branch .LBB152_1180
.LBB152_1164:
	s_mov_b64 s[18:19], -1
	s_mov_b64 s[16:17], 0
	s_mov_b64 s[0:1], 0
                                        ; implicit-def: $vgpr6
	s_branch .LBB152_1175
.LBB152_1165:
	s_or_b64 s[14:15], s[12:13], exec
	s_trap 2
	s_cbranch_execz .LBB152_1106
	s_branch .LBB152_1107
.LBB152_1166:
	s_mov_b64 s[18:19], -1
	s_mov_b64 s[16:17], 0
	s_mov_b64 s[0:1], 0
                                        ; implicit-def: $vgpr6
	s_branch .LBB152_1170
.LBB152_1167:
	s_andn2_saveexec_b64 s[24:25], s[24:25]
	s_cbranch_execz .LBB152_954
.LBB152_1168:
	s_mov_b32 s28, 0x42800000
	v_add_f32_e64 v4, |v5|, s28
	v_and_b32_e32 v4, 0xff, v4
	v_cmp_ne_u32_e32 vcc, 0, v4
	s_andn2_b64 s[22:23], s[22:23], exec
	s_and_b64 s[28:29], vcc, exec
	s_or_b64 s[22:23], s[22:23], s[28:29]
	s_or_b64 exec, exec, s[24:25]
	v_mov_b32_e32 v6, 0
	s_and_saveexec_b64 s[24:25], s[22:23]
	s_cbranch_execnz .LBB152_955
	s_branch .LBB152_956
.LBB152_1169:
	s_mov_b64 s[0:1], -1
                                        ; implicit-def: $vgpr6
	s_mov_b64 s[16:17], 0
.LBB152_1170:
	s_and_b64 vcc, exec, s[18:19]
	s_cbranch_vccz .LBB152_1174
; %bb.1171:
	s_cmp_eq_u32 s22, 44
	s_cbranch_scc0 .LBB152_1173
; %bb.1172:
	global_load_ubyte v1, v[2:3], off
	s_movk_i32 s16, 0xff
	s_waitcnt vmcnt(1)
	v_mov_b32_e32 v6, 0x7f800001
	v_mov_b32_e32 v7, 0x400000
	;; [unrolled: 1-line block ×3, first 2 shown]
	s_mov_b64 s[0:1], 0
	s_waitcnt vmcnt(0)
	v_lshlrev_b32_e32 v9, 23, v1
	v_cmp_ne_u32_e32 vcc, s16, v1
	s_mov_b64 s[16:17], -1
	s_nop 0
	v_cndmask_b32_e32 v6, v6, v9, vcc
	v_cmp_ne_u32_e32 vcc, 0, v1
	s_nop 1
	v_cndmask_b32_e32 v1, v7, v6, vcc
	v_add_u32_e32 v6, 0x7fff, v1
	v_cmp_o_f32_e32 vcc, v1, v1
	s_nop 1
	v_cndmask_b32_sdwa v6, v8, v6, vcc dst_sel:DWORD dst_unused:UNUSED_PAD src0_sel:DWORD src1_sel:WORD_1
	s_branch .LBB152_1174
.LBB152_1173:
	s_mov_b64 s[0:1], -1
                                        ; implicit-def: $vgpr6
.LBB152_1174:
	s_mov_b64 s[18:19], 0
.LBB152_1175:
	s_and_b64 vcc, exec, s[18:19]
	s_cbranch_vccz .LBB152_1179
; %bb.1176:
	s_cmp_eq_u32 s22, 29
	s_cbranch_scc0 .LBB152_1178
; %bb.1177:
	global_load_dwordx2 v[6:7], v[2:3], off
	s_movk_i32 s16, 0x7fff
	s_mov_b64 s[0:1], 0
	s_mov_b64 s[18:19], 0
	s_waitcnt vmcnt(0)
	v_ffbh_u32_e32 v1, v7
	v_min_u32_e32 v1, 32, v1
	v_lshlrev_b64 v[6:7], v1, v[6:7]
	v_min_u32_e32 v6, 1, v6
	v_or_b32_e32 v6, v7, v6
	v_cvt_f32_u32_e32 v6, v6
	v_sub_u32_e32 v1, 32, v1
	v_ldexp_f32 v1, v6, v1
	v_bfe_u32 v6, v1, 16, 1
	v_add3_u32 v1, v1, v6, s16
	v_lshrrev_b32_e32 v6, 16, v1
	s_mov_b64 s[16:17], -1
	s_branch .LBB152_1180
.LBB152_1178:
	s_mov_b64 s[0:1], -1
                                        ; implicit-def: $vgpr6
.LBB152_1179:
	s_mov_b64 s[18:19], 0
.LBB152_1180:
	s_and_b64 vcc, exec, s[18:19]
	s_cbranch_vccz .LBB152_1198
; %bb.1181:
	s_cmp_lt_i32 s22, 27
	s_cbranch_scc1 .LBB152_1184
; %bb.1182:
	s_cmp_gt_i32 s22, 27
	s_cbranch_scc0 .LBB152_1185
; %bb.1183:
	global_load_dword v1, v[2:3], off
	s_movk_i32 s16, 0x7fff
	s_waitcnt vmcnt(0)
	v_cvt_f32_u32_e32 v1, v1
	v_bfe_u32 v6, v1, 16, 1
	v_add3_u32 v1, v1, v6, s16
	v_lshrrev_b32_e32 v6, 16, v1
	s_mov_b64 s[16:17], 0
	s_branch .LBB152_1186
.LBB152_1184:
	s_mov_b64 s[16:17], -1
                                        ; implicit-def: $vgpr6
	s_branch .LBB152_1189
.LBB152_1185:
	s_mov_b64 s[16:17], -1
                                        ; implicit-def: $vgpr6
.LBB152_1186:
	s_andn2_b64 vcc, exec, s[16:17]
	s_cbranch_vccnz .LBB152_1188
; %bb.1187:
	global_load_ushort v1, v[2:3], off
	s_movk_i32 s16, 0x7fff
	s_waitcnt vmcnt(0)
	v_cvt_f32_u32_e32 v1, v1
	v_bfe_u32 v6, v1, 16, 1
	v_add3_u32 v1, v1, v6, s16
	v_lshrrev_b32_e32 v6, 16, v1
.LBB152_1188:
	s_mov_b64 s[16:17], 0
.LBB152_1189:
	s_andn2_b64 vcc, exec, s[16:17]
	s_cbranch_vccnz .LBB152_1197
; %bb.1190:
	global_load_ubyte v1, v[2:3], off
	s_movk_i32 s16, 0x7f
	s_waitcnt vmcnt(0)
	v_cmp_lt_i16_e32 vcc, s16, v1
	s_mov_b64 s[16:17], 0
	s_and_saveexec_b64 s[18:19], vcc
	s_xor_b64 s[18:19], exec, s[18:19]
	s_cbranch_execz .LBB152_1210
; %bb.1191:
	s_movk_i32 s16, 0x80
	v_cmp_eq_u16_e32 vcc, s16, v1
	s_mov_b64 s[16:17], -1
	s_and_saveexec_b64 s[20:21], vcc
; %bb.1192:
	s_xor_b64 s[16:17], exec, -1
; %bb.1193:
	s_or_b64 exec, exec, s[20:21]
	s_and_b64 s[16:17], s[16:17], exec
	s_or_saveexec_b64 s[18:19], s[18:19]
	v_mov_b32_e32 v6, 0x7f800001
	s_xor_b64 exec, exec, s[18:19]
	s_cbranch_execnz .LBB152_1211
.LBB152_1194:
	s_or_b64 exec, exec, s[18:19]
	s_and_saveexec_b64 s[18:19], s[16:17]
	s_cbranch_execz .LBB152_1196
.LBB152_1195:
	v_lshlrev_b32_e32 v6, 24, v1
	v_and_b32_e32 v1, 0xffff, v1
	v_and_b32_e32 v7, 7, v1
	v_ffbh_u32_e32 v9, v7
	v_min_u32_e32 v9, 32, v9
	v_subrev_u32_e32 v10, 28, v9
	v_bfe_u32 v8, v1, 3, 4
	v_lshlrev_b32_e32 v1, v10, v1
	v_sub_u32_e32 v9, 29, v9
	v_and_b32_e32 v1, 7, v1
	v_cmp_eq_u32_e32 vcc, 0, v8
	v_and_b32_e32 v6, 0x80000000, v6
	s_nop 0
	v_cndmask_b32_e32 v8, v8, v9, vcc
	v_cndmask_b32_e32 v1, v7, v1, vcc
	v_mov_b32_e32 v7, 0x3b800000
	v_lshlrev_b32_e32 v1, 20, v1
	v_lshl_add_u32 v7, v8, 23, v7
	v_or3_b32 v6, v6, v7, v1
.LBB152_1196:
	s_or_b64 exec, exec, s[18:19]
	v_bfe_u32 v1, v6, 16, 1
	s_movk_i32 s16, 0x7fff
	v_add3_u32 v1, v6, v1, s16
	v_cmp_o_f32_e32 vcc, v6, v6
	v_mov_b32_e32 v6, 0x7fc0
	s_nop 0
	v_cndmask_b32_sdwa v6, v6, v1, vcc dst_sel:DWORD dst_unused:UNUSED_PAD src0_sel:DWORD src1_sel:WORD_1
.LBB152_1197:
	s_mov_b64 s[16:17], -1
.LBB152_1198:
	s_branch .LBB152_1231
.LBB152_1199:
	s_cmp_gt_i32 s22, 22
	s_cbranch_scc0 .LBB152_1209
; %bb.1200:
	s_cmp_lt_i32 s22, 24
	s_cbranch_scc1 .LBB152_1212
; %bb.1201:
	s_cmp_gt_i32 s22, 24
	s_cbranch_scc0 .LBB152_1213
; %bb.1202:
	global_load_ubyte v1, v[2:3], off
	s_movk_i32 s10, 0x7f
	s_waitcnt vmcnt(0)
	v_cmp_lt_i16_e32 vcc, s10, v1
	s_mov_b64 s[10:11], 0
	s_and_saveexec_b64 s[16:17], vcc
	s_xor_b64 s[16:17], exec, s[16:17]
	s_cbranch_execz .LBB152_1225
; %bb.1203:
	s_movk_i32 s10, 0x80
	v_cmp_eq_u16_e32 vcc, s10, v1
	s_mov_b64 s[10:11], -1
	s_and_saveexec_b64 s[18:19], vcc
; %bb.1204:
	s_xor_b64 s[10:11], exec, -1
; %bb.1205:
	s_or_b64 exec, exec, s[18:19]
	s_and_b64 s[10:11], s[10:11], exec
	s_or_saveexec_b64 s[16:17], s[16:17]
	v_mov_b32_e32 v6, 0x7f800001
	s_xor_b64 exec, exec, s[16:17]
	s_cbranch_execnz .LBB152_1226
.LBB152_1206:
	s_or_b64 exec, exec, s[16:17]
	s_and_saveexec_b64 s[16:17], s[10:11]
	s_cbranch_execz .LBB152_1208
.LBB152_1207:
	v_lshlrev_b32_e32 v6, 24, v1
	v_and_b32_e32 v1, 0xffff, v1
	v_and_b32_e32 v7, 3, v1
	v_ffbh_u32_e32 v9, v7
	v_min_u32_e32 v9, 32, v9
	v_subrev_u32_e32 v10, 29, v9
	v_bfe_u32 v8, v1, 2, 5
	v_lshlrev_b32_e32 v1, v10, v1
	v_sub_u32_e32 v9, 30, v9
	v_and_b32_e32 v1, 3, v1
	v_cmp_eq_u32_e32 vcc, 0, v8
	v_and_b32_e32 v6, 0x80000000, v6
	s_nop 0
	v_cndmask_b32_e32 v8, v8, v9, vcc
	v_cndmask_b32_e32 v1, v7, v1, vcc
	v_mov_b32_e32 v7, 0x37800000
	v_lshlrev_b32_e32 v1, 21, v1
	v_lshl_add_u32 v7, v8, 23, v7
	v_or3_b32 v6, v6, v7, v1
.LBB152_1208:
	s_or_b64 exec, exec, s[16:17]
	v_bfe_u32 v1, v6, 16, 1
	s_movk_i32 s10, 0x7fff
	v_add3_u32 v1, v6, v1, s10
	v_cmp_o_f32_e32 vcc, v6, v6
	v_mov_b32_e32 v6, 0x7fc0
	s_mov_b64 s[10:11], 0
	v_cndmask_b32_sdwa v6, v6, v1, vcc dst_sel:DWORD dst_unused:UNUSED_PAD src0_sel:DWORD src1_sel:WORD_1
	s_branch .LBB152_1214
.LBB152_1209:
	s_mov_b64 s[10:11], -1
                                        ; implicit-def: $vgpr6
	s_branch .LBB152_1220
.LBB152_1210:
	s_or_saveexec_b64 s[18:19], s[18:19]
	v_mov_b32_e32 v6, 0x7f800001
	s_xor_b64 exec, exec, s[18:19]
	s_cbranch_execz .LBB152_1194
.LBB152_1211:
	v_cmp_ne_u16_e32 vcc, 0, v1
	s_andn2_b64 s[16:17], s[16:17], exec
	s_and_b64 s[20:21], vcc, exec
	v_mov_b32_e32 v6, 0
	s_or_b64 s[16:17], s[16:17], s[20:21]
	s_or_b64 exec, exec, s[18:19]
	s_and_saveexec_b64 s[18:19], s[16:17]
	s_cbranch_execnz .LBB152_1195
	s_branch .LBB152_1196
.LBB152_1212:
	s_mov_b64 s[10:11], -1
                                        ; implicit-def: $vgpr6
	s_branch .LBB152_1217
.LBB152_1213:
	s_mov_b64 s[10:11], -1
                                        ; implicit-def: $vgpr6
.LBB152_1214:
	s_and_b64 vcc, exec, s[10:11]
	s_cbranch_vccz .LBB152_1216
; %bb.1215:
	global_load_ubyte v1, v[2:3], off
	s_mov_b32 s10, 0x7f800000
	s_brev_b32 s11, 1
	s_movk_i32 s16, 0x7fff
	s_waitcnt vmcnt(0)
	v_lshlrev_b32_e32 v1, 24, v1
	v_and_b32_e32 v6, 0x7f000000, v1
	v_ffbh_u32_e32 v7, v6
	v_min_u32_e32 v7, 32, v7
	v_sub_u32_e64 v7, v7, 4 clamp
	v_lshlrev_b32_e32 v9, v7, v6
	v_lshlrev_b32_e32 v7, 23, v7
	v_lshrrev_b32_e32 v9, 4, v9
	v_add_u32_e32 v8, 0x1000000, v6
	v_sub_u32_e32 v7, v9, v7
	v_ashrrev_i32_e32 v8, 8, v8
	v_add_u32_e32 v7, 0x3c000000, v7
	v_and_or_b32 v7, v8, s10, v7
	v_cmp_ne_u32_e32 vcc, 0, v6
	s_nop 1
	v_cndmask_b32_e32 v6, 0, v7, vcc
	v_and_or_b32 v1, v1, s11, v6
	v_bfe_u32 v6, v6, 16, 1
	v_add3_u32 v6, v1, v6, s16
	v_cmp_o_f32_e32 vcc, v1, v1
	v_mov_b32_e32 v1, 0x7fc0
	s_nop 0
	v_cndmask_b32_sdwa v6, v1, v6, vcc dst_sel:DWORD dst_unused:UNUSED_PAD src0_sel:DWORD src1_sel:WORD_1
.LBB152_1216:
	s_mov_b64 s[10:11], 0
.LBB152_1217:
	s_andn2_b64 vcc, exec, s[10:11]
	s_cbranch_vccnz .LBB152_1219
; %bb.1218:
	global_load_ubyte v1, v[2:3], off
	s_movk_i32 s10, 0x7f00
	s_brev_b32 s11, 16
	s_brev_b32 s16, 1
	s_movk_i32 s17, 0x7fff
	s_waitcnt vmcnt(0)
	v_lshlrev_b16_e32 v6, 8, v1
	v_lshlrev_b32_e32 v1, 25, v1
	v_lshrrev_b32_e32 v7, 4, v1
	v_and_or_b32 v8, v6, s10, 0.5
	v_or_b32_e32 v7, 0x70000000, v7
	v_add_f32_e32 v8, -0.5, v8
	v_mul_f32_e32 v7, 0x7800000, v7
	v_cmp_gt_u32_e32 vcc, s11, v1
	v_bfe_i32 v6, v6, 0, 16
	s_nop 0
	v_cndmask_b32_e32 v1, v7, v8, vcc
	v_and_or_b32 v6, v6, s16, v1
	v_bfe_u32 v1, v1, 16, 1
	v_add3_u32 v1, v6, v1, s17
	v_cmp_o_f32_e32 vcc, v6, v6
	v_mov_b32_e32 v6, 0x7fc0
	s_nop 0
	v_cndmask_b32_sdwa v6, v6, v1, vcc dst_sel:DWORD dst_unused:UNUSED_PAD src0_sel:DWORD src1_sel:WORD_1
.LBB152_1219:
	s_mov_b64 s[10:11], 0
	s_mov_b64 s[16:17], -1
.LBB152_1220:
	s_andn2_b64 vcc, exec, s[10:11]
	s_mov_b64 s[10:11], 0
	s_cbranch_vccnz .LBB152_1231
; %bb.1221:
	s_cmp_gt_i32 s22, 14
	s_cbranch_scc0 .LBB152_1224
; %bb.1222:
	s_cmp_eq_u32 s22, 15
	s_cbranch_scc0 .LBB152_1227
; %bb.1223:
	global_load_ushort v6, v[2:3], off
	s_mov_b64 s[0:1], 0
	s_mov_b64 s[16:17], -1
	s_branch .LBB152_1228
.LBB152_1224:
	s_mov_b64 s[18:19], -1
                                        ; implicit-def: $vgpr6
	s_branch .LBB152_1229
.LBB152_1225:
	s_or_saveexec_b64 s[16:17], s[16:17]
	v_mov_b32_e32 v6, 0x7f800001
	s_xor_b64 exec, exec, s[16:17]
	s_cbranch_execz .LBB152_1206
.LBB152_1226:
	v_cmp_ne_u16_e32 vcc, 0, v1
	s_andn2_b64 s[10:11], s[10:11], exec
	s_and_b64 s[18:19], vcc, exec
	v_mov_b32_e32 v6, 0
	s_or_b64 s[10:11], s[10:11], s[18:19]
	s_or_b64 exec, exec, s[16:17]
	s_and_saveexec_b64 s[16:17], s[10:11]
	s_cbranch_execnz .LBB152_1207
	s_branch .LBB152_1208
.LBB152_1227:
	s_mov_b64 s[0:1], -1
                                        ; implicit-def: $vgpr6
.LBB152_1228:
	s_mov_b64 s[18:19], 0
.LBB152_1229:
	s_and_b64 vcc, exec, s[18:19]
	s_cbranch_vccz .LBB152_1231
; %bb.1230:
	s_cmp_lg_u32 s22, 11
	s_mov_b64 s[10:11], -1
	s_cselect_b64 s[0:1], -1, 0
.LBB152_1231:
	s_and_b64 vcc, exec, s[0:1]
	s_cbranch_vccnz .LBB152_1294
; %bb.1232:
	s_andn2_b64 vcc, exec, s[10:11]
	s_cbranch_vccnz .LBB152_1234
.LBB152_1233:
	global_load_ubyte v1, v[2:3], off
	s_mov_b64 s[16:17], -1
	s_waitcnt vmcnt(0)
	v_cmp_ne_u16_e32 vcc, 0, v1
	s_nop 1
	v_cndmask_b32_e64 v1, 0, 1.0, vcc
	v_lshrrev_b32_e32 v6, 16, v1
.LBB152_1234:
	s_branch .LBB152_1161
.LBB152_1235:
	s_cmp_lt_i32 s22, 5
	s_cbranch_scc1 .LBB152_1240
; %bb.1236:
	s_cmp_lt_i32 s22, 8
	s_cbranch_scc1 .LBB152_1241
; %bb.1237:
	;; [unrolled: 3-line block ×3, first 2 shown]
	s_cmp_gt_i32 s22, 9
	s_cbranch_scc0 .LBB152_1243
; %bb.1239:
	global_load_dwordx2 v[6:7], v[2:3], off
	s_movk_i32 s0, 0x7fff
	v_mov_b32_e32 v1, 0x7fc0
	s_waitcnt vmcnt(0)
	v_cvt_f32_f64_e32 v6, v[6:7]
	v_bfe_u32 v7, v6, 16, 1
	v_cmp_o_f32_e32 vcc, v6, v6
	v_add3_u32 v6, v6, v7, s0
	s_mov_b64 s[0:1], 0
	v_cndmask_b32_sdwa v6, v1, v6, vcc dst_sel:DWORD dst_unused:UNUSED_PAD src0_sel:DWORD src1_sel:WORD_1
	s_branch .LBB152_1244
.LBB152_1240:
                                        ; implicit-def: $vgpr6
	s_branch .LBB152_1262
.LBB152_1241:
	s_mov_b64 s[0:1], -1
                                        ; implicit-def: $vgpr6
	s_branch .LBB152_1250
.LBB152_1242:
	s_mov_b64 s[0:1], -1
                                        ; implicit-def: $vgpr6
	s_branch .LBB152_1247
.LBB152_1243:
	s_mov_b64 s[0:1], -1
                                        ; implicit-def: $vgpr6
.LBB152_1244:
	s_andn2_b64 vcc, exec, s[0:1]
	s_cbranch_vccnz .LBB152_1246
; %bb.1245:
	global_load_dword v1, v[2:3], off
	s_movk_i32 s0, 0x7fff
	s_waitcnt vmcnt(1)
	v_mov_b32_e32 v6, 0x7fc0
	s_waitcnt vmcnt(0)
	v_bfe_u32 v7, v1, 16, 1
	v_cmp_o_f32_e32 vcc, v1, v1
	v_add3_u32 v1, v1, v7, s0
	s_nop 0
	v_cndmask_b32_sdwa v6, v6, v1, vcc dst_sel:DWORD dst_unused:UNUSED_PAD src0_sel:DWORD src1_sel:WORD_1
.LBB152_1246:
	s_mov_b64 s[0:1], 0
.LBB152_1247:
	s_andn2_b64 vcc, exec, s[0:1]
	s_cbranch_vccnz .LBB152_1249
; %bb.1248:
	global_load_dword v1, v[2:3], off
	s_movk_i32 s0, 0x7fff
	v_mov_b32_e32 v7, 0x7fc0
	s_waitcnt vmcnt(0)
	v_cvt_f32_f16_e32 v6, v1
	v_cmp_o_f16_e32 vcc, v1, v1
	v_bfe_u32 v1, v6, 16, 1
	v_add3_u32 v1, v6, v1, s0
	v_cndmask_b32_sdwa v6, v7, v1, vcc dst_sel:DWORD dst_unused:UNUSED_PAD src0_sel:DWORD src1_sel:WORD_1
.LBB152_1249:
	s_mov_b64 s[0:1], 0
.LBB152_1250:
	s_andn2_b64 vcc, exec, s[0:1]
	s_cbranch_vccnz .LBB152_1261
; %bb.1251:
	s_cmp_lt_i32 s22, 6
	s_cbranch_scc1 .LBB152_1254
; %bb.1252:
	s_cmp_gt_i32 s22, 6
	s_cbranch_scc0 .LBB152_1255
; %bb.1253:
	global_load_dwordx2 v[6:7], v[2:3], off
	s_movk_i32 s0, 0x7fff
	v_mov_b32_e32 v1, 0x7fc0
	s_waitcnt vmcnt(0)
	v_cvt_f32_f64_e32 v6, v[6:7]
	v_bfe_u32 v7, v6, 16, 1
	v_cmp_o_f32_e32 vcc, v6, v6
	v_add3_u32 v6, v6, v7, s0
	s_mov_b64 s[0:1], 0
	v_cndmask_b32_sdwa v6, v1, v6, vcc dst_sel:DWORD dst_unused:UNUSED_PAD src0_sel:DWORD src1_sel:WORD_1
	s_branch .LBB152_1256
.LBB152_1254:
	s_mov_b64 s[0:1], -1
                                        ; implicit-def: $vgpr6
	s_branch .LBB152_1259
.LBB152_1255:
	s_mov_b64 s[0:1], -1
                                        ; implicit-def: $vgpr6
.LBB152_1256:
	s_andn2_b64 vcc, exec, s[0:1]
	s_cbranch_vccnz .LBB152_1258
; %bb.1257:
	global_load_dword v1, v[2:3], off
	s_movk_i32 s0, 0x7fff
	s_waitcnt vmcnt(1)
	v_mov_b32_e32 v6, 0x7fc0
	s_waitcnt vmcnt(0)
	v_bfe_u32 v7, v1, 16, 1
	v_cmp_o_f32_e32 vcc, v1, v1
	v_add3_u32 v1, v1, v7, s0
	s_nop 0
	v_cndmask_b32_sdwa v6, v6, v1, vcc dst_sel:DWORD dst_unused:UNUSED_PAD src0_sel:DWORD src1_sel:WORD_1
.LBB152_1258:
	s_mov_b64 s[0:1], 0
.LBB152_1259:
	s_andn2_b64 vcc, exec, s[0:1]
	s_cbranch_vccnz .LBB152_1261
; %bb.1260:
	global_load_ushort v1, v[2:3], off
	s_movk_i32 s0, 0x7fff
	v_mov_b32_e32 v7, 0x7fc0
	s_waitcnt vmcnt(0)
	v_cvt_f32_f16_e32 v6, v1
	v_cmp_o_f16_e32 vcc, v1, v1
	v_bfe_u32 v1, v6, 16, 1
	v_add3_u32 v1, v6, v1, s0
	v_cndmask_b32_sdwa v6, v7, v1, vcc dst_sel:DWORD dst_unused:UNUSED_PAD src0_sel:DWORD src1_sel:WORD_1
.LBB152_1261:
	s_cbranch_execnz .LBB152_1281
.LBB152_1262:
	s_cmp_lt_i32 s22, 2
	s_cbranch_scc1 .LBB152_1266
; %bb.1263:
	s_cmp_lt_i32 s22, 3
	s_cbranch_scc1 .LBB152_1267
; %bb.1264:
	s_cmp_gt_i32 s22, 3
	s_cbranch_scc0 .LBB152_1268
; %bb.1265:
	global_load_dwordx2 v[6:7], v[2:3], off
	s_movk_i32 s0, 0x7fff
	s_waitcnt vmcnt(0)
	v_xor_b32_e32 v8, v6, v7
	v_ffbh_i32_e32 v1, v7
	v_ashrrev_i32_e32 v8, 31, v8
	v_add_u32_e32 v1, -1, v1
	v_add_u32_e32 v8, 32, v8
	v_min_u32_e32 v1, v1, v8
	v_lshlrev_b64 v[6:7], v1, v[6:7]
	v_min_u32_e32 v6, 1, v6
	v_or_b32_e32 v6, v7, v6
	v_cvt_f32_i32_e32 v6, v6
	v_sub_u32_e32 v1, 32, v1
	v_ldexp_f32 v1, v6, v1
	v_bfe_u32 v6, v1, 16, 1
	v_add3_u32 v1, v1, v6, s0
	v_lshrrev_b32_e32 v6, 16, v1
	s_mov_b64 s[0:1], 0
	s_branch .LBB152_1269
.LBB152_1266:
	s_mov_b64 s[0:1], -1
                                        ; implicit-def: $vgpr6
	s_branch .LBB152_1275
.LBB152_1267:
	s_mov_b64 s[0:1], -1
                                        ; implicit-def: $vgpr6
	s_branch .LBB152_1272
.LBB152_1268:
	s_mov_b64 s[0:1], -1
                                        ; implicit-def: $vgpr6
.LBB152_1269:
	s_andn2_b64 vcc, exec, s[0:1]
	s_cbranch_vccnz .LBB152_1271
; %bb.1270:
	global_load_dword v1, v[2:3], off
	s_movk_i32 s0, 0x7fff
	s_waitcnt vmcnt(0)
	v_cvt_f32_i32_e32 v1, v1
	v_bfe_u32 v6, v1, 16, 1
	v_add3_u32 v1, v1, v6, s0
	v_lshrrev_b32_e32 v6, 16, v1
.LBB152_1271:
	s_mov_b64 s[0:1], 0
.LBB152_1272:
	s_andn2_b64 vcc, exec, s[0:1]
	s_cbranch_vccnz .LBB152_1274
; %bb.1273:
	global_load_sshort v1, v[2:3], off
	s_movk_i32 s0, 0x7fff
	s_waitcnt vmcnt(0)
	v_cvt_f32_i32_e32 v1, v1
	v_bfe_u32 v6, v1, 16, 1
	v_add3_u32 v1, v1, v6, s0
	v_lshrrev_b32_e32 v6, 16, v1
.LBB152_1274:
	s_mov_b64 s[0:1], 0
.LBB152_1275:
	s_andn2_b64 vcc, exec, s[0:1]
	s_cbranch_vccnz .LBB152_1281
; %bb.1276:
	s_cmp_gt_i32 s22, 0
	s_cbranch_scc0 .LBB152_1278
; %bb.1277:
	global_load_sbyte v1, v[2:3], off
	s_movk_i32 s0, 0x7fff
	s_waitcnt vmcnt(0)
	v_cvt_f32_i32_e32 v1, v1
	v_bfe_u32 v6, v1, 16, 1
	v_add3_u32 v1, v1, v6, s0
	v_lshrrev_b32_e32 v6, 16, v1
	s_mov_b64 s[0:1], 0
	s_branch .LBB152_1279
.LBB152_1278:
	s_mov_b64 s[0:1], -1
                                        ; implicit-def: $vgpr6
.LBB152_1279:
	s_andn2_b64 vcc, exec, s[0:1]
	s_cbranch_vccnz .LBB152_1281
; %bb.1280:
	global_load_ubyte v1, v[2:3], off
	s_movk_i32 s0, 0x7fff
	s_waitcnt vmcnt(0)
	v_cvt_f32_ubyte0_e32 v1, v1
	v_bfe_u32 v2, v1, 16, 1
	v_add3_u32 v1, v1, v2, s0
	v_lshrrev_b32_e32 v6, 16, v1
.LBB152_1281:
.LBB152_1282:
	v_add_u32_e32 v0, s9, v0
	v_ashrrev_i32_e32 v1, 31, v0
	s_cmp_lt_i32 s22, 11
	v_lshl_add_u64 v[2:3], s[6:7], 0, v[0:1]
	s_cbranch_scc1 .LBB152_1289
; %bb.1283:
	s_cmp_gt_i32 s22, 25
	s_mov_b64 s[10:11], 0
	s_cbranch_scc0 .LBB152_1291
; %bb.1284:
	s_cmp_gt_i32 s22, 28
	s_cbranch_scc0 .LBB152_1292
; %bb.1285:
	s_cmp_gt_i32 s22, 43
	;; [unrolled: 3-line block ×3, first 2 shown]
	s_cbranch_scc0 .LBB152_1295
; %bb.1287:
	s_cmp_eq_u32 s22, 46
	s_mov_b64 s[18:19], 0
	s_cbranch_scc0 .LBB152_1296
; %bb.1288:
	global_load_dword v7, v[2:3], off
	s_mov_b64 s[0:1], 0
	s_mov_b64 s[16:17], -1
	s_branch .LBB152_1297
.LBB152_1289:
	s_mov_b64 s[16:17], 0
                                        ; implicit-def: $vgpr7
	s_cbranch_execnz .LBB152_1363
.LBB152_1290:
	s_andn2_b64 vcc, exec, s[16:17]
	s_cbranch_vccnz .LBB152_1974
	s_branch .LBB152_1411
.LBB152_1291:
	s_mov_b64 s[18:19], -1
	s_mov_b64 s[16:17], 0
	s_mov_b64 s[0:1], 0
                                        ; implicit-def: $vgpr7
	s_branch .LBB152_1326
.LBB152_1292:
	s_mov_b64 s[18:19], -1
	s_mov_b64 s[16:17], 0
	s_mov_b64 s[0:1], 0
                                        ; implicit-def: $vgpr7
	s_branch .LBB152_1307
.LBB152_1293:
	s_mov_b64 s[18:19], -1
	s_mov_b64 s[16:17], 0
	s_mov_b64 s[0:1], 0
                                        ; implicit-def: $vgpr7
	s_branch .LBB152_1302
.LBB152_1294:
	s_trap 2
	s_or_b64 s[14:15], s[14:15], exec
	s_cbranch_execz .LBB152_1233
	s_branch .LBB152_1234
.LBB152_1295:
	s_mov_b64 s[18:19], -1
	s_mov_b64 s[16:17], 0
	s_mov_b64 s[0:1], 0
                                        ; implicit-def: $vgpr7
	s_branch .LBB152_1297
.LBB152_1296:
	s_mov_b64 s[0:1], -1
                                        ; implicit-def: $vgpr7
	s_mov_b64 s[16:17], 0
.LBB152_1297:
	s_and_b64 vcc, exec, s[18:19]
	s_cbranch_vccz .LBB152_1301
; %bb.1298:
	s_cmp_eq_u32 s22, 44
	s_cbranch_scc0 .LBB152_1300
; %bb.1299:
	global_load_ubyte v1, v[2:3], off
	s_movk_i32 s16, 0xff
	s_waitcnt vmcnt(1)
	v_mov_b32_e32 v7, 0x7f800001
	v_mov_b32_e32 v8, 0x400000
	;; [unrolled: 1-line block ×3, first 2 shown]
	s_mov_b64 s[0:1], 0
	s_waitcnt vmcnt(0)
	v_lshlrev_b32_e32 v10, 23, v1
	v_cmp_ne_u32_e32 vcc, s16, v1
	s_mov_b64 s[16:17], -1
	s_nop 0
	v_cndmask_b32_e32 v7, v7, v10, vcc
	v_cmp_ne_u32_e32 vcc, 0, v1
	s_nop 1
	v_cndmask_b32_e32 v1, v8, v7, vcc
	v_add_u32_e32 v7, 0x7fff, v1
	v_cmp_o_f32_e32 vcc, v1, v1
	s_nop 1
	v_cndmask_b32_sdwa v7, v9, v7, vcc dst_sel:DWORD dst_unused:UNUSED_PAD src0_sel:DWORD src1_sel:WORD_1
	s_branch .LBB152_1301
.LBB152_1300:
	s_mov_b64 s[0:1], -1
                                        ; implicit-def: $vgpr7
.LBB152_1301:
	s_mov_b64 s[18:19], 0
.LBB152_1302:
	s_and_b64 vcc, exec, s[18:19]
	s_cbranch_vccz .LBB152_1306
; %bb.1303:
	s_cmp_eq_u32 s22, 29
	s_cbranch_scc0 .LBB152_1305
; %bb.1304:
	global_load_dwordx2 v[8:9], v[2:3], off
	s_movk_i32 s16, 0x7fff
	s_mov_b64 s[0:1], 0
	s_mov_b64 s[18:19], 0
	s_waitcnt vmcnt(0)
	v_ffbh_u32_e32 v1, v9
	v_min_u32_e32 v1, 32, v1
	v_lshlrev_b64 v[8:9], v1, v[8:9]
	v_min_u32_e32 v7, 1, v8
	v_or_b32_e32 v7, v9, v7
	v_cvt_f32_u32_e32 v7, v7
	v_sub_u32_e32 v1, 32, v1
	v_ldexp_f32 v1, v7, v1
	v_bfe_u32 v7, v1, 16, 1
	v_add3_u32 v1, v1, v7, s16
	v_lshrrev_b32_e32 v7, 16, v1
	s_mov_b64 s[16:17], -1
	s_branch .LBB152_1307
.LBB152_1305:
	s_mov_b64 s[0:1], -1
                                        ; implicit-def: $vgpr7
.LBB152_1306:
	s_mov_b64 s[18:19], 0
.LBB152_1307:
	s_and_b64 vcc, exec, s[18:19]
	s_cbranch_vccz .LBB152_1325
; %bb.1308:
	s_cmp_lt_i32 s22, 27
	s_cbranch_scc1 .LBB152_1311
; %bb.1309:
	s_cmp_gt_i32 s22, 27
	s_cbranch_scc0 .LBB152_1312
; %bb.1310:
	global_load_dword v1, v[2:3], off
	s_movk_i32 s16, 0x7fff
	s_waitcnt vmcnt(0)
	v_cvt_f32_u32_e32 v1, v1
	v_bfe_u32 v7, v1, 16, 1
	v_add3_u32 v1, v1, v7, s16
	v_lshrrev_b32_e32 v7, 16, v1
	s_mov_b64 s[16:17], 0
	s_branch .LBB152_1313
.LBB152_1311:
	s_mov_b64 s[16:17], -1
                                        ; implicit-def: $vgpr7
	s_branch .LBB152_1316
.LBB152_1312:
	s_mov_b64 s[16:17], -1
                                        ; implicit-def: $vgpr7
.LBB152_1313:
	s_andn2_b64 vcc, exec, s[16:17]
	s_cbranch_vccnz .LBB152_1315
; %bb.1314:
	global_load_ushort v1, v[2:3], off
	s_movk_i32 s16, 0x7fff
	s_waitcnt vmcnt(0)
	v_cvt_f32_u32_e32 v1, v1
	v_bfe_u32 v7, v1, 16, 1
	v_add3_u32 v1, v1, v7, s16
	v_lshrrev_b32_e32 v7, 16, v1
.LBB152_1315:
	s_mov_b64 s[16:17], 0
.LBB152_1316:
	s_andn2_b64 vcc, exec, s[16:17]
	s_cbranch_vccnz .LBB152_1324
; %bb.1317:
	global_load_ubyte v1, v[2:3], off
	s_movk_i32 s16, 0x7f
	s_waitcnt vmcnt(0)
	v_cmp_lt_i16_e32 vcc, s16, v1
	s_mov_b64 s[16:17], 0
	s_and_saveexec_b64 s[18:19], vcc
	s_xor_b64 s[18:19], exec, s[18:19]
	s_cbranch_execz .LBB152_1338
; %bb.1318:
	s_movk_i32 s16, 0x80
	v_cmp_eq_u16_e32 vcc, s16, v1
	s_mov_b64 s[16:17], -1
	s_and_saveexec_b64 s[20:21], vcc
; %bb.1319:
	s_xor_b64 s[16:17], exec, -1
; %bb.1320:
	s_or_b64 exec, exec, s[20:21]
	s_and_b64 s[16:17], s[16:17], exec
	s_or_saveexec_b64 s[18:19], s[18:19]
	v_mov_b32_e32 v7, 0x7f800001
	s_xor_b64 exec, exec, s[18:19]
	s_cbranch_execnz .LBB152_1339
.LBB152_1321:
	s_or_b64 exec, exec, s[18:19]
	s_and_saveexec_b64 s[18:19], s[16:17]
	s_cbranch_execz .LBB152_1323
.LBB152_1322:
	v_lshlrev_b32_e32 v7, 24, v1
	v_and_b32_e32 v1, 0xffff, v1
	v_and_b32_e32 v8, 7, v1
	v_ffbh_u32_e32 v10, v8
	v_min_u32_e32 v10, 32, v10
	v_subrev_u32_e32 v11, 28, v10
	v_bfe_u32 v9, v1, 3, 4
	v_lshlrev_b32_e32 v1, v11, v1
	v_sub_u32_e32 v10, 29, v10
	v_and_b32_e32 v1, 7, v1
	v_cmp_eq_u32_e32 vcc, 0, v9
	v_and_b32_e32 v7, 0x80000000, v7
	s_nop 0
	v_cndmask_b32_e32 v9, v9, v10, vcc
	v_cndmask_b32_e32 v1, v8, v1, vcc
	v_mov_b32_e32 v8, 0x3b800000
	v_lshlrev_b32_e32 v1, 20, v1
	v_lshl_add_u32 v8, v9, 23, v8
	v_or3_b32 v7, v7, v8, v1
.LBB152_1323:
	s_or_b64 exec, exec, s[18:19]
	v_bfe_u32 v1, v7, 16, 1
	s_movk_i32 s16, 0x7fff
	v_add3_u32 v1, v7, v1, s16
	v_cmp_o_f32_e32 vcc, v7, v7
	v_mov_b32_e32 v7, 0x7fc0
	s_nop 0
	v_cndmask_b32_sdwa v7, v7, v1, vcc dst_sel:DWORD dst_unused:UNUSED_PAD src0_sel:DWORD src1_sel:WORD_1
.LBB152_1324:
	s_mov_b64 s[16:17], -1
.LBB152_1325:
	s_mov_b64 s[18:19], 0
.LBB152_1326:
	s_and_b64 vcc, exec, s[18:19]
	s_cbranch_vccz .LBB152_1359
; %bb.1327:
	s_cmp_gt_i32 s22, 22
	s_cbranch_scc0 .LBB152_1337
; %bb.1328:
	s_cmp_lt_i32 s22, 24
	s_cbranch_scc1 .LBB152_1340
; %bb.1329:
	s_cmp_gt_i32 s22, 24
	s_cbranch_scc0 .LBB152_1341
; %bb.1330:
	global_load_ubyte v1, v[2:3], off
	s_movk_i32 s10, 0x7f
	s_waitcnt vmcnt(0)
	v_cmp_lt_i16_e32 vcc, s10, v1
	s_mov_b64 s[10:11], 0
	s_and_saveexec_b64 s[16:17], vcc
	s_xor_b64 s[16:17], exec, s[16:17]
	s_cbranch_execz .LBB152_1353
; %bb.1331:
	s_movk_i32 s10, 0x80
	v_cmp_eq_u16_e32 vcc, s10, v1
	s_mov_b64 s[10:11], -1
	s_and_saveexec_b64 s[18:19], vcc
; %bb.1332:
	s_xor_b64 s[10:11], exec, -1
; %bb.1333:
	s_or_b64 exec, exec, s[18:19]
	s_and_b64 s[10:11], s[10:11], exec
	s_or_saveexec_b64 s[16:17], s[16:17]
	v_mov_b32_e32 v7, 0x7f800001
	s_xor_b64 exec, exec, s[16:17]
	s_cbranch_execnz .LBB152_1354
.LBB152_1334:
	s_or_b64 exec, exec, s[16:17]
	s_and_saveexec_b64 s[16:17], s[10:11]
	s_cbranch_execz .LBB152_1336
.LBB152_1335:
	v_lshlrev_b32_e32 v7, 24, v1
	v_and_b32_e32 v1, 0xffff, v1
	v_and_b32_e32 v8, 3, v1
	v_ffbh_u32_e32 v10, v8
	v_min_u32_e32 v10, 32, v10
	v_subrev_u32_e32 v11, 29, v10
	v_bfe_u32 v9, v1, 2, 5
	v_lshlrev_b32_e32 v1, v11, v1
	v_sub_u32_e32 v10, 30, v10
	v_and_b32_e32 v1, 3, v1
	v_cmp_eq_u32_e32 vcc, 0, v9
	v_and_b32_e32 v7, 0x80000000, v7
	s_nop 0
	v_cndmask_b32_e32 v9, v9, v10, vcc
	v_cndmask_b32_e32 v1, v8, v1, vcc
	v_mov_b32_e32 v8, 0x37800000
	v_lshlrev_b32_e32 v1, 21, v1
	v_lshl_add_u32 v8, v9, 23, v8
	v_or3_b32 v7, v7, v8, v1
.LBB152_1336:
	s_or_b64 exec, exec, s[16:17]
	v_bfe_u32 v1, v7, 16, 1
	s_movk_i32 s10, 0x7fff
	v_add3_u32 v1, v7, v1, s10
	v_cmp_o_f32_e32 vcc, v7, v7
	v_mov_b32_e32 v7, 0x7fc0
	s_mov_b64 s[10:11], 0
	v_cndmask_b32_sdwa v7, v7, v1, vcc dst_sel:DWORD dst_unused:UNUSED_PAD src0_sel:DWORD src1_sel:WORD_1
	s_branch .LBB152_1342
.LBB152_1337:
	s_mov_b64 s[10:11], -1
                                        ; implicit-def: $vgpr7
	s_branch .LBB152_1348
.LBB152_1338:
	s_or_saveexec_b64 s[18:19], s[18:19]
	v_mov_b32_e32 v7, 0x7f800001
	s_xor_b64 exec, exec, s[18:19]
	s_cbranch_execz .LBB152_1321
.LBB152_1339:
	v_cmp_ne_u16_e32 vcc, 0, v1
	s_andn2_b64 s[16:17], s[16:17], exec
	s_and_b64 s[20:21], vcc, exec
	v_mov_b32_e32 v7, 0
	s_or_b64 s[16:17], s[16:17], s[20:21]
	s_or_b64 exec, exec, s[18:19]
	s_and_saveexec_b64 s[18:19], s[16:17]
	s_cbranch_execnz .LBB152_1322
	s_branch .LBB152_1323
.LBB152_1340:
	s_mov_b64 s[10:11], -1
                                        ; implicit-def: $vgpr7
	s_branch .LBB152_1345
.LBB152_1341:
	s_mov_b64 s[10:11], -1
                                        ; implicit-def: $vgpr7
.LBB152_1342:
	s_and_b64 vcc, exec, s[10:11]
	s_cbranch_vccz .LBB152_1344
; %bb.1343:
	global_load_ubyte v1, v[2:3], off
	s_mov_b32 s10, 0x7f800000
	s_brev_b32 s11, 1
	s_movk_i32 s16, 0x7fff
	s_waitcnt vmcnt(0)
	v_lshlrev_b32_e32 v1, 24, v1
	v_and_b32_e32 v7, 0x7f000000, v1
	v_ffbh_u32_e32 v8, v7
	v_min_u32_e32 v8, 32, v8
	v_sub_u32_e64 v8, v8, 4 clamp
	v_lshlrev_b32_e32 v10, v8, v7
	v_lshlrev_b32_e32 v8, 23, v8
	v_lshrrev_b32_e32 v10, 4, v10
	v_add_u32_e32 v9, 0x1000000, v7
	v_sub_u32_e32 v8, v10, v8
	v_ashrrev_i32_e32 v9, 8, v9
	v_add_u32_e32 v8, 0x3c000000, v8
	v_and_or_b32 v8, v9, s10, v8
	v_cmp_ne_u32_e32 vcc, 0, v7
	s_nop 1
	v_cndmask_b32_e32 v7, 0, v8, vcc
	v_and_or_b32 v1, v1, s11, v7
	v_bfe_u32 v7, v7, 16, 1
	v_add3_u32 v7, v1, v7, s16
	v_cmp_o_f32_e32 vcc, v1, v1
	v_mov_b32_e32 v1, 0x7fc0
	s_nop 0
	v_cndmask_b32_sdwa v7, v1, v7, vcc dst_sel:DWORD dst_unused:UNUSED_PAD src0_sel:DWORD src1_sel:WORD_1
.LBB152_1344:
	s_mov_b64 s[10:11], 0
.LBB152_1345:
	s_andn2_b64 vcc, exec, s[10:11]
	s_cbranch_vccnz .LBB152_1347
; %bb.1346:
	global_load_ubyte v1, v[2:3], off
	s_movk_i32 s10, 0x7f00
	s_brev_b32 s11, 16
	s_brev_b32 s16, 1
	s_movk_i32 s17, 0x7fff
	s_waitcnt vmcnt(0)
	v_lshlrev_b16_e32 v7, 8, v1
	v_lshlrev_b32_e32 v1, 25, v1
	v_lshrrev_b32_e32 v8, 4, v1
	v_and_or_b32 v9, v7, s10, 0.5
	v_or_b32_e32 v8, 0x70000000, v8
	v_add_f32_e32 v9, -0.5, v9
	v_mul_f32_e32 v8, 0x7800000, v8
	v_cmp_gt_u32_e32 vcc, s11, v1
	v_bfe_i32 v7, v7, 0, 16
	s_nop 0
	v_cndmask_b32_e32 v1, v8, v9, vcc
	v_and_or_b32 v7, v7, s16, v1
	v_bfe_u32 v1, v1, 16, 1
	v_add3_u32 v1, v7, v1, s17
	v_cmp_o_f32_e32 vcc, v7, v7
	v_mov_b32_e32 v7, 0x7fc0
	s_nop 0
	v_cndmask_b32_sdwa v7, v7, v1, vcc dst_sel:DWORD dst_unused:UNUSED_PAD src0_sel:DWORD src1_sel:WORD_1
.LBB152_1347:
	s_mov_b64 s[10:11], 0
	s_mov_b64 s[16:17], -1
.LBB152_1348:
	s_andn2_b64 vcc, exec, s[10:11]
	s_mov_b64 s[10:11], 0
	s_cbranch_vccnz .LBB152_1359
; %bb.1349:
	s_cmp_gt_i32 s22, 14
	s_cbranch_scc0 .LBB152_1352
; %bb.1350:
	s_cmp_eq_u32 s22, 15
	s_cbranch_scc0 .LBB152_1355
; %bb.1351:
	global_load_ushort v7, v[2:3], off
	s_mov_b64 s[0:1], 0
	s_mov_b64 s[16:17], -1
	s_branch .LBB152_1356
.LBB152_1352:
	s_mov_b64 s[18:19], -1
                                        ; implicit-def: $vgpr7
	s_branch .LBB152_1357
.LBB152_1353:
	s_or_saveexec_b64 s[16:17], s[16:17]
	v_mov_b32_e32 v7, 0x7f800001
	s_xor_b64 exec, exec, s[16:17]
	s_cbranch_execz .LBB152_1334
.LBB152_1354:
	v_cmp_ne_u16_e32 vcc, 0, v1
	s_andn2_b64 s[10:11], s[10:11], exec
	s_and_b64 s[18:19], vcc, exec
	v_mov_b32_e32 v7, 0
	s_or_b64 s[10:11], s[10:11], s[18:19]
	s_or_b64 exec, exec, s[16:17]
	s_and_saveexec_b64 s[16:17], s[10:11]
	s_cbranch_execnz .LBB152_1335
	s_branch .LBB152_1336
.LBB152_1355:
	s_mov_b64 s[0:1], -1
                                        ; implicit-def: $vgpr7
.LBB152_1356:
	s_mov_b64 s[18:19], 0
.LBB152_1357:
	s_and_b64 vcc, exec, s[18:19]
	s_cbranch_vccz .LBB152_1359
; %bb.1358:
	s_cmp_lg_u32 s22, 11
	s_mov_b64 s[10:11], -1
	s_cselect_b64 s[0:1], -1, 0
.LBB152_1359:
	s_and_b64 vcc, exec, s[0:1]
	s_cbranch_vccnz .LBB152_1422
; %bb.1360:
	s_andn2_b64 vcc, exec, s[10:11]
	s_cbranch_vccnz .LBB152_1362
.LBB152_1361:
	global_load_ubyte v1, v[2:3], off
	s_mov_b64 s[16:17], -1
	s_waitcnt vmcnt(0)
	v_cmp_ne_u16_e32 vcc, 0, v1
	s_nop 1
	v_cndmask_b32_e64 v1, 0, 1.0, vcc
	v_lshrrev_b32_e32 v7, 16, v1
.LBB152_1362:
	s_branch .LBB152_1290
.LBB152_1363:
	s_cmp_lt_i32 s22, 5
	s_cbranch_scc1 .LBB152_1368
; %bb.1364:
	s_cmp_lt_i32 s22, 8
	s_cbranch_scc1 .LBB152_1369
; %bb.1365:
	;; [unrolled: 3-line block ×3, first 2 shown]
	s_cmp_gt_i32 s22, 9
	s_cbranch_scc0 .LBB152_1371
; %bb.1367:
	global_load_dwordx2 v[8:9], v[2:3], off
	s_movk_i32 s0, 0x7fff
	v_mov_b32_e32 v1, 0x7fc0
	s_waitcnt vmcnt(0)
	v_cvt_f32_f64_e32 v7, v[8:9]
	v_bfe_u32 v8, v7, 16, 1
	v_cmp_o_f32_e32 vcc, v7, v7
	v_add3_u32 v7, v7, v8, s0
	s_mov_b64 s[0:1], 0
	v_cndmask_b32_sdwa v7, v1, v7, vcc dst_sel:DWORD dst_unused:UNUSED_PAD src0_sel:DWORD src1_sel:WORD_1
	s_branch .LBB152_1372
.LBB152_1368:
	s_mov_b64 s[0:1], -1
                                        ; implicit-def: $vgpr7
	s_branch .LBB152_1390
.LBB152_1369:
	s_mov_b64 s[0:1], -1
                                        ; implicit-def: $vgpr7
	s_branch .LBB152_1378
.LBB152_1370:
	s_mov_b64 s[0:1], -1
                                        ; implicit-def: $vgpr7
	s_branch .LBB152_1375
.LBB152_1371:
	s_mov_b64 s[0:1], -1
                                        ; implicit-def: $vgpr7
.LBB152_1372:
	s_andn2_b64 vcc, exec, s[0:1]
	s_cbranch_vccnz .LBB152_1374
; %bb.1373:
	global_load_dword v1, v[2:3], off
	s_movk_i32 s0, 0x7fff
	s_waitcnt vmcnt(1)
	v_mov_b32_e32 v7, 0x7fc0
	s_waitcnt vmcnt(0)
	v_bfe_u32 v8, v1, 16, 1
	v_cmp_o_f32_e32 vcc, v1, v1
	v_add3_u32 v1, v1, v8, s0
	s_nop 0
	v_cndmask_b32_sdwa v7, v7, v1, vcc dst_sel:DWORD dst_unused:UNUSED_PAD src0_sel:DWORD src1_sel:WORD_1
.LBB152_1374:
	s_mov_b64 s[0:1], 0
.LBB152_1375:
	s_andn2_b64 vcc, exec, s[0:1]
	s_cbranch_vccnz .LBB152_1377
; %bb.1376:
	global_load_dword v1, v[2:3], off
	s_movk_i32 s0, 0x7fff
	v_mov_b32_e32 v8, 0x7fc0
	s_waitcnt vmcnt(0)
	v_cvt_f32_f16_e32 v7, v1
	v_cmp_o_f16_e32 vcc, v1, v1
	v_bfe_u32 v1, v7, 16, 1
	v_add3_u32 v1, v7, v1, s0
	v_cndmask_b32_sdwa v7, v8, v1, vcc dst_sel:DWORD dst_unused:UNUSED_PAD src0_sel:DWORD src1_sel:WORD_1
.LBB152_1377:
	s_mov_b64 s[0:1], 0
.LBB152_1378:
	s_andn2_b64 vcc, exec, s[0:1]
	s_cbranch_vccnz .LBB152_1389
; %bb.1379:
	s_cmp_lt_i32 s22, 6
	s_cbranch_scc1 .LBB152_1382
; %bb.1380:
	s_cmp_gt_i32 s22, 6
	s_cbranch_scc0 .LBB152_1383
; %bb.1381:
	global_load_dwordx2 v[8:9], v[2:3], off
	s_movk_i32 s0, 0x7fff
	v_mov_b32_e32 v1, 0x7fc0
	s_waitcnt vmcnt(0)
	v_cvt_f32_f64_e32 v7, v[8:9]
	v_bfe_u32 v8, v7, 16, 1
	v_cmp_o_f32_e32 vcc, v7, v7
	v_add3_u32 v7, v7, v8, s0
	s_mov_b64 s[0:1], 0
	v_cndmask_b32_sdwa v7, v1, v7, vcc dst_sel:DWORD dst_unused:UNUSED_PAD src0_sel:DWORD src1_sel:WORD_1
	s_branch .LBB152_1384
.LBB152_1382:
	s_mov_b64 s[0:1], -1
                                        ; implicit-def: $vgpr7
	s_branch .LBB152_1387
.LBB152_1383:
	s_mov_b64 s[0:1], -1
                                        ; implicit-def: $vgpr7
.LBB152_1384:
	s_andn2_b64 vcc, exec, s[0:1]
	s_cbranch_vccnz .LBB152_1386
; %bb.1385:
	global_load_dword v1, v[2:3], off
	s_movk_i32 s0, 0x7fff
	s_waitcnt vmcnt(1)
	v_mov_b32_e32 v7, 0x7fc0
	s_waitcnt vmcnt(0)
	v_bfe_u32 v8, v1, 16, 1
	v_cmp_o_f32_e32 vcc, v1, v1
	v_add3_u32 v1, v1, v8, s0
	s_nop 0
	v_cndmask_b32_sdwa v7, v7, v1, vcc dst_sel:DWORD dst_unused:UNUSED_PAD src0_sel:DWORD src1_sel:WORD_1
.LBB152_1386:
	s_mov_b64 s[0:1], 0
.LBB152_1387:
	s_andn2_b64 vcc, exec, s[0:1]
	s_cbranch_vccnz .LBB152_1389
; %bb.1388:
	global_load_ushort v1, v[2:3], off
	s_movk_i32 s0, 0x7fff
	v_mov_b32_e32 v8, 0x7fc0
	s_waitcnt vmcnt(0)
	v_cvt_f32_f16_e32 v7, v1
	v_cmp_o_f16_e32 vcc, v1, v1
	v_bfe_u32 v1, v7, 16, 1
	v_add3_u32 v1, v7, v1, s0
	v_cndmask_b32_sdwa v7, v8, v1, vcc dst_sel:DWORD dst_unused:UNUSED_PAD src0_sel:DWORD src1_sel:WORD_1
.LBB152_1389:
	s_mov_b64 s[0:1], 0
.LBB152_1390:
	s_andn2_b64 vcc, exec, s[0:1]
	s_cbranch_vccnz .LBB152_1410
; %bb.1391:
	s_cmp_lt_i32 s22, 2
	s_cbranch_scc1 .LBB152_1395
; %bb.1392:
	s_cmp_lt_i32 s22, 3
	s_cbranch_scc1 .LBB152_1396
; %bb.1393:
	s_cmp_gt_i32 s22, 3
	s_cbranch_scc0 .LBB152_1397
; %bb.1394:
	global_load_dwordx2 v[8:9], v[2:3], off
	s_movk_i32 s0, 0x7fff
	s_waitcnt vmcnt(0)
	v_xor_b32_e32 v7, v8, v9
	v_ffbh_i32_e32 v1, v9
	v_ashrrev_i32_e32 v7, 31, v7
	v_add_u32_e32 v1, -1, v1
	v_add_u32_e32 v7, 32, v7
	v_min_u32_e32 v1, v1, v7
	v_lshlrev_b64 v[8:9], v1, v[8:9]
	v_min_u32_e32 v7, 1, v8
	v_or_b32_e32 v7, v9, v7
	v_cvt_f32_i32_e32 v7, v7
	v_sub_u32_e32 v1, 32, v1
	v_ldexp_f32 v1, v7, v1
	v_bfe_u32 v7, v1, 16, 1
	v_add3_u32 v1, v1, v7, s0
	v_lshrrev_b32_e32 v7, 16, v1
	s_mov_b64 s[0:1], 0
	s_branch .LBB152_1398
.LBB152_1395:
	s_mov_b64 s[0:1], -1
                                        ; implicit-def: $vgpr7
	s_branch .LBB152_1404
.LBB152_1396:
	s_mov_b64 s[0:1], -1
                                        ; implicit-def: $vgpr7
	s_branch .LBB152_1401
.LBB152_1397:
	s_mov_b64 s[0:1], -1
                                        ; implicit-def: $vgpr7
.LBB152_1398:
	s_andn2_b64 vcc, exec, s[0:1]
	s_cbranch_vccnz .LBB152_1400
; %bb.1399:
	global_load_dword v1, v[2:3], off
	s_movk_i32 s0, 0x7fff
	s_waitcnt vmcnt(0)
	v_cvt_f32_i32_e32 v1, v1
	v_bfe_u32 v7, v1, 16, 1
	v_add3_u32 v1, v1, v7, s0
	v_lshrrev_b32_e32 v7, 16, v1
.LBB152_1400:
	s_mov_b64 s[0:1], 0
.LBB152_1401:
	s_andn2_b64 vcc, exec, s[0:1]
	s_cbranch_vccnz .LBB152_1403
; %bb.1402:
	global_load_sshort v1, v[2:3], off
	s_movk_i32 s0, 0x7fff
	s_waitcnt vmcnt(0)
	v_cvt_f32_i32_e32 v1, v1
	v_bfe_u32 v7, v1, 16, 1
	v_add3_u32 v1, v1, v7, s0
	v_lshrrev_b32_e32 v7, 16, v1
.LBB152_1403:
	s_mov_b64 s[0:1], 0
.LBB152_1404:
	s_andn2_b64 vcc, exec, s[0:1]
	s_cbranch_vccnz .LBB152_1410
; %bb.1405:
	s_cmp_gt_i32 s22, 0
	s_cbranch_scc0 .LBB152_1407
; %bb.1406:
	global_load_sbyte v1, v[2:3], off
	s_movk_i32 s0, 0x7fff
	s_waitcnt vmcnt(0)
	v_cvt_f32_i32_e32 v1, v1
	v_bfe_u32 v7, v1, 16, 1
	v_add3_u32 v1, v1, v7, s0
	v_lshrrev_b32_e32 v7, 16, v1
	s_mov_b64 s[0:1], 0
	s_branch .LBB152_1408
.LBB152_1407:
	s_mov_b64 s[0:1], -1
                                        ; implicit-def: $vgpr7
.LBB152_1408:
	s_andn2_b64 vcc, exec, s[0:1]
	s_cbranch_vccnz .LBB152_1410
; %bb.1409:
	global_load_ubyte v1, v[2:3], off
	s_movk_i32 s0, 0x7fff
	s_waitcnt vmcnt(0)
	v_cvt_f32_ubyte0_e32 v1, v1
	v_bfe_u32 v2, v1, 16, 1
	v_add3_u32 v1, v1, v2, s0
	v_lshrrev_b32_e32 v7, 16, v1
.LBB152_1410:
.LBB152_1411:
	v_add_u32_e32 v0, s9, v0
	v_ashrrev_i32_e32 v1, 31, v0
	s_cmp_lt_i32 s22, 11
	v_lshl_add_u64 v[0:1], s[6:7], 0, v[0:1]
	s_cbranch_scc1 .LBB152_1418
; %bb.1412:
	s_cmp_gt_i32 s22, 25
	s_mov_b64 s[6:7], 0
	s_cbranch_scc0 .LBB152_1419
; %bb.1413:
	s_cmp_gt_i32 s22, 28
	s_cbranch_scc0 .LBB152_1420
; %bb.1414:
	s_cmp_gt_i32 s22, 43
	;; [unrolled: 3-line block ×3, first 2 shown]
	s_cbranch_scc0 .LBB152_1423
; %bb.1416:
	s_cmp_eq_u32 s22, 46
	s_mov_b64 s[16:17], 0
	s_cbranch_scc0 .LBB152_1424
; %bb.1417:
	global_load_dword v8, v[0:1], off
	s_mov_b64 s[0:1], 0
	s_mov_b64 s[10:11], -1
	s_branch .LBB152_1425
.LBB152_1418:
	s_mov_b64 s[0:1], -1
	s_mov_b64 s[10:11], 0
                                        ; implicit-def: $vgpr8
	s_branch .LBB152_1491
.LBB152_1419:
	s_mov_b64 s[16:17], -1
	s_mov_b64 s[10:11], 0
	s_mov_b64 s[0:1], 0
                                        ; implicit-def: $vgpr8
	s_branch .LBB152_1454
.LBB152_1420:
	s_mov_b64 s[16:17], -1
	s_mov_b64 s[10:11], 0
	s_mov_b64 s[0:1], 0
                                        ; implicit-def: $vgpr8
	s_branch .LBB152_1435
.LBB152_1421:
	s_mov_b64 s[16:17], -1
	s_mov_b64 s[10:11], 0
	s_mov_b64 s[0:1], 0
                                        ; implicit-def: $vgpr8
	s_branch .LBB152_1430
.LBB152_1422:
	s_trap 2
	s_or_b64 s[14:15], s[14:15], exec
	s_cbranch_execz .LBB152_1361
	s_branch .LBB152_1362
.LBB152_1423:
	s_mov_b64 s[16:17], -1
	s_mov_b64 s[10:11], 0
	s_mov_b64 s[0:1], 0
                                        ; implicit-def: $vgpr8
	s_branch .LBB152_1425
.LBB152_1424:
	s_mov_b64 s[0:1], -1
                                        ; implicit-def: $vgpr8
	s_mov_b64 s[10:11], 0
.LBB152_1425:
	s_and_b64 vcc, exec, s[16:17]
	s_cbranch_vccz .LBB152_1429
; %bb.1426:
	s_cmp_eq_u32 s22, 44
	s_cbranch_scc0 .LBB152_1428
; %bb.1427:
	global_load_ubyte v2, v[0:1], off
	s_movk_i32 s9, 0xff
	v_mov_b32_e32 v3, 0x7f800001
	s_waitcnt vmcnt(1)
	v_mov_b32_e32 v8, 0x400000
	v_mov_b32_e32 v9, 0x7fc0
	s_mov_b64 s[0:1], 0
	s_mov_b64 s[10:11], -1
	s_waitcnt vmcnt(0)
	v_lshlrev_b32_e32 v10, 23, v2
	v_cmp_ne_u32_e32 vcc, s9, v2
	s_nop 1
	v_cndmask_b32_e32 v3, v3, v10, vcc
	v_cmp_ne_u32_e32 vcc, 0, v2
	s_nop 1
	v_cndmask_b32_e32 v2, v8, v3, vcc
	v_add_u32_e32 v3, 0x7fff, v2
	v_cmp_o_f32_e32 vcc, v2, v2
	s_nop 1
	v_cndmask_b32_sdwa v8, v9, v3, vcc dst_sel:DWORD dst_unused:UNUSED_PAD src0_sel:DWORD src1_sel:WORD_1
	s_branch .LBB152_1429
.LBB152_1428:
	s_mov_b64 s[0:1], -1
                                        ; implicit-def: $vgpr8
.LBB152_1429:
	s_mov_b64 s[16:17], 0
.LBB152_1430:
	s_and_b64 vcc, exec, s[16:17]
	s_cbranch_vccz .LBB152_1434
; %bb.1431:
	s_cmp_eq_u32 s22, 29
	s_cbranch_scc0 .LBB152_1433
; %bb.1432:
	global_load_dwordx2 v[2:3], v[0:1], off
	s_movk_i32 s9, 0x7fff
	s_mov_b64 s[0:1], 0
	s_mov_b64 s[10:11], -1
	s_mov_b64 s[16:17], 0
	s_waitcnt vmcnt(0)
	v_ffbh_u32_e32 v8, v3
	v_min_u32_e32 v8, 32, v8
	v_lshlrev_b64 v[2:3], v8, v[2:3]
	v_min_u32_e32 v2, 1, v2
	v_or_b32_e32 v2, v3, v2
	v_cvt_f32_u32_e32 v2, v2
	v_sub_u32_e32 v3, 32, v8
	v_ldexp_f32 v2, v2, v3
	v_bfe_u32 v3, v2, 16, 1
	v_add3_u32 v2, v2, v3, s9
	v_lshrrev_b32_e32 v8, 16, v2
	s_branch .LBB152_1435
.LBB152_1433:
	s_mov_b64 s[0:1], -1
                                        ; implicit-def: $vgpr8
.LBB152_1434:
	s_mov_b64 s[16:17], 0
.LBB152_1435:
	s_and_b64 vcc, exec, s[16:17]
	s_cbranch_vccz .LBB152_1453
; %bb.1436:
	s_cmp_lt_i32 s22, 27
	s_cbranch_scc1 .LBB152_1439
; %bb.1437:
	s_cmp_gt_i32 s22, 27
	s_cbranch_scc0 .LBB152_1440
; %bb.1438:
	global_load_dword v2, v[0:1], off
	s_movk_i32 s9, 0x7fff
	s_mov_b64 s[10:11], 0
	s_waitcnt vmcnt(0)
	v_cvt_f32_u32_e32 v2, v2
	v_bfe_u32 v3, v2, 16, 1
	v_add3_u32 v2, v2, v3, s9
	v_lshrrev_b32_e32 v8, 16, v2
	s_branch .LBB152_1441
.LBB152_1439:
	s_mov_b64 s[10:11], -1
                                        ; implicit-def: $vgpr8
	s_branch .LBB152_1444
.LBB152_1440:
	s_mov_b64 s[10:11], -1
                                        ; implicit-def: $vgpr8
.LBB152_1441:
	s_andn2_b64 vcc, exec, s[10:11]
	s_cbranch_vccnz .LBB152_1443
; %bb.1442:
	global_load_ushort v2, v[0:1], off
	s_movk_i32 s9, 0x7fff
	s_waitcnt vmcnt(0)
	v_cvt_f32_u32_e32 v2, v2
	v_bfe_u32 v3, v2, 16, 1
	v_add3_u32 v2, v2, v3, s9
	v_lshrrev_b32_e32 v8, 16, v2
.LBB152_1443:
	s_mov_b64 s[10:11], 0
.LBB152_1444:
	s_andn2_b64 vcc, exec, s[10:11]
	s_cbranch_vccnz .LBB152_1452
; %bb.1445:
	global_load_ubyte v2, v[0:1], off
	s_movk_i32 s9, 0x7f
	s_mov_b64 s[10:11], 0
	s_waitcnt vmcnt(0)
	v_cmp_lt_i16_e32 vcc, s9, v2
	s_and_saveexec_b64 s[16:17], vcc
	s_xor_b64 s[16:17], exec, s[16:17]
	s_cbranch_execz .LBB152_1466
; %bb.1446:
	s_movk_i32 s9, 0x80
	v_cmp_eq_u16_e32 vcc, s9, v2
	s_mov_b64 s[10:11], -1
	s_and_saveexec_b64 s[18:19], vcc
; %bb.1447:
	s_xor_b64 s[10:11], exec, -1
; %bb.1448:
	s_or_b64 exec, exec, s[18:19]
	s_and_b64 s[10:11], s[10:11], exec
	s_or_saveexec_b64 s[16:17], s[16:17]
	v_mov_b32_e32 v3, 0x7f800001
	s_xor_b64 exec, exec, s[16:17]
	s_cbranch_execnz .LBB152_1467
.LBB152_1449:
	s_or_b64 exec, exec, s[16:17]
	s_and_saveexec_b64 s[16:17], s[10:11]
	s_cbranch_execz .LBB152_1451
.LBB152_1450:
	v_lshlrev_b32_e32 v3, 24, v2
	v_and_b32_e32 v2, 0xffff, v2
	v_and_b32_e32 v8, 7, v2
	v_ffbh_u32_e32 v10, v8
	v_min_u32_e32 v10, 32, v10
	v_subrev_u32_e32 v11, 28, v10
	v_bfe_u32 v9, v2, 3, 4
	v_lshlrev_b32_e32 v2, v11, v2
	v_sub_u32_e32 v10, 29, v10
	v_and_b32_e32 v2, 7, v2
	v_cmp_eq_u32_e32 vcc, 0, v9
	v_and_b32_e32 v3, 0x80000000, v3
	s_nop 0
	v_cndmask_b32_e32 v9, v9, v10, vcc
	v_cndmask_b32_e32 v2, v8, v2, vcc
	v_mov_b32_e32 v8, 0x3b800000
	v_lshlrev_b32_e32 v2, 20, v2
	v_lshl_add_u32 v8, v9, 23, v8
	v_or3_b32 v3, v3, v8, v2
.LBB152_1451:
	s_or_b64 exec, exec, s[16:17]
	v_bfe_u32 v2, v3, 16, 1
	s_movk_i32 s9, 0x7fff
	v_add3_u32 v2, v3, v2, s9
	v_cmp_o_f32_e32 vcc, v3, v3
	v_mov_b32_e32 v3, 0x7fc0
	s_nop 0
	v_cndmask_b32_sdwa v8, v3, v2, vcc dst_sel:DWORD dst_unused:UNUSED_PAD src0_sel:DWORD src1_sel:WORD_1
.LBB152_1452:
	s_mov_b64 s[10:11], -1
.LBB152_1453:
	s_mov_b64 s[16:17], 0
.LBB152_1454:
	s_and_b64 vcc, exec, s[16:17]
	s_cbranch_vccz .LBB152_1487
; %bb.1455:
	s_cmp_gt_i32 s22, 22
	s_cbranch_scc0 .LBB152_1465
; %bb.1456:
	s_cmp_lt_i32 s22, 24
	s_cbranch_scc1 .LBB152_1468
; %bb.1457:
	s_cmp_gt_i32 s22, 24
	s_cbranch_scc0 .LBB152_1469
; %bb.1458:
	global_load_ubyte v2, v[0:1], off
	s_movk_i32 s6, 0x7f
	s_waitcnt vmcnt(0)
	v_cmp_lt_i16_e32 vcc, s6, v2
	s_mov_b64 s[6:7], 0
	s_and_saveexec_b64 s[10:11], vcc
	s_xor_b64 s[10:11], exec, s[10:11]
	s_cbranch_execz .LBB152_1481
; %bb.1459:
	s_movk_i32 s6, 0x80
	v_cmp_eq_u16_e32 vcc, s6, v2
	s_mov_b64 s[6:7], -1
	s_and_saveexec_b64 s[16:17], vcc
; %bb.1460:
	s_xor_b64 s[6:7], exec, -1
; %bb.1461:
	s_or_b64 exec, exec, s[16:17]
	s_and_b64 s[6:7], s[6:7], exec
	s_or_saveexec_b64 s[10:11], s[10:11]
	v_mov_b32_e32 v3, 0x7f800001
	s_xor_b64 exec, exec, s[10:11]
	s_cbranch_execnz .LBB152_1482
.LBB152_1462:
	s_or_b64 exec, exec, s[10:11]
	s_and_saveexec_b64 s[10:11], s[6:7]
	s_cbranch_execz .LBB152_1464
.LBB152_1463:
	v_lshlrev_b32_e32 v3, 24, v2
	v_and_b32_e32 v2, 0xffff, v2
	v_and_b32_e32 v8, 3, v2
	v_ffbh_u32_e32 v10, v8
	v_min_u32_e32 v10, 32, v10
	v_subrev_u32_e32 v11, 29, v10
	v_bfe_u32 v9, v2, 2, 5
	v_lshlrev_b32_e32 v2, v11, v2
	v_sub_u32_e32 v10, 30, v10
	v_and_b32_e32 v2, 3, v2
	v_cmp_eq_u32_e32 vcc, 0, v9
	v_and_b32_e32 v3, 0x80000000, v3
	s_nop 0
	v_cndmask_b32_e32 v9, v9, v10, vcc
	v_cndmask_b32_e32 v2, v8, v2, vcc
	v_mov_b32_e32 v8, 0x37800000
	v_lshlrev_b32_e32 v2, 21, v2
	v_lshl_add_u32 v8, v9, 23, v8
	v_or3_b32 v3, v3, v8, v2
.LBB152_1464:
	s_or_b64 exec, exec, s[10:11]
	v_bfe_u32 v2, v3, 16, 1
	s_movk_i32 s6, 0x7fff
	v_add3_u32 v2, v3, v2, s6
	v_cmp_o_f32_e32 vcc, v3, v3
	v_mov_b32_e32 v3, 0x7fc0
	s_mov_b64 s[6:7], 0
	v_cndmask_b32_sdwa v8, v3, v2, vcc dst_sel:DWORD dst_unused:UNUSED_PAD src0_sel:DWORD src1_sel:WORD_1
	s_branch .LBB152_1470
.LBB152_1465:
	s_mov_b64 s[6:7], -1
                                        ; implicit-def: $vgpr8
	s_branch .LBB152_1476
.LBB152_1466:
	s_or_saveexec_b64 s[16:17], s[16:17]
	v_mov_b32_e32 v3, 0x7f800001
	s_xor_b64 exec, exec, s[16:17]
	s_cbranch_execz .LBB152_1449
.LBB152_1467:
	v_cmp_ne_u16_e32 vcc, 0, v2
	s_andn2_b64 s[10:11], s[10:11], exec
	s_and_b64 s[18:19], vcc, exec
	v_mov_b32_e32 v3, 0
	s_or_b64 s[10:11], s[10:11], s[18:19]
	s_or_b64 exec, exec, s[16:17]
	s_and_saveexec_b64 s[16:17], s[10:11]
	s_cbranch_execnz .LBB152_1450
	s_branch .LBB152_1451
.LBB152_1468:
	s_mov_b64 s[6:7], -1
                                        ; implicit-def: $vgpr8
	s_branch .LBB152_1473
.LBB152_1469:
	s_mov_b64 s[6:7], -1
                                        ; implicit-def: $vgpr8
.LBB152_1470:
	s_and_b64 vcc, exec, s[6:7]
	s_cbranch_vccz .LBB152_1472
; %bb.1471:
	global_load_ubyte v2, v[0:1], off
	s_mov_b32 s6, 0x7f800000
	s_brev_b32 s7, 1
	s_movk_i32 s9, 0x7fff
	s_waitcnt vmcnt(0)
	v_lshlrev_b32_e32 v2, 24, v2
	v_and_b32_e32 v3, 0x7f000000, v2
	v_ffbh_u32_e32 v8, v3
	v_min_u32_e32 v8, 32, v8
	v_sub_u32_e64 v8, v8, 4 clamp
	v_lshlrev_b32_e32 v10, v8, v3
	v_lshlrev_b32_e32 v8, 23, v8
	v_lshrrev_b32_e32 v10, 4, v10
	v_add_u32_e32 v9, 0x1000000, v3
	v_sub_u32_e32 v8, v10, v8
	v_ashrrev_i32_e32 v9, 8, v9
	v_add_u32_e32 v8, 0x3c000000, v8
	v_and_or_b32 v8, v9, s6, v8
	v_cmp_ne_u32_e32 vcc, 0, v3
	s_nop 1
	v_cndmask_b32_e32 v3, 0, v8, vcc
	v_and_or_b32 v2, v2, s7, v3
	v_bfe_u32 v3, v3, 16, 1
	v_add3_u32 v3, v2, v3, s9
	v_cmp_o_f32_e32 vcc, v2, v2
	v_mov_b32_e32 v2, 0x7fc0
	s_nop 0
	v_cndmask_b32_sdwa v8, v2, v3, vcc dst_sel:DWORD dst_unused:UNUSED_PAD src0_sel:DWORD src1_sel:WORD_1
.LBB152_1472:
	s_mov_b64 s[6:7], 0
.LBB152_1473:
	s_andn2_b64 vcc, exec, s[6:7]
	s_cbranch_vccnz .LBB152_1475
; %bb.1474:
	global_load_ubyte v2, v[0:1], off
	s_movk_i32 s6, 0x7f00
	s_brev_b32 s7, 16
	s_brev_b32 s9, 1
	s_movk_i32 s10, 0x7fff
	s_waitcnt vmcnt(0)
	v_lshlrev_b16_e32 v3, 8, v2
	v_lshlrev_b32_e32 v2, 25, v2
	v_lshrrev_b32_e32 v8, 4, v2
	v_and_or_b32 v9, v3, s6, 0.5
	v_or_b32_e32 v8, 0x70000000, v8
	v_add_f32_e32 v9, -0.5, v9
	v_mul_f32_e32 v8, 0x7800000, v8
	v_cmp_gt_u32_e32 vcc, s7, v2
	v_bfe_i32 v3, v3, 0, 16
	s_nop 0
	v_cndmask_b32_e32 v2, v8, v9, vcc
	v_and_or_b32 v3, v3, s9, v2
	v_bfe_u32 v2, v2, 16, 1
	v_add3_u32 v2, v3, v2, s10
	v_cmp_o_f32_e32 vcc, v3, v3
	v_mov_b32_e32 v3, 0x7fc0
	s_nop 0
	v_cndmask_b32_sdwa v8, v3, v2, vcc dst_sel:DWORD dst_unused:UNUSED_PAD src0_sel:DWORD src1_sel:WORD_1
.LBB152_1475:
	s_mov_b64 s[6:7], 0
	s_mov_b64 s[10:11], -1
.LBB152_1476:
	s_andn2_b64 vcc, exec, s[6:7]
	s_mov_b64 s[6:7], 0
	s_cbranch_vccnz .LBB152_1487
; %bb.1477:
	s_cmp_gt_i32 s22, 14
	s_cbranch_scc0 .LBB152_1480
; %bb.1478:
	s_cmp_eq_u32 s22, 15
	s_cbranch_scc0 .LBB152_1483
; %bb.1479:
	global_load_ushort v8, v[0:1], off
	s_mov_b64 s[0:1], 0
	s_mov_b64 s[10:11], -1
	s_branch .LBB152_1484
.LBB152_1480:
	s_mov_b64 s[16:17], -1
                                        ; implicit-def: $vgpr8
	s_branch .LBB152_1485
.LBB152_1481:
	s_or_saveexec_b64 s[10:11], s[10:11]
	v_mov_b32_e32 v3, 0x7f800001
	s_xor_b64 exec, exec, s[10:11]
	s_cbranch_execz .LBB152_1462
.LBB152_1482:
	v_cmp_ne_u16_e32 vcc, 0, v2
	s_andn2_b64 s[6:7], s[6:7], exec
	s_and_b64 s[16:17], vcc, exec
	v_mov_b32_e32 v3, 0
	s_or_b64 s[6:7], s[6:7], s[16:17]
	s_or_b64 exec, exec, s[10:11]
	s_and_saveexec_b64 s[10:11], s[6:7]
	s_cbranch_execnz .LBB152_1463
	s_branch .LBB152_1464
.LBB152_1483:
	s_mov_b64 s[0:1], -1
                                        ; implicit-def: $vgpr8
.LBB152_1484:
	s_mov_b64 s[16:17], 0
.LBB152_1485:
	s_and_b64 vcc, exec, s[16:17]
	s_cbranch_vccz .LBB152_1487
; %bb.1486:
	s_cmp_lg_u32 s22, 11
	s_mov_b64 s[6:7], -1
	s_cselect_b64 s[0:1], -1, 0
.LBB152_1487:
	s_and_b64 vcc, exec, s[0:1]
	s_cbranch_vccnz .LBB152_2020
; %bb.1488:
	s_andn2_b64 vcc, exec, s[6:7]
	s_cbranch_vccnz .LBB152_1490
.LBB152_1489:
	global_load_ubyte v2, v[0:1], off
	s_mov_b64 s[10:11], -1
	s_waitcnt vmcnt(0)
	v_cmp_ne_u16_e32 vcc, 0, v2
	s_nop 1
	v_cndmask_b32_e64 v2, 0, 1.0, vcc
	v_lshrrev_b32_e32 v8, 16, v2
.LBB152_1490:
	s_mov_b64 s[0:1], 0
.LBB152_1491:
	s_and_b64 vcc, exec, s[0:1]
	s_cbranch_vccz .LBB152_1540
; %bb.1492:
	s_cmp_lt_i32 s22, 5
	s_cbranch_scc1 .LBB152_1497
; %bb.1493:
	s_cmp_lt_i32 s22, 8
	s_cbranch_scc1 .LBB152_1498
	;; [unrolled: 3-line block ×3, first 2 shown]
; %bb.1495:
	s_cmp_gt_i32 s22, 9
	s_cbranch_scc0 .LBB152_1500
; %bb.1496:
	global_load_dwordx2 v[2:3], v[0:1], off
	s_movk_i32 s0, 0x7fff
	s_waitcnt vmcnt(1)
	v_mov_b32_e32 v8, 0x7fc0
	s_waitcnt vmcnt(0)
	v_cvt_f32_f64_e32 v2, v[2:3]
	v_bfe_u32 v3, v2, 16, 1
	v_cmp_o_f32_e32 vcc, v2, v2
	v_add3_u32 v2, v2, v3, s0
	s_mov_b64 s[0:1], 0
	v_cndmask_b32_sdwa v8, v8, v2, vcc dst_sel:DWORD dst_unused:UNUSED_PAD src0_sel:DWORD src1_sel:WORD_1
	s_branch .LBB152_1501
.LBB152_1497:
	s_mov_b64 s[0:1], -1
                                        ; implicit-def: $vgpr8
	s_branch .LBB152_1519
.LBB152_1498:
	s_mov_b64 s[0:1], -1
                                        ; implicit-def: $vgpr8
	s_branch .LBB152_1507
.LBB152_1499:
	s_mov_b64 s[0:1], -1
                                        ; implicit-def: $vgpr8
	s_branch .LBB152_1504
.LBB152_1500:
	s_mov_b64 s[0:1], -1
                                        ; implicit-def: $vgpr8
.LBB152_1501:
	s_andn2_b64 vcc, exec, s[0:1]
	s_cbranch_vccnz .LBB152_1503
; %bb.1502:
	global_load_dword v2, v[0:1], off
	s_movk_i32 s0, 0x7fff
	v_mov_b32_e32 v3, 0x7fc0
	s_waitcnt vmcnt(0)
	v_bfe_u32 v8, v2, 16, 1
	v_cmp_o_f32_e32 vcc, v2, v2
	v_add3_u32 v2, v2, v8, s0
	s_nop 0
	v_cndmask_b32_sdwa v8, v3, v2, vcc dst_sel:DWORD dst_unused:UNUSED_PAD src0_sel:DWORD src1_sel:WORD_1
.LBB152_1503:
	s_mov_b64 s[0:1], 0
.LBB152_1504:
	s_andn2_b64 vcc, exec, s[0:1]
	s_cbranch_vccnz .LBB152_1506
; %bb.1505:
	global_load_dword v2, v[0:1], off
	s_movk_i32 s0, 0x7fff
	s_waitcnt vmcnt(1)
	v_mov_b32_e32 v8, 0x7fc0
	s_waitcnt vmcnt(0)
	v_cvt_f32_f16_e32 v3, v2
	v_cmp_o_f16_e32 vcc, v2, v2
	v_bfe_u32 v2, v3, 16, 1
	v_add3_u32 v2, v3, v2, s0
	v_cndmask_b32_sdwa v8, v8, v2, vcc dst_sel:DWORD dst_unused:UNUSED_PAD src0_sel:DWORD src1_sel:WORD_1
.LBB152_1506:
	s_mov_b64 s[0:1], 0
.LBB152_1507:
	s_andn2_b64 vcc, exec, s[0:1]
	s_cbranch_vccnz .LBB152_1518
; %bb.1508:
	s_cmp_lt_i32 s22, 6
	s_cbranch_scc1 .LBB152_1511
; %bb.1509:
	s_cmp_gt_i32 s22, 6
	s_cbranch_scc0 .LBB152_1512
; %bb.1510:
	global_load_dwordx2 v[2:3], v[0:1], off
	s_movk_i32 s0, 0x7fff
	s_waitcnt vmcnt(1)
	v_mov_b32_e32 v8, 0x7fc0
	s_waitcnt vmcnt(0)
	v_cvt_f32_f64_e32 v2, v[2:3]
	v_bfe_u32 v3, v2, 16, 1
	v_cmp_o_f32_e32 vcc, v2, v2
	v_add3_u32 v2, v2, v3, s0
	s_mov_b64 s[0:1], 0
	v_cndmask_b32_sdwa v8, v8, v2, vcc dst_sel:DWORD dst_unused:UNUSED_PAD src0_sel:DWORD src1_sel:WORD_1
	s_branch .LBB152_1513
.LBB152_1511:
	s_mov_b64 s[0:1], -1
                                        ; implicit-def: $vgpr8
	s_branch .LBB152_1516
.LBB152_1512:
	s_mov_b64 s[0:1], -1
                                        ; implicit-def: $vgpr8
.LBB152_1513:
	s_andn2_b64 vcc, exec, s[0:1]
	s_cbranch_vccnz .LBB152_1515
; %bb.1514:
	global_load_dword v2, v[0:1], off
	s_movk_i32 s0, 0x7fff
	v_mov_b32_e32 v3, 0x7fc0
	s_waitcnt vmcnt(0)
	v_bfe_u32 v8, v2, 16, 1
	v_cmp_o_f32_e32 vcc, v2, v2
	v_add3_u32 v2, v2, v8, s0
	s_nop 0
	v_cndmask_b32_sdwa v8, v3, v2, vcc dst_sel:DWORD dst_unused:UNUSED_PAD src0_sel:DWORD src1_sel:WORD_1
.LBB152_1515:
	s_mov_b64 s[0:1], 0
.LBB152_1516:
	s_andn2_b64 vcc, exec, s[0:1]
	s_cbranch_vccnz .LBB152_1518
; %bb.1517:
	global_load_ushort v2, v[0:1], off
	s_movk_i32 s0, 0x7fff
	s_waitcnt vmcnt(1)
	v_mov_b32_e32 v8, 0x7fc0
	s_waitcnt vmcnt(0)
	v_cvt_f32_f16_e32 v3, v2
	v_cmp_o_f16_e32 vcc, v2, v2
	v_bfe_u32 v2, v3, 16, 1
	v_add3_u32 v2, v3, v2, s0
	v_cndmask_b32_sdwa v8, v8, v2, vcc dst_sel:DWORD dst_unused:UNUSED_PAD src0_sel:DWORD src1_sel:WORD_1
.LBB152_1518:
	s_mov_b64 s[0:1], 0
.LBB152_1519:
	s_andn2_b64 vcc, exec, s[0:1]
	s_cbranch_vccnz .LBB152_1539
; %bb.1520:
	s_cmp_lt_i32 s22, 2
	s_cbranch_scc1 .LBB152_1524
; %bb.1521:
	s_cmp_lt_i32 s22, 3
	s_cbranch_scc1 .LBB152_1525
; %bb.1522:
	s_cmp_gt_i32 s22, 3
	s_cbranch_scc0 .LBB152_1526
; %bb.1523:
	global_load_dwordx2 v[2:3], v[0:1], off
	s_movk_i32 s0, 0x7fff
	s_waitcnt vmcnt(0)
	v_xor_b32_e32 v9, v2, v3
	v_ffbh_i32_e32 v8, v3
	v_ashrrev_i32_e32 v9, 31, v9
	v_add_u32_e32 v8, -1, v8
	v_add_u32_e32 v9, 32, v9
	v_min_u32_e32 v8, v8, v9
	v_lshlrev_b64 v[2:3], v8, v[2:3]
	v_min_u32_e32 v2, 1, v2
	v_or_b32_e32 v2, v3, v2
	v_cvt_f32_i32_e32 v2, v2
	v_sub_u32_e32 v3, 32, v8
	v_ldexp_f32 v2, v2, v3
	v_bfe_u32 v3, v2, 16, 1
	v_add3_u32 v2, v2, v3, s0
	v_lshrrev_b32_e32 v8, 16, v2
	s_mov_b64 s[0:1], 0
	s_branch .LBB152_1527
.LBB152_1524:
	s_mov_b64 s[0:1], -1
                                        ; implicit-def: $vgpr8
	s_branch .LBB152_1533
.LBB152_1525:
	s_mov_b64 s[0:1], -1
                                        ; implicit-def: $vgpr8
	s_branch .LBB152_1530
.LBB152_1526:
	s_mov_b64 s[0:1], -1
                                        ; implicit-def: $vgpr8
.LBB152_1527:
	s_andn2_b64 vcc, exec, s[0:1]
	s_cbranch_vccnz .LBB152_1529
; %bb.1528:
	global_load_dword v2, v[0:1], off
	s_movk_i32 s0, 0x7fff
	s_waitcnt vmcnt(0)
	v_cvt_f32_i32_e32 v2, v2
	v_bfe_u32 v3, v2, 16, 1
	v_add3_u32 v2, v2, v3, s0
	v_lshrrev_b32_e32 v8, 16, v2
.LBB152_1529:
	s_mov_b64 s[0:1], 0
.LBB152_1530:
	s_andn2_b64 vcc, exec, s[0:1]
	s_cbranch_vccnz .LBB152_1532
; %bb.1531:
	global_load_sshort v2, v[0:1], off
	s_movk_i32 s0, 0x7fff
	s_waitcnt vmcnt(0)
	v_cvt_f32_i32_e32 v2, v2
	v_bfe_u32 v3, v2, 16, 1
	v_add3_u32 v2, v2, v3, s0
	v_lshrrev_b32_e32 v8, 16, v2
.LBB152_1532:
	s_mov_b64 s[0:1], 0
.LBB152_1533:
	s_andn2_b64 vcc, exec, s[0:1]
	s_cbranch_vccnz .LBB152_1539
; %bb.1534:
	s_cmp_gt_i32 s22, 0
	s_cbranch_scc0 .LBB152_1536
; %bb.1535:
	global_load_sbyte v2, v[0:1], off
	s_movk_i32 s0, 0x7fff
	s_waitcnt vmcnt(0)
	v_cvt_f32_i32_e32 v2, v2
	v_bfe_u32 v3, v2, 16, 1
	v_add3_u32 v2, v2, v3, s0
	v_lshrrev_b32_e32 v8, 16, v2
	s_mov_b64 s[0:1], 0
	s_branch .LBB152_1537
.LBB152_1536:
	s_mov_b64 s[0:1], -1
                                        ; implicit-def: $vgpr8
.LBB152_1537:
	s_andn2_b64 vcc, exec, s[0:1]
	s_cbranch_vccnz .LBB152_1539
; %bb.1538:
	global_load_ubyte v0, v[0:1], off
	s_movk_i32 s0, 0x7fff
	s_waitcnt vmcnt(0)
	v_cvt_f32_ubyte0_e32 v0, v0
	v_bfe_u32 v1, v0, 16, 1
	v_add3_u32 v0, v0, v1, s0
	v_lshrrev_b32_e32 v8, 16, v0
.LBB152_1539:
	s_mov_b64 s[10:11], -1
.LBB152_1540:
	s_andn2_b64 vcc, exec, s[10:11]
	s_cbranch_vccnz .LBB152_1974
; %bb.1541:
	s_waitcnt vmcnt(0)
	v_lshlrev_b32_e32 v0, 16, v5
	v_mul_f32_e32 v1, 0x3fb8aa3b, v0
	v_rndne_f32_e32 v1, v1
	v_fmamk_f32 v2, v1, 0xbf317218, v0
	v_fmamk_f32 v2, v1, 0x3102e308, v2
	v_mov_b32_e32 v3, 0x3ab69700
	v_fmac_f32_e32 v3, 0x395133b1, v2
	v_fmaak_f32 v3, v2, v3, 0x3c0887f9
	v_fmaak_f32 v3, v2, v3, 0x3d2aaa81
	v_cvt_i32_f32_e32 v5, v1
	v_fmaak_f32 v3, v2, v3, 0x3e2aaaab
	v_fma_f32 v3, v2, v3, 0.5
	v_mul_f32_e32 v3, v2, v3
	s_mov_b32 s0, 0x43000000
	v_fmac_f32_e32 v2, v2, v3
	v_ldexp_f32 v3, 1.0, v5
	v_mov_b32_e32 v5, 0x7f000000
	v_cmp_eq_f32_e32 vcc, s0, v1
	s_mov_b32 s0, 0x42b17217
	s_and_b32 s20, s33, 0xff
	v_cndmask_b32_e32 v1, v3, v5, vcc
	v_add_f32_e32 v3, -1.0, v1
	v_fmac_f32_e32 v3, v1, v2
	v_add_f32_e32 v1, v3, v3
	v_cndmask_b32_e32 v1, v3, v1, vcc
	v_mov_b32_e32 v2, 0x7f800000
	v_cmp_nlt_f32_e32 vcc, s0, v0
	s_mov_b32 s0, 0xc1880000
	s_cmp_lt_i32 s20, 11
	v_cndmask_b32_e32 v1, v2, v1, vcc
	v_cmp_ngt_f32_e32 vcc, s0, v0
	s_movk_i32 s0, 0x7fff
	s_nop 0
	v_cndmask_b32_e32 v0, -1.0, v1, vcc
	v_bfe_u32 v1, v0, 16, 1
	v_add3_u32 v1, v0, v1, s0
	v_cmp_o_f32_e32 vcc, v0, v0
	v_mov_b32_e32 v0, 0x7fc0
	s_nop 0
	v_cndmask_b32_sdwa v5, v0, v1, vcc dst_sel:DWORD dst_unused:UNUSED_PAD src0_sel:DWORD src1_sel:WORD_1
	v_mul_lo_u32 v0, s8, v4
	v_ashrrev_i32_e32 v1, 31, v0
	v_lshl_add_u64 v[2:3], s[4:5], 0, v[0:1]
	s_cbranch_scc1 .LBB152_1619
; %bb.1542:
	s_and_b32 s9, 0xffff, s20
	s_mov_b64 s[16:17], -1
	s_mov_b64 s[6:7], 0
	s_cmp_gt_i32 s9, 25
	s_mov_b64 s[10:11], 0
	s_mov_b64 s[0:1], 0
	s_cbranch_scc0 .LBB152_1575
; %bb.1543:
	s_cmp_gt_i32 s9, 28
	s_cbranch_scc0 .LBB152_1558
; %bb.1544:
	s_cmp_gt_i32 s9, 43
	;; [unrolled: 3-line block ×3, first 2 shown]
	s_cbranch_scc0 .LBB152_1548
; %bb.1546:
	s_mov_b64 s[0:1], -1
	s_mov_b64 s[16:17], 0
	s_cmp_eq_u32 s9, 46
	s_cbranch_scc0 .LBB152_1548
; %bb.1547:
	v_and_b32_e32 v1, 0xffff, v5
	global_store_dword v[2:3], v1, off
	s_mov_b64 s[0:1], 0
	s_mov_b64 s[10:11], -1
.LBB152_1548:
	s_and_b64 vcc, exec, s[16:17]
	s_cbranch_vccz .LBB152_1553
; %bb.1549:
	s_cmp_eq_u32 s9, 44
	s_mov_b64 s[0:1], -1
	s_cbranch_scc0 .LBB152_1553
; %bb.1550:
	v_and_b32_e32 v4, 0xffff, v5
	v_bfe_u32 v1, v4, 7, 8
	s_movk_i32 s0, 0xff
	v_cmp_ne_u32_e32 vcc, s0, v1
	v_mov_b32_e32 v9, 0xff
	s_and_saveexec_b64 s[10:11], vcc
	s_cbranch_execz .LBB152_1552
; %bb.1551:
	v_lshlrev_b32_e32 v10, 16, v4
	s_mov_b32 s0, 0x3f0000
	v_lshrrev_b32_e32 v9, 7, v4
	v_and_b32_e32 v4, 64, v4
	v_and_or_b32 v1, v10, s0, v1
	v_cmp_ne_u32_e32 vcc, 0, v4
	v_cmp_ne_u32_e64 s[0:1], 0, v1
	s_and_b64 s[0:1], vcc, s[0:1]
	s_nop 0
	v_cndmask_b32_e64 v1, 0, 1, s[0:1]
	v_add_u32_e32 v9, v9, v1
.LBB152_1552:
	s_or_b64 exec, exec, s[10:11]
	s_mov_b64 s[0:1], 0
	s_mov_b64 s[10:11], -1
	global_store_byte v[2:3], v9, off
.LBB152_1553:
	s_mov_b64 s[16:17], 0
.LBB152_1554:
	s_and_b64 vcc, exec, s[16:17]
	s_cbranch_vccz .LBB152_1557
; %bb.1555:
	s_cmp_eq_u32 s9, 29
	s_mov_b64 s[0:1], -1
	s_cbranch_scc0 .LBB152_1557
; %bb.1556:
	v_lshlrev_b32_e32 v1, 16, v5
	v_trunc_f32_e32 v1, v1
	v_mul_f32_e32 v4, 0x2f800000, v1
	v_floor_f32_e32 v4, v4
	v_fmamk_f32 v1, v4, 0xcf800000, v1
	v_cvt_u32_f32_e32 v11, v4
	v_cvt_u32_f32_e32 v10, v1
	s_mov_b64 s[0:1], 0
	s_mov_b64 s[10:11], -1
	global_store_dwordx2 v[2:3], v[10:11], off
.LBB152_1557:
	s_mov_b64 s[16:17], 0
.LBB152_1558:
	s_and_b64 vcc, exec, s[16:17]
	s_cbranch_vccz .LBB152_1574
; %bb.1559:
	s_cmp_lt_i32 s9, 27
	s_mov_b64 s[10:11], -1
	s_cbranch_scc1 .LBB152_1565
; %bb.1560:
	s_cmp_gt_i32 s9, 27
	s_cbranch_scc0 .LBB152_1562
; %bb.1561:
	v_lshlrev_b32_e32 v1, 16, v5
	v_cvt_u32_f32_e32 v1, v1
	s_mov_b64 s[10:11], 0
	global_store_dword v[2:3], v1, off
.LBB152_1562:
	s_andn2_b64 vcc, exec, s[10:11]
	s_cbranch_vccnz .LBB152_1564
; %bb.1563:
	v_lshlrev_b32_e32 v1, 16, v5
	v_cvt_u32_f32_e32 v1, v1
	global_store_short v[2:3], v1, off
.LBB152_1564:
	s_mov_b64 s[10:11], 0
.LBB152_1565:
	s_andn2_b64 vcc, exec, s[10:11]
	s_cbranch_vccnz .LBB152_1573
; %bb.1566:
	v_lshlrev_b32_e32 v9, 16, v5
	v_and_b32_e32 v4, 0x7fffffff, v9
	s_mov_b32 s10, 0x43800000
	v_cmp_gt_u32_e32 vcc, s10, v4
	v_mov_b32_e32 v10, 0x80
	s_and_saveexec_b64 s[10:11], vcc
	s_cbranch_execz .LBB152_1572
; %bb.1567:
	s_mov_b32 s16, 0x3bffffff
	v_and_b32_e32 v1, 0xffff, v5
	v_cmp_lt_u32_e32 vcc, s16, v4
	s_mov_b64 s[16:17], 0
                                        ; implicit-def: $vgpr4
	s_and_saveexec_b64 s[18:19], vcc
	s_xor_b64 s[18:19], exec, s[18:19]
	s_cbranch_execz .LBB152_2021
; %bb.1568:
	v_bfe_u32 v4, v1, 4, 1
	s_mov_b32 s21, 0x487ffff
	v_add3_u32 v4, v9, v4, s21
	s_mov_b64 s[16:17], exec
	v_lshrrev_b32_e32 v4, 20, v4
                                        ; implicit-def: $vgpr9
	s_andn2_saveexec_b64 s[18:19], s[18:19]
	s_cbranch_execnz .LBB152_2022
.LBB152_1569:
	s_or_b64 exec, exec, s[18:19]
	v_mov_b32_e32 v10, 0
	s_and_saveexec_b64 s[18:19], s[16:17]
.LBB152_1570:
	v_lshrrev_b32_e32 v1, 8, v1
	s_movk_i32 s16, 0x80
	v_and_or_b32 v10, v1, s16, v4
.LBB152_1571:
	s_or_b64 exec, exec, s[18:19]
.LBB152_1572:
	s_or_b64 exec, exec, s[10:11]
	global_store_byte v[2:3], v10, off
.LBB152_1573:
	s_mov_b64 s[10:11], -1
.LBB152_1574:
	s_mov_b64 s[16:17], 0
.LBB152_1575:
	s_and_b64 vcc, exec, s[16:17]
	s_cbranch_vccz .LBB152_1615
; %bb.1576:
	s_cmp_gt_i32 s9, 22
	s_mov_b64 s[6:7], -1
	s_cbranch_scc0 .LBB152_1608
; %bb.1577:
	s_cmp_lt_i32 s9, 24
	s_cbranch_scc1 .LBB152_1597
; %bb.1578:
	s_cmp_gt_i32 s9, 24
	s_cbranch_scc0 .LBB152_1586
; %bb.1579:
	v_lshlrev_b32_e32 v9, 16, v5
	v_and_b32_e32 v4, 0x7fffffff, v9
	s_mov_b32 s6, 0x47800000
	v_cmp_gt_u32_e32 vcc, s6, v4
	v_mov_b32_e32 v10, 0x80
	s_and_saveexec_b64 s[6:7], vcc
	s_cbranch_execz .LBB152_1585
; %bb.1580:
	s_mov_b32 s10, 0x37ffffff
	v_and_b32_e32 v1, 0xffff, v5
	v_cmp_lt_u32_e32 vcc, s10, v4
	s_mov_b64 s[10:11], 0
                                        ; implicit-def: $vgpr4
	s_and_saveexec_b64 s[16:17], vcc
	s_xor_b64 s[16:17], exec, s[16:17]
	s_cbranch_execz .LBB152_2024
; %bb.1581:
	v_bfe_u32 v4, v1, 5, 1
	s_mov_b32 s18, 0x88fffff
	v_add3_u32 v4, v9, v4, s18
	s_mov_b64 s[10:11], exec
	v_lshrrev_b32_e32 v4, 21, v4
                                        ; implicit-def: $vgpr9
	s_andn2_saveexec_b64 s[16:17], s[16:17]
	s_cbranch_execnz .LBB152_2025
.LBB152_1582:
	s_or_b64 exec, exec, s[16:17]
	v_mov_b32_e32 v10, 0
	s_and_saveexec_b64 s[16:17], s[10:11]
.LBB152_1583:
	v_lshrrev_b32_e32 v1, 8, v1
	s_movk_i32 s10, 0x80
	v_and_or_b32 v10, v1, s10, v4
.LBB152_1584:
	s_or_b64 exec, exec, s[16:17]
.LBB152_1585:
	s_or_b64 exec, exec, s[6:7]
	s_mov_b64 s[6:7], 0
	global_store_byte v[2:3], v10, off
.LBB152_1586:
	s_and_b64 vcc, exec, s[6:7]
	s_cbranch_vccz .LBB152_1596
; %bb.1587:
	v_lshlrev_b32_e32 v9, 16, v5
	v_and_b32_e32 v10, 0x7fffffff, v9
	s_mov_b32 s6, 0x43f00000
	v_and_b32_e32 v1, 0xffff, v5
	v_cmp_gt_u32_e32 vcc, s6, v10
                                        ; implicit-def: $vgpr4
	s_and_saveexec_b64 s[6:7], vcc
	s_xor_b64 s[6:7], exec, s[6:7]
	s_cbranch_execz .LBB152_1593
; %bb.1588:
	s_mov_b32 s10, 0x3c7fffff
	v_cmp_lt_u32_e32 vcc, s10, v10
                                        ; implicit-def: $vgpr4
	s_and_saveexec_b64 s[10:11], vcc
	s_xor_b64 s[10:11], exec, s[10:11]
; %bb.1589:
	v_bfe_u32 v4, v1, 4, 1
	s_mov_b32 s16, 0x407ffff
	v_add3_u32 v4, v9, v4, s16
	v_lshrrev_b32_e32 v9, 20, v4
	v_and_b32_e32 v4, 0xff00000, v4
	s_mov_b32 s16, 0x7f00000
	v_mov_b32_e32 v10, 0x7e
	v_cmp_ne_u32_e32 vcc, s16, v4
	s_nop 1
	v_cndmask_b32_e32 v4, v10, v9, vcc
                                        ; implicit-def: $vgpr9
; %bb.1590:
	s_andn2_saveexec_b64 s[10:11], s[10:11]
; %bb.1591:
	s_mov_b32 s16, 0x46800000
	v_add_f32_e64 v4, |v9|, s16
; %bb.1592:
	s_or_b64 exec, exec, s[10:11]
                                        ; implicit-def: $vgpr10
.LBB152_1593:
	s_andn2_saveexec_b64 s[6:7], s[6:7]
; %bb.1594:
	s_mov_b32 s10, 0x7f800000
	v_mov_b32_e32 v4, 0x7e
	v_mov_b32_e32 v9, 0x7f
	v_cmp_lt_u32_e32 vcc, s10, v10
	s_nop 1
	v_cndmask_b32_e32 v4, v4, v9, vcc
; %bb.1595:
	s_or_b64 exec, exec, s[6:7]
	v_lshrrev_b32_e32 v1, 8, v1
	s_movk_i32 s6, 0x80
	v_and_or_b32 v1, v1, s6, v4
	global_store_byte v[2:3], v1, off
.LBB152_1596:
	s_mov_b64 s[6:7], 0
.LBB152_1597:
	s_andn2_b64 vcc, exec, s[6:7]
	s_cbranch_vccnz .LBB152_1607
; %bb.1598:
	v_lshlrev_b32_e32 v9, 16, v5
	v_and_b32_e32 v10, 0x7fffffff, v9
	s_mov_b32 s6, 0x47800000
	v_and_b32_e32 v1, 0xffff, v5
	v_cmp_gt_u32_e32 vcc, s6, v10
                                        ; implicit-def: $vgpr4
	s_and_saveexec_b64 s[6:7], vcc
	s_xor_b64 s[6:7], exec, s[6:7]
	s_cbranch_execz .LBB152_1604
; %bb.1599:
	s_mov_b32 s10, 0x387fffff
	v_cmp_lt_u32_e32 vcc, s10, v10
                                        ; implicit-def: $vgpr4
	s_and_saveexec_b64 s[10:11], vcc
	s_xor_b64 s[10:11], exec, s[10:11]
; %bb.1600:
	v_bfe_u32 v4, v1, 5, 1
	s_mov_b32 s16, 0x80fffff
	v_add3_u32 v4, v9, v4, s16
	v_lshrrev_b32_e32 v4, 21, v4
                                        ; implicit-def: $vgpr9
; %bb.1601:
	s_andn2_saveexec_b64 s[10:11], s[10:11]
; %bb.1602:
	s_mov_b32 s16, 0x43000000
	v_add_f32_e64 v4, |v9|, s16
; %bb.1603:
	s_or_b64 exec, exec, s[10:11]
                                        ; implicit-def: $vgpr10
.LBB152_1604:
	s_andn2_saveexec_b64 s[6:7], s[6:7]
; %bb.1605:
	s_mov_b32 s10, 0x7f800000
	v_mov_b32_e32 v4, 0x7c
	v_mov_b32_e32 v9, 0x7f
	v_cmp_lt_u32_e32 vcc, s10, v10
	s_nop 1
	v_cndmask_b32_e32 v4, v4, v9, vcc
; %bb.1606:
	s_or_b64 exec, exec, s[6:7]
	v_lshrrev_b32_e32 v1, 8, v1
	s_movk_i32 s6, 0x80
	v_and_or_b32 v1, v1, s6, v4
	global_store_byte v[2:3], v1, off
.LBB152_1607:
	s_mov_b64 s[6:7], 0
	s_mov_b64 s[10:11], -1
.LBB152_1608:
	s_andn2_b64 vcc, exec, s[6:7]
	s_mov_b64 s[6:7], 0
	s_cbranch_vccnz .LBB152_1615
; %bb.1609:
	s_cmp_gt_i32 s9, 14
	s_mov_b64 s[16:17], -1
	s_cbranch_scc0 .LBB152_1613
; %bb.1610:
	s_cmp_eq_u32 s9, 15
	s_mov_b64 s[0:1], -1
	s_cbranch_scc0 .LBB152_1612
; %bb.1611:
	global_store_short v[2:3], v5, off
	s_mov_b64 s[0:1], 0
	s_mov_b64 s[10:11], -1
.LBB152_1612:
	s_mov_b64 s[16:17], 0
.LBB152_1613:
	s_and_b64 vcc, exec, s[16:17]
	s_cbranch_vccz .LBB152_1615
; %bb.1614:
	s_cmp_lg_u32 s9, 11
	s_mov_b64 s[6:7], -1
	s_cselect_b64 s[0:1], -1, 0
.LBB152_1615:
	s_and_b64 vcc, exec, s[0:1]
	s_cbranch_vccnz .LBB152_2023
; %bb.1616:
	s_andn2_b64 vcc, exec, s[6:7]
	s_cbranch_vccnz .LBB152_1618
.LBB152_1617:
	v_and_b32_e32 v1, 0x7fff, v5
	v_cmp_ne_u16_e32 vcc, 0, v1
	s_mov_b64 s[10:11], -1
	s_nop 0
	v_cndmask_b32_e64 v1, 0, 1, vcc
	global_store_byte v[2:3], v1, off
.LBB152_1618:
	s_mov_b64 s[0:1], 0
	s_branch .LBB152_1620
.LBB152_1619:
	s_mov_b64 s[0:1], -1
	s_mov_b64 s[10:11], 0
.LBB152_1620:
	s_and_b64 vcc, exec, s[0:1]
	s_cbranch_vccz .LBB152_1659
; %bb.1621:
	s_and_b32 s6, 0xffff, s20
	s_cmp_lt_i32 s6, 5
	s_mov_b64 s[0:1], -1
	s_cbranch_scc1 .LBB152_1642
; %bb.1622:
	s_cmp_lt_i32 s6, 8
	s_cbranch_scc1 .LBB152_1632
; %bb.1623:
	s_cmp_lt_i32 s6, 9
	s_cbranch_scc1 .LBB152_1629
; %bb.1624:
	s_cmp_gt_i32 s6, 9
	s_cbranch_scc0 .LBB152_1626
; %bb.1625:
	v_lshlrev_b32_e32 v1, 16, v5
	v_mov_b32_e32 v12, 0
	v_cvt_f64_f32_e32 v[10:11], v1
	v_mov_b32_e32 v13, v12
	global_store_dwordx4 v[2:3], v[10:13], off
	s_mov_b64 s[0:1], 0
.LBB152_1626:
	s_andn2_b64 vcc, exec, s[0:1]
	s_cbranch_vccnz .LBB152_1628
; %bb.1627:
	v_lshlrev_b32_e32 v10, 16, v5
	v_mov_b32_e32 v11, 0
	global_store_dwordx2 v[2:3], v[10:11], off
.LBB152_1628:
	s_mov_b64 s[0:1], 0
.LBB152_1629:
	s_andn2_b64 vcc, exec, s[0:1]
	s_cbranch_vccnz .LBB152_1631
; %bb.1630:
	v_lshlrev_b32_e32 v1, 16, v5
	v_cvt_f16_f32_e32 v1, v1
	global_store_dword v[2:3], v1, off
.LBB152_1631:
	s_mov_b64 s[0:1], 0
.LBB152_1632:
	s_andn2_b64 vcc, exec, s[0:1]
	s_cbranch_vccnz .LBB152_1641
; %bb.1633:
	s_cmp_lt_i32 s6, 6
	s_mov_b64 s[0:1], -1
	s_cbranch_scc1 .LBB152_1639
; %bb.1634:
	s_cmp_gt_i32 s6, 6
	s_cbranch_scc0 .LBB152_1636
; %bb.1635:
	v_lshlrev_b32_e32 v1, 16, v5
	v_cvt_f64_f32_e32 v[10:11], v1
	global_store_dwordx2 v[2:3], v[10:11], off
	s_mov_b64 s[0:1], 0
.LBB152_1636:
	s_andn2_b64 vcc, exec, s[0:1]
	s_cbranch_vccnz .LBB152_1638
; %bb.1637:
	v_lshlrev_b32_e32 v1, 16, v5
	global_store_dword v[2:3], v1, off
.LBB152_1638:
	s_mov_b64 s[0:1], 0
.LBB152_1639:
	s_andn2_b64 vcc, exec, s[0:1]
	s_cbranch_vccnz .LBB152_1641
; %bb.1640:
	v_lshlrev_b32_e32 v1, 16, v5
	v_cvt_f16_f32_e32 v1, v1
	global_store_short v[2:3], v1, off
.LBB152_1641:
	s_mov_b64 s[0:1], 0
.LBB152_1642:
	s_andn2_b64 vcc, exec, s[0:1]
	s_cbranch_vccnz .LBB152_1658
; %bb.1643:
	s_cmp_lt_i32 s6, 2
	s_mov_b64 s[0:1], -1
	s_cbranch_scc1 .LBB152_1653
; %bb.1644:
	s_cmp_lt_i32 s6, 3
	s_cbranch_scc1 .LBB152_1650
; %bb.1645:
	s_cmp_gt_i32 s6, 3
	s_cbranch_scc0 .LBB152_1647
; %bb.1646:
	v_lshlrev_b32_e32 v1, 16, v5
	v_trunc_f32_e32 v1, v1
	s_mov_b32 s0, 0x2f800000
	v_mul_f32_e64 v4, |v1|, s0
	v_floor_f32_e32 v4, v4
	s_mov_b32 s0, 0xcf800000
	v_cvt_u32_f32_e32 v9, v4
	v_fma_f32 v4, v4, s0, |v1|
	v_cvt_u32_f32_e32 v4, v4
	v_ashrrev_i32_e32 v1, 31, v1
	v_xor_b32_e32 v9, v9, v1
	s_mov_b64 s[0:1], 0
	v_xor_b32_e32 v4, v4, v1
	v_sub_co_u32_e32 v10, vcc, v4, v1
	s_nop 1
	v_subb_co_u32_e32 v11, vcc, v9, v1, vcc
	global_store_dwordx2 v[2:3], v[10:11], off
.LBB152_1647:
	s_andn2_b64 vcc, exec, s[0:1]
	s_cbranch_vccnz .LBB152_1649
; %bb.1648:
	v_lshlrev_b32_e32 v1, 16, v5
	v_cvt_i32_f32_e32 v1, v1
	global_store_dword v[2:3], v1, off
.LBB152_1649:
	s_mov_b64 s[0:1], 0
.LBB152_1650:
	s_andn2_b64 vcc, exec, s[0:1]
	s_cbranch_vccnz .LBB152_1652
; %bb.1651:
	v_lshlrev_b32_e32 v1, 16, v5
	v_cvt_i32_f32_e32 v1, v1
	global_store_short v[2:3], v1, off
.LBB152_1652:
	s_mov_b64 s[0:1], 0
.LBB152_1653:
	s_andn2_b64 vcc, exec, s[0:1]
	s_cbranch_vccnz .LBB152_1658
; %bb.1654:
	s_mov_b64 s[0:1], -1
	s_cmp_gt_i32 s6, 0
	v_lshlrev_b32_e32 v1, 16, v5
	s_cbranch_scc0 .LBB152_1656
; %bb.1655:
	v_cvt_i32_f32_e32 v4, v1
	s_mov_b64 s[0:1], 0
	global_store_byte v[2:3], v4, off
.LBB152_1656:
	s_andn2_b64 vcc, exec, s[0:1]
	s_cbranch_vccnz .LBB152_1658
; %bb.1657:
	v_trunc_f32_e32 v1, v1
	s_mov_b32 s0, 0x2f800000
	v_mul_f32_e64 v4, |v1|, s0
	v_floor_f32_e32 v4, v4
	s_mov_b32 s0, 0xcf800000
	v_fma_f32 v4, v4, s0, |v1|
	v_cvt_u32_f32_e32 v4, v4
	v_ashrrev_i32_e32 v1, 31, v1
	v_xor_b32_e32 v4, v4, v1
	v_sub_u32_e32 v1, v4, v1
	global_store_byte v[2:3], v1, off
.LBB152_1658:
	s_mov_b64 s[10:11], -1
.LBB152_1659:
	s_andn2_b64 vcc, exec, s[10:11]
	s_cbranch_vccnz .LBB152_1974
; %bb.1660:
	v_lshlrev_b32_e32 v1, 16, v6
	v_mul_f32_e32 v2, 0x3fb8aa3b, v1
	v_rndne_f32_e32 v2, v2
	v_fmamk_f32 v3, v2, 0xbf317218, v1
	v_fmamk_f32 v3, v2, 0x3102e308, v3
	v_mov_b32_e32 v4, 0x3ab69700
	v_fmac_f32_e32 v4, 0x395133b1, v3
	v_fmaak_f32 v4, v3, v4, 0x3c0887f9
	v_fmaak_f32 v4, v3, v4, 0x3d2aaa81
	v_cvt_i32_f32_e32 v5, v2
	v_fmaak_f32 v4, v3, v4, 0x3e2aaaab
	v_fma_f32 v4, v3, v4, 0.5
	v_mul_f32_e32 v4, v3, v4
	s_mov_b32 s0, 0x43000000
	v_fmac_f32_e32 v3, v3, v4
	v_ldexp_f32 v4, 1.0, v5
	v_mov_b32_e32 v5, 0x7f000000
	v_cmp_eq_f32_e32 vcc, s0, v2
	s_mov_b32 s0, 0x42b17217
	s_lshl_b32 s18, s8, 7
	v_cndmask_b32_e32 v2, v4, v5, vcc
	v_add_f32_e32 v4, -1.0, v2
	v_fmac_f32_e32 v4, v2, v3
	v_add_f32_e32 v2, v4, v4
	v_cndmask_b32_e32 v2, v4, v2, vcc
	v_mov_b32_e32 v3, 0x7f800000
	v_cmp_nlt_f32_e32 vcc, s0, v1
	s_mov_b32 s0, 0xc1880000
	v_add_u32_e32 v0, s18, v0
	v_cndmask_b32_e32 v2, v3, v2, vcc
	v_cmp_ngt_f32_e32 vcc, s0, v1
	s_movk_i32 s0, 0x7fff
	s_cmp_lt_i32 s20, 11
	v_cndmask_b32_e32 v1, -1.0, v2, vcc
	v_bfe_u32 v2, v1, 16, 1
	v_add3_u32 v2, v1, v2, s0
	v_cmp_o_f32_e32 vcc, v1, v1
	v_mov_b32_e32 v1, 0x7fc0
	s_nop 0
	v_cndmask_b32_sdwa v4, v1, v2, vcc dst_sel:DWORD dst_unused:UNUSED_PAD src0_sel:DWORD src1_sel:WORD_1
	v_ashrrev_i32_e32 v1, 31, v0
	v_lshl_add_u64 v[2:3], s[4:5], 0, v[0:1]
	s_cbranch_scc1 .LBB152_1738
; %bb.1661:
	s_and_b32 s19, 0xffff, s20
	s_mov_b64 s[10:11], -1
	s_mov_b64 s[6:7], 0
	s_cmp_gt_i32 s19, 25
	s_mov_b64 s[8:9], 0
	s_mov_b64 s[0:1], 0
	s_cbranch_scc0 .LBB152_1694
; %bb.1662:
	s_cmp_gt_i32 s19, 28
	s_cbranch_scc0 .LBB152_1677
; %bb.1663:
	s_cmp_gt_i32 s19, 43
	;; [unrolled: 3-line block ×3, first 2 shown]
	s_cbranch_scc0 .LBB152_1667
; %bb.1665:
	s_mov_b64 s[0:1], -1
	s_mov_b64 s[10:11], 0
	s_cmp_eq_u32 s19, 46
	s_cbranch_scc0 .LBB152_1667
; %bb.1666:
	v_and_b32_e32 v1, 0xffff, v4
	global_store_dword v[2:3], v1, off
	s_mov_b64 s[0:1], 0
	s_mov_b64 s[8:9], -1
.LBB152_1667:
	s_and_b64 vcc, exec, s[10:11]
	s_cbranch_vccz .LBB152_1672
; %bb.1668:
	s_cmp_eq_u32 s19, 44
	s_mov_b64 s[0:1], -1
	s_cbranch_scc0 .LBB152_1672
; %bb.1669:
	v_and_b32_e32 v5, 0xffff, v4
	v_bfe_u32 v1, v5, 7, 8
	s_movk_i32 s0, 0xff
	v_cmp_ne_u32_e32 vcc, s0, v1
	v_mov_b32_e32 v6, 0xff
	s_and_saveexec_b64 s[8:9], vcc
	s_cbranch_execz .LBB152_1671
; %bb.1670:
	v_lshlrev_b32_e32 v9, 16, v5
	s_mov_b32 s0, 0x3f0000
	v_lshrrev_b32_e32 v6, 7, v5
	v_and_b32_e32 v5, 64, v5
	v_and_or_b32 v1, v9, s0, v1
	v_cmp_ne_u32_e32 vcc, 0, v5
	v_cmp_ne_u32_e64 s[0:1], 0, v1
	s_and_b64 s[0:1], vcc, s[0:1]
	s_nop 0
	v_cndmask_b32_e64 v1, 0, 1, s[0:1]
	v_add_u32_e32 v6, v6, v1
.LBB152_1671:
	s_or_b64 exec, exec, s[8:9]
	s_mov_b64 s[0:1], 0
	s_mov_b64 s[8:9], -1
	global_store_byte v[2:3], v6, off
.LBB152_1672:
	s_mov_b64 s[10:11], 0
.LBB152_1673:
	s_and_b64 vcc, exec, s[10:11]
	s_cbranch_vccz .LBB152_1676
; %bb.1674:
	s_cmp_eq_u32 s19, 29
	s_mov_b64 s[0:1], -1
	s_cbranch_scc0 .LBB152_1676
; %bb.1675:
	v_lshlrev_b32_e32 v1, 16, v4
	v_trunc_f32_e32 v1, v1
	v_mul_f32_e32 v5, 0x2f800000, v1
	v_floor_f32_e32 v5, v5
	v_fmamk_f32 v1, v5, 0xcf800000, v1
	v_cvt_u32_f32_e32 v11, v5
	v_cvt_u32_f32_e32 v10, v1
	s_mov_b64 s[0:1], 0
	s_mov_b64 s[8:9], -1
	global_store_dwordx2 v[2:3], v[10:11], off
.LBB152_1676:
	s_mov_b64 s[10:11], 0
.LBB152_1677:
	s_and_b64 vcc, exec, s[10:11]
	s_cbranch_vccz .LBB152_1693
; %bb.1678:
	s_cmp_lt_i32 s19, 27
	s_mov_b64 s[8:9], -1
	s_cbranch_scc1 .LBB152_1684
; %bb.1679:
	s_cmp_gt_i32 s19, 27
	s_cbranch_scc0 .LBB152_1681
; %bb.1680:
	v_lshlrev_b32_e32 v1, 16, v4
	v_cvt_u32_f32_e32 v1, v1
	s_mov_b64 s[8:9], 0
	global_store_dword v[2:3], v1, off
.LBB152_1681:
	s_andn2_b64 vcc, exec, s[8:9]
	s_cbranch_vccnz .LBB152_1683
; %bb.1682:
	v_lshlrev_b32_e32 v1, 16, v4
	v_cvt_u32_f32_e32 v1, v1
	global_store_short v[2:3], v1, off
.LBB152_1683:
	s_mov_b64 s[8:9], 0
.LBB152_1684:
	s_andn2_b64 vcc, exec, s[8:9]
	s_cbranch_vccnz .LBB152_1692
; %bb.1685:
	v_lshlrev_b32_e32 v6, 16, v4
	v_and_b32_e32 v5, 0x7fffffff, v6
	s_mov_b32 s8, 0x43800000
	v_cmp_gt_u32_e32 vcc, s8, v5
	v_mov_b32_e32 v9, 0x80
	s_and_saveexec_b64 s[8:9], vcc
	s_cbranch_execz .LBB152_1691
; %bb.1686:
	s_mov_b32 s10, 0x3bffffff
	v_and_b32_e32 v1, 0xffff, v4
	v_cmp_lt_u32_e32 vcc, s10, v5
	s_mov_b64 s[10:11], 0
                                        ; implicit-def: $vgpr5
	s_and_saveexec_b64 s[16:17], vcc
	s_xor_b64 s[16:17], exec, s[16:17]
	s_cbranch_execz .LBB152_2026
; %bb.1687:
	v_bfe_u32 v5, v1, 4, 1
	s_mov_b32 s21, 0x487ffff
	v_add3_u32 v5, v6, v5, s21
	s_mov_b64 s[10:11], exec
	v_lshrrev_b32_e32 v5, 20, v5
                                        ; implicit-def: $vgpr6
	s_andn2_saveexec_b64 s[16:17], s[16:17]
	s_cbranch_execnz .LBB152_2027
.LBB152_1688:
	s_or_b64 exec, exec, s[16:17]
	v_mov_b32_e32 v9, 0
	s_and_saveexec_b64 s[16:17], s[10:11]
.LBB152_1689:
	v_lshrrev_b32_e32 v1, 8, v1
	s_movk_i32 s10, 0x80
	v_and_or_b32 v9, v1, s10, v5
.LBB152_1690:
	s_or_b64 exec, exec, s[16:17]
.LBB152_1691:
	s_or_b64 exec, exec, s[8:9]
	global_store_byte v[2:3], v9, off
.LBB152_1692:
	s_mov_b64 s[8:9], -1
.LBB152_1693:
	s_mov_b64 s[10:11], 0
.LBB152_1694:
	s_and_b64 vcc, exec, s[10:11]
	s_cbranch_vccz .LBB152_1734
; %bb.1695:
	s_cmp_gt_i32 s19, 22
	s_mov_b64 s[6:7], -1
	s_cbranch_scc0 .LBB152_1727
; %bb.1696:
	s_cmp_lt_i32 s19, 24
	s_cbranch_scc1 .LBB152_1716
; %bb.1697:
	s_cmp_gt_i32 s19, 24
	s_cbranch_scc0 .LBB152_1705
; %bb.1698:
	v_lshlrev_b32_e32 v6, 16, v4
	v_and_b32_e32 v5, 0x7fffffff, v6
	s_mov_b32 s6, 0x47800000
	v_cmp_gt_u32_e32 vcc, s6, v5
	v_mov_b32_e32 v9, 0x80
	s_and_saveexec_b64 s[6:7], vcc
	s_cbranch_execz .LBB152_1704
; %bb.1699:
	s_mov_b32 s8, 0x37ffffff
	v_and_b32_e32 v1, 0xffff, v4
	v_cmp_lt_u32_e32 vcc, s8, v5
	s_mov_b64 s[8:9], 0
                                        ; implicit-def: $vgpr5
	s_and_saveexec_b64 s[10:11], vcc
	s_xor_b64 s[10:11], exec, s[10:11]
	s_cbranch_execz .LBB152_2029
; %bb.1700:
	v_bfe_u32 v5, v1, 5, 1
	s_mov_b32 s16, 0x88fffff
	v_add3_u32 v5, v6, v5, s16
	s_mov_b64 s[8:9], exec
	v_lshrrev_b32_e32 v5, 21, v5
                                        ; implicit-def: $vgpr6
	s_andn2_saveexec_b64 s[10:11], s[10:11]
	s_cbranch_execnz .LBB152_2030
.LBB152_1701:
	s_or_b64 exec, exec, s[10:11]
	v_mov_b32_e32 v9, 0
	s_and_saveexec_b64 s[10:11], s[8:9]
.LBB152_1702:
	v_lshrrev_b32_e32 v1, 8, v1
	s_movk_i32 s8, 0x80
	v_and_or_b32 v9, v1, s8, v5
.LBB152_1703:
	s_or_b64 exec, exec, s[10:11]
.LBB152_1704:
	s_or_b64 exec, exec, s[6:7]
	s_mov_b64 s[6:7], 0
	global_store_byte v[2:3], v9, off
.LBB152_1705:
	s_and_b64 vcc, exec, s[6:7]
	s_cbranch_vccz .LBB152_1715
; %bb.1706:
	v_lshlrev_b32_e32 v6, 16, v4
	v_and_b32_e32 v9, 0x7fffffff, v6
	s_mov_b32 s6, 0x43f00000
	v_and_b32_e32 v1, 0xffff, v4
	v_cmp_gt_u32_e32 vcc, s6, v9
                                        ; implicit-def: $vgpr5
	s_and_saveexec_b64 s[6:7], vcc
	s_xor_b64 s[6:7], exec, s[6:7]
	s_cbranch_execz .LBB152_1712
; %bb.1707:
	s_mov_b32 s8, 0x3c7fffff
	v_cmp_lt_u32_e32 vcc, s8, v9
                                        ; implicit-def: $vgpr5
	s_and_saveexec_b64 s[8:9], vcc
	s_xor_b64 s[8:9], exec, s[8:9]
; %bb.1708:
	v_bfe_u32 v5, v1, 4, 1
	s_mov_b32 s10, 0x407ffff
	v_add3_u32 v5, v6, v5, s10
	v_lshrrev_b32_e32 v6, 20, v5
	v_and_b32_e32 v5, 0xff00000, v5
	s_mov_b32 s10, 0x7f00000
	v_mov_b32_e32 v9, 0x7e
	v_cmp_ne_u32_e32 vcc, s10, v5
	s_nop 1
	v_cndmask_b32_e32 v5, v9, v6, vcc
                                        ; implicit-def: $vgpr6
; %bb.1709:
	s_andn2_saveexec_b64 s[8:9], s[8:9]
; %bb.1710:
	s_mov_b32 s10, 0x46800000
	v_add_f32_e64 v5, |v6|, s10
; %bb.1711:
	s_or_b64 exec, exec, s[8:9]
                                        ; implicit-def: $vgpr9
.LBB152_1712:
	s_andn2_saveexec_b64 s[6:7], s[6:7]
; %bb.1713:
	s_mov_b32 s8, 0x7f800000
	v_mov_b32_e32 v5, 0x7e
	v_mov_b32_e32 v6, 0x7f
	v_cmp_lt_u32_e32 vcc, s8, v9
	s_nop 1
	v_cndmask_b32_e32 v5, v5, v6, vcc
; %bb.1714:
	s_or_b64 exec, exec, s[6:7]
	v_lshrrev_b32_e32 v1, 8, v1
	s_movk_i32 s6, 0x80
	v_and_or_b32 v1, v1, s6, v5
	global_store_byte v[2:3], v1, off
.LBB152_1715:
	s_mov_b64 s[6:7], 0
.LBB152_1716:
	s_andn2_b64 vcc, exec, s[6:7]
	s_cbranch_vccnz .LBB152_1726
; %bb.1717:
	v_lshlrev_b32_e32 v6, 16, v4
	v_and_b32_e32 v9, 0x7fffffff, v6
	s_mov_b32 s6, 0x47800000
	v_and_b32_e32 v1, 0xffff, v4
	v_cmp_gt_u32_e32 vcc, s6, v9
                                        ; implicit-def: $vgpr5
	s_and_saveexec_b64 s[6:7], vcc
	s_xor_b64 s[6:7], exec, s[6:7]
	s_cbranch_execz .LBB152_1723
; %bb.1718:
	s_mov_b32 s8, 0x387fffff
	v_cmp_lt_u32_e32 vcc, s8, v9
                                        ; implicit-def: $vgpr5
	s_and_saveexec_b64 s[8:9], vcc
	s_xor_b64 s[8:9], exec, s[8:9]
; %bb.1719:
	v_bfe_u32 v5, v1, 5, 1
	s_mov_b32 s10, 0x80fffff
	v_add3_u32 v5, v6, v5, s10
	v_lshrrev_b32_e32 v5, 21, v5
                                        ; implicit-def: $vgpr6
; %bb.1720:
	s_andn2_saveexec_b64 s[8:9], s[8:9]
; %bb.1721:
	s_mov_b32 s10, 0x43000000
	v_add_f32_e64 v5, |v6|, s10
; %bb.1722:
	s_or_b64 exec, exec, s[8:9]
                                        ; implicit-def: $vgpr9
.LBB152_1723:
	s_andn2_saveexec_b64 s[6:7], s[6:7]
; %bb.1724:
	s_mov_b32 s8, 0x7f800000
	v_mov_b32_e32 v5, 0x7c
	v_mov_b32_e32 v6, 0x7f
	v_cmp_lt_u32_e32 vcc, s8, v9
	s_nop 1
	v_cndmask_b32_e32 v5, v5, v6, vcc
; %bb.1725:
	s_or_b64 exec, exec, s[6:7]
	v_lshrrev_b32_e32 v1, 8, v1
	s_movk_i32 s6, 0x80
	v_and_or_b32 v1, v1, s6, v5
	global_store_byte v[2:3], v1, off
.LBB152_1726:
	s_mov_b64 s[6:7], 0
	s_mov_b64 s[8:9], -1
.LBB152_1727:
	s_andn2_b64 vcc, exec, s[6:7]
	s_mov_b64 s[6:7], 0
	s_cbranch_vccnz .LBB152_1734
; %bb.1728:
	s_cmp_gt_i32 s19, 14
	s_mov_b64 s[10:11], -1
	s_cbranch_scc0 .LBB152_1732
; %bb.1729:
	s_cmp_eq_u32 s19, 15
	s_mov_b64 s[0:1], -1
	s_cbranch_scc0 .LBB152_1731
; %bb.1730:
	global_store_short v[2:3], v4, off
	s_mov_b64 s[0:1], 0
	s_mov_b64 s[8:9], -1
.LBB152_1731:
	s_mov_b64 s[10:11], 0
.LBB152_1732:
	s_and_b64 vcc, exec, s[10:11]
	s_cbranch_vccz .LBB152_1734
; %bb.1733:
	s_cmp_lg_u32 s19, 11
	s_mov_b64 s[6:7], -1
	s_cselect_b64 s[0:1], -1, 0
.LBB152_1734:
	s_and_b64 vcc, exec, s[0:1]
	s_cbranch_vccnz .LBB152_2028
; %bb.1735:
	s_andn2_b64 vcc, exec, s[6:7]
	s_cbranch_vccnz .LBB152_1737
.LBB152_1736:
	v_and_b32_e32 v1, 0x7fff, v4
	v_cmp_ne_u16_e32 vcc, 0, v1
	s_mov_b64 s[8:9], -1
	s_nop 0
	v_cndmask_b32_e64 v1, 0, 1, vcc
	global_store_byte v[2:3], v1, off
.LBB152_1737:
	s_mov_b64 s[0:1], 0
	s_branch .LBB152_1739
.LBB152_1738:
	s_mov_b64 s[0:1], -1
	s_mov_b64 s[8:9], 0
.LBB152_1739:
	s_and_b64 vcc, exec, s[0:1]
	s_cbranch_vccz .LBB152_1778
; %bb.1740:
	s_and_b32 s6, 0xffff, s20
	s_cmp_lt_i32 s6, 5
	s_mov_b64 s[0:1], -1
	s_cbranch_scc1 .LBB152_1761
; %bb.1741:
	s_cmp_lt_i32 s6, 8
	s_cbranch_scc1 .LBB152_1751
; %bb.1742:
	s_cmp_lt_i32 s6, 9
	s_cbranch_scc1 .LBB152_1748
; %bb.1743:
	s_cmp_gt_i32 s6, 9
	s_cbranch_scc0 .LBB152_1745
; %bb.1744:
	v_lshlrev_b32_e32 v1, 16, v4
	v_mov_b32_e32 v12, 0
	v_cvt_f64_f32_e32 v[10:11], v1
	v_mov_b32_e32 v13, v12
	global_store_dwordx4 v[2:3], v[10:13], off
	s_mov_b64 s[0:1], 0
.LBB152_1745:
	s_andn2_b64 vcc, exec, s[0:1]
	s_cbranch_vccnz .LBB152_1747
; %bb.1746:
	v_lshlrev_b32_e32 v10, 16, v4
	v_mov_b32_e32 v11, 0
	global_store_dwordx2 v[2:3], v[10:11], off
.LBB152_1747:
	s_mov_b64 s[0:1], 0
.LBB152_1748:
	s_andn2_b64 vcc, exec, s[0:1]
	s_cbranch_vccnz .LBB152_1750
; %bb.1749:
	v_lshlrev_b32_e32 v1, 16, v4
	v_cvt_f16_f32_e32 v1, v1
	global_store_dword v[2:3], v1, off
.LBB152_1750:
	s_mov_b64 s[0:1], 0
.LBB152_1751:
	s_andn2_b64 vcc, exec, s[0:1]
	s_cbranch_vccnz .LBB152_1760
; %bb.1752:
	s_cmp_lt_i32 s6, 6
	s_mov_b64 s[0:1], -1
	s_cbranch_scc1 .LBB152_1758
; %bb.1753:
	s_cmp_gt_i32 s6, 6
	s_cbranch_scc0 .LBB152_1755
; %bb.1754:
	v_lshlrev_b32_e32 v1, 16, v4
	v_cvt_f64_f32_e32 v[10:11], v1
	global_store_dwordx2 v[2:3], v[10:11], off
	s_mov_b64 s[0:1], 0
.LBB152_1755:
	s_andn2_b64 vcc, exec, s[0:1]
	s_cbranch_vccnz .LBB152_1757
; %bb.1756:
	v_lshlrev_b32_e32 v1, 16, v4
	global_store_dword v[2:3], v1, off
.LBB152_1757:
	s_mov_b64 s[0:1], 0
.LBB152_1758:
	s_andn2_b64 vcc, exec, s[0:1]
	s_cbranch_vccnz .LBB152_1760
; %bb.1759:
	v_lshlrev_b32_e32 v1, 16, v4
	v_cvt_f16_f32_e32 v1, v1
	global_store_short v[2:3], v1, off
.LBB152_1760:
	s_mov_b64 s[0:1], 0
.LBB152_1761:
	s_andn2_b64 vcc, exec, s[0:1]
	s_cbranch_vccnz .LBB152_1777
; %bb.1762:
	s_cmp_lt_i32 s6, 2
	s_mov_b64 s[0:1], -1
	s_cbranch_scc1 .LBB152_1772
; %bb.1763:
	s_cmp_lt_i32 s6, 3
	s_cbranch_scc1 .LBB152_1769
; %bb.1764:
	s_cmp_gt_i32 s6, 3
	s_cbranch_scc0 .LBB152_1766
; %bb.1765:
	v_lshlrev_b32_e32 v1, 16, v4
	v_trunc_f32_e32 v1, v1
	s_mov_b32 s0, 0x2f800000
	v_mul_f32_e64 v5, |v1|, s0
	v_floor_f32_e32 v5, v5
	s_mov_b32 s0, 0xcf800000
	v_cvt_u32_f32_e32 v6, v5
	v_fma_f32 v5, v5, s0, |v1|
	v_cvt_u32_f32_e32 v5, v5
	v_ashrrev_i32_e32 v1, 31, v1
	v_xor_b32_e32 v6, v6, v1
	s_mov_b64 s[0:1], 0
	v_xor_b32_e32 v5, v5, v1
	v_sub_co_u32_e32 v10, vcc, v5, v1
	s_nop 1
	v_subb_co_u32_e32 v11, vcc, v6, v1, vcc
	global_store_dwordx2 v[2:3], v[10:11], off
.LBB152_1766:
	s_andn2_b64 vcc, exec, s[0:1]
	s_cbranch_vccnz .LBB152_1768
; %bb.1767:
	v_lshlrev_b32_e32 v1, 16, v4
	v_cvt_i32_f32_e32 v1, v1
	global_store_dword v[2:3], v1, off
.LBB152_1768:
	s_mov_b64 s[0:1], 0
.LBB152_1769:
	s_andn2_b64 vcc, exec, s[0:1]
	s_cbranch_vccnz .LBB152_1771
; %bb.1770:
	v_lshlrev_b32_e32 v1, 16, v4
	v_cvt_i32_f32_e32 v1, v1
	global_store_short v[2:3], v1, off
.LBB152_1771:
	s_mov_b64 s[0:1], 0
.LBB152_1772:
	s_andn2_b64 vcc, exec, s[0:1]
	s_cbranch_vccnz .LBB152_1777
; %bb.1773:
	s_mov_b64 s[0:1], -1
	s_cmp_gt_i32 s6, 0
	v_lshlrev_b32_e32 v1, 16, v4
	s_cbranch_scc0 .LBB152_1775
; %bb.1774:
	v_cvt_i32_f32_e32 v4, v1
	s_mov_b64 s[0:1], 0
	global_store_byte v[2:3], v4, off
.LBB152_1775:
	s_andn2_b64 vcc, exec, s[0:1]
	s_cbranch_vccnz .LBB152_1777
; %bb.1776:
	v_trunc_f32_e32 v1, v1
	s_mov_b32 s0, 0x2f800000
	v_mul_f32_e64 v4, |v1|, s0
	v_floor_f32_e32 v4, v4
	s_mov_b32 s0, 0xcf800000
	v_fma_f32 v4, v4, s0, |v1|
	v_cvt_u32_f32_e32 v4, v4
	v_ashrrev_i32_e32 v1, 31, v1
	v_xor_b32_e32 v4, v4, v1
	v_sub_u32_e32 v1, v4, v1
	global_store_byte v[2:3], v1, off
.LBB152_1777:
	s_mov_b64 s[8:9], -1
.LBB152_1778:
	s_andn2_b64 vcc, exec, s[8:9]
	s_cbranch_vccnz .LBB152_1974
; %bb.1779:
	v_lshlrev_b32_e32 v1, 16, v7
	v_mul_f32_e32 v2, 0x3fb8aa3b, v1
	v_rndne_f32_e32 v2, v2
	v_fmamk_f32 v3, v2, 0xbf317218, v1
	v_fmamk_f32 v3, v2, 0x3102e308, v3
	v_mov_b32_e32 v4, 0x3ab69700
	v_fmac_f32_e32 v4, 0x395133b1, v3
	v_fmaak_f32 v4, v3, v4, 0x3c0887f9
	v_fmaak_f32 v4, v3, v4, 0x3d2aaa81
	v_cvt_i32_f32_e32 v5, v2
	v_fmaak_f32 v4, v3, v4, 0x3e2aaaab
	v_fma_f32 v4, v3, v4, 0.5
	v_mul_f32_e32 v4, v3, v4
	s_mov_b32 s0, 0x43000000
	v_fmac_f32_e32 v3, v3, v4
	v_ldexp_f32 v4, 1.0, v5
	v_mov_b32_e32 v5, 0x7f000000
	v_cmp_eq_f32_e32 vcc, s0, v2
	s_mov_b32 s0, 0x42b17217
	v_add_u32_e32 v0, s18, v0
	v_cndmask_b32_e32 v2, v4, v5, vcc
	v_add_f32_e32 v4, -1.0, v2
	v_fmac_f32_e32 v4, v2, v3
	v_add_f32_e32 v2, v4, v4
	v_cndmask_b32_e32 v2, v4, v2, vcc
	v_mov_b32_e32 v3, 0x7f800000
	v_cmp_nlt_f32_e32 vcc, s0, v1
	s_mov_b32 s0, 0xc1880000
	s_cmp_lt_i32 s20, 11
	v_cndmask_b32_e32 v2, v3, v2, vcc
	v_cmp_ngt_f32_e32 vcc, s0, v1
	s_movk_i32 s0, 0x7fff
	s_nop 0
	v_cndmask_b32_e32 v1, -1.0, v2, vcc
	v_bfe_u32 v2, v1, 16, 1
	v_add3_u32 v2, v1, v2, s0
	v_cmp_o_f32_e32 vcc, v1, v1
	v_mov_b32_e32 v1, 0x7fc0
	s_nop 0
	v_cndmask_b32_sdwa v4, v1, v2, vcc dst_sel:DWORD dst_unused:UNUSED_PAD src0_sel:DWORD src1_sel:WORD_1
	v_ashrrev_i32_e32 v1, 31, v0
	v_lshl_add_u64 v[2:3], s[4:5], 0, v[0:1]
	s_cbranch_scc1 .LBB152_1857
; %bb.1780:
	s_and_b32 s19, 0xffff, s20
	s_mov_b64 s[10:11], -1
	s_mov_b64 s[6:7], 0
	s_cmp_gt_i32 s19, 25
	s_mov_b64 s[8:9], 0
	s_mov_b64 s[0:1], 0
	s_cbranch_scc0 .LBB152_1813
; %bb.1781:
	s_cmp_gt_i32 s19, 28
	s_cbranch_scc0 .LBB152_1796
; %bb.1782:
	s_cmp_gt_i32 s19, 43
	;; [unrolled: 3-line block ×3, first 2 shown]
	s_cbranch_scc0 .LBB152_1786
; %bb.1784:
	s_mov_b64 s[0:1], -1
	s_mov_b64 s[10:11], 0
	s_cmp_eq_u32 s19, 46
	s_cbranch_scc0 .LBB152_1786
; %bb.1785:
	v_and_b32_e32 v1, 0xffff, v4
	global_store_dword v[2:3], v1, off
	s_mov_b64 s[0:1], 0
	s_mov_b64 s[8:9], -1
.LBB152_1786:
	s_and_b64 vcc, exec, s[10:11]
	s_cbranch_vccz .LBB152_1791
; %bb.1787:
	s_cmp_eq_u32 s19, 44
	s_mov_b64 s[0:1], -1
	s_cbranch_scc0 .LBB152_1791
; %bb.1788:
	v_and_b32_e32 v5, 0xffff, v4
	v_bfe_u32 v1, v5, 7, 8
	s_movk_i32 s0, 0xff
	v_cmp_ne_u32_e32 vcc, s0, v1
	v_mov_b32_e32 v6, 0xff
	s_and_saveexec_b64 s[8:9], vcc
	s_cbranch_execz .LBB152_1790
; %bb.1789:
	v_lshlrev_b32_e32 v7, 16, v5
	s_mov_b32 s0, 0x3f0000
	v_lshrrev_b32_e32 v6, 7, v5
	v_and_b32_e32 v5, 64, v5
	v_and_or_b32 v1, v7, s0, v1
	v_cmp_ne_u32_e32 vcc, 0, v5
	v_cmp_ne_u32_e64 s[0:1], 0, v1
	s_and_b64 s[0:1], vcc, s[0:1]
	s_nop 0
	v_cndmask_b32_e64 v1, 0, 1, s[0:1]
	v_add_u32_e32 v6, v6, v1
.LBB152_1790:
	s_or_b64 exec, exec, s[8:9]
	s_mov_b64 s[0:1], 0
	s_mov_b64 s[8:9], -1
	global_store_byte v[2:3], v6, off
.LBB152_1791:
	s_mov_b64 s[10:11], 0
.LBB152_1792:
	s_and_b64 vcc, exec, s[10:11]
	s_cbranch_vccz .LBB152_1795
; %bb.1793:
	s_cmp_eq_u32 s19, 29
	s_mov_b64 s[0:1], -1
	s_cbranch_scc0 .LBB152_1795
; %bb.1794:
	v_lshlrev_b32_e32 v1, 16, v4
	v_trunc_f32_e32 v1, v1
	v_mul_f32_e32 v5, 0x2f800000, v1
	v_floor_f32_e32 v5, v5
	v_fmamk_f32 v1, v5, 0xcf800000, v1
	v_cvt_u32_f32_e32 v7, v5
	v_cvt_u32_f32_e32 v6, v1
	s_mov_b64 s[0:1], 0
	s_mov_b64 s[8:9], -1
	global_store_dwordx2 v[2:3], v[6:7], off
.LBB152_1795:
	s_mov_b64 s[10:11], 0
.LBB152_1796:
	s_and_b64 vcc, exec, s[10:11]
	s_cbranch_vccz .LBB152_1812
; %bb.1797:
	s_cmp_lt_i32 s19, 27
	s_mov_b64 s[8:9], -1
	s_cbranch_scc1 .LBB152_1803
; %bb.1798:
	s_cmp_gt_i32 s19, 27
	s_cbranch_scc0 .LBB152_1800
; %bb.1799:
	v_lshlrev_b32_e32 v1, 16, v4
	v_cvt_u32_f32_e32 v1, v1
	s_mov_b64 s[8:9], 0
	global_store_dword v[2:3], v1, off
.LBB152_1800:
	s_andn2_b64 vcc, exec, s[8:9]
	s_cbranch_vccnz .LBB152_1802
; %bb.1801:
	v_lshlrev_b32_e32 v1, 16, v4
	v_cvt_u32_f32_e32 v1, v1
	global_store_short v[2:3], v1, off
.LBB152_1802:
	s_mov_b64 s[8:9], 0
.LBB152_1803:
	s_andn2_b64 vcc, exec, s[8:9]
	s_cbranch_vccnz .LBB152_1811
; %bb.1804:
	v_lshlrev_b32_e32 v6, 16, v4
	v_and_b32_e32 v5, 0x7fffffff, v6
	s_mov_b32 s8, 0x43800000
	v_cmp_gt_u32_e32 vcc, s8, v5
	v_mov_b32_e32 v7, 0x80
	s_and_saveexec_b64 s[8:9], vcc
	s_cbranch_execz .LBB152_1810
; %bb.1805:
	s_mov_b32 s10, 0x3bffffff
	v_and_b32_e32 v1, 0xffff, v4
	v_cmp_lt_u32_e32 vcc, s10, v5
	s_mov_b64 s[10:11], 0
                                        ; implicit-def: $vgpr5
	s_and_saveexec_b64 s[16:17], vcc
	s_xor_b64 s[16:17], exec, s[16:17]
	s_cbranch_execz .LBB152_2031
; %bb.1806:
	v_bfe_u32 v5, v1, 4, 1
	s_mov_b32 s21, 0x487ffff
	v_add3_u32 v5, v6, v5, s21
	s_mov_b64 s[10:11], exec
	v_lshrrev_b32_e32 v5, 20, v5
                                        ; implicit-def: $vgpr6
	s_andn2_saveexec_b64 s[16:17], s[16:17]
	s_cbranch_execnz .LBB152_2032
.LBB152_1807:
	s_or_b64 exec, exec, s[16:17]
	v_mov_b32_e32 v7, 0
	s_and_saveexec_b64 s[16:17], s[10:11]
.LBB152_1808:
	v_lshrrev_b32_e32 v1, 8, v1
	s_movk_i32 s10, 0x80
	v_and_or_b32 v7, v1, s10, v5
.LBB152_1809:
	s_or_b64 exec, exec, s[16:17]
.LBB152_1810:
	s_or_b64 exec, exec, s[8:9]
	global_store_byte v[2:3], v7, off
.LBB152_1811:
	s_mov_b64 s[8:9], -1
.LBB152_1812:
	s_mov_b64 s[10:11], 0
.LBB152_1813:
	s_and_b64 vcc, exec, s[10:11]
	s_cbranch_vccz .LBB152_1853
; %bb.1814:
	s_cmp_gt_i32 s19, 22
	s_mov_b64 s[6:7], -1
	s_cbranch_scc0 .LBB152_1846
; %bb.1815:
	s_cmp_lt_i32 s19, 24
	s_cbranch_scc1 .LBB152_1835
; %bb.1816:
	s_cmp_gt_i32 s19, 24
	s_cbranch_scc0 .LBB152_1824
; %bb.1817:
	v_lshlrev_b32_e32 v6, 16, v4
	v_and_b32_e32 v5, 0x7fffffff, v6
	s_mov_b32 s6, 0x47800000
	v_cmp_gt_u32_e32 vcc, s6, v5
	v_mov_b32_e32 v7, 0x80
	s_and_saveexec_b64 s[6:7], vcc
	s_cbranch_execz .LBB152_1823
; %bb.1818:
	s_mov_b32 s8, 0x37ffffff
	v_and_b32_e32 v1, 0xffff, v4
	v_cmp_lt_u32_e32 vcc, s8, v5
	s_mov_b64 s[8:9], 0
                                        ; implicit-def: $vgpr5
	s_and_saveexec_b64 s[10:11], vcc
	s_xor_b64 s[10:11], exec, s[10:11]
	s_cbranch_execz .LBB152_2034
; %bb.1819:
	v_bfe_u32 v5, v1, 5, 1
	s_mov_b32 s16, 0x88fffff
	v_add3_u32 v5, v6, v5, s16
	s_mov_b64 s[8:9], exec
	v_lshrrev_b32_e32 v5, 21, v5
                                        ; implicit-def: $vgpr6
	s_andn2_saveexec_b64 s[10:11], s[10:11]
	s_cbranch_execnz .LBB152_2035
.LBB152_1820:
	s_or_b64 exec, exec, s[10:11]
	v_mov_b32_e32 v7, 0
	s_and_saveexec_b64 s[10:11], s[8:9]
.LBB152_1821:
	v_lshrrev_b32_e32 v1, 8, v1
	s_movk_i32 s8, 0x80
	v_and_or_b32 v7, v1, s8, v5
.LBB152_1822:
	s_or_b64 exec, exec, s[10:11]
.LBB152_1823:
	s_or_b64 exec, exec, s[6:7]
	s_mov_b64 s[6:7], 0
	global_store_byte v[2:3], v7, off
.LBB152_1824:
	s_and_b64 vcc, exec, s[6:7]
	s_cbranch_vccz .LBB152_1834
; %bb.1825:
	v_lshlrev_b32_e32 v6, 16, v4
	v_and_b32_e32 v7, 0x7fffffff, v6
	s_mov_b32 s6, 0x43f00000
	v_and_b32_e32 v1, 0xffff, v4
	v_cmp_gt_u32_e32 vcc, s6, v7
                                        ; implicit-def: $vgpr5
	s_and_saveexec_b64 s[6:7], vcc
	s_xor_b64 s[6:7], exec, s[6:7]
	s_cbranch_execz .LBB152_1831
; %bb.1826:
	s_mov_b32 s8, 0x3c7fffff
	v_cmp_lt_u32_e32 vcc, s8, v7
                                        ; implicit-def: $vgpr5
	s_and_saveexec_b64 s[8:9], vcc
	s_xor_b64 s[8:9], exec, s[8:9]
; %bb.1827:
	v_bfe_u32 v5, v1, 4, 1
	s_mov_b32 s10, 0x407ffff
	v_add3_u32 v5, v6, v5, s10
	v_lshrrev_b32_e32 v6, 20, v5
	v_and_b32_e32 v5, 0xff00000, v5
	s_mov_b32 s10, 0x7f00000
	v_mov_b32_e32 v7, 0x7e
	v_cmp_ne_u32_e32 vcc, s10, v5
	s_nop 1
	v_cndmask_b32_e32 v5, v7, v6, vcc
                                        ; implicit-def: $vgpr6
; %bb.1828:
	s_andn2_saveexec_b64 s[8:9], s[8:9]
; %bb.1829:
	s_mov_b32 s10, 0x46800000
	v_add_f32_e64 v5, |v6|, s10
; %bb.1830:
	s_or_b64 exec, exec, s[8:9]
                                        ; implicit-def: $vgpr7
.LBB152_1831:
	s_andn2_saveexec_b64 s[6:7], s[6:7]
; %bb.1832:
	s_mov_b32 s8, 0x7f800000
	v_mov_b32_e32 v5, 0x7e
	v_mov_b32_e32 v6, 0x7f
	v_cmp_lt_u32_e32 vcc, s8, v7
	s_nop 1
	v_cndmask_b32_e32 v5, v5, v6, vcc
; %bb.1833:
	s_or_b64 exec, exec, s[6:7]
	v_lshrrev_b32_e32 v1, 8, v1
	s_movk_i32 s6, 0x80
	v_and_or_b32 v1, v1, s6, v5
	global_store_byte v[2:3], v1, off
.LBB152_1834:
	s_mov_b64 s[6:7], 0
.LBB152_1835:
	s_andn2_b64 vcc, exec, s[6:7]
	s_cbranch_vccnz .LBB152_1845
; %bb.1836:
	v_lshlrev_b32_e32 v6, 16, v4
	v_and_b32_e32 v7, 0x7fffffff, v6
	s_mov_b32 s6, 0x47800000
	v_and_b32_e32 v1, 0xffff, v4
	v_cmp_gt_u32_e32 vcc, s6, v7
                                        ; implicit-def: $vgpr5
	s_and_saveexec_b64 s[6:7], vcc
	s_xor_b64 s[6:7], exec, s[6:7]
	s_cbranch_execz .LBB152_1842
; %bb.1837:
	s_mov_b32 s8, 0x387fffff
	v_cmp_lt_u32_e32 vcc, s8, v7
                                        ; implicit-def: $vgpr5
	s_and_saveexec_b64 s[8:9], vcc
	s_xor_b64 s[8:9], exec, s[8:9]
; %bb.1838:
	v_bfe_u32 v5, v1, 5, 1
	s_mov_b32 s10, 0x80fffff
	v_add3_u32 v5, v6, v5, s10
	v_lshrrev_b32_e32 v5, 21, v5
                                        ; implicit-def: $vgpr6
; %bb.1839:
	s_andn2_saveexec_b64 s[8:9], s[8:9]
; %bb.1840:
	s_mov_b32 s10, 0x43000000
	v_add_f32_e64 v5, |v6|, s10
; %bb.1841:
	s_or_b64 exec, exec, s[8:9]
                                        ; implicit-def: $vgpr7
.LBB152_1842:
	s_andn2_saveexec_b64 s[6:7], s[6:7]
; %bb.1843:
	s_mov_b32 s8, 0x7f800000
	v_mov_b32_e32 v5, 0x7c
	v_mov_b32_e32 v6, 0x7f
	v_cmp_lt_u32_e32 vcc, s8, v7
	s_nop 1
	v_cndmask_b32_e32 v5, v5, v6, vcc
; %bb.1844:
	s_or_b64 exec, exec, s[6:7]
	v_lshrrev_b32_e32 v1, 8, v1
	s_movk_i32 s6, 0x80
	v_and_or_b32 v1, v1, s6, v5
	global_store_byte v[2:3], v1, off
.LBB152_1845:
	s_mov_b64 s[6:7], 0
	s_mov_b64 s[8:9], -1
.LBB152_1846:
	s_andn2_b64 vcc, exec, s[6:7]
	s_mov_b64 s[6:7], 0
	s_cbranch_vccnz .LBB152_1853
; %bb.1847:
	s_cmp_gt_i32 s19, 14
	s_mov_b64 s[10:11], -1
	s_cbranch_scc0 .LBB152_1851
; %bb.1848:
	s_cmp_eq_u32 s19, 15
	s_mov_b64 s[0:1], -1
	s_cbranch_scc0 .LBB152_1850
; %bb.1849:
	global_store_short v[2:3], v4, off
	s_mov_b64 s[0:1], 0
	s_mov_b64 s[8:9], -1
.LBB152_1850:
	s_mov_b64 s[10:11], 0
.LBB152_1851:
	s_and_b64 vcc, exec, s[10:11]
	s_cbranch_vccz .LBB152_1853
; %bb.1852:
	s_cmp_lg_u32 s19, 11
	s_mov_b64 s[6:7], -1
	s_cselect_b64 s[0:1], -1, 0
.LBB152_1853:
	s_and_b64 vcc, exec, s[0:1]
	s_cbranch_vccnz .LBB152_2033
; %bb.1854:
	s_andn2_b64 vcc, exec, s[6:7]
	s_cbranch_vccnz .LBB152_1856
.LBB152_1855:
	v_and_b32_e32 v1, 0x7fff, v4
	v_cmp_ne_u16_e32 vcc, 0, v1
	s_mov_b64 s[8:9], -1
	s_nop 0
	v_cndmask_b32_e64 v1, 0, 1, vcc
	global_store_byte v[2:3], v1, off
.LBB152_1856:
	s_mov_b64 s[0:1], 0
	s_branch .LBB152_1858
.LBB152_1857:
	s_mov_b64 s[0:1], -1
	s_mov_b64 s[8:9], 0
.LBB152_1858:
	s_and_b64 vcc, exec, s[0:1]
	s_cbranch_vccz .LBB152_1897
; %bb.1859:
	s_and_b32 s6, 0xffff, s20
	s_cmp_lt_i32 s6, 5
	s_mov_b64 s[0:1], -1
	s_cbranch_scc1 .LBB152_1880
; %bb.1860:
	s_cmp_lt_i32 s6, 8
	s_cbranch_scc1 .LBB152_1870
; %bb.1861:
	s_cmp_lt_i32 s6, 9
	s_cbranch_scc1 .LBB152_1867
; %bb.1862:
	s_cmp_gt_i32 s6, 9
	s_cbranch_scc0 .LBB152_1864
; %bb.1863:
	v_lshlrev_b32_e32 v1, 16, v4
	v_mov_b32_e32 v12, 0
	v_cvt_f64_f32_e32 v[10:11], v1
	v_mov_b32_e32 v13, v12
	global_store_dwordx4 v[2:3], v[10:13], off
	s_mov_b64 s[0:1], 0
.LBB152_1864:
	s_andn2_b64 vcc, exec, s[0:1]
	s_cbranch_vccnz .LBB152_1866
; %bb.1865:
	v_lshlrev_b32_e32 v6, 16, v4
	v_mov_b32_e32 v7, 0
	global_store_dwordx2 v[2:3], v[6:7], off
.LBB152_1866:
	s_mov_b64 s[0:1], 0
.LBB152_1867:
	s_andn2_b64 vcc, exec, s[0:1]
	s_cbranch_vccnz .LBB152_1869
; %bb.1868:
	v_lshlrev_b32_e32 v1, 16, v4
	v_cvt_f16_f32_e32 v1, v1
	global_store_dword v[2:3], v1, off
.LBB152_1869:
	s_mov_b64 s[0:1], 0
.LBB152_1870:
	s_andn2_b64 vcc, exec, s[0:1]
	s_cbranch_vccnz .LBB152_1879
; %bb.1871:
	s_cmp_lt_i32 s6, 6
	s_mov_b64 s[0:1], -1
	s_cbranch_scc1 .LBB152_1877
; %bb.1872:
	s_cmp_gt_i32 s6, 6
	s_cbranch_scc0 .LBB152_1874
; %bb.1873:
	v_lshlrev_b32_e32 v1, 16, v4
	v_cvt_f64_f32_e32 v[6:7], v1
	global_store_dwordx2 v[2:3], v[6:7], off
	s_mov_b64 s[0:1], 0
.LBB152_1874:
	s_andn2_b64 vcc, exec, s[0:1]
	s_cbranch_vccnz .LBB152_1876
; %bb.1875:
	v_lshlrev_b32_e32 v1, 16, v4
	global_store_dword v[2:3], v1, off
.LBB152_1876:
	s_mov_b64 s[0:1], 0
.LBB152_1877:
	s_andn2_b64 vcc, exec, s[0:1]
	s_cbranch_vccnz .LBB152_1879
; %bb.1878:
	v_lshlrev_b32_e32 v1, 16, v4
	v_cvt_f16_f32_e32 v1, v1
	global_store_short v[2:3], v1, off
.LBB152_1879:
	s_mov_b64 s[0:1], 0
.LBB152_1880:
	s_andn2_b64 vcc, exec, s[0:1]
	s_cbranch_vccnz .LBB152_1896
; %bb.1881:
	s_cmp_lt_i32 s6, 2
	s_mov_b64 s[0:1], -1
	s_cbranch_scc1 .LBB152_1891
; %bb.1882:
	s_cmp_lt_i32 s6, 3
	s_cbranch_scc1 .LBB152_1888
; %bb.1883:
	s_cmp_gt_i32 s6, 3
	s_cbranch_scc0 .LBB152_1885
; %bb.1884:
	v_lshlrev_b32_e32 v1, 16, v4
	v_trunc_f32_e32 v1, v1
	s_mov_b32 s0, 0x2f800000
	v_mul_f32_e64 v5, |v1|, s0
	v_floor_f32_e32 v5, v5
	s_mov_b32 s0, 0xcf800000
	v_cvt_u32_f32_e32 v6, v5
	v_fma_f32 v5, v5, s0, |v1|
	v_cvt_u32_f32_e32 v5, v5
	v_ashrrev_i32_e32 v1, 31, v1
	v_xor_b32_e32 v7, v6, v1
	s_mov_b64 s[0:1], 0
	v_xor_b32_e32 v5, v5, v1
	v_sub_co_u32_e32 v6, vcc, v5, v1
	s_nop 1
	v_subb_co_u32_e32 v7, vcc, v7, v1, vcc
	global_store_dwordx2 v[2:3], v[6:7], off
.LBB152_1885:
	s_andn2_b64 vcc, exec, s[0:1]
	s_cbranch_vccnz .LBB152_1887
; %bb.1886:
	v_lshlrev_b32_e32 v1, 16, v4
	v_cvt_i32_f32_e32 v1, v1
	global_store_dword v[2:3], v1, off
.LBB152_1887:
	s_mov_b64 s[0:1], 0
.LBB152_1888:
	s_andn2_b64 vcc, exec, s[0:1]
	s_cbranch_vccnz .LBB152_1890
; %bb.1889:
	v_lshlrev_b32_e32 v1, 16, v4
	v_cvt_i32_f32_e32 v1, v1
	global_store_short v[2:3], v1, off
.LBB152_1890:
	s_mov_b64 s[0:1], 0
.LBB152_1891:
	s_andn2_b64 vcc, exec, s[0:1]
	s_cbranch_vccnz .LBB152_1896
; %bb.1892:
	s_mov_b64 s[0:1], -1
	s_cmp_gt_i32 s6, 0
	v_lshlrev_b32_e32 v1, 16, v4
	s_cbranch_scc0 .LBB152_1894
; %bb.1893:
	v_cvt_i32_f32_e32 v4, v1
	s_mov_b64 s[0:1], 0
	global_store_byte v[2:3], v4, off
.LBB152_1894:
	s_andn2_b64 vcc, exec, s[0:1]
	s_cbranch_vccnz .LBB152_1896
; %bb.1895:
	v_trunc_f32_e32 v1, v1
	s_mov_b32 s0, 0x2f800000
	v_mul_f32_e64 v4, |v1|, s0
	v_floor_f32_e32 v4, v4
	s_mov_b32 s0, 0xcf800000
	v_fma_f32 v4, v4, s0, |v1|
	v_cvt_u32_f32_e32 v4, v4
	v_ashrrev_i32_e32 v1, 31, v1
	v_xor_b32_e32 v4, v4, v1
	v_sub_u32_e32 v1, v4, v1
	global_store_byte v[2:3], v1, off
.LBB152_1896:
	s_mov_b64 s[8:9], -1
.LBB152_1897:
	s_andn2_b64 vcc, exec, s[8:9]
	s_cbranch_vccnz .LBB152_1974
; %bb.1898:
	v_lshlrev_b32_e32 v1, 16, v8
	v_mul_f32_e32 v2, 0x3fb8aa3b, v1
	v_rndne_f32_e32 v2, v2
	v_fmamk_f32 v3, v2, 0xbf317218, v1
	v_fmamk_f32 v3, v2, 0x3102e308, v3
	v_mov_b32_e32 v4, 0x3ab69700
	v_fmac_f32_e32 v4, 0x395133b1, v3
	v_fmaak_f32 v4, v3, v4, 0x3c0887f9
	v_fmaak_f32 v4, v3, v4, 0x3d2aaa81
	v_cvt_i32_f32_e32 v5, v2
	v_fmaak_f32 v4, v3, v4, 0x3e2aaaab
	v_fma_f32 v4, v3, v4, 0.5
	v_mul_f32_e32 v4, v3, v4
	s_mov_b32 s0, 0x43000000
	v_fmac_f32_e32 v3, v3, v4
	v_ldexp_f32 v4, 1.0, v5
	v_mov_b32_e32 v5, 0x7f000000
	v_cmp_eq_f32_e32 vcc, s0, v2
	s_mov_b32 s0, 0x42b17217
	v_add_u32_e32 v0, s18, v0
	v_cndmask_b32_e32 v2, v4, v5, vcc
	v_add_f32_e32 v4, -1.0, v2
	v_fmac_f32_e32 v4, v2, v3
	v_add_f32_e32 v2, v4, v4
	v_cndmask_b32_e32 v2, v4, v2, vcc
	v_mov_b32_e32 v3, 0x7f800000
	v_cmp_nlt_f32_e32 vcc, s0, v1
	s_mov_b32 s0, 0xc1880000
	s_cmp_lt_i32 s20, 11
	v_cndmask_b32_e32 v2, v3, v2, vcc
	v_cmp_ngt_f32_e32 vcc, s0, v1
	s_movk_i32 s0, 0x7fff
	s_nop 0
	v_cndmask_b32_e32 v1, -1.0, v2, vcc
	v_bfe_u32 v2, v1, 16, 1
	v_add3_u32 v2, v1, v2, s0
	v_cmp_o_f32_e32 vcc, v1, v1
	v_mov_b32_e32 v1, 0x7fc0
	s_nop 0
	v_cndmask_b32_sdwa v2, v1, v2, vcc dst_sel:DWORD dst_unused:UNUSED_PAD src0_sel:DWORD src1_sel:WORD_1
	v_ashrrev_i32_e32 v1, 31, v0
	v_lshl_add_u64 v[0:1], s[4:5], 0, v[0:1]
	s_cbranch_scc1 .LBB152_2019
; %bb.1899:
	s_and_b32 s16, 0xffff, s20
	s_mov_b64 s[6:7], -1
	s_mov_b64 s[4:5], 0
	s_cmp_gt_i32 s16, 25
	s_mov_b64 s[0:1], 0
	s_cbranch_scc0 .LBB152_1932
; %bb.1900:
	s_cmp_gt_i32 s16, 28
	s_cbranch_scc0 .LBB152_1916
; %bb.1901:
	s_cmp_gt_i32 s16, 43
	;; [unrolled: 3-line block ×3, first 2 shown]
	s_cbranch_scc0 .LBB152_1906
; %bb.1903:
	s_cmp_eq_u32 s16, 46
	s_mov_b64 s[0:1], -1
	s_cbranch_scc0 .LBB152_1905
; %bb.1904:
	v_and_b32_e32 v3, 0xffff, v2
	global_store_dword v[0:1], v3, off
	s_mov_b64 s[0:1], 0
.LBB152_1905:
	s_mov_b64 s[6:7], 0
.LBB152_1906:
	s_and_b64 vcc, exec, s[6:7]
	s_cbranch_vccz .LBB152_1911
; %bb.1907:
	s_cmp_eq_u32 s16, 44
	s_mov_b64 s[0:1], -1
	s_cbranch_scc0 .LBB152_1911
; %bb.1908:
	v_and_b32_e32 v4, 0xffff, v2
	v_bfe_u32 v3, v4, 7, 8
	s_movk_i32 s0, 0xff
	v_cmp_ne_u32_e32 vcc, s0, v3
	v_mov_b32_e32 v5, 0xff
	s_and_saveexec_b64 s[6:7], vcc
	s_cbranch_execz .LBB152_1910
; %bb.1909:
	v_lshlrev_b32_e32 v6, 16, v4
	s_mov_b32 s0, 0x3f0000
	v_lshrrev_b32_e32 v5, 7, v4
	v_and_b32_e32 v4, 64, v4
	v_and_or_b32 v3, v6, s0, v3
	v_cmp_ne_u32_e32 vcc, 0, v4
	v_cmp_ne_u32_e64 s[0:1], 0, v3
	s_and_b64 s[0:1], vcc, s[0:1]
	s_nop 0
	v_cndmask_b32_e64 v3, 0, 1, s[0:1]
	v_add_u32_e32 v5, v5, v3
.LBB152_1910:
	s_or_b64 exec, exec, s[6:7]
	s_mov_b64 s[0:1], 0
	global_store_byte v[0:1], v5, off
.LBB152_1911:
	s_mov_b64 s[6:7], 0
.LBB152_1912:
	s_and_b64 vcc, exec, s[6:7]
	s_cbranch_vccz .LBB152_1915
; %bb.1913:
	s_cmp_eq_u32 s16, 29
	s_mov_b64 s[0:1], -1
	s_cbranch_scc0 .LBB152_1915
; %bb.1914:
	v_lshlrev_b32_e32 v3, 16, v2
	v_trunc_f32_e32 v3, v3
	v_mul_f32_e32 v4, 0x2f800000, v3
	v_floor_f32_e32 v4, v4
	v_fmamk_f32 v3, v4, 0xcf800000, v3
	v_cvt_u32_f32_e32 v5, v4
	v_cvt_u32_f32_e32 v4, v3
	s_mov_b64 s[0:1], 0
	global_store_dwordx2 v[0:1], v[4:5], off
.LBB152_1915:
	s_mov_b64 s[6:7], 0
.LBB152_1916:
	s_and_b64 vcc, exec, s[6:7]
	s_cbranch_vccz .LBB152_1931
; %bb.1917:
	s_cmp_lt_i32 s16, 27
	s_mov_b64 s[6:7], -1
	s_cbranch_scc1 .LBB152_1923
; %bb.1918:
	s_cmp_gt_i32 s16, 27
	s_cbranch_scc0 .LBB152_1920
; %bb.1919:
	v_lshlrev_b32_e32 v3, 16, v2
	v_cvt_u32_f32_e32 v3, v3
	s_mov_b64 s[6:7], 0
	global_store_dword v[0:1], v3, off
.LBB152_1920:
	s_andn2_b64 vcc, exec, s[6:7]
	s_cbranch_vccnz .LBB152_1922
; %bb.1921:
	v_lshlrev_b32_e32 v3, 16, v2
	v_cvt_u32_f32_e32 v3, v3
	global_store_short v[0:1], v3, off
.LBB152_1922:
	s_mov_b64 s[6:7], 0
.LBB152_1923:
	s_andn2_b64 vcc, exec, s[6:7]
	s_cbranch_vccnz .LBB152_1931
; %bb.1924:
	v_lshlrev_b32_e32 v5, 16, v2
	v_and_b32_e32 v4, 0x7fffffff, v5
	s_mov_b32 s6, 0x43800000
	v_cmp_gt_u32_e32 vcc, s6, v4
	v_mov_b32_e32 v6, 0x80
	s_and_saveexec_b64 s[6:7], vcc
	s_cbranch_execz .LBB152_1930
; %bb.1925:
	s_mov_b32 s8, 0x3bffffff
	v_and_b32_e32 v3, 0xffff, v2
	v_cmp_lt_u32_e32 vcc, s8, v4
	s_mov_b64 s[8:9], 0
                                        ; implicit-def: $vgpr4
	s_and_saveexec_b64 s[10:11], vcc
	s_xor_b64 s[10:11], exec, s[10:11]
	s_cbranch_execz .LBB152_2036
; %bb.1926:
	v_bfe_u32 v4, v3, 4, 1
	s_mov_b32 s17, 0x487ffff
	v_add3_u32 v4, v5, v4, s17
	s_mov_b64 s[8:9], exec
	v_lshrrev_b32_e32 v4, 20, v4
                                        ; implicit-def: $vgpr5
	s_andn2_saveexec_b64 s[10:11], s[10:11]
	s_cbranch_execnz .LBB152_2037
.LBB152_1927:
	s_or_b64 exec, exec, s[10:11]
	v_mov_b32_e32 v6, 0
	s_and_saveexec_b64 s[10:11], s[8:9]
.LBB152_1928:
	v_lshrrev_b32_e32 v3, 8, v3
	s_movk_i32 s8, 0x80
	v_and_or_b32 v6, v3, s8, v4
.LBB152_1929:
	s_or_b64 exec, exec, s[10:11]
.LBB152_1930:
	s_or_b64 exec, exec, s[6:7]
	global_store_byte v[0:1], v6, off
.LBB152_1931:
	s_mov_b64 s[6:7], 0
.LBB152_1932:
	s_and_b64 vcc, exec, s[6:7]
	s_cbranch_vccz .LBB152_1972
; %bb.1933:
	s_cmp_gt_i32 s16, 22
	s_mov_b64 s[4:5], -1
	s_cbranch_scc0 .LBB152_1965
; %bb.1934:
	s_cmp_lt_i32 s16, 24
	s_cbranch_scc1 .LBB152_1954
; %bb.1935:
	s_cmp_gt_i32 s16, 24
	s_cbranch_scc0 .LBB152_1943
; %bb.1936:
	v_lshlrev_b32_e32 v5, 16, v2
	v_and_b32_e32 v4, 0x7fffffff, v5
	s_mov_b32 s4, 0x47800000
	v_cmp_gt_u32_e32 vcc, s4, v4
	v_mov_b32_e32 v6, 0x80
	s_and_saveexec_b64 s[4:5], vcc
	s_cbranch_execz .LBB152_1942
; %bb.1937:
	s_mov_b32 s6, 0x37ffffff
	v_and_b32_e32 v3, 0xffff, v2
	v_cmp_lt_u32_e32 vcc, s6, v4
	s_mov_b64 s[6:7], 0
                                        ; implicit-def: $vgpr4
	s_and_saveexec_b64 s[8:9], vcc
	s_xor_b64 s[8:9], exec, s[8:9]
	s_cbranch_execz .LBB152_2039
; %bb.1938:
	v_bfe_u32 v4, v3, 5, 1
	s_mov_b32 s10, 0x88fffff
	v_add3_u32 v4, v5, v4, s10
	s_mov_b64 s[6:7], exec
	v_lshrrev_b32_e32 v4, 21, v4
                                        ; implicit-def: $vgpr5
	s_andn2_saveexec_b64 s[8:9], s[8:9]
	s_cbranch_execnz .LBB152_2040
.LBB152_1939:
	s_or_b64 exec, exec, s[8:9]
	v_mov_b32_e32 v6, 0
	s_and_saveexec_b64 s[8:9], s[6:7]
.LBB152_1940:
	v_lshrrev_b32_e32 v3, 8, v3
	s_movk_i32 s6, 0x80
	v_and_or_b32 v6, v3, s6, v4
.LBB152_1941:
	s_or_b64 exec, exec, s[8:9]
.LBB152_1942:
	s_or_b64 exec, exec, s[4:5]
	s_mov_b64 s[4:5], 0
	global_store_byte v[0:1], v6, off
.LBB152_1943:
	s_and_b64 vcc, exec, s[4:5]
	s_cbranch_vccz .LBB152_1953
; %bb.1944:
	v_lshlrev_b32_e32 v5, 16, v2
	v_and_b32_e32 v6, 0x7fffffff, v5
	s_mov_b32 s4, 0x43f00000
	v_and_b32_e32 v3, 0xffff, v2
	v_cmp_gt_u32_e32 vcc, s4, v6
                                        ; implicit-def: $vgpr4
	s_and_saveexec_b64 s[4:5], vcc
	s_xor_b64 s[4:5], exec, s[4:5]
	s_cbranch_execz .LBB152_1950
; %bb.1945:
	s_mov_b32 s6, 0x3c7fffff
	v_cmp_lt_u32_e32 vcc, s6, v6
                                        ; implicit-def: $vgpr4
	s_and_saveexec_b64 s[6:7], vcc
	s_xor_b64 s[6:7], exec, s[6:7]
; %bb.1946:
	v_bfe_u32 v4, v3, 4, 1
	s_mov_b32 s8, 0x407ffff
	v_add3_u32 v4, v5, v4, s8
	v_lshrrev_b32_e32 v5, 20, v4
	v_and_b32_e32 v4, 0xff00000, v4
	s_mov_b32 s8, 0x7f00000
	v_mov_b32_e32 v6, 0x7e
	v_cmp_ne_u32_e32 vcc, s8, v4
	s_nop 1
	v_cndmask_b32_e32 v4, v6, v5, vcc
                                        ; implicit-def: $vgpr5
; %bb.1947:
	s_andn2_saveexec_b64 s[6:7], s[6:7]
; %bb.1948:
	s_mov_b32 s8, 0x46800000
	v_add_f32_e64 v4, |v5|, s8
; %bb.1949:
	s_or_b64 exec, exec, s[6:7]
                                        ; implicit-def: $vgpr6
.LBB152_1950:
	s_andn2_saveexec_b64 s[4:5], s[4:5]
; %bb.1951:
	s_mov_b32 s6, 0x7f800000
	v_mov_b32_e32 v4, 0x7e
	v_mov_b32_e32 v5, 0x7f
	v_cmp_lt_u32_e32 vcc, s6, v6
	s_nop 1
	v_cndmask_b32_e32 v4, v4, v5, vcc
; %bb.1952:
	s_or_b64 exec, exec, s[4:5]
	v_lshrrev_b32_e32 v3, 8, v3
	s_movk_i32 s4, 0x80
	v_and_or_b32 v3, v3, s4, v4
	global_store_byte v[0:1], v3, off
.LBB152_1953:
	s_mov_b64 s[4:5], 0
.LBB152_1954:
	s_andn2_b64 vcc, exec, s[4:5]
	s_cbranch_vccnz .LBB152_1964
; %bb.1955:
	v_lshlrev_b32_e32 v5, 16, v2
	v_and_b32_e32 v6, 0x7fffffff, v5
	s_mov_b32 s4, 0x47800000
	v_and_b32_e32 v3, 0xffff, v2
	v_cmp_gt_u32_e32 vcc, s4, v6
                                        ; implicit-def: $vgpr4
	s_and_saveexec_b64 s[4:5], vcc
	s_xor_b64 s[4:5], exec, s[4:5]
	s_cbranch_execz .LBB152_1961
; %bb.1956:
	s_mov_b32 s6, 0x387fffff
	v_cmp_lt_u32_e32 vcc, s6, v6
                                        ; implicit-def: $vgpr4
	s_and_saveexec_b64 s[6:7], vcc
	s_xor_b64 s[6:7], exec, s[6:7]
; %bb.1957:
	v_bfe_u32 v4, v3, 5, 1
	s_mov_b32 s8, 0x80fffff
	v_add3_u32 v4, v5, v4, s8
	v_lshrrev_b32_e32 v4, 21, v4
                                        ; implicit-def: $vgpr5
; %bb.1958:
	s_andn2_saveexec_b64 s[6:7], s[6:7]
; %bb.1959:
	s_mov_b32 s8, 0x43000000
	v_add_f32_e64 v4, |v5|, s8
; %bb.1960:
	s_or_b64 exec, exec, s[6:7]
                                        ; implicit-def: $vgpr6
.LBB152_1961:
	s_andn2_saveexec_b64 s[4:5], s[4:5]
; %bb.1962:
	s_mov_b32 s6, 0x7f800000
	v_mov_b32_e32 v4, 0x7c
	v_mov_b32_e32 v5, 0x7f
	v_cmp_lt_u32_e32 vcc, s6, v6
	s_nop 1
	v_cndmask_b32_e32 v4, v4, v5, vcc
; %bb.1963:
	s_or_b64 exec, exec, s[4:5]
	v_lshrrev_b32_e32 v3, 8, v3
	s_movk_i32 s4, 0x80
	v_and_or_b32 v3, v3, s4, v4
	global_store_byte v[0:1], v3, off
.LBB152_1964:
	s_mov_b64 s[4:5], 0
.LBB152_1965:
	s_andn2_b64 vcc, exec, s[4:5]
	s_mov_b64 s[4:5], 0
	s_cbranch_vccnz .LBB152_1972
; %bb.1966:
	s_cmp_gt_i32 s16, 14
	s_mov_b64 s[6:7], -1
	s_cbranch_scc0 .LBB152_1970
; %bb.1967:
	s_cmp_eq_u32 s16, 15
	s_mov_b64 s[0:1], -1
	s_cbranch_scc0 .LBB152_1969
; %bb.1968:
	global_store_short v[0:1], v2, off
	s_mov_b64 s[0:1], 0
.LBB152_1969:
	s_mov_b64 s[6:7], 0
.LBB152_1970:
	s_and_b64 vcc, exec, s[6:7]
	s_cbranch_vccz .LBB152_1972
; %bb.1971:
	s_cmp_lg_u32 s16, 11
	s_mov_b64 s[4:5], -1
	s_cselect_b64 s[0:1], -1, 0
.LBB152_1972:
	s_and_b64 vcc, exec, s[0:1]
	s_cbranch_vccnz .LBB152_2038
.LBB152_1973:
	s_mov_b64 s[0:1], 0
	s_branch .LBB152_1975
.LBB152_1974:
	s_mov_b64 s[0:1], 0
	s_mov_b64 s[4:5], 0
                                        ; implicit-def: $sgpr20
                                        ; implicit-def: $vgpr0_vgpr1
                                        ; implicit-def: $vgpr2
.LBB152_1975:
	s_and_b64 s[10:11], s[4:5], exec
	s_andn2_b64 s[4:5], s[12:13], exec
	s_and_b64 s[6:7], s[14:15], exec
	s_and_b64 s[0:1], s[0:1], exec
	s_or_b64 s[12:13], s[4:5], s[6:7]
.LBB152_1976:
	s_or_b64 exec, exec, s[2:3]
	s_and_saveexec_b64 s[2:3], s[12:13]
	s_cbranch_execz .LBB152_1979
; %bb.1977:
	; divergent unreachable
	s_or_b64 exec, exec, s[2:3]
	s_and_saveexec_b64 s[2:3], s[10:11]
	s_xor_b64 s[2:3], exec, s[2:3]
	s_cbranch_execnz .LBB152_1980
.LBB152_1978:
	s_or_b64 exec, exec, s[2:3]
	s_and_saveexec_b64 s[2:3], s[0:1]
	s_cbranch_execnz .LBB152_1981
	s_branch .LBB152_2018
.LBB152_1979:
	s_or_b64 exec, exec, s[2:3]
	s_and_saveexec_b64 s[2:3], s[10:11]
	s_xor_b64 s[2:3], exec, s[2:3]
	s_cbranch_execz .LBB152_1978
.LBB152_1980:
	s_waitcnt vmcnt(0)
	v_and_b32_e32 v3, 0x7fff, v2
	v_cmp_ne_u16_e32 vcc, 0, v3
	s_nop 1
	v_cndmask_b32_e64 v3, 0, 1, vcc
	global_store_byte v[0:1], v3, off
	s_or_b64 exec, exec, s[2:3]
	s_and_saveexec_b64 s[2:3], s[0:1]
	s_cbranch_execz .LBB152_2018
.LBB152_1981:
	s_sext_i32_i16 s2, s20
	s_cmp_lt_i32 s2, 5
	s_mov_b64 s[0:1], -1
	s_cbranch_scc1 .LBB152_2002
; %bb.1982:
	s_cmp_lt_i32 s2, 8
	s_cbranch_scc1 .LBB152_1992
; %bb.1983:
	s_cmp_lt_i32 s2, 9
	s_cbranch_scc1 .LBB152_1989
; %bb.1984:
	s_cmp_gt_i32 s2, 9
	s_cbranch_scc0 .LBB152_1986
; %bb.1985:
	s_waitcnt vmcnt(0)
	v_lshlrev_b32_e32 v3, 16, v2
	v_mov_b32_e32 v6, 0
	v_cvt_f64_f32_e32 v[4:5], v3
	v_mov_b32_e32 v7, v6
	global_store_dwordx4 v[0:1], v[4:7], off
	s_mov_b64 s[0:1], 0
.LBB152_1986:
	s_andn2_b64 vcc, exec, s[0:1]
	s_cbranch_vccnz .LBB152_1988
; %bb.1987:
	s_waitcnt vmcnt(0)
	v_lshlrev_b32_e32 v4, 16, v2
	v_mov_b32_e32 v5, 0
	global_store_dwordx2 v[0:1], v[4:5], off
.LBB152_1988:
	s_mov_b64 s[0:1], 0
.LBB152_1989:
	s_andn2_b64 vcc, exec, s[0:1]
	s_cbranch_vccnz .LBB152_1991
; %bb.1990:
	s_waitcnt vmcnt(0)
	v_lshlrev_b32_e32 v3, 16, v2
	v_cvt_f16_f32_e32 v3, v3
	global_store_dword v[0:1], v3, off
.LBB152_1991:
	s_mov_b64 s[0:1], 0
.LBB152_1992:
	s_andn2_b64 vcc, exec, s[0:1]
	s_cbranch_vccnz .LBB152_2001
; %bb.1993:
	s_sext_i32_i16 s2, s20
	s_cmp_lt_i32 s2, 6
	s_mov_b64 s[0:1], -1
	s_cbranch_scc1 .LBB152_1999
; %bb.1994:
	s_cmp_gt_i32 s2, 6
	s_cbranch_scc0 .LBB152_1996
; %bb.1995:
	s_waitcnt vmcnt(0)
	v_lshlrev_b32_e32 v3, 16, v2
	v_cvt_f64_f32_e32 v[4:5], v3
	global_store_dwordx2 v[0:1], v[4:5], off
	s_mov_b64 s[0:1], 0
.LBB152_1996:
	s_andn2_b64 vcc, exec, s[0:1]
	s_cbranch_vccnz .LBB152_1998
; %bb.1997:
	s_waitcnt vmcnt(0)
	v_lshlrev_b32_e32 v3, 16, v2
	global_store_dword v[0:1], v3, off
.LBB152_1998:
	s_mov_b64 s[0:1], 0
.LBB152_1999:
	s_andn2_b64 vcc, exec, s[0:1]
	s_cbranch_vccnz .LBB152_2001
; %bb.2000:
	s_waitcnt vmcnt(0)
	v_lshlrev_b32_e32 v3, 16, v2
	v_cvt_f16_f32_e32 v3, v3
	global_store_short v[0:1], v3, off
.LBB152_2001:
	s_mov_b64 s[0:1], 0
.LBB152_2002:
	s_andn2_b64 vcc, exec, s[0:1]
	s_cbranch_vccnz .LBB152_2018
; %bb.2003:
	s_sext_i32_i16 s2, s20
	s_cmp_lt_i32 s2, 2
	s_mov_b64 s[0:1], -1
	s_cbranch_scc1 .LBB152_2013
; %bb.2004:
	s_cmp_lt_i32 s2, 3
	s_cbranch_scc1 .LBB152_2010
; %bb.2005:
	s_cmp_gt_i32 s2, 3
	s_cbranch_scc0 .LBB152_2007
; %bb.2006:
	s_waitcnt vmcnt(0)
	v_lshlrev_b32_e32 v3, 16, v2
	v_trunc_f32_e32 v3, v3
	s_mov_b32 s0, 0x2f800000
	v_mul_f32_e64 v4, |v3|, s0
	v_floor_f32_e32 v4, v4
	s_mov_b32 s0, 0xcf800000
	v_cvt_u32_f32_e32 v5, v4
	v_fma_f32 v4, v4, s0, |v3|
	v_cvt_u32_f32_e32 v4, v4
	v_ashrrev_i32_e32 v3, 31, v3
	v_xor_b32_e32 v5, v5, v3
	s_mov_b64 s[0:1], 0
	v_xor_b32_e32 v4, v4, v3
	v_sub_co_u32_e32 v4, vcc, v4, v3
	s_nop 1
	v_subb_co_u32_e32 v5, vcc, v5, v3, vcc
	global_store_dwordx2 v[0:1], v[4:5], off
.LBB152_2007:
	s_andn2_b64 vcc, exec, s[0:1]
	s_cbranch_vccnz .LBB152_2009
; %bb.2008:
	s_waitcnt vmcnt(0)
	v_lshlrev_b32_e32 v3, 16, v2
	v_cvt_i32_f32_e32 v3, v3
	global_store_dword v[0:1], v3, off
.LBB152_2009:
	s_mov_b64 s[0:1], 0
.LBB152_2010:
	s_andn2_b64 vcc, exec, s[0:1]
	s_cbranch_vccnz .LBB152_2012
; %bb.2011:
	s_waitcnt vmcnt(0)
	v_lshlrev_b32_e32 v3, 16, v2
	v_cvt_i32_f32_e32 v3, v3
	global_store_short v[0:1], v3, off
.LBB152_2012:
	s_mov_b64 s[0:1], 0
.LBB152_2013:
	s_andn2_b64 vcc, exec, s[0:1]
	s_cbranch_vccnz .LBB152_2018
; %bb.2014:
	s_sext_i32_i16 s2, s20
	s_mov_b64 s[0:1], -1
	s_cmp_gt_i32 s2, 0
	s_waitcnt vmcnt(0)
	v_lshlrev_b32_e32 v2, 16, v2
	s_cbranch_scc0 .LBB152_2016
; %bb.2015:
	v_cvt_i32_f32_e32 v3, v2
	s_mov_b64 s[0:1], 0
	global_store_byte v[0:1], v3, off
.LBB152_2016:
	s_andn2_b64 vcc, exec, s[0:1]
	s_cbranch_vccnz .LBB152_2018
; %bb.2017:
	v_trunc_f32_e32 v2, v2
	s_mov_b32 s0, 0x2f800000
	v_mul_f32_e64 v3, |v2|, s0
	v_floor_f32_e32 v3, v3
	s_mov_b32 s0, 0xcf800000
	v_fma_f32 v3, v3, s0, |v2|
	v_cvt_u32_f32_e32 v3, v3
	v_ashrrev_i32_e32 v2, 31, v2
	v_xor_b32_e32 v3, v3, v2
	v_sub_u32_e32 v2, v3, v2
	global_store_byte v[0:1], v2, off
	s_endpgm
.LBB152_2018:
	s_endpgm
.LBB152_2019:
	s_mov_b64 s[4:5], 0
	s_mov_b64 s[0:1], -1
	s_branch .LBB152_1975
.LBB152_2020:
	s_trap 2
	s_or_b64 s[14:15], s[14:15], exec
	s_cbranch_execz .LBB152_1489
	s_branch .LBB152_1490
.LBB152_2021:
	s_andn2_saveexec_b64 s[18:19], s[18:19]
	s_cbranch_execz .LBB152_1569
.LBB152_2022:
	s_mov_b32 s21, 0x46000000
	v_add_f32_e64 v4, |v9|, s21
	v_and_b32_e32 v4, 0xff, v4
	v_cmp_ne_u32_e32 vcc, 0, v4
	s_andn2_b64 s[16:17], s[16:17], exec
	s_and_b64 s[22:23], vcc, exec
	s_or_b64 s[16:17], s[16:17], s[22:23]
	s_or_b64 exec, exec, s[18:19]
	v_mov_b32_e32 v10, 0
	s_and_saveexec_b64 s[18:19], s[16:17]
	s_cbranch_execnz .LBB152_1570
	s_branch .LBB152_1571
.LBB152_2023:
	s_trap 2
	s_or_b64 s[14:15], s[14:15], exec
	s_cbranch_execz .LBB152_1617
	s_branch .LBB152_1618
.LBB152_2024:
	s_andn2_saveexec_b64 s[16:17], s[16:17]
	s_cbranch_execz .LBB152_1582
.LBB152_2025:
	s_mov_b32 s18, 0x42800000
	v_add_f32_e64 v4, |v9|, s18
	v_and_b32_e32 v4, 0xff, v4
	v_cmp_ne_u32_e32 vcc, 0, v4
	s_andn2_b64 s[10:11], s[10:11], exec
	s_and_b64 s[18:19], vcc, exec
	s_or_b64 s[10:11], s[10:11], s[18:19]
	s_or_b64 exec, exec, s[16:17]
	v_mov_b32_e32 v10, 0
	s_and_saveexec_b64 s[16:17], s[10:11]
	s_cbranch_execnz .LBB152_1583
	s_branch .LBB152_1584
.LBB152_2026:
	s_andn2_saveexec_b64 s[16:17], s[16:17]
	s_cbranch_execz .LBB152_1688
.LBB152_2027:
	s_mov_b32 s21, 0x46000000
	v_add_f32_e64 v5, |v6|, s21
	v_and_b32_e32 v5, 0xff, v5
	v_cmp_ne_u32_e32 vcc, 0, v5
	s_andn2_b64 s[10:11], s[10:11], exec
	s_and_b64 s[22:23], vcc, exec
	s_or_b64 s[10:11], s[10:11], s[22:23]
	s_or_b64 exec, exec, s[16:17]
	v_mov_b32_e32 v9, 0
	s_and_saveexec_b64 s[16:17], s[10:11]
	s_cbranch_execnz .LBB152_1689
	s_branch .LBB152_1690
.LBB152_2028:
	s_trap 2
	s_or_b64 s[14:15], s[14:15], exec
	s_cbranch_execz .LBB152_1736
	s_branch .LBB152_1737
.LBB152_2029:
	s_andn2_saveexec_b64 s[10:11], s[10:11]
	s_cbranch_execz .LBB152_1701
.LBB152_2030:
	s_mov_b32 s16, 0x42800000
	v_add_f32_e64 v5, |v6|, s16
	v_and_b32_e32 v5, 0xff, v5
	v_cmp_ne_u32_e32 vcc, 0, v5
	s_andn2_b64 s[8:9], s[8:9], exec
	s_and_b64 s[16:17], vcc, exec
	s_or_b64 s[8:9], s[8:9], s[16:17]
	s_or_b64 exec, exec, s[10:11]
	v_mov_b32_e32 v9, 0
	s_and_saveexec_b64 s[10:11], s[8:9]
	s_cbranch_execnz .LBB152_1702
	s_branch .LBB152_1703
.LBB152_2031:
	s_andn2_saveexec_b64 s[16:17], s[16:17]
	s_cbranch_execz .LBB152_1807
.LBB152_2032:
	s_mov_b32 s21, 0x46000000
	v_add_f32_e64 v5, |v6|, s21
	v_and_b32_e32 v5, 0xff, v5
	v_cmp_ne_u32_e32 vcc, 0, v5
	s_andn2_b64 s[10:11], s[10:11], exec
	s_and_b64 s[22:23], vcc, exec
	s_or_b64 s[10:11], s[10:11], s[22:23]
	s_or_b64 exec, exec, s[16:17]
	v_mov_b32_e32 v7, 0
	s_and_saveexec_b64 s[16:17], s[10:11]
	s_cbranch_execnz .LBB152_1808
	s_branch .LBB152_1809
.LBB152_2033:
	s_trap 2
	s_or_b64 s[14:15], s[14:15], exec
	s_cbranch_execz .LBB152_1855
	s_branch .LBB152_1856
.LBB152_2034:
	s_andn2_saveexec_b64 s[10:11], s[10:11]
	s_cbranch_execz .LBB152_1820
.LBB152_2035:
	s_mov_b32 s16, 0x42800000
	v_add_f32_e64 v5, |v6|, s16
	v_and_b32_e32 v5, 0xff, v5
	v_cmp_ne_u32_e32 vcc, 0, v5
	s_andn2_b64 s[8:9], s[8:9], exec
	s_and_b64 s[16:17], vcc, exec
	s_or_b64 s[8:9], s[8:9], s[16:17]
	s_or_b64 exec, exec, s[10:11]
	v_mov_b32_e32 v7, 0
	s_and_saveexec_b64 s[10:11], s[8:9]
	s_cbranch_execnz .LBB152_1821
	s_branch .LBB152_1822
.LBB152_2036:
	s_andn2_saveexec_b64 s[10:11], s[10:11]
	s_cbranch_execz .LBB152_1927
.LBB152_2037:
	s_mov_b32 s17, 0x46000000
	v_add_f32_e64 v4, |v5|, s17
	v_and_b32_e32 v4, 0xff, v4
	v_cmp_ne_u32_e32 vcc, 0, v4
	s_andn2_b64 s[8:9], s[8:9], exec
	s_and_b64 s[18:19], vcc, exec
	s_or_b64 s[8:9], s[8:9], s[18:19]
	s_or_b64 exec, exec, s[10:11]
	v_mov_b32_e32 v6, 0
	s_and_saveexec_b64 s[10:11], s[8:9]
	s_cbranch_execnz .LBB152_1928
	s_branch .LBB152_1929
.LBB152_2038:
	s_mov_b64 s[4:5], 0
	s_or_b64 s[14:15], s[14:15], exec
	s_trap 2
	s_branch .LBB152_1973
.LBB152_2039:
	s_andn2_saveexec_b64 s[8:9], s[8:9]
	s_cbranch_execz .LBB152_1939
.LBB152_2040:
	s_mov_b32 s10, 0x42800000
	v_add_f32_e64 v4, |v5|, s10
	v_and_b32_e32 v4, 0xff, v4
	v_cmp_ne_u32_e32 vcc, 0, v4
	s_andn2_b64 s[6:7], s[6:7], exec
	s_and_b64 s[10:11], vcc, exec
	s_or_b64 s[6:7], s[6:7], s[10:11]
	s_or_b64 exec, exec, s[8:9]
	v_mov_b32_e32 v6, 0
	s_and_saveexec_b64 s[8:9], s[6:7]
	s_cbranch_execnz .LBB152_1940
	s_branch .LBB152_1941
	.section	.rodata,"a",@progbits
	.p2align	6, 0x0
	.amdhsa_kernel _ZN2at6native32elementwise_kernel_manual_unrollILi128ELi4EZNS0_15gpu_kernel_implIZZZNS0_17expm1_kernel_cudaERNS_18TensorIteratorBaseEENKUlvE_clEvENKUlvE3_clEvEUlN3c108BFloat16EE_EEvS4_RKT_EUlibE_EEviT1_
		.amdhsa_group_segment_fixed_size 0
		.amdhsa_private_segment_fixed_size 0
		.amdhsa_kernarg_size 40
		.amdhsa_user_sgpr_count 2
		.amdhsa_user_sgpr_dispatch_ptr 0
		.amdhsa_user_sgpr_queue_ptr 0
		.amdhsa_user_sgpr_kernarg_segment_ptr 1
		.amdhsa_user_sgpr_dispatch_id 0
		.amdhsa_user_sgpr_kernarg_preload_length 0
		.amdhsa_user_sgpr_kernarg_preload_offset 0
		.amdhsa_user_sgpr_private_segment_size 0
		.amdhsa_uses_dynamic_stack 0
		.amdhsa_enable_private_segment 0
		.amdhsa_system_sgpr_workgroup_id_x 1
		.amdhsa_system_sgpr_workgroup_id_y 0
		.amdhsa_system_sgpr_workgroup_id_z 0
		.amdhsa_system_sgpr_workgroup_info 0
		.amdhsa_system_vgpr_workitem_id 0
		.amdhsa_next_free_vgpr 14
		.amdhsa_next_free_sgpr 44
		.amdhsa_accum_offset 16
		.amdhsa_reserve_vcc 1
		.amdhsa_float_round_mode_32 0
		.amdhsa_float_round_mode_16_64 0
		.amdhsa_float_denorm_mode_32 3
		.amdhsa_float_denorm_mode_16_64 3
		.amdhsa_dx10_clamp 1
		.amdhsa_ieee_mode 1
		.amdhsa_fp16_overflow 0
		.amdhsa_tg_split 0
		.amdhsa_exception_fp_ieee_invalid_op 0
		.amdhsa_exception_fp_denorm_src 0
		.amdhsa_exception_fp_ieee_div_zero 0
		.amdhsa_exception_fp_ieee_overflow 0
		.amdhsa_exception_fp_ieee_underflow 0
		.amdhsa_exception_fp_ieee_inexact 0
		.amdhsa_exception_int_div_zero 0
	.end_amdhsa_kernel
	.section	.text._ZN2at6native32elementwise_kernel_manual_unrollILi128ELi4EZNS0_15gpu_kernel_implIZZZNS0_17expm1_kernel_cudaERNS_18TensorIteratorBaseEENKUlvE_clEvENKUlvE3_clEvEUlN3c108BFloat16EE_EEvS4_RKT_EUlibE_EEviT1_,"axG",@progbits,_ZN2at6native32elementwise_kernel_manual_unrollILi128ELi4EZNS0_15gpu_kernel_implIZZZNS0_17expm1_kernel_cudaERNS_18TensorIteratorBaseEENKUlvE_clEvENKUlvE3_clEvEUlN3c108BFloat16EE_EEvS4_RKT_EUlibE_EEviT1_,comdat
.Lfunc_end152:
	.size	_ZN2at6native32elementwise_kernel_manual_unrollILi128ELi4EZNS0_15gpu_kernel_implIZZZNS0_17expm1_kernel_cudaERNS_18TensorIteratorBaseEENKUlvE_clEvENKUlvE3_clEvEUlN3c108BFloat16EE_EEvS4_RKT_EUlibE_EEviT1_, .Lfunc_end152-_ZN2at6native32elementwise_kernel_manual_unrollILi128ELi4EZNS0_15gpu_kernel_implIZZZNS0_17expm1_kernel_cudaERNS_18TensorIteratorBaseEENKUlvE_clEvENKUlvE3_clEvEUlN3c108BFloat16EE_EEvS4_RKT_EUlibE_EEviT1_
                                        ; -- End function
	.set _ZN2at6native32elementwise_kernel_manual_unrollILi128ELi4EZNS0_15gpu_kernel_implIZZZNS0_17expm1_kernel_cudaERNS_18TensorIteratorBaseEENKUlvE_clEvENKUlvE3_clEvEUlN3c108BFloat16EE_EEvS4_RKT_EUlibE_EEviT1_.num_vgpr, 14
	.set _ZN2at6native32elementwise_kernel_manual_unrollILi128ELi4EZNS0_15gpu_kernel_implIZZZNS0_17expm1_kernel_cudaERNS_18TensorIteratorBaseEENKUlvE_clEvENKUlvE3_clEvEUlN3c108BFloat16EE_EEvS4_RKT_EUlibE_EEviT1_.num_agpr, 0
	.set _ZN2at6native32elementwise_kernel_manual_unrollILi128ELi4EZNS0_15gpu_kernel_implIZZZNS0_17expm1_kernel_cudaERNS_18TensorIteratorBaseEENKUlvE_clEvENKUlvE3_clEvEUlN3c108BFloat16EE_EEvS4_RKT_EUlibE_EEviT1_.numbered_sgpr, 44
	.set _ZN2at6native32elementwise_kernel_manual_unrollILi128ELi4EZNS0_15gpu_kernel_implIZZZNS0_17expm1_kernel_cudaERNS_18TensorIteratorBaseEENKUlvE_clEvENKUlvE3_clEvEUlN3c108BFloat16EE_EEvS4_RKT_EUlibE_EEviT1_.num_named_barrier, 0
	.set _ZN2at6native32elementwise_kernel_manual_unrollILi128ELi4EZNS0_15gpu_kernel_implIZZZNS0_17expm1_kernel_cudaERNS_18TensorIteratorBaseEENKUlvE_clEvENKUlvE3_clEvEUlN3c108BFloat16EE_EEvS4_RKT_EUlibE_EEviT1_.private_seg_size, 0
	.set _ZN2at6native32elementwise_kernel_manual_unrollILi128ELi4EZNS0_15gpu_kernel_implIZZZNS0_17expm1_kernel_cudaERNS_18TensorIteratorBaseEENKUlvE_clEvENKUlvE3_clEvEUlN3c108BFloat16EE_EEvS4_RKT_EUlibE_EEviT1_.uses_vcc, 1
	.set _ZN2at6native32elementwise_kernel_manual_unrollILi128ELi4EZNS0_15gpu_kernel_implIZZZNS0_17expm1_kernel_cudaERNS_18TensorIteratorBaseEENKUlvE_clEvENKUlvE3_clEvEUlN3c108BFloat16EE_EEvS4_RKT_EUlibE_EEviT1_.uses_flat_scratch, 0
	.set _ZN2at6native32elementwise_kernel_manual_unrollILi128ELi4EZNS0_15gpu_kernel_implIZZZNS0_17expm1_kernel_cudaERNS_18TensorIteratorBaseEENKUlvE_clEvENKUlvE3_clEvEUlN3c108BFloat16EE_EEvS4_RKT_EUlibE_EEviT1_.has_dyn_sized_stack, 0
	.set _ZN2at6native32elementwise_kernel_manual_unrollILi128ELi4EZNS0_15gpu_kernel_implIZZZNS0_17expm1_kernel_cudaERNS_18TensorIteratorBaseEENKUlvE_clEvENKUlvE3_clEvEUlN3c108BFloat16EE_EEvS4_RKT_EUlibE_EEviT1_.has_recursion, 0
	.set _ZN2at6native32elementwise_kernel_manual_unrollILi128ELi4EZNS0_15gpu_kernel_implIZZZNS0_17expm1_kernel_cudaERNS_18TensorIteratorBaseEENKUlvE_clEvENKUlvE3_clEvEUlN3c108BFloat16EE_EEvS4_RKT_EUlibE_EEviT1_.has_indirect_call, 0
	.section	.AMDGPU.csdata,"",@progbits
; Kernel info:
; codeLenInByte = 39916
; TotalNumSgprs: 50
; NumVgprs: 14
; NumAgprs: 0
; TotalNumVgprs: 14
; ScratchSize: 0
; MemoryBound: 0
; FloatMode: 240
; IeeeMode: 1
; LDSByteSize: 0 bytes/workgroup (compile time only)
; SGPRBlocks: 6
; VGPRBlocks: 1
; NumSGPRsForWavesPerEU: 50
; NumVGPRsForWavesPerEU: 14
; AccumOffset: 16
; Occupancy: 8
; WaveLimiterHint : 0
; COMPUTE_PGM_RSRC2:SCRATCH_EN: 0
; COMPUTE_PGM_RSRC2:USER_SGPR: 2
; COMPUTE_PGM_RSRC2:TRAP_HANDLER: 0
; COMPUTE_PGM_RSRC2:TGID_X_EN: 1
; COMPUTE_PGM_RSRC2:TGID_Y_EN: 0
; COMPUTE_PGM_RSRC2:TGID_Z_EN: 0
; COMPUTE_PGM_RSRC2:TIDIG_COMP_CNT: 0
; COMPUTE_PGM_RSRC3_GFX90A:ACCUM_OFFSET: 3
; COMPUTE_PGM_RSRC3_GFX90A:TG_SPLIT: 0
	.section	.text._ZN2at6native32elementwise_kernel_manual_unrollILi128ELi4EZNS0_15gpu_kernel_implIZZZNS0_17expm1_kernel_cudaERNS_18TensorIteratorBaseEENKUlvE_clEvENKUlvE3_clEvEUlN3c108BFloat16EE_EEvS4_RKT_EUlibE0_EEviT1_,"axG",@progbits,_ZN2at6native32elementwise_kernel_manual_unrollILi128ELi4EZNS0_15gpu_kernel_implIZZZNS0_17expm1_kernel_cudaERNS_18TensorIteratorBaseEENKUlvE_clEvENKUlvE3_clEvEUlN3c108BFloat16EE_EEvS4_RKT_EUlibE0_EEviT1_,comdat
	.globl	_ZN2at6native32elementwise_kernel_manual_unrollILi128ELi4EZNS0_15gpu_kernel_implIZZZNS0_17expm1_kernel_cudaERNS_18TensorIteratorBaseEENKUlvE_clEvENKUlvE3_clEvEUlN3c108BFloat16EE_EEvS4_RKT_EUlibE0_EEviT1_ ; -- Begin function _ZN2at6native32elementwise_kernel_manual_unrollILi128ELi4EZNS0_15gpu_kernel_implIZZZNS0_17expm1_kernel_cudaERNS_18TensorIteratorBaseEENKUlvE_clEvENKUlvE3_clEvEUlN3c108BFloat16EE_EEvS4_RKT_EUlibE0_EEviT1_
	.p2align	8
	.type	_ZN2at6native32elementwise_kernel_manual_unrollILi128ELi4EZNS0_15gpu_kernel_implIZZZNS0_17expm1_kernel_cudaERNS_18TensorIteratorBaseEENKUlvE_clEvENKUlvE3_clEvEUlN3c108BFloat16EE_EEvS4_RKT_EUlibE0_EEviT1_,@function
_ZN2at6native32elementwise_kernel_manual_unrollILi128ELi4EZNS0_15gpu_kernel_implIZZZNS0_17expm1_kernel_cudaERNS_18TensorIteratorBaseEENKUlvE_clEvENKUlvE3_clEvEUlN3c108BFloat16EE_EEvS4_RKT_EUlibE0_EEviT1_: ; @_ZN2at6native32elementwise_kernel_manual_unrollILi128ELi4EZNS0_15gpu_kernel_implIZZZNS0_17expm1_kernel_cudaERNS_18TensorIteratorBaseEENKUlvE_clEvENKUlvE3_clEvEUlN3c108BFloat16EE_EEvS4_RKT_EUlibE0_EEviT1_
; %bb.0:
	s_load_dword s70, s[0:1], 0x0
	s_load_dword s33, s[0:1], 0x8
	s_add_u32 s34, s0, 8
	s_addc_u32 s35, s1, 0
	v_lshl_or_b32 v8, s2, 9, v0
	v_or_b32_e32 v16, 0x180, v8
	s_waitcnt lgkmcnt(0)
	s_add_i32 s72, s33, -1
	s_cmp_gt_u32 s72, 1
	v_cmp_le_i32_e32 vcc, s70, v16
	s_cselect_b64 s[42:43], -1, 0
	s_mov_b64 s[40:41], 0
	s_mov_b64 s[24:25], 0
	s_and_saveexec_b64 s[2:3], vcc
	s_xor_b64 s[44:45], exec, s[2:3]
	s_cbranch_execz .LBB153_1090
; %bb.1:
	v_mov_b32_e32 v0, 0
	global_load_ushort v0, v0, s[34:35] offset:345
	s_load_dwordx4 s[28:31], s[34:35], 0x4
	s_load_dwordx2 s[46:47], s[34:35], 0x14
	s_load_dwordx4 s[24:27], s[34:35], 0xc4
	s_load_dwordx4 s[20:23], s[34:35], 0x148
	s_cmp_lg_u32 s33, 0
	s_cselect_b64 s[52:53], -1, 0
	s_add_u32 s50, s34, 0xc4
	s_addc_u32 s51, s35, 0
	s_min_u32 s75, s72, 15
	s_cmp_gt_u32 s33, 1
	s_cselect_b64 s[48:49], -1, 0
	v_cmp_gt_i32_e32 vcc, s70, v8
	s_mov_b64 s[4:5], -1
	s_mov_b64 s[62:63], 0
	s_mov_b64 s[56:57], 0
	;; [unrolled: 1-line block ×3, first 2 shown]
	s_waitcnt vmcnt(0)
	v_readfirstlane_b32 s73, v0
	s_and_b32 s2, 0xffff, s73
	s_lshr_b32 s74, s2, 8
	s_and_saveexec_b64 s[58:59], vcc
	s_cbranch_execz .LBB153_267
; %bb.2:
	s_andn2_b64 vcc, exec, s[42:43]
	s_cbranch_vccnz .LBB153_8
; %bb.3:
	s_andn2_b64 vcc, exec, s[52:53]
	s_cbranch_vccnz .LBB153_9
; %bb.4:
	s_add_i32 s57, s75, 1
	s_cmp_eq_u32 s72, 2
	s_cbranch_scc1 .LBB153_10
; %bb.5:
	s_and_b32 s56, s57, 28
	s_mov_b32 s60, 0
	v_mov_b32_e32 v0, 0
	v_mov_b32_e32 v2, 0
	s_mov_b64 s[2:3], s[34:35]
	s_mov_b64 s[54:55], s[50:51]
	v_mov_b32_e32 v4, v8
.LBB153_6:                              ; =>This Inner Loop Header: Depth=1
	s_load_dwordx8 s[12:19], s[2:3], 0x4
	s_load_dwordx4 s[36:39], s[2:3], 0x24
	s_load_dwordx8 s[4:11], s[54:55], 0x0
	s_add_u32 s2, s2, 48
	s_addc_u32 s3, s3, 0
	s_waitcnt lgkmcnt(0)
	v_mul_hi_u32 v1, s13, v4
	v_add_u32_e32 v1, v4, v1
	v_lshrrev_b32_e32 v1, s14, v1
	v_mul_lo_u32 v3, v1, s12
	v_mul_hi_u32 v5, s16, v1
	v_sub_u32_e32 v3, v4, v3
	v_add_u32_e32 v4, v1, v5
	v_lshrrev_b32_e32 v4, s17, v4
	v_mul_lo_u32 v6, v4, s15
	v_mul_hi_u32 v7, s19, v4
	v_sub_u32_e32 v1, v1, v6
	v_add_u32_e32 v6, v4, v7
	v_mul_lo_u32 v5, v3, s5
	v_mul_lo_u32 v3, v3, s4
	;; [unrolled: 1-line block ×4, first 2 shown]
	v_lshrrev_b32_e32 v6, s36, v6
	v_add3_u32 v0, v3, v0, v1
	v_mul_hi_u32 v3, s38, v6
	v_add3_u32 v1, v5, v2, v7
	v_mul_lo_u32 v2, v6, s18
	v_add_u32_e32 v3, v6, v3
	v_sub_u32_e32 v2, v4, v2
	v_lshrrev_b32_e32 v4, s39, v3
	s_add_i32 s60, s60, 4
	v_mul_lo_u32 v3, v4, s37
	s_add_u32 s54, s54, 32
	v_sub_u32_e32 v3, v6, v3
	s_addc_u32 s55, s55, 0
	v_mul_lo_u32 v5, v2, s8
	v_mul_lo_u32 v2, v2, s9
	;; [unrolled: 1-line block ×4, first 2 shown]
	s_cmp_lg_u32 s56, s60
	v_add3_u32 v2, v2, v1, v3
	v_add3_u32 v0, v5, v0, v6
	s_cbranch_scc1 .LBB153_6
; %bb.7:
	v_mov_b32_e32 v1, v2
	s_branch .LBB153_11
.LBB153_8:
                                        ; implicit-def: $vgpr2
                                        ; implicit-def: $vgpr0
	s_branch .LBB153_15
.LBB153_9:
	v_mov_b32_e32 v2, 0
	v_mov_b32_e32 v0, 0
	s_branch .LBB153_14
.LBB153_10:
	v_mov_b32_e32 v0, 0
	s_mov_b32 s56, 0
	v_mov_b32_e32 v1, v0
                                        ; implicit-def: $vgpr2
	v_mov_b32_e32 v4, v8
.LBB153_11:
	s_and_b32 s6, s57, 3
	s_cmp_eq_u32 s6, 0
	s_cbranch_scc1 .LBB153_14
; %bb.12:
	s_lshl_b32 s2, s56, 3
	s_add_u32 s2, s34, s2
	s_addc_u32 s3, s35, 0
	s_add_u32 s2, s2, 0xc4
	s_addc_u32 s3, s3, 0
	s_mul_i32 s4, s56, 12
	s_add_u32 s4, s34, s4
	s_addc_u32 s5, s35, 0
.LBB153_13:                             ; =>This Inner Loop Header: Depth=1
	s_load_dwordx2 s[8:9], s[4:5], 0x4
	s_load_dword s7, s[4:5], 0xc
	s_load_dwordx2 s[10:11], s[2:3], 0x0
	v_mov_b32_e32 v2, v1
	s_add_u32 s4, s4, 12
	s_waitcnt lgkmcnt(0)
	v_mul_hi_u32 v1, s9, v4
	v_add_u32_e32 v1, v4, v1
	v_lshrrev_b32_e32 v1, s7, v1
	s_addc_u32 s5, s5, 0
	v_mul_lo_u32 v3, v1, s8
	s_add_u32 s2, s2, 8
	v_sub_u32_e32 v5, v4, v3
	s_addc_u32 s3, s3, 0
	s_add_i32 s6, s6, -1
	v_mov_b32_e32 v4, v1
	v_mad_u64_u32 v[2:3], s[8:9], v5, s11, v[2:3]
	v_mad_u64_u32 v[0:1], s[8:9], v5, s10, v[0:1]
	s_cmp_lg_u32 s6, 0
	v_mov_b32_e32 v1, v2
	s_cbranch_scc1 .LBB153_13
.LBB153_14:
	s_cbranch_execnz .LBB153_17
.LBB153_15:
	s_waitcnt lgkmcnt(0)
	v_mul_hi_u32 v0, s29, v8
	v_add_u32_e32 v0, v8, v0
	v_lshrrev_b32_e32 v1, s30, v0
	v_mul_lo_u32 v0, v1, s28
	v_sub_u32_e32 v0, v8, v0
	v_mul_lo_u32 v2, v0, s25
	s_andn2_b64 vcc, exec, s[48:49]
	v_mul_lo_u32 v0, v0, s24
	s_cbranch_vccnz .LBB153_17
; %bb.16:
	v_mul_hi_u32 v3, s46, v1
	v_add_u32_e32 v3, v1, v3
	v_lshrrev_b32_e32 v3, s47, v3
	v_mul_lo_u32 v3, v3, s31
	v_sub_u32_e32 v3, v1, v3
	v_mad_u64_u32 v[0:1], s[2:3], v3, s26, v[0:1]
	v_mad_u64_u32 v[2:3], s[2:3], v3, s27, v[2:3]
.LBB153_17:
	v_mov_b32_e32 v3, 0
	s_and_b32 s10, 0xffff, s74
	s_cmp_lt_i32 s10, 11
	s_waitcnt lgkmcnt(0)
	v_lshl_add_u64 v[2:3], s[22:23], 0, v[2:3]
	s_cbranch_scc1 .LBB153_24
; %bb.18:
	s_cmp_gt_i32 s10, 25
	s_cbranch_scc0 .LBB153_33
; %bb.19:
	s_cmp_gt_i32 s10, 28
	s_cbranch_scc0 .LBB153_36
	;; [unrolled: 3-line block ×4, first 2 shown]
; %bb.22:
	s_cmp_eq_u32 s10, 46
	s_mov_b64 s[6:7], 0
	s_cbranch_scc0 .LBB153_42
; %bb.23:
	global_load_dword v1, v[2:3], off
	s_mov_b64 s[2:3], -1
	s_mov_b64 s[4:5], 0
	s_branch .LBB153_44
.LBB153_24:
	s_mov_b64 s[4:5], 0
                                        ; implicit-def: $vgpr1
	s_mov_b64 s[2:3], 0
	s_cbranch_execnz .LBB153_217
.LBB153_25:
	s_andn2_b64 vcc, exec, s[2:3]
	s_cbranch_vccnz .LBB153_264
.LBB153_26:
	s_waitcnt vmcnt(0)
	v_lshlrev_b32_e32 v1, 16, v1
	v_mul_f32_e32 v2, 0x3fb8aa3b, v1
	v_rndne_f32_e32 v2, v2
	v_fmamk_f32 v3, v2, 0xbf317218, v1
	v_fmamk_f32 v3, v2, 0x3102e308, v3
	v_mov_b32_e32 v4, 0x3ab69700
	v_fmac_f32_e32 v4, 0x395133b1, v3
	v_fmaak_f32 v4, v3, v4, 0x3c0887f9
	v_fmaak_f32 v4, v3, v4, 0x3d2aaa81
	v_cvt_i32_f32_e32 v5, v2
	v_fmaak_f32 v4, v3, v4, 0x3e2aaaab
	v_fma_f32 v4, v3, v4, 0.5
	v_mul_f32_e32 v4, v3, v4
	s_mov_b32 s2, 0x43000000
	v_fmac_f32_e32 v3, v3, v4
	v_ldexp_f32 v4, 1.0, v5
	v_mov_b32_e32 v5, 0x7f000000
	v_cmp_eq_f32_e32 vcc, s2, v2
	s_mov_b32 s2, 0x42b17217
	s_and_b32 s12, s73, 0xff
	v_cndmask_b32_e32 v2, v4, v5, vcc
	v_add_f32_e32 v4, -1.0, v2
	v_fmac_f32_e32 v4, v2, v3
	v_add_f32_e32 v2, v4, v4
	v_cndmask_b32_e32 v2, v4, v2, vcc
	v_mov_b32_e32 v3, 0x7f800000
	v_cmp_nlt_f32_e32 vcc, s2, v1
	s_mov_b32 s2, 0xc1880000
	s_cmp_lt_i32 s12, 11
	v_cndmask_b32_e32 v2, v3, v2, vcc
	v_cmp_ngt_f32_e32 vcc, s2, v1
	s_movk_i32 s2, 0x7fff
	s_nop 0
	v_cndmask_b32_e32 v1, -1.0, v2, vcc
	v_bfe_u32 v2, v1, 16, 1
	v_add3_u32 v2, v1, v2, s2
	v_cmp_o_f32_e32 vcc, v1, v1
	v_mov_b32_e32 v1, 0x7fc0
	s_nop 0
	v_cndmask_b32_sdwa v2, v1, v2, vcc dst_sel:DWORD dst_unused:UNUSED_PAD src0_sel:DWORD src1_sel:WORD_1
	v_mov_b32_e32 v1, 0
	v_lshl_add_u64 v[0:1], s[20:21], 0, v[0:1]
	s_cbranch_scc1 .LBB153_34
; %bb.27:
	s_and_b32 s13, 0xffff, s12
	s_cmp_gt_i32 s13, 25
	s_cbranch_scc0 .LBB153_37
; %bb.28:
	s_cmp_gt_i32 s13, 28
	s_cbranch_scc0 .LBB153_39
; %bb.29:
	s_cmp_gt_i32 s13, 43
	s_cbranch_scc0 .LBB153_41
; %bb.30:
	s_cmp_gt_i32 s13, 45
	s_cbranch_scc0 .LBB153_47
; %bb.31:
	s_mov_b64 s[8:9], 0
	s_mov_b64 s[2:3], -1
	s_cmp_eq_u32 s13, 46
	s_mov_b64 s[6:7], 0
	s_cbranch_scc0 .LBB153_48
; %bb.32:
	v_and_b32_e32 v3, 0xffff, v2
	global_store_dword v[0:1], v3, off
	s_mov_b64 s[6:7], -1
	s_mov_b64 s[2:3], 0
	s_branch .LBB153_48
.LBB153_33:
	s_mov_b64 s[4:5], 0
	s_mov_b64 s[2:3], 0
                                        ; implicit-def: $vgpr1
	s_cbranch_execnz .LBB153_182
	s_branch .LBB153_216
.LBB153_34:
	s_mov_b64 s[2:3], 0
	s_mov_b64 s[6:7], 0
	s_cbranch_execnz .LBB153_117
.LBB153_35:
	s_andn2_b64 vcc, exec, s[6:7]
	s_cbranch_vccnz .LBB153_265
	s_branch .LBB153_155
.LBB153_36:
	s_mov_b64 s[6:7], -1
	s_mov_b64 s[4:5], 0
	s_mov_b64 s[2:3], 0
                                        ; implicit-def: $vgpr1
	s_branch .LBB153_163
.LBB153_37:
	s_mov_b64 s[8:9], -1
	s_mov_b64 s[2:3], 0
	s_mov_b64 s[6:7], 0
	s_branch .LBB153_75
.LBB153_38:
	s_mov_b64 s[6:7], -1
	s_mov_b64 s[4:5], 0
	s_mov_b64 s[2:3], 0
                                        ; implicit-def: $vgpr1
	s_branch .LBB153_158
.LBB153_39:
	s_mov_b64 s[8:9], -1
	s_mov_b64 s[2:3], 0
	s_mov_b64 s[6:7], 0
	s_branch .LBB153_58
.LBB153_40:
	s_mov_b64 s[6:7], -1
	s_mov_b64 s[4:5], 0
	s_branch .LBB153_43
.LBB153_41:
	s_mov_b64 s[8:9], -1
	s_mov_b64 s[2:3], 0
	s_mov_b64 s[6:7], 0
	s_branch .LBB153_54
.LBB153_42:
	s_mov_b64 s[4:5], -1
.LBB153_43:
	s_mov_b64 s[2:3], 0
                                        ; implicit-def: $vgpr1
.LBB153_44:
	s_and_b64 vcc, exec, s[6:7]
	s_cbranch_vccz .LBB153_157
; %bb.45:
	s_cmp_eq_u32 s10, 44
	s_cbranch_scc0 .LBB153_156
; %bb.46:
	global_load_ubyte v1, v[2:3], off
	s_movk_i32 s4, 0xff
	v_mov_b32_e32 v4, 0x7f800001
	v_mov_b32_e32 v5, 0x400000
	;; [unrolled: 1-line block ×3, first 2 shown]
	s_mov_b64 s[2:3], -1
	s_waitcnt vmcnt(0)
	v_lshlrev_b32_e32 v7, 23, v1
	v_cmp_ne_u32_e32 vcc, s4, v1
	s_mov_b64 s[4:5], 0
	s_nop 0
	v_cndmask_b32_e32 v4, v4, v7, vcc
	v_cmp_ne_u32_e32 vcc, 0, v1
	s_nop 1
	v_cndmask_b32_e32 v1, v5, v4, vcc
	v_add_u32_e32 v4, 0x7fff, v1
	v_cmp_o_f32_e32 vcc, v1, v1
	s_nop 1
	v_cndmask_b32_sdwa v1, v6, v4, vcc dst_sel:DWORD dst_unused:UNUSED_PAD src0_sel:DWORD src1_sel:WORD_1
	s_branch .LBB153_157
.LBB153_47:
	s_mov_b64 s[8:9], -1
	s_mov_b64 s[2:3], 0
	s_mov_b64 s[6:7], 0
.LBB153_48:
	s_and_b64 vcc, exec, s[8:9]
	s_cbranch_vccz .LBB153_53
; %bb.49:
	s_cmp_eq_u32 s13, 44
	s_mov_b64 s[2:3], -1
	s_cbranch_scc0 .LBB153_53
; %bb.50:
	v_and_b32_e32 v4, 0xffff, v2
	v_bfe_u32 v3, v4, 7, 8
	s_movk_i32 s2, 0xff
	v_cmp_ne_u32_e32 vcc, s2, v3
	v_mov_b32_e32 v5, 0xff
	s_and_saveexec_b64 s[6:7], vcc
	s_cbranch_execz .LBB153_52
; %bb.51:
	v_lshlrev_b32_e32 v6, 16, v4
	s_mov_b32 s2, 0x3f0000
	v_lshrrev_b32_e32 v5, 7, v4
	v_and_b32_e32 v4, 64, v4
	v_and_or_b32 v3, v6, s2, v3
	v_cmp_ne_u32_e32 vcc, 0, v4
	v_cmp_ne_u32_e64 s[2:3], 0, v3
	s_and_b64 s[2:3], vcc, s[2:3]
	s_nop 0
	v_cndmask_b32_e64 v3, 0, 1, s[2:3]
	v_add_u32_e32 v5, v5, v3
.LBB153_52:
	s_or_b64 exec, exec, s[6:7]
	s_mov_b64 s[6:7], -1
	s_mov_b64 s[2:3], 0
	global_store_byte v[0:1], v5, off
.LBB153_53:
	s_mov_b64 s[8:9], 0
.LBB153_54:
	s_and_b64 vcc, exec, s[8:9]
	s_cbranch_vccz .LBB153_57
; %bb.55:
	s_cmp_eq_u32 s13, 29
	s_mov_b64 s[2:3], -1
	s_cbranch_scc0 .LBB153_57
; %bb.56:
	v_lshlrev_b32_e32 v3, 16, v2
	v_trunc_f32_e32 v3, v3
	v_mul_f32_e32 v4, 0x2f800000, v3
	v_floor_f32_e32 v4, v4
	v_fmamk_f32 v3, v4, 0xcf800000, v3
	v_cvt_u32_f32_e32 v5, v4
	v_cvt_u32_f32_e32 v4, v3
	s_mov_b64 s[6:7], -1
	s_mov_b64 s[2:3], 0
	s_mov_b64 s[8:9], 0
	global_store_dwordx2 v[0:1], v[4:5], off
	s_branch .LBB153_58
.LBB153_57:
	s_mov_b64 s[8:9], 0
.LBB153_58:
	s_and_b64 vcc, exec, s[8:9]
	s_cbranch_vccz .LBB153_74
; %bb.59:
	s_cmp_lt_i32 s13, 27
	s_mov_b64 s[6:7], -1
	s_cbranch_scc1 .LBB153_65
; %bb.60:
	s_cmp_gt_i32 s13, 27
	s_cbranch_scc0 .LBB153_62
; %bb.61:
	v_lshlrev_b32_e32 v3, 16, v2
	v_cvt_u32_f32_e32 v3, v3
	s_mov_b64 s[6:7], 0
	global_store_dword v[0:1], v3, off
.LBB153_62:
	s_andn2_b64 vcc, exec, s[6:7]
	s_cbranch_vccnz .LBB153_64
; %bb.63:
	v_lshlrev_b32_e32 v3, 16, v2
	v_cvt_u32_f32_e32 v3, v3
	global_store_short v[0:1], v3, off
.LBB153_64:
	s_mov_b64 s[6:7], 0
.LBB153_65:
	s_andn2_b64 vcc, exec, s[6:7]
	s_cbranch_vccnz .LBB153_73
; %bb.66:
	v_lshlrev_b32_e32 v5, 16, v2
	v_and_b32_e32 v4, 0x7fffffff, v5
	s_mov_b32 s6, 0x43800000
	v_cmp_gt_u32_e32 vcc, s6, v4
	v_mov_b32_e32 v6, 0x80
	s_and_saveexec_b64 s[6:7], vcc
	s_cbranch_execz .LBB153_72
; %bb.67:
	s_mov_b32 s8, 0x3bffffff
	v_and_b32_e32 v3, 0xffff, v2
	v_cmp_lt_u32_e32 vcc, s8, v4
	s_mov_b64 s[8:9], 0
                                        ; implicit-def: $vgpr4
	s_and_saveexec_b64 s[10:11], vcc
	s_xor_b64 s[10:11], exec, s[10:11]
	s_cbranch_execz .LBB153_309
; %bb.68:
	v_bfe_u32 v4, v3, 4, 1
	s_mov_b32 s14, 0x487ffff
	v_add3_u32 v4, v5, v4, s14
	s_mov_b64 s[8:9], exec
	v_lshrrev_b32_e32 v4, 20, v4
                                        ; implicit-def: $vgpr5
	s_andn2_saveexec_b64 s[10:11], s[10:11]
	s_cbranch_execnz .LBB153_310
.LBB153_69:
	s_or_b64 exec, exec, s[10:11]
	v_mov_b32_e32 v6, 0
	s_and_saveexec_b64 s[10:11], s[8:9]
.LBB153_70:
	v_lshrrev_b32_e32 v3, 8, v3
	s_movk_i32 s8, 0x80
	v_and_or_b32 v6, v3, s8, v4
.LBB153_71:
	s_or_b64 exec, exec, s[10:11]
.LBB153_72:
	s_or_b64 exec, exec, s[6:7]
	global_store_byte v[0:1], v6, off
.LBB153_73:
	s_mov_b64 s[6:7], -1
.LBB153_74:
	s_mov_b64 s[8:9], 0
.LBB153_75:
	s_and_b64 vcc, exec, s[8:9]
	s_cbranch_vccz .LBB153_116
; %bb.76:
	s_cmp_gt_i32 s13, 22
	s_mov_b64 s[8:9], -1
	s_cbranch_scc0 .LBB153_108
; %bb.77:
	s_cmp_lt_i32 s13, 24
	s_mov_b64 s[6:7], -1
	s_cbranch_scc1 .LBB153_97
; %bb.78:
	s_cmp_gt_i32 s13, 24
	s_cbranch_scc0 .LBB153_86
; %bb.79:
	v_lshlrev_b32_e32 v5, 16, v2
	v_and_b32_e32 v4, 0x7fffffff, v5
	s_mov_b32 s6, 0x47800000
	v_cmp_gt_u32_e32 vcc, s6, v4
	v_mov_b32_e32 v6, 0x80
	s_and_saveexec_b64 s[6:7], vcc
	s_cbranch_execz .LBB153_85
; %bb.80:
	s_mov_b32 s8, 0x37ffffff
	v_and_b32_e32 v3, 0xffff, v2
	v_cmp_lt_u32_e32 vcc, s8, v4
	s_mov_b64 s[8:9], 0
                                        ; implicit-def: $vgpr4
	s_and_saveexec_b64 s[10:11], vcc
	s_xor_b64 s[10:11], exec, s[10:11]
	s_cbranch_execz .LBB153_313
; %bb.81:
	v_bfe_u32 v4, v3, 5, 1
	s_mov_b32 s14, 0x88fffff
	v_add3_u32 v4, v5, v4, s14
	s_mov_b64 s[8:9], exec
	v_lshrrev_b32_e32 v4, 21, v4
                                        ; implicit-def: $vgpr5
	s_andn2_saveexec_b64 s[10:11], s[10:11]
	s_cbranch_execnz .LBB153_314
.LBB153_82:
	s_or_b64 exec, exec, s[10:11]
	v_mov_b32_e32 v6, 0
	s_and_saveexec_b64 s[10:11], s[8:9]
.LBB153_83:
	v_lshrrev_b32_e32 v3, 8, v3
	s_movk_i32 s8, 0x80
	v_and_or_b32 v6, v3, s8, v4
.LBB153_84:
	s_or_b64 exec, exec, s[10:11]
.LBB153_85:
	s_or_b64 exec, exec, s[6:7]
	s_mov_b64 s[6:7], 0
	global_store_byte v[0:1], v6, off
.LBB153_86:
	s_and_b64 vcc, exec, s[6:7]
	s_cbranch_vccz .LBB153_96
; %bb.87:
	v_lshlrev_b32_e32 v5, 16, v2
	v_and_b32_e32 v6, 0x7fffffff, v5
	s_mov_b32 s6, 0x43f00000
	v_and_b32_e32 v3, 0xffff, v2
	v_cmp_gt_u32_e32 vcc, s6, v6
                                        ; implicit-def: $vgpr4
	s_and_saveexec_b64 s[6:7], vcc
	s_xor_b64 s[6:7], exec, s[6:7]
	s_cbranch_execz .LBB153_93
; %bb.88:
	s_mov_b32 s8, 0x3c7fffff
	v_cmp_lt_u32_e32 vcc, s8, v6
                                        ; implicit-def: $vgpr4
	s_and_saveexec_b64 s[8:9], vcc
	s_xor_b64 s[8:9], exec, s[8:9]
; %bb.89:
	v_bfe_u32 v4, v3, 4, 1
	s_mov_b32 s10, 0x407ffff
	v_add3_u32 v4, v5, v4, s10
	v_lshrrev_b32_e32 v5, 20, v4
	v_and_b32_e32 v4, 0xff00000, v4
	s_mov_b32 s10, 0x7f00000
	v_mov_b32_e32 v6, 0x7e
	v_cmp_ne_u32_e32 vcc, s10, v4
	s_nop 1
	v_cndmask_b32_e32 v4, v6, v5, vcc
                                        ; implicit-def: $vgpr5
; %bb.90:
	s_andn2_saveexec_b64 s[8:9], s[8:9]
; %bb.91:
	s_mov_b32 s10, 0x46800000
	v_add_f32_e64 v4, |v5|, s10
; %bb.92:
	s_or_b64 exec, exec, s[8:9]
                                        ; implicit-def: $vgpr6
.LBB153_93:
	s_andn2_saveexec_b64 s[6:7], s[6:7]
; %bb.94:
	s_mov_b32 s8, 0x7f800000
	v_mov_b32_e32 v4, 0x7e
	v_mov_b32_e32 v5, 0x7f
	v_cmp_lt_u32_e32 vcc, s8, v6
	s_nop 1
	v_cndmask_b32_e32 v4, v4, v5, vcc
; %bb.95:
	s_or_b64 exec, exec, s[6:7]
	v_lshrrev_b32_e32 v3, 8, v3
	s_movk_i32 s6, 0x80
	v_and_or_b32 v3, v3, s6, v4
	global_store_byte v[0:1], v3, off
.LBB153_96:
	s_mov_b64 s[6:7], 0
.LBB153_97:
	s_andn2_b64 vcc, exec, s[6:7]
	s_cbranch_vccnz .LBB153_107
; %bb.98:
	v_lshlrev_b32_e32 v5, 16, v2
	v_and_b32_e32 v6, 0x7fffffff, v5
	s_mov_b32 s6, 0x47800000
	v_and_b32_e32 v3, 0xffff, v2
	v_cmp_gt_u32_e32 vcc, s6, v6
                                        ; implicit-def: $vgpr4
	s_and_saveexec_b64 s[6:7], vcc
	s_xor_b64 s[6:7], exec, s[6:7]
	s_cbranch_execz .LBB153_104
; %bb.99:
	s_mov_b32 s8, 0x387fffff
	v_cmp_lt_u32_e32 vcc, s8, v6
                                        ; implicit-def: $vgpr4
	s_and_saveexec_b64 s[8:9], vcc
	s_xor_b64 s[8:9], exec, s[8:9]
; %bb.100:
	v_bfe_u32 v4, v3, 5, 1
	s_mov_b32 s10, 0x80fffff
	v_add3_u32 v4, v5, v4, s10
	v_lshrrev_b32_e32 v4, 21, v4
                                        ; implicit-def: $vgpr5
; %bb.101:
	s_andn2_saveexec_b64 s[8:9], s[8:9]
; %bb.102:
	s_mov_b32 s10, 0x43000000
	v_add_f32_e64 v4, |v5|, s10
; %bb.103:
	s_or_b64 exec, exec, s[8:9]
                                        ; implicit-def: $vgpr6
.LBB153_104:
	s_andn2_saveexec_b64 s[6:7], s[6:7]
; %bb.105:
	s_mov_b32 s8, 0x7f800000
	v_mov_b32_e32 v4, 0x7c
	v_mov_b32_e32 v5, 0x7f
	v_cmp_lt_u32_e32 vcc, s8, v6
	s_nop 1
	v_cndmask_b32_e32 v4, v4, v5, vcc
; %bb.106:
	s_or_b64 exec, exec, s[6:7]
	v_lshrrev_b32_e32 v3, 8, v3
	s_movk_i32 s6, 0x80
	v_and_or_b32 v3, v3, s6, v4
	global_store_byte v[0:1], v3, off
.LBB153_107:
	s_mov_b64 s[8:9], 0
	s_mov_b64 s[6:7], -1
.LBB153_108:
	s_andn2_b64 vcc, exec, s[8:9]
	s_cbranch_vccnz .LBB153_116
; %bb.109:
	s_cmp_gt_i32 s13, 14
	s_mov_b64 s[8:9], -1
	s_cbranch_scc0 .LBB153_113
; %bb.110:
	s_cmp_eq_u32 s13, 15
	s_mov_b64 s[2:3], -1
	s_cbranch_scc0 .LBB153_112
; %bb.111:
	global_store_short v[0:1], v2, off
	s_mov_b64 s[6:7], -1
	s_mov_b64 s[2:3], 0
.LBB153_112:
	s_mov_b64 s[8:9], 0
.LBB153_113:
	s_and_b64 vcc, exec, s[8:9]
	s_cbranch_vccz .LBB153_116
; %bb.114:
	s_cmp_eq_u32 s13, 11
	s_mov_b64 s[2:3], -1
	s_cbranch_scc0 .LBB153_116
; %bb.115:
	v_and_b32_e32 v3, 0x7fff, v2
	v_cmp_ne_u16_e32 vcc, 0, v3
	s_mov_b64 s[6:7], -1
	s_mov_b64 s[2:3], 0
	v_cndmask_b32_e64 v3, 0, 1, vcc
	global_store_byte v[0:1], v3, off
.LBB153_116:
	s_branch .LBB153_35
.LBB153_117:
	s_and_b32 s8, 0xffff, s12
	s_cmp_lt_i32 s8, 5
	s_mov_b64 s[6:7], -1
	s_cbranch_scc1 .LBB153_138
; %bb.118:
	s_cmp_lt_i32 s8, 8
	s_cbranch_scc1 .LBB153_128
; %bb.119:
	s_cmp_lt_i32 s8, 9
	s_cbranch_scc1 .LBB153_125
; %bb.120:
	s_cmp_gt_i32 s8, 9
	s_cbranch_scc0 .LBB153_122
; %bb.121:
	v_lshlrev_b32_e32 v3, 16, v2
	v_mov_b32_e32 v6, 0
	v_cvt_f64_f32_e32 v[4:5], v3
	v_mov_b32_e32 v7, v6
	global_store_dwordx4 v[0:1], v[4:7], off
	s_mov_b64 s[6:7], 0
.LBB153_122:
	s_andn2_b64 vcc, exec, s[6:7]
	s_cbranch_vccnz .LBB153_124
; %bb.123:
	v_lshlrev_b32_e32 v4, 16, v2
	v_mov_b32_e32 v5, 0
	global_store_dwordx2 v[0:1], v[4:5], off
.LBB153_124:
	s_mov_b64 s[6:7], 0
.LBB153_125:
	s_andn2_b64 vcc, exec, s[6:7]
	s_cbranch_vccnz .LBB153_127
; %bb.126:
	v_lshlrev_b32_e32 v3, 16, v2
	v_cvt_f16_f32_e32 v3, v3
	global_store_dword v[0:1], v3, off
.LBB153_127:
	s_mov_b64 s[6:7], 0
.LBB153_128:
	s_andn2_b64 vcc, exec, s[6:7]
	s_cbranch_vccnz .LBB153_137
; %bb.129:
	s_cmp_lt_i32 s8, 6
	s_mov_b64 s[6:7], -1
	s_cbranch_scc1 .LBB153_135
; %bb.130:
	s_cmp_gt_i32 s8, 6
	s_cbranch_scc0 .LBB153_132
; %bb.131:
	v_lshlrev_b32_e32 v3, 16, v2
	v_cvt_f64_f32_e32 v[4:5], v3
	global_store_dwordx2 v[0:1], v[4:5], off
	s_mov_b64 s[6:7], 0
.LBB153_132:
	s_andn2_b64 vcc, exec, s[6:7]
	s_cbranch_vccnz .LBB153_134
; %bb.133:
	v_lshlrev_b32_e32 v3, 16, v2
	global_store_dword v[0:1], v3, off
.LBB153_134:
	s_mov_b64 s[6:7], 0
.LBB153_135:
	s_andn2_b64 vcc, exec, s[6:7]
	s_cbranch_vccnz .LBB153_137
; %bb.136:
	v_lshlrev_b32_e32 v3, 16, v2
	v_cvt_f16_f32_e32 v3, v3
	global_store_short v[0:1], v3, off
.LBB153_137:
	s_mov_b64 s[6:7], 0
.LBB153_138:
	s_andn2_b64 vcc, exec, s[6:7]
	s_cbranch_vccnz .LBB153_154
; %bb.139:
	s_cmp_lt_i32 s8, 2
	s_mov_b64 s[6:7], -1
	s_cbranch_scc1 .LBB153_149
; %bb.140:
	s_cmp_lt_i32 s8, 3
	s_cbranch_scc1 .LBB153_146
; %bb.141:
	s_cmp_gt_i32 s8, 3
	s_cbranch_scc0 .LBB153_143
; %bb.142:
	v_lshlrev_b32_e32 v3, 16, v2
	v_trunc_f32_e32 v3, v3
	s_mov_b32 s6, 0x2f800000
	v_mul_f32_e64 v4, |v3|, s6
	v_floor_f32_e32 v4, v4
	s_mov_b32 s6, 0xcf800000
	v_cvt_u32_f32_e32 v5, v4
	v_fma_f32 v4, v4, s6, |v3|
	v_cvt_u32_f32_e32 v4, v4
	v_ashrrev_i32_e32 v3, 31, v3
	v_xor_b32_e32 v5, v5, v3
	s_mov_b64 s[6:7], 0
	v_xor_b32_e32 v4, v4, v3
	v_sub_co_u32_e32 v4, vcc, v4, v3
	s_nop 1
	v_subb_co_u32_e32 v5, vcc, v5, v3, vcc
	global_store_dwordx2 v[0:1], v[4:5], off
.LBB153_143:
	s_andn2_b64 vcc, exec, s[6:7]
	s_cbranch_vccnz .LBB153_145
; %bb.144:
	v_lshlrev_b32_e32 v3, 16, v2
	v_cvt_i32_f32_e32 v3, v3
	global_store_dword v[0:1], v3, off
.LBB153_145:
	s_mov_b64 s[6:7], 0
.LBB153_146:
	s_andn2_b64 vcc, exec, s[6:7]
	s_cbranch_vccnz .LBB153_148
; %bb.147:
	v_lshlrev_b32_e32 v3, 16, v2
	v_cvt_i32_f32_e32 v3, v3
	global_store_short v[0:1], v3, off
.LBB153_148:
	s_mov_b64 s[6:7], 0
.LBB153_149:
	s_andn2_b64 vcc, exec, s[6:7]
	s_cbranch_vccnz .LBB153_154
; %bb.150:
	s_cmp_gt_i32 s8, 0
	s_mov_b64 s[6:7], -1
	s_cbranch_scc0 .LBB153_152
; %bb.151:
	v_lshlrev_b32_e32 v3, 16, v2
	v_cvt_i32_f32_e32 v3, v3
	s_mov_b64 s[6:7], 0
	global_store_byte v[0:1], v3, off
.LBB153_152:
	s_andn2_b64 vcc, exec, s[6:7]
	s_cbranch_vccnz .LBB153_154
; %bb.153:
	v_lshlrev_b32_e32 v2, 16, v2
	v_trunc_f32_e32 v2, v2
	s_mov_b32 s6, 0x2f800000
	v_mul_f32_e64 v3, |v2|, s6
	v_floor_f32_e32 v3, v3
	s_mov_b32 s6, 0xcf800000
	v_fma_f32 v3, v3, s6, |v2|
	v_cvt_u32_f32_e32 v3, v3
	v_ashrrev_i32_e32 v2, 31, v2
	v_xor_b32_e32 v3, v3, v2
	v_sub_u32_e32 v2, v3, v2
	global_store_byte v[0:1], v2, off
.LBB153_154:
.LBB153_155:
	v_add_u32_e32 v8, 0x80, v8
	s_mov_b64 s[6:7], -1
	s_branch .LBB153_266
.LBB153_156:
	s_mov_b64 s[4:5], -1
                                        ; implicit-def: $vgpr1
.LBB153_157:
	s_mov_b64 s[6:7], 0
.LBB153_158:
	s_and_b64 vcc, exec, s[6:7]
	s_cbranch_vccz .LBB153_162
; %bb.159:
	s_cmp_eq_u32 s10, 29
	s_cbranch_scc0 .LBB153_161
; %bb.160:
	global_load_dwordx2 v[4:5], v[2:3], off
	s_movk_i32 s4, 0x7fff
	s_mov_b64 s[2:3], -1
	s_mov_b64 s[6:7], 0
	s_waitcnt vmcnt(0)
	v_ffbh_u32_e32 v1, v5
	v_min_u32_e32 v1, 32, v1
	v_lshlrev_b64 v[4:5], v1, v[4:5]
	v_min_u32_e32 v4, 1, v4
	v_or_b32_e32 v4, v5, v4
	v_cvt_f32_u32_e32 v4, v4
	v_sub_u32_e32 v1, 32, v1
	v_ldexp_f32 v1, v4, v1
	v_bfe_u32 v4, v1, 16, 1
	v_add3_u32 v1, v1, v4, s4
	v_lshrrev_b32_e32 v1, 16, v1
	s_mov_b64 s[4:5], 0
	s_branch .LBB153_163
.LBB153_161:
	s_mov_b64 s[4:5], -1
                                        ; implicit-def: $vgpr1
.LBB153_162:
	s_mov_b64 s[6:7], 0
.LBB153_163:
	s_and_b64 vcc, exec, s[6:7]
	s_cbranch_vccz .LBB153_181
; %bb.164:
	s_cmp_lt_i32 s10, 27
	s_cbranch_scc1 .LBB153_167
; %bb.165:
	s_cmp_gt_i32 s10, 27
	s_cbranch_scc0 .LBB153_168
; %bb.166:
	global_load_dword v1, v[2:3], off
	s_movk_i32 s2, 0x7fff
	s_waitcnt vmcnt(0)
	v_cvt_f32_u32_e32 v1, v1
	v_bfe_u32 v4, v1, 16, 1
	v_add3_u32 v1, v1, v4, s2
	v_lshrrev_b32_e32 v1, 16, v1
	s_mov_b64 s[2:3], 0
	s_branch .LBB153_169
.LBB153_167:
	s_mov_b64 s[2:3], -1
                                        ; implicit-def: $vgpr1
	s_branch .LBB153_172
.LBB153_168:
	s_mov_b64 s[2:3], -1
                                        ; implicit-def: $vgpr1
.LBB153_169:
	s_andn2_b64 vcc, exec, s[2:3]
	s_cbranch_vccnz .LBB153_171
; %bb.170:
	global_load_ushort v1, v[2:3], off
	s_movk_i32 s2, 0x7fff
	s_waitcnt vmcnt(0)
	v_cvt_f32_u32_e32 v1, v1
	v_bfe_u32 v4, v1, 16, 1
	v_add3_u32 v1, v1, v4, s2
	v_lshrrev_b32_e32 v1, 16, v1
.LBB153_171:
	s_mov_b64 s[2:3], 0
.LBB153_172:
	s_andn2_b64 vcc, exec, s[2:3]
	s_cbranch_vccnz .LBB153_180
; %bb.173:
	global_load_ubyte v1, v[2:3], off
	s_movk_i32 s2, 0x7f
	s_waitcnt vmcnt(0)
	v_cmp_lt_i16_e32 vcc, s2, v1
	s_mov_b64 s[2:3], 0
	s_and_saveexec_b64 s[6:7], vcc
	s_xor_b64 s[6:7], exec, s[6:7]
	s_cbranch_execz .LBB153_193
; %bb.174:
	s_movk_i32 s2, 0x80
	v_cmp_eq_u16_e32 vcc, s2, v1
	s_mov_b64 s[2:3], -1
	s_and_saveexec_b64 s[8:9], vcc
; %bb.175:
	s_xor_b64 s[2:3], exec, -1
; %bb.176:
	s_or_b64 exec, exec, s[8:9]
	s_and_b64 s[2:3], s[2:3], exec
	s_or_saveexec_b64 s[6:7], s[6:7]
	v_mov_b32_e32 v4, 0x7f800001
	s_xor_b64 exec, exec, s[6:7]
	s_cbranch_execnz .LBB153_194
.LBB153_177:
	s_or_b64 exec, exec, s[6:7]
	s_and_saveexec_b64 s[6:7], s[2:3]
	s_cbranch_execz .LBB153_179
.LBB153_178:
	v_lshlrev_b32_e32 v4, 24, v1
	v_and_b32_e32 v1, 0xffff, v1
	v_and_b32_e32 v5, 7, v1
	v_ffbh_u32_e32 v7, v5
	v_min_u32_e32 v7, 32, v7
	v_subrev_u32_e32 v9, 28, v7
	v_bfe_u32 v6, v1, 3, 4
	v_lshlrev_b32_e32 v1, v9, v1
	v_sub_u32_e32 v7, 29, v7
	v_and_b32_e32 v1, 7, v1
	v_cmp_eq_u32_e32 vcc, 0, v6
	v_and_b32_e32 v4, 0x80000000, v4
	s_nop 0
	v_cndmask_b32_e32 v6, v6, v7, vcc
	v_cndmask_b32_e32 v1, v5, v1, vcc
	v_mov_b32_e32 v5, 0x3b800000
	v_lshlrev_b32_e32 v1, 20, v1
	v_lshl_add_u32 v5, v6, 23, v5
	v_or3_b32 v4, v4, v5, v1
.LBB153_179:
	s_or_b64 exec, exec, s[6:7]
	v_bfe_u32 v1, v4, 16, 1
	s_movk_i32 s2, 0x7fff
	v_add3_u32 v1, v4, v1, s2
	v_cmp_o_f32_e32 vcc, v4, v4
	v_mov_b32_e32 v4, 0x7fc0
	s_nop 0
	v_cndmask_b32_sdwa v1, v4, v1, vcc dst_sel:DWORD dst_unused:UNUSED_PAD src0_sel:DWORD src1_sel:WORD_1
.LBB153_180:
	s_mov_b64 s[2:3], -1
.LBB153_181:
	s_branch .LBB153_216
.LBB153_182:
	s_cmp_gt_i32 s10, 22
	s_cbranch_scc0 .LBB153_192
; %bb.183:
	s_cmp_lt_i32 s10, 24
	s_cbranch_scc1 .LBB153_195
; %bb.184:
	s_cmp_gt_i32 s10, 24
	s_cbranch_scc0 .LBB153_196
; %bb.185:
	global_load_ubyte v1, v[2:3], off
	s_movk_i32 s2, 0x7f
	s_waitcnt vmcnt(0)
	v_cmp_lt_i16_e32 vcc, s2, v1
	s_mov_b64 s[2:3], 0
	s_and_saveexec_b64 s[6:7], vcc
	s_xor_b64 s[6:7], exec, s[6:7]
	s_cbranch_execz .LBB153_208
; %bb.186:
	s_movk_i32 s2, 0x80
	v_cmp_eq_u16_e32 vcc, s2, v1
	s_mov_b64 s[2:3], -1
	s_and_saveexec_b64 s[8:9], vcc
; %bb.187:
	s_xor_b64 s[2:3], exec, -1
; %bb.188:
	s_or_b64 exec, exec, s[8:9]
	s_and_b64 s[2:3], s[2:3], exec
	s_or_saveexec_b64 s[6:7], s[6:7]
	v_mov_b32_e32 v4, 0x7f800001
	s_xor_b64 exec, exec, s[6:7]
	s_cbranch_execnz .LBB153_209
.LBB153_189:
	s_or_b64 exec, exec, s[6:7]
	s_and_saveexec_b64 s[6:7], s[2:3]
	s_cbranch_execz .LBB153_191
.LBB153_190:
	v_lshlrev_b32_e32 v4, 24, v1
	v_and_b32_e32 v1, 0xffff, v1
	v_and_b32_e32 v5, 3, v1
	v_ffbh_u32_e32 v7, v5
	v_min_u32_e32 v7, 32, v7
	v_subrev_u32_e32 v9, 29, v7
	v_bfe_u32 v6, v1, 2, 5
	v_lshlrev_b32_e32 v1, v9, v1
	v_sub_u32_e32 v7, 30, v7
	v_and_b32_e32 v1, 3, v1
	v_cmp_eq_u32_e32 vcc, 0, v6
	v_and_b32_e32 v4, 0x80000000, v4
	s_nop 0
	v_cndmask_b32_e32 v6, v6, v7, vcc
	v_cndmask_b32_e32 v1, v5, v1, vcc
	v_mov_b32_e32 v5, 0x37800000
	v_lshlrev_b32_e32 v1, 21, v1
	v_lshl_add_u32 v5, v6, 23, v5
	v_or3_b32 v4, v4, v5, v1
.LBB153_191:
	s_or_b64 exec, exec, s[6:7]
	v_bfe_u32 v1, v4, 16, 1
	s_movk_i32 s2, 0x7fff
	v_add3_u32 v1, v4, v1, s2
	v_cmp_o_f32_e32 vcc, v4, v4
	v_mov_b32_e32 v4, 0x7fc0
	s_mov_b64 s[2:3], 0
	v_cndmask_b32_sdwa v1, v4, v1, vcc dst_sel:DWORD dst_unused:UNUSED_PAD src0_sel:DWORD src1_sel:WORD_1
	s_branch .LBB153_197
.LBB153_192:
	s_mov_b64 s[6:7], -1
                                        ; implicit-def: $vgpr1
	s_branch .LBB153_203
.LBB153_193:
	s_or_saveexec_b64 s[6:7], s[6:7]
	v_mov_b32_e32 v4, 0x7f800001
	s_xor_b64 exec, exec, s[6:7]
	s_cbranch_execz .LBB153_177
.LBB153_194:
	v_cmp_ne_u16_e32 vcc, 0, v1
	s_andn2_b64 s[2:3], s[2:3], exec
	s_and_b64 s[8:9], vcc, exec
	v_mov_b32_e32 v4, 0
	s_or_b64 s[2:3], s[2:3], s[8:9]
	s_or_b64 exec, exec, s[6:7]
	s_and_saveexec_b64 s[6:7], s[2:3]
	s_cbranch_execnz .LBB153_178
	s_branch .LBB153_179
.LBB153_195:
	s_mov_b64 s[2:3], -1
                                        ; implicit-def: $vgpr1
	s_branch .LBB153_200
.LBB153_196:
	s_mov_b64 s[2:3], -1
                                        ; implicit-def: $vgpr1
.LBB153_197:
	s_and_b64 vcc, exec, s[2:3]
	s_cbranch_vccz .LBB153_199
; %bb.198:
	global_load_ubyte v1, v[2:3], off
	s_mov_b32 s2, 0x7f800000
	s_brev_b32 s3, 1
	s_movk_i32 s6, 0x7fff
	s_waitcnt vmcnt(0)
	v_lshlrev_b32_e32 v1, 24, v1
	v_and_b32_e32 v4, 0x7f000000, v1
	v_ffbh_u32_e32 v5, v4
	v_min_u32_e32 v5, 32, v5
	v_sub_u32_e64 v5, v5, 4 clamp
	v_lshlrev_b32_e32 v7, v5, v4
	v_lshlrev_b32_e32 v5, 23, v5
	v_lshrrev_b32_e32 v7, 4, v7
	v_add_u32_e32 v6, 0x1000000, v4
	v_sub_u32_e32 v5, v7, v5
	v_ashrrev_i32_e32 v6, 8, v6
	v_add_u32_e32 v5, 0x3c000000, v5
	v_and_or_b32 v5, v6, s2, v5
	v_cmp_ne_u32_e32 vcc, 0, v4
	s_nop 1
	v_cndmask_b32_e32 v4, 0, v5, vcc
	v_and_or_b32 v1, v1, s3, v4
	v_bfe_u32 v4, v4, 16, 1
	v_add3_u32 v4, v1, v4, s6
	v_cmp_o_f32_e32 vcc, v1, v1
	v_mov_b32_e32 v1, 0x7fc0
	s_nop 0
	v_cndmask_b32_sdwa v1, v1, v4, vcc dst_sel:DWORD dst_unused:UNUSED_PAD src0_sel:DWORD src1_sel:WORD_1
.LBB153_199:
	s_mov_b64 s[2:3], 0
.LBB153_200:
	s_andn2_b64 vcc, exec, s[2:3]
	s_cbranch_vccnz .LBB153_202
; %bb.201:
	global_load_ubyte v1, v[2:3], off
	s_movk_i32 s2, 0x7f00
	s_brev_b32 s3, 16
	s_brev_b32 s6, 1
	s_movk_i32 s7, 0x7fff
	s_waitcnt vmcnt(0)
	v_lshlrev_b16_e32 v4, 8, v1
	v_lshlrev_b32_e32 v1, 25, v1
	v_lshrrev_b32_e32 v5, 4, v1
	v_and_or_b32 v6, v4, s2, 0.5
	v_or_b32_e32 v5, 0x70000000, v5
	v_add_f32_e32 v6, -0.5, v6
	v_mul_f32_e32 v5, 0x7800000, v5
	v_cmp_gt_u32_e32 vcc, s3, v1
	v_bfe_i32 v4, v4, 0, 16
	s_nop 0
	v_cndmask_b32_e32 v1, v5, v6, vcc
	v_and_or_b32 v4, v4, s6, v1
	v_bfe_u32 v1, v1, 16, 1
	v_add3_u32 v1, v4, v1, s7
	v_cmp_o_f32_e32 vcc, v4, v4
	v_mov_b32_e32 v4, 0x7fc0
	s_nop 0
	v_cndmask_b32_sdwa v1, v4, v1, vcc dst_sel:DWORD dst_unused:UNUSED_PAD src0_sel:DWORD src1_sel:WORD_1
.LBB153_202:
	s_mov_b64 s[6:7], 0
	s_mov_b64 s[2:3], -1
.LBB153_203:
	s_andn2_b64 vcc, exec, s[6:7]
	s_cbranch_vccnz .LBB153_216
; %bb.204:
	s_cmp_gt_i32 s10, 14
	s_cbranch_scc0 .LBB153_207
; %bb.205:
	s_cmp_eq_u32 s10, 15
	s_cbranch_scc0 .LBB153_210
; %bb.206:
	global_load_ushort v1, v[2:3], off
	s_mov_b64 s[2:3], -1
	s_mov_b64 s[4:5], 0
	s_branch .LBB153_211
.LBB153_207:
	s_mov_b64 s[6:7], -1
                                        ; implicit-def: $vgpr1
	s_branch .LBB153_212
.LBB153_208:
	s_or_saveexec_b64 s[6:7], s[6:7]
	v_mov_b32_e32 v4, 0x7f800001
	s_xor_b64 exec, exec, s[6:7]
	s_cbranch_execz .LBB153_189
.LBB153_209:
	v_cmp_ne_u16_e32 vcc, 0, v1
	s_andn2_b64 s[2:3], s[2:3], exec
	s_and_b64 s[8:9], vcc, exec
	v_mov_b32_e32 v4, 0
	s_or_b64 s[2:3], s[2:3], s[8:9]
	s_or_b64 exec, exec, s[6:7]
	s_and_saveexec_b64 s[6:7], s[2:3]
	s_cbranch_execnz .LBB153_190
	s_branch .LBB153_191
.LBB153_210:
	s_mov_b64 s[4:5], -1
                                        ; implicit-def: $vgpr1
.LBB153_211:
	s_mov_b64 s[6:7], 0
.LBB153_212:
	s_and_b64 vcc, exec, s[6:7]
	s_cbranch_vccz .LBB153_216
; %bb.213:
	s_cmp_eq_u32 s10, 11
	s_cbranch_scc0 .LBB153_215
; %bb.214:
	global_load_ubyte v1, v[2:3], off
	s_mov_b64 s[2:3], -1
	s_mov_b64 s[4:5], 0
	s_waitcnt vmcnt(0)
	v_cmp_ne_u16_e32 vcc, 0, v1
	s_nop 1
	v_cndmask_b32_e64 v1, 0, 1.0, vcc
	v_lshrrev_b32_e32 v1, 16, v1
	s_branch .LBB153_216
.LBB153_215:
	s_mov_b64 s[4:5], -1
                                        ; implicit-def: $vgpr1
.LBB153_216:
	s_branch .LBB153_25
.LBB153_217:
	s_cmp_lt_i32 s10, 5
	s_cbranch_scc1 .LBB153_222
; %bb.218:
	s_cmp_lt_i32 s10, 8
	s_cbranch_scc1 .LBB153_223
; %bb.219:
	;; [unrolled: 3-line block ×3, first 2 shown]
	s_cmp_gt_i32 s10, 9
	s_cbranch_scc0 .LBB153_225
; %bb.221:
	global_load_dwordx2 v[4:5], v[2:3], off
	s_movk_i32 s2, 0x7fff
	s_waitcnt vmcnt(1)
	v_mov_b32_e32 v1, 0x7fc0
	s_waitcnt vmcnt(0)
	v_cvt_f32_f64_e32 v4, v[4:5]
	v_bfe_u32 v5, v4, 16, 1
	v_cmp_o_f32_e32 vcc, v4, v4
	v_add3_u32 v4, v4, v5, s2
	s_mov_b64 s[2:3], 0
	v_cndmask_b32_sdwa v1, v1, v4, vcc dst_sel:DWORD dst_unused:UNUSED_PAD src0_sel:DWORD src1_sel:WORD_1
	s_branch .LBB153_226
.LBB153_222:
                                        ; implicit-def: $vgpr1
	s_branch .LBB153_244
.LBB153_223:
	s_mov_b64 s[2:3], -1
                                        ; implicit-def: $vgpr1
	s_branch .LBB153_232
.LBB153_224:
	s_mov_b64 s[2:3], -1
                                        ; implicit-def: $vgpr1
	s_branch .LBB153_229
.LBB153_225:
	s_mov_b64 s[2:3], -1
                                        ; implicit-def: $vgpr1
.LBB153_226:
	s_andn2_b64 vcc, exec, s[2:3]
	s_cbranch_vccnz .LBB153_228
; %bb.227:
	global_load_dword v1, v[2:3], off
	s_movk_i32 s2, 0x7fff
	v_mov_b32_e32 v4, 0x7fc0
	s_waitcnt vmcnt(0)
	v_bfe_u32 v5, v1, 16, 1
	v_cmp_o_f32_e32 vcc, v1, v1
	v_add3_u32 v1, v1, v5, s2
	s_nop 0
	v_cndmask_b32_sdwa v1, v4, v1, vcc dst_sel:DWORD dst_unused:UNUSED_PAD src0_sel:DWORD src1_sel:WORD_1
.LBB153_228:
	s_mov_b64 s[2:3], 0
.LBB153_229:
	s_andn2_b64 vcc, exec, s[2:3]
	s_cbranch_vccnz .LBB153_231
; %bb.230:
	global_load_dword v1, v[2:3], off
	s_movk_i32 s2, 0x7fff
	v_mov_b32_e32 v5, 0x7fc0
	s_waitcnt vmcnt(0)
	v_cvt_f32_f16_e32 v4, v1
	v_cmp_o_f16_e32 vcc, v1, v1
	v_bfe_u32 v1, v4, 16, 1
	v_add3_u32 v1, v4, v1, s2
	v_cndmask_b32_sdwa v1, v5, v1, vcc dst_sel:DWORD dst_unused:UNUSED_PAD src0_sel:DWORD src1_sel:WORD_1
.LBB153_231:
	s_mov_b64 s[2:3], 0
.LBB153_232:
	s_andn2_b64 vcc, exec, s[2:3]
	s_cbranch_vccnz .LBB153_243
; %bb.233:
	s_cmp_lt_i32 s10, 6
	s_cbranch_scc1 .LBB153_236
; %bb.234:
	s_cmp_gt_i32 s10, 6
	s_cbranch_scc0 .LBB153_237
; %bb.235:
	global_load_dwordx2 v[4:5], v[2:3], off
	s_movk_i32 s2, 0x7fff
	s_waitcnt vmcnt(1)
	v_mov_b32_e32 v1, 0x7fc0
	s_waitcnt vmcnt(0)
	v_cvt_f32_f64_e32 v4, v[4:5]
	v_bfe_u32 v5, v4, 16, 1
	v_cmp_o_f32_e32 vcc, v4, v4
	v_add3_u32 v4, v4, v5, s2
	s_mov_b64 s[2:3], 0
	v_cndmask_b32_sdwa v1, v1, v4, vcc dst_sel:DWORD dst_unused:UNUSED_PAD src0_sel:DWORD src1_sel:WORD_1
	s_branch .LBB153_238
.LBB153_236:
	s_mov_b64 s[2:3], -1
                                        ; implicit-def: $vgpr1
	s_branch .LBB153_241
.LBB153_237:
	s_mov_b64 s[2:3], -1
                                        ; implicit-def: $vgpr1
.LBB153_238:
	s_andn2_b64 vcc, exec, s[2:3]
	s_cbranch_vccnz .LBB153_240
; %bb.239:
	global_load_dword v1, v[2:3], off
	s_movk_i32 s2, 0x7fff
	v_mov_b32_e32 v4, 0x7fc0
	s_waitcnt vmcnt(0)
	v_bfe_u32 v5, v1, 16, 1
	v_cmp_o_f32_e32 vcc, v1, v1
	v_add3_u32 v1, v1, v5, s2
	s_nop 0
	v_cndmask_b32_sdwa v1, v4, v1, vcc dst_sel:DWORD dst_unused:UNUSED_PAD src0_sel:DWORD src1_sel:WORD_1
.LBB153_240:
	s_mov_b64 s[2:3], 0
.LBB153_241:
	s_andn2_b64 vcc, exec, s[2:3]
	s_cbranch_vccnz .LBB153_243
; %bb.242:
	global_load_ushort v1, v[2:3], off
	s_movk_i32 s2, 0x7fff
	v_mov_b32_e32 v5, 0x7fc0
	s_waitcnt vmcnt(0)
	v_cvt_f32_f16_e32 v4, v1
	v_cmp_o_f16_e32 vcc, v1, v1
	v_bfe_u32 v1, v4, 16, 1
	v_add3_u32 v1, v4, v1, s2
	v_cndmask_b32_sdwa v1, v5, v1, vcc dst_sel:DWORD dst_unused:UNUSED_PAD src0_sel:DWORD src1_sel:WORD_1
.LBB153_243:
	s_cbranch_execnz .LBB153_263
.LBB153_244:
	s_cmp_lt_i32 s10, 2
	s_cbranch_scc1 .LBB153_248
; %bb.245:
	s_cmp_lt_i32 s10, 3
	s_cbranch_scc1 .LBB153_249
; %bb.246:
	s_cmp_gt_i32 s10, 3
	s_cbranch_scc0 .LBB153_250
; %bb.247:
	global_load_dwordx2 v[4:5], v[2:3], off
	s_movk_i32 s2, 0x7fff
	s_waitcnt vmcnt(0)
	v_xor_b32_e32 v6, v4, v5
	v_ffbh_i32_e32 v1, v5
	v_ashrrev_i32_e32 v6, 31, v6
	v_add_u32_e32 v1, -1, v1
	v_add_u32_e32 v6, 32, v6
	v_min_u32_e32 v1, v1, v6
	v_lshlrev_b64 v[4:5], v1, v[4:5]
	v_min_u32_e32 v4, 1, v4
	v_or_b32_e32 v4, v5, v4
	v_cvt_f32_i32_e32 v4, v4
	v_sub_u32_e32 v1, 32, v1
	v_ldexp_f32 v1, v4, v1
	v_bfe_u32 v4, v1, 16, 1
	v_add3_u32 v1, v1, v4, s2
	v_lshrrev_b32_e32 v1, 16, v1
	s_mov_b64 s[2:3], 0
	s_branch .LBB153_251
.LBB153_248:
	s_mov_b64 s[2:3], -1
                                        ; implicit-def: $vgpr1
	s_branch .LBB153_257
.LBB153_249:
	s_mov_b64 s[2:3], -1
                                        ; implicit-def: $vgpr1
	s_branch .LBB153_254
.LBB153_250:
	s_mov_b64 s[2:3], -1
                                        ; implicit-def: $vgpr1
.LBB153_251:
	s_andn2_b64 vcc, exec, s[2:3]
	s_cbranch_vccnz .LBB153_253
; %bb.252:
	global_load_dword v1, v[2:3], off
	s_movk_i32 s2, 0x7fff
	s_waitcnt vmcnt(0)
	v_cvt_f32_i32_e32 v1, v1
	v_bfe_u32 v4, v1, 16, 1
	v_add3_u32 v1, v1, v4, s2
	v_lshrrev_b32_e32 v1, 16, v1
.LBB153_253:
	s_mov_b64 s[2:3], 0
.LBB153_254:
	s_andn2_b64 vcc, exec, s[2:3]
	s_cbranch_vccnz .LBB153_256
; %bb.255:
	global_load_sshort v1, v[2:3], off
	s_movk_i32 s2, 0x7fff
	s_waitcnt vmcnt(0)
	v_cvt_f32_i32_e32 v1, v1
	v_bfe_u32 v4, v1, 16, 1
	v_add3_u32 v1, v1, v4, s2
	v_lshrrev_b32_e32 v1, 16, v1
.LBB153_256:
	s_mov_b64 s[2:3], 0
.LBB153_257:
	s_andn2_b64 vcc, exec, s[2:3]
	s_cbranch_vccnz .LBB153_263
; %bb.258:
	s_cmp_gt_i32 s10, 0
	s_cbranch_scc0 .LBB153_260
; %bb.259:
	global_load_sbyte v1, v[2:3], off
	s_movk_i32 s2, 0x7fff
	s_waitcnt vmcnt(0)
	v_cvt_f32_i32_e32 v1, v1
	v_bfe_u32 v4, v1, 16, 1
	v_add3_u32 v1, v1, v4, s2
	v_lshrrev_b32_e32 v1, 16, v1
	s_mov_b64 s[2:3], 0
	s_branch .LBB153_261
.LBB153_260:
	s_mov_b64 s[2:3], -1
                                        ; implicit-def: $vgpr1
.LBB153_261:
	s_andn2_b64 vcc, exec, s[2:3]
	s_cbranch_vccnz .LBB153_263
; %bb.262:
	global_load_ubyte v1, v[2:3], off
	s_movk_i32 s2, 0x7fff
	s_waitcnt vmcnt(0)
	v_cvt_f32_ubyte0_e32 v1, v1
	v_bfe_u32 v2, v1, 16, 1
	v_add3_u32 v1, v1, v2, s2
	v_lshrrev_b32_e32 v1, 16, v1
.LBB153_263:
	s_branch .LBB153_26
.LBB153_264:
	s_mov_b64 s[2:3], 0
.LBB153_265:
	s_mov_b64 s[6:7], 0
                                        ; implicit-def: $vgpr8
.LBB153_266:
	s_and_b64 s[54:55], s[2:3], exec
	s_and_b64 s[56:57], s[4:5], exec
	s_orn2_b64 s[4:5], s[6:7], exec
.LBB153_267:
	s_or_b64 exec, exec, s[58:59]
	s_mov_b64 s[8:9], 0
	s_mov_b64 s[2:3], 0
                                        ; implicit-def: $vgpr2_vgpr3
                                        ; implicit-def: $vgpr0
                                        ; implicit-def: $vgpr1
	s_and_saveexec_b64 s[58:59], s[4:5]
	s_cbranch_execz .LBB153_275
; %bb.268:
	v_cmp_gt_i32_e32 vcc, s70, v8
	s_mov_b64 s[2:3], -1
	s_mov_b64 s[60:61], s[56:57]
	s_mov_b64 s[62:63], s[54:55]
	s_and_saveexec_b64 s[64:65], vcc
	s_cbranch_execz .LBB153_544
; %bb.269:
	s_andn2_b64 vcc, exec, s[42:43]
	s_cbranch_vccnz .LBB153_278
; %bb.270:
	s_andn2_b64 vcc, exec, s[52:53]
	s_cbranch_vccnz .LBB153_279
; %bb.271:
	s_add_i32 s63, s75, 1
	s_cmp_eq_u32 s72, 2
	s_cbranch_scc1 .LBB153_280
; %bb.272:
	s_and_b32 s62, s63, 28
	s_mov_b32 s66, 0
	v_mov_b32_e32 v0, 0
	v_mov_b32_e32 v2, 0
	s_mov_b64 s[2:3], s[34:35]
	s_mov_b64 s[60:61], s[50:51]
	v_mov_b32_e32 v4, v8
.LBB153_273:                            ; =>This Inner Loop Header: Depth=1
	s_load_dwordx8 s[12:19], s[2:3], 0x4
	s_load_dwordx4 s[36:39], s[2:3], 0x24
	s_load_dwordx8 s[4:11], s[60:61], 0x0
	s_add_u32 s2, s2, 48
	s_addc_u32 s3, s3, 0
	s_waitcnt vmcnt(0) lgkmcnt(0)
	v_mul_hi_u32 v1, s13, v4
	v_add_u32_e32 v1, v4, v1
	v_lshrrev_b32_e32 v1, s14, v1
	v_mul_lo_u32 v3, v1, s12
	v_mul_hi_u32 v5, s16, v1
	v_sub_u32_e32 v3, v4, v3
	v_add_u32_e32 v4, v1, v5
	v_lshrrev_b32_e32 v4, s17, v4
	v_mul_lo_u32 v6, v4, s15
	v_mul_hi_u32 v7, s19, v4
	v_sub_u32_e32 v1, v1, v6
	v_add_u32_e32 v6, v4, v7
	v_mul_lo_u32 v5, v3, s5
	v_mul_lo_u32 v3, v3, s4
	;; [unrolled: 1-line block ×4, first 2 shown]
	v_lshrrev_b32_e32 v6, s36, v6
	v_add3_u32 v0, v3, v0, v1
	v_mul_hi_u32 v3, s38, v6
	v_add3_u32 v1, v5, v2, v7
	v_mul_lo_u32 v2, v6, s18
	v_add_u32_e32 v3, v6, v3
	v_sub_u32_e32 v2, v4, v2
	v_lshrrev_b32_e32 v4, s39, v3
	s_add_i32 s66, s66, 4
	v_mul_lo_u32 v3, v4, s37
	s_add_u32 s60, s60, 32
	v_sub_u32_e32 v3, v6, v3
	s_addc_u32 s61, s61, 0
	v_mul_lo_u32 v5, v2, s8
	v_mul_lo_u32 v2, v2, s9
	;; [unrolled: 1-line block ×4, first 2 shown]
	s_cmp_eq_u32 s62, s66
	v_add3_u32 v2, v2, v1, v3
	v_add3_u32 v0, v5, v0, v6
	s_cbranch_scc0 .LBB153_273
; %bb.274:
	v_mov_b32_e32 v1, v2
	s_branch .LBB153_281
.LBB153_275:
	s_or_b64 exec, exec, s[58:59]
	s_mov_b64 s[4:5], 0
	s_and_saveexec_b64 s[6:7], s[56:57]
	s_cbranch_execnz .LBB153_922
.LBB153_276:
	s_or_b64 exec, exec, s[6:7]
	s_and_saveexec_b64 s[6:7], s[62:63]
	s_xor_b64 s[6:7], exec, s[6:7]
	s_cbranch_execz .LBB153_923
.LBB153_277:
	global_load_ubyte v1, v[2:3], off
	s_or_b64 s[2:3], s[2:3], exec
	s_waitcnt vmcnt(0)
	v_cmp_ne_u16_e32 vcc, 0, v1
	s_nop 1
	v_cndmask_b32_e64 v1, 0, 1.0, vcc
	v_lshrrev_b32_e32 v1, 16, v1
	s_or_b64 exec, exec, s[6:7]
	s_and_saveexec_b64 s[6:7], s[8:9]
	s_cbranch_execz .LBB153_969
	s_branch .LBB153_924
.LBB153_278:
                                        ; implicit-def: $vgpr2
                                        ; implicit-def: $vgpr0
	s_andn2_b64 vcc, exec, s[2:3]
	s_cbranch_vccz .LBB153_285
	s_branch .LBB153_287
.LBB153_279:
	v_mov_b32_e32 v2, 0
	v_mov_b32_e32 v0, 0
	s_branch .LBB153_284
.LBB153_280:
	v_mov_b32_e32 v0, 0
	s_mov_b32 s62, 0
	s_waitcnt vmcnt(0)
	v_mov_b32_e32 v1, v0
                                        ; implicit-def: $vgpr2
	v_mov_b32_e32 v4, v8
.LBB153_281:
	s_and_b32 s6, s63, 3
	s_cmp_eq_u32 s6, 0
	s_cbranch_scc1 .LBB153_284
; %bb.282:
	s_lshl_b32 s2, s62, 3
	s_add_u32 s2, s34, s2
	s_addc_u32 s3, s35, 0
	s_add_u32 s2, s2, 0xc4
	s_addc_u32 s3, s3, 0
	s_mul_i32 s4, s62, 12
	s_add_u32 s4, s34, s4
	s_addc_u32 s5, s35, 0
.LBB153_283:                            ; =>This Inner Loop Header: Depth=1
	s_load_dwordx2 s[8:9], s[4:5], 0x4
	s_load_dword s7, s[4:5], 0xc
	s_load_dwordx2 s[10:11], s[2:3], 0x0
	v_mov_b32_e32 v2, v1
	s_add_u32 s4, s4, 12
	s_waitcnt lgkmcnt(0)
	v_mul_hi_u32 v1, s9, v4
	v_add_u32_e32 v1, v4, v1
	v_lshrrev_b32_e32 v1, s7, v1
	s_addc_u32 s5, s5, 0
	v_mul_lo_u32 v3, v1, s8
	s_add_u32 s2, s2, 8
	v_sub_u32_e32 v5, v4, v3
	s_addc_u32 s3, s3, 0
	s_add_i32 s6, s6, -1
	v_mov_b32_e32 v4, v1
	v_mad_u64_u32 v[2:3], s[8:9], v5, s11, v[2:3]
	v_mad_u64_u32 v[0:1], s[8:9], v5, s10, v[0:1]
	s_cmp_lg_u32 s6, 0
	v_mov_b32_e32 v1, v2
	s_cbranch_scc1 .LBB153_283
.LBB153_284:
	s_cbranch_execnz .LBB153_287
.LBB153_285:
	s_waitcnt lgkmcnt(0)
	v_mul_hi_u32 v0, s29, v8
	v_add_u32_e32 v0, v8, v0
	s_waitcnt vmcnt(0)
	v_lshrrev_b32_e32 v1, s30, v0
	v_mul_lo_u32 v0, v1, s28
	v_sub_u32_e32 v0, v8, v0
	v_mul_lo_u32 v2, v0, s25
	s_andn2_b64 vcc, exec, s[48:49]
	v_mul_lo_u32 v0, v0, s24
	s_cbranch_vccnz .LBB153_287
; %bb.286:
	v_mul_hi_u32 v3, s46, v1
	v_add_u32_e32 v3, v1, v3
	v_lshrrev_b32_e32 v3, s47, v3
	v_mul_lo_u32 v3, v3, s31
	v_sub_u32_e32 v3, v1, v3
	v_mad_u64_u32 v[0:1], s[2:3], v3, s26, v[0:1]
	v_mad_u64_u32 v[2:3], s[2:3], v3, s27, v[2:3]
.LBB153_287:
	v_mov_b32_e32 v3, 0
	s_and_b32 s10, 0xffff, s74
	s_cmp_lt_i32 s10, 11
	s_waitcnt lgkmcnt(0)
	v_lshl_add_u64 v[2:3], s[22:23], 0, v[2:3]
	s_cbranch_scc1 .LBB153_294
; %bb.288:
	s_cmp_gt_i32 s10, 25
	s_cbranch_scc0 .LBB153_303
; %bb.289:
	s_cmp_gt_i32 s10, 28
	s_cbranch_scc0 .LBB153_305
	;; [unrolled: 3-line block ×4, first 2 shown]
; %bb.292:
	s_cmp_eq_u32 s10, 46
	s_mov_b64 s[6:7], 0
	s_cbranch_scc0 .LBB153_315
; %bb.293:
	global_load_dword v1, v[2:3], off
	s_mov_b64 s[2:3], -1
	s_mov_b64 s[4:5], 0
	s_branch .LBB153_316
.LBB153_294:
	s_mov_b64 s[2:3], 0
                                        ; implicit-def: $vgpr1
	s_mov_b64 s[4:5], s[56:57]
	s_cbranch_execnz .LBB153_493
.LBB153_295:
	s_andn2_b64 vcc, exec, s[2:3]
	s_cbranch_vccnz .LBB153_541
.LBB153_296:
	s_waitcnt vmcnt(0)
	v_lshlrev_b32_e32 v1, 16, v1
	v_mul_f32_e32 v2, 0x3fb8aa3b, v1
	v_rndne_f32_e32 v2, v2
	v_fmamk_f32 v3, v2, 0xbf317218, v1
	v_fmamk_f32 v3, v2, 0x3102e308, v3
	v_mov_b32_e32 v4, 0x3ab69700
	v_fmac_f32_e32 v4, 0x395133b1, v3
	v_fmaak_f32 v4, v3, v4, 0x3c0887f9
	v_fmaak_f32 v4, v3, v4, 0x3d2aaa81
	v_cvt_i32_f32_e32 v5, v2
	v_fmaak_f32 v4, v3, v4, 0x3e2aaaab
	v_fma_f32 v4, v3, v4, 0.5
	v_mul_f32_e32 v4, v3, v4
	s_mov_b32 s2, 0x43000000
	v_fmac_f32_e32 v3, v3, v4
	v_ldexp_f32 v4, 1.0, v5
	v_mov_b32_e32 v5, 0x7f000000
	v_cmp_eq_f32_e32 vcc, s2, v2
	s_mov_b32 s2, 0x42b17217
	s_and_b32 s12, s73, 0xff
	v_cndmask_b32_e32 v2, v4, v5, vcc
	v_add_f32_e32 v4, -1.0, v2
	v_fmac_f32_e32 v4, v2, v3
	v_add_f32_e32 v2, v4, v4
	v_cndmask_b32_e32 v2, v4, v2, vcc
	v_mov_b32_e32 v3, 0x7f800000
	v_cmp_nlt_f32_e32 vcc, s2, v1
	s_mov_b32 s2, 0xc1880000
	s_cmp_lt_i32 s12, 11
	v_cndmask_b32_e32 v2, v3, v2, vcc
	v_cmp_ngt_f32_e32 vcc, s2, v1
	s_movk_i32 s2, 0x7fff
	s_nop 0
	v_cndmask_b32_e32 v1, -1.0, v2, vcc
	v_bfe_u32 v2, v1, 16, 1
	v_add3_u32 v2, v1, v2, s2
	v_cmp_o_f32_e32 vcc, v1, v1
	v_mov_b32_e32 v1, 0x7fc0
	s_nop 0
	v_cndmask_b32_sdwa v2, v1, v2, vcc dst_sel:DWORD dst_unused:UNUSED_PAD src0_sel:DWORD src1_sel:WORD_1
	v_mov_b32_e32 v1, 0
	v_lshl_add_u64 v[0:1], s[20:21], 0, v[0:1]
	s_cbranch_scc1 .LBB153_304
; %bb.297:
	s_and_b32 s13, 0xffff, s12
	s_cmp_gt_i32 s13, 25
	s_cbranch_scc0 .LBB153_306
; %bb.298:
	s_cmp_gt_i32 s13, 28
	s_cbranch_scc0 .LBB153_308
; %bb.299:
	;; [unrolled: 3-line block ×4, first 2 shown]
	s_mov_b64 s[8:9], 0
	s_mov_b64 s[2:3], -1
	s_cmp_eq_u32 s13, 46
	s_mov_b64 s[6:7], 0
	s_cbranch_scc0 .LBB153_320
; %bb.302:
	v_and_b32_e32 v3, 0xffff, v2
	global_store_dword v[0:1], v3, off
	s_mov_b64 s[6:7], -1
	s_mov_b64 s[2:3], 0
	s_branch .LBB153_320
.LBB153_303:
	s_mov_b64 s[6:7], -1
	s_mov_b64 s[2:3], 0
	s_mov_b64 s[4:5], s[56:57]
                                        ; implicit-def: $vgpr1
	s_branch .LBB153_457
.LBB153_304:
	s_mov_b64 s[8:9], -1
	s_mov_b64 s[6:7], 0
	s_mov_b64 s[2:3], s[54:55]
	s_branch .LBB153_389
.LBB153_305:
	s_mov_b64 s[6:7], -1
	s_mov_b64 s[2:3], 0
	s_mov_b64 s[4:5], s[56:57]
                                        ; implicit-def: $vgpr1
	s_branch .LBB153_438
.LBB153_306:
	s_mov_b64 s[8:9], -1
	s_mov_b64 s[6:7], 0
	s_mov_b64 s[2:3], s[54:55]
	s_branch .LBB153_347
.LBB153_307:
	s_mov_b64 s[6:7], -1
	s_mov_b64 s[2:3], 0
	s_mov_b64 s[4:5], s[56:57]
                                        ; implicit-def: $vgpr1
	s_branch .LBB153_433
.LBB153_308:
	s_mov_b64 s[8:9], -1
	s_mov_b64 s[6:7], 0
	s_mov_b64 s[2:3], s[54:55]
	s_branch .LBB153_330
.LBB153_309:
	s_andn2_saveexec_b64 s[10:11], s[10:11]
	s_cbranch_execz .LBB153_69
.LBB153_310:
	s_mov_b32 s14, 0x46000000
	v_add_f32_e64 v4, |v5|, s14
	v_and_b32_e32 v4, 0xff, v4
	v_cmp_ne_u32_e32 vcc, 0, v4
	s_andn2_b64 s[8:9], s[8:9], exec
	s_and_b64 s[14:15], vcc, exec
	s_or_b64 s[8:9], s[8:9], s[14:15]
	s_or_b64 exec, exec, s[10:11]
	v_mov_b32_e32 v6, 0
	s_and_saveexec_b64 s[10:11], s[8:9]
	s_cbranch_execnz .LBB153_70
	s_branch .LBB153_71
.LBB153_311:
	s_mov_b64 s[6:7], -1
	s_mov_b64 s[2:3], 0
	s_mov_b64 s[4:5], s[56:57]
                                        ; implicit-def: $vgpr1
	s_branch .LBB153_316
.LBB153_312:
	s_mov_b64 s[8:9], -1
	s_mov_b64 s[6:7], 0
	s_mov_b64 s[2:3], s[54:55]
	s_branch .LBB153_326
.LBB153_313:
	s_andn2_saveexec_b64 s[10:11], s[10:11]
	s_cbranch_execz .LBB153_82
.LBB153_314:
	s_mov_b32 s14, 0x42800000
	v_add_f32_e64 v4, |v5|, s14
	v_and_b32_e32 v4, 0xff, v4
	v_cmp_ne_u32_e32 vcc, 0, v4
	s_andn2_b64 s[8:9], s[8:9], exec
	s_and_b64 s[14:15], vcc, exec
	s_or_b64 s[8:9], s[8:9], s[14:15]
	s_or_b64 exec, exec, s[10:11]
	v_mov_b32_e32 v6, 0
	s_and_saveexec_b64 s[10:11], s[8:9]
	s_cbranch_execnz .LBB153_83
	s_branch .LBB153_84
.LBB153_315:
	s_mov_b64 s[4:5], -1
                                        ; implicit-def: $vgpr1
	s_mov_b64 s[2:3], 0
.LBB153_316:
	s_and_b64 vcc, exec, s[6:7]
	s_cbranch_vccz .LBB153_432
; %bb.317:
	s_cmp_eq_u32 s10, 44
	s_cbranch_scc0 .LBB153_431
; %bb.318:
	global_load_ubyte v1, v[2:3], off
	s_movk_i32 s4, 0xff
	v_mov_b32_e32 v4, 0x7f800001
	v_mov_b32_e32 v5, 0x400000
	;; [unrolled: 1-line block ×3, first 2 shown]
	s_mov_b64 s[2:3], -1
	s_waitcnt vmcnt(0)
	v_lshlrev_b32_e32 v7, 23, v1
	v_cmp_ne_u32_e32 vcc, s4, v1
	s_mov_b64 s[4:5], 0
	s_nop 0
	v_cndmask_b32_e32 v4, v4, v7, vcc
	v_cmp_ne_u32_e32 vcc, 0, v1
	s_nop 1
	v_cndmask_b32_e32 v1, v5, v4, vcc
	v_add_u32_e32 v4, 0x7fff, v1
	v_cmp_o_f32_e32 vcc, v1, v1
	s_nop 1
	v_cndmask_b32_sdwa v1, v6, v4, vcc dst_sel:DWORD dst_unused:UNUSED_PAD src0_sel:DWORD src1_sel:WORD_1
	s_branch .LBB153_432
.LBB153_319:
	s_mov_b64 s[8:9], -1
	s_mov_b64 s[6:7], 0
	s_mov_b64 s[2:3], s[54:55]
.LBB153_320:
	s_and_b64 vcc, exec, s[8:9]
	s_cbranch_vccz .LBB153_325
; %bb.321:
	s_cmp_eq_u32 s13, 44
	s_mov_b64 s[2:3], -1
	s_cbranch_scc0 .LBB153_325
; %bb.322:
	v_and_b32_e32 v4, 0xffff, v2
	v_bfe_u32 v3, v4, 7, 8
	s_movk_i32 s2, 0xff
	v_cmp_ne_u32_e32 vcc, s2, v3
	v_mov_b32_e32 v5, 0xff
	s_and_saveexec_b64 s[6:7], vcc
	s_cbranch_execz .LBB153_324
; %bb.323:
	v_lshlrev_b32_e32 v6, 16, v4
	s_mov_b32 s2, 0x3f0000
	v_lshrrev_b32_e32 v5, 7, v4
	v_and_b32_e32 v4, 64, v4
	v_and_or_b32 v3, v6, s2, v3
	v_cmp_ne_u32_e32 vcc, 0, v4
	v_cmp_ne_u32_e64 s[2:3], 0, v3
	s_and_b64 s[2:3], vcc, s[2:3]
	s_nop 0
	v_cndmask_b32_e64 v3, 0, 1, s[2:3]
	v_add_u32_e32 v5, v5, v3
.LBB153_324:
	s_or_b64 exec, exec, s[6:7]
	s_mov_b64 s[6:7], -1
	s_mov_b64 s[2:3], 0
	global_store_byte v[0:1], v5, off
.LBB153_325:
	s_mov_b64 s[8:9], 0
.LBB153_326:
	s_and_b64 vcc, exec, s[8:9]
	s_cbranch_vccz .LBB153_329
; %bb.327:
	s_cmp_eq_u32 s13, 29
	s_mov_b64 s[2:3], -1
	s_cbranch_scc0 .LBB153_329
; %bb.328:
	v_lshlrev_b32_e32 v3, 16, v2
	v_trunc_f32_e32 v3, v3
	v_mul_f32_e32 v4, 0x2f800000, v3
	v_floor_f32_e32 v4, v4
	v_fmamk_f32 v3, v4, 0xcf800000, v3
	v_cvt_u32_f32_e32 v5, v4
	v_cvt_u32_f32_e32 v4, v3
	s_mov_b64 s[6:7], -1
	s_mov_b64 s[2:3], 0
	s_mov_b64 s[8:9], 0
	global_store_dwordx2 v[0:1], v[4:5], off
	s_branch .LBB153_330
.LBB153_329:
	s_mov_b64 s[8:9], 0
.LBB153_330:
	s_and_b64 vcc, exec, s[8:9]
	s_cbranch_vccz .LBB153_346
; %bb.331:
	s_cmp_lt_i32 s13, 27
	s_mov_b64 s[6:7], -1
	s_cbranch_scc1 .LBB153_337
; %bb.332:
	s_cmp_gt_i32 s13, 27
	s_cbranch_scc0 .LBB153_334
; %bb.333:
	v_lshlrev_b32_e32 v3, 16, v2
	v_cvt_u32_f32_e32 v3, v3
	s_mov_b64 s[6:7], 0
	global_store_dword v[0:1], v3, off
.LBB153_334:
	s_andn2_b64 vcc, exec, s[6:7]
	s_cbranch_vccnz .LBB153_336
; %bb.335:
	v_lshlrev_b32_e32 v3, 16, v2
	v_cvt_u32_f32_e32 v3, v3
	global_store_short v[0:1], v3, off
.LBB153_336:
	s_mov_b64 s[6:7], 0
.LBB153_337:
	s_andn2_b64 vcc, exec, s[6:7]
	s_cbranch_vccnz .LBB153_345
; %bb.338:
	v_lshlrev_b32_e32 v5, 16, v2
	v_and_b32_e32 v4, 0x7fffffff, v5
	s_mov_b32 s6, 0x43800000
	v_cmp_gt_u32_e32 vcc, s6, v4
	v_mov_b32_e32 v6, 0x80
	s_and_saveexec_b64 s[6:7], vcc
	s_cbranch_execz .LBB153_344
; %bb.339:
	s_mov_b32 s8, 0x3bffffff
	v_and_b32_e32 v3, 0xffff, v2
	v_cmp_lt_u32_e32 vcc, s8, v4
	s_mov_b64 s[8:9], 0
                                        ; implicit-def: $vgpr4
	s_and_saveexec_b64 s[10:11], vcc
	s_xor_b64 s[10:11], exec, s[10:11]
	s_cbranch_execz .LBB153_573
; %bb.340:
	v_bfe_u32 v4, v3, 4, 1
	s_mov_b32 s14, 0x487ffff
	v_add3_u32 v4, v5, v4, s14
	s_mov_b64 s[8:9], exec
	v_lshrrev_b32_e32 v4, 20, v4
                                        ; implicit-def: $vgpr5
	s_andn2_saveexec_b64 s[10:11], s[10:11]
	s_cbranch_execnz .LBB153_574
.LBB153_341:
	s_or_b64 exec, exec, s[10:11]
	v_mov_b32_e32 v6, 0
	s_and_saveexec_b64 s[10:11], s[8:9]
.LBB153_342:
	v_lshrrev_b32_e32 v3, 8, v3
	s_movk_i32 s8, 0x80
	v_and_or_b32 v6, v3, s8, v4
.LBB153_343:
	s_or_b64 exec, exec, s[10:11]
.LBB153_344:
	s_or_b64 exec, exec, s[6:7]
	global_store_byte v[0:1], v6, off
.LBB153_345:
	s_mov_b64 s[6:7], -1
.LBB153_346:
	s_mov_b64 s[8:9], 0
.LBB153_347:
	s_and_b64 vcc, exec, s[8:9]
	s_cbranch_vccz .LBB153_388
; %bb.348:
	s_cmp_gt_i32 s13, 22
	s_mov_b64 s[8:9], -1
	s_cbranch_scc0 .LBB153_380
; %bb.349:
	s_cmp_lt_i32 s13, 24
	s_mov_b64 s[6:7], -1
	s_cbranch_scc1 .LBB153_369
; %bb.350:
	s_cmp_gt_i32 s13, 24
	s_cbranch_scc0 .LBB153_358
; %bb.351:
	v_lshlrev_b32_e32 v5, 16, v2
	v_and_b32_e32 v4, 0x7fffffff, v5
	s_mov_b32 s6, 0x47800000
	v_cmp_gt_u32_e32 vcc, s6, v4
	v_mov_b32_e32 v6, 0x80
	s_and_saveexec_b64 s[6:7], vcc
	s_cbranch_execz .LBB153_357
; %bb.352:
	s_mov_b32 s8, 0x37ffffff
	v_and_b32_e32 v3, 0xffff, v2
	v_cmp_lt_u32_e32 vcc, s8, v4
	s_mov_b64 s[8:9], 0
                                        ; implicit-def: $vgpr4
	s_and_saveexec_b64 s[10:11], vcc
	s_xor_b64 s[10:11], exec, s[10:11]
	s_cbranch_execz .LBB153_576
; %bb.353:
	v_bfe_u32 v4, v3, 5, 1
	s_mov_b32 s14, 0x88fffff
	v_add3_u32 v4, v5, v4, s14
	s_mov_b64 s[8:9], exec
	v_lshrrev_b32_e32 v4, 21, v4
                                        ; implicit-def: $vgpr5
	s_andn2_saveexec_b64 s[10:11], s[10:11]
	s_cbranch_execnz .LBB153_577
.LBB153_354:
	s_or_b64 exec, exec, s[10:11]
	v_mov_b32_e32 v6, 0
	s_and_saveexec_b64 s[10:11], s[8:9]
.LBB153_355:
	v_lshrrev_b32_e32 v3, 8, v3
	s_movk_i32 s8, 0x80
	v_and_or_b32 v6, v3, s8, v4
.LBB153_356:
	s_or_b64 exec, exec, s[10:11]
.LBB153_357:
	s_or_b64 exec, exec, s[6:7]
	s_mov_b64 s[6:7], 0
	global_store_byte v[0:1], v6, off
.LBB153_358:
	s_and_b64 vcc, exec, s[6:7]
	s_cbranch_vccz .LBB153_368
; %bb.359:
	v_lshlrev_b32_e32 v5, 16, v2
	v_and_b32_e32 v6, 0x7fffffff, v5
	s_mov_b32 s6, 0x43f00000
	v_and_b32_e32 v3, 0xffff, v2
	v_cmp_gt_u32_e32 vcc, s6, v6
                                        ; implicit-def: $vgpr4
	s_and_saveexec_b64 s[6:7], vcc
	s_xor_b64 s[6:7], exec, s[6:7]
	s_cbranch_execz .LBB153_365
; %bb.360:
	s_mov_b32 s8, 0x3c7fffff
	v_cmp_lt_u32_e32 vcc, s8, v6
                                        ; implicit-def: $vgpr4
	s_and_saveexec_b64 s[8:9], vcc
	s_xor_b64 s[8:9], exec, s[8:9]
; %bb.361:
	v_bfe_u32 v4, v3, 4, 1
	s_mov_b32 s10, 0x407ffff
	v_add3_u32 v4, v5, v4, s10
	v_lshrrev_b32_e32 v5, 20, v4
	v_and_b32_e32 v4, 0xff00000, v4
	s_mov_b32 s10, 0x7f00000
	v_mov_b32_e32 v6, 0x7e
	v_cmp_ne_u32_e32 vcc, s10, v4
	s_nop 1
	v_cndmask_b32_e32 v4, v6, v5, vcc
                                        ; implicit-def: $vgpr5
; %bb.362:
	s_andn2_saveexec_b64 s[8:9], s[8:9]
; %bb.363:
	s_mov_b32 s10, 0x46800000
	v_add_f32_e64 v4, |v5|, s10
; %bb.364:
	s_or_b64 exec, exec, s[8:9]
                                        ; implicit-def: $vgpr6
.LBB153_365:
	s_andn2_saveexec_b64 s[6:7], s[6:7]
; %bb.366:
	s_mov_b32 s8, 0x7f800000
	v_mov_b32_e32 v4, 0x7e
	v_mov_b32_e32 v5, 0x7f
	v_cmp_lt_u32_e32 vcc, s8, v6
	s_nop 1
	v_cndmask_b32_e32 v4, v4, v5, vcc
; %bb.367:
	s_or_b64 exec, exec, s[6:7]
	v_lshrrev_b32_e32 v3, 8, v3
	s_movk_i32 s6, 0x80
	v_and_or_b32 v3, v3, s6, v4
	global_store_byte v[0:1], v3, off
.LBB153_368:
	s_mov_b64 s[6:7], 0
.LBB153_369:
	s_andn2_b64 vcc, exec, s[6:7]
	s_cbranch_vccnz .LBB153_379
; %bb.370:
	v_lshlrev_b32_e32 v5, 16, v2
	v_and_b32_e32 v6, 0x7fffffff, v5
	s_mov_b32 s6, 0x47800000
	v_and_b32_e32 v3, 0xffff, v2
	v_cmp_gt_u32_e32 vcc, s6, v6
                                        ; implicit-def: $vgpr4
	s_and_saveexec_b64 s[6:7], vcc
	s_xor_b64 s[6:7], exec, s[6:7]
	s_cbranch_execz .LBB153_376
; %bb.371:
	s_mov_b32 s8, 0x387fffff
	v_cmp_lt_u32_e32 vcc, s8, v6
                                        ; implicit-def: $vgpr4
	s_and_saveexec_b64 s[8:9], vcc
	s_xor_b64 s[8:9], exec, s[8:9]
; %bb.372:
	v_bfe_u32 v4, v3, 5, 1
	s_mov_b32 s10, 0x80fffff
	v_add3_u32 v4, v5, v4, s10
	v_lshrrev_b32_e32 v4, 21, v4
                                        ; implicit-def: $vgpr5
; %bb.373:
	s_andn2_saveexec_b64 s[8:9], s[8:9]
; %bb.374:
	s_mov_b32 s10, 0x43000000
	v_add_f32_e64 v4, |v5|, s10
; %bb.375:
	s_or_b64 exec, exec, s[8:9]
                                        ; implicit-def: $vgpr6
.LBB153_376:
	s_andn2_saveexec_b64 s[6:7], s[6:7]
; %bb.377:
	s_mov_b32 s8, 0x7f800000
	v_mov_b32_e32 v4, 0x7c
	v_mov_b32_e32 v5, 0x7f
	v_cmp_lt_u32_e32 vcc, s8, v6
	s_nop 1
	v_cndmask_b32_e32 v4, v4, v5, vcc
; %bb.378:
	s_or_b64 exec, exec, s[6:7]
	v_lshrrev_b32_e32 v3, 8, v3
	s_movk_i32 s6, 0x80
	v_and_or_b32 v3, v3, s6, v4
	global_store_byte v[0:1], v3, off
.LBB153_379:
	s_mov_b64 s[8:9], 0
	s_mov_b64 s[6:7], -1
.LBB153_380:
	s_andn2_b64 vcc, exec, s[8:9]
	s_cbranch_vccnz .LBB153_388
; %bb.381:
	s_cmp_gt_i32 s13, 14
	s_mov_b64 s[8:9], -1
	s_cbranch_scc0 .LBB153_385
; %bb.382:
	s_cmp_eq_u32 s13, 15
	s_mov_b64 s[2:3], -1
	s_cbranch_scc0 .LBB153_384
; %bb.383:
	global_store_short v[0:1], v2, off
	s_mov_b64 s[6:7], -1
	s_mov_b64 s[2:3], 0
.LBB153_384:
	s_mov_b64 s[8:9], 0
.LBB153_385:
	s_and_b64 vcc, exec, s[8:9]
	s_cbranch_vccz .LBB153_388
; %bb.386:
	s_cmp_eq_u32 s13, 11
	s_mov_b64 s[2:3], -1
	s_cbranch_scc0 .LBB153_388
; %bb.387:
	v_and_b32_e32 v3, 0x7fff, v2
	v_cmp_ne_u16_e32 vcc, 0, v3
	s_mov_b64 s[6:7], -1
	s_mov_b64 s[2:3], 0
	v_cndmask_b32_e64 v3, 0, 1, vcc
	global_store_byte v[0:1], v3, off
.LBB153_388:
	s_mov_b64 s[8:9], 0
.LBB153_389:
	s_and_b64 vcc, exec, s[8:9]
	s_cbranch_vccz .LBB153_428
; %bb.390:
	s_and_b32 s8, 0xffff, s12
	s_cmp_lt_i32 s8, 5
	s_mov_b64 s[6:7], -1
	s_cbranch_scc1 .LBB153_411
; %bb.391:
	s_cmp_lt_i32 s8, 8
	s_cbranch_scc1 .LBB153_401
; %bb.392:
	s_cmp_lt_i32 s8, 9
	s_cbranch_scc1 .LBB153_398
; %bb.393:
	s_cmp_gt_i32 s8, 9
	s_cbranch_scc0 .LBB153_395
; %bb.394:
	v_lshlrev_b32_e32 v3, 16, v2
	v_mov_b32_e32 v6, 0
	v_cvt_f64_f32_e32 v[4:5], v3
	v_mov_b32_e32 v7, v6
	s_mov_b64 s[6:7], 0
	global_store_dwordx4 v[0:1], v[4:7], off
.LBB153_395:
	s_andn2_b64 vcc, exec, s[6:7]
	s_cbranch_vccnz .LBB153_397
; %bb.396:
	v_lshlrev_b32_e32 v4, 16, v2
	v_mov_b32_e32 v5, 0
	global_store_dwordx2 v[0:1], v[4:5], off
.LBB153_397:
	s_mov_b64 s[6:7], 0
.LBB153_398:
	s_andn2_b64 vcc, exec, s[6:7]
	s_cbranch_vccnz .LBB153_400
; %bb.399:
	v_lshlrev_b32_e32 v3, 16, v2
	v_cvt_f16_f32_e32 v3, v3
	global_store_dword v[0:1], v3, off
.LBB153_400:
	s_mov_b64 s[6:7], 0
.LBB153_401:
	s_andn2_b64 vcc, exec, s[6:7]
	s_cbranch_vccnz .LBB153_410
; %bb.402:
	s_cmp_lt_i32 s8, 6
	s_mov_b64 s[6:7], -1
	s_cbranch_scc1 .LBB153_408
; %bb.403:
	s_cmp_gt_i32 s8, 6
	s_cbranch_scc0 .LBB153_405
; %bb.404:
	v_lshlrev_b32_e32 v3, 16, v2
	v_cvt_f64_f32_e32 v[4:5], v3
	s_mov_b64 s[6:7], 0
	global_store_dwordx2 v[0:1], v[4:5], off
.LBB153_405:
	s_andn2_b64 vcc, exec, s[6:7]
	s_cbranch_vccnz .LBB153_407
; %bb.406:
	v_lshlrev_b32_e32 v3, 16, v2
	global_store_dword v[0:1], v3, off
.LBB153_407:
	s_mov_b64 s[6:7], 0
.LBB153_408:
	s_andn2_b64 vcc, exec, s[6:7]
	s_cbranch_vccnz .LBB153_410
; %bb.409:
	v_lshlrev_b32_e32 v3, 16, v2
	v_cvt_f16_f32_e32 v3, v3
	global_store_short v[0:1], v3, off
.LBB153_410:
	s_mov_b64 s[6:7], 0
.LBB153_411:
	s_andn2_b64 vcc, exec, s[6:7]
	s_cbranch_vccnz .LBB153_427
; %bb.412:
	s_cmp_lt_i32 s8, 2
	s_mov_b64 s[6:7], -1
	s_cbranch_scc1 .LBB153_422
; %bb.413:
	s_cmp_lt_i32 s8, 3
	s_cbranch_scc1 .LBB153_419
; %bb.414:
	s_cmp_gt_i32 s8, 3
	s_cbranch_scc0 .LBB153_416
; %bb.415:
	v_lshlrev_b32_e32 v3, 16, v2
	v_trunc_f32_e32 v3, v3
	s_mov_b32 s6, 0x2f800000
	v_mul_f32_e64 v4, |v3|, s6
	v_floor_f32_e32 v4, v4
	s_mov_b32 s6, 0xcf800000
	v_cvt_u32_f32_e32 v5, v4
	v_fma_f32 v4, v4, s6, |v3|
	v_cvt_u32_f32_e32 v4, v4
	v_ashrrev_i32_e32 v3, 31, v3
	v_xor_b32_e32 v5, v5, v3
	s_mov_b64 s[6:7], 0
	v_xor_b32_e32 v4, v4, v3
	v_sub_co_u32_e32 v4, vcc, v4, v3
	s_nop 1
	v_subb_co_u32_e32 v5, vcc, v5, v3, vcc
	global_store_dwordx2 v[0:1], v[4:5], off
.LBB153_416:
	s_andn2_b64 vcc, exec, s[6:7]
	s_cbranch_vccnz .LBB153_418
; %bb.417:
	v_lshlrev_b32_e32 v3, 16, v2
	v_cvt_i32_f32_e32 v3, v3
	global_store_dword v[0:1], v3, off
.LBB153_418:
	s_mov_b64 s[6:7], 0
.LBB153_419:
	s_andn2_b64 vcc, exec, s[6:7]
	s_cbranch_vccnz .LBB153_421
; %bb.420:
	v_lshlrev_b32_e32 v3, 16, v2
	v_cvt_i32_f32_e32 v3, v3
	global_store_short v[0:1], v3, off
.LBB153_421:
	s_mov_b64 s[6:7], 0
.LBB153_422:
	s_andn2_b64 vcc, exec, s[6:7]
	s_cbranch_vccnz .LBB153_427
; %bb.423:
	s_mov_b64 s[6:7], -1
	s_cmp_gt_i32 s8, 0
	v_lshlrev_b32_e32 v2, 16, v2
	s_cbranch_scc0 .LBB153_425
; %bb.424:
	v_cvt_i32_f32_e32 v3, v2
	s_mov_b64 s[6:7], 0
	global_store_byte v[0:1], v3, off
.LBB153_425:
	s_andn2_b64 vcc, exec, s[6:7]
	s_cbranch_vccnz .LBB153_427
; %bb.426:
	v_trunc_f32_e32 v2, v2
	s_mov_b32 s6, 0x2f800000
	v_mul_f32_e64 v3, |v2|, s6
	v_floor_f32_e32 v3, v3
	s_mov_b32 s6, 0xcf800000
	v_fma_f32 v3, v3, s6, |v2|
	v_cvt_u32_f32_e32 v3, v3
	v_ashrrev_i32_e32 v2, 31, v2
	v_xor_b32_e32 v3, v3, v2
	v_sub_u32_e32 v2, v3, v2
	global_store_byte v[0:1], v2, off
.LBB153_427:
	s_mov_b64 s[6:7], -1
.LBB153_428:
	s_andn2_b64 vcc, exec, s[6:7]
	s_cbranch_vccnz .LBB153_430
; %bb.429:
	v_add_u32_e32 v8, 0x80, v8
	s_mov_b64 s[6:7], -1
	s_branch .LBB153_543
.LBB153_430:
	s_mov_b64 s[6:7], 0
	s_branch .LBB153_542
.LBB153_431:
	s_mov_b64 s[4:5], -1
                                        ; implicit-def: $vgpr1
.LBB153_432:
	s_mov_b64 s[6:7], 0
.LBB153_433:
	s_and_b64 vcc, exec, s[6:7]
	s_cbranch_vccz .LBB153_437
; %bb.434:
	s_cmp_eq_u32 s10, 29
	s_cbranch_scc0 .LBB153_436
; %bb.435:
	global_load_dwordx2 v[4:5], v[2:3], off
	s_movk_i32 s4, 0x7fff
	s_mov_b64 s[2:3], -1
	s_mov_b64 s[6:7], 0
	s_waitcnt vmcnt(0)
	v_ffbh_u32_e32 v1, v5
	v_min_u32_e32 v1, 32, v1
	v_lshlrev_b64 v[4:5], v1, v[4:5]
	v_min_u32_e32 v4, 1, v4
	v_or_b32_e32 v4, v5, v4
	v_cvt_f32_u32_e32 v4, v4
	v_sub_u32_e32 v1, 32, v1
	v_ldexp_f32 v1, v4, v1
	v_bfe_u32 v4, v1, 16, 1
	v_add3_u32 v1, v1, v4, s4
	v_lshrrev_b32_e32 v1, 16, v1
	s_mov_b64 s[4:5], 0
	s_branch .LBB153_438
.LBB153_436:
	s_mov_b64 s[4:5], -1
                                        ; implicit-def: $vgpr1
.LBB153_437:
	s_mov_b64 s[6:7], 0
.LBB153_438:
	s_and_b64 vcc, exec, s[6:7]
	s_cbranch_vccz .LBB153_456
; %bb.439:
	s_cmp_lt_i32 s10, 27
	s_cbranch_scc1 .LBB153_442
; %bb.440:
	s_cmp_gt_i32 s10, 27
	s_cbranch_scc0 .LBB153_443
; %bb.441:
	global_load_dword v1, v[2:3], off
	s_movk_i32 s2, 0x7fff
	s_waitcnt vmcnt(0)
	v_cvt_f32_u32_e32 v1, v1
	v_bfe_u32 v4, v1, 16, 1
	v_add3_u32 v1, v1, v4, s2
	v_lshrrev_b32_e32 v1, 16, v1
	s_mov_b64 s[2:3], 0
	s_branch .LBB153_444
.LBB153_442:
	s_mov_b64 s[2:3], -1
                                        ; implicit-def: $vgpr1
	s_branch .LBB153_447
.LBB153_443:
	s_mov_b64 s[2:3], -1
                                        ; implicit-def: $vgpr1
.LBB153_444:
	s_andn2_b64 vcc, exec, s[2:3]
	s_cbranch_vccnz .LBB153_446
; %bb.445:
	global_load_ushort v1, v[2:3], off
	s_movk_i32 s2, 0x7fff
	s_waitcnt vmcnt(0)
	v_cvt_f32_u32_e32 v1, v1
	v_bfe_u32 v4, v1, 16, 1
	v_add3_u32 v1, v1, v4, s2
	v_lshrrev_b32_e32 v1, 16, v1
.LBB153_446:
	s_mov_b64 s[2:3], 0
.LBB153_447:
	s_andn2_b64 vcc, exec, s[2:3]
	s_cbranch_vccnz .LBB153_455
; %bb.448:
	global_load_ubyte v1, v[2:3], off
	s_movk_i32 s2, 0x7f
	s_waitcnt vmcnt(0)
	v_cmp_lt_i16_e32 vcc, s2, v1
	s_mov_b64 s[2:3], 0
	s_and_saveexec_b64 s[6:7], vcc
	s_xor_b64 s[6:7], exec, s[6:7]
	s_cbranch_execz .LBB153_469
; %bb.449:
	s_movk_i32 s2, 0x80
	v_cmp_eq_u16_e32 vcc, s2, v1
	s_mov_b64 s[2:3], -1
	s_and_saveexec_b64 s[8:9], vcc
; %bb.450:
	s_xor_b64 s[2:3], exec, -1
; %bb.451:
	s_or_b64 exec, exec, s[8:9]
	s_and_b64 s[2:3], s[2:3], exec
	s_or_saveexec_b64 s[6:7], s[6:7]
	v_mov_b32_e32 v4, 0x7f800001
	s_xor_b64 exec, exec, s[6:7]
	s_cbranch_execnz .LBB153_470
.LBB153_452:
	s_or_b64 exec, exec, s[6:7]
	s_and_saveexec_b64 s[6:7], s[2:3]
	s_cbranch_execz .LBB153_454
.LBB153_453:
	v_lshlrev_b32_e32 v4, 24, v1
	v_and_b32_e32 v1, 0xffff, v1
	v_and_b32_e32 v5, 7, v1
	v_ffbh_u32_e32 v7, v5
	v_min_u32_e32 v7, 32, v7
	v_subrev_u32_e32 v9, 28, v7
	v_bfe_u32 v6, v1, 3, 4
	v_lshlrev_b32_e32 v1, v9, v1
	v_sub_u32_e32 v7, 29, v7
	v_and_b32_e32 v1, 7, v1
	v_cmp_eq_u32_e32 vcc, 0, v6
	v_and_b32_e32 v4, 0x80000000, v4
	s_nop 0
	v_cndmask_b32_e32 v6, v6, v7, vcc
	v_cndmask_b32_e32 v1, v5, v1, vcc
	v_mov_b32_e32 v5, 0x3b800000
	v_lshlrev_b32_e32 v1, 20, v1
	v_lshl_add_u32 v5, v6, 23, v5
	v_or3_b32 v4, v4, v5, v1
.LBB153_454:
	s_or_b64 exec, exec, s[6:7]
	v_bfe_u32 v1, v4, 16, 1
	s_movk_i32 s2, 0x7fff
	v_add3_u32 v1, v4, v1, s2
	v_cmp_o_f32_e32 vcc, v4, v4
	v_mov_b32_e32 v4, 0x7fc0
	s_nop 0
	v_cndmask_b32_sdwa v1, v4, v1, vcc dst_sel:DWORD dst_unused:UNUSED_PAD src0_sel:DWORD src1_sel:WORD_1
.LBB153_455:
	s_mov_b64 s[2:3], -1
.LBB153_456:
	s_mov_b64 s[6:7], 0
.LBB153_457:
	s_and_b64 vcc, exec, s[6:7]
	s_cbranch_vccz .LBB153_492
; %bb.458:
	s_cmp_gt_i32 s10, 22
	s_cbranch_scc0 .LBB153_468
; %bb.459:
	s_cmp_lt_i32 s10, 24
	s_cbranch_scc1 .LBB153_471
; %bb.460:
	s_cmp_gt_i32 s10, 24
	s_cbranch_scc0 .LBB153_472
; %bb.461:
	global_load_ubyte v1, v[2:3], off
	s_movk_i32 s2, 0x7f
	s_waitcnt vmcnt(0)
	v_cmp_lt_i16_e32 vcc, s2, v1
	s_mov_b64 s[2:3], 0
	s_and_saveexec_b64 s[6:7], vcc
	s_xor_b64 s[6:7], exec, s[6:7]
	s_cbranch_execz .LBB153_484
; %bb.462:
	s_movk_i32 s2, 0x80
	v_cmp_eq_u16_e32 vcc, s2, v1
	s_mov_b64 s[2:3], -1
	s_and_saveexec_b64 s[8:9], vcc
; %bb.463:
	s_xor_b64 s[2:3], exec, -1
; %bb.464:
	s_or_b64 exec, exec, s[8:9]
	s_and_b64 s[2:3], s[2:3], exec
	s_or_saveexec_b64 s[6:7], s[6:7]
	v_mov_b32_e32 v4, 0x7f800001
	s_xor_b64 exec, exec, s[6:7]
	s_cbranch_execnz .LBB153_485
.LBB153_465:
	s_or_b64 exec, exec, s[6:7]
	s_and_saveexec_b64 s[6:7], s[2:3]
	s_cbranch_execz .LBB153_467
.LBB153_466:
	v_lshlrev_b32_e32 v4, 24, v1
	v_and_b32_e32 v1, 0xffff, v1
	v_and_b32_e32 v5, 3, v1
	v_ffbh_u32_e32 v7, v5
	v_min_u32_e32 v7, 32, v7
	v_subrev_u32_e32 v9, 29, v7
	v_bfe_u32 v6, v1, 2, 5
	v_lshlrev_b32_e32 v1, v9, v1
	v_sub_u32_e32 v7, 30, v7
	v_and_b32_e32 v1, 3, v1
	v_cmp_eq_u32_e32 vcc, 0, v6
	v_and_b32_e32 v4, 0x80000000, v4
	s_nop 0
	v_cndmask_b32_e32 v6, v6, v7, vcc
	v_cndmask_b32_e32 v1, v5, v1, vcc
	v_mov_b32_e32 v5, 0x37800000
	v_lshlrev_b32_e32 v1, 21, v1
	v_lshl_add_u32 v5, v6, 23, v5
	v_or3_b32 v4, v4, v5, v1
.LBB153_467:
	s_or_b64 exec, exec, s[6:7]
	v_bfe_u32 v1, v4, 16, 1
	s_movk_i32 s2, 0x7fff
	v_add3_u32 v1, v4, v1, s2
	v_cmp_o_f32_e32 vcc, v4, v4
	v_mov_b32_e32 v4, 0x7fc0
	s_mov_b64 s[2:3], 0
	v_cndmask_b32_sdwa v1, v4, v1, vcc dst_sel:DWORD dst_unused:UNUSED_PAD src0_sel:DWORD src1_sel:WORD_1
	s_branch .LBB153_473
.LBB153_468:
	s_mov_b64 s[6:7], -1
                                        ; implicit-def: $vgpr1
	s_branch .LBB153_479
.LBB153_469:
	s_or_saveexec_b64 s[6:7], s[6:7]
	v_mov_b32_e32 v4, 0x7f800001
	s_xor_b64 exec, exec, s[6:7]
	s_cbranch_execz .LBB153_452
.LBB153_470:
	v_cmp_ne_u16_e32 vcc, 0, v1
	s_andn2_b64 s[2:3], s[2:3], exec
	s_and_b64 s[8:9], vcc, exec
	v_mov_b32_e32 v4, 0
	s_or_b64 s[2:3], s[2:3], s[8:9]
	s_or_b64 exec, exec, s[6:7]
	s_and_saveexec_b64 s[6:7], s[2:3]
	s_cbranch_execnz .LBB153_453
	s_branch .LBB153_454
.LBB153_471:
	s_mov_b64 s[2:3], -1
                                        ; implicit-def: $vgpr1
	s_branch .LBB153_476
.LBB153_472:
	s_mov_b64 s[2:3], -1
                                        ; implicit-def: $vgpr1
.LBB153_473:
	s_and_b64 vcc, exec, s[2:3]
	s_cbranch_vccz .LBB153_475
; %bb.474:
	global_load_ubyte v1, v[2:3], off
	s_mov_b32 s2, 0x7f800000
	s_brev_b32 s3, 1
	s_movk_i32 s6, 0x7fff
	s_waitcnt vmcnt(0)
	v_lshlrev_b32_e32 v1, 24, v1
	v_and_b32_e32 v4, 0x7f000000, v1
	v_ffbh_u32_e32 v5, v4
	v_min_u32_e32 v5, 32, v5
	v_sub_u32_e64 v5, v5, 4 clamp
	v_lshlrev_b32_e32 v7, v5, v4
	v_lshlrev_b32_e32 v5, 23, v5
	v_lshrrev_b32_e32 v7, 4, v7
	v_add_u32_e32 v6, 0x1000000, v4
	v_sub_u32_e32 v5, v7, v5
	v_ashrrev_i32_e32 v6, 8, v6
	v_add_u32_e32 v5, 0x3c000000, v5
	v_and_or_b32 v5, v6, s2, v5
	v_cmp_ne_u32_e32 vcc, 0, v4
	s_nop 1
	v_cndmask_b32_e32 v4, 0, v5, vcc
	v_and_or_b32 v1, v1, s3, v4
	v_bfe_u32 v4, v4, 16, 1
	v_add3_u32 v4, v1, v4, s6
	v_cmp_o_f32_e32 vcc, v1, v1
	v_mov_b32_e32 v1, 0x7fc0
	s_nop 0
	v_cndmask_b32_sdwa v1, v1, v4, vcc dst_sel:DWORD dst_unused:UNUSED_PAD src0_sel:DWORD src1_sel:WORD_1
.LBB153_475:
	s_mov_b64 s[2:3], 0
.LBB153_476:
	s_andn2_b64 vcc, exec, s[2:3]
	s_cbranch_vccnz .LBB153_478
; %bb.477:
	global_load_ubyte v1, v[2:3], off
	s_movk_i32 s2, 0x7f00
	s_brev_b32 s3, 16
	s_brev_b32 s6, 1
	s_movk_i32 s7, 0x7fff
	s_waitcnt vmcnt(0)
	v_lshlrev_b16_e32 v4, 8, v1
	v_lshlrev_b32_e32 v1, 25, v1
	v_lshrrev_b32_e32 v5, 4, v1
	v_and_or_b32 v6, v4, s2, 0.5
	v_or_b32_e32 v5, 0x70000000, v5
	v_add_f32_e32 v6, -0.5, v6
	v_mul_f32_e32 v5, 0x7800000, v5
	v_cmp_gt_u32_e32 vcc, s3, v1
	v_bfe_i32 v4, v4, 0, 16
	s_nop 0
	v_cndmask_b32_e32 v1, v5, v6, vcc
	v_and_or_b32 v4, v4, s6, v1
	v_bfe_u32 v1, v1, 16, 1
	v_add3_u32 v1, v4, v1, s7
	v_cmp_o_f32_e32 vcc, v4, v4
	v_mov_b32_e32 v4, 0x7fc0
	s_nop 0
	v_cndmask_b32_sdwa v1, v4, v1, vcc dst_sel:DWORD dst_unused:UNUSED_PAD src0_sel:DWORD src1_sel:WORD_1
.LBB153_478:
	s_mov_b64 s[6:7], 0
	s_mov_b64 s[2:3], -1
.LBB153_479:
	s_andn2_b64 vcc, exec, s[6:7]
	s_cbranch_vccnz .LBB153_492
; %bb.480:
	s_cmp_gt_i32 s10, 14
	s_cbranch_scc0 .LBB153_483
; %bb.481:
	s_cmp_eq_u32 s10, 15
	s_cbranch_scc0 .LBB153_486
; %bb.482:
	global_load_ushort v1, v[2:3], off
	s_mov_b64 s[2:3], -1
	s_mov_b64 s[4:5], 0
	s_branch .LBB153_487
.LBB153_483:
	s_mov_b64 s[6:7], -1
                                        ; implicit-def: $vgpr1
	s_branch .LBB153_488
.LBB153_484:
	s_or_saveexec_b64 s[6:7], s[6:7]
	v_mov_b32_e32 v4, 0x7f800001
	s_xor_b64 exec, exec, s[6:7]
	s_cbranch_execz .LBB153_465
.LBB153_485:
	v_cmp_ne_u16_e32 vcc, 0, v1
	s_andn2_b64 s[2:3], s[2:3], exec
	s_and_b64 s[8:9], vcc, exec
	v_mov_b32_e32 v4, 0
	s_or_b64 s[2:3], s[2:3], s[8:9]
	s_or_b64 exec, exec, s[6:7]
	s_and_saveexec_b64 s[6:7], s[2:3]
	s_cbranch_execnz .LBB153_466
	s_branch .LBB153_467
.LBB153_486:
	s_mov_b64 s[4:5], -1
                                        ; implicit-def: $vgpr1
.LBB153_487:
	s_mov_b64 s[6:7], 0
.LBB153_488:
	s_and_b64 vcc, exec, s[6:7]
	s_cbranch_vccz .LBB153_492
; %bb.489:
	s_cmp_eq_u32 s10, 11
	s_cbranch_scc0 .LBB153_491
; %bb.490:
	global_load_ubyte v1, v[2:3], off
	s_mov_b64 s[2:3], -1
	s_mov_b64 s[4:5], 0
	s_waitcnt vmcnt(0)
	v_cmp_ne_u16_e32 vcc, 0, v1
	s_nop 1
	v_cndmask_b32_e64 v1, 0, 1.0, vcc
	v_lshrrev_b32_e32 v1, 16, v1
	s_branch .LBB153_492
.LBB153_491:
	s_mov_b64 s[4:5], -1
                                        ; implicit-def: $vgpr1
.LBB153_492:
	s_branch .LBB153_295
.LBB153_493:
	s_cmp_lt_i32 s10, 5
	s_cbranch_scc1 .LBB153_498
; %bb.494:
	s_cmp_lt_i32 s10, 8
	s_cbranch_scc1 .LBB153_499
; %bb.495:
	;; [unrolled: 3-line block ×3, first 2 shown]
	s_cmp_gt_i32 s10, 9
	s_cbranch_scc0 .LBB153_501
; %bb.497:
	global_load_dwordx2 v[4:5], v[2:3], off
	s_movk_i32 s2, 0x7fff
	s_waitcnt vmcnt(1)
	v_mov_b32_e32 v1, 0x7fc0
	s_waitcnt vmcnt(0)
	v_cvt_f32_f64_e32 v4, v[4:5]
	v_bfe_u32 v5, v4, 16, 1
	v_cmp_o_f32_e32 vcc, v4, v4
	v_add3_u32 v4, v4, v5, s2
	s_mov_b64 s[2:3], 0
	v_cndmask_b32_sdwa v1, v1, v4, vcc dst_sel:DWORD dst_unused:UNUSED_PAD src0_sel:DWORD src1_sel:WORD_1
	s_branch .LBB153_502
.LBB153_498:
	s_mov_b64 s[2:3], -1
                                        ; implicit-def: $vgpr1
	s_branch .LBB153_520
.LBB153_499:
	s_mov_b64 s[2:3], -1
                                        ; implicit-def: $vgpr1
	s_branch .LBB153_508
.LBB153_500:
	s_mov_b64 s[2:3], -1
                                        ; implicit-def: $vgpr1
	s_branch .LBB153_505
.LBB153_501:
	s_mov_b64 s[2:3], -1
                                        ; implicit-def: $vgpr1
.LBB153_502:
	s_andn2_b64 vcc, exec, s[2:3]
	s_cbranch_vccnz .LBB153_504
; %bb.503:
	global_load_dword v1, v[2:3], off
	s_movk_i32 s2, 0x7fff
	v_mov_b32_e32 v4, 0x7fc0
	s_waitcnt vmcnt(0)
	v_bfe_u32 v5, v1, 16, 1
	v_cmp_o_f32_e32 vcc, v1, v1
	v_add3_u32 v1, v1, v5, s2
	s_nop 0
	v_cndmask_b32_sdwa v1, v4, v1, vcc dst_sel:DWORD dst_unused:UNUSED_PAD src0_sel:DWORD src1_sel:WORD_1
.LBB153_504:
	s_mov_b64 s[2:3], 0
.LBB153_505:
	s_andn2_b64 vcc, exec, s[2:3]
	s_cbranch_vccnz .LBB153_507
; %bb.506:
	global_load_dword v1, v[2:3], off
	s_movk_i32 s2, 0x7fff
	v_mov_b32_e32 v5, 0x7fc0
	s_waitcnt vmcnt(0)
	v_cvt_f32_f16_e32 v4, v1
	v_cmp_o_f16_e32 vcc, v1, v1
	v_bfe_u32 v1, v4, 16, 1
	v_add3_u32 v1, v4, v1, s2
	v_cndmask_b32_sdwa v1, v5, v1, vcc dst_sel:DWORD dst_unused:UNUSED_PAD src0_sel:DWORD src1_sel:WORD_1
.LBB153_507:
	s_mov_b64 s[2:3], 0
.LBB153_508:
	s_andn2_b64 vcc, exec, s[2:3]
	s_cbranch_vccnz .LBB153_519
; %bb.509:
	s_cmp_lt_i32 s10, 6
	s_cbranch_scc1 .LBB153_512
; %bb.510:
	s_cmp_gt_i32 s10, 6
	s_cbranch_scc0 .LBB153_513
; %bb.511:
	global_load_dwordx2 v[4:5], v[2:3], off
	s_movk_i32 s2, 0x7fff
	s_waitcnt vmcnt(1)
	v_mov_b32_e32 v1, 0x7fc0
	s_waitcnt vmcnt(0)
	v_cvt_f32_f64_e32 v4, v[4:5]
	v_bfe_u32 v5, v4, 16, 1
	v_cmp_o_f32_e32 vcc, v4, v4
	v_add3_u32 v4, v4, v5, s2
	s_mov_b64 s[2:3], 0
	v_cndmask_b32_sdwa v1, v1, v4, vcc dst_sel:DWORD dst_unused:UNUSED_PAD src0_sel:DWORD src1_sel:WORD_1
	s_branch .LBB153_514
.LBB153_512:
	s_mov_b64 s[2:3], -1
                                        ; implicit-def: $vgpr1
	s_branch .LBB153_517
.LBB153_513:
	s_mov_b64 s[2:3], -1
                                        ; implicit-def: $vgpr1
.LBB153_514:
	s_andn2_b64 vcc, exec, s[2:3]
	s_cbranch_vccnz .LBB153_516
; %bb.515:
	global_load_dword v1, v[2:3], off
	s_movk_i32 s2, 0x7fff
	v_mov_b32_e32 v4, 0x7fc0
	s_waitcnt vmcnt(0)
	v_bfe_u32 v5, v1, 16, 1
	v_cmp_o_f32_e32 vcc, v1, v1
	v_add3_u32 v1, v1, v5, s2
	s_nop 0
	v_cndmask_b32_sdwa v1, v4, v1, vcc dst_sel:DWORD dst_unused:UNUSED_PAD src0_sel:DWORD src1_sel:WORD_1
.LBB153_516:
	s_mov_b64 s[2:3], 0
.LBB153_517:
	s_andn2_b64 vcc, exec, s[2:3]
	s_cbranch_vccnz .LBB153_519
; %bb.518:
	global_load_ushort v1, v[2:3], off
	s_movk_i32 s2, 0x7fff
	v_mov_b32_e32 v5, 0x7fc0
	s_waitcnt vmcnt(0)
	v_cvt_f32_f16_e32 v4, v1
	v_cmp_o_f16_e32 vcc, v1, v1
	v_bfe_u32 v1, v4, 16, 1
	v_add3_u32 v1, v4, v1, s2
	v_cndmask_b32_sdwa v1, v5, v1, vcc dst_sel:DWORD dst_unused:UNUSED_PAD src0_sel:DWORD src1_sel:WORD_1
.LBB153_519:
	s_mov_b64 s[2:3], 0
.LBB153_520:
	s_andn2_b64 vcc, exec, s[2:3]
	s_cbranch_vccnz .LBB153_540
; %bb.521:
	s_cmp_lt_i32 s10, 2
	s_cbranch_scc1 .LBB153_525
; %bb.522:
	s_cmp_lt_i32 s10, 3
	s_cbranch_scc1 .LBB153_526
; %bb.523:
	s_cmp_gt_i32 s10, 3
	s_cbranch_scc0 .LBB153_527
; %bb.524:
	global_load_dwordx2 v[4:5], v[2:3], off
	s_movk_i32 s2, 0x7fff
	s_waitcnt vmcnt(0)
	v_xor_b32_e32 v6, v4, v5
	v_ffbh_i32_e32 v1, v5
	v_ashrrev_i32_e32 v6, 31, v6
	v_add_u32_e32 v1, -1, v1
	v_add_u32_e32 v6, 32, v6
	v_min_u32_e32 v1, v1, v6
	v_lshlrev_b64 v[4:5], v1, v[4:5]
	v_min_u32_e32 v4, 1, v4
	v_or_b32_e32 v4, v5, v4
	v_cvt_f32_i32_e32 v4, v4
	v_sub_u32_e32 v1, 32, v1
	v_ldexp_f32 v1, v4, v1
	v_bfe_u32 v4, v1, 16, 1
	v_add3_u32 v1, v1, v4, s2
	v_lshrrev_b32_e32 v1, 16, v1
	s_mov_b64 s[2:3], 0
	s_branch .LBB153_528
.LBB153_525:
	s_mov_b64 s[2:3], -1
                                        ; implicit-def: $vgpr1
	s_branch .LBB153_534
.LBB153_526:
	s_mov_b64 s[2:3], -1
                                        ; implicit-def: $vgpr1
	s_branch .LBB153_531
.LBB153_527:
	s_mov_b64 s[2:3], -1
                                        ; implicit-def: $vgpr1
.LBB153_528:
	s_andn2_b64 vcc, exec, s[2:3]
	s_cbranch_vccnz .LBB153_530
; %bb.529:
	global_load_dword v1, v[2:3], off
	s_movk_i32 s2, 0x7fff
	s_waitcnt vmcnt(0)
	v_cvt_f32_i32_e32 v1, v1
	v_bfe_u32 v4, v1, 16, 1
	v_add3_u32 v1, v1, v4, s2
	v_lshrrev_b32_e32 v1, 16, v1
.LBB153_530:
	s_mov_b64 s[2:3], 0
.LBB153_531:
	s_andn2_b64 vcc, exec, s[2:3]
	s_cbranch_vccnz .LBB153_533
; %bb.532:
	global_load_sshort v1, v[2:3], off
	s_movk_i32 s2, 0x7fff
	s_waitcnt vmcnt(0)
	v_cvt_f32_i32_e32 v1, v1
	v_bfe_u32 v4, v1, 16, 1
	v_add3_u32 v1, v1, v4, s2
	v_lshrrev_b32_e32 v1, 16, v1
.LBB153_533:
	s_mov_b64 s[2:3], 0
.LBB153_534:
	s_andn2_b64 vcc, exec, s[2:3]
	s_cbranch_vccnz .LBB153_540
; %bb.535:
	s_cmp_gt_i32 s10, 0
	s_cbranch_scc0 .LBB153_537
; %bb.536:
	global_load_sbyte v1, v[2:3], off
	s_movk_i32 s2, 0x7fff
	s_waitcnt vmcnt(0)
	v_cvt_f32_i32_e32 v1, v1
	v_bfe_u32 v4, v1, 16, 1
	v_add3_u32 v1, v1, v4, s2
	v_lshrrev_b32_e32 v1, 16, v1
	s_mov_b64 s[2:3], 0
	s_branch .LBB153_538
.LBB153_537:
	s_mov_b64 s[2:3], -1
                                        ; implicit-def: $vgpr1
.LBB153_538:
	s_andn2_b64 vcc, exec, s[2:3]
	s_cbranch_vccnz .LBB153_540
; %bb.539:
	global_load_ubyte v1, v[2:3], off
	s_movk_i32 s2, 0x7fff
	s_waitcnt vmcnt(0)
	v_cvt_f32_ubyte0_e32 v1, v1
	v_bfe_u32 v2, v1, 16, 1
	v_add3_u32 v1, v1, v2, s2
	v_lshrrev_b32_e32 v1, 16, v1
.LBB153_540:
	s_branch .LBB153_296
.LBB153_541:
	s_mov_b64 s[6:7], 0
	s_mov_b64 s[2:3], s[54:55]
.LBB153_542:
                                        ; implicit-def: $vgpr8
.LBB153_543:
	s_andn2_b64 s[8:9], s[54:55], exec
	s_and_b64 s[2:3], s[2:3], exec
	s_or_b64 s[62:63], s[8:9], s[2:3]
	s_andn2_b64 s[2:3], s[56:57], exec
	s_and_b64 s[4:5], s[4:5], exec
	s_or_b64 s[60:61], s[2:3], s[4:5]
	s_orn2_b64 s[2:3], s[6:7], exec
.LBB153_544:
	s_or_b64 exec, exec, s[64:65]
	s_mov_b64 s[4:5], 0
	s_mov_b64 s[6:7], 0
	;; [unrolled: 1-line block ×3, first 2 shown]
                                        ; implicit-def: $vgpr2_vgpr3
                                        ; implicit-def: $vgpr0
                                        ; implicit-def: $vgpr1
	s_and_saveexec_b64 s[64:65], s[2:3]
	s_cbranch_execz .LBB153_921
; %bb.545:
	v_cmp_gt_i32_e32 vcc, s70, v8
	s_mov_b64 s[6:7], -1
	s_mov_b64 s[2:3], s[60:61]
	s_mov_b64 s[68:69], s[62:63]
	s_and_saveexec_b64 s[66:67], vcc
	s_cbranch_execz .LBB153_820
; %bb.546:
	s_andn2_b64 vcc, exec, s[42:43]
	s_cbranch_vccnz .LBB153_552
; %bb.547:
	s_andn2_b64 vcc, exec, s[52:53]
	s_cbranch_vccnz .LBB153_553
; %bb.548:
	s_add_i32 s76, s75, 1
	s_cmp_eq_u32 s72, 2
	s_cbranch_scc1 .LBB153_554
; %bb.549:
	s_and_b32 s71, s76, 28
	s_mov_b32 s77, 0
	v_mov_b32_e32 v0, 0
	v_mov_b32_e32 v2, 0
	s_mov_b64 s[2:3], s[34:35]
	s_mov_b64 s[68:69], s[50:51]
	v_mov_b32_e32 v4, v8
.LBB153_550:                            ; =>This Inner Loop Header: Depth=1
	s_load_dwordx8 s[12:19], s[2:3], 0x4
	s_load_dwordx4 s[36:39], s[2:3], 0x24
	s_load_dwordx8 s[4:11], s[68:69], 0x0
	s_add_u32 s2, s2, 48
	s_addc_u32 s3, s3, 0
	s_waitcnt vmcnt(0) lgkmcnt(0)
	v_mul_hi_u32 v1, s13, v4
	v_add_u32_e32 v1, v4, v1
	v_lshrrev_b32_e32 v1, s14, v1
	v_mul_lo_u32 v3, v1, s12
	v_mul_hi_u32 v5, s16, v1
	v_sub_u32_e32 v3, v4, v3
	v_add_u32_e32 v4, v1, v5
	v_lshrrev_b32_e32 v4, s17, v4
	v_mul_lo_u32 v6, v4, s15
	v_mul_hi_u32 v7, s19, v4
	v_sub_u32_e32 v1, v1, v6
	v_add_u32_e32 v6, v4, v7
	v_mul_lo_u32 v5, v3, s5
	v_mul_lo_u32 v3, v3, s4
	;; [unrolled: 1-line block ×4, first 2 shown]
	v_lshrrev_b32_e32 v6, s36, v6
	v_add3_u32 v0, v3, v0, v1
	v_mul_hi_u32 v3, s38, v6
	v_add3_u32 v1, v5, v2, v7
	v_mul_lo_u32 v2, v6, s18
	v_add_u32_e32 v3, v6, v3
	v_sub_u32_e32 v2, v4, v2
	v_lshrrev_b32_e32 v4, s39, v3
	s_add_i32 s77, s77, 4
	v_mul_lo_u32 v3, v4, s37
	s_add_u32 s68, s68, 32
	v_sub_u32_e32 v3, v6, v3
	s_addc_u32 s69, s69, 0
	v_mul_lo_u32 v5, v2, s8
	v_mul_lo_u32 v2, v2, s9
	;; [unrolled: 1-line block ×4, first 2 shown]
	s_cmp_eq_u32 s71, s77
	v_add3_u32 v2, v2, v1, v3
	v_add3_u32 v0, v5, v0, v6
	s_cbranch_scc0 .LBB153_550
; %bb.551:
	v_mov_b32_e32 v1, v2
	s_branch .LBB153_555
.LBB153_552:
	s_mov_b64 s[2:3], -1
                                        ; implicit-def: $vgpr2
                                        ; implicit-def: $vgpr0
	s_branch .LBB153_559
.LBB153_553:
	v_mov_b32_e32 v2, 0
	v_mov_b32_e32 v0, 0
	s_branch .LBB153_558
.LBB153_554:
	v_mov_b32_e32 v0, 0
	s_mov_b32 s71, 0
	s_waitcnt vmcnt(0)
	v_mov_b32_e32 v1, v0
                                        ; implicit-def: $vgpr2
	v_mov_b32_e32 v4, v8
.LBB153_555:
	s_and_b32 s6, s76, 3
	s_cmp_eq_u32 s6, 0
	s_cbranch_scc1 .LBB153_558
; %bb.556:
	s_lshl_b32 s2, s71, 3
	s_add_u32 s2, s34, s2
	s_addc_u32 s3, s35, 0
	s_add_u32 s2, s2, 0xc4
	s_addc_u32 s3, s3, 0
	s_mul_i32 s4, s71, 12
	s_add_u32 s4, s34, s4
	s_addc_u32 s5, s35, 0
.LBB153_557:                            ; =>This Inner Loop Header: Depth=1
	s_load_dwordx2 s[8:9], s[4:5], 0x4
	s_load_dword s7, s[4:5], 0xc
	s_load_dwordx2 s[10:11], s[2:3], 0x0
	v_mov_b32_e32 v2, v1
	s_add_u32 s4, s4, 12
	s_waitcnt lgkmcnt(0)
	v_mul_hi_u32 v1, s9, v4
	v_add_u32_e32 v1, v4, v1
	v_lshrrev_b32_e32 v1, s7, v1
	s_addc_u32 s5, s5, 0
	v_mul_lo_u32 v3, v1, s8
	s_add_u32 s2, s2, 8
	v_sub_u32_e32 v5, v4, v3
	s_addc_u32 s3, s3, 0
	s_add_i32 s6, s6, -1
	v_mov_b32_e32 v4, v1
	v_mad_u64_u32 v[2:3], s[8:9], v5, s11, v[2:3]
	v_mad_u64_u32 v[0:1], s[8:9], v5, s10, v[0:1]
	s_cmp_lg_u32 s6, 0
	v_mov_b32_e32 v1, v2
	s_cbranch_scc1 .LBB153_557
.LBB153_558:
	s_mov_b64 s[2:3], 0
.LBB153_559:
	s_andn2_b64 vcc, exec, s[2:3]
	s_cbranch_vccnz .LBB153_562
; %bb.560:
	s_waitcnt lgkmcnt(0)
	v_mul_hi_u32 v0, s29, v8
	v_add_u32_e32 v0, v8, v0
	s_waitcnt vmcnt(0)
	v_lshrrev_b32_e32 v1, s30, v0
	v_mul_lo_u32 v0, v1, s28
	v_sub_u32_e32 v0, v8, v0
	v_mul_lo_u32 v2, v0, s25
	s_andn2_b64 vcc, exec, s[48:49]
	v_mul_lo_u32 v0, v0, s24
	s_cbranch_vccnz .LBB153_562
; %bb.561:
	v_mul_hi_u32 v3, s46, v1
	v_add_u32_e32 v3, v1, v3
	v_lshrrev_b32_e32 v3, s47, v3
	v_mul_lo_u32 v3, v3, s31
	v_sub_u32_e32 v3, v1, v3
	v_mad_u64_u32 v[0:1], s[2:3], v3, s26, v[0:1]
	v_mad_u64_u32 v[2:3], s[2:3], v3, s27, v[2:3]
.LBB153_562:
	v_mov_b32_e32 v3, 0
	s_and_b32 s10, 0xffff, s74
	s_cmp_lt_i32 s10, 11
	s_waitcnt lgkmcnt(0)
	v_lshl_add_u64 v[2:3], s[22:23], 0, v[2:3]
	s_cbranch_scc1 .LBB153_569
; %bb.563:
	s_cmp_gt_i32 s10, 25
	s_cbranch_scc0 .LBB153_570
; %bb.564:
	s_cmp_gt_i32 s10, 28
	s_cbranch_scc0 .LBB153_571
	;; [unrolled: 3-line block ×4, first 2 shown]
; %bb.567:
	s_cmp_eq_u32 s10, 46
	s_mov_b64 s[6:7], 0
	s_cbranch_scc0 .LBB153_578
; %bb.568:
	global_load_dword v1, v[2:3], off
	s_mov_b64 s[2:3], -1
	s_mov_b64 s[4:5], 0
	s_branch .LBB153_579
.LBB153_569:
	s_mov_b64 s[6:7], -1
	s_mov_b64 s[2:3], 0
                                        ; implicit-def: $vgpr1
	s_mov_b64 s[4:5], s[60:61]
	s_branch .LBB153_644
.LBB153_570:
	s_mov_b64 s[6:7], -1
	s_mov_b64 s[2:3], 0
	s_mov_b64 s[4:5], s[60:61]
                                        ; implicit-def: $vgpr1
	s_branch .LBB153_608
.LBB153_571:
	s_mov_b64 s[6:7], -1
	s_mov_b64 s[2:3], 0
	s_mov_b64 s[4:5], s[60:61]
                                        ; implicit-def: $vgpr1
	s_branch .LBB153_589
.LBB153_572:
	s_mov_b64 s[6:7], -1
	s_mov_b64 s[2:3], 0
	s_mov_b64 s[4:5], s[60:61]
                                        ; implicit-def: $vgpr1
	s_branch .LBB153_584
.LBB153_573:
	s_andn2_saveexec_b64 s[10:11], s[10:11]
	s_cbranch_execz .LBB153_341
.LBB153_574:
	s_mov_b32 s14, 0x46000000
	v_add_f32_e64 v4, |v5|, s14
	v_and_b32_e32 v4, 0xff, v4
	v_cmp_ne_u32_e32 vcc, 0, v4
	s_andn2_b64 s[8:9], s[8:9], exec
	s_and_b64 s[14:15], vcc, exec
	s_or_b64 s[8:9], s[8:9], s[14:15]
	s_or_b64 exec, exec, s[10:11]
	v_mov_b32_e32 v6, 0
	s_and_saveexec_b64 s[10:11], s[8:9]
	s_cbranch_execnz .LBB153_342
	s_branch .LBB153_343
.LBB153_575:
	s_mov_b64 s[6:7], -1
	s_mov_b64 s[2:3], 0
	s_mov_b64 s[4:5], s[60:61]
                                        ; implicit-def: $vgpr1
	s_branch .LBB153_579
.LBB153_576:
	s_andn2_saveexec_b64 s[10:11], s[10:11]
	s_cbranch_execz .LBB153_354
.LBB153_577:
	s_mov_b32 s14, 0x42800000
	v_add_f32_e64 v4, |v5|, s14
	v_and_b32_e32 v4, 0xff, v4
	v_cmp_ne_u32_e32 vcc, 0, v4
	s_andn2_b64 s[8:9], s[8:9], exec
	s_and_b64 s[14:15], vcc, exec
	s_or_b64 s[8:9], s[8:9], s[14:15]
	s_or_b64 exec, exec, s[10:11]
	v_mov_b32_e32 v6, 0
	s_and_saveexec_b64 s[10:11], s[8:9]
	s_cbranch_execnz .LBB153_355
	s_branch .LBB153_356
.LBB153_578:
	s_mov_b64 s[4:5], -1
                                        ; implicit-def: $vgpr1
	s_mov_b64 s[2:3], 0
.LBB153_579:
	s_and_b64 vcc, exec, s[6:7]
	s_cbranch_vccz .LBB153_583
; %bb.580:
	s_cmp_eq_u32 s10, 44
	s_cbranch_scc0 .LBB153_582
; %bb.581:
	global_load_ubyte v1, v[2:3], off
	s_movk_i32 s4, 0xff
	v_mov_b32_e32 v4, 0x7f800001
	v_mov_b32_e32 v5, 0x400000
	;; [unrolled: 1-line block ×3, first 2 shown]
	s_mov_b64 s[2:3], -1
	s_waitcnt vmcnt(0)
	v_lshlrev_b32_e32 v7, 23, v1
	v_cmp_ne_u32_e32 vcc, s4, v1
	s_mov_b64 s[4:5], 0
	s_nop 0
	v_cndmask_b32_e32 v4, v4, v7, vcc
	v_cmp_ne_u32_e32 vcc, 0, v1
	s_nop 1
	v_cndmask_b32_e32 v1, v5, v4, vcc
	v_add_u32_e32 v4, 0x7fff, v1
	v_cmp_o_f32_e32 vcc, v1, v1
	s_nop 1
	v_cndmask_b32_sdwa v1, v6, v4, vcc dst_sel:DWORD dst_unused:UNUSED_PAD src0_sel:DWORD src1_sel:WORD_1
	s_branch .LBB153_583
.LBB153_582:
	s_mov_b64 s[4:5], -1
                                        ; implicit-def: $vgpr1
.LBB153_583:
	s_mov_b64 s[6:7], 0
.LBB153_584:
	s_and_b64 vcc, exec, s[6:7]
	s_cbranch_vccz .LBB153_588
; %bb.585:
	s_cmp_eq_u32 s10, 29
	s_cbranch_scc0 .LBB153_587
; %bb.586:
	global_load_dwordx2 v[4:5], v[2:3], off
	s_movk_i32 s4, 0x7fff
	s_mov_b64 s[2:3], -1
	s_mov_b64 s[6:7], 0
	s_waitcnt vmcnt(0)
	v_ffbh_u32_e32 v1, v5
	v_min_u32_e32 v1, 32, v1
	v_lshlrev_b64 v[4:5], v1, v[4:5]
	v_min_u32_e32 v4, 1, v4
	v_or_b32_e32 v4, v5, v4
	v_cvt_f32_u32_e32 v4, v4
	v_sub_u32_e32 v1, 32, v1
	v_ldexp_f32 v1, v4, v1
	v_bfe_u32 v4, v1, 16, 1
	v_add3_u32 v1, v1, v4, s4
	v_lshrrev_b32_e32 v1, 16, v1
	s_mov_b64 s[4:5], 0
	s_branch .LBB153_589
.LBB153_587:
	s_mov_b64 s[4:5], -1
                                        ; implicit-def: $vgpr1
.LBB153_588:
	s_mov_b64 s[6:7], 0
.LBB153_589:
	s_and_b64 vcc, exec, s[6:7]
	s_cbranch_vccz .LBB153_607
; %bb.590:
	s_cmp_lt_i32 s10, 27
	s_cbranch_scc1 .LBB153_593
; %bb.591:
	s_cmp_gt_i32 s10, 27
	s_cbranch_scc0 .LBB153_594
; %bb.592:
	global_load_dword v1, v[2:3], off
	s_movk_i32 s2, 0x7fff
	s_waitcnt vmcnt(0)
	v_cvt_f32_u32_e32 v1, v1
	v_bfe_u32 v4, v1, 16, 1
	v_add3_u32 v1, v1, v4, s2
	v_lshrrev_b32_e32 v1, 16, v1
	s_mov_b64 s[2:3], 0
	s_branch .LBB153_595
.LBB153_593:
	s_mov_b64 s[2:3], -1
                                        ; implicit-def: $vgpr1
	s_branch .LBB153_598
.LBB153_594:
	s_mov_b64 s[2:3], -1
                                        ; implicit-def: $vgpr1
.LBB153_595:
	s_andn2_b64 vcc, exec, s[2:3]
	s_cbranch_vccnz .LBB153_597
; %bb.596:
	global_load_ushort v1, v[2:3], off
	s_movk_i32 s2, 0x7fff
	s_waitcnt vmcnt(0)
	v_cvt_f32_u32_e32 v1, v1
	v_bfe_u32 v4, v1, 16, 1
	v_add3_u32 v1, v1, v4, s2
	v_lshrrev_b32_e32 v1, 16, v1
.LBB153_597:
	s_mov_b64 s[2:3], 0
.LBB153_598:
	s_andn2_b64 vcc, exec, s[2:3]
	s_cbranch_vccnz .LBB153_606
; %bb.599:
	global_load_ubyte v1, v[2:3], off
	s_movk_i32 s2, 0x7f
	s_waitcnt vmcnt(0)
	v_cmp_lt_i16_e32 vcc, s2, v1
	s_mov_b64 s[2:3], 0
	s_and_saveexec_b64 s[6:7], vcc
	s_xor_b64 s[6:7], exec, s[6:7]
	s_cbranch_execz .LBB153_620
; %bb.600:
	s_movk_i32 s2, 0x80
	v_cmp_eq_u16_e32 vcc, s2, v1
	s_mov_b64 s[2:3], -1
	s_and_saveexec_b64 s[8:9], vcc
; %bb.601:
	s_xor_b64 s[2:3], exec, -1
; %bb.602:
	s_or_b64 exec, exec, s[8:9]
	s_and_b64 s[2:3], s[2:3], exec
	s_or_saveexec_b64 s[6:7], s[6:7]
	v_mov_b32_e32 v4, 0x7f800001
	s_xor_b64 exec, exec, s[6:7]
	s_cbranch_execnz .LBB153_621
.LBB153_603:
	s_or_b64 exec, exec, s[6:7]
	s_and_saveexec_b64 s[6:7], s[2:3]
	s_cbranch_execz .LBB153_605
.LBB153_604:
	v_lshlrev_b32_e32 v4, 24, v1
	v_and_b32_e32 v1, 0xffff, v1
	v_and_b32_e32 v5, 7, v1
	v_ffbh_u32_e32 v7, v5
	v_min_u32_e32 v7, 32, v7
	v_subrev_u32_e32 v9, 28, v7
	v_bfe_u32 v6, v1, 3, 4
	v_lshlrev_b32_e32 v1, v9, v1
	v_sub_u32_e32 v7, 29, v7
	v_and_b32_e32 v1, 7, v1
	v_cmp_eq_u32_e32 vcc, 0, v6
	v_and_b32_e32 v4, 0x80000000, v4
	s_nop 0
	v_cndmask_b32_e32 v6, v6, v7, vcc
	v_cndmask_b32_e32 v1, v5, v1, vcc
	v_mov_b32_e32 v5, 0x3b800000
	v_lshlrev_b32_e32 v1, 20, v1
	v_lshl_add_u32 v5, v6, 23, v5
	v_or3_b32 v4, v4, v5, v1
.LBB153_605:
	s_or_b64 exec, exec, s[6:7]
	v_bfe_u32 v1, v4, 16, 1
	s_movk_i32 s2, 0x7fff
	v_add3_u32 v1, v4, v1, s2
	v_cmp_o_f32_e32 vcc, v4, v4
	v_mov_b32_e32 v4, 0x7fc0
	s_nop 0
	v_cndmask_b32_sdwa v1, v4, v1, vcc dst_sel:DWORD dst_unused:UNUSED_PAD src0_sel:DWORD src1_sel:WORD_1
.LBB153_606:
	s_mov_b64 s[2:3], -1
.LBB153_607:
	s_mov_b64 s[6:7], 0
.LBB153_608:
	s_and_b64 vcc, exec, s[6:7]
	s_cbranch_vccz .LBB153_643
; %bb.609:
	s_cmp_gt_i32 s10, 22
	s_cbranch_scc0 .LBB153_619
; %bb.610:
	s_cmp_lt_i32 s10, 24
	s_cbranch_scc1 .LBB153_622
; %bb.611:
	s_cmp_gt_i32 s10, 24
	s_cbranch_scc0 .LBB153_623
; %bb.612:
	global_load_ubyte v1, v[2:3], off
	s_movk_i32 s2, 0x7f
	s_waitcnt vmcnt(0)
	v_cmp_lt_i16_e32 vcc, s2, v1
	s_mov_b64 s[2:3], 0
	s_and_saveexec_b64 s[6:7], vcc
	s_xor_b64 s[6:7], exec, s[6:7]
	s_cbranch_execz .LBB153_635
; %bb.613:
	s_movk_i32 s2, 0x80
	v_cmp_eq_u16_e32 vcc, s2, v1
	s_mov_b64 s[2:3], -1
	s_and_saveexec_b64 s[8:9], vcc
; %bb.614:
	s_xor_b64 s[2:3], exec, -1
; %bb.615:
	s_or_b64 exec, exec, s[8:9]
	s_and_b64 s[2:3], s[2:3], exec
	s_or_saveexec_b64 s[6:7], s[6:7]
	v_mov_b32_e32 v4, 0x7f800001
	s_xor_b64 exec, exec, s[6:7]
	s_cbranch_execnz .LBB153_636
.LBB153_616:
	s_or_b64 exec, exec, s[6:7]
	s_and_saveexec_b64 s[6:7], s[2:3]
	s_cbranch_execz .LBB153_618
.LBB153_617:
	v_lshlrev_b32_e32 v4, 24, v1
	v_and_b32_e32 v1, 0xffff, v1
	v_and_b32_e32 v5, 3, v1
	v_ffbh_u32_e32 v7, v5
	v_min_u32_e32 v7, 32, v7
	v_subrev_u32_e32 v9, 29, v7
	v_bfe_u32 v6, v1, 2, 5
	v_lshlrev_b32_e32 v1, v9, v1
	v_sub_u32_e32 v7, 30, v7
	v_and_b32_e32 v1, 3, v1
	v_cmp_eq_u32_e32 vcc, 0, v6
	v_and_b32_e32 v4, 0x80000000, v4
	s_nop 0
	v_cndmask_b32_e32 v6, v6, v7, vcc
	v_cndmask_b32_e32 v1, v5, v1, vcc
	v_mov_b32_e32 v5, 0x37800000
	v_lshlrev_b32_e32 v1, 21, v1
	v_lshl_add_u32 v5, v6, 23, v5
	v_or3_b32 v4, v4, v5, v1
.LBB153_618:
	s_or_b64 exec, exec, s[6:7]
	v_bfe_u32 v1, v4, 16, 1
	s_movk_i32 s2, 0x7fff
	v_add3_u32 v1, v4, v1, s2
	v_cmp_o_f32_e32 vcc, v4, v4
	v_mov_b32_e32 v4, 0x7fc0
	s_mov_b64 s[2:3], 0
	v_cndmask_b32_sdwa v1, v4, v1, vcc dst_sel:DWORD dst_unused:UNUSED_PAD src0_sel:DWORD src1_sel:WORD_1
	s_branch .LBB153_624
.LBB153_619:
	s_mov_b64 s[6:7], -1
                                        ; implicit-def: $vgpr1
	s_branch .LBB153_630
.LBB153_620:
	s_or_saveexec_b64 s[6:7], s[6:7]
	v_mov_b32_e32 v4, 0x7f800001
	s_xor_b64 exec, exec, s[6:7]
	s_cbranch_execz .LBB153_603
.LBB153_621:
	v_cmp_ne_u16_e32 vcc, 0, v1
	s_andn2_b64 s[2:3], s[2:3], exec
	s_and_b64 s[8:9], vcc, exec
	v_mov_b32_e32 v4, 0
	s_or_b64 s[2:3], s[2:3], s[8:9]
	s_or_b64 exec, exec, s[6:7]
	s_and_saveexec_b64 s[6:7], s[2:3]
	s_cbranch_execnz .LBB153_604
	s_branch .LBB153_605
.LBB153_622:
	s_mov_b64 s[2:3], -1
                                        ; implicit-def: $vgpr1
	s_branch .LBB153_627
.LBB153_623:
	s_mov_b64 s[2:3], -1
                                        ; implicit-def: $vgpr1
.LBB153_624:
	s_and_b64 vcc, exec, s[2:3]
	s_cbranch_vccz .LBB153_626
; %bb.625:
	global_load_ubyte v1, v[2:3], off
	s_mov_b32 s2, 0x7f800000
	s_brev_b32 s3, 1
	s_movk_i32 s6, 0x7fff
	s_waitcnt vmcnt(0)
	v_lshlrev_b32_e32 v1, 24, v1
	v_and_b32_e32 v4, 0x7f000000, v1
	v_ffbh_u32_e32 v5, v4
	v_min_u32_e32 v5, 32, v5
	v_sub_u32_e64 v5, v5, 4 clamp
	v_lshlrev_b32_e32 v7, v5, v4
	v_lshlrev_b32_e32 v5, 23, v5
	v_lshrrev_b32_e32 v7, 4, v7
	v_add_u32_e32 v6, 0x1000000, v4
	v_sub_u32_e32 v5, v7, v5
	v_ashrrev_i32_e32 v6, 8, v6
	v_add_u32_e32 v5, 0x3c000000, v5
	v_and_or_b32 v5, v6, s2, v5
	v_cmp_ne_u32_e32 vcc, 0, v4
	s_nop 1
	v_cndmask_b32_e32 v4, 0, v5, vcc
	v_and_or_b32 v1, v1, s3, v4
	v_bfe_u32 v4, v4, 16, 1
	v_add3_u32 v4, v1, v4, s6
	v_cmp_o_f32_e32 vcc, v1, v1
	v_mov_b32_e32 v1, 0x7fc0
	s_nop 0
	v_cndmask_b32_sdwa v1, v1, v4, vcc dst_sel:DWORD dst_unused:UNUSED_PAD src0_sel:DWORD src1_sel:WORD_1
.LBB153_626:
	s_mov_b64 s[2:3], 0
.LBB153_627:
	s_andn2_b64 vcc, exec, s[2:3]
	s_cbranch_vccnz .LBB153_629
; %bb.628:
	global_load_ubyte v1, v[2:3], off
	s_movk_i32 s2, 0x7f00
	s_brev_b32 s3, 16
	s_brev_b32 s6, 1
	s_movk_i32 s7, 0x7fff
	s_waitcnt vmcnt(0)
	v_lshlrev_b16_e32 v4, 8, v1
	v_lshlrev_b32_e32 v1, 25, v1
	v_lshrrev_b32_e32 v5, 4, v1
	v_and_or_b32 v6, v4, s2, 0.5
	v_or_b32_e32 v5, 0x70000000, v5
	v_add_f32_e32 v6, -0.5, v6
	v_mul_f32_e32 v5, 0x7800000, v5
	v_cmp_gt_u32_e32 vcc, s3, v1
	v_bfe_i32 v4, v4, 0, 16
	s_nop 0
	v_cndmask_b32_e32 v1, v5, v6, vcc
	v_and_or_b32 v4, v4, s6, v1
	v_bfe_u32 v1, v1, 16, 1
	v_add3_u32 v1, v4, v1, s7
	v_cmp_o_f32_e32 vcc, v4, v4
	v_mov_b32_e32 v4, 0x7fc0
	s_nop 0
	v_cndmask_b32_sdwa v1, v4, v1, vcc dst_sel:DWORD dst_unused:UNUSED_PAD src0_sel:DWORD src1_sel:WORD_1
.LBB153_629:
	s_mov_b64 s[6:7], 0
	s_mov_b64 s[2:3], -1
.LBB153_630:
	s_andn2_b64 vcc, exec, s[6:7]
	s_cbranch_vccnz .LBB153_643
; %bb.631:
	s_cmp_gt_i32 s10, 14
	s_cbranch_scc0 .LBB153_634
; %bb.632:
	s_cmp_eq_u32 s10, 15
	s_cbranch_scc0 .LBB153_637
; %bb.633:
	global_load_ushort v1, v[2:3], off
	s_mov_b64 s[2:3], -1
	s_mov_b64 s[4:5], 0
	s_branch .LBB153_638
.LBB153_634:
	s_mov_b64 s[6:7], -1
                                        ; implicit-def: $vgpr1
	s_branch .LBB153_639
.LBB153_635:
	s_or_saveexec_b64 s[6:7], s[6:7]
	v_mov_b32_e32 v4, 0x7f800001
	s_xor_b64 exec, exec, s[6:7]
	s_cbranch_execz .LBB153_616
.LBB153_636:
	v_cmp_ne_u16_e32 vcc, 0, v1
	s_andn2_b64 s[2:3], s[2:3], exec
	s_and_b64 s[8:9], vcc, exec
	v_mov_b32_e32 v4, 0
	s_or_b64 s[2:3], s[2:3], s[8:9]
	s_or_b64 exec, exec, s[6:7]
	s_and_saveexec_b64 s[6:7], s[2:3]
	s_cbranch_execnz .LBB153_617
	s_branch .LBB153_618
.LBB153_637:
	s_mov_b64 s[4:5], -1
                                        ; implicit-def: $vgpr1
.LBB153_638:
	s_mov_b64 s[6:7], 0
.LBB153_639:
	s_and_b64 vcc, exec, s[6:7]
	s_cbranch_vccz .LBB153_643
; %bb.640:
	s_cmp_eq_u32 s10, 11
	s_cbranch_scc0 .LBB153_642
; %bb.641:
	global_load_ubyte v1, v[2:3], off
	s_mov_b64 s[2:3], -1
	s_mov_b64 s[4:5], 0
	s_waitcnt vmcnt(0)
	v_cmp_ne_u16_e32 vcc, 0, v1
	s_nop 1
	v_cndmask_b32_e64 v1, 0, 1.0, vcc
	v_lshrrev_b32_e32 v1, 16, v1
	s_branch .LBB153_643
.LBB153_642:
	s_mov_b64 s[4:5], -1
                                        ; implicit-def: $vgpr1
.LBB153_643:
	s_mov_b64 s[6:7], 0
.LBB153_644:
	s_and_b64 vcc, exec, s[6:7]
	s_cbranch_vccz .LBB153_693
; %bb.645:
	s_cmp_lt_i32 s10, 5
	s_cbranch_scc1 .LBB153_650
; %bb.646:
	s_cmp_lt_i32 s10, 8
	s_cbranch_scc1 .LBB153_651
	;; [unrolled: 3-line block ×3, first 2 shown]
; %bb.648:
	s_cmp_gt_i32 s10, 9
	s_cbranch_scc0 .LBB153_653
; %bb.649:
	global_load_dwordx2 v[4:5], v[2:3], off
	s_movk_i32 s2, 0x7fff
	s_waitcnt vmcnt(1)
	v_mov_b32_e32 v1, 0x7fc0
	s_waitcnt vmcnt(0)
	v_cvt_f32_f64_e32 v4, v[4:5]
	v_bfe_u32 v5, v4, 16, 1
	v_cmp_o_f32_e32 vcc, v4, v4
	v_add3_u32 v4, v4, v5, s2
	s_mov_b64 s[2:3], 0
	v_cndmask_b32_sdwa v1, v1, v4, vcc dst_sel:DWORD dst_unused:UNUSED_PAD src0_sel:DWORD src1_sel:WORD_1
	s_branch .LBB153_654
.LBB153_650:
	s_mov_b64 s[2:3], -1
                                        ; implicit-def: $vgpr1
	s_branch .LBB153_672
.LBB153_651:
	s_mov_b64 s[2:3], -1
                                        ; implicit-def: $vgpr1
	s_branch .LBB153_660
.LBB153_652:
	s_mov_b64 s[2:3], -1
                                        ; implicit-def: $vgpr1
	s_branch .LBB153_657
.LBB153_653:
	s_mov_b64 s[2:3], -1
                                        ; implicit-def: $vgpr1
.LBB153_654:
	s_andn2_b64 vcc, exec, s[2:3]
	s_cbranch_vccnz .LBB153_656
; %bb.655:
	global_load_dword v1, v[2:3], off
	s_movk_i32 s2, 0x7fff
	v_mov_b32_e32 v4, 0x7fc0
	s_waitcnt vmcnt(0)
	v_bfe_u32 v5, v1, 16, 1
	v_cmp_o_f32_e32 vcc, v1, v1
	v_add3_u32 v1, v1, v5, s2
	s_nop 0
	v_cndmask_b32_sdwa v1, v4, v1, vcc dst_sel:DWORD dst_unused:UNUSED_PAD src0_sel:DWORD src1_sel:WORD_1
.LBB153_656:
	s_mov_b64 s[2:3], 0
.LBB153_657:
	s_andn2_b64 vcc, exec, s[2:3]
	s_cbranch_vccnz .LBB153_659
; %bb.658:
	global_load_dword v1, v[2:3], off
	s_movk_i32 s2, 0x7fff
	v_mov_b32_e32 v5, 0x7fc0
	s_waitcnt vmcnt(0)
	v_cvt_f32_f16_e32 v4, v1
	v_cmp_o_f16_e32 vcc, v1, v1
	v_bfe_u32 v1, v4, 16, 1
	v_add3_u32 v1, v4, v1, s2
	v_cndmask_b32_sdwa v1, v5, v1, vcc dst_sel:DWORD dst_unused:UNUSED_PAD src0_sel:DWORD src1_sel:WORD_1
.LBB153_659:
	s_mov_b64 s[2:3], 0
.LBB153_660:
	s_andn2_b64 vcc, exec, s[2:3]
	s_cbranch_vccnz .LBB153_671
; %bb.661:
	s_cmp_lt_i32 s10, 6
	s_cbranch_scc1 .LBB153_664
; %bb.662:
	s_cmp_gt_i32 s10, 6
	s_cbranch_scc0 .LBB153_665
; %bb.663:
	global_load_dwordx2 v[4:5], v[2:3], off
	s_movk_i32 s2, 0x7fff
	s_waitcnt vmcnt(1)
	v_mov_b32_e32 v1, 0x7fc0
	s_waitcnt vmcnt(0)
	v_cvt_f32_f64_e32 v4, v[4:5]
	v_bfe_u32 v5, v4, 16, 1
	v_cmp_o_f32_e32 vcc, v4, v4
	v_add3_u32 v4, v4, v5, s2
	s_mov_b64 s[2:3], 0
	v_cndmask_b32_sdwa v1, v1, v4, vcc dst_sel:DWORD dst_unused:UNUSED_PAD src0_sel:DWORD src1_sel:WORD_1
	s_branch .LBB153_666
.LBB153_664:
	s_mov_b64 s[2:3], -1
                                        ; implicit-def: $vgpr1
	s_branch .LBB153_669
.LBB153_665:
	s_mov_b64 s[2:3], -1
                                        ; implicit-def: $vgpr1
.LBB153_666:
	s_andn2_b64 vcc, exec, s[2:3]
	s_cbranch_vccnz .LBB153_668
; %bb.667:
	global_load_dword v1, v[2:3], off
	s_movk_i32 s2, 0x7fff
	v_mov_b32_e32 v4, 0x7fc0
	s_waitcnt vmcnt(0)
	v_bfe_u32 v5, v1, 16, 1
	v_cmp_o_f32_e32 vcc, v1, v1
	v_add3_u32 v1, v1, v5, s2
	s_nop 0
	v_cndmask_b32_sdwa v1, v4, v1, vcc dst_sel:DWORD dst_unused:UNUSED_PAD src0_sel:DWORD src1_sel:WORD_1
.LBB153_668:
	s_mov_b64 s[2:3], 0
.LBB153_669:
	s_andn2_b64 vcc, exec, s[2:3]
	s_cbranch_vccnz .LBB153_671
; %bb.670:
	global_load_ushort v1, v[2:3], off
	s_movk_i32 s2, 0x7fff
	v_mov_b32_e32 v5, 0x7fc0
	s_waitcnt vmcnt(0)
	v_cvt_f32_f16_e32 v4, v1
	v_cmp_o_f16_e32 vcc, v1, v1
	v_bfe_u32 v1, v4, 16, 1
	v_add3_u32 v1, v4, v1, s2
	v_cndmask_b32_sdwa v1, v5, v1, vcc dst_sel:DWORD dst_unused:UNUSED_PAD src0_sel:DWORD src1_sel:WORD_1
.LBB153_671:
	s_mov_b64 s[2:3], 0
.LBB153_672:
	s_andn2_b64 vcc, exec, s[2:3]
	s_cbranch_vccnz .LBB153_692
; %bb.673:
	s_cmp_lt_i32 s10, 2
	s_cbranch_scc1 .LBB153_677
; %bb.674:
	s_cmp_lt_i32 s10, 3
	s_cbranch_scc1 .LBB153_678
; %bb.675:
	s_cmp_gt_i32 s10, 3
	s_cbranch_scc0 .LBB153_679
; %bb.676:
	global_load_dwordx2 v[4:5], v[2:3], off
	s_movk_i32 s2, 0x7fff
	s_waitcnt vmcnt(0)
	v_xor_b32_e32 v6, v4, v5
	v_ffbh_i32_e32 v1, v5
	v_ashrrev_i32_e32 v6, 31, v6
	v_add_u32_e32 v1, -1, v1
	v_add_u32_e32 v6, 32, v6
	v_min_u32_e32 v1, v1, v6
	v_lshlrev_b64 v[4:5], v1, v[4:5]
	v_min_u32_e32 v4, 1, v4
	v_or_b32_e32 v4, v5, v4
	v_cvt_f32_i32_e32 v4, v4
	v_sub_u32_e32 v1, 32, v1
	v_ldexp_f32 v1, v4, v1
	v_bfe_u32 v4, v1, 16, 1
	v_add3_u32 v1, v1, v4, s2
	v_lshrrev_b32_e32 v1, 16, v1
	s_mov_b64 s[2:3], 0
	s_branch .LBB153_680
.LBB153_677:
	s_mov_b64 s[2:3], -1
                                        ; implicit-def: $vgpr1
	s_branch .LBB153_686
.LBB153_678:
	s_mov_b64 s[2:3], -1
                                        ; implicit-def: $vgpr1
	s_branch .LBB153_683
.LBB153_679:
	s_mov_b64 s[2:3], -1
                                        ; implicit-def: $vgpr1
.LBB153_680:
	s_andn2_b64 vcc, exec, s[2:3]
	s_cbranch_vccnz .LBB153_682
; %bb.681:
	global_load_dword v1, v[2:3], off
	s_movk_i32 s2, 0x7fff
	s_waitcnt vmcnt(0)
	v_cvt_f32_i32_e32 v1, v1
	v_bfe_u32 v4, v1, 16, 1
	v_add3_u32 v1, v1, v4, s2
	v_lshrrev_b32_e32 v1, 16, v1
.LBB153_682:
	s_mov_b64 s[2:3], 0
.LBB153_683:
	s_andn2_b64 vcc, exec, s[2:3]
	s_cbranch_vccnz .LBB153_685
; %bb.684:
	global_load_sshort v1, v[2:3], off
	s_movk_i32 s2, 0x7fff
	s_waitcnt vmcnt(0)
	v_cvt_f32_i32_e32 v1, v1
	v_bfe_u32 v4, v1, 16, 1
	v_add3_u32 v1, v1, v4, s2
	v_lshrrev_b32_e32 v1, 16, v1
.LBB153_685:
	s_mov_b64 s[2:3], 0
.LBB153_686:
	s_andn2_b64 vcc, exec, s[2:3]
	s_cbranch_vccnz .LBB153_692
; %bb.687:
	s_cmp_gt_i32 s10, 0
	s_cbranch_scc0 .LBB153_689
; %bb.688:
	global_load_sbyte v1, v[2:3], off
	s_movk_i32 s2, 0x7fff
	s_waitcnt vmcnt(0)
	v_cvt_f32_i32_e32 v1, v1
	v_bfe_u32 v4, v1, 16, 1
	v_add3_u32 v1, v1, v4, s2
	v_lshrrev_b32_e32 v1, 16, v1
	s_mov_b64 s[2:3], 0
	s_branch .LBB153_690
.LBB153_689:
	s_mov_b64 s[2:3], -1
                                        ; implicit-def: $vgpr1
.LBB153_690:
	s_andn2_b64 vcc, exec, s[2:3]
	s_cbranch_vccnz .LBB153_692
; %bb.691:
	global_load_ubyte v1, v[2:3], off
	s_movk_i32 s2, 0x7fff
	s_waitcnt vmcnt(0)
	v_cvt_f32_ubyte0_e32 v1, v1
	v_bfe_u32 v2, v1, 16, 1
	v_add3_u32 v1, v1, v2, s2
	v_lshrrev_b32_e32 v1, 16, v1
.LBB153_692:
	s_mov_b64 s[2:3], -1
.LBB153_693:
	s_andn2_b64 vcc, exec, s[2:3]
	s_cbranch_vccnz .LBB153_701
; %bb.694:
	s_waitcnt vmcnt(0)
	v_lshlrev_b32_e32 v1, 16, v1
	v_mul_f32_e32 v2, 0x3fb8aa3b, v1
	v_rndne_f32_e32 v2, v2
	v_fmamk_f32 v3, v2, 0xbf317218, v1
	v_fmamk_f32 v3, v2, 0x3102e308, v3
	v_mov_b32_e32 v4, 0x3ab69700
	v_fmac_f32_e32 v4, 0x395133b1, v3
	v_fmaak_f32 v4, v3, v4, 0x3c0887f9
	v_fmaak_f32 v4, v3, v4, 0x3d2aaa81
	v_cvt_i32_f32_e32 v5, v2
	v_fmaak_f32 v4, v3, v4, 0x3e2aaaab
	v_fma_f32 v4, v3, v4, 0.5
	v_mul_f32_e32 v4, v3, v4
	s_mov_b32 s2, 0x43000000
	v_fmac_f32_e32 v3, v3, v4
	v_ldexp_f32 v4, 1.0, v5
	v_mov_b32_e32 v5, 0x7f000000
	v_cmp_eq_f32_e32 vcc, s2, v2
	s_mov_b32 s2, 0x42b17217
	s_and_b32 s12, s73, 0xff
	v_cndmask_b32_e32 v2, v4, v5, vcc
	v_add_f32_e32 v4, -1.0, v2
	v_fmac_f32_e32 v4, v2, v3
	v_add_f32_e32 v2, v4, v4
	v_cndmask_b32_e32 v2, v4, v2, vcc
	v_mov_b32_e32 v3, 0x7f800000
	v_cmp_nlt_f32_e32 vcc, s2, v1
	s_mov_b32 s2, 0xc1880000
	s_cmp_lt_i32 s12, 11
	v_cndmask_b32_e32 v2, v3, v2, vcc
	v_cmp_ngt_f32_e32 vcc, s2, v1
	s_movk_i32 s2, 0x7fff
	s_nop 0
	v_cndmask_b32_e32 v1, -1.0, v2, vcc
	v_bfe_u32 v2, v1, 16, 1
	v_add3_u32 v2, v1, v2, s2
	v_cmp_o_f32_e32 vcc, v1, v1
	v_mov_b32_e32 v1, 0x7fc0
	s_nop 0
	v_cndmask_b32_sdwa v2, v1, v2, vcc dst_sel:DWORD dst_unused:UNUSED_PAD src0_sel:DWORD src1_sel:WORD_1
	v_mov_b32_e32 v1, 0
	v_lshl_add_u64 v[0:1], s[20:21], 0, v[0:1]
	s_cbranch_scc1 .LBB153_702
; %bb.695:
	s_and_b32 s13, 0xffff, s12
	s_cmp_gt_i32 s13, 25
	s_cbranch_scc0 .LBB153_703
; %bb.696:
	s_cmp_gt_i32 s13, 28
	s_cbranch_scc0 .LBB153_704
; %bb.697:
	;; [unrolled: 3-line block ×4, first 2 shown]
	s_mov_b64 s[8:9], 0
	s_mov_b64 s[2:3], -1
	s_cmp_eq_u32 s13, 46
	s_mov_b64 s[6:7], 0
	s_cbranch_scc0 .LBB153_707
; %bb.700:
	v_and_b32_e32 v3, 0xffff, v2
	global_store_dword v[0:1], v3, off
	s_mov_b64 s[6:7], -1
	s_mov_b64 s[2:3], 0
	s_branch .LBB153_707
.LBB153_701:
	s_mov_b64 s[6:7], 0
	s_mov_b64 s[2:3], s[62:63]
	s_branch .LBB153_818
.LBB153_702:
	s_mov_b64 s[8:9], -1
	s_mov_b64 s[6:7], 0
	s_mov_b64 s[2:3], s[62:63]
	s_branch .LBB153_776
.LBB153_703:
	s_mov_b64 s[8:9], -1
	s_mov_b64 s[6:7], 0
	s_mov_b64 s[2:3], s[62:63]
	s_branch .LBB153_734
.LBB153_704:
	s_mov_b64 s[8:9], -1
	s_mov_b64 s[6:7], 0
	s_mov_b64 s[2:3], s[62:63]
	s_branch .LBB153_717
.LBB153_705:
	s_mov_b64 s[8:9], -1
	s_mov_b64 s[6:7], 0
	s_mov_b64 s[2:3], s[62:63]
	s_branch .LBB153_713
.LBB153_706:
	s_mov_b64 s[8:9], -1
	s_mov_b64 s[6:7], 0
	s_mov_b64 s[2:3], s[62:63]
.LBB153_707:
	s_and_b64 vcc, exec, s[8:9]
	s_cbranch_vccz .LBB153_712
; %bb.708:
	s_cmp_eq_u32 s13, 44
	s_mov_b64 s[2:3], -1
	s_cbranch_scc0 .LBB153_712
; %bb.709:
	v_and_b32_e32 v4, 0xffff, v2
	v_bfe_u32 v3, v4, 7, 8
	s_movk_i32 s2, 0xff
	v_cmp_ne_u32_e32 vcc, s2, v3
	v_mov_b32_e32 v5, 0xff
	s_and_saveexec_b64 s[6:7], vcc
	s_cbranch_execz .LBB153_711
; %bb.710:
	v_lshlrev_b32_e32 v6, 16, v4
	s_mov_b32 s2, 0x3f0000
	v_lshrrev_b32_e32 v5, 7, v4
	v_and_b32_e32 v4, 64, v4
	v_and_or_b32 v3, v6, s2, v3
	v_cmp_ne_u32_e32 vcc, 0, v4
	v_cmp_ne_u32_e64 s[2:3], 0, v3
	s_and_b64 s[2:3], vcc, s[2:3]
	s_nop 0
	v_cndmask_b32_e64 v3, 0, 1, s[2:3]
	v_add_u32_e32 v5, v5, v3
.LBB153_711:
	s_or_b64 exec, exec, s[6:7]
	s_mov_b64 s[6:7], -1
	s_mov_b64 s[2:3], 0
	global_store_byte v[0:1], v5, off
.LBB153_712:
	s_mov_b64 s[8:9], 0
.LBB153_713:
	s_and_b64 vcc, exec, s[8:9]
	s_cbranch_vccz .LBB153_716
; %bb.714:
	s_cmp_eq_u32 s13, 29
	s_mov_b64 s[2:3], -1
	s_cbranch_scc0 .LBB153_716
; %bb.715:
	v_lshlrev_b32_e32 v3, 16, v2
	v_trunc_f32_e32 v3, v3
	v_mul_f32_e32 v4, 0x2f800000, v3
	v_floor_f32_e32 v4, v4
	v_fmamk_f32 v3, v4, 0xcf800000, v3
	v_cvt_u32_f32_e32 v5, v4
	v_cvt_u32_f32_e32 v4, v3
	s_mov_b64 s[6:7], -1
	s_mov_b64 s[2:3], 0
	s_mov_b64 s[8:9], 0
	global_store_dwordx2 v[0:1], v[4:5], off
	s_branch .LBB153_717
.LBB153_716:
	s_mov_b64 s[8:9], 0
.LBB153_717:
	s_and_b64 vcc, exec, s[8:9]
	s_cbranch_vccz .LBB153_733
; %bb.718:
	s_cmp_lt_i32 s13, 27
	s_mov_b64 s[6:7], -1
	s_cbranch_scc1 .LBB153_724
; %bb.719:
	s_cmp_gt_i32 s13, 27
	s_cbranch_scc0 .LBB153_721
; %bb.720:
	v_lshlrev_b32_e32 v3, 16, v2
	v_cvt_u32_f32_e32 v3, v3
	s_mov_b64 s[6:7], 0
	global_store_dword v[0:1], v3, off
.LBB153_721:
	s_andn2_b64 vcc, exec, s[6:7]
	s_cbranch_vccnz .LBB153_723
; %bb.722:
	v_lshlrev_b32_e32 v3, 16, v2
	v_cvt_u32_f32_e32 v3, v3
	global_store_short v[0:1], v3, off
.LBB153_723:
	s_mov_b64 s[6:7], 0
.LBB153_724:
	s_andn2_b64 vcc, exec, s[6:7]
	s_cbranch_vccnz .LBB153_732
; %bb.725:
	v_lshlrev_b32_e32 v5, 16, v2
	v_and_b32_e32 v4, 0x7fffffff, v5
	s_mov_b32 s6, 0x43800000
	v_cmp_gt_u32_e32 vcc, s6, v4
	v_mov_b32_e32 v6, 0x80
	s_and_saveexec_b64 s[6:7], vcc
	s_cbranch_execz .LBB153_731
; %bb.726:
	s_mov_b32 s8, 0x3bffffff
	v_and_b32_e32 v3, 0xffff, v2
	v_cmp_lt_u32_e32 vcc, s8, v4
	s_mov_b64 s[8:9], 0
                                        ; implicit-def: $vgpr4
	s_and_saveexec_b64 s[10:11], vcc
	s_xor_b64 s[10:11], exec, s[10:11]
	s_cbranch_execz .LBB153_849
; %bb.727:
	v_bfe_u32 v4, v3, 4, 1
	s_mov_b32 s14, 0x487ffff
	v_add3_u32 v4, v5, v4, s14
	s_mov_b64 s[8:9], exec
	v_lshrrev_b32_e32 v4, 20, v4
                                        ; implicit-def: $vgpr5
	s_andn2_saveexec_b64 s[10:11], s[10:11]
	s_cbranch_execnz .LBB153_850
.LBB153_728:
	s_or_b64 exec, exec, s[10:11]
	v_mov_b32_e32 v6, 0
	s_and_saveexec_b64 s[10:11], s[8:9]
.LBB153_729:
	v_lshrrev_b32_e32 v3, 8, v3
	s_movk_i32 s8, 0x80
	v_and_or_b32 v6, v3, s8, v4
.LBB153_730:
	s_or_b64 exec, exec, s[10:11]
.LBB153_731:
	s_or_b64 exec, exec, s[6:7]
	global_store_byte v[0:1], v6, off
.LBB153_732:
	s_mov_b64 s[6:7], -1
.LBB153_733:
	s_mov_b64 s[8:9], 0
.LBB153_734:
	s_and_b64 vcc, exec, s[8:9]
	s_cbranch_vccz .LBB153_775
; %bb.735:
	s_cmp_gt_i32 s13, 22
	s_mov_b64 s[8:9], -1
	s_cbranch_scc0 .LBB153_767
; %bb.736:
	s_cmp_lt_i32 s13, 24
	s_mov_b64 s[6:7], -1
	s_cbranch_scc1 .LBB153_756
; %bb.737:
	s_cmp_gt_i32 s13, 24
	s_cbranch_scc0 .LBB153_745
; %bb.738:
	v_lshlrev_b32_e32 v5, 16, v2
	v_and_b32_e32 v4, 0x7fffffff, v5
	s_mov_b32 s6, 0x47800000
	v_cmp_gt_u32_e32 vcc, s6, v4
	v_mov_b32_e32 v6, 0x80
	s_and_saveexec_b64 s[6:7], vcc
	s_cbranch_execz .LBB153_744
; %bb.739:
	s_mov_b32 s8, 0x37ffffff
	v_and_b32_e32 v3, 0xffff, v2
	v_cmp_lt_u32_e32 vcc, s8, v4
	s_mov_b64 s[8:9], 0
                                        ; implicit-def: $vgpr4
	s_and_saveexec_b64 s[10:11], vcc
	s_xor_b64 s[10:11], exec, s[10:11]
	s_cbranch_execz .LBB153_852
; %bb.740:
	v_bfe_u32 v4, v3, 5, 1
	s_mov_b32 s14, 0x88fffff
	v_add3_u32 v4, v5, v4, s14
	s_mov_b64 s[8:9], exec
	v_lshrrev_b32_e32 v4, 21, v4
                                        ; implicit-def: $vgpr5
	s_andn2_saveexec_b64 s[10:11], s[10:11]
	s_cbranch_execnz .LBB153_853
.LBB153_741:
	s_or_b64 exec, exec, s[10:11]
	v_mov_b32_e32 v6, 0
	s_and_saveexec_b64 s[10:11], s[8:9]
.LBB153_742:
	v_lshrrev_b32_e32 v3, 8, v3
	s_movk_i32 s8, 0x80
	v_and_or_b32 v6, v3, s8, v4
.LBB153_743:
	s_or_b64 exec, exec, s[10:11]
.LBB153_744:
	s_or_b64 exec, exec, s[6:7]
	s_mov_b64 s[6:7], 0
	global_store_byte v[0:1], v6, off
.LBB153_745:
	s_and_b64 vcc, exec, s[6:7]
	s_cbranch_vccz .LBB153_755
; %bb.746:
	v_lshlrev_b32_e32 v5, 16, v2
	v_and_b32_e32 v6, 0x7fffffff, v5
	s_mov_b32 s6, 0x43f00000
	v_and_b32_e32 v3, 0xffff, v2
	v_cmp_gt_u32_e32 vcc, s6, v6
                                        ; implicit-def: $vgpr4
	s_and_saveexec_b64 s[6:7], vcc
	s_xor_b64 s[6:7], exec, s[6:7]
	s_cbranch_execz .LBB153_752
; %bb.747:
	s_mov_b32 s8, 0x3c7fffff
	v_cmp_lt_u32_e32 vcc, s8, v6
                                        ; implicit-def: $vgpr4
	s_and_saveexec_b64 s[8:9], vcc
	s_xor_b64 s[8:9], exec, s[8:9]
; %bb.748:
	v_bfe_u32 v4, v3, 4, 1
	s_mov_b32 s10, 0x407ffff
	v_add3_u32 v4, v5, v4, s10
	v_lshrrev_b32_e32 v5, 20, v4
	v_and_b32_e32 v4, 0xff00000, v4
	s_mov_b32 s10, 0x7f00000
	v_mov_b32_e32 v6, 0x7e
	v_cmp_ne_u32_e32 vcc, s10, v4
	s_nop 1
	v_cndmask_b32_e32 v4, v6, v5, vcc
                                        ; implicit-def: $vgpr5
; %bb.749:
	s_andn2_saveexec_b64 s[8:9], s[8:9]
; %bb.750:
	s_mov_b32 s10, 0x46800000
	v_add_f32_e64 v4, |v5|, s10
; %bb.751:
	s_or_b64 exec, exec, s[8:9]
                                        ; implicit-def: $vgpr6
.LBB153_752:
	s_andn2_saveexec_b64 s[6:7], s[6:7]
; %bb.753:
	s_mov_b32 s8, 0x7f800000
	v_mov_b32_e32 v4, 0x7e
	v_mov_b32_e32 v5, 0x7f
	v_cmp_lt_u32_e32 vcc, s8, v6
	s_nop 1
	v_cndmask_b32_e32 v4, v4, v5, vcc
; %bb.754:
	s_or_b64 exec, exec, s[6:7]
	v_lshrrev_b32_e32 v3, 8, v3
	s_movk_i32 s6, 0x80
	v_and_or_b32 v3, v3, s6, v4
	global_store_byte v[0:1], v3, off
.LBB153_755:
	s_mov_b64 s[6:7], 0
.LBB153_756:
	s_andn2_b64 vcc, exec, s[6:7]
	s_cbranch_vccnz .LBB153_766
; %bb.757:
	v_lshlrev_b32_e32 v5, 16, v2
	v_and_b32_e32 v6, 0x7fffffff, v5
	s_mov_b32 s6, 0x47800000
	v_and_b32_e32 v3, 0xffff, v2
	v_cmp_gt_u32_e32 vcc, s6, v6
                                        ; implicit-def: $vgpr4
	s_and_saveexec_b64 s[6:7], vcc
	s_xor_b64 s[6:7], exec, s[6:7]
	s_cbranch_execz .LBB153_763
; %bb.758:
	s_mov_b32 s8, 0x387fffff
	v_cmp_lt_u32_e32 vcc, s8, v6
                                        ; implicit-def: $vgpr4
	s_and_saveexec_b64 s[8:9], vcc
	s_xor_b64 s[8:9], exec, s[8:9]
; %bb.759:
	v_bfe_u32 v4, v3, 5, 1
	s_mov_b32 s10, 0x80fffff
	v_add3_u32 v4, v5, v4, s10
	v_lshrrev_b32_e32 v4, 21, v4
                                        ; implicit-def: $vgpr5
; %bb.760:
	s_andn2_saveexec_b64 s[8:9], s[8:9]
; %bb.761:
	s_mov_b32 s10, 0x43000000
	v_add_f32_e64 v4, |v5|, s10
; %bb.762:
	s_or_b64 exec, exec, s[8:9]
                                        ; implicit-def: $vgpr6
.LBB153_763:
	s_andn2_saveexec_b64 s[6:7], s[6:7]
; %bb.764:
	s_mov_b32 s8, 0x7f800000
	v_mov_b32_e32 v4, 0x7c
	v_mov_b32_e32 v5, 0x7f
	v_cmp_lt_u32_e32 vcc, s8, v6
	s_nop 1
	v_cndmask_b32_e32 v4, v4, v5, vcc
; %bb.765:
	s_or_b64 exec, exec, s[6:7]
	v_lshrrev_b32_e32 v3, 8, v3
	s_movk_i32 s6, 0x80
	v_and_or_b32 v3, v3, s6, v4
	global_store_byte v[0:1], v3, off
.LBB153_766:
	s_mov_b64 s[8:9], 0
	s_mov_b64 s[6:7], -1
.LBB153_767:
	s_andn2_b64 vcc, exec, s[8:9]
	s_cbranch_vccnz .LBB153_775
; %bb.768:
	s_cmp_gt_i32 s13, 14
	s_mov_b64 s[8:9], -1
	s_cbranch_scc0 .LBB153_772
; %bb.769:
	s_cmp_eq_u32 s13, 15
	s_mov_b64 s[2:3], -1
	s_cbranch_scc0 .LBB153_771
; %bb.770:
	global_store_short v[0:1], v2, off
	s_mov_b64 s[6:7], -1
	s_mov_b64 s[2:3], 0
.LBB153_771:
	s_mov_b64 s[8:9], 0
.LBB153_772:
	s_and_b64 vcc, exec, s[8:9]
	s_cbranch_vccz .LBB153_775
; %bb.773:
	s_cmp_eq_u32 s13, 11
	s_mov_b64 s[2:3], -1
	s_cbranch_scc0 .LBB153_775
; %bb.774:
	v_and_b32_e32 v3, 0x7fff, v2
	v_cmp_ne_u16_e32 vcc, 0, v3
	s_mov_b64 s[6:7], -1
	s_mov_b64 s[2:3], 0
	v_cndmask_b32_e64 v3, 0, 1, vcc
	global_store_byte v[0:1], v3, off
.LBB153_775:
	s_mov_b64 s[8:9], 0
.LBB153_776:
	s_and_b64 vcc, exec, s[8:9]
	s_cbranch_vccz .LBB153_815
; %bb.777:
	s_and_b32 s8, 0xffff, s12
	s_cmp_lt_i32 s8, 5
	s_mov_b64 s[6:7], -1
	s_cbranch_scc1 .LBB153_798
; %bb.778:
	s_cmp_lt_i32 s8, 8
	s_cbranch_scc1 .LBB153_788
; %bb.779:
	s_cmp_lt_i32 s8, 9
	s_cbranch_scc1 .LBB153_785
; %bb.780:
	s_cmp_gt_i32 s8, 9
	s_cbranch_scc0 .LBB153_782
; %bb.781:
	v_lshlrev_b32_e32 v3, 16, v2
	v_mov_b32_e32 v6, 0
	v_cvt_f64_f32_e32 v[4:5], v3
	v_mov_b32_e32 v7, v6
	s_mov_b64 s[6:7], 0
	global_store_dwordx4 v[0:1], v[4:7], off
.LBB153_782:
	s_andn2_b64 vcc, exec, s[6:7]
	s_cbranch_vccnz .LBB153_784
; %bb.783:
	v_lshlrev_b32_e32 v4, 16, v2
	v_mov_b32_e32 v5, 0
	global_store_dwordx2 v[0:1], v[4:5], off
.LBB153_784:
	s_mov_b64 s[6:7], 0
.LBB153_785:
	s_andn2_b64 vcc, exec, s[6:7]
	s_cbranch_vccnz .LBB153_787
; %bb.786:
	v_lshlrev_b32_e32 v3, 16, v2
	v_cvt_f16_f32_e32 v3, v3
	global_store_dword v[0:1], v3, off
.LBB153_787:
	s_mov_b64 s[6:7], 0
.LBB153_788:
	s_andn2_b64 vcc, exec, s[6:7]
	s_cbranch_vccnz .LBB153_797
; %bb.789:
	s_cmp_lt_i32 s8, 6
	s_mov_b64 s[6:7], -1
	s_cbranch_scc1 .LBB153_795
; %bb.790:
	s_cmp_gt_i32 s8, 6
	s_cbranch_scc0 .LBB153_792
; %bb.791:
	v_lshlrev_b32_e32 v3, 16, v2
	v_cvt_f64_f32_e32 v[4:5], v3
	s_mov_b64 s[6:7], 0
	global_store_dwordx2 v[0:1], v[4:5], off
.LBB153_792:
	s_andn2_b64 vcc, exec, s[6:7]
	s_cbranch_vccnz .LBB153_794
; %bb.793:
	v_lshlrev_b32_e32 v3, 16, v2
	global_store_dword v[0:1], v3, off
.LBB153_794:
	s_mov_b64 s[6:7], 0
.LBB153_795:
	s_andn2_b64 vcc, exec, s[6:7]
	s_cbranch_vccnz .LBB153_797
; %bb.796:
	v_lshlrev_b32_e32 v3, 16, v2
	v_cvt_f16_f32_e32 v3, v3
	global_store_short v[0:1], v3, off
.LBB153_797:
	s_mov_b64 s[6:7], 0
.LBB153_798:
	s_andn2_b64 vcc, exec, s[6:7]
	s_cbranch_vccnz .LBB153_814
; %bb.799:
	s_cmp_lt_i32 s8, 2
	s_mov_b64 s[6:7], -1
	s_cbranch_scc1 .LBB153_809
; %bb.800:
	s_cmp_lt_i32 s8, 3
	s_cbranch_scc1 .LBB153_806
; %bb.801:
	s_cmp_gt_i32 s8, 3
	s_cbranch_scc0 .LBB153_803
; %bb.802:
	v_lshlrev_b32_e32 v3, 16, v2
	v_trunc_f32_e32 v3, v3
	s_mov_b32 s6, 0x2f800000
	v_mul_f32_e64 v4, |v3|, s6
	v_floor_f32_e32 v4, v4
	s_mov_b32 s6, 0xcf800000
	v_cvt_u32_f32_e32 v5, v4
	v_fma_f32 v4, v4, s6, |v3|
	v_cvt_u32_f32_e32 v4, v4
	v_ashrrev_i32_e32 v3, 31, v3
	v_xor_b32_e32 v5, v5, v3
	s_mov_b64 s[6:7], 0
	v_xor_b32_e32 v4, v4, v3
	v_sub_co_u32_e32 v4, vcc, v4, v3
	s_nop 1
	v_subb_co_u32_e32 v5, vcc, v5, v3, vcc
	global_store_dwordx2 v[0:1], v[4:5], off
.LBB153_803:
	s_andn2_b64 vcc, exec, s[6:7]
	s_cbranch_vccnz .LBB153_805
; %bb.804:
	v_lshlrev_b32_e32 v3, 16, v2
	v_cvt_i32_f32_e32 v3, v3
	global_store_dword v[0:1], v3, off
.LBB153_805:
	s_mov_b64 s[6:7], 0
.LBB153_806:
	s_andn2_b64 vcc, exec, s[6:7]
	s_cbranch_vccnz .LBB153_808
; %bb.807:
	v_lshlrev_b32_e32 v3, 16, v2
	v_cvt_i32_f32_e32 v3, v3
	global_store_short v[0:1], v3, off
.LBB153_808:
	s_mov_b64 s[6:7], 0
.LBB153_809:
	s_andn2_b64 vcc, exec, s[6:7]
	s_cbranch_vccnz .LBB153_814
; %bb.810:
	s_mov_b64 s[6:7], -1
	s_cmp_gt_i32 s8, 0
	v_lshlrev_b32_e32 v2, 16, v2
	s_cbranch_scc0 .LBB153_812
; %bb.811:
	v_cvt_i32_f32_e32 v3, v2
	s_mov_b64 s[6:7], 0
	global_store_byte v[0:1], v3, off
.LBB153_812:
	s_andn2_b64 vcc, exec, s[6:7]
	s_cbranch_vccnz .LBB153_814
; %bb.813:
	v_trunc_f32_e32 v2, v2
	s_mov_b32 s6, 0x2f800000
	v_mul_f32_e64 v3, |v2|, s6
	v_floor_f32_e32 v3, v3
	s_mov_b32 s6, 0xcf800000
	v_fma_f32 v3, v3, s6, |v2|
	v_cvt_u32_f32_e32 v3, v3
	v_ashrrev_i32_e32 v2, 31, v2
	v_xor_b32_e32 v3, v3, v2
	v_sub_u32_e32 v2, v3, v2
	global_store_byte v[0:1], v2, off
.LBB153_814:
	s_mov_b64 s[6:7], -1
.LBB153_815:
	s_andn2_b64 vcc, exec, s[6:7]
	s_cbranch_vccnz .LBB153_817
; %bb.816:
	v_add_u32_e32 v8, 0x80, v8
	s_mov_b64 s[6:7], -1
	s_branch .LBB153_819
.LBB153_817:
	s_mov_b64 s[6:7], 0
.LBB153_818:
                                        ; implicit-def: $vgpr8
.LBB153_819:
	s_andn2_b64 s[8:9], s[62:63], exec
	s_and_b64 s[2:3], s[2:3], exec
	s_or_b64 s[68:69], s[8:9], s[2:3]
	s_andn2_b64 s[2:3], s[60:61], exec
	s_and_b64 s[4:5], s[4:5], exec
	s_or_b64 s[2:3], s[2:3], s[4:5]
	s_orn2_b64 s[6:7], s[6:7], exec
.LBB153_820:
	s_or_b64 exec, exec, s[66:67]
	s_mov_b64 s[4:5], 0
	s_mov_b64 s[10:11], 0
	;; [unrolled: 1-line block ×3, first 2 shown]
                                        ; implicit-def: $vgpr2_vgpr3
                                        ; implicit-def: $vgpr0
                                        ; implicit-def: $vgpr1
	s_and_saveexec_b64 s[66:67], s[6:7]
	s_cbranch_execz .LBB153_920
; %bb.821:
	v_cmp_gt_i32_e32 vcc, s70, v8
	s_mov_b64 s[6:7], 0
	s_mov_b64 s[12:13], s[2:3]
                                        ; implicit-def: $vgpr2_vgpr3
                                        ; implicit-def: $vgpr0
                                        ; implicit-def: $vgpr1
	s_and_saveexec_b64 s[70:71], vcc
	s_cbranch_execz .LBB153_919
; %bb.822:
	s_andn2_b64 vcc, exec, s[42:43]
	s_cbranch_vccnz .LBB153_828
; %bb.823:
	s_andn2_b64 vcc, exec, s[52:53]
	s_cbranch_vccnz .LBB153_829
; %bb.824:
	s_add_i32 s76, s75, 1
	s_cmp_eq_u32 s72, 2
	s_cbranch_scc1 .LBB153_830
; %bb.825:
	s_and_b32 s75, s76, 28
	s_mov_b32 s77, 0
	v_mov_b32_e32 v0, 0
	v_mov_b32_e32 v2, 0
	s_mov_b64 s[52:53], s[34:35]
	v_mov_b32_e32 v4, v8
.LBB153_826:                            ; =>This Inner Loop Header: Depth=1
	s_load_dwordx8 s[12:19], s[52:53], 0x4
	s_load_dwordx4 s[36:39], s[52:53], 0x24
	s_load_dwordx8 s[4:11], s[50:51], 0x0
	s_add_u32 s52, s52, 48
	s_addc_u32 s53, s53, 0
	s_waitcnt vmcnt(0) lgkmcnt(0)
	v_mul_hi_u32 v1, s13, v4
	v_add_u32_e32 v1, v4, v1
	v_lshrrev_b32_e32 v1, s14, v1
	v_mul_lo_u32 v3, v1, s12
	v_mul_hi_u32 v5, s16, v1
	v_sub_u32_e32 v3, v4, v3
	v_add_u32_e32 v4, v1, v5
	v_lshrrev_b32_e32 v4, s17, v4
	v_mul_lo_u32 v6, v4, s15
	v_mul_hi_u32 v7, s19, v4
	v_sub_u32_e32 v1, v1, v6
	v_add_u32_e32 v6, v4, v7
	v_mul_lo_u32 v5, v3, s5
	v_mul_lo_u32 v3, v3, s4
	;; [unrolled: 1-line block ×4, first 2 shown]
	v_lshrrev_b32_e32 v6, s36, v6
	v_add3_u32 v0, v3, v0, v1
	v_mul_hi_u32 v3, s38, v6
	v_add3_u32 v1, v5, v2, v7
	v_mul_lo_u32 v2, v6, s18
	v_add_u32_e32 v3, v6, v3
	v_sub_u32_e32 v2, v4, v2
	v_lshrrev_b32_e32 v4, s39, v3
	s_add_i32 s77, s77, 4
	v_mul_lo_u32 v3, v4, s37
	s_add_u32 s50, s50, 32
	v_sub_u32_e32 v3, v6, v3
	s_addc_u32 s51, s51, 0
	v_mul_lo_u32 v5, v2, s8
	v_mul_lo_u32 v2, v2, s9
	;; [unrolled: 1-line block ×4, first 2 shown]
	s_cmp_eq_u32 s75, s77
	v_add3_u32 v2, v2, v1, v3
	v_add3_u32 v0, v5, v0, v6
	s_cbranch_scc0 .LBB153_826
; %bb.827:
	v_mov_b32_e32 v1, v2
	s_branch .LBB153_831
.LBB153_828:
	s_mov_b64 s[4:5], -1
                                        ; implicit-def: $vgpr2
                                        ; implicit-def: $vgpr0
	s_branch .LBB153_835
.LBB153_829:
	v_mov_b32_e32 v2, 0
	v_mov_b32_e32 v0, 0
	s_branch .LBB153_834
.LBB153_830:
	v_mov_b32_e32 v0, 0
	s_mov_b32 s75, 0
	s_waitcnt vmcnt(0)
	v_mov_b32_e32 v1, v0
                                        ; implicit-def: $vgpr2
	v_mov_b32_e32 v4, v8
.LBB153_831:
	s_and_b32 s8, s76, 3
	s_cmp_eq_u32 s8, 0
	s_cbranch_scc1 .LBB153_834
; %bb.832:
	s_lshl_b32 s4, s75, 3
	s_add_u32 s4, s34, s4
	s_addc_u32 s5, s35, 0
	s_add_u32 s4, s4, 0xc4
	s_addc_u32 s5, s5, 0
	s_mul_i32 s6, s75, 12
	s_add_u32 s6, s34, s6
	s_addc_u32 s7, s35, 0
.LBB153_833:                            ; =>This Inner Loop Header: Depth=1
	s_load_dwordx2 s[10:11], s[6:7], 0x4
	s_load_dword s9, s[6:7], 0xc
	s_load_dwordx2 s[12:13], s[4:5], 0x0
	v_mov_b32_e32 v2, v1
	s_add_u32 s6, s6, 12
	s_waitcnt lgkmcnt(0)
	v_mul_hi_u32 v1, s11, v4
	v_add_u32_e32 v1, v4, v1
	v_lshrrev_b32_e32 v1, s9, v1
	s_addc_u32 s7, s7, 0
	v_mul_lo_u32 v3, v1, s10
	s_add_u32 s4, s4, 8
	v_sub_u32_e32 v5, v4, v3
	s_addc_u32 s5, s5, 0
	s_add_i32 s8, s8, -1
	v_mov_b32_e32 v4, v1
	v_mad_u64_u32 v[2:3], s[10:11], v5, s13, v[2:3]
	v_mad_u64_u32 v[0:1], s[10:11], v5, s12, v[0:1]
	s_cmp_lg_u32 s8, 0
	v_mov_b32_e32 v1, v2
	s_cbranch_scc1 .LBB153_833
.LBB153_834:
	s_mov_b64 s[4:5], 0
.LBB153_835:
	s_andn2_b64 vcc, exec, s[4:5]
	s_cbranch_vccnz .LBB153_838
; %bb.836:
	s_waitcnt lgkmcnt(0)
	v_mul_hi_u32 v0, s29, v8
	v_add_u32_e32 v0, v8, v0
	s_waitcnt vmcnt(0)
	v_lshrrev_b32_e32 v1, s30, v0
	v_mul_lo_u32 v0, v1, s28
	v_sub_u32_e32 v0, v8, v0
	v_mul_lo_u32 v2, v0, s25
	s_andn2_b64 vcc, exec, s[48:49]
	v_mul_lo_u32 v0, v0, s24
	s_cbranch_vccnz .LBB153_838
; %bb.837:
	v_mul_hi_u32 v3, s46, v1
	v_add_u32_e32 v3, v1, v3
	v_lshrrev_b32_e32 v3, s47, v3
	v_mul_lo_u32 v3, v3, s31
	v_sub_u32_e32 v3, v1, v3
	v_mad_u64_u32 v[0:1], s[4:5], v3, s26, v[0:1]
	v_mad_u64_u32 v[2:3], s[4:5], v3, s27, v[2:3]
.LBB153_838:
	v_mov_b32_e32 v3, 0
	s_and_b32 s14, 0xffff, s74
	s_cmp_lt_i32 s14, 11
	s_waitcnt lgkmcnt(0)
	v_lshl_add_u64 v[2:3], s[22:23], 0, v[2:3]
	s_cbranch_scc1 .LBB153_845
; %bb.839:
	s_cmp_gt_i32 s14, 25
	s_mov_b64 s[6:7], 0
	s_cbranch_scc0 .LBB153_846
; %bb.840:
	s_cmp_gt_i32 s14, 28
	s_cbranch_scc0 .LBB153_847
; %bb.841:
	s_cmp_gt_i32 s14, 43
	;; [unrolled: 3-line block ×3, first 2 shown]
	s_cbranch_scc0 .LBB153_851
; %bb.843:
	s_cmp_eq_u32 s14, 46
	s_mov_b64 s[10:11], 0
	s_cbranch_scc0 .LBB153_854
; %bb.844:
	global_load_dword v1, v[2:3], off
	s_mov_b64 s[4:5], 0
	s_mov_b64 s[8:9], -1
	s_branch .LBB153_855
.LBB153_845:
	s_mov_b64 s[10:11], -1
	s_mov_b64 s[8:9], 0
	s_mov_b64 s[6:7], 0
	;; [unrolled: 1-line block ×3, first 2 shown]
                                        ; implicit-def: $vgpr1
	s_branch .LBB153_918
.LBB153_846:
	s_mov_b64 s[10:11], -1
	s_mov_b64 s[8:9], 0
	s_mov_b64 s[4:5], s[2:3]
                                        ; implicit-def: $vgpr1
	s_branch .LBB153_884
.LBB153_847:
	s_mov_b64 s[10:11], -1
	s_mov_b64 s[8:9], 0
	s_mov_b64 s[4:5], s[2:3]
                                        ; implicit-def: $vgpr1
	s_branch .LBB153_865
.LBB153_848:
	s_mov_b64 s[10:11], -1
	s_mov_b64 s[8:9], 0
	s_mov_b64 s[4:5], s[2:3]
                                        ; implicit-def: $vgpr1
	s_branch .LBB153_860
.LBB153_849:
	s_andn2_saveexec_b64 s[10:11], s[10:11]
	s_cbranch_execz .LBB153_728
.LBB153_850:
	s_mov_b32 s14, 0x46000000
	v_add_f32_e64 v4, |v5|, s14
	v_and_b32_e32 v4, 0xff, v4
	v_cmp_ne_u32_e32 vcc, 0, v4
	s_andn2_b64 s[8:9], s[8:9], exec
	s_and_b64 s[14:15], vcc, exec
	s_or_b64 s[8:9], s[8:9], s[14:15]
	s_or_b64 exec, exec, s[10:11]
	v_mov_b32_e32 v6, 0
	s_and_saveexec_b64 s[10:11], s[8:9]
	s_cbranch_execnz .LBB153_729
	s_branch .LBB153_730
.LBB153_851:
	s_mov_b64 s[10:11], -1
	s_mov_b64 s[8:9], 0
	s_mov_b64 s[4:5], s[2:3]
                                        ; implicit-def: $vgpr1
	s_branch .LBB153_855
.LBB153_852:
	s_andn2_saveexec_b64 s[10:11], s[10:11]
	s_cbranch_execz .LBB153_741
.LBB153_853:
	s_mov_b32 s14, 0x42800000
	v_add_f32_e64 v4, |v5|, s14
	v_and_b32_e32 v4, 0xff, v4
	v_cmp_ne_u32_e32 vcc, 0, v4
	s_andn2_b64 s[8:9], s[8:9], exec
	s_and_b64 s[14:15], vcc, exec
	s_or_b64 s[8:9], s[8:9], s[14:15]
	s_or_b64 exec, exec, s[10:11]
	v_mov_b32_e32 v6, 0
	s_and_saveexec_b64 s[10:11], s[8:9]
	s_cbranch_execnz .LBB153_742
	s_branch .LBB153_743
.LBB153_854:
	s_mov_b64 s[4:5], -1
                                        ; implicit-def: $vgpr1
	s_mov_b64 s[8:9], 0
.LBB153_855:
	s_and_b64 vcc, exec, s[10:11]
	s_cbranch_vccz .LBB153_859
; %bb.856:
	s_cmp_eq_u32 s14, 44
	s_cbranch_scc0 .LBB153_858
; %bb.857:
	global_load_ubyte v1, v[2:3], off
	s_movk_i32 s8, 0xff
	v_mov_b32_e32 v4, 0x7f800001
	v_mov_b32_e32 v5, 0x400000
	;; [unrolled: 1-line block ×3, first 2 shown]
	s_mov_b64 s[4:5], 0
	s_waitcnt vmcnt(0)
	v_lshlrev_b32_e32 v7, 23, v1
	v_cmp_ne_u32_e32 vcc, s8, v1
	s_mov_b64 s[8:9], -1
	s_nop 0
	v_cndmask_b32_e32 v4, v4, v7, vcc
	v_cmp_ne_u32_e32 vcc, 0, v1
	s_nop 1
	v_cndmask_b32_e32 v1, v5, v4, vcc
	v_add_u32_e32 v4, 0x7fff, v1
	v_cmp_o_f32_e32 vcc, v1, v1
	s_nop 1
	v_cndmask_b32_sdwa v1, v6, v4, vcc dst_sel:DWORD dst_unused:UNUSED_PAD src0_sel:DWORD src1_sel:WORD_1
	s_branch .LBB153_859
.LBB153_858:
	s_mov_b64 s[4:5], -1
                                        ; implicit-def: $vgpr1
.LBB153_859:
	s_mov_b64 s[10:11], 0
.LBB153_860:
	s_and_b64 vcc, exec, s[10:11]
	s_cbranch_vccz .LBB153_864
; %bb.861:
	s_cmp_eq_u32 s14, 29
	s_cbranch_scc0 .LBB153_863
; %bb.862:
	global_load_dwordx2 v[4:5], v[2:3], off
	s_movk_i32 s8, 0x7fff
	s_mov_b64 s[4:5], 0
	s_mov_b64 s[10:11], 0
	s_waitcnt vmcnt(0)
	v_ffbh_u32_e32 v1, v5
	v_min_u32_e32 v1, 32, v1
	v_lshlrev_b64 v[4:5], v1, v[4:5]
	v_min_u32_e32 v4, 1, v4
	v_or_b32_e32 v4, v5, v4
	v_cvt_f32_u32_e32 v4, v4
	v_sub_u32_e32 v1, 32, v1
	v_ldexp_f32 v1, v4, v1
	v_bfe_u32 v4, v1, 16, 1
	v_add3_u32 v1, v1, v4, s8
	v_lshrrev_b32_e32 v1, 16, v1
	s_mov_b64 s[8:9], -1
	s_branch .LBB153_865
.LBB153_863:
	s_mov_b64 s[4:5], -1
                                        ; implicit-def: $vgpr1
.LBB153_864:
	s_mov_b64 s[10:11], 0
.LBB153_865:
	s_and_b64 vcc, exec, s[10:11]
	s_cbranch_vccz .LBB153_883
; %bb.866:
	s_cmp_lt_i32 s14, 27
	s_cbranch_scc1 .LBB153_869
; %bb.867:
	s_cmp_gt_i32 s14, 27
	s_cbranch_scc0 .LBB153_870
; %bb.868:
	global_load_dword v1, v[2:3], off
	s_movk_i32 s8, 0x7fff
	s_waitcnt vmcnt(0)
	v_cvt_f32_u32_e32 v1, v1
	v_bfe_u32 v4, v1, 16, 1
	v_add3_u32 v1, v1, v4, s8
	v_lshrrev_b32_e32 v1, 16, v1
	s_mov_b64 s[8:9], 0
	s_branch .LBB153_871
.LBB153_869:
	s_mov_b64 s[8:9], -1
                                        ; implicit-def: $vgpr1
	s_branch .LBB153_874
.LBB153_870:
	s_mov_b64 s[8:9], -1
                                        ; implicit-def: $vgpr1
.LBB153_871:
	s_andn2_b64 vcc, exec, s[8:9]
	s_cbranch_vccnz .LBB153_873
; %bb.872:
	global_load_ushort v1, v[2:3], off
	s_movk_i32 s8, 0x7fff
	s_waitcnt vmcnt(0)
	v_cvt_f32_u32_e32 v1, v1
	v_bfe_u32 v4, v1, 16, 1
	v_add3_u32 v1, v1, v4, s8
	v_lshrrev_b32_e32 v1, 16, v1
.LBB153_873:
	s_mov_b64 s[8:9], 0
.LBB153_874:
	s_andn2_b64 vcc, exec, s[8:9]
	s_cbranch_vccnz .LBB153_882
; %bb.875:
	global_load_ubyte v1, v[2:3], off
	s_movk_i32 s8, 0x7f
	s_waitcnt vmcnt(0)
	v_cmp_lt_i16_e32 vcc, s8, v1
	s_mov_b64 s[8:9], 0
	s_and_saveexec_b64 s[10:11], vcc
	s_xor_b64 s[10:11], exec, s[10:11]
	s_cbranch_execz .LBB153_896
; %bb.876:
	s_movk_i32 s8, 0x80
	v_cmp_eq_u16_e32 vcc, s8, v1
	s_mov_b64 s[8:9], -1
	s_and_saveexec_b64 s[12:13], vcc
; %bb.877:
	s_xor_b64 s[8:9], exec, -1
; %bb.878:
	s_or_b64 exec, exec, s[12:13]
	s_and_b64 s[8:9], s[8:9], exec
	s_or_saveexec_b64 s[10:11], s[10:11]
	v_mov_b32_e32 v4, 0x7f800001
	s_xor_b64 exec, exec, s[10:11]
	s_cbranch_execnz .LBB153_897
.LBB153_879:
	s_or_b64 exec, exec, s[10:11]
	s_and_saveexec_b64 s[10:11], s[8:9]
	s_cbranch_execz .LBB153_881
.LBB153_880:
	v_lshlrev_b32_e32 v4, 24, v1
	v_and_b32_e32 v1, 0xffff, v1
	v_and_b32_e32 v5, 7, v1
	v_ffbh_u32_e32 v7, v5
	v_min_u32_e32 v7, 32, v7
	v_subrev_u32_e32 v8, 28, v7
	v_bfe_u32 v6, v1, 3, 4
	v_lshlrev_b32_e32 v1, v8, v1
	v_sub_u32_e32 v7, 29, v7
	v_and_b32_e32 v1, 7, v1
	v_cmp_eq_u32_e32 vcc, 0, v6
	v_and_b32_e32 v4, 0x80000000, v4
	s_nop 0
	v_cndmask_b32_e32 v6, v6, v7, vcc
	v_cndmask_b32_e32 v1, v5, v1, vcc
	v_mov_b32_e32 v5, 0x3b800000
	v_lshlrev_b32_e32 v1, 20, v1
	v_lshl_add_u32 v5, v6, 23, v5
	v_or3_b32 v4, v4, v5, v1
.LBB153_881:
	s_or_b64 exec, exec, s[10:11]
	v_bfe_u32 v1, v4, 16, 1
	s_movk_i32 s8, 0x7fff
	v_add3_u32 v1, v4, v1, s8
	v_cmp_o_f32_e32 vcc, v4, v4
	v_mov_b32_e32 v4, 0x7fc0
	s_nop 0
	v_cndmask_b32_sdwa v1, v4, v1, vcc dst_sel:DWORD dst_unused:UNUSED_PAD src0_sel:DWORD src1_sel:WORD_1
.LBB153_882:
	s_mov_b64 s[8:9], -1
.LBB153_883:
	s_mov_b64 s[10:11], 0
.LBB153_884:
	s_and_b64 vcc, exec, s[10:11]
	s_cbranch_vccz .LBB153_917
; %bb.885:
	s_cmp_gt_i32 s14, 22
	s_cbranch_scc0 .LBB153_895
; %bb.886:
	s_cmp_lt_i32 s14, 24
	s_cbranch_scc1 .LBB153_898
; %bb.887:
	s_cmp_gt_i32 s14, 24
	s_cbranch_scc0 .LBB153_899
; %bb.888:
	global_load_ubyte v1, v[2:3], off
	s_movk_i32 s6, 0x7f
	s_waitcnt vmcnt(0)
	v_cmp_lt_i16_e32 vcc, s6, v1
	s_mov_b64 s[6:7], 0
	s_and_saveexec_b64 s[8:9], vcc
	s_xor_b64 s[8:9], exec, s[8:9]
	s_cbranch_execz .LBB153_911
; %bb.889:
	s_movk_i32 s6, 0x80
	v_cmp_eq_u16_e32 vcc, s6, v1
	s_mov_b64 s[6:7], -1
	s_and_saveexec_b64 s[10:11], vcc
; %bb.890:
	s_xor_b64 s[6:7], exec, -1
; %bb.891:
	s_or_b64 exec, exec, s[10:11]
	s_and_b64 s[6:7], s[6:7], exec
	s_or_saveexec_b64 s[8:9], s[8:9]
	v_mov_b32_e32 v4, 0x7f800001
	s_xor_b64 exec, exec, s[8:9]
	s_cbranch_execnz .LBB153_912
.LBB153_892:
	s_or_b64 exec, exec, s[8:9]
	s_and_saveexec_b64 s[8:9], s[6:7]
	s_cbranch_execz .LBB153_894
.LBB153_893:
	v_lshlrev_b32_e32 v4, 24, v1
	v_and_b32_e32 v1, 0xffff, v1
	v_and_b32_e32 v5, 3, v1
	v_ffbh_u32_e32 v7, v5
	v_min_u32_e32 v7, 32, v7
	v_subrev_u32_e32 v8, 29, v7
	v_bfe_u32 v6, v1, 2, 5
	v_lshlrev_b32_e32 v1, v8, v1
	v_sub_u32_e32 v7, 30, v7
	v_and_b32_e32 v1, 3, v1
	v_cmp_eq_u32_e32 vcc, 0, v6
	v_and_b32_e32 v4, 0x80000000, v4
	s_nop 0
	v_cndmask_b32_e32 v6, v6, v7, vcc
	v_cndmask_b32_e32 v1, v5, v1, vcc
	v_mov_b32_e32 v5, 0x37800000
	v_lshlrev_b32_e32 v1, 21, v1
	v_lshl_add_u32 v5, v6, 23, v5
	v_or3_b32 v4, v4, v5, v1
.LBB153_894:
	s_or_b64 exec, exec, s[8:9]
	v_bfe_u32 v1, v4, 16, 1
	s_movk_i32 s6, 0x7fff
	v_add3_u32 v1, v4, v1, s6
	v_cmp_o_f32_e32 vcc, v4, v4
	v_mov_b32_e32 v4, 0x7fc0
	s_mov_b64 s[6:7], 0
	v_cndmask_b32_sdwa v1, v4, v1, vcc dst_sel:DWORD dst_unused:UNUSED_PAD src0_sel:DWORD src1_sel:WORD_1
	s_branch .LBB153_900
.LBB153_895:
	s_mov_b64 s[6:7], -1
                                        ; implicit-def: $vgpr1
	s_branch .LBB153_906
.LBB153_896:
	s_or_saveexec_b64 s[10:11], s[10:11]
	v_mov_b32_e32 v4, 0x7f800001
	s_xor_b64 exec, exec, s[10:11]
	s_cbranch_execz .LBB153_879
.LBB153_897:
	v_cmp_ne_u16_e32 vcc, 0, v1
	s_andn2_b64 s[8:9], s[8:9], exec
	s_and_b64 s[12:13], vcc, exec
	v_mov_b32_e32 v4, 0
	s_or_b64 s[8:9], s[8:9], s[12:13]
	s_or_b64 exec, exec, s[10:11]
	s_and_saveexec_b64 s[10:11], s[8:9]
	s_cbranch_execnz .LBB153_880
	s_branch .LBB153_881
.LBB153_898:
	s_mov_b64 s[6:7], -1
                                        ; implicit-def: $vgpr1
	s_branch .LBB153_903
.LBB153_899:
	s_mov_b64 s[6:7], -1
                                        ; implicit-def: $vgpr1
.LBB153_900:
	s_and_b64 vcc, exec, s[6:7]
	s_cbranch_vccz .LBB153_902
; %bb.901:
	global_load_ubyte v1, v[2:3], off
	s_mov_b32 s6, 0x7f800000
	s_brev_b32 s7, 1
	s_movk_i32 s8, 0x7fff
	s_waitcnt vmcnt(0)
	v_lshlrev_b32_e32 v1, 24, v1
	v_and_b32_e32 v4, 0x7f000000, v1
	v_ffbh_u32_e32 v5, v4
	v_min_u32_e32 v5, 32, v5
	v_sub_u32_e64 v5, v5, 4 clamp
	v_lshlrev_b32_e32 v7, v5, v4
	v_lshlrev_b32_e32 v5, 23, v5
	v_lshrrev_b32_e32 v7, 4, v7
	v_add_u32_e32 v6, 0x1000000, v4
	v_sub_u32_e32 v5, v7, v5
	v_ashrrev_i32_e32 v6, 8, v6
	v_add_u32_e32 v5, 0x3c000000, v5
	v_and_or_b32 v5, v6, s6, v5
	v_cmp_ne_u32_e32 vcc, 0, v4
	s_nop 1
	v_cndmask_b32_e32 v4, 0, v5, vcc
	v_and_or_b32 v1, v1, s7, v4
	v_bfe_u32 v4, v4, 16, 1
	v_add3_u32 v4, v1, v4, s8
	v_cmp_o_f32_e32 vcc, v1, v1
	v_mov_b32_e32 v1, 0x7fc0
	s_nop 0
	v_cndmask_b32_sdwa v1, v1, v4, vcc dst_sel:DWORD dst_unused:UNUSED_PAD src0_sel:DWORD src1_sel:WORD_1
.LBB153_902:
	s_mov_b64 s[6:7], 0
.LBB153_903:
	s_andn2_b64 vcc, exec, s[6:7]
	s_cbranch_vccnz .LBB153_905
; %bb.904:
	global_load_ubyte v1, v[2:3], off
	s_movk_i32 s6, 0x7f00
	s_brev_b32 s7, 16
	s_brev_b32 s8, 1
	s_movk_i32 s9, 0x7fff
	s_waitcnt vmcnt(0)
	v_lshlrev_b16_e32 v4, 8, v1
	v_lshlrev_b32_e32 v1, 25, v1
	v_lshrrev_b32_e32 v5, 4, v1
	v_and_or_b32 v6, v4, s6, 0.5
	v_or_b32_e32 v5, 0x70000000, v5
	v_add_f32_e32 v6, -0.5, v6
	v_mul_f32_e32 v5, 0x7800000, v5
	v_cmp_gt_u32_e32 vcc, s7, v1
	v_bfe_i32 v4, v4, 0, 16
	s_nop 0
	v_cndmask_b32_e32 v1, v5, v6, vcc
	v_and_or_b32 v4, v4, s8, v1
	v_bfe_u32 v1, v1, 16, 1
	v_add3_u32 v1, v4, v1, s9
	v_cmp_o_f32_e32 vcc, v4, v4
	v_mov_b32_e32 v4, 0x7fc0
	s_nop 0
	v_cndmask_b32_sdwa v1, v4, v1, vcc dst_sel:DWORD dst_unused:UNUSED_PAD src0_sel:DWORD src1_sel:WORD_1
.LBB153_905:
	s_mov_b64 s[6:7], 0
	s_mov_b64 s[8:9], -1
.LBB153_906:
	s_andn2_b64 vcc, exec, s[6:7]
	s_mov_b64 s[6:7], 0
	s_cbranch_vccnz .LBB153_917
; %bb.907:
	s_cmp_gt_i32 s14, 14
	s_cbranch_scc0 .LBB153_910
; %bb.908:
	s_cmp_eq_u32 s14, 15
	s_cbranch_scc0 .LBB153_913
; %bb.909:
	global_load_ushort v1, v[2:3], off
	s_mov_b64 s[4:5], 0
	s_mov_b64 s[8:9], -1
	s_branch .LBB153_914
.LBB153_910:
	s_mov_b64 s[10:11], -1
                                        ; implicit-def: $vgpr1
	s_branch .LBB153_915
.LBB153_911:
	s_or_saveexec_b64 s[8:9], s[8:9]
	v_mov_b32_e32 v4, 0x7f800001
	s_xor_b64 exec, exec, s[8:9]
	s_cbranch_execz .LBB153_892
.LBB153_912:
	v_cmp_ne_u16_e32 vcc, 0, v1
	s_andn2_b64 s[6:7], s[6:7], exec
	s_and_b64 s[10:11], vcc, exec
	v_mov_b32_e32 v4, 0
	s_or_b64 s[6:7], s[6:7], s[10:11]
	s_or_b64 exec, exec, s[8:9]
	s_and_saveexec_b64 s[8:9], s[6:7]
	s_cbranch_execnz .LBB153_893
	s_branch .LBB153_894
.LBB153_913:
	s_mov_b64 s[4:5], -1
                                        ; implicit-def: $vgpr1
.LBB153_914:
	s_mov_b64 s[10:11], 0
.LBB153_915:
	s_and_b64 vcc, exec, s[10:11]
	s_cbranch_vccz .LBB153_917
; %bb.916:
	s_cmp_lg_u32 s14, 11
	s_cselect_b64 s[10:11], -1, 0
	s_andn2_b64 s[4:5], s[4:5], exec
	s_and_b64 s[10:11], s[10:11], exec
	s_mov_b64 s[6:7], -1
	s_or_b64 s[4:5], s[4:5], s[10:11]
.LBB153_917:
	s_mov_b64 s[10:11], 0
.LBB153_918:
	s_andn2_b64 s[12:13], s[2:3], exec
	s_and_b64 s[4:5], s[4:5], exec
	s_and_b64 s[8:9], s[8:9], exec
	;; [unrolled: 1-line block ×4, first 2 shown]
	s_or_b64 s[12:13], s[12:13], s[4:5]
.LBB153_919:
	s_or_b64 exec, exec, s[70:71]
	s_and_b64 s[4:5], s[6:7], exec
	s_andn2_b64 s[2:3], s[2:3], exec
	s_and_b64 s[6:7], s[12:13], exec
	s_and_b64 s[8:9], s[8:9], exec
	;; [unrolled: 1-line block ×3, first 2 shown]
	s_or_b64 s[2:3], s[2:3], s[6:7]
.LBB153_920:
	s_or_b64 exec, exec, s[66:67]
	s_andn2_b64 s[6:7], s[62:63], exec
	s_and_b64 s[12:13], s[68:69], exec
	s_or_b64 s[62:63], s[6:7], s[12:13]
	s_and_b64 s[6:7], s[10:11], exec
	s_andn2_b64 s[10:11], s[60:61], exec
	s_and_b64 s[2:3], s[2:3], exec
	s_and_b64 s[8:9], s[8:9], exec
	;; [unrolled: 1-line block ×3, first 2 shown]
	s_or_b64 s[60:61], s[10:11], s[2:3]
.LBB153_921:
	s_or_b64 exec, exec, s[64:65]
	s_andn2_b64 s[2:3], s[54:55], exec
	s_and_b64 s[10:11], s[62:63], exec
	s_or_b64 s[54:55], s[2:3], s[10:11]
	s_and_b64 s[2:3], s[8:9], exec
	s_and_b64 s[8:9], s[6:7], exec
	;; [unrolled: 1-line block ×3, first 2 shown]
	s_andn2_b64 s[4:5], s[56:57], exec
	s_and_b64 s[6:7], s[60:61], exec
	s_or_b64 s[56:57], s[4:5], s[6:7]
	s_or_b64 exec, exec, s[58:59]
	s_mov_b64 s[4:5], 0
	s_and_saveexec_b64 s[6:7], s[56:57]
	s_cbranch_execz .LBB153_276
.LBB153_922:
	s_mov_b64 s[4:5], exec
	s_andn2_b64 s[62:63], s[62:63], exec
	s_trap 2
	s_or_b64 exec, exec, s[6:7]
	s_and_saveexec_b64 s[6:7], s[62:63]
	s_xor_b64 s[6:7], exec, s[6:7]
	s_cbranch_execnz .LBB153_277
.LBB153_923:
	s_or_b64 exec, exec, s[6:7]
	s_and_saveexec_b64 s[6:7], s[8:9]
	s_cbranch_execz .LBB153_969
.LBB153_924:
	s_sext_i32_i16 s8, s74
	s_cmp_lt_i32 s8, 5
	s_cbranch_scc1 .LBB153_929
; %bb.925:
	s_cmp_lt_i32 s8, 8
	s_cbranch_scc1 .LBB153_930
; %bb.926:
	;; [unrolled: 3-line block ×3, first 2 shown]
	s_cmp_gt_i32 s8, 9
	s_cbranch_scc0 .LBB153_932
; %bb.928:
	global_load_dwordx2 v[4:5], v[2:3], off
	s_movk_i32 s8, 0x7fff
	s_waitcnt vmcnt(1)
	v_mov_b32_e32 v1, 0x7fc0
	s_waitcnt vmcnt(0)
	v_cvt_f32_f64_e32 v4, v[4:5]
	v_bfe_u32 v5, v4, 16, 1
	v_cmp_o_f32_e32 vcc, v4, v4
	v_add3_u32 v4, v4, v5, s8
	s_mov_b64 s[8:9], 0
	v_cndmask_b32_sdwa v1, v1, v4, vcc dst_sel:DWORD dst_unused:UNUSED_PAD src0_sel:DWORD src1_sel:WORD_1
	s_branch .LBB153_933
.LBB153_929:
                                        ; implicit-def: $vgpr1
	s_branch .LBB153_950
.LBB153_930:
                                        ; implicit-def: $vgpr1
	s_branch .LBB153_939
.LBB153_931:
	s_mov_b64 s[8:9], -1
                                        ; implicit-def: $vgpr1
	s_branch .LBB153_936
.LBB153_932:
	s_mov_b64 s[8:9], -1
                                        ; implicit-def: $vgpr1
.LBB153_933:
	s_andn2_b64 vcc, exec, s[8:9]
	s_cbranch_vccnz .LBB153_935
; %bb.934:
	global_load_dword v1, v[2:3], off
	s_movk_i32 s8, 0x7fff
	v_mov_b32_e32 v4, 0x7fc0
	s_waitcnt vmcnt(0)
	v_bfe_u32 v5, v1, 16, 1
	v_cmp_o_f32_e32 vcc, v1, v1
	v_add3_u32 v1, v1, v5, s8
	s_nop 0
	v_cndmask_b32_sdwa v1, v4, v1, vcc dst_sel:DWORD dst_unused:UNUSED_PAD src0_sel:DWORD src1_sel:WORD_1
.LBB153_935:
	s_mov_b64 s[8:9], 0
.LBB153_936:
	s_andn2_b64 vcc, exec, s[8:9]
	s_cbranch_vccnz .LBB153_938
; %bb.937:
	global_load_dword v1, v[2:3], off
	s_movk_i32 s8, 0x7fff
	v_mov_b32_e32 v5, 0x7fc0
	s_waitcnt vmcnt(0)
	v_cvt_f32_f16_e32 v4, v1
	v_cmp_o_f16_e32 vcc, v1, v1
	v_bfe_u32 v1, v4, 16, 1
	v_add3_u32 v1, v4, v1, s8
	v_cndmask_b32_sdwa v1, v5, v1, vcc dst_sel:DWORD dst_unused:UNUSED_PAD src0_sel:DWORD src1_sel:WORD_1
.LBB153_938:
	s_cbranch_execnz .LBB153_949
.LBB153_939:
	s_sext_i32_i16 s8, s74
	s_cmp_lt_i32 s8, 6
	s_cbranch_scc1 .LBB153_942
; %bb.940:
	s_cmp_gt_i32 s8, 6
	s_cbranch_scc0 .LBB153_943
; %bb.941:
	global_load_dwordx2 v[4:5], v[2:3], off
	s_movk_i32 s8, 0x7fff
	s_waitcnt vmcnt(1)
	v_mov_b32_e32 v1, 0x7fc0
	s_waitcnt vmcnt(0)
	v_cvt_f32_f64_e32 v4, v[4:5]
	v_bfe_u32 v5, v4, 16, 1
	v_cmp_o_f32_e32 vcc, v4, v4
	v_add3_u32 v4, v4, v5, s8
	s_mov_b64 s[8:9], 0
	v_cndmask_b32_sdwa v1, v1, v4, vcc dst_sel:DWORD dst_unused:UNUSED_PAD src0_sel:DWORD src1_sel:WORD_1
	s_branch .LBB153_944
.LBB153_942:
	s_mov_b64 s[8:9], -1
                                        ; implicit-def: $vgpr1
	s_branch .LBB153_947
.LBB153_943:
	s_mov_b64 s[8:9], -1
                                        ; implicit-def: $vgpr1
.LBB153_944:
	s_andn2_b64 vcc, exec, s[8:9]
	s_cbranch_vccnz .LBB153_946
; %bb.945:
	global_load_dword v1, v[2:3], off
	s_movk_i32 s8, 0x7fff
	v_mov_b32_e32 v4, 0x7fc0
	s_waitcnt vmcnt(0)
	v_bfe_u32 v5, v1, 16, 1
	v_cmp_o_f32_e32 vcc, v1, v1
	v_add3_u32 v1, v1, v5, s8
	s_nop 0
	v_cndmask_b32_sdwa v1, v4, v1, vcc dst_sel:DWORD dst_unused:UNUSED_PAD src0_sel:DWORD src1_sel:WORD_1
.LBB153_946:
	s_mov_b64 s[8:9], 0
.LBB153_947:
	s_andn2_b64 vcc, exec, s[8:9]
	s_cbranch_vccnz .LBB153_949
; %bb.948:
	global_load_ushort v1, v[2:3], off
	s_movk_i32 s8, 0x7fff
	v_mov_b32_e32 v5, 0x7fc0
	s_waitcnt vmcnt(0)
	v_cvt_f32_f16_e32 v4, v1
	v_cmp_o_f16_e32 vcc, v1, v1
	v_bfe_u32 v1, v4, 16, 1
	v_add3_u32 v1, v4, v1, s8
	v_cndmask_b32_sdwa v1, v5, v1, vcc dst_sel:DWORD dst_unused:UNUSED_PAD src0_sel:DWORD src1_sel:WORD_1
.LBB153_949:
	s_cbranch_execnz .LBB153_968
.LBB153_950:
	s_sext_i32_i16 s8, s74
	s_cmp_lt_i32 s8, 2
	s_cbranch_scc1 .LBB153_954
; %bb.951:
	s_cmp_lt_i32 s8, 3
	s_cbranch_scc1 .LBB153_955
; %bb.952:
	s_cmp_gt_i32 s8, 3
	s_cbranch_scc0 .LBB153_956
; %bb.953:
	global_load_dwordx2 v[4:5], v[2:3], off
	s_movk_i32 s8, 0x7fff
	s_waitcnt vmcnt(0)
	v_xor_b32_e32 v6, v4, v5
	v_ffbh_i32_e32 v1, v5
	v_ashrrev_i32_e32 v6, 31, v6
	v_add_u32_e32 v1, -1, v1
	v_add_u32_e32 v6, 32, v6
	v_min_u32_e32 v1, v1, v6
	v_lshlrev_b64 v[4:5], v1, v[4:5]
	v_min_u32_e32 v4, 1, v4
	v_or_b32_e32 v4, v5, v4
	v_cvt_f32_i32_e32 v4, v4
	v_sub_u32_e32 v1, 32, v1
	v_ldexp_f32 v1, v4, v1
	v_bfe_u32 v4, v1, 16, 1
	v_add3_u32 v1, v1, v4, s8
	v_lshrrev_b32_e32 v1, 16, v1
	s_mov_b64 s[8:9], 0
	s_branch .LBB153_957
.LBB153_954:
                                        ; implicit-def: $vgpr1
	s_branch .LBB153_963
.LBB153_955:
	s_mov_b64 s[8:9], -1
                                        ; implicit-def: $vgpr1
	s_branch .LBB153_960
.LBB153_956:
	s_mov_b64 s[8:9], -1
                                        ; implicit-def: $vgpr1
.LBB153_957:
	s_andn2_b64 vcc, exec, s[8:9]
	s_cbranch_vccnz .LBB153_959
; %bb.958:
	global_load_dword v1, v[2:3], off
	s_movk_i32 s8, 0x7fff
	s_waitcnt vmcnt(0)
	v_cvt_f32_i32_e32 v1, v1
	v_bfe_u32 v4, v1, 16, 1
	v_add3_u32 v1, v1, v4, s8
	v_lshrrev_b32_e32 v1, 16, v1
.LBB153_959:
	s_mov_b64 s[8:9], 0
.LBB153_960:
	s_andn2_b64 vcc, exec, s[8:9]
	s_cbranch_vccnz .LBB153_962
; %bb.961:
	global_load_sshort v1, v[2:3], off
	s_movk_i32 s8, 0x7fff
	s_waitcnt vmcnt(0)
	v_cvt_f32_i32_e32 v1, v1
	v_bfe_u32 v4, v1, 16, 1
	v_add3_u32 v1, v1, v4, s8
	v_lshrrev_b32_e32 v1, 16, v1
.LBB153_962:
	s_cbranch_execnz .LBB153_968
.LBB153_963:
	s_sext_i32_i16 s8, s74
	s_cmp_gt_i32 s8, 0
	s_cbranch_scc0 .LBB153_965
; %bb.964:
	global_load_sbyte v1, v[2:3], off
	s_movk_i32 s8, 0x7fff
	s_waitcnt vmcnt(0)
	v_cvt_f32_i32_e32 v1, v1
	v_bfe_u32 v4, v1, 16, 1
	v_add3_u32 v1, v1, v4, s8
	v_lshrrev_b32_e32 v1, 16, v1
	s_mov_b64 s[8:9], 0
	s_branch .LBB153_966
.LBB153_965:
	s_mov_b64 s[8:9], -1
                                        ; implicit-def: $vgpr1
.LBB153_966:
	s_andn2_b64 vcc, exec, s[8:9]
	s_cbranch_vccnz .LBB153_968
; %bb.967:
	global_load_ubyte v1, v[2:3], off
	s_movk_i32 s8, 0x7fff
	s_waitcnt vmcnt(0)
	v_cvt_f32_ubyte0_e32 v1, v1
	v_bfe_u32 v2, v1, 16, 1
	v_add3_u32 v1, v1, v2, s8
	v_lshrrev_b32_e32 v1, 16, v1
.LBB153_968:
	s_or_b64 s[2:3], s[2:3], exec
.LBB153_969:
	s_or_b64 exec, exec, s[6:7]
	s_mov_b64 s[10:11], 0
	s_mov_b64 s[8:9], 0
                                        ; implicit-def: $sgpr16
                                        ; implicit-def: $vgpr2_vgpr3
                                        ; implicit-def: $vgpr4
	s_and_saveexec_b64 s[6:7], s[2:3]
	s_cbranch_execz .LBB153_987
; %bb.970:
	s_waitcnt vmcnt(0)
	v_lshlrev_b32_e32 v1, 16, v1
	v_mul_f32_e32 v2, 0x3fb8aa3b, v1
	v_rndne_f32_e32 v2, v2
	v_fmamk_f32 v3, v2, 0xbf317218, v1
	v_fmamk_f32 v3, v2, 0x3102e308, v3
	v_mov_b32_e32 v4, 0x3ab69700
	v_fmac_f32_e32 v4, 0x395133b1, v3
	v_fmaak_f32 v4, v3, v4, 0x3c0887f9
	v_fmaak_f32 v4, v3, v4, 0x3d2aaa81
	v_cvt_i32_f32_e32 v5, v2
	v_fmaak_f32 v4, v3, v4, 0x3e2aaaab
	v_fma_f32 v4, v3, v4, 0.5
	v_mul_f32_e32 v4, v3, v4
	s_mov_b32 s2, 0x43000000
	v_fmac_f32_e32 v3, v3, v4
	v_ldexp_f32 v4, 1.0, v5
	v_mov_b32_e32 v5, 0x7f000000
	v_cmp_eq_f32_e32 vcc, s2, v2
	s_mov_b32 s2, 0x42b17217
	s_and_b32 s16, s73, 0xff
	v_cndmask_b32_e32 v2, v4, v5, vcc
	v_add_f32_e32 v4, -1.0, v2
	v_fmac_f32_e32 v4, v2, v3
	v_add_f32_e32 v2, v4, v4
	v_cndmask_b32_e32 v2, v4, v2, vcc
	v_mov_b32_e32 v3, 0x7f800000
	v_cmp_nlt_f32_e32 vcc, s2, v1
	s_mov_b32 s2, 0xc1880000
	s_cmp_lt_i32 s16, 11
	v_cndmask_b32_e32 v2, v3, v2, vcc
	v_cmp_ngt_f32_e32 vcc, s2, v1
	s_movk_i32 s2, 0x7fff
	s_nop 0
	v_cndmask_b32_e32 v1, -1.0, v2, vcc
	v_bfe_u32 v2, v1, 16, 1
	v_add3_u32 v2, v1, v2, s2
	v_cmp_o_f32_e32 vcc, v1, v1
	v_mov_b32_e32 v1, 0x7fc0
	s_nop 0
	v_cndmask_b32_sdwa v4, v1, v2, vcc dst_sel:DWORD dst_unused:UNUSED_PAD src0_sel:DWORD src1_sel:WORD_1
	v_mov_b32_e32 v1, 0
	s_waitcnt lgkmcnt(0)
	v_lshl_add_u64 v[2:3], s[20:21], 0, v[0:1]
	s_cbranch_scc1 .LBB153_990
; %bb.971:
	s_and_b32 s17, 0xffff, s16
	s_mov_b64 s[10:11], -1
	s_cmp_gt_i32 s17, 25
	s_mov_b64 s[2:3], s[54:55]
	s_cbranch_scc0 .LBB153_1008
; %bb.972:
	s_mov_b64 s[8:9], -1
	s_cmp_gt_i32 s17, 28
	s_mov_b64 s[2:3], s[54:55]
	s_cbranch_scc0 .LBB153_992
; %bb.973:
	s_cmp_gt_i32 s17, 43
	s_mov_b64 s[2:3], s[54:55]
	s_cbranch_scc0 .LBB153_984
; %bb.974:
	;; [unrolled: 4-line block ×3, first 2 shown]
	s_cmp_eq_u32 s17, 46
	s_mov_b64 s[2:3], -1
	s_cbranch_scc0 .LBB153_977
; %bb.976:
	v_and_b32_e32 v0, 0xffff, v4
	global_store_dword v[2:3], v0, off
	s_mov_b64 s[2:3], 0
.LBB153_977:
	s_mov_b64 s[8:9], 0
.LBB153_978:
	s_and_b64 vcc, exec, s[8:9]
	s_cbranch_vccz .LBB153_983
; %bb.979:
	s_cmp_eq_u32 s17, 44
	s_mov_b64 s[2:3], -1
	s_cbranch_scc0 .LBB153_983
; %bb.980:
	v_and_b32_e32 v1, 0xffff, v4
	v_bfe_u32 v0, v1, 7, 8
	s_movk_i32 s2, 0xff
	v_cmp_ne_u32_e32 vcc, s2, v0
	v_mov_b32_e32 v5, 0xff
	s_and_saveexec_b64 s[8:9], vcc
	s_cbranch_execz .LBB153_982
; %bb.981:
	v_lshlrev_b32_e32 v6, 16, v1
	s_mov_b32 s2, 0x3f0000
	v_lshrrev_b32_e32 v5, 7, v1
	v_and_b32_e32 v1, 64, v1
	v_and_or_b32 v0, v6, s2, v0
	v_cmp_ne_u32_e32 vcc, 0, v1
	v_cmp_ne_u32_e64 s[2:3], 0, v0
	s_and_b64 s[2:3], vcc, s[2:3]
	s_nop 0
	v_cndmask_b32_e64 v0, 0, 1, s[2:3]
	v_add_u32_e32 v5, v5, v0
.LBB153_982:
	s_or_b64 exec, exec, s[8:9]
	s_mov_b64 s[2:3], 0
	global_store_byte v[2:3], v5, off
.LBB153_983:
	s_mov_b64 s[8:9], 0
.LBB153_984:
	s_and_b64 vcc, exec, s[8:9]
	s_cbranch_vccz .LBB153_991
; %bb.985:
	s_cmp_eq_u32 s17, 29
	s_mov_b64 s[2:3], -1
	s_cbranch_scc0 .LBB153_991
; %bb.986:
	v_lshlrev_b32_e32 v0, 16, v4
	v_trunc_f32_e32 v0, v0
	v_mul_f32_e32 v1, 0x2f800000, v0
	v_floor_f32_e32 v5, v1
	v_fmamk_f32 v0, v5, 0xcf800000, v0
	v_cvt_u32_f32_e32 v1, v5
	v_cvt_u32_f32_e32 v0, v0
	s_mov_b64 s[2:3], 0
	s_mov_b64 s[8:9], 0
	global_store_dwordx2 v[2:3], v[0:1], off
	s_branch .LBB153_992
.LBB153_987:
	s_or_b64 exec, exec, s[6:7]
	s_and_saveexec_b64 s[2:3], s[54:55]
	s_cbranch_execnz .LBB153_1050
.LBB153_988:
	s_or_b64 exec, exec, s[2:3]
	s_and_saveexec_b64 s[2:3], s[10:11]
	s_xor_b64 s[2:3], exec, s[2:3]
	s_cbranch_execz .LBB153_1051
.LBB153_989:
	v_and_b32_e32 v0, 0x7fff, v4
	v_cmp_ne_u16_e32 vcc, 0, v0
	s_nop 1
	v_cndmask_b32_e64 v0, 0, 1, vcc
	global_store_byte v[2:3], v0, off
	s_or_b64 exec, exec, s[2:3]
	s_and_saveexec_b64 s[2:3], s[8:9]
	s_xor_b64 s[2:3], exec, s[2:3]
	s_cbranch_execz .LBB153_1089
	s_branch .LBB153_1052
.LBB153_990:
	s_mov_b64 s[8:9], -1
	s_mov_b64 s[2:3], s[54:55]
	s_branch .LBB153_1049
.LBB153_991:
	s_mov_b64 s[8:9], 0
.LBB153_992:
	s_and_b64 vcc, exec, s[8:9]
	s_cbranch_vccz .LBB153_1007
; %bb.993:
	s_cmp_lt_i32 s17, 27
	s_mov_b64 s[8:9], -1
	s_cbranch_scc1 .LBB153_999
; %bb.994:
	s_cmp_gt_i32 s17, 27
	s_cbranch_scc0 .LBB153_996
; %bb.995:
	v_lshlrev_b32_e32 v0, 16, v4
	v_cvt_u32_f32_e32 v0, v0
	s_mov_b64 s[8:9], 0
	global_store_dword v[2:3], v0, off
.LBB153_996:
	s_andn2_b64 vcc, exec, s[8:9]
	s_cbranch_vccnz .LBB153_998
; %bb.997:
	v_lshlrev_b32_e32 v0, 16, v4
	v_cvt_u32_f32_e32 v0, v0
	global_store_short v[2:3], v0, off
.LBB153_998:
	s_mov_b64 s[8:9], 0
.LBB153_999:
	s_andn2_b64 vcc, exec, s[8:9]
	s_cbranch_vccnz .LBB153_1007
; %bb.1000:
	v_lshlrev_b32_e32 v5, 16, v4
	v_and_b32_e32 v1, 0x7fffffff, v5
	s_mov_b32 s8, 0x43800000
	v_cmp_gt_u32_e32 vcc, s8, v1
	v_mov_b32_e32 v6, 0x80
	s_and_saveexec_b64 s[8:9], vcc
	s_cbranch_execz .LBB153_1006
; %bb.1001:
	s_mov_b32 s10, 0x3bffffff
	v_and_b32_e32 v0, 0xffff, v4
	v_cmp_lt_u32_e32 vcc, s10, v1
	s_mov_b64 s[10:11], 0
                                        ; implicit-def: $vgpr1
	s_and_saveexec_b64 s[12:13], vcc
	s_xor_b64 s[12:13], exec, s[12:13]
	s_cbranch_execz .LBB153_1160
; %bb.1002:
	v_bfe_u32 v1, v0, 4, 1
	s_mov_b32 s14, 0x487ffff
	v_add3_u32 v1, v5, v1, s14
	s_mov_b64 s[10:11], exec
	v_lshrrev_b32_e32 v1, 20, v1
                                        ; implicit-def: $vgpr5
	s_andn2_saveexec_b64 s[12:13], s[12:13]
	s_cbranch_execnz .LBB153_1161
.LBB153_1003:
	s_or_b64 exec, exec, s[12:13]
	v_mov_b32_e32 v6, 0
	s_and_saveexec_b64 s[12:13], s[10:11]
.LBB153_1004:
	v_lshrrev_b32_e32 v0, 8, v0
	s_movk_i32 s10, 0x80
	v_and_or_b32 v6, v0, s10, v1
.LBB153_1005:
	s_or_b64 exec, exec, s[12:13]
.LBB153_1006:
	s_or_b64 exec, exec, s[8:9]
	global_store_byte v[2:3], v6, off
.LBB153_1007:
	s_mov_b64 s[10:11], 0
.LBB153_1008:
	s_mov_b64 s[8:9], 0
	s_and_b64 vcc, exec, s[10:11]
	s_cbranch_vccz .LBB153_1048
; %bb.1009:
	s_cmp_gt_i32 s17, 22
	s_mov_b64 s[10:11], -1
	s_cbranch_scc0 .LBB153_1041
; %bb.1010:
	s_cmp_lt_i32 s17, 24
	s_cbranch_scc1 .LBB153_1030
; %bb.1011:
	s_cmp_gt_i32 s17, 24
	s_cbranch_scc0 .LBB153_1019
; %bb.1012:
	v_lshlrev_b32_e32 v5, 16, v4
	v_and_b32_e32 v1, 0x7fffffff, v5
	s_mov_b32 s10, 0x47800000
	v_cmp_gt_u32_e32 vcc, s10, v1
	v_mov_b32_e32 v6, 0x80
	s_and_saveexec_b64 s[10:11], vcc
	s_cbranch_execz .LBB153_1018
; %bb.1013:
	s_mov_b32 s12, 0x37ffffff
	v_and_b32_e32 v0, 0xffff, v4
	v_cmp_lt_u32_e32 vcc, s12, v1
	s_mov_b64 s[12:13], 0
                                        ; implicit-def: $vgpr1
	s_and_saveexec_b64 s[14:15], vcc
	s_xor_b64 s[14:15], exec, s[14:15]
	s_cbranch_execz .LBB153_1284
; %bb.1014:
	v_bfe_u32 v1, v0, 5, 1
	s_mov_b32 s18, 0x88fffff
	v_add3_u32 v1, v5, v1, s18
	s_mov_b64 s[12:13], exec
	v_lshrrev_b32_e32 v1, 21, v1
                                        ; implicit-def: $vgpr5
	s_andn2_saveexec_b64 s[14:15], s[14:15]
	s_cbranch_execnz .LBB153_1285
.LBB153_1015:
	s_or_b64 exec, exec, s[14:15]
	v_mov_b32_e32 v6, 0
	s_and_saveexec_b64 s[14:15], s[12:13]
.LBB153_1016:
	v_lshrrev_b32_e32 v0, 8, v0
	s_movk_i32 s12, 0x80
	v_and_or_b32 v6, v0, s12, v1
.LBB153_1017:
	s_or_b64 exec, exec, s[14:15]
.LBB153_1018:
	s_or_b64 exec, exec, s[10:11]
	s_mov_b64 s[10:11], 0
	global_store_byte v[2:3], v6, off
.LBB153_1019:
	s_and_b64 vcc, exec, s[10:11]
	s_cbranch_vccz .LBB153_1029
; %bb.1020:
	v_lshlrev_b32_e32 v5, 16, v4
	v_and_b32_e32 v6, 0x7fffffff, v5
	s_mov_b32 s10, 0x43f00000
	v_and_b32_e32 v0, 0xffff, v4
	v_cmp_gt_u32_e32 vcc, s10, v6
                                        ; implicit-def: $vgpr1
	s_and_saveexec_b64 s[10:11], vcc
	s_xor_b64 s[10:11], exec, s[10:11]
	s_cbranch_execz .LBB153_1026
; %bb.1021:
	s_mov_b32 s12, 0x3c7fffff
	v_cmp_lt_u32_e32 vcc, s12, v6
                                        ; implicit-def: $vgpr1
	s_and_saveexec_b64 s[12:13], vcc
	s_xor_b64 s[12:13], exec, s[12:13]
; %bb.1022:
	v_bfe_u32 v1, v0, 4, 1
	s_mov_b32 s14, 0x407ffff
	v_add3_u32 v1, v5, v1, s14
	v_lshrrev_b32_e32 v5, 20, v1
	v_and_b32_e32 v1, 0xff00000, v1
	s_mov_b32 s14, 0x7f00000
	v_mov_b32_e32 v6, 0x7e
	v_cmp_ne_u32_e32 vcc, s14, v1
	s_nop 1
	v_cndmask_b32_e32 v1, v6, v5, vcc
                                        ; implicit-def: $vgpr5
; %bb.1023:
	s_andn2_saveexec_b64 s[12:13], s[12:13]
; %bb.1024:
	s_mov_b32 s14, 0x46800000
	v_add_f32_e64 v1, |v5|, s14
; %bb.1025:
	s_or_b64 exec, exec, s[12:13]
                                        ; implicit-def: $vgpr6
.LBB153_1026:
	s_andn2_saveexec_b64 s[10:11], s[10:11]
; %bb.1027:
	s_mov_b32 s12, 0x7f800000
	v_mov_b32_e32 v1, 0x7e
	v_mov_b32_e32 v5, 0x7f
	v_cmp_lt_u32_e32 vcc, s12, v6
	s_nop 1
	v_cndmask_b32_e32 v1, v1, v5, vcc
; %bb.1028:
	s_or_b64 exec, exec, s[10:11]
	v_lshrrev_b32_e32 v0, 8, v0
	s_movk_i32 s10, 0x80
	v_and_or_b32 v0, v0, s10, v1
	global_store_byte v[2:3], v0, off
.LBB153_1029:
	s_mov_b64 s[10:11], 0
.LBB153_1030:
	s_andn2_b64 vcc, exec, s[10:11]
	s_cbranch_vccnz .LBB153_1040
; %bb.1031:
	v_lshlrev_b32_e32 v5, 16, v4
	v_and_b32_e32 v6, 0x7fffffff, v5
	s_mov_b32 s10, 0x47800000
	v_and_b32_e32 v0, 0xffff, v4
	v_cmp_gt_u32_e32 vcc, s10, v6
                                        ; implicit-def: $vgpr1
	s_and_saveexec_b64 s[10:11], vcc
	s_xor_b64 s[10:11], exec, s[10:11]
	s_cbranch_execz .LBB153_1037
; %bb.1032:
	s_mov_b32 s12, 0x387fffff
	v_cmp_lt_u32_e32 vcc, s12, v6
                                        ; implicit-def: $vgpr1
	s_and_saveexec_b64 s[12:13], vcc
	s_xor_b64 s[12:13], exec, s[12:13]
; %bb.1033:
	v_bfe_u32 v1, v0, 5, 1
	s_mov_b32 s14, 0x80fffff
	v_add3_u32 v1, v5, v1, s14
	v_lshrrev_b32_e32 v1, 21, v1
                                        ; implicit-def: $vgpr5
; %bb.1034:
	s_andn2_saveexec_b64 s[12:13], s[12:13]
; %bb.1035:
	s_mov_b32 s14, 0x43000000
	v_add_f32_e64 v1, |v5|, s14
; %bb.1036:
	s_or_b64 exec, exec, s[12:13]
                                        ; implicit-def: $vgpr6
.LBB153_1037:
	s_andn2_saveexec_b64 s[10:11], s[10:11]
; %bb.1038:
	s_mov_b32 s12, 0x7f800000
	v_mov_b32_e32 v1, 0x7c
	v_mov_b32_e32 v5, 0x7f
	v_cmp_lt_u32_e32 vcc, s12, v6
	s_nop 1
	v_cndmask_b32_e32 v1, v1, v5, vcc
; %bb.1039:
	s_or_b64 exec, exec, s[10:11]
	v_lshrrev_b32_e32 v0, 8, v0
	s_movk_i32 s10, 0x80
	v_and_or_b32 v0, v0, s10, v1
	global_store_byte v[2:3], v0, off
.LBB153_1040:
	s_mov_b64 s[10:11], 0
.LBB153_1041:
	s_andn2_b64 vcc, exec, s[10:11]
	s_mov_b64 s[10:11], 0
	s_cbranch_vccnz .LBB153_1049
; %bb.1042:
	s_cmp_gt_i32 s17, 14
	s_mov_b64 s[12:13], -1
	s_cbranch_scc0 .LBB153_1046
; %bb.1043:
	s_cmp_eq_u32 s17, 15
	s_mov_b64 s[2:3], -1
	s_cbranch_scc0 .LBB153_1045
; %bb.1044:
	global_store_short v[2:3], v4, off
	s_mov_b64 s[2:3], 0
.LBB153_1045:
	s_mov_b64 s[12:13], 0
.LBB153_1046:
	s_and_b64 vcc, exec, s[12:13]
	s_cbranch_vccz .LBB153_1049
; %bb.1047:
	s_cmp_lg_u32 s17, 11
	s_cselect_b64 s[12:13], -1, 0
	s_andn2_b64 s[2:3], s[2:3], exec
	s_and_b64 s[12:13], s[12:13], exec
	s_mov_b64 s[10:11], -1
	s_or_b64 s[2:3], s[2:3], s[12:13]
	s_branch .LBB153_1049
.LBB153_1048:
	s_mov_b64 s[10:11], 0
.LBB153_1049:
	s_andn2_b64 s[12:13], s[54:55], exec
	s_and_b64 s[2:3], s[2:3], exec
	s_and_b64 s[8:9], s[8:9], exec
	;; [unrolled: 1-line block ×3, first 2 shown]
	s_or_b64 s[54:55], s[12:13], s[2:3]
	s_or_b64 exec, exec, s[6:7]
	s_and_saveexec_b64 s[2:3], s[54:55]
	s_cbranch_execz .LBB153_988
.LBB153_1050:
	s_or_b64 s[4:5], s[4:5], exec
	s_andn2_b64 s[10:11], s[10:11], exec
	s_trap 2
	s_or_b64 exec, exec, s[2:3]
	s_and_saveexec_b64 s[2:3], s[10:11]
	s_xor_b64 s[2:3], exec, s[2:3]
	s_cbranch_execnz .LBB153_989
.LBB153_1051:
	s_or_b64 exec, exec, s[2:3]
	s_and_saveexec_b64 s[2:3], s[8:9]
	s_xor_b64 s[2:3], exec, s[2:3]
	s_cbranch_execz .LBB153_1089
.LBB153_1052:
	s_sext_i32_i16 s8, s16
	s_cmp_lt_i32 s8, 5
	s_mov_b64 s[6:7], -1
	s_cbranch_scc1 .LBB153_1073
; %bb.1053:
	s_cmp_lt_i32 s8, 8
	s_cbranch_scc1 .LBB153_1063
; %bb.1054:
	s_cmp_lt_i32 s8, 9
	s_cbranch_scc1 .LBB153_1060
; %bb.1055:
	s_cmp_gt_i32 s8, 9
	s_cbranch_scc0 .LBB153_1057
; %bb.1056:
	v_lshlrev_b32_e32 v0, 16, v4
	v_mov_b32_e32 v8, 0
	v_cvt_f64_f32_e32 v[6:7], v0
	v_mov_b32_e32 v9, v8
	s_mov_b64 s[6:7], 0
	global_store_dwordx4 v[2:3], v[6:9], off
.LBB153_1057:
	s_andn2_b64 vcc, exec, s[6:7]
	s_cbranch_vccnz .LBB153_1059
; %bb.1058:
	v_lshlrev_b32_e32 v0, 16, v4
	s_waitcnt vmcnt(0)
	v_mov_b32_e32 v1, 0
	global_store_dwordx2 v[2:3], v[0:1], off
.LBB153_1059:
	s_mov_b64 s[6:7], 0
.LBB153_1060:
	s_andn2_b64 vcc, exec, s[6:7]
	s_cbranch_vccnz .LBB153_1062
; %bb.1061:
	v_lshlrev_b32_e32 v0, 16, v4
	v_cvt_f16_f32_e32 v0, v0
	global_store_dword v[2:3], v0, off
.LBB153_1062:
	s_mov_b64 s[6:7], 0
.LBB153_1063:
	s_andn2_b64 vcc, exec, s[6:7]
	s_cbranch_vccnz .LBB153_1072
; %bb.1064:
	s_sext_i32_i16 s8, s16
	s_cmp_lt_i32 s8, 6
	s_mov_b64 s[6:7], -1
	s_cbranch_scc1 .LBB153_1070
; %bb.1065:
	s_cmp_gt_i32 s8, 6
	s_cbranch_scc0 .LBB153_1067
; %bb.1066:
	v_lshlrev_b32_e32 v0, 16, v4
	s_waitcnt vmcnt(0)
	v_cvt_f64_f32_e32 v[0:1], v0
	s_mov_b64 s[6:7], 0
	global_store_dwordx2 v[2:3], v[0:1], off
.LBB153_1067:
	s_andn2_b64 vcc, exec, s[6:7]
	s_cbranch_vccnz .LBB153_1069
; %bb.1068:
	v_lshlrev_b32_e32 v0, 16, v4
	global_store_dword v[2:3], v0, off
.LBB153_1069:
	s_mov_b64 s[6:7], 0
.LBB153_1070:
	s_andn2_b64 vcc, exec, s[6:7]
	s_cbranch_vccnz .LBB153_1072
; %bb.1071:
	v_lshlrev_b32_e32 v0, 16, v4
	v_cvt_f16_f32_e32 v0, v0
	global_store_short v[2:3], v0, off
.LBB153_1072:
	s_mov_b64 s[6:7], 0
.LBB153_1073:
	s_andn2_b64 vcc, exec, s[6:7]
	s_cbranch_vccnz .LBB153_1089
; %bb.1074:
	s_sext_i32_i16 s8, s16
	s_cmp_lt_i32 s8, 2
	s_mov_b64 s[6:7], -1
	s_cbranch_scc1 .LBB153_1084
; %bb.1075:
	s_cmp_lt_i32 s8, 3
	s_cbranch_scc1 .LBB153_1081
; %bb.1076:
	s_cmp_gt_i32 s8, 3
	s_cbranch_scc0 .LBB153_1078
; %bb.1077:
	v_lshlrev_b32_e32 v0, 16, v4
	v_trunc_f32_e32 v0, v0
	s_mov_b32 s6, 0x2f800000
	s_waitcnt vmcnt(0)
	v_mul_f32_e64 v1, |v0|, s6
	v_floor_f32_e32 v1, v1
	s_mov_b32 s6, 0xcf800000
	v_cvt_u32_f32_e32 v5, v1
	v_fma_f32 v1, v1, s6, |v0|
	v_cvt_u32_f32_e32 v1, v1
	v_ashrrev_i32_e32 v6, 31, v0
	v_xor_b32_e32 v5, v5, v6
	s_mov_b64 s[6:7], 0
	v_xor_b32_e32 v0, v1, v6
	v_sub_co_u32_e32 v0, vcc, v0, v6
	s_nop 1
	v_subb_co_u32_e32 v1, vcc, v5, v6, vcc
	global_store_dwordx2 v[2:3], v[0:1], off
.LBB153_1078:
	s_andn2_b64 vcc, exec, s[6:7]
	s_cbranch_vccnz .LBB153_1080
; %bb.1079:
	v_lshlrev_b32_e32 v0, 16, v4
	v_cvt_i32_f32_e32 v0, v0
	global_store_dword v[2:3], v0, off
.LBB153_1080:
	s_mov_b64 s[6:7], 0
.LBB153_1081:
	s_andn2_b64 vcc, exec, s[6:7]
	s_cbranch_vccnz .LBB153_1083
; %bb.1082:
	v_lshlrev_b32_e32 v0, 16, v4
	v_cvt_i32_f32_e32 v0, v0
	global_store_short v[2:3], v0, off
.LBB153_1083:
	s_mov_b64 s[6:7], 0
.LBB153_1084:
	s_andn2_b64 vcc, exec, s[6:7]
	s_cbranch_vccnz .LBB153_1089
; %bb.1085:
	s_sext_i32_i16 s6, s16
	s_cmp_gt_i32 s6, 0
	s_mov_b64 s[6:7], -1
	s_cbranch_scc0 .LBB153_1087
; %bb.1086:
	v_lshlrev_b32_e32 v0, 16, v4
	v_cvt_i32_f32_e32 v0, v0
	s_mov_b64 s[6:7], 0
	global_store_byte v[2:3], v0, off
.LBB153_1087:
	s_andn2_b64 vcc, exec, s[6:7]
	s_cbranch_vccnz .LBB153_1089
; %bb.1088:
	v_lshlrev_b32_e32 v0, 16, v4
	v_trunc_f32_e32 v0, v0
	s_mov_b32 s6, 0x2f800000
	s_waitcnt vmcnt(0)
	v_mul_f32_e64 v1, |v0|, s6
	v_floor_f32_e32 v1, v1
	s_mov_b32 s6, 0xcf800000
	v_fma_f32 v1, v1, s6, |v0|
	v_cvt_u32_f32_e32 v1, v1
	v_ashrrev_i32_e32 v0, 31, v0
	v_xor_b32_e32 v1, v1, v0
	v_sub_u32_e32 v0, v1, v0
	global_store_byte v[2:3], v0, off
.LBB153_1089:
	s_or_b64 exec, exec, s[2:3]
	s_waitcnt lgkmcnt(0)
	s_and_b64 s[24:25], s[4:5], exec
                                        ; implicit-def: $vgpr16
                                        ; implicit-def: $vgpr8
.LBB153_1090:
	s_or_saveexec_b64 s[26:27], s[44:45]
	s_mov_b64 s[6:7], 0
                                        ; implicit-def: $vgpr0_vgpr1
                                        ; implicit-def: $sgpr14
                                        ; implicit-def: $vgpr2
	s_xor_b64 exec, exec, s[26:27]
	s_cbranch_execz .LBB153_2093
; %bb.1091:
	v_cndmask_b32_e64 v0, 0, 1, s[42:43]
	v_cmp_ne_u32_e64 s[2:3], 1, v0
	s_andn2_b64 vcc, exec, s[42:43]
	s_cbranch_vccnz .LBB153_1097
; %bb.1092:
	s_cmp_lg_u32 s33, 0
	s_mov_b32 s36, 0
	s_cbranch_scc0 .LBB153_1098
; %bb.1093:
	s_min_u32 s37, s72, 15
	s_add_i32 s37, s37, 1
	s_cmp_eq_u32 s72, 2
	s_cbranch_scc1 .LBB153_1099
; %bb.1094:
	s_and_b32 s36, s37, 28
	s_add_u32 s28, s34, 0xc4
	s_addc_u32 s29, s35, 0
	s_mov_b32 s38, 0
	v_mov_b32_e32 v6, 0
	v_mov_b32_e32 v14, 0
	s_mov_b64 s[30:31], s[34:35]
	v_mov_b32_e32 v0, v8
.LBB153_1095:                           ; =>This Inner Loop Header: Depth=1
	s_load_dwordx8 s[12:19], s[30:31], 0x4
	s_load_dwordx4 s[20:23], s[30:31], 0x24
	s_load_dwordx8 s[4:11], s[28:29], 0x0
	s_add_u32 s30, s30, 48
	s_addc_u32 s31, s31, 0
	s_waitcnt vmcnt(0) lgkmcnt(0)
	v_mul_hi_u32 v1, s13, v0
	v_add_u32_e32 v1, v0, v1
	v_lshrrev_b32_e32 v1, s14, v1
	v_mul_lo_u32 v2, v1, s12
	v_mul_hi_u32 v3, s16, v1
	v_sub_u32_e32 v0, v0, v2
	v_add_u32_e32 v2, v1, v3
	v_lshrrev_b32_e32 v2, s17, v2
	v_mul_lo_u32 v4, v2, s15
	v_mul_hi_u32 v5, s19, v2
	v_sub_u32_e32 v1, v1, v4
	v_add_u32_e32 v4, v2, v5
	v_mul_lo_u32 v3, v0, s5
	v_mul_lo_u32 v0, v0, s4
	;; [unrolled: 1-line block ×4, first 2 shown]
	v_lshrrev_b32_e32 v4, s20, v4
	v_add3_u32 v1, v0, v6, v1
	v_add3_u32 v3, v3, v14, v5
	v_mul_lo_u32 v0, v4, s18
	v_mul_hi_u32 v5, s22, v4
	v_sub_u32_e32 v0, v2, v0
	v_add_u32_e32 v2, v4, v5
	v_mul_lo_u32 v5, v0, s8
	v_mul_lo_u32 v6, v0, s9
	v_lshrrev_b32_e32 v0, s23, v2
	s_add_i32 s38, s38, 4
	v_mul_lo_u32 v2, v0, s21
	s_add_u32 s28, s28, 32
	v_sub_u32_e32 v2, v4, v2
	s_addc_u32 s29, s29, 0
	v_mul_lo_u32 v4, v2, s10
	v_mul_lo_u32 v2, v2, s11
	s_cmp_lg_u32 s36, s38
	v_add3_u32 v14, v6, v3, v2
	v_add3_u32 v6, v5, v1, v4
	s_cbranch_scc1 .LBB153_1095
; %bb.1096:
	v_mov_b32_e32 v1, v14
	s_and_b32 s8, s37, 3
	s_cmp_eq_u32 s8, 0
	s_cbranch_scc0 .LBB153_1100
	s_branch .LBB153_1102
.LBB153_1097:
                                        ; implicit-def: $vgpr14
                                        ; implicit-def: $vgpr6
	s_branch .LBB153_1103
.LBB153_1098:
	v_mov_b32_e32 v14, 0
	v_mov_b32_e32 v6, 0
	s_branch .LBB153_1102
.LBB153_1099:
	v_mov_b32_e32 v6, 0
                                        ; implicit-def: $vgpr14
	s_waitcnt vmcnt(0)
	v_mov_b32_e32 v1, v6
	v_mov_b32_e32 v0, v8
	s_and_b32 s8, s37, 3
	s_cmp_eq_u32 s8, 0
	s_cbranch_scc1 .LBB153_1102
.LBB153_1100:
	s_lshl_b32 s4, s36, 3
	s_add_u32 s4, s34, s4
	s_addc_u32 s5, s35, 0
	s_add_u32 s4, s4, 0xc4
	s_addc_u32 s5, s5, 0
	s_mul_i32 s6, s36, 12
	s_add_u32 s6, s34, s6
	s_addc_u32 s7, s35, 0
.LBB153_1101:                           ; =>This Inner Loop Header: Depth=1
	s_load_dwordx2 s[10:11], s[6:7], 0x4
	s_load_dword s9, s[6:7], 0xc
	s_load_dwordx2 s[12:13], s[4:5], 0x0
	v_mov_b32_e32 v2, v1
	s_add_u32 s6, s6, 12
	s_waitcnt lgkmcnt(0)
	v_mul_hi_u32 v1, s11, v0
	v_add_u32_e32 v1, v0, v1
	v_lshrrev_b32_e32 v1, s9, v1
	s_addc_u32 s7, s7, 0
	v_mul_lo_u32 v3, v1, s10
	s_add_u32 s4, s4, 8
	v_sub_u32_e32 v3, v0, v3
	s_addc_u32 s5, s5, 0
	s_add_i32 s8, s8, -1
	v_mad_u64_u32 v[14:15], s[10:11], v3, s13, v[2:3]
	s_cmp_lg_u32 s8, 0
	v_mov_b32_e32 v0, v1
	v_mad_u64_u32 v[6:7], s[10:11], v3, s12, v[6:7]
	v_mov_b32_e32 v1, v14
	s_cbranch_scc1 .LBB153_1101
.LBB153_1102:
	s_cbranch_execnz .LBB153_1105
.LBB153_1103:
	s_load_dwordx4 s[4:7], s[34:35], 0x4
	s_load_dwordx2 s[8:9], s[34:35], 0xc4
	s_cmp_lt_u32 s33, 2
	s_waitcnt lgkmcnt(0)
	v_mul_hi_u32 v0, s5, v8
	v_add_u32_e32 v0, v8, v0
	v_lshrrev_b32_e32 v0, s6, v0
	s_waitcnt vmcnt(0)
	v_mul_lo_u32 v1, v0, s4
	v_sub_u32_e32 v1, v8, v1
	v_mul_lo_u32 v14, v1, s9
	v_mul_lo_u32 v6, v1, s8
	s_cbranch_scc1 .LBB153_1105
; %bb.1104:
	s_load_dwordx4 s[4:7], s[34:35], 0x10
	s_load_dwordx2 s[8:9], s[34:35], 0xcc
	s_waitcnt lgkmcnt(0)
	v_mul_hi_u32 v1, s5, v0
	v_add_u32_e32 v1, v0, v1
	v_lshrrev_b32_e32 v1, s6, v1
	v_mul_lo_u32 v1, v1, s4
	v_sub_u32_e32 v0, v0, v1
	v_mad_u64_u32 v[6:7], s[4:5], v0, s8, v[6:7]
	v_mad_u64_u32 v[14:15], s[4:5], v0, s9, v[14:15]
.LBB153_1105:
	s_and_b64 vcc, exec, s[2:3]
	v_add_u32_e32 v0, 0x80, v8
	s_cbranch_vccnz .LBB153_1111
; %bb.1106:
	s_cmp_lg_u32 s33, 0
	s_mov_b32 s36, 0
	s_cbranch_scc0 .LBB153_1112
; %bb.1107:
	s_min_u32 s37, s72, 15
	s_add_i32 s37, s37, 1
	s_cmp_eq_u32 s72, 2
	s_cbranch_scc1 .LBB153_1113
; %bb.1108:
	s_and_b32 s36, s37, 28
	s_add_u32 s28, s34, 0xc4
	s_addc_u32 s29, s35, 0
	s_mov_b32 s38, 0
	v_mov_b32_e32 v4, 0
	v_mov_b32_e32 v12, 0
	s_mov_b64 s[30:31], s[34:35]
	v_mov_b32_e32 v2, v0
.LBB153_1109:                           ; =>This Inner Loop Header: Depth=1
	s_load_dwordx8 s[12:19], s[30:31], 0x4
	s_load_dwordx4 s[20:23], s[30:31], 0x24
	s_load_dwordx8 s[4:11], s[28:29], 0x0
	s_add_u32 s30, s30, 48
	s_addc_u32 s31, s31, 0
	s_waitcnt vmcnt(0) lgkmcnt(0)
	v_mul_hi_u32 v1, s13, v2
	v_add_u32_e32 v1, v2, v1
	v_lshrrev_b32_e32 v1, s14, v1
	v_mul_lo_u32 v3, v1, s12
	v_mul_hi_u32 v5, s16, v1
	v_sub_u32_e32 v2, v2, v3
	v_add_u32_e32 v3, v1, v5
	v_lshrrev_b32_e32 v3, s17, v3
	v_mul_lo_u32 v7, v3, s15
	v_mul_hi_u32 v9, s19, v3
	v_sub_u32_e32 v1, v1, v7
	v_add_u32_e32 v7, v3, v9
	v_mul_lo_u32 v5, v2, s5
	v_mul_lo_u32 v2, v2, s4
	;; [unrolled: 1-line block ×4, first 2 shown]
	v_lshrrev_b32_e32 v7, s20, v7
	v_add3_u32 v1, v2, v4, v1
	v_add3_u32 v4, v5, v12, v9
	v_mul_lo_u32 v2, v7, s18
	v_mul_hi_u32 v5, s22, v7
	v_sub_u32_e32 v2, v3, v2
	v_add_u32_e32 v3, v7, v5
	v_mul_lo_u32 v5, v2, s8
	v_mul_lo_u32 v9, v2, s9
	v_lshrrev_b32_e32 v2, s23, v3
	s_add_i32 s38, s38, 4
	v_mul_lo_u32 v3, v2, s21
	s_add_u32 s28, s28, 32
	v_sub_u32_e32 v3, v7, v3
	s_addc_u32 s29, s29, 0
	v_mul_lo_u32 v7, v3, s10
	v_mul_lo_u32 v3, v3, s11
	s_cmp_lg_u32 s36, s38
	v_add3_u32 v12, v9, v4, v3
	v_add3_u32 v4, v5, v1, v7
	s_cbranch_scc1 .LBB153_1109
; %bb.1110:
	v_mov_b32_e32 v1, v12
	s_and_b32 s8, s37, 3
	s_cmp_eq_u32 s8, 0
	s_cbranch_scc0 .LBB153_1114
	s_branch .LBB153_1116
.LBB153_1111:
                                        ; implicit-def: $vgpr12
                                        ; implicit-def: $vgpr4
	s_branch .LBB153_1117
.LBB153_1112:
	v_mov_b32_e32 v12, 0
	v_mov_b32_e32 v4, 0
	s_branch .LBB153_1116
.LBB153_1113:
	v_mov_b32_e32 v4, 0
                                        ; implicit-def: $vgpr12
	s_waitcnt vmcnt(0)
	v_mov_b32_e32 v1, v4
	v_mov_b32_e32 v2, v0
	s_and_b32 s8, s37, 3
	s_cmp_eq_u32 s8, 0
	s_cbranch_scc1 .LBB153_1116
.LBB153_1114:
	s_lshl_b32 s4, s36, 3
	s_add_u32 s4, s34, s4
	s_addc_u32 s5, s35, 0
	s_add_u32 s4, s4, 0xc4
	s_addc_u32 s5, s5, 0
	s_mul_i32 s6, s36, 12
	s_add_u32 s6, s34, s6
	s_addc_u32 s7, s35, 0
.LBB153_1115:                           ; =>This Inner Loop Header: Depth=1
	s_load_dwordx2 s[10:11], s[6:7], 0x4
	s_load_dword s9, s[6:7], 0xc
	s_load_dwordx2 s[12:13], s[4:5], 0x0
	v_mov_b32_e32 v10, v1
	s_add_u32 s6, s6, 12
	s_waitcnt lgkmcnt(0)
	v_mul_hi_u32 v1, s11, v2
	v_add_u32_e32 v1, v2, v1
	v_lshrrev_b32_e32 v1, s9, v1
	s_addc_u32 s7, s7, 0
	v_mul_lo_u32 v3, v1, s10
	s_add_u32 s4, s4, 8
	v_sub_u32_e32 v3, v2, v3
	s_addc_u32 s5, s5, 0
	s_add_i32 s8, s8, -1
	v_mad_u64_u32 v[12:13], s[10:11], v3, s13, v[10:11]
	s_cmp_lg_u32 s8, 0
	v_mov_b32_e32 v2, v1
	v_mad_u64_u32 v[4:5], s[10:11], v3, s12, v[4:5]
	v_mov_b32_e32 v1, v12
	s_cbranch_scc1 .LBB153_1115
.LBB153_1116:
	s_cbranch_execnz .LBB153_1119
.LBB153_1117:
	s_load_dwordx4 s[4:7], s[34:35], 0x4
	s_load_dwordx2 s[8:9], s[34:35], 0xc4
	s_cmp_lt_u32 s33, 2
	s_waitcnt vmcnt(0) lgkmcnt(0)
	v_mul_hi_u32 v1, s5, v0
	v_add_u32_e32 v1, v0, v1
	v_lshrrev_b32_e32 v1, s6, v1
	v_mul_lo_u32 v2, v1, s4
	v_sub_u32_e32 v0, v0, v2
	v_mul_lo_u32 v12, v0, s9
	v_mul_lo_u32 v4, v0, s8
	s_cbranch_scc1 .LBB153_1119
; %bb.1118:
	s_load_dwordx4 s[4:7], s[34:35], 0x10
	s_load_dwordx2 s[8:9], s[34:35], 0xcc
	s_waitcnt lgkmcnt(0)
	v_mul_hi_u32 v0, s5, v1
	v_add_u32_e32 v0, v1, v0
	v_lshrrev_b32_e32 v0, s6, v0
	v_mul_lo_u32 v0, v0, s4
	v_sub_u32_e32 v0, v1, v0
	v_mad_u64_u32 v[4:5], s[4:5], v0, s8, v[4:5]
	v_mad_u64_u32 v[12:13], s[4:5], v0, s9, v[12:13]
.LBB153_1119:
	s_and_b64 vcc, exec, s[2:3]
	v_add_u32_e32 v0, 0x100, v8
	s_cbranch_vccnz .LBB153_1125
; %bb.1120:
	s_cmp_lg_u32 s33, 0
	s_mov_b32 s36, 0
	s_cbranch_scc0 .LBB153_1126
; %bb.1121:
	s_min_u32 s37, s72, 15
	s_add_i32 s37, s37, 1
	s_cmp_eq_u32 s72, 2
	s_cbranch_scc1 .LBB153_1127
; %bb.1122:
	s_and_b32 s36, s37, 28
	s_add_u32 s28, s34, 0xc4
	s_addc_u32 s29, s35, 0
	s_mov_b32 s38, 0
	v_mov_b32_e32 v2, 0
	v_mov_b32_e32 v10, 0
	s_mov_b64 s[30:31], s[34:35]
	v_mov_b32_e32 v5, v0
.LBB153_1123:                           ; =>This Inner Loop Header: Depth=1
	s_load_dwordx8 s[12:19], s[30:31], 0x4
	s_load_dwordx4 s[20:23], s[30:31], 0x24
	s_load_dwordx8 s[4:11], s[28:29], 0x0
	s_add_u32 s30, s30, 48
	s_addc_u32 s31, s31, 0
	s_waitcnt vmcnt(0) lgkmcnt(0)
	v_mul_hi_u32 v1, s13, v5
	v_add_u32_e32 v1, v5, v1
	v_lshrrev_b32_e32 v1, s14, v1
	v_mul_lo_u32 v3, v1, s12
	v_mul_hi_u32 v7, s16, v1
	v_sub_u32_e32 v3, v5, v3
	v_add_u32_e32 v5, v1, v7
	v_lshrrev_b32_e32 v5, s17, v5
	v_mul_lo_u32 v8, v5, s15
	v_mul_hi_u32 v9, s19, v5
	v_sub_u32_e32 v1, v1, v8
	v_add_u32_e32 v8, v5, v9
	v_mul_lo_u32 v7, v3, s5
	v_mul_lo_u32 v3, v3, s4
	;; [unrolled: 1-line block ×4, first 2 shown]
	v_lshrrev_b32_e32 v8, s20, v8
	v_add3_u32 v1, v3, v2, v1
	v_add3_u32 v2, v7, v10, v9
	v_mul_lo_u32 v3, v8, s18
	v_mul_hi_u32 v7, s22, v8
	v_sub_u32_e32 v3, v5, v3
	v_add_u32_e32 v5, v8, v7
	v_lshrrev_b32_e32 v5, s23, v5
	s_add_i32 s38, s38, 4
	v_mul_lo_u32 v9, v5, s21
	s_add_u32 s28, s28, 32
	v_sub_u32_e32 v8, v8, v9
	s_addc_u32 s29, s29, 0
	v_mul_lo_u32 v7, v3, s8
	v_mul_lo_u32 v3, v3, s9
	;; [unrolled: 1-line block ×4, first 2 shown]
	s_cmp_lg_u32 s36, s38
	v_add3_u32 v10, v3, v2, v8
	v_add3_u32 v2, v7, v1, v9
	s_cbranch_scc1 .LBB153_1123
; %bb.1124:
	v_mov_b32_e32 v1, v10
	s_and_b32 s8, s37, 3
	s_cmp_eq_u32 s8, 0
	s_cbranch_scc0 .LBB153_1128
	s_branch .LBB153_1130
.LBB153_1125:
                                        ; implicit-def: $vgpr10
                                        ; implicit-def: $vgpr2
	s_branch .LBB153_1131
.LBB153_1126:
	v_mov_b32_e32 v10, 0
	v_mov_b32_e32 v2, 0
	s_branch .LBB153_1130
.LBB153_1127:
	v_mov_b32_e32 v2, 0
                                        ; implicit-def: $vgpr10
	s_waitcnt vmcnt(0)
	v_mov_b32_e32 v1, v2
	v_mov_b32_e32 v5, v0
	s_and_b32 s8, s37, 3
	s_cmp_eq_u32 s8, 0
	s_cbranch_scc1 .LBB153_1130
.LBB153_1128:
	s_lshl_b32 s4, s36, 3
	s_add_u32 s4, s34, s4
	s_addc_u32 s5, s35, 0
	s_add_u32 s4, s4, 0xc4
	s_addc_u32 s5, s5, 0
	s_mul_i32 s6, s36, 12
	s_add_u32 s6, s34, s6
	s_addc_u32 s7, s35, 0
.LBB153_1129:                           ; =>This Inner Loop Header: Depth=1
	s_load_dwordx2 s[10:11], s[6:7], 0x4
	s_load_dword s9, s[6:7], 0xc
	s_load_dwordx2 s[12:13], s[4:5], 0x0
	v_mov_b32_e32 v8, v1
	s_add_u32 s6, s6, 12
	s_waitcnt lgkmcnt(0)
	v_mul_hi_u32 v1, s11, v5
	v_add_u32_e32 v1, v5, v1
	v_lshrrev_b32_e32 v1, s9, v1
	s_addc_u32 s7, s7, 0
	v_mul_lo_u32 v3, v1, s10
	s_add_u32 s4, s4, 8
	v_sub_u32_e32 v3, v5, v3
	s_addc_u32 s5, s5, 0
	s_add_i32 s8, s8, -1
	v_mad_u64_u32 v[10:11], s[10:11], v3, s13, v[8:9]
	s_cmp_lg_u32 s8, 0
	v_mov_b32_e32 v5, v1
	v_mad_u64_u32 v[2:3], s[10:11], v3, s12, v[2:3]
	v_mov_b32_e32 v1, v10
	s_cbranch_scc1 .LBB153_1129
.LBB153_1130:
	s_cbranch_execnz .LBB153_1133
.LBB153_1131:
	s_load_dwordx4 s[4:7], s[34:35], 0x4
	s_load_dwordx2 s[8:9], s[34:35], 0xc4
	s_cmp_lt_u32 s33, 2
	s_waitcnt vmcnt(0) lgkmcnt(0)
	v_mul_hi_u32 v1, s5, v0
	v_add_u32_e32 v1, v0, v1
	v_lshrrev_b32_e32 v1, s6, v1
	v_mul_lo_u32 v2, v1, s4
	v_sub_u32_e32 v0, v0, v2
	v_mul_lo_u32 v10, v0, s9
	v_mul_lo_u32 v2, v0, s8
	s_cbranch_scc1 .LBB153_1133
; %bb.1132:
	s_load_dwordx4 s[4:7], s[34:35], 0x10
	s_load_dwordx2 s[8:9], s[34:35], 0xcc
	s_waitcnt lgkmcnt(0)
	v_mul_hi_u32 v0, s5, v1
	v_add_u32_e32 v0, v1, v0
	v_lshrrev_b32_e32 v0, s6, v0
	v_mul_lo_u32 v0, v0, s4
	v_sub_u32_e32 v0, v1, v0
	v_mad_u64_u32 v[2:3], s[4:5], v0, s8, v[2:3]
	v_mad_u64_u32 v[10:11], s[4:5], v0, s9, v[10:11]
.LBB153_1133:
	s_and_b64 vcc, exec, s[2:3]
	s_cbranch_vccnz .LBB153_1139
; %bb.1134:
	s_cmp_lg_u32 s33, 0
	s_mov_b32 s30, 0
	s_cbranch_scc0 .LBB153_1140
; %bb.1135:
	s_min_u32 s31, s72, 15
	s_add_i32 s31, s31, 1
	s_cmp_eq_u32 s72, 2
	s_cbranch_scc1 .LBB153_1141
; %bb.1136:
	s_and_b32 s30, s31, 28
	s_add_u32 s2, s34, 0xc4
	s_addc_u32 s3, s35, 0
	s_mov_b32 s36, 0
	v_mov_b32_e32 v0, 0
	v_mov_b32_e32 v8, 0
	s_mov_b64 s[28:29], s[34:35]
	v_mov_b32_e32 v3, v16
.LBB153_1137:                           ; =>This Inner Loop Header: Depth=1
	s_load_dwordx8 s[12:19], s[28:29], 0x4
	s_load_dwordx4 s[20:23], s[28:29], 0x24
	s_load_dwordx8 s[4:11], s[2:3], 0x0
	s_add_u32 s28, s28, 48
	s_addc_u32 s29, s29, 0
	s_waitcnt vmcnt(0) lgkmcnt(0)
	v_mul_hi_u32 v1, s13, v3
	v_add_u32_e32 v1, v3, v1
	v_lshrrev_b32_e32 v1, s14, v1
	v_mul_lo_u32 v5, v1, s12
	v_mul_hi_u32 v7, s16, v1
	v_sub_u32_e32 v3, v3, v5
	v_add_u32_e32 v5, v1, v7
	v_lshrrev_b32_e32 v5, s17, v5
	v_mul_lo_u32 v9, v5, s15
	v_mul_hi_u32 v11, s19, v5
	v_sub_u32_e32 v1, v1, v9
	v_add_u32_e32 v9, v5, v11
	v_mul_lo_u32 v7, v3, s5
	v_mul_lo_u32 v3, v3, s4
	;; [unrolled: 1-line block ×4, first 2 shown]
	v_lshrrev_b32_e32 v9, s20, v9
	v_add3_u32 v0, v3, v0, v1
	v_add3_u32 v1, v7, v8, v11
	v_mul_lo_u32 v3, v9, s18
	v_mul_hi_u32 v7, s22, v9
	v_sub_u32_e32 v3, v5, v3
	v_add_u32_e32 v5, v9, v7
	v_mul_lo_u32 v7, v3, s8
	v_mul_lo_u32 v8, v3, s9
	v_lshrrev_b32_e32 v3, s23, v5
	s_add_i32 s36, s36, 4
	v_mul_lo_u32 v5, v3, s21
	s_add_u32 s2, s2, 32
	v_sub_u32_e32 v5, v9, v5
	s_addc_u32 s3, s3, 0
	v_mul_lo_u32 v9, v5, s10
	v_mul_lo_u32 v5, v5, s11
	s_cmp_lg_u32 s30, s36
	v_add3_u32 v8, v8, v1, v5
	v_add3_u32 v0, v7, v0, v9
	s_cbranch_scc1 .LBB153_1137
; %bb.1138:
	v_mov_b32_e32 v1, v8
	s_and_b32 s6, s31, 3
	s_cmp_eq_u32 s6, 0
	s_cbranch_scc0 .LBB153_1142
	s_branch .LBB153_1144
.LBB153_1139:
                                        ; implicit-def: $vgpr8
                                        ; implicit-def: $vgpr0
	s_branch .LBB153_1145
.LBB153_1140:
	v_mov_b32_e32 v8, 0
	v_mov_b32_e32 v0, 0
	s_branch .LBB153_1144
.LBB153_1141:
	v_mov_b32_e32 v0, 0
                                        ; implicit-def: $vgpr8
	s_waitcnt vmcnt(0)
	v_mov_b32_e32 v1, v0
	v_mov_b32_e32 v3, v16
	s_and_b32 s6, s31, 3
	s_cmp_eq_u32 s6, 0
	s_cbranch_scc1 .LBB153_1144
.LBB153_1142:
	s_lshl_b32 s2, s30, 3
	s_add_u32 s2, s34, s2
	s_addc_u32 s3, s35, 0
	s_add_u32 s2, s2, 0xc4
	s_addc_u32 s3, s3, 0
	s_mul_i32 s4, s30, 12
	s_add_u32 s4, s34, s4
	s_addc_u32 s5, s35, 0
.LBB153_1143:                           ; =>This Inner Loop Header: Depth=1
	s_load_dwordx2 s[8:9], s[4:5], 0x4
	s_load_dword s7, s[4:5], 0xc
	s_load_dwordx2 s[10:11], s[2:3], 0x0
	v_mov_b32_e32 v8, v1
	s_add_u32 s4, s4, 12
	s_waitcnt lgkmcnt(0)
	v_mul_hi_u32 v1, s9, v3
	v_add_u32_e32 v1, v3, v1
	v_lshrrev_b32_e32 v1, s7, v1
	s_addc_u32 s5, s5, 0
	v_mul_lo_u32 v5, v1, s8
	s_add_u32 s2, s2, 8
	v_sub_u32_e32 v5, v3, v5
	s_addc_u32 s3, s3, 0
	s_add_i32 s6, s6, -1
	v_mov_b32_e32 v3, v1
	v_mad_u64_u32 v[8:9], s[8:9], v5, s11, v[8:9]
	v_mad_u64_u32 v[0:1], s[8:9], v5, s10, v[0:1]
	s_cmp_lg_u32 s6, 0
	v_mov_b32_e32 v1, v8
	s_cbranch_scc1 .LBB153_1143
.LBB153_1144:
	s_cbranch_execnz .LBB153_1147
.LBB153_1145:
	s_load_dwordx4 s[4:7], s[34:35], 0x4
	s_load_dwordx2 s[2:3], s[34:35], 0xc4
	s_cmp_lt_u32 s33, 2
	s_waitcnt lgkmcnt(0)
	v_mul_hi_u32 v0, s5, v16
	v_add_u32_e32 v0, v16, v0
	s_waitcnt vmcnt(0)
	v_lshrrev_b32_e32 v1, s6, v0
	v_mul_lo_u32 v0, v1, s4
	v_sub_u32_e32 v0, v16, v0
	v_mul_lo_u32 v8, v0, s3
	v_mul_lo_u32 v0, v0, s2
	s_cbranch_scc1 .LBB153_1147
; %bb.1146:
	s_load_dwordx4 s[4:7], s[34:35], 0x10
	s_load_dwordx2 s[2:3], s[34:35], 0xcc
	s_waitcnt lgkmcnt(0)
	v_mul_hi_u32 v3, s5, v1
	v_add_u32_e32 v3, v1, v3
	v_lshrrev_b32_e32 v3, s6, v3
	v_mul_lo_u32 v3, v3, s4
	v_sub_u32_e32 v3, v1, v3
	v_mad_u64_u32 v[0:1], s[4:5], v3, s2, v[0:1]
	v_mad_u64_u32 v[8:9], s[2:3], v3, s3, v[8:9]
.LBB153_1147:
	s_load_dword s16, s[0:1], 0x160
	s_load_dwordx4 s[4:7], s[34:35], 0x148
	v_mov_b32_e32 v15, 0
	s_waitcnt lgkmcnt(0)
	s_bfe_u32 s14, s16, 0x80010
	s_cmp_lt_i32 s14, 11
	v_lshl_add_u64 v[14:15], s[6:7], 0, v[14:15]
	s_cbranch_scc1 .LBB153_1154
; %bb.1148:
	s_and_b32 s15, 0xffff, s14
	s_cmp_gt_i32 s15, 25
	s_mov_b64 s[8:9], 0
	s_cbranch_scc0 .LBB153_1156
; %bb.1149:
	s_cmp_gt_i32 s15, 28
	s_cbranch_scc0 .LBB153_1157
; %bb.1150:
	s_cmp_gt_i32 s15, 43
	;; [unrolled: 3-line block ×3, first 2 shown]
	s_cbranch_scc0 .LBB153_1159
; %bb.1152:
	s_cmp_eq_u32 s15, 46
	s_mov_b64 s[2:3], 0
	s_cbranch_scc0 .LBB153_1162
; %bb.1153:
	global_load_dword v1, v[14:15], off
	s_mov_b64 s[0:1], 0
	s_mov_b64 s[10:11], -1
	s_branch .LBB153_1163
.LBB153_1154:
	s_mov_b64 s[10:11], 0
                                        ; implicit-def: $vgpr1
	s_mov_b64 s[2:3], s[24:25]
	s_cbranch_execnz .LBB153_1225
.LBB153_1155:
	s_andn2_b64 vcc, exec, s[10:11]
	s_cbranch_vccz .LBB153_1270
	s_branch .LBB153_2091
.LBB153_1156:
	s_mov_b64 s[10:11], 0
	s_mov_b64 s[0:1], 0
                                        ; implicit-def: $vgpr1
	s_cbranch_execnz .LBB153_1190
	s_branch .LBB153_1221
.LBB153_1157:
	s_mov_b64 s[10:11], 0
	s_mov_b64 s[0:1], 0
                                        ; implicit-def: $vgpr1
	s_cbranch_execz .LBB153_1189
	s_branch .LBB153_1172
.LBB153_1158:
	s_mov_b64 s[10:11], 0
	s_mov_b64 s[0:1], 0
                                        ; implicit-def: $vgpr1
	s_cbranch_execnz .LBB153_1168
	s_branch .LBB153_1171
.LBB153_1159:
	s_mov_b64 s[2:3], -1
	s_mov_b64 s[10:11], 0
	s_mov_b64 s[0:1], 0
                                        ; implicit-def: $vgpr1
	s_branch .LBB153_1163
.LBB153_1160:
	s_andn2_saveexec_b64 s[12:13], s[12:13]
	s_cbranch_execz .LBB153_1003
.LBB153_1161:
	s_mov_b32 s14, 0x46000000
	v_add_f32_e64 v1, |v5|, s14
	v_and_b32_e32 v1, 0xff, v1
	v_cmp_ne_u32_e32 vcc, 0, v1
	s_andn2_b64 s[10:11], s[10:11], exec
	s_and_b64 s[14:15], vcc, exec
	s_or_b64 s[10:11], s[10:11], s[14:15]
	s_or_b64 exec, exec, s[12:13]
	v_mov_b32_e32 v6, 0
	s_and_saveexec_b64 s[12:13], s[10:11]
	s_cbranch_execnz .LBB153_1004
	s_branch .LBB153_1005
.LBB153_1162:
	s_mov_b64 s[0:1], -1
                                        ; implicit-def: $vgpr1
	s_mov_b64 s[10:11], 0
.LBB153_1163:
	s_and_b64 vcc, exec, s[2:3]
	s_cbranch_vccz .LBB153_1166
; %bb.1164:
	s_cmp_eq_u32 s15, 44
	s_cbranch_scc0 .LBB153_1167
; %bb.1165:
	global_load_ubyte v1, v[14:15], off
	s_movk_i32 s2, 0xff
	v_mov_b32_e32 v3, 0x7f800001
	v_mov_b32_e32 v5, 0x400000
	;; [unrolled: 1-line block ×3, first 2 shown]
	s_mov_b64 s[0:1], 0
	s_mov_b64 s[10:11], -1
	s_waitcnt vmcnt(0)
	v_lshlrev_b32_e32 v9, 23, v1
	v_cmp_ne_u32_e32 vcc, s2, v1
	s_nop 1
	v_cndmask_b32_e32 v3, v3, v9, vcc
	v_cmp_ne_u32_e32 vcc, 0, v1
	s_nop 1
	v_cndmask_b32_e32 v1, v5, v3, vcc
	v_add_u32_e32 v3, 0x7fff, v1
	v_cmp_o_f32_e32 vcc, v1, v1
	s_nop 1
	v_cndmask_b32_sdwa v1, v7, v3, vcc dst_sel:DWORD dst_unused:UNUSED_PAD src0_sel:DWORD src1_sel:WORD_1
.LBB153_1166:
	s_branch .LBB153_1171
.LBB153_1167:
	s_mov_b64 s[0:1], -1
                                        ; implicit-def: $vgpr1
	s_branch .LBB153_1171
.LBB153_1168:
	s_cmp_eq_u32 s15, 29
	s_cbranch_scc0 .LBB153_1170
; %bb.1169:
	global_load_dwordx2 v[16:17], v[14:15], off
	s_movk_i32 s2, 0x7fff
	s_mov_b64 s[0:1], 0
	s_mov_b64 s[10:11], -1
	s_waitcnt vmcnt(0)
	v_ffbh_u32_e32 v1, v17
	v_min_u32_e32 v1, 32, v1
	v_lshlrev_b64 v[16:17], v1, v[16:17]
	v_min_u32_e32 v3, 1, v16
	v_or_b32_e32 v3, v17, v3
	v_cvt_f32_u32_e32 v3, v3
	v_sub_u32_e32 v1, 32, v1
	v_ldexp_f32 v1, v3, v1
	v_bfe_u32 v3, v1, 16, 1
	v_add3_u32 v1, v1, v3, s2
	v_lshrrev_b32_e32 v1, 16, v1
	s_branch .LBB153_1171
.LBB153_1170:
	s_mov_b64 s[0:1], -1
                                        ; implicit-def: $vgpr1
.LBB153_1171:
	s_branch .LBB153_1189
.LBB153_1172:
	s_cmp_lt_i32 s15, 27
	s_cbranch_scc1 .LBB153_1175
; %bb.1173:
	s_cmp_gt_i32 s15, 27
	s_cbranch_scc0 .LBB153_1176
; %bb.1174:
	global_load_dword v1, v[14:15], off
	s_movk_i32 s2, 0x7fff
	s_waitcnt vmcnt(0)
	v_cvt_f32_u32_e32 v1, v1
	v_bfe_u32 v3, v1, 16, 1
	v_add3_u32 v1, v1, v3, s2
	v_lshrrev_b32_e32 v1, 16, v1
	s_mov_b64 s[2:3], 0
	s_branch .LBB153_1177
.LBB153_1175:
	s_mov_b64 s[2:3], -1
                                        ; implicit-def: $vgpr1
	s_branch .LBB153_1180
.LBB153_1176:
	s_mov_b64 s[2:3], -1
                                        ; implicit-def: $vgpr1
.LBB153_1177:
	s_andn2_b64 vcc, exec, s[2:3]
	s_cbranch_vccnz .LBB153_1179
; %bb.1178:
	global_load_ushort v1, v[14:15], off
	s_movk_i32 s2, 0x7fff
	s_waitcnt vmcnt(0)
	v_cvt_f32_u32_e32 v1, v1
	v_bfe_u32 v3, v1, 16, 1
	v_add3_u32 v1, v1, v3, s2
	v_lshrrev_b32_e32 v1, 16, v1
.LBB153_1179:
	s_mov_b64 s[2:3], 0
.LBB153_1180:
	s_andn2_b64 vcc, exec, s[2:3]
	s_cbranch_vccnz .LBB153_1188
; %bb.1181:
	global_load_ubyte v1, v[14:15], off
	s_movk_i32 s2, 0x7f
	s_waitcnt vmcnt(0)
	v_cmp_lt_i16_e32 vcc, s2, v1
	s_mov_b64 s[2:3], 0
	s_and_saveexec_b64 s[10:11], vcc
	s_xor_b64 s[10:11], exec, s[10:11]
	s_cbranch_execz .LBB153_1201
; %bb.1182:
	s_movk_i32 s2, 0x80
	v_cmp_eq_u16_e32 vcc, s2, v1
	s_mov_b64 s[2:3], -1
	s_and_saveexec_b64 s[12:13], vcc
; %bb.1183:
	s_xor_b64 s[2:3], exec, -1
; %bb.1184:
	s_or_b64 exec, exec, s[12:13]
	s_and_b64 s[2:3], s[2:3], exec
	s_or_saveexec_b64 s[10:11], s[10:11]
	v_mov_b32_e32 v3, 0x7f800001
	s_xor_b64 exec, exec, s[10:11]
	s_cbranch_execnz .LBB153_1202
.LBB153_1185:
	s_or_b64 exec, exec, s[10:11]
	s_and_saveexec_b64 s[10:11], s[2:3]
	s_cbranch_execz .LBB153_1187
.LBB153_1186:
	v_lshlrev_b32_e32 v3, 24, v1
	v_and_b32_e32 v1, 0xffff, v1
	v_and_b32_e32 v5, 7, v1
	v_ffbh_u32_e32 v9, v5
	v_min_u32_e32 v9, 32, v9
	v_subrev_u32_e32 v11, 28, v9
	v_bfe_u32 v7, v1, 3, 4
	v_lshlrev_b32_e32 v1, v11, v1
	v_sub_u32_e32 v9, 29, v9
	v_and_b32_e32 v1, 7, v1
	v_cmp_eq_u32_e32 vcc, 0, v7
	v_and_b32_e32 v3, 0x80000000, v3
	s_nop 0
	v_cndmask_b32_e32 v7, v7, v9, vcc
	v_cndmask_b32_e32 v1, v5, v1, vcc
	v_mov_b32_e32 v5, 0x3b800000
	v_lshlrev_b32_e32 v1, 20, v1
	v_lshl_add_u32 v5, v7, 23, v5
	v_or3_b32 v3, v3, v5, v1
.LBB153_1187:
	s_or_b64 exec, exec, s[10:11]
	v_bfe_u32 v1, v3, 16, 1
	s_movk_i32 s2, 0x7fff
	v_add3_u32 v1, v3, v1, s2
	v_cmp_o_f32_e32 vcc, v3, v3
	v_mov_b32_e32 v3, 0x7fc0
	s_nop 0
	v_cndmask_b32_sdwa v1, v3, v1, vcc dst_sel:DWORD dst_unused:UNUSED_PAD src0_sel:DWORD src1_sel:WORD_1
.LBB153_1188:
	s_mov_b64 s[10:11], -1
.LBB153_1189:
	s_branch .LBB153_1221
.LBB153_1190:
	s_cmp_gt_i32 s15, 22
	s_cbranch_scc0 .LBB153_1200
; %bb.1191:
	s_cmp_lt_i32 s15, 24
	s_cbranch_scc1 .LBB153_1203
; %bb.1192:
	s_cmp_gt_i32 s15, 24
	s_cbranch_scc0 .LBB153_1204
; %bb.1193:
	global_load_ubyte v1, v[14:15], off
	s_movk_i32 s2, 0x7f
	s_waitcnt vmcnt(0)
	v_cmp_lt_i16_e32 vcc, s2, v1
	s_mov_b64 s[2:3], 0
	s_and_saveexec_b64 s[8:9], vcc
	s_xor_b64 s[8:9], exec, s[8:9]
	s_cbranch_execz .LBB153_1215
; %bb.1194:
	s_movk_i32 s2, 0x80
	v_cmp_eq_u16_e32 vcc, s2, v1
	s_mov_b64 s[2:3], -1
	s_and_saveexec_b64 s[10:11], vcc
; %bb.1195:
	s_xor_b64 s[2:3], exec, -1
; %bb.1196:
	s_or_b64 exec, exec, s[10:11]
	s_and_b64 s[2:3], s[2:3], exec
	s_or_saveexec_b64 s[8:9], s[8:9]
	v_mov_b32_e32 v3, 0x7f800001
	s_xor_b64 exec, exec, s[8:9]
	s_cbranch_execnz .LBB153_1216
.LBB153_1197:
	s_or_b64 exec, exec, s[8:9]
	s_and_saveexec_b64 s[8:9], s[2:3]
	s_cbranch_execz .LBB153_1199
.LBB153_1198:
	v_lshlrev_b32_e32 v3, 24, v1
	v_and_b32_e32 v1, 0xffff, v1
	v_and_b32_e32 v5, 3, v1
	v_ffbh_u32_e32 v9, v5
	v_min_u32_e32 v9, 32, v9
	v_subrev_u32_e32 v11, 29, v9
	v_bfe_u32 v7, v1, 2, 5
	v_lshlrev_b32_e32 v1, v11, v1
	v_sub_u32_e32 v9, 30, v9
	v_and_b32_e32 v1, 3, v1
	v_cmp_eq_u32_e32 vcc, 0, v7
	v_and_b32_e32 v3, 0x80000000, v3
	s_nop 0
	v_cndmask_b32_e32 v7, v7, v9, vcc
	v_cndmask_b32_e32 v1, v5, v1, vcc
	v_mov_b32_e32 v5, 0x37800000
	v_lshlrev_b32_e32 v1, 21, v1
	v_lshl_add_u32 v5, v7, 23, v5
	v_or3_b32 v3, v3, v5, v1
.LBB153_1199:
	s_or_b64 exec, exec, s[8:9]
	v_bfe_u32 v1, v3, 16, 1
	s_movk_i32 s2, 0x7fff
	v_add3_u32 v1, v3, v1, s2
	v_cmp_o_f32_e32 vcc, v3, v3
	v_mov_b32_e32 v3, 0x7fc0
	s_mov_b64 s[2:3], 0
	v_cndmask_b32_sdwa v1, v3, v1, vcc dst_sel:DWORD dst_unused:UNUSED_PAD src0_sel:DWORD src1_sel:WORD_1
	s_branch .LBB153_1205
.LBB153_1200:
                                        ; implicit-def: $vgpr1
	s_mov_b64 s[8:9], 0
	s_branch .LBB153_1211
.LBB153_1201:
	s_or_saveexec_b64 s[10:11], s[10:11]
	v_mov_b32_e32 v3, 0x7f800001
	s_xor_b64 exec, exec, s[10:11]
	s_cbranch_execz .LBB153_1185
.LBB153_1202:
	v_cmp_ne_u16_e32 vcc, 0, v1
	s_andn2_b64 s[2:3], s[2:3], exec
	s_and_b64 s[12:13], vcc, exec
	v_mov_b32_e32 v3, 0
	s_or_b64 s[2:3], s[2:3], s[12:13]
	s_or_b64 exec, exec, s[10:11]
	s_and_saveexec_b64 s[10:11], s[2:3]
	s_cbranch_execnz .LBB153_1186
	s_branch .LBB153_1187
.LBB153_1203:
	s_mov_b64 s[2:3], -1
                                        ; implicit-def: $vgpr1
	s_branch .LBB153_1208
.LBB153_1204:
	s_mov_b64 s[2:3], -1
                                        ; implicit-def: $vgpr1
.LBB153_1205:
	s_and_b64 vcc, exec, s[2:3]
	s_cbranch_vccz .LBB153_1207
; %bb.1206:
	global_load_ubyte v1, v[14:15], off
	s_mov_b32 s2, 0x7f800000
	s_brev_b32 s3, 1
	s_movk_i32 s8, 0x7fff
	s_waitcnt vmcnt(0)
	v_lshlrev_b32_e32 v1, 24, v1
	v_and_b32_e32 v3, 0x7f000000, v1
	v_ffbh_u32_e32 v5, v3
	v_min_u32_e32 v5, 32, v5
	v_sub_u32_e64 v5, v5, 4 clamp
	v_lshlrev_b32_e32 v9, v5, v3
	v_lshlrev_b32_e32 v5, 23, v5
	v_lshrrev_b32_e32 v9, 4, v9
	v_add_u32_e32 v7, 0x1000000, v3
	v_sub_u32_e32 v5, v9, v5
	v_ashrrev_i32_e32 v7, 8, v7
	v_add_u32_e32 v5, 0x3c000000, v5
	v_and_or_b32 v5, v7, s2, v5
	v_cmp_ne_u32_e32 vcc, 0, v3
	s_nop 1
	v_cndmask_b32_e32 v3, 0, v5, vcc
	v_and_or_b32 v1, v1, s3, v3
	v_bfe_u32 v3, v3, 16, 1
	v_add3_u32 v3, v1, v3, s8
	v_cmp_o_f32_e32 vcc, v1, v1
	v_mov_b32_e32 v1, 0x7fc0
	s_nop 0
	v_cndmask_b32_sdwa v1, v1, v3, vcc dst_sel:DWORD dst_unused:UNUSED_PAD src0_sel:DWORD src1_sel:WORD_1
.LBB153_1207:
	s_mov_b64 s[2:3], 0
.LBB153_1208:
	s_andn2_b64 vcc, exec, s[2:3]
	s_cbranch_vccnz .LBB153_1210
; %bb.1209:
	global_load_ubyte v1, v[14:15], off
	s_movk_i32 s2, 0x7f00
	s_brev_b32 s3, 16
	s_brev_b32 s8, 1
	s_movk_i32 s9, 0x7fff
	s_waitcnt vmcnt(0)
	v_lshlrev_b16_e32 v3, 8, v1
	v_lshlrev_b32_e32 v1, 25, v1
	v_lshrrev_b32_e32 v5, 4, v1
	v_and_or_b32 v7, v3, s2, 0.5
	v_or_b32_e32 v5, 0x70000000, v5
	v_add_f32_e32 v7, -0.5, v7
	v_mul_f32_e32 v5, 0x7800000, v5
	v_cmp_gt_u32_e32 vcc, s3, v1
	v_bfe_i32 v3, v3, 0, 16
	s_nop 0
	v_cndmask_b32_e32 v1, v5, v7, vcc
	v_and_or_b32 v3, v3, s8, v1
	v_bfe_u32 v1, v1, 16, 1
	v_add3_u32 v1, v3, v1, s9
	v_cmp_o_f32_e32 vcc, v3, v3
	v_mov_b32_e32 v3, 0x7fc0
	s_nop 0
	v_cndmask_b32_sdwa v1, v3, v1, vcc dst_sel:DWORD dst_unused:UNUSED_PAD src0_sel:DWORD src1_sel:WORD_1
.LBB153_1210:
	s_mov_b64 s[10:11], -1
	s_mov_b64 s[8:9], 0
	s_cbranch_execnz .LBB153_1221
.LBB153_1211:
	s_cmp_gt_i32 s15, 14
	s_cbranch_scc0 .LBB153_1214
; %bb.1212:
	s_cmp_eq_u32 s15, 15
	s_cbranch_scc0 .LBB153_1217
; %bb.1213:
	global_load_ushort v1, v[14:15], off
	s_mov_b64 s[0:1], 0
	s_mov_b64 s[10:11], -1
	s_branch .LBB153_1218
.LBB153_1214:
	s_mov_b64 s[2:3], -1
                                        ; implicit-def: $vgpr1
	s_branch .LBB153_1219
.LBB153_1215:
	s_or_saveexec_b64 s[8:9], s[8:9]
	v_mov_b32_e32 v3, 0x7f800001
	s_xor_b64 exec, exec, s[8:9]
	s_cbranch_execz .LBB153_1197
.LBB153_1216:
	v_cmp_ne_u16_e32 vcc, 0, v1
	s_andn2_b64 s[2:3], s[2:3], exec
	s_and_b64 s[10:11], vcc, exec
	v_mov_b32_e32 v3, 0
	s_or_b64 s[2:3], s[2:3], s[10:11]
	s_or_b64 exec, exec, s[8:9]
	s_and_saveexec_b64 s[8:9], s[2:3]
	s_cbranch_execnz .LBB153_1198
	s_branch .LBB153_1199
.LBB153_1217:
	s_mov_b64 s[0:1], -1
                                        ; implicit-def: $vgpr1
.LBB153_1218:
	s_mov_b64 s[2:3], 0
.LBB153_1219:
	s_and_b64 vcc, exec, s[2:3]
	s_cbranch_vccz .LBB153_1221
; %bb.1220:
	s_cmp_lg_u32 s15, 11
	s_mov_b64 s[8:9], -1
	s_cselect_b64 s[0:1], -1, 0
.LBB153_1221:
	s_and_b64 vcc, exec, s[0:1]
	s_mov_b64 s[2:3], s[24:25]
	s_cbranch_vccnz .LBB153_1282
; %bb.1222:
	s_andn2_b64 vcc, exec, s[8:9]
	s_cbranch_vccnz .LBB153_1224
.LBB153_1223:
	global_load_ubyte v1, v[14:15], off
	s_mov_b64 s[10:11], -1
	s_waitcnt vmcnt(0)
	v_cmp_ne_u16_e32 vcc, 0, v1
	s_nop 1
	v_cndmask_b32_e64 v1, 0, 1.0, vcc
	v_lshrrev_b32_e32 v1, 16, v1
.LBB153_1224:
	s_branch .LBB153_1155
.LBB153_1225:
	s_and_b32 s8, 0xffff, s14
	s_cmp_lt_i32 s8, 5
	s_cbranch_scc1 .LBB153_1230
; %bb.1226:
	s_cmp_lt_i32 s8, 8
	s_cbranch_scc1 .LBB153_1231
; %bb.1227:
	;; [unrolled: 3-line block ×3, first 2 shown]
	s_cmp_gt_i32 s8, 9
	s_cbranch_scc0 .LBB153_1233
; %bb.1229:
	global_load_dwordx2 v[16:17], v[14:15], off
	s_movk_i32 s0, 0x7fff
	s_waitcnt vmcnt(1)
	v_mov_b32_e32 v1, 0x7fc0
	s_waitcnt vmcnt(0)
	v_cvt_f32_f64_e32 v3, v[16:17]
	v_bfe_u32 v5, v3, 16, 1
	v_cmp_o_f32_e32 vcc, v3, v3
	v_add3_u32 v3, v3, v5, s0
	s_mov_b64 s[0:1], 0
	v_cndmask_b32_sdwa v1, v1, v3, vcc dst_sel:DWORD dst_unused:UNUSED_PAD src0_sel:DWORD src1_sel:WORD_1
	s_branch .LBB153_1234
.LBB153_1230:
                                        ; implicit-def: $vgpr1
	s_branch .LBB153_1251
.LBB153_1231:
                                        ; implicit-def: $vgpr1
	s_branch .LBB153_1240
.LBB153_1232:
	s_mov_b64 s[0:1], -1
                                        ; implicit-def: $vgpr1
	s_branch .LBB153_1237
.LBB153_1233:
	s_mov_b64 s[0:1], -1
                                        ; implicit-def: $vgpr1
.LBB153_1234:
	s_andn2_b64 vcc, exec, s[0:1]
	s_cbranch_vccnz .LBB153_1236
; %bb.1235:
	global_load_dword v1, v[14:15], off
	s_movk_i32 s0, 0x7fff
	v_mov_b32_e32 v3, 0x7fc0
	s_waitcnt vmcnt(0)
	v_bfe_u32 v5, v1, 16, 1
	v_cmp_o_f32_e32 vcc, v1, v1
	v_add3_u32 v1, v1, v5, s0
	s_nop 0
	v_cndmask_b32_sdwa v1, v3, v1, vcc dst_sel:DWORD dst_unused:UNUSED_PAD src0_sel:DWORD src1_sel:WORD_1
.LBB153_1236:
	s_mov_b64 s[0:1], 0
.LBB153_1237:
	s_andn2_b64 vcc, exec, s[0:1]
	s_cbranch_vccnz .LBB153_1239
; %bb.1238:
	global_load_dword v1, v[14:15], off
	s_movk_i32 s0, 0x7fff
	v_mov_b32_e32 v5, 0x7fc0
	s_waitcnt vmcnt(0)
	v_cvt_f32_f16_e32 v3, v1
	v_cmp_o_f16_e32 vcc, v1, v1
	v_bfe_u32 v1, v3, 16, 1
	v_add3_u32 v1, v3, v1, s0
	v_cndmask_b32_sdwa v1, v5, v1, vcc dst_sel:DWORD dst_unused:UNUSED_PAD src0_sel:DWORD src1_sel:WORD_1
.LBB153_1239:
	s_cbranch_execnz .LBB153_1250
.LBB153_1240:
	s_cmp_lt_i32 s8, 6
	s_cbranch_scc1 .LBB153_1243
; %bb.1241:
	s_cmp_gt_i32 s8, 6
	s_cbranch_scc0 .LBB153_1244
; %bb.1242:
	global_load_dwordx2 v[16:17], v[14:15], off
	s_movk_i32 s0, 0x7fff
	s_waitcnt vmcnt(1)
	v_mov_b32_e32 v1, 0x7fc0
	s_waitcnt vmcnt(0)
	v_cvt_f32_f64_e32 v3, v[16:17]
	v_bfe_u32 v5, v3, 16, 1
	v_cmp_o_f32_e32 vcc, v3, v3
	v_add3_u32 v3, v3, v5, s0
	s_mov_b64 s[0:1], 0
	v_cndmask_b32_sdwa v1, v1, v3, vcc dst_sel:DWORD dst_unused:UNUSED_PAD src0_sel:DWORD src1_sel:WORD_1
	s_branch .LBB153_1245
.LBB153_1243:
	s_mov_b64 s[0:1], -1
                                        ; implicit-def: $vgpr1
	s_branch .LBB153_1248
.LBB153_1244:
	s_mov_b64 s[0:1], -1
                                        ; implicit-def: $vgpr1
.LBB153_1245:
	s_andn2_b64 vcc, exec, s[0:1]
	s_cbranch_vccnz .LBB153_1247
; %bb.1246:
	global_load_dword v1, v[14:15], off
	s_movk_i32 s0, 0x7fff
	v_mov_b32_e32 v3, 0x7fc0
	s_waitcnt vmcnt(0)
	v_bfe_u32 v5, v1, 16, 1
	v_cmp_o_f32_e32 vcc, v1, v1
	v_add3_u32 v1, v1, v5, s0
	s_nop 0
	v_cndmask_b32_sdwa v1, v3, v1, vcc dst_sel:DWORD dst_unused:UNUSED_PAD src0_sel:DWORD src1_sel:WORD_1
.LBB153_1247:
	s_mov_b64 s[0:1], 0
.LBB153_1248:
	s_andn2_b64 vcc, exec, s[0:1]
	s_cbranch_vccnz .LBB153_1250
; %bb.1249:
	global_load_ushort v1, v[14:15], off
	s_movk_i32 s0, 0x7fff
	v_mov_b32_e32 v5, 0x7fc0
	s_waitcnt vmcnt(0)
	v_cvt_f32_f16_e32 v3, v1
	v_cmp_o_f16_e32 vcc, v1, v1
	v_bfe_u32 v1, v3, 16, 1
	v_add3_u32 v1, v3, v1, s0
	v_cndmask_b32_sdwa v1, v5, v1, vcc dst_sel:DWORD dst_unused:UNUSED_PAD src0_sel:DWORD src1_sel:WORD_1
.LBB153_1250:
	s_cbranch_execnz .LBB153_1269
.LBB153_1251:
	s_cmp_lt_i32 s8, 2
	s_cbranch_scc1 .LBB153_1255
; %bb.1252:
	s_cmp_lt_i32 s8, 3
	s_cbranch_scc1 .LBB153_1256
; %bb.1253:
	s_cmp_gt_i32 s8, 3
	s_cbranch_scc0 .LBB153_1257
; %bb.1254:
	global_load_dwordx2 v[16:17], v[14:15], off
	s_movk_i32 s0, 0x7fff
	s_waitcnt vmcnt(0)
	v_xor_b32_e32 v3, v16, v17
	v_ffbh_i32_e32 v1, v17
	v_ashrrev_i32_e32 v3, 31, v3
	v_add_u32_e32 v1, -1, v1
	v_add_u32_e32 v3, 32, v3
	v_min_u32_e32 v1, v1, v3
	v_lshlrev_b64 v[16:17], v1, v[16:17]
	v_min_u32_e32 v3, 1, v16
	v_or_b32_e32 v3, v17, v3
	v_cvt_f32_i32_e32 v3, v3
	v_sub_u32_e32 v1, 32, v1
	v_ldexp_f32 v1, v3, v1
	v_bfe_u32 v3, v1, 16, 1
	v_add3_u32 v1, v1, v3, s0
	v_lshrrev_b32_e32 v1, 16, v1
	s_mov_b64 s[0:1], 0
	s_branch .LBB153_1258
.LBB153_1255:
                                        ; implicit-def: $vgpr1
	s_branch .LBB153_1264
.LBB153_1256:
	s_mov_b64 s[0:1], -1
                                        ; implicit-def: $vgpr1
	s_branch .LBB153_1261
.LBB153_1257:
	s_mov_b64 s[0:1], -1
                                        ; implicit-def: $vgpr1
.LBB153_1258:
	s_andn2_b64 vcc, exec, s[0:1]
	s_cbranch_vccnz .LBB153_1260
; %bb.1259:
	global_load_dword v1, v[14:15], off
	s_movk_i32 s0, 0x7fff
	s_waitcnt vmcnt(0)
	v_cvt_f32_i32_e32 v1, v1
	v_bfe_u32 v3, v1, 16, 1
	v_add3_u32 v1, v1, v3, s0
	v_lshrrev_b32_e32 v1, 16, v1
.LBB153_1260:
	s_mov_b64 s[0:1], 0
.LBB153_1261:
	s_andn2_b64 vcc, exec, s[0:1]
	s_cbranch_vccnz .LBB153_1263
; %bb.1262:
	global_load_sshort v1, v[14:15], off
	s_movk_i32 s0, 0x7fff
	s_waitcnt vmcnt(0)
	v_cvt_f32_i32_e32 v1, v1
	v_bfe_u32 v3, v1, 16, 1
	v_add3_u32 v1, v1, v3, s0
	v_lshrrev_b32_e32 v1, 16, v1
.LBB153_1263:
	s_cbranch_execnz .LBB153_1269
.LBB153_1264:
	s_cmp_gt_i32 s8, 0
	s_cbranch_scc0 .LBB153_1266
; %bb.1265:
	global_load_sbyte v1, v[14:15], off
	s_movk_i32 s0, 0x7fff
	s_waitcnt vmcnt(0)
	v_cvt_f32_i32_e32 v1, v1
	v_bfe_u32 v3, v1, 16, 1
	v_add3_u32 v1, v1, v3, s0
	v_lshrrev_b32_e32 v1, 16, v1
	s_mov_b64 s[0:1], 0
	s_branch .LBB153_1267
.LBB153_1266:
	s_mov_b64 s[0:1], -1
                                        ; implicit-def: $vgpr1
.LBB153_1267:
	s_andn2_b64 vcc, exec, s[0:1]
	s_cbranch_vccnz .LBB153_1269
; %bb.1268:
	global_load_ubyte v1, v[14:15], off
	s_movk_i32 s0, 0x7fff
	s_waitcnt vmcnt(0)
	v_cvt_f32_ubyte0_e32 v1, v1
	v_bfe_u32 v3, v1, 16, 1
	v_add3_u32 v1, v1, v3, s0
	v_lshrrev_b32_e32 v1, 16, v1
.LBB153_1269:
.LBB153_1270:
	s_lshr_b32 s0, s16, 16
	v_mov_b32_e32 v13, 0
	s_and_b32 s17, s0, 0xff
	s_cmp_lt_i32 s17, 11
	v_lshl_add_u64 v[12:13], s[6:7], 0, v[12:13]
	s_cbranch_scc1 .LBB153_1277
; %bb.1271:
	s_and_b32 s18, 0xffff, s17
	s_cmp_gt_i32 s18, 25
	s_mov_b64 s[8:9], 0
	s_cbranch_scc0 .LBB153_1279
; %bb.1272:
	s_cmp_gt_i32 s18, 28
	s_cbranch_scc0 .LBB153_1280
; %bb.1273:
	s_cmp_gt_i32 s18, 43
	;; [unrolled: 3-line block ×3, first 2 shown]
	s_cbranch_scc0 .LBB153_1283
; %bb.1275:
	s_cmp_eq_u32 s18, 46
	s_mov_b64 s[12:13], 0
	s_cbranch_scc0 .LBB153_1286
; %bb.1276:
	global_load_dword v3, v[12:13], off
	s_mov_b64 s[0:1], 0
	s_mov_b64 s[10:11], -1
	s_branch .LBB153_1287
.LBB153_1277:
	s_mov_b64 s[10:11], 0
                                        ; implicit-def: $vgpr3
	s_cbranch_execnz .LBB153_1352
.LBB153_1278:
	s_andn2_b64 vcc, exec, s[10:11]
	s_cbranch_vccnz .LBB153_2091
	s_branch .LBB153_1399
.LBB153_1279:
	s_mov_b64 s[10:11], 0
	s_mov_b64 s[0:1], 0
                                        ; implicit-def: $vgpr3
	s_cbranch_execnz .LBB153_1316
	s_branch .LBB153_1348
.LBB153_1280:
	s_mov_b64 s[12:13], -1
	s_mov_b64 s[10:11], 0
	s_mov_b64 s[0:1], 0
                                        ; implicit-def: $vgpr3
	s_branch .LBB153_1297
.LBB153_1281:
	s_mov_b64 s[12:13], -1
	s_mov_b64 s[10:11], 0
	s_mov_b64 s[0:1], 0
                                        ; implicit-def: $vgpr3
	s_branch .LBB153_1292
.LBB153_1282:
	s_or_b64 s[2:3], s[24:25], exec
	s_trap 2
	s_cbranch_execz .LBB153_1223
	s_branch .LBB153_1224
.LBB153_1283:
	s_mov_b64 s[12:13], -1
	s_mov_b64 s[10:11], 0
	s_mov_b64 s[0:1], 0
                                        ; implicit-def: $vgpr3
	s_branch .LBB153_1287
.LBB153_1284:
	s_andn2_saveexec_b64 s[14:15], s[14:15]
	s_cbranch_execz .LBB153_1015
.LBB153_1285:
	s_mov_b32 s18, 0x42800000
	v_add_f32_e64 v1, |v5|, s18
	v_and_b32_e32 v1, 0xff, v1
	v_cmp_ne_u32_e32 vcc, 0, v1
	s_andn2_b64 s[12:13], s[12:13], exec
	s_and_b64 s[18:19], vcc, exec
	s_or_b64 s[12:13], s[12:13], s[18:19]
	s_or_b64 exec, exec, s[14:15]
	v_mov_b32_e32 v6, 0
	s_and_saveexec_b64 s[14:15], s[12:13]
	s_cbranch_execnz .LBB153_1016
	s_branch .LBB153_1017
.LBB153_1286:
	s_mov_b64 s[0:1], -1
                                        ; implicit-def: $vgpr3
	s_mov_b64 s[10:11], 0
.LBB153_1287:
	s_and_b64 vcc, exec, s[12:13]
	s_cbranch_vccz .LBB153_1291
; %bb.1288:
	s_cmp_eq_u32 s18, 44
	s_cbranch_scc0 .LBB153_1290
; %bb.1289:
	global_load_ubyte v3, v[12:13], off
	s_movk_i32 s10, 0xff
	v_mov_b32_e32 v5, 0x7f800001
	v_mov_b32_e32 v7, 0x400000
	;; [unrolled: 1-line block ×3, first 2 shown]
	s_mov_b64 s[0:1], 0
	s_waitcnt vmcnt(0)
	v_lshlrev_b32_e32 v11, 23, v3
	v_cmp_ne_u32_e32 vcc, s10, v3
	s_mov_b64 s[10:11], -1
	s_nop 0
	v_cndmask_b32_e32 v5, v5, v11, vcc
	v_cmp_ne_u32_e32 vcc, 0, v3
	s_nop 1
	v_cndmask_b32_e32 v3, v7, v5, vcc
	v_add_u32_e32 v5, 0x7fff, v3
	v_cmp_o_f32_e32 vcc, v3, v3
	s_nop 1
	v_cndmask_b32_sdwa v3, v9, v5, vcc dst_sel:DWORD dst_unused:UNUSED_PAD src0_sel:DWORD src1_sel:WORD_1
	s_branch .LBB153_1291
.LBB153_1290:
	s_mov_b64 s[0:1], -1
                                        ; implicit-def: $vgpr3
.LBB153_1291:
	s_mov_b64 s[12:13], 0
.LBB153_1292:
	s_and_b64 vcc, exec, s[12:13]
	s_cbranch_vccz .LBB153_1296
; %bb.1293:
	s_cmp_eq_u32 s18, 29
	s_cbranch_scc0 .LBB153_1295
; %bb.1294:
	global_load_dwordx2 v[14:15], v[12:13], off
	s_movk_i32 s10, 0x7fff
	s_mov_b64 s[0:1], 0
	s_mov_b64 s[12:13], 0
	s_waitcnt vmcnt(0)
	v_ffbh_u32_e32 v3, v15
	v_min_u32_e32 v3, 32, v3
	v_lshlrev_b64 v[14:15], v3, v[14:15]
	v_min_u32_e32 v5, 1, v14
	v_or_b32_e32 v5, v15, v5
	v_cvt_f32_u32_e32 v5, v5
	v_sub_u32_e32 v3, 32, v3
	v_ldexp_f32 v3, v5, v3
	v_bfe_u32 v5, v3, 16, 1
	v_add3_u32 v3, v3, v5, s10
	v_lshrrev_b32_e32 v3, 16, v3
	s_mov_b64 s[10:11], -1
	s_branch .LBB153_1297
.LBB153_1295:
	s_mov_b64 s[0:1], -1
                                        ; implicit-def: $vgpr3
.LBB153_1296:
	s_mov_b64 s[12:13], 0
.LBB153_1297:
	s_and_b64 vcc, exec, s[12:13]
	s_cbranch_vccz .LBB153_1315
; %bb.1298:
	s_cmp_lt_i32 s18, 27
	s_cbranch_scc1 .LBB153_1301
; %bb.1299:
	s_cmp_gt_i32 s18, 27
	s_cbranch_scc0 .LBB153_1302
; %bb.1300:
	global_load_dword v3, v[12:13], off
	s_movk_i32 s10, 0x7fff
	s_waitcnt vmcnt(0)
	v_cvt_f32_u32_e32 v3, v3
	v_bfe_u32 v5, v3, 16, 1
	v_add3_u32 v3, v3, v5, s10
	v_lshrrev_b32_e32 v3, 16, v3
	s_mov_b64 s[10:11], 0
	s_branch .LBB153_1303
.LBB153_1301:
	s_mov_b64 s[10:11], -1
                                        ; implicit-def: $vgpr3
	s_branch .LBB153_1306
.LBB153_1302:
	s_mov_b64 s[10:11], -1
                                        ; implicit-def: $vgpr3
.LBB153_1303:
	s_andn2_b64 vcc, exec, s[10:11]
	s_cbranch_vccnz .LBB153_1305
; %bb.1304:
	global_load_ushort v3, v[12:13], off
	s_movk_i32 s10, 0x7fff
	s_waitcnt vmcnt(0)
	v_cvt_f32_u32_e32 v3, v3
	v_bfe_u32 v5, v3, 16, 1
	v_add3_u32 v3, v3, v5, s10
	v_lshrrev_b32_e32 v3, 16, v3
.LBB153_1305:
	s_mov_b64 s[10:11], 0
.LBB153_1306:
	s_andn2_b64 vcc, exec, s[10:11]
	s_cbranch_vccnz .LBB153_1314
; %bb.1307:
	global_load_ubyte v3, v[12:13], off
	s_movk_i32 s10, 0x7f
	s_waitcnt vmcnt(0)
	v_cmp_lt_i16_e32 vcc, s10, v3
	s_mov_b64 s[10:11], 0
	s_and_saveexec_b64 s[12:13], vcc
	s_xor_b64 s[12:13], exec, s[12:13]
	s_cbranch_execz .LBB153_1327
; %bb.1308:
	s_movk_i32 s10, 0x80
	v_cmp_eq_u16_e32 vcc, s10, v3
	s_mov_b64 s[10:11], -1
	s_and_saveexec_b64 s[14:15], vcc
; %bb.1309:
	s_xor_b64 s[10:11], exec, -1
; %bb.1310:
	s_or_b64 exec, exec, s[14:15]
	s_and_b64 s[10:11], s[10:11], exec
	s_or_saveexec_b64 s[12:13], s[12:13]
	v_mov_b32_e32 v5, 0x7f800001
	s_xor_b64 exec, exec, s[12:13]
	s_cbranch_execnz .LBB153_1328
.LBB153_1311:
	s_or_b64 exec, exec, s[12:13]
	s_and_saveexec_b64 s[12:13], s[10:11]
	s_cbranch_execz .LBB153_1313
.LBB153_1312:
	v_lshlrev_b32_e32 v5, 24, v3
	v_and_b32_e32 v3, 0xffff, v3
	v_and_b32_e32 v7, 7, v3
	v_ffbh_u32_e32 v11, v7
	v_min_u32_e32 v11, 32, v11
	v_subrev_u32_e32 v14, 28, v11
	v_bfe_u32 v9, v3, 3, 4
	v_lshlrev_b32_e32 v3, v14, v3
	v_sub_u32_e32 v11, 29, v11
	v_and_b32_e32 v3, 7, v3
	v_cmp_eq_u32_e32 vcc, 0, v9
	v_and_b32_e32 v5, 0x80000000, v5
	s_nop 0
	v_cndmask_b32_e32 v9, v9, v11, vcc
	v_cndmask_b32_e32 v3, v7, v3, vcc
	v_mov_b32_e32 v7, 0x3b800000
	v_lshlrev_b32_e32 v3, 20, v3
	v_lshl_add_u32 v7, v9, 23, v7
	v_or3_b32 v5, v5, v7, v3
.LBB153_1313:
	s_or_b64 exec, exec, s[12:13]
	v_bfe_u32 v3, v5, 16, 1
	s_movk_i32 s10, 0x7fff
	v_add3_u32 v3, v5, v3, s10
	v_cmp_o_f32_e32 vcc, v5, v5
	v_mov_b32_e32 v5, 0x7fc0
	s_nop 0
	v_cndmask_b32_sdwa v3, v5, v3, vcc dst_sel:DWORD dst_unused:UNUSED_PAD src0_sel:DWORD src1_sel:WORD_1
.LBB153_1314:
	s_mov_b64 s[10:11], -1
.LBB153_1315:
	s_branch .LBB153_1348
.LBB153_1316:
	s_cmp_gt_i32 s18, 22
	s_cbranch_scc0 .LBB153_1326
; %bb.1317:
	s_cmp_lt_i32 s18, 24
	s_cbranch_scc1 .LBB153_1329
; %bb.1318:
	s_cmp_gt_i32 s18, 24
	s_cbranch_scc0 .LBB153_1330
; %bb.1319:
	global_load_ubyte v3, v[12:13], off
	s_movk_i32 s8, 0x7f
	s_waitcnt vmcnt(0)
	v_cmp_lt_i16_e32 vcc, s8, v3
	s_mov_b64 s[8:9], 0
	s_and_saveexec_b64 s[10:11], vcc
	s_xor_b64 s[10:11], exec, s[10:11]
	s_cbranch_execz .LBB153_1342
; %bb.1320:
	s_movk_i32 s8, 0x80
	v_cmp_eq_u16_e32 vcc, s8, v3
	s_mov_b64 s[8:9], -1
	s_and_saveexec_b64 s[12:13], vcc
; %bb.1321:
	s_xor_b64 s[8:9], exec, -1
; %bb.1322:
	s_or_b64 exec, exec, s[12:13]
	s_and_b64 s[8:9], s[8:9], exec
	s_or_saveexec_b64 s[10:11], s[10:11]
	v_mov_b32_e32 v5, 0x7f800001
	s_xor_b64 exec, exec, s[10:11]
	s_cbranch_execnz .LBB153_1343
.LBB153_1323:
	s_or_b64 exec, exec, s[10:11]
	s_and_saveexec_b64 s[10:11], s[8:9]
	s_cbranch_execz .LBB153_1325
.LBB153_1324:
	v_lshlrev_b32_e32 v5, 24, v3
	v_and_b32_e32 v3, 0xffff, v3
	v_and_b32_e32 v7, 3, v3
	v_ffbh_u32_e32 v11, v7
	v_min_u32_e32 v11, 32, v11
	v_subrev_u32_e32 v14, 29, v11
	v_bfe_u32 v9, v3, 2, 5
	v_lshlrev_b32_e32 v3, v14, v3
	v_sub_u32_e32 v11, 30, v11
	v_and_b32_e32 v3, 3, v3
	v_cmp_eq_u32_e32 vcc, 0, v9
	v_and_b32_e32 v5, 0x80000000, v5
	s_nop 0
	v_cndmask_b32_e32 v9, v9, v11, vcc
	v_cndmask_b32_e32 v3, v7, v3, vcc
	v_mov_b32_e32 v7, 0x37800000
	v_lshlrev_b32_e32 v3, 21, v3
	v_lshl_add_u32 v7, v9, 23, v7
	v_or3_b32 v5, v5, v7, v3
.LBB153_1325:
	s_or_b64 exec, exec, s[10:11]
	v_bfe_u32 v3, v5, 16, 1
	s_movk_i32 s8, 0x7fff
	v_add3_u32 v3, v5, v3, s8
	v_cmp_o_f32_e32 vcc, v5, v5
	v_mov_b32_e32 v5, 0x7fc0
	s_mov_b64 s[8:9], 0
	v_cndmask_b32_sdwa v3, v5, v3, vcc dst_sel:DWORD dst_unused:UNUSED_PAD src0_sel:DWORD src1_sel:WORD_1
	s_branch .LBB153_1331
.LBB153_1326:
	s_mov_b64 s[8:9], -1
                                        ; implicit-def: $vgpr3
	s_branch .LBB153_1337
.LBB153_1327:
	s_or_saveexec_b64 s[12:13], s[12:13]
	v_mov_b32_e32 v5, 0x7f800001
	s_xor_b64 exec, exec, s[12:13]
	s_cbranch_execz .LBB153_1311
.LBB153_1328:
	v_cmp_ne_u16_e32 vcc, 0, v3
	s_andn2_b64 s[10:11], s[10:11], exec
	s_and_b64 s[14:15], vcc, exec
	v_mov_b32_e32 v5, 0
	s_or_b64 s[10:11], s[10:11], s[14:15]
	s_or_b64 exec, exec, s[12:13]
	s_and_saveexec_b64 s[12:13], s[10:11]
	s_cbranch_execnz .LBB153_1312
	s_branch .LBB153_1313
.LBB153_1329:
	s_mov_b64 s[8:9], -1
                                        ; implicit-def: $vgpr3
	s_branch .LBB153_1334
.LBB153_1330:
	s_mov_b64 s[8:9], -1
                                        ; implicit-def: $vgpr3
.LBB153_1331:
	s_and_b64 vcc, exec, s[8:9]
	s_cbranch_vccz .LBB153_1333
; %bb.1332:
	global_load_ubyte v3, v[12:13], off
	s_mov_b32 s8, 0x7f800000
	s_brev_b32 s9, 1
	s_movk_i32 s10, 0x7fff
	s_waitcnt vmcnt(0)
	v_lshlrev_b32_e32 v3, 24, v3
	v_and_b32_e32 v5, 0x7f000000, v3
	v_ffbh_u32_e32 v7, v5
	v_min_u32_e32 v7, 32, v7
	v_sub_u32_e64 v7, v7, 4 clamp
	v_lshlrev_b32_e32 v11, v7, v5
	v_lshlrev_b32_e32 v7, 23, v7
	v_lshrrev_b32_e32 v11, 4, v11
	v_add_u32_e32 v9, 0x1000000, v5
	v_sub_u32_e32 v7, v11, v7
	v_ashrrev_i32_e32 v9, 8, v9
	v_add_u32_e32 v7, 0x3c000000, v7
	v_and_or_b32 v7, v9, s8, v7
	v_cmp_ne_u32_e32 vcc, 0, v5
	s_nop 1
	v_cndmask_b32_e32 v5, 0, v7, vcc
	v_and_or_b32 v3, v3, s9, v5
	v_bfe_u32 v5, v5, 16, 1
	v_add3_u32 v5, v3, v5, s10
	v_cmp_o_f32_e32 vcc, v3, v3
	v_mov_b32_e32 v3, 0x7fc0
	s_nop 0
	v_cndmask_b32_sdwa v3, v3, v5, vcc dst_sel:DWORD dst_unused:UNUSED_PAD src0_sel:DWORD src1_sel:WORD_1
.LBB153_1333:
	s_mov_b64 s[8:9], 0
.LBB153_1334:
	s_andn2_b64 vcc, exec, s[8:9]
	s_cbranch_vccnz .LBB153_1336
; %bb.1335:
	global_load_ubyte v3, v[12:13], off
	s_movk_i32 s8, 0x7f00
	s_brev_b32 s9, 16
	s_brev_b32 s10, 1
	s_movk_i32 s11, 0x7fff
	s_waitcnt vmcnt(0)
	v_lshlrev_b16_e32 v5, 8, v3
	v_lshlrev_b32_e32 v3, 25, v3
	v_lshrrev_b32_e32 v7, 4, v3
	v_and_or_b32 v9, v5, s8, 0.5
	v_or_b32_e32 v7, 0x70000000, v7
	v_add_f32_e32 v9, -0.5, v9
	v_mul_f32_e32 v7, 0x7800000, v7
	v_cmp_gt_u32_e32 vcc, s9, v3
	v_bfe_i32 v5, v5, 0, 16
	s_nop 0
	v_cndmask_b32_e32 v3, v7, v9, vcc
	v_and_or_b32 v5, v5, s10, v3
	v_bfe_u32 v3, v3, 16, 1
	v_add3_u32 v3, v5, v3, s11
	v_cmp_o_f32_e32 vcc, v5, v5
	v_mov_b32_e32 v5, 0x7fc0
	s_nop 0
	v_cndmask_b32_sdwa v3, v5, v3, vcc dst_sel:DWORD dst_unused:UNUSED_PAD src0_sel:DWORD src1_sel:WORD_1
.LBB153_1336:
	s_mov_b64 s[8:9], 0
	s_mov_b64 s[10:11], -1
.LBB153_1337:
	s_andn2_b64 vcc, exec, s[8:9]
	s_mov_b64 s[8:9], 0
	s_cbranch_vccnz .LBB153_1348
; %bb.1338:
	s_cmp_gt_i32 s18, 14
	s_cbranch_scc0 .LBB153_1341
; %bb.1339:
	s_cmp_eq_u32 s18, 15
	s_cbranch_scc0 .LBB153_1344
; %bb.1340:
	global_load_ushort v3, v[12:13], off
	s_mov_b64 s[0:1], 0
	s_mov_b64 s[10:11], -1
	s_branch .LBB153_1345
.LBB153_1341:
	s_mov_b64 s[12:13], -1
                                        ; implicit-def: $vgpr3
	s_branch .LBB153_1346
.LBB153_1342:
	s_or_saveexec_b64 s[10:11], s[10:11]
	v_mov_b32_e32 v5, 0x7f800001
	s_xor_b64 exec, exec, s[10:11]
	s_cbranch_execz .LBB153_1323
.LBB153_1343:
	v_cmp_ne_u16_e32 vcc, 0, v3
	s_andn2_b64 s[8:9], s[8:9], exec
	s_and_b64 s[12:13], vcc, exec
	v_mov_b32_e32 v5, 0
	s_or_b64 s[8:9], s[8:9], s[12:13]
	s_or_b64 exec, exec, s[10:11]
	s_and_saveexec_b64 s[10:11], s[8:9]
	s_cbranch_execnz .LBB153_1324
	s_branch .LBB153_1325
.LBB153_1344:
	s_mov_b64 s[0:1], -1
                                        ; implicit-def: $vgpr3
.LBB153_1345:
	s_mov_b64 s[12:13], 0
.LBB153_1346:
	s_and_b64 vcc, exec, s[12:13]
	s_cbranch_vccz .LBB153_1348
; %bb.1347:
	s_cmp_lg_u32 s18, 11
	s_mov_b64 s[8:9], -1
	s_cselect_b64 s[0:1], -1, 0
.LBB153_1348:
	s_and_b64 vcc, exec, s[0:1]
	s_cbranch_vccnz .LBB153_1411
; %bb.1349:
	s_andn2_b64 vcc, exec, s[8:9]
	s_cbranch_vccnz .LBB153_1351
.LBB153_1350:
	global_load_ubyte v3, v[12:13], off
	s_mov_b64 s[10:11], -1
	s_waitcnt vmcnt(0)
	v_cmp_ne_u16_e32 vcc, 0, v3
	s_nop 1
	v_cndmask_b32_e64 v3, 0, 1.0, vcc
	v_lshrrev_b32_e32 v3, 16, v3
.LBB153_1351:
	s_branch .LBB153_1278
.LBB153_1352:
	s_and_b32 s8, 0xffff, s17
	s_cmp_lt_i32 s8, 5
	s_cbranch_scc1 .LBB153_1357
; %bb.1353:
	s_cmp_lt_i32 s8, 8
	s_cbranch_scc1 .LBB153_1358
; %bb.1354:
	;; [unrolled: 3-line block ×3, first 2 shown]
	s_cmp_gt_i32 s8, 9
	s_cbranch_scc0 .LBB153_1360
; %bb.1356:
	global_load_dwordx2 v[14:15], v[12:13], off
	s_movk_i32 s0, 0x7fff
	s_waitcnt vmcnt(1)
	v_mov_b32_e32 v3, 0x7fc0
	s_waitcnt vmcnt(0)
	v_cvt_f32_f64_e32 v5, v[14:15]
	v_bfe_u32 v7, v5, 16, 1
	v_cmp_o_f32_e32 vcc, v5, v5
	v_add3_u32 v5, v5, v7, s0
	s_mov_b64 s[0:1], 0
	v_cndmask_b32_sdwa v3, v3, v5, vcc dst_sel:DWORD dst_unused:UNUSED_PAD src0_sel:DWORD src1_sel:WORD_1
	s_branch .LBB153_1361
.LBB153_1357:
                                        ; implicit-def: $vgpr3
	s_branch .LBB153_1379
.LBB153_1358:
	s_mov_b64 s[0:1], -1
                                        ; implicit-def: $vgpr3
	s_branch .LBB153_1367
.LBB153_1359:
	s_mov_b64 s[0:1], -1
                                        ; implicit-def: $vgpr3
	s_branch .LBB153_1364
.LBB153_1360:
	s_mov_b64 s[0:1], -1
                                        ; implicit-def: $vgpr3
.LBB153_1361:
	s_andn2_b64 vcc, exec, s[0:1]
	s_cbranch_vccnz .LBB153_1363
; %bb.1362:
	global_load_dword v3, v[12:13], off
	s_movk_i32 s0, 0x7fff
	v_mov_b32_e32 v5, 0x7fc0
	s_waitcnt vmcnt(0)
	v_bfe_u32 v7, v3, 16, 1
	v_cmp_o_f32_e32 vcc, v3, v3
	v_add3_u32 v3, v3, v7, s0
	s_nop 0
	v_cndmask_b32_sdwa v3, v5, v3, vcc dst_sel:DWORD dst_unused:UNUSED_PAD src0_sel:DWORD src1_sel:WORD_1
.LBB153_1363:
	s_mov_b64 s[0:1], 0
.LBB153_1364:
	s_andn2_b64 vcc, exec, s[0:1]
	s_cbranch_vccnz .LBB153_1366
; %bb.1365:
	global_load_dword v3, v[12:13], off
	s_movk_i32 s0, 0x7fff
	v_mov_b32_e32 v7, 0x7fc0
	s_waitcnt vmcnt(0)
	v_cvt_f32_f16_e32 v5, v3
	v_cmp_o_f16_e32 vcc, v3, v3
	v_bfe_u32 v3, v5, 16, 1
	v_add3_u32 v3, v5, v3, s0
	v_cndmask_b32_sdwa v3, v7, v3, vcc dst_sel:DWORD dst_unused:UNUSED_PAD src0_sel:DWORD src1_sel:WORD_1
.LBB153_1366:
	s_mov_b64 s[0:1], 0
.LBB153_1367:
	s_andn2_b64 vcc, exec, s[0:1]
	s_cbranch_vccnz .LBB153_1378
; %bb.1368:
	s_cmp_lt_i32 s8, 6
	s_cbranch_scc1 .LBB153_1371
; %bb.1369:
	s_cmp_gt_i32 s8, 6
	s_cbranch_scc0 .LBB153_1372
; %bb.1370:
	global_load_dwordx2 v[14:15], v[12:13], off
	s_movk_i32 s0, 0x7fff
	s_waitcnt vmcnt(1)
	v_mov_b32_e32 v3, 0x7fc0
	s_waitcnt vmcnt(0)
	v_cvt_f32_f64_e32 v5, v[14:15]
	v_bfe_u32 v7, v5, 16, 1
	v_cmp_o_f32_e32 vcc, v5, v5
	v_add3_u32 v5, v5, v7, s0
	s_mov_b64 s[0:1], 0
	v_cndmask_b32_sdwa v3, v3, v5, vcc dst_sel:DWORD dst_unused:UNUSED_PAD src0_sel:DWORD src1_sel:WORD_1
	s_branch .LBB153_1373
.LBB153_1371:
	s_mov_b64 s[0:1], -1
                                        ; implicit-def: $vgpr3
	s_branch .LBB153_1376
.LBB153_1372:
	s_mov_b64 s[0:1], -1
                                        ; implicit-def: $vgpr3
.LBB153_1373:
	s_andn2_b64 vcc, exec, s[0:1]
	s_cbranch_vccnz .LBB153_1375
; %bb.1374:
	global_load_dword v3, v[12:13], off
	s_movk_i32 s0, 0x7fff
	v_mov_b32_e32 v5, 0x7fc0
	s_waitcnt vmcnt(0)
	v_bfe_u32 v7, v3, 16, 1
	v_cmp_o_f32_e32 vcc, v3, v3
	v_add3_u32 v3, v3, v7, s0
	s_nop 0
	v_cndmask_b32_sdwa v3, v5, v3, vcc dst_sel:DWORD dst_unused:UNUSED_PAD src0_sel:DWORD src1_sel:WORD_1
.LBB153_1375:
	s_mov_b64 s[0:1], 0
.LBB153_1376:
	s_andn2_b64 vcc, exec, s[0:1]
	s_cbranch_vccnz .LBB153_1378
; %bb.1377:
	global_load_ushort v3, v[12:13], off
	s_movk_i32 s0, 0x7fff
	v_mov_b32_e32 v7, 0x7fc0
	s_waitcnt vmcnt(0)
	v_cvt_f32_f16_e32 v5, v3
	v_cmp_o_f16_e32 vcc, v3, v3
	v_bfe_u32 v3, v5, 16, 1
	v_add3_u32 v3, v5, v3, s0
	v_cndmask_b32_sdwa v3, v7, v3, vcc dst_sel:DWORD dst_unused:UNUSED_PAD src0_sel:DWORD src1_sel:WORD_1
.LBB153_1378:
	s_cbranch_execnz .LBB153_1398
.LBB153_1379:
	s_cmp_lt_i32 s8, 2
	s_cbranch_scc1 .LBB153_1383
; %bb.1380:
	s_cmp_lt_i32 s8, 3
	s_cbranch_scc1 .LBB153_1384
; %bb.1381:
	s_cmp_gt_i32 s8, 3
	s_cbranch_scc0 .LBB153_1385
; %bb.1382:
	global_load_dwordx2 v[14:15], v[12:13], off
	s_movk_i32 s0, 0x7fff
	s_waitcnt vmcnt(0)
	v_xor_b32_e32 v5, v14, v15
	v_ffbh_i32_e32 v3, v15
	v_ashrrev_i32_e32 v5, 31, v5
	v_add_u32_e32 v3, -1, v3
	v_add_u32_e32 v5, 32, v5
	v_min_u32_e32 v3, v3, v5
	v_lshlrev_b64 v[14:15], v3, v[14:15]
	v_min_u32_e32 v5, 1, v14
	v_or_b32_e32 v5, v15, v5
	v_cvt_f32_i32_e32 v5, v5
	v_sub_u32_e32 v3, 32, v3
	v_ldexp_f32 v3, v5, v3
	v_bfe_u32 v5, v3, 16, 1
	v_add3_u32 v3, v3, v5, s0
	v_lshrrev_b32_e32 v3, 16, v3
	s_mov_b64 s[0:1], 0
	s_branch .LBB153_1386
.LBB153_1383:
	s_mov_b64 s[0:1], -1
                                        ; implicit-def: $vgpr3
	s_branch .LBB153_1392
.LBB153_1384:
	s_mov_b64 s[0:1], -1
                                        ; implicit-def: $vgpr3
	s_branch .LBB153_1389
.LBB153_1385:
	s_mov_b64 s[0:1], -1
                                        ; implicit-def: $vgpr3
.LBB153_1386:
	s_andn2_b64 vcc, exec, s[0:1]
	s_cbranch_vccnz .LBB153_1388
; %bb.1387:
	global_load_dword v3, v[12:13], off
	s_movk_i32 s0, 0x7fff
	s_waitcnt vmcnt(0)
	v_cvt_f32_i32_e32 v3, v3
	v_bfe_u32 v5, v3, 16, 1
	v_add3_u32 v3, v3, v5, s0
	v_lshrrev_b32_e32 v3, 16, v3
.LBB153_1388:
	s_mov_b64 s[0:1], 0
.LBB153_1389:
	s_andn2_b64 vcc, exec, s[0:1]
	s_cbranch_vccnz .LBB153_1391
; %bb.1390:
	global_load_sshort v3, v[12:13], off
	s_movk_i32 s0, 0x7fff
	s_waitcnt vmcnt(0)
	v_cvt_f32_i32_e32 v3, v3
	v_bfe_u32 v5, v3, 16, 1
	v_add3_u32 v3, v3, v5, s0
	v_lshrrev_b32_e32 v3, 16, v3
.LBB153_1391:
	s_mov_b64 s[0:1], 0
.LBB153_1392:
	s_andn2_b64 vcc, exec, s[0:1]
	s_cbranch_vccnz .LBB153_1398
; %bb.1393:
	s_cmp_gt_i32 s8, 0
	s_cbranch_scc0 .LBB153_1395
; %bb.1394:
	global_load_sbyte v3, v[12:13], off
	s_movk_i32 s0, 0x7fff
	s_waitcnt vmcnt(0)
	v_cvt_f32_i32_e32 v3, v3
	v_bfe_u32 v5, v3, 16, 1
	v_add3_u32 v3, v3, v5, s0
	v_lshrrev_b32_e32 v3, 16, v3
	s_mov_b64 s[0:1], 0
	s_branch .LBB153_1396
.LBB153_1395:
	s_mov_b64 s[0:1], -1
                                        ; implicit-def: $vgpr3
.LBB153_1396:
	s_andn2_b64 vcc, exec, s[0:1]
	s_cbranch_vccnz .LBB153_1398
; %bb.1397:
	global_load_ubyte v3, v[12:13], off
	s_movk_i32 s0, 0x7fff
	s_waitcnt vmcnt(0)
	v_cvt_f32_ubyte0_e32 v3, v3
	v_bfe_u32 v5, v3, 16, 1
	v_add3_u32 v3, v3, v5, s0
	v_lshrrev_b32_e32 v3, 16, v3
.LBB153_1398:
.LBB153_1399:
	v_mov_b32_e32 v11, 0
	s_cmp_lt_i32 s17, 11
	v_lshl_add_u64 v[10:11], s[6:7], 0, v[10:11]
	s_cbranch_scc1 .LBB153_1406
; %bb.1400:
	s_and_b32 s18, 0xffff, s17
	s_cmp_gt_i32 s18, 25
	s_mov_b64 s[8:9], 0
	s_cbranch_scc0 .LBB153_1408
; %bb.1401:
	s_cmp_gt_i32 s18, 28
	s_cbranch_scc0 .LBB153_1409
; %bb.1402:
	s_cmp_gt_i32 s18, 43
	;; [unrolled: 3-line block ×3, first 2 shown]
	s_cbranch_scc0 .LBB153_1412
; %bb.1404:
	s_cmp_eq_u32 s18, 46
	s_mov_b64 s[12:13], 0
	s_cbranch_scc0 .LBB153_1413
; %bb.1405:
	global_load_dword v12, v[10:11], off
	s_mov_b64 s[0:1], 0
	s_mov_b64 s[10:11], -1
	s_branch .LBB153_1414
.LBB153_1406:
	s_mov_b64 s[10:11], 0
                                        ; implicit-def: $vgpr12
	s_cbranch_execnz .LBB153_1480
.LBB153_1407:
	s_andn2_b64 vcc, exec, s[10:11]
	s_cbranch_vccnz .LBB153_2091
	s_branch .LBB153_1528
.LBB153_1408:
	s_mov_b64 s[12:13], -1
	s_mov_b64 s[10:11], 0
	s_mov_b64 s[0:1], 0
                                        ; implicit-def: $vgpr12
	s_branch .LBB153_1443
.LBB153_1409:
	s_mov_b64 s[12:13], -1
	s_mov_b64 s[10:11], 0
	s_mov_b64 s[0:1], 0
                                        ; implicit-def: $vgpr12
	s_branch .LBB153_1424
.LBB153_1410:
	s_mov_b64 s[12:13], -1
	s_mov_b64 s[10:11], 0
	s_mov_b64 s[0:1], 0
                                        ; implicit-def: $vgpr12
	s_branch .LBB153_1419
.LBB153_1411:
	s_trap 2
	s_or_b64 s[2:3], s[2:3], exec
	s_cbranch_execz .LBB153_1350
	s_branch .LBB153_1351
.LBB153_1412:
	s_mov_b64 s[12:13], -1
	s_mov_b64 s[10:11], 0
	s_mov_b64 s[0:1], 0
                                        ; implicit-def: $vgpr12
	s_branch .LBB153_1414
.LBB153_1413:
	s_mov_b64 s[0:1], -1
                                        ; implicit-def: $vgpr12
	s_mov_b64 s[10:11], 0
.LBB153_1414:
	s_and_b64 vcc, exec, s[12:13]
	s_cbranch_vccz .LBB153_1418
; %bb.1415:
	s_cmp_eq_u32 s18, 44
	s_cbranch_scc0 .LBB153_1417
; %bb.1416:
	global_load_ubyte v5, v[10:11], off
	s_movk_i32 s10, 0xff
	v_mov_b32_e32 v7, 0x7f800001
	v_mov_b32_e32 v9, 0x400000
	s_waitcnt vmcnt(1)
	v_mov_b32_e32 v12, 0x7fc0
	s_mov_b64 s[0:1], 0
	s_waitcnt vmcnt(0)
	v_lshlrev_b32_e32 v13, 23, v5
	v_cmp_ne_u32_e32 vcc, s10, v5
	s_mov_b64 s[10:11], -1
	s_nop 0
	v_cndmask_b32_e32 v7, v7, v13, vcc
	v_cmp_ne_u32_e32 vcc, 0, v5
	s_nop 1
	v_cndmask_b32_e32 v5, v9, v7, vcc
	v_add_u32_e32 v7, 0x7fff, v5
	v_cmp_o_f32_e32 vcc, v5, v5
	s_nop 1
	v_cndmask_b32_sdwa v12, v12, v7, vcc dst_sel:DWORD dst_unused:UNUSED_PAD src0_sel:DWORD src1_sel:WORD_1
	s_branch .LBB153_1418
.LBB153_1417:
	s_mov_b64 s[0:1], -1
                                        ; implicit-def: $vgpr12
.LBB153_1418:
	s_mov_b64 s[12:13], 0
.LBB153_1419:
	s_and_b64 vcc, exec, s[12:13]
	s_cbranch_vccz .LBB153_1423
; %bb.1420:
	s_cmp_eq_u32 s18, 29
	s_cbranch_scc0 .LBB153_1422
; %bb.1421:
	global_load_dwordx2 v[12:13], v[10:11], off
	s_movk_i32 s10, 0x7fff
	s_mov_b64 s[0:1], 0
	s_mov_b64 s[12:13], 0
	s_waitcnt vmcnt(0)
	v_ffbh_u32_e32 v5, v13
	v_min_u32_e32 v5, 32, v5
	v_lshlrev_b64 v[12:13], v5, v[12:13]
	v_min_u32_e32 v7, 1, v12
	v_or_b32_e32 v7, v13, v7
	v_cvt_f32_u32_e32 v7, v7
	v_sub_u32_e32 v5, 32, v5
	v_ldexp_f32 v5, v7, v5
	v_bfe_u32 v7, v5, 16, 1
	v_add3_u32 v5, v5, v7, s10
	v_lshrrev_b32_e32 v12, 16, v5
	s_mov_b64 s[10:11], -1
	s_branch .LBB153_1424
.LBB153_1422:
	s_mov_b64 s[0:1], -1
                                        ; implicit-def: $vgpr12
.LBB153_1423:
	s_mov_b64 s[12:13], 0
.LBB153_1424:
	s_and_b64 vcc, exec, s[12:13]
	s_cbranch_vccz .LBB153_1442
; %bb.1425:
	s_cmp_lt_i32 s18, 27
	s_cbranch_scc1 .LBB153_1428
; %bb.1426:
	s_cmp_gt_i32 s18, 27
	s_cbranch_scc0 .LBB153_1429
; %bb.1427:
	global_load_dword v5, v[10:11], off
	s_movk_i32 s10, 0x7fff
	s_waitcnt vmcnt(0)
	v_cvt_f32_u32_e32 v5, v5
	v_bfe_u32 v7, v5, 16, 1
	v_add3_u32 v5, v5, v7, s10
	v_lshrrev_b32_e32 v12, 16, v5
	s_mov_b64 s[10:11], 0
	s_branch .LBB153_1430
.LBB153_1428:
	s_mov_b64 s[10:11], -1
                                        ; implicit-def: $vgpr12
	s_branch .LBB153_1433
.LBB153_1429:
	s_mov_b64 s[10:11], -1
                                        ; implicit-def: $vgpr12
.LBB153_1430:
	s_andn2_b64 vcc, exec, s[10:11]
	s_cbranch_vccnz .LBB153_1432
; %bb.1431:
	global_load_ushort v5, v[10:11], off
	s_movk_i32 s10, 0x7fff
	s_waitcnt vmcnt(0)
	v_cvt_f32_u32_e32 v5, v5
	v_bfe_u32 v7, v5, 16, 1
	v_add3_u32 v5, v5, v7, s10
	v_lshrrev_b32_e32 v12, 16, v5
.LBB153_1432:
	s_mov_b64 s[10:11], 0
.LBB153_1433:
	s_andn2_b64 vcc, exec, s[10:11]
	s_cbranch_vccnz .LBB153_1441
; %bb.1434:
	global_load_ubyte v5, v[10:11], off
	s_movk_i32 s10, 0x7f
	s_waitcnt vmcnt(0)
	v_cmp_lt_i16_e32 vcc, s10, v5
	s_mov_b64 s[10:11], 0
	s_and_saveexec_b64 s[12:13], vcc
	s_xor_b64 s[12:13], exec, s[12:13]
	s_cbranch_execz .LBB153_1455
; %bb.1435:
	s_movk_i32 s10, 0x80
	v_cmp_eq_u16_e32 vcc, s10, v5
	s_mov_b64 s[10:11], -1
	s_and_saveexec_b64 s[14:15], vcc
; %bb.1436:
	s_xor_b64 s[10:11], exec, -1
; %bb.1437:
	s_or_b64 exec, exec, s[14:15]
	s_and_b64 s[10:11], s[10:11], exec
	s_or_saveexec_b64 s[12:13], s[12:13]
	v_mov_b32_e32 v7, 0x7f800001
	s_xor_b64 exec, exec, s[12:13]
	s_cbranch_execnz .LBB153_1456
.LBB153_1438:
	s_or_b64 exec, exec, s[12:13]
	s_and_saveexec_b64 s[12:13], s[10:11]
	s_cbranch_execz .LBB153_1440
.LBB153_1439:
	v_lshlrev_b32_e32 v7, 24, v5
	v_and_b32_e32 v5, 0xffff, v5
	v_and_b32_e32 v9, 7, v5
	v_ffbh_u32_e32 v13, v9
	v_min_u32_e32 v13, 32, v13
	v_subrev_u32_e32 v14, 28, v13
	v_bfe_u32 v12, v5, 3, 4
	v_lshlrev_b32_e32 v5, v14, v5
	v_sub_u32_e32 v13, 29, v13
	v_and_b32_e32 v5, 7, v5
	v_cmp_eq_u32_e32 vcc, 0, v12
	v_and_b32_e32 v7, 0x80000000, v7
	s_nop 0
	v_cndmask_b32_e32 v12, v12, v13, vcc
	v_cndmask_b32_e32 v5, v9, v5, vcc
	v_mov_b32_e32 v9, 0x3b800000
	v_lshlrev_b32_e32 v5, 20, v5
	v_lshl_add_u32 v9, v12, 23, v9
	v_or3_b32 v7, v7, v9, v5
.LBB153_1440:
	s_or_b64 exec, exec, s[12:13]
	v_bfe_u32 v5, v7, 16, 1
	s_movk_i32 s10, 0x7fff
	v_add3_u32 v5, v7, v5, s10
	v_cmp_o_f32_e32 vcc, v7, v7
	v_mov_b32_e32 v7, 0x7fc0
	s_nop 0
	v_cndmask_b32_sdwa v12, v7, v5, vcc dst_sel:DWORD dst_unused:UNUSED_PAD src0_sel:DWORD src1_sel:WORD_1
.LBB153_1441:
	s_mov_b64 s[10:11], -1
.LBB153_1442:
	s_mov_b64 s[12:13], 0
.LBB153_1443:
	s_and_b64 vcc, exec, s[12:13]
	s_cbranch_vccz .LBB153_1476
; %bb.1444:
	s_cmp_gt_i32 s18, 22
	s_cbranch_scc0 .LBB153_1454
; %bb.1445:
	s_cmp_lt_i32 s18, 24
	s_cbranch_scc1 .LBB153_1457
; %bb.1446:
	s_cmp_gt_i32 s18, 24
	s_cbranch_scc0 .LBB153_1458
; %bb.1447:
	global_load_ubyte v5, v[10:11], off
	s_movk_i32 s8, 0x7f
	s_waitcnt vmcnt(0)
	v_cmp_lt_i16_e32 vcc, s8, v5
	s_mov_b64 s[8:9], 0
	s_and_saveexec_b64 s[10:11], vcc
	s_xor_b64 s[10:11], exec, s[10:11]
	s_cbranch_execz .LBB153_1470
; %bb.1448:
	s_movk_i32 s8, 0x80
	v_cmp_eq_u16_e32 vcc, s8, v5
	s_mov_b64 s[8:9], -1
	s_and_saveexec_b64 s[12:13], vcc
; %bb.1449:
	s_xor_b64 s[8:9], exec, -1
; %bb.1450:
	s_or_b64 exec, exec, s[12:13]
	s_and_b64 s[8:9], s[8:9], exec
	s_or_saveexec_b64 s[10:11], s[10:11]
	v_mov_b32_e32 v7, 0x7f800001
	s_xor_b64 exec, exec, s[10:11]
	s_cbranch_execnz .LBB153_1471
.LBB153_1451:
	s_or_b64 exec, exec, s[10:11]
	s_and_saveexec_b64 s[10:11], s[8:9]
	s_cbranch_execz .LBB153_1453
.LBB153_1452:
	v_lshlrev_b32_e32 v7, 24, v5
	v_and_b32_e32 v5, 0xffff, v5
	v_and_b32_e32 v9, 3, v5
	v_ffbh_u32_e32 v13, v9
	v_min_u32_e32 v13, 32, v13
	v_subrev_u32_e32 v14, 29, v13
	v_bfe_u32 v12, v5, 2, 5
	v_lshlrev_b32_e32 v5, v14, v5
	v_sub_u32_e32 v13, 30, v13
	v_and_b32_e32 v5, 3, v5
	v_cmp_eq_u32_e32 vcc, 0, v12
	v_and_b32_e32 v7, 0x80000000, v7
	s_nop 0
	v_cndmask_b32_e32 v12, v12, v13, vcc
	v_cndmask_b32_e32 v5, v9, v5, vcc
	v_mov_b32_e32 v9, 0x37800000
	v_lshlrev_b32_e32 v5, 21, v5
	v_lshl_add_u32 v9, v12, 23, v9
	v_or3_b32 v7, v7, v9, v5
.LBB153_1453:
	s_or_b64 exec, exec, s[10:11]
	v_bfe_u32 v5, v7, 16, 1
	s_movk_i32 s8, 0x7fff
	v_add3_u32 v5, v7, v5, s8
	v_cmp_o_f32_e32 vcc, v7, v7
	v_mov_b32_e32 v7, 0x7fc0
	s_mov_b64 s[8:9], 0
	v_cndmask_b32_sdwa v12, v7, v5, vcc dst_sel:DWORD dst_unused:UNUSED_PAD src0_sel:DWORD src1_sel:WORD_1
	s_branch .LBB153_1459
.LBB153_1454:
	s_mov_b64 s[8:9], -1
                                        ; implicit-def: $vgpr12
	s_branch .LBB153_1465
.LBB153_1455:
	s_or_saveexec_b64 s[12:13], s[12:13]
	v_mov_b32_e32 v7, 0x7f800001
	s_xor_b64 exec, exec, s[12:13]
	s_cbranch_execz .LBB153_1438
.LBB153_1456:
	v_cmp_ne_u16_e32 vcc, 0, v5
	s_andn2_b64 s[10:11], s[10:11], exec
	s_and_b64 s[14:15], vcc, exec
	v_mov_b32_e32 v7, 0
	s_or_b64 s[10:11], s[10:11], s[14:15]
	s_or_b64 exec, exec, s[12:13]
	s_and_saveexec_b64 s[12:13], s[10:11]
	s_cbranch_execnz .LBB153_1439
	s_branch .LBB153_1440
.LBB153_1457:
	s_mov_b64 s[8:9], -1
                                        ; implicit-def: $vgpr12
	s_branch .LBB153_1462
.LBB153_1458:
	s_mov_b64 s[8:9], -1
                                        ; implicit-def: $vgpr12
.LBB153_1459:
	s_and_b64 vcc, exec, s[8:9]
	s_cbranch_vccz .LBB153_1461
; %bb.1460:
	global_load_ubyte v5, v[10:11], off
	s_mov_b32 s8, 0x7f800000
	s_brev_b32 s9, 1
	s_movk_i32 s10, 0x7fff
	s_waitcnt vmcnt(0)
	v_lshlrev_b32_e32 v5, 24, v5
	v_and_b32_e32 v7, 0x7f000000, v5
	v_ffbh_u32_e32 v9, v7
	v_min_u32_e32 v9, 32, v9
	v_sub_u32_e64 v9, v9, 4 clamp
	v_lshlrev_b32_e32 v13, v9, v7
	v_lshlrev_b32_e32 v9, 23, v9
	v_lshrrev_b32_e32 v13, 4, v13
	v_add_u32_e32 v12, 0x1000000, v7
	v_sub_u32_e32 v9, v13, v9
	v_ashrrev_i32_e32 v12, 8, v12
	v_add_u32_e32 v9, 0x3c000000, v9
	v_and_or_b32 v9, v12, s8, v9
	v_cmp_ne_u32_e32 vcc, 0, v7
	s_nop 1
	v_cndmask_b32_e32 v7, 0, v9, vcc
	v_and_or_b32 v5, v5, s9, v7
	v_bfe_u32 v7, v7, 16, 1
	v_add3_u32 v7, v5, v7, s10
	v_cmp_o_f32_e32 vcc, v5, v5
	v_mov_b32_e32 v5, 0x7fc0
	s_nop 0
	v_cndmask_b32_sdwa v12, v5, v7, vcc dst_sel:DWORD dst_unused:UNUSED_PAD src0_sel:DWORD src1_sel:WORD_1
.LBB153_1461:
	s_mov_b64 s[8:9], 0
.LBB153_1462:
	s_andn2_b64 vcc, exec, s[8:9]
	s_cbranch_vccnz .LBB153_1464
; %bb.1463:
	global_load_ubyte v5, v[10:11], off
	s_movk_i32 s8, 0x7f00
	s_brev_b32 s9, 16
	s_brev_b32 s10, 1
	s_movk_i32 s11, 0x7fff
	s_waitcnt vmcnt(0)
	v_lshlrev_b16_e32 v7, 8, v5
	v_lshlrev_b32_e32 v5, 25, v5
	v_lshrrev_b32_e32 v9, 4, v5
	v_and_or_b32 v12, v7, s8, 0.5
	v_or_b32_e32 v9, 0x70000000, v9
	v_add_f32_e32 v12, -0.5, v12
	v_mul_f32_e32 v9, 0x7800000, v9
	v_cmp_gt_u32_e32 vcc, s9, v5
	v_bfe_i32 v7, v7, 0, 16
	s_nop 0
	v_cndmask_b32_e32 v5, v9, v12, vcc
	v_and_or_b32 v7, v7, s10, v5
	v_bfe_u32 v5, v5, 16, 1
	v_add3_u32 v5, v7, v5, s11
	v_cmp_o_f32_e32 vcc, v7, v7
	v_mov_b32_e32 v7, 0x7fc0
	s_nop 0
	v_cndmask_b32_sdwa v12, v7, v5, vcc dst_sel:DWORD dst_unused:UNUSED_PAD src0_sel:DWORD src1_sel:WORD_1
.LBB153_1464:
	s_mov_b64 s[8:9], 0
	s_mov_b64 s[10:11], -1
.LBB153_1465:
	s_andn2_b64 vcc, exec, s[8:9]
	s_mov_b64 s[8:9], 0
	s_cbranch_vccnz .LBB153_1476
; %bb.1466:
	s_cmp_gt_i32 s18, 14
	s_cbranch_scc0 .LBB153_1469
; %bb.1467:
	s_cmp_eq_u32 s18, 15
	s_cbranch_scc0 .LBB153_1472
; %bb.1468:
	global_load_ushort v12, v[10:11], off
	s_mov_b64 s[0:1], 0
	s_mov_b64 s[10:11], -1
	s_branch .LBB153_1473
.LBB153_1469:
	s_mov_b64 s[12:13], -1
                                        ; implicit-def: $vgpr12
	s_branch .LBB153_1474
.LBB153_1470:
	s_or_saveexec_b64 s[10:11], s[10:11]
	v_mov_b32_e32 v7, 0x7f800001
	s_xor_b64 exec, exec, s[10:11]
	s_cbranch_execz .LBB153_1451
.LBB153_1471:
	v_cmp_ne_u16_e32 vcc, 0, v5
	s_andn2_b64 s[8:9], s[8:9], exec
	s_and_b64 s[12:13], vcc, exec
	v_mov_b32_e32 v7, 0
	s_or_b64 s[8:9], s[8:9], s[12:13]
	s_or_b64 exec, exec, s[10:11]
	s_and_saveexec_b64 s[10:11], s[8:9]
	s_cbranch_execnz .LBB153_1452
	s_branch .LBB153_1453
.LBB153_1472:
	s_mov_b64 s[0:1], -1
                                        ; implicit-def: $vgpr12
.LBB153_1473:
	s_mov_b64 s[12:13], 0
.LBB153_1474:
	s_and_b64 vcc, exec, s[12:13]
	s_cbranch_vccz .LBB153_1476
; %bb.1475:
	s_cmp_lg_u32 s18, 11
	s_mov_b64 s[8:9], -1
	s_cselect_b64 s[0:1], -1, 0
.LBB153_1476:
	s_and_b64 vcc, exec, s[0:1]
	s_cbranch_vccnz .LBB153_1539
; %bb.1477:
	s_andn2_b64 vcc, exec, s[8:9]
	s_cbranch_vccnz .LBB153_1479
.LBB153_1478:
	global_load_ubyte v5, v[10:11], off
	s_mov_b64 s[10:11], -1
	s_waitcnt vmcnt(0)
	v_cmp_ne_u16_e32 vcc, 0, v5
	s_nop 1
	v_cndmask_b32_e64 v5, 0, 1.0, vcc
	v_lshrrev_b32_e32 v12, 16, v5
.LBB153_1479:
	s_branch .LBB153_1407
.LBB153_1480:
	s_and_b32 s8, 0xffff, s17
	s_cmp_lt_i32 s8, 5
	s_cbranch_scc1 .LBB153_1485
; %bb.1481:
	s_cmp_lt_i32 s8, 8
	s_cbranch_scc1 .LBB153_1486
; %bb.1482:
	;; [unrolled: 3-line block ×3, first 2 shown]
	s_cmp_gt_i32 s8, 9
	s_cbranch_scc0 .LBB153_1488
; %bb.1484:
	global_load_dwordx2 v[12:13], v[10:11], off
	s_movk_i32 s0, 0x7fff
	v_mov_b32_e32 v5, 0x7fc0
	s_waitcnt vmcnt(0)
	v_cvt_f32_f64_e32 v7, v[12:13]
	v_bfe_u32 v9, v7, 16, 1
	v_cmp_o_f32_e32 vcc, v7, v7
	v_add3_u32 v7, v7, v9, s0
	s_mov_b64 s[0:1], 0
	v_cndmask_b32_sdwa v12, v5, v7, vcc dst_sel:DWORD dst_unused:UNUSED_PAD src0_sel:DWORD src1_sel:WORD_1
	s_branch .LBB153_1489
.LBB153_1485:
	s_mov_b64 s[0:1], -1
                                        ; implicit-def: $vgpr12
	s_branch .LBB153_1507
.LBB153_1486:
	s_mov_b64 s[0:1], -1
                                        ; implicit-def: $vgpr12
	s_branch .LBB153_1495
.LBB153_1487:
	s_mov_b64 s[0:1], -1
                                        ; implicit-def: $vgpr12
	s_branch .LBB153_1492
.LBB153_1488:
	s_mov_b64 s[0:1], -1
                                        ; implicit-def: $vgpr12
.LBB153_1489:
	s_andn2_b64 vcc, exec, s[0:1]
	s_cbranch_vccnz .LBB153_1491
; %bb.1490:
	global_load_dword v5, v[10:11], off
	s_movk_i32 s0, 0x7fff
	v_mov_b32_e32 v7, 0x7fc0
	s_waitcnt vmcnt(0)
	v_bfe_u32 v9, v5, 16, 1
	v_cmp_o_f32_e32 vcc, v5, v5
	v_add3_u32 v5, v5, v9, s0
	s_nop 0
	v_cndmask_b32_sdwa v12, v7, v5, vcc dst_sel:DWORD dst_unused:UNUSED_PAD src0_sel:DWORD src1_sel:WORD_1
.LBB153_1491:
	s_mov_b64 s[0:1], 0
.LBB153_1492:
	s_andn2_b64 vcc, exec, s[0:1]
	s_cbranch_vccnz .LBB153_1494
; %bb.1493:
	global_load_dword v5, v[10:11], off
	s_movk_i32 s0, 0x7fff
	v_mov_b32_e32 v9, 0x7fc0
	s_waitcnt vmcnt(0)
	v_cvt_f32_f16_e32 v7, v5
	v_cmp_o_f16_e32 vcc, v5, v5
	v_bfe_u32 v5, v7, 16, 1
	v_add3_u32 v5, v7, v5, s0
	v_cndmask_b32_sdwa v12, v9, v5, vcc dst_sel:DWORD dst_unused:UNUSED_PAD src0_sel:DWORD src1_sel:WORD_1
.LBB153_1494:
	s_mov_b64 s[0:1], 0
.LBB153_1495:
	s_andn2_b64 vcc, exec, s[0:1]
	s_cbranch_vccnz .LBB153_1506
; %bb.1496:
	s_cmp_lt_i32 s8, 6
	s_cbranch_scc1 .LBB153_1499
; %bb.1497:
	s_cmp_gt_i32 s8, 6
	s_cbranch_scc0 .LBB153_1500
; %bb.1498:
	global_load_dwordx2 v[12:13], v[10:11], off
	s_movk_i32 s0, 0x7fff
	v_mov_b32_e32 v5, 0x7fc0
	s_waitcnt vmcnt(0)
	v_cvt_f32_f64_e32 v7, v[12:13]
	v_bfe_u32 v9, v7, 16, 1
	v_cmp_o_f32_e32 vcc, v7, v7
	v_add3_u32 v7, v7, v9, s0
	s_mov_b64 s[0:1], 0
	v_cndmask_b32_sdwa v12, v5, v7, vcc dst_sel:DWORD dst_unused:UNUSED_PAD src0_sel:DWORD src1_sel:WORD_1
	s_branch .LBB153_1501
.LBB153_1499:
	s_mov_b64 s[0:1], -1
                                        ; implicit-def: $vgpr12
	s_branch .LBB153_1504
.LBB153_1500:
	s_mov_b64 s[0:1], -1
                                        ; implicit-def: $vgpr12
.LBB153_1501:
	s_andn2_b64 vcc, exec, s[0:1]
	s_cbranch_vccnz .LBB153_1503
; %bb.1502:
	global_load_dword v5, v[10:11], off
	s_movk_i32 s0, 0x7fff
	v_mov_b32_e32 v7, 0x7fc0
	s_waitcnt vmcnt(0)
	v_bfe_u32 v9, v5, 16, 1
	v_cmp_o_f32_e32 vcc, v5, v5
	v_add3_u32 v5, v5, v9, s0
	s_nop 0
	v_cndmask_b32_sdwa v12, v7, v5, vcc dst_sel:DWORD dst_unused:UNUSED_PAD src0_sel:DWORD src1_sel:WORD_1
.LBB153_1503:
	s_mov_b64 s[0:1], 0
.LBB153_1504:
	s_andn2_b64 vcc, exec, s[0:1]
	s_cbranch_vccnz .LBB153_1506
; %bb.1505:
	global_load_ushort v5, v[10:11], off
	s_movk_i32 s0, 0x7fff
	v_mov_b32_e32 v9, 0x7fc0
	s_waitcnt vmcnt(0)
	v_cvt_f32_f16_e32 v7, v5
	v_cmp_o_f16_e32 vcc, v5, v5
	v_bfe_u32 v5, v7, 16, 1
	v_add3_u32 v5, v7, v5, s0
	v_cndmask_b32_sdwa v12, v9, v5, vcc dst_sel:DWORD dst_unused:UNUSED_PAD src0_sel:DWORD src1_sel:WORD_1
.LBB153_1506:
	s_mov_b64 s[0:1], 0
.LBB153_1507:
	s_andn2_b64 vcc, exec, s[0:1]
	s_cbranch_vccnz .LBB153_1527
; %bb.1508:
	s_cmp_lt_i32 s8, 2
	s_cbranch_scc1 .LBB153_1512
; %bb.1509:
	s_cmp_lt_i32 s8, 3
	s_cbranch_scc1 .LBB153_1513
; %bb.1510:
	s_cmp_gt_i32 s8, 3
	s_cbranch_scc0 .LBB153_1514
; %bb.1511:
	global_load_dwordx2 v[12:13], v[10:11], off
	s_movk_i32 s0, 0x7fff
	s_waitcnt vmcnt(0)
	v_xor_b32_e32 v7, v12, v13
	v_ffbh_i32_e32 v5, v13
	v_ashrrev_i32_e32 v7, 31, v7
	v_add_u32_e32 v5, -1, v5
	v_add_u32_e32 v7, 32, v7
	v_min_u32_e32 v5, v5, v7
	v_lshlrev_b64 v[12:13], v5, v[12:13]
	v_min_u32_e32 v7, 1, v12
	v_or_b32_e32 v7, v13, v7
	v_cvt_f32_i32_e32 v7, v7
	v_sub_u32_e32 v5, 32, v5
	v_ldexp_f32 v5, v7, v5
	v_bfe_u32 v7, v5, 16, 1
	v_add3_u32 v5, v5, v7, s0
	v_lshrrev_b32_e32 v12, 16, v5
	s_mov_b64 s[0:1], 0
	s_branch .LBB153_1515
.LBB153_1512:
	s_mov_b64 s[0:1], -1
                                        ; implicit-def: $vgpr12
	s_branch .LBB153_1521
.LBB153_1513:
	s_mov_b64 s[0:1], -1
                                        ; implicit-def: $vgpr12
	s_branch .LBB153_1518
.LBB153_1514:
	s_mov_b64 s[0:1], -1
                                        ; implicit-def: $vgpr12
.LBB153_1515:
	s_andn2_b64 vcc, exec, s[0:1]
	s_cbranch_vccnz .LBB153_1517
; %bb.1516:
	global_load_dword v5, v[10:11], off
	s_movk_i32 s0, 0x7fff
	s_waitcnt vmcnt(0)
	v_cvt_f32_i32_e32 v5, v5
	v_bfe_u32 v7, v5, 16, 1
	v_add3_u32 v5, v5, v7, s0
	v_lshrrev_b32_e32 v12, 16, v5
.LBB153_1517:
	s_mov_b64 s[0:1], 0
.LBB153_1518:
	s_andn2_b64 vcc, exec, s[0:1]
	s_cbranch_vccnz .LBB153_1520
; %bb.1519:
	global_load_sshort v5, v[10:11], off
	s_movk_i32 s0, 0x7fff
	s_waitcnt vmcnt(0)
	v_cvt_f32_i32_e32 v5, v5
	v_bfe_u32 v7, v5, 16, 1
	v_add3_u32 v5, v5, v7, s0
	v_lshrrev_b32_e32 v12, 16, v5
.LBB153_1520:
	s_mov_b64 s[0:1], 0
.LBB153_1521:
	s_andn2_b64 vcc, exec, s[0:1]
	s_cbranch_vccnz .LBB153_1527
; %bb.1522:
	s_cmp_gt_i32 s8, 0
	s_cbranch_scc0 .LBB153_1524
; %bb.1523:
	global_load_sbyte v5, v[10:11], off
	s_movk_i32 s0, 0x7fff
	s_waitcnt vmcnt(0)
	v_cvt_f32_i32_e32 v5, v5
	v_bfe_u32 v7, v5, 16, 1
	v_add3_u32 v5, v5, v7, s0
	v_lshrrev_b32_e32 v12, 16, v5
	s_mov_b64 s[0:1], 0
	s_branch .LBB153_1525
.LBB153_1524:
	s_mov_b64 s[0:1], -1
                                        ; implicit-def: $vgpr12
.LBB153_1525:
	s_andn2_b64 vcc, exec, s[0:1]
	s_cbranch_vccnz .LBB153_1527
; %bb.1526:
	global_load_ubyte v5, v[10:11], off
	s_movk_i32 s0, 0x7fff
	s_waitcnt vmcnt(0)
	v_cvt_f32_ubyte0_e32 v5, v5
	v_bfe_u32 v7, v5, 16, 1
	v_add3_u32 v5, v5, v7, s0
	v_lshrrev_b32_e32 v12, 16, v5
.LBB153_1527:
.LBB153_1528:
	v_mov_b32_e32 v9, 0
	s_cmp_lt_i32 s17, 11
	v_lshl_add_u64 v[8:9], s[6:7], 0, v[8:9]
	s_cbranch_scc1 .LBB153_1535
; %bb.1529:
	s_and_b32 s14, 0xffff, s17
	s_cmp_gt_i32 s14, 25
	s_mov_b64 s[6:7], 0
	s_cbranch_scc0 .LBB153_1536
; %bb.1530:
	s_cmp_gt_i32 s14, 28
	s_cbranch_scc0 .LBB153_1537
; %bb.1531:
	s_cmp_gt_i32 s14, 43
	;; [unrolled: 3-line block ×3, first 2 shown]
	s_cbranch_scc0 .LBB153_1540
; %bb.1533:
	s_cmp_eq_u32 s14, 46
	s_mov_b64 s[10:11], 0
	s_cbranch_scc0 .LBB153_1541
; %bb.1534:
	global_load_dword v10, v[8:9], off
	s_mov_b64 s[0:1], 0
	s_mov_b64 s[8:9], -1
	s_branch .LBB153_1542
.LBB153_1535:
	s_mov_b64 s[0:1], -1
	s_mov_b64 s[8:9], 0
                                        ; implicit-def: $vgpr10
	s_branch .LBB153_1608
.LBB153_1536:
	s_mov_b64 s[10:11], -1
	s_mov_b64 s[8:9], 0
	s_mov_b64 s[0:1], 0
                                        ; implicit-def: $vgpr10
	s_branch .LBB153_1571
.LBB153_1537:
	s_mov_b64 s[10:11], -1
	s_mov_b64 s[8:9], 0
	s_mov_b64 s[0:1], 0
                                        ; implicit-def: $vgpr10
	s_branch .LBB153_1552
.LBB153_1538:
	s_mov_b64 s[10:11], -1
	s_mov_b64 s[8:9], 0
	s_mov_b64 s[0:1], 0
                                        ; implicit-def: $vgpr10
	s_branch .LBB153_1547
.LBB153_1539:
	s_trap 2
	s_or_b64 s[2:3], s[2:3], exec
	s_cbranch_execz .LBB153_1478
	s_branch .LBB153_1479
.LBB153_1540:
	s_mov_b64 s[10:11], -1
	s_mov_b64 s[8:9], 0
	s_mov_b64 s[0:1], 0
                                        ; implicit-def: $vgpr10
	s_branch .LBB153_1542
.LBB153_1541:
	s_mov_b64 s[0:1], -1
                                        ; implicit-def: $vgpr10
	s_mov_b64 s[8:9], 0
.LBB153_1542:
	s_and_b64 vcc, exec, s[10:11]
	s_cbranch_vccz .LBB153_1546
; %bb.1543:
	s_cmp_eq_u32 s14, 44
	s_cbranch_scc0 .LBB153_1545
; %bb.1544:
	global_load_ubyte v5, v[8:9], off
	s_movk_i32 s8, 0xff
	v_mov_b32_e32 v7, 0x7f800001
	s_waitcnt vmcnt(1)
	v_mov_b32_e32 v10, 0x400000
	v_mov_b32_e32 v11, 0x7fc0
	s_mov_b64 s[0:1], 0
	s_waitcnt vmcnt(0)
	v_lshlrev_b32_e32 v13, 23, v5
	v_cmp_ne_u32_e32 vcc, s8, v5
	s_mov_b64 s[8:9], -1
	s_nop 0
	v_cndmask_b32_e32 v7, v7, v13, vcc
	v_cmp_ne_u32_e32 vcc, 0, v5
	s_nop 1
	v_cndmask_b32_e32 v5, v10, v7, vcc
	v_add_u32_e32 v7, 0x7fff, v5
	v_cmp_o_f32_e32 vcc, v5, v5
	s_nop 1
	v_cndmask_b32_sdwa v10, v11, v7, vcc dst_sel:DWORD dst_unused:UNUSED_PAD src0_sel:DWORD src1_sel:WORD_1
	s_branch .LBB153_1546
.LBB153_1545:
	s_mov_b64 s[0:1], -1
                                        ; implicit-def: $vgpr10
.LBB153_1546:
	s_mov_b64 s[10:11], 0
.LBB153_1547:
	s_and_b64 vcc, exec, s[10:11]
	s_cbranch_vccz .LBB153_1551
; %bb.1548:
	s_cmp_eq_u32 s14, 29
	s_cbranch_scc0 .LBB153_1550
; %bb.1549:
	global_load_dwordx2 v[10:11], v[8:9], off
	s_movk_i32 s8, 0x7fff
	s_mov_b64 s[0:1], 0
	s_mov_b64 s[10:11], 0
	s_waitcnt vmcnt(0)
	v_ffbh_u32_e32 v5, v11
	v_min_u32_e32 v5, 32, v5
	v_lshlrev_b64 v[10:11], v5, v[10:11]
	v_min_u32_e32 v7, 1, v10
	v_or_b32_e32 v7, v11, v7
	v_cvt_f32_u32_e32 v7, v7
	v_sub_u32_e32 v5, 32, v5
	v_ldexp_f32 v5, v7, v5
	v_bfe_u32 v7, v5, 16, 1
	v_add3_u32 v5, v5, v7, s8
	v_lshrrev_b32_e32 v10, 16, v5
	s_mov_b64 s[8:9], -1
	s_branch .LBB153_1552
.LBB153_1550:
	s_mov_b64 s[0:1], -1
                                        ; implicit-def: $vgpr10
.LBB153_1551:
	s_mov_b64 s[10:11], 0
.LBB153_1552:
	s_and_b64 vcc, exec, s[10:11]
	s_cbranch_vccz .LBB153_1570
; %bb.1553:
	s_cmp_lt_i32 s14, 27
	s_cbranch_scc1 .LBB153_1556
; %bb.1554:
	s_cmp_gt_i32 s14, 27
	s_cbranch_scc0 .LBB153_1557
; %bb.1555:
	global_load_dword v5, v[8:9], off
	s_movk_i32 s8, 0x7fff
	s_waitcnt vmcnt(0)
	v_cvt_f32_u32_e32 v5, v5
	v_bfe_u32 v7, v5, 16, 1
	v_add3_u32 v5, v5, v7, s8
	v_lshrrev_b32_e32 v10, 16, v5
	s_mov_b64 s[8:9], 0
	s_branch .LBB153_1558
.LBB153_1556:
	s_mov_b64 s[8:9], -1
                                        ; implicit-def: $vgpr10
	s_branch .LBB153_1561
.LBB153_1557:
	s_mov_b64 s[8:9], -1
                                        ; implicit-def: $vgpr10
.LBB153_1558:
	s_andn2_b64 vcc, exec, s[8:9]
	s_cbranch_vccnz .LBB153_1560
; %bb.1559:
	global_load_ushort v5, v[8:9], off
	s_movk_i32 s8, 0x7fff
	s_waitcnt vmcnt(0)
	v_cvt_f32_u32_e32 v5, v5
	v_bfe_u32 v7, v5, 16, 1
	v_add3_u32 v5, v5, v7, s8
	v_lshrrev_b32_e32 v10, 16, v5
.LBB153_1560:
	s_mov_b64 s[8:9], 0
.LBB153_1561:
	s_andn2_b64 vcc, exec, s[8:9]
	s_cbranch_vccnz .LBB153_1569
; %bb.1562:
	global_load_ubyte v5, v[8:9], off
	s_movk_i32 s8, 0x7f
	s_waitcnt vmcnt(0)
	v_cmp_lt_i16_e32 vcc, s8, v5
	s_mov_b64 s[8:9], 0
	s_and_saveexec_b64 s[10:11], vcc
	s_xor_b64 s[10:11], exec, s[10:11]
	s_cbranch_execz .LBB153_1583
; %bb.1563:
	s_movk_i32 s8, 0x80
	v_cmp_eq_u16_e32 vcc, s8, v5
	s_mov_b64 s[8:9], -1
	s_and_saveexec_b64 s[12:13], vcc
; %bb.1564:
	s_xor_b64 s[8:9], exec, -1
; %bb.1565:
	s_or_b64 exec, exec, s[12:13]
	s_and_b64 s[8:9], s[8:9], exec
	s_or_saveexec_b64 s[10:11], s[10:11]
	v_mov_b32_e32 v7, 0x7f800001
	s_xor_b64 exec, exec, s[10:11]
	s_cbranch_execnz .LBB153_1584
.LBB153_1566:
	s_or_b64 exec, exec, s[10:11]
	s_and_saveexec_b64 s[10:11], s[8:9]
	s_cbranch_execz .LBB153_1568
.LBB153_1567:
	v_lshlrev_b32_e32 v7, 24, v5
	v_and_b32_e32 v5, 0xffff, v5
	v_and_b32_e32 v10, 7, v5
	v_ffbh_u32_e32 v13, v10
	v_min_u32_e32 v13, 32, v13
	v_subrev_u32_e32 v14, 28, v13
	v_bfe_u32 v11, v5, 3, 4
	v_lshlrev_b32_e32 v5, v14, v5
	v_sub_u32_e32 v13, 29, v13
	v_and_b32_e32 v5, 7, v5
	v_cmp_eq_u32_e32 vcc, 0, v11
	v_and_b32_e32 v7, 0x80000000, v7
	s_nop 0
	v_cndmask_b32_e32 v11, v11, v13, vcc
	v_cndmask_b32_e32 v5, v10, v5, vcc
	v_mov_b32_e32 v10, 0x3b800000
	v_lshlrev_b32_e32 v5, 20, v5
	v_lshl_add_u32 v10, v11, 23, v10
	v_or3_b32 v7, v7, v10, v5
.LBB153_1568:
	s_or_b64 exec, exec, s[10:11]
	v_bfe_u32 v5, v7, 16, 1
	s_movk_i32 s8, 0x7fff
	v_add3_u32 v5, v7, v5, s8
	v_cmp_o_f32_e32 vcc, v7, v7
	v_mov_b32_e32 v7, 0x7fc0
	s_nop 0
	v_cndmask_b32_sdwa v10, v7, v5, vcc dst_sel:DWORD dst_unused:UNUSED_PAD src0_sel:DWORD src1_sel:WORD_1
.LBB153_1569:
	s_mov_b64 s[8:9], -1
.LBB153_1570:
	s_mov_b64 s[10:11], 0
.LBB153_1571:
	s_and_b64 vcc, exec, s[10:11]
	s_cbranch_vccz .LBB153_1604
; %bb.1572:
	s_cmp_gt_i32 s14, 22
	s_cbranch_scc0 .LBB153_1582
; %bb.1573:
	s_cmp_lt_i32 s14, 24
	s_cbranch_scc1 .LBB153_1585
; %bb.1574:
	s_cmp_gt_i32 s14, 24
	s_cbranch_scc0 .LBB153_1586
; %bb.1575:
	global_load_ubyte v5, v[8:9], off
	s_movk_i32 s6, 0x7f
	s_waitcnt vmcnt(0)
	v_cmp_lt_i16_e32 vcc, s6, v5
	s_mov_b64 s[6:7], 0
	s_and_saveexec_b64 s[8:9], vcc
	s_xor_b64 s[8:9], exec, s[8:9]
	s_cbranch_execz .LBB153_1598
; %bb.1576:
	s_movk_i32 s6, 0x80
	v_cmp_eq_u16_e32 vcc, s6, v5
	s_mov_b64 s[6:7], -1
	s_and_saveexec_b64 s[10:11], vcc
; %bb.1577:
	s_xor_b64 s[6:7], exec, -1
; %bb.1578:
	s_or_b64 exec, exec, s[10:11]
	s_and_b64 s[6:7], s[6:7], exec
	s_or_saveexec_b64 s[8:9], s[8:9]
	v_mov_b32_e32 v7, 0x7f800001
	s_xor_b64 exec, exec, s[8:9]
	s_cbranch_execnz .LBB153_1599
.LBB153_1579:
	s_or_b64 exec, exec, s[8:9]
	s_and_saveexec_b64 s[8:9], s[6:7]
	s_cbranch_execz .LBB153_1581
.LBB153_1580:
	v_lshlrev_b32_e32 v7, 24, v5
	v_and_b32_e32 v5, 0xffff, v5
	v_and_b32_e32 v10, 3, v5
	v_ffbh_u32_e32 v13, v10
	v_min_u32_e32 v13, 32, v13
	v_subrev_u32_e32 v14, 29, v13
	v_bfe_u32 v11, v5, 2, 5
	v_lshlrev_b32_e32 v5, v14, v5
	v_sub_u32_e32 v13, 30, v13
	v_and_b32_e32 v5, 3, v5
	v_cmp_eq_u32_e32 vcc, 0, v11
	v_and_b32_e32 v7, 0x80000000, v7
	s_nop 0
	v_cndmask_b32_e32 v11, v11, v13, vcc
	v_cndmask_b32_e32 v5, v10, v5, vcc
	v_mov_b32_e32 v10, 0x37800000
	v_lshlrev_b32_e32 v5, 21, v5
	v_lshl_add_u32 v10, v11, 23, v10
	v_or3_b32 v7, v7, v10, v5
.LBB153_1581:
	s_or_b64 exec, exec, s[8:9]
	v_bfe_u32 v5, v7, 16, 1
	s_movk_i32 s6, 0x7fff
	v_add3_u32 v5, v7, v5, s6
	v_cmp_o_f32_e32 vcc, v7, v7
	v_mov_b32_e32 v7, 0x7fc0
	s_mov_b64 s[6:7], 0
	v_cndmask_b32_sdwa v10, v7, v5, vcc dst_sel:DWORD dst_unused:UNUSED_PAD src0_sel:DWORD src1_sel:WORD_1
	s_branch .LBB153_1587
.LBB153_1582:
	s_mov_b64 s[6:7], -1
                                        ; implicit-def: $vgpr10
	s_branch .LBB153_1593
.LBB153_1583:
	s_or_saveexec_b64 s[10:11], s[10:11]
	v_mov_b32_e32 v7, 0x7f800001
	s_xor_b64 exec, exec, s[10:11]
	s_cbranch_execz .LBB153_1566
.LBB153_1584:
	v_cmp_ne_u16_e32 vcc, 0, v5
	s_andn2_b64 s[8:9], s[8:9], exec
	s_and_b64 s[12:13], vcc, exec
	v_mov_b32_e32 v7, 0
	s_or_b64 s[8:9], s[8:9], s[12:13]
	s_or_b64 exec, exec, s[10:11]
	s_and_saveexec_b64 s[10:11], s[8:9]
	s_cbranch_execnz .LBB153_1567
	s_branch .LBB153_1568
.LBB153_1585:
	s_mov_b64 s[6:7], -1
                                        ; implicit-def: $vgpr10
	s_branch .LBB153_1590
.LBB153_1586:
	s_mov_b64 s[6:7], -1
                                        ; implicit-def: $vgpr10
.LBB153_1587:
	s_and_b64 vcc, exec, s[6:7]
	s_cbranch_vccz .LBB153_1589
; %bb.1588:
	global_load_ubyte v5, v[8:9], off
	s_mov_b32 s6, 0x7f800000
	s_brev_b32 s7, 1
	s_movk_i32 s8, 0x7fff
	s_waitcnt vmcnt(0)
	v_lshlrev_b32_e32 v5, 24, v5
	v_and_b32_e32 v7, 0x7f000000, v5
	v_ffbh_u32_e32 v10, v7
	v_min_u32_e32 v10, 32, v10
	v_sub_u32_e64 v10, v10, 4 clamp
	v_lshlrev_b32_e32 v13, v10, v7
	v_lshlrev_b32_e32 v10, 23, v10
	v_lshrrev_b32_e32 v13, 4, v13
	v_add_u32_e32 v11, 0x1000000, v7
	v_sub_u32_e32 v10, v13, v10
	v_ashrrev_i32_e32 v11, 8, v11
	v_add_u32_e32 v10, 0x3c000000, v10
	v_and_or_b32 v10, v11, s6, v10
	v_cmp_ne_u32_e32 vcc, 0, v7
	s_nop 1
	v_cndmask_b32_e32 v7, 0, v10, vcc
	v_and_or_b32 v5, v5, s7, v7
	v_bfe_u32 v7, v7, 16, 1
	v_add3_u32 v7, v5, v7, s8
	v_cmp_o_f32_e32 vcc, v5, v5
	v_mov_b32_e32 v5, 0x7fc0
	s_nop 0
	v_cndmask_b32_sdwa v10, v5, v7, vcc dst_sel:DWORD dst_unused:UNUSED_PAD src0_sel:DWORD src1_sel:WORD_1
.LBB153_1589:
	s_mov_b64 s[6:7], 0
.LBB153_1590:
	s_andn2_b64 vcc, exec, s[6:7]
	s_cbranch_vccnz .LBB153_1592
; %bb.1591:
	global_load_ubyte v5, v[8:9], off
	s_movk_i32 s6, 0x7f00
	s_brev_b32 s7, 16
	s_brev_b32 s8, 1
	s_movk_i32 s9, 0x7fff
	s_waitcnt vmcnt(0)
	v_lshlrev_b16_e32 v7, 8, v5
	v_lshlrev_b32_e32 v5, 25, v5
	v_lshrrev_b32_e32 v10, 4, v5
	v_and_or_b32 v11, v7, s6, 0.5
	v_or_b32_e32 v10, 0x70000000, v10
	v_add_f32_e32 v11, -0.5, v11
	v_mul_f32_e32 v10, 0x7800000, v10
	v_cmp_gt_u32_e32 vcc, s7, v5
	v_bfe_i32 v7, v7, 0, 16
	s_nop 0
	v_cndmask_b32_e32 v5, v10, v11, vcc
	v_and_or_b32 v7, v7, s8, v5
	v_bfe_u32 v5, v5, 16, 1
	v_add3_u32 v5, v7, v5, s9
	v_cmp_o_f32_e32 vcc, v7, v7
	v_mov_b32_e32 v7, 0x7fc0
	s_nop 0
	v_cndmask_b32_sdwa v10, v7, v5, vcc dst_sel:DWORD dst_unused:UNUSED_PAD src0_sel:DWORD src1_sel:WORD_1
.LBB153_1592:
	s_mov_b64 s[6:7], 0
	s_mov_b64 s[8:9], -1
.LBB153_1593:
	s_andn2_b64 vcc, exec, s[6:7]
	s_mov_b64 s[6:7], 0
	s_cbranch_vccnz .LBB153_1604
; %bb.1594:
	s_cmp_gt_i32 s14, 14
	s_cbranch_scc0 .LBB153_1597
; %bb.1595:
	s_cmp_eq_u32 s14, 15
	s_cbranch_scc0 .LBB153_1600
; %bb.1596:
	global_load_ushort v10, v[8:9], off
	s_mov_b64 s[0:1], 0
	s_mov_b64 s[8:9], -1
	s_branch .LBB153_1601
.LBB153_1597:
	s_mov_b64 s[10:11], -1
                                        ; implicit-def: $vgpr10
	s_branch .LBB153_1602
.LBB153_1598:
	s_or_saveexec_b64 s[8:9], s[8:9]
	v_mov_b32_e32 v7, 0x7f800001
	s_xor_b64 exec, exec, s[8:9]
	s_cbranch_execz .LBB153_1579
.LBB153_1599:
	v_cmp_ne_u16_e32 vcc, 0, v5
	s_andn2_b64 s[6:7], s[6:7], exec
	s_and_b64 s[10:11], vcc, exec
	v_mov_b32_e32 v7, 0
	s_or_b64 s[6:7], s[6:7], s[10:11]
	s_or_b64 exec, exec, s[8:9]
	s_and_saveexec_b64 s[8:9], s[6:7]
	s_cbranch_execnz .LBB153_1580
	s_branch .LBB153_1581
.LBB153_1600:
	s_mov_b64 s[0:1], -1
                                        ; implicit-def: $vgpr10
.LBB153_1601:
	s_mov_b64 s[10:11], 0
.LBB153_1602:
	s_and_b64 vcc, exec, s[10:11]
	s_cbranch_vccz .LBB153_1604
; %bb.1603:
	s_cmp_lg_u32 s14, 11
	s_mov_b64 s[6:7], -1
	s_cselect_b64 s[0:1], -1, 0
.LBB153_1604:
	s_and_b64 vcc, exec, s[0:1]
	s_cbranch_vccnz .LBB153_2137
; %bb.1605:
	s_andn2_b64 vcc, exec, s[6:7]
	s_cbranch_vccnz .LBB153_1607
.LBB153_1606:
	global_load_ubyte v5, v[8:9], off
	s_mov_b64 s[8:9], -1
	s_waitcnt vmcnt(0)
	v_cmp_ne_u16_e32 vcc, 0, v5
	s_nop 1
	v_cndmask_b32_e64 v5, 0, 1.0, vcc
	v_lshrrev_b32_e32 v10, 16, v5
.LBB153_1607:
	s_mov_b64 s[0:1], 0
.LBB153_1608:
	s_and_b64 vcc, exec, s[0:1]
	s_cbranch_vccz .LBB153_1657
; %bb.1609:
	s_and_b32 s6, 0xffff, s17
	s_cmp_lt_i32 s6, 5
	s_cbranch_scc1 .LBB153_1614
; %bb.1610:
	s_cmp_lt_i32 s6, 8
	s_cbranch_scc1 .LBB153_1615
; %bb.1611:
	;; [unrolled: 3-line block ×3, first 2 shown]
	s_cmp_gt_i32 s6, 9
	s_cbranch_scc0 .LBB153_1617
; %bb.1613:
	global_load_dwordx2 v[10:11], v[8:9], off
	s_movk_i32 s0, 0x7fff
	v_mov_b32_e32 v5, 0x7fc0
	s_waitcnt vmcnt(0)
	v_cvt_f32_f64_e32 v7, v[10:11]
	v_bfe_u32 v10, v7, 16, 1
	v_cmp_o_f32_e32 vcc, v7, v7
	v_add3_u32 v7, v7, v10, s0
	s_mov_b64 s[0:1], 0
	v_cndmask_b32_sdwa v10, v5, v7, vcc dst_sel:DWORD dst_unused:UNUSED_PAD src0_sel:DWORD src1_sel:WORD_1
	s_branch .LBB153_1618
.LBB153_1614:
	s_mov_b64 s[0:1], -1
                                        ; implicit-def: $vgpr10
	s_branch .LBB153_1636
.LBB153_1615:
	s_mov_b64 s[0:1], -1
                                        ; implicit-def: $vgpr10
	s_branch .LBB153_1624
.LBB153_1616:
	s_mov_b64 s[0:1], -1
                                        ; implicit-def: $vgpr10
	s_branch .LBB153_1621
.LBB153_1617:
	s_mov_b64 s[0:1], -1
                                        ; implicit-def: $vgpr10
.LBB153_1618:
	s_andn2_b64 vcc, exec, s[0:1]
	s_cbranch_vccnz .LBB153_1620
; %bb.1619:
	global_load_dword v5, v[8:9], off
	s_movk_i32 s0, 0x7fff
	v_mov_b32_e32 v7, 0x7fc0
	s_waitcnt vmcnt(0)
	v_bfe_u32 v10, v5, 16, 1
	v_cmp_o_f32_e32 vcc, v5, v5
	v_add3_u32 v5, v5, v10, s0
	s_nop 0
	v_cndmask_b32_sdwa v10, v7, v5, vcc dst_sel:DWORD dst_unused:UNUSED_PAD src0_sel:DWORD src1_sel:WORD_1
.LBB153_1620:
	s_mov_b64 s[0:1], 0
.LBB153_1621:
	s_andn2_b64 vcc, exec, s[0:1]
	s_cbranch_vccnz .LBB153_1623
; %bb.1622:
	global_load_dword v5, v[8:9], off
	s_movk_i32 s0, 0x7fff
	s_waitcnt vmcnt(1)
	v_mov_b32_e32 v10, 0x7fc0
	s_waitcnt vmcnt(0)
	v_cvt_f32_f16_e32 v7, v5
	v_cmp_o_f16_e32 vcc, v5, v5
	v_bfe_u32 v5, v7, 16, 1
	v_add3_u32 v5, v7, v5, s0
	v_cndmask_b32_sdwa v10, v10, v5, vcc dst_sel:DWORD dst_unused:UNUSED_PAD src0_sel:DWORD src1_sel:WORD_1
.LBB153_1623:
	s_mov_b64 s[0:1], 0
.LBB153_1624:
	s_andn2_b64 vcc, exec, s[0:1]
	s_cbranch_vccnz .LBB153_1635
; %bb.1625:
	s_cmp_lt_i32 s6, 6
	s_cbranch_scc1 .LBB153_1628
; %bb.1626:
	s_cmp_gt_i32 s6, 6
	s_cbranch_scc0 .LBB153_1629
; %bb.1627:
	global_load_dwordx2 v[10:11], v[8:9], off
	s_movk_i32 s0, 0x7fff
	v_mov_b32_e32 v5, 0x7fc0
	s_waitcnt vmcnt(0)
	v_cvt_f32_f64_e32 v7, v[10:11]
	v_bfe_u32 v10, v7, 16, 1
	v_cmp_o_f32_e32 vcc, v7, v7
	v_add3_u32 v7, v7, v10, s0
	s_mov_b64 s[0:1], 0
	v_cndmask_b32_sdwa v10, v5, v7, vcc dst_sel:DWORD dst_unused:UNUSED_PAD src0_sel:DWORD src1_sel:WORD_1
	s_branch .LBB153_1630
.LBB153_1628:
	s_mov_b64 s[0:1], -1
                                        ; implicit-def: $vgpr10
	s_branch .LBB153_1633
.LBB153_1629:
	s_mov_b64 s[0:1], -1
                                        ; implicit-def: $vgpr10
.LBB153_1630:
	s_andn2_b64 vcc, exec, s[0:1]
	s_cbranch_vccnz .LBB153_1632
; %bb.1631:
	global_load_dword v5, v[8:9], off
	s_movk_i32 s0, 0x7fff
	v_mov_b32_e32 v7, 0x7fc0
	s_waitcnt vmcnt(0)
	v_bfe_u32 v10, v5, 16, 1
	v_cmp_o_f32_e32 vcc, v5, v5
	v_add3_u32 v5, v5, v10, s0
	s_nop 0
	v_cndmask_b32_sdwa v10, v7, v5, vcc dst_sel:DWORD dst_unused:UNUSED_PAD src0_sel:DWORD src1_sel:WORD_1
.LBB153_1632:
	s_mov_b64 s[0:1], 0
.LBB153_1633:
	s_andn2_b64 vcc, exec, s[0:1]
	s_cbranch_vccnz .LBB153_1635
; %bb.1634:
	global_load_ushort v5, v[8:9], off
	s_movk_i32 s0, 0x7fff
	s_waitcnt vmcnt(1)
	v_mov_b32_e32 v10, 0x7fc0
	s_waitcnt vmcnt(0)
	v_cvt_f32_f16_e32 v7, v5
	v_cmp_o_f16_e32 vcc, v5, v5
	v_bfe_u32 v5, v7, 16, 1
	v_add3_u32 v5, v7, v5, s0
	v_cndmask_b32_sdwa v10, v10, v5, vcc dst_sel:DWORD dst_unused:UNUSED_PAD src0_sel:DWORD src1_sel:WORD_1
.LBB153_1635:
	s_mov_b64 s[0:1], 0
.LBB153_1636:
	s_andn2_b64 vcc, exec, s[0:1]
	s_cbranch_vccnz .LBB153_1656
; %bb.1637:
	s_cmp_lt_i32 s6, 2
	s_cbranch_scc1 .LBB153_1641
; %bb.1638:
	s_cmp_lt_i32 s6, 3
	s_cbranch_scc1 .LBB153_1642
; %bb.1639:
	s_cmp_gt_i32 s6, 3
	s_cbranch_scc0 .LBB153_1643
; %bb.1640:
	global_load_dwordx2 v[10:11], v[8:9], off
	s_movk_i32 s0, 0x7fff
	s_waitcnt vmcnt(0)
	v_xor_b32_e32 v7, v10, v11
	v_ffbh_i32_e32 v5, v11
	v_ashrrev_i32_e32 v7, 31, v7
	v_add_u32_e32 v5, -1, v5
	v_add_u32_e32 v7, 32, v7
	v_min_u32_e32 v5, v5, v7
	v_lshlrev_b64 v[10:11], v5, v[10:11]
	v_min_u32_e32 v7, 1, v10
	v_or_b32_e32 v7, v11, v7
	v_cvt_f32_i32_e32 v7, v7
	v_sub_u32_e32 v5, 32, v5
	v_ldexp_f32 v5, v7, v5
	v_bfe_u32 v7, v5, 16, 1
	v_add3_u32 v5, v5, v7, s0
	v_lshrrev_b32_e32 v10, 16, v5
	s_mov_b64 s[0:1], 0
	s_branch .LBB153_1644
.LBB153_1641:
	s_mov_b64 s[0:1], -1
                                        ; implicit-def: $vgpr10
	s_branch .LBB153_1650
.LBB153_1642:
	s_mov_b64 s[0:1], -1
                                        ; implicit-def: $vgpr10
	s_branch .LBB153_1647
.LBB153_1643:
	s_mov_b64 s[0:1], -1
                                        ; implicit-def: $vgpr10
.LBB153_1644:
	s_andn2_b64 vcc, exec, s[0:1]
	s_cbranch_vccnz .LBB153_1646
; %bb.1645:
	global_load_dword v5, v[8:9], off
	s_movk_i32 s0, 0x7fff
	s_waitcnt vmcnt(0)
	v_cvt_f32_i32_e32 v5, v5
	v_bfe_u32 v7, v5, 16, 1
	v_add3_u32 v5, v5, v7, s0
	v_lshrrev_b32_e32 v10, 16, v5
.LBB153_1646:
	s_mov_b64 s[0:1], 0
.LBB153_1647:
	s_andn2_b64 vcc, exec, s[0:1]
	s_cbranch_vccnz .LBB153_1649
; %bb.1648:
	global_load_sshort v5, v[8:9], off
	s_movk_i32 s0, 0x7fff
	s_waitcnt vmcnt(0)
	v_cvt_f32_i32_e32 v5, v5
	v_bfe_u32 v7, v5, 16, 1
	v_add3_u32 v5, v5, v7, s0
	v_lshrrev_b32_e32 v10, 16, v5
.LBB153_1649:
	s_mov_b64 s[0:1], 0
.LBB153_1650:
	s_andn2_b64 vcc, exec, s[0:1]
	s_cbranch_vccnz .LBB153_1656
; %bb.1651:
	s_cmp_gt_i32 s6, 0
	s_cbranch_scc0 .LBB153_1653
; %bb.1652:
	global_load_sbyte v5, v[8:9], off
	s_movk_i32 s0, 0x7fff
	s_waitcnt vmcnt(0)
	v_cvt_f32_i32_e32 v5, v5
	v_bfe_u32 v7, v5, 16, 1
	v_add3_u32 v5, v5, v7, s0
	v_lshrrev_b32_e32 v10, 16, v5
	s_mov_b64 s[0:1], 0
	s_branch .LBB153_1654
.LBB153_1653:
	s_mov_b64 s[0:1], -1
                                        ; implicit-def: $vgpr10
.LBB153_1654:
	s_andn2_b64 vcc, exec, s[0:1]
	s_cbranch_vccnz .LBB153_1656
; %bb.1655:
	global_load_ubyte v5, v[8:9], off
	s_movk_i32 s0, 0x7fff
	s_waitcnt vmcnt(0)
	v_cvt_f32_ubyte0_e32 v5, v5
	v_bfe_u32 v7, v5, 16, 1
	v_add3_u32 v5, v5, v7, s0
	v_lshrrev_b32_e32 v10, 16, v5
.LBB153_1656:
	s_mov_b64 s[8:9], -1
.LBB153_1657:
	s_andn2_b64 vcc, exec, s[8:9]
	s_cbranch_vccnz .LBB153_2091
; %bb.1658:
	s_waitcnt vmcnt(0)
	v_lshlrev_b32_e32 v1, 16, v1
	v_mul_f32_e32 v5, 0x3fb8aa3b, v1
	v_rndne_f32_e32 v5, v5
	v_fmamk_f32 v7, v5, 0xbf317218, v1
	v_fmamk_f32 v7, v5, 0x3102e308, v7
	v_mov_b32_e32 v8, 0x3ab69700
	v_fmac_f32_e32 v8, 0x395133b1, v7
	v_fmaak_f32 v8, v7, v8, 0x3c0887f9
	v_fmaak_f32 v8, v7, v8, 0x3d2aaa81
	v_cvt_i32_f32_e32 v9, v5
	v_fmaak_f32 v8, v7, v8, 0x3e2aaaab
	v_fma_f32 v8, v7, v8, 0.5
	v_mul_f32_e32 v8, v7, v8
	s_mov_b32 s0, 0x43000000
	v_fmac_f32_e32 v7, v7, v8
	v_ldexp_f32 v8, 1.0, v9
	v_mov_b32_e32 v9, 0x7f000000
	v_cmp_eq_f32_e32 vcc, s0, v5
	s_mov_b32 s0, 0x42b17217
	s_bfe_u32 s14, s16, 0x80008
	v_cndmask_b32_e32 v5, v8, v9, vcc
	v_add_f32_e32 v8, -1.0, v5
	v_fmac_f32_e32 v8, v5, v7
	v_add_f32_e32 v5, v8, v8
	v_cndmask_b32_e32 v5, v8, v5, vcc
	v_mov_b32_e32 v7, 0x7f800000
	v_cmp_nlt_f32_e32 vcc, s0, v1
	s_mov_b32 s0, 0xc1880000
	s_cmp_lt_i32 s14, 11
	v_cndmask_b32_e32 v5, v7, v5, vcc
	v_cmp_ngt_f32_e32 vcc, s0, v1
	s_movk_i32 s0, 0x7fff
	v_mov_b32_e32 v7, 0
	v_cndmask_b32_e32 v1, -1.0, v5, vcc
	v_bfe_u32 v5, v1, 16, 1
	v_add3_u32 v5, v1, v5, s0
	v_cmp_o_f32_e32 vcc, v1, v1
	v_mov_b32_e32 v1, 0x7fc0
	v_lshl_add_u64 v[6:7], s[4:5], 0, v[6:7]
	v_cndmask_b32_sdwa v1, v1, v5, vcc dst_sel:DWORD dst_unused:UNUSED_PAD src0_sel:DWORD src1_sel:WORD_1
	s_cbranch_scc1 .LBB153_1736
; %bb.1659:
	s_and_b32 s15, 0xffff, s14
	s_mov_b64 s[10:11], -1
	s_mov_b64 s[6:7], 0
	s_cmp_gt_i32 s15, 25
	s_mov_b64 s[8:9], 0
	s_mov_b64 s[0:1], 0
	s_cbranch_scc0 .LBB153_1692
; %bb.1660:
	s_cmp_gt_i32 s15, 28
	s_cbranch_scc0 .LBB153_1675
; %bb.1661:
	s_cmp_gt_i32 s15, 43
	;; [unrolled: 3-line block ×3, first 2 shown]
	s_cbranch_scc0 .LBB153_1665
; %bb.1663:
	s_mov_b64 s[0:1], -1
	s_mov_b64 s[10:11], 0
	s_cmp_eq_u32 s15, 46
	s_cbranch_scc0 .LBB153_1665
; %bb.1664:
	v_and_b32_e32 v5, 0xffff, v1
	global_store_dword v[6:7], v5, off
	s_mov_b64 s[0:1], 0
	s_mov_b64 s[8:9], -1
.LBB153_1665:
	s_and_b64 vcc, exec, s[10:11]
	s_cbranch_vccz .LBB153_1670
; %bb.1666:
	s_cmp_eq_u32 s15, 44
	s_mov_b64 s[0:1], -1
	s_cbranch_scc0 .LBB153_1670
; %bb.1667:
	v_and_b32_e32 v8, 0xffff, v1
	v_bfe_u32 v5, v8, 7, 8
	s_movk_i32 s0, 0xff
	v_cmp_ne_u32_e32 vcc, s0, v5
	v_mov_b32_e32 v9, 0xff
	s_and_saveexec_b64 s[8:9], vcc
	s_cbranch_execz .LBB153_1669
; %bb.1668:
	v_lshlrev_b32_e32 v11, 16, v8
	s_mov_b32 s0, 0x3f0000
	v_lshrrev_b32_e32 v9, 7, v8
	v_and_b32_e32 v8, 64, v8
	v_and_or_b32 v5, v11, s0, v5
	v_cmp_ne_u32_e32 vcc, 0, v8
	v_cmp_ne_u32_e64 s[0:1], 0, v5
	s_and_b64 s[0:1], vcc, s[0:1]
	s_nop 0
	v_cndmask_b32_e64 v5, 0, 1, s[0:1]
	v_add_u32_e32 v9, v9, v5
.LBB153_1669:
	s_or_b64 exec, exec, s[8:9]
	s_mov_b64 s[0:1], 0
	s_mov_b64 s[8:9], -1
	global_store_byte v[6:7], v9, off
.LBB153_1670:
	s_mov_b64 s[10:11], 0
.LBB153_1671:
	s_and_b64 vcc, exec, s[10:11]
	s_cbranch_vccz .LBB153_1674
; %bb.1672:
	s_cmp_eq_u32 s15, 29
	s_mov_b64 s[0:1], -1
	s_cbranch_scc0 .LBB153_1674
; %bb.1673:
	v_lshlrev_b32_e32 v5, 16, v1
	v_trunc_f32_e32 v5, v5
	v_mul_f32_e32 v8, 0x2f800000, v5
	v_floor_f32_e32 v8, v8
	v_fmamk_f32 v5, v8, 0xcf800000, v5
	v_cvt_u32_f32_e32 v9, v8
	v_cvt_u32_f32_e32 v8, v5
	s_mov_b64 s[0:1], 0
	s_mov_b64 s[8:9], -1
	global_store_dwordx2 v[6:7], v[8:9], off
.LBB153_1674:
	s_mov_b64 s[10:11], 0
.LBB153_1675:
	s_and_b64 vcc, exec, s[10:11]
	s_cbranch_vccz .LBB153_1691
; %bb.1676:
	s_cmp_lt_i32 s15, 27
	s_mov_b64 s[8:9], -1
	s_cbranch_scc1 .LBB153_1682
; %bb.1677:
	s_cmp_gt_i32 s15, 27
	s_cbranch_scc0 .LBB153_1679
; %bb.1678:
	v_lshlrev_b32_e32 v5, 16, v1
	v_cvt_u32_f32_e32 v5, v5
	s_mov_b64 s[8:9], 0
	global_store_dword v[6:7], v5, off
.LBB153_1679:
	s_andn2_b64 vcc, exec, s[8:9]
	s_cbranch_vccnz .LBB153_1681
; %bb.1680:
	v_lshlrev_b32_e32 v5, 16, v1
	v_cvt_u32_f32_e32 v5, v5
	global_store_short v[6:7], v5, off
.LBB153_1681:
	s_mov_b64 s[8:9], 0
.LBB153_1682:
	s_andn2_b64 vcc, exec, s[8:9]
	s_cbranch_vccnz .LBB153_1690
; %bb.1683:
	v_lshlrev_b32_e32 v9, 16, v1
	v_and_b32_e32 v8, 0x7fffffff, v9
	s_mov_b32 s8, 0x43800000
	v_cmp_gt_u32_e32 vcc, s8, v8
	v_mov_b32_e32 v11, 0x80
	s_and_saveexec_b64 s[8:9], vcc
	s_cbranch_execz .LBB153_1689
; %bb.1684:
	s_mov_b32 s10, 0x3bffffff
	v_and_b32_e32 v5, 0xffff, v1
	v_cmp_lt_u32_e32 vcc, s10, v8
	s_mov_b64 s[10:11], 0
                                        ; implicit-def: $vgpr8
	s_and_saveexec_b64 s[12:13], vcc
	s_xor_b64 s[12:13], exec, s[12:13]
	s_cbranch_execz .LBB153_2138
; %bb.1685:
	v_bfe_u32 v8, v5, 4, 1
	s_mov_b32 s17, 0x487ffff
	v_add3_u32 v8, v9, v8, s17
	s_mov_b64 s[10:11], exec
	v_lshrrev_b32_e32 v8, 20, v8
                                        ; implicit-def: $vgpr9
	s_andn2_saveexec_b64 s[12:13], s[12:13]
	s_cbranch_execnz .LBB153_2139
.LBB153_1686:
	s_or_b64 exec, exec, s[12:13]
	v_mov_b32_e32 v11, 0
	s_and_saveexec_b64 s[12:13], s[10:11]
.LBB153_1687:
	v_lshrrev_b32_e32 v5, 8, v5
	s_movk_i32 s10, 0x80
	v_and_or_b32 v11, v5, s10, v8
.LBB153_1688:
	s_or_b64 exec, exec, s[12:13]
.LBB153_1689:
	s_or_b64 exec, exec, s[8:9]
	global_store_byte v[6:7], v11, off
.LBB153_1690:
	s_mov_b64 s[8:9], -1
.LBB153_1691:
	s_mov_b64 s[10:11], 0
.LBB153_1692:
	s_and_b64 vcc, exec, s[10:11]
	s_cbranch_vccz .LBB153_1732
; %bb.1693:
	s_cmp_gt_i32 s15, 22
	s_mov_b64 s[6:7], -1
	s_cbranch_scc0 .LBB153_1725
; %bb.1694:
	s_cmp_lt_i32 s15, 24
	s_cbranch_scc1 .LBB153_1714
; %bb.1695:
	s_cmp_gt_i32 s15, 24
	s_cbranch_scc0 .LBB153_1703
; %bb.1696:
	v_lshlrev_b32_e32 v9, 16, v1
	v_and_b32_e32 v8, 0x7fffffff, v9
	s_mov_b32 s6, 0x47800000
	v_cmp_gt_u32_e32 vcc, s6, v8
	v_mov_b32_e32 v11, 0x80
	s_and_saveexec_b64 s[6:7], vcc
	s_cbranch_execz .LBB153_1702
; %bb.1697:
	s_mov_b32 s8, 0x37ffffff
	v_and_b32_e32 v5, 0xffff, v1
	v_cmp_lt_u32_e32 vcc, s8, v8
	s_mov_b64 s[8:9], 0
                                        ; implicit-def: $vgpr8
	s_and_saveexec_b64 s[10:11], vcc
	s_xor_b64 s[10:11], exec, s[10:11]
	s_cbranch_execz .LBB153_2141
; %bb.1698:
	v_bfe_u32 v8, v5, 5, 1
	s_mov_b32 s12, 0x88fffff
	v_add3_u32 v8, v9, v8, s12
	s_mov_b64 s[8:9], exec
	v_lshrrev_b32_e32 v8, 21, v8
                                        ; implicit-def: $vgpr9
	s_andn2_saveexec_b64 s[10:11], s[10:11]
	s_cbranch_execnz .LBB153_2142
.LBB153_1699:
	s_or_b64 exec, exec, s[10:11]
	v_mov_b32_e32 v11, 0
	s_and_saveexec_b64 s[10:11], s[8:9]
.LBB153_1700:
	v_lshrrev_b32_e32 v5, 8, v5
	s_movk_i32 s8, 0x80
	v_and_or_b32 v11, v5, s8, v8
.LBB153_1701:
	s_or_b64 exec, exec, s[10:11]
.LBB153_1702:
	s_or_b64 exec, exec, s[6:7]
	s_mov_b64 s[6:7], 0
	global_store_byte v[6:7], v11, off
.LBB153_1703:
	s_and_b64 vcc, exec, s[6:7]
	s_cbranch_vccz .LBB153_1713
; %bb.1704:
	v_lshlrev_b32_e32 v9, 16, v1
	v_and_b32_e32 v11, 0x7fffffff, v9
	s_mov_b32 s6, 0x43f00000
	v_and_b32_e32 v5, 0xffff, v1
	v_cmp_gt_u32_e32 vcc, s6, v11
                                        ; implicit-def: $vgpr8
	s_and_saveexec_b64 s[6:7], vcc
	s_xor_b64 s[6:7], exec, s[6:7]
	s_cbranch_execz .LBB153_1710
; %bb.1705:
	s_mov_b32 s8, 0x3c7fffff
	v_cmp_lt_u32_e32 vcc, s8, v11
                                        ; implicit-def: $vgpr8
	s_and_saveexec_b64 s[8:9], vcc
	s_xor_b64 s[8:9], exec, s[8:9]
; %bb.1706:
	v_bfe_u32 v8, v5, 4, 1
	s_mov_b32 s10, 0x407ffff
	v_add3_u32 v8, v9, v8, s10
	v_lshrrev_b32_e32 v9, 20, v8
	v_and_b32_e32 v8, 0xff00000, v8
	s_mov_b32 s10, 0x7f00000
	v_mov_b32_e32 v11, 0x7e
	v_cmp_ne_u32_e32 vcc, s10, v8
	s_nop 1
	v_cndmask_b32_e32 v8, v11, v9, vcc
                                        ; implicit-def: $vgpr9
; %bb.1707:
	s_andn2_saveexec_b64 s[8:9], s[8:9]
; %bb.1708:
	s_mov_b32 s10, 0x46800000
	v_add_f32_e64 v8, |v9|, s10
; %bb.1709:
	s_or_b64 exec, exec, s[8:9]
                                        ; implicit-def: $vgpr11
.LBB153_1710:
	s_andn2_saveexec_b64 s[6:7], s[6:7]
; %bb.1711:
	s_mov_b32 s8, 0x7f800000
	v_mov_b32_e32 v8, 0x7e
	v_mov_b32_e32 v9, 0x7f
	v_cmp_lt_u32_e32 vcc, s8, v11
	s_nop 1
	v_cndmask_b32_e32 v8, v8, v9, vcc
; %bb.1712:
	s_or_b64 exec, exec, s[6:7]
	v_lshrrev_b32_e32 v5, 8, v5
	s_movk_i32 s6, 0x80
	v_and_or_b32 v5, v5, s6, v8
	global_store_byte v[6:7], v5, off
.LBB153_1713:
	s_mov_b64 s[6:7], 0
.LBB153_1714:
	s_andn2_b64 vcc, exec, s[6:7]
	s_cbranch_vccnz .LBB153_1724
; %bb.1715:
	v_lshlrev_b32_e32 v9, 16, v1
	v_and_b32_e32 v11, 0x7fffffff, v9
	s_mov_b32 s6, 0x47800000
	v_and_b32_e32 v5, 0xffff, v1
	v_cmp_gt_u32_e32 vcc, s6, v11
                                        ; implicit-def: $vgpr8
	s_and_saveexec_b64 s[6:7], vcc
	s_xor_b64 s[6:7], exec, s[6:7]
	s_cbranch_execz .LBB153_1721
; %bb.1716:
	s_mov_b32 s8, 0x387fffff
	v_cmp_lt_u32_e32 vcc, s8, v11
                                        ; implicit-def: $vgpr8
	s_and_saveexec_b64 s[8:9], vcc
	s_xor_b64 s[8:9], exec, s[8:9]
; %bb.1717:
	v_bfe_u32 v8, v5, 5, 1
	s_mov_b32 s10, 0x80fffff
	v_add3_u32 v8, v9, v8, s10
	v_lshrrev_b32_e32 v8, 21, v8
                                        ; implicit-def: $vgpr9
; %bb.1718:
	s_andn2_saveexec_b64 s[8:9], s[8:9]
; %bb.1719:
	s_mov_b32 s10, 0x43000000
	v_add_f32_e64 v8, |v9|, s10
; %bb.1720:
	s_or_b64 exec, exec, s[8:9]
                                        ; implicit-def: $vgpr11
.LBB153_1721:
	s_andn2_saveexec_b64 s[6:7], s[6:7]
; %bb.1722:
	s_mov_b32 s8, 0x7f800000
	v_mov_b32_e32 v8, 0x7c
	v_mov_b32_e32 v9, 0x7f
	v_cmp_lt_u32_e32 vcc, s8, v11
	s_nop 1
	v_cndmask_b32_e32 v8, v8, v9, vcc
; %bb.1723:
	s_or_b64 exec, exec, s[6:7]
	v_lshrrev_b32_e32 v5, 8, v5
	s_movk_i32 s6, 0x80
	v_and_or_b32 v5, v5, s6, v8
	global_store_byte v[6:7], v5, off
.LBB153_1724:
	s_mov_b64 s[6:7], 0
	s_mov_b64 s[8:9], -1
.LBB153_1725:
	s_andn2_b64 vcc, exec, s[6:7]
	s_mov_b64 s[6:7], 0
	s_cbranch_vccnz .LBB153_1732
; %bb.1726:
	s_cmp_gt_i32 s15, 14
	s_mov_b64 s[10:11], -1
	s_cbranch_scc0 .LBB153_1730
; %bb.1727:
	s_cmp_eq_u32 s15, 15
	s_mov_b64 s[0:1], -1
	s_cbranch_scc0 .LBB153_1729
; %bb.1728:
	global_store_short v[6:7], v1, off
	s_mov_b64 s[0:1], 0
	s_mov_b64 s[8:9], -1
.LBB153_1729:
	s_mov_b64 s[10:11], 0
.LBB153_1730:
	s_and_b64 vcc, exec, s[10:11]
	s_cbranch_vccz .LBB153_1732
; %bb.1731:
	s_cmp_lg_u32 s15, 11
	s_mov_b64 s[6:7], -1
	s_cselect_b64 s[0:1], -1, 0
.LBB153_1732:
	s_and_b64 vcc, exec, s[0:1]
	s_cbranch_vccnz .LBB153_2140
; %bb.1733:
	s_andn2_b64 vcc, exec, s[6:7]
	s_cbranch_vccnz .LBB153_1735
.LBB153_1734:
	v_and_b32_e32 v5, 0x7fff, v1
	v_cmp_ne_u16_e32 vcc, 0, v5
	s_mov_b64 s[8:9], -1
	s_nop 0
	v_cndmask_b32_e64 v5, 0, 1, vcc
	global_store_byte v[6:7], v5, off
.LBB153_1735:
	s_mov_b64 s[0:1], 0
	s_branch .LBB153_1737
.LBB153_1736:
	s_mov_b64 s[0:1], -1
	s_mov_b64 s[8:9], 0
.LBB153_1737:
	s_and_b64 vcc, exec, s[0:1]
	s_cbranch_vccz .LBB153_1776
; %bb.1738:
	s_and_b32 s6, 0xffff, s14
	s_cmp_lt_i32 s6, 5
	s_mov_b64 s[0:1], -1
	s_cbranch_scc1 .LBB153_1759
; %bb.1739:
	s_cmp_lt_i32 s6, 8
	s_cbranch_scc1 .LBB153_1749
; %bb.1740:
	s_cmp_lt_i32 s6, 9
	s_cbranch_scc1 .LBB153_1746
; %bb.1741:
	s_cmp_gt_i32 s6, 9
	s_cbranch_scc0 .LBB153_1743
; %bb.1742:
	v_lshlrev_b32_e32 v5, 16, v1
	v_mov_b32_e32 v16, 0
	v_cvt_f64_f32_e32 v[14:15], v5
	v_mov_b32_e32 v17, v16
	global_store_dwordx4 v[6:7], v[14:17], off
	s_mov_b64 s[0:1], 0
.LBB153_1743:
	s_andn2_b64 vcc, exec, s[0:1]
	s_cbranch_vccnz .LBB153_1745
; %bb.1744:
	v_lshlrev_b32_e32 v8, 16, v1
	v_mov_b32_e32 v9, 0
	global_store_dwordx2 v[6:7], v[8:9], off
.LBB153_1745:
	s_mov_b64 s[0:1], 0
.LBB153_1746:
	s_andn2_b64 vcc, exec, s[0:1]
	s_cbranch_vccnz .LBB153_1748
; %bb.1747:
	v_lshlrev_b32_e32 v5, 16, v1
	v_cvt_f16_f32_e32 v5, v5
	global_store_dword v[6:7], v5, off
.LBB153_1748:
	s_mov_b64 s[0:1], 0
.LBB153_1749:
	s_andn2_b64 vcc, exec, s[0:1]
	s_cbranch_vccnz .LBB153_1758
; %bb.1750:
	s_cmp_lt_i32 s6, 6
	s_mov_b64 s[0:1], -1
	s_cbranch_scc1 .LBB153_1756
; %bb.1751:
	s_cmp_gt_i32 s6, 6
	s_cbranch_scc0 .LBB153_1753
; %bb.1752:
	v_lshlrev_b32_e32 v5, 16, v1
	v_cvt_f64_f32_e32 v[8:9], v5
	global_store_dwordx2 v[6:7], v[8:9], off
	s_mov_b64 s[0:1], 0
.LBB153_1753:
	s_andn2_b64 vcc, exec, s[0:1]
	s_cbranch_vccnz .LBB153_1755
; %bb.1754:
	v_lshlrev_b32_e32 v5, 16, v1
	global_store_dword v[6:7], v5, off
.LBB153_1755:
	s_mov_b64 s[0:1], 0
.LBB153_1756:
	s_andn2_b64 vcc, exec, s[0:1]
	s_cbranch_vccnz .LBB153_1758
; %bb.1757:
	v_lshlrev_b32_e32 v5, 16, v1
	v_cvt_f16_f32_e32 v5, v5
	global_store_short v[6:7], v5, off
.LBB153_1758:
	s_mov_b64 s[0:1], 0
.LBB153_1759:
	s_andn2_b64 vcc, exec, s[0:1]
	s_cbranch_vccnz .LBB153_1775
; %bb.1760:
	s_cmp_lt_i32 s6, 2
	s_mov_b64 s[0:1], -1
	s_cbranch_scc1 .LBB153_1770
; %bb.1761:
	s_cmp_lt_i32 s6, 3
	s_cbranch_scc1 .LBB153_1767
; %bb.1762:
	s_cmp_gt_i32 s6, 3
	s_cbranch_scc0 .LBB153_1764
; %bb.1763:
	v_lshlrev_b32_e32 v5, 16, v1
	v_trunc_f32_e32 v5, v5
	s_mov_b32 s0, 0x2f800000
	v_mul_f32_e64 v8, |v5|, s0
	v_floor_f32_e32 v8, v8
	s_mov_b32 s0, 0xcf800000
	v_cvt_u32_f32_e32 v9, v8
	v_fma_f32 v8, v8, s0, |v5|
	v_cvt_u32_f32_e32 v8, v8
	v_ashrrev_i32_e32 v5, 31, v5
	v_xor_b32_e32 v9, v9, v5
	s_mov_b64 s[0:1], 0
	v_xor_b32_e32 v8, v8, v5
	v_sub_co_u32_e32 v8, vcc, v8, v5
	s_nop 1
	v_subb_co_u32_e32 v9, vcc, v9, v5, vcc
	global_store_dwordx2 v[6:7], v[8:9], off
.LBB153_1764:
	s_andn2_b64 vcc, exec, s[0:1]
	s_cbranch_vccnz .LBB153_1766
; %bb.1765:
	v_lshlrev_b32_e32 v5, 16, v1
	v_cvt_i32_f32_e32 v5, v5
	global_store_dword v[6:7], v5, off
.LBB153_1766:
	s_mov_b64 s[0:1], 0
.LBB153_1767:
	s_andn2_b64 vcc, exec, s[0:1]
	s_cbranch_vccnz .LBB153_1769
; %bb.1768:
	v_lshlrev_b32_e32 v5, 16, v1
	v_cvt_i32_f32_e32 v5, v5
	global_store_short v[6:7], v5, off
.LBB153_1769:
	s_mov_b64 s[0:1], 0
.LBB153_1770:
	s_andn2_b64 vcc, exec, s[0:1]
	s_cbranch_vccnz .LBB153_1775
; %bb.1771:
	s_mov_b64 s[0:1], -1
	s_cmp_gt_i32 s6, 0
	v_lshlrev_b32_e32 v1, 16, v1
	s_cbranch_scc0 .LBB153_1773
; %bb.1772:
	v_cvt_i32_f32_e32 v5, v1
	s_mov_b64 s[0:1], 0
	global_store_byte v[6:7], v5, off
.LBB153_1773:
	s_andn2_b64 vcc, exec, s[0:1]
	s_cbranch_vccnz .LBB153_1775
; %bb.1774:
	v_trunc_f32_e32 v1, v1
	s_mov_b32 s0, 0x2f800000
	v_mul_f32_e64 v5, |v1|, s0
	v_floor_f32_e32 v5, v5
	s_mov_b32 s0, 0xcf800000
	v_fma_f32 v5, v5, s0, |v1|
	v_cvt_u32_f32_e32 v5, v5
	v_ashrrev_i32_e32 v1, 31, v1
	v_xor_b32_e32 v5, v5, v1
	v_sub_u32_e32 v1, v5, v1
	global_store_byte v[6:7], v1, off
.LBB153_1775:
	s_mov_b64 s[8:9], -1
.LBB153_1776:
	s_andn2_b64 vcc, exec, s[8:9]
	s_cbranch_vccnz .LBB153_2091
; %bb.1777:
	v_lshlrev_b32_e32 v1, 16, v3
	v_mul_f32_e32 v3, 0x3fb8aa3b, v1
	v_rndne_f32_e32 v3, v3
	v_fmamk_f32 v5, v3, 0xbf317218, v1
	v_fmamk_f32 v5, v3, 0x3102e308, v5
	v_mov_b32_e32 v6, 0x3ab69700
	v_fmac_f32_e32 v6, 0x395133b1, v5
	v_fmaak_f32 v6, v5, v6, 0x3c0887f9
	v_fmaak_f32 v6, v5, v6, 0x3d2aaa81
	v_cvt_i32_f32_e32 v7, v3
	v_fmaak_f32 v6, v5, v6, 0x3e2aaaab
	s_lshr_b32 s0, s16, 8
	v_fma_f32 v6, v5, v6, 0.5
	s_and_b32 s14, s0, 0xff
	v_mul_f32_e32 v6, v5, v6
	s_mov_b32 s0, 0x43000000
	v_fmac_f32_e32 v5, v5, v6
	v_ldexp_f32 v6, 1.0, v7
	v_mov_b32_e32 v7, 0x7f000000
	v_cmp_eq_f32_e32 vcc, s0, v3
	s_mov_b32 s0, 0x42b17217
	s_cmp_lt_i32 s14, 11
	v_cndmask_b32_e32 v3, v6, v7, vcc
	v_add_f32_e32 v6, -1.0, v3
	v_fmac_f32_e32 v6, v3, v5
	v_add_f32_e32 v3, v6, v6
	v_cndmask_b32_e32 v3, v6, v3, vcc
	v_mov_b32_e32 v5, 0x7f800000
	v_cmp_nlt_f32_e32 vcc, s0, v1
	s_mov_b32 s0, 0xc1880000
	s_nop 0
	v_cndmask_b32_e32 v3, v5, v3, vcc
	v_cmp_ngt_f32_e32 vcc, s0, v1
	s_movk_i32 s0, 0x7fff
	v_mov_b32_e32 v5, 0
	v_cndmask_b32_e32 v1, -1.0, v3, vcc
	v_bfe_u32 v3, v1, 16, 1
	v_add3_u32 v3, v1, v3, s0
	v_cmp_o_f32_e32 vcc, v1, v1
	v_mov_b32_e32 v1, 0x7fc0
	v_lshl_add_u64 v[4:5], s[4:5], 0, v[4:5]
	v_cndmask_b32_sdwa v1, v1, v3, vcc dst_sel:DWORD dst_unused:UNUSED_PAD src0_sel:DWORD src1_sel:WORD_1
	s_cbranch_scc1 .LBB153_1855
; %bb.1778:
	s_and_b32 s15, 0xffff, s14
	s_mov_b64 s[10:11], -1
	s_mov_b64 s[6:7], 0
	s_cmp_gt_i32 s15, 25
	s_mov_b64 s[8:9], 0
	s_mov_b64 s[0:1], 0
	s_cbranch_scc0 .LBB153_1811
; %bb.1779:
	s_cmp_gt_i32 s15, 28
	s_cbranch_scc0 .LBB153_1794
; %bb.1780:
	s_cmp_gt_i32 s15, 43
	;; [unrolled: 3-line block ×3, first 2 shown]
	s_cbranch_scc0 .LBB153_1784
; %bb.1782:
	s_mov_b64 s[0:1], -1
	s_mov_b64 s[10:11], 0
	s_cmp_eq_u32 s15, 46
	s_cbranch_scc0 .LBB153_1784
; %bb.1783:
	v_and_b32_e32 v3, 0xffff, v1
	global_store_dword v[4:5], v3, off
	s_mov_b64 s[0:1], 0
	s_mov_b64 s[8:9], -1
.LBB153_1784:
	s_and_b64 vcc, exec, s[10:11]
	s_cbranch_vccz .LBB153_1789
; %bb.1785:
	s_cmp_eq_u32 s15, 44
	s_mov_b64 s[0:1], -1
	s_cbranch_scc0 .LBB153_1789
; %bb.1786:
	v_and_b32_e32 v6, 0xffff, v1
	v_bfe_u32 v3, v6, 7, 8
	s_movk_i32 s0, 0xff
	v_cmp_ne_u32_e32 vcc, s0, v3
	v_mov_b32_e32 v7, 0xff
	s_and_saveexec_b64 s[8:9], vcc
	s_cbranch_execz .LBB153_1788
; %bb.1787:
	v_lshlrev_b32_e32 v8, 16, v6
	s_mov_b32 s0, 0x3f0000
	v_lshrrev_b32_e32 v7, 7, v6
	v_and_b32_e32 v6, 64, v6
	v_and_or_b32 v3, v8, s0, v3
	v_cmp_ne_u32_e32 vcc, 0, v6
	v_cmp_ne_u32_e64 s[0:1], 0, v3
	s_and_b64 s[0:1], vcc, s[0:1]
	s_nop 0
	v_cndmask_b32_e64 v3, 0, 1, s[0:1]
	v_add_u32_e32 v7, v7, v3
.LBB153_1788:
	s_or_b64 exec, exec, s[8:9]
	s_mov_b64 s[0:1], 0
	s_mov_b64 s[8:9], -1
	global_store_byte v[4:5], v7, off
.LBB153_1789:
	s_mov_b64 s[10:11], 0
.LBB153_1790:
	s_and_b64 vcc, exec, s[10:11]
	s_cbranch_vccz .LBB153_1793
; %bb.1791:
	s_cmp_eq_u32 s15, 29
	s_mov_b64 s[0:1], -1
	s_cbranch_scc0 .LBB153_1793
; %bb.1792:
	v_lshlrev_b32_e32 v3, 16, v1
	v_trunc_f32_e32 v3, v3
	v_mul_f32_e32 v6, 0x2f800000, v3
	v_floor_f32_e32 v6, v6
	v_fmamk_f32 v3, v6, 0xcf800000, v3
	v_cvt_u32_f32_e32 v7, v6
	v_cvt_u32_f32_e32 v6, v3
	s_mov_b64 s[0:1], 0
	s_mov_b64 s[8:9], -1
	global_store_dwordx2 v[4:5], v[6:7], off
.LBB153_1793:
	s_mov_b64 s[10:11], 0
.LBB153_1794:
	s_and_b64 vcc, exec, s[10:11]
	s_cbranch_vccz .LBB153_1810
; %bb.1795:
	s_cmp_lt_i32 s15, 27
	s_mov_b64 s[8:9], -1
	s_cbranch_scc1 .LBB153_1801
; %bb.1796:
	s_cmp_gt_i32 s15, 27
	s_cbranch_scc0 .LBB153_1798
; %bb.1797:
	v_lshlrev_b32_e32 v3, 16, v1
	v_cvt_u32_f32_e32 v3, v3
	s_mov_b64 s[8:9], 0
	global_store_dword v[4:5], v3, off
.LBB153_1798:
	s_andn2_b64 vcc, exec, s[8:9]
	s_cbranch_vccnz .LBB153_1800
; %bb.1799:
	v_lshlrev_b32_e32 v3, 16, v1
	v_cvt_u32_f32_e32 v3, v3
	global_store_short v[4:5], v3, off
.LBB153_1800:
	s_mov_b64 s[8:9], 0
.LBB153_1801:
	s_andn2_b64 vcc, exec, s[8:9]
	s_cbranch_vccnz .LBB153_1809
; %bb.1802:
	v_lshlrev_b32_e32 v7, 16, v1
	v_and_b32_e32 v6, 0x7fffffff, v7
	s_mov_b32 s8, 0x43800000
	v_cmp_gt_u32_e32 vcc, s8, v6
	v_mov_b32_e32 v8, 0x80
	s_and_saveexec_b64 s[8:9], vcc
	s_cbranch_execz .LBB153_1808
; %bb.1803:
	s_mov_b32 s10, 0x3bffffff
	v_and_b32_e32 v3, 0xffff, v1
	v_cmp_lt_u32_e32 vcc, s10, v6
	s_mov_b64 s[10:11], 0
                                        ; implicit-def: $vgpr6
	s_and_saveexec_b64 s[12:13], vcc
	s_xor_b64 s[12:13], exec, s[12:13]
	s_cbranch_execz .LBB153_2143
; %bb.1804:
	v_bfe_u32 v6, v3, 4, 1
	s_mov_b32 s16, 0x487ffff
	v_add3_u32 v6, v7, v6, s16
	s_mov_b64 s[10:11], exec
	v_lshrrev_b32_e32 v6, 20, v6
                                        ; implicit-def: $vgpr7
	s_andn2_saveexec_b64 s[12:13], s[12:13]
	s_cbranch_execnz .LBB153_2144
.LBB153_1805:
	s_or_b64 exec, exec, s[12:13]
	v_mov_b32_e32 v8, 0
	s_and_saveexec_b64 s[12:13], s[10:11]
.LBB153_1806:
	v_lshrrev_b32_e32 v3, 8, v3
	s_movk_i32 s10, 0x80
	v_and_or_b32 v8, v3, s10, v6
.LBB153_1807:
	s_or_b64 exec, exec, s[12:13]
.LBB153_1808:
	s_or_b64 exec, exec, s[8:9]
	global_store_byte v[4:5], v8, off
.LBB153_1809:
	s_mov_b64 s[8:9], -1
.LBB153_1810:
	s_mov_b64 s[10:11], 0
.LBB153_1811:
	s_and_b64 vcc, exec, s[10:11]
	s_cbranch_vccz .LBB153_1851
; %bb.1812:
	s_cmp_gt_i32 s15, 22
	s_mov_b64 s[6:7], -1
	s_cbranch_scc0 .LBB153_1844
; %bb.1813:
	s_cmp_lt_i32 s15, 24
	s_cbranch_scc1 .LBB153_1833
; %bb.1814:
	s_cmp_gt_i32 s15, 24
	s_cbranch_scc0 .LBB153_1822
; %bb.1815:
	v_lshlrev_b32_e32 v7, 16, v1
	v_and_b32_e32 v6, 0x7fffffff, v7
	s_mov_b32 s6, 0x47800000
	v_cmp_gt_u32_e32 vcc, s6, v6
	v_mov_b32_e32 v8, 0x80
	s_and_saveexec_b64 s[6:7], vcc
	s_cbranch_execz .LBB153_1821
; %bb.1816:
	s_mov_b32 s8, 0x37ffffff
	v_and_b32_e32 v3, 0xffff, v1
	v_cmp_lt_u32_e32 vcc, s8, v6
	s_mov_b64 s[8:9], 0
                                        ; implicit-def: $vgpr6
	s_and_saveexec_b64 s[10:11], vcc
	s_xor_b64 s[10:11], exec, s[10:11]
	s_cbranch_execz .LBB153_2146
; %bb.1817:
	v_bfe_u32 v6, v3, 5, 1
	s_mov_b32 s12, 0x88fffff
	v_add3_u32 v6, v7, v6, s12
	s_mov_b64 s[8:9], exec
	v_lshrrev_b32_e32 v6, 21, v6
                                        ; implicit-def: $vgpr7
	s_andn2_saveexec_b64 s[10:11], s[10:11]
	s_cbranch_execnz .LBB153_2147
.LBB153_1818:
	s_or_b64 exec, exec, s[10:11]
	v_mov_b32_e32 v8, 0
	s_and_saveexec_b64 s[10:11], s[8:9]
.LBB153_1819:
	v_lshrrev_b32_e32 v3, 8, v3
	s_movk_i32 s8, 0x80
	v_and_or_b32 v8, v3, s8, v6
.LBB153_1820:
	s_or_b64 exec, exec, s[10:11]
.LBB153_1821:
	s_or_b64 exec, exec, s[6:7]
	s_mov_b64 s[6:7], 0
	global_store_byte v[4:5], v8, off
.LBB153_1822:
	s_and_b64 vcc, exec, s[6:7]
	s_cbranch_vccz .LBB153_1832
; %bb.1823:
	v_lshlrev_b32_e32 v7, 16, v1
	v_and_b32_e32 v8, 0x7fffffff, v7
	s_mov_b32 s6, 0x43f00000
	v_and_b32_e32 v3, 0xffff, v1
	v_cmp_gt_u32_e32 vcc, s6, v8
                                        ; implicit-def: $vgpr6
	s_and_saveexec_b64 s[6:7], vcc
	s_xor_b64 s[6:7], exec, s[6:7]
	s_cbranch_execz .LBB153_1829
; %bb.1824:
	s_mov_b32 s8, 0x3c7fffff
	v_cmp_lt_u32_e32 vcc, s8, v8
                                        ; implicit-def: $vgpr6
	s_and_saveexec_b64 s[8:9], vcc
	s_xor_b64 s[8:9], exec, s[8:9]
; %bb.1825:
	v_bfe_u32 v6, v3, 4, 1
	s_mov_b32 s10, 0x407ffff
	v_add3_u32 v6, v7, v6, s10
	v_lshrrev_b32_e32 v7, 20, v6
	v_and_b32_e32 v6, 0xff00000, v6
	s_mov_b32 s10, 0x7f00000
	v_mov_b32_e32 v8, 0x7e
	v_cmp_ne_u32_e32 vcc, s10, v6
	s_nop 1
	v_cndmask_b32_e32 v6, v8, v7, vcc
                                        ; implicit-def: $vgpr7
; %bb.1826:
	s_andn2_saveexec_b64 s[8:9], s[8:9]
; %bb.1827:
	s_mov_b32 s10, 0x46800000
	v_add_f32_e64 v6, |v7|, s10
; %bb.1828:
	s_or_b64 exec, exec, s[8:9]
                                        ; implicit-def: $vgpr8
.LBB153_1829:
	s_andn2_saveexec_b64 s[6:7], s[6:7]
; %bb.1830:
	s_mov_b32 s8, 0x7f800000
	v_mov_b32_e32 v6, 0x7e
	v_mov_b32_e32 v7, 0x7f
	v_cmp_lt_u32_e32 vcc, s8, v8
	s_nop 1
	v_cndmask_b32_e32 v6, v6, v7, vcc
; %bb.1831:
	s_or_b64 exec, exec, s[6:7]
	v_lshrrev_b32_e32 v3, 8, v3
	s_movk_i32 s6, 0x80
	v_and_or_b32 v3, v3, s6, v6
	global_store_byte v[4:5], v3, off
.LBB153_1832:
	s_mov_b64 s[6:7], 0
.LBB153_1833:
	s_andn2_b64 vcc, exec, s[6:7]
	s_cbranch_vccnz .LBB153_1843
; %bb.1834:
	v_lshlrev_b32_e32 v7, 16, v1
	v_and_b32_e32 v8, 0x7fffffff, v7
	s_mov_b32 s6, 0x47800000
	v_and_b32_e32 v3, 0xffff, v1
	v_cmp_gt_u32_e32 vcc, s6, v8
                                        ; implicit-def: $vgpr6
	s_and_saveexec_b64 s[6:7], vcc
	s_xor_b64 s[6:7], exec, s[6:7]
	s_cbranch_execz .LBB153_1840
; %bb.1835:
	s_mov_b32 s8, 0x387fffff
	v_cmp_lt_u32_e32 vcc, s8, v8
                                        ; implicit-def: $vgpr6
	s_and_saveexec_b64 s[8:9], vcc
	s_xor_b64 s[8:9], exec, s[8:9]
; %bb.1836:
	v_bfe_u32 v6, v3, 5, 1
	s_mov_b32 s10, 0x80fffff
	v_add3_u32 v6, v7, v6, s10
	v_lshrrev_b32_e32 v6, 21, v6
                                        ; implicit-def: $vgpr7
; %bb.1837:
	s_andn2_saveexec_b64 s[8:9], s[8:9]
; %bb.1838:
	s_mov_b32 s10, 0x43000000
	v_add_f32_e64 v6, |v7|, s10
; %bb.1839:
	s_or_b64 exec, exec, s[8:9]
                                        ; implicit-def: $vgpr8
.LBB153_1840:
	s_andn2_saveexec_b64 s[6:7], s[6:7]
; %bb.1841:
	s_mov_b32 s8, 0x7f800000
	v_mov_b32_e32 v6, 0x7c
	v_mov_b32_e32 v7, 0x7f
	v_cmp_lt_u32_e32 vcc, s8, v8
	s_nop 1
	v_cndmask_b32_e32 v6, v6, v7, vcc
; %bb.1842:
	s_or_b64 exec, exec, s[6:7]
	v_lshrrev_b32_e32 v3, 8, v3
	s_movk_i32 s6, 0x80
	v_and_or_b32 v3, v3, s6, v6
	global_store_byte v[4:5], v3, off
.LBB153_1843:
	s_mov_b64 s[6:7], 0
	s_mov_b64 s[8:9], -1
.LBB153_1844:
	s_andn2_b64 vcc, exec, s[6:7]
	s_mov_b64 s[6:7], 0
	s_cbranch_vccnz .LBB153_1851
; %bb.1845:
	s_cmp_gt_i32 s15, 14
	s_mov_b64 s[10:11], -1
	s_cbranch_scc0 .LBB153_1849
; %bb.1846:
	s_cmp_eq_u32 s15, 15
	s_mov_b64 s[0:1], -1
	s_cbranch_scc0 .LBB153_1848
; %bb.1847:
	global_store_short v[4:5], v1, off
	s_mov_b64 s[0:1], 0
	s_mov_b64 s[8:9], -1
.LBB153_1848:
	s_mov_b64 s[10:11], 0
.LBB153_1849:
	s_and_b64 vcc, exec, s[10:11]
	s_cbranch_vccz .LBB153_1851
; %bb.1850:
	s_cmp_lg_u32 s15, 11
	s_mov_b64 s[6:7], -1
	s_cselect_b64 s[0:1], -1, 0
.LBB153_1851:
	s_and_b64 vcc, exec, s[0:1]
	s_cbranch_vccnz .LBB153_2145
; %bb.1852:
	s_andn2_b64 vcc, exec, s[6:7]
	s_cbranch_vccnz .LBB153_1854
.LBB153_1853:
	v_and_b32_e32 v3, 0x7fff, v1
	v_cmp_ne_u16_e32 vcc, 0, v3
	s_mov_b64 s[8:9], -1
	s_nop 0
	v_cndmask_b32_e64 v3, 0, 1, vcc
	global_store_byte v[4:5], v3, off
.LBB153_1854:
	s_mov_b64 s[0:1], 0
	s_branch .LBB153_1856
.LBB153_1855:
	s_mov_b64 s[0:1], -1
	s_mov_b64 s[8:9], 0
.LBB153_1856:
	s_and_b64 vcc, exec, s[0:1]
	s_cbranch_vccz .LBB153_1895
; %bb.1857:
	s_and_b32 s6, 0xffff, s14
	s_cmp_lt_i32 s6, 5
	s_mov_b64 s[0:1], -1
	s_cbranch_scc1 .LBB153_1878
; %bb.1858:
	s_cmp_lt_i32 s6, 8
	s_cbranch_scc1 .LBB153_1868
; %bb.1859:
	s_cmp_lt_i32 s6, 9
	s_cbranch_scc1 .LBB153_1865
; %bb.1860:
	s_cmp_gt_i32 s6, 9
	s_cbranch_scc0 .LBB153_1862
; %bb.1861:
	v_lshlrev_b32_e32 v3, 16, v1
	v_mov_b32_e32 v8, 0
	v_cvt_f64_f32_e32 v[6:7], v3
	v_mov_b32_e32 v9, v8
	global_store_dwordx4 v[4:5], v[6:9], off
	s_mov_b64 s[0:1], 0
.LBB153_1862:
	s_andn2_b64 vcc, exec, s[0:1]
	s_cbranch_vccnz .LBB153_1864
; %bb.1863:
	v_lshlrev_b32_e32 v6, 16, v1
	v_mov_b32_e32 v7, 0
	global_store_dwordx2 v[4:5], v[6:7], off
.LBB153_1864:
	s_mov_b64 s[0:1], 0
.LBB153_1865:
	s_andn2_b64 vcc, exec, s[0:1]
	s_cbranch_vccnz .LBB153_1867
; %bb.1866:
	v_lshlrev_b32_e32 v3, 16, v1
	v_cvt_f16_f32_e32 v3, v3
	global_store_dword v[4:5], v3, off
.LBB153_1867:
	s_mov_b64 s[0:1], 0
.LBB153_1868:
	s_andn2_b64 vcc, exec, s[0:1]
	s_cbranch_vccnz .LBB153_1877
; %bb.1869:
	s_cmp_lt_i32 s6, 6
	s_mov_b64 s[0:1], -1
	s_cbranch_scc1 .LBB153_1875
; %bb.1870:
	s_cmp_gt_i32 s6, 6
	s_cbranch_scc0 .LBB153_1872
; %bb.1871:
	v_lshlrev_b32_e32 v3, 16, v1
	v_cvt_f64_f32_e32 v[6:7], v3
	global_store_dwordx2 v[4:5], v[6:7], off
	s_mov_b64 s[0:1], 0
.LBB153_1872:
	s_andn2_b64 vcc, exec, s[0:1]
	s_cbranch_vccnz .LBB153_1874
; %bb.1873:
	v_lshlrev_b32_e32 v3, 16, v1
	global_store_dword v[4:5], v3, off
.LBB153_1874:
	s_mov_b64 s[0:1], 0
.LBB153_1875:
	s_andn2_b64 vcc, exec, s[0:1]
	s_cbranch_vccnz .LBB153_1877
; %bb.1876:
	v_lshlrev_b32_e32 v3, 16, v1
	v_cvt_f16_f32_e32 v3, v3
	global_store_short v[4:5], v3, off
.LBB153_1877:
	s_mov_b64 s[0:1], 0
.LBB153_1878:
	s_andn2_b64 vcc, exec, s[0:1]
	s_cbranch_vccnz .LBB153_1894
; %bb.1879:
	s_cmp_lt_i32 s6, 2
	s_mov_b64 s[0:1], -1
	s_cbranch_scc1 .LBB153_1889
; %bb.1880:
	s_cmp_lt_i32 s6, 3
	s_cbranch_scc1 .LBB153_1886
; %bb.1881:
	s_cmp_gt_i32 s6, 3
	s_cbranch_scc0 .LBB153_1883
; %bb.1882:
	v_lshlrev_b32_e32 v3, 16, v1
	v_trunc_f32_e32 v3, v3
	s_mov_b32 s0, 0x2f800000
	v_mul_f32_e64 v6, |v3|, s0
	v_floor_f32_e32 v6, v6
	s_mov_b32 s0, 0xcf800000
	v_cvt_u32_f32_e32 v7, v6
	v_fma_f32 v6, v6, s0, |v3|
	v_cvt_u32_f32_e32 v6, v6
	v_ashrrev_i32_e32 v3, 31, v3
	v_xor_b32_e32 v7, v7, v3
	s_mov_b64 s[0:1], 0
	v_xor_b32_e32 v6, v6, v3
	v_sub_co_u32_e32 v6, vcc, v6, v3
	s_nop 1
	v_subb_co_u32_e32 v7, vcc, v7, v3, vcc
	global_store_dwordx2 v[4:5], v[6:7], off
.LBB153_1883:
	s_andn2_b64 vcc, exec, s[0:1]
	s_cbranch_vccnz .LBB153_1885
; %bb.1884:
	v_lshlrev_b32_e32 v3, 16, v1
	v_cvt_i32_f32_e32 v3, v3
	global_store_dword v[4:5], v3, off
.LBB153_1885:
	s_mov_b64 s[0:1], 0
.LBB153_1886:
	s_andn2_b64 vcc, exec, s[0:1]
	s_cbranch_vccnz .LBB153_1888
; %bb.1887:
	v_lshlrev_b32_e32 v3, 16, v1
	v_cvt_i32_f32_e32 v3, v3
	global_store_short v[4:5], v3, off
.LBB153_1888:
	s_mov_b64 s[0:1], 0
.LBB153_1889:
	s_andn2_b64 vcc, exec, s[0:1]
	s_cbranch_vccnz .LBB153_1894
; %bb.1890:
	s_mov_b64 s[0:1], -1
	s_cmp_gt_i32 s6, 0
	v_lshlrev_b32_e32 v1, 16, v1
	s_cbranch_scc0 .LBB153_1892
; %bb.1891:
	v_cvt_i32_f32_e32 v3, v1
	s_mov_b64 s[0:1], 0
	global_store_byte v[4:5], v3, off
.LBB153_1892:
	s_andn2_b64 vcc, exec, s[0:1]
	s_cbranch_vccnz .LBB153_1894
; %bb.1893:
	v_trunc_f32_e32 v1, v1
	s_mov_b32 s0, 0x2f800000
	v_mul_f32_e64 v3, |v1|, s0
	v_floor_f32_e32 v3, v3
	s_mov_b32 s0, 0xcf800000
	v_fma_f32 v3, v3, s0, |v1|
	v_cvt_u32_f32_e32 v3, v3
	v_ashrrev_i32_e32 v1, 31, v1
	v_xor_b32_e32 v3, v3, v1
	v_sub_u32_e32 v1, v3, v1
	global_store_byte v[4:5], v1, off
.LBB153_1894:
	s_mov_b64 s[8:9], -1
.LBB153_1895:
	s_andn2_b64 vcc, exec, s[8:9]
	s_cbranch_vccnz .LBB153_2091
; %bb.1896:
	v_lshlrev_b32_e32 v1, 16, v12
	v_mul_f32_e32 v3, 0x3fb8aa3b, v1
	v_rndne_f32_e32 v3, v3
	v_fmamk_f32 v4, v3, 0xbf317218, v1
	v_fmamk_f32 v4, v3, 0x3102e308, v4
	v_mov_b32_e32 v5, 0x3ab69700
	v_fmac_f32_e32 v5, 0x395133b1, v4
	v_fmaak_f32 v5, v4, v5, 0x3c0887f9
	v_fmaak_f32 v5, v4, v5, 0x3d2aaa81
	v_cvt_i32_f32_e32 v6, v3
	v_fmaak_f32 v5, v4, v5, 0x3e2aaaab
	v_fma_f32 v5, v4, v5, 0.5
	v_mul_f32_e32 v5, v4, v5
	s_mov_b32 s0, 0x43000000
	v_fmac_f32_e32 v4, v4, v5
	v_ldexp_f32 v5, 1.0, v6
	v_mov_b32_e32 v6, 0x7f000000
	v_cmp_eq_f32_e32 vcc, s0, v3
	s_mov_b32 s0, 0x42b17217
	s_cmp_lt_i32 s14, 11
	v_cndmask_b32_e32 v3, v5, v6, vcc
	v_add_f32_e32 v5, -1.0, v3
	v_fmac_f32_e32 v5, v3, v4
	v_add_f32_e32 v3, v5, v5
	v_cndmask_b32_e32 v3, v5, v3, vcc
	v_mov_b32_e32 v4, 0x7f800000
	v_cmp_nlt_f32_e32 vcc, s0, v1
	s_mov_b32 s0, 0xc1880000
	s_nop 0
	v_cndmask_b32_e32 v3, v4, v3, vcc
	v_cmp_ngt_f32_e32 vcc, s0, v1
	s_movk_i32 s0, 0x7fff
	s_nop 0
	v_cndmask_b32_e32 v1, -1.0, v3, vcc
	v_bfe_u32 v3, v1, 16, 1
	v_add3_u32 v3, v1, v3, s0
	v_cmp_o_f32_e32 vcc, v1, v1
	v_mov_b32_e32 v1, 0x7fc0
	s_nop 0
	v_cndmask_b32_sdwa v1, v1, v3, vcc dst_sel:DWORD dst_unused:UNUSED_PAD src0_sel:DWORD src1_sel:WORD_1
	v_mov_b32_e32 v3, 0
	v_lshl_add_u64 v[2:3], s[4:5], 0, v[2:3]
	s_cbranch_scc1 .LBB153_1974
; %bb.1897:
	s_and_b32 s15, 0xffff, s14
	s_mov_b64 s[10:11], -1
	s_mov_b64 s[6:7], 0
	s_cmp_gt_i32 s15, 25
	s_mov_b64 s[8:9], 0
	s_mov_b64 s[0:1], 0
	s_cbranch_scc0 .LBB153_1930
; %bb.1898:
	s_cmp_gt_i32 s15, 28
	s_cbranch_scc0 .LBB153_1913
; %bb.1899:
	s_cmp_gt_i32 s15, 43
	;; [unrolled: 3-line block ×3, first 2 shown]
	s_cbranch_scc0 .LBB153_1903
; %bb.1901:
	s_mov_b64 s[0:1], -1
	s_mov_b64 s[10:11], 0
	s_cmp_eq_u32 s15, 46
	s_cbranch_scc0 .LBB153_1903
; %bb.1902:
	v_and_b32_e32 v4, 0xffff, v1
	global_store_dword v[2:3], v4, off
	s_mov_b64 s[0:1], 0
	s_mov_b64 s[8:9], -1
.LBB153_1903:
	s_and_b64 vcc, exec, s[10:11]
	s_cbranch_vccz .LBB153_1908
; %bb.1904:
	s_cmp_eq_u32 s15, 44
	s_mov_b64 s[0:1], -1
	s_cbranch_scc0 .LBB153_1908
; %bb.1905:
	v_and_b32_e32 v5, 0xffff, v1
	v_bfe_u32 v4, v5, 7, 8
	s_movk_i32 s0, 0xff
	v_cmp_ne_u32_e32 vcc, s0, v4
	v_mov_b32_e32 v6, 0xff
	s_and_saveexec_b64 s[8:9], vcc
	s_cbranch_execz .LBB153_1907
; %bb.1906:
	v_lshlrev_b32_e32 v7, 16, v5
	s_mov_b32 s0, 0x3f0000
	v_lshrrev_b32_e32 v6, 7, v5
	v_and_b32_e32 v5, 64, v5
	v_and_or_b32 v4, v7, s0, v4
	v_cmp_ne_u32_e32 vcc, 0, v5
	v_cmp_ne_u32_e64 s[0:1], 0, v4
	s_and_b64 s[0:1], vcc, s[0:1]
	s_nop 0
	v_cndmask_b32_e64 v4, 0, 1, s[0:1]
	v_add_u32_e32 v6, v6, v4
.LBB153_1907:
	s_or_b64 exec, exec, s[8:9]
	s_mov_b64 s[0:1], 0
	s_mov_b64 s[8:9], -1
	global_store_byte v[2:3], v6, off
.LBB153_1908:
	s_mov_b64 s[10:11], 0
.LBB153_1909:
	s_and_b64 vcc, exec, s[10:11]
	s_cbranch_vccz .LBB153_1912
; %bb.1910:
	s_cmp_eq_u32 s15, 29
	s_mov_b64 s[0:1], -1
	s_cbranch_scc0 .LBB153_1912
; %bb.1911:
	v_lshlrev_b32_e32 v4, 16, v1
	v_trunc_f32_e32 v4, v4
	v_mul_f32_e32 v5, 0x2f800000, v4
	v_floor_f32_e32 v6, v5
	v_fmamk_f32 v4, v6, 0xcf800000, v4
	v_cvt_u32_f32_e32 v5, v6
	v_cvt_u32_f32_e32 v4, v4
	s_mov_b64 s[0:1], 0
	s_mov_b64 s[8:9], -1
	global_store_dwordx2 v[2:3], v[4:5], off
.LBB153_1912:
	s_mov_b64 s[10:11], 0
.LBB153_1913:
	s_and_b64 vcc, exec, s[10:11]
	s_cbranch_vccz .LBB153_1929
; %bb.1914:
	s_cmp_lt_i32 s15, 27
	s_mov_b64 s[8:9], -1
	s_cbranch_scc1 .LBB153_1920
; %bb.1915:
	s_cmp_gt_i32 s15, 27
	s_cbranch_scc0 .LBB153_1917
; %bb.1916:
	v_lshlrev_b32_e32 v4, 16, v1
	v_cvt_u32_f32_e32 v4, v4
	s_mov_b64 s[8:9], 0
	global_store_dword v[2:3], v4, off
.LBB153_1917:
	s_andn2_b64 vcc, exec, s[8:9]
	s_cbranch_vccnz .LBB153_1919
; %bb.1918:
	v_lshlrev_b32_e32 v4, 16, v1
	v_cvt_u32_f32_e32 v4, v4
	global_store_short v[2:3], v4, off
.LBB153_1919:
	s_mov_b64 s[8:9], 0
.LBB153_1920:
	s_andn2_b64 vcc, exec, s[8:9]
	s_cbranch_vccnz .LBB153_1928
; %bb.1921:
	v_lshlrev_b32_e32 v6, 16, v1
	v_and_b32_e32 v5, 0x7fffffff, v6
	s_mov_b32 s8, 0x43800000
	v_cmp_gt_u32_e32 vcc, s8, v5
	v_mov_b32_e32 v7, 0x80
	s_and_saveexec_b64 s[8:9], vcc
	s_cbranch_execz .LBB153_1927
; %bb.1922:
	s_mov_b32 s10, 0x3bffffff
	v_and_b32_e32 v4, 0xffff, v1
	v_cmp_lt_u32_e32 vcc, s10, v5
	s_mov_b64 s[10:11], 0
                                        ; implicit-def: $vgpr5
	s_and_saveexec_b64 s[12:13], vcc
	s_xor_b64 s[12:13], exec, s[12:13]
	s_cbranch_execz .LBB153_2148
; %bb.1923:
	v_bfe_u32 v5, v4, 4, 1
	s_mov_b32 s16, 0x487ffff
	v_add3_u32 v5, v6, v5, s16
	s_mov_b64 s[10:11], exec
	v_lshrrev_b32_e32 v5, 20, v5
                                        ; implicit-def: $vgpr6
	s_andn2_saveexec_b64 s[12:13], s[12:13]
	s_cbranch_execnz .LBB153_2149
.LBB153_1924:
	s_or_b64 exec, exec, s[12:13]
	v_mov_b32_e32 v7, 0
	s_and_saveexec_b64 s[12:13], s[10:11]
.LBB153_1925:
	v_lshrrev_b32_e32 v4, 8, v4
	s_movk_i32 s10, 0x80
	v_and_or_b32 v7, v4, s10, v5
.LBB153_1926:
	s_or_b64 exec, exec, s[12:13]
.LBB153_1927:
	s_or_b64 exec, exec, s[8:9]
	global_store_byte v[2:3], v7, off
.LBB153_1928:
	s_mov_b64 s[8:9], -1
.LBB153_1929:
	s_mov_b64 s[10:11], 0
.LBB153_1930:
	s_and_b64 vcc, exec, s[10:11]
	s_cbranch_vccz .LBB153_1970
; %bb.1931:
	s_cmp_gt_i32 s15, 22
	s_mov_b64 s[6:7], -1
	s_cbranch_scc0 .LBB153_1963
; %bb.1932:
	s_cmp_lt_i32 s15, 24
	s_cbranch_scc1 .LBB153_1952
; %bb.1933:
	s_cmp_gt_i32 s15, 24
	s_cbranch_scc0 .LBB153_1941
; %bb.1934:
	v_lshlrev_b32_e32 v6, 16, v1
	v_and_b32_e32 v5, 0x7fffffff, v6
	s_mov_b32 s6, 0x47800000
	v_cmp_gt_u32_e32 vcc, s6, v5
	v_mov_b32_e32 v7, 0x80
	s_and_saveexec_b64 s[6:7], vcc
	s_cbranch_execz .LBB153_1940
; %bb.1935:
	s_mov_b32 s8, 0x37ffffff
	v_and_b32_e32 v4, 0xffff, v1
	v_cmp_lt_u32_e32 vcc, s8, v5
	s_mov_b64 s[8:9], 0
                                        ; implicit-def: $vgpr5
	s_and_saveexec_b64 s[10:11], vcc
	s_xor_b64 s[10:11], exec, s[10:11]
	s_cbranch_execz .LBB153_2151
; %bb.1936:
	v_bfe_u32 v5, v4, 5, 1
	s_mov_b32 s12, 0x88fffff
	v_add3_u32 v5, v6, v5, s12
	s_mov_b64 s[8:9], exec
	v_lshrrev_b32_e32 v5, 21, v5
                                        ; implicit-def: $vgpr6
	s_andn2_saveexec_b64 s[10:11], s[10:11]
	s_cbranch_execnz .LBB153_2152
.LBB153_1937:
	s_or_b64 exec, exec, s[10:11]
	v_mov_b32_e32 v7, 0
	s_and_saveexec_b64 s[10:11], s[8:9]
.LBB153_1938:
	v_lshrrev_b32_e32 v4, 8, v4
	s_movk_i32 s8, 0x80
	v_and_or_b32 v7, v4, s8, v5
.LBB153_1939:
	s_or_b64 exec, exec, s[10:11]
.LBB153_1940:
	s_or_b64 exec, exec, s[6:7]
	s_mov_b64 s[6:7], 0
	global_store_byte v[2:3], v7, off
.LBB153_1941:
	s_and_b64 vcc, exec, s[6:7]
	s_cbranch_vccz .LBB153_1951
; %bb.1942:
	v_lshlrev_b32_e32 v6, 16, v1
	v_and_b32_e32 v7, 0x7fffffff, v6
	s_mov_b32 s6, 0x43f00000
	v_and_b32_e32 v4, 0xffff, v1
	v_cmp_gt_u32_e32 vcc, s6, v7
                                        ; implicit-def: $vgpr5
	s_and_saveexec_b64 s[6:7], vcc
	s_xor_b64 s[6:7], exec, s[6:7]
	s_cbranch_execz .LBB153_1948
; %bb.1943:
	s_mov_b32 s8, 0x3c7fffff
	v_cmp_lt_u32_e32 vcc, s8, v7
                                        ; implicit-def: $vgpr5
	s_and_saveexec_b64 s[8:9], vcc
	s_xor_b64 s[8:9], exec, s[8:9]
; %bb.1944:
	v_bfe_u32 v5, v4, 4, 1
	s_mov_b32 s10, 0x407ffff
	v_add3_u32 v5, v6, v5, s10
	v_lshrrev_b32_e32 v6, 20, v5
	v_and_b32_e32 v5, 0xff00000, v5
	s_mov_b32 s10, 0x7f00000
	v_mov_b32_e32 v7, 0x7e
	v_cmp_ne_u32_e32 vcc, s10, v5
	s_nop 1
	v_cndmask_b32_e32 v5, v7, v6, vcc
                                        ; implicit-def: $vgpr6
; %bb.1945:
	s_andn2_saveexec_b64 s[8:9], s[8:9]
; %bb.1946:
	s_mov_b32 s10, 0x46800000
	v_add_f32_e64 v5, |v6|, s10
; %bb.1947:
	s_or_b64 exec, exec, s[8:9]
                                        ; implicit-def: $vgpr7
.LBB153_1948:
	s_andn2_saveexec_b64 s[6:7], s[6:7]
; %bb.1949:
	s_mov_b32 s8, 0x7f800000
	v_mov_b32_e32 v5, 0x7e
	v_mov_b32_e32 v6, 0x7f
	v_cmp_lt_u32_e32 vcc, s8, v7
	s_nop 1
	v_cndmask_b32_e32 v5, v5, v6, vcc
; %bb.1950:
	s_or_b64 exec, exec, s[6:7]
	v_lshrrev_b32_e32 v4, 8, v4
	s_movk_i32 s6, 0x80
	v_and_or_b32 v4, v4, s6, v5
	global_store_byte v[2:3], v4, off
.LBB153_1951:
	s_mov_b64 s[6:7], 0
.LBB153_1952:
	s_andn2_b64 vcc, exec, s[6:7]
	s_cbranch_vccnz .LBB153_1962
; %bb.1953:
	v_lshlrev_b32_e32 v6, 16, v1
	v_and_b32_e32 v7, 0x7fffffff, v6
	s_mov_b32 s6, 0x47800000
	v_and_b32_e32 v4, 0xffff, v1
	v_cmp_gt_u32_e32 vcc, s6, v7
                                        ; implicit-def: $vgpr5
	s_and_saveexec_b64 s[6:7], vcc
	s_xor_b64 s[6:7], exec, s[6:7]
	s_cbranch_execz .LBB153_1959
; %bb.1954:
	s_mov_b32 s8, 0x387fffff
	v_cmp_lt_u32_e32 vcc, s8, v7
                                        ; implicit-def: $vgpr5
	s_and_saveexec_b64 s[8:9], vcc
	s_xor_b64 s[8:9], exec, s[8:9]
; %bb.1955:
	v_bfe_u32 v5, v4, 5, 1
	s_mov_b32 s10, 0x80fffff
	v_add3_u32 v5, v6, v5, s10
	v_lshrrev_b32_e32 v5, 21, v5
                                        ; implicit-def: $vgpr6
; %bb.1956:
	s_andn2_saveexec_b64 s[8:9], s[8:9]
; %bb.1957:
	s_mov_b32 s10, 0x43000000
	v_add_f32_e64 v5, |v6|, s10
; %bb.1958:
	s_or_b64 exec, exec, s[8:9]
                                        ; implicit-def: $vgpr7
.LBB153_1959:
	s_andn2_saveexec_b64 s[6:7], s[6:7]
; %bb.1960:
	s_mov_b32 s8, 0x7f800000
	v_mov_b32_e32 v5, 0x7c
	v_mov_b32_e32 v6, 0x7f
	v_cmp_lt_u32_e32 vcc, s8, v7
	s_nop 1
	v_cndmask_b32_e32 v5, v5, v6, vcc
; %bb.1961:
	s_or_b64 exec, exec, s[6:7]
	v_lshrrev_b32_e32 v4, 8, v4
	s_movk_i32 s6, 0x80
	v_and_or_b32 v4, v4, s6, v5
	global_store_byte v[2:3], v4, off
.LBB153_1962:
	s_mov_b64 s[6:7], 0
	s_mov_b64 s[8:9], -1
.LBB153_1963:
	s_andn2_b64 vcc, exec, s[6:7]
	s_mov_b64 s[6:7], 0
	s_cbranch_vccnz .LBB153_1970
; %bb.1964:
	s_cmp_gt_i32 s15, 14
	s_mov_b64 s[10:11], -1
	s_cbranch_scc0 .LBB153_1968
; %bb.1965:
	s_cmp_eq_u32 s15, 15
	s_mov_b64 s[0:1], -1
	s_cbranch_scc0 .LBB153_1967
; %bb.1966:
	global_store_short v[2:3], v1, off
	s_mov_b64 s[0:1], 0
	s_mov_b64 s[8:9], -1
.LBB153_1967:
	s_mov_b64 s[10:11], 0
.LBB153_1968:
	s_and_b64 vcc, exec, s[10:11]
	s_cbranch_vccz .LBB153_1970
; %bb.1969:
	s_cmp_lg_u32 s15, 11
	s_mov_b64 s[6:7], -1
	s_cselect_b64 s[0:1], -1, 0
.LBB153_1970:
	s_and_b64 vcc, exec, s[0:1]
	s_cbranch_vccnz .LBB153_2150
; %bb.1971:
	s_andn2_b64 vcc, exec, s[6:7]
	s_cbranch_vccnz .LBB153_1973
.LBB153_1972:
	v_and_b32_e32 v4, 0x7fff, v1
	v_cmp_ne_u16_e32 vcc, 0, v4
	s_mov_b64 s[8:9], -1
	s_nop 0
	v_cndmask_b32_e64 v4, 0, 1, vcc
	global_store_byte v[2:3], v4, off
.LBB153_1973:
	s_mov_b64 s[0:1], 0
	s_branch .LBB153_1975
.LBB153_1974:
	s_mov_b64 s[0:1], -1
	s_mov_b64 s[8:9], 0
.LBB153_1975:
	s_and_b64 vcc, exec, s[0:1]
	s_cbranch_vccz .LBB153_2014
; %bb.1976:
	s_and_b32 s6, 0xffff, s14
	s_cmp_lt_i32 s6, 5
	s_mov_b64 s[0:1], -1
	s_cbranch_scc1 .LBB153_1997
; %bb.1977:
	s_cmp_lt_i32 s6, 8
	s_cbranch_scc1 .LBB153_1987
; %bb.1978:
	s_cmp_lt_i32 s6, 9
	s_cbranch_scc1 .LBB153_1984
; %bb.1979:
	s_cmp_gt_i32 s6, 9
	s_cbranch_scc0 .LBB153_1981
; %bb.1980:
	v_lshlrev_b32_e32 v4, 16, v1
	v_mov_b32_e32 v6, 0
	v_cvt_f64_f32_e32 v[4:5], v4
	v_mov_b32_e32 v7, v6
	global_store_dwordx4 v[2:3], v[4:7], off
	s_mov_b64 s[0:1], 0
.LBB153_1981:
	s_andn2_b64 vcc, exec, s[0:1]
	s_cbranch_vccnz .LBB153_1983
; %bb.1982:
	v_lshlrev_b32_e32 v4, 16, v1
	v_mov_b32_e32 v5, 0
	global_store_dwordx2 v[2:3], v[4:5], off
.LBB153_1983:
	s_mov_b64 s[0:1], 0
.LBB153_1984:
	s_andn2_b64 vcc, exec, s[0:1]
	s_cbranch_vccnz .LBB153_1986
; %bb.1985:
	v_lshlrev_b32_e32 v4, 16, v1
	v_cvt_f16_f32_e32 v4, v4
	global_store_dword v[2:3], v4, off
.LBB153_1986:
	s_mov_b64 s[0:1], 0
.LBB153_1987:
	s_andn2_b64 vcc, exec, s[0:1]
	s_cbranch_vccnz .LBB153_1996
; %bb.1988:
	s_cmp_lt_i32 s6, 6
	s_mov_b64 s[0:1], -1
	s_cbranch_scc1 .LBB153_1994
; %bb.1989:
	s_cmp_gt_i32 s6, 6
	s_cbranch_scc0 .LBB153_1991
; %bb.1990:
	v_lshlrev_b32_e32 v4, 16, v1
	v_cvt_f64_f32_e32 v[4:5], v4
	global_store_dwordx2 v[2:3], v[4:5], off
	s_mov_b64 s[0:1], 0
.LBB153_1991:
	s_andn2_b64 vcc, exec, s[0:1]
	s_cbranch_vccnz .LBB153_1993
; %bb.1992:
	v_lshlrev_b32_e32 v4, 16, v1
	global_store_dword v[2:3], v4, off
.LBB153_1993:
	s_mov_b64 s[0:1], 0
.LBB153_1994:
	s_andn2_b64 vcc, exec, s[0:1]
	s_cbranch_vccnz .LBB153_1996
; %bb.1995:
	v_lshlrev_b32_e32 v4, 16, v1
	v_cvt_f16_f32_e32 v4, v4
	global_store_short v[2:3], v4, off
.LBB153_1996:
	s_mov_b64 s[0:1], 0
.LBB153_1997:
	s_andn2_b64 vcc, exec, s[0:1]
	s_cbranch_vccnz .LBB153_2013
; %bb.1998:
	s_cmp_lt_i32 s6, 2
	s_mov_b64 s[0:1], -1
	s_cbranch_scc1 .LBB153_2008
; %bb.1999:
	s_cmp_lt_i32 s6, 3
	s_cbranch_scc1 .LBB153_2005
; %bb.2000:
	s_cmp_gt_i32 s6, 3
	s_cbranch_scc0 .LBB153_2002
; %bb.2001:
	v_lshlrev_b32_e32 v4, 16, v1
	v_trunc_f32_e32 v4, v4
	s_mov_b32 s0, 0x2f800000
	v_mul_f32_e64 v5, |v4|, s0
	v_floor_f32_e32 v5, v5
	s_mov_b32 s0, 0xcf800000
	v_cvt_u32_f32_e32 v6, v5
	v_fma_f32 v5, v5, s0, |v4|
	v_cvt_u32_f32_e32 v5, v5
	v_ashrrev_i32_e32 v7, 31, v4
	v_xor_b32_e32 v6, v6, v7
	s_mov_b64 s[0:1], 0
	v_xor_b32_e32 v4, v5, v7
	v_sub_co_u32_e32 v4, vcc, v4, v7
	s_nop 1
	v_subb_co_u32_e32 v5, vcc, v6, v7, vcc
	global_store_dwordx2 v[2:3], v[4:5], off
.LBB153_2002:
	s_andn2_b64 vcc, exec, s[0:1]
	s_cbranch_vccnz .LBB153_2004
; %bb.2003:
	v_lshlrev_b32_e32 v4, 16, v1
	v_cvt_i32_f32_e32 v4, v4
	global_store_dword v[2:3], v4, off
.LBB153_2004:
	s_mov_b64 s[0:1], 0
.LBB153_2005:
	s_andn2_b64 vcc, exec, s[0:1]
	s_cbranch_vccnz .LBB153_2007
; %bb.2006:
	v_lshlrev_b32_e32 v4, 16, v1
	v_cvt_i32_f32_e32 v4, v4
	global_store_short v[2:3], v4, off
.LBB153_2007:
	s_mov_b64 s[0:1], 0
.LBB153_2008:
	s_andn2_b64 vcc, exec, s[0:1]
	s_cbranch_vccnz .LBB153_2013
; %bb.2009:
	s_cmp_gt_i32 s6, 0
	s_mov_b64 s[0:1], -1
	s_cbranch_scc0 .LBB153_2011
; %bb.2010:
	v_lshlrev_b32_e32 v4, 16, v1
	v_cvt_i32_f32_e32 v4, v4
	s_mov_b64 s[0:1], 0
	global_store_byte v[2:3], v4, off
.LBB153_2011:
	s_andn2_b64 vcc, exec, s[0:1]
	s_cbranch_vccnz .LBB153_2013
; %bb.2012:
	v_lshlrev_b32_e32 v1, 16, v1
	v_trunc_f32_e32 v1, v1
	s_mov_b32 s0, 0x2f800000
	v_mul_f32_e64 v4, |v1|, s0
	v_floor_f32_e32 v4, v4
	s_mov_b32 s0, 0xcf800000
	v_fma_f32 v4, v4, s0, |v1|
	v_cvt_u32_f32_e32 v4, v4
	v_ashrrev_i32_e32 v1, 31, v1
	v_xor_b32_e32 v4, v4, v1
	v_sub_u32_e32 v1, v4, v1
	global_store_byte v[2:3], v1, off
.LBB153_2013:
	s_mov_b64 s[8:9], -1
.LBB153_2014:
	s_andn2_b64 vcc, exec, s[8:9]
	s_cbranch_vccnz .LBB153_2091
; %bb.2015:
	v_lshlrev_b32_e32 v1, 16, v10
	v_mul_f32_e32 v2, 0x3fb8aa3b, v1
	v_rndne_f32_e32 v2, v2
	v_fmamk_f32 v3, v2, 0xbf317218, v1
	v_fmamk_f32 v3, v2, 0x3102e308, v3
	v_mov_b32_e32 v4, 0x3ab69700
	v_fmac_f32_e32 v4, 0x395133b1, v3
	v_fmaak_f32 v4, v3, v4, 0x3c0887f9
	v_fmaak_f32 v4, v3, v4, 0x3d2aaa81
	v_cvt_i32_f32_e32 v5, v2
	v_fmaak_f32 v4, v3, v4, 0x3e2aaaab
	v_fma_f32 v4, v3, v4, 0.5
	v_mul_f32_e32 v4, v3, v4
	s_mov_b32 s0, 0x43000000
	v_fmac_f32_e32 v3, v3, v4
	v_ldexp_f32 v4, 1.0, v5
	v_mov_b32_e32 v5, 0x7f000000
	v_cmp_eq_f32_e32 vcc, s0, v2
	s_mov_b32 s0, 0x42b17217
	s_cmp_lt_i32 s14, 11
	v_cndmask_b32_e32 v2, v4, v5, vcc
	v_add_f32_e32 v4, -1.0, v2
	v_fmac_f32_e32 v4, v2, v3
	v_add_f32_e32 v2, v4, v4
	v_cndmask_b32_e32 v2, v4, v2, vcc
	v_mov_b32_e32 v3, 0x7f800000
	v_cmp_nlt_f32_e32 vcc, s0, v1
	s_mov_b32 s0, 0xc1880000
	s_nop 0
	v_cndmask_b32_e32 v2, v3, v2, vcc
	v_cmp_ngt_f32_e32 vcc, s0, v1
	s_movk_i32 s0, 0x7fff
	s_nop 0
	v_cndmask_b32_e32 v1, -1.0, v2, vcc
	v_bfe_u32 v2, v1, 16, 1
	v_add3_u32 v2, v1, v2, s0
	v_cmp_o_f32_e32 vcc, v1, v1
	v_mov_b32_e32 v1, 0x7fc0
	s_nop 0
	v_cndmask_b32_sdwa v2, v1, v2, vcc dst_sel:DWORD dst_unused:UNUSED_PAD src0_sel:DWORD src1_sel:WORD_1
	v_mov_b32_e32 v1, 0
	v_lshl_add_u64 v[0:1], s[4:5], 0, v[0:1]
	s_cbranch_scc1 .LBB153_2136
; %bb.2016:
	s_and_b32 s12, 0xffff, s14
	s_mov_b64 s[6:7], -1
	s_mov_b64 s[4:5], 0
	s_cmp_gt_i32 s12, 25
	s_mov_b64 s[0:1], 0
	s_cbranch_scc0 .LBB153_2049
; %bb.2017:
	s_cmp_gt_i32 s12, 28
	s_cbranch_scc0 .LBB153_2033
; %bb.2018:
	s_cmp_gt_i32 s12, 43
	;; [unrolled: 3-line block ×3, first 2 shown]
	s_cbranch_scc0 .LBB153_2023
; %bb.2020:
	s_cmp_eq_u32 s12, 46
	s_mov_b64 s[0:1], -1
	s_cbranch_scc0 .LBB153_2022
; %bb.2021:
	v_and_b32_e32 v3, 0xffff, v2
	global_store_dword v[0:1], v3, off
	s_mov_b64 s[0:1], 0
.LBB153_2022:
	s_mov_b64 s[6:7], 0
.LBB153_2023:
	s_and_b64 vcc, exec, s[6:7]
	s_cbranch_vccz .LBB153_2028
; %bb.2024:
	s_cmp_eq_u32 s12, 44
	s_mov_b64 s[0:1], -1
	s_cbranch_scc0 .LBB153_2028
; %bb.2025:
	v_and_b32_e32 v4, 0xffff, v2
	v_bfe_u32 v3, v4, 7, 8
	s_movk_i32 s0, 0xff
	v_cmp_ne_u32_e32 vcc, s0, v3
	v_mov_b32_e32 v5, 0xff
	s_and_saveexec_b64 s[6:7], vcc
	s_cbranch_execz .LBB153_2027
; %bb.2026:
	v_lshlrev_b32_e32 v6, 16, v4
	s_mov_b32 s0, 0x3f0000
	v_lshrrev_b32_e32 v5, 7, v4
	v_and_b32_e32 v4, 64, v4
	v_and_or_b32 v3, v6, s0, v3
	v_cmp_ne_u32_e32 vcc, 0, v4
	v_cmp_ne_u32_e64 s[0:1], 0, v3
	s_and_b64 s[0:1], vcc, s[0:1]
	s_nop 0
	v_cndmask_b32_e64 v3, 0, 1, s[0:1]
	v_add_u32_e32 v5, v5, v3
.LBB153_2027:
	s_or_b64 exec, exec, s[6:7]
	s_mov_b64 s[0:1], 0
	global_store_byte v[0:1], v5, off
.LBB153_2028:
	s_mov_b64 s[6:7], 0
.LBB153_2029:
	s_and_b64 vcc, exec, s[6:7]
	s_cbranch_vccz .LBB153_2032
; %bb.2030:
	s_cmp_eq_u32 s12, 29
	s_mov_b64 s[0:1], -1
	s_cbranch_scc0 .LBB153_2032
; %bb.2031:
	v_lshlrev_b32_e32 v3, 16, v2
	v_trunc_f32_e32 v3, v3
	v_mul_f32_e32 v4, 0x2f800000, v3
	v_floor_f32_e32 v4, v4
	v_fmamk_f32 v3, v4, 0xcf800000, v3
	v_cvt_u32_f32_e32 v5, v4
	v_cvt_u32_f32_e32 v4, v3
	s_mov_b64 s[0:1], 0
	global_store_dwordx2 v[0:1], v[4:5], off
.LBB153_2032:
	s_mov_b64 s[6:7], 0
.LBB153_2033:
	s_and_b64 vcc, exec, s[6:7]
	s_cbranch_vccz .LBB153_2048
; %bb.2034:
	s_cmp_lt_i32 s12, 27
	s_mov_b64 s[6:7], -1
	s_cbranch_scc1 .LBB153_2040
; %bb.2035:
	s_cmp_gt_i32 s12, 27
	s_cbranch_scc0 .LBB153_2037
; %bb.2036:
	v_lshlrev_b32_e32 v3, 16, v2
	v_cvt_u32_f32_e32 v3, v3
	s_mov_b64 s[6:7], 0
	global_store_dword v[0:1], v3, off
.LBB153_2037:
	s_andn2_b64 vcc, exec, s[6:7]
	s_cbranch_vccnz .LBB153_2039
; %bb.2038:
	v_lshlrev_b32_e32 v3, 16, v2
	v_cvt_u32_f32_e32 v3, v3
	global_store_short v[0:1], v3, off
.LBB153_2039:
	s_mov_b64 s[6:7], 0
.LBB153_2040:
	s_andn2_b64 vcc, exec, s[6:7]
	s_cbranch_vccnz .LBB153_2048
; %bb.2041:
	v_lshlrev_b32_e32 v5, 16, v2
	v_and_b32_e32 v4, 0x7fffffff, v5
	s_mov_b32 s6, 0x43800000
	v_cmp_gt_u32_e32 vcc, s6, v4
	v_mov_b32_e32 v6, 0x80
	s_and_saveexec_b64 s[6:7], vcc
	s_cbranch_execz .LBB153_2047
; %bb.2042:
	s_mov_b32 s8, 0x3bffffff
	v_and_b32_e32 v3, 0xffff, v2
	v_cmp_lt_u32_e32 vcc, s8, v4
	s_mov_b64 s[8:9], 0
                                        ; implicit-def: $vgpr4
	s_and_saveexec_b64 s[10:11], vcc
	s_xor_b64 s[10:11], exec, s[10:11]
	s_cbranch_execz .LBB153_2153
; %bb.2043:
	v_bfe_u32 v4, v3, 4, 1
	s_mov_b32 s13, 0x487ffff
	v_add3_u32 v4, v5, v4, s13
	s_mov_b64 s[8:9], exec
	v_lshrrev_b32_e32 v4, 20, v4
                                        ; implicit-def: $vgpr5
	s_andn2_saveexec_b64 s[10:11], s[10:11]
	s_cbranch_execnz .LBB153_2154
.LBB153_2044:
	s_or_b64 exec, exec, s[10:11]
	v_mov_b32_e32 v6, 0
	s_and_saveexec_b64 s[10:11], s[8:9]
.LBB153_2045:
	v_lshrrev_b32_e32 v3, 8, v3
	s_movk_i32 s8, 0x80
	v_and_or_b32 v6, v3, s8, v4
.LBB153_2046:
	s_or_b64 exec, exec, s[10:11]
.LBB153_2047:
	s_or_b64 exec, exec, s[6:7]
	global_store_byte v[0:1], v6, off
.LBB153_2048:
	s_mov_b64 s[6:7], 0
.LBB153_2049:
	s_and_b64 vcc, exec, s[6:7]
	s_cbranch_vccz .LBB153_2089
; %bb.2050:
	s_cmp_gt_i32 s12, 22
	s_mov_b64 s[4:5], -1
	s_cbranch_scc0 .LBB153_2082
; %bb.2051:
	s_cmp_lt_i32 s12, 24
	s_cbranch_scc1 .LBB153_2071
; %bb.2052:
	s_cmp_gt_i32 s12, 24
	s_cbranch_scc0 .LBB153_2060
; %bb.2053:
	v_lshlrev_b32_e32 v5, 16, v2
	v_and_b32_e32 v4, 0x7fffffff, v5
	s_mov_b32 s4, 0x47800000
	v_cmp_gt_u32_e32 vcc, s4, v4
	v_mov_b32_e32 v6, 0x80
	s_and_saveexec_b64 s[4:5], vcc
	s_cbranch_execz .LBB153_2059
; %bb.2054:
	s_mov_b32 s6, 0x37ffffff
	v_and_b32_e32 v3, 0xffff, v2
	v_cmp_lt_u32_e32 vcc, s6, v4
	s_mov_b64 s[6:7], 0
                                        ; implicit-def: $vgpr4
	s_and_saveexec_b64 s[8:9], vcc
	s_xor_b64 s[8:9], exec, s[8:9]
	s_cbranch_execz .LBB153_2156
; %bb.2055:
	v_bfe_u32 v4, v3, 5, 1
	s_mov_b32 s10, 0x88fffff
	v_add3_u32 v4, v5, v4, s10
	s_mov_b64 s[6:7], exec
	v_lshrrev_b32_e32 v4, 21, v4
                                        ; implicit-def: $vgpr5
	s_andn2_saveexec_b64 s[8:9], s[8:9]
	s_cbranch_execnz .LBB153_2157
.LBB153_2056:
	s_or_b64 exec, exec, s[8:9]
	v_mov_b32_e32 v6, 0
	s_and_saveexec_b64 s[8:9], s[6:7]
.LBB153_2057:
	v_lshrrev_b32_e32 v3, 8, v3
	s_movk_i32 s6, 0x80
	v_and_or_b32 v6, v3, s6, v4
.LBB153_2058:
	s_or_b64 exec, exec, s[8:9]
.LBB153_2059:
	s_or_b64 exec, exec, s[4:5]
	s_mov_b64 s[4:5], 0
	global_store_byte v[0:1], v6, off
.LBB153_2060:
	s_and_b64 vcc, exec, s[4:5]
	s_cbranch_vccz .LBB153_2070
; %bb.2061:
	v_lshlrev_b32_e32 v5, 16, v2
	v_and_b32_e32 v6, 0x7fffffff, v5
	s_mov_b32 s4, 0x43f00000
	v_and_b32_e32 v3, 0xffff, v2
	v_cmp_gt_u32_e32 vcc, s4, v6
                                        ; implicit-def: $vgpr4
	s_and_saveexec_b64 s[4:5], vcc
	s_xor_b64 s[4:5], exec, s[4:5]
	s_cbranch_execz .LBB153_2067
; %bb.2062:
	s_mov_b32 s6, 0x3c7fffff
	v_cmp_lt_u32_e32 vcc, s6, v6
                                        ; implicit-def: $vgpr4
	s_and_saveexec_b64 s[6:7], vcc
	s_xor_b64 s[6:7], exec, s[6:7]
; %bb.2063:
	v_bfe_u32 v4, v3, 4, 1
	s_mov_b32 s8, 0x407ffff
	v_add3_u32 v4, v5, v4, s8
	v_lshrrev_b32_e32 v5, 20, v4
	v_and_b32_e32 v4, 0xff00000, v4
	s_mov_b32 s8, 0x7f00000
	v_mov_b32_e32 v6, 0x7e
	v_cmp_ne_u32_e32 vcc, s8, v4
	s_nop 1
	v_cndmask_b32_e32 v4, v6, v5, vcc
                                        ; implicit-def: $vgpr5
; %bb.2064:
	s_andn2_saveexec_b64 s[6:7], s[6:7]
; %bb.2065:
	s_mov_b32 s8, 0x46800000
	v_add_f32_e64 v4, |v5|, s8
; %bb.2066:
	s_or_b64 exec, exec, s[6:7]
                                        ; implicit-def: $vgpr6
.LBB153_2067:
	s_andn2_saveexec_b64 s[4:5], s[4:5]
; %bb.2068:
	s_mov_b32 s6, 0x7f800000
	v_mov_b32_e32 v4, 0x7e
	v_mov_b32_e32 v5, 0x7f
	v_cmp_lt_u32_e32 vcc, s6, v6
	s_nop 1
	v_cndmask_b32_e32 v4, v4, v5, vcc
; %bb.2069:
	s_or_b64 exec, exec, s[4:5]
	v_lshrrev_b32_e32 v3, 8, v3
	s_movk_i32 s4, 0x80
	v_and_or_b32 v3, v3, s4, v4
	global_store_byte v[0:1], v3, off
.LBB153_2070:
	s_mov_b64 s[4:5], 0
.LBB153_2071:
	s_andn2_b64 vcc, exec, s[4:5]
	s_cbranch_vccnz .LBB153_2081
; %bb.2072:
	v_lshlrev_b32_e32 v5, 16, v2
	v_and_b32_e32 v6, 0x7fffffff, v5
	s_mov_b32 s4, 0x47800000
	v_and_b32_e32 v3, 0xffff, v2
	v_cmp_gt_u32_e32 vcc, s4, v6
                                        ; implicit-def: $vgpr4
	s_and_saveexec_b64 s[4:5], vcc
	s_xor_b64 s[4:5], exec, s[4:5]
	s_cbranch_execz .LBB153_2078
; %bb.2073:
	s_mov_b32 s6, 0x387fffff
	v_cmp_lt_u32_e32 vcc, s6, v6
                                        ; implicit-def: $vgpr4
	s_and_saveexec_b64 s[6:7], vcc
	s_xor_b64 s[6:7], exec, s[6:7]
; %bb.2074:
	v_bfe_u32 v4, v3, 5, 1
	s_mov_b32 s8, 0x80fffff
	v_add3_u32 v4, v5, v4, s8
	v_lshrrev_b32_e32 v4, 21, v4
                                        ; implicit-def: $vgpr5
; %bb.2075:
	s_andn2_saveexec_b64 s[6:7], s[6:7]
; %bb.2076:
	s_mov_b32 s8, 0x43000000
	v_add_f32_e64 v4, |v5|, s8
; %bb.2077:
	s_or_b64 exec, exec, s[6:7]
                                        ; implicit-def: $vgpr6
.LBB153_2078:
	s_andn2_saveexec_b64 s[4:5], s[4:5]
; %bb.2079:
	s_mov_b32 s6, 0x7f800000
	v_mov_b32_e32 v4, 0x7c
	v_mov_b32_e32 v5, 0x7f
	v_cmp_lt_u32_e32 vcc, s6, v6
	s_nop 1
	v_cndmask_b32_e32 v4, v4, v5, vcc
; %bb.2080:
	s_or_b64 exec, exec, s[4:5]
	v_lshrrev_b32_e32 v3, 8, v3
	s_movk_i32 s4, 0x80
	v_and_or_b32 v3, v3, s4, v4
	global_store_byte v[0:1], v3, off
.LBB153_2081:
	s_mov_b64 s[4:5], 0
.LBB153_2082:
	s_andn2_b64 vcc, exec, s[4:5]
	s_mov_b64 s[4:5], 0
	s_cbranch_vccnz .LBB153_2089
; %bb.2083:
	s_cmp_gt_i32 s12, 14
	s_mov_b64 s[6:7], -1
	s_cbranch_scc0 .LBB153_2087
; %bb.2084:
	s_cmp_eq_u32 s12, 15
	s_mov_b64 s[0:1], -1
	s_cbranch_scc0 .LBB153_2086
; %bb.2085:
	global_store_short v[0:1], v2, off
	s_mov_b64 s[0:1], 0
.LBB153_2086:
	s_mov_b64 s[6:7], 0
.LBB153_2087:
	s_and_b64 vcc, exec, s[6:7]
	s_cbranch_vccz .LBB153_2089
; %bb.2088:
	s_cmp_lg_u32 s12, 11
	s_mov_b64 s[4:5], -1
	s_cselect_b64 s[0:1], -1, 0
.LBB153_2089:
	s_and_b64 vcc, exec, s[0:1]
	s_cbranch_vccnz .LBB153_2155
.LBB153_2090:
	s_mov_b64 s[0:1], 0
	s_branch .LBB153_2092
.LBB153_2091:
	s_mov_b64 s[0:1], 0
	s_mov_b64 s[4:5], 0
                                        ; implicit-def: $vgpr0_vgpr1
                                        ; implicit-def: $sgpr14
                                        ; implicit-def: $vgpr2
.LBB153_2092:
	s_and_b64 s[6:7], s[0:1], exec
	s_andn2_b64 s[0:1], s[24:25], exec
	s_and_b64 s[2:3], s[2:3], exec
	s_and_b64 s[40:41], s[4:5], exec
	s_or_b64 s[24:25], s[0:1], s[2:3]
.LBB153_2093:
	s_or_b64 exec, exec, s[26:27]
	s_and_saveexec_b64 s[0:1], s[24:25]
	s_cbranch_execz .LBB153_2096
; %bb.2094:
	; divergent unreachable
	s_or_b64 exec, exec, s[0:1]
	s_and_saveexec_b64 s[0:1], s[40:41]
	s_xor_b64 s[0:1], exec, s[0:1]
	s_cbranch_execnz .LBB153_2097
.LBB153_2095:
	s_or_b64 exec, exec, s[0:1]
	s_and_saveexec_b64 s[0:1], s[6:7]
	s_cbranch_execnz .LBB153_2098
	s_branch .LBB153_2135
.LBB153_2096:
	s_or_b64 exec, exec, s[0:1]
	s_and_saveexec_b64 s[0:1], s[40:41]
	s_xor_b64 s[0:1], exec, s[0:1]
	s_cbranch_execz .LBB153_2095
.LBB153_2097:
	s_waitcnt vmcnt(0)
	v_and_b32_e32 v3, 0x7fff, v2
	v_cmp_ne_u16_e32 vcc, 0, v3
	s_nop 1
	v_cndmask_b32_e64 v3, 0, 1, vcc
	global_store_byte v[0:1], v3, off
	s_or_b64 exec, exec, s[0:1]
	s_and_saveexec_b64 s[0:1], s[6:7]
	s_cbranch_execz .LBB153_2135
.LBB153_2098:
	s_sext_i32_i16 s2, s14
	s_cmp_lt_i32 s2, 5
	s_mov_b64 s[0:1], -1
	s_cbranch_scc1 .LBB153_2119
; %bb.2099:
	s_cmp_lt_i32 s2, 8
	s_cbranch_scc1 .LBB153_2109
; %bb.2100:
	s_cmp_lt_i32 s2, 9
	s_cbranch_scc1 .LBB153_2106
; %bb.2101:
	s_cmp_gt_i32 s2, 9
	s_cbranch_scc0 .LBB153_2103
; %bb.2102:
	s_waitcnt vmcnt(0)
	v_lshlrev_b32_e32 v3, 16, v2
	v_mov_b32_e32 v6, 0
	v_cvt_f64_f32_e32 v[4:5], v3
	v_mov_b32_e32 v7, v6
	global_store_dwordx4 v[0:1], v[4:7], off
	s_mov_b64 s[0:1], 0
.LBB153_2103:
	s_andn2_b64 vcc, exec, s[0:1]
	s_cbranch_vccnz .LBB153_2105
; %bb.2104:
	v_lshlrev_b32_e32 v4, 16, v2
	v_mov_b32_e32 v5, 0
	s_waitcnt vmcnt(0)
	global_store_dwordx2 v[0:1], v[4:5], off
.LBB153_2105:
	s_mov_b64 s[0:1], 0
.LBB153_2106:
	s_andn2_b64 vcc, exec, s[0:1]
	s_cbranch_vccnz .LBB153_2108
; %bb.2107:
	s_waitcnt vmcnt(0)
	v_lshlrev_b32_e32 v3, 16, v2
	v_cvt_f16_f32_e32 v3, v3
	global_store_dword v[0:1], v3, off
.LBB153_2108:
	s_mov_b64 s[0:1], 0
.LBB153_2109:
	s_andn2_b64 vcc, exec, s[0:1]
	s_cbranch_vccnz .LBB153_2118
; %bb.2110:
	s_sext_i32_i16 s2, s14
	s_cmp_lt_i32 s2, 6
	s_mov_b64 s[0:1], -1
	s_cbranch_scc1 .LBB153_2116
; %bb.2111:
	s_cmp_gt_i32 s2, 6
	s_cbranch_scc0 .LBB153_2113
; %bb.2112:
	s_waitcnt vmcnt(0)
	v_lshlrev_b32_e32 v3, 16, v2
	v_cvt_f64_f32_e32 v[4:5], v3
	global_store_dwordx2 v[0:1], v[4:5], off
	s_mov_b64 s[0:1], 0
.LBB153_2113:
	s_andn2_b64 vcc, exec, s[0:1]
	s_cbranch_vccnz .LBB153_2115
; %bb.2114:
	s_waitcnt vmcnt(0)
	v_lshlrev_b32_e32 v3, 16, v2
	global_store_dword v[0:1], v3, off
.LBB153_2115:
	s_mov_b64 s[0:1], 0
.LBB153_2116:
	s_andn2_b64 vcc, exec, s[0:1]
	s_cbranch_vccnz .LBB153_2118
; %bb.2117:
	s_waitcnt vmcnt(0)
	v_lshlrev_b32_e32 v3, 16, v2
	v_cvt_f16_f32_e32 v3, v3
	global_store_short v[0:1], v3, off
.LBB153_2118:
	s_mov_b64 s[0:1], 0
.LBB153_2119:
	s_andn2_b64 vcc, exec, s[0:1]
	s_cbranch_vccnz .LBB153_2135
; %bb.2120:
	s_sext_i32_i16 s2, s14
	s_cmp_lt_i32 s2, 2
	s_mov_b64 s[0:1], -1
	s_cbranch_scc1 .LBB153_2130
; %bb.2121:
	s_cmp_lt_i32 s2, 3
	s_cbranch_scc1 .LBB153_2127
; %bb.2122:
	s_cmp_gt_i32 s2, 3
	s_cbranch_scc0 .LBB153_2124
; %bb.2123:
	s_waitcnt vmcnt(0)
	v_lshlrev_b32_e32 v3, 16, v2
	v_trunc_f32_e32 v3, v3
	s_mov_b32 s0, 0x2f800000
	v_mul_f32_e64 v4, |v3|, s0
	v_floor_f32_e32 v4, v4
	s_mov_b32 s0, 0xcf800000
	v_cvt_u32_f32_e32 v5, v4
	v_fma_f32 v4, v4, s0, |v3|
	v_cvt_u32_f32_e32 v4, v4
	v_ashrrev_i32_e32 v3, 31, v3
	v_xor_b32_e32 v5, v5, v3
	s_mov_b64 s[0:1], 0
	v_xor_b32_e32 v4, v4, v3
	v_sub_co_u32_e32 v4, vcc, v4, v3
	s_nop 1
	v_subb_co_u32_e32 v5, vcc, v5, v3, vcc
	global_store_dwordx2 v[0:1], v[4:5], off
.LBB153_2124:
	s_andn2_b64 vcc, exec, s[0:1]
	s_cbranch_vccnz .LBB153_2126
; %bb.2125:
	s_waitcnt vmcnt(0)
	v_lshlrev_b32_e32 v3, 16, v2
	v_cvt_i32_f32_e32 v3, v3
	global_store_dword v[0:1], v3, off
.LBB153_2126:
	s_mov_b64 s[0:1], 0
.LBB153_2127:
	s_andn2_b64 vcc, exec, s[0:1]
	s_cbranch_vccnz .LBB153_2129
; %bb.2128:
	s_waitcnt vmcnt(0)
	v_lshlrev_b32_e32 v3, 16, v2
	v_cvt_i32_f32_e32 v3, v3
	global_store_short v[0:1], v3, off
.LBB153_2129:
	s_mov_b64 s[0:1], 0
.LBB153_2130:
	s_andn2_b64 vcc, exec, s[0:1]
	s_cbranch_vccnz .LBB153_2135
; %bb.2131:
	s_sext_i32_i16 s0, s14
	s_cmp_gt_i32 s0, 0
	s_mov_b64 s[0:1], -1
	s_cbranch_scc0 .LBB153_2133
; %bb.2132:
	s_waitcnt vmcnt(0)
	v_lshlrev_b32_e32 v3, 16, v2
	v_cvt_i32_f32_e32 v3, v3
	s_mov_b64 s[0:1], 0
	global_store_byte v[0:1], v3, off
.LBB153_2133:
	s_andn2_b64 vcc, exec, s[0:1]
	s_cbranch_vccnz .LBB153_2135
; %bb.2134:
	v_lshlrev_b32_e32 v2, 16, v2
	v_trunc_f32_e32 v2, v2
	s_mov_b32 s0, 0x2f800000
	s_waitcnt vmcnt(0)
	v_mul_f32_e64 v3, |v2|, s0
	v_floor_f32_e32 v3, v3
	s_mov_b32 s0, 0xcf800000
	v_fma_f32 v3, v3, s0, |v2|
	v_cvt_u32_f32_e32 v3, v3
	v_ashrrev_i32_e32 v2, 31, v2
	v_xor_b32_e32 v3, v3, v2
	v_sub_u32_e32 v2, v3, v2
	global_store_byte v[0:1], v2, off
	s_endpgm
.LBB153_2135:
	s_endpgm
.LBB153_2136:
	s_mov_b64 s[4:5], 0
	s_mov_b64 s[0:1], -1
	s_branch .LBB153_2092
.LBB153_2137:
	s_trap 2
	s_or_b64 s[2:3], s[2:3], exec
	s_cbranch_execz .LBB153_1606
	s_branch .LBB153_1607
.LBB153_2138:
	s_andn2_saveexec_b64 s[12:13], s[12:13]
	s_cbranch_execz .LBB153_1686
.LBB153_2139:
	s_mov_b32 s17, 0x46000000
	v_add_f32_e64 v8, |v9|, s17
	v_and_b32_e32 v8, 0xff, v8
	v_cmp_ne_u32_e32 vcc, 0, v8
	s_andn2_b64 s[10:11], s[10:11], exec
	s_and_b64 s[18:19], vcc, exec
	s_or_b64 s[10:11], s[10:11], s[18:19]
	s_or_b64 exec, exec, s[12:13]
	v_mov_b32_e32 v11, 0
	s_and_saveexec_b64 s[12:13], s[10:11]
	s_cbranch_execnz .LBB153_1687
	s_branch .LBB153_1688
.LBB153_2140:
	s_trap 2
	s_or_b64 s[2:3], s[2:3], exec
	s_cbranch_execz .LBB153_1734
	s_branch .LBB153_1735
.LBB153_2141:
	s_andn2_saveexec_b64 s[10:11], s[10:11]
	s_cbranch_execz .LBB153_1699
.LBB153_2142:
	s_mov_b32 s12, 0x42800000
	v_add_f32_e64 v8, |v9|, s12
	v_and_b32_e32 v8, 0xff, v8
	v_cmp_ne_u32_e32 vcc, 0, v8
	s_andn2_b64 s[8:9], s[8:9], exec
	s_and_b64 s[12:13], vcc, exec
	s_or_b64 s[8:9], s[8:9], s[12:13]
	s_or_b64 exec, exec, s[10:11]
	v_mov_b32_e32 v11, 0
	s_and_saveexec_b64 s[10:11], s[8:9]
	s_cbranch_execnz .LBB153_1700
	s_branch .LBB153_1701
.LBB153_2143:
	s_andn2_saveexec_b64 s[12:13], s[12:13]
	s_cbranch_execz .LBB153_1805
.LBB153_2144:
	s_mov_b32 s16, 0x46000000
	v_add_f32_e64 v6, |v7|, s16
	v_and_b32_e32 v6, 0xff, v6
	v_cmp_ne_u32_e32 vcc, 0, v6
	s_andn2_b64 s[10:11], s[10:11], exec
	s_and_b64 s[16:17], vcc, exec
	s_or_b64 s[10:11], s[10:11], s[16:17]
	s_or_b64 exec, exec, s[12:13]
	v_mov_b32_e32 v8, 0
	s_and_saveexec_b64 s[12:13], s[10:11]
	s_cbranch_execnz .LBB153_1806
	s_branch .LBB153_1807
.LBB153_2145:
	s_trap 2
	s_or_b64 s[2:3], s[2:3], exec
	s_cbranch_execz .LBB153_1853
	s_branch .LBB153_1854
.LBB153_2146:
	s_andn2_saveexec_b64 s[10:11], s[10:11]
	s_cbranch_execz .LBB153_1818
.LBB153_2147:
	s_mov_b32 s12, 0x42800000
	v_add_f32_e64 v6, |v7|, s12
	v_and_b32_e32 v6, 0xff, v6
	v_cmp_ne_u32_e32 vcc, 0, v6
	s_andn2_b64 s[8:9], s[8:9], exec
	s_and_b64 s[12:13], vcc, exec
	s_or_b64 s[8:9], s[8:9], s[12:13]
	s_or_b64 exec, exec, s[10:11]
	v_mov_b32_e32 v8, 0
	s_and_saveexec_b64 s[10:11], s[8:9]
	s_cbranch_execnz .LBB153_1819
	s_branch .LBB153_1820
.LBB153_2148:
	s_andn2_saveexec_b64 s[12:13], s[12:13]
	s_cbranch_execz .LBB153_1924
.LBB153_2149:
	s_mov_b32 s16, 0x46000000
	v_add_f32_e64 v5, |v6|, s16
	v_and_b32_e32 v5, 0xff, v5
	v_cmp_ne_u32_e32 vcc, 0, v5
	s_andn2_b64 s[10:11], s[10:11], exec
	s_and_b64 s[16:17], vcc, exec
	s_or_b64 s[10:11], s[10:11], s[16:17]
	s_or_b64 exec, exec, s[12:13]
	v_mov_b32_e32 v7, 0
	s_and_saveexec_b64 s[12:13], s[10:11]
	s_cbranch_execnz .LBB153_1925
	s_branch .LBB153_1926
.LBB153_2150:
	s_trap 2
	s_or_b64 s[2:3], s[2:3], exec
	s_cbranch_execz .LBB153_1972
	s_branch .LBB153_1973
.LBB153_2151:
	s_andn2_saveexec_b64 s[10:11], s[10:11]
	s_cbranch_execz .LBB153_1937
.LBB153_2152:
	s_mov_b32 s12, 0x42800000
	v_add_f32_e64 v5, |v6|, s12
	v_and_b32_e32 v5, 0xff, v5
	v_cmp_ne_u32_e32 vcc, 0, v5
	s_andn2_b64 s[8:9], s[8:9], exec
	s_and_b64 s[12:13], vcc, exec
	s_or_b64 s[8:9], s[8:9], s[12:13]
	s_or_b64 exec, exec, s[10:11]
	v_mov_b32_e32 v7, 0
	s_and_saveexec_b64 s[10:11], s[8:9]
	s_cbranch_execnz .LBB153_1938
	s_branch .LBB153_1939
.LBB153_2153:
	s_andn2_saveexec_b64 s[10:11], s[10:11]
	s_cbranch_execz .LBB153_2044
.LBB153_2154:
	s_mov_b32 s13, 0x46000000
	v_add_f32_e64 v4, |v5|, s13
	v_and_b32_e32 v4, 0xff, v4
	v_cmp_ne_u32_e32 vcc, 0, v4
	s_andn2_b64 s[8:9], s[8:9], exec
	s_and_b64 s[16:17], vcc, exec
	s_or_b64 s[8:9], s[8:9], s[16:17]
	s_or_b64 exec, exec, s[10:11]
	v_mov_b32_e32 v6, 0
	s_and_saveexec_b64 s[10:11], s[8:9]
	s_cbranch_execnz .LBB153_2045
	s_branch .LBB153_2046
.LBB153_2155:
	s_mov_b64 s[4:5], 0
	s_or_b64 s[2:3], s[2:3], exec
	s_trap 2
	s_branch .LBB153_2090
.LBB153_2156:
	s_andn2_saveexec_b64 s[8:9], s[8:9]
	s_cbranch_execz .LBB153_2056
.LBB153_2157:
	s_mov_b32 s10, 0x42800000
	v_add_f32_e64 v4, |v5|, s10
	v_and_b32_e32 v4, 0xff, v4
	v_cmp_ne_u32_e32 vcc, 0, v4
	s_andn2_b64 s[6:7], s[6:7], exec
	s_and_b64 s[10:11], vcc, exec
	s_or_b64 s[6:7], s[6:7], s[10:11]
	s_or_b64 exec, exec, s[8:9]
	v_mov_b32_e32 v6, 0
	s_and_saveexec_b64 s[8:9], s[6:7]
	s_cbranch_execnz .LBB153_2057
	s_branch .LBB153_2058
	.section	.rodata,"a",@progbits
	.p2align	6, 0x0
	.amdhsa_kernel _ZN2at6native32elementwise_kernel_manual_unrollILi128ELi4EZNS0_15gpu_kernel_implIZZZNS0_17expm1_kernel_cudaERNS_18TensorIteratorBaseEENKUlvE_clEvENKUlvE3_clEvEUlN3c108BFloat16EE_EEvS4_RKT_EUlibE0_EEviT1_
		.amdhsa_group_segment_fixed_size 0
		.amdhsa_private_segment_fixed_size 0
		.amdhsa_kernarg_size 360
		.amdhsa_user_sgpr_count 2
		.amdhsa_user_sgpr_dispatch_ptr 0
		.amdhsa_user_sgpr_queue_ptr 0
		.amdhsa_user_sgpr_kernarg_segment_ptr 1
		.amdhsa_user_sgpr_dispatch_id 0
		.amdhsa_user_sgpr_kernarg_preload_length 0
		.amdhsa_user_sgpr_kernarg_preload_offset 0
		.amdhsa_user_sgpr_private_segment_size 0
		.amdhsa_uses_dynamic_stack 0
		.amdhsa_enable_private_segment 0
		.amdhsa_system_sgpr_workgroup_id_x 1
		.amdhsa_system_sgpr_workgroup_id_y 0
		.amdhsa_system_sgpr_workgroup_id_z 0
		.amdhsa_system_sgpr_workgroup_info 0
		.amdhsa_system_vgpr_workitem_id 0
		.amdhsa_next_free_vgpr 18
		.amdhsa_next_free_sgpr 78
		.amdhsa_accum_offset 20
		.amdhsa_reserve_vcc 1
		.amdhsa_float_round_mode_32 0
		.amdhsa_float_round_mode_16_64 0
		.amdhsa_float_denorm_mode_32 3
		.amdhsa_float_denorm_mode_16_64 3
		.amdhsa_dx10_clamp 1
		.amdhsa_ieee_mode 1
		.amdhsa_fp16_overflow 0
		.amdhsa_tg_split 0
		.amdhsa_exception_fp_ieee_invalid_op 0
		.amdhsa_exception_fp_denorm_src 0
		.amdhsa_exception_fp_ieee_div_zero 0
		.amdhsa_exception_fp_ieee_overflow 0
		.amdhsa_exception_fp_ieee_underflow 0
		.amdhsa_exception_fp_ieee_inexact 0
		.amdhsa_exception_int_div_zero 0
	.end_amdhsa_kernel
	.section	.text._ZN2at6native32elementwise_kernel_manual_unrollILi128ELi4EZNS0_15gpu_kernel_implIZZZNS0_17expm1_kernel_cudaERNS_18TensorIteratorBaseEENKUlvE_clEvENKUlvE3_clEvEUlN3c108BFloat16EE_EEvS4_RKT_EUlibE0_EEviT1_,"axG",@progbits,_ZN2at6native32elementwise_kernel_manual_unrollILi128ELi4EZNS0_15gpu_kernel_implIZZZNS0_17expm1_kernel_cudaERNS_18TensorIteratorBaseEENKUlvE_clEvENKUlvE3_clEvEUlN3c108BFloat16EE_EEvS4_RKT_EUlibE0_EEviT1_,comdat
.Lfunc_end153:
	.size	_ZN2at6native32elementwise_kernel_manual_unrollILi128ELi4EZNS0_15gpu_kernel_implIZZZNS0_17expm1_kernel_cudaERNS_18TensorIteratorBaseEENKUlvE_clEvENKUlvE3_clEvEUlN3c108BFloat16EE_EEvS4_RKT_EUlibE0_EEviT1_, .Lfunc_end153-_ZN2at6native32elementwise_kernel_manual_unrollILi128ELi4EZNS0_15gpu_kernel_implIZZZNS0_17expm1_kernel_cudaERNS_18TensorIteratorBaseEENKUlvE_clEvENKUlvE3_clEvEUlN3c108BFloat16EE_EEvS4_RKT_EUlibE0_EEviT1_
                                        ; -- End function
	.set _ZN2at6native32elementwise_kernel_manual_unrollILi128ELi4EZNS0_15gpu_kernel_implIZZZNS0_17expm1_kernel_cudaERNS_18TensorIteratorBaseEENKUlvE_clEvENKUlvE3_clEvEUlN3c108BFloat16EE_EEvS4_RKT_EUlibE0_EEviT1_.num_vgpr, 18
	.set _ZN2at6native32elementwise_kernel_manual_unrollILi128ELi4EZNS0_15gpu_kernel_implIZZZNS0_17expm1_kernel_cudaERNS_18TensorIteratorBaseEENKUlvE_clEvENKUlvE3_clEvEUlN3c108BFloat16EE_EEvS4_RKT_EUlibE0_EEviT1_.num_agpr, 0
	.set _ZN2at6native32elementwise_kernel_manual_unrollILi128ELi4EZNS0_15gpu_kernel_implIZZZNS0_17expm1_kernel_cudaERNS_18TensorIteratorBaseEENKUlvE_clEvENKUlvE3_clEvEUlN3c108BFloat16EE_EEvS4_RKT_EUlibE0_EEviT1_.numbered_sgpr, 78
	.set _ZN2at6native32elementwise_kernel_manual_unrollILi128ELi4EZNS0_15gpu_kernel_implIZZZNS0_17expm1_kernel_cudaERNS_18TensorIteratorBaseEENKUlvE_clEvENKUlvE3_clEvEUlN3c108BFloat16EE_EEvS4_RKT_EUlibE0_EEviT1_.num_named_barrier, 0
	.set _ZN2at6native32elementwise_kernel_manual_unrollILi128ELi4EZNS0_15gpu_kernel_implIZZZNS0_17expm1_kernel_cudaERNS_18TensorIteratorBaseEENKUlvE_clEvENKUlvE3_clEvEUlN3c108BFloat16EE_EEvS4_RKT_EUlibE0_EEviT1_.private_seg_size, 0
	.set _ZN2at6native32elementwise_kernel_manual_unrollILi128ELi4EZNS0_15gpu_kernel_implIZZZNS0_17expm1_kernel_cudaERNS_18TensorIteratorBaseEENKUlvE_clEvENKUlvE3_clEvEUlN3c108BFloat16EE_EEvS4_RKT_EUlibE0_EEviT1_.uses_vcc, 1
	.set _ZN2at6native32elementwise_kernel_manual_unrollILi128ELi4EZNS0_15gpu_kernel_implIZZZNS0_17expm1_kernel_cudaERNS_18TensorIteratorBaseEENKUlvE_clEvENKUlvE3_clEvEUlN3c108BFloat16EE_EEvS4_RKT_EUlibE0_EEviT1_.uses_flat_scratch, 0
	.set _ZN2at6native32elementwise_kernel_manual_unrollILi128ELi4EZNS0_15gpu_kernel_implIZZZNS0_17expm1_kernel_cudaERNS_18TensorIteratorBaseEENKUlvE_clEvENKUlvE3_clEvEUlN3c108BFloat16EE_EEvS4_RKT_EUlibE0_EEviT1_.has_dyn_sized_stack, 0
	.set _ZN2at6native32elementwise_kernel_manual_unrollILi128ELi4EZNS0_15gpu_kernel_implIZZZNS0_17expm1_kernel_cudaERNS_18TensorIteratorBaseEENKUlvE_clEvENKUlvE3_clEvEUlN3c108BFloat16EE_EEvS4_RKT_EUlibE0_EEviT1_.has_recursion, 0
	.set _ZN2at6native32elementwise_kernel_manual_unrollILi128ELi4EZNS0_15gpu_kernel_implIZZZNS0_17expm1_kernel_cudaERNS_18TensorIteratorBaseEENKUlvE_clEvENKUlvE3_clEvEUlN3c108BFloat16EE_EEvS4_RKT_EUlibE0_EEviT1_.has_indirect_call, 0
	.section	.AMDGPU.csdata,"",@progbits
; Kernel info:
; codeLenInByte = 45428
; TotalNumSgprs: 84
; NumVgprs: 18
; NumAgprs: 0
; TotalNumVgprs: 18
; ScratchSize: 0
; MemoryBound: 0
; FloatMode: 240
; IeeeMode: 1
; LDSByteSize: 0 bytes/workgroup (compile time only)
; SGPRBlocks: 10
; VGPRBlocks: 2
; NumSGPRsForWavesPerEU: 84
; NumVGPRsForWavesPerEU: 18
; AccumOffset: 20
; Occupancy: 8
; WaveLimiterHint : 1
; COMPUTE_PGM_RSRC2:SCRATCH_EN: 0
; COMPUTE_PGM_RSRC2:USER_SGPR: 2
; COMPUTE_PGM_RSRC2:TRAP_HANDLER: 0
; COMPUTE_PGM_RSRC2:TGID_X_EN: 1
; COMPUTE_PGM_RSRC2:TGID_Y_EN: 0
; COMPUTE_PGM_RSRC2:TGID_Z_EN: 0
; COMPUTE_PGM_RSRC2:TIDIG_COMP_CNT: 0
; COMPUTE_PGM_RSRC3_GFX90A:ACCUM_OFFSET: 4
; COMPUTE_PGM_RSRC3_GFX90A:TG_SPLIT: 0
	.section	.text._ZN2at6native29vectorized_elementwise_kernelILi16EZZZNS0_17expm1_kernel_cudaERNS_18TensorIteratorBaseEENKUlvE_clEvENKUlvE4_clEvEUlN3c104HalfEE_St5arrayIPcLm2EEEEviT0_T1_,"axG",@progbits,_ZN2at6native29vectorized_elementwise_kernelILi16EZZZNS0_17expm1_kernel_cudaERNS_18TensorIteratorBaseEENKUlvE_clEvENKUlvE4_clEvEUlN3c104HalfEE_St5arrayIPcLm2EEEEviT0_T1_,comdat
	.globl	_ZN2at6native29vectorized_elementwise_kernelILi16EZZZNS0_17expm1_kernel_cudaERNS_18TensorIteratorBaseEENKUlvE_clEvENKUlvE4_clEvEUlN3c104HalfEE_St5arrayIPcLm2EEEEviT0_T1_ ; -- Begin function _ZN2at6native29vectorized_elementwise_kernelILi16EZZZNS0_17expm1_kernel_cudaERNS_18TensorIteratorBaseEENKUlvE_clEvENKUlvE4_clEvEUlN3c104HalfEE_St5arrayIPcLm2EEEEviT0_T1_
	.p2align	8
	.type	_ZN2at6native29vectorized_elementwise_kernelILi16EZZZNS0_17expm1_kernel_cudaERNS_18TensorIteratorBaseEENKUlvE_clEvENKUlvE4_clEvEUlN3c104HalfEE_St5arrayIPcLm2EEEEviT0_T1_,@function
_ZN2at6native29vectorized_elementwise_kernelILi16EZZZNS0_17expm1_kernel_cudaERNS_18TensorIteratorBaseEENKUlvE_clEvENKUlvE4_clEvEUlN3c104HalfEE_St5arrayIPcLm2EEEEviT0_T1_: ; @_ZN2at6native29vectorized_elementwise_kernelILi16EZZZNS0_17expm1_kernel_cudaERNS_18TensorIteratorBaseEENKUlvE_clEvENKUlvE4_clEvEUlN3c104HalfEE_St5arrayIPcLm2EEEEviT0_T1_
; %bb.0:
	s_load_dword s3, s[0:1], 0x0
	s_load_dwordx4 s[8:11], s[0:1], 0x8
	s_lshl_b32 s6, s2, 11
	s_mov_b64 s[0:1], -1
	s_waitcnt lgkmcnt(0)
	s_sub_i32 s15, s3, s6
	s_cmpk_gt_i32 s15, 0x7ff
	s_cbranch_scc0 .LBB154_2
; %bb.1:
	s_ashr_i32 s7, s6, 31
	s_lshl_b64 s[0:1], s[6:7], 1
	s_add_u32 s2, s10, s0
	s_addc_u32 s3, s11, s1
	v_lshlrev_b32_e32 v1, 4, v0
	global_load_dwordx4 v[2:5], v1, s[2:3]
	s_mov_b32 s14, 0x3f317218
	s_mov_b32 s16, 0xb102e308
	s_mov_b32 s2, 0x3ab69700
	s_mov_b32 s17, 0x42b17217
	s_mov_b32 s18, 0x395133b1
	s_mov_b32 s19, 0xcc40
	v_mov_b64_e32 v[6:7], s[2:3]
	s_mov_b32 s20, 0x3c0887f9
	s_mov_b32 s22, 0x3d2aaa81
	;; [unrolled: 1-line block ×4, first 2 shown]
	s_add_u32 s12, s8, s0
	v_mov_b32_e32 v32, 0x7f000000
	s_addc_u32 s13, s9, s1
	v_mov_b32_e32 v33, 0x7f800000
	v_mov_b32_e32 v34, 0xbc00
	s_waitcnt vmcnt(0)
	v_cvt_f32_f16_sdwa v9, v3 dst_sel:DWORD dst_unused:UNUSED_PAD src0_sel:WORD_1
	v_cvt_f32_f16_e32 v8, v3
	v_cvt_f32_f16_sdwa v11, v2 dst_sel:DWORD dst_unused:UNUSED_PAD src0_sel:WORD_1
	v_cvt_f32_f16_e32 v10, v2
	v_mul_f32_e32 v19, 0x3fb8aa3b, v9
	v_mul_f32_e32 v18, 0x3fb8aa3b, v8
	;; [unrolled: 1-line block ×4, first 2 shown]
	v_rndne_f32_e32 v26, v16
	v_rndne_f32_e32 v27, v17
	;; [unrolled: 1-line block ×4, first 2 shown]
	v_xor_b32_e32 v16, 0x80000000, v24
	v_xor_b32_e32 v17, 0x80000000, v25
	;; [unrolled: 1-line block ×4, first 2 shown]
	v_pk_fma_f32 v[20:21], v[18:19], s[14:15], v[10:11] op_sel_hi:[1,0,1]
	v_pk_fma_f32 v[22:23], v[16:17], s[14:15], v[8:9] op_sel_hi:[1,0,1]
	;; [unrolled: 1-line block ×4, first 2 shown]
	v_cvt_i32_f32_e32 v28, v26
	v_cvt_i32_f32_e32 v29, v27
	;; [unrolled: 1-line block ×4, first 2 shown]
	v_pk_fma_f32 v[20:21], v[18:19], s[18:19], v[6:7] op_sel_hi:[1,0,0]
	v_pk_fma_f32 v[22:23], v[16:17], s[18:19], v[6:7] op_sel_hi:[1,0,0]
	v_pk_fma_f32 v[20:21], v[18:19], v[20:21], s[20:21] op_sel_hi:[1,1,0]
	v_pk_fma_f32 v[22:23], v[16:17], v[22:23], s[20:21] op_sel_hi:[1,1,0]
	v_pk_fma_f32 v[20:21], v[18:19], v[20:21], s[22:23] op_sel_hi:[1,1,0]
	v_pk_fma_f32 v[22:23], v[16:17], v[22:23], s[22:23] op_sel_hi:[1,1,0]
	v_pk_fma_f32 v[20:21], v[18:19], v[20:21], s[24:25] op_sel_hi:[1,1,0]
	v_pk_fma_f32 v[22:23], v[16:17], v[22:23], s[24:25] op_sel_hi:[1,1,0]
	v_ldexp_f32 v28, 1.0, v28
	v_ldexp_f32 v29, 1.0, v29
	;; [unrolled: 1-line block ×4, first 2 shown]
	v_cmp_eq_f32_e32 vcc, s7, v24
	v_cmp_eq_f32_e64 s[0:1], s7, v25
	v_cmp_eq_f32_e64 s[2:3], s7, v26
	;; [unrolled: 1-line block ×3, first 2 shown]
	v_pk_fma_f32 v[20:21], v[18:19], v[20:21], 0.5 op_sel_hi:[1,1,0]
	v_pk_fma_f32 v[22:23], v[16:17], v[22:23], 0.5 op_sel_hi:[1,1,0]
	v_cndmask_b32_e32 v24, v30, v32, vcc
	v_cndmask_b32_e64 v25, v31, v32, s[0:1]
	v_cndmask_b32_e64 v26, v28, v32, s[2:3]
	;; [unrolled: 1-line block ×3, first 2 shown]
	v_pk_mul_f32 v[22:23], v[16:17], v[22:23]
	v_pk_mul_f32 v[20:21], v[18:19], v[20:21]
	v_pk_add_f32 v[28:29], v[26:27], -1.0 op_sel_hi:[1,0]
	v_pk_add_f32 v[30:31], v[24:25], -1.0 op_sel_hi:[1,0]
	v_pk_fma_f32 v[18:19], v[18:19], v[20:21], v[18:19]
	v_pk_fma_f32 v[16:17], v[16:17], v[22:23], v[16:17]
	;; [unrolled: 1-line block ×4, first 2 shown]
	v_pk_add_f32 v[20:21], v[18:19], v[18:19]
	v_pk_add_f32 v[22:23], v[16:17], v[16:17]
	v_cndmask_b32_e64 v19, v19, v21, s[4:5]
	v_cndmask_b32_e32 v16, v16, v22, vcc
	v_cmp_nlt_f32_e32 vcc, s17, v11
	v_cndmask_b32_e64 v18, v18, v20, s[2:3]
	v_cndmask_b32_e64 v17, v17, v23, s[0:1]
	v_cndmask_b32_e32 v11, v33, v19, vcc
	v_cmp_nlt_f32_e32 vcc, s17, v10
	v_cvt_f32_f16_sdwa v15, v4 dst_sel:DWORD dst_unused:UNUSED_PAD src0_sel:WORD_1
	v_cvt_f32_f16_e32 v12, v5
	v_cndmask_b32_e32 v10, v33, v18, vcc
	v_cmp_nlt_f32_e32 vcc, s17, v9
	v_cvt_f32_f16_sdwa v13, v5 dst_sel:DWORD dst_unused:UNUSED_PAD src0_sel:WORD_1
	v_cvt_f32_f16_e32 v14, v4
	v_cndmask_b32_e32 v9, v33, v17, vcc
	v_cmp_nlt_f32_e32 vcc, s17, v8
	v_mul_f32_e32 v35, 0x3fb8aa3b, v14
	s_nop 0
	v_cndmask_b32_e32 v8, v33, v16, vcc
	v_cvt_pk_f16_f32 v8, v8, v9
	v_cvt_pk_f16_f32 v9, v10, v11
	v_cmp_ngt_f16_e32 vcc, s19, v2
	v_rndne_f32_e32 v18, v35
	v_cmp_eq_f32_e64 s[2:3], s7, v18
	v_cndmask_b32_e32 v20, v34, v9, vcc
	v_cmp_ngt_f16_e32 vcc, s19, v3
	v_lshrrev_b32_e32 v9, 16, v9
	s_nop 0
	v_cndmask_b32_e32 v21, v34, v8, vcc
	v_cmp_nlt_f16_sdwa vcc, v2, s19 src0_sel:WORD_1 src1_sel:DWORD
	v_mul_f32_e32 v2, 0x3fb8aa3b, v15
	v_rndne_f32_e32 v19, v2
	v_mul_f32_e32 v2, 0x3fb8aa3b, v12
	v_rndne_f32_e32 v24, v2
	v_mul_f32_e32 v2, 0x3fb8aa3b, v13
	v_lshrrev_b32_e32 v8, 16, v8
	v_cndmask_b32_e32 v22, v34, v9, vcc
	v_cmp_nlt_f16_sdwa vcc, v3, s19 src0_sel:WORD_1 src1_sel:DWORD
	v_rndne_f32_e32 v25, v2
	v_xor_b32_e32 v2, 0x80000000, v24
	v_cndmask_b32_e32 v23, v34, v8, vcc
	v_xor_b32_e32 v3, 0x80000000, v25
	v_xor_b32_e32 v8, 0x80000000, v18
	;; [unrolled: 1-line block ×3, first 2 shown]
	v_pk_fma_f32 v[10:11], v[8:9], s[14:15], v[14:15] op_sel_hi:[1,0,1]
	v_pk_fma_f32 v[16:17], v[2:3], s[14:15], v[12:13] op_sel_hi:[1,0,1]
	;; [unrolled: 1-line block ×6, first 2 shown]
	v_cvt_i32_f32_e32 v16, v18
	v_pk_fma_f32 v[6:7], v[2:3], v[6:7], s[20:21] op_sel_hi:[1,1,0]
	v_cvt_i32_f32_e32 v17, v19
	v_cvt_i32_f32_e32 v26, v24
	v_pk_fma_f32 v[10:11], v[8:9], v[10:11], s[20:21] op_sel_hi:[1,1,0]
	v_pk_fma_f32 v[6:7], v[2:3], v[6:7], s[22:23] op_sel_hi:[1,1,0]
	v_cvt_i32_f32_e32 v27, v25
	v_pk_fma_f32 v[10:11], v[8:9], v[10:11], s[22:23] op_sel_hi:[1,1,0]
	v_pk_fma_f32 v[6:7], v[2:3], v[6:7], s[24:25] op_sel_hi:[1,1,0]
	v_pk_fma_f32 v[10:11], v[8:9], v[10:11], s[24:25] op_sel_hi:[1,1,0]
	v_pk_fma_f32 v[6:7], v[2:3], v[6:7], 0.5 op_sel_hi:[1,1,0]
	v_pk_fma_f32 v[10:11], v[8:9], v[10:11], 0.5 op_sel_hi:[1,1,0]
	v_pk_mul_f32 v[6:7], v[2:3], v[6:7]
	v_ldexp_f32 v16, 1.0, v16
	v_ldexp_f32 v17, 1.0, v17
	;; [unrolled: 1-line block ×3, first 2 shown]
	v_pk_mul_f32 v[10:11], v[8:9], v[10:11]
	v_pk_fma_f32 v[2:3], v[2:3], v[6:7], v[2:3]
	v_ldexp_f32 v7, 1.0, v27
	v_cmp_eq_f32_e32 vcc, s7, v24
	v_cmp_eq_f32_e64 s[0:1], s7, v25
	v_cmp_eq_f32_e64 s[4:5], s7, v19
	v_pk_fma_f32 v[8:9], v[8:9], v[10:11], v[8:9]
	v_cndmask_b32_e32 v6, v26, v32, vcc
	v_cndmask_b32_e64 v7, v7, v32, s[0:1]
	v_cndmask_b32_e64 v10, v16, v32, s[2:3]
	;; [unrolled: 1-line block ×3, first 2 shown]
	v_pk_add_f32 v[16:17], v[10:11], -1.0 op_sel_hi:[1,0]
	v_pk_add_f32 v[18:19], v[6:7], -1.0 op_sel_hi:[1,0]
	s_nop 0
	v_pk_fma_f32 v[2:3], v[6:7], v[2:3], v[18:19]
	v_pk_fma_f32 v[6:7], v[10:11], v[8:9], v[16:17]
	v_pk_add_f32 v[10:11], v[2:3], v[2:3]
	v_pk_add_f32 v[8:9], v[6:7], v[6:7]
	v_cndmask_b32_e32 v2, v2, v10, vcc
	v_cndmask_b32_e64 v7, v7, v9, s[4:5]
	v_cmp_nlt_f32_e32 vcc, s17, v15
	v_cndmask_b32_e64 v6, v6, v8, s[2:3]
	v_cndmask_b32_e64 v3, v3, v11, s[0:1]
	v_cndmask_b32_e32 v7, v33, v7, vcc
	v_cmp_nlt_f32_e32 vcc, s17, v14
	s_mov_b32 s0, 0x5040100
	s_nop 0
	v_cndmask_b32_e32 v6, v33, v6, vcc
	v_cmp_nlt_f32_e32 vcc, s17, v13
	s_nop 1
	v_cndmask_b32_e32 v3, v33, v3, vcc
	v_cmp_nlt_f32_e32 vcc, s17, v12
	s_nop 1
	v_cndmask_b32_e32 v2, v33, v2, vcc
	v_cvt_pk_f16_f32 v2, v2, v3
	v_cvt_pk_f16_f32 v3, v6, v7
	v_cmp_ngt_f16_e32 vcc, s19, v4
	s_nop 1
	v_cndmask_b32_e32 v6, v34, v3, vcc
	v_cmp_nlt_f16_sdwa vcc, v4, s19 src0_sel:WORD_1 src1_sel:DWORD
	s_nop 1
	v_cndmask_b32_sdwa v3, v34, v3, vcc dst_sel:DWORD dst_unused:UNUSED_PAD src0_sel:DWORD src1_sel:WORD_1
	v_cmp_ngt_f16_e32 vcc, s19, v5
	s_nop 1
	v_cndmask_b32_e32 v4, v34, v2, vcc
	v_cmp_nlt_f16_sdwa vcc, v5, s19 src0_sel:WORD_1 src1_sel:DWORD
	s_nop 1
	v_cndmask_b32_sdwa v2, v34, v2, vcc dst_sel:DWORD dst_unused:UNUSED_PAD src0_sel:DWORD src1_sel:WORD_1
	v_perm_b32 v5, v2, v4, s0
	v_perm_b32 v4, v3, v6, s0
	;; [unrolled: 1-line block ×4, first 2 shown]
	global_store_dwordx4 v1, v[2:5], s[12:13]
	s_mov_b64 s[0:1], 0
.LBB154_2:
	s_andn2_b64 vcc, exec, s[0:1]
	s_cbranch_vccnz .LBB154_41
; %bb.3:
	v_cmp_gt_i32_e32 vcc, s15, v0
	v_mov_b32_e32 v9, 0
	v_or_b32_e32 v2, s6, v0
	v_mov_b32_e32 v5, 0
	v_mov_b32_e32 v4, v0
	s_and_saveexec_b64 s[0:1], vcc
	s_cbranch_execz .LBB154_5
; %bb.4:
	v_mov_b32_e32 v3, 0
	v_lshl_add_u64 v[4:5], v[2:3], 1, s[10:11]
	global_load_ushort v5, v[4:5], off
	v_or_b32_e32 v4, 0x100, v0
.LBB154_5:
	s_or_b64 exec, exec, s[0:1]
	v_cmp_gt_i32_e64 s[0:1], s15, v4
	s_and_saveexec_b64 s[2:3], s[0:1]
	s_cbranch_execz .LBB154_7
; %bb.6:
	v_add_u32_e32 v6, s6, v4
	v_mov_b32_e32 v7, 0
	v_lshl_add_u64 v[6:7], v[6:7], 1, s[10:11]
	global_load_ushort v9, v[6:7], off
	v_add_u32_e32 v4, 0x100, v4
.LBB154_7:
	s_or_b64 exec, exec, s[2:3]
	v_cmp_gt_i32_e64 s[0:1], s15, v4
	v_mov_b32_e32 v10, 0
	v_mov_b32_e32 v11, 0
	s_and_saveexec_b64 s[2:3], s[0:1]
	s_cbranch_execz .LBB154_9
; %bb.8:
	v_add_u32_e32 v6, s6, v4
	v_mov_b32_e32 v7, 0
	v_lshl_add_u64 v[6:7], v[6:7], 1, s[10:11]
	global_load_ushort v11, v[6:7], off
	v_add_u32_e32 v4, 0x100, v4
.LBB154_9:
	s_or_b64 exec, exec, s[2:3]
	v_cmp_gt_i32_e64 s[0:1], s15, v4
	s_and_saveexec_b64 s[2:3], s[0:1]
	s_cbranch_execz .LBB154_11
; %bb.10:
	v_add_u32_e32 v6, s6, v4
	v_mov_b32_e32 v7, 0
	v_lshl_add_u64 v[6:7], v[6:7], 1, s[10:11]
	global_load_ushort v10, v[6:7], off
	v_add_u32_e32 v4, 0x100, v4
.LBB154_11:
	s_or_b64 exec, exec, s[2:3]
	v_cmp_gt_i32_e64 s[0:1], s15, v4
	v_mov_b32_e32 v6, 0
	v_mov_b32_e32 v8, 0
	s_and_saveexec_b64 s[2:3], s[0:1]
	s_cbranch_execz .LBB154_13
; %bb.12:
	v_add_u32_e32 v12, s6, v4
	v_mov_b32_e32 v13, 0
	v_lshl_add_u64 v[12:13], v[12:13], 1, s[10:11]
	global_load_ushort v8, v[12:13], off
	v_add_u32_e32 v4, 0x100, v4
.LBB154_13:
	s_or_b64 exec, exec, s[2:3]
	v_cmp_gt_i32_e64 s[0:1], s15, v4
	s_and_saveexec_b64 s[2:3], s[0:1]
	s_cbranch_execz .LBB154_15
; %bb.14:
	v_add_u32_e32 v6, s6, v4
	v_mov_b32_e32 v7, 0
	v_lshl_add_u64 v[6:7], v[6:7], 1, s[10:11]
	global_load_ushort v6, v[6:7], off
	v_add_u32_e32 v4, 0x100, v4
.LBB154_15:
	s_or_b64 exec, exec, s[2:3]
	v_cmp_gt_i32_e64 s[0:1], s15, v4
	v_mov_b32_e32 v1, 0
	v_mov_b32_e32 v3, 0
	s_and_saveexec_b64 s[2:3], s[0:1]
	s_cbranch_execnz .LBB154_42
; %bb.16:
	s_or_b64 exec, exec, s[2:3]
	v_cmp_gt_i32_e64 s[0:1], s15, v4
	s_and_saveexec_b64 s[2:3], s[0:1]
	s_cbranch_execnz .LBB154_43
.LBB154_17:
	s_or_b64 exec, exec, s[2:3]
                                        ; implicit-def: $vgpr4
	s_and_saveexec_b64 s[2:3], vcc
	s_cbranch_execz .LBB154_19
.LBB154_18:
	s_waitcnt vmcnt(0)
	v_cvt_f32_f16_e32 v4, v5
	s_mov_b32 s0, 0xbf317218
	v_mov_b32_e32 v7, 0x3ab69700
	v_mul_f32_e32 v12, 0x3fb8aa3b, v4
	v_rndne_f32_e32 v12, v12
	v_fma_mix_f32 v13, v12, s0, v5 op_sel_hi:[0,0,1]
	v_fmamk_f32 v13, v12, 0x3102e308, v13
	v_fmac_f32_e32 v7, 0x395133b1, v13
	v_fmaak_f32 v7, v13, v7, 0x3c0887f9
	v_cvt_i32_f32_e32 v14, v12
	v_fmaak_f32 v7, v13, v7, 0x3d2aaa81
	v_fmaak_f32 v7, v13, v7, 0x3e2aaaab
	v_fma_f32 v7, v13, v7, 0.5
	v_mul_f32_e32 v7, v13, v7
	s_mov_b32 s0, 0x43000000
	v_fmac_f32_e32 v13, v13, v7
	v_ldexp_f32 v7, 1.0, v14
	v_mov_b32_e32 v14, 0x7f000000
	v_cmp_eq_f32_e64 s[0:1], s0, v12
	s_nop 1
	v_cndmask_b32_e64 v7, v7, v14, s[0:1]
	v_add_f32_e32 v12, -1.0, v7
	v_fmac_f32_e32 v12, v7, v13
	v_add_f32_e32 v7, v12, v12
	v_cndmask_b32_e64 v7, v12, v7, s[0:1]
	s_mov_b32 s0, 0x42b17217
	v_mov_b32_e32 v12, 0x7f800000
	v_cmp_nlt_f32_e64 s[0:1], s0, v4
	s_nop 1
	v_cndmask_b32_e64 v4, v12, v7, s[0:1]
	v_cvt_f16_f32_e32 v4, v4
	s_mov_b32 s0, 0xcc40
	v_mov_b32_e32 v7, 0xbc00
	v_cmp_ngt_f16_e64 s[0:1], s0, v5
	s_nop 1
	v_cndmask_b32_e64 v4, v7, v4, s[0:1]
.LBB154_19:
	s_or_b64 exec, exec, s[2:3]
	s_waitcnt vmcnt(0)
	v_or_b32_e32 v5, 0x100, v0
	v_cmp_gt_i32_e64 s[0:1], s15, v5
                                        ; implicit-def: $vgpr7
	s_and_saveexec_b64 s[2:3], s[0:1]
	s_cbranch_execz .LBB154_21
; %bb.20:
	v_cvt_f32_f16_e32 v7, v9
	s_mov_b32 s0, 0xbf317218
	v_mov_b32_e32 v12, 0x3ab69700
	v_mul_f32_e32 v13, 0x3fb8aa3b, v7
	v_rndne_f32_e32 v13, v13
	v_fma_mix_f32 v14, v13, s0, v9 op_sel_hi:[0,0,1]
	v_fmamk_f32 v14, v13, 0x3102e308, v14
	v_fmac_f32_e32 v12, 0x395133b1, v14
	v_fmaak_f32 v12, v14, v12, 0x3c0887f9
	v_cvt_i32_f32_e32 v15, v13
	v_fmaak_f32 v12, v14, v12, 0x3d2aaa81
	v_fmaak_f32 v12, v14, v12, 0x3e2aaaab
	v_fma_f32 v12, v14, v12, 0.5
	v_mul_f32_e32 v12, v14, v12
	s_mov_b32 s0, 0x43000000
	v_fmac_f32_e32 v14, v14, v12
	v_ldexp_f32 v12, 1.0, v15
	v_mov_b32_e32 v15, 0x7f000000
	v_cmp_eq_f32_e64 s[0:1], s0, v13
	s_nop 1
	v_cndmask_b32_e64 v12, v12, v15, s[0:1]
	v_add_f32_e32 v13, -1.0, v12
	v_fmac_f32_e32 v13, v12, v14
	v_add_f32_e32 v12, v13, v13
	v_cndmask_b32_e64 v12, v13, v12, s[0:1]
	s_mov_b32 s0, 0x42b17217
	v_mov_b32_e32 v13, 0x7f800000
	v_cmp_nlt_f32_e64 s[0:1], s0, v7
	s_nop 1
	v_cndmask_b32_e64 v7, v13, v12, s[0:1]
	v_cvt_f16_f32_e32 v7, v7
	s_mov_b32 s0, 0xcc40
	v_mov_b32_e32 v12, 0xbc00
	v_cmp_ngt_f16_e64 s[0:1], s0, v9
	s_nop 1
	v_cndmask_b32_e64 v7, v12, v7, s[0:1]
.LBB154_21:
	s_or_b64 exec, exec, s[2:3]
	v_or_b32_e32 v9, 0x200, v0
	v_cmp_gt_i32_e64 s[0:1], s15, v9
                                        ; implicit-def: $vgpr9
	s_and_saveexec_b64 s[2:3], s[0:1]
	s_cbranch_execz .LBB154_23
; %bb.22:
	v_cvt_f32_f16_e32 v9, v11
	s_mov_b32 s0, 0xbf317218
	v_mov_b32_e32 v12, 0x3ab69700
	v_mul_f32_e32 v13, 0x3fb8aa3b, v9
	v_rndne_f32_e32 v13, v13
	v_fma_mix_f32 v14, v13, s0, v11 op_sel_hi:[0,0,1]
	v_fmamk_f32 v14, v13, 0x3102e308, v14
	v_fmac_f32_e32 v12, 0x395133b1, v14
	v_fmaak_f32 v12, v14, v12, 0x3c0887f9
	v_cvt_i32_f32_e32 v15, v13
	v_fmaak_f32 v12, v14, v12, 0x3d2aaa81
	v_fmaak_f32 v12, v14, v12, 0x3e2aaaab
	v_fma_f32 v12, v14, v12, 0.5
	v_mul_f32_e32 v12, v14, v12
	s_mov_b32 s0, 0x43000000
	v_fmac_f32_e32 v14, v14, v12
	v_ldexp_f32 v12, 1.0, v15
	v_mov_b32_e32 v15, 0x7f000000
	v_cmp_eq_f32_e64 s[0:1], s0, v13
	s_nop 1
	v_cndmask_b32_e64 v12, v12, v15, s[0:1]
	v_add_f32_e32 v13, -1.0, v12
	v_fmac_f32_e32 v13, v12, v14
	v_add_f32_e32 v12, v13, v13
	v_cndmask_b32_e64 v12, v13, v12, s[0:1]
	s_mov_b32 s0, 0x42b17217
	v_mov_b32_e32 v13, 0x7f800000
	v_cmp_nlt_f32_e64 s[0:1], s0, v9
	s_nop 1
	v_cndmask_b32_e64 v9, v13, v12, s[0:1]
	v_cvt_f16_f32_e32 v9, v9
	s_mov_b32 s0, 0xcc40
	v_mov_b32_e32 v12, 0xbc00
	v_cmp_ngt_f16_e64 s[0:1], s0, v11
	s_nop 1
	v_cndmask_b32_e64 v9, v12, v9, s[0:1]
.LBB154_23:
	s_or_b64 exec, exec, s[2:3]
	v_or_b32_e32 v11, 0x300, v0
	v_cmp_gt_i32_e64 s[0:1], s15, v11
                                        ; implicit-def: $vgpr11
	s_and_saveexec_b64 s[2:3], s[0:1]
	s_cbranch_execz .LBB154_25
; %bb.24:
	v_cvt_f32_f16_e32 v11, v10
	s_mov_b32 s0, 0xbf317218
	v_mov_b32_e32 v12, 0x3ab69700
	v_mul_f32_e32 v13, 0x3fb8aa3b, v11
	v_rndne_f32_e32 v13, v13
	v_fma_mix_f32 v14, v13, s0, v10 op_sel_hi:[0,0,1]
	v_fmamk_f32 v14, v13, 0x3102e308, v14
	v_fmac_f32_e32 v12, 0x395133b1, v14
	v_fmaak_f32 v12, v14, v12, 0x3c0887f9
	v_cvt_i32_f32_e32 v15, v13
	v_fmaak_f32 v12, v14, v12, 0x3d2aaa81
	v_fmaak_f32 v12, v14, v12, 0x3e2aaaab
	v_fma_f32 v12, v14, v12, 0.5
	v_mul_f32_e32 v12, v14, v12
	s_mov_b32 s0, 0x43000000
	v_fmac_f32_e32 v14, v14, v12
	v_ldexp_f32 v12, 1.0, v15
	v_mov_b32_e32 v15, 0x7f000000
	v_cmp_eq_f32_e64 s[0:1], s0, v13
	s_nop 1
	v_cndmask_b32_e64 v12, v12, v15, s[0:1]
	v_add_f32_e32 v13, -1.0, v12
	v_fmac_f32_e32 v13, v12, v14
	v_add_f32_e32 v12, v13, v13
	v_cndmask_b32_e64 v12, v13, v12, s[0:1]
	s_mov_b32 s0, 0x42b17217
	v_mov_b32_e32 v13, 0x7f800000
	v_cmp_nlt_f32_e64 s[0:1], s0, v11
	s_nop 1
	v_cndmask_b32_e64 v11, v13, v12, s[0:1]
	v_cvt_f16_f32_e32 v11, v11
	s_mov_b32 s0, 0xcc40
	v_mov_b32_e32 v12, 0xbc00
	v_cmp_ngt_f16_e64 s[0:1], s0, v10
	s_nop 1
	v_cndmask_b32_e64 v11, v12, v11, s[0:1]
.LBB154_25:
	s_or_b64 exec, exec, s[2:3]
	v_or_b32_e32 v10, 0x400, v0
	v_cmp_gt_i32_e64 s[0:1], s15, v10
                                        ; implicit-def: $vgpr10
	s_and_saveexec_b64 s[2:3], s[0:1]
	s_cbranch_execz .LBB154_27
; %bb.26:
	v_cvt_f32_f16_e32 v10, v8
	s_mov_b32 s0, 0xbf317218
	v_mov_b32_e32 v12, 0x3ab69700
	v_mul_f32_e32 v13, 0x3fb8aa3b, v10
	v_rndne_f32_e32 v13, v13
	v_fma_mix_f32 v14, v13, s0, v8 op_sel_hi:[0,0,1]
	v_fmamk_f32 v14, v13, 0x3102e308, v14
	v_fmac_f32_e32 v12, 0x395133b1, v14
	v_fmaak_f32 v12, v14, v12, 0x3c0887f9
	v_cvt_i32_f32_e32 v15, v13
	v_fmaak_f32 v12, v14, v12, 0x3d2aaa81
	v_fmaak_f32 v12, v14, v12, 0x3e2aaaab
	v_fma_f32 v12, v14, v12, 0.5
	v_mul_f32_e32 v12, v14, v12
	s_mov_b32 s0, 0x43000000
	v_fmac_f32_e32 v14, v14, v12
	v_ldexp_f32 v12, 1.0, v15
	v_mov_b32_e32 v15, 0x7f000000
	v_cmp_eq_f32_e64 s[0:1], s0, v13
	s_nop 1
	v_cndmask_b32_e64 v12, v12, v15, s[0:1]
	v_add_f32_e32 v13, -1.0, v12
	v_fmac_f32_e32 v13, v12, v14
	v_add_f32_e32 v12, v13, v13
	v_cndmask_b32_e64 v12, v13, v12, s[0:1]
	s_mov_b32 s0, 0x42b17217
	v_mov_b32_e32 v13, 0x7f800000
	v_cmp_nlt_f32_e64 s[0:1], s0, v10
	s_nop 1
	v_cndmask_b32_e64 v10, v13, v12, s[0:1]
	v_cvt_f16_f32_e32 v10, v10
	s_mov_b32 s0, 0xcc40
	v_mov_b32_e32 v12, 0xbc00
	v_cmp_ngt_f16_e64 s[0:1], s0, v8
	s_nop 1
	v_cndmask_b32_e64 v10, v12, v10, s[0:1]
.LBB154_27:
	s_or_b64 exec, exec, s[2:3]
	v_or_b32_e32 v8, 0x500, v0
	v_cmp_gt_i32_e64 s[0:1], s15, v8
                                        ; implicit-def: $vgpr8
	s_and_saveexec_b64 s[2:3], s[0:1]
	s_cbranch_execz .LBB154_29
; %bb.28:
	v_cvt_f32_f16_e32 v8, v6
	s_mov_b32 s0, 0xbf317218
	v_mov_b32_e32 v12, 0x3ab69700
	v_mul_f32_e32 v13, 0x3fb8aa3b, v8
	v_rndne_f32_e32 v13, v13
	v_fma_mix_f32 v14, v13, s0, v6 op_sel_hi:[0,0,1]
	v_fmamk_f32 v14, v13, 0x3102e308, v14
	v_fmac_f32_e32 v12, 0x395133b1, v14
	v_fmaak_f32 v12, v14, v12, 0x3c0887f9
	v_cvt_i32_f32_e32 v15, v13
	v_fmaak_f32 v12, v14, v12, 0x3d2aaa81
	v_fmaak_f32 v12, v14, v12, 0x3e2aaaab
	v_fma_f32 v12, v14, v12, 0.5
	v_mul_f32_e32 v12, v14, v12
	s_mov_b32 s0, 0x43000000
	v_fmac_f32_e32 v14, v14, v12
	v_ldexp_f32 v12, 1.0, v15
	v_mov_b32_e32 v15, 0x7f000000
	v_cmp_eq_f32_e64 s[0:1], s0, v13
	s_nop 1
	v_cndmask_b32_e64 v12, v12, v15, s[0:1]
	v_add_f32_e32 v13, -1.0, v12
	v_fmac_f32_e32 v13, v12, v14
	v_add_f32_e32 v12, v13, v13
	v_cndmask_b32_e64 v12, v13, v12, s[0:1]
	s_mov_b32 s0, 0x42b17217
	v_mov_b32_e32 v13, 0x7f800000
	v_cmp_nlt_f32_e64 s[0:1], s0, v8
	s_nop 1
	v_cndmask_b32_e64 v8, v13, v12, s[0:1]
	v_cvt_f16_f32_e32 v8, v8
	s_mov_b32 s0, 0xcc40
	v_mov_b32_e32 v12, 0xbc00
	v_cmp_ngt_f16_e64 s[0:1], s0, v6
	s_nop 1
	v_cndmask_b32_e64 v8, v12, v8, s[0:1]
.LBB154_29:
	s_or_b64 exec, exec, s[2:3]
	v_or_b32_e32 v6, 0x600, v0
	v_cmp_gt_i32_e64 s[0:1], s15, v6
                                        ; implicit-def: $vgpr6
	s_and_saveexec_b64 s[2:3], s[0:1]
	s_cbranch_execz .LBB154_31
; %bb.30:
	v_cvt_f32_f16_e32 v6, v3
	s_mov_b32 s0, 0xbf317218
	v_mov_b32_e32 v12, 0x3ab69700
	v_mul_f32_e32 v13, 0x3fb8aa3b, v6
	v_rndne_f32_e32 v13, v13
	v_fma_mix_f32 v14, v13, s0, v3 op_sel_hi:[0,0,1]
	v_fmamk_f32 v14, v13, 0x3102e308, v14
	v_fmac_f32_e32 v12, 0x395133b1, v14
	v_fmaak_f32 v12, v14, v12, 0x3c0887f9
	v_cvt_i32_f32_e32 v15, v13
	v_fmaak_f32 v12, v14, v12, 0x3d2aaa81
	v_fmaak_f32 v12, v14, v12, 0x3e2aaaab
	v_fma_f32 v12, v14, v12, 0.5
	v_mul_f32_e32 v12, v14, v12
	s_mov_b32 s0, 0x43000000
	v_fmac_f32_e32 v14, v14, v12
	v_ldexp_f32 v12, 1.0, v15
	v_mov_b32_e32 v15, 0x7f000000
	v_cmp_eq_f32_e64 s[0:1], s0, v13
	s_nop 1
	v_cndmask_b32_e64 v12, v12, v15, s[0:1]
	v_add_f32_e32 v13, -1.0, v12
	v_fmac_f32_e32 v13, v12, v14
	v_add_f32_e32 v12, v13, v13
	v_cndmask_b32_e64 v12, v13, v12, s[0:1]
	s_mov_b32 s0, 0x42b17217
	v_mov_b32_e32 v13, 0x7f800000
	v_cmp_nlt_f32_e64 s[0:1], s0, v6
	s_nop 1
	v_cndmask_b32_e64 v6, v13, v12, s[0:1]
	v_cvt_f16_f32_e32 v6, v6
	s_mov_b32 s0, 0xcc40
	v_mov_b32_e32 v12, 0xbc00
	v_cmp_ngt_f16_e64 s[0:1], s0, v3
	s_nop 1
	v_cndmask_b32_e64 v6, v12, v6, s[0:1]
.LBB154_31:
	s_or_b64 exec, exec, s[2:3]
	v_or_b32_e32 v3, 0x700, v0
	v_cmp_gt_i32_e64 s[0:1], s15, v3
                                        ; implicit-def: $vgpr12
	s_and_saveexec_b64 s[2:3], s[0:1]
	s_cbranch_execnz .LBB154_44
; %bb.32:
	s_or_b64 exec, exec, s[2:3]
	s_and_saveexec_b64 s[0:1], vcc
	s_xor_b64 s[0:1], exec, s[0:1]
	s_cbranch_execnz .LBB154_45
.LBB154_33:
	s_or_b64 exec, exec, s[0:1]
	v_cmp_gt_i32_e32 vcc, s15, v0
	s_and_saveexec_b64 s[0:1], vcc
	s_cbranch_execnz .LBB154_46
.LBB154_34:
	s_or_b64 exec, exec, s[0:1]
	v_cmp_gt_i32_e32 vcc, s15, v0
	s_and_saveexec_b64 s[0:1], vcc
	s_cbranch_execnz .LBB154_47
.LBB154_35:
	s_or_b64 exec, exec, s[0:1]
	v_cmp_gt_i32_e32 vcc, s15, v0
	s_and_saveexec_b64 s[0:1], vcc
	s_cbranch_execnz .LBB154_48
.LBB154_36:
	s_or_b64 exec, exec, s[0:1]
	v_cmp_gt_i32_e32 vcc, s15, v0
	s_and_saveexec_b64 s[0:1], vcc
	s_cbranch_execnz .LBB154_49
.LBB154_37:
	s_or_b64 exec, exec, s[0:1]
	v_cmp_gt_i32_e32 vcc, s15, v0
	s_and_saveexec_b64 s[0:1], vcc
	s_cbranch_execnz .LBB154_50
.LBB154_38:
	s_or_b64 exec, exec, s[0:1]
	v_cmp_gt_i32_e32 vcc, s15, v0
	s_and_saveexec_b64 s[0:1], vcc
	s_cbranch_execnz .LBB154_51
.LBB154_39:
	s_or_b64 exec, exec, s[0:1]
	v_cmp_gt_i32_e32 vcc, s15, v0
	s_and_saveexec_b64 s[0:1], vcc
	s_cbranch_execz .LBB154_41
.LBB154_40:
	v_add_u32_e32 v0, s6, v0
	v_mov_b32_e32 v1, 0
	v_lshl_add_u64 v[0:1], v[0:1], 1, s[8:9]
	global_store_short v[0:1], v12, off
.LBB154_41:
	s_endpgm
.LBB154_42:
	v_add_u32_e32 v12, s6, v4
	v_mov_b32_e32 v13, 0
	v_lshl_add_u64 v[12:13], v[12:13], 1, s[10:11]
	global_load_ushort v3, v[12:13], off
	v_add_u32_e32 v4, 0x100, v4
	s_or_b64 exec, exec, s[2:3]
	v_cmp_gt_i32_e64 s[0:1], s15, v4
	s_and_saveexec_b64 s[2:3], s[0:1]
	s_cbranch_execz .LBB154_17
.LBB154_43:
	v_add_u32_e32 v12, s6, v4
	v_mov_b32_e32 v13, 0
	v_lshl_add_u64 v[12:13], v[12:13], 1, s[10:11]
	global_load_ushort v1, v[12:13], off
	s_or_b64 exec, exec, s[2:3]
                                        ; implicit-def: $vgpr4
	s_and_saveexec_b64 s[2:3], vcc
	s_cbranch_execnz .LBB154_18
	s_branch .LBB154_19
.LBB154_44:
	v_cvt_f32_f16_e32 v3, v1
	s_mov_b32 s0, 0xbf317218
	v_mov_b32_e32 v12, 0x3ab69700
	v_mul_f32_e32 v13, 0x3fb8aa3b, v3
	v_rndne_f32_e32 v13, v13
	v_fma_mix_f32 v14, v13, s0, v1 op_sel_hi:[0,0,1]
	v_fmamk_f32 v14, v13, 0x3102e308, v14
	v_fmac_f32_e32 v12, 0x395133b1, v14
	v_fmaak_f32 v12, v14, v12, 0x3c0887f9
	v_cvt_i32_f32_e32 v15, v13
	v_fmaak_f32 v12, v14, v12, 0x3d2aaa81
	v_fmaak_f32 v12, v14, v12, 0x3e2aaaab
	v_fma_f32 v12, v14, v12, 0.5
	v_mul_f32_e32 v12, v14, v12
	s_mov_b32 s0, 0x43000000
	v_fmac_f32_e32 v14, v14, v12
	v_ldexp_f32 v12, 1.0, v15
	v_mov_b32_e32 v15, 0x7f000000
	v_cmp_eq_f32_e64 s[0:1], s0, v13
	s_nop 1
	v_cndmask_b32_e64 v12, v12, v15, s[0:1]
	v_add_f32_e32 v13, -1.0, v12
	v_fmac_f32_e32 v13, v12, v14
	v_add_f32_e32 v12, v13, v13
	v_cndmask_b32_e64 v12, v13, v12, s[0:1]
	s_mov_b32 s0, 0x42b17217
	v_mov_b32_e32 v13, 0x7f800000
	v_cmp_nlt_f32_e64 s[0:1], s0, v3
	s_nop 1
	v_cndmask_b32_e64 v3, v13, v12, s[0:1]
	v_cvt_f16_f32_e32 v3, v3
	s_mov_b32 s0, 0xcc40
	v_mov_b32_e32 v12, 0xbc00
	v_cmp_ngt_f16_e64 s[0:1], s0, v1
	s_nop 1
	v_cndmask_b32_e64 v12, v12, v3, s[0:1]
	s_or_b64 exec, exec, s[2:3]
	s_and_saveexec_b64 s[0:1], vcc
	s_xor_b64 s[0:1], exec, s[0:1]
	s_cbranch_execz .LBB154_33
.LBB154_45:
	v_mov_b32_e32 v3, 0
	v_lshl_add_u64 v[0:1], v[2:3], 1, s[8:9]
	global_store_short v[0:1], v4, off
	v_mov_b32_e32 v0, v5
	s_or_b64 exec, exec, s[0:1]
	v_cmp_gt_i32_e32 vcc, s15, v0
	s_and_saveexec_b64 s[0:1], vcc
	s_cbranch_execz .LBB154_34
.LBB154_46:
	v_add_u32_e32 v2, s6, v0
	v_mov_b32_e32 v3, 0
	v_lshl_add_u64 v[2:3], v[2:3], 1, s[8:9]
	v_add_u32_e32 v0, 0x100, v0
	global_store_short v[2:3], v7, off
	s_or_b64 exec, exec, s[0:1]
	v_cmp_gt_i32_e32 vcc, s15, v0
	s_and_saveexec_b64 s[0:1], vcc
	s_cbranch_execz .LBB154_35
.LBB154_47:
	v_add_u32_e32 v2, s6, v0
	v_mov_b32_e32 v3, 0
	v_lshl_add_u64 v[2:3], v[2:3], 1, s[8:9]
	v_add_u32_e32 v0, 0x100, v0
	global_store_short v[2:3], v9, off
	s_or_b64 exec, exec, s[0:1]
	v_cmp_gt_i32_e32 vcc, s15, v0
	s_and_saveexec_b64 s[0:1], vcc
	s_cbranch_execz .LBB154_36
.LBB154_48:
	v_add_u32_e32 v2, s6, v0
	v_mov_b32_e32 v3, 0
	v_lshl_add_u64 v[2:3], v[2:3], 1, s[8:9]
	v_add_u32_e32 v0, 0x100, v0
	global_store_short v[2:3], v11, off
	s_or_b64 exec, exec, s[0:1]
	v_cmp_gt_i32_e32 vcc, s15, v0
	s_and_saveexec_b64 s[0:1], vcc
	s_cbranch_execz .LBB154_37
.LBB154_49:
	v_add_u32_e32 v2, s6, v0
	v_mov_b32_e32 v3, 0
	v_lshl_add_u64 v[2:3], v[2:3], 1, s[8:9]
	v_add_u32_e32 v0, 0x100, v0
	global_store_short v[2:3], v10, off
	s_or_b64 exec, exec, s[0:1]
	v_cmp_gt_i32_e32 vcc, s15, v0
	s_and_saveexec_b64 s[0:1], vcc
	s_cbranch_execz .LBB154_38
.LBB154_50:
	v_add_u32_e32 v2, s6, v0
	v_mov_b32_e32 v3, 0
	v_lshl_add_u64 v[2:3], v[2:3], 1, s[8:9]
	v_add_u32_e32 v0, 0x100, v0
	global_store_short v[2:3], v8, off
	s_or_b64 exec, exec, s[0:1]
	v_cmp_gt_i32_e32 vcc, s15, v0
	s_and_saveexec_b64 s[0:1], vcc
	s_cbranch_execz .LBB154_39
.LBB154_51:
	v_add_u32_e32 v2, s6, v0
	v_mov_b32_e32 v3, 0
	v_lshl_add_u64 v[2:3], v[2:3], 1, s[8:9]
	v_add_u32_e32 v0, 0x100, v0
	global_store_short v[2:3], v6, off
	s_or_b64 exec, exec, s[0:1]
	v_cmp_gt_i32_e32 vcc, s15, v0
	s_and_saveexec_b64 s[0:1], vcc
	s_cbranch_execnz .LBB154_40
	s_branch .LBB154_41
	.section	.rodata,"a",@progbits
	.p2align	6, 0x0
	.amdhsa_kernel _ZN2at6native29vectorized_elementwise_kernelILi16EZZZNS0_17expm1_kernel_cudaERNS_18TensorIteratorBaseEENKUlvE_clEvENKUlvE4_clEvEUlN3c104HalfEE_St5arrayIPcLm2EEEEviT0_T1_
		.amdhsa_group_segment_fixed_size 0
		.amdhsa_private_segment_fixed_size 0
		.amdhsa_kernarg_size 24
		.amdhsa_user_sgpr_count 2
		.amdhsa_user_sgpr_dispatch_ptr 0
		.amdhsa_user_sgpr_queue_ptr 0
		.amdhsa_user_sgpr_kernarg_segment_ptr 1
		.amdhsa_user_sgpr_dispatch_id 0
		.amdhsa_user_sgpr_kernarg_preload_length 0
		.amdhsa_user_sgpr_kernarg_preload_offset 0
		.amdhsa_user_sgpr_private_segment_size 0
		.amdhsa_uses_dynamic_stack 0
		.amdhsa_enable_private_segment 0
		.amdhsa_system_sgpr_workgroup_id_x 1
		.amdhsa_system_sgpr_workgroup_id_y 0
		.amdhsa_system_sgpr_workgroup_id_z 0
		.amdhsa_system_sgpr_workgroup_info 0
		.amdhsa_system_vgpr_workitem_id 0
		.amdhsa_next_free_vgpr 36
		.amdhsa_next_free_sgpr 26
		.amdhsa_accum_offset 36
		.amdhsa_reserve_vcc 1
		.amdhsa_float_round_mode_32 0
		.amdhsa_float_round_mode_16_64 0
		.amdhsa_float_denorm_mode_32 3
		.amdhsa_float_denorm_mode_16_64 3
		.amdhsa_dx10_clamp 1
		.amdhsa_ieee_mode 1
		.amdhsa_fp16_overflow 0
		.amdhsa_tg_split 0
		.amdhsa_exception_fp_ieee_invalid_op 0
		.amdhsa_exception_fp_denorm_src 0
		.amdhsa_exception_fp_ieee_div_zero 0
		.amdhsa_exception_fp_ieee_overflow 0
		.amdhsa_exception_fp_ieee_underflow 0
		.amdhsa_exception_fp_ieee_inexact 0
		.amdhsa_exception_int_div_zero 0
	.end_amdhsa_kernel
	.section	.text._ZN2at6native29vectorized_elementwise_kernelILi16EZZZNS0_17expm1_kernel_cudaERNS_18TensorIteratorBaseEENKUlvE_clEvENKUlvE4_clEvEUlN3c104HalfEE_St5arrayIPcLm2EEEEviT0_T1_,"axG",@progbits,_ZN2at6native29vectorized_elementwise_kernelILi16EZZZNS0_17expm1_kernel_cudaERNS_18TensorIteratorBaseEENKUlvE_clEvENKUlvE4_clEvEUlN3c104HalfEE_St5arrayIPcLm2EEEEviT0_T1_,comdat
.Lfunc_end154:
	.size	_ZN2at6native29vectorized_elementwise_kernelILi16EZZZNS0_17expm1_kernel_cudaERNS_18TensorIteratorBaseEENKUlvE_clEvENKUlvE4_clEvEUlN3c104HalfEE_St5arrayIPcLm2EEEEviT0_T1_, .Lfunc_end154-_ZN2at6native29vectorized_elementwise_kernelILi16EZZZNS0_17expm1_kernel_cudaERNS_18TensorIteratorBaseEENKUlvE_clEvENKUlvE4_clEvEUlN3c104HalfEE_St5arrayIPcLm2EEEEviT0_T1_
                                        ; -- End function
	.set _ZN2at6native29vectorized_elementwise_kernelILi16EZZZNS0_17expm1_kernel_cudaERNS_18TensorIteratorBaseEENKUlvE_clEvENKUlvE4_clEvEUlN3c104HalfEE_St5arrayIPcLm2EEEEviT0_T1_.num_vgpr, 36
	.set _ZN2at6native29vectorized_elementwise_kernelILi16EZZZNS0_17expm1_kernel_cudaERNS_18TensorIteratorBaseEENKUlvE_clEvENKUlvE4_clEvEUlN3c104HalfEE_St5arrayIPcLm2EEEEviT0_T1_.num_agpr, 0
	.set _ZN2at6native29vectorized_elementwise_kernelILi16EZZZNS0_17expm1_kernel_cudaERNS_18TensorIteratorBaseEENKUlvE_clEvENKUlvE4_clEvEUlN3c104HalfEE_St5arrayIPcLm2EEEEviT0_T1_.numbered_sgpr, 26
	.set _ZN2at6native29vectorized_elementwise_kernelILi16EZZZNS0_17expm1_kernel_cudaERNS_18TensorIteratorBaseEENKUlvE_clEvENKUlvE4_clEvEUlN3c104HalfEE_St5arrayIPcLm2EEEEviT0_T1_.num_named_barrier, 0
	.set _ZN2at6native29vectorized_elementwise_kernelILi16EZZZNS0_17expm1_kernel_cudaERNS_18TensorIteratorBaseEENKUlvE_clEvENKUlvE4_clEvEUlN3c104HalfEE_St5arrayIPcLm2EEEEviT0_T1_.private_seg_size, 0
	.set _ZN2at6native29vectorized_elementwise_kernelILi16EZZZNS0_17expm1_kernel_cudaERNS_18TensorIteratorBaseEENKUlvE_clEvENKUlvE4_clEvEUlN3c104HalfEE_St5arrayIPcLm2EEEEviT0_T1_.uses_vcc, 1
	.set _ZN2at6native29vectorized_elementwise_kernelILi16EZZZNS0_17expm1_kernel_cudaERNS_18TensorIteratorBaseEENKUlvE_clEvENKUlvE4_clEvEUlN3c104HalfEE_St5arrayIPcLm2EEEEviT0_T1_.uses_flat_scratch, 0
	.set _ZN2at6native29vectorized_elementwise_kernelILi16EZZZNS0_17expm1_kernel_cudaERNS_18TensorIteratorBaseEENKUlvE_clEvENKUlvE4_clEvEUlN3c104HalfEE_St5arrayIPcLm2EEEEviT0_T1_.has_dyn_sized_stack, 0
	.set _ZN2at6native29vectorized_elementwise_kernelILi16EZZZNS0_17expm1_kernel_cudaERNS_18TensorIteratorBaseEENKUlvE_clEvENKUlvE4_clEvEUlN3c104HalfEE_St5arrayIPcLm2EEEEviT0_T1_.has_recursion, 0
	.set _ZN2at6native29vectorized_elementwise_kernelILi16EZZZNS0_17expm1_kernel_cudaERNS_18TensorIteratorBaseEENKUlvE_clEvENKUlvE4_clEvEUlN3c104HalfEE_St5arrayIPcLm2EEEEviT0_T1_.has_indirect_call, 0
	.section	.AMDGPU.csdata,"",@progbits
; Kernel info:
; codeLenInByte = 4448
; TotalNumSgprs: 32
; NumVgprs: 36
; NumAgprs: 0
; TotalNumVgprs: 36
; ScratchSize: 0
; MemoryBound: 0
; FloatMode: 240
; IeeeMode: 1
; LDSByteSize: 0 bytes/workgroup (compile time only)
; SGPRBlocks: 3
; VGPRBlocks: 4
; NumSGPRsForWavesPerEU: 32
; NumVGPRsForWavesPerEU: 36
; AccumOffset: 36
; Occupancy: 8
; WaveLimiterHint : 0
; COMPUTE_PGM_RSRC2:SCRATCH_EN: 0
; COMPUTE_PGM_RSRC2:USER_SGPR: 2
; COMPUTE_PGM_RSRC2:TRAP_HANDLER: 0
; COMPUTE_PGM_RSRC2:TGID_X_EN: 1
; COMPUTE_PGM_RSRC2:TGID_Y_EN: 0
; COMPUTE_PGM_RSRC2:TGID_Z_EN: 0
; COMPUTE_PGM_RSRC2:TIDIG_COMP_CNT: 0
; COMPUTE_PGM_RSRC3_GFX90A:ACCUM_OFFSET: 8
; COMPUTE_PGM_RSRC3_GFX90A:TG_SPLIT: 0
	.section	.text._ZN2at6native29vectorized_elementwise_kernelILi8EZZZNS0_17expm1_kernel_cudaERNS_18TensorIteratorBaseEENKUlvE_clEvENKUlvE4_clEvEUlN3c104HalfEE_St5arrayIPcLm2EEEEviT0_T1_,"axG",@progbits,_ZN2at6native29vectorized_elementwise_kernelILi8EZZZNS0_17expm1_kernel_cudaERNS_18TensorIteratorBaseEENKUlvE_clEvENKUlvE4_clEvEUlN3c104HalfEE_St5arrayIPcLm2EEEEviT0_T1_,comdat
	.globl	_ZN2at6native29vectorized_elementwise_kernelILi8EZZZNS0_17expm1_kernel_cudaERNS_18TensorIteratorBaseEENKUlvE_clEvENKUlvE4_clEvEUlN3c104HalfEE_St5arrayIPcLm2EEEEviT0_T1_ ; -- Begin function _ZN2at6native29vectorized_elementwise_kernelILi8EZZZNS0_17expm1_kernel_cudaERNS_18TensorIteratorBaseEENKUlvE_clEvENKUlvE4_clEvEUlN3c104HalfEE_St5arrayIPcLm2EEEEviT0_T1_
	.p2align	8
	.type	_ZN2at6native29vectorized_elementwise_kernelILi8EZZZNS0_17expm1_kernel_cudaERNS_18TensorIteratorBaseEENKUlvE_clEvENKUlvE4_clEvEUlN3c104HalfEE_St5arrayIPcLm2EEEEviT0_T1_,@function
_ZN2at6native29vectorized_elementwise_kernelILi8EZZZNS0_17expm1_kernel_cudaERNS_18TensorIteratorBaseEENKUlvE_clEvENKUlvE4_clEvEUlN3c104HalfEE_St5arrayIPcLm2EEEEviT0_T1_: ; @_ZN2at6native29vectorized_elementwise_kernelILi8EZZZNS0_17expm1_kernel_cudaERNS_18TensorIteratorBaseEENKUlvE_clEvENKUlvE4_clEvEUlN3c104HalfEE_St5arrayIPcLm2EEEEviT0_T1_
; %bb.0:
	s_load_dword s3, s[0:1], 0x0
	s_load_dwordx4 s[8:11], s[0:1], 0x8
	s_lshl_b32 s6, s2, 11
	s_mov_b64 s[0:1], -1
	s_waitcnt lgkmcnt(0)
	s_sub_i32 s15, s3, s6
	s_cmpk_gt_i32 s15, 0x7ff
	s_cbranch_scc0 .LBB155_2
; %bb.1:
	s_ashr_i32 s7, s6, 31
	s_lshl_b64 s[0:1], s[6:7], 1
	s_add_u32 s2, s10, s0
	s_addc_u32 s3, s11, s1
	v_lshlrev_b32_e32 v1, 4, v0
	global_load_dwordx4 v[2:5], v1, s[2:3]
	s_mov_b32 s14, 0x3f317218
	s_mov_b32 s16, 0xb102e308
	s_mov_b32 s2, 0x3ab69700
	s_mov_b32 s17, 0x42b17217
	s_mov_b32 s18, 0x395133b1
	s_mov_b32 s19, 0xcc40
	v_mov_b64_e32 v[6:7], s[2:3]
	s_mov_b32 s20, 0x3c0887f9
	s_mov_b32 s22, 0x3d2aaa81
	;; [unrolled: 1-line block ×4, first 2 shown]
	s_add_u32 s12, s8, s0
	v_mov_b32_e32 v32, 0x7f000000
	s_addc_u32 s13, s9, s1
	v_mov_b32_e32 v33, 0x7f800000
	v_mov_b32_e32 v34, 0xbc00
	s_waitcnt vmcnt(0)
	v_cvt_f32_f16_sdwa v9, v3 dst_sel:DWORD dst_unused:UNUSED_PAD src0_sel:WORD_1
	v_cvt_f32_f16_e32 v8, v3
	v_cvt_f32_f16_sdwa v11, v2 dst_sel:DWORD dst_unused:UNUSED_PAD src0_sel:WORD_1
	v_cvt_f32_f16_e32 v10, v2
	v_mul_f32_e32 v19, 0x3fb8aa3b, v9
	v_mul_f32_e32 v18, 0x3fb8aa3b, v8
	;; [unrolled: 1-line block ×4, first 2 shown]
	v_rndne_f32_e32 v26, v16
	v_rndne_f32_e32 v27, v17
	;; [unrolled: 1-line block ×4, first 2 shown]
	v_xor_b32_e32 v16, 0x80000000, v24
	v_xor_b32_e32 v17, 0x80000000, v25
	;; [unrolled: 1-line block ×4, first 2 shown]
	v_pk_fma_f32 v[20:21], v[18:19], s[14:15], v[10:11] op_sel_hi:[1,0,1]
	v_pk_fma_f32 v[22:23], v[16:17], s[14:15], v[8:9] op_sel_hi:[1,0,1]
	;; [unrolled: 1-line block ×4, first 2 shown]
	v_cvt_i32_f32_e32 v28, v26
	v_cvt_i32_f32_e32 v29, v27
	;; [unrolled: 1-line block ×4, first 2 shown]
	v_pk_fma_f32 v[20:21], v[18:19], s[18:19], v[6:7] op_sel_hi:[1,0,0]
	v_pk_fma_f32 v[22:23], v[16:17], s[18:19], v[6:7] op_sel_hi:[1,0,0]
	;; [unrolled: 1-line block ×8, first 2 shown]
	v_ldexp_f32 v28, 1.0, v28
	v_ldexp_f32 v29, 1.0, v29
	;; [unrolled: 1-line block ×4, first 2 shown]
	v_cmp_eq_f32_e32 vcc, s7, v24
	v_cmp_eq_f32_e64 s[0:1], s7, v25
	v_cmp_eq_f32_e64 s[2:3], s7, v26
	;; [unrolled: 1-line block ×3, first 2 shown]
	v_pk_fma_f32 v[20:21], v[18:19], v[20:21], 0.5 op_sel_hi:[1,1,0]
	v_pk_fma_f32 v[22:23], v[16:17], v[22:23], 0.5 op_sel_hi:[1,1,0]
	v_cndmask_b32_e32 v24, v30, v32, vcc
	v_cndmask_b32_e64 v25, v31, v32, s[0:1]
	v_cndmask_b32_e64 v26, v28, v32, s[2:3]
	;; [unrolled: 1-line block ×3, first 2 shown]
	v_pk_mul_f32 v[22:23], v[16:17], v[22:23]
	v_pk_mul_f32 v[20:21], v[18:19], v[20:21]
	v_pk_add_f32 v[28:29], v[26:27], -1.0 op_sel_hi:[1,0]
	v_pk_add_f32 v[30:31], v[24:25], -1.0 op_sel_hi:[1,0]
	v_pk_fma_f32 v[18:19], v[18:19], v[20:21], v[18:19]
	v_pk_fma_f32 v[16:17], v[16:17], v[22:23], v[16:17]
	;; [unrolled: 1-line block ×4, first 2 shown]
	v_pk_add_f32 v[20:21], v[18:19], v[18:19]
	v_pk_add_f32 v[22:23], v[16:17], v[16:17]
	v_cndmask_b32_e64 v19, v19, v21, s[4:5]
	v_cndmask_b32_e32 v16, v16, v22, vcc
	v_cmp_nlt_f32_e32 vcc, s17, v11
	v_cndmask_b32_e64 v18, v18, v20, s[2:3]
	v_cndmask_b32_e64 v17, v17, v23, s[0:1]
	v_cndmask_b32_e32 v11, v33, v19, vcc
	v_cmp_nlt_f32_e32 vcc, s17, v10
	v_cvt_f32_f16_sdwa v15, v4 dst_sel:DWORD dst_unused:UNUSED_PAD src0_sel:WORD_1
	v_cvt_f32_f16_e32 v12, v5
	v_cndmask_b32_e32 v10, v33, v18, vcc
	v_cmp_nlt_f32_e32 vcc, s17, v9
	v_cvt_f32_f16_sdwa v13, v5 dst_sel:DWORD dst_unused:UNUSED_PAD src0_sel:WORD_1
	v_cvt_f32_f16_e32 v14, v4
	v_cndmask_b32_e32 v9, v33, v17, vcc
	v_cmp_nlt_f32_e32 vcc, s17, v8
	v_mul_f32_e32 v35, 0x3fb8aa3b, v14
	s_nop 0
	v_cndmask_b32_e32 v8, v33, v16, vcc
	v_cvt_pk_f16_f32 v8, v8, v9
	v_cvt_pk_f16_f32 v9, v10, v11
	v_cmp_ngt_f16_e32 vcc, s19, v2
	v_rndne_f32_e32 v18, v35
	v_cmp_eq_f32_e64 s[2:3], s7, v18
	v_cndmask_b32_e32 v20, v34, v9, vcc
	v_cmp_ngt_f16_e32 vcc, s19, v3
	v_lshrrev_b32_e32 v9, 16, v9
	s_nop 0
	v_cndmask_b32_e32 v21, v34, v8, vcc
	v_cmp_nlt_f16_sdwa vcc, v2, s19 src0_sel:WORD_1 src1_sel:DWORD
	v_mul_f32_e32 v2, 0x3fb8aa3b, v15
	v_rndne_f32_e32 v19, v2
	v_mul_f32_e32 v2, 0x3fb8aa3b, v12
	v_rndne_f32_e32 v24, v2
	v_mul_f32_e32 v2, 0x3fb8aa3b, v13
	v_lshrrev_b32_e32 v8, 16, v8
	v_cndmask_b32_e32 v22, v34, v9, vcc
	v_cmp_nlt_f16_sdwa vcc, v3, s19 src0_sel:WORD_1 src1_sel:DWORD
	v_rndne_f32_e32 v25, v2
	v_xor_b32_e32 v2, 0x80000000, v24
	v_cndmask_b32_e32 v23, v34, v8, vcc
	v_xor_b32_e32 v3, 0x80000000, v25
	v_xor_b32_e32 v8, 0x80000000, v18
	v_xor_b32_e32 v9, 0x80000000, v19
	v_pk_fma_f32 v[10:11], v[8:9], s[14:15], v[14:15] op_sel_hi:[1,0,1]
	v_pk_fma_f32 v[16:17], v[2:3], s[14:15], v[12:13] op_sel_hi:[1,0,1]
	;; [unrolled: 1-line block ×6, first 2 shown]
	v_cvt_i32_f32_e32 v16, v18
	v_pk_fma_f32 v[6:7], v[2:3], v[6:7], s[20:21] op_sel_hi:[1,1,0]
	v_cvt_i32_f32_e32 v17, v19
	v_cvt_i32_f32_e32 v26, v24
	v_pk_fma_f32 v[10:11], v[8:9], v[10:11], s[20:21] op_sel_hi:[1,1,0]
	v_pk_fma_f32 v[6:7], v[2:3], v[6:7], s[22:23] op_sel_hi:[1,1,0]
	v_cvt_i32_f32_e32 v27, v25
	v_pk_fma_f32 v[10:11], v[8:9], v[10:11], s[22:23] op_sel_hi:[1,1,0]
	v_pk_fma_f32 v[6:7], v[2:3], v[6:7], s[24:25] op_sel_hi:[1,1,0]
	;; [unrolled: 1-line block ×3, first 2 shown]
	v_pk_fma_f32 v[6:7], v[2:3], v[6:7], 0.5 op_sel_hi:[1,1,0]
	v_pk_fma_f32 v[10:11], v[8:9], v[10:11], 0.5 op_sel_hi:[1,1,0]
	v_pk_mul_f32 v[6:7], v[2:3], v[6:7]
	v_ldexp_f32 v16, 1.0, v16
	v_ldexp_f32 v17, 1.0, v17
	;; [unrolled: 1-line block ×3, first 2 shown]
	v_pk_mul_f32 v[10:11], v[8:9], v[10:11]
	v_pk_fma_f32 v[2:3], v[2:3], v[6:7], v[2:3]
	v_ldexp_f32 v7, 1.0, v27
	v_cmp_eq_f32_e32 vcc, s7, v24
	v_cmp_eq_f32_e64 s[0:1], s7, v25
	v_cmp_eq_f32_e64 s[4:5], s7, v19
	v_pk_fma_f32 v[8:9], v[8:9], v[10:11], v[8:9]
	v_cndmask_b32_e32 v6, v26, v32, vcc
	v_cndmask_b32_e64 v7, v7, v32, s[0:1]
	v_cndmask_b32_e64 v10, v16, v32, s[2:3]
	;; [unrolled: 1-line block ×3, first 2 shown]
	v_pk_add_f32 v[16:17], v[10:11], -1.0 op_sel_hi:[1,0]
	v_pk_add_f32 v[18:19], v[6:7], -1.0 op_sel_hi:[1,0]
	s_nop 0
	v_pk_fma_f32 v[2:3], v[6:7], v[2:3], v[18:19]
	v_pk_fma_f32 v[6:7], v[10:11], v[8:9], v[16:17]
	v_pk_add_f32 v[10:11], v[2:3], v[2:3]
	v_pk_add_f32 v[8:9], v[6:7], v[6:7]
	v_cndmask_b32_e32 v2, v2, v10, vcc
	v_cndmask_b32_e64 v7, v7, v9, s[4:5]
	v_cmp_nlt_f32_e32 vcc, s17, v15
	v_cndmask_b32_e64 v6, v6, v8, s[2:3]
	v_cndmask_b32_e64 v3, v3, v11, s[0:1]
	v_cndmask_b32_e32 v7, v33, v7, vcc
	v_cmp_nlt_f32_e32 vcc, s17, v14
	s_mov_b32 s0, 0x5040100
	s_nop 0
	v_cndmask_b32_e32 v6, v33, v6, vcc
	v_cmp_nlt_f32_e32 vcc, s17, v13
	s_nop 1
	v_cndmask_b32_e32 v3, v33, v3, vcc
	v_cmp_nlt_f32_e32 vcc, s17, v12
	s_nop 1
	v_cndmask_b32_e32 v2, v33, v2, vcc
	v_cvt_pk_f16_f32 v2, v2, v3
	v_cvt_pk_f16_f32 v3, v6, v7
	v_cmp_ngt_f16_e32 vcc, s19, v4
	s_nop 1
	v_cndmask_b32_e32 v6, v34, v3, vcc
	v_cmp_nlt_f16_sdwa vcc, v4, s19 src0_sel:WORD_1 src1_sel:DWORD
	s_nop 1
	v_cndmask_b32_sdwa v3, v34, v3, vcc dst_sel:DWORD dst_unused:UNUSED_PAD src0_sel:DWORD src1_sel:WORD_1
	v_cmp_ngt_f16_e32 vcc, s19, v5
	s_nop 1
	v_cndmask_b32_e32 v4, v34, v2, vcc
	v_cmp_nlt_f16_sdwa vcc, v5, s19 src0_sel:WORD_1 src1_sel:DWORD
	s_nop 1
	v_cndmask_b32_sdwa v2, v34, v2, vcc dst_sel:DWORD dst_unused:UNUSED_PAD src0_sel:DWORD src1_sel:WORD_1
	v_perm_b32 v5, v2, v4, s0
	v_perm_b32 v4, v3, v6, s0
	;; [unrolled: 1-line block ×4, first 2 shown]
	global_store_dwordx4 v1, v[2:5], s[12:13]
	s_mov_b64 s[0:1], 0
.LBB155_2:
	s_andn2_b64 vcc, exec, s[0:1]
	s_cbranch_vccnz .LBB155_41
; %bb.3:
	v_cmp_gt_i32_e32 vcc, s15, v0
	v_mov_b32_e32 v9, 0
	v_or_b32_e32 v2, s6, v0
	v_mov_b32_e32 v5, 0
	v_mov_b32_e32 v4, v0
	s_and_saveexec_b64 s[0:1], vcc
	s_cbranch_execz .LBB155_5
; %bb.4:
	v_mov_b32_e32 v3, 0
	v_lshl_add_u64 v[4:5], v[2:3], 1, s[10:11]
	global_load_ushort v5, v[4:5], off
	v_or_b32_e32 v4, 0x100, v0
.LBB155_5:
	s_or_b64 exec, exec, s[0:1]
	v_cmp_gt_i32_e64 s[0:1], s15, v4
	s_and_saveexec_b64 s[2:3], s[0:1]
	s_cbranch_execz .LBB155_7
; %bb.6:
	v_add_u32_e32 v6, s6, v4
	v_mov_b32_e32 v7, 0
	v_lshl_add_u64 v[6:7], v[6:7], 1, s[10:11]
	global_load_ushort v9, v[6:7], off
	v_add_u32_e32 v4, 0x100, v4
.LBB155_7:
	s_or_b64 exec, exec, s[2:3]
	v_cmp_gt_i32_e64 s[0:1], s15, v4
	v_mov_b32_e32 v10, 0
	v_mov_b32_e32 v11, 0
	s_and_saveexec_b64 s[2:3], s[0:1]
	s_cbranch_execz .LBB155_9
; %bb.8:
	v_add_u32_e32 v6, s6, v4
	v_mov_b32_e32 v7, 0
	v_lshl_add_u64 v[6:7], v[6:7], 1, s[10:11]
	global_load_ushort v11, v[6:7], off
	v_add_u32_e32 v4, 0x100, v4
.LBB155_9:
	s_or_b64 exec, exec, s[2:3]
	v_cmp_gt_i32_e64 s[0:1], s15, v4
	s_and_saveexec_b64 s[2:3], s[0:1]
	s_cbranch_execz .LBB155_11
; %bb.10:
	v_add_u32_e32 v6, s6, v4
	v_mov_b32_e32 v7, 0
	v_lshl_add_u64 v[6:7], v[6:7], 1, s[10:11]
	global_load_ushort v10, v[6:7], off
	v_add_u32_e32 v4, 0x100, v4
.LBB155_11:
	s_or_b64 exec, exec, s[2:3]
	v_cmp_gt_i32_e64 s[0:1], s15, v4
	v_mov_b32_e32 v6, 0
	v_mov_b32_e32 v8, 0
	s_and_saveexec_b64 s[2:3], s[0:1]
	s_cbranch_execz .LBB155_13
; %bb.12:
	v_add_u32_e32 v12, s6, v4
	v_mov_b32_e32 v13, 0
	v_lshl_add_u64 v[12:13], v[12:13], 1, s[10:11]
	global_load_ushort v8, v[12:13], off
	v_add_u32_e32 v4, 0x100, v4
.LBB155_13:
	s_or_b64 exec, exec, s[2:3]
	v_cmp_gt_i32_e64 s[0:1], s15, v4
	s_and_saveexec_b64 s[2:3], s[0:1]
	s_cbranch_execz .LBB155_15
; %bb.14:
	v_add_u32_e32 v6, s6, v4
	v_mov_b32_e32 v7, 0
	v_lshl_add_u64 v[6:7], v[6:7], 1, s[10:11]
	global_load_ushort v6, v[6:7], off
	v_add_u32_e32 v4, 0x100, v4
.LBB155_15:
	s_or_b64 exec, exec, s[2:3]
	v_cmp_gt_i32_e64 s[0:1], s15, v4
	v_mov_b32_e32 v1, 0
	v_mov_b32_e32 v3, 0
	s_and_saveexec_b64 s[2:3], s[0:1]
	s_cbranch_execnz .LBB155_42
; %bb.16:
	s_or_b64 exec, exec, s[2:3]
	v_cmp_gt_i32_e64 s[0:1], s15, v4
	s_and_saveexec_b64 s[2:3], s[0:1]
	s_cbranch_execnz .LBB155_43
.LBB155_17:
	s_or_b64 exec, exec, s[2:3]
                                        ; implicit-def: $vgpr4
	s_and_saveexec_b64 s[2:3], vcc
	s_cbranch_execz .LBB155_19
.LBB155_18:
	s_waitcnt vmcnt(0)
	v_cvt_f32_f16_e32 v4, v5
	s_mov_b32 s0, 0xbf317218
	v_mov_b32_e32 v7, 0x3ab69700
	v_mul_f32_e32 v12, 0x3fb8aa3b, v4
	v_rndne_f32_e32 v12, v12
	v_fma_mix_f32 v13, v12, s0, v5 op_sel_hi:[0,0,1]
	v_fmamk_f32 v13, v12, 0x3102e308, v13
	v_fmac_f32_e32 v7, 0x395133b1, v13
	v_fmaak_f32 v7, v13, v7, 0x3c0887f9
	v_cvt_i32_f32_e32 v14, v12
	v_fmaak_f32 v7, v13, v7, 0x3d2aaa81
	v_fmaak_f32 v7, v13, v7, 0x3e2aaaab
	v_fma_f32 v7, v13, v7, 0.5
	v_mul_f32_e32 v7, v13, v7
	s_mov_b32 s0, 0x43000000
	v_fmac_f32_e32 v13, v13, v7
	v_ldexp_f32 v7, 1.0, v14
	v_mov_b32_e32 v14, 0x7f000000
	v_cmp_eq_f32_e64 s[0:1], s0, v12
	s_nop 1
	v_cndmask_b32_e64 v7, v7, v14, s[0:1]
	v_add_f32_e32 v12, -1.0, v7
	v_fmac_f32_e32 v12, v7, v13
	v_add_f32_e32 v7, v12, v12
	v_cndmask_b32_e64 v7, v12, v7, s[0:1]
	s_mov_b32 s0, 0x42b17217
	v_mov_b32_e32 v12, 0x7f800000
	v_cmp_nlt_f32_e64 s[0:1], s0, v4
	s_nop 1
	v_cndmask_b32_e64 v4, v12, v7, s[0:1]
	v_cvt_f16_f32_e32 v4, v4
	s_mov_b32 s0, 0xcc40
	v_mov_b32_e32 v7, 0xbc00
	v_cmp_ngt_f16_e64 s[0:1], s0, v5
	s_nop 1
	v_cndmask_b32_e64 v4, v7, v4, s[0:1]
.LBB155_19:
	s_or_b64 exec, exec, s[2:3]
	s_waitcnt vmcnt(0)
	v_or_b32_e32 v5, 0x100, v0
	v_cmp_gt_i32_e64 s[0:1], s15, v5
                                        ; implicit-def: $vgpr7
	s_and_saveexec_b64 s[2:3], s[0:1]
	s_cbranch_execz .LBB155_21
; %bb.20:
	v_cvt_f32_f16_e32 v7, v9
	s_mov_b32 s0, 0xbf317218
	v_mov_b32_e32 v12, 0x3ab69700
	v_mul_f32_e32 v13, 0x3fb8aa3b, v7
	v_rndne_f32_e32 v13, v13
	v_fma_mix_f32 v14, v13, s0, v9 op_sel_hi:[0,0,1]
	v_fmamk_f32 v14, v13, 0x3102e308, v14
	v_fmac_f32_e32 v12, 0x395133b1, v14
	v_fmaak_f32 v12, v14, v12, 0x3c0887f9
	v_cvt_i32_f32_e32 v15, v13
	v_fmaak_f32 v12, v14, v12, 0x3d2aaa81
	v_fmaak_f32 v12, v14, v12, 0x3e2aaaab
	v_fma_f32 v12, v14, v12, 0.5
	v_mul_f32_e32 v12, v14, v12
	s_mov_b32 s0, 0x43000000
	v_fmac_f32_e32 v14, v14, v12
	v_ldexp_f32 v12, 1.0, v15
	v_mov_b32_e32 v15, 0x7f000000
	v_cmp_eq_f32_e64 s[0:1], s0, v13
	s_nop 1
	v_cndmask_b32_e64 v12, v12, v15, s[0:1]
	v_add_f32_e32 v13, -1.0, v12
	v_fmac_f32_e32 v13, v12, v14
	v_add_f32_e32 v12, v13, v13
	v_cndmask_b32_e64 v12, v13, v12, s[0:1]
	s_mov_b32 s0, 0x42b17217
	v_mov_b32_e32 v13, 0x7f800000
	v_cmp_nlt_f32_e64 s[0:1], s0, v7
	s_nop 1
	v_cndmask_b32_e64 v7, v13, v12, s[0:1]
	v_cvt_f16_f32_e32 v7, v7
	s_mov_b32 s0, 0xcc40
	v_mov_b32_e32 v12, 0xbc00
	v_cmp_ngt_f16_e64 s[0:1], s0, v9
	s_nop 1
	v_cndmask_b32_e64 v7, v12, v7, s[0:1]
.LBB155_21:
	s_or_b64 exec, exec, s[2:3]
	v_or_b32_e32 v9, 0x200, v0
	v_cmp_gt_i32_e64 s[0:1], s15, v9
                                        ; implicit-def: $vgpr9
	s_and_saveexec_b64 s[2:3], s[0:1]
	s_cbranch_execz .LBB155_23
; %bb.22:
	v_cvt_f32_f16_e32 v9, v11
	s_mov_b32 s0, 0xbf317218
	v_mov_b32_e32 v12, 0x3ab69700
	v_mul_f32_e32 v13, 0x3fb8aa3b, v9
	v_rndne_f32_e32 v13, v13
	v_fma_mix_f32 v14, v13, s0, v11 op_sel_hi:[0,0,1]
	v_fmamk_f32 v14, v13, 0x3102e308, v14
	v_fmac_f32_e32 v12, 0x395133b1, v14
	v_fmaak_f32 v12, v14, v12, 0x3c0887f9
	v_cvt_i32_f32_e32 v15, v13
	v_fmaak_f32 v12, v14, v12, 0x3d2aaa81
	v_fmaak_f32 v12, v14, v12, 0x3e2aaaab
	v_fma_f32 v12, v14, v12, 0.5
	v_mul_f32_e32 v12, v14, v12
	s_mov_b32 s0, 0x43000000
	v_fmac_f32_e32 v14, v14, v12
	v_ldexp_f32 v12, 1.0, v15
	v_mov_b32_e32 v15, 0x7f000000
	v_cmp_eq_f32_e64 s[0:1], s0, v13
	s_nop 1
	v_cndmask_b32_e64 v12, v12, v15, s[0:1]
	v_add_f32_e32 v13, -1.0, v12
	v_fmac_f32_e32 v13, v12, v14
	v_add_f32_e32 v12, v13, v13
	v_cndmask_b32_e64 v12, v13, v12, s[0:1]
	s_mov_b32 s0, 0x42b17217
	v_mov_b32_e32 v13, 0x7f800000
	v_cmp_nlt_f32_e64 s[0:1], s0, v9
	s_nop 1
	v_cndmask_b32_e64 v9, v13, v12, s[0:1]
	v_cvt_f16_f32_e32 v9, v9
	s_mov_b32 s0, 0xcc40
	v_mov_b32_e32 v12, 0xbc00
	v_cmp_ngt_f16_e64 s[0:1], s0, v11
	s_nop 1
	v_cndmask_b32_e64 v9, v12, v9, s[0:1]
.LBB155_23:
	s_or_b64 exec, exec, s[2:3]
	v_or_b32_e32 v11, 0x300, v0
	v_cmp_gt_i32_e64 s[0:1], s15, v11
                                        ; implicit-def: $vgpr11
	s_and_saveexec_b64 s[2:3], s[0:1]
	s_cbranch_execz .LBB155_25
; %bb.24:
	v_cvt_f32_f16_e32 v11, v10
	s_mov_b32 s0, 0xbf317218
	v_mov_b32_e32 v12, 0x3ab69700
	v_mul_f32_e32 v13, 0x3fb8aa3b, v11
	v_rndne_f32_e32 v13, v13
	v_fma_mix_f32 v14, v13, s0, v10 op_sel_hi:[0,0,1]
	v_fmamk_f32 v14, v13, 0x3102e308, v14
	v_fmac_f32_e32 v12, 0x395133b1, v14
	v_fmaak_f32 v12, v14, v12, 0x3c0887f9
	v_cvt_i32_f32_e32 v15, v13
	v_fmaak_f32 v12, v14, v12, 0x3d2aaa81
	v_fmaak_f32 v12, v14, v12, 0x3e2aaaab
	v_fma_f32 v12, v14, v12, 0.5
	v_mul_f32_e32 v12, v14, v12
	s_mov_b32 s0, 0x43000000
	v_fmac_f32_e32 v14, v14, v12
	v_ldexp_f32 v12, 1.0, v15
	v_mov_b32_e32 v15, 0x7f000000
	v_cmp_eq_f32_e64 s[0:1], s0, v13
	s_nop 1
	v_cndmask_b32_e64 v12, v12, v15, s[0:1]
	v_add_f32_e32 v13, -1.0, v12
	v_fmac_f32_e32 v13, v12, v14
	v_add_f32_e32 v12, v13, v13
	v_cndmask_b32_e64 v12, v13, v12, s[0:1]
	s_mov_b32 s0, 0x42b17217
	v_mov_b32_e32 v13, 0x7f800000
	v_cmp_nlt_f32_e64 s[0:1], s0, v11
	s_nop 1
	v_cndmask_b32_e64 v11, v13, v12, s[0:1]
	v_cvt_f16_f32_e32 v11, v11
	s_mov_b32 s0, 0xcc40
	v_mov_b32_e32 v12, 0xbc00
	v_cmp_ngt_f16_e64 s[0:1], s0, v10
	s_nop 1
	v_cndmask_b32_e64 v11, v12, v11, s[0:1]
.LBB155_25:
	s_or_b64 exec, exec, s[2:3]
	v_or_b32_e32 v10, 0x400, v0
	v_cmp_gt_i32_e64 s[0:1], s15, v10
                                        ; implicit-def: $vgpr10
	s_and_saveexec_b64 s[2:3], s[0:1]
	s_cbranch_execz .LBB155_27
; %bb.26:
	v_cvt_f32_f16_e32 v10, v8
	s_mov_b32 s0, 0xbf317218
	v_mov_b32_e32 v12, 0x3ab69700
	v_mul_f32_e32 v13, 0x3fb8aa3b, v10
	v_rndne_f32_e32 v13, v13
	v_fma_mix_f32 v14, v13, s0, v8 op_sel_hi:[0,0,1]
	v_fmamk_f32 v14, v13, 0x3102e308, v14
	v_fmac_f32_e32 v12, 0x395133b1, v14
	v_fmaak_f32 v12, v14, v12, 0x3c0887f9
	v_cvt_i32_f32_e32 v15, v13
	v_fmaak_f32 v12, v14, v12, 0x3d2aaa81
	v_fmaak_f32 v12, v14, v12, 0x3e2aaaab
	v_fma_f32 v12, v14, v12, 0.5
	v_mul_f32_e32 v12, v14, v12
	s_mov_b32 s0, 0x43000000
	v_fmac_f32_e32 v14, v14, v12
	v_ldexp_f32 v12, 1.0, v15
	v_mov_b32_e32 v15, 0x7f000000
	v_cmp_eq_f32_e64 s[0:1], s0, v13
	s_nop 1
	v_cndmask_b32_e64 v12, v12, v15, s[0:1]
	v_add_f32_e32 v13, -1.0, v12
	v_fmac_f32_e32 v13, v12, v14
	v_add_f32_e32 v12, v13, v13
	v_cndmask_b32_e64 v12, v13, v12, s[0:1]
	s_mov_b32 s0, 0x42b17217
	v_mov_b32_e32 v13, 0x7f800000
	v_cmp_nlt_f32_e64 s[0:1], s0, v10
	s_nop 1
	v_cndmask_b32_e64 v10, v13, v12, s[0:1]
	v_cvt_f16_f32_e32 v10, v10
	s_mov_b32 s0, 0xcc40
	v_mov_b32_e32 v12, 0xbc00
	v_cmp_ngt_f16_e64 s[0:1], s0, v8
	s_nop 1
	v_cndmask_b32_e64 v10, v12, v10, s[0:1]
.LBB155_27:
	s_or_b64 exec, exec, s[2:3]
	v_or_b32_e32 v8, 0x500, v0
	v_cmp_gt_i32_e64 s[0:1], s15, v8
                                        ; implicit-def: $vgpr8
	s_and_saveexec_b64 s[2:3], s[0:1]
	s_cbranch_execz .LBB155_29
; %bb.28:
	v_cvt_f32_f16_e32 v8, v6
	s_mov_b32 s0, 0xbf317218
	v_mov_b32_e32 v12, 0x3ab69700
	v_mul_f32_e32 v13, 0x3fb8aa3b, v8
	v_rndne_f32_e32 v13, v13
	v_fma_mix_f32 v14, v13, s0, v6 op_sel_hi:[0,0,1]
	v_fmamk_f32 v14, v13, 0x3102e308, v14
	v_fmac_f32_e32 v12, 0x395133b1, v14
	v_fmaak_f32 v12, v14, v12, 0x3c0887f9
	v_cvt_i32_f32_e32 v15, v13
	v_fmaak_f32 v12, v14, v12, 0x3d2aaa81
	v_fmaak_f32 v12, v14, v12, 0x3e2aaaab
	v_fma_f32 v12, v14, v12, 0.5
	v_mul_f32_e32 v12, v14, v12
	s_mov_b32 s0, 0x43000000
	v_fmac_f32_e32 v14, v14, v12
	v_ldexp_f32 v12, 1.0, v15
	v_mov_b32_e32 v15, 0x7f000000
	v_cmp_eq_f32_e64 s[0:1], s0, v13
	s_nop 1
	v_cndmask_b32_e64 v12, v12, v15, s[0:1]
	v_add_f32_e32 v13, -1.0, v12
	v_fmac_f32_e32 v13, v12, v14
	v_add_f32_e32 v12, v13, v13
	v_cndmask_b32_e64 v12, v13, v12, s[0:1]
	s_mov_b32 s0, 0x42b17217
	v_mov_b32_e32 v13, 0x7f800000
	v_cmp_nlt_f32_e64 s[0:1], s0, v8
	s_nop 1
	v_cndmask_b32_e64 v8, v13, v12, s[0:1]
	v_cvt_f16_f32_e32 v8, v8
	s_mov_b32 s0, 0xcc40
	v_mov_b32_e32 v12, 0xbc00
	v_cmp_ngt_f16_e64 s[0:1], s0, v6
	s_nop 1
	v_cndmask_b32_e64 v8, v12, v8, s[0:1]
.LBB155_29:
	s_or_b64 exec, exec, s[2:3]
	v_or_b32_e32 v6, 0x600, v0
	v_cmp_gt_i32_e64 s[0:1], s15, v6
                                        ; implicit-def: $vgpr6
	s_and_saveexec_b64 s[2:3], s[0:1]
	s_cbranch_execz .LBB155_31
; %bb.30:
	v_cvt_f32_f16_e32 v6, v3
	s_mov_b32 s0, 0xbf317218
	v_mov_b32_e32 v12, 0x3ab69700
	v_mul_f32_e32 v13, 0x3fb8aa3b, v6
	v_rndne_f32_e32 v13, v13
	v_fma_mix_f32 v14, v13, s0, v3 op_sel_hi:[0,0,1]
	v_fmamk_f32 v14, v13, 0x3102e308, v14
	v_fmac_f32_e32 v12, 0x395133b1, v14
	v_fmaak_f32 v12, v14, v12, 0x3c0887f9
	v_cvt_i32_f32_e32 v15, v13
	v_fmaak_f32 v12, v14, v12, 0x3d2aaa81
	v_fmaak_f32 v12, v14, v12, 0x3e2aaaab
	v_fma_f32 v12, v14, v12, 0.5
	v_mul_f32_e32 v12, v14, v12
	s_mov_b32 s0, 0x43000000
	v_fmac_f32_e32 v14, v14, v12
	v_ldexp_f32 v12, 1.0, v15
	v_mov_b32_e32 v15, 0x7f000000
	v_cmp_eq_f32_e64 s[0:1], s0, v13
	s_nop 1
	v_cndmask_b32_e64 v12, v12, v15, s[0:1]
	v_add_f32_e32 v13, -1.0, v12
	v_fmac_f32_e32 v13, v12, v14
	v_add_f32_e32 v12, v13, v13
	v_cndmask_b32_e64 v12, v13, v12, s[0:1]
	s_mov_b32 s0, 0x42b17217
	v_mov_b32_e32 v13, 0x7f800000
	v_cmp_nlt_f32_e64 s[0:1], s0, v6
	s_nop 1
	v_cndmask_b32_e64 v6, v13, v12, s[0:1]
	v_cvt_f16_f32_e32 v6, v6
	s_mov_b32 s0, 0xcc40
	v_mov_b32_e32 v12, 0xbc00
	v_cmp_ngt_f16_e64 s[0:1], s0, v3
	s_nop 1
	v_cndmask_b32_e64 v6, v12, v6, s[0:1]
.LBB155_31:
	s_or_b64 exec, exec, s[2:3]
	v_or_b32_e32 v3, 0x700, v0
	v_cmp_gt_i32_e64 s[0:1], s15, v3
                                        ; implicit-def: $vgpr12
	s_and_saveexec_b64 s[2:3], s[0:1]
	s_cbranch_execnz .LBB155_44
; %bb.32:
	s_or_b64 exec, exec, s[2:3]
	s_and_saveexec_b64 s[0:1], vcc
	s_xor_b64 s[0:1], exec, s[0:1]
	s_cbranch_execnz .LBB155_45
.LBB155_33:
	s_or_b64 exec, exec, s[0:1]
	v_cmp_gt_i32_e32 vcc, s15, v0
	s_and_saveexec_b64 s[0:1], vcc
	s_cbranch_execnz .LBB155_46
.LBB155_34:
	s_or_b64 exec, exec, s[0:1]
	v_cmp_gt_i32_e32 vcc, s15, v0
	s_and_saveexec_b64 s[0:1], vcc
	s_cbranch_execnz .LBB155_47
.LBB155_35:
	s_or_b64 exec, exec, s[0:1]
	v_cmp_gt_i32_e32 vcc, s15, v0
	s_and_saveexec_b64 s[0:1], vcc
	s_cbranch_execnz .LBB155_48
.LBB155_36:
	s_or_b64 exec, exec, s[0:1]
	v_cmp_gt_i32_e32 vcc, s15, v0
	s_and_saveexec_b64 s[0:1], vcc
	s_cbranch_execnz .LBB155_49
.LBB155_37:
	s_or_b64 exec, exec, s[0:1]
	v_cmp_gt_i32_e32 vcc, s15, v0
	s_and_saveexec_b64 s[0:1], vcc
	s_cbranch_execnz .LBB155_50
.LBB155_38:
	s_or_b64 exec, exec, s[0:1]
	v_cmp_gt_i32_e32 vcc, s15, v0
	s_and_saveexec_b64 s[0:1], vcc
	s_cbranch_execnz .LBB155_51
.LBB155_39:
	s_or_b64 exec, exec, s[0:1]
	v_cmp_gt_i32_e32 vcc, s15, v0
	s_and_saveexec_b64 s[0:1], vcc
	s_cbranch_execz .LBB155_41
.LBB155_40:
	v_add_u32_e32 v0, s6, v0
	v_mov_b32_e32 v1, 0
	v_lshl_add_u64 v[0:1], v[0:1], 1, s[8:9]
	global_store_short v[0:1], v12, off
.LBB155_41:
	s_endpgm
.LBB155_42:
	v_add_u32_e32 v12, s6, v4
	v_mov_b32_e32 v13, 0
	v_lshl_add_u64 v[12:13], v[12:13], 1, s[10:11]
	global_load_ushort v3, v[12:13], off
	v_add_u32_e32 v4, 0x100, v4
	s_or_b64 exec, exec, s[2:3]
	v_cmp_gt_i32_e64 s[0:1], s15, v4
	s_and_saveexec_b64 s[2:3], s[0:1]
	s_cbranch_execz .LBB155_17
.LBB155_43:
	v_add_u32_e32 v12, s6, v4
	v_mov_b32_e32 v13, 0
	v_lshl_add_u64 v[12:13], v[12:13], 1, s[10:11]
	global_load_ushort v1, v[12:13], off
	s_or_b64 exec, exec, s[2:3]
                                        ; implicit-def: $vgpr4
	s_and_saveexec_b64 s[2:3], vcc
	s_cbranch_execnz .LBB155_18
	s_branch .LBB155_19
.LBB155_44:
	v_cvt_f32_f16_e32 v3, v1
	s_mov_b32 s0, 0xbf317218
	v_mov_b32_e32 v12, 0x3ab69700
	v_mul_f32_e32 v13, 0x3fb8aa3b, v3
	v_rndne_f32_e32 v13, v13
	v_fma_mix_f32 v14, v13, s0, v1 op_sel_hi:[0,0,1]
	v_fmamk_f32 v14, v13, 0x3102e308, v14
	v_fmac_f32_e32 v12, 0x395133b1, v14
	v_fmaak_f32 v12, v14, v12, 0x3c0887f9
	v_cvt_i32_f32_e32 v15, v13
	v_fmaak_f32 v12, v14, v12, 0x3d2aaa81
	v_fmaak_f32 v12, v14, v12, 0x3e2aaaab
	v_fma_f32 v12, v14, v12, 0.5
	v_mul_f32_e32 v12, v14, v12
	s_mov_b32 s0, 0x43000000
	v_fmac_f32_e32 v14, v14, v12
	v_ldexp_f32 v12, 1.0, v15
	v_mov_b32_e32 v15, 0x7f000000
	v_cmp_eq_f32_e64 s[0:1], s0, v13
	s_nop 1
	v_cndmask_b32_e64 v12, v12, v15, s[0:1]
	v_add_f32_e32 v13, -1.0, v12
	v_fmac_f32_e32 v13, v12, v14
	v_add_f32_e32 v12, v13, v13
	v_cndmask_b32_e64 v12, v13, v12, s[0:1]
	s_mov_b32 s0, 0x42b17217
	v_mov_b32_e32 v13, 0x7f800000
	v_cmp_nlt_f32_e64 s[0:1], s0, v3
	s_nop 1
	v_cndmask_b32_e64 v3, v13, v12, s[0:1]
	v_cvt_f16_f32_e32 v3, v3
	s_mov_b32 s0, 0xcc40
	v_mov_b32_e32 v12, 0xbc00
	v_cmp_ngt_f16_e64 s[0:1], s0, v1
	s_nop 1
	v_cndmask_b32_e64 v12, v12, v3, s[0:1]
	s_or_b64 exec, exec, s[2:3]
	s_and_saveexec_b64 s[0:1], vcc
	s_xor_b64 s[0:1], exec, s[0:1]
	s_cbranch_execz .LBB155_33
.LBB155_45:
	v_mov_b32_e32 v3, 0
	v_lshl_add_u64 v[0:1], v[2:3], 1, s[8:9]
	global_store_short v[0:1], v4, off
	v_mov_b32_e32 v0, v5
	s_or_b64 exec, exec, s[0:1]
	v_cmp_gt_i32_e32 vcc, s15, v0
	s_and_saveexec_b64 s[0:1], vcc
	s_cbranch_execz .LBB155_34
.LBB155_46:
	v_add_u32_e32 v2, s6, v0
	v_mov_b32_e32 v3, 0
	v_lshl_add_u64 v[2:3], v[2:3], 1, s[8:9]
	v_add_u32_e32 v0, 0x100, v0
	global_store_short v[2:3], v7, off
	s_or_b64 exec, exec, s[0:1]
	v_cmp_gt_i32_e32 vcc, s15, v0
	s_and_saveexec_b64 s[0:1], vcc
	s_cbranch_execz .LBB155_35
.LBB155_47:
	v_add_u32_e32 v2, s6, v0
	v_mov_b32_e32 v3, 0
	v_lshl_add_u64 v[2:3], v[2:3], 1, s[8:9]
	v_add_u32_e32 v0, 0x100, v0
	global_store_short v[2:3], v9, off
	s_or_b64 exec, exec, s[0:1]
	v_cmp_gt_i32_e32 vcc, s15, v0
	s_and_saveexec_b64 s[0:1], vcc
	s_cbranch_execz .LBB155_36
.LBB155_48:
	v_add_u32_e32 v2, s6, v0
	v_mov_b32_e32 v3, 0
	v_lshl_add_u64 v[2:3], v[2:3], 1, s[8:9]
	v_add_u32_e32 v0, 0x100, v0
	global_store_short v[2:3], v11, off
	s_or_b64 exec, exec, s[0:1]
	v_cmp_gt_i32_e32 vcc, s15, v0
	s_and_saveexec_b64 s[0:1], vcc
	s_cbranch_execz .LBB155_37
.LBB155_49:
	v_add_u32_e32 v2, s6, v0
	v_mov_b32_e32 v3, 0
	v_lshl_add_u64 v[2:3], v[2:3], 1, s[8:9]
	v_add_u32_e32 v0, 0x100, v0
	global_store_short v[2:3], v10, off
	s_or_b64 exec, exec, s[0:1]
	v_cmp_gt_i32_e32 vcc, s15, v0
	s_and_saveexec_b64 s[0:1], vcc
	s_cbranch_execz .LBB155_38
.LBB155_50:
	v_add_u32_e32 v2, s6, v0
	v_mov_b32_e32 v3, 0
	v_lshl_add_u64 v[2:3], v[2:3], 1, s[8:9]
	v_add_u32_e32 v0, 0x100, v0
	global_store_short v[2:3], v8, off
	s_or_b64 exec, exec, s[0:1]
	v_cmp_gt_i32_e32 vcc, s15, v0
	s_and_saveexec_b64 s[0:1], vcc
	s_cbranch_execz .LBB155_39
.LBB155_51:
	v_add_u32_e32 v2, s6, v0
	v_mov_b32_e32 v3, 0
	v_lshl_add_u64 v[2:3], v[2:3], 1, s[8:9]
	v_add_u32_e32 v0, 0x100, v0
	global_store_short v[2:3], v6, off
	s_or_b64 exec, exec, s[0:1]
	v_cmp_gt_i32_e32 vcc, s15, v0
	s_and_saveexec_b64 s[0:1], vcc
	s_cbranch_execnz .LBB155_40
	s_branch .LBB155_41
	.section	.rodata,"a",@progbits
	.p2align	6, 0x0
	.amdhsa_kernel _ZN2at6native29vectorized_elementwise_kernelILi8EZZZNS0_17expm1_kernel_cudaERNS_18TensorIteratorBaseEENKUlvE_clEvENKUlvE4_clEvEUlN3c104HalfEE_St5arrayIPcLm2EEEEviT0_T1_
		.amdhsa_group_segment_fixed_size 0
		.amdhsa_private_segment_fixed_size 0
		.amdhsa_kernarg_size 24
		.amdhsa_user_sgpr_count 2
		.amdhsa_user_sgpr_dispatch_ptr 0
		.amdhsa_user_sgpr_queue_ptr 0
		.amdhsa_user_sgpr_kernarg_segment_ptr 1
		.amdhsa_user_sgpr_dispatch_id 0
		.amdhsa_user_sgpr_kernarg_preload_length 0
		.amdhsa_user_sgpr_kernarg_preload_offset 0
		.amdhsa_user_sgpr_private_segment_size 0
		.amdhsa_uses_dynamic_stack 0
		.amdhsa_enable_private_segment 0
		.amdhsa_system_sgpr_workgroup_id_x 1
		.amdhsa_system_sgpr_workgroup_id_y 0
		.amdhsa_system_sgpr_workgroup_id_z 0
		.amdhsa_system_sgpr_workgroup_info 0
		.amdhsa_system_vgpr_workitem_id 0
		.amdhsa_next_free_vgpr 36
		.amdhsa_next_free_sgpr 26
		.amdhsa_accum_offset 36
		.amdhsa_reserve_vcc 1
		.amdhsa_float_round_mode_32 0
		.amdhsa_float_round_mode_16_64 0
		.amdhsa_float_denorm_mode_32 3
		.amdhsa_float_denorm_mode_16_64 3
		.amdhsa_dx10_clamp 1
		.amdhsa_ieee_mode 1
		.amdhsa_fp16_overflow 0
		.amdhsa_tg_split 0
		.amdhsa_exception_fp_ieee_invalid_op 0
		.amdhsa_exception_fp_denorm_src 0
		.amdhsa_exception_fp_ieee_div_zero 0
		.amdhsa_exception_fp_ieee_overflow 0
		.amdhsa_exception_fp_ieee_underflow 0
		.amdhsa_exception_fp_ieee_inexact 0
		.amdhsa_exception_int_div_zero 0
	.end_amdhsa_kernel
	.section	.text._ZN2at6native29vectorized_elementwise_kernelILi8EZZZNS0_17expm1_kernel_cudaERNS_18TensorIteratorBaseEENKUlvE_clEvENKUlvE4_clEvEUlN3c104HalfEE_St5arrayIPcLm2EEEEviT0_T1_,"axG",@progbits,_ZN2at6native29vectorized_elementwise_kernelILi8EZZZNS0_17expm1_kernel_cudaERNS_18TensorIteratorBaseEENKUlvE_clEvENKUlvE4_clEvEUlN3c104HalfEE_St5arrayIPcLm2EEEEviT0_T1_,comdat
.Lfunc_end155:
	.size	_ZN2at6native29vectorized_elementwise_kernelILi8EZZZNS0_17expm1_kernel_cudaERNS_18TensorIteratorBaseEENKUlvE_clEvENKUlvE4_clEvEUlN3c104HalfEE_St5arrayIPcLm2EEEEviT0_T1_, .Lfunc_end155-_ZN2at6native29vectorized_elementwise_kernelILi8EZZZNS0_17expm1_kernel_cudaERNS_18TensorIteratorBaseEENKUlvE_clEvENKUlvE4_clEvEUlN3c104HalfEE_St5arrayIPcLm2EEEEviT0_T1_
                                        ; -- End function
	.set _ZN2at6native29vectorized_elementwise_kernelILi8EZZZNS0_17expm1_kernel_cudaERNS_18TensorIteratorBaseEENKUlvE_clEvENKUlvE4_clEvEUlN3c104HalfEE_St5arrayIPcLm2EEEEviT0_T1_.num_vgpr, 36
	.set _ZN2at6native29vectorized_elementwise_kernelILi8EZZZNS0_17expm1_kernel_cudaERNS_18TensorIteratorBaseEENKUlvE_clEvENKUlvE4_clEvEUlN3c104HalfEE_St5arrayIPcLm2EEEEviT0_T1_.num_agpr, 0
	.set _ZN2at6native29vectorized_elementwise_kernelILi8EZZZNS0_17expm1_kernel_cudaERNS_18TensorIteratorBaseEENKUlvE_clEvENKUlvE4_clEvEUlN3c104HalfEE_St5arrayIPcLm2EEEEviT0_T1_.numbered_sgpr, 26
	.set _ZN2at6native29vectorized_elementwise_kernelILi8EZZZNS0_17expm1_kernel_cudaERNS_18TensorIteratorBaseEENKUlvE_clEvENKUlvE4_clEvEUlN3c104HalfEE_St5arrayIPcLm2EEEEviT0_T1_.num_named_barrier, 0
	.set _ZN2at6native29vectorized_elementwise_kernelILi8EZZZNS0_17expm1_kernel_cudaERNS_18TensorIteratorBaseEENKUlvE_clEvENKUlvE4_clEvEUlN3c104HalfEE_St5arrayIPcLm2EEEEviT0_T1_.private_seg_size, 0
	.set _ZN2at6native29vectorized_elementwise_kernelILi8EZZZNS0_17expm1_kernel_cudaERNS_18TensorIteratorBaseEENKUlvE_clEvENKUlvE4_clEvEUlN3c104HalfEE_St5arrayIPcLm2EEEEviT0_T1_.uses_vcc, 1
	.set _ZN2at6native29vectorized_elementwise_kernelILi8EZZZNS0_17expm1_kernel_cudaERNS_18TensorIteratorBaseEENKUlvE_clEvENKUlvE4_clEvEUlN3c104HalfEE_St5arrayIPcLm2EEEEviT0_T1_.uses_flat_scratch, 0
	.set _ZN2at6native29vectorized_elementwise_kernelILi8EZZZNS0_17expm1_kernel_cudaERNS_18TensorIteratorBaseEENKUlvE_clEvENKUlvE4_clEvEUlN3c104HalfEE_St5arrayIPcLm2EEEEviT0_T1_.has_dyn_sized_stack, 0
	.set _ZN2at6native29vectorized_elementwise_kernelILi8EZZZNS0_17expm1_kernel_cudaERNS_18TensorIteratorBaseEENKUlvE_clEvENKUlvE4_clEvEUlN3c104HalfEE_St5arrayIPcLm2EEEEviT0_T1_.has_recursion, 0
	.set _ZN2at6native29vectorized_elementwise_kernelILi8EZZZNS0_17expm1_kernel_cudaERNS_18TensorIteratorBaseEENKUlvE_clEvENKUlvE4_clEvEUlN3c104HalfEE_St5arrayIPcLm2EEEEviT0_T1_.has_indirect_call, 0
	.section	.AMDGPU.csdata,"",@progbits
; Kernel info:
; codeLenInByte = 4448
; TotalNumSgprs: 32
; NumVgprs: 36
; NumAgprs: 0
; TotalNumVgprs: 36
; ScratchSize: 0
; MemoryBound: 0
; FloatMode: 240
; IeeeMode: 1
; LDSByteSize: 0 bytes/workgroup (compile time only)
; SGPRBlocks: 3
; VGPRBlocks: 4
; NumSGPRsForWavesPerEU: 32
; NumVGPRsForWavesPerEU: 36
; AccumOffset: 36
; Occupancy: 8
; WaveLimiterHint : 0
; COMPUTE_PGM_RSRC2:SCRATCH_EN: 0
; COMPUTE_PGM_RSRC2:USER_SGPR: 2
; COMPUTE_PGM_RSRC2:TRAP_HANDLER: 0
; COMPUTE_PGM_RSRC2:TGID_X_EN: 1
; COMPUTE_PGM_RSRC2:TGID_Y_EN: 0
; COMPUTE_PGM_RSRC2:TGID_Z_EN: 0
; COMPUTE_PGM_RSRC2:TIDIG_COMP_CNT: 0
; COMPUTE_PGM_RSRC3_GFX90A:ACCUM_OFFSET: 8
; COMPUTE_PGM_RSRC3_GFX90A:TG_SPLIT: 0
	.section	.text._ZN2at6native29vectorized_elementwise_kernelILi4EZZZNS0_17expm1_kernel_cudaERNS_18TensorIteratorBaseEENKUlvE_clEvENKUlvE4_clEvEUlN3c104HalfEE_St5arrayIPcLm2EEEEviT0_T1_,"axG",@progbits,_ZN2at6native29vectorized_elementwise_kernelILi4EZZZNS0_17expm1_kernel_cudaERNS_18TensorIteratorBaseEENKUlvE_clEvENKUlvE4_clEvEUlN3c104HalfEE_St5arrayIPcLm2EEEEviT0_T1_,comdat
	.globl	_ZN2at6native29vectorized_elementwise_kernelILi4EZZZNS0_17expm1_kernel_cudaERNS_18TensorIteratorBaseEENKUlvE_clEvENKUlvE4_clEvEUlN3c104HalfEE_St5arrayIPcLm2EEEEviT0_T1_ ; -- Begin function _ZN2at6native29vectorized_elementwise_kernelILi4EZZZNS0_17expm1_kernel_cudaERNS_18TensorIteratorBaseEENKUlvE_clEvENKUlvE4_clEvEUlN3c104HalfEE_St5arrayIPcLm2EEEEviT0_T1_
	.p2align	8
	.type	_ZN2at6native29vectorized_elementwise_kernelILi4EZZZNS0_17expm1_kernel_cudaERNS_18TensorIteratorBaseEENKUlvE_clEvENKUlvE4_clEvEUlN3c104HalfEE_St5arrayIPcLm2EEEEviT0_T1_,@function
_ZN2at6native29vectorized_elementwise_kernelILi4EZZZNS0_17expm1_kernel_cudaERNS_18TensorIteratorBaseEENKUlvE_clEvENKUlvE4_clEvEUlN3c104HalfEE_St5arrayIPcLm2EEEEviT0_T1_: ; @_ZN2at6native29vectorized_elementwise_kernelILi4EZZZNS0_17expm1_kernel_cudaERNS_18TensorIteratorBaseEENKUlvE_clEvENKUlvE4_clEvEUlN3c104HalfEE_St5arrayIPcLm2EEEEviT0_T1_
; %bb.0:
	s_load_dword s3, s[0:1], 0x0
	s_load_dwordx4 s[8:11], s[0:1], 0x8
	s_lshl_b32 s6, s2, 11
	s_mov_b64 s[0:1], -1
	s_waitcnt lgkmcnt(0)
	s_sub_i32 s15, s3, s6
	s_cmpk_gt_i32 s15, 0x7ff
	s_cbranch_scc0 .LBB156_2
; %bb.1:
	s_ashr_i32 s7, s6, 31
	s_lshl_b64 s[0:1], s[6:7], 1
	s_add_u32 s2, s10, s0
	s_addc_u32 s3, s11, s1
	v_lshlrev_b32_e32 v1, 3, v0
	global_load_dwordx2 v[2:3], v1, s[2:3]
	global_load_dwordx2 v[4:5], v1, s[2:3] offset:2048
	s_mov_b32 s24, 0x3f317218
	s_mov_b32 s22, 0xb102e308
	;; [unrolled: 1-line block ×5, first 2 shown]
	v_mov_b64_e32 v[6:7], s[2:3]
	s_mov_b32 s18, 0x3c0887f9
	s_mov_b32 s19, 0xcc40
	;; [unrolled: 1-line block ×6, first 2 shown]
	s_add_u32 s12, s8, s0
	v_mov_b32_e32 v32, 0x7f000000
	s_addc_u32 s13, s9, s1
	v_mov_b32_e32 v33, 0x7f800000
	v_mov_b32_e32 v34, 0xbc00
	s_waitcnt vmcnt(1)
	v_cvt_f32_f16_sdwa v9, v3 dst_sel:DWORD dst_unused:UNUSED_PAD src0_sel:WORD_1
	v_cvt_f32_f16_e32 v8, v3
	v_cvt_f32_f16_e32 v10, v2
	v_cvt_f32_f16_sdwa v11, v2 dst_sel:DWORD dst_unused:UNUSED_PAD src0_sel:WORD_1
	v_mul_f32_e32 v17, 0x3fb8aa3b, v9
	v_mul_f32_e32 v16, 0x3fb8aa3b, v8
	v_mul_f32_e32 v12, 0x3fb8aa3b, v10
	v_mul_f32_e32 v15, 0x3fb8aa3b, v11
	v_rndne_f32_e32 v12, v12
	v_rndne_f32_e32 v15, v15
	;; [unrolled: 1-line block ×4, first 2 shown]
	v_xor_b32_e32 v16, 0x80000000, v12
	v_xor_b32_e32 v17, 0x80000000, v15
	;; [unrolled: 1-line block ×4, first 2 shown]
	v_pk_fma_f32 v[20:21], v[18:19], s[24:25], v[8:9] op_sel_hi:[1,0,1]
	v_pk_fma_f32 v[22:23], v[16:17], s[24:25], v[10:11] op_sel_hi:[1,0,1]
	v_pk_fma_f32 v[18:19], v[18:19], s[22:23], v[20:21] op_sel_hi:[1,0,1]
	v_pk_fma_f32 v[16:17], v[16:17], s[22:23], v[22:23] op_sel_hi:[1,0,1]
	v_cvt_i32_f32_e32 v24, v12
	v_cvt_i32_f32_e32 v25, v15
	;; [unrolled: 1-line block ×4, first 2 shown]
	v_pk_fma_f32 v[20:21], v[18:19], s[20:21], v[6:7] op_sel_hi:[1,0,0]
	v_pk_fma_f32 v[22:23], v[16:17], s[20:21], v[6:7] op_sel_hi:[1,0,0]
	v_pk_fma_f32 v[20:21], v[18:19], v[20:21], s[18:19] op_sel_hi:[1,1,0]
	v_pk_fma_f32 v[22:23], v[16:17], v[22:23], s[18:19] op_sel_hi:[1,1,0]
	v_pk_fma_f32 v[20:21], v[18:19], v[20:21], s[16:17] op_sel_hi:[1,1,0]
	v_pk_fma_f32 v[22:23], v[16:17], v[22:23], s[16:17] op_sel_hi:[1,1,0]
	v_pk_fma_f32 v[20:21], v[18:19], v[20:21], s[14:15] op_sel_hi:[1,1,0]
	v_pk_fma_f32 v[22:23], v[16:17], v[22:23], s[14:15] op_sel_hi:[1,1,0]
	v_ldexp_f32 v24, 1.0, v24
	v_ldexp_f32 v25, 1.0, v25
	;; [unrolled: 1-line block ×4, first 2 shown]
	v_cmp_eq_f32_e32 vcc, s7, v12
	v_cmp_eq_f32_e64 s[0:1], s7, v15
	v_cmp_eq_f32_e64 s[2:3], s7, v26
	;; [unrolled: 1-line block ×3, first 2 shown]
	v_pk_fma_f32 v[20:21], v[18:19], v[20:21], 0.5 op_sel_hi:[1,1,0]
	v_pk_fma_f32 v[22:23], v[16:17], v[22:23], 0.5 op_sel_hi:[1,1,0]
	v_cndmask_b32_e32 v24, v24, v32, vcc
	v_cndmask_b32_e64 v25, v25, v32, s[0:1]
	v_cndmask_b32_e64 v26, v28, v32, s[2:3]
	;; [unrolled: 1-line block ×3, first 2 shown]
	v_pk_mul_f32 v[22:23], v[16:17], v[22:23]
	v_pk_mul_f32 v[20:21], v[18:19], v[20:21]
	v_pk_add_f32 v[28:29], v[26:27], -1.0 op_sel_hi:[1,0]
	v_pk_add_f32 v[30:31], v[24:25], -1.0 op_sel_hi:[1,0]
	v_pk_fma_f32 v[18:19], v[18:19], v[20:21], v[18:19]
	v_pk_fma_f32 v[16:17], v[16:17], v[22:23], v[16:17]
	;; [unrolled: 1-line block ×4, first 2 shown]
	v_pk_add_f32 v[20:21], v[18:19], v[18:19]
	v_pk_add_f32 v[22:23], v[16:17], v[16:17]
	s_waitcnt vmcnt(0)
	v_cvt_f32_f16_e32 v14, v4
	v_cndmask_b32_e32 v12, v16, v22, vcc
	v_cndmask_b32_e64 v15, v17, v23, s[0:1]
	v_cndmask_b32_e64 v17, v19, v21, s[4:5]
	v_cmp_nlt_f32_e32 vcc, s17, v9
	v_cndmask_b32_e64 v16, v18, v20, s[2:3]
	v_cvt_f32_f16_sdwa v13, v5 dst_sel:DWORD dst_unused:UNUSED_PAD src0_sel:WORD_1
	v_cndmask_b32_e32 v9, v33, v17, vcc
	v_cmp_nlt_f32_e32 vcc, s17, v8
	s_nop 1
	v_cndmask_b32_e32 v8, v33, v16, vcc
	v_cmp_nlt_f32_e32 vcc, s17, v11
	v_cvt_pk_f16_f32 v8, v8, v9
	s_nop 0
	v_cndmask_b32_e32 v11, v33, v15, vcc
	v_cmp_nlt_f32_e32 vcc, s17, v10
	v_cvt_f32_f16_sdwa v15, v4 dst_sel:DWORD dst_unused:UNUSED_PAD src0_sel:WORD_1
	s_nop 0
	v_cndmask_b32_e32 v10, v33, v12, vcc
	v_cmp_ngt_f16_e32 vcc, s19, v3
	v_cvt_pk_f16_f32 v10, v10, v11
	v_cvt_f32_f16_e32 v12, v5
	v_cndmask_b32_e32 v9, v34, v8, vcc
	v_cmp_ngt_f16_e32 vcc, s19, v2
	v_lshrrev_b32_e32 v8, 16, v8
	s_nop 0
	v_cndmask_b32_e32 v11, v34, v10, vcc
	v_cmp_nlt_f16_sdwa vcc, v3, s19 src0_sel:WORD_1 src1_sel:DWORD
	v_lshrrev_b32_e32 v10, 16, v10
	s_nop 0
	v_cndmask_b32_e32 v3, v34, v8, vcc
	v_mul_f32_e32 v8, 0x3fb8aa3b, v14
	v_rndne_f32_e32 v20, v8
	v_mul_f32_e32 v8, 0x3fb8aa3b, v15
	v_rndne_f32_e32 v21, v8
	v_mul_f32_e32 v8, 0x3fb8aa3b, v12
	v_cmp_nlt_f16_sdwa vcc, v2, s19 src0_sel:WORD_1 src1_sel:DWORD
	v_rndne_f32_e32 v22, v8
	v_mul_f32_e32 v8, 0x3fb8aa3b, v13
	v_cndmask_b32_e32 v2, v34, v10, vcc
	v_rndne_f32_e32 v23, v8
	v_perm_b32 v2, v2, v11, s21
	v_xor_b32_e32 v10, 0x80000000, v22
	v_xor_b32_e32 v11, 0x80000000, v23
	v_perm_b32 v3, v3, v9, s21
	v_xor_b32_e32 v8, 0x80000000, v20
	v_xor_b32_e32 v9, 0x80000000, v21
	v_pk_fma_f32 v[16:17], v[10:11], s[24:25], v[12:13] op_sel_hi:[1,0,1]
	v_pk_fma_f32 v[18:19], v[8:9], s[24:25], v[14:15] op_sel_hi:[1,0,1]
	;; [unrolled: 1-line block ×7, first 2 shown]
	v_cvt_i32_f32_e32 v18, v20
	v_cvt_i32_f32_e32 v19, v21
	;; [unrolled: 1-line block ×3, first 2 shown]
	v_pk_fma_f32 v[6:7], v[8:9], v[6:7], s[18:19] op_sel_hi:[1,1,0]
	v_pk_fma_f32 v[16:17], v[10:11], v[16:17], s[16:17] op_sel_hi:[1,1,0]
	v_cvt_i32_f32_e32 v25, v23
	v_pk_fma_f32 v[6:7], v[8:9], v[6:7], s[16:17] op_sel_hi:[1,1,0]
	v_pk_fma_f32 v[16:17], v[10:11], v[16:17], s[14:15] op_sel_hi:[1,1,0]
	;; [unrolled: 1-line block ×3, first 2 shown]
	v_pk_fma_f32 v[16:17], v[10:11], v[16:17], 0.5 op_sel_hi:[1,1,0]
	v_pk_fma_f32 v[6:7], v[8:9], v[6:7], 0.5 op_sel_hi:[1,1,0]
	v_pk_mul_f32 v[16:17], v[10:11], v[16:17]
	v_ldexp_f32 v18, 1.0, v18
	v_ldexp_f32 v19, 1.0, v19
	;; [unrolled: 1-line block ×3, first 2 shown]
	v_pk_mul_f32 v[6:7], v[8:9], v[6:7]
	v_pk_fma_f32 v[10:11], v[10:11], v[16:17], v[10:11]
	v_ldexp_f32 v17, 1.0, v25
	v_cmp_eq_f32_e32 vcc, s7, v20
	v_cmp_eq_f32_e64 s[0:1], s7, v21
	v_cmp_eq_f32_e64 s[2:3], s7, v22
	;; [unrolled: 1-line block ×3, first 2 shown]
	v_pk_fma_f32 v[6:7], v[8:9], v[6:7], v[8:9]
	v_cndmask_b32_e32 v8, v18, v32, vcc
	v_cndmask_b32_e64 v9, v19, v32, s[0:1]
	v_cndmask_b32_e64 v16, v24, v32, s[2:3]
	v_cndmask_b32_e64 v17, v17, v32, s[4:5]
	v_pk_add_f32 v[18:19], v[16:17], -1.0 op_sel_hi:[1,0]
	v_pk_add_f32 v[20:21], v[8:9], -1.0 op_sel_hi:[1,0]
	s_nop 0
	v_pk_fma_f32 v[6:7], v[8:9], v[6:7], v[20:21]
	v_pk_fma_f32 v[8:9], v[16:17], v[10:11], v[18:19]
	v_pk_add_f32 v[16:17], v[6:7], v[6:7]
	v_pk_add_f32 v[10:11], v[8:9], v[8:9]
	v_cndmask_b32_e32 v6, v6, v16, vcc
	v_cndmask_b32_e64 v9, v9, v11, s[4:5]
	v_cmp_nlt_f32_e32 vcc, s17, v13
	v_cndmask_b32_e64 v8, v8, v10, s[2:3]
	v_cndmask_b32_e64 v7, v7, v17, s[0:1]
	v_cndmask_b32_e32 v9, v33, v9, vcc
	v_cmp_nlt_f32_e32 vcc, s17, v12
	s_mov_b64 s[0:1], 0
	s_nop 0
	v_cndmask_b32_e32 v8, v33, v8, vcc
	v_cmp_nlt_f32_e32 vcc, s17, v15
	s_nop 1
	v_cndmask_b32_e32 v7, v33, v7, vcc
	v_cmp_nlt_f32_e32 vcc, s17, v14
	s_nop 1
	v_cndmask_b32_e32 v6, v33, v6, vcc
	v_cvt_pk_f16_f32 v6, v6, v7
	v_cvt_pk_f16_f32 v7, v8, v9
	v_cmp_ngt_f16_e32 vcc, s19, v5
	s_nop 1
	v_cndmask_b32_e32 v8, v34, v7, vcc
	v_cmp_nlt_f16_sdwa vcc, v5, s19 src0_sel:WORD_1 src1_sel:DWORD
	s_nop 1
	v_cndmask_b32_sdwa v5, v34, v7, vcc dst_sel:DWORD dst_unused:UNUSED_PAD src0_sel:DWORD src1_sel:WORD_1
	v_cmp_ngt_f16_e32 vcc, s19, v4
	v_perm_b32 v5, v5, v8, s21
	s_nop 0
	v_cndmask_b32_e32 v7, v34, v6, vcc
	v_cmp_nlt_f16_sdwa vcc, v4, s19 src0_sel:WORD_1 src1_sel:DWORD
	s_nop 1
	v_cndmask_b32_sdwa v4, v34, v6, vcc dst_sel:DWORD dst_unused:UNUSED_PAD src0_sel:DWORD src1_sel:WORD_1
	v_perm_b32 v4, v4, v7, s21
	global_store_dwordx2 v1, v[2:3], s[12:13]
	global_store_dwordx2 v1, v[4:5], s[12:13] offset:2048
.LBB156_2:
	s_andn2_b64 vcc, exec, s[0:1]
	s_cbranch_vccnz .LBB156_41
; %bb.3:
	v_cmp_gt_i32_e32 vcc, s15, v0
	v_mov_b32_e32 v9, 0
	v_or_b32_e32 v2, s6, v0
	v_mov_b32_e32 v5, 0
	v_mov_b32_e32 v4, v0
	s_and_saveexec_b64 s[0:1], vcc
	s_cbranch_execz .LBB156_5
; %bb.4:
	v_mov_b32_e32 v3, 0
	v_lshl_add_u64 v[4:5], v[2:3], 1, s[10:11]
	global_load_ushort v5, v[4:5], off
	v_or_b32_e32 v4, 0x100, v0
.LBB156_5:
	s_or_b64 exec, exec, s[0:1]
	v_cmp_gt_i32_e64 s[0:1], s15, v4
	s_and_saveexec_b64 s[2:3], s[0:1]
	s_cbranch_execz .LBB156_7
; %bb.6:
	v_add_u32_e32 v6, s6, v4
	v_mov_b32_e32 v7, 0
	v_lshl_add_u64 v[6:7], v[6:7], 1, s[10:11]
	global_load_ushort v9, v[6:7], off
	v_add_u32_e32 v4, 0x100, v4
.LBB156_7:
	s_or_b64 exec, exec, s[2:3]
	v_cmp_gt_i32_e64 s[0:1], s15, v4
	v_mov_b32_e32 v10, 0
	v_mov_b32_e32 v11, 0
	s_and_saveexec_b64 s[2:3], s[0:1]
	s_cbranch_execz .LBB156_9
; %bb.8:
	v_add_u32_e32 v6, s6, v4
	v_mov_b32_e32 v7, 0
	v_lshl_add_u64 v[6:7], v[6:7], 1, s[10:11]
	global_load_ushort v11, v[6:7], off
	v_add_u32_e32 v4, 0x100, v4
.LBB156_9:
	s_or_b64 exec, exec, s[2:3]
	v_cmp_gt_i32_e64 s[0:1], s15, v4
	s_and_saveexec_b64 s[2:3], s[0:1]
	s_cbranch_execz .LBB156_11
; %bb.10:
	v_add_u32_e32 v6, s6, v4
	v_mov_b32_e32 v7, 0
	v_lshl_add_u64 v[6:7], v[6:7], 1, s[10:11]
	global_load_ushort v10, v[6:7], off
	v_add_u32_e32 v4, 0x100, v4
.LBB156_11:
	s_or_b64 exec, exec, s[2:3]
	v_cmp_gt_i32_e64 s[0:1], s15, v4
	v_mov_b32_e32 v6, 0
	v_mov_b32_e32 v8, 0
	s_and_saveexec_b64 s[2:3], s[0:1]
	s_cbranch_execz .LBB156_13
; %bb.12:
	v_add_u32_e32 v12, s6, v4
	v_mov_b32_e32 v13, 0
	v_lshl_add_u64 v[12:13], v[12:13], 1, s[10:11]
	global_load_ushort v8, v[12:13], off
	v_add_u32_e32 v4, 0x100, v4
.LBB156_13:
	s_or_b64 exec, exec, s[2:3]
	v_cmp_gt_i32_e64 s[0:1], s15, v4
	s_and_saveexec_b64 s[2:3], s[0:1]
	s_cbranch_execz .LBB156_15
; %bb.14:
	v_add_u32_e32 v6, s6, v4
	v_mov_b32_e32 v7, 0
	v_lshl_add_u64 v[6:7], v[6:7], 1, s[10:11]
	global_load_ushort v6, v[6:7], off
	v_add_u32_e32 v4, 0x100, v4
.LBB156_15:
	s_or_b64 exec, exec, s[2:3]
	v_cmp_gt_i32_e64 s[0:1], s15, v4
	v_mov_b32_e32 v1, 0
	v_mov_b32_e32 v3, 0
	s_and_saveexec_b64 s[2:3], s[0:1]
	s_cbranch_execnz .LBB156_42
; %bb.16:
	s_or_b64 exec, exec, s[2:3]
	v_cmp_gt_i32_e64 s[0:1], s15, v4
	s_and_saveexec_b64 s[2:3], s[0:1]
	s_cbranch_execnz .LBB156_43
.LBB156_17:
	s_or_b64 exec, exec, s[2:3]
                                        ; implicit-def: $vgpr4
	s_and_saveexec_b64 s[2:3], vcc
	s_cbranch_execz .LBB156_19
.LBB156_18:
	s_waitcnt vmcnt(0)
	v_cvt_f32_f16_e32 v4, v5
	s_mov_b32 s0, 0xbf317218
	v_mov_b32_e32 v7, 0x3ab69700
	v_mul_f32_e32 v12, 0x3fb8aa3b, v4
	v_rndne_f32_e32 v12, v12
	v_fma_mix_f32 v13, v12, s0, v5 op_sel_hi:[0,0,1]
	v_fmamk_f32 v13, v12, 0x3102e308, v13
	v_fmac_f32_e32 v7, 0x395133b1, v13
	v_fmaak_f32 v7, v13, v7, 0x3c0887f9
	v_cvt_i32_f32_e32 v14, v12
	v_fmaak_f32 v7, v13, v7, 0x3d2aaa81
	v_fmaak_f32 v7, v13, v7, 0x3e2aaaab
	v_fma_f32 v7, v13, v7, 0.5
	v_mul_f32_e32 v7, v13, v7
	s_mov_b32 s0, 0x43000000
	v_fmac_f32_e32 v13, v13, v7
	v_ldexp_f32 v7, 1.0, v14
	v_mov_b32_e32 v14, 0x7f000000
	v_cmp_eq_f32_e64 s[0:1], s0, v12
	s_nop 1
	v_cndmask_b32_e64 v7, v7, v14, s[0:1]
	v_add_f32_e32 v12, -1.0, v7
	v_fmac_f32_e32 v12, v7, v13
	v_add_f32_e32 v7, v12, v12
	v_cndmask_b32_e64 v7, v12, v7, s[0:1]
	s_mov_b32 s0, 0x42b17217
	v_mov_b32_e32 v12, 0x7f800000
	v_cmp_nlt_f32_e64 s[0:1], s0, v4
	s_nop 1
	v_cndmask_b32_e64 v4, v12, v7, s[0:1]
	v_cvt_f16_f32_e32 v4, v4
	s_mov_b32 s0, 0xcc40
	v_mov_b32_e32 v7, 0xbc00
	v_cmp_ngt_f16_e64 s[0:1], s0, v5
	s_nop 1
	v_cndmask_b32_e64 v4, v7, v4, s[0:1]
.LBB156_19:
	s_or_b64 exec, exec, s[2:3]
	s_waitcnt vmcnt(0)
	v_or_b32_e32 v5, 0x100, v0
	v_cmp_gt_i32_e64 s[0:1], s15, v5
                                        ; implicit-def: $vgpr7
	s_and_saveexec_b64 s[2:3], s[0:1]
	s_cbranch_execz .LBB156_21
; %bb.20:
	v_cvt_f32_f16_e32 v7, v9
	s_mov_b32 s0, 0xbf317218
	v_mov_b32_e32 v12, 0x3ab69700
	v_mul_f32_e32 v13, 0x3fb8aa3b, v7
	v_rndne_f32_e32 v13, v13
	v_fma_mix_f32 v14, v13, s0, v9 op_sel_hi:[0,0,1]
	v_fmamk_f32 v14, v13, 0x3102e308, v14
	v_fmac_f32_e32 v12, 0x395133b1, v14
	v_fmaak_f32 v12, v14, v12, 0x3c0887f9
	v_cvt_i32_f32_e32 v15, v13
	v_fmaak_f32 v12, v14, v12, 0x3d2aaa81
	v_fmaak_f32 v12, v14, v12, 0x3e2aaaab
	v_fma_f32 v12, v14, v12, 0.5
	v_mul_f32_e32 v12, v14, v12
	s_mov_b32 s0, 0x43000000
	v_fmac_f32_e32 v14, v14, v12
	v_ldexp_f32 v12, 1.0, v15
	v_mov_b32_e32 v15, 0x7f000000
	v_cmp_eq_f32_e64 s[0:1], s0, v13
	s_nop 1
	v_cndmask_b32_e64 v12, v12, v15, s[0:1]
	v_add_f32_e32 v13, -1.0, v12
	v_fmac_f32_e32 v13, v12, v14
	v_add_f32_e32 v12, v13, v13
	v_cndmask_b32_e64 v12, v13, v12, s[0:1]
	s_mov_b32 s0, 0x42b17217
	v_mov_b32_e32 v13, 0x7f800000
	v_cmp_nlt_f32_e64 s[0:1], s0, v7
	s_nop 1
	v_cndmask_b32_e64 v7, v13, v12, s[0:1]
	v_cvt_f16_f32_e32 v7, v7
	s_mov_b32 s0, 0xcc40
	v_mov_b32_e32 v12, 0xbc00
	v_cmp_ngt_f16_e64 s[0:1], s0, v9
	s_nop 1
	v_cndmask_b32_e64 v7, v12, v7, s[0:1]
.LBB156_21:
	s_or_b64 exec, exec, s[2:3]
	v_or_b32_e32 v9, 0x200, v0
	v_cmp_gt_i32_e64 s[0:1], s15, v9
                                        ; implicit-def: $vgpr9
	s_and_saveexec_b64 s[2:3], s[0:1]
	s_cbranch_execz .LBB156_23
; %bb.22:
	v_cvt_f32_f16_e32 v9, v11
	s_mov_b32 s0, 0xbf317218
	v_mov_b32_e32 v12, 0x3ab69700
	v_mul_f32_e32 v13, 0x3fb8aa3b, v9
	v_rndne_f32_e32 v13, v13
	v_fma_mix_f32 v14, v13, s0, v11 op_sel_hi:[0,0,1]
	v_fmamk_f32 v14, v13, 0x3102e308, v14
	v_fmac_f32_e32 v12, 0x395133b1, v14
	v_fmaak_f32 v12, v14, v12, 0x3c0887f9
	v_cvt_i32_f32_e32 v15, v13
	v_fmaak_f32 v12, v14, v12, 0x3d2aaa81
	v_fmaak_f32 v12, v14, v12, 0x3e2aaaab
	v_fma_f32 v12, v14, v12, 0.5
	v_mul_f32_e32 v12, v14, v12
	s_mov_b32 s0, 0x43000000
	v_fmac_f32_e32 v14, v14, v12
	v_ldexp_f32 v12, 1.0, v15
	v_mov_b32_e32 v15, 0x7f000000
	v_cmp_eq_f32_e64 s[0:1], s0, v13
	s_nop 1
	v_cndmask_b32_e64 v12, v12, v15, s[0:1]
	v_add_f32_e32 v13, -1.0, v12
	v_fmac_f32_e32 v13, v12, v14
	v_add_f32_e32 v12, v13, v13
	v_cndmask_b32_e64 v12, v13, v12, s[0:1]
	s_mov_b32 s0, 0x42b17217
	v_mov_b32_e32 v13, 0x7f800000
	v_cmp_nlt_f32_e64 s[0:1], s0, v9
	s_nop 1
	v_cndmask_b32_e64 v9, v13, v12, s[0:1]
	v_cvt_f16_f32_e32 v9, v9
	s_mov_b32 s0, 0xcc40
	v_mov_b32_e32 v12, 0xbc00
	v_cmp_ngt_f16_e64 s[0:1], s0, v11
	s_nop 1
	v_cndmask_b32_e64 v9, v12, v9, s[0:1]
.LBB156_23:
	s_or_b64 exec, exec, s[2:3]
	v_or_b32_e32 v11, 0x300, v0
	v_cmp_gt_i32_e64 s[0:1], s15, v11
                                        ; implicit-def: $vgpr11
	s_and_saveexec_b64 s[2:3], s[0:1]
	s_cbranch_execz .LBB156_25
; %bb.24:
	v_cvt_f32_f16_e32 v11, v10
	s_mov_b32 s0, 0xbf317218
	v_mov_b32_e32 v12, 0x3ab69700
	v_mul_f32_e32 v13, 0x3fb8aa3b, v11
	v_rndne_f32_e32 v13, v13
	v_fma_mix_f32 v14, v13, s0, v10 op_sel_hi:[0,0,1]
	v_fmamk_f32 v14, v13, 0x3102e308, v14
	v_fmac_f32_e32 v12, 0x395133b1, v14
	v_fmaak_f32 v12, v14, v12, 0x3c0887f9
	v_cvt_i32_f32_e32 v15, v13
	v_fmaak_f32 v12, v14, v12, 0x3d2aaa81
	v_fmaak_f32 v12, v14, v12, 0x3e2aaaab
	v_fma_f32 v12, v14, v12, 0.5
	v_mul_f32_e32 v12, v14, v12
	s_mov_b32 s0, 0x43000000
	v_fmac_f32_e32 v14, v14, v12
	v_ldexp_f32 v12, 1.0, v15
	v_mov_b32_e32 v15, 0x7f000000
	v_cmp_eq_f32_e64 s[0:1], s0, v13
	s_nop 1
	v_cndmask_b32_e64 v12, v12, v15, s[0:1]
	v_add_f32_e32 v13, -1.0, v12
	v_fmac_f32_e32 v13, v12, v14
	v_add_f32_e32 v12, v13, v13
	v_cndmask_b32_e64 v12, v13, v12, s[0:1]
	s_mov_b32 s0, 0x42b17217
	v_mov_b32_e32 v13, 0x7f800000
	v_cmp_nlt_f32_e64 s[0:1], s0, v11
	s_nop 1
	v_cndmask_b32_e64 v11, v13, v12, s[0:1]
	v_cvt_f16_f32_e32 v11, v11
	s_mov_b32 s0, 0xcc40
	v_mov_b32_e32 v12, 0xbc00
	v_cmp_ngt_f16_e64 s[0:1], s0, v10
	s_nop 1
	v_cndmask_b32_e64 v11, v12, v11, s[0:1]
.LBB156_25:
	s_or_b64 exec, exec, s[2:3]
	v_or_b32_e32 v10, 0x400, v0
	v_cmp_gt_i32_e64 s[0:1], s15, v10
                                        ; implicit-def: $vgpr10
	s_and_saveexec_b64 s[2:3], s[0:1]
	s_cbranch_execz .LBB156_27
; %bb.26:
	v_cvt_f32_f16_e32 v10, v8
	s_mov_b32 s0, 0xbf317218
	v_mov_b32_e32 v12, 0x3ab69700
	v_mul_f32_e32 v13, 0x3fb8aa3b, v10
	v_rndne_f32_e32 v13, v13
	v_fma_mix_f32 v14, v13, s0, v8 op_sel_hi:[0,0,1]
	v_fmamk_f32 v14, v13, 0x3102e308, v14
	v_fmac_f32_e32 v12, 0x395133b1, v14
	v_fmaak_f32 v12, v14, v12, 0x3c0887f9
	v_cvt_i32_f32_e32 v15, v13
	v_fmaak_f32 v12, v14, v12, 0x3d2aaa81
	v_fmaak_f32 v12, v14, v12, 0x3e2aaaab
	v_fma_f32 v12, v14, v12, 0.5
	v_mul_f32_e32 v12, v14, v12
	s_mov_b32 s0, 0x43000000
	v_fmac_f32_e32 v14, v14, v12
	v_ldexp_f32 v12, 1.0, v15
	v_mov_b32_e32 v15, 0x7f000000
	v_cmp_eq_f32_e64 s[0:1], s0, v13
	s_nop 1
	v_cndmask_b32_e64 v12, v12, v15, s[0:1]
	v_add_f32_e32 v13, -1.0, v12
	v_fmac_f32_e32 v13, v12, v14
	v_add_f32_e32 v12, v13, v13
	v_cndmask_b32_e64 v12, v13, v12, s[0:1]
	s_mov_b32 s0, 0x42b17217
	v_mov_b32_e32 v13, 0x7f800000
	v_cmp_nlt_f32_e64 s[0:1], s0, v10
	s_nop 1
	v_cndmask_b32_e64 v10, v13, v12, s[0:1]
	v_cvt_f16_f32_e32 v10, v10
	s_mov_b32 s0, 0xcc40
	v_mov_b32_e32 v12, 0xbc00
	v_cmp_ngt_f16_e64 s[0:1], s0, v8
	s_nop 1
	v_cndmask_b32_e64 v10, v12, v10, s[0:1]
.LBB156_27:
	s_or_b64 exec, exec, s[2:3]
	v_or_b32_e32 v8, 0x500, v0
	v_cmp_gt_i32_e64 s[0:1], s15, v8
                                        ; implicit-def: $vgpr8
	s_and_saveexec_b64 s[2:3], s[0:1]
	s_cbranch_execz .LBB156_29
; %bb.28:
	v_cvt_f32_f16_e32 v8, v6
	s_mov_b32 s0, 0xbf317218
	v_mov_b32_e32 v12, 0x3ab69700
	v_mul_f32_e32 v13, 0x3fb8aa3b, v8
	v_rndne_f32_e32 v13, v13
	v_fma_mix_f32 v14, v13, s0, v6 op_sel_hi:[0,0,1]
	v_fmamk_f32 v14, v13, 0x3102e308, v14
	v_fmac_f32_e32 v12, 0x395133b1, v14
	v_fmaak_f32 v12, v14, v12, 0x3c0887f9
	v_cvt_i32_f32_e32 v15, v13
	v_fmaak_f32 v12, v14, v12, 0x3d2aaa81
	v_fmaak_f32 v12, v14, v12, 0x3e2aaaab
	v_fma_f32 v12, v14, v12, 0.5
	v_mul_f32_e32 v12, v14, v12
	s_mov_b32 s0, 0x43000000
	v_fmac_f32_e32 v14, v14, v12
	v_ldexp_f32 v12, 1.0, v15
	v_mov_b32_e32 v15, 0x7f000000
	v_cmp_eq_f32_e64 s[0:1], s0, v13
	s_nop 1
	v_cndmask_b32_e64 v12, v12, v15, s[0:1]
	v_add_f32_e32 v13, -1.0, v12
	v_fmac_f32_e32 v13, v12, v14
	v_add_f32_e32 v12, v13, v13
	v_cndmask_b32_e64 v12, v13, v12, s[0:1]
	s_mov_b32 s0, 0x42b17217
	v_mov_b32_e32 v13, 0x7f800000
	v_cmp_nlt_f32_e64 s[0:1], s0, v8
	s_nop 1
	v_cndmask_b32_e64 v8, v13, v12, s[0:1]
	v_cvt_f16_f32_e32 v8, v8
	s_mov_b32 s0, 0xcc40
	v_mov_b32_e32 v12, 0xbc00
	v_cmp_ngt_f16_e64 s[0:1], s0, v6
	s_nop 1
	v_cndmask_b32_e64 v8, v12, v8, s[0:1]
.LBB156_29:
	s_or_b64 exec, exec, s[2:3]
	v_or_b32_e32 v6, 0x600, v0
	v_cmp_gt_i32_e64 s[0:1], s15, v6
                                        ; implicit-def: $vgpr6
	s_and_saveexec_b64 s[2:3], s[0:1]
	s_cbranch_execz .LBB156_31
; %bb.30:
	v_cvt_f32_f16_e32 v6, v3
	s_mov_b32 s0, 0xbf317218
	v_mov_b32_e32 v12, 0x3ab69700
	v_mul_f32_e32 v13, 0x3fb8aa3b, v6
	v_rndne_f32_e32 v13, v13
	v_fma_mix_f32 v14, v13, s0, v3 op_sel_hi:[0,0,1]
	v_fmamk_f32 v14, v13, 0x3102e308, v14
	v_fmac_f32_e32 v12, 0x395133b1, v14
	v_fmaak_f32 v12, v14, v12, 0x3c0887f9
	v_cvt_i32_f32_e32 v15, v13
	v_fmaak_f32 v12, v14, v12, 0x3d2aaa81
	v_fmaak_f32 v12, v14, v12, 0x3e2aaaab
	v_fma_f32 v12, v14, v12, 0.5
	v_mul_f32_e32 v12, v14, v12
	s_mov_b32 s0, 0x43000000
	v_fmac_f32_e32 v14, v14, v12
	v_ldexp_f32 v12, 1.0, v15
	v_mov_b32_e32 v15, 0x7f000000
	v_cmp_eq_f32_e64 s[0:1], s0, v13
	s_nop 1
	v_cndmask_b32_e64 v12, v12, v15, s[0:1]
	v_add_f32_e32 v13, -1.0, v12
	v_fmac_f32_e32 v13, v12, v14
	v_add_f32_e32 v12, v13, v13
	v_cndmask_b32_e64 v12, v13, v12, s[0:1]
	s_mov_b32 s0, 0x42b17217
	v_mov_b32_e32 v13, 0x7f800000
	v_cmp_nlt_f32_e64 s[0:1], s0, v6
	s_nop 1
	v_cndmask_b32_e64 v6, v13, v12, s[0:1]
	v_cvt_f16_f32_e32 v6, v6
	s_mov_b32 s0, 0xcc40
	v_mov_b32_e32 v12, 0xbc00
	v_cmp_ngt_f16_e64 s[0:1], s0, v3
	s_nop 1
	v_cndmask_b32_e64 v6, v12, v6, s[0:1]
.LBB156_31:
	s_or_b64 exec, exec, s[2:3]
	v_or_b32_e32 v3, 0x700, v0
	v_cmp_gt_i32_e64 s[0:1], s15, v3
                                        ; implicit-def: $vgpr12
	s_and_saveexec_b64 s[2:3], s[0:1]
	s_cbranch_execnz .LBB156_44
; %bb.32:
	s_or_b64 exec, exec, s[2:3]
	s_and_saveexec_b64 s[0:1], vcc
	s_xor_b64 s[0:1], exec, s[0:1]
	s_cbranch_execnz .LBB156_45
.LBB156_33:
	s_or_b64 exec, exec, s[0:1]
	v_cmp_gt_i32_e32 vcc, s15, v0
	s_and_saveexec_b64 s[0:1], vcc
	s_cbranch_execnz .LBB156_46
.LBB156_34:
	s_or_b64 exec, exec, s[0:1]
	v_cmp_gt_i32_e32 vcc, s15, v0
	s_and_saveexec_b64 s[0:1], vcc
	s_cbranch_execnz .LBB156_47
.LBB156_35:
	s_or_b64 exec, exec, s[0:1]
	v_cmp_gt_i32_e32 vcc, s15, v0
	s_and_saveexec_b64 s[0:1], vcc
	s_cbranch_execnz .LBB156_48
.LBB156_36:
	s_or_b64 exec, exec, s[0:1]
	v_cmp_gt_i32_e32 vcc, s15, v0
	s_and_saveexec_b64 s[0:1], vcc
	s_cbranch_execnz .LBB156_49
.LBB156_37:
	s_or_b64 exec, exec, s[0:1]
	v_cmp_gt_i32_e32 vcc, s15, v0
	s_and_saveexec_b64 s[0:1], vcc
	s_cbranch_execnz .LBB156_50
.LBB156_38:
	s_or_b64 exec, exec, s[0:1]
	v_cmp_gt_i32_e32 vcc, s15, v0
	s_and_saveexec_b64 s[0:1], vcc
	s_cbranch_execnz .LBB156_51
.LBB156_39:
	s_or_b64 exec, exec, s[0:1]
	v_cmp_gt_i32_e32 vcc, s15, v0
	s_and_saveexec_b64 s[0:1], vcc
	s_cbranch_execz .LBB156_41
.LBB156_40:
	v_add_u32_e32 v0, s6, v0
	v_mov_b32_e32 v1, 0
	v_lshl_add_u64 v[0:1], v[0:1], 1, s[8:9]
	global_store_short v[0:1], v12, off
.LBB156_41:
	s_endpgm
.LBB156_42:
	v_add_u32_e32 v12, s6, v4
	v_mov_b32_e32 v13, 0
	v_lshl_add_u64 v[12:13], v[12:13], 1, s[10:11]
	global_load_ushort v3, v[12:13], off
	v_add_u32_e32 v4, 0x100, v4
	s_or_b64 exec, exec, s[2:3]
	v_cmp_gt_i32_e64 s[0:1], s15, v4
	s_and_saveexec_b64 s[2:3], s[0:1]
	s_cbranch_execz .LBB156_17
.LBB156_43:
	v_add_u32_e32 v12, s6, v4
	v_mov_b32_e32 v13, 0
	v_lshl_add_u64 v[12:13], v[12:13], 1, s[10:11]
	global_load_ushort v1, v[12:13], off
	s_or_b64 exec, exec, s[2:3]
                                        ; implicit-def: $vgpr4
	s_and_saveexec_b64 s[2:3], vcc
	s_cbranch_execnz .LBB156_18
	s_branch .LBB156_19
.LBB156_44:
	v_cvt_f32_f16_e32 v3, v1
	s_mov_b32 s0, 0xbf317218
	v_mov_b32_e32 v12, 0x3ab69700
	v_mul_f32_e32 v13, 0x3fb8aa3b, v3
	v_rndne_f32_e32 v13, v13
	v_fma_mix_f32 v14, v13, s0, v1 op_sel_hi:[0,0,1]
	v_fmamk_f32 v14, v13, 0x3102e308, v14
	v_fmac_f32_e32 v12, 0x395133b1, v14
	v_fmaak_f32 v12, v14, v12, 0x3c0887f9
	v_cvt_i32_f32_e32 v15, v13
	v_fmaak_f32 v12, v14, v12, 0x3d2aaa81
	v_fmaak_f32 v12, v14, v12, 0x3e2aaaab
	v_fma_f32 v12, v14, v12, 0.5
	v_mul_f32_e32 v12, v14, v12
	s_mov_b32 s0, 0x43000000
	v_fmac_f32_e32 v14, v14, v12
	v_ldexp_f32 v12, 1.0, v15
	v_mov_b32_e32 v15, 0x7f000000
	v_cmp_eq_f32_e64 s[0:1], s0, v13
	s_nop 1
	v_cndmask_b32_e64 v12, v12, v15, s[0:1]
	v_add_f32_e32 v13, -1.0, v12
	v_fmac_f32_e32 v13, v12, v14
	v_add_f32_e32 v12, v13, v13
	v_cndmask_b32_e64 v12, v13, v12, s[0:1]
	s_mov_b32 s0, 0x42b17217
	v_mov_b32_e32 v13, 0x7f800000
	v_cmp_nlt_f32_e64 s[0:1], s0, v3
	s_nop 1
	v_cndmask_b32_e64 v3, v13, v12, s[0:1]
	v_cvt_f16_f32_e32 v3, v3
	s_mov_b32 s0, 0xcc40
	v_mov_b32_e32 v12, 0xbc00
	v_cmp_ngt_f16_e64 s[0:1], s0, v1
	s_nop 1
	v_cndmask_b32_e64 v12, v12, v3, s[0:1]
	s_or_b64 exec, exec, s[2:3]
	s_and_saveexec_b64 s[0:1], vcc
	s_xor_b64 s[0:1], exec, s[0:1]
	s_cbranch_execz .LBB156_33
.LBB156_45:
	v_mov_b32_e32 v3, 0
	v_lshl_add_u64 v[0:1], v[2:3], 1, s[8:9]
	global_store_short v[0:1], v4, off
	v_mov_b32_e32 v0, v5
	s_or_b64 exec, exec, s[0:1]
	v_cmp_gt_i32_e32 vcc, s15, v0
	s_and_saveexec_b64 s[0:1], vcc
	s_cbranch_execz .LBB156_34
.LBB156_46:
	v_add_u32_e32 v2, s6, v0
	v_mov_b32_e32 v3, 0
	v_lshl_add_u64 v[2:3], v[2:3], 1, s[8:9]
	v_add_u32_e32 v0, 0x100, v0
	global_store_short v[2:3], v7, off
	s_or_b64 exec, exec, s[0:1]
	v_cmp_gt_i32_e32 vcc, s15, v0
	s_and_saveexec_b64 s[0:1], vcc
	s_cbranch_execz .LBB156_35
.LBB156_47:
	v_add_u32_e32 v2, s6, v0
	v_mov_b32_e32 v3, 0
	v_lshl_add_u64 v[2:3], v[2:3], 1, s[8:9]
	v_add_u32_e32 v0, 0x100, v0
	global_store_short v[2:3], v9, off
	s_or_b64 exec, exec, s[0:1]
	v_cmp_gt_i32_e32 vcc, s15, v0
	s_and_saveexec_b64 s[0:1], vcc
	s_cbranch_execz .LBB156_36
.LBB156_48:
	v_add_u32_e32 v2, s6, v0
	v_mov_b32_e32 v3, 0
	v_lshl_add_u64 v[2:3], v[2:3], 1, s[8:9]
	v_add_u32_e32 v0, 0x100, v0
	global_store_short v[2:3], v11, off
	s_or_b64 exec, exec, s[0:1]
	v_cmp_gt_i32_e32 vcc, s15, v0
	s_and_saveexec_b64 s[0:1], vcc
	s_cbranch_execz .LBB156_37
.LBB156_49:
	v_add_u32_e32 v2, s6, v0
	v_mov_b32_e32 v3, 0
	v_lshl_add_u64 v[2:3], v[2:3], 1, s[8:9]
	v_add_u32_e32 v0, 0x100, v0
	global_store_short v[2:3], v10, off
	s_or_b64 exec, exec, s[0:1]
	v_cmp_gt_i32_e32 vcc, s15, v0
	s_and_saveexec_b64 s[0:1], vcc
	s_cbranch_execz .LBB156_38
.LBB156_50:
	v_add_u32_e32 v2, s6, v0
	v_mov_b32_e32 v3, 0
	v_lshl_add_u64 v[2:3], v[2:3], 1, s[8:9]
	v_add_u32_e32 v0, 0x100, v0
	global_store_short v[2:3], v8, off
	s_or_b64 exec, exec, s[0:1]
	v_cmp_gt_i32_e32 vcc, s15, v0
	s_and_saveexec_b64 s[0:1], vcc
	s_cbranch_execz .LBB156_39
.LBB156_51:
	v_add_u32_e32 v2, s6, v0
	v_mov_b32_e32 v3, 0
	v_lshl_add_u64 v[2:3], v[2:3], 1, s[8:9]
	v_add_u32_e32 v0, 0x100, v0
	global_store_short v[2:3], v6, off
	s_or_b64 exec, exec, s[0:1]
	v_cmp_gt_i32_e32 vcc, s15, v0
	s_and_saveexec_b64 s[0:1], vcc
	s_cbranch_execnz .LBB156_40
	s_branch .LBB156_41
	.section	.rodata,"a",@progbits
	.p2align	6, 0x0
	.amdhsa_kernel _ZN2at6native29vectorized_elementwise_kernelILi4EZZZNS0_17expm1_kernel_cudaERNS_18TensorIteratorBaseEENKUlvE_clEvENKUlvE4_clEvEUlN3c104HalfEE_St5arrayIPcLm2EEEEviT0_T1_
		.amdhsa_group_segment_fixed_size 0
		.amdhsa_private_segment_fixed_size 0
		.amdhsa_kernarg_size 24
		.amdhsa_user_sgpr_count 2
		.amdhsa_user_sgpr_dispatch_ptr 0
		.amdhsa_user_sgpr_queue_ptr 0
		.amdhsa_user_sgpr_kernarg_segment_ptr 1
		.amdhsa_user_sgpr_dispatch_id 0
		.amdhsa_user_sgpr_kernarg_preload_length 0
		.amdhsa_user_sgpr_kernarg_preload_offset 0
		.amdhsa_user_sgpr_private_segment_size 0
		.amdhsa_uses_dynamic_stack 0
		.amdhsa_enable_private_segment 0
		.amdhsa_system_sgpr_workgroup_id_x 1
		.amdhsa_system_sgpr_workgroup_id_y 0
		.amdhsa_system_sgpr_workgroup_id_z 0
		.amdhsa_system_sgpr_workgroup_info 0
		.amdhsa_system_vgpr_workitem_id 0
		.amdhsa_next_free_vgpr 35
		.amdhsa_next_free_sgpr 26
		.amdhsa_accum_offset 36
		.amdhsa_reserve_vcc 1
		.amdhsa_float_round_mode_32 0
		.amdhsa_float_round_mode_16_64 0
		.amdhsa_float_denorm_mode_32 3
		.amdhsa_float_denorm_mode_16_64 3
		.amdhsa_dx10_clamp 1
		.amdhsa_ieee_mode 1
		.amdhsa_fp16_overflow 0
		.amdhsa_tg_split 0
		.amdhsa_exception_fp_ieee_invalid_op 0
		.amdhsa_exception_fp_denorm_src 0
		.amdhsa_exception_fp_ieee_div_zero 0
		.amdhsa_exception_fp_ieee_overflow 0
		.amdhsa_exception_fp_ieee_underflow 0
		.amdhsa_exception_fp_ieee_inexact 0
		.amdhsa_exception_int_div_zero 0
	.end_amdhsa_kernel
	.section	.text._ZN2at6native29vectorized_elementwise_kernelILi4EZZZNS0_17expm1_kernel_cudaERNS_18TensorIteratorBaseEENKUlvE_clEvENKUlvE4_clEvEUlN3c104HalfEE_St5arrayIPcLm2EEEEviT0_T1_,"axG",@progbits,_ZN2at6native29vectorized_elementwise_kernelILi4EZZZNS0_17expm1_kernel_cudaERNS_18TensorIteratorBaseEENKUlvE_clEvENKUlvE4_clEvEUlN3c104HalfEE_St5arrayIPcLm2EEEEviT0_T1_,comdat
.Lfunc_end156:
	.size	_ZN2at6native29vectorized_elementwise_kernelILi4EZZZNS0_17expm1_kernel_cudaERNS_18TensorIteratorBaseEENKUlvE_clEvENKUlvE4_clEvEUlN3c104HalfEE_St5arrayIPcLm2EEEEviT0_T1_, .Lfunc_end156-_ZN2at6native29vectorized_elementwise_kernelILi4EZZZNS0_17expm1_kernel_cudaERNS_18TensorIteratorBaseEENKUlvE_clEvENKUlvE4_clEvEUlN3c104HalfEE_St5arrayIPcLm2EEEEviT0_T1_
                                        ; -- End function
	.set _ZN2at6native29vectorized_elementwise_kernelILi4EZZZNS0_17expm1_kernel_cudaERNS_18TensorIteratorBaseEENKUlvE_clEvENKUlvE4_clEvEUlN3c104HalfEE_St5arrayIPcLm2EEEEviT0_T1_.num_vgpr, 35
	.set _ZN2at6native29vectorized_elementwise_kernelILi4EZZZNS0_17expm1_kernel_cudaERNS_18TensorIteratorBaseEENKUlvE_clEvENKUlvE4_clEvEUlN3c104HalfEE_St5arrayIPcLm2EEEEviT0_T1_.num_agpr, 0
	.set _ZN2at6native29vectorized_elementwise_kernelILi4EZZZNS0_17expm1_kernel_cudaERNS_18TensorIteratorBaseEENKUlvE_clEvENKUlvE4_clEvEUlN3c104HalfEE_St5arrayIPcLm2EEEEviT0_T1_.numbered_sgpr, 26
	.set _ZN2at6native29vectorized_elementwise_kernelILi4EZZZNS0_17expm1_kernel_cudaERNS_18TensorIteratorBaseEENKUlvE_clEvENKUlvE4_clEvEUlN3c104HalfEE_St5arrayIPcLm2EEEEviT0_T1_.num_named_barrier, 0
	.set _ZN2at6native29vectorized_elementwise_kernelILi4EZZZNS0_17expm1_kernel_cudaERNS_18TensorIteratorBaseEENKUlvE_clEvENKUlvE4_clEvEUlN3c104HalfEE_St5arrayIPcLm2EEEEviT0_T1_.private_seg_size, 0
	.set _ZN2at6native29vectorized_elementwise_kernelILi4EZZZNS0_17expm1_kernel_cudaERNS_18TensorIteratorBaseEENKUlvE_clEvENKUlvE4_clEvEUlN3c104HalfEE_St5arrayIPcLm2EEEEviT0_T1_.uses_vcc, 1
	.set _ZN2at6native29vectorized_elementwise_kernelILi4EZZZNS0_17expm1_kernel_cudaERNS_18TensorIteratorBaseEENKUlvE_clEvENKUlvE4_clEvEUlN3c104HalfEE_St5arrayIPcLm2EEEEviT0_T1_.uses_flat_scratch, 0
	.set _ZN2at6native29vectorized_elementwise_kernelILi4EZZZNS0_17expm1_kernel_cudaERNS_18TensorIteratorBaseEENKUlvE_clEvENKUlvE4_clEvEUlN3c104HalfEE_St5arrayIPcLm2EEEEviT0_T1_.has_dyn_sized_stack, 0
	.set _ZN2at6native29vectorized_elementwise_kernelILi4EZZZNS0_17expm1_kernel_cudaERNS_18TensorIteratorBaseEENKUlvE_clEvENKUlvE4_clEvEUlN3c104HalfEE_St5arrayIPcLm2EEEEviT0_T1_.has_recursion, 0
	.set _ZN2at6native29vectorized_elementwise_kernelILi4EZZZNS0_17expm1_kernel_cudaERNS_18TensorIteratorBaseEENKUlvE_clEvENKUlvE4_clEvEUlN3c104HalfEE_St5arrayIPcLm2EEEEviT0_T1_.has_indirect_call, 0
	.section	.AMDGPU.csdata,"",@progbits
; Kernel info:
; codeLenInByte = 4480
; TotalNumSgprs: 32
; NumVgprs: 35
; NumAgprs: 0
; TotalNumVgprs: 35
; ScratchSize: 0
; MemoryBound: 0
; FloatMode: 240
; IeeeMode: 1
; LDSByteSize: 0 bytes/workgroup (compile time only)
; SGPRBlocks: 3
; VGPRBlocks: 4
; NumSGPRsForWavesPerEU: 32
; NumVGPRsForWavesPerEU: 35
; AccumOffset: 36
; Occupancy: 8
; WaveLimiterHint : 1
; COMPUTE_PGM_RSRC2:SCRATCH_EN: 0
; COMPUTE_PGM_RSRC2:USER_SGPR: 2
; COMPUTE_PGM_RSRC2:TRAP_HANDLER: 0
; COMPUTE_PGM_RSRC2:TGID_X_EN: 1
; COMPUTE_PGM_RSRC2:TGID_Y_EN: 0
; COMPUTE_PGM_RSRC2:TGID_Z_EN: 0
; COMPUTE_PGM_RSRC2:TIDIG_COMP_CNT: 0
; COMPUTE_PGM_RSRC3_GFX90A:ACCUM_OFFSET: 8
; COMPUTE_PGM_RSRC3_GFX90A:TG_SPLIT: 0
	.section	.text._ZN2at6native29vectorized_elementwise_kernelILi2EZZZNS0_17expm1_kernel_cudaERNS_18TensorIteratorBaseEENKUlvE_clEvENKUlvE4_clEvEUlN3c104HalfEE_St5arrayIPcLm2EEEEviT0_T1_,"axG",@progbits,_ZN2at6native29vectorized_elementwise_kernelILi2EZZZNS0_17expm1_kernel_cudaERNS_18TensorIteratorBaseEENKUlvE_clEvENKUlvE4_clEvEUlN3c104HalfEE_St5arrayIPcLm2EEEEviT0_T1_,comdat
	.globl	_ZN2at6native29vectorized_elementwise_kernelILi2EZZZNS0_17expm1_kernel_cudaERNS_18TensorIteratorBaseEENKUlvE_clEvENKUlvE4_clEvEUlN3c104HalfEE_St5arrayIPcLm2EEEEviT0_T1_ ; -- Begin function _ZN2at6native29vectorized_elementwise_kernelILi2EZZZNS0_17expm1_kernel_cudaERNS_18TensorIteratorBaseEENKUlvE_clEvENKUlvE4_clEvEUlN3c104HalfEE_St5arrayIPcLm2EEEEviT0_T1_
	.p2align	8
	.type	_ZN2at6native29vectorized_elementwise_kernelILi2EZZZNS0_17expm1_kernel_cudaERNS_18TensorIteratorBaseEENKUlvE_clEvENKUlvE4_clEvEUlN3c104HalfEE_St5arrayIPcLm2EEEEviT0_T1_,@function
_ZN2at6native29vectorized_elementwise_kernelILi2EZZZNS0_17expm1_kernel_cudaERNS_18TensorIteratorBaseEENKUlvE_clEvENKUlvE4_clEvEUlN3c104HalfEE_St5arrayIPcLm2EEEEviT0_T1_: ; @_ZN2at6native29vectorized_elementwise_kernelILi2EZZZNS0_17expm1_kernel_cudaERNS_18TensorIteratorBaseEENKUlvE_clEvENKUlvE4_clEvEUlN3c104HalfEE_St5arrayIPcLm2EEEEviT0_T1_
; %bb.0:
	s_load_dword s3, s[0:1], 0x0
	s_load_dwordx4 s[8:11], s[0:1], 0x8
	s_lshl_b32 s6, s2, 11
	s_mov_b64 s[0:1], -1
	s_waitcnt lgkmcnt(0)
	s_sub_i32 s15, s3, s6
	s_cmpk_gt_i32 s15, 0x7ff
	s_cbranch_scc0 .LBB157_2
; %bb.1:
	s_ashr_i32 s7, s6, 31
	s_lshl_b64 s[0:1], s[6:7], 1
	s_add_u32 s2, s10, s0
	s_addc_u32 s3, s11, s1
	v_lshlrev_b32_e32 v1, 2, v0
	global_load_dword v26, v1, s[2:3]
	global_load_dword v27, v1, s[2:3] offset:1024
	global_load_dword v28, v1, s[2:3] offset:2048
	;; [unrolled: 1-line block ×3, first 2 shown]
	s_mov_b32 s14, 0x3f317218
	s_mov_b32 s16, 0xb102e308
	;; [unrolled: 1-line block ×6, first 2 shown]
	v_mov_b64_e32 v[2:3], s[4:5]
	s_mov_b32 s20, 0x3c0887f9
	s_mov_b32 s21, 0x43000000
	;; [unrolled: 1-line block ×4, first 2 shown]
	s_add_u32 s12, s8, s0
	v_mov_b32_e32 v29, 0x7f000000
	s_addc_u32 s13, s9, s1
	v_mov_b32_e32 v30, 0x7f800000
	v_mov_b32_e32 v31, 0xbc00
	s_mov_b32 s7, 0x5040100
	s_waitcnt vmcnt(3)
	v_cvt_f32_f16_e32 v4, v26
	v_cvt_f32_f16_sdwa v5, v26 dst_sel:DWORD dst_unused:UNUSED_PAD src0_sel:WORD_1
	s_waitcnt vmcnt(2)
	v_cvt_f32_f16_e32 v6, v27
	v_cvt_f32_f16_sdwa v7, v27 dst_sel:DWORD dst_unused:UNUSED_PAD src0_sel:WORD_1
	v_mul_f32_e32 v10, 0x3fb8aa3b, v4
	v_mul_f32_e32 v11, 0x3fb8aa3b, v5
	v_rndne_f32_e32 v10, v10
	v_rndne_f32_e32 v11, v11
	v_mul_f32_e32 v12, 0x3fb8aa3b, v6
	v_mul_f32_e32 v13, 0x3fb8aa3b, v7
	v_pk_fma_f32 v[14:15], v[10:11], s[14:15], v[4:5] op_sel_hi:[1,0,1] neg_lo:[1,0,0] neg_hi:[1,0,0]
	v_rndne_f32_e32 v12, v12
	v_rndne_f32_e32 v13, v13
	v_pk_fma_f32 v[14:15], v[10:11], s[16:17], v[14:15] op_sel_hi:[1,0,1] neg_lo:[1,0,0] neg_hi:[1,0,0]
	v_cvt_i32_f32_e32 v22, v10
	v_cvt_i32_f32_e32 v23, v11
	v_pk_fma_f32 v[16:17], v[12:13], s[14:15], v[6:7] op_sel_hi:[1,0,1] neg_lo:[1,0,0] neg_hi:[1,0,0]
	v_pk_fma_f32 v[18:19], v[14:15], s[18:19], v[2:3] op_sel_hi:[1,0,0]
	v_pk_fma_f32 v[16:17], v[12:13], s[16:17], v[16:17] op_sel_hi:[1,0,1] neg_lo:[1,0,0] neg_hi:[1,0,0]
	v_pk_fma_f32 v[18:19], v[14:15], v[18:19], s[20:21] op_sel_hi:[1,1,0]
	v_cvt_i32_f32_e32 v24, v12
	v_cvt_i32_f32_e32 v25, v13
	v_pk_fma_f32 v[20:21], v[16:17], s[18:19], v[2:3] op_sel_hi:[1,0,0]
	v_pk_fma_f32 v[18:19], v[14:15], v[18:19], s[22:23] op_sel_hi:[1,1,0]
	v_pk_fma_f32 v[20:21], v[16:17], v[20:21], s[20:21] op_sel_hi:[1,1,0]
	v_pk_fma_f32 v[18:19], v[14:15], v[18:19], s[24:25] op_sel_hi:[1,1,0]
	v_ldexp_f32 v22, 1.0, v22
	v_ldexp_f32 v23, 1.0, v23
	v_pk_fma_f32 v[20:21], v[16:17], v[20:21], s[22:23] op_sel_hi:[1,1,0]
	v_cmp_eq_f32_e32 vcc, s21, v10
	v_cmp_eq_f32_e64 s[0:1], s21, v11
	v_pk_fma_f32 v[18:19], v[14:15], v[18:19], 0.5 op_sel_hi:[1,1,0]
	v_cndmask_b32_e32 v10, v22, v29, vcc
	v_cndmask_b32_e64 v11, v23, v29, s[0:1]
	v_pk_fma_f32 v[20:21], v[16:17], v[20:21], s[24:25] op_sel_hi:[1,1,0]
	v_pk_mul_f32 v[18:19], v[14:15], v[18:19]
	v_ldexp_f32 v24, 1.0, v24
	v_ldexp_f32 v25, 1.0, v25
	v_cmp_eq_f32_e64 s[2:3], s21, v12
	v_cmp_eq_f32_e64 s[4:5], s21, v13
	v_pk_add_f32 v[22:23], v[10:11], -1.0 op_sel_hi:[1,0]
	v_pk_fma_f32 v[20:21], v[16:17], v[20:21], 0.5 op_sel_hi:[1,1,0]
	v_pk_fma_f32 v[14:15], v[14:15], v[18:19], v[14:15]
	v_cndmask_b32_e64 v12, v24, v29, s[2:3]
	v_cndmask_b32_e64 v13, v25, v29, s[4:5]
	v_pk_mul_f32 v[20:21], v[16:17], v[20:21]
	v_pk_fma_f32 v[10:11], v[10:11], v[14:15], v[22:23]
	v_pk_add_f32 v[24:25], v[12:13], -1.0 op_sel_hi:[1,0]
	v_pk_fma_f32 v[16:17], v[16:17], v[20:21], v[16:17]
	v_pk_add_f32 v[14:15], v[10:11], v[10:11]
	v_pk_fma_f32 v[12:13], v[12:13], v[16:17], v[24:25]
	v_cndmask_b32_e32 v10, v10, v14, vcc
	v_cndmask_b32_e64 v11, v11, v15, s[0:1]
	v_cmp_nlt_f32_e32 vcc, s19, v5
	v_pk_add_f32 v[16:17], v[12:13], v[12:13]
	s_waitcnt vmcnt(1)
	v_cvt_f32_f16_e32 v8, v28
	v_cndmask_b32_e32 v5, v30, v11, vcc
	v_cmp_nlt_f32_e32 vcc, s19, v4
	v_cndmask_b32_e64 v13, v13, v17, s[4:5]
	v_cndmask_b32_e64 v12, v12, v16, s[2:3]
	v_cndmask_b32_e32 v4, v30, v10, vcc
	v_cmp_nlt_f32_e32 vcc, s19, v7
	v_cvt_pk_f16_f32 v4, v4, v5
	v_cvt_f32_f16_sdwa v9, v28 dst_sel:DWORD dst_unused:UNUSED_PAD src0_sel:WORD_1
	v_cndmask_b32_e32 v7, v30, v13, vcc
	v_cmp_nlt_f32_e32 vcc, s19, v6
	v_mul_f32_e32 v33, 0x3fb8aa3b, v8
	s_nop 0
	v_cndmask_b32_e32 v6, v30, v12, vcc
	v_cmp_ngt_f16_e32 vcc, s17, v26
	v_cvt_pk_f16_f32 v5, v6, v7
	s_nop 0
	v_cndmask_b32_e32 v6, v31, v4, vcc
	v_cmp_ngt_f16_e32 vcc, s17, v27
	v_lshrrev_b32_e32 v4, 16, v4
	s_nop 0
	v_cndmask_b32_e32 v7, v31, v5, vcc
	v_cmp_nlt_f16_sdwa vcc, v26, s17 src0_sel:WORD_1 src1_sel:DWORD
	v_lshrrev_b32_e32 v5, 16, v5
	s_nop 0
	v_cndmask_b32_e32 v4, v31, v4, vcc
	v_cmp_nlt_f16_sdwa vcc, v27, s17 src0_sel:WORD_1 src1_sel:DWORD
	v_perm_b32 v12, v4, v6, s7
	v_rndne_f32_e32 v4, v33
	v_cndmask_b32_e32 v5, v31, v5, vcc
	v_perm_b32 v13, v5, v7, s7
	v_mul_f32_e32 v5, 0x3fb8aa3b, v9
	v_cvt_i32_f32_e32 v10, v4
	v_rndne_f32_e32 v5, v5
	v_pk_fma_f32 v[6:7], v[4:5], s[14:15], v[8:9] op_sel_hi:[1,0,1] neg_lo:[1,0,0] neg_hi:[1,0,0]
	v_cvt_i32_f32_e32 v15, v5
	v_pk_fma_f32 v[6:7], v[4:5], s[16:17], v[6:7] op_sel_hi:[1,0,1] neg_lo:[1,0,0] neg_hi:[1,0,0]
	v_ldexp_f32 v14, 1.0, v10
	v_pk_fma_f32 v[10:11], v[6:7], s[18:19], v[2:3] op_sel_hi:[1,0,0]
	v_cmp_eq_f32_e32 vcc, s21, v4
	v_pk_fma_f32 v[10:11], v[6:7], v[10:11], s[20:21] op_sel_hi:[1,1,0]
	v_cmp_eq_f32_e64 s[0:1], s21, v5
	v_pk_fma_f32 v[10:11], v[6:7], v[10:11], s[22:23] op_sel_hi:[1,1,0]
	v_cndmask_b32_e32 v4, v14, v29, vcc
	v_pk_fma_f32 v[10:11], v[6:7], v[10:11], s[24:25] op_sel_hi:[1,1,0]
	s_nop 0
	v_pk_fma_f32 v[10:11], v[6:7], v[10:11], 0.5 op_sel_hi:[1,1,0]
	s_nop 0
	v_pk_mul_f32 v[10:11], v[6:7], v[10:11]
	s_nop 0
	v_pk_fma_f32 v[6:7], v[6:7], v[10:11], v[6:7]
	v_ldexp_f32 v10, 1.0, v15
	v_cndmask_b32_e64 v5, v10, v29, s[0:1]
	v_pk_add_f32 v[10:11], v[4:5], -1.0 op_sel_hi:[1,0]
	s_nop 0
	v_pk_fma_f32 v[4:5], v[4:5], v[6:7], v[10:11]
	s_nop 0
	v_pk_add_f32 v[6:7], v[4:5], v[4:5]
	s_nop 0
	v_cndmask_b32_e32 v4, v4, v6, vcc
	v_cndmask_b32_e64 v5, v5, v7, s[0:1]
	v_cmp_nlt_f32_e32 vcc, s19, v9
	s_nop 1
	v_cndmask_b32_e32 v5, v30, v5, vcc
	v_cmp_nlt_f32_e32 vcc, s19, v8
	s_nop 1
	v_cndmask_b32_e32 v4, v30, v4, vcc
	v_cvt_pk_f16_f32 v4, v4, v5
	v_cmp_ngt_f16_e32 vcc, s17, v28
	v_lshrrev_b32_e32 v5, 16, v4
	s_nop 0
	v_cndmask_b32_e32 v6, v31, v4, vcc
	v_cmp_nlt_f16_sdwa vcc, v28, s17 src0_sel:WORD_1 src1_sel:DWORD
	s_waitcnt vmcnt(0)
	v_cvt_f32_f16_e32 v4, v32
	v_cndmask_b32_e32 v7, v31, v5, vcc
	v_cvt_f32_f16_sdwa v5, v32 dst_sel:DWORD dst_unused:UNUSED_PAD src0_sel:WORD_1
	v_perm_b32 v10, v7, v6, s7
	v_mul_f32_e32 v6, 0x3fb8aa3b, v4
	v_rndne_f32_e32 v6, v6
	v_mul_f32_e32 v7, 0x3fb8aa3b, v5
	v_rndne_f32_e32 v7, v7
	v_pk_fma_f32 v[8:9], v[6:7], s[14:15], v[4:5] op_sel_hi:[1,0,1] neg_lo:[1,0,0] neg_hi:[1,0,0]
	v_cvt_i32_f32_e32 v11, v6
	v_pk_fma_f32 v[8:9], v[6:7], s[16:17], v[8:9] op_sel_hi:[1,0,1] neg_lo:[1,0,0] neg_hi:[1,0,0]
	v_cvt_i32_f32_e32 v14, v7
	v_pk_fma_f32 v[2:3], v[8:9], s[18:19], v[2:3] op_sel_hi:[1,0,0]
	v_ldexp_f32 v11, 1.0, v11
	v_pk_fma_f32 v[2:3], v[8:9], v[2:3], s[20:21] op_sel_hi:[1,1,0]
	v_cmp_eq_f32_e32 vcc, s21, v6
	v_pk_fma_f32 v[2:3], v[8:9], v[2:3], s[22:23] op_sel_hi:[1,1,0]
	v_cmp_eq_f32_e64 s[0:1], s21, v7
	v_pk_fma_f32 v[2:3], v[8:9], v[2:3], s[24:25] op_sel_hi:[1,1,0]
	v_cndmask_b32_e32 v6, v11, v29, vcc
	v_pk_fma_f32 v[2:3], v[8:9], v[2:3], 0.5 op_sel_hi:[1,1,0]
	s_nop 0
	v_pk_mul_f32 v[2:3], v[8:9], v[2:3]
	s_nop 0
	v_pk_fma_f32 v[2:3], v[8:9], v[2:3], v[8:9]
	v_ldexp_f32 v8, 1.0, v14
	v_cndmask_b32_e64 v7, v8, v29, s[0:1]
	v_pk_add_f32 v[8:9], v[6:7], -1.0 op_sel_hi:[1,0]
	s_nop 0
	v_pk_fma_f32 v[2:3], v[6:7], v[2:3], v[8:9]
	s_nop 0
	v_pk_add_f32 v[6:7], v[2:3], v[2:3]
	s_nop 0
	v_cndmask_b32_e32 v2, v2, v6, vcc
	v_cndmask_b32_e64 v3, v3, v7, s[0:1]
	v_cmp_nlt_f32_e32 vcc, s19, v5
	s_mov_b64 s[0:1], 0
	s_nop 0
	v_cndmask_b32_e32 v3, v30, v3, vcc
	v_cmp_nlt_f32_e32 vcc, s19, v4
	s_nop 1
	v_cndmask_b32_e32 v2, v30, v2, vcc
	v_cvt_pk_f16_f32 v2, v2, v3
	v_cmp_ngt_f16_e32 vcc, s17, v32
	s_nop 1
	v_cndmask_b32_e32 v3, v31, v2, vcc
	v_cmp_nlt_f16_sdwa vcc, v32, s17 src0_sel:WORD_1 src1_sel:DWORD
	s_nop 1
	v_cndmask_b32_sdwa v2, v31, v2, vcc dst_sel:DWORD dst_unused:UNUSED_PAD src0_sel:DWORD src1_sel:WORD_1
	v_perm_b32 v2, v2, v3, s7
	global_store_dword v1, v12, s[12:13]
	global_store_dword v1, v13, s[12:13] offset:1024
	global_store_dword v1, v10, s[12:13] offset:2048
	;; [unrolled: 1-line block ×3, first 2 shown]
.LBB157_2:
	s_andn2_b64 vcc, exec, s[0:1]
	s_cbranch_vccnz .LBB157_41
; %bb.3:
	v_cmp_gt_i32_e32 vcc, s15, v0
	v_mov_b32_e32 v9, 0
	v_or_b32_e32 v2, s6, v0
	v_mov_b32_e32 v5, 0
	v_mov_b32_e32 v4, v0
	s_and_saveexec_b64 s[0:1], vcc
	s_cbranch_execz .LBB157_5
; %bb.4:
	v_mov_b32_e32 v3, 0
	v_lshl_add_u64 v[4:5], v[2:3], 1, s[10:11]
	global_load_ushort v5, v[4:5], off
	v_or_b32_e32 v4, 0x100, v0
.LBB157_5:
	s_or_b64 exec, exec, s[0:1]
	v_cmp_gt_i32_e64 s[0:1], s15, v4
	s_and_saveexec_b64 s[2:3], s[0:1]
	s_cbranch_execz .LBB157_7
; %bb.6:
	v_add_u32_e32 v6, s6, v4
	v_mov_b32_e32 v7, 0
	v_lshl_add_u64 v[6:7], v[6:7], 1, s[10:11]
	global_load_ushort v9, v[6:7], off
	v_add_u32_e32 v4, 0x100, v4
.LBB157_7:
	s_or_b64 exec, exec, s[2:3]
	v_cmp_gt_i32_e64 s[0:1], s15, v4
	v_mov_b32_e32 v10, 0
	v_mov_b32_e32 v11, 0
	s_and_saveexec_b64 s[2:3], s[0:1]
	s_cbranch_execz .LBB157_9
; %bb.8:
	v_add_u32_e32 v6, s6, v4
	v_mov_b32_e32 v7, 0
	v_lshl_add_u64 v[6:7], v[6:7], 1, s[10:11]
	global_load_ushort v11, v[6:7], off
	v_add_u32_e32 v4, 0x100, v4
.LBB157_9:
	s_or_b64 exec, exec, s[2:3]
	v_cmp_gt_i32_e64 s[0:1], s15, v4
	s_and_saveexec_b64 s[2:3], s[0:1]
	s_cbranch_execz .LBB157_11
; %bb.10:
	v_add_u32_e32 v6, s6, v4
	v_mov_b32_e32 v7, 0
	v_lshl_add_u64 v[6:7], v[6:7], 1, s[10:11]
	global_load_ushort v10, v[6:7], off
	v_add_u32_e32 v4, 0x100, v4
.LBB157_11:
	s_or_b64 exec, exec, s[2:3]
	v_cmp_gt_i32_e64 s[0:1], s15, v4
	v_mov_b32_e32 v6, 0
	v_mov_b32_e32 v8, 0
	s_and_saveexec_b64 s[2:3], s[0:1]
	s_cbranch_execz .LBB157_13
; %bb.12:
	v_add_u32_e32 v12, s6, v4
	v_mov_b32_e32 v13, 0
	v_lshl_add_u64 v[12:13], v[12:13], 1, s[10:11]
	global_load_ushort v8, v[12:13], off
	v_add_u32_e32 v4, 0x100, v4
.LBB157_13:
	s_or_b64 exec, exec, s[2:3]
	v_cmp_gt_i32_e64 s[0:1], s15, v4
	s_and_saveexec_b64 s[2:3], s[0:1]
	s_cbranch_execz .LBB157_15
; %bb.14:
	v_add_u32_e32 v6, s6, v4
	v_mov_b32_e32 v7, 0
	v_lshl_add_u64 v[6:7], v[6:7], 1, s[10:11]
	global_load_ushort v6, v[6:7], off
	v_add_u32_e32 v4, 0x100, v4
.LBB157_15:
	s_or_b64 exec, exec, s[2:3]
	v_cmp_gt_i32_e64 s[0:1], s15, v4
	v_mov_b32_e32 v1, 0
	v_mov_b32_e32 v3, 0
	s_and_saveexec_b64 s[2:3], s[0:1]
	s_cbranch_execnz .LBB157_42
; %bb.16:
	s_or_b64 exec, exec, s[2:3]
	v_cmp_gt_i32_e64 s[0:1], s15, v4
	s_and_saveexec_b64 s[2:3], s[0:1]
	s_cbranch_execnz .LBB157_43
.LBB157_17:
	s_or_b64 exec, exec, s[2:3]
                                        ; implicit-def: $vgpr4
	s_and_saveexec_b64 s[2:3], vcc
	s_cbranch_execz .LBB157_19
.LBB157_18:
	s_waitcnt vmcnt(0)
	v_cvt_f32_f16_e32 v4, v5
	s_mov_b32 s0, 0xbf317218
	v_mov_b32_e32 v7, 0x3ab69700
	v_mul_f32_e32 v12, 0x3fb8aa3b, v4
	v_rndne_f32_e32 v12, v12
	v_fma_mix_f32 v13, v12, s0, v5 op_sel_hi:[0,0,1]
	v_fmamk_f32 v13, v12, 0x3102e308, v13
	v_fmac_f32_e32 v7, 0x395133b1, v13
	v_fmaak_f32 v7, v13, v7, 0x3c0887f9
	v_cvt_i32_f32_e32 v14, v12
	v_fmaak_f32 v7, v13, v7, 0x3d2aaa81
	v_fmaak_f32 v7, v13, v7, 0x3e2aaaab
	v_fma_f32 v7, v13, v7, 0.5
	v_mul_f32_e32 v7, v13, v7
	s_mov_b32 s0, 0x43000000
	v_fmac_f32_e32 v13, v13, v7
	v_ldexp_f32 v7, 1.0, v14
	v_mov_b32_e32 v14, 0x7f000000
	v_cmp_eq_f32_e64 s[0:1], s0, v12
	s_nop 1
	v_cndmask_b32_e64 v7, v7, v14, s[0:1]
	v_add_f32_e32 v12, -1.0, v7
	v_fmac_f32_e32 v12, v7, v13
	v_add_f32_e32 v7, v12, v12
	v_cndmask_b32_e64 v7, v12, v7, s[0:1]
	s_mov_b32 s0, 0x42b17217
	v_mov_b32_e32 v12, 0x7f800000
	v_cmp_nlt_f32_e64 s[0:1], s0, v4
	s_nop 1
	v_cndmask_b32_e64 v4, v12, v7, s[0:1]
	v_cvt_f16_f32_e32 v4, v4
	s_mov_b32 s0, 0xcc40
	v_mov_b32_e32 v7, 0xbc00
	v_cmp_ngt_f16_e64 s[0:1], s0, v5
	s_nop 1
	v_cndmask_b32_e64 v4, v7, v4, s[0:1]
.LBB157_19:
	s_or_b64 exec, exec, s[2:3]
	s_waitcnt vmcnt(0)
	v_or_b32_e32 v5, 0x100, v0
	v_cmp_gt_i32_e64 s[0:1], s15, v5
                                        ; implicit-def: $vgpr7
	s_and_saveexec_b64 s[2:3], s[0:1]
	s_cbranch_execz .LBB157_21
; %bb.20:
	v_cvt_f32_f16_e32 v7, v9
	s_mov_b32 s0, 0xbf317218
	v_mov_b32_e32 v12, 0x3ab69700
	v_mul_f32_e32 v13, 0x3fb8aa3b, v7
	v_rndne_f32_e32 v13, v13
	v_fma_mix_f32 v14, v13, s0, v9 op_sel_hi:[0,0,1]
	v_fmamk_f32 v14, v13, 0x3102e308, v14
	v_fmac_f32_e32 v12, 0x395133b1, v14
	v_fmaak_f32 v12, v14, v12, 0x3c0887f9
	v_cvt_i32_f32_e32 v15, v13
	v_fmaak_f32 v12, v14, v12, 0x3d2aaa81
	v_fmaak_f32 v12, v14, v12, 0x3e2aaaab
	v_fma_f32 v12, v14, v12, 0.5
	v_mul_f32_e32 v12, v14, v12
	s_mov_b32 s0, 0x43000000
	v_fmac_f32_e32 v14, v14, v12
	v_ldexp_f32 v12, 1.0, v15
	v_mov_b32_e32 v15, 0x7f000000
	v_cmp_eq_f32_e64 s[0:1], s0, v13
	s_nop 1
	v_cndmask_b32_e64 v12, v12, v15, s[0:1]
	v_add_f32_e32 v13, -1.0, v12
	v_fmac_f32_e32 v13, v12, v14
	v_add_f32_e32 v12, v13, v13
	v_cndmask_b32_e64 v12, v13, v12, s[0:1]
	s_mov_b32 s0, 0x42b17217
	v_mov_b32_e32 v13, 0x7f800000
	v_cmp_nlt_f32_e64 s[0:1], s0, v7
	s_nop 1
	v_cndmask_b32_e64 v7, v13, v12, s[0:1]
	v_cvt_f16_f32_e32 v7, v7
	s_mov_b32 s0, 0xcc40
	v_mov_b32_e32 v12, 0xbc00
	v_cmp_ngt_f16_e64 s[0:1], s0, v9
	s_nop 1
	v_cndmask_b32_e64 v7, v12, v7, s[0:1]
.LBB157_21:
	s_or_b64 exec, exec, s[2:3]
	v_or_b32_e32 v9, 0x200, v0
	v_cmp_gt_i32_e64 s[0:1], s15, v9
                                        ; implicit-def: $vgpr9
	s_and_saveexec_b64 s[2:3], s[0:1]
	s_cbranch_execz .LBB157_23
; %bb.22:
	v_cvt_f32_f16_e32 v9, v11
	s_mov_b32 s0, 0xbf317218
	v_mov_b32_e32 v12, 0x3ab69700
	v_mul_f32_e32 v13, 0x3fb8aa3b, v9
	v_rndne_f32_e32 v13, v13
	v_fma_mix_f32 v14, v13, s0, v11 op_sel_hi:[0,0,1]
	v_fmamk_f32 v14, v13, 0x3102e308, v14
	v_fmac_f32_e32 v12, 0x395133b1, v14
	v_fmaak_f32 v12, v14, v12, 0x3c0887f9
	v_cvt_i32_f32_e32 v15, v13
	v_fmaak_f32 v12, v14, v12, 0x3d2aaa81
	v_fmaak_f32 v12, v14, v12, 0x3e2aaaab
	v_fma_f32 v12, v14, v12, 0.5
	v_mul_f32_e32 v12, v14, v12
	s_mov_b32 s0, 0x43000000
	v_fmac_f32_e32 v14, v14, v12
	v_ldexp_f32 v12, 1.0, v15
	v_mov_b32_e32 v15, 0x7f000000
	v_cmp_eq_f32_e64 s[0:1], s0, v13
	s_nop 1
	v_cndmask_b32_e64 v12, v12, v15, s[0:1]
	v_add_f32_e32 v13, -1.0, v12
	v_fmac_f32_e32 v13, v12, v14
	v_add_f32_e32 v12, v13, v13
	v_cndmask_b32_e64 v12, v13, v12, s[0:1]
	s_mov_b32 s0, 0x42b17217
	v_mov_b32_e32 v13, 0x7f800000
	v_cmp_nlt_f32_e64 s[0:1], s0, v9
	s_nop 1
	v_cndmask_b32_e64 v9, v13, v12, s[0:1]
	v_cvt_f16_f32_e32 v9, v9
	s_mov_b32 s0, 0xcc40
	v_mov_b32_e32 v12, 0xbc00
	v_cmp_ngt_f16_e64 s[0:1], s0, v11
	s_nop 1
	v_cndmask_b32_e64 v9, v12, v9, s[0:1]
.LBB157_23:
	s_or_b64 exec, exec, s[2:3]
	v_or_b32_e32 v11, 0x300, v0
	v_cmp_gt_i32_e64 s[0:1], s15, v11
                                        ; implicit-def: $vgpr11
	s_and_saveexec_b64 s[2:3], s[0:1]
	s_cbranch_execz .LBB157_25
; %bb.24:
	v_cvt_f32_f16_e32 v11, v10
	s_mov_b32 s0, 0xbf317218
	v_mov_b32_e32 v12, 0x3ab69700
	v_mul_f32_e32 v13, 0x3fb8aa3b, v11
	v_rndne_f32_e32 v13, v13
	v_fma_mix_f32 v14, v13, s0, v10 op_sel_hi:[0,0,1]
	v_fmamk_f32 v14, v13, 0x3102e308, v14
	v_fmac_f32_e32 v12, 0x395133b1, v14
	v_fmaak_f32 v12, v14, v12, 0x3c0887f9
	v_cvt_i32_f32_e32 v15, v13
	v_fmaak_f32 v12, v14, v12, 0x3d2aaa81
	v_fmaak_f32 v12, v14, v12, 0x3e2aaaab
	v_fma_f32 v12, v14, v12, 0.5
	v_mul_f32_e32 v12, v14, v12
	s_mov_b32 s0, 0x43000000
	v_fmac_f32_e32 v14, v14, v12
	v_ldexp_f32 v12, 1.0, v15
	v_mov_b32_e32 v15, 0x7f000000
	v_cmp_eq_f32_e64 s[0:1], s0, v13
	s_nop 1
	v_cndmask_b32_e64 v12, v12, v15, s[0:1]
	v_add_f32_e32 v13, -1.0, v12
	v_fmac_f32_e32 v13, v12, v14
	v_add_f32_e32 v12, v13, v13
	v_cndmask_b32_e64 v12, v13, v12, s[0:1]
	s_mov_b32 s0, 0x42b17217
	v_mov_b32_e32 v13, 0x7f800000
	v_cmp_nlt_f32_e64 s[0:1], s0, v11
	s_nop 1
	v_cndmask_b32_e64 v11, v13, v12, s[0:1]
	v_cvt_f16_f32_e32 v11, v11
	s_mov_b32 s0, 0xcc40
	v_mov_b32_e32 v12, 0xbc00
	v_cmp_ngt_f16_e64 s[0:1], s0, v10
	s_nop 1
	v_cndmask_b32_e64 v11, v12, v11, s[0:1]
.LBB157_25:
	s_or_b64 exec, exec, s[2:3]
	v_or_b32_e32 v10, 0x400, v0
	v_cmp_gt_i32_e64 s[0:1], s15, v10
                                        ; implicit-def: $vgpr10
	s_and_saveexec_b64 s[2:3], s[0:1]
	s_cbranch_execz .LBB157_27
; %bb.26:
	v_cvt_f32_f16_e32 v10, v8
	s_mov_b32 s0, 0xbf317218
	v_mov_b32_e32 v12, 0x3ab69700
	v_mul_f32_e32 v13, 0x3fb8aa3b, v10
	v_rndne_f32_e32 v13, v13
	v_fma_mix_f32 v14, v13, s0, v8 op_sel_hi:[0,0,1]
	v_fmamk_f32 v14, v13, 0x3102e308, v14
	v_fmac_f32_e32 v12, 0x395133b1, v14
	v_fmaak_f32 v12, v14, v12, 0x3c0887f9
	v_cvt_i32_f32_e32 v15, v13
	v_fmaak_f32 v12, v14, v12, 0x3d2aaa81
	v_fmaak_f32 v12, v14, v12, 0x3e2aaaab
	v_fma_f32 v12, v14, v12, 0.5
	v_mul_f32_e32 v12, v14, v12
	s_mov_b32 s0, 0x43000000
	v_fmac_f32_e32 v14, v14, v12
	v_ldexp_f32 v12, 1.0, v15
	v_mov_b32_e32 v15, 0x7f000000
	v_cmp_eq_f32_e64 s[0:1], s0, v13
	s_nop 1
	v_cndmask_b32_e64 v12, v12, v15, s[0:1]
	v_add_f32_e32 v13, -1.0, v12
	v_fmac_f32_e32 v13, v12, v14
	v_add_f32_e32 v12, v13, v13
	v_cndmask_b32_e64 v12, v13, v12, s[0:1]
	s_mov_b32 s0, 0x42b17217
	v_mov_b32_e32 v13, 0x7f800000
	v_cmp_nlt_f32_e64 s[0:1], s0, v10
	s_nop 1
	v_cndmask_b32_e64 v10, v13, v12, s[0:1]
	v_cvt_f16_f32_e32 v10, v10
	s_mov_b32 s0, 0xcc40
	v_mov_b32_e32 v12, 0xbc00
	v_cmp_ngt_f16_e64 s[0:1], s0, v8
	s_nop 1
	v_cndmask_b32_e64 v10, v12, v10, s[0:1]
.LBB157_27:
	s_or_b64 exec, exec, s[2:3]
	v_or_b32_e32 v8, 0x500, v0
	v_cmp_gt_i32_e64 s[0:1], s15, v8
                                        ; implicit-def: $vgpr8
	s_and_saveexec_b64 s[2:3], s[0:1]
	s_cbranch_execz .LBB157_29
; %bb.28:
	v_cvt_f32_f16_e32 v8, v6
	s_mov_b32 s0, 0xbf317218
	v_mov_b32_e32 v12, 0x3ab69700
	v_mul_f32_e32 v13, 0x3fb8aa3b, v8
	v_rndne_f32_e32 v13, v13
	v_fma_mix_f32 v14, v13, s0, v6 op_sel_hi:[0,0,1]
	v_fmamk_f32 v14, v13, 0x3102e308, v14
	v_fmac_f32_e32 v12, 0x395133b1, v14
	v_fmaak_f32 v12, v14, v12, 0x3c0887f9
	v_cvt_i32_f32_e32 v15, v13
	v_fmaak_f32 v12, v14, v12, 0x3d2aaa81
	v_fmaak_f32 v12, v14, v12, 0x3e2aaaab
	v_fma_f32 v12, v14, v12, 0.5
	v_mul_f32_e32 v12, v14, v12
	s_mov_b32 s0, 0x43000000
	v_fmac_f32_e32 v14, v14, v12
	v_ldexp_f32 v12, 1.0, v15
	v_mov_b32_e32 v15, 0x7f000000
	v_cmp_eq_f32_e64 s[0:1], s0, v13
	s_nop 1
	v_cndmask_b32_e64 v12, v12, v15, s[0:1]
	v_add_f32_e32 v13, -1.0, v12
	v_fmac_f32_e32 v13, v12, v14
	v_add_f32_e32 v12, v13, v13
	v_cndmask_b32_e64 v12, v13, v12, s[0:1]
	s_mov_b32 s0, 0x42b17217
	v_mov_b32_e32 v13, 0x7f800000
	v_cmp_nlt_f32_e64 s[0:1], s0, v8
	s_nop 1
	v_cndmask_b32_e64 v8, v13, v12, s[0:1]
	v_cvt_f16_f32_e32 v8, v8
	s_mov_b32 s0, 0xcc40
	v_mov_b32_e32 v12, 0xbc00
	v_cmp_ngt_f16_e64 s[0:1], s0, v6
	s_nop 1
	v_cndmask_b32_e64 v8, v12, v8, s[0:1]
.LBB157_29:
	s_or_b64 exec, exec, s[2:3]
	v_or_b32_e32 v6, 0x600, v0
	v_cmp_gt_i32_e64 s[0:1], s15, v6
                                        ; implicit-def: $vgpr6
	s_and_saveexec_b64 s[2:3], s[0:1]
	s_cbranch_execz .LBB157_31
; %bb.30:
	v_cvt_f32_f16_e32 v6, v3
	s_mov_b32 s0, 0xbf317218
	v_mov_b32_e32 v12, 0x3ab69700
	v_mul_f32_e32 v13, 0x3fb8aa3b, v6
	v_rndne_f32_e32 v13, v13
	v_fma_mix_f32 v14, v13, s0, v3 op_sel_hi:[0,0,1]
	v_fmamk_f32 v14, v13, 0x3102e308, v14
	v_fmac_f32_e32 v12, 0x395133b1, v14
	v_fmaak_f32 v12, v14, v12, 0x3c0887f9
	v_cvt_i32_f32_e32 v15, v13
	v_fmaak_f32 v12, v14, v12, 0x3d2aaa81
	v_fmaak_f32 v12, v14, v12, 0x3e2aaaab
	v_fma_f32 v12, v14, v12, 0.5
	v_mul_f32_e32 v12, v14, v12
	s_mov_b32 s0, 0x43000000
	v_fmac_f32_e32 v14, v14, v12
	v_ldexp_f32 v12, 1.0, v15
	v_mov_b32_e32 v15, 0x7f000000
	v_cmp_eq_f32_e64 s[0:1], s0, v13
	s_nop 1
	v_cndmask_b32_e64 v12, v12, v15, s[0:1]
	v_add_f32_e32 v13, -1.0, v12
	v_fmac_f32_e32 v13, v12, v14
	v_add_f32_e32 v12, v13, v13
	v_cndmask_b32_e64 v12, v13, v12, s[0:1]
	s_mov_b32 s0, 0x42b17217
	v_mov_b32_e32 v13, 0x7f800000
	v_cmp_nlt_f32_e64 s[0:1], s0, v6
	s_nop 1
	v_cndmask_b32_e64 v6, v13, v12, s[0:1]
	v_cvt_f16_f32_e32 v6, v6
	s_mov_b32 s0, 0xcc40
	v_mov_b32_e32 v12, 0xbc00
	v_cmp_ngt_f16_e64 s[0:1], s0, v3
	s_nop 1
	v_cndmask_b32_e64 v6, v12, v6, s[0:1]
.LBB157_31:
	s_or_b64 exec, exec, s[2:3]
	v_or_b32_e32 v3, 0x700, v0
	v_cmp_gt_i32_e64 s[0:1], s15, v3
                                        ; implicit-def: $vgpr12
	s_and_saveexec_b64 s[2:3], s[0:1]
	s_cbranch_execnz .LBB157_44
; %bb.32:
	s_or_b64 exec, exec, s[2:3]
	s_and_saveexec_b64 s[0:1], vcc
	s_xor_b64 s[0:1], exec, s[0:1]
	s_cbranch_execnz .LBB157_45
.LBB157_33:
	s_or_b64 exec, exec, s[0:1]
	v_cmp_gt_i32_e32 vcc, s15, v0
	s_and_saveexec_b64 s[0:1], vcc
	s_cbranch_execnz .LBB157_46
.LBB157_34:
	s_or_b64 exec, exec, s[0:1]
	v_cmp_gt_i32_e32 vcc, s15, v0
	s_and_saveexec_b64 s[0:1], vcc
	s_cbranch_execnz .LBB157_47
.LBB157_35:
	s_or_b64 exec, exec, s[0:1]
	v_cmp_gt_i32_e32 vcc, s15, v0
	s_and_saveexec_b64 s[0:1], vcc
	s_cbranch_execnz .LBB157_48
.LBB157_36:
	s_or_b64 exec, exec, s[0:1]
	v_cmp_gt_i32_e32 vcc, s15, v0
	s_and_saveexec_b64 s[0:1], vcc
	s_cbranch_execnz .LBB157_49
.LBB157_37:
	s_or_b64 exec, exec, s[0:1]
	v_cmp_gt_i32_e32 vcc, s15, v0
	s_and_saveexec_b64 s[0:1], vcc
	s_cbranch_execnz .LBB157_50
.LBB157_38:
	s_or_b64 exec, exec, s[0:1]
	v_cmp_gt_i32_e32 vcc, s15, v0
	s_and_saveexec_b64 s[0:1], vcc
	s_cbranch_execnz .LBB157_51
.LBB157_39:
	s_or_b64 exec, exec, s[0:1]
	v_cmp_gt_i32_e32 vcc, s15, v0
	s_and_saveexec_b64 s[0:1], vcc
	s_cbranch_execz .LBB157_41
.LBB157_40:
	v_add_u32_e32 v0, s6, v0
	v_mov_b32_e32 v1, 0
	v_lshl_add_u64 v[0:1], v[0:1], 1, s[8:9]
	global_store_short v[0:1], v12, off
.LBB157_41:
	s_endpgm
.LBB157_42:
	v_add_u32_e32 v12, s6, v4
	v_mov_b32_e32 v13, 0
	v_lshl_add_u64 v[12:13], v[12:13], 1, s[10:11]
	global_load_ushort v3, v[12:13], off
	v_add_u32_e32 v4, 0x100, v4
	s_or_b64 exec, exec, s[2:3]
	v_cmp_gt_i32_e64 s[0:1], s15, v4
	s_and_saveexec_b64 s[2:3], s[0:1]
	s_cbranch_execz .LBB157_17
.LBB157_43:
	v_add_u32_e32 v12, s6, v4
	v_mov_b32_e32 v13, 0
	v_lshl_add_u64 v[12:13], v[12:13], 1, s[10:11]
	global_load_ushort v1, v[12:13], off
	s_or_b64 exec, exec, s[2:3]
                                        ; implicit-def: $vgpr4
	s_and_saveexec_b64 s[2:3], vcc
	s_cbranch_execnz .LBB157_18
	s_branch .LBB157_19
.LBB157_44:
	v_cvt_f32_f16_e32 v3, v1
	s_mov_b32 s0, 0xbf317218
	v_mov_b32_e32 v12, 0x3ab69700
	v_mul_f32_e32 v13, 0x3fb8aa3b, v3
	v_rndne_f32_e32 v13, v13
	v_fma_mix_f32 v14, v13, s0, v1 op_sel_hi:[0,0,1]
	v_fmamk_f32 v14, v13, 0x3102e308, v14
	v_fmac_f32_e32 v12, 0x395133b1, v14
	v_fmaak_f32 v12, v14, v12, 0x3c0887f9
	v_cvt_i32_f32_e32 v15, v13
	v_fmaak_f32 v12, v14, v12, 0x3d2aaa81
	v_fmaak_f32 v12, v14, v12, 0x3e2aaaab
	v_fma_f32 v12, v14, v12, 0.5
	v_mul_f32_e32 v12, v14, v12
	s_mov_b32 s0, 0x43000000
	v_fmac_f32_e32 v14, v14, v12
	v_ldexp_f32 v12, 1.0, v15
	v_mov_b32_e32 v15, 0x7f000000
	v_cmp_eq_f32_e64 s[0:1], s0, v13
	s_nop 1
	v_cndmask_b32_e64 v12, v12, v15, s[0:1]
	v_add_f32_e32 v13, -1.0, v12
	v_fmac_f32_e32 v13, v12, v14
	v_add_f32_e32 v12, v13, v13
	v_cndmask_b32_e64 v12, v13, v12, s[0:1]
	s_mov_b32 s0, 0x42b17217
	v_mov_b32_e32 v13, 0x7f800000
	v_cmp_nlt_f32_e64 s[0:1], s0, v3
	s_nop 1
	v_cndmask_b32_e64 v3, v13, v12, s[0:1]
	v_cvt_f16_f32_e32 v3, v3
	s_mov_b32 s0, 0xcc40
	v_mov_b32_e32 v12, 0xbc00
	v_cmp_ngt_f16_e64 s[0:1], s0, v1
	s_nop 1
	v_cndmask_b32_e64 v12, v12, v3, s[0:1]
	s_or_b64 exec, exec, s[2:3]
	s_and_saveexec_b64 s[0:1], vcc
	s_xor_b64 s[0:1], exec, s[0:1]
	s_cbranch_execz .LBB157_33
.LBB157_45:
	v_mov_b32_e32 v3, 0
	v_lshl_add_u64 v[0:1], v[2:3], 1, s[8:9]
	global_store_short v[0:1], v4, off
	v_mov_b32_e32 v0, v5
	s_or_b64 exec, exec, s[0:1]
	v_cmp_gt_i32_e32 vcc, s15, v0
	s_and_saveexec_b64 s[0:1], vcc
	s_cbranch_execz .LBB157_34
.LBB157_46:
	v_add_u32_e32 v2, s6, v0
	v_mov_b32_e32 v3, 0
	v_lshl_add_u64 v[2:3], v[2:3], 1, s[8:9]
	v_add_u32_e32 v0, 0x100, v0
	global_store_short v[2:3], v7, off
	s_or_b64 exec, exec, s[0:1]
	v_cmp_gt_i32_e32 vcc, s15, v0
	s_and_saveexec_b64 s[0:1], vcc
	s_cbranch_execz .LBB157_35
.LBB157_47:
	v_add_u32_e32 v2, s6, v0
	v_mov_b32_e32 v3, 0
	v_lshl_add_u64 v[2:3], v[2:3], 1, s[8:9]
	v_add_u32_e32 v0, 0x100, v0
	global_store_short v[2:3], v9, off
	s_or_b64 exec, exec, s[0:1]
	v_cmp_gt_i32_e32 vcc, s15, v0
	s_and_saveexec_b64 s[0:1], vcc
	s_cbranch_execz .LBB157_36
.LBB157_48:
	v_add_u32_e32 v2, s6, v0
	v_mov_b32_e32 v3, 0
	v_lshl_add_u64 v[2:3], v[2:3], 1, s[8:9]
	v_add_u32_e32 v0, 0x100, v0
	global_store_short v[2:3], v11, off
	s_or_b64 exec, exec, s[0:1]
	v_cmp_gt_i32_e32 vcc, s15, v0
	s_and_saveexec_b64 s[0:1], vcc
	s_cbranch_execz .LBB157_37
.LBB157_49:
	v_add_u32_e32 v2, s6, v0
	v_mov_b32_e32 v3, 0
	v_lshl_add_u64 v[2:3], v[2:3], 1, s[8:9]
	v_add_u32_e32 v0, 0x100, v0
	global_store_short v[2:3], v10, off
	s_or_b64 exec, exec, s[0:1]
	v_cmp_gt_i32_e32 vcc, s15, v0
	s_and_saveexec_b64 s[0:1], vcc
	s_cbranch_execz .LBB157_38
.LBB157_50:
	v_add_u32_e32 v2, s6, v0
	v_mov_b32_e32 v3, 0
	v_lshl_add_u64 v[2:3], v[2:3], 1, s[8:9]
	v_add_u32_e32 v0, 0x100, v0
	global_store_short v[2:3], v8, off
	s_or_b64 exec, exec, s[0:1]
	v_cmp_gt_i32_e32 vcc, s15, v0
	s_and_saveexec_b64 s[0:1], vcc
	s_cbranch_execz .LBB157_39
.LBB157_51:
	v_add_u32_e32 v2, s6, v0
	v_mov_b32_e32 v3, 0
	v_lshl_add_u64 v[2:3], v[2:3], 1, s[8:9]
	v_add_u32_e32 v0, 0x100, v0
	global_store_short v[2:3], v6, off
	s_or_b64 exec, exec, s[0:1]
	v_cmp_gt_i32_e32 vcc, s15, v0
	s_and_saveexec_b64 s[0:1], vcc
	s_cbranch_execnz .LBB157_40
	s_branch .LBB157_41
	.section	.rodata,"a",@progbits
	.p2align	6, 0x0
	.amdhsa_kernel _ZN2at6native29vectorized_elementwise_kernelILi2EZZZNS0_17expm1_kernel_cudaERNS_18TensorIteratorBaseEENKUlvE_clEvENKUlvE4_clEvEUlN3c104HalfEE_St5arrayIPcLm2EEEEviT0_T1_
		.amdhsa_group_segment_fixed_size 0
		.amdhsa_private_segment_fixed_size 0
		.amdhsa_kernarg_size 24
		.amdhsa_user_sgpr_count 2
		.amdhsa_user_sgpr_dispatch_ptr 0
		.amdhsa_user_sgpr_queue_ptr 0
		.amdhsa_user_sgpr_kernarg_segment_ptr 1
		.amdhsa_user_sgpr_dispatch_id 0
		.amdhsa_user_sgpr_kernarg_preload_length 0
		.amdhsa_user_sgpr_kernarg_preload_offset 0
		.amdhsa_user_sgpr_private_segment_size 0
		.amdhsa_uses_dynamic_stack 0
		.amdhsa_enable_private_segment 0
		.amdhsa_system_sgpr_workgroup_id_x 1
		.amdhsa_system_sgpr_workgroup_id_y 0
		.amdhsa_system_sgpr_workgroup_id_z 0
		.amdhsa_system_sgpr_workgroup_info 0
		.amdhsa_system_vgpr_workitem_id 0
		.amdhsa_next_free_vgpr 34
		.amdhsa_next_free_sgpr 26
		.amdhsa_accum_offset 36
		.amdhsa_reserve_vcc 1
		.amdhsa_float_round_mode_32 0
		.amdhsa_float_round_mode_16_64 0
		.amdhsa_float_denorm_mode_32 3
		.amdhsa_float_denorm_mode_16_64 3
		.amdhsa_dx10_clamp 1
		.amdhsa_ieee_mode 1
		.amdhsa_fp16_overflow 0
		.amdhsa_tg_split 0
		.amdhsa_exception_fp_ieee_invalid_op 0
		.amdhsa_exception_fp_denorm_src 0
		.amdhsa_exception_fp_ieee_div_zero 0
		.amdhsa_exception_fp_ieee_overflow 0
		.amdhsa_exception_fp_ieee_underflow 0
		.amdhsa_exception_fp_ieee_inexact 0
		.amdhsa_exception_int_div_zero 0
	.end_amdhsa_kernel
	.section	.text._ZN2at6native29vectorized_elementwise_kernelILi2EZZZNS0_17expm1_kernel_cudaERNS_18TensorIteratorBaseEENKUlvE_clEvENKUlvE4_clEvEUlN3c104HalfEE_St5arrayIPcLm2EEEEviT0_T1_,"axG",@progbits,_ZN2at6native29vectorized_elementwise_kernelILi2EZZZNS0_17expm1_kernel_cudaERNS_18TensorIteratorBaseEENKUlvE_clEvENKUlvE4_clEvEUlN3c104HalfEE_St5arrayIPcLm2EEEEviT0_T1_,comdat
.Lfunc_end157:
	.size	_ZN2at6native29vectorized_elementwise_kernelILi2EZZZNS0_17expm1_kernel_cudaERNS_18TensorIteratorBaseEENKUlvE_clEvENKUlvE4_clEvEUlN3c104HalfEE_St5arrayIPcLm2EEEEviT0_T1_, .Lfunc_end157-_ZN2at6native29vectorized_elementwise_kernelILi2EZZZNS0_17expm1_kernel_cudaERNS_18TensorIteratorBaseEENKUlvE_clEvENKUlvE4_clEvEUlN3c104HalfEE_St5arrayIPcLm2EEEEviT0_T1_
                                        ; -- End function
	.set _ZN2at6native29vectorized_elementwise_kernelILi2EZZZNS0_17expm1_kernel_cudaERNS_18TensorIteratorBaseEENKUlvE_clEvENKUlvE4_clEvEUlN3c104HalfEE_St5arrayIPcLm2EEEEviT0_T1_.num_vgpr, 34
	.set _ZN2at6native29vectorized_elementwise_kernelILi2EZZZNS0_17expm1_kernel_cudaERNS_18TensorIteratorBaseEENKUlvE_clEvENKUlvE4_clEvEUlN3c104HalfEE_St5arrayIPcLm2EEEEviT0_T1_.num_agpr, 0
	.set _ZN2at6native29vectorized_elementwise_kernelILi2EZZZNS0_17expm1_kernel_cudaERNS_18TensorIteratorBaseEENKUlvE_clEvENKUlvE4_clEvEUlN3c104HalfEE_St5arrayIPcLm2EEEEviT0_T1_.numbered_sgpr, 26
	.set _ZN2at6native29vectorized_elementwise_kernelILi2EZZZNS0_17expm1_kernel_cudaERNS_18TensorIteratorBaseEENKUlvE_clEvENKUlvE4_clEvEUlN3c104HalfEE_St5arrayIPcLm2EEEEviT0_T1_.num_named_barrier, 0
	.set _ZN2at6native29vectorized_elementwise_kernelILi2EZZZNS0_17expm1_kernel_cudaERNS_18TensorIteratorBaseEENKUlvE_clEvENKUlvE4_clEvEUlN3c104HalfEE_St5arrayIPcLm2EEEEviT0_T1_.private_seg_size, 0
	.set _ZN2at6native29vectorized_elementwise_kernelILi2EZZZNS0_17expm1_kernel_cudaERNS_18TensorIteratorBaseEENKUlvE_clEvENKUlvE4_clEvEUlN3c104HalfEE_St5arrayIPcLm2EEEEviT0_T1_.uses_vcc, 1
	.set _ZN2at6native29vectorized_elementwise_kernelILi2EZZZNS0_17expm1_kernel_cudaERNS_18TensorIteratorBaseEENKUlvE_clEvENKUlvE4_clEvEUlN3c104HalfEE_St5arrayIPcLm2EEEEviT0_T1_.uses_flat_scratch, 0
	.set _ZN2at6native29vectorized_elementwise_kernelILi2EZZZNS0_17expm1_kernel_cudaERNS_18TensorIteratorBaseEENKUlvE_clEvENKUlvE4_clEvEUlN3c104HalfEE_St5arrayIPcLm2EEEEviT0_T1_.has_dyn_sized_stack, 0
	.set _ZN2at6native29vectorized_elementwise_kernelILi2EZZZNS0_17expm1_kernel_cudaERNS_18TensorIteratorBaseEENKUlvE_clEvENKUlvE4_clEvEUlN3c104HalfEE_St5arrayIPcLm2EEEEviT0_T1_.has_recursion, 0
	.set _ZN2at6native29vectorized_elementwise_kernelILi2EZZZNS0_17expm1_kernel_cudaERNS_18TensorIteratorBaseEENKUlvE_clEvENKUlvE4_clEvEUlN3c104HalfEE_St5arrayIPcLm2EEEEviT0_T1_.has_indirect_call, 0
	.section	.AMDGPU.csdata,"",@progbits
; Kernel info:
; codeLenInByte = 4480
; TotalNumSgprs: 32
; NumVgprs: 34
; NumAgprs: 0
; TotalNumVgprs: 34
; ScratchSize: 0
; MemoryBound: 0
; FloatMode: 240
; IeeeMode: 1
; LDSByteSize: 0 bytes/workgroup (compile time only)
; SGPRBlocks: 3
; VGPRBlocks: 4
; NumSGPRsForWavesPerEU: 32
; NumVGPRsForWavesPerEU: 34
; AccumOffset: 36
; Occupancy: 8
; WaveLimiterHint : 1
; COMPUTE_PGM_RSRC2:SCRATCH_EN: 0
; COMPUTE_PGM_RSRC2:USER_SGPR: 2
; COMPUTE_PGM_RSRC2:TRAP_HANDLER: 0
; COMPUTE_PGM_RSRC2:TGID_X_EN: 1
; COMPUTE_PGM_RSRC2:TGID_Y_EN: 0
; COMPUTE_PGM_RSRC2:TGID_Z_EN: 0
; COMPUTE_PGM_RSRC2:TIDIG_COMP_CNT: 0
; COMPUTE_PGM_RSRC3_GFX90A:ACCUM_OFFSET: 8
; COMPUTE_PGM_RSRC3_GFX90A:TG_SPLIT: 0
	.section	.text._ZN2at6native27unrolled_elementwise_kernelIZZZNS0_17expm1_kernel_cudaERNS_18TensorIteratorBaseEENKUlvE_clEvENKUlvE4_clEvEUlN3c104HalfEE_St5arrayIPcLm2EELi4E23TrivialOffsetCalculatorILi1EjESD_NS0_6memory15LoadWithoutCastENSE_16StoreWithoutCastEEEviT_T0_T2_T3_T4_T5_,"axG",@progbits,_ZN2at6native27unrolled_elementwise_kernelIZZZNS0_17expm1_kernel_cudaERNS_18TensorIteratorBaseEENKUlvE_clEvENKUlvE4_clEvEUlN3c104HalfEE_St5arrayIPcLm2EELi4E23TrivialOffsetCalculatorILi1EjESD_NS0_6memory15LoadWithoutCastENSE_16StoreWithoutCastEEEviT_T0_T2_T3_T4_T5_,comdat
	.globl	_ZN2at6native27unrolled_elementwise_kernelIZZZNS0_17expm1_kernel_cudaERNS_18TensorIteratorBaseEENKUlvE_clEvENKUlvE4_clEvEUlN3c104HalfEE_St5arrayIPcLm2EELi4E23TrivialOffsetCalculatorILi1EjESD_NS0_6memory15LoadWithoutCastENSE_16StoreWithoutCastEEEviT_T0_T2_T3_T4_T5_ ; -- Begin function _ZN2at6native27unrolled_elementwise_kernelIZZZNS0_17expm1_kernel_cudaERNS_18TensorIteratorBaseEENKUlvE_clEvENKUlvE4_clEvEUlN3c104HalfEE_St5arrayIPcLm2EELi4E23TrivialOffsetCalculatorILi1EjESD_NS0_6memory15LoadWithoutCastENSE_16StoreWithoutCastEEEviT_T0_T2_T3_T4_T5_
	.p2align	8
	.type	_ZN2at6native27unrolled_elementwise_kernelIZZZNS0_17expm1_kernel_cudaERNS_18TensorIteratorBaseEENKUlvE_clEvENKUlvE4_clEvEUlN3c104HalfEE_St5arrayIPcLm2EELi4E23TrivialOffsetCalculatorILi1EjESD_NS0_6memory15LoadWithoutCastENSE_16StoreWithoutCastEEEviT_T0_T2_T3_T4_T5_,@function
_ZN2at6native27unrolled_elementwise_kernelIZZZNS0_17expm1_kernel_cudaERNS_18TensorIteratorBaseEENKUlvE_clEvENKUlvE4_clEvEUlN3c104HalfEE_St5arrayIPcLm2EELi4E23TrivialOffsetCalculatorILi1EjESD_NS0_6memory15LoadWithoutCastENSE_16StoreWithoutCastEEEviT_T0_T2_T3_T4_T5_: ; @_ZN2at6native27unrolled_elementwise_kernelIZZZNS0_17expm1_kernel_cudaERNS_18TensorIteratorBaseEENKUlvE_clEvENKUlvE4_clEvEUlN3c104HalfEE_St5arrayIPcLm2EELi4E23TrivialOffsetCalculatorILi1EjESD_NS0_6memory15LoadWithoutCastENSE_16StoreWithoutCastEEEviT_T0_T2_T3_T4_T5_
; %bb.0:
	s_load_dword s3, s[0:1], 0x0
	s_load_dwordx4 s[4:7], s[0:1], 0x8
	s_lshl_b32 s8, s2, 10
	v_mov_b32_e32 v6, 0
	v_or_b32_e32 v2, s8, v0
	s_waitcnt lgkmcnt(0)
	s_sub_i32 s9, s3, s8
	v_cmp_gt_i32_e32 vcc, s9, v0
	v_mov_b32_e32 v5, 0
	v_mov_b32_e32 v4, v0
	s_and_saveexec_b64 s[0:1], vcc
	s_cbranch_execz .LBB158_2
; %bb.1:
	v_mov_b32_e32 v3, 0
	v_lshl_add_u64 v[4:5], v[2:3], 1, s[6:7]
	global_load_ushort v5, v[4:5], off
	v_or_b32_e32 v4, 0x100, v0
.LBB158_2:
	s_or_b64 exec, exec, s[0:1]
	v_cmp_gt_i32_e64 s[0:1], s9, v4
	s_and_saveexec_b64 s[2:3], s[0:1]
	s_cbranch_execz .LBB158_4
; %bb.3:
	v_add_u32_e32 v6, s8, v4
	v_mov_b32_e32 v7, 0
	v_lshl_add_u64 v[6:7], v[6:7], 1, s[6:7]
	global_load_ushort v6, v[6:7], off
	v_add_u32_e32 v4, 0x100, v4
.LBB158_4:
	s_or_b64 exec, exec, s[2:3]
	v_cmp_gt_i32_e64 s[0:1], s9, v4
	v_mov_b32_e32 v1, 0
	v_mov_b32_e32 v3, 0
	s_and_saveexec_b64 s[2:3], s[0:1]
	s_cbranch_execnz .LBB158_18
; %bb.5:
	s_or_b64 exec, exec, s[2:3]
	v_cmp_gt_i32_e64 s[0:1], s9, v4
	s_and_saveexec_b64 s[2:3], s[0:1]
	s_cbranch_execnz .LBB158_19
.LBB158_6:
	s_or_b64 exec, exec, s[2:3]
                                        ; implicit-def: $vgpr4
	s_and_saveexec_b64 s[2:3], vcc
	s_cbranch_execz .LBB158_8
.LBB158_7:
	s_waitcnt vmcnt(0)
	v_cvt_f32_f16_e32 v4, v5
	s_mov_b32 s0, 0xbf317218
	v_mov_b32_e32 v7, 0x3ab69700
	v_mul_f32_e32 v8, 0x3fb8aa3b, v4
	v_rndne_f32_e32 v8, v8
	v_fma_mix_f32 v9, v8, s0, v5 op_sel_hi:[0,0,1]
	v_fmamk_f32 v9, v8, 0x3102e308, v9
	v_fmac_f32_e32 v7, 0x395133b1, v9
	v_fmaak_f32 v7, v9, v7, 0x3c0887f9
	v_cvt_i32_f32_e32 v10, v8
	v_fmaak_f32 v7, v9, v7, 0x3d2aaa81
	v_fmaak_f32 v7, v9, v7, 0x3e2aaaab
	v_fma_f32 v7, v9, v7, 0.5
	v_mul_f32_e32 v7, v9, v7
	s_mov_b32 s0, 0x43000000
	v_fmac_f32_e32 v9, v9, v7
	v_ldexp_f32 v7, 1.0, v10
	v_mov_b32_e32 v10, 0x7f000000
	v_cmp_eq_f32_e64 s[0:1], s0, v8
	s_nop 1
	v_cndmask_b32_e64 v7, v7, v10, s[0:1]
	v_add_f32_e32 v8, -1.0, v7
	v_fmac_f32_e32 v8, v7, v9
	v_add_f32_e32 v7, v8, v8
	v_cndmask_b32_e64 v7, v8, v7, s[0:1]
	s_mov_b32 s0, 0x42b17217
	v_mov_b32_e32 v8, 0x7f800000
	v_cmp_nlt_f32_e64 s[0:1], s0, v4
	s_nop 1
	v_cndmask_b32_e64 v4, v8, v7, s[0:1]
	v_cvt_f16_f32_e32 v4, v4
	s_mov_b32 s0, 0xcc40
	v_mov_b32_e32 v7, 0xbc00
	v_cmp_ngt_f16_e64 s[0:1], s0, v5
	s_nop 1
	v_cndmask_b32_e64 v4, v7, v4, s[0:1]
.LBB158_8:
	s_or_b64 exec, exec, s[2:3]
	s_waitcnt vmcnt(0)
	v_or_b32_e32 v5, 0x100, v0
	v_cmp_gt_i32_e64 s[0:1], s9, v5
                                        ; implicit-def: $vgpr7
	s_and_saveexec_b64 s[2:3], s[0:1]
	s_cbranch_execz .LBB158_10
; %bb.9:
	v_cvt_f32_f16_e32 v7, v6
	s_mov_b32 s0, 0xbf317218
	v_mov_b32_e32 v8, 0x3ab69700
	v_mul_f32_e32 v9, 0x3fb8aa3b, v7
	v_rndne_f32_e32 v9, v9
	v_fma_mix_f32 v10, v9, s0, v6 op_sel_hi:[0,0,1]
	v_fmamk_f32 v10, v9, 0x3102e308, v10
	v_fmac_f32_e32 v8, 0x395133b1, v10
	v_fmaak_f32 v8, v10, v8, 0x3c0887f9
	v_cvt_i32_f32_e32 v11, v9
	v_fmaak_f32 v8, v10, v8, 0x3d2aaa81
	v_fmaak_f32 v8, v10, v8, 0x3e2aaaab
	v_fma_f32 v8, v10, v8, 0.5
	v_mul_f32_e32 v8, v10, v8
	s_mov_b32 s0, 0x43000000
	v_fmac_f32_e32 v10, v10, v8
	v_ldexp_f32 v8, 1.0, v11
	v_mov_b32_e32 v11, 0x7f000000
	v_cmp_eq_f32_e64 s[0:1], s0, v9
	s_nop 1
	v_cndmask_b32_e64 v8, v8, v11, s[0:1]
	v_add_f32_e32 v9, -1.0, v8
	v_fmac_f32_e32 v9, v8, v10
	v_add_f32_e32 v8, v9, v9
	v_cndmask_b32_e64 v8, v9, v8, s[0:1]
	s_mov_b32 s0, 0x42b17217
	v_mov_b32_e32 v9, 0x7f800000
	v_cmp_nlt_f32_e64 s[0:1], s0, v7
	s_nop 1
	v_cndmask_b32_e64 v7, v9, v8, s[0:1]
	v_cvt_f16_f32_e32 v7, v7
	s_mov_b32 s0, 0xcc40
	v_mov_b32_e32 v8, 0xbc00
	v_cmp_ngt_f16_e64 s[0:1], s0, v6
	s_nop 1
	v_cndmask_b32_e64 v7, v8, v7, s[0:1]
.LBB158_10:
	s_or_b64 exec, exec, s[2:3]
	v_or_b32_e32 v6, 0x200, v0
	v_cmp_gt_i32_e64 s[0:1], s9, v6
                                        ; implicit-def: $vgpr6
	s_and_saveexec_b64 s[2:3], s[0:1]
	s_cbranch_execz .LBB158_12
; %bb.11:
	v_cvt_f32_f16_e32 v6, v3
	s_mov_b32 s0, 0xbf317218
	v_mov_b32_e32 v8, 0x3ab69700
	v_mul_f32_e32 v9, 0x3fb8aa3b, v6
	v_rndne_f32_e32 v9, v9
	v_fma_mix_f32 v10, v9, s0, v3 op_sel_hi:[0,0,1]
	v_fmamk_f32 v10, v9, 0x3102e308, v10
	v_fmac_f32_e32 v8, 0x395133b1, v10
	v_fmaak_f32 v8, v10, v8, 0x3c0887f9
	v_cvt_i32_f32_e32 v11, v9
	v_fmaak_f32 v8, v10, v8, 0x3d2aaa81
	v_fmaak_f32 v8, v10, v8, 0x3e2aaaab
	v_fma_f32 v8, v10, v8, 0.5
	v_mul_f32_e32 v8, v10, v8
	s_mov_b32 s0, 0x43000000
	v_fmac_f32_e32 v10, v10, v8
	v_ldexp_f32 v8, 1.0, v11
	v_mov_b32_e32 v11, 0x7f000000
	v_cmp_eq_f32_e64 s[0:1], s0, v9
	s_nop 1
	v_cndmask_b32_e64 v8, v8, v11, s[0:1]
	v_add_f32_e32 v9, -1.0, v8
	v_fmac_f32_e32 v9, v8, v10
	v_add_f32_e32 v8, v9, v9
	v_cndmask_b32_e64 v8, v9, v8, s[0:1]
	s_mov_b32 s0, 0x42b17217
	v_mov_b32_e32 v9, 0x7f800000
	v_cmp_nlt_f32_e64 s[0:1], s0, v6
	s_nop 1
	v_cndmask_b32_e64 v6, v9, v8, s[0:1]
	v_cvt_f16_f32_e32 v6, v6
	s_mov_b32 s0, 0xcc40
	v_mov_b32_e32 v8, 0xbc00
	v_cmp_ngt_f16_e64 s[0:1], s0, v3
	s_nop 1
	v_cndmask_b32_e64 v6, v8, v6, s[0:1]
.LBB158_12:
	s_or_b64 exec, exec, s[2:3]
	v_or_b32_e32 v3, 0x300, v0
	v_cmp_gt_i32_e64 s[0:1], s9, v3
                                        ; implicit-def: $vgpr8
	s_and_saveexec_b64 s[2:3], s[0:1]
	s_cbranch_execnz .LBB158_20
; %bb.13:
	s_or_b64 exec, exec, s[2:3]
	s_and_saveexec_b64 s[0:1], vcc
	s_xor_b64 s[0:1], exec, s[0:1]
	s_cbranch_execnz .LBB158_21
.LBB158_14:
	s_or_b64 exec, exec, s[0:1]
	v_cmp_gt_i32_e32 vcc, s9, v0
	s_and_saveexec_b64 s[0:1], vcc
	s_cbranch_execnz .LBB158_22
.LBB158_15:
	s_or_b64 exec, exec, s[0:1]
	v_cmp_gt_i32_e32 vcc, s9, v0
	s_and_saveexec_b64 s[0:1], vcc
	s_cbranch_execnz .LBB158_23
.LBB158_16:
	s_or_b64 exec, exec, s[0:1]
	v_cmp_gt_i32_e32 vcc, s9, v0
	s_and_saveexec_b64 s[0:1], vcc
	s_cbranch_execnz .LBB158_24
.LBB158_17:
	s_endpgm
.LBB158_18:
	v_add_u32_e32 v8, s8, v4
	v_mov_b32_e32 v9, 0
	v_lshl_add_u64 v[8:9], v[8:9], 1, s[6:7]
	global_load_ushort v3, v[8:9], off
	v_add_u32_e32 v4, 0x100, v4
	s_or_b64 exec, exec, s[2:3]
	v_cmp_gt_i32_e64 s[0:1], s9, v4
	s_and_saveexec_b64 s[2:3], s[0:1]
	s_cbranch_execz .LBB158_6
.LBB158_19:
	v_add_u32_e32 v8, s8, v4
	v_mov_b32_e32 v9, 0
	v_lshl_add_u64 v[8:9], v[8:9], 1, s[6:7]
	global_load_ushort v1, v[8:9], off
	s_or_b64 exec, exec, s[2:3]
                                        ; implicit-def: $vgpr4
	s_and_saveexec_b64 s[2:3], vcc
	s_cbranch_execnz .LBB158_7
	s_branch .LBB158_8
.LBB158_20:
	v_cvt_f32_f16_e32 v3, v1
	s_mov_b32 s0, 0xbf317218
	v_mov_b32_e32 v8, 0x3ab69700
	v_mul_f32_e32 v9, 0x3fb8aa3b, v3
	v_rndne_f32_e32 v9, v9
	v_fma_mix_f32 v10, v9, s0, v1 op_sel_hi:[0,0,1]
	v_fmamk_f32 v10, v9, 0x3102e308, v10
	v_fmac_f32_e32 v8, 0x395133b1, v10
	v_fmaak_f32 v8, v10, v8, 0x3c0887f9
	v_cvt_i32_f32_e32 v11, v9
	v_fmaak_f32 v8, v10, v8, 0x3d2aaa81
	v_fmaak_f32 v8, v10, v8, 0x3e2aaaab
	v_fma_f32 v8, v10, v8, 0.5
	v_mul_f32_e32 v8, v10, v8
	s_mov_b32 s0, 0x43000000
	v_fmac_f32_e32 v10, v10, v8
	v_ldexp_f32 v8, 1.0, v11
	v_mov_b32_e32 v11, 0x7f000000
	v_cmp_eq_f32_e64 s[0:1], s0, v9
	s_nop 1
	v_cndmask_b32_e64 v8, v8, v11, s[0:1]
	v_add_f32_e32 v9, -1.0, v8
	v_fmac_f32_e32 v9, v8, v10
	v_add_f32_e32 v8, v9, v9
	v_cndmask_b32_e64 v8, v9, v8, s[0:1]
	s_mov_b32 s0, 0x42b17217
	v_mov_b32_e32 v9, 0x7f800000
	v_cmp_nlt_f32_e64 s[0:1], s0, v3
	s_nop 1
	v_cndmask_b32_e64 v3, v9, v8, s[0:1]
	v_cvt_f16_f32_e32 v3, v3
	s_mov_b32 s0, 0xcc40
	v_mov_b32_e32 v8, 0xbc00
	v_cmp_ngt_f16_e64 s[0:1], s0, v1
	s_nop 1
	v_cndmask_b32_e64 v8, v8, v3, s[0:1]
	s_or_b64 exec, exec, s[2:3]
	s_and_saveexec_b64 s[0:1], vcc
	s_xor_b64 s[0:1], exec, s[0:1]
	s_cbranch_execz .LBB158_14
.LBB158_21:
	v_mov_b32_e32 v3, 0
	v_lshl_add_u64 v[0:1], v[2:3], 1, s[4:5]
	global_store_short v[0:1], v4, off
	v_mov_b32_e32 v0, v5
	s_or_b64 exec, exec, s[0:1]
	v_cmp_gt_i32_e32 vcc, s9, v0
	s_and_saveexec_b64 s[0:1], vcc
	s_cbranch_execz .LBB158_15
.LBB158_22:
	v_add_u32_e32 v2, 0x100, v0
	v_add_u32_e32 v0, s8, v0
	v_mov_b32_e32 v1, 0
	v_lshl_add_u64 v[0:1], v[0:1], 1, s[4:5]
	global_store_short v[0:1], v7, off
	v_mov_b32_e32 v0, v2
	s_or_b64 exec, exec, s[0:1]
	v_cmp_gt_i32_e32 vcc, s9, v0
	s_and_saveexec_b64 s[0:1], vcc
	s_cbranch_execz .LBB158_16
.LBB158_23:
	v_add_u32_e32 v2, 0x100, v0
	v_add_u32_e32 v0, s8, v0
	v_mov_b32_e32 v1, 0
	v_lshl_add_u64 v[0:1], v[0:1], 1, s[4:5]
	global_store_short v[0:1], v6, off
	v_mov_b32_e32 v0, v2
	s_or_b64 exec, exec, s[0:1]
	v_cmp_gt_i32_e32 vcc, s9, v0
	s_and_saveexec_b64 s[0:1], vcc
	s_cbranch_execz .LBB158_17
.LBB158_24:
	v_add_u32_e32 v0, s8, v0
	v_mov_b32_e32 v1, 0
	v_lshl_add_u64 v[0:1], v[0:1], 1, s[4:5]
	global_store_short v[0:1], v8, off
	s_endpgm
	.section	.rodata,"a",@progbits
	.p2align	6, 0x0
	.amdhsa_kernel _ZN2at6native27unrolled_elementwise_kernelIZZZNS0_17expm1_kernel_cudaERNS_18TensorIteratorBaseEENKUlvE_clEvENKUlvE4_clEvEUlN3c104HalfEE_St5arrayIPcLm2EELi4E23TrivialOffsetCalculatorILi1EjESD_NS0_6memory15LoadWithoutCastENSE_16StoreWithoutCastEEEviT_T0_T2_T3_T4_T5_
		.amdhsa_group_segment_fixed_size 0
		.amdhsa_private_segment_fixed_size 0
		.amdhsa_kernarg_size 28
		.amdhsa_user_sgpr_count 2
		.amdhsa_user_sgpr_dispatch_ptr 0
		.amdhsa_user_sgpr_queue_ptr 0
		.amdhsa_user_sgpr_kernarg_segment_ptr 1
		.amdhsa_user_sgpr_dispatch_id 0
		.amdhsa_user_sgpr_kernarg_preload_length 0
		.amdhsa_user_sgpr_kernarg_preload_offset 0
		.amdhsa_user_sgpr_private_segment_size 0
		.amdhsa_uses_dynamic_stack 0
		.amdhsa_enable_private_segment 0
		.amdhsa_system_sgpr_workgroup_id_x 1
		.amdhsa_system_sgpr_workgroup_id_y 0
		.amdhsa_system_sgpr_workgroup_id_z 0
		.amdhsa_system_sgpr_workgroup_info 0
		.amdhsa_system_vgpr_workitem_id 0
		.amdhsa_next_free_vgpr 12
		.amdhsa_next_free_sgpr 10
		.amdhsa_accum_offset 12
		.amdhsa_reserve_vcc 1
		.amdhsa_float_round_mode_32 0
		.amdhsa_float_round_mode_16_64 0
		.amdhsa_float_denorm_mode_32 3
		.amdhsa_float_denorm_mode_16_64 3
		.amdhsa_dx10_clamp 1
		.amdhsa_ieee_mode 1
		.amdhsa_fp16_overflow 0
		.amdhsa_tg_split 0
		.amdhsa_exception_fp_ieee_invalid_op 0
		.amdhsa_exception_fp_denorm_src 0
		.amdhsa_exception_fp_ieee_div_zero 0
		.amdhsa_exception_fp_ieee_overflow 0
		.amdhsa_exception_fp_ieee_underflow 0
		.amdhsa_exception_fp_ieee_inexact 0
		.amdhsa_exception_int_div_zero 0
	.end_amdhsa_kernel
	.section	.text._ZN2at6native27unrolled_elementwise_kernelIZZZNS0_17expm1_kernel_cudaERNS_18TensorIteratorBaseEENKUlvE_clEvENKUlvE4_clEvEUlN3c104HalfEE_St5arrayIPcLm2EELi4E23TrivialOffsetCalculatorILi1EjESD_NS0_6memory15LoadWithoutCastENSE_16StoreWithoutCastEEEviT_T0_T2_T3_T4_T5_,"axG",@progbits,_ZN2at6native27unrolled_elementwise_kernelIZZZNS0_17expm1_kernel_cudaERNS_18TensorIteratorBaseEENKUlvE_clEvENKUlvE4_clEvEUlN3c104HalfEE_St5arrayIPcLm2EELi4E23TrivialOffsetCalculatorILi1EjESD_NS0_6memory15LoadWithoutCastENSE_16StoreWithoutCastEEEviT_T0_T2_T3_T4_T5_,comdat
.Lfunc_end158:
	.size	_ZN2at6native27unrolled_elementwise_kernelIZZZNS0_17expm1_kernel_cudaERNS_18TensorIteratorBaseEENKUlvE_clEvENKUlvE4_clEvEUlN3c104HalfEE_St5arrayIPcLm2EELi4E23TrivialOffsetCalculatorILi1EjESD_NS0_6memory15LoadWithoutCastENSE_16StoreWithoutCastEEEviT_T0_T2_T3_T4_T5_, .Lfunc_end158-_ZN2at6native27unrolled_elementwise_kernelIZZZNS0_17expm1_kernel_cudaERNS_18TensorIteratorBaseEENKUlvE_clEvENKUlvE4_clEvEUlN3c104HalfEE_St5arrayIPcLm2EELi4E23TrivialOffsetCalculatorILi1EjESD_NS0_6memory15LoadWithoutCastENSE_16StoreWithoutCastEEEviT_T0_T2_T3_T4_T5_
                                        ; -- End function
	.set _ZN2at6native27unrolled_elementwise_kernelIZZZNS0_17expm1_kernel_cudaERNS_18TensorIteratorBaseEENKUlvE_clEvENKUlvE4_clEvEUlN3c104HalfEE_St5arrayIPcLm2EELi4E23TrivialOffsetCalculatorILi1EjESD_NS0_6memory15LoadWithoutCastENSE_16StoreWithoutCastEEEviT_T0_T2_T3_T4_T5_.num_vgpr, 12
	.set _ZN2at6native27unrolled_elementwise_kernelIZZZNS0_17expm1_kernel_cudaERNS_18TensorIteratorBaseEENKUlvE_clEvENKUlvE4_clEvEUlN3c104HalfEE_St5arrayIPcLm2EELi4E23TrivialOffsetCalculatorILi1EjESD_NS0_6memory15LoadWithoutCastENSE_16StoreWithoutCastEEEviT_T0_T2_T3_T4_T5_.num_agpr, 0
	.set _ZN2at6native27unrolled_elementwise_kernelIZZZNS0_17expm1_kernel_cudaERNS_18TensorIteratorBaseEENKUlvE_clEvENKUlvE4_clEvEUlN3c104HalfEE_St5arrayIPcLm2EELi4E23TrivialOffsetCalculatorILi1EjESD_NS0_6memory15LoadWithoutCastENSE_16StoreWithoutCastEEEviT_T0_T2_T3_T4_T5_.numbered_sgpr, 10
	.set _ZN2at6native27unrolled_elementwise_kernelIZZZNS0_17expm1_kernel_cudaERNS_18TensorIteratorBaseEENKUlvE_clEvENKUlvE4_clEvEUlN3c104HalfEE_St5arrayIPcLm2EELi4E23TrivialOffsetCalculatorILi1EjESD_NS0_6memory15LoadWithoutCastENSE_16StoreWithoutCastEEEviT_T0_T2_T3_T4_T5_.num_named_barrier, 0
	.set _ZN2at6native27unrolled_elementwise_kernelIZZZNS0_17expm1_kernel_cudaERNS_18TensorIteratorBaseEENKUlvE_clEvENKUlvE4_clEvEUlN3c104HalfEE_St5arrayIPcLm2EELi4E23TrivialOffsetCalculatorILi1EjESD_NS0_6memory15LoadWithoutCastENSE_16StoreWithoutCastEEEviT_T0_T2_T3_T4_T5_.private_seg_size, 0
	.set _ZN2at6native27unrolled_elementwise_kernelIZZZNS0_17expm1_kernel_cudaERNS_18TensorIteratorBaseEENKUlvE_clEvENKUlvE4_clEvEUlN3c104HalfEE_St5arrayIPcLm2EELi4E23TrivialOffsetCalculatorILi1EjESD_NS0_6memory15LoadWithoutCastENSE_16StoreWithoutCastEEEviT_T0_T2_T3_T4_T5_.uses_vcc, 1
	.set _ZN2at6native27unrolled_elementwise_kernelIZZZNS0_17expm1_kernel_cudaERNS_18TensorIteratorBaseEENKUlvE_clEvENKUlvE4_clEvEUlN3c104HalfEE_St5arrayIPcLm2EELi4E23TrivialOffsetCalculatorILi1EjESD_NS0_6memory15LoadWithoutCastENSE_16StoreWithoutCastEEEviT_T0_T2_T3_T4_T5_.uses_flat_scratch, 0
	.set _ZN2at6native27unrolled_elementwise_kernelIZZZNS0_17expm1_kernel_cudaERNS_18TensorIteratorBaseEENKUlvE_clEvENKUlvE4_clEvEUlN3c104HalfEE_St5arrayIPcLm2EELi4E23TrivialOffsetCalculatorILi1EjESD_NS0_6memory15LoadWithoutCastENSE_16StoreWithoutCastEEEviT_T0_T2_T3_T4_T5_.has_dyn_sized_stack, 0
	.set _ZN2at6native27unrolled_elementwise_kernelIZZZNS0_17expm1_kernel_cudaERNS_18TensorIteratorBaseEENKUlvE_clEvENKUlvE4_clEvEUlN3c104HalfEE_St5arrayIPcLm2EELi4E23TrivialOffsetCalculatorILi1EjESD_NS0_6memory15LoadWithoutCastENSE_16StoreWithoutCastEEEviT_T0_T2_T3_T4_T5_.has_recursion, 0
	.set _ZN2at6native27unrolled_elementwise_kernelIZZZNS0_17expm1_kernel_cudaERNS_18TensorIteratorBaseEENKUlvE_clEvENKUlvE4_clEvEUlN3c104HalfEE_St5arrayIPcLm2EELi4E23TrivialOffsetCalculatorILi1EjESD_NS0_6memory15LoadWithoutCastENSE_16StoreWithoutCastEEEviT_T0_T2_T3_T4_T5_.has_indirect_call, 0
	.section	.AMDGPU.csdata,"",@progbits
; Kernel info:
; codeLenInByte = 1596
; TotalNumSgprs: 16
; NumVgprs: 12
; NumAgprs: 0
; TotalNumVgprs: 12
; ScratchSize: 0
; MemoryBound: 0
; FloatMode: 240
; IeeeMode: 1
; LDSByteSize: 0 bytes/workgroup (compile time only)
; SGPRBlocks: 1
; VGPRBlocks: 1
; NumSGPRsForWavesPerEU: 16
; NumVGPRsForWavesPerEU: 12
; AccumOffset: 12
; Occupancy: 8
; WaveLimiterHint : 0
; COMPUTE_PGM_RSRC2:SCRATCH_EN: 0
; COMPUTE_PGM_RSRC2:USER_SGPR: 2
; COMPUTE_PGM_RSRC2:TRAP_HANDLER: 0
; COMPUTE_PGM_RSRC2:TGID_X_EN: 1
; COMPUTE_PGM_RSRC2:TGID_Y_EN: 0
; COMPUTE_PGM_RSRC2:TGID_Z_EN: 0
; COMPUTE_PGM_RSRC2:TIDIG_COMP_CNT: 0
; COMPUTE_PGM_RSRC3_GFX90A:ACCUM_OFFSET: 2
; COMPUTE_PGM_RSRC3_GFX90A:TG_SPLIT: 0
	.section	.text._ZN2at6native32elementwise_kernel_manual_unrollILi128ELi8EZNS0_22gpu_kernel_impl_nocastIZZZNS0_17expm1_kernel_cudaERNS_18TensorIteratorBaseEENKUlvE_clEvENKUlvE4_clEvEUlN3c104HalfEE_EEvS4_RKT_EUlibE_EEviT1_,"axG",@progbits,_ZN2at6native32elementwise_kernel_manual_unrollILi128ELi8EZNS0_22gpu_kernel_impl_nocastIZZZNS0_17expm1_kernel_cudaERNS_18TensorIteratorBaseEENKUlvE_clEvENKUlvE4_clEvEUlN3c104HalfEE_EEvS4_RKT_EUlibE_EEviT1_,comdat
	.globl	_ZN2at6native32elementwise_kernel_manual_unrollILi128ELi8EZNS0_22gpu_kernel_impl_nocastIZZZNS0_17expm1_kernel_cudaERNS_18TensorIteratorBaseEENKUlvE_clEvENKUlvE4_clEvEUlN3c104HalfEE_EEvS4_RKT_EUlibE_EEviT1_ ; -- Begin function _ZN2at6native32elementwise_kernel_manual_unrollILi128ELi8EZNS0_22gpu_kernel_impl_nocastIZZZNS0_17expm1_kernel_cudaERNS_18TensorIteratorBaseEENKUlvE_clEvENKUlvE4_clEvEUlN3c104HalfEE_EEvS4_RKT_EUlibE_EEviT1_
	.p2align	8
	.type	_ZN2at6native32elementwise_kernel_manual_unrollILi128ELi8EZNS0_22gpu_kernel_impl_nocastIZZZNS0_17expm1_kernel_cudaERNS_18TensorIteratorBaseEENKUlvE_clEvENKUlvE4_clEvEUlN3c104HalfEE_EEvS4_RKT_EUlibE_EEviT1_,@function
_ZN2at6native32elementwise_kernel_manual_unrollILi128ELi8EZNS0_22gpu_kernel_impl_nocastIZZZNS0_17expm1_kernel_cudaERNS_18TensorIteratorBaseEENKUlvE_clEvENKUlvE4_clEvEUlN3c104HalfEE_EEvS4_RKT_EUlibE_EEviT1_: ; @_ZN2at6native32elementwise_kernel_manual_unrollILi128ELi8EZNS0_22gpu_kernel_impl_nocastIZZZNS0_17expm1_kernel_cudaERNS_18TensorIteratorBaseEENKUlvE_clEvENKUlvE4_clEvEUlN3c104HalfEE_EEvS4_RKT_EUlibE_EEviT1_
; %bb.0:
	s_load_dword s55, s[0:1], 0x0
	s_load_dword s33, s[0:1], 0x8
	s_add_u32 s34, s0, 8
	s_addc_u32 s35, s1, 0
	v_lshl_or_b32 v24, s2, 10, v0
	v_or_b32_e32 v32, 0x380, v24
	s_waitcnt lgkmcnt(0)
	s_add_i32 s54, s33, -1
	s_cmp_gt_u32 s54, 1
	v_cmp_le_i32_e32 vcc, s55, v32
	s_cselect_b64 s[36:37], -1, 0
	s_and_saveexec_b64 s[0:1], vcc
	s_xor_b64 s[38:39], exec, s[0:1]
	s_cbranch_execz .LBB159_8
; %bb.1:
	s_load_dwordx4 s[24:27], s[34:35], 0x4
	s_load_dwordx2 s[40:41], s[34:35], 0x14
	s_load_dwordx4 s[20:23], s[34:35], 0xc4
	s_load_dwordx4 s[16:19], s[34:35], 0x148
	s_cmp_lg_u32 s33, 0
	s_cselect_b64 s[46:47], -1, 0
	s_add_u32 s44, s34, 0xc4
	s_addc_u32 s45, s35, 0
	s_min_u32 s56, s54, 15
	s_cmp_gt_u32 s33, 1
	s_cselect_b64 s[42:43], -1, 0
	v_cmp_gt_i32_e32 vcc, s55, v24
	s_and_saveexec_b64 s[48:49], vcc
	s_cbranch_execz .LBB159_15
; %bb.2:
	s_andn2_b64 vcc, exec, s[36:37]
	s_cbranch_vccnz .LBB159_23
; %bb.3:
	s_andn2_b64 vcc, exec, s[46:47]
	s_cbranch_vccnz .LBB159_131
; %bb.4:
	s_add_i32 s58, s56, 1
	s_cmp_eq_u32 s54, 2
	s_cbranch_scc1 .LBB159_133
; %bb.5:
	s_and_b32 s57, s58, 28
	s_mov_b32 s59, 0
	v_mov_b32_e32 v0, 0
	v_mov_b32_e32 v2, 0
	s_mov_b64 s[50:51], s[34:35]
	s_mov_b64 s[52:53], s[44:45]
	v_mov_b32_e32 v4, v24
.LBB159_6:                              ; =>This Inner Loop Header: Depth=1
	s_load_dwordx8 s[8:15], s[50:51], 0x4
	s_load_dwordx4 s[28:31], s[50:51], 0x24
	s_load_dwordx8 s[0:7], s[52:53], 0x0
	s_add_u32 s50, s50, 48
	s_addc_u32 s51, s51, 0
	s_waitcnt lgkmcnt(0)
	v_mul_hi_u32 v1, s9, v4
	v_add_u32_e32 v1, v4, v1
	v_lshrrev_b32_e32 v1, s10, v1
	v_mul_lo_u32 v3, v1, s8
	v_mul_hi_u32 v5, s12, v1
	v_sub_u32_e32 v3, v4, v3
	v_add_u32_e32 v4, v1, v5
	v_lshrrev_b32_e32 v4, s13, v4
	v_mul_lo_u32 v6, v4, s11
	v_mul_hi_u32 v7, s15, v4
	v_sub_u32_e32 v1, v1, v6
	v_add_u32_e32 v6, v4, v7
	v_mul_lo_u32 v5, v3, s1
	v_mul_lo_u32 v3, v3, s0
	;; [unrolled: 1-line block ×4, first 2 shown]
	v_lshrrev_b32_e32 v6, s28, v6
	v_add3_u32 v0, v3, v0, v1
	v_mul_hi_u32 v3, s30, v6
	v_add3_u32 v1, v5, v2, v7
	v_mul_lo_u32 v2, v6, s14
	v_add_u32_e32 v3, v6, v3
	v_sub_u32_e32 v2, v4, v2
	v_lshrrev_b32_e32 v4, s31, v3
	s_add_i32 s59, s59, 4
	v_mul_lo_u32 v3, v4, s29
	s_add_u32 s52, s52, 32
	v_sub_u32_e32 v3, v6, v3
	s_addc_u32 s53, s53, 0
	v_mul_lo_u32 v5, v2, s4
	v_mul_lo_u32 v2, v2, s5
	;; [unrolled: 1-line block ×4, first 2 shown]
	s_cmp_lg_u32 s57, s59
	v_add3_u32 v2, v2, v1, v3
	v_add3_u32 v0, v5, v0, v6
	s_cbranch_scc1 .LBB159_6
; %bb.7:
	v_mov_b32_e32 v1, v2
	s_branch .LBB159_134
.LBB159_8:
	s_andn2_saveexec_b64 s[0:1], s[38:39]
	s_cbranch_execz .LBB159_228
.LBB159_9:
	v_cndmask_b32_e64 v0, 0, 1, s[36:37]
	v_cmp_ne_u32_e64 s[0:1], 1, v0
	s_andn2_b64 vcc, exec, s[36:37]
	s_cbranch_vccnz .LBB159_22
; %bb.10:
	s_cmp_lg_u32 s33, 0
	s_waitcnt lgkmcnt(0)
	s_mov_b32 s26, 0
	s_cbranch_scc0 .LBB159_25
; %bb.11:
	s_min_u32 s27, s54, 15
	s_add_i32 s27, s27, 1
	s_cmp_eq_u32 s54, 2
	s_cbranch_scc1 .LBB159_26
; %bb.12:
	s_and_b32 s26, s27, 28
	s_add_u32 s2, s34, 0xc4
	s_addc_u32 s3, s35, 0
	s_mov_b32 s28, 0
	v_mov_b32_e32 v0, 0
	v_mov_b32_e32 v4, 0
	s_mov_b64 s[24:25], s[34:35]
	v_mov_b32_e32 v2, v24
.LBB159_13:                             ; =>This Inner Loop Header: Depth=1
	s_load_dwordx8 s[12:19], s[24:25], 0x4
	s_load_dwordx4 s[20:23], s[24:25], 0x24
	s_load_dwordx8 s[4:11], s[2:3], 0x0
	s_add_u32 s24, s24, 48
	s_addc_u32 s25, s25, 0
	s_waitcnt lgkmcnt(0)
	v_mul_hi_u32 v1, s13, v2
	v_add_u32_e32 v1, v2, v1
	v_lshrrev_b32_e32 v1, s14, v1
	v_mul_lo_u32 v3, v1, s12
	v_mul_hi_u32 v5, s16, v1
	v_sub_u32_e32 v2, v2, v3
	v_add_u32_e32 v3, v1, v5
	v_lshrrev_b32_e32 v3, s17, v3
	v_mul_lo_u32 v6, v3, s15
	v_mul_hi_u32 v7, s19, v3
	v_sub_u32_e32 v1, v1, v6
	v_add_u32_e32 v6, v3, v7
	v_mul_lo_u32 v5, v2, s5
	v_mul_lo_u32 v2, v2, s4
	;; [unrolled: 1-line block ×4, first 2 shown]
	v_lshrrev_b32_e32 v6, s20, v6
	v_add3_u32 v0, v2, v0, v1
	v_add3_u32 v1, v5, v4, v7
	v_mul_lo_u32 v2, v6, s18
	v_mul_hi_u32 v4, s22, v6
	v_sub_u32_e32 v2, v3, v2
	v_add_u32_e32 v3, v6, v4
	v_mul_lo_u32 v5, v2, s8
	v_mul_lo_u32 v4, v2, s9
	v_lshrrev_b32_e32 v2, s23, v3
	s_add_i32 s28, s28, 4
	v_mul_lo_u32 v3, v2, s21
	s_add_u32 s2, s2, 32
	v_sub_u32_e32 v3, v6, v3
	s_addc_u32 s3, s3, 0
	v_mul_lo_u32 v6, v3, s10
	v_mul_lo_u32 v3, v3, s11
	s_cmp_lg_u32 s26, s28
	v_add3_u32 v4, v4, v1, v3
	v_add3_u32 v0, v5, v0, v6
	s_cbranch_scc1 .LBB159_13
; %bb.14:
	v_mov_b32_e32 v1, v4
	s_and_b32 s6, s27, 3
	s_cmp_eq_u32 s6, 0
	s_cbranch_scc0 .LBB159_27
	s_branch .LBB159_29
.LBB159_15:
	s_or_b64 exec, exec, s[48:49]
	v_cmp_gt_i32_e32 vcc, s55, v24
	s_and_saveexec_b64 s[48:49], vcc
	s_cbranch_execz .LBB159_141
.LBB159_16:
	s_andn2_b64 vcc, exec, s[36:37]
	s_cbranch_vccnz .LBB159_24
; %bb.17:
	s_andn2_b64 vcc, exec, s[46:47]
	s_cbranch_vccnz .LBB159_132
; %bb.18:
	s_add_i32 s58, s56, 1
	s_cmp_eq_u32 s54, 2
	s_cbranch_scc1 .LBB159_150
; %bb.19:
	s_and_b32 s57, s58, 28
	s_mov_b32 s59, 0
	v_mov_b32_e32 v0, 0
	v_mov_b32_e32 v2, 0
	s_mov_b64 s[50:51], s[34:35]
	s_mov_b64 s[52:53], s[44:45]
	v_mov_b32_e32 v4, v24
.LBB159_20:                             ; =>This Inner Loop Header: Depth=1
	s_load_dwordx8 s[8:15], s[50:51], 0x4
	s_load_dwordx4 s[28:31], s[50:51], 0x24
	s_load_dwordx8 s[0:7], s[52:53], 0x0
	s_add_u32 s50, s50, 48
	s_addc_u32 s51, s51, 0
	s_waitcnt lgkmcnt(0)
	v_mul_hi_u32 v1, s9, v4
	v_add_u32_e32 v1, v4, v1
	v_lshrrev_b32_e32 v1, s10, v1
	v_mul_lo_u32 v3, v1, s8
	v_mul_hi_u32 v5, s12, v1
	v_sub_u32_e32 v3, v4, v3
	v_add_u32_e32 v4, v1, v5
	v_lshrrev_b32_e32 v4, s13, v4
	v_mul_lo_u32 v6, v4, s11
	v_mul_hi_u32 v7, s15, v4
	v_sub_u32_e32 v1, v1, v6
	v_add_u32_e32 v6, v4, v7
	v_mul_lo_u32 v5, v3, s1
	v_mul_lo_u32 v3, v3, s0
	;; [unrolled: 1-line block ×4, first 2 shown]
	v_lshrrev_b32_e32 v6, s28, v6
	v_add3_u32 v0, v3, v0, v1
	v_mul_hi_u32 v3, s30, v6
	v_add3_u32 v1, v5, v2, v7
	v_mul_lo_u32 v2, v6, s14
	v_add_u32_e32 v3, v6, v3
	v_sub_u32_e32 v2, v4, v2
	v_lshrrev_b32_e32 v4, s31, v3
	s_add_i32 s59, s59, 4
	v_mul_lo_u32 v3, v4, s29
	s_add_u32 s52, s52, 32
	v_sub_u32_e32 v3, v6, v3
	s_addc_u32 s53, s53, 0
	v_mul_lo_u32 v5, v2, s4
	v_mul_lo_u32 v2, v2, s5
	v_mul_lo_u32 v6, v3, s6
	v_mul_lo_u32 v3, v3, s7
	s_cmp_eq_u32 s57, s59
	v_add3_u32 v2, v2, v1, v3
	v_add3_u32 v0, v5, v0, v6
	s_cbranch_scc0 .LBB159_20
; %bb.21:
	v_mov_b32_e32 v1, v2
	s_branch .LBB159_151
.LBB159_22:
                                        ; implicit-def: $vgpr4
                                        ; implicit-def: $vgpr0
	s_branch .LBB159_30
.LBB159_23:
                                        ; implicit-def: $vgpr2
                                        ; implicit-def: $vgpr0
	s_branch .LBB159_138
.LBB159_24:
                                        ; implicit-def: $vgpr2
                                        ; implicit-def: $vgpr0
	s_branch .LBB159_155
.LBB159_25:
	v_mov_b32_e32 v4, 0
	v_mov_b32_e32 v0, 0
	s_branch .LBB159_29
.LBB159_26:
	v_mov_b32_e32 v0, 0
                                        ; implicit-def: $vgpr4
	v_mov_b32_e32 v1, v0
	v_mov_b32_e32 v2, v24
	s_and_b32 s6, s27, 3
	s_cmp_eq_u32 s6, 0
	s_cbranch_scc1 .LBB159_29
.LBB159_27:
	s_lshl_b32 s2, s26, 3
	s_add_u32 s2, s34, s2
	s_addc_u32 s3, s35, 0
	s_add_u32 s2, s2, 0xc4
	s_addc_u32 s3, s3, 0
	s_mul_i32 s4, s26, 12
	s_add_u32 s4, s34, s4
	s_addc_u32 s5, s35, 0
.LBB159_28:                             ; =>This Inner Loop Header: Depth=1
	s_load_dwordx2 s[8:9], s[4:5], 0x4
	s_load_dword s7, s[4:5], 0xc
	s_load_dwordx2 s[10:11], s[2:3], 0x0
	v_mov_b32_e32 v4, v1
	s_add_u32 s4, s4, 12
	s_waitcnt lgkmcnt(0)
	v_mul_hi_u32 v1, s9, v2
	v_add_u32_e32 v1, v2, v1
	v_lshrrev_b32_e32 v1, s7, v1
	s_addc_u32 s5, s5, 0
	v_mul_lo_u32 v3, v1, s8
	s_add_u32 s2, s2, 8
	v_sub_u32_e32 v3, v2, v3
	s_addc_u32 s3, s3, 0
	s_add_i32 s6, s6, -1
	v_mov_b32_e32 v2, v1
	v_mad_u64_u32 v[4:5], s[8:9], v3, s11, v[4:5]
	v_mad_u64_u32 v[0:1], s[8:9], v3, s10, v[0:1]
	s_cmp_lg_u32 s6, 0
	v_mov_b32_e32 v1, v4
	s_cbranch_scc1 .LBB159_28
.LBB159_29:
	s_cbranch_execnz .LBB159_32
.LBB159_30:
	s_load_dwordx4 s[4:7], s[34:35], 0x4
	s_load_dwordx2 s[2:3], s[34:35], 0xc4
	s_cmp_lt_u32 s33, 2
	s_waitcnt lgkmcnt(0)
	v_mul_hi_u32 v0, s5, v24
	v_add_u32_e32 v0, v24, v0
	v_lshrrev_b32_e32 v1, s6, v0
	v_mul_lo_u32 v0, v1, s4
	v_sub_u32_e32 v0, v24, v0
	v_mul_lo_u32 v4, v0, s3
	v_mul_lo_u32 v0, v0, s2
	s_cbranch_scc1 .LBB159_32
; %bb.31:
	s_load_dwordx4 s[4:7], s[34:35], 0x10
	s_load_dwordx2 s[2:3], s[34:35], 0xcc
	s_waitcnt lgkmcnt(0)
	v_mul_hi_u32 v2, s5, v1
	v_add_u32_e32 v2, v1, v2
	v_lshrrev_b32_e32 v2, s6, v2
	v_mul_lo_u32 v2, v2, s4
	v_sub_u32_e32 v2, v1, v2
	v_mad_u64_u32 v[0:1], s[4:5], v2, s2, v[0:1]
	v_mad_u64_u32 v[4:5], s[2:3], v2, s3, v[4:5]
.LBB159_32:
	s_and_b64 vcc, exec, s[0:1]
	v_add_u32_e32 v5, 0x80, v24
	s_cbranch_vccnz .LBB159_38
; %bb.33:
	s_cmp_lg_u32 s33, 0
	s_waitcnt lgkmcnt(0)
	s_mov_b32 s26, 0
	s_cbranch_scc0 .LBB159_39
; %bb.34:
	s_min_u32 s27, s54, 15
	s_add_i32 s27, s27, 1
	s_cmp_eq_u32 s54, 2
	s_cbranch_scc1 .LBB159_40
; %bb.35:
	s_and_b32 s26, s27, 28
	s_add_u32 s2, s34, 0xc4
	s_addc_u32 s3, s35, 0
	s_mov_b32 s28, 0
	v_mov_b32_e32 v2, 0
	v_mov_b32_e32 v8, 0
	s_mov_b64 s[24:25], s[34:35]
	v_mov_b32_e32 v6, v5
.LBB159_36:                             ; =>This Inner Loop Header: Depth=1
	s_load_dwordx8 s[12:19], s[24:25], 0x4
	s_load_dwordx4 s[20:23], s[24:25], 0x24
	s_load_dwordx8 s[4:11], s[2:3], 0x0
	s_add_u32 s24, s24, 48
	s_addc_u32 s25, s25, 0
	s_waitcnt lgkmcnt(0)
	v_mul_hi_u32 v1, s13, v6
	v_add_u32_e32 v1, v6, v1
	v_lshrrev_b32_e32 v1, s14, v1
	v_mul_lo_u32 v3, v1, s12
	v_mul_hi_u32 v7, s16, v1
	v_sub_u32_e32 v3, v6, v3
	v_add_u32_e32 v6, v1, v7
	v_lshrrev_b32_e32 v6, s17, v6
	v_mul_lo_u32 v9, v6, s15
	v_mul_hi_u32 v10, s19, v6
	v_sub_u32_e32 v1, v1, v9
	v_add_u32_e32 v9, v6, v10
	v_mul_lo_u32 v7, v3, s5
	v_mul_lo_u32 v3, v3, s4
	;; [unrolled: 1-line block ×4, first 2 shown]
	v_lshrrev_b32_e32 v9, s20, v9
	v_add3_u32 v1, v3, v2, v1
	v_add3_u32 v2, v7, v8, v10
	v_mul_lo_u32 v3, v9, s18
	v_mul_hi_u32 v7, s22, v9
	v_sub_u32_e32 v3, v6, v3
	v_add_u32_e32 v6, v9, v7
	v_lshrrev_b32_e32 v6, s23, v6
	s_add_i32 s28, s28, 4
	v_mul_lo_u32 v8, v6, s21
	s_add_u32 s2, s2, 32
	v_sub_u32_e32 v8, v9, v8
	s_addc_u32 s3, s3, 0
	v_mul_lo_u32 v7, v3, s8
	v_mul_lo_u32 v3, v3, s9
	v_mul_lo_u32 v9, v8, s10
	v_mul_lo_u32 v8, v8, s11
	s_cmp_lg_u32 s26, s28
	v_add3_u32 v8, v3, v2, v8
	v_add3_u32 v2, v7, v1, v9
	s_cbranch_scc1 .LBB159_36
; %bb.37:
	v_mov_b32_e32 v1, v8
	s_and_b32 s6, s27, 3
	s_cmp_eq_u32 s6, 0
	s_cbranch_scc0 .LBB159_41
	s_branch .LBB159_43
.LBB159_38:
                                        ; implicit-def: $vgpr8
                                        ; implicit-def: $vgpr2
	s_branch .LBB159_44
.LBB159_39:
	v_mov_b32_e32 v8, 0
	v_mov_b32_e32 v2, 0
	s_branch .LBB159_43
.LBB159_40:
	v_mov_b32_e32 v2, 0
                                        ; implicit-def: $vgpr8
	v_mov_b32_e32 v1, v2
	v_mov_b32_e32 v6, v5
	s_and_b32 s6, s27, 3
	s_cmp_eq_u32 s6, 0
	s_cbranch_scc1 .LBB159_43
.LBB159_41:
	s_lshl_b32 s2, s26, 3
	s_add_u32 s2, s34, s2
	s_addc_u32 s3, s35, 0
	s_add_u32 s2, s2, 0xc4
	s_addc_u32 s3, s3, 0
	s_mul_i32 s4, s26, 12
	s_add_u32 s4, s34, s4
	s_addc_u32 s5, s35, 0
.LBB159_42:                             ; =>This Inner Loop Header: Depth=1
	s_load_dwordx2 s[8:9], s[4:5], 0x4
	s_load_dword s7, s[4:5], 0xc
	s_load_dwordx2 s[10:11], s[2:3], 0x0
	v_mov_b32_e32 v8, v1
	s_add_u32 s4, s4, 12
	s_waitcnt lgkmcnt(0)
	v_mul_hi_u32 v1, s9, v6
	v_add_u32_e32 v1, v6, v1
	v_lshrrev_b32_e32 v1, s7, v1
	s_addc_u32 s5, s5, 0
	v_mul_lo_u32 v3, v1, s8
	s_add_u32 s2, s2, 8
	v_sub_u32_e32 v3, v6, v3
	s_addc_u32 s3, s3, 0
	s_add_i32 s6, s6, -1
	v_mad_u64_u32 v[8:9], s[8:9], v3, s11, v[8:9]
	s_cmp_lg_u32 s6, 0
	v_mov_b32_e32 v6, v1
	v_mad_u64_u32 v[2:3], s[8:9], v3, s10, v[2:3]
	v_mov_b32_e32 v1, v8
	s_cbranch_scc1 .LBB159_42
.LBB159_43:
	s_cbranch_execnz .LBB159_46
.LBB159_44:
	s_load_dwordx4 s[4:7], s[34:35], 0x4
	s_load_dwordx2 s[2:3], s[34:35], 0xc4
	s_cmp_lt_u32 s33, 2
	s_waitcnt lgkmcnt(0)
	v_mul_hi_u32 v1, s5, v5
	v_add_u32_e32 v1, v5, v1
	v_lshrrev_b32_e32 v1, s6, v1
	v_mul_lo_u32 v2, v1, s4
	v_sub_u32_e32 v2, v5, v2
	v_mul_lo_u32 v8, v2, s3
	v_mul_lo_u32 v2, v2, s2
	s_cbranch_scc1 .LBB159_46
; %bb.45:
	s_load_dwordx4 s[4:7], s[34:35], 0x10
	s_load_dwordx2 s[2:3], s[34:35], 0xcc
	s_waitcnt lgkmcnt(0)
	v_mul_hi_u32 v3, s5, v1
	v_add_u32_e32 v3, v1, v3
	v_lshrrev_b32_e32 v3, s6, v3
	v_mul_lo_u32 v3, v3, s4
	v_sub_u32_e32 v1, v1, v3
	v_mad_u64_u32 v[2:3], s[4:5], v1, s2, v[2:3]
	v_mad_u64_u32 v[8:9], s[2:3], v1, s3, v[8:9]
.LBB159_46:
	s_and_b64 vcc, exec, s[0:1]
	v_add_u32_e32 v3, 0x100, v24
	s_cbranch_vccnz .LBB159_52
; %bb.47:
	s_cmp_lg_u32 s33, 0
	s_waitcnt lgkmcnt(0)
	s_mov_b32 s26, 0
	s_cbranch_scc0 .LBB159_53
; %bb.48:
	s_min_u32 s27, s54, 15
	s_add_i32 s27, s27, 1
	s_cmp_eq_u32 s54, 2
	s_cbranch_scc1 .LBB159_54
; %bb.49:
	s_and_b32 s26, s27, 28
	s_add_u32 s2, s34, 0xc4
	s_addc_u32 s3, s35, 0
	s_mov_b32 s28, 0
	v_mov_b32_e32 v6, 0
	v_mov_b32_e32 v12, 0
	s_mov_b64 s[24:25], s[34:35]
	v_mov_b32_e32 v5, v3
.LBB159_50:                             ; =>This Inner Loop Header: Depth=1
	s_load_dwordx8 s[12:19], s[24:25], 0x4
	s_load_dwordx4 s[20:23], s[24:25], 0x24
	s_load_dwordx8 s[4:11], s[2:3], 0x0
	s_add_u32 s24, s24, 48
	s_addc_u32 s25, s25, 0
	s_waitcnt lgkmcnt(0)
	v_mul_hi_u32 v1, s13, v5
	v_add_u32_e32 v1, v5, v1
	v_lshrrev_b32_e32 v1, s14, v1
	v_mul_lo_u32 v7, v1, s12
	v_mul_hi_u32 v9, s16, v1
	v_sub_u32_e32 v5, v5, v7
	v_add_u32_e32 v7, v1, v9
	v_lshrrev_b32_e32 v7, s17, v7
	v_mul_lo_u32 v10, v7, s15
	v_mul_hi_u32 v11, s19, v7
	v_sub_u32_e32 v1, v1, v10
	v_add_u32_e32 v10, v7, v11
	v_mul_lo_u32 v9, v5, s5
	v_mul_lo_u32 v5, v5, s4
	;; [unrolled: 1-line block ×4, first 2 shown]
	v_lshrrev_b32_e32 v10, s20, v10
	v_add3_u32 v1, v5, v6, v1
	v_add3_u32 v6, v9, v12, v11
	v_mul_lo_u32 v5, v10, s18
	v_mul_hi_u32 v9, s22, v10
	v_sub_u32_e32 v5, v7, v5
	v_add_u32_e32 v7, v10, v9
	v_mul_lo_u32 v9, v5, s8
	v_mul_lo_u32 v11, v5, s9
	v_lshrrev_b32_e32 v5, s23, v7
	s_add_i32 s28, s28, 4
	v_mul_lo_u32 v7, v5, s21
	s_add_u32 s2, s2, 32
	v_sub_u32_e32 v7, v10, v7
	s_addc_u32 s3, s3, 0
	v_mul_lo_u32 v10, v7, s10
	v_mul_lo_u32 v7, v7, s11
	s_cmp_lg_u32 s26, s28
	v_add3_u32 v12, v11, v6, v7
	v_add3_u32 v6, v9, v1, v10
	s_cbranch_scc1 .LBB159_50
; %bb.51:
	v_mov_b32_e32 v1, v12
	s_and_b32 s6, s27, 3
	s_cmp_eq_u32 s6, 0
	s_cbranch_scc0 .LBB159_55
	s_branch .LBB159_57
.LBB159_52:
                                        ; implicit-def: $vgpr12
                                        ; implicit-def: $vgpr6
	s_branch .LBB159_58
.LBB159_53:
	v_mov_b32_e32 v12, 0
	v_mov_b32_e32 v6, 0
	s_branch .LBB159_57
.LBB159_54:
	v_mov_b32_e32 v6, 0
                                        ; implicit-def: $vgpr12
	v_mov_b32_e32 v1, v6
	v_mov_b32_e32 v5, v3
	s_and_b32 s6, s27, 3
	s_cmp_eq_u32 s6, 0
	s_cbranch_scc1 .LBB159_57
.LBB159_55:
	s_lshl_b32 s2, s26, 3
	s_add_u32 s2, s34, s2
	s_addc_u32 s3, s35, 0
	s_add_u32 s2, s2, 0xc4
	s_addc_u32 s3, s3, 0
	s_mul_i32 s4, s26, 12
	s_add_u32 s4, s34, s4
	s_addc_u32 s5, s35, 0
.LBB159_56:                             ; =>This Inner Loop Header: Depth=1
	s_load_dwordx2 s[8:9], s[4:5], 0x4
	s_load_dword s7, s[4:5], 0xc
	s_load_dwordx2 s[10:11], s[2:3], 0x0
	v_mov_b32_e32 v10, v1
	s_add_u32 s4, s4, 12
	s_waitcnt lgkmcnt(0)
	v_mul_hi_u32 v1, s9, v5
	v_add_u32_e32 v1, v5, v1
	v_lshrrev_b32_e32 v1, s7, v1
	s_addc_u32 s5, s5, 0
	v_mul_lo_u32 v7, v1, s8
	s_add_u32 s2, s2, 8
	v_sub_u32_e32 v7, v5, v7
	s_addc_u32 s3, s3, 0
	s_add_i32 s6, s6, -1
	v_mad_u64_u32 v[12:13], s[8:9], v7, s11, v[10:11]
	s_cmp_lg_u32 s6, 0
	v_mov_b32_e32 v5, v1
	v_mad_u64_u32 v[6:7], s[8:9], v7, s10, v[6:7]
	v_mov_b32_e32 v1, v12
	s_cbranch_scc1 .LBB159_56
.LBB159_57:
	s_cbranch_execnz .LBB159_60
.LBB159_58:
	s_load_dwordx4 s[4:7], s[34:35], 0x4
	s_load_dwordx2 s[2:3], s[34:35], 0xc4
	s_cmp_lt_u32 s33, 2
	s_waitcnt lgkmcnt(0)
	v_mul_hi_u32 v1, s5, v3
	v_add_u32_e32 v1, v3, v1
	v_lshrrev_b32_e32 v1, s6, v1
	v_mul_lo_u32 v5, v1, s4
	v_sub_u32_e32 v3, v3, v5
	v_mul_lo_u32 v12, v3, s3
	v_mul_lo_u32 v6, v3, s2
	s_cbranch_scc1 .LBB159_60
; %bb.59:
	s_load_dwordx4 s[4:7], s[34:35], 0x10
	s_load_dwordx2 s[2:3], s[34:35], 0xcc
	s_waitcnt lgkmcnt(0)
	v_mul_hi_u32 v3, s5, v1
	v_add_u32_e32 v3, v1, v3
	v_lshrrev_b32_e32 v3, s6, v3
	v_mul_lo_u32 v3, v3, s4
	v_sub_u32_e32 v1, v1, v3
	v_mad_u64_u32 v[6:7], s[4:5], v1, s2, v[6:7]
	v_mad_u64_u32 v[12:13], s[2:3], v1, s3, v[12:13]
.LBB159_60:
	s_and_b64 vcc, exec, s[0:1]
	v_add_u32_e32 v3, 0x180, v24
	s_cbranch_vccnz .LBB159_66
; %bb.61:
	s_cmp_lg_u32 s33, 0
	s_waitcnt lgkmcnt(0)
	s_mov_b32 s26, 0
	s_cbranch_scc0 .LBB159_67
; %bb.62:
	s_min_u32 s27, s54, 15
	s_add_i32 s27, s27, 1
	s_cmp_eq_u32 s54, 2
	s_cbranch_scc1 .LBB159_68
; %bb.63:
	s_and_b32 s26, s27, 28
	s_add_u32 s2, s34, 0xc4
	s_addc_u32 s3, s35, 0
	s_mov_b32 s28, 0
	v_mov_b32_e32 v10, 0
	v_mov_b32_e32 v16, 0
	s_mov_b64 s[24:25], s[34:35]
	v_mov_b32_e32 v5, v3
.LBB159_64:                             ; =>This Inner Loop Header: Depth=1
	s_load_dwordx8 s[12:19], s[24:25], 0x4
	s_load_dwordx4 s[20:23], s[24:25], 0x24
	s_load_dwordx8 s[4:11], s[2:3], 0x0
	s_add_u32 s24, s24, 48
	s_addc_u32 s25, s25, 0
	s_waitcnt lgkmcnt(0)
	v_mul_hi_u32 v1, s13, v5
	v_add_u32_e32 v1, v5, v1
	v_lshrrev_b32_e32 v1, s14, v1
	v_mul_lo_u32 v7, v1, s12
	v_mul_hi_u32 v9, s16, v1
	v_sub_u32_e32 v5, v5, v7
	v_add_u32_e32 v7, v1, v9
	v_lshrrev_b32_e32 v7, s17, v7
	v_mul_lo_u32 v11, v7, s15
	v_mul_hi_u32 v13, s19, v7
	v_sub_u32_e32 v1, v1, v11
	v_add_u32_e32 v11, v7, v13
	v_mul_lo_u32 v9, v5, s5
	v_mul_lo_u32 v5, v5, s4
	;; [unrolled: 1-line block ×4, first 2 shown]
	v_lshrrev_b32_e32 v11, s20, v11
	v_add3_u32 v1, v5, v10, v1
	v_mul_lo_u32 v5, v11, s18
	v_mul_hi_u32 v10, s22, v11
	v_sub_u32_e32 v5, v7, v5
	v_add_u32_e32 v7, v11, v10
	v_add3_u32 v9, v9, v16, v13
	v_mul_lo_u32 v10, v5, s8
	v_mul_lo_u32 v13, v5, s9
	v_lshrrev_b32_e32 v5, s23, v7
	s_add_i32 s28, s28, 4
	v_mul_lo_u32 v7, v5, s21
	s_add_u32 s2, s2, 32
	v_sub_u32_e32 v7, v11, v7
	s_addc_u32 s3, s3, 0
	v_mul_lo_u32 v11, v7, s10
	v_mul_lo_u32 v7, v7, s11
	s_cmp_lg_u32 s26, s28
	v_add3_u32 v16, v13, v9, v7
	v_add3_u32 v10, v10, v1, v11
	s_cbranch_scc1 .LBB159_64
; %bb.65:
	v_mov_b32_e32 v1, v16
	s_and_b32 s6, s27, 3
	s_cmp_eq_u32 s6, 0
	s_cbranch_scc0 .LBB159_69
	s_branch .LBB159_71
.LBB159_66:
                                        ; implicit-def: $vgpr16
                                        ; implicit-def: $vgpr10
	s_branch .LBB159_72
.LBB159_67:
	v_mov_b32_e32 v16, 0
	v_mov_b32_e32 v10, 0
	s_branch .LBB159_71
.LBB159_68:
	v_mov_b32_e32 v10, 0
                                        ; implicit-def: $vgpr16
	v_mov_b32_e32 v1, v10
	v_mov_b32_e32 v5, v3
	s_and_b32 s6, s27, 3
	s_cmp_eq_u32 s6, 0
	s_cbranch_scc1 .LBB159_71
.LBB159_69:
	s_lshl_b32 s2, s26, 3
	s_add_u32 s2, s34, s2
	s_addc_u32 s3, s35, 0
	s_add_u32 s2, s2, 0xc4
	s_addc_u32 s3, s3, 0
	s_mul_i32 s4, s26, 12
	s_add_u32 s4, s34, s4
	s_addc_u32 s5, s35, 0
.LBB159_70:                             ; =>This Inner Loop Header: Depth=1
	s_load_dwordx2 s[8:9], s[4:5], 0x4
	s_load_dword s7, s[4:5], 0xc
	s_load_dwordx2 s[10:11], s[2:3], 0x0
	v_mov_b32_e32 v14, v1
	s_add_u32 s4, s4, 12
	s_waitcnt lgkmcnt(0)
	v_mul_hi_u32 v1, s9, v5
	v_add_u32_e32 v1, v5, v1
	v_lshrrev_b32_e32 v1, s7, v1
	s_addc_u32 s5, s5, 0
	v_mul_lo_u32 v7, v1, s8
	s_add_u32 s2, s2, 8
	v_sub_u32_e32 v7, v5, v7
	s_addc_u32 s3, s3, 0
	s_add_i32 s6, s6, -1
	v_mad_u64_u32 v[16:17], s[8:9], v7, s11, v[14:15]
	s_cmp_lg_u32 s6, 0
	v_mov_b32_e32 v5, v1
	v_mad_u64_u32 v[10:11], s[8:9], v7, s10, v[10:11]
	v_mov_b32_e32 v1, v16
	s_cbranch_scc1 .LBB159_70
.LBB159_71:
	s_cbranch_execnz .LBB159_74
.LBB159_72:
	s_load_dwordx4 s[4:7], s[34:35], 0x4
	s_load_dwordx2 s[2:3], s[34:35], 0xc4
	s_cmp_lt_u32 s33, 2
	s_waitcnt lgkmcnt(0)
	v_mul_hi_u32 v1, s5, v3
	v_add_u32_e32 v1, v3, v1
	v_lshrrev_b32_e32 v1, s6, v1
	v_mul_lo_u32 v5, v1, s4
	v_sub_u32_e32 v3, v3, v5
	v_mul_lo_u32 v16, v3, s3
	v_mul_lo_u32 v10, v3, s2
	s_cbranch_scc1 .LBB159_74
; %bb.73:
	s_load_dwordx4 s[4:7], s[34:35], 0x10
	s_load_dwordx2 s[2:3], s[34:35], 0xcc
	s_waitcnt lgkmcnt(0)
	v_mul_hi_u32 v3, s5, v1
	v_add_u32_e32 v3, v1, v3
	v_lshrrev_b32_e32 v3, s6, v3
	v_mul_lo_u32 v3, v3, s4
	v_sub_u32_e32 v1, v1, v3
	v_mad_u64_u32 v[10:11], s[4:5], v1, s2, v[10:11]
	v_mad_u64_u32 v[16:17], s[2:3], v1, s3, v[16:17]
.LBB159_74:
	s_and_b64 vcc, exec, s[0:1]
	v_add_u32_e32 v3, 0x200, v24
	s_cbranch_vccnz .LBB159_80
; %bb.75:
	s_cmp_lg_u32 s33, 0
	s_waitcnt lgkmcnt(0)
	s_mov_b32 s26, 0
	s_cbranch_scc0 .LBB159_81
; %bb.76:
	s_min_u32 s27, s54, 15
	s_add_i32 s27, s27, 1
	s_cmp_eq_u32 s54, 2
	s_cbranch_scc1 .LBB159_82
; %bb.77:
	s_and_b32 s26, s27, 28
	s_add_u32 s2, s34, 0xc4
	s_addc_u32 s3, s35, 0
	s_mov_b32 s28, 0
	v_mov_b32_e32 v14, 0
	v_mov_b32_e32 v18, 0
	s_mov_b64 s[24:25], s[34:35]
	v_mov_b32_e32 v5, v3
.LBB159_78:                             ; =>This Inner Loop Header: Depth=1
	s_load_dwordx8 s[12:19], s[24:25], 0x4
	s_load_dwordx4 s[20:23], s[24:25], 0x24
	s_load_dwordx8 s[4:11], s[2:3], 0x0
	s_add_u32 s24, s24, 48
	s_addc_u32 s25, s25, 0
	s_waitcnt lgkmcnt(0)
	v_mul_hi_u32 v1, s13, v5
	v_add_u32_e32 v1, v5, v1
	v_lshrrev_b32_e32 v1, s14, v1
	v_mul_lo_u32 v7, v1, s12
	v_mul_hi_u32 v9, s16, v1
	v_sub_u32_e32 v5, v5, v7
	v_add_u32_e32 v7, v1, v9
	v_lshrrev_b32_e32 v7, s17, v7
	v_mul_lo_u32 v11, v7, s15
	v_mul_hi_u32 v13, s19, v7
	v_sub_u32_e32 v1, v1, v11
	v_add_u32_e32 v11, v7, v13
	v_mul_lo_u32 v9, v5, s5
	v_mul_lo_u32 v5, v5, s4
	;; [unrolled: 1-line block ×4, first 2 shown]
	v_lshrrev_b32_e32 v11, s20, v11
	v_add3_u32 v1, v5, v14, v1
	v_add3_u32 v9, v9, v18, v13
	v_mul_lo_u32 v5, v11, s18
	v_mul_hi_u32 v13, s22, v11
	v_sub_u32_e32 v5, v7, v5
	v_add_u32_e32 v7, v11, v13
	v_mul_lo_u32 v13, v5, s8
	v_mul_lo_u32 v14, v5, s9
	v_lshrrev_b32_e32 v5, s23, v7
	s_add_i32 s28, s28, 4
	v_mul_lo_u32 v7, v5, s21
	s_add_u32 s2, s2, 32
	v_sub_u32_e32 v7, v11, v7
	s_addc_u32 s3, s3, 0
	v_mul_lo_u32 v11, v7, s10
	v_mul_lo_u32 v7, v7, s11
	s_cmp_lg_u32 s26, s28
	v_add3_u32 v18, v14, v9, v7
	v_add3_u32 v14, v13, v1, v11
	s_cbranch_scc1 .LBB159_78
; %bb.79:
	v_mov_b32_e32 v1, v18
	s_and_b32 s6, s27, 3
	s_cmp_eq_u32 s6, 0
	s_cbranch_scc0 .LBB159_83
	s_branch .LBB159_85
.LBB159_80:
                                        ; implicit-def: $vgpr18
                                        ; implicit-def: $vgpr14
	s_branch .LBB159_86
.LBB159_81:
	v_mov_b32_e32 v18, 0
	v_mov_b32_e32 v14, 0
	s_branch .LBB159_85
.LBB159_82:
	v_mov_b32_e32 v14, 0
                                        ; implicit-def: $vgpr18
	v_mov_b32_e32 v1, v14
	v_mov_b32_e32 v5, v3
	s_and_b32 s6, s27, 3
	s_cmp_eq_u32 s6, 0
	s_cbranch_scc1 .LBB159_85
.LBB159_83:
	s_lshl_b32 s2, s26, 3
	s_add_u32 s2, s34, s2
	s_addc_u32 s3, s35, 0
	s_add_u32 s2, s2, 0xc4
	s_addc_u32 s3, s3, 0
	s_mul_i32 s4, s26, 12
	s_add_u32 s4, s34, s4
	s_addc_u32 s5, s35, 0
.LBB159_84:                             ; =>This Inner Loop Header: Depth=1
	s_load_dwordx2 s[8:9], s[4:5], 0x4
	s_load_dword s7, s[4:5], 0xc
	s_load_dwordx2 s[10:11], s[2:3], 0x0
	v_mov_b32_e32 v18, v1
	s_add_u32 s4, s4, 12
	s_waitcnt lgkmcnt(0)
	v_mul_hi_u32 v1, s9, v5
	v_add_u32_e32 v1, v5, v1
	v_lshrrev_b32_e32 v1, s7, v1
	s_addc_u32 s5, s5, 0
	v_mul_lo_u32 v7, v1, s8
	s_add_u32 s2, s2, 8
	v_sub_u32_e32 v7, v5, v7
	s_addc_u32 s3, s3, 0
	s_add_i32 s6, s6, -1
	v_mad_u64_u32 v[18:19], s[8:9], v7, s11, v[18:19]
	s_cmp_lg_u32 s6, 0
	v_mov_b32_e32 v5, v1
	v_mad_u64_u32 v[14:15], s[8:9], v7, s10, v[14:15]
	v_mov_b32_e32 v1, v18
	s_cbranch_scc1 .LBB159_84
.LBB159_85:
	s_cbranch_execnz .LBB159_88
.LBB159_86:
	s_load_dwordx4 s[4:7], s[34:35], 0x4
	s_load_dwordx2 s[2:3], s[34:35], 0xc4
	s_cmp_lt_u32 s33, 2
	s_waitcnt lgkmcnt(0)
	v_mul_hi_u32 v1, s5, v3
	v_add_u32_e32 v1, v3, v1
	v_lshrrev_b32_e32 v1, s6, v1
	v_mul_lo_u32 v5, v1, s4
	v_sub_u32_e32 v3, v3, v5
	v_mul_lo_u32 v18, v3, s3
	v_mul_lo_u32 v14, v3, s2
	s_cbranch_scc1 .LBB159_88
; %bb.87:
	s_load_dwordx4 s[4:7], s[34:35], 0x10
	s_load_dwordx2 s[2:3], s[34:35], 0xcc
	s_waitcnt lgkmcnt(0)
	v_mul_hi_u32 v3, s5, v1
	v_add_u32_e32 v3, v1, v3
	v_lshrrev_b32_e32 v3, s6, v3
	v_mul_lo_u32 v3, v3, s4
	v_sub_u32_e32 v1, v1, v3
	v_mad_u64_u32 v[14:15], s[4:5], v1, s2, v[14:15]
	v_mad_u64_u32 v[18:19], s[2:3], v1, s3, v[18:19]
.LBB159_88:
	s_and_b64 vcc, exec, s[0:1]
	v_add_u32_e32 v3, 0x280, v24
	s_cbranch_vccnz .LBB159_94
; %bb.89:
	s_cmp_lg_u32 s33, 0
	s_waitcnt lgkmcnt(0)
	s_mov_b32 s26, 0
	s_cbranch_scc0 .LBB159_95
; %bb.90:
	s_min_u32 s27, s54, 15
	s_add_i32 s27, s27, 1
	s_cmp_eq_u32 s54, 2
	s_cbranch_scc1 .LBB159_96
; %bb.91:
	s_and_b32 s26, s27, 28
	s_add_u32 s2, s34, 0xc4
	s_addc_u32 s3, s35, 0
	s_mov_b32 s28, 0
	v_mov_b32_e32 v20, 0
	v_mov_b32_e32 v22, 0
	s_mov_b64 s[24:25], s[34:35]
	v_mov_b32_e32 v5, v3
.LBB159_92:                             ; =>This Inner Loop Header: Depth=1
	s_load_dwordx8 s[12:19], s[24:25], 0x4
	s_load_dwordx4 s[20:23], s[24:25], 0x24
	s_load_dwordx8 s[4:11], s[2:3], 0x0
	s_add_u32 s24, s24, 48
	s_addc_u32 s25, s25, 0
	s_waitcnt lgkmcnt(0)
	v_mul_hi_u32 v1, s13, v5
	v_add_u32_e32 v1, v5, v1
	v_lshrrev_b32_e32 v1, s14, v1
	v_mul_lo_u32 v7, v1, s12
	v_mul_hi_u32 v9, s16, v1
	v_sub_u32_e32 v5, v5, v7
	v_add_u32_e32 v7, v1, v9
	v_lshrrev_b32_e32 v7, s17, v7
	v_mul_lo_u32 v11, v7, s15
	v_mul_hi_u32 v13, s19, v7
	v_sub_u32_e32 v1, v1, v11
	v_add_u32_e32 v11, v7, v13
	v_mul_lo_u32 v9, v5, s5
	v_mul_lo_u32 v5, v5, s4
	;; [unrolled: 1-line block ×4, first 2 shown]
	v_lshrrev_b32_e32 v11, s20, v11
	v_add3_u32 v1, v5, v20, v1
	v_add3_u32 v9, v9, v22, v13
	v_mul_lo_u32 v5, v11, s18
	v_mul_hi_u32 v13, s22, v11
	v_sub_u32_e32 v5, v7, v5
	v_add_u32_e32 v7, v11, v13
	v_mul_lo_u32 v13, v5, s8
	v_mul_lo_u32 v15, v5, s9
	v_lshrrev_b32_e32 v5, s23, v7
	s_add_i32 s28, s28, 4
	v_mul_lo_u32 v7, v5, s21
	s_add_u32 s2, s2, 32
	v_sub_u32_e32 v7, v11, v7
	s_addc_u32 s3, s3, 0
	v_mul_lo_u32 v11, v7, s10
	v_mul_lo_u32 v7, v7, s11
	s_cmp_lg_u32 s26, s28
	v_add3_u32 v22, v15, v9, v7
	v_add3_u32 v20, v13, v1, v11
	s_cbranch_scc1 .LBB159_92
; %bb.93:
	v_mov_b32_e32 v1, v22
	s_and_b32 s6, s27, 3
	s_cmp_eq_u32 s6, 0
	s_cbranch_scc0 .LBB159_97
	s_branch .LBB159_99
.LBB159_94:
                                        ; implicit-def: $vgpr22
                                        ; implicit-def: $vgpr20
	s_branch .LBB159_100
.LBB159_95:
	v_mov_b32_e32 v22, 0
	v_mov_b32_e32 v20, 0
	s_branch .LBB159_99
.LBB159_96:
	v_mov_b32_e32 v20, 0
                                        ; implicit-def: $vgpr22
	v_mov_b32_e32 v1, v20
	v_mov_b32_e32 v5, v3
	s_and_b32 s6, s27, 3
	s_cmp_eq_u32 s6, 0
	s_cbranch_scc1 .LBB159_99
.LBB159_97:
	s_lshl_b32 s2, s26, 3
	s_add_u32 s2, s34, s2
	s_addc_u32 s3, s35, 0
	s_add_u32 s2, s2, 0xc4
	s_addc_u32 s3, s3, 0
	s_mul_i32 s4, s26, 12
	s_add_u32 s4, s34, s4
	s_addc_u32 s5, s35, 0
.LBB159_98:                             ; =>This Inner Loop Header: Depth=1
	s_load_dwordx2 s[8:9], s[4:5], 0x4
	s_load_dword s7, s[4:5], 0xc
	s_load_dwordx2 s[10:11], s[2:3], 0x0
	v_mov_b32_e32 v22, v1
	s_add_u32 s4, s4, 12
	s_waitcnt lgkmcnt(0)
	v_mul_hi_u32 v1, s9, v5
	v_add_u32_e32 v1, v5, v1
	v_lshrrev_b32_e32 v1, s7, v1
	s_addc_u32 s5, s5, 0
	v_mul_lo_u32 v7, v1, s8
	s_add_u32 s2, s2, 8
	v_sub_u32_e32 v7, v5, v7
	s_addc_u32 s3, s3, 0
	s_add_i32 s6, s6, -1
	v_mad_u64_u32 v[22:23], s[8:9], v7, s11, v[22:23]
	s_cmp_lg_u32 s6, 0
	v_mov_b32_e32 v5, v1
	v_mad_u64_u32 v[20:21], s[8:9], v7, s10, v[20:21]
	v_mov_b32_e32 v1, v22
	s_cbranch_scc1 .LBB159_98
.LBB159_99:
	s_cbranch_execnz .LBB159_102
.LBB159_100:
	s_load_dwordx4 s[4:7], s[34:35], 0x4
	s_load_dwordx2 s[2:3], s[34:35], 0xc4
	s_cmp_lt_u32 s33, 2
	s_waitcnt lgkmcnt(0)
	v_mul_hi_u32 v1, s5, v3
	v_add_u32_e32 v1, v3, v1
	v_lshrrev_b32_e32 v1, s6, v1
	v_mul_lo_u32 v5, v1, s4
	v_sub_u32_e32 v3, v3, v5
	v_mul_lo_u32 v22, v3, s3
	v_mul_lo_u32 v20, v3, s2
	s_cbranch_scc1 .LBB159_102
; %bb.101:
	s_load_dwordx4 s[4:7], s[34:35], 0x10
	s_load_dwordx2 s[2:3], s[34:35], 0xcc
	s_waitcnt lgkmcnt(0)
	v_mul_hi_u32 v3, s5, v1
	v_add_u32_e32 v3, v1, v3
	v_lshrrev_b32_e32 v3, s6, v3
	v_mul_lo_u32 v3, v3, s4
	v_sub_u32_e32 v1, v1, v3
	v_mad_u64_u32 v[20:21], s[4:5], v1, s2, v[20:21]
	v_mad_u64_u32 v[22:23], s[2:3], v1, s3, v[22:23]
.LBB159_102:
	s_and_b64 vcc, exec, s[0:1]
	v_add_u32_e32 v3, 0x300, v24
	s_cbranch_vccnz .LBB159_108
; %bb.103:
	s_cmp_lg_u32 s33, 0
	s_waitcnt lgkmcnt(0)
	s_mov_b32 s26, 0
	s_cbranch_scc0 .LBB159_109
; %bb.104:
	s_min_u32 s27, s54, 15
	s_add_i32 s27, s27, 1
	s_cmp_eq_u32 s54, 2
	s_cbranch_scc1 .LBB159_110
; %bb.105:
	s_and_b32 s26, s27, 28
	s_add_u32 s2, s34, 0xc4
	s_addc_u32 s3, s35, 0
	s_mov_b32 s28, 0
	v_mov_b32_e32 v24, 0
	v_mov_b32_e32 v26, 0
	s_mov_b64 s[24:25], s[34:35]
	v_mov_b32_e32 v5, v3
.LBB159_106:                            ; =>This Inner Loop Header: Depth=1
	s_load_dwordx8 s[12:19], s[24:25], 0x4
	s_load_dwordx4 s[20:23], s[24:25], 0x24
	s_load_dwordx8 s[4:11], s[2:3], 0x0
	s_add_u32 s24, s24, 48
	s_addc_u32 s25, s25, 0
	s_waitcnt lgkmcnt(0)
	v_mul_hi_u32 v1, s13, v5
	v_add_u32_e32 v1, v5, v1
	v_lshrrev_b32_e32 v1, s14, v1
	v_mul_lo_u32 v7, v1, s12
	v_mul_hi_u32 v9, s16, v1
	v_sub_u32_e32 v5, v5, v7
	v_add_u32_e32 v7, v1, v9
	v_lshrrev_b32_e32 v7, s17, v7
	v_mul_lo_u32 v11, v7, s15
	v_mul_hi_u32 v13, s19, v7
	v_sub_u32_e32 v1, v1, v11
	v_add_u32_e32 v11, v7, v13
	v_mul_lo_u32 v9, v5, s5
	v_mul_lo_u32 v5, v5, s4
	v_mul_lo_u32 v13, v1, s7
	v_mul_lo_u32 v1, v1, s6
	v_lshrrev_b32_e32 v11, s20, v11
	v_add3_u32 v1, v5, v24, v1
	v_add3_u32 v9, v9, v26, v13
	v_mul_lo_u32 v5, v11, s18
	v_mul_hi_u32 v13, s22, v11
	v_sub_u32_e32 v5, v7, v5
	v_add_u32_e32 v7, v11, v13
	v_mul_lo_u32 v13, v5, s8
	v_mul_lo_u32 v15, v5, s9
	v_lshrrev_b32_e32 v5, s23, v7
	s_add_i32 s28, s28, 4
	v_mul_lo_u32 v7, v5, s21
	s_add_u32 s2, s2, 32
	v_sub_u32_e32 v7, v11, v7
	s_addc_u32 s3, s3, 0
	v_mul_lo_u32 v11, v7, s10
	v_mul_lo_u32 v7, v7, s11
	s_cmp_lg_u32 s26, s28
	v_add3_u32 v26, v15, v9, v7
	v_add3_u32 v24, v13, v1, v11
	s_cbranch_scc1 .LBB159_106
; %bb.107:
	v_mov_b32_e32 v1, v26
	s_and_b32 s6, s27, 3
	s_cmp_eq_u32 s6, 0
	s_cbranch_scc0 .LBB159_111
	s_branch .LBB159_113
.LBB159_108:
                                        ; implicit-def: $vgpr26
                                        ; implicit-def: $vgpr24
	s_branch .LBB159_114
.LBB159_109:
	v_mov_b32_e32 v26, 0
	v_mov_b32_e32 v24, 0
	s_branch .LBB159_113
.LBB159_110:
	v_mov_b32_e32 v24, 0
                                        ; implicit-def: $vgpr26
	v_mov_b32_e32 v1, v24
	v_mov_b32_e32 v5, v3
	s_and_b32 s6, s27, 3
	s_cmp_eq_u32 s6, 0
	s_cbranch_scc1 .LBB159_113
.LBB159_111:
	s_lshl_b32 s2, s26, 3
	s_add_u32 s2, s34, s2
	s_addc_u32 s3, s35, 0
	s_add_u32 s2, s2, 0xc4
	s_addc_u32 s3, s3, 0
	s_mul_i32 s4, s26, 12
	s_add_u32 s4, s34, s4
	s_addc_u32 s5, s35, 0
.LBB159_112:                            ; =>This Inner Loop Header: Depth=1
	s_load_dwordx2 s[8:9], s[4:5], 0x4
	s_load_dword s7, s[4:5], 0xc
	s_load_dwordx2 s[10:11], s[2:3], 0x0
	v_mov_b32_e32 v26, v1
	s_add_u32 s4, s4, 12
	s_waitcnt lgkmcnt(0)
	v_mul_hi_u32 v1, s9, v5
	v_add_u32_e32 v1, v5, v1
	v_lshrrev_b32_e32 v1, s7, v1
	s_addc_u32 s5, s5, 0
	v_mul_lo_u32 v7, v1, s8
	s_add_u32 s2, s2, 8
	v_sub_u32_e32 v7, v5, v7
	s_addc_u32 s3, s3, 0
	s_add_i32 s6, s6, -1
	v_mad_u64_u32 v[26:27], s[8:9], v7, s11, v[26:27]
	s_cmp_lg_u32 s6, 0
	v_mov_b32_e32 v5, v1
	v_mad_u64_u32 v[24:25], s[8:9], v7, s10, v[24:25]
	v_mov_b32_e32 v1, v26
	s_cbranch_scc1 .LBB159_112
.LBB159_113:
	s_cbranch_execnz .LBB159_116
.LBB159_114:
	s_load_dwordx4 s[4:7], s[34:35], 0x4
	s_load_dwordx2 s[2:3], s[34:35], 0xc4
	s_cmp_lt_u32 s33, 2
	s_waitcnt lgkmcnt(0)
	v_mul_hi_u32 v1, s5, v3
	v_add_u32_e32 v1, v3, v1
	v_lshrrev_b32_e32 v1, s6, v1
	v_mul_lo_u32 v5, v1, s4
	v_sub_u32_e32 v3, v3, v5
	v_mul_lo_u32 v26, v3, s3
	v_mul_lo_u32 v24, v3, s2
	s_cbranch_scc1 .LBB159_116
; %bb.115:
	s_load_dwordx4 s[4:7], s[34:35], 0x10
	s_load_dwordx2 s[2:3], s[34:35], 0xcc
	s_waitcnt lgkmcnt(0)
	v_mul_hi_u32 v3, s5, v1
	v_add_u32_e32 v3, v1, v3
	v_lshrrev_b32_e32 v3, s6, v3
	v_mul_lo_u32 v3, v3, s4
	v_sub_u32_e32 v1, v1, v3
	v_mad_u64_u32 v[24:25], s[4:5], v1, s2, v[24:25]
	v_mad_u64_u32 v[26:27], s[2:3], v1, s3, v[26:27]
.LBB159_116:
	s_and_b64 vcc, exec, s[0:1]
	s_cbranch_vccnz .LBB159_122
; %bb.117:
	s_cmp_lg_u32 s33, 0
	s_waitcnt lgkmcnt(0)
	s_mov_b32 s24, 0
	s_cbranch_scc0 .LBB159_123
; %bb.118:
	s_min_u32 s25, s54, 15
	s_add_i32 s25, s25, 1
	s_cmp_eq_u32 s54, 2
	s_cbranch_scc1 .LBB159_124
; %bb.119:
	s_and_b32 s24, s25, 28
	s_add_u32 s20, s34, 0xc4
	s_addc_u32 s21, s35, 0
	s_mov_b32 s26, 0
	v_mov_b32_e32 v28, 0
	v_mov_b32_e32 v30, 0
	s_mov_b64 s[22:23], s[34:35]
	v_mov_b32_e32 v3, v32
.LBB159_120:                            ; =>This Inner Loop Header: Depth=1
	s_load_dwordx8 s[8:15], s[22:23], 0x4
	s_load_dwordx4 s[16:19], s[22:23], 0x24
	s_load_dwordx8 s[0:7], s[20:21], 0x0
	s_add_u32 s22, s22, 48
	s_addc_u32 s23, s23, 0
	s_waitcnt lgkmcnt(0)
	v_mul_hi_u32 v1, s9, v3
	v_add_u32_e32 v1, v3, v1
	v_lshrrev_b32_e32 v1, s10, v1
	v_mul_lo_u32 v5, v1, s8
	v_mul_hi_u32 v7, s12, v1
	v_sub_u32_e32 v3, v3, v5
	v_add_u32_e32 v5, v1, v7
	v_lshrrev_b32_e32 v5, s13, v5
	v_mul_lo_u32 v9, v5, s11
	v_mul_hi_u32 v11, s15, v5
	v_sub_u32_e32 v1, v1, v9
	v_add_u32_e32 v9, v5, v11
	v_mul_lo_u32 v7, v3, s1
	v_mul_lo_u32 v3, v3, s0
	v_mul_lo_u32 v11, v1, s3
	v_mul_lo_u32 v1, v1, s2
	v_lshrrev_b32_e32 v9, s16, v9
	v_add3_u32 v1, v3, v28, v1
	v_add3_u32 v7, v7, v30, v11
	v_mul_lo_u32 v3, v9, s14
	v_mul_hi_u32 v11, s18, v9
	v_sub_u32_e32 v3, v5, v3
	v_add_u32_e32 v5, v9, v11
	v_mul_lo_u32 v11, v3, s4
	v_mul_lo_u32 v13, v3, s5
	v_lshrrev_b32_e32 v3, s19, v5
	s_add_i32 s26, s26, 4
	v_mul_lo_u32 v5, v3, s17
	s_add_u32 s20, s20, 32
	v_sub_u32_e32 v5, v9, v5
	s_addc_u32 s21, s21, 0
	v_mul_lo_u32 v9, v5, s6
	v_mul_lo_u32 v5, v5, s7
	s_cmp_lg_u32 s24, s26
	v_add3_u32 v30, v13, v7, v5
	v_add3_u32 v28, v11, v1, v9
	s_cbranch_scc1 .LBB159_120
; %bb.121:
	v_mov_b32_e32 v1, v30
	s_and_b32 s4, s25, 3
	s_cmp_eq_u32 s4, 0
	s_cbranch_scc0 .LBB159_125
	s_branch .LBB159_127
.LBB159_122:
                                        ; implicit-def: $vgpr30
                                        ; implicit-def: $vgpr28
	s_branch .LBB159_128
.LBB159_123:
	v_mov_b32_e32 v30, 0
	v_mov_b32_e32 v28, 0
	s_branch .LBB159_127
.LBB159_124:
	v_mov_b32_e32 v28, 0
                                        ; implicit-def: $vgpr30
	v_mov_b32_e32 v1, v28
	v_mov_b32_e32 v3, v32
	s_and_b32 s4, s25, 3
	s_cmp_eq_u32 s4, 0
	s_cbranch_scc1 .LBB159_127
.LBB159_125:
	s_lshl_b32 s0, s24, 3
	s_add_u32 s0, s34, s0
	s_addc_u32 s1, s35, 0
	s_add_u32 s0, s0, 0xc4
	s_addc_u32 s1, s1, 0
	s_mul_i32 s2, s24, 12
	s_add_u32 s2, s34, s2
	s_addc_u32 s3, s35, 0
.LBB159_126:                            ; =>This Inner Loop Header: Depth=1
	s_load_dwordx2 s[6:7], s[2:3], 0x4
	s_load_dword s5, s[2:3], 0xc
	s_load_dwordx2 s[8:9], s[0:1], 0x0
	v_mov_b32_e32 v30, v1
	s_add_u32 s2, s2, 12
	s_waitcnt lgkmcnt(0)
	v_mul_hi_u32 v1, s7, v3
	v_add_u32_e32 v1, v3, v1
	v_lshrrev_b32_e32 v1, s5, v1
	s_addc_u32 s3, s3, 0
	v_mul_lo_u32 v5, v1, s6
	s_add_u32 s0, s0, 8
	v_sub_u32_e32 v5, v3, v5
	s_addc_u32 s1, s1, 0
	s_add_i32 s4, s4, -1
	v_mad_u64_u32 v[30:31], s[6:7], v5, s9, v[30:31]
	s_cmp_lg_u32 s4, 0
	v_mov_b32_e32 v3, v1
	v_mad_u64_u32 v[28:29], s[6:7], v5, s8, v[28:29]
	v_mov_b32_e32 v1, v30
	s_cbranch_scc1 .LBB159_126
.LBB159_127:
	s_cbranch_execnz .LBB159_130
.LBB159_128:
	s_load_dwordx4 s[0:3], s[34:35], 0x4
	s_load_dwordx2 s[4:5], s[34:35], 0xc4
	s_cmp_lt_u32 s33, 2
	s_waitcnt lgkmcnt(0)
	v_mul_hi_u32 v1, s1, v32
	v_add_u32_e32 v1, v32, v1
	v_lshrrev_b32_e32 v1, s2, v1
	v_mul_lo_u32 v3, v1, s0
	v_sub_u32_e32 v3, v32, v3
	v_mul_lo_u32 v30, v3, s5
	v_mul_lo_u32 v28, v3, s4
	s_cbranch_scc1 .LBB159_130
; %bb.129:
	s_load_dwordx4 s[0:3], s[34:35], 0x10
	s_load_dwordx2 s[4:5], s[34:35], 0xcc
	s_waitcnt lgkmcnt(0)
	v_mul_hi_u32 v3, s1, v1
	v_add_u32_e32 v3, v1, v3
	v_lshrrev_b32_e32 v3, s2, v3
	v_mul_lo_u32 v3, v3, s0
	v_sub_u32_e32 v1, v1, v3
	v_mad_u64_u32 v[28:29], s[0:1], v1, s4, v[28:29]
	v_mad_u64_u32 v[30:31], s[0:1], v1, s5, v[30:31]
.LBB159_130:
	s_load_dwordx4 s[8:11], s[34:35], 0x148
	s_mov_b32 s13, 0xbf317218
	v_mov_b32_e32 v9, 0x3ab69700
	s_mov_b32 s12, 0x43000000
	s_mov_b32 s7, 0x42b17217
	s_waitcnt lgkmcnt(0)
	global_load_ushort v11, v4, s[10:11]
	global_load_ushort v15, v8, s[10:11]
	;; [unrolled: 1-line block ×4, first 2 shown]
	s_nop 0
	global_load_ushort v12, v18, s[10:11]
	global_load_ushort v16, v22, s[10:11]
	;; [unrolled: 1-line block ×3, first 2 shown]
	v_mov_b32_e32 v4, 0x7f000000
	v_mov_b32_e32 v3, 0x7f800000
	s_mov_b32 s6, 0xcc40
	v_mov_b32_e32 v1, 0xbc00
	v_mov_b32_e32 v8, 0x3c0887f9
	v_mov_b32_e32 v7, 0x3d2aaa81
	v_mov_b32_e32 v5, 0x3e2aaaab
	s_waitcnt vmcnt(6)
	v_cvt_f32_f16_e32 v18, v11
	s_waitcnt vmcnt(5)
	v_cvt_f32_f16_e32 v21, v15
	;; [unrolled: 2-line block ×4, first 2 shown]
	v_mul_f32_e32 v25, 0x3fb8aa3b, v18
	v_rndne_f32_e32 v25, v25
	v_fma_mix_f32 v31, v25, s13, v11 op_sel_hi:[0,0,1]
	v_mul_f32_e32 v29, 0x3fb8aa3b, v23
	v_rndne_f32_e32 v29, v29
	v_mul_f32_e32 v26, 0x3fb8aa3b, v21
	v_cvt_i32_f32_e32 v38, v29
	v_fmac_f32_e32 v31, 0x3102e308, v25
	v_mul_f32_e32 v27, 0x3fb8aa3b, v22
	v_rndne_f32_e32 v26, v26
	v_cvt_i32_f32_e32 v32, v25
	v_fmamk_f32 v39, v31, 0x395133b1, v9
	v_rndne_f32_e32 v27, v27
	v_fma_mix_f32 v33, v26, s13, v15 op_sel_hi:[0,0,1]
	v_fmaak_f32 v39, v31, v39, 0x3c0887f9
	v_cvt_i32_f32_e32 v34, v26
	v_fma_mix_f32 v35, v27, s13, v13 op_sel_hi:[0,0,1]
	v_fmac_f32_e32 v33, 0x3102e308, v26
	v_fmaak_f32 v39, v31, v39, 0x3d2aaa81
	v_fma_mix_f32 v37, v29, s13, v17 op_sel_hi:[0,0,1]
	v_fmac_f32_e32 v35, 0x3102e308, v27
	v_fmamk_f32 v40, v33, 0x395133b1, v9
	v_ldexp_f32 v38, 1.0, v38
	v_fmaak_f32 v39, v31, v39, 0x3e2aaaab
	v_cmp_eq_f32_e64 s[4:5], s12, v29
	v_cvt_i32_f32_e32 v36, v27
	v_fmac_f32_e32 v37, 0x3102e308, v29
	v_fmamk_f32 v41, v35, 0x395133b1, v9
	v_fmaak_f32 v40, v33, v40, 0x3c0887f9
	v_ldexp_f32 v32, 1.0, v32
	v_cmp_eq_f32_e32 vcc, s12, v25
	v_cndmask_b32_e64 v29, v38, v4, s[4:5]
	v_fma_f32 v38, v31, v39, 0.5
	v_fmaak_f32 v41, v35, v41, 0x3c0887f9
	v_fmaak_f32 v40, v33, v40, 0x3d2aaa81
	v_cndmask_b32_e32 v25, v32, v4, vcc
	v_mul_f32_e32 v38, v31, v38
	v_ldexp_f32 v34, 1.0, v34
	v_fmaak_f32 v41, v35, v41, 0x3d2aaa81
	v_fmaak_f32 v32, v33, v40, 0x3e2aaaab
	v_cmp_eq_f32_e64 s[0:1], s12, v26
	v_add_f32_e32 v39, -1.0, v25
	v_fmac_f32_e32 v31, v31, v38
	v_cndmask_b32_e64 v26, v34, v4, s[0:1]
	v_fmaak_f32 v34, v35, v41, 0x3e2aaaab
	v_fma_f32 v32, v33, v32, 0.5
	v_fmac_f32_e32 v39, v25, v31
	v_ldexp_f32 v36, 1.0, v36
	v_cmp_eq_f32_e64 s[2:3], s12, v27
	v_fma_f32 v34, v35, v34, 0.5
	v_mul_f32_e32 v32, v33, v32
	v_add_f32_e32 v25, v39, v39
	v_cndmask_b32_e64 v27, v36, v4, s[2:3]
	v_add_f32_e32 v40, -1.0, v26
	v_mul_f32_e32 v34, v35, v34
	v_fmac_f32_e32 v33, v33, v32
	v_cndmask_b32_e32 v25, v39, v25, vcc
	v_cmp_nlt_f32_e32 vcc, s7, v18
	v_add_f32_e32 v41, -1.0, v27
	v_fmac_f32_e32 v35, v35, v34
	v_fmac_f32_e32 v40, v26, v33
	v_cndmask_b32_e32 v18, v3, v25, vcc
	v_fmac_f32_e32 v41, v27, v35
	v_add_f32_e32 v26, v40, v40
	v_cvt_f16_f32_e32 v18, v18
	v_add_f32_e32 v27, v41, v41
	v_cndmask_b32_e64 v26, v40, v26, s[0:1]
	v_cmp_nlt_f32_e32 vcc, s7, v21
	v_cndmask_b32_e64 v27, v41, v27, s[2:3]
	v_fmamk_f32 v42, v37, 0x395133b1, v9
	v_cndmask_b32_e32 v21, v3, v26, vcc
	v_cmp_nlt_f32_e32 vcc, s7, v22
	v_fmaak_f32 v42, v37, v42, 0x3c0887f9
	v_fmaak_f32 v42, v37, v42, 0x3d2aaa81
	v_cndmask_b32_e32 v22, v3, v27, vcc
	v_cmp_ngt_f16_e32 vcc, s6, v11
	v_fmaak_f32 v36, v37, v42, 0x3e2aaaab
	v_fma_f32 v36, v37, v36, 0.5
	v_cndmask_b32_e32 v11, v1, v18, vcc
	global_load_ushort v18, v30, s[10:11]
	v_cvt_f16_f32_e32 v21, v21
	v_mul_f32_e32 v36, v37, v36
	v_add_f32_e32 v42, -1.0, v29
	v_fmac_f32_e32 v37, v37, v36
	v_cmp_ngt_f16_e32 vcc, s6, v15
	v_fmac_f32_e32 v42, v29, v37
	v_cvt_f16_f32_e32 v22, v22
	v_cndmask_b32_e32 v15, v1, v21, vcc
	v_add_f32_e32 v21, v42, v42
	v_cndmask_b32_e64 v21, v42, v21, s[4:5]
	v_cmp_nlt_f32_e32 vcc, s7, v23
	s_waitcnt vmcnt(3)
	v_cvt_f32_f16_e32 v23, v12
	v_cndmask_b32_e32 v21, v3, v21, vcc
	v_cvt_f16_f32_e32 v21, v21
	v_cmp_ngt_f16_e32 vcc, s6, v13
	s_nop 1
	v_cndmask_b32_e32 v13, v1, v22, vcc
	v_cmp_ngt_f16_e32 vcc, s6, v17
	s_nop 1
	v_cndmask_b32_e32 v17, v1, v21, vcc
	v_mul_f32_e32 v21, 0x3fb8aa3b, v23
	v_rndne_f32_e32 v21, v21
	v_fma_mix_f32 v22, v21, s13, v12 op_sel_hi:[0,0,1]
	v_fmac_f32_e32 v22, 0x3102e308, v21
	v_fmamk_f32 v25, v22, 0x395133b1, v9
	v_fmaak_f32 v25, v22, v25, 0x3c0887f9
	v_fmaak_f32 v25, v22, v25, 0x3d2aaa81
	v_cvt_i32_f32_e32 v26, v21
	v_fmaak_f32 v25, v22, v25, 0x3e2aaaab
	v_fma_f32 v25, v22, v25, 0.5
	v_mul_f32_e32 v25, v22, v25
	v_fmac_f32_e32 v22, v22, v25
	v_ldexp_f32 v25, 1.0, v26
	v_cmp_eq_f32_e32 vcc, s12, v21
	s_nop 1
	v_cndmask_b32_e32 v21, v25, v4, vcc
	v_add_f32_e32 v25, -1.0, v21
	v_fmac_f32_e32 v25, v21, v22
	s_waitcnt vmcnt(2)
	v_cvt_f32_f16_e32 v22, v16
	v_add_f32_e32 v21, v25, v25
	v_cndmask_b32_e32 v21, v25, v21, vcc
	v_cmp_nlt_f32_e32 vcc, s7, v23
	v_mul_f32_e32 v23, 0x3fb8aa3b, v22
	v_rndne_f32_e32 v23, v23
	v_fma_mix_f32 v25, v23, s13, v16 op_sel_hi:[0,0,1]
	v_fmac_f32_e32 v25, 0x3102e308, v23
	v_fmamk_f32 v26, v25, 0x395133b1, v9
	v_fmaak_f32 v26, v25, v26, 0x3c0887f9
	v_fmaak_f32 v26, v25, v26, 0x3d2aaa81
	v_cvt_i32_f32_e32 v27, v23
	v_fmaak_f32 v26, v25, v26, 0x3e2aaaab
	v_fma_f32 v26, v25, v26, 0.5
	v_mul_f32_e32 v26, v25, v26
	v_cndmask_b32_e32 v21, v3, v21, vcc
	v_fmac_f32_e32 v25, v25, v26
	v_ldexp_f32 v26, 1.0, v27
	v_cmp_eq_f32_e32 vcc, s12, v23
	v_cvt_f16_f32_e32 v21, v21
	s_nop 0
	v_cndmask_b32_e32 v23, v26, v4, vcc
	v_add_f32_e32 v26, -1.0, v23
	v_fmac_f32_e32 v26, v23, v25
	v_add_f32_e32 v23, v26, v26
	v_cndmask_b32_e32 v23, v26, v23, vcc
	v_cmp_nlt_f32_e32 vcc, s7, v22
	s_nop 1
	v_cndmask_b32_e32 v22, v3, v23, vcc
	s_waitcnt vmcnt(1)
	v_cvt_f32_f16_e32 v23, v19
	v_cvt_f16_f32_e32 v22, v22
	v_cmp_ngt_f16_e32 vcc, s6, v12
	s_nop 1
	v_cndmask_b32_e32 v12, v1, v21, vcc
	v_mul_f32_e32 v21, 0x3fb8aa3b, v23
	v_cmp_ngt_f16_e32 vcc, s6, v16
	v_rndne_f32_e32 v21, v21
	v_cvt_i32_f32_e32 v26, v21
	v_cndmask_b32_e32 v16, v1, v22, vcc
	v_fma_mix_f32 v22, v21, s13, v19 op_sel_hi:[0,0,1]
	v_fmac_f32_e32 v22, 0x3102e308, v21
	v_fmamk_f32 v25, v22, 0x395133b1, v9
	v_fmaak_f32 v25, v22, v25, 0x3c0887f9
	v_fmaak_f32 v25, v22, v25, 0x3d2aaa81
	;; [unrolled: 1-line block ×3, first 2 shown]
	v_fma_f32 v25, v22, v25, 0.5
	v_mul_f32_e32 v25, v22, v25
	v_fmac_f32_e32 v22, v22, v25
	v_ldexp_f32 v25, 1.0, v26
	v_cmp_eq_f32_e32 vcc, s12, v21
	s_nop 1
	v_cndmask_b32_e32 v21, v25, v4, vcc
	v_add_f32_e32 v25, -1.0, v21
	v_fmac_f32_e32 v25, v21, v22
	s_waitcnt vmcnt(0)
	v_cvt_f32_f16_e32 v22, v18
	v_add_f32_e32 v21, v25, v25
	v_cndmask_b32_e32 v21, v25, v21, vcc
	v_cmp_nlt_f32_e32 vcc, s7, v23
	v_mul_f32_e32 v23, 0x3fb8aa3b, v22
	v_rndne_f32_e32 v23, v23
	v_fma_mix_f32 v25, v23, s13, v18 op_sel_hi:[0,0,1]
	v_fmac_f32_e32 v25, 0x3102e308, v23
	v_fmac_f32_e32 v9, 0x395133b1, v25
	;; [unrolled: 1-line block ×5, first 2 shown]
	v_cvt_i32_f32_e32 v7, v23
	v_fma_f32 v5, v25, v5, 0.5
	v_mul_f32_e32 v5, v25, v5
	v_cndmask_b32_e32 v21, v3, v21, vcc
	v_fmac_f32_e32 v25, v25, v5
	v_ldexp_f32 v5, 1.0, v7
	v_cmp_eq_f32_e32 vcc, s12, v23
	v_cvt_f16_f32_e32 v21, v21
	s_nop 0
	v_cndmask_b32_e32 v4, v5, v4, vcc
	v_add_f32_e32 v5, -1.0, v4
	v_fmac_f32_e32 v5, v4, v25
	v_add_f32_e32 v4, v5, v5
	v_cndmask_b32_e32 v4, v5, v4, vcc
	v_cmp_nlt_f32_e32 vcc, s7, v22
	s_nop 1
	v_cndmask_b32_e32 v3, v3, v4, vcc
	v_cvt_f16_f32_e32 v3, v3
	v_cmp_ngt_f16_e32 vcc, s6, v19
	s_nop 1
	v_cndmask_b32_e32 v4, v1, v21, vcc
	v_cmp_ngt_f16_e32 vcc, s6, v18
	s_nop 1
	v_cndmask_b32_e32 v1, v1, v3, vcc
	global_store_short v0, v11, s[8:9]
	global_store_short v2, v15, s[8:9]
	;; [unrolled: 1-line block ×8, first 2 shown]
	s_endpgm
.LBB159_131:
	v_mov_b32_e32 v2, 0
	v_mov_b32_e32 v0, 0
	s_branch .LBB159_137
.LBB159_132:
	v_mov_b32_e32 v2, 0
	v_mov_b32_e32 v0, 0
	s_branch .LBB159_154
.LBB159_133:
	v_mov_b32_e32 v0, 0
	s_mov_b32 s57, 0
	v_mov_b32_e32 v1, v0
                                        ; implicit-def: $vgpr2
	v_mov_b32_e32 v4, v24
.LBB159_134:
	s_and_b32 s4, s58, 3
	s_cmp_eq_u32 s4, 0
	s_cbranch_scc1 .LBB159_137
; %bb.135:
	s_lshl_b32 s0, s57, 3
	s_add_u32 s0, s34, s0
	s_addc_u32 s1, s35, 0
	s_add_u32 s0, s0, 0xc4
	s_addc_u32 s1, s1, 0
	s_mul_i32 s2, s57, 12
	s_add_u32 s2, s34, s2
	s_addc_u32 s3, s35, 0
.LBB159_136:                            ; =>This Inner Loop Header: Depth=1
	s_load_dwordx2 s[6:7], s[2:3], 0x4
	s_load_dword s5, s[2:3], 0xc
	s_load_dwordx2 s[8:9], s[0:1], 0x0
	v_mov_b32_e32 v2, v1
	s_add_u32 s2, s2, 12
	s_waitcnt lgkmcnt(0)
	v_mul_hi_u32 v1, s7, v4
	v_add_u32_e32 v1, v4, v1
	v_lshrrev_b32_e32 v1, s5, v1
	s_addc_u32 s3, s3, 0
	v_mul_lo_u32 v3, v1, s6
	s_add_u32 s0, s0, 8
	v_sub_u32_e32 v5, v4, v3
	s_addc_u32 s1, s1, 0
	s_add_i32 s4, s4, -1
	v_mov_b32_e32 v4, v1
	v_mad_u64_u32 v[2:3], s[6:7], v5, s9, v[2:3]
	v_mad_u64_u32 v[0:1], s[6:7], v5, s8, v[0:1]
	s_cmp_lg_u32 s4, 0
	v_mov_b32_e32 v1, v2
	s_cbranch_scc1 .LBB159_136
.LBB159_137:
	s_cbranch_execnz .LBB159_140
.LBB159_138:
	s_waitcnt lgkmcnt(0)
	v_mul_hi_u32 v0, s25, v24
	v_add_u32_e32 v0, v24, v0
	v_lshrrev_b32_e32 v1, s26, v0
	v_mul_lo_u32 v0, v1, s24
	v_sub_u32_e32 v0, v24, v0
	v_mul_lo_u32 v2, v0, s21
	s_andn2_b64 vcc, exec, s[42:43]
	v_mul_lo_u32 v0, v0, s20
	s_cbranch_vccnz .LBB159_140
; %bb.139:
	v_mul_hi_u32 v3, s40, v1
	v_add_u32_e32 v3, v1, v3
	v_lshrrev_b32_e32 v3, s41, v3
	v_mul_lo_u32 v3, v3, s27
	v_sub_u32_e32 v3, v1, v3
	v_mad_u64_u32 v[0:1], s[0:1], v3, s22, v[0:1]
	v_mad_u64_u32 v[2:3], s[0:1], v3, s23, v[2:3]
.LBB159_140:
	s_waitcnt lgkmcnt(0)
	global_load_ushort v1, v2, s[18:19]
	s_mov_b32 s0, 0xbf317218
	v_mov_b32_e32 v2, 0x3ab69700
	s_mov_b32 s1, 0x43000000
	v_mov_b32_e32 v4, 0x7f000000
	;; [unrolled: 2-line block ×3, first 2 shown]
	v_add_u32_e32 v24, 0x80, v24
	s_waitcnt vmcnt(0)
	v_cvt_f32_f16_e32 v3, v1
	v_mul_f32_e32 v6, 0x3fb8aa3b, v3
	v_rndne_f32_e32 v6, v6
	v_fma_mix_f32 v7, v6, s0, v1 op_sel_hi:[0,0,1]
	v_fmamk_f32 v7, v6, 0x3102e308, v7
	v_cvt_i32_f32_e32 v8, v6
	v_fmac_f32_e32 v2, 0x395133b1, v7
	v_fmaak_f32 v2, v7, v2, 0x3c0887f9
	v_fmaak_f32 v2, v7, v2, 0x3d2aaa81
	;; [unrolled: 1-line block ×3, first 2 shown]
	v_ldexp_f32 v8, 1.0, v8
	v_cmp_eq_f32_e32 vcc, s1, v6
	v_fma_f32 v2, v7, v2, 0.5
	v_mul_f32_e32 v2, v7, v2
	v_cndmask_b32_e32 v4, v8, v4, vcc
	v_add_f32_e32 v6, -1.0, v4
	v_fmac_f32_e32 v7, v7, v2
	v_fmac_f32_e32 v6, v4, v7
	v_add_f32_e32 v2, v6, v6
	v_cndmask_b32_e32 v2, v6, v2, vcc
	v_cmp_nlt_f32_e32 vcc, s2, v3
	s_mov_b32 s0, 0xcc40
	v_mov_b32_e32 v3, 0xbc00
	v_cndmask_b32_e32 v2, v5, v2, vcc
	v_cvt_f16_f32_e32 v2, v2
	v_cmp_ngt_f16_e32 vcc, s0, v1
	s_nop 1
	v_cndmask_b32_e32 v1, v3, v2, vcc
	global_store_short v0, v1, s[16:17]
	s_or_b64 exec, exec, s[48:49]
	v_cmp_gt_i32_e32 vcc, s55, v24
	s_and_saveexec_b64 s[48:49], vcc
	s_cbranch_execnz .LBB159_16
.LBB159_141:
	s_or_b64 exec, exec, s[48:49]
	v_cmp_gt_i32_e32 vcc, s55, v24
	s_and_saveexec_b64 s[48:49], vcc
	s_cbranch_execz .LBB159_158
.LBB159_142:
	s_andn2_b64 vcc, exec, s[36:37]
	s_cbranch_vccnz .LBB159_148
; %bb.143:
	s_andn2_b64 vcc, exec, s[46:47]
	s_cbranch_vccnz .LBB159_149
; %bb.144:
	s_add_i32 s58, s56, 1
	s_cmp_eq_u32 s54, 2
	s_cbranch_scc1 .LBB159_167
; %bb.145:
	s_and_b32 s57, s58, 28
	s_mov_b32 s59, 0
	v_mov_b32_e32 v0, 0
	v_mov_b32_e32 v2, 0
	s_mov_b64 s[50:51], s[34:35]
	s_mov_b64 s[52:53], s[44:45]
	v_mov_b32_e32 v4, v24
.LBB159_146:                            ; =>This Inner Loop Header: Depth=1
	s_load_dwordx8 s[8:15], s[50:51], 0x4
	s_load_dwordx4 s[28:31], s[50:51], 0x24
	s_load_dwordx8 s[0:7], s[52:53], 0x0
	s_add_u32 s50, s50, 48
	s_addc_u32 s51, s51, 0
	s_waitcnt lgkmcnt(0)
	v_mul_hi_u32 v1, s9, v4
	v_add_u32_e32 v1, v4, v1
	v_lshrrev_b32_e32 v1, s10, v1
	v_mul_lo_u32 v3, v1, s8
	v_mul_hi_u32 v5, s12, v1
	v_sub_u32_e32 v3, v4, v3
	v_add_u32_e32 v4, v1, v5
	v_lshrrev_b32_e32 v4, s13, v4
	v_mul_lo_u32 v6, v4, s11
	v_mul_hi_u32 v7, s15, v4
	v_sub_u32_e32 v1, v1, v6
	v_add_u32_e32 v6, v4, v7
	v_mul_lo_u32 v5, v3, s1
	v_mul_lo_u32 v3, v3, s0
	;; [unrolled: 1-line block ×4, first 2 shown]
	v_lshrrev_b32_e32 v6, s28, v6
	v_add3_u32 v0, v3, v0, v1
	v_mul_hi_u32 v3, s30, v6
	v_add3_u32 v1, v5, v2, v7
	v_mul_lo_u32 v2, v6, s14
	v_add_u32_e32 v3, v6, v3
	v_sub_u32_e32 v2, v4, v2
	v_lshrrev_b32_e32 v4, s31, v3
	s_add_i32 s59, s59, 4
	v_mul_lo_u32 v3, v4, s29
	s_add_u32 s52, s52, 32
	v_sub_u32_e32 v3, v6, v3
	s_addc_u32 s53, s53, 0
	v_mul_lo_u32 v5, v2, s4
	v_mul_lo_u32 v2, v2, s5
	;; [unrolled: 1-line block ×4, first 2 shown]
	s_cmp_eq_u32 s57, s59
	v_add3_u32 v2, v2, v1, v3
	v_add3_u32 v0, v5, v0, v6
	s_cbranch_scc0 .LBB159_146
; %bb.147:
	v_mov_b32_e32 v1, v2
	s_branch .LBB159_168
.LBB159_148:
                                        ; implicit-def: $vgpr2
                                        ; implicit-def: $vgpr0
	s_branch .LBB159_172
.LBB159_149:
	v_mov_b32_e32 v2, 0
	v_mov_b32_e32 v0, 0
	s_branch .LBB159_171
.LBB159_150:
	v_mov_b32_e32 v0, 0
	s_mov_b32 s57, 0
	v_mov_b32_e32 v1, v0
                                        ; implicit-def: $vgpr2
	v_mov_b32_e32 v4, v24
.LBB159_151:
	s_and_b32 s4, s58, 3
	s_cmp_eq_u32 s4, 0
	s_cbranch_scc1 .LBB159_154
; %bb.152:
	s_lshl_b32 s0, s57, 3
	s_add_u32 s0, s34, s0
	s_addc_u32 s1, s35, 0
	s_add_u32 s0, s0, 0xc4
	s_addc_u32 s1, s1, 0
	s_mul_i32 s2, s57, 12
	s_add_u32 s2, s34, s2
	s_addc_u32 s3, s35, 0
.LBB159_153:                            ; =>This Inner Loop Header: Depth=1
	s_load_dwordx2 s[6:7], s[2:3], 0x4
	s_load_dword s5, s[2:3], 0xc
	s_load_dwordx2 s[8:9], s[0:1], 0x0
	v_mov_b32_e32 v2, v1
	s_add_u32 s2, s2, 12
	s_waitcnt lgkmcnt(0)
	v_mul_hi_u32 v1, s7, v4
	v_add_u32_e32 v1, v4, v1
	v_lshrrev_b32_e32 v1, s5, v1
	s_addc_u32 s3, s3, 0
	v_mul_lo_u32 v3, v1, s6
	s_add_u32 s0, s0, 8
	v_sub_u32_e32 v5, v4, v3
	s_addc_u32 s1, s1, 0
	s_add_i32 s4, s4, -1
	v_mov_b32_e32 v4, v1
	v_mad_u64_u32 v[2:3], s[6:7], v5, s9, v[2:3]
	v_mad_u64_u32 v[0:1], s[6:7], v5, s8, v[0:1]
	s_cmp_lg_u32 s4, 0
	v_mov_b32_e32 v1, v2
	s_cbranch_scc1 .LBB159_153
.LBB159_154:
	s_cbranch_execnz .LBB159_157
.LBB159_155:
	s_waitcnt lgkmcnt(0)
	v_mul_hi_u32 v0, s25, v24
	v_add_u32_e32 v0, v24, v0
	v_lshrrev_b32_e32 v1, s26, v0
	v_mul_lo_u32 v0, v1, s24
	v_sub_u32_e32 v0, v24, v0
	v_mul_lo_u32 v2, v0, s21
	s_andn2_b64 vcc, exec, s[42:43]
	v_mul_lo_u32 v0, v0, s20
	s_cbranch_vccnz .LBB159_157
; %bb.156:
	v_mul_hi_u32 v3, s40, v1
	v_add_u32_e32 v3, v1, v3
	v_lshrrev_b32_e32 v3, s41, v3
	v_mul_lo_u32 v3, v3, s27
	v_sub_u32_e32 v3, v1, v3
	v_mad_u64_u32 v[0:1], s[0:1], v3, s22, v[0:1]
	v_mad_u64_u32 v[2:3], s[0:1], v3, s23, v[2:3]
.LBB159_157:
	s_waitcnt lgkmcnt(0)
	global_load_ushort v1, v2, s[18:19]
	s_mov_b32 s0, 0xbf317218
	v_mov_b32_e32 v2, 0x3ab69700
	s_mov_b32 s1, 0x43000000
	v_mov_b32_e32 v4, 0x7f000000
	;; [unrolled: 2-line block ×3, first 2 shown]
	v_add_u32_e32 v24, 0x80, v24
	s_waitcnt vmcnt(0)
	v_cvt_f32_f16_e32 v3, v1
	v_mul_f32_e32 v6, 0x3fb8aa3b, v3
	v_rndne_f32_e32 v6, v6
	v_fma_mix_f32 v7, v6, s0, v1 op_sel_hi:[0,0,1]
	v_fmamk_f32 v7, v6, 0x3102e308, v7
	v_cvt_i32_f32_e32 v8, v6
	v_fmac_f32_e32 v2, 0x395133b1, v7
	v_fmaak_f32 v2, v7, v2, 0x3c0887f9
	v_fmaak_f32 v2, v7, v2, 0x3d2aaa81
	;; [unrolled: 1-line block ×3, first 2 shown]
	v_ldexp_f32 v8, 1.0, v8
	v_cmp_eq_f32_e32 vcc, s1, v6
	v_fma_f32 v2, v7, v2, 0.5
	v_mul_f32_e32 v2, v7, v2
	v_cndmask_b32_e32 v4, v8, v4, vcc
	v_add_f32_e32 v6, -1.0, v4
	v_fmac_f32_e32 v7, v7, v2
	v_fmac_f32_e32 v6, v4, v7
	v_add_f32_e32 v2, v6, v6
	v_cndmask_b32_e32 v2, v6, v2, vcc
	v_cmp_nlt_f32_e32 vcc, s2, v3
	s_mov_b32 s0, 0xcc40
	v_mov_b32_e32 v3, 0xbc00
	v_cndmask_b32_e32 v2, v5, v2, vcc
	v_cvt_f16_f32_e32 v2, v2
	v_cmp_ngt_f16_e32 vcc, s0, v1
	s_nop 1
	v_cndmask_b32_e32 v1, v3, v2, vcc
	global_store_short v0, v1, s[16:17]
	s_or_b64 exec, exec, s[48:49]
	v_cmp_gt_i32_e32 vcc, s55, v24
	s_and_saveexec_b64 s[48:49], vcc
	s_cbranch_execnz .LBB159_142
.LBB159_158:
	s_or_b64 exec, exec, s[48:49]
	v_cmp_gt_i32_e32 vcc, s55, v24
	s_and_saveexec_b64 s[48:49], vcc
	s_cbranch_execz .LBB159_175
.LBB159_159:
	s_andn2_b64 vcc, exec, s[36:37]
	s_cbranch_vccnz .LBB159_165
; %bb.160:
	s_andn2_b64 vcc, exec, s[46:47]
	s_cbranch_vccnz .LBB159_166
; %bb.161:
	s_add_i32 s58, s56, 1
	s_cmp_eq_u32 s54, 2
	s_cbranch_scc1 .LBB159_184
; %bb.162:
	s_and_b32 s57, s58, 28
	s_mov_b32 s59, 0
	v_mov_b32_e32 v0, 0
	v_mov_b32_e32 v2, 0
	s_mov_b64 s[50:51], s[34:35]
	s_mov_b64 s[52:53], s[44:45]
	v_mov_b32_e32 v4, v24
.LBB159_163:                            ; =>This Inner Loop Header: Depth=1
	s_load_dwordx8 s[8:15], s[50:51], 0x4
	s_load_dwordx4 s[28:31], s[50:51], 0x24
	s_load_dwordx8 s[0:7], s[52:53], 0x0
	s_add_u32 s50, s50, 48
	s_addc_u32 s51, s51, 0
	s_waitcnt lgkmcnt(0)
	v_mul_hi_u32 v1, s9, v4
	v_add_u32_e32 v1, v4, v1
	v_lshrrev_b32_e32 v1, s10, v1
	v_mul_lo_u32 v3, v1, s8
	v_mul_hi_u32 v5, s12, v1
	v_sub_u32_e32 v3, v4, v3
	v_add_u32_e32 v4, v1, v5
	v_lshrrev_b32_e32 v4, s13, v4
	v_mul_lo_u32 v6, v4, s11
	v_mul_hi_u32 v7, s15, v4
	v_sub_u32_e32 v1, v1, v6
	v_add_u32_e32 v6, v4, v7
	v_mul_lo_u32 v5, v3, s1
	v_mul_lo_u32 v3, v3, s0
	;; [unrolled: 1-line block ×4, first 2 shown]
	v_lshrrev_b32_e32 v6, s28, v6
	v_add3_u32 v0, v3, v0, v1
	v_mul_hi_u32 v3, s30, v6
	v_add3_u32 v1, v5, v2, v7
	v_mul_lo_u32 v2, v6, s14
	v_add_u32_e32 v3, v6, v3
	v_sub_u32_e32 v2, v4, v2
	v_lshrrev_b32_e32 v4, s31, v3
	s_add_i32 s59, s59, 4
	v_mul_lo_u32 v3, v4, s29
	s_add_u32 s52, s52, 32
	v_sub_u32_e32 v3, v6, v3
	s_addc_u32 s53, s53, 0
	v_mul_lo_u32 v5, v2, s4
	v_mul_lo_u32 v2, v2, s5
	;; [unrolled: 1-line block ×4, first 2 shown]
	s_cmp_eq_u32 s57, s59
	v_add3_u32 v2, v2, v1, v3
	v_add3_u32 v0, v5, v0, v6
	s_cbranch_scc0 .LBB159_163
; %bb.164:
	v_mov_b32_e32 v1, v2
	s_branch .LBB159_185
.LBB159_165:
                                        ; implicit-def: $vgpr2
                                        ; implicit-def: $vgpr0
	s_branch .LBB159_189
.LBB159_166:
	v_mov_b32_e32 v2, 0
	v_mov_b32_e32 v0, 0
	s_branch .LBB159_188
.LBB159_167:
	v_mov_b32_e32 v0, 0
	s_mov_b32 s57, 0
	v_mov_b32_e32 v1, v0
                                        ; implicit-def: $vgpr2
	v_mov_b32_e32 v4, v24
.LBB159_168:
	s_and_b32 s4, s58, 3
	s_cmp_eq_u32 s4, 0
	s_cbranch_scc1 .LBB159_171
; %bb.169:
	s_lshl_b32 s0, s57, 3
	s_add_u32 s0, s34, s0
	s_addc_u32 s1, s35, 0
	s_add_u32 s0, s0, 0xc4
	s_addc_u32 s1, s1, 0
	s_mul_i32 s2, s57, 12
	s_add_u32 s2, s34, s2
	s_addc_u32 s3, s35, 0
.LBB159_170:                            ; =>This Inner Loop Header: Depth=1
	s_load_dwordx2 s[6:7], s[2:3], 0x4
	s_load_dword s5, s[2:3], 0xc
	s_load_dwordx2 s[8:9], s[0:1], 0x0
	v_mov_b32_e32 v2, v1
	s_add_u32 s2, s2, 12
	s_waitcnt lgkmcnt(0)
	v_mul_hi_u32 v1, s7, v4
	v_add_u32_e32 v1, v4, v1
	v_lshrrev_b32_e32 v1, s5, v1
	s_addc_u32 s3, s3, 0
	v_mul_lo_u32 v3, v1, s6
	s_add_u32 s0, s0, 8
	v_sub_u32_e32 v5, v4, v3
	s_addc_u32 s1, s1, 0
	s_add_i32 s4, s4, -1
	v_mov_b32_e32 v4, v1
	v_mad_u64_u32 v[2:3], s[6:7], v5, s9, v[2:3]
	v_mad_u64_u32 v[0:1], s[6:7], v5, s8, v[0:1]
	s_cmp_lg_u32 s4, 0
	v_mov_b32_e32 v1, v2
	s_cbranch_scc1 .LBB159_170
.LBB159_171:
	s_cbranch_execnz .LBB159_174
.LBB159_172:
	s_waitcnt lgkmcnt(0)
	v_mul_hi_u32 v0, s25, v24
	v_add_u32_e32 v0, v24, v0
	v_lshrrev_b32_e32 v1, s26, v0
	v_mul_lo_u32 v0, v1, s24
	v_sub_u32_e32 v0, v24, v0
	v_mul_lo_u32 v2, v0, s21
	s_andn2_b64 vcc, exec, s[42:43]
	v_mul_lo_u32 v0, v0, s20
	s_cbranch_vccnz .LBB159_174
; %bb.173:
	v_mul_hi_u32 v3, s40, v1
	v_add_u32_e32 v3, v1, v3
	v_lshrrev_b32_e32 v3, s41, v3
	v_mul_lo_u32 v3, v3, s27
	v_sub_u32_e32 v3, v1, v3
	v_mad_u64_u32 v[0:1], s[0:1], v3, s22, v[0:1]
	v_mad_u64_u32 v[2:3], s[0:1], v3, s23, v[2:3]
.LBB159_174:
	s_waitcnt lgkmcnt(0)
	global_load_ushort v1, v2, s[18:19]
	s_mov_b32 s0, 0xbf317218
	v_mov_b32_e32 v2, 0x3ab69700
	s_mov_b32 s1, 0x43000000
	v_mov_b32_e32 v4, 0x7f000000
	;; [unrolled: 2-line block ×3, first 2 shown]
	v_add_u32_e32 v24, 0x80, v24
	s_waitcnt vmcnt(0)
	v_cvt_f32_f16_e32 v3, v1
	v_mul_f32_e32 v6, 0x3fb8aa3b, v3
	v_rndne_f32_e32 v6, v6
	v_fma_mix_f32 v7, v6, s0, v1 op_sel_hi:[0,0,1]
	v_fmamk_f32 v7, v6, 0x3102e308, v7
	v_cvt_i32_f32_e32 v8, v6
	v_fmac_f32_e32 v2, 0x395133b1, v7
	v_fmaak_f32 v2, v7, v2, 0x3c0887f9
	v_fmaak_f32 v2, v7, v2, 0x3d2aaa81
	;; [unrolled: 1-line block ×3, first 2 shown]
	v_ldexp_f32 v8, 1.0, v8
	v_cmp_eq_f32_e32 vcc, s1, v6
	v_fma_f32 v2, v7, v2, 0.5
	v_mul_f32_e32 v2, v7, v2
	v_cndmask_b32_e32 v4, v8, v4, vcc
	v_add_f32_e32 v6, -1.0, v4
	v_fmac_f32_e32 v7, v7, v2
	v_fmac_f32_e32 v6, v4, v7
	v_add_f32_e32 v2, v6, v6
	v_cndmask_b32_e32 v2, v6, v2, vcc
	v_cmp_nlt_f32_e32 vcc, s2, v3
	s_mov_b32 s0, 0xcc40
	v_mov_b32_e32 v3, 0xbc00
	v_cndmask_b32_e32 v2, v5, v2, vcc
	v_cvt_f16_f32_e32 v2, v2
	v_cmp_ngt_f16_e32 vcc, s0, v1
	s_nop 1
	v_cndmask_b32_e32 v1, v3, v2, vcc
	global_store_short v0, v1, s[16:17]
	s_or_b64 exec, exec, s[48:49]
	v_cmp_gt_i32_e32 vcc, s55, v24
	s_and_saveexec_b64 s[48:49], vcc
	s_cbranch_execnz .LBB159_159
.LBB159_175:
	s_or_b64 exec, exec, s[48:49]
	v_cmp_gt_i32_e32 vcc, s55, v24
	s_and_saveexec_b64 s[48:49], vcc
	s_cbranch_execz .LBB159_192
.LBB159_176:
	s_andn2_b64 vcc, exec, s[36:37]
	s_cbranch_vccnz .LBB159_182
; %bb.177:
	s_andn2_b64 vcc, exec, s[46:47]
	s_cbranch_vccnz .LBB159_183
; %bb.178:
	s_add_i32 s58, s56, 1
	s_cmp_eq_u32 s54, 2
	s_cbranch_scc1 .LBB159_201
; %bb.179:
	s_and_b32 s57, s58, 28
	s_mov_b32 s59, 0
	v_mov_b32_e32 v0, 0
	v_mov_b32_e32 v2, 0
	s_mov_b64 s[50:51], s[34:35]
	s_mov_b64 s[52:53], s[44:45]
	v_mov_b32_e32 v4, v24
.LBB159_180:                            ; =>This Inner Loop Header: Depth=1
	s_load_dwordx8 s[8:15], s[50:51], 0x4
	s_load_dwordx4 s[28:31], s[50:51], 0x24
	s_load_dwordx8 s[0:7], s[52:53], 0x0
	s_add_u32 s50, s50, 48
	s_addc_u32 s51, s51, 0
	s_waitcnt lgkmcnt(0)
	v_mul_hi_u32 v1, s9, v4
	v_add_u32_e32 v1, v4, v1
	v_lshrrev_b32_e32 v1, s10, v1
	v_mul_lo_u32 v3, v1, s8
	v_mul_hi_u32 v5, s12, v1
	v_sub_u32_e32 v3, v4, v3
	v_add_u32_e32 v4, v1, v5
	v_lshrrev_b32_e32 v4, s13, v4
	v_mul_lo_u32 v6, v4, s11
	v_mul_hi_u32 v7, s15, v4
	v_sub_u32_e32 v1, v1, v6
	v_add_u32_e32 v6, v4, v7
	v_mul_lo_u32 v5, v3, s1
	v_mul_lo_u32 v3, v3, s0
	;; [unrolled: 1-line block ×4, first 2 shown]
	v_lshrrev_b32_e32 v6, s28, v6
	v_add3_u32 v0, v3, v0, v1
	v_mul_hi_u32 v3, s30, v6
	v_add3_u32 v1, v5, v2, v7
	v_mul_lo_u32 v2, v6, s14
	v_add_u32_e32 v3, v6, v3
	v_sub_u32_e32 v2, v4, v2
	v_lshrrev_b32_e32 v4, s31, v3
	s_add_i32 s59, s59, 4
	v_mul_lo_u32 v3, v4, s29
	s_add_u32 s52, s52, 32
	v_sub_u32_e32 v3, v6, v3
	s_addc_u32 s53, s53, 0
	v_mul_lo_u32 v5, v2, s4
	v_mul_lo_u32 v2, v2, s5
	;; [unrolled: 1-line block ×4, first 2 shown]
	s_cmp_eq_u32 s57, s59
	v_add3_u32 v2, v2, v1, v3
	v_add3_u32 v0, v5, v0, v6
	s_cbranch_scc0 .LBB159_180
; %bb.181:
	v_mov_b32_e32 v1, v2
	s_branch .LBB159_202
.LBB159_182:
                                        ; implicit-def: $vgpr2
                                        ; implicit-def: $vgpr0
	s_branch .LBB159_206
.LBB159_183:
	v_mov_b32_e32 v2, 0
	v_mov_b32_e32 v0, 0
	s_branch .LBB159_205
.LBB159_184:
	v_mov_b32_e32 v0, 0
	s_mov_b32 s57, 0
	v_mov_b32_e32 v1, v0
                                        ; implicit-def: $vgpr2
	v_mov_b32_e32 v4, v24
.LBB159_185:
	s_and_b32 s4, s58, 3
	s_cmp_eq_u32 s4, 0
	s_cbranch_scc1 .LBB159_188
; %bb.186:
	s_lshl_b32 s0, s57, 3
	s_add_u32 s0, s34, s0
	s_addc_u32 s1, s35, 0
	s_add_u32 s0, s0, 0xc4
	s_addc_u32 s1, s1, 0
	s_mul_i32 s2, s57, 12
	s_add_u32 s2, s34, s2
	s_addc_u32 s3, s35, 0
.LBB159_187:                            ; =>This Inner Loop Header: Depth=1
	s_load_dwordx2 s[6:7], s[2:3], 0x4
	s_load_dword s5, s[2:3], 0xc
	s_load_dwordx2 s[8:9], s[0:1], 0x0
	v_mov_b32_e32 v2, v1
	s_add_u32 s2, s2, 12
	s_waitcnt lgkmcnt(0)
	v_mul_hi_u32 v1, s7, v4
	v_add_u32_e32 v1, v4, v1
	v_lshrrev_b32_e32 v1, s5, v1
	s_addc_u32 s3, s3, 0
	v_mul_lo_u32 v3, v1, s6
	s_add_u32 s0, s0, 8
	v_sub_u32_e32 v5, v4, v3
	s_addc_u32 s1, s1, 0
	s_add_i32 s4, s4, -1
	v_mov_b32_e32 v4, v1
	v_mad_u64_u32 v[2:3], s[6:7], v5, s9, v[2:3]
	v_mad_u64_u32 v[0:1], s[6:7], v5, s8, v[0:1]
	s_cmp_lg_u32 s4, 0
	v_mov_b32_e32 v1, v2
	s_cbranch_scc1 .LBB159_187
.LBB159_188:
	s_cbranch_execnz .LBB159_191
.LBB159_189:
	s_waitcnt lgkmcnt(0)
	v_mul_hi_u32 v0, s25, v24
	v_add_u32_e32 v0, v24, v0
	v_lshrrev_b32_e32 v1, s26, v0
	v_mul_lo_u32 v0, v1, s24
	v_sub_u32_e32 v0, v24, v0
	v_mul_lo_u32 v2, v0, s21
	s_andn2_b64 vcc, exec, s[42:43]
	v_mul_lo_u32 v0, v0, s20
	s_cbranch_vccnz .LBB159_191
; %bb.190:
	v_mul_hi_u32 v3, s40, v1
	v_add_u32_e32 v3, v1, v3
	v_lshrrev_b32_e32 v3, s41, v3
	v_mul_lo_u32 v3, v3, s27
	v_sub_u32_e32 v3, v1, v3
	v_mad_u64_u32 v[0:1], s[0:1], v3, s22, v[0:1]
	v_mad_u64_u32 v[2:3], s[0:1], v3, s23, v[2:3]
.LBB159_191:
	s_waitcnt lgkmcnt(0)
	global_load_ushort v1, v2, s[18:19]
	s_mov_b32 s0, 0xbf317218
	v_mov_b32_e32 v2, 0x3ab69700
	s_mov_b32 s1, 0x43000000
	v_mov_b32_e32 v4, 0x7f000000
	;; [unrolled: 2-line block ×3, first 2 shown]
	v_add_u32_e32 v24, 0x80, v24
	s_waitcnt vmcnt(0)
	v_cvt_f32_f16_e32 v3, v1
	v_mul_f32_e32 v6, 0x3fb8aa3b, v3
	v_rndne_f32_e32 v6, v6
	v_fma_mix_f32 v7, v6, s0, v1 op_sel_hi:[0,0,1]
	v_fmamk_f32 v7, v6, 0x3102e308, v7
	v_cvt_i32_f32_e32 v8, v6
	v_fmac_f32_e32 v2, 0x395133b1, v7
	v_fmaak_f32 v2, v7, v2, 0x3c0887f9
	v_fmaak_f32 v2, v7, v2, 0x3d2aaa81
	;; [unrolled: 1-line block ×3, first 2 shown]
	v_ldexp_f32 v8, 1.0, v8
	v_cmp_eq_f32_e32 vcc, s1, v6
	v_fma_f32 v2, v7, v2, 0.5
	v_mul_f32_e32 v2, v7, v2
	v_cndmask_b32_e32 v4, v8, v4, vcc
	v_add_f32_e32 v6, -1.0, v4
	v_fmac_f32_e32 v7, v7, v2
	v_fmac_f32_e32 v6, v4, v7
	v_add_f32_e32 v2, v6, v6
	v_cndmask_b32_e32 v2, v6, v2, vcc
	v_cmp_nlt_f32_e32 vcc, s2, v3
	s_mov_b32 s0, 0xcc40
	v_mov_b32_e32 v3, 0xbc00
	v_cndmask_b32_e32 v2, v5, v2, vcc
	v_cvt_f16_f32_e32 v2, v2
	v_cmp_ngt_f16_e32 vcc, s0, v1
	s_nop 1
	v_cndmask_b32_e32 v1, v3, v2, vcc
	global_store_short v0, v1, s[16:17]
	s_or_b64 exec, exec, s[48:49]
	v_cmp_gt_i32_e32 vcc, s55, v24
	s_and_saveexec_b64 s[48:49], vcc
	s_cbranch_execnz .LBB159_176
.LBB159_192:
	s_or_b64 exec, exec, s[48:49]
	v_cmp_gt_i32_e32 vcc, s55, v24
	s_and_saveexec_b64 s[48:49], vcc
	s_cbranch_execz .LBB159_209
.LBB159_193:
	s_andn2_b64 vcc, exec, s[36:37]
	s_cbranch_vccnz .LBB159_199
; %bb.194:
	s_andn2_b64 vcc, exec, s[46:47]
	s_cbranch_vccnz .LBB159_200
; %bb.195:
	s_add_i32 s58, s56, 1
	s_cmp_eq_u32 s54, 2
	s_cbranch_scc1 .LBB159_218
; %bb.196:
	s_and_b32 s57, s58, 28
	s_mov_b32 s59, 0
	v_mov_b32_e32 v0, 0
	v_mov_b32_e32 v2, 0
	s_mov_b64 s[50:51], s[34:35]
	s_mov_b64 s[52:53], s[44:45]
	v_mov_b32_e32 v4, v24
.LBB159_197:                            ; =>This Inner Loop Header: Depth=1
	s_load_dwordx8 s[8:15], s[50:51], 0x4
	s_load_dwordx4 s[28:31], s[50:51], 0x24
	s_load_dwordx8 s[0:7], s[52:53], 0x0
	s_add_u32 s50, s50, 48
	s_addc_u32 s51, s51, 0
	s_waitcnt lgkmcnt(0)
	v_mul_hi_u32 v1, s9, v4
	v_add_u32_e32 v1, v4, v1
	v_lshrrev_b32_e32 v1, s10, v1
	v_mul_lo_u32 v3, v1, s8
	v_mul_hi_u32 v5, s12, v1
	v_sub_u32_e32 v3, v4, v3
	v_add_u32_e32 v4, v1, v5
	v_lshrrev_b32_e32 v4, s13, v4
	v_mul_lo_u32 v6, v4, s11
	v_mul_hi_u32 v7, s15, v4
	v_sub_u32_e32 v1, v1, v6
	v_add_u32_e32 v6, v4, v7
	v_mul_lo_u32 v5, v3, s1
	v_mul_lo_u32 v3, v3, s0
	;; [unrolled: 1-line block ×4, first 2 shown]
	v_lshrrev_b32_e32 v6, s28, v6
	v_add3_u32 v0, v3, v0, v1
	v_mul_hi_u32 v3, s30, v6
	v_add3_u32 v1, v5, v2, v7
	v_mul_lo_u32 v2, v6, s14
	v_add_u32_e32 v3, v6, v3
	v_sub_u32_e32 v2, v4, v2
	v_lshrrev_b32_e32 v4, s31, v3
	s_add_i32 s59, s59, 4
	v_mul_lo_u32 v3, v4, s29
	s_add_u32 s52, s52, 32
	v_sub_u32_e32 v3, v6, v3
	s_addc_u32 s53, s53, 0
	v_mul_lo_u32 v5, v2, s4
	v_mul_lo_u32 v2, v2, s5
	;; [unrolled: 1-line block ×4, first 2 shown]
	s_cmp_eq_u32 s57, s59
	v_add3_u32 v2, v2, v1, v3
	v_add3_u32 v0, v5, v0, v6
	s_cbranch_scc0 .LBB159_197
; %bb.198:
	v_mov_b32_e32 v1, v2
	s_branch .LBB159_219
.LBB159_199:
                                        ; implicit-def: $vgpr2
                                        ; implicit-def: $vgpr0
	s_branch .LBB159_223
.LBB159_200:
	v_mov_b32_e32 v2, 0
	v_mov_b32_e32 v0, 0
	s_branch .LBB159_222
.LBB159_201:
	v_mov_b32_e32 v0, 0
	s_mov_b32 s57, 0
	v_mov_b32_e32 v1, v0
                                        ; implicit-def: $vgpr2
	v_mov_b32_e32 v4, v24
.LBB159_202:
	s_and_b32 s4, s58, 3
	s_cmp_eq_u32 s4, 0
	s_cbranch_scc1 .LBB159_205
; %bb.203:
	s_lshl_b32 s0, s57, 3
	s_add_u32 s0, s34, s0
	s_addc_u32 s1, s35, 0
	s_add_u32 s0, s0, 0xc4
	s_addc_u32 s1, s1, 0
	s_mul_i32 s2, s57, 12
	s_add_u32 s2, s34, s2
	s_addc_u32 s3, s35, 0
.LBB159_204:                            ; =>This Inner Loop Header: Depth=1
	s_load_dwordx2 s[6:7], s[2:3], 0x4
	s_load_dword s5, s[2:3], 0xc
	s_load_dwordx2 s[8:9], s[0:1], 0x0
	v_mov_b32_e32 v2, v1
	s_add_u32 s2, s2, 12
	s_waitcnt lgkmcnt(0)
	v_mul_hi_u32 v1, s7, v4
	v_add_u32_e32 v1, v4, v1
	v_lshrrev_b32_e32 v1, s5, v1
	s_addc_u32 s3, s3, 0
	v_mul_lo_u32 v3, v1, s6
	s_add_u32 s0, s0, 8
	v_sub_u32_e32 v5, v4, v3
	s_addc_u32 s1, s1, 0
	s_add_i32 s4, s4, -1
	v_mov_b32_e32 v4, v1
	v_mad_u64_u32 v[2:3], s[6:7], v5, s9, v[2:3]
	v_mad_u64_u32 v[0:1], s[6:7], v5, s8, v[0:1]
	s_cmp_lg_u32 s4, 0
	v_mov_b32_e32 v1, v2
	s_cbranch_scc1 .LBB159_204
.LBB159_205:
	s_cbranch_execnz .LBB159_208
.LBB159_206:
	s_waitcnt lgkmcnt(0)
	v_mul_hi_u32 v0, s25, v24
	v_add_u32_e32 v0, v24, v0
	v_lshrrev_b32_e32 v1, s26, v0
	v_mul_lo_u32 v0, v1, s24
	v_sub_u32_e32 v0, v24, v0
	v_mul_lo_u32 v2, v0, s21
	s_andn2_b64 vcc, exec, s[42:43]
	v_mul_lo_u32 v0, v0, s20
	s_cbranch_vccnz .LBB159_208
; %bb.207:
	v_mul_hi_u32 v3, s40, v1
	v_add_u32_e32 v3, v1, v3
	v_lshrrev_b32_e32 v3, s41, v3
	v_mul_lo_u32 v3, v3, s27
	v_sub_u32_e32 v3, v1, v3
	v_mad_u64_u32 v[0:1], s[0:1], v3, s22, v[0:1]
	v_mad_u64_u32 v[2:3], s[0:1], v3, s23, v[2:3]
.LBB159_208:
	s_waitcnt lgkmcnt(0)
	global_load_ushort v1, v2, s[18:19]
	s_mov_b32 s0, 0xbf317218
	v_mov_b32_e32 v2, 0x3ab69700
	s_mov_b32 s1, 0x43000000
	v_mov_b32_e32 v4, 0x7f000000
	;; [unrolled: 2-line block ×3, first 2 shown]
	v_add_u32_e32 v24, 0x80, v24
	s_waitcnt vmcnt(0)
	v_cvt_f32_f16_e32 v3, v1
	v_mul_f32_e32 v6, 0x3fb8aa3b, v3
	v_rndne_f32_e32 v6, v6
	v_fma_mix_f32 v7, v6, s0, v1 op_sel_hi:[0,0,1]
	v_fmamk_f32 v7, v6, 0x3102e308, v7
	v_cvt_i32_f32_e32 v8, v6
	v_fmac_f32_e32 v2, 0x395133b1, v7
	v_fmaak_f32 v2, v7, v2, 0x3c0887f9
	v_fmaak_f32 v2, v7, v2, 0x3d2aaa81
	;; [unrolled: 1-line block ×3, first 2 shown]
	v_ldexp_f32 v8, 1.0, v8
	v_cmp_eq_f32_e32 vcc, s1, v6
	v_fma_f32 v2, v7, v2, 0.5
	v_mul_f32_e32 v2, v7, v2
	v_cndmask_b32_e32 v4, v8, v4, vcc
	v_add_f32_e32 v6, -1.0, v4
	v_fmac_f32_e32 v7, v7, v2
	v_fmac_f32_e32 v6, v4, v7
	v_add_f32_e32 v2, v6, v6
	v_cndmask_b32_e32 v2, v6, v2, vcc
	v_cmp_nlt_f32_e32 vcc, s2, v3
	s_mov_b32 s0, 0xcc40
	v_mov_b32_e32 v3, 0xbc00
	v_cndmask_b32_e32 v2, v5, v2, vcc
	v_cvt_f16_f32_e32 v2, v2
	v_cmp_ngt_f16_e32 vcc, s0, v1
	s_nop 1
	v_cndmask_b32_e32 v1, v3, v2, vcc
	global_store_short v0, v1, s[16:17]
	s_or_b64 exec, exec, s[48:49]
	v_cmp_gt_i32_e32 vcc, s55, v24
	s_and_saveexec_b64 s[48:49], vcc
	s_cbranch_execnz .LBB159_193
.LBB159_209:
	s_or_b64 exec, exec, s[48:49]
	v_cmp_gt_i32_e32 vcc, s55, v24
	s_and_saveexec_b64 s[48:49], vcc
	s_cbranch_execz .LBB159_226
.LBB159_210:
	s_andn2_b64 vcc, exec, s[36:37]
	s_cbranch_vccnz .LBB159_216
; %bb.211:
	s_andn2_b64 vcc, exec, s[46:47]
	s_cbranch_vccnz .LBB159_217
; %bb.212:
	s_add_i32 s58, s56, 1
	s_cmp_eq_u32 s54, 2
	s_cbranch_scc1 .LBB159_229
; %bb.213:
	s_and_b32 s57, s58, 28
	s_mov_b32 s59, 0
	v_mov_b32_e32 v0, 0
	v_mov_b32_e32 v2, 0
	s_mov_b64 s[50:51], s[34:35]
	s_mov_b64 s[52:53], s[44:45]
	v_mov_b32_e32 v4, v24
.LBB159_214:                            ; =>This Inner Loop Header: Depth=1
	s_load_dwordx8 s[8:15], s[50:51], 0x4
	s_load_dwordx4 s[28:31], s[50:51], 0x24
	s_load_dwordx8 s[0:7], s[52:53], 0x0
	s_add_u32 s50, s50, 48
	s_addc_u32 s51, s51, 0
	s_waitcnt lgkmcnt(0)
	v_mul_hi_u32 v1, s9, v4
	v_add_u32_e32 v1, v4, v1
	v_lshrrev_b32_e32 v1, s10, v1
	v_mul_lo_u32 v3, v1, s8
	v_mul_hi_u32 v5, s12, v1
	v_sub_u32_e32 v3, v4, v3
	v_add_u32_e32 v4, v1, v5
	v_lshrrev_b32_e32 v4, s13, v4
	v_mul_lo_u32 v6, v4, s11
	v_mul_hi_u32 v7, s15, v4
	v_sub_u32_e32 v1, v1, v6
	v_add_u32_e32 v6, v4, v7
	v_mul_lo_u32 v5, v3, s1
	v_mul_lo_u32 v3, v3, s0
	;; [unrolled: 1-line block ×4, first 2 shown]
	v_lshrrev_b32_e32 v6, s28, v6
	v_add3_u32 v0, v3, v0, v1
	v_mul_hi_u32 v3, s30, v6
	v_add3_u32 v1, v5, v2, v7
	v_mul_lo_u32 v2, v6, s14
	v_add_u32_e32 v3, v6, v3
	v_sub_u32_e32 v2, v4, v2
	v_lshrrev_b32_e32 v4, s31, v3
	s_add_i32 s59, s59, 4
	v_mul_lo_u32 v3, v4, s29
	s_add_u32 s52, s52, 32
	v_sub_u32_e32 v3, v6, v3
	s_addc_u32 s53, s53, 0
	v_mul_lo_u32 v5, v2, s4
	v_mul_lo_u32 v2, v2, s5
	;; [unrolled: 1-line block ×4, first 2 shown]
	s_cmp_eq_u32 s57, s59
	v_add3_u32 v2, v2, v1, v3
	v_add3_u32 v0, v5, v0, v6
	s_cbranch_scc0 .LBB159_214
; %bb.215:
	v_mov_b32_e32 v1, v2
	s_branch .LBB159_230
.LBB159_216:
                                        ; implicit-def: $vgpr2
                                        ; implicit-def: $vgpr0
	s_branch .LBB159_234
.LBB159_217:
	v_mov_b32_e32 v2, 0
	v_mov_b32_e32 v0, 0
	s_branch .LBB159_233
.LBB159_218:
	v_mov_b32_e32 v0, 0
	s_mov_b32 s57, 0
	v_mov_b32_e32 v1, v0
                                        ; implicit-def: $vgpr2
	v_mov_b32_e32 v4, v24
.LBB159_219:
	s_and_b32 s4, s58, 3
	s_cmp_eq_u32 s4, 0
	s_cbranch_scc1 .LBB159_222
; %bb.220:
	s_lshl_b32 s0, s57, 3
	s_add_u32 s0, s34, s0
	s_addc_u32 s1, s35, 0
	s_add_u32 s0, s0, 0xc4
	s_addc_u32 s1, s1, 0
	s_mul_i32 s2, s57, 12
	s_add_u32 s2, s34, s2
	s_addc_u32 s3, s35, 0
.LBB159_221:                            ; =>This Inner Loop Header: Depth=1
	s_load_dwordx2 s[6:7], s[2:3], 0x4
	s_load_dword s5, s[2:3], 0xc
	s_load_dwordx2 s[8:9], s[0:1], 0x0
	v_mov_b32_e32 v2, v1
	s_add_u32 s2, s2, 12
	s_waitcnt lgkmcnt(0)
	v_mul_hi_u32 v1, s7, v4
	v_add_u32_e32 v1, v4, v1
	v_lshrrev_b32_e32 v1, s5, v1
	s_addc_u32 s3, s3, 0
	v_mul_lo_u32 v3, v1, s6
	s_add_u32 s0, s0, 8
	v_sub_u32_e32 v5, v4, v3
	s_addc_u32 s1, s1, 0
	s_add_i32 s4, s4, -1
	v_mov_b32_e32 v4, v1
	v_mad_u64_u32 v[2:3], s[6:7], v5, s9, v[2:3]
	v_mad_u64_u32 v[0:1], s[6:7], v5, s8, v[0:1]
	s_cmp_lg_u32 s4, 0
	v_mov_b32_e32 v1, v2
	s_cbranch_scc1 .LBB159_221
.LBB159_222:
	s_cbranch_execnz .LBB159_225
.LBB159_223:
	s_waitcnt lgkmcnt(0)
	v_mul_hi_u32 v0, s25, v24
	v_add_u32_e32 v0, v24, v0
	v_lshrrev_b32_e32 v1, s26, v0
	v_mul_lo_u32 v0, v1, s24
	v_sub_u32_e32 v0, v24, v0
	v_mul_lo_u32 v2, v0, s21
	s_andn2_b64 vcc, exec, s[42:43]
	v_mul_lo_u32 v0, v0, s20
	s_cbranch_vccnz .LBB159_225
; %bb.224:
	v_mul_hi_u32 v3, s40, v1
	v_add_u32_e32 v3, v1, v3
	v_lshrrev_b32_e32 v3, s41, v3
	v_mul_lo_u32 v3, v3, s27
	v_sub_u32_e32 v3, v1, v3
	v_mad_u64_u32 v[0:1], s[0:1], v3, s22, v[0:1]
	v_mad_u64_u32 v[2:3], s[0:1], v3, s23, v[2:3]
.LBB159_225:
	s_waitcnt lgkmcnt(0)
	global_load_ushort v1, v2, s[18:19]
	s_mov_b32 s0, 0xbf317218
	v_mov_b32_e32 v2, 0x3ab69700
	s_mov_b32 s1, 0x43000000
	v_mov_b32_e32 v4, 0x7f000000
	s_mov_b32 s2, 0x42b17217
	v_mov_b32_e32 v5, 0x7f800000
	v_add_u32_e32 v24, 0x80, v24
	s_waitcnt vmcnt(0)
	v_cvt_f32_f16_e32 v3, v1
	v_mul_f32_e32 v6, 0x3fb8aa3b, v3
	v_rndne_f32_e32 v6, v6
	v_fma_mix_f32 v7, v6, s0, v1 op_sel_hi:[0,0,1]
	v_fmamk_f32 v7, v6, 0x3102e308, v7
	v_cvt_i32_f32_e32 v8, v6
	v_fmac_f32_e32 v2, 0x395133b1, v7
	v_fmaak_f32 v2, v7, v2, 0x3c0887f9
	v_fmaak_f32 v2, v7, v2, 0x3d2aaa81
	;; [unrolled: 1-line block ×3, first 2 shown]
	v_ldexp_f32 v8, 1.0, v8
	v_cmp_eq_f32_e32 vcc, s1, v6
	v_fma_f32 v2, v7, v2, 0.5
	v_mul_f32_e32 v2, v7, v2
	v_cndmask_b32_e32 v4, v8, v4, vcc
	v_add_f32_e32 v6, -1.0, v4
	v_fmac_f32_e32 v7, v7, v2
	v_fmac_f32_e32 v6, v4, v7
	v_add_f32_e32 v2, v6, v6
	v_cndmask_b32_e32 v2, v6, v2, vcc
	v_cmp_nlt_f32_e32 vcc, s2, v3
	s_mov_b32 s0, 0xcc40
	v_mov_b32_e32 v3, 0xbc00
	v_cndmask_b32_e32 v2, v5, v2, vcc
	v_cvt_f16_f32_e32 v2, v2
	v_cmp_ngt_f16_e32 vcc, s0, v1
	s_nop 1
	v_cndmask_b32_e32 v1, v3, v2, vcc
	global_store_short v0, v1, s[16:17]
	s_or_b64 exec, exec, s[48:49]
	v_cmp_gt_i32_e32 vcc, s55, v24
	s_and_saveexec_b64 s[48:49], vcc
	s_cbranch_execnz .LBB159_210
.LBB159_226:
	s_or_b64 exec, exec, s[48:49]
	v_cmp_gt_i32_e32 vcc, s55, v24
	s_and_saveexec_b64 s[48:49], vcc
	s_cbranch_execnz .LBB159_237
.LBB159_227:
	s_or_b64 exec, exec, s[48:49]
                                        ; implicit-def: $vgpr32
                                        ; implicit-def: $vgpr24
	s_andn2_saveexec_b64 s[0:1], s[38:39]
	s_cbranch_execnz .LBB159_9
.LBB159_228:
	s_endpgm
.LBB159_229:
	v_mov_b32_e32 v0, 0
	s_mov_b32 s57, 0
	v_mov_b32_e32 v1, v0
                                        ; implicit-def: $vgpr2
	v_mov_b32_e32 v4, v24
.LBB159_230:
	s_and_b32 s4, s58, 3
	s_cmp_eq_u32 s4, 0
	s_cbranch_scc1 .LBB159_233
; %bb.231:
	s_lshl_b32 s0, s57, 3
	s_add_u32 s0, s34, s0
	s_addc_u32 s1, s35, 0
	s_add_u32 s0, s0, 0xc4
	s_addc_u32 s1, s1, 0
	s_mul_i32 s2, s57, 12
	s_add_u32 s2, s34, s2
	s_addc_u32 s3, s35, 0
.LBB159_232:                            ; =>This Inner Loop Header: Depth=1
	s_load_dwordx2 s[6:7], s[2:3], 0x4
	s_load_dword s5, s[2:3], 0xc
	s_load_dwordx2 s[8:9], s[0:1], 0x0
	v_mov_b32_e32 v2, v1
	s_add_u32 s2, s2, 12
	s_waitcnt lgkmcnt(0)
	v_mul_hi_u32 v1, s7, v4
	v_add_u32_e32 v1, v4, v1
	v_lshrrev_b32_e32 v1, s5, v1
	s_addc_u32 s3, s3, 0
	v_mul_lo_u32 v3, v1, s6
	s_add_u32 s0, s0, 8
	v_sub_u32_e32 v5, v4, v3
	s_addc_u32 s1, s1, 0
	s_add_i32 s4, s4, -1
	v_mov_b32_e32 v4, v1
	v_mad_u64_u32 v[2:3], s[6:7], v5, s9, v[2:3]
	v_mad_u64_u32 v[0:1], s[6:7], v5, s8, v[0:1]
	s_cmp_lg_u32 s4, 0
	v_mov_b32_e32 v1, v2
	s_cbranch_scc1 .LBB159_232
.LBB159_233:
	s_cbranch_execnz .LBB159_236
.LBB159_234:
	s_waitcnt lgkmcnt(0)
	v_mul_hi_u32 v0, s25, v24
	v_add_u32_e32 v0, v24, v0
	v_lshrrev_b32_e32 v1, s26, v0
	v_mul_lo_u32 v0, v1, s24
	v_sub_u32_e32 v0, v24, v0
	v_mul_lo_u32 v2, v0, s21
	s_andn2_b64 vcc, exec, s[42:43]
	v_mul_lo_u32 v0, v0, s20
	s_cbranch_vccnz .LBB159_236
; %bb.235:
	v_mul_hi_u32 v3, s40, v1
	v_add_u32_e32 v3, v1, v3
	v_lshrrev_b32_e32 v3, s41, v3
	v_mul_lo_u32 v3, v3, s27
	v_sub_u32_e32 v3, v1, v3
	v_mad_u64_u32 v[0:1], s[0:1], v3, s22, v[0:1]
	v_mad_u64_u32 v[2:3], s[0:1], v3, s23, v[2:3]
.LBB159_236:
	s_waitcnt lgkmcnt(0)
	global_load_ushort v1, v2, s[18:19]
	s_mov_b32 s0, 0xbf317218
	v_mov_b32_e32 v2, 0x3ab69700
	s_mov_b32 s1, 0x43000000
	v_mov_b32_e32 v4, 0x7f000000
	;; [unrolled: 2-line block ×3, first 2 shown]
	v_add_u32_e32 v24, 0x80, v24
	s_waitcnt vmcnt(0)
	v_cvt_f32_f16_e32 v3, v1
	v_mul_f32_e32 v6, 0x3fb8aa3b, v3
	v_rndne_f32_e32 v6, v6
	v_fma_mix_f32 v7, v6, s0, v1 op_sel_hi:[0,0,1]
	v_fmamk_f32 v7, v6, 0x3102e308, v7
	v_cvt_i32_f32_e32 v8, v6
	v_fmac_f32_e32 v2, 0x395133b1, v7
	v_fmaak_f32 v2, v7, v2, 0x3c0887f9
	v_fmaak_f32 v2, v7, v2, 0x3d2aaa81
	;; [unrolled: 1-line block ×3, first 2 shown]
	v_ldexp_f32 v8, 1.0, v8
	v_cmp_eq_f32_e32 vcc, s1, v6
	v_fma_f32 v2, v7, v2, 0.5
	v_mul_f32_e32 v2, v7, v2
	v_cndmask_b32_e32 v4, v8, v4, vcc
	v_add_f32_e32 v6, -1.0, v4
	v_fmac_f32_e32 v7, v7, v2
	v_fmac_f32_e32 v6, v4, v7
	v_add_f32_e32 v2, v6, v6
	v_cndmask_b32_e32 v2, v6, v2, vcc
	v_cmp_nlt_f32_e32 vcc, s2, v3
	s_mov_b32 s0, 0xcc40
	v_mov_b32_e32 v3, 0xbc00
	v_cndmask_b32_e32 v2, v5, v2, vcc
	v_cvt_f16_f32_e32 v2, v2
	v_cmp_ngt_f16_e32 vcc, s0, v1
	s_nop 1
	v_cndmask_b32_e32 v1, v3, v2, vcc
	global_store_short v0, v1, s[16:17]
	s_or_b64 exec, exec, s[48:49]
	v_cmp_gt_i32_e32 vcc, s55, v24
	s_and_saveexec_b64 s[48:49], vcc
	s_cbranch_execz .LBB159_227
.LBB159_237:
	s_andn2_b64 vcc, exec, s[36:37]
	s_cbranch_vccnz .LBB159_243
; %bb.238:
	s_andn2_b64 vcc, exec, s[46:47]
	s_cbranch_vccnz .LBB159_244
; %bb.239:
	s_add_i32 s56, s56, 1
	s_cmp_eq_u32 s54, 2
	s_cbranch_scc1 .LBB159_245
; %bb.240:
	s_and_b32 s50, s56, 28
	s_mov_b32 s51, 0
	v_mov_b32_e32 v0, 0
	v_mov_b32_e32 v2, 0
	s_mov_b64 s[46:47], s[34:35]
	v_mov_b32_e32 v4, v24
.LBB159_241:                            ; =>This Inner Loop Header: Depth=1
	s_load_dwordx8 s[8:15], s[46:47], 0x4
	s_load_dwordx4 s[28:31], s[46:47], 0x24
	s_load_dwordx8 s[0:7], s[44:45], 0x0
	s_add_u32 s46, s46, 48
	s_addc_u32 s47, s47, 0
	s_waitcnt lgkmcnt(0)
	v_mul_hi_u32 v1, s9, v4
	v_add_u32_e32 v1, v4, v1
	v_lshrrev_b32_e32 v1, s10, v1
	v_mul_lo_u32 v3, v1, s8
	v_mul_hi_u32 v5, s12, v1
	v_sub_u32_e32 v3, v4, v3
	v_add_u32_e32 v4, v1, v5
	v_lshrrev_b32_e32 v4, s13, v4
	v_mul_lo_u32 v6, v4, s11
	v_mul_hi_u32 v7, s15, v4
	v_sub_u32_e32 v1, v1, v6
	v_add_u32_e32 v6, v4, v7
	v_mul_lo_u32 v5, v3, s1
	v_mul_lo_u32 v3, v3, s0
	;; [unrolled: 1-line block ×4, first 2 shown]
	v_lshrrev_b32_e32 v6, s28, v6
	v_add3_u32 v0, v3, v0, v1
	v_mul_hi_u32 v3, s30, v6
	v_add3_u32 v1, v5, v2, v7
	v_mul_lo_u32 v2, v6, s14
	v_add_u32_e32 v3, v6, v3
	v_sub_u32_e32 v2, v4, v2
	v_lshrrev_b32_e32 v4, s31, v3
	s_add_i32 s51, s51, 4
	v_mul_lo_u32 v3, v4, s29
	s_add_u32 s44, s44, 32
	v_sub_u32_e32 v3, v6, v3
	s_addc_u32 s45, s45, 0
	v_mul_lo_u32 v5, v2, s4
	v_mul_lo_u32 v2, v2, s5
	;; [unrolled: 1-line block ×4, first 2 shown]
	s_cmp_eq_u32 s50, s51
	v_add3_u32 v2, v2, v1, v3
	v_add3_u32 v0, v5, v0, v6
	s_cbranch_scc0 .LBB159_241
; %bb.242:
	v_mov_b32_e32 v1, v2
	s_branch .LBB159_246
.LBB159_243:
                                        ; implicit-def: $vgpr2
                                        ; implicit-def: $vgpr0
	s_branch .LBB159_250
.LBB159_244:
	v_mov_b32_e32 v2, 0
	v_mov_b32_e32 v0, 0
	s_branch .LBB159_249
.LBB159_245:
	v_mov_b32_e32 v0, 0
	s_mov_b32 s50, 0
	v_mov_b32_e32 v1, v0
                                        ; implicit-def: $vgpr2
	v_mov_b32_e32 v4, v24
.LBB159_246:
	s_and_b32 s4, s56, 3
	s_cmp_eq_u32 s4, 0
	s_cbranch_scc1 .LBB159_249
; %bb.247:
	s_lshl_b32 s0, s50, 3
	s_add_u32 s0, s34, s0
	s_addc_u32 s1, s35, 0
	s_add_u32 s0, s0, 0xc4
	s_addc_u32 s1, s1, 0
	s_mul_i32 s2, s50, 12
	s_add_u32 s2, s34, s2
	s_addc_u32 s3, s35, 0
.LBB159_248:                            ; =>This Inner Loop Header: Depth=1
	s_load_dwordx2 s[6:7], s[2:3], 0x4
	s_load_dword s5, s[2:3], 0xc
	s_load_dwordx2 s[8:9], s[0:1], 0x0
	v_mov_b32_e32 v2, v1
	s_add_u32 s2, s2, 12
	s_waitcnt lgkmcnt(0)
	v_mul_hi_u32 v1, s7, v4
	v_add_u32_e32 v1, v4, v1
	v_lshrrev_b32_e32 v1, s5, v1
	s_addc_u32 s3, s3, 0
	v_mul_lo_u32 v3, v1, s6
	s_add_u32 s0, s0, 8
	v_sub_u32_e32 v5, v4, v3
	s_addc_u32 s1, s1, 0
	s_add_i32 s4, s4, -1
	v_mov_b32_e32 v4, v1
	v_mad_u64_u32 v[2:3], s[6:7], v5, s9, v[2:3]
	v_mad_u64_u32 v[0:1], s[6:7], v5, s8, v[0:1]
	s_cmp_lg_u32 s4, 0
	v_mov_b32_e32 v1, v2
	s_cbranch_scc1 .LBB159_248
.LBB159_249:
	s_cbranch_execnz .LBB159_252
.LBB159_250:
	s_waitcnt lgkmcnt(0)
	v_mul_hi_u32 v0, s25, v24
	v_add_u32_e32 v0, v24, v0
	v_lshrrev_b32_e32 v1, s26, v0
	v_mul_lo_u32 v0, v1, s24
	v_sub_u32_e32 v0, v24, v0
	v_mul_lo_u32 v2, v0, s21
	s_andn2_b64 vcc, exec, s[42:43]
	v_mul_lo_u32 v0, v0, s20
	s_cbranch_vccnz .LBB159_252
; %bb.251:
	v_mul_hi_u32 v3, s40, v1
	v_add_u32_e32 v3, v1, v3
	v_lshrrev_b32_e32 v3, s41, v3
	v_mul_lo_u32 v3, v3, s27
	v_sub_u32_e32 v3, v1, v3
	v_mad_u64_u32 v[0:1], s[0:1], v3, s22, v[0:1]
	v_mad_u64_u32 v[2:3], s[0:1], v3, s23, v[2:3]
.LBB159_252:
	s_waitcnt lgkmcnt(0)
	global_load_ushort v1, v2, s[18:19]
	s_mov_b32 s0, 0xbf317218
	v_mov_b32_e32 v2, 0x3ab69700
	s_mov_b32 s1, 0x43000000
	v_mov_b32_e32 v4, 0x7f000000
	;; [unrolled: 2-line block ×3, first 2 shown]
	s_waitcnt vmcnt(0)
	v_cvt_f32_f16_e32 v3, v1
	v_mul_f32_e32 v6, 0x3fb8aa3b, v3
	v_rndne_f32_e32 v6, v6
	v_fma_mix_f32 v7, v6, s0, v1 op_sel_hi:[0,0,1]
	v_fmamk_f32 v7, v6, 0x3102e308, v7
	v_cvt_i32_f32_e32 v8, v6
	v_fmac_f32_e32 v2, 0x395133b1, v7
	v_fmaak_f32 v2, v7, v2, 0x3c0887f9
	v_fmaak_f32 v2, v7, v2, 0x3d2aaa81
	;; [unrolled: 1-line block ×3, first 2 shown]
	v_ldexp_f32 v8, 1.0, v8
	v_cmp_eq_f32_e32 vcc, s1, v6
	v_fma_f32 v2, v7, v2, 0.5
	v_mul_f32_e32 v2, v7, v2
	v_cndmask_b32_e32 v4, v8, v4, vcc
	v_add_f32_e32 v6, -1.0, v4
	v_fmac_f32_e32 v7, v7, v2
	v_fmac_f32_e32 v6, v4, v7
	v_add_f32_e32 v2, v6, v6
	v_cndmask_b32_e32 v2, v6, v2, vcc
	v_cmp_nlt_f32_e32 vcc, s2, v3
	s_mov_b32 s0, 0xcc40
	v_mov_b32_e32 v3, 0xbc00
	v_cndmask_b32_e32 v2, v5, v2, vcc
	v_cvt_f16_f32_e32 v2, v2
	v_cmp_ngt_f16_e32 vcc, s0, v1
	s_nop 1
	v_cndmask_b32_e32 v1, v3, v2, vcc
	global_store_short v0, v1, s[16:17]
	s_or_b64 exec, exec, s[48:49]
                                        ; implicit-def: $vgpr32
                                        ; implicit-def: $vgpr24
	s_andn2_saveexec_b64 s[0:1], s[38:39]
	s_cbranch_execz .LBB159_228
	s_branch .LBB159_9
	.section	.rodata,"a",@progbits
	.p2align	6, 0x0
	.amdhsa_kernel _ZN2at6native32elementwise_kernel_manual_unrollILi128ELi8EZNS0_22gpu_kernel_impl_nocastIZZZNS0_17expm1_kernel_cudaERNS_18TensorIteratorBaseEENKUlvE_clEvENKUlvE4_clEvEUlN3c104HalfEE_EEvS4_RKT_EUlibE_EEviT1_
		.amdhsa_group_segment_fixed_size 0
		.amdhsa_private_segment_fixed_size 0
		.amdhsa_kernarg_size 360
		.amdhsa_user_sgpr_count 2
		.amdhsa_user_sgpr_dispatch_ptr 0
		.amdhsa_user_sgpr_queue_ptr 0
		.amdhsa_user_sgpr_kernarg_segment_ptr 1
		.amdhsa_user_sgpr_dispatch_id 0
		.amdhsa_user_sgpr_kernarg_preload_length 0
		.amdhsa_user_sgpr_kernarg_preload_offset 0
		.amdhsa_user_sgpr_private_segment_size 0
		.amdhsa_uses_dynamic_stack 0
		.amdhsa_enable_private_segment 0
		.amdhsa_system_sgpr_workgroup_id_x 1
		.amdhsa_system_sgpr_workgroup_id_y 0
		.amdhsa_system_sgpr_workgroup_id_z 0
		.amdhsa_system_sgpr_workgroup_info 0
		.amdhsa_system_vgpr_workitem_id 0
		.amdhsa_next_free_vgpr 43
		.amdhsa_next_free_sgpr 60
		.amdhsa_accum_offset 44
		.amdhsa_reserve_vcc 1
		.amdhsa_float_round_mode_32 0
		.amdhsa_float_round_mode_16_64 0
		.amdhsa_float_denorm_mode_32 3
		.amdhsa_float_denorm_mode_16_64 3
		.amdhsa_dx10_clamp 1
		.amdhsa_ieee_mode 1
		.amdhsa_fp16_overflow 0
		.amdhsa_tg_split 0
		.amdhsa_exception_fp_ieee_invalid_op 0
		.amdhsa_exception_fp_denorm_src 0
		.amdhsa_exception_fp_ieee_div_zero 0
		.amdhsa_exception_fp_ieee_overflow 0
		.amdhsa_exception_fp_ieee_underflow 0
		.amdhsa_exception_fp_ieee_inexact 0
		.amdhsa_exception_int_div_zero 0
	.end_amdhsa_kernel
	.section	.text._ZN2at6native32elementwise_kernel_manual_unrollILi128ELi8EZNS0_22gpu_kernel_impl_nocastIZZZNS0_17expm1_kernel_cudaERNS_18TensorIteratorBaseEENKUlvE_clEvENKUlvE4_clEvEUlN3c104HalfEE_EEvS4_RKT_EUlibE_EEviT1_,"axG",@progbits,_ZN2at6native32elementwise_kernel_manual_unrollILi128ELi8EZNS0_22gpu_kernel_impl_nocastIZZZNS0_17expm1_kernel_cudaERNS_18TensorIteratorBaseEENKUlvE_clEvENKUlvE4_clEvEUlN3c104HalfEE_EEvS4_RKT_EUlibE_EEviT1_,comdat
.Lfunc_end159:
	.size	_ZN2at6native32elementwise_kernel_manual_unrollILi128ELi8EZNS0_22gpu_kernel_impl_nocastIZZZNS0_17expm1_kernel_cudaERNS_18TensorIteratorBaseEENKUlvE_clEvENKUlvE4_clEvEUlN3c104HalfEE_EEvS4_RKT_EUlibE_EEviT1_, .Lfunc_end159-_ZN2at6native32elementwise_kernel_manual_unrollILi128ELi8EZNS0_22gpu_kernel_impl_nocastIZZZNS0_17expm1_kernel_cudaERNS_18TensorIteratorBaseEENKUlvE_clEvENKUlvE4_clEvEUlN3c104HalfEE_EEvS4_RKT_EUlibE_EEviT1_
                                        ; -- End function
	.set _ZN2at6native32elementwise_kernel_manual_unrollILi128ELi8EZNS0_22gpu_kernel_impl_nocastIZZZNS0_17expm1_kernel_cudaERNS_18TensorIteratorBaseEENKUlvE_clEvENKUlvE4_clEvEUlN3c104HalfEE_EEvS4_RKT_EUlibE_EEviT1_.num_vgpr, 43
	.set _ZN2at6native32elementwise_kernel_manual_unrollILi128ELi8EZNS0_22gpu_kernel_impl_nocastIZZZNS0_17expm1_kernel_cudaERNS_18TensorIteratorBaseEENKUlvE_clEvENKUlvE4_clEvEUlN3c104HalfEE_EEvS4_RKT_EUlibE_EEviT1_.num_agpr, 0
	.set _ZN2at6native32elementwise_kernel_manual_unrollILi128ELi8EZNS0_22gpu_kernel_impl_nocastIZZZNS0_17expm1_kernel_cudaERNS_18TensorIteratorBaseEENKUlvE_clEvENKUlvE4_clEvEUlN3c104HalfEE_EEvS4_RKT_EUlibE_EEviT1_.numbered_sgpr, 60
	.set _ZN2at6native32elementwise_kernel_manual_unrollILi128ELi8EZNS0_22gpu_kernel_impl_nocastIZZZNS0_17expm1_kernel_cudaERNS_18TensorIteratorBaseEENKUlvE_clEvENKUlvE4_clEvEUlN3c104HalfEE_EEvS4_RKT_EUlibE_EEviT1_.num_named_barrier, 0
	.set _ZN2at6native32elementwise_kernel_manual_unrollILi128ELi8EZNS0_22gpu_kernel_impl_nocastIZZZNS0_17expm1_kernel_cudaERNS_18TensorIteratorBaseEENKUlvE_clEvENKUlvE4_clEvEUlN3c104HalfEE_EEvS4_RKT_EUlibE_EEviT1_.private_seg_size, 0
	.set _ZN2at6native32elementwise_kernel_manual_unrollILi128ELi8EZNS0_22gpu_kernel_impl_nocastIZZZNS0_17expm1_kernel_cudaERNS_18TensorIteratorBaseEENKUlvE_clEvENKUlvE4_clEvEUlN3c104HalfEE_EEvS4_RKT_EUlibE_EEviT1_.uses_vcc, 1
	.set _ZN2at6native32elementwise_kernel_manual_unrollILi128ELi8EZNS0_22gpu_kernel_impl_nocastIZZZNS0_17expm1_kernel_cudaERNS_18TensorIteratorBaseEENKUlvE_clEvENKUlvE4_clEvEUlN3c104HalfEE_EEvS4_RKT_EUlibE_EEviT1_.uses_flat_scratch, 0
	.set _ZN2at6native32elementwise_kernel_manual_unrollILi128ELi8EZNS0_22gpu_kernel_impl_nocastIZZZNS0_17expm1_kernel_cudaERNS_18TensorIteratorBaseEENKUlvE_clEvENKUlvE4_clEvEUlN3c104HalfEE_EEvS4_RKT_EUlibE_EEviT1_.has_dyn_sized_stack, 0
	.set _ZN2at6native32elementwise_kernel_manual_unrollILi128ELi8EZNS0_22gpu_kernel_impl_nocastIZZZNS0_17expm1_kernel_cudaERNS_18TensorIteratorBaseEENKUlvE_clEvENKUlvE4_clEvEUlN3c104HalfEE_EEvS4_RKT_EUlibE_EEviT1_.has_recursion, 0
	.set _ZN2at6native32elementwise_kernel_manual_unrollILi128ELi8EZNS0_22gpu_kernel_impl_nocastIZZZNS0_17expm1_kernel_cudaERNS_18TensorIteratorBaseEENKUlvE_clEvENKUlvE4_clEvEUlN3c104HalfEE_EEvS4_RKT_EUlibE_EEviT1_.has_indirect_call, 0
	.section	.AMDGPU.csdata,"",@progbits
; Kernel info:
; codeLenInByte = 14272
; TotalNumSgprs: 66
; NumVgprs: 43
; NumAgprs: 0
; TotalNumVgprs: 43
; ScratchSize: 0
; MemoryBound: 0
; FloatMode: 240
; IeeeMode: 1
; LDSByteSize: 0 bytes/workgroup (compile time only)
; SGPRBlocks: 8
; VGPRBlocks: 5
; NumSGPRsForWavesPerEU: 66
; NumVGPRsForWavesPerEU: 43
; AccumOffset: 44
; Occupancy: 8
; WaveLimiterHint : 1
; COMPUTE_PGM_RSRC2:SCRATCH_EN: 0
; COMPUTE_PGM_RSRC2:USER_SGPR: 2
; COMPUTE_PGM_RSRC2:TRAP_HANDLER: 0
; COMPUTE_PGM_RSRC2:TGID_X_EN: 1
; COMPUTE_PGM_RSRC2:TGID_Y_EN: 0
; COMPUTE_PGM_RSRC2:TGID_Z_EN: 0
; COMPUTE_PGM_RSRC2:TIDIG_COMP_CNT: 0
; COMPUTE_PGM_RSRC3_GFX90A:ACCUM_OFFSET: 10
; COMPUTE_PGM_RSRC3_GFX90A:TG_SPLIT: 0
	.section	.text._ZN2at6native32elementwise_kernel_manual_unrollILi128ELi4EZNS0_15gpu_kernel_implIZZZNS0_17expm1_kernel_cudaERNS_18TensorIteratorBaseEENKUlvE_clEvENKUlvE4_clEvEUlN3c104HalfEE_EEvS4_RKT_EUlibE_EEviT1_,"axG",@progbits,_ZN2at6native32elementwise_kernel_manual_unrollILi128ELi4EZNS0_15gpu_kernel_implIZZZNS0_17expm1_kernel_cudaERNS_18TensorIteratorBaseEENKUlvE_clEvENKUlvE4_clEvEUlN3c104HalfEE_EEvS4_RKT_EUlibE_EEviT1_,comdat
	.globl	_ZN2at6native32elementwise_kernel_manual_unrollILi128ELi4EZNS0_15gpu_kernel_implIZZZNS0_17expm1_kernel_cudaERNS_18TensorIteratorBaseEENKUlvE_clEvENKUlvE4_clEvEUlN3c104HalfEE_EEvS4_RKT_EUlibE_EEviT1_ ; -- Begin function _ZN2at6native32elementwise_kernel_manual_unrollILi128ELi4EZNS0_15gpu_kernel_implIZZZNS0_17expm1_kernel_cudaERNS_18TensorIteratorBaseEENKUlvE_clEvENKUlvE4_clEvEUlN3c104HalfEE_EEvS4_RKT_EUlibE_EEviT1_
	.p2align	8
	.type	_ZN2at6native32elementwise_kernel_manual_unrollILi128ELi4EZNS0_15gpu_kernel_implIZZZNS0_17expm1_kernel_cudaERNS_18TensorIteratorBaseEENKUlvE_clEvENKUlvE4_clEvEUlN3c104HalfEE_EEvS4_RKT_EUlibE_EEviT1_,@function
_ZN2at6native32elementwise_kernel_manual_unrollILi128ELi4EZNS0_15gpu_kernel_implIZZZNS0_17expm1_kernel_cudaERNS_18TensorIteratorBaseEENKUlvE_clEvENKUlvE4_clEvEUlN3c104HalfEE_EEvS4_RKT_EUlibE_EEviT1_: ; @_ZN2at6native32elementwise_kernel_manual_unrollILi128ELi4EZNS0_15gpu_kernel_implIZZZNS0_17expm1_kernel_cudaERNS_18TensorIteratorBaseEENKUlvE_clEvENKUlvE4_clEvEUlN3c104HalfEE_EEvS4_RKT_EUlibE_EEviT1_
; %bb.0:
	v_mov_b32_e32 v1, 0
	global_load_ushort v1, v1, s[0:1] offset:33
	s_load_dwordx4 s[4:7], s[0:1], 0x8
	s_load_dwordx2 s[8:9], s[0:1], 0x18
	s_load_dword s38, s[0:1], 0x0
	v_lshl_or_b32 v4, s2, 9, v0
	v_or_b32_e32 v0, 0x180, v4
	s_mov_b64 s[10:11], 0
	s_mov_b64 s[12:13], 0
	s_waitcnt lgkmcnt(0)
	v_cmp_le_i32_e32 vcc, s38, v0
	s_waitcnt vmcnt(0)
	v_readfirstlane_b32 s33, v1
	s_and_b32 s0, 0xffff, s33
	s_lshr_b32 s42, s0, 8
	s_and_saveexec_b64 s[0:1], vcc
	s_xor_b64 s[2:3], exec, s[0:1]
	s_cbranch_execz .LBB160_1027
; %bb.1:
	v_cmp_gt_i32_e32 vcc, s38, v4
	s_mov_b64 s[18:19], -1
	s_mov_b64 s[20:21], 0
	s_mov_b64 s[14:15], 0
	s_and_saveexec_b64 s[16:17], vcc
	s_cbranch_execz .LBB160_252
; %bb.2:
	v_mul_lo_u32 v0, v4, s9
	v_ashrrev_i32_e32 v1, 31, v0
	s_and_b32 s22, 0xffff, s42
	s_cmp_lt_i32 s22, 11
	v_lshl_add_u64 v[0:1], s[6:7], 0, v[0:1]
	s_cbranch_scc1 .LBB160_9
; %bb.3:
	s_cmp_gt_i32 s22, 25
	s_cbranch_scc0 .LBB160_18
; %bb.4:
	s_cmp_gt_i32 s22, 28
	s_cbranch_scc0 .LBB160_22
; %bb.5:
	s_cmp_gt_i32 s22, 43
	s_cbranch_scc0 .LBB160_24
; %bb.6:
	s_cmp_gt_i32 s22, 45
	s_cbranch_scc0 .LBB160_26
; %bb.7:
	s_cmp_eq_u32 s22, 46
	s_cbranch_scc0 .LBB160_28
; %bb.8:
	global_load_dword v2, v[0:1], off
	s_mov_b64 s[0:1], -1
	s_waitcnt vmcnt(0)
	v_lshlrev_b32_e32 v2, 16, v2
	v_cvt_f16_f32_e32 v2, v2
	s_branch .LBB160_30
.LBB160_9:
                                        ; implicit-def: $vgpr2
	s_mov_b64 s[0:1], 0
	s_cbranch_execnz .LBB160_203
.LBB160_10:
	s_andn2_b64 vcc, exec, s[0:1]
	s_cbranch_vccnz .LBB160_250
.LBB160_11:
	s_waitcnt vmcnt(0)
	v_cvt_f32_f16_e32 v0, v2
	s_mov_b32 s0, 0xbf317218
	v_mov_b32_e32 v1, 0x3ab69700
	s_and_b32 s24, s33, 0xff
	v_mul_f32_e32 v3, 0x3fb8aa3b, v0
	v_rndne_f32_e32 v3, v3
	v_fma_mix_f32 v5, v3, s0, v2 op_sel_hi:[0,0,1]
	v_fmamk_f32 v5, v3, 0x3102e308, v5
	v_fmac_f32_e32 v1, 0x395133b1, v5
	v_fmaak_f32 v1, v5, v1, 0x3c0887f9
	v_cvt_i32_f32_e32 v6, v3
	v_fmaak_f32 v1, v5, v1, 0x3d2aaa81
	v_fmaak_f32 v1, v5, v1, 0x3e2aaaab
	v_fma_f32 v1, v5, v1, 0.5
	v_mul_f32_e32 v1, v5, v1
	s_mov_b32 s0, 0x43000000
	v_fmac_f32_e32 v5, v5, v1
	v_ldexp_f32 v1, 1.0, v6
	v_mov_b32_e32 v6, 0x7f000000
	v_cmp_eq_f32_e32 vcc, s0, v3
	s_mov_b32 s0, 0x42b17217
	s_cmp_lt_i32 s24, 11
	v_cndmask_b32_e32 v1, v1, v6, vcc
	v_add_f32_e32 v3, -1.0, v1
	v_fmac_f32_e32 v3, v1, v5
	v_add_f32_e32 v1, v3, v3
	v_cndmask_b32_e32 v1, v3, v1, vcc
	v_mov_b32_e32 v3, 0x7f800000
	v_cmp_nlt_f32_e32 vcc, s0, v0
	s_mov_b32 s0, 0xcc40
	s_nop 0
	v_cndmask_b32_e32 v0, v3, v1, vcc
	v_cvt_f16_f32_e32 v0, v0
	v_mov_b32_e32 v1, 0xbc00
	v_cmp_ngt_f16_e32 vcc, s0, v2
	s_nop 1
	v_cndmask_b32_e32 v2, v1, v0, vcc
	v_mul_lo_u32 v0, v4, s8
	v_ashrrev_i32_e32 v1, 31, v0
	v_lshl_add_u64 v[0:1], s[4:5], 0, v[0:1]
	s_cbranch_scc1 .LBB160_19
; %bb.12:
	s_and_b32 s25, 0xffff, s24
	s_cmp_gt_i32 s25, 25
	s_cbranch_scc0 .LBB160_23
; %bb.13:
	s_cmp_gt_i32 s25, 28
	s_cbranch_scc0 .LBB160_25
; %bb.14:
	;; [unrolled: 3-line block ×4, first 2 shown]
	s_mov_b64 s[18:19], 0
	s_mov_b64 s[0:1], -1
	s_cmp_eq_u32 s25, 46
	s_mov_b64 s[12:13], 0
	s_cbranch_scc0 .LBB160_34
; %bb.17:
	v_cvt_f32_f16_e32 v3, v2
	s_movk_i32 s0, 0x7fff
	v_cmp_o_f16_e32 vcc, v2, v2
	v_mov_b32_e32 v5, 0x7fc0
	v_bfe_u32 v6, v3, 16, 1
	v_add3_u32 v3, v3, v6, s0
	v_cndmask_b32_sdwa v3, v5, v3, vcc dst_sel:DWORD dst_unused:UNUSED_PAD src0_sel:DWORD src1_sel:WORD_1
	global_store_dword v[0:1], v3, off
	s_mov_b64 s[12:13], -1
	s_mov_b64 s[0:1], 0
	s_branch .LBB160_34
.LBB160_18:
	s_mov_b64 s[0:1], 0
                                        ; implicit-def: $vgpr2
	s_cbranch_execnz .LBB160_168
	s_branch .LBB160_202
.LBB160_19:
	s_mov_b64 s[0:1], 0
	s_mov_b64 s[12:13], 0
	s_cbranch_execnz .LBB160_103
.LBB160_20:
	s_andn2_b64 vcc, exec, s[12:13]
	s_cbranch_vccnz .LBB160_141
.LBB160_21:
	v_add_u32_e32 v4, 0x80, v4
	s_mov_b64 s[18:19], -1
	s_branch .LBB160_251
.LBB160_22:
	s_mov_b64 s[12:13], -1
	s_mov_b64 s[0:1], 0
                                        ; implicit-def: $vgpr2
	s_branch .LBB160_149
.LBB160_23:
	s_mov_b64 s[18:19], -1
	s_mov_b64 s[0:1], 0
	s_mov_b64 s[12:13], 0
	s_branch .LBB160_61
.LBB160_24:
	s_mov_b64 s[12:13], -1
	s_mov_b64 s[0:1], 0
                                        ; implicit-def: $vgpr2
	s_branch .LBB160_144
.LBB160_25:
	s_mov_b64 s[18:19], -1
	s_mov_b64 s[0:1], 0
	s_mov_b64 s[12:13], 0
	s_branch .LBB160_44
.LBB160_26:
	s_mov_b64 s[12:13], -1
	s_branch .LBB160_29
.LBB160_27:
	s_mov_b64 s[18:19], -1
	s_mov_b64 s[0:1], 0
	s_mov_b64 s[12:13], 0
	s_branch .LBB160_40
.LBB160_28:
	s_mov_b64 s[14:15], -1
.LBB160_29:
	s_mov_b64 s[0:1], 0
                                        ; implicit-def: $vgpr2
.LBB160_30:
	s_and_b64 vcc, exec, s[12:13]
	s_cbranch_vccz .LBB160_143
; %bb.31:
	s_cmp_eq_u32 s22, 44
	s_cbranch_scc0 .LBB160_142
; %bb.32:
	global_load_ubyte v2, v[0:1], off
	s_movk_i32 s12, 0xff
	v_mov_b32_e32 v5, 0x7e00
	s_mov_b64 s[0:1], -1
	s_mov_b64 s[14:15], 0
	s_waitcnt vmcnt(0)
	v_lshlrev_b32_e32 v3, 23, v2
	v_cvt_f16_f32_e32 v3, v3
	v_cmp_ne_u32_e32 vcc, s12, v2
	s_nop 1
	v_cndmask_b32_e32 v3, v5, v3, vcc
	v_cmp_ne_u32_e32 vcc, 0, v2
	s_nop 1
	v_cndmask_b32_e32 v2, 0, v3, vcc
	s_branch .LBB160_143
.LBB160_33:
	s_mov_b64 s[18:19], -1
	s_mov_b64 s[0:1], 0
	s_mov_b64 s[12:13], 0
.LBB160_34:
	s_and_b64 vcc, exec, s[18:19]
	s_cbranch_vccz .LBB160_39
; %bb.35:
	s_cmp_eq_u32 s25, 44
	s_mov_b64 s[0:1], -1
	s_cbranch_scc0 .LBB160_39
; %bb.36:
	v_cvt_f32_f16_e32 v3, v2
	s_movk_i32 s0, 0xff
	v_mov_b32_e32 v6, 0xff
	v_bfe_u32 v5, v3, 23, 8
	v_cmp_ne_u32_e32 vcc, s0, v5
	s_and_saveexec_b64 s[12:13], vcc
; %bb.37:
	s_mov_b32 s0, 0x3fffff
	v_lshrrev_b32_e32 v6, 23, v3
	v_and_b32_e32 v7, 0x400000, v3
	v_and_or_b32 v3, v3, s0, v5
	v_cmp_ne_u32_e32 vcc, 0, v7
	v_cmp_ne_u32_e64 s[0:1], 0, v3
	s_and_b64 s[0:1], vcc, s[0:1]
	s_nop 0
	v_cndmask_b32_e64 v3, 0, 1, s[0:1]
	v_add_u32_e32 v6, v6, v3
; %bb.38:
	s_or_b64 exec, exec, s[12:13]
	s_mov_b64 s[12:13], -1
	s_mov_b64 s[0:1], 0
	global_store_byte v[0:1], v6, off
.LBB160_39:
	s_mov_b64 s[18:19], 0
.LBB160_40:
	s_and_b64 vcc, exec, s[18:19]
	s_cbranch_vccz .LBB160_43
; %bb.41:
	s_cmp_eq_u32 s25, 29
	s_mov_b64 s[0:1], -1
	s_cbranch_scc0 .LBB160_43
; %bb.42:
	v_cvt_f32_f16_e32 v3, v2
	v_mov_b32_e32 v7, 0
	s_mov_b64 s[12:13], -1
	s_mov_b64 s[0:1], 0
	v_cvt_u32_f32_e32 v6, v3
	s_mov_b64 s[18:19], 0
	global_store_dwordx2 v[0:1], v[6:7], off
	s_branch .LBB160_44
.LBB160_43:
	s_mov_b64 s[18:19], 0
.LBB160_44:
	s_and_b64 vcc, exec, s[18:19]
	s_cbranch_vccz .LBB160_60
; %bb.45:
	s_cmp_lt_i32 s25, 27
	s_mov_b64 s[12:13], -1
	s_cbranch_scc1 .LBB160_51
; %bb.46:
	s_cmp_gt_i32 s25, 27
	s_cbranch_scc0 .LBB160_48
; %bb.47:
	v_cvt_f32_f16_e32 v3, v2
	s_mov_b64 s[12:13], 0
	v_cvt_u32_f32_e32 v3, v3
	global_store_dword v[0:1], v3, off
.LBB160_48:
	s_andn2_b64 vcc, exec, s[12:13]
	s_cbranch_vccnz .LBB160_50
; %bb.49:
	v_cvt_u16_f16_e32 v3, v2
	global_store_short v[0:1], v3, off
.LBB160_50:
	s_mov_b64 s[12:13], 0
.LBB160_51:
	s_andn2_b64 vcc, exec, s[12:13]
	s_cbranch_vccnz .LBB160_59
; %bb.52:
	v_cvt_f32_f16_e32 v3, v2
	s_mov_b32 s12, 0x43800000
	v_mov_b32_e32 v6, 0x80
	v_and_b32_e32 v5, 0x7fffffff, v3
	v_cmp_gt_u32_e32 vcc, s12, v5
	s_and_saveexec_b64 s[12:13], vcc
	s_cbranch_execz .LBB160_58
; %bb.53:
	s_mov_b32 s18, 0x3bffffff
	v_cmp_lt_u32_e32 vcc, s18, v5
	s_mov_b64 s[18:19], 0
                                        ; implicit-def: $vgpr5
	s_and_saveexec_b64 s[22:23], vcc
	s_xor_b64 s[22:23], exec, s[22:23]
	s_cbranch_execz .LBB160_279
; %bb.54:
	v_bfe_u32 v5, v3, 20, 1
	s_mov_b32 s26, 0x487ffff
	v_add3_u32 v5, v3, v5, s26
	s_mov_b64 s[18:19], exec
	v_lshrrev_b32_e32 v5, 20, v5
	s_andn2_saveexec_b64 s[22:23], s[22:23]
	s_cbranch_execnz .LBB160_280
.LBB160_55:
	s_or_b64 exec, exec, s[22:23]
	v_mov_b32_e32 v6, 0
	s_and_saveexec_b64 s[22:23], s[18:19]
.LBB160_56:
	v_lshrrev_b32_e32 v3, 24, v3
	s_movk_i32 s18, 0x80
	v_and_or_b32 v6, v3, s18, v5
.LBB160_57:
	s_or_b64 exec, exec, s[22:23]
.LBB160_58:
	s_or_b64 exec, exec, s[12:13]
	global_store_byte v[0:1], v6, off
.LBB160_59:
	s_mov_b64 s[12:13], -1
.LBB160_60:
	s_mov_b64 s[18:19], 0
.LBB160_61:
	s_and_b64 vcc, exec, s[18:19]
	s_cbranch_vccz .LBB160_102
; %bb.62:
	s_cmp_gt_i32 s25, 22
	s_mov_b64 s[18:19], -1
	s_cbranch_scc0 .LBB160_94
; %bb.63:
	s_cmp_lt_i32 s25, 24
	s_mov_b64 s[12:13], -1
	s_cbranch_scc1 .LBB160_83
; %bb.64:
	s_cmp_gt_i32 s25, 24
	s_cbranch_scc0 .LBB160_72
; %bb.65:
	v_cvt_f32_f16_e32 v3, v2
	s_mov_b32 s12, 0x47800000
	v_mov_b32_e32 v6, 0x80
	v_and_b32_e32 v5, 0x7fffffff, v3
	v_cmp_gt_u32_e32 vcc, s12, v5
	s_and_saveexec_b64 s[12:13], vcc
	s_cbranch_execz .LBB160_71
; %bb.66:
	s_mov_b32 s18, 0x37ffffff
	v_cmp_lt_u32_e32 vcc, s18, v5
	s_mov_b64 s[18:19], 0
                                        ; implicit-def: $vgpr5
	s_and_saveexec_b64 s[22:23], vcc
	s_xor_b64 s[22:23], exec, s[22:23]
	s_cbranch_execz .LBB160_283
; %bb.67:
	v_bfe_u32 v5, v3, 21, 1
	s_mov_b32 s26, 0x88fffff
	v_add3_u32 v5, v3, v5, s26
	s_mov_b64 s[18:19], exec
	v_lshrrev_b32_e32 v5, 21, v5
	s_andn2_saveexec_b64 s[22:23], s[22:23]
	s_cbranch_execnz .LBB160_284
.LBB160_68:
	s_or_b64 exec, exec, s[22:23]
	v_mov_b32_e32 v6, 0
	s_and_saveexec_b64 s[22:23], s[18:19]
.LBB160_69:
	v_lshrrev_b32_e32 v3, 24, v3
	s_movk_i32 s18, 0x80
	v_and_or_b32 v6, v3, s18, v5
.LBB160_70:
	s_or_b64 exec, exec, s[22:23]
.LBB160_71:
	s_or_b64 exec, exec, s[12:13]
	s_mov_b64 s[12:13], 0
	global_store_byte v[0:1], v6, off
.LBB160_72:
	s_and_b64 vcc, exec, s[12:13]
	s_cbranch_vccz .LBB160_82
; %bb.73:
	v_cvt_f32_f16_e32 v3, v2
	s_mov_b32 s12, 0x43f00000
                                        ; implicit-def: $vgpr5
	v_and_b32_e32 v6, 0x7fffffff, v3
	v_cmp_gt_u32_e32 vcc, s12, v6
	s_and_saveexec_b64 s[12:13], vcc
	s_xor_b64 s[12:13], exec, s[12:13]
	s_cbranch_execz .LBB160_79
; %bb.74:
	s_mov_b32 s18, 0x3c7fffff
	v_cmp_lt_u32_e32 vcc, s18, v6
                                        ; implicit-def: $vgpr5
	s_and_saveexec_b64 s[18:19], vcc
	s_xor_b64 s[18:19], exec, s[18:19]
; %bb.75:
	v_bfe_u32 v5, v3, 20, 1
	s_mov_b32 s22, 0x407ffff
	v_add3_u32 v5, v3, v5, s22
	v_lshrrev_b32_e32 v6, 20, v5
	v_and_b32_e32 v5, 0xff00000, v5
	s_mov_b32 s22, 0x7f00000
	v_mov_b32_e32 v7, 0x7e
	v_cmp_ne_u32_e32 vcc, s22, v5
	s_nop 1
	v_cndmask_b32_e32 v5, v7, v6, vcc
; %bb.76:
	s_andn2_saveexec_b64 s[18:19], s[18:19]
; %bb.77:
	s_mov_b32 s22, 0x46800000
	v_add_f32_e64 v5, |v3|, s22
; %bb.78:
	s_or_b64 exec, exec, s[18:19]
                                        ; implicit-def: $vgpr6
.LBB160_79:
	s_andn2_saveexec_b64 s[12:13], s[12:13]
; %bb.80:
	s_mov_b32 s18, 0x7f800000
	v_mov_b32_e32 v5, 0x7e
	v_mov_b32_e32 v7, 0x7f
	v_cmp_lt_u32_e32 vcc, s18, v6
	s_nop 1
	v_cndmask_b32_e32 v5, v5, v7, vcc
; %bb.81:
	s_or_b64 exec, exec, s[12:13]
	v_lshrrev_b32_e32 v3, 24, v3
	s_movk_i32 s12, 0x80
	v_and_or_b32 v3, v3, s12, v5
	global_store_byte v[0:1], v3, off
.LBB160_82:
	s_mov_b64 s[12:13], 0
.LBB160_83:
	s_andn2_b64 vcc, exec, s[12:13]
	s_cbranch_vccnz .LBB160_93
; %bb.84:
	v_cvt_f32_f16_e32 v3, v2
	s_mov_b32 s12, 0x47800000
                                        ; implicit-def: $vgpr5
	v_and_b32_e32 v6, 0x7fffffff, v3
	v_cmp_gt_u32_e32 vcc, s12, v6
	s_and_saveexec_b64 s[12:13], vcc
	s_xor_b64 s[12:13], exec, s[12:13]
	s_cbranch_execz .LBB160_90
; %bb.85:
	s_mov_b32 s18, 0x387fffff
	v_cmp_lt_u32_e32 vcc, s18, v6
                                        ; implicit-def: $vgpr5
	s_and_saveexec_b64 s[18:19], vcc
	s_xor_b64 s[18:19], exec, s[18:19]
; %bb.86:
	v_bfe_u32 v5, v3, 21, 1
	s_mov_b32 s22, 0x80fffff
	v_add3_u32 v5, v3, v5, s22
	v_lshrrev_b32_e32 v5, 21, v5
; %bb.87:
	s_andn2_saveexec_b64 s[18:19], s[18:19]
; %bb.88:
	s_mov_b32 s22, 0x43000000
	v_add_f32_e64 v5, |v3|, s22
; %bb.89:
	s_or_b64 exec, exec, s[18:19]
                                        ; implicit-def: $vgpr6
.LBB160_90:
	s_andn2_saveexec_b64 s[12:13], s[12:13]
; %bb.91:
	s_mov_b32 s18, 0x7f800000
	v_mov_b32_e32 v5, 0x7c
	v_mov_b32_e32 v7, 0x7f
	v_cmp_lt_u32_e32 vcc, s18, v6
	s_nop 1
	v_cndmask_b32_e32 v5, v5, v7, vcc
; %bb.92:
	s_or_b64 exec, exec, s[12:13]
	v_lshrrev_b32_e32 v3, 24, v3
	s_movk_i32 s12, 0x80
	v_and_or_b32 v3, v3, s12, v5
	global_store_byte v[0:1], v3, off
.LBB160_93:
	s_mov_b64 s[18:19], 0
	s_mov_b64 s[12:13], -1
.LBB160_94:
	s_andn2_b64 vcc, exec, s[18:19]
	s_cbranch_vccnz .LBB160_102
; %bb.95:
	s_cmp_gt_i32 s25, 14
	s_mov_b64 s[18:19], -1
	s_cbranch_scc0 .LBB160_99
; %bb.96:
	s_cmp_eq_u32 s25, 15
	s_mov_b64 s[0:1], -1
	s_cbranch_scc0 .LBB160_98
; %bb.97:
	v_cvt_f32_f16_e32 v3, v2
	s_movk_i32 s0, 0x7fff
	v_cmp_o_f16_e32 vcc, v2, v2
	v_mov_b32_e32 v5, 0x7fc0
	v_bfe_u32 v6, v3, 16, 1
	v_add3_u32 v3, v3, v6, s0
	v_cndmask_b32_sdwa v3, v5, v3, vcc dst_sel:DWORD dst_unused:UNUSED_PAD src0_sel:DWORD src1_sel:WORD_1
	global_store_short v[0:1], v3, off
	s_mov_b64 s[12:13], -1
	s_mov_b64 s[0:1], 0
.LBB160_98:
	s_mov_b64 s[18:19], 0
.LBB160_99:
	s_and_b64 vcc, exec, s[18:19]
	s_cbranch_vccz .LBB160_102
; %bb.100:
	s_cmp_eq_u32 s25, 11
	s_mov_b64 s[0:1], -1
	s_cbranch_scc0 .LBB160_102
; %bb.101:
	v_cmp_neq_f16_e32 vcc, 0, v2
	s_mov_b64 s[12:13], -1
	s_mov_b64 s[0:1], 0
	v_cndmask_b32_e64 v3, 0, 1, vcc
	global_store_byte v[0:1], v3, off
.LBB160_102:
	s_branch .LBB160_20
.LBB160_103:
	s_and_b32 s18, 0xffff, s24
	s_cmp_lt_i32 s18, 5
	s_mov_b64 s[12:13], -1
	s_cbranch_scc1 .LBB160_124
; %bb.104:
	s_cmp_lt_i32 s18, 8
	s_cbranch_scc1 .LBB160_114
; %bb.105:
	s_cmp_lt_i32 s18, 9
	s_cbranch_scc1 .LBB160_111
; %bb.106:
	s_cmp_gt_i32 s18, 9
	s_cbranch_scc0 .LBB160_108
; %bb.107:
	v_cvt_f32_f16_e32 v3, v2
	v_mov_b32_e32 v8, 0
	v_mov_b32_e32 v9, v8
	s_mov_b64 s[12:13], 0
	v_cvt_f64_f32_e32 v[6:7], v3
	global_store_dwordx4 v[0:1], v[6:9], off
.LBB160_108:
	s_andn2_b64 vcc, exec, s[12:13]
	s_cbranch_vccnz .LBB160_110
; %bb.109:
	v_cvt_f32_f16_e32 v6, v2
	v_mov_b32_e32 v7, 0
	global_store_dwordx2 v[0:1], v[6:7], off
.LBB160_110:
	s_mov_b64 s[12:13], 0
.LBB160_111:
	s_andn2_b64 vcc, exec, s[12:13]
	s_cbranch_vccnz .LBB160_113
; %bb.112:
	v_and_b32_e32 v3, 0xffff, v2
	global_store_dword v[0:1], v3, off
.LBB160_113:
	s_mov_b64 s[12:13], 0
.LBB160_114:
	s_andn2_b64 vcc, exec, s[12:13]
	s_cbranch_vccnz .LBB160_123
; %bb.115:
	s_cmp_lt_i32 s18, 6
	s_mov_b64 s[12:13], -1
	s_cbranch_scc1 .LBB160_121
; %bb.116:
	s_cmp_gt_i32 s18, 6
	s_cbranch_scc0 .LBB160_118
; %bb.117:
	v_cvt_f32_f16_e32 v3, v2
	s_mov_b64 s[12:13], 0
	v_cvt_f64_f32_e32 v[6:7], v3
	global_store_dwordx2 v[0:1], v[6:7], off
.LBB160_118:
	s_andn2_b64 vcc, exec, s[12:13]
	s_cbranch_vccnz .LBB160_120
; %bb.119:
	v_cvt_f32_f16_e32 v3, v2
	global_store_dword v[0:1], v3, off
.LBB160_120:
	s_mov_b64 s[12:13], 0
.LBB160_121:
	s_andn2_b64 vcc, exec, s[12:13]
	s_cbranch_vccnz .LBB160_123
; %bb.122:
	global_store_short v[0:1], v2, off
.LBB160_123:
	s_mov_b64 s[12:13], 0
.LBB160_124:
	s_andn2_b64 vcc, exec, s[12:13]
	s_cbranch_vccnz .LBB160_140
; %bb.125:
	s_cmp_lt_i32 s18, 2
	s_mov_b64 s[12:13], -1
	s_cbranch_scc1 .LBB160_135
; %bb.126:
	s_cmp_lt_i32 s18, 3
	s_cbranch_scc1 .LBB160_132
; %bb.127:
	s_cmp_gt_i32 s18, 3
	s_cbranch_scc0 .LBB160_129
; %bb.128:
	v_cvt_f32_f16_e32 v3, v2
	s_mov_b64 s[12:13], 0
	v_cvt_i32_f32_e32 v6, v3
	v_ashrrev_i32_e32 v7, 31, v6
	global_store_dwordx2 v[0:1], v[6:7], off
.LBB160_129:
	s_andn2_b64 vcc, exec, s[12:13]
	s_cbranch_vccnz .LBB160_131
; %bb.130:
	v_cvt_f32_f16_e32 v3, v2
	v_cvt_i32_f32_e32 v3, v3
	global_store_dword v[0:1], v3, off
.LBB160_131:
	s_mov_b64 s[12:13], 0
.LBB160_132:
	s_andn2_b64 vcc, exec, s[12:13]
	s_cbranch_vccnz .LBB160_134
; %bb.133:
	v_cvt_i16_f16_e32 v3, v2
	global_store_short v[0:1], v3, off
.LBB160_134:
	s_mov_b64 s[12:13], 0
.LBB160_135:
	s_andn2_b64 vcc, exec, s[12:13]
	s_cbranch_vccnz .LBB160_140
; %bb.136:
	s_cmp_gt_i32 s18, 0
	s_mov_b64 s[12:13], -1
	s_cbranch_scc0 .LBB160_138
; %bb.137:
	v_cvt_i16_f16_e32 v3, v2
	global_store_byte v[0:1], v3, off
	s_mov_b64 s[12:13], 0
.LBB160_138:
	s_andn2_b64 vcc, exec, s[12:13]
	s_cbranch_vccnz .LBB160_140
; %bb.139:
	v_cvt_f32_f16_e32 v2, v2
	v_cvt_i32_f32_e32 v2, v2
	global_store_byte v[0:1], v2, off
.LBB160_140:
	s_branch .LBB160_21
.LBB160_141:
	s_mov_b64 s[18:19], 0
                                        ; implicit-def: $vgpr4
	s_branch .LBB160_251
.LBB160_142:
	s_mov_b64 s[14:15], -1
                                        ; implicit-def: $vgpr2
.LBB160_143:
	s_mov_b64 s[12:13], 0
.LBB160_144:
	s_and_b64 vcc, exec, s[12:13]
	s_cbranch_vccz .LBB160_148
; %bb.145:
	s_cmp_eq_u32 s22, 29
	s_cbranch_scc0 .LBB160_147
; %bb.146:
	global_load_dwordx2 v[2:3], v[0:1], off
	s_mov_b64 s[0:1], -1
	s_mov_b64 s[14:15], 0
	s_mov_b64 s[12:13], 0
	s_waitcnt vmcnt(0)
	v_ffbh_u32_e32 v5, v3
	v_min_u32_e32 v5, 32, v5
	v_lshlrev_b64 v[2:3], v5, v[2:3]
	v_min_u32_e32 v2, 1, v2
	v_or_b32_e32 v2, v3, v2
	v_cvt_f32_u32_e32 v2, v2
	v_sub_u32_e32 v3, 32, v5
	v_ldexp_f32 v2, v2, v3
	v_cvt_f16_f32_e32 v2, v2
	s_branch .LBB160_149
.LBB160_147:
	s_mov_b64 s[14:15], -1
                                        ; implicit-def: $vgpr2
.LBB160_148:
	s_mov_b64 s[12:13], 0
.LBB160_149:
	s_and_b64 vcc, exec, s[12:13]
	s_cbranch_vccz .LBB160_167
; %bb.150:
	s_cmp_lt_i32 s22, 27
	s_cbranch_scc1 .LBB160_153
; %bb.151:
	s_cmp_gt_i32 s22, 27
	s_cbranch_scc0 .LBB160_154
; %bb.152:
	global_load_dword v2, v[0:1], off
	s_mov_b64 s[0:1], 0
	s_waitcnt vmcnt(0)
	v_cvt_f32_u32_e32 v2, v2
	v_cvt_f16_f32_e32 v2, v2
	s_branch .LBB160_155
.LBB160_153:
	s_mov_b64 s[0:1], -1
                                        ; implicit-def: $vgpr2
	s_branch .LBB160_158
.LBB160_154:
	s_mov_b64 s[0:1], -1
                                        ; implicit-def: $vgpr2
.LBB160_155:
	s_andn2_b64 vcc, exec, s[0:1]
	s_cbranch_vccnz .LBB160_157
; %bb.156:
	global_load_ushort v2, v[0:1], off
	s_waitcnt vmcnt(0)
	v_cvt_f16_u16_e32 v2, v2
.LBB160_157:
	s_mov_b64 s[0:1], 0
.LBB160_158:
	s_andn2_b64 vcc, exec, s[0:1]
	s_cbranch_vccnz .LBB160_166
; %bb.159:
	global_load_ubyte v3, v[0:1], off
	s_movk_i32 s0, 0x7f
	s_waitcnt vmcnt(0)
	v_cmp_lt_i16_e32 vcc, s0, v3
	s_mov_b64 s[0:1], 0
	s_and_saveexec_b64 s[12:13], vcc
	s_xor_b64 s[12:13], exec, s[12:13]
	s_cbranch_execz .LBB160_179
; %bb.160:
	s_movk_i32 s0, 0x80
	v_cmp_eq_u16_e32 vcc, s0, v3
	s_mov_b64 s[0:1], -1
	s_and_saveexec_b64 s[18:19], vcc
; %bb.161:
	s_xor_b64 s[0:1], exec, -1
; %bb.162:
	s_or_b64 exec, exec, s[18:19]
	s_and_b64 s[0:1], s[0:1], exec
	s_or_saveexec_b64 s[12:13], s[12:13]
	v_mov_b32_e32 v2, 0x7e00
	s_xor_b64 exec, exec, s[12:13]
	s_cbranch_execnz .LBB160_180
.LBB160_163:
	s_or_b64 exec, exec, s[12:13]
	s_and_saveexec_b64 s[12:13], s[0:1]
	s_cbranch_execz .LBB160_165
.LBB160_164:
	v_lshlrev_b32_e32 v2, 24, v3
	v_and_b32_e32 v3, 0xffff, v3
	v_and_b32_e32 v5, 7, v3
	v_ffbh_u32_e32 v7, v5
	v_min_u32_e32 v7, 32, v7
	v_subrev_u32_e32 v8, 28, v7
	v_bfe_u32 v6, v3, 3, 4
	v_lshlrev_b32_e32 v3, v8, v3
	v_sub_u32_e32 v7, 29, v7
	v_and_b32_e32 v3, 7, v3
	v_cmp_eq_u32_e32 vcc, 0, v6
	v_and_b32_e32 v2, 0x80000000, v2
	s_nop 0
	v_cndmask_b32_e32 v6, v6, v7, vcc
	v_cndmask_b32_e32 v3, v5, v3, vcc
	v_mov_b32_e32 v5, 0x3b800000
	v_lshlrev_b32_e32 v3, 20, v3
	v_lshl_add_u32 v5, v6, 23, v5
	v_or3_b32 v2, v2, v5, v3
	v_cvt_f16_f32_e32 v2, v2
.LBB160_165:
	s_or_b64 exec, exec, s[12:13]
.LBB160_166:
	s_mov_b64 s[0:1], -1
.LBB160_167:
	s_branch .LBB160_202
.LBB160_168:
	s_cmp_gt_i32 s22, 22
	s_cbranch_scc0 .LBB160_178
; %bb.169:
	s_cmp_lt_i32 s22, 24
	s_cbranch_scc1 .LBB160_181
; %bb.170:
	s_cmp_gt_i32 s22, 24
	s_cbranch_scc0 .LBB160_182
; %bb.171:
	global_load_ubyte v3, v[0:1], off
	s_movk_i32 s0, 0x7f
	s_waitcnt vmcnt(0)
	v_cmp_lt_i16_e32 vcc, s0, v3
	s_mov_b64 s[0:1], 0
	s_and_saveexec_b64 s[12:13], vcc
	s_xor_b64 s[12:13], exec, s[12:13]
	s_cbranch_execz .LBB160_194
; %bb.172:
	s_movk_i32 s0, 0x80
	v_cmp_eq_u16_e32 vcc, s0, v3
	s_mov_b64 s[0:1], -1
	s_and_saveexec_b64 s[18:19], vcc
; %bb.173:
	s_xor_b64 s[0:1], exec, -1
; %bb.174:
	s_or_b64 exec, exec, s[18:19]
	s_and_b64 s[0:1], s[0:1], exec
	s_or_saveexec_b64 s[12:13], s[12:13]
	v_mov_b32_e32 v2, 0x7e00
	s_xor_b64 exec, exec, s[12:13]
	s_cbranch_execnz .LBB160_195
.LBB160_175:
	s_or_b64 exec, exec, s[12:13]
	s_and_saveexec_b64 s[12:13], s[0:1]
	s_cbranch_execz .LBB160_177
.LBB160_176:
	v_lshlrev_b32_e32 v2, 24, v3
	v_and_b32_e32 v3, 0xffff, v3
	v_and_b32_e32 v5, 3, v3
	v_ffbh_u32_e32 v7, v5
	v_min_u32_e32 v7, 32, v7
	v_subrev_u32_e32 v8, 29, v7
	v_bfe_u32 v6, v3, 2, 5
	v_lshlrev_b32_e32 v3, v8, v3
	v_sub_u32_e32 v7, 30, v7
	v_and_b32_e32 v3, 3, v3
	v_cmp_eq_u32_e32 vcc, 0, v6
	v_and_b32_e32 v2, 0x80000000, v2
	s_nop 0
	v_cndmask_b32_e32 v6, v6, v7, vcc
	v_cndmask_b32_e32 v3, v5, v3, vcc
	v_mov_b32_e32 v5, 0x37800000
	v_lshlrev_b32_e32 v3, 21, v3
	v_lshl_add_u32 v5, v6, 23, v5
	v_or3_b32 v2, v2, v5, v3
	v_cvt_f16_f32_e32 v2, v2
.LBB160_177:
	s_or_b64 exec, exec, s[12:13]
	s_mov_b64 s[0:1], 0
	s_branch .LBB160_183
.LBB160_178:
	s_mov_b64 s[12:13], -1
                                        ; implicit-def: $vgpr2
	s_branch .LBB160_189
.LBB160_179:
	s_or_saveexec_b64 s[12:13], s[12:13]
	v_mov_b32_e32 v2, 0x7e00
	s_xor_b64 exec, exec, s[12:13]
	s_cbranch_execz .LBB160_163
.LBB160_180:
	v_cmp_ne_u16_e32 vcc, 0, v3
	s_andn2_b64 s[0:1], s[0:1], exec
	s_and_b64 s[18:19], vcc, exec
	s_or_b64 s[0:1], s[0:1], s[18:19]
	v_mov_b32_e32 v2, v3
	s_or_b64 exec, exec, s[12:13]
	s_and_saveexec_b64 s[12:13], s[0:1]
	s_cbranch_execnz .LBB160_164
	s_branch .LBB160_165
.LBB160_181:
	s_mov_b64 s[0:1], -1
                                        ; implicit-def: $vgpr2
	s_branch .LBB160_186
.LBB160_182:
	s_mov_b64 s[0:1], -1
                                        ; implicit-def: $vgpr2
.LBB160_183:
	s_and_b64 vcc, exec, s[0:1]
	s_cbranch_vccz .LBB160_185
; %bb.184:
	global_load_ubyte v2, v[0:1], off
	s_mov_b32 s0, 0x7f800000
	s_waitcnt vmcnt(0)
	v_lshlrev_b32_e32 v2, 24, v2
	v_and_b32_e32 v3, 0x7f000000, v2
	v_ffbh_u32_e32 v5, v3
	v_min_u32_e32 v5, 32, v5
	v_sub_u32_e64 v5, v5, 4 clamp
	v_lshlrev_b32_e32 v7, v5, v3
	v_lshlrev_b32_e32 v5, 23, v5
	v_lshrrev_b32_e32 v7, 4, v7
	v_add_u32_e32 v6, 0x1000000, v3
	v_sub_u32_e32 v5, v7, v5
	v_ashrrev_i32_e32 v6, 8, v6
	v_add_u32_e32 v5, 0x3c000000, v5
	v_and_or_b32 v5, v6, s0, v5
	v_cmp_ne_u32_e32 vcc, 0, v3
	s_brev_b32 s0, 1
	s_nop 0
	v_cndmask_b32_e32 v3, 0, v5, vcc
	v_and_or_b32 v2, v2, s0, v3
	v_cvt_f16_f32_e32 v2, v2
.LBB160_185:
	s_mov_b64 s[0:1], 0
.LBB160_186:
	s_andn2_b64 vcc, exec, s[0:1]
	s_cbranch_vccnz .LBB160_188
; %bb.187:
	global_load_ubyte v2, v[0:1], off
	s_movk_i32 s0, 0x7f00
	s_brev_b32 s1, 16
	s_waitcnt vmcnt(0)
	v_lshlrev_b16_e32 v3, 8, v2
	v_lshlrev_b32_e32 v2, 25, v2
	v_lshrrev_b32_e32 v5, 4, v2
	v_and_or_b32 v6, v3, s0, 0.5
	v_or_b32_e32 v5, 0x70000000, v5
	v_add_f32_e32 v6, -0.5, v6
	v_mul_f32_e32 v5, 0x7800000, v5
	v_cmp_gt_u32_e32 vcc, s1, v2
	v_bfe_i32 v3, v3, 0, 16
	s_brev_b32 s0, 1
	v_cndmask_b32_e32 v2, v5, v6, vcc
	v_and_or_b32 v2, v3, s0, v2
	v_cvt_f16_f32_e32 v2, v2
.LBB160_188:
	s_mov_b64 s[12:13], 0
	s_mov_b64 s[0:1], -1
.LBB160_189:
	s_andn2_b64 vcc, exec, s[12:13]
	s_cbranch_vccnz .LBB160_202
; %bb.190:
	s_cmp_gt_i32 s22, 14
	s_cbranch_scc0 .LBB160_193
; %bb.191:
	s_cmp_eq_u32 s22, 15
	s_cbranch_scc0 .LBB160_196
; %bb.192:
	global_load_ushort v2, v[0:1], off
	s_mov_b64 s[0:1], -1
	s_mov_b64 s[14:15], 0
	s_waitcnt vmcnt(0)
	v_lshlrev_b32_e32 v2, 16, v2
	v_cvt_f16_f32_e32 v2, v2
	s_branch .LBB160_197
.LBB160_193:
	s_mov_b64 s[12:13], -1
                                        ; implicit-def: $vgpr2
	s_branch .LBB160_198
.LBB160_194:
	s_or_saveexec_b64 s[12:13], s[12:13]
	v_mov_b32_e32 v2, 0x7e00
	s_xor_b64 exec, exec, s[12:13]
	s_cbranch_execz .LBB160_175
.LBB160_195:
	v_cmp_ne_u16_e32 vcc, 0, v3
	s_andn2_b64 s[0:1], s[0:1], exec
	s_and_b64 s[18:19], vcc, exec
	s_or_b64 s[0:1], s[0:1], s[18:19]
	v_mov_b32_e32 v2, v3
	s_or_b64 exec, exec, s[12:13]
	s_and_saveexec_b64 s[12:13], s[0:1]
	s_cbranch_execnz .LBB160_176
	s_branch .LBB160_177
.LBB160_196:
	s_mov_b64 s[14:15], -1
                                        ; implicit-def: $vgpr2
.LBB160_197:
	s_mov_b64 s[12:13], 0
.LBB160_198:
	s_and_b64 vcc, exec, s[12:13]
	s_cbranch_vccz .LBB160_202
; %bb.199:
	s_cmp_eq_u32 s22, 11
	s_cbranch_scc0 .LBB160_201
; %bb.200:
	global_load_ubyte v2, v[0:1], off
	v_mov_b32_e32 v3, 0x3c00
	s_mov_b64 s[0:1], -1
	s_mov_b64 s[14:15], 0
	s_waitcnt vmcnt(0)
	v_cmp_ne_u16_e32 vcc, 0, v2
	s_nop 1
	v_cndmask_b32_e32 v2, 0, v3, vcc
	s_branch .LBB160_202
.LBB160_201:
	s_mov_b64 s[14:15], -1
                                        ; implicit-def: $vgpr2
.LBB160_202:
	s_branch .LBB160_10
.LBB160_203:
	s_cmp_lt_i32 s22, 5
	s_cbranch_scc1 .LBB160_208
; %bb.204:
	s_cmp_lt_i32 s22, 8
	s_cbranch_scc1 .LBB160_209
; %bb.205:
	;; [unrolled: 3-line block ×3, first 2 shown]
	s_cmp_gt_i32 s22, 9
	s_cbranch_scc0 .LBB160_211
; %bb.207:
	global_load_dwordx2 v[2:3], v[0:1], off
	s_movk_i32 s0, 0x1ff
	s_movk_i32 s1, 0xffe
	v_mov_b32_e32 v5, 0x7c00
	v_mov_b32_e32 v6, 0x7e00
	s_movk_i32 s12, 0x40f
	s_mov_b32 s13, 0x8000
	s_waitcnt vmcnt(0)
	v_and_or_b32 v2, v3, s0, v2
	v_cmp_ne_u32_e32 vcc, 0, v2
	v_lshrrev_b32_e32 v7, 8, v3
	v_bfe_u32 v8, v3, 20, 11
	v_cndmask_b32_e64 v2, 0, 1, vcc
	v_sub_u32_e32 v9, 0x3f1, v8
	v_and_or_b32 v2, v7, s1, v2
	v_add_u32_e32 v8, 0xfffffc10, v8
	v_med3_i32 v7, v9, 0, 13
	v_or_b32_e32 v9, 0x1000, v2
	v_cmp_ne_u32_e32 vcc, 0, v2
	v_lshl_or_b32 v10, v8, 12, v2
	v_lshrrev_b32_e32 v3, 16, v3
	v_cndmask_b32_e32 v2, v5, v6, vcc
	v_lshrrev_b32_e32 v6, v7, v9
	v_lshlrev_b32_e32 v7, v7, v6
	v_cmp_ne_u32_e32 vcc, v7, v9
	s_mov_b64 s[0:1], 0
	s_nop 0
	v_cndmask_b32_e64 v7, 0, 1, vcc
	v_or_b32_e32 v6, v6, v7
	v_cmp_gt_i32_e32 vcc, 1, v8
	s_nop 1
	v_cndmask_b32_e32 v6, v10, v6, vcc
	v_and_b32_e32 v7, 7, v6
	v_cmp_lt_i32_e32 vcc, 5, v7
	v_lshrrev_b32_e32 v6, 2, v6
	s_nop 0
	v_cndmask_b32_e64 v9, 0, 1, vcc
	v_cmp_eq_u32_e32 vcc, 3, v7
	s_nop 1
	v_cndmask_b32_e64 v7, 0, 1, vcc
	v_or_b32_e32 v7, v7, v9
	v_add_u32_e32 v6, v6, v7
	v_cmp_gt_i32_e32 vcc, 31, v8
	s_nop 1
	v_cndmask_b32_e32 v5, v5, v6, vcc
	v_cmp_eq_u32_e32 vcc, s12, v8
	s_nop 1
	v_cndmask_b32_e32 v2, v5, v2, vcc
	v_and_or_b32 v2, v3, s13, v2
	s_branch .LBB160_212
.LBB160_208:
                                        ; implicit-def: $vgpr2
	s_branch .LBB160_230
.LBB160_209:
	s_mov_b64 s[0:1], -1
                                        ; implicit-def: $vgpr2
	s_branch .LBB160_218
.LBB160_210:
	s_mov_b64 s[0:1], -1
                                        ; implicit-def: $vgpr2
	s_branch .LBB160_215
.LBB160_211:
	s_mov_b64 s[0:1], -1
                                        ; implicit-def: $vgpr2
.LBB160_212:
	s_andn2_b64 vcc, exec, s[0:1]
	s_cbranch_vccnz .LBB160_214
; %bb.213:
	global_load_dword v2, v[0:1], off
	s_waitcnt vmcnt(0)
	v_cvt_f16_f32_e32 v2, v2
.LBB160_214:
	s_mov_b64 s[0:1], 0
.LBB160_215:
	s_andn2_b64 vcc, exec, s[0:1]
	s_cbranch_vccnz .LBB160_217
; %bb.216:
	global_load_dword v2, v[0:1], off
.LBB160_217:
	s_mov_b64 s[0:1], 0
.LBB160_218:
	s_andn2_b64 vcc, exec, s[0:1]
	s_cbranch_vccnz .LBB160_229
; %bb.219:
	s_cmp_lt_i32 s22, 6
	s_cbranch_scc1 .LBB160_222
; %bb.220:
	s_cmp_gt_i32 s22, 6
	s_cbranch_scc0 .LBB160_223
; %bb.221:
	global_load_dwordx2 v[2:3], v[0:1], off
	s_movk_i32 s0, 0x1ff
	s_movk_i32 s1, 0xffe
	v_mov_b32_e32 v5, 0x7c00
	v_mov_b32_e32 v6, 0x7e00
	s_movk_i32 s12, 0x40f
	s_mov_b32 s13, 0x8000
	s_waitcnt vmcnt(0)
	v_and_or_b32 v2, v3, s0, v2
	v_cmp_ne_u32_e32 vcc, 0, v2
	v_lshrrev_b32_e32 v7, 8, v3
	v_bfe_u32 v8, v3, 20, 11
	v_cndmask_b32_e64 v2, 0, 1, vcc
	v_sub_u32_e32 v9, 0x3f1, v8
	v_and_or_b32 v2, v7, s1, v2
	v_add_u32_e32 v8, 0xfffffc10, v8
	v_med3_i32 v7, v9, 0, 13
	v_or_b32_e32 v9, 0x1000, v2
	v_cmp_ne_u32_e32 vcc, 0, v2
	v_lshl_or_b32 v10, v8, 12, v2
	v_lshrrev_b32_e32 v3, 16, v3
	v_cndmask_b32_e32 v2, v5, v6, vcc
	v_lshrrev_b32_e32 v6, v7, v9
	v_lshlrev_b32_e32 v7, v7, v6
	v_cmp_ne_u32_e32 vcc, v7, v9
	s_mov_b64 s[0:1], 0
	s_nop 0
	v_cndmask_b32_e64 v7, 0, 1, vcc
	v_or_b32_e32 v6, v6, v7
	v_cmp_gt_i32_e32 vcc, 1, v8
	s_nop 1
	v_cndmask_b32_e32 v6, v10, v6, vcc
	v_and_b32_e32 v7, 7, v6
	v_cmp_lt_i32_e32 vcc, 5, v7
	v_lshrrev_b32_e32 v6, 2, v6
	s_nop 0
	v_cndmask_b32_e64 v9, 0, 1, vcc
	v_cmp_eq_u32_e32 vcc, 3, v7
	s_nop 1
	v_cndmask_b32_e64 v7, 0, 1, vcc
	v_or_b32_e32 v7, v7, v9
	v_add_u32_e32 v6, v6, v7
	v_cmp_gt_i32_e32 vcc, 31, v8
	s_nop 1
	v_cndmask_b32_e32 v5, v5, v6, vcc
	v_cmp_eq_u32_e32 vcc, s12, v8
	s_nop 1
	v_cndmask_b32_e32 v2, v5, v2, vcc
	v_and_or_b32 v2, v3, s13, v2
	s_branch .LBB160_224
.LBB160_222:
	s_mov_b64 s[0:1], -1
                                        ; implicit-def: $vgpr2
	s_branch .LBB160_227
.LBB160_223:
	s_mov_b64 s[0:1], -1
                                        ; implicit-def: $vgpr2
.LBB160_224:
	s_andn2_b64 vcc, exec, s[0:1]
	s_cbranch_vccnz .LBB160_226
; %bb.225:
	global_load_dword v2, v[0:1], off
	s_waitcnt vmcnt(0)
	v_cvt_f16_f32_e32 v2, v2
.LBB160_226:
	s_mov_b64 s[0:1], 0
.LBB160_227:
	s_andn2_b64 vcc, exec, s[0:1]
	s_cbranch_vccnz .LBB160_229
; %bb.228:
	global_load_ushort v2, v[0:1], off
.LBB160_229:
	s_cbranch_execnz .LBB160_249
.LBB160_230:
	s_cmp_lt_i32 s22, 2
	s_cbranch_scc1 .LBB160_234
; %bb.231:
	s_cmp_lt_i32 s22, 3
	s_cbranch_scc1 .LBB160_235
; %bb.232:
	s_cmp_gt_i32 s22, 3
	s_cbranch_scc0 .LBB160_236
; %bb.233:
	global_load_dwordx2 v[2:3], v[0:1], off
	s_mov_b64 s[0:1], 0
	s_waitcnt vmcnt(0)
	v_xor_b32_e32 v6, v2, v3
	v_ffbh_i32_e32 v5, v3
	v_ashrrev_i32_e32 v6, 31, v6
	v_add_u32_e32 v5, -1, v5
	v_add_u32_e32 v6, 32, v6
	v_min_u32_e32 v5, v5, v6
	v_lshlrev_b64 v[2:3], v5, v[2:3]
	v_min_u32_e32 v2, 1, v2
	v_or_b32_e32 v2, v3, v2
	v_cvt_f32_i32_e32 v2, v2
	v_sub_u32_e32 v3, 32, v5
	v_ldexp_f32 v2, v2, v3
	v_cvt_f16_f32_e32 v2, v2
	s_branch .LBB160_237
.LBB160_234:
	s_mov_b64 s[0:1], -1
                                        ; implicit-def: $vgpr2
	s_branch .LBB160_243
.LBB160_235:
	s_mov_b64 s[0:1], -1
                                        ; implicit-def: $vgpr2
	s_branch .LBB160_240
.LBB160_236:
	s_mov_b64 s[0:1], -1
                                        ; implicit-def: $vgpr2
.LBB160_237:
	s_andn2_b64 vcc, exec, s[0:1]
	s_cbranch_vccnz .LBB160_239
; %bb.238:
	global_load_dword v2, v[0:1], off
	s_waitcnt vmcnt(0)
	v_cvt_f32_i32_e32 v2, v2
	v_cvt_f16_f32_e32 v2, v2
.LBB160_239:
	s_mov_b64 s[0:1], 0
.LBB160_240:
	s_andn2_b64 vcc, exec, s[0:1]
	s_cbranch_vccnz .LBB160_242
; %bb.241:
	global_load_ushort v2, v[0:1], off
	s_waitcnt vmcnt(0)
	v_cvt_f16_i16_e32 v2, v2
.LBB160_242:
	s_mov_b64 s[0:1], 0
.LBB160_243:
	s_andn2_b64 vcc, exec, s[0:1]
	s_cbranch_vccnz .LBB160_249
; %bb.244:
	s_cmp_gt_i32 s22, 0
	s_cbranch_scc0 .LBB160_246
; %bb.245:
	global_load_sbyte v2, v[0:1], off
	s_mov_b64 s[0:1], 0
	s_waitcnt vmcnt(0)
	v_cvt_f16_i16_e32 v2, v2
	s_branch .LBB160_247
.LBB160_246:
	s_mov_b64 s[0:1], -1
                                        ; implicit-def: $vgpr2
.LBB160_247:
	s_andn2_b64 vcc, exec, s[0:1]
	s_cbranch_vccnz .LBB160_249
; %bb.248:
	global_load_ubyte v0, v[0:1], off
	s_waitcnt vmcnt(0)
	v_cvt_f16_u16_e32 v2, v0
.LBB160_249:
	s_branch .LBB160_11
.LBB160_250:
	s_mov_b64 s[0:1], 0
                                        ; implicit-def: $vgpr4
	s_mov_b64 s[18:19], 0
.LBB160_251:
	s_and_b64 s[12:13], s[0:1], exec
	s_and_b64 s[14:15], s[14:15], exec
	s_orn2_b64 s[18:19], s[18:19], exec
.LBB160_252:
	s_or_b64 exec, exec, s[16:17]
	s_mov_b64 s[22:23], 0
	s_mov_b64 s[0:1], 0
                                        ; implicit-def: $vgpr0_vgpr1
                                        ; implicit-def: $vgpr3
	s_and_saveexec_b64 s[16:17], s[18:19]
	s_cbranch_execz .LBB160_261
; %bb.253:
	v_cmp_gt_i32_e32 vcc, s38, v4
	s_mov_b64 s[0:1], -1
	s_mov_b64 s[18:19], s[14:15]
	s_mov_b64 s[20:21], s[12:13]
	s_and_saveexec_b64 s[22:23], vcc
	s_cbranch_execz .LBB160_513
; %bb.254:
	v_mul_lo_u32 v0, v4, s9
	v_ashrrev_i32_e32 v1, 31, v0
	s_and_b32 s26, 0xffff, s42
	s_cmp_lt_i32 s26, 11
	v_lshl_add_u64 v[0:1], s[6:7], 0, v[0:1]
	s_cbranch_scc1 .LBB160_264
; %bb.255:
	s_cmp_gt_i32 s26, 25
	s_cbranch_scc0 .LBB160_273
; %bb.256:
	s_cmp_gt_i32 s26, 28
	s_cbranch_scc0 .LBB160_275
	;; [unrolled: 3-line block ×4, first 2 shown]
; %bb.259:
	s_cmp_eq_u32 s26, 46
	s_mov_b64 s[20:21], 0
	s_cbranch_scc0 .LBB160_285
; %bb.260:
	global_load_dword v2, v[0:1], off
	s_mov_b64 s[18:19], 0
	s_waitcnt vmcnt(0)
	v_lshlrev_b32_e32 v2, 16, v2
	v_cvt_f16_f32_e32 v2, v2
	s_branch .LBB160_286
.LBB160_261:
	s_or_b64 exec, exec, s[16:17]
	s_mov_b64 s[16:17], 0
	s_and_saveexec_b64 s[18:19], s[14:15]
	s_cbranch_execnz .LBB160_859
.LBB160_262:
	s_or_b64 exec, exec, s[18:19]
	s_and_saveexec_b64 s[14:15], s[20:21]
	s_xor_b64 s[14:15], exec, s[14:15]
	s_cbranch_execz .LBB160_860
.LBB160_263:
	global_load_ubyte v2, v[0:1], off
	v_mov_b32_e32 v3, 0x3c00
	s_or_b64 s[0:1], s[0:1], exec
	s_waitcnt vmcnt(0)
	v_cmp_ne_u16_e32 vcc, 0, v2
	s_nop 1
	v_cndmask_b32_e32 v3, 0, v3, vcc
	s_or_b64 exec, exec, s[14:15]
	s_and_saveexec_b64 s[14:15], s[22:23]
	s_cbranch_execz .LBB160_906
	s_branch .LBB160_861
.LBB160_264:
	s_mov_b64 s[0:1], 0
                                        ; implicit-def: $vgpr2
	s_mov_b64 s[18:19], s[14:15]
	s_cbranch_execnz .LBB160_463
.LBB160_265:
	s_andn2_b64 vcc, exec, s[0:1]
	s_cbranch_vccnz .LBB160_511
.LBB160_266:
	s_waitcnt vmcnt(0)
	v_cvt_f32_f16_e32 v0, v2
	s_mov_b32 s0, 0xbf317218
	v_mov_b32_e32 v1, 0x3ab69700
	s_and_b32 s28, s33, 0xff
	v_mul_f32_e32 v3, 0x3fb8aa3b, v0
	v_rndne_f32_e32 v3, v3
	v_fma_mix_f32 v5, v3, s0, v2 op_sel_hi:[0,0,1]
	v_fmamk_f32 v5, v3, 0x3102e308, v5
	v_fmac_f32_e32 v1, 0x395133b1, v5
	v_fmaak_f32 v1, v5, v1, 0x3c0887f9
	v_cvt_i32_f32_e32 v6, v3
	v_fmaak_f32 v1, v5, v1, 0x3d2aaa81
	v_fmaak_f32 v1, v5, v1, 0x3e2aaaab
	v_fma_f32 v1, v5, v1, 0.5
	v_mul_f32_e32 v1, v5, v1
	s_mov_b32 s0, 0x43000000
	v_fmac_f32_e32 v5, v5, v1
	v_ldexp_f32 v1, 1.0, v6
	v_mov_b32_e32 v6, 0x7f000000
	v_cmp_eq_f32_e32 vcc, s0, v3
	s_mov_b32 s0, 0x42b17217
	s_cmp_lt_i32 s28, 11
	v_cndmask_b32_e32 v1, v1, v6, vcc
	v_add_f32_e32 v3, -1.0, v1
	v_fmac_f32_e32 v3, v1, v5
	v_add_f32_e32 v1, v3, v3
	v_cndmask_b32_e32 v1, v3, v1, vcc
	v_mov_b32_e32 v3, 0x7f800000
	v_cmp_nlt_f32_e32 vcc, s0, v0
	s_mov_b32 s0, 0xcc40
	s_nop 0
	v_cndmask_b32_e32 v0, v3, v1, vcc
	v_cvt_f16_f32_e32 v0, v0
	v_mov_b32_e32 v1, 0xbc00
	v_cmp_ngt_f16_e32 vcc, s0, v2
	s_nop 1
	v_cndmask_b32_e32 v2, v1, v0, vcc
	v_mul_lo_u32 v0, v4, s8
	v_ashrrev_i32_e32 v1, 31, v0
	v_lshl_add_u64 v[0:1], s[4:5], 0, v[0:1]
	s_cbranch_scc1 .LBB160_274
; %bb.267:
	s_and_b32 s29, 0xffff, s28
	s_cmp_gt_i32 s29, 25
	s_cbranch_scc0 .LBB160_276
; %bb.268:
	s_cmp_gt_i32 s29, 28
	s_cbranch_scc0 .LBB160_278
; %bb.269:
	;; [unrolled: 3-line block ×4, first 2 shown]
	s_mov_b64 s[24:25], 0
	s_mov_b64 s[0:1], -1
	s_cmp_eq_u32 s29, 46
	s_mov_b64 s[20:21], 0
	s_cbranch_scc0 .LBB160_290
; %bb.272:
	v_cvt_f32_f16_e32 v3, v2
	s_movk_i32 s0, 0x7fff
	v_cmp_o_f16_e32 vcc, v2, v2
	v_mov_b32_e32 v5, 0x7fc0
	v_bfe_u32 v6, v3, 16, 1
	v_add3_u32 v3, v3, v6, s0
	v_cndmask_b32_sdwa v3, v5, v3, vcc dst_sel:DWORD dst_unused:UNUSED_PAD src0_sel:DWORD src1_sel:WORD_1
	global_store_dword v[0:1], v3, off
	s_mov_b64 s[20:21], -1
	s_mov_b64 s[0:1], 0
	s_branch .LBB160_290
.LBB160_273:
	s_mov_b64 s[20:21], -1
	s_mov_b64 s[0:1], 0
	s_mov_b64 s[18:19], s[14:15]
                                        ; implicit-def: $vgpr2
	s_branch .LBB160_427
.LBB160_274:
	s_mov_b64 s[24:25], -1
	s_mov_b64 s[20:21], 0
	s_mov_b64 s[0:1], s[12:13]
	s_branch .LBB160_359
.LBB160_275:
	s_mov_b64 s[20:21], -1
	s_mov_b64 s[0:1], 0
	s_mov_b64 s[18:19], s[14:15]
                                        ; implicit-def: $vgpr2
	s_branch .LBB160_408
.LBB160_276:
	s_mov_b64 s[24:25], -1
	s_mov_b64 s[20:21], 0
	s_mov_b64 s[0:1], s[12:13]
	s_branch .LBB160_317
.LBB160_277:
	s_mov_b64 s[20:21], -1
	s_mov_b64 s[0:1], 0
	s_mov_b64 s[18:19], s[14:15]
                                        ; implicit-def: $vgpr2
	s_branch .LBB160_403
.LBB160_278:
	s_mov_b64 s[24:25], -1
	s_mov_b64 s[20:21], 0
	s_mov_b64 s[0:1], s[12:13]
	s_branch .LBB160_300
.LBB160_279:
	s_andn2_saveexec_b64 s[22:23], s[22:23]
	s_cbranch_execz .LBB160_55
.LBB160_280:
	s_mov_b32 s26, 0x46000000
	v_add_f32_e64 v5, |v3|, s26
	v_and_b32_e32 v5, 0xff, v5
	v_cmp_ne_u32_e32 vcc, 0, v5
	s_andn2_b64 s[18:19], s[18:19], exec
	s_and_b64 s[26:27], vcc, exec
	s_or_b64 s[18:19], s[18:19], s[26:27]
	s_or_b64 exec, exec, s[22:23]
	v_mov_b32_e32 v6, 0
	s_and_saveexec_b64 s[22:23], s[18:19]
	s_cbranch_execnz .LBB160_56
	s_branch .LBB160_57
.LBB160_281:
	s_mov_b64 s[20:21], -1
	s_mov_b64 s[0:1], 0
	s_mov_b64 s[18:19], s[14:15]
                                        ; implicit-def: $vgpr2
	s_branch .LBB160_286
.LBB160_282:
	s_mov_b64 s[24:25], -1
	s_mov_b64 s[20:21], 0
	s_mov_b64 s[0:1], s[12:13]
	s_branch .LBB160_296
.LBB160_283:
	s_andn2_saveexec_b64 s[22:23], s[22:23]
	s_cbranch_execz .LBB160_68
.LBB160_284:
	s_mov_b32 s26, 0x42800000
	v_add_f32_e64 v5, |v3|, s26
	v_and_b32_e32 v5, 0xff, v5
	v_cmp_ne_u32_e32 vcc, 0, v5
	s_andn2_b64 s[18:19], s[18:19], exec
	s_and_b64 s[26:27], vcc, exec
	s_or_b64 s[18:19], s[18:19], s[26:27]
	s_or_b64 exec, exec, s[22:23]
	v_mov_b32_e32 v6, 0
	s_and_saveexec_b64 s[22:23], s[18:19]
	s_cbranch_execnz .LBB160_69
	s_branch .LBB160_70
.LBB160_285:
	s_mov_b64 s[18:19], -1
                                        ; implicit-def: $vgpr2
	s_mov_b64 s[0:1], 0
.LBB160_286:
	s_and_b64 vcc, exec, s[20:21]
	s_cbranch_vccz .LBB160_402
; %bb.287:
	s_cmp_eq_u32 s26, 44
	s_cbranch_scc0 .LBB160_401
; %bb.288:
	global_load_ubyte v2, v[0:1], off
	s_movk_i32 s18, 0xff
	v_mov_b32_e32 v5, 0x7e00
	s_mov_b64 s[0:1], -1
	s_waitcnt vmcnt(0)
	v_lshlrev_b32_e32 v3, 23, v2
	v_cvt_f16_f32_e32 v3, v3
	v_cmp_ne_u32_e32 vcc, s18, v2
	s_mov_b64 s[18:19], 0
	s_nop 0
	v_cndmask_b32_e32 v3, v5, v3, vcc
	v_cmp_ne_u32_e32 vcc, 0, v2
	s_nop 1
	v_cndmask_b32_e32 v2, 0, v3, vcc
	s_branch .LBB160_402
.LBB160_289:
	s_mov_b64 s[24:25], -1
	s_mov_b64 s[20:21], 0
	s_mov_b64 s[0:1], s[12:13]
.LBB160_290:
	s_and_b64 vcc, exec, s[24:25]
	s_cbranch_vccz .LBB160_295
; %bb.291:
	s_cmp_eq_u32 s29, 44
	s_mov_b64 s[0:1], -1
	s_cbranch_scc0 .LBB160_295
; %bb.292:
	v_cvt_f32_f16_e32 v3, v2
	s_movk_i32 s0, 0xff
	v_mov_b32_e32 v6, 0xff
	v_bfe_u32 v5, v3, 23, 8
	v_cmp_ne_u32_e32 vcc, s0, v5
	s_and_saveexec_b64 s[20:21], vcc
; %bb.293:
	s_mov_b32 s0, 0x3fffff
	v_lshrrev_b32_e32 v6, 23, v3
	v_and_b32_e32 v7, 0x400000, v3
	v_and_or_b32 v3, v3, s0, v5
	v_cmp_ne_u32_e32 vcc, 0, v7
	v_cmp_ne_u32_e64 s[0:1], 0, v3
	s_and_b64 s[0:1], vcc, s[0:1]
	s_nop 0
	v_cndmask_b32_e64 v3, 0, 1, s[0:1]
	v_add_u32_e32 v6, v6, v3
; %bb.294:
	s_or_b64 exec, exec, s[20:21]
	s_mov_b64 s[20:21], -1
	s_mov_b64 s[0:1], 0
	global_store_byte v[0:1], v6, off
.LBB160_295:
	s_mov_b64 s[24:25], 0
.LBB160_296:
	s_and_b64 vcc, exec, s[24:25]
	s_cbranch_vccz .LBB160_299
; %bb.297:
	s_cmp_eq_u32 s29, 29
	s_mov_b64 s[0:1], -1
	s_cbranch_scc0 .LBB160_299
; %bb.298:
	v_cvt_f32_f16_e32 v3, v2
	v_mov_b32_e32 v7, 0
	s_mov_b64 s[20:21], -1
	s_mov_b64 s[0:1], 0
	v_cvt_u32_f32_e32 v6, v3
	s_mov_b64 s[24:25], 0
	global_store_dwordx2 v[0:1], v[6:7], off
	s_branch .LBB160_300
.LBB160_299:
	s_mov_b64 s[24:25], 0
.LBB160_300:
	s_and_b64 vcc, exec, s[24:25]
	s_cbranch_vccz .LBB160_316
; %bb.301:
	s_cmp_lt_i32 s29, 27
	s_mov_b64 s[20:21], -1
	s_cbranch_scc1 .LBB160_307
; %bb.302:
	s_cmp_gt_i32 s29, 27
	s_cbranch_scc0 .LBB160_304
; %bb.303:
	v_cvt_f32_f16_e32 v3, v2
	s_mov_b64 s[20:21], 0
	v_cvt_u32_f32_e32 v3, v3
	global_store_dword v[0:1], v3, off
.LBB160_304:
	s_andn2_b64 vcc, exec, s[20:21]
	s_cbranch_vccnz .LBB160_306
; %bb.305:
	v_cvt_u16_f16_e32 v3, v2
	global_store_short v[0:1], v3, off
.LBB160_306:
	s_mov_b64 s[20:21], 0
.LBB160_307:
	s_andn2_b64 vcc, exec, s[20:21]
	s_cbranch_vccnz .LBB160_315
; %bb.308:
	v_cvt_f32_f16_e32 v3, v2
	s_mov_b32 s20, 0x43800000
	v_mov_b32_e32 v6, 0x80
	v_and_b32_e32 v5, 0x7fffffff, v3
	v_cmp_gt_u32_e32 vcc, s20, v5
	s_and_saveexec_b64 s[20:21], vcc
	s_cbranch_execz .LBB160_314
; %bb.309:
	s_mov_b32 s24, 0x3bffffff
	v_cmp_lt_u32_e32 vcc, s24, v5
	s_mov_b64 s[24:25], 0
                                        ; implicit-def: $vgpr5
	s_and_saveexec_b64 s[26:27], vcc
	s_xor_b64 s[26:27], exec, s[26:27]
	s_cbranch_execz .LBB160_526
; %bb.310:
	v_bfe_u32 v5, v3, 20, 1
	s_mov_b32 s30, 0x487ffff
	v_add3_u32 v5, v3, v5, s30
	s_mov_b64 s[24:25], exec
	v_lshrrev_b32_e32 v5, 20, v5
	s_andn2_saveexec_b64 s[26:27], s[26:27]
	s_cbranch_execnz .LBB160_527
.LBB160_311:
	s_or_b64 exec, exec, s[26:27]
	v_mov_b32_e32 v6, 0
	s_and_saveexec_b64 s[26:27], s[24:25]
.LBB160_312:
	v_lshrrev_b32_e32 v3, 24, v3
	s_movk_i32 s24, 0x80
	v_and_or_b32 v6, v3, s24, v5
.LBB160_313:
	s_or_b64 exec, exec, s[26:27]
.LBB160_314:
	s_or_b64 exec, exec, s[20:21]
	global_store_byte v[0:1], v6, off
.LBB160_315:
	s_mov_b64 s[20:21], -1
.LBB160_316:
	s_mov_b64 s[24:25], 0
.LBB160_317:
	s_and_b64 vcc, exec, s[24:25]
	s_cbranch_vccz .LBB160_358
; %bb.318:
	s_cmp_gt_i32 s29, 22
	s_mov_b64 s[24:25], -1
	s_cbranch_scc0 .LBB160_350
; %bb.319:
	s_cmp_lt_i32 s29, 24
	s_mov_b64 s[20:21], -1
	s_cbranch_scc1 .LBB160_339
; %bb.320:
	s_cmp_gt_i32 s29, 24
	s_cbranch_scc0 .LBB160_328
; %bb.321:
	v_cvt_f32_f16_e32 v3, v2
	s_mov_b32 s20, 0x47800000
	v_mov_b32_e32 v6, 0x80
	v_and_b32_e32 v5, 0x7fffffff, v3
	v_cmp_gt_u32_e32 vcc, s20, v5
	s_and_saveexec_b64 s[20:21], vcc
	s_cbranch_execz .LBB160_327
; %bb.322:
	s_mov_b32 s24, 0x37ffffff
	v_cmp_lt_u32_e32 vcc, s24, v5
	s_mov_b64 s[24:25], 0
                                        ; implicit-def: $vgpr5
	s_and_saveexec_b64 s[26:27], vcc
	s_xor_b64 s[26:27], exec, s[26:27]
	s_cbranch_execz .LBB160_529
; %bb.323:
	v_bfe_u32 v5, v3, 21, 1
	s_mov_b32 s30, 0x88fffff
	v_add3_u32 v5, v3, v5, s30
	s_mov_b64 s[24:25], exec
	v_lshrrev_b32_e32 v5, 21, v5
	s_andn2_saveexec_b64 s[26:27], s[26:27]
	s_cbranch_execnz .LBB160_530
.LBB160_324:
	s_or_b64 exec, exec, s[26:27]
	v_mov_b32_e32 v6, 0
	s_and_saveexec_b64 s[26:27], s[24:25]
.LBB160_325:
	v_lshrrev_b32_e32 v3, 24, v3
	s_movk_i32 s24, 0x80
	v_and_or_b32 v6, v3, s24, v5
.LBB160_326:
	s_or_b64 exec, exec, s[26:27]
.LBB160_327:
	s_or_b64 exec, exec, s[20:21]
	s_mov_b64 s[20:21], 0
	global_store_byte v[0:1], v6, off
.LBB160_328:
	s_and_b64 vcc, exec, s[20:21]
	s_cbranch_vccz .LBB160_338
; %bb.329:
	v_cvt_f32_f16_e32 v3, v2
	s_mov_b32 s20, 0x43f00000
                                        ; implicit-def: $vgpr5
	v_and_b32_e32 v6, 0x7fffffff, v3
	v_cmp_gt_u32_e32 vcc, s20, v6
	s_and_saveexec_b64 s[20:21], vcc
	s_xor_b64 s[20:21], exec, s[20:21]
	s_cbranch_execz .LBB160_335
; %bb.330:
	s_mov_b32 s24, 0x3c7fffff
	v_cmp_lt_u32_e32 vcc, s24, v6
                                        ; implicit-def: $vgpr5
	s_and_saveexec_b64 s[24:25], vcc
	s_xor_b64 s[24:25], exec, s[24:25]
; %bb.331:
	v_bfe_u32 v5, v3, 20, 1
	s_mov_b32 s26, 0x407ffff
	v_add3_u32 v5, v3, v5, s26
	v_lshrrev_b32_e32 v6, 20, v5
	v_and_b32_e32 v5, 0xff00000, v5
	s_mov_b32 s26, 0x7f00000
	v_mov_b32_e32 v7, 0x7e
	v_cmp_ne_u32_e32 vcc, s26, v5
	s_nop 1
	v_cndmask_b32_e32 v5, v7, v6, vcc
; %bb.332:
	s_andn2_saveexec_b64 s[24:25], s[24:25]
; %bb.333:
	s_mov_b32 s26, 0x46800000
	v_add_f32_e64 v5, |v3|, s26
; %bb.334:
	s_or_b64 exec, exec, s[24:25]
                                        ; implicit-def: $vgpr6
.LBB160_335:
	s_andn2_saveexec_b64 s[20:21], s[20:21]
; %bb.336:
	s_mov_b32 s24, 0x7f800000
	v_mov_b32_e32 v5, 0x7e
	v_mov_b32_e32 v7, 0x7f
	v_cmp_lt_u32_e32 vcc, s24, v6
	s_nop 1
	v_cndmask_b32_e32 v5, v5, v7, vcc
; %bb.337:
	s_or_b64 exec, exec, s[20:21]
	v_lshrrev_b32_e32 v3, 24, v3
	s_movk_i32 s20, 0x80
	v_and_or_b32 v3, v3, s20, v5
	global_store_byte v[0:1], v3, off
.LBB160_338:
	s_mov_b64 s[20:21], 0
.LBB160_339:
	s_andn2_b64 vcc, exec, s[20:21]
	s_cbranch_vccnz .LBB160_349
; %bb.340:
	v_cvt_f32_f16_e32 v3, v2
	s_mov_b32 s20, 0x47800000
                                        ; implicit-def: $vgpr5
	v_and_b32_e32 v6, 0x7fffffff, v3
	v_cmp_gt_u32_e32 vcc, s20, v6
	s_and_saveexec_b64 s[20:21], vcc
	s_xor_b64 s[20:21], exec, s[20:21]
	s_cbranch_execz .LBB160_346
; %bb.341:
	s_mov_b32 s24, 0x387fffff
	v_cmp_lt_u32_e32 vcc, s24, v6
                                        ; implicit-def: $vgpr5
	s_and_saveexec_b64 s[24:25], vcc
	s_xor_b64 s[24:25], exec, s[24:25]
; %bb.342:
	v_bfe_u32 v5, v3, 21, 1
	s_mov_b32 s26, 0x80fffff
	v_add3_u32 v5, v3, v5, s26
	v_lshrrev_b32_e32 v5, 21, v5
; %bb.343:
	s_andn2_saveexec_b64 s[24:25], s[24:25]
; %bb.344:
	s_mov_b32 s26, 0x43000000
	v_add_f32_e64 v5, |v3|, s26
; %bb.345:
	s_or_b64 exec, exec, s[24:25]
                                        ; implicit-def: $vgpr6
.LBB160_346:
	s_andn2_saveexec_b64 s[20:21], s[20:21]
; %bb.347:
	s_mov_b32 s24, 0x7f800000
	v_mov_b32_e32 v5, 0x7c
	v_mov_b32_e32 v7, 0x7f
	v_cmp_lt_u32_e32 vcc, s24, v6
	s_nop 1
	v_cndmask_b32_e32 v5, v5, v7, vcc
; %bb.348:
	s_or_b64 exec, exec, s[20:21]
	v_lshrrev_b32_e32 v3, 24, v3
	s_movk_i32 s20, 0x80
	v_and_or_b32 v3, v3, s20, v5
	global_store_byte v[0:1], v3, off
.LBB160_349:
	s_mov_b64 s[24:25], 0
	s_mov_b64 s[20:21], -1
.LBB160_350:
	s_andn2_b64 vcc, exec, s[24:25]
	s_cbranch_vccnz .LBB160_358
; %bb.351:
	s_cmp_gt_i32 s29, 14
	s_mov_b64 s[24:25], -1
	s_cbranch_scc0 .LBB160_355
; %bb.352:
	s_cmp_eq_u32 s29, 15
	s_mov_b64 s[0:1], -1
	s_cbranch_scc0 .LBB160_354
; %bb.353:
	v_cvt_f32_f16_e32 v3, v2
	s_movk_i32 s0, 0x7fff
	v_cmp_o_f16_e32 vcc, v2, v2
	v_mov_b32_e32 v5, 0x7fc0
	v_bfe_u32 v6, v3, 16, 1
	v_add3_u32 v3, v3, v6, s0
	v_cndmask_b32_sdwa v3, v5, v3, vcc dst_sel:DWORD dst_unused:UNUSED_PAD src0_sel:DWORD src1_sel:WORD_1
	global_store_short v[0:1], v3, off
	s_mov_b64 s[20:21], -1
	s_mov_b64 s[0:1], 0
.LBB160_354:
	s_mov_b64 s[24:25], 0
.LBB160_355:
	s_and_b64 vcc, exec, s[24:25]
	s_cbranch_vccz .LBB160_358
; %bb.356:
	s_cmp_eq_u32 s29, 11
	s_mov_b64 s[0:1], -1
	s_cbranch_scc0 .LBB160_358
; %bb.357:
	v_cmp_neq_f16_e32 vcc, 0, v2
	s_mov_b64 s[20:21], -1
	s_mov_b64 s[0:1], 0
	v_cndmask_b32_e64 v3, 0, 1, vcc
	global_store_byte v[0:1], v3, off
.LBB160_358:
	s_mov_b64 s[24:25], 0
.LBB160_359:
	s_and_b64 vcc, exec, s[24:25]
	s_cbranch_vccz .LBB160_398
; %bb.360:
	s_and_b32 s24, 0xffff, s28
	s_cmp_lt_i32 s24, 5
	s_mov_b64 s[20:21], -1
	s_cbranch_scc1 .LBB160_381
; %bb.361:
	s_cmp_lt_i32 s24, 8
	s_cbranch_scc1 .LBB160_371
; %bb.362:
	s_cmp_lt_i32 s24, 9
	s_cbranch_scc1 .LBB160_368
; %bb.363:
	s_cmp_gt_i32 s24, 9
	s_cbranch_scc0 .LBB160_365
; %bb.364:
	v_cvt_f32_f16_e32 v3, v2
	v_mov_b32_e32 v8, 0
	v_mov_b32_e32 v9, v8
	s_mov_b64 s[20:21], 0
	v_cvt_f64_f32_e32 v[6:7], v3
	global_store_dwordx4 v[0:1], v[6:9], off
.LBB160_365:
	s_andn2_b64 vcc, exec, s[20:21]
	s_cbranch_vccnz .LBB160_367
; %bb.366:
	v_cvt_f32_f16_e32 v6, v2
	v_mov_b32_e32 v7, 0
	global_store_dwordx2 v[0:1], v[6:7], off
.LBB160_367:
	s_mov_b64 s[20:21], 0
.LBB160_368:
	s_andn2_b64 vcc, exec, s[20:21]
	s_cbranch_vccnz .LBB160_370
; %bb.369:
	v_and_b32_e32 v3, 0xffff, v2
	global_store_dword v[0:1], v3, off
.LBB160_370:
	s_mov_b64 s[20:21], 0
.LBB160_371:
	s_andn2_b64 vcc, exec, s[20:21]
	s_cbranch_vccnz .LBB160_380
; %bb.372:
	s_cmp_lt_i32 s24, 6
	s_mov_b64 s[20:21], -1
	s_cbranch_scc1 .LBB160_378
; %bb.373:
	s_cmp_gt_i32 s24, 6
	s_cbranch_scc0 .LBB160_375
; %bb.374:
	v_cvt_f32_f16_e32 v3, v2
	s_mov_b64 s[20:21], 0
	v_cvt_f64_f32_e32 v[6:7], v3
	global_store_dwordx2 v[0:1], v[6:7], off
.LBB160_375:
	s_andn2_b64 vcc, exec, s[20:21]
	s_cbranch_vccnz .LBB160_377
; %bb.376:
	v_cvt_f32_f16_e32 v3, v2
	global_store_dword v[0:1], v3, off
.LBB160_377:
	s_mov_b64 s[20:21], 0
.LBB160_378:
	s_andn2_b64 vcc, exec, s[20:21]
	s_cbranch_vccnz .LBB160_380
; %bb.379:
	global_store_short v[0:1], v2, off
.LBB160_380:
	s_mov_b64 s[20:21], 0
.LBB160_381:
	s_andn2_b64 vcc, exec, s[20:21]
	s_cbranch_vccnz .LBB160_397
; %bb.382:
	s_cmp_lt_i32 s24, 2
	s_mov_b64 s[20:21], -1
	s_cbranch_scc1 .LBB160_392
; %bb.383:
	s_cmp_lt_i32 s24, 3
	s_cbranch_scc1 .LBB160_389
; %bb.384:
	s_cmp_gt_i32 s24, 3
	s_cbranch_scc0 .LBB160_386
; %bb.385:
	v_cvt_f32_f16_e32 v3, v2
	s_mov_b64 s[20:21], 0
	v_cvt_i32_f32_e32 v6, v3
	v_ashrrev_i32_e32 v7, 31, v6
	global_store_dwordx2 v[0:1], v[6:7], off
.LBB160_386:
	s_andn2_b64 vcc, exec, s[20:21]
	s_cbranch_vccnz .LBB160_388
; %bb.387:
	v_cvt_f32_f16_e32 v3, v2
	v_cvt_i32_f32_e32 v3, v3
	global_store_dword v[0:1], v3, off
.LBB160_388:
	s_mov_b64 s[20:21], 0
.LBB160_389:
	s_andn2_b64 vcc, exec, s[20:21]
	s_cbranch_vccnz .LBB160_391
; %bb.390:
	v_cvt_i16_f16_e32 v3, v2
	global_store_short v[0:1], v3, off
.LBB160_391:
	s_mov_b64 s[20:21], 0
.LBB160_392:
	s_andn2_b64 vcc, exec, s[20:21]
	s_cbranch_vccnz .LBB160_397
; %bb.393:
	s_cmp_gt_i32 s24, 0
	s_mov_b64 s[20:21], -1
	s_cbranch_scc0 .LBB160_395
; %bb.394:
	v_cvt_i16_f16_e32 v3, v2
	s_mov_b64 s[20:21], 0
	global_store_byte v[0:1], v3, off
.LBB160_395:
	s_andn2_b64 vcc, exec, s[20:21]
	s_cbranch_vccnz .LBB160_397
; %bb.396:
	v_cvt_f32_f16_e32 v2, v2
	v_cvt_i32_f32_e32 v2, v2
	global_store_byte v[0:1], v2, off
.LBB160_397:
	s_mov_b64 s[20:21], -1
.LBB160_398:
	s_andn2_b64 vcc, exec, s[20:21]
	s_cbranch_vccnz .LBB160_400
; %bb.399:
	v_add_u32_e32 v4, 0x80, v4
	s_mov_b64 s[24:25], -1
	s_branch .LBB160_512
.LBB160_400:
	s_mov_b64 s[24:25], 0
                                        ; implicit-def: $vgpr4
	s_branch .LBB160_512
.LBB160_401:
	s_mov_b64 s[18:19], -1
                                        ; implicit-def: $vgpr2
.LBB160_402:
	s_mov_b64 s[20:21], 0
.LBB160_403:
	s_and_b64 vcc, exec, s[20:21]
	s_cbranch_vccz .LBB160_407
; %bb.404:
	s_cmp_eq_u32 s26, 29
	s_cbranch_scc0 .LBB160_406
; %bb.405:
	global_load_dwordx2 v[2:3], v[0:1], off
	s_mov_b64 s[0:1], -1
	s_mov_b64 s[18:19], 0
	s_mov_b64 s[20:21], 0
	s_waitcnt vmcnt(0)
	v_ffbh_u32_e32 v5, v3
	v_min_u32_e32 v5, 32, v5
	v_lshlrev_b64 v[2:3], v5, v[2:3]
	v_min_u32_e32 v2, 1, v2
	v_or_b32_e32 v2, v3, v2
	v_cvt_f32_u32_e32 v2, v2
	v_sub_u32_e32 v3, 32, v5
	v_ldexp_f32 v2, v2, v3
	v_cvt_f16_f32_e32 v2, v2
	s_branch .LBB160_408
.LBB160_406:
	s_mov_b64 s[18:19], -1
                                        ; implicit-def: $vgpr2
.LBB160_407:
	s_mov_b64 s[20:21], 0
.LBB160_408:
	s_and_b64 vcc, exec, s[20:21]
	s_cbranch_vccz .LBB160_426
; %bb.409:
	s_cmp_lt_i32 s26, 27
	s_cbranch_scc1 .LBB160_412
; %bb.410:
	s_cmp_gt_i32 s26, 27
	s_cbranch_scc0 .LBB160_413
; %bb.411:
	global_load_dword v2, v[0:1], off
	s_mov_b64 s[0:1], 0
	s_waitcnt vmcnt(0)
	v_cvt_f32_u32_e32 v2, v2
	v_cvt_f16_f32_e32 v2, v2
	s_branch .LBB160_414
.LBB160_412:
	s_mov_b64 s[0:1], -1
                                        ; implicit-def: $vgpr2
	s_branch .LBB160_417
.LBB160_413:
	s_mov_b64 s[0:1], -1
                                        ; implicit-def: $vgpr2
.LBB160_414:
	s_andn2_b64 vcc, exec, s[0:1]
	s_cbranch_vccnz .LBB160_416
; %bb.415:
	global_load_ushort v2, v[0:1], off
	s_waitcnt vmcnt(0)
	v_cvt_f16_u16_e32 v2, v2
.LBB160_416:
	s_mov_b64 s[0:1], 0
.LBB160_417:
	s_andn2_b64 vcc, exec, s[0:1]
	s_cbranch_vccnz .LBB160_425
; %bb.418:
	global_load_ubyte v3, v[0:1], off
	s_movk_i32 s0, 0x7f
	s_waitcnt vmcnt(0)
	v_cmp_lt_i16_e32 vcc, s0, v3
	s_mov_b64 s[0:1], 0
	s_and_saveexec_b64 s[20:21], vcc
	s_xor_b64 s[20:21], exec, s[20:21]
	s_cbranch_execz .LBB160_439
; %bb.419:
	s_movk_i32 s0, 0x80
	v_cmp_eq_u16_e32 vcc, s0, v3
	s_mov_b64 s[0:1], -1
	s_and_saveexec_b64 s[24:25], vcc
; %bb.420:
	s_xor_b64 s[0:1], exec, -1
; %bb.421:
	s_or_b64 exec, exec, s[24:25]
	s_and_b64 s[0:1], s[0:1], exec
	s_or_saveexec_b64 s[20:21], s[20:21]
	v_mov_b32_e32 v2, 0x7e00
	s_xor_b64 exec, exec, s[20:21]
	s_cbranch_execnz .LBB160_440
.LBB160_422:
	s_or_b64 exec, exec, s[20:21]
	s_and_saveexec_b64 s[20:21], s[0:1]
	s_cbranch_execz .LBB160_424
.LBB160_423:
	v_lshlrev_b32_e32 v2, 24, v3
	v_and_b32_e32 v3, 0xffff, v3
	v_and_b32_e32 v5, 7, v3
	v_ffbh_u32_e32 v7, v5
	v_min_u32_e32 v7, 32, v7
	v_subrev_u32_e32 v8, 28, v7
	v_bfe_u32 v6, v3, 3, 4
	v_lshlrev_b32_e32 v3, v8, v3
	v_sub_u32_e32 v7, 29, v7
	v_and_b32_e32 v3, 7, v3
	v_cmp_eq_u32_e32 vcc, 0, v6
	v_and_b32_e32 v2, 0x80000000, v2
	s_nop 0
	v_cndmask_b32_e32 v6, v6, v7, vcc
	v_cndmask_b32_e32 v3, v5, v3, vcc
	v_mov_b32_e32 v5, 0x3b800000
	v_lshlrev_b32_e32 v3, 20, v3
	v_lshl_add_u32 v5, v6, 23, v5
	v_or3_b32 v2, v2, v5, v3
	v_cvt_f16_f32_e32 v2, v2
.LBB160_424:
	s_or_b64 exec, exec, s[20:21]
.LBB160_425:
	s_mov_b64 s[0:1], -1
.LBB160_426:
	s_mov_b64 s[20:21], 0
.LBB160_427:
	s_and_b64 vcc, exec, s[20:21]
	s_cbranch_vccz .LBB160_462
; %bb.428:
	s_cmp_gt_i32 s26, 22
	s_cbranch_scc0 .LBB160_438
; %bb.429:
	s_cmp_lt_i32 s26, 24
	s_cbranch_scc1 .LBB160_441
; %bb.430:
	s_cmp_gt_i32 s26, 24
	s_cbranch_scc0 .LBB160_442
; %bb.431:
	global_load_ubyte v3, v[0:1], off
	s_movk_i32 s0, 0x7f
	s_waitcnt vmcnt(0)
	v_cmp_lt_i16_e32 vcc, s0, v3
	s_mov_b64 s[0:1], 0
	s_and_saveexec_b64 s[20:21], vcc
	s_xor_b64 s[20:21], exec, s[20:21]
	s_cbranch_execz .LBB160_454
; %bb.432:
	s_movk_i32 s0, 0x80
	v_cmp_eq_u16_e32 vcc, s0, v3
	s_mov_b64 s[0:1], -1
	s_and_saveexec_b64 s[24:25], vcc
; %bb.433:
	s_xor_b64 s[0:1], exec, -1
; %bb.434:
	s_or_b64 exec, exec, s[24:25]
	s_and_b64 s[0:1], s[0:1], exec
	s_or_saveexec_b64 s[20:21], s[20:21]
	v_mov_b32_e32 v2, 0x7e00
	s_xor_b64 exec, exec, s[20:21]
	s_cbranch_execnz .LBB160_455
.LBB160_435:
	s_or_b64 exec, exec, s[20:21]
	s_and_saveexec_b64 s[20:21], s[0:1]
	s_cbranch_execz .LBB160_437
.LBB160_436:
	v_lshlrev_b32_e32 v2, 24, v3
	v_and_b32_e32 v3, 0xffff, v3
	v_and_b32_e32 v5, 3, v3
	v_ffbh_u32_e32 v7, v5
	v_min_u32_e32 v7, 32, v7
	v_subrev_u32_e32 v8, 29, v7
	v_bfe_u32 v6, v3, 2, 5
	v_lshlrev_b32_e32 v3, v8, v3
	v_sub_u32_e32 v7, 30, v7
	v_and_b32_e32 v3, 3, v3
	v_cmp_eq_u32_e32 vcc, 0, v6
	v_and_b32_e32 v2, 0x80000000, v2
	s_nop 0
	v_cndmask_b32_e32 v6, v6, v7, vcc
	v_cndmask_b32_e32 v3, v5, v3, vcc
	v_mov_b32_e32 v5, 0x37800000
	v_lshlrev_b32_e32 v3, 21, v3
	v_lshl_add_u32 v5, v6, 23, v5
	v_or3_b32 v2, v2, v5, v3
	v_cvt_f16_f32_e32 v2, v2
.LBB160_437:
	s_or_b64 exec, exec, s[20:21]
	s_mov_b64 s[0:1], 0
	s_branch .LBB160_443
.LBB160_438:
	s_mov_b64 s[20:21], -1
                                        ; implicit-def: $vgpr2
	s_branch .LBB160_449
.LBB160_439:
	s_or_saveexec_b64 s[20:21], s[20:21]
	v_mov_b32_e32 v2, 0x7e00
	s_xor_b64 exec, exec, s[20:21]
	s_cbranch_execz .LBB160_422
.LBB160_440:
	v_cmp_ne_u16_e32 vcc, 0, v3
	s_andn2_b64 s[0:1], s[0:1], exec
	s_and_b64 s[24:25], vcc, exec
	s_or_b64 s[0:1], s[0:1], s[24:25]
	v_mov_b32_e32 v2, v3
	s_or_b64 exec, exec, s[20:21]
	s_and_saveexec_b64 s[20:21], s[0:1]
	s_cbranch_execnz .LBB160_423
	s_branch .LBB160_424
.LBB160_441:
	s_mov_b64 s[0:1], -1
                                        ; implicit-def: $vgpr2
	s_branch .LBB160_446
.LBB160_442:
	s_mov_b64 s[0:1], -1
                                        ; implicit-def: $vgpr2
.LBB160_443:
	s_and_b64 vcc, exec, s[0:1]
	s_cbranch_vccz .LBB160_445
; %bb.444:
	global_load_ubyte v2, v[0:1], off
	s_mov_b32 s0, 0x7f800000
	s_waitcnt vmcnt(0)
	v_lshlrev_b32_e32 v2, 24, v2
	v_and_b32_e32 v3, 0x7f000000, v2
	v_ffbh_u32_e32 v5, v3
	v_min_u32_e32 v5, 32, v5
	v_sub_u32_e64 v5, v5, 4 clamp
	v_lshlrev_b32_e32 v7, v5, v3
	v_lshlrev_b32_e32 v5, 23, v5
	v_lshrrev_b32_e32 v7, 4, v7
	v_add_u32_e32 v6, 0x1000000, v3
	v_sub_u32_e32 v5, v7, v5
	v_ashrrev_i32_e32 v6, 8, v6
	v_add_u32_e32 v5, 0x3c000000, v5
	v_and_or_b32 v5, v6, s0, v5
	v_cmp_ne_u32_e32 vcc, 0, v3
	s_brev_b32 s0, 1
	s_nop 0
	v_cndmask_b32_e32 v3, 0, v5, vcc
	v_and_or_b32 v2, v2, s0, v3
	v_cvt_f16_f32_e32 v2, v2
.LBB160_445:
	s_mov_b64 s[0:1], 0
.LBB160_446:
	s_andn2_b64 vcc, exec, s[0:1]
	s_cbranch_vccnz .LBB160_448
; %bb.447:
	global_load_ubyte v2, v[0:1], off
	s_movk_i32 s0, 0x7f00
	s_brev_b32 s1, 16
	s_waitcnt vmcnt(0)
	v_lshlrev_b16_e32 v3, 8, v2
	v_lshlrev_b32_e32 v2, 25, v2
	v_lshrrev_b32_e32 v5, 4, v2
	v_and_or_b32 v6, v3, s0, 0.5
	v_or_b32_e32 v5, 0x70000000, v5
	v_add_f32_e32 v6, -0.5, v6
	v_mul_f32_e32 v5, 0x7800000, v5
	v_cmp_gt_u32_e32 vcc, s1, v2
	v_bfe_i32 v3, v3, 0, 16
	s_brev_b32 s0, 1
	v_cndmask_b32_e32 v2, v5, v6, vcc
	v_and_or_b32 v2, v3, s0, v2
	v_cvt_f16_f32_e32 v2, v2
.LBB160_448:
	s_mov_b64 s[20:21], 0
	s_mov_b64 s[0:1], -1
.LBB160_449:
	s_andn2_b64 vcc, exec, s[20:21]
	s_cbranch_vccnz .LBB160_462
; %bb.450:
	s_cmp_gt_i32 s26, 14
	s_cbranch_scc0 .LBB160_453
; %bb.451:
	s_cmp_eq_u32 s26, 15
	s_cbranch_scc0 .LBB160_456
; %bb.452:
	global_load_ushort v2, v[0:1], off
	s_mov_b64 s[0:1], -1
	s_mov_b64 s[18:19], 0
	s_waitcnt vmcnt(0)
	v_lshlrev_b32_e32 v2, 16, v2
	v_cvt_f16_f32_e32 v2, v2
	s_branch .LBB160_457
.LBB160_453:
	s_mov_b64 s[20:21], -1
                                        ; implicit-def: $vgpr2
	s_branch .LBB160_458
.LBB160_454:
	s_or_saveexec_b64 s[20:21], s[20:21]
	v_mov_b32_e32 v2, 0x7e00
	s_xor_b64 exec, exec, s[20:21]
	s_cbranch_execz .LBB160_435
.LBB160_455:
	v_cmp_ne_u16_e32 vcc, 0, v3
	s_andn2_b64 s[0:1], s[0:1], exec
	s_and_b64 s[24:25], vcc, exec
	s_or_b64 s[0:1], s[0:1], s[24:25]
	v_mov_b32_e32 v2, v3
	s_or_b64 exec, exec, s[20:21]
	s_and_saveexec_b64 s[20:21], s[0:1]
	s_cbranch_execnz .LBB160_436
	s_branch .LBB160_437
.LBB160_456:
	s_mov_b64 s[18:19], -1
                                        ; implicit-def: $vgpr2
.LBB160_457:
	s_mov_b64 s[20:21], 0
.LBB160_458:
	s_and_b64 vcc, exec, s[20:21]
	s_cbranch_vccz .LBB160_462
; %bb.459:
	s_cmp_eq_u32 s26, 11
	s_cbranch_scc0 .LBB160_461
; %bb.460:
	global_load_ubyte v2, v[0:1], off
	v_mov_b32_e32 v3, 0x3c00
	s_mov_b64 s[0:1], -1
	s_mov_b64 s[18:19], 0
	s_waitcnt vmcnt(0)
	v_cmp_ne_u16_e32 vcc, 0, v2
	s_nop 1
	v_cndmask_b32_e32 v2, 0, v3, vcc
	s_branch .LBB160_462
.LBB160_461:
	s_mov_b64 s[18:19], -1
                                        ; implicit-def: $vgpr2
.LBB160_462:
	s_branch .LBB160_265
.LBB160_463:
	s_cmp_lt_i32 s26, 5
	s_cbranch_scc1 .LBB160_468
; %bb.464:
	s_cmp_lt_i32 s26, 8
	s_cbranch_scc1 .LBB160_469
; %bb.465:
	;; [unrolled: 3-line block ×3, first 2 shown]
	s_cmp_gt_i32 s26, 9
	s_cbranch_scc0 .LBB160_471
; %bb.467:
	global_load_dwordx2 v[2:3], v[0:1], off
	s_movk_i32 s0, 0x1ff
	s_movk_i32 s1, 0xffe
	v_mov_b32_e32 v5, 0x7c00
	v_mov_b32_e32 v6, 0x7e00
	s_movk_i32 s20, 0x40f
	s_mov_b32 s21, 0x8000
	s_waitcnt vmcnt(0)
	v_and_or_b32 v2, v3, s0, v2
	v_cmp_ne_u32_e32 vcc, 0, v2
	v_lshrrev_b32_e32 v7, 8, v3
	v_bfe_u32 v8, v3, 20, 11
	v_cndmask_b32_e64 v2, 0, 1, vcc
	v_sub_u32_e32 v9, 0x3f1, v8
	v_and_or_b32 v2, v7, s1, v2
	v_add_u32_e32 v8, 0xfffffc10, v8
	v_med3_i32 v7, v9, 0, 13
	v_or_b32_e32 v9, 0x1000, v2
	v_cmp_ne_u32_e32 vcc, 0, v2
	v_lshl_or_b32 v10, v8, 12, v2
	v_lshrrev_b32_e32 v3, 16, v3
	v_cndmask_b32_e32 v2, v5, v6, vcc
	v_lshrrev_b32_e32 v6, v7, v9
	v_lshlrev_b32_e32 v7, v7, v6
	v_cmp_ne_u32_e32 vcc, v7, v9
	s_mov_b64 s[0:1], 0
	s_nop 0
	v_cndmask_b32_e64 v7, 0, 1, vcc
	v_or_b32_e32 v6, v6, v7
	v_cmp_gt_i32_e32 vcc, 1, v8
	s_nop 1
	v_cndmask_b32_e32 v6, v10, v6, vcc
	v_and_b32_e32 v7, 7, v6
	v_cmp_lt_i32_e32 vcc, 5, v7
	v_lshrrev_b32_e32 v6, 2, v6
	s_nop 0
	v_cndmask_b32_e64 v9, 0, 1, vcc
	v_cmp_eq_u32_e32 vcc, 3, v7
	s_nop 1
	v_cndmask_b32_e64 v7, 0, 1, vcc
	v_or_b32_e32 v7, v7, v9
	v_add_u32_e32 v6, v6, v7
	v_cmp_gt_i32_e32 vcc, 31, v8
	s_nop 1
	v_cndmask_b32_e32 v5, v5, v6, vcc
	v_cmp_eq_u32_e32 vcc, s20, v8
	s_nop 1
	v_cndmask_b32_e32 v2, v5, v2, vcc
	v_and_or_b32 v2, v3, s21, v2
	s_branch .LBB160_472
.LBB160_468:
	s_mov_b64 s[0:1], -1
                                        ; implicit-def: $vgpr2
	s_branch .LBB160_490
.LBB160_469:
	s_mov_b64 s[0:1], -1
                                        ; implicit-def: $vgpr2
	s_branch .LBB160_478
.LBB160_470:
	s_mov_b64 s[0:1], -1
                                        ; implicit-def: $vgpr2
	s_branch .LBB160_475
.LBB160_471:
	s_mov_b64 s[0:1], -1
                                        ; implicit-def: $vgpr2
.LBB160_472:
	s_andn2_b64 vcc, exec, s[0:1]
	s_cbranch_vccnz .LBB160_474
; %bb.473:
	global_load_dword v2, v[0:1], off
	s_waitcnt vmcnt(0)
	v_cvt_f16_f32_e32 v2, v2
.LBB160_474:
	s_mov_b64 s[0:1], 0
.LBB160_475:
	s_andn2_b64 vcc, exec, s[0:1]
	s_cbranch_vccnz .LBB160_477
; %bb.476:
	global_load_dword v2, v[0:1], off
.LBB160_477:
	s_mov_b64 s[0:1], 0
.LBB160_478:
	s_andn2_b64 vcc, exec, s[0:1]
	s_cbranch_vccnz .LBB160_489
; %bb.479:
	s_cmp_lt_i32 s26, 6
	s_cbranch_scc1 .LBB160_482
; %bb.480:
	s_cmp_gt_i32 s26, 6
	s_cbranch_scc0 .LBB160_483
; %bb.481:
	global_load_dwordx2 v[2:3], v[0:1], off
	s_movk_i32 s0, 0x1ff
	s_movk_i32 s1, 0xffe
	v_mov_b32_e32 v5, 0x7c00
	v_mov_b32_e32 v6, 0x7e00
	s_movk_i32 s20, 0x40f
	s_mov_b32 s21, 0x8000
	s_waitcnt vmcnt(0)
	v_and_or_b32 v2, v3, s0, v2
	v_cmp_ne_u32_e32 vcc, 0, v2
	v_lshrrev_b32_e32 v7, 8, v3
	v_bfe_u32 v8, v3, 20, 11
	v_cndmask_b32_e64 v2, 0, 1, vcc
	v_sub_u32_e32 v9, 0x3f1, v8
	v_and_or_b32 v2, v7, s1, v2
	v_add_u32_e32 v8, 0xfffffc10, v8
	v_med3_i32 v7, v9, 0, 13
	v_or_b32_e32 v9, 0x1000, v2
	v_cmp_ne_u32_e32 vcc, 0, v2
	v_lshl_or_b32 v10, v8, 12, v2
	v_lshrrev_b32_e32 v3, 16, v3
	v_cndmask_b32_e32 v2, v5, v6, vcc
	v_lshrrev_b32_e32 v6, v7, v9
	v_lshlrev_b32_e32 v7, v7, v6
	v_cmp_ne_u32_e32 vcc, v7, v9
	s_mov_b64 s[0:1], 0
	s_nop 0
	v_cndmask_b32_e64 v7, 0, 1, vcc
	v_or_b32_e32 v6, v6, v7
	v_cmp_gt_i32_e32 vcc, 1, v8
	s_nop 1
	v_cndmask_b32_e32 v6, v10, v6, vcc
	v_and_b32_e32 v7, 7, v6
	v_cmp_lt_i32_e32 vcc, 5, v7
	v_lshrrev_b32_e32 v6, 2, v6
	s_nop 0
	v_cndmask_b32_e64 v9, 0, 1, vcc
	v_cmp_eq_u32_e32 vcc, 3, v7
	s_nop 1
	v_cndmask_b32_e64 v7, 0, 1, vcc
	v_or_b32_e32 v7, v7, v9
	v_add_u32_e32 v6, v6, v7
	v_cmp_gt_i32_e32 vcc, 31, v8
	s_nop 1
	v_cndmask_b32_e32 v5, v5, v6, vcc
	v_cmp_eq_u32_e32 vcc, s20, v8
	s_nop 1
	v_cndmask_b32_e32 v2, v5, v2, vcc
	v_and_or_b32 v2, v3, s21, v2
	s_branch .LBB160_484
.LBB160_482:
	s_mov_b64 s[0:1], -1
                                        ; implicit-def: $vgpr2
	s_branch .LBB160_487
.LBB160_483:
	s_mov_b64 s[0:1], -1
                                        ; implicit-def: $vgpr2
.LBB160_484:
	s_andn2_b64 vcc, exec, s[0:1]
	s_cbranch_vccnz .LBB160_486
; %bb.485:
	global_load_dword v2, v[0:1], off
	s_waitcnt vmcnt(0)
	v_cvt_f16_f32_e32 v2, v2
.LBB160_486:
	s_mov_b64 s[0:1], 0
.LBB160_487:
	s_andn2_b64 vcc, exec, s[0:1]
	s_cbranch_vccnz .LBB160_489
; %bb.488:
	global_load_ushort v2, v[0:1], off
.LBB160_489:
	s_mov_b64 s[0:1], 0
.LBB160_490:
	s_andn2_b64 vcc, exec, s[0:1]
	s_cbranch_vccnz .LBB160_510
; %bb.491:
	s_cmp_lt_i32 s26, 2
	s_cbranch_scc1 .LBB160_495
; %bb.492:
	s_cmp_lt_i32 s26, 3
	s_cbranch_scc1 .LBB160_496
; %bb.493:
	s_cmp_gt_i32 s26, 3
	s_cbranch_scc0 .LBB160_497
; %bb.494:
	global_load_dwordx2 v[2:3], v[0:1], off
	s_mov_b64 s[0:1], 0
	s_waitcnt vmcnt(0)
	v_xor_b32_e32 v6, v2, v3
	v_ffbh_i32_e32 v5, v3
	v_ashrrev_i32_e32 v6, 31, v6
	v_add_u32_e32 v5, -1, v5
	v_add_u32_e32 v6, 32, v6
	v_min_u32_e32 v5, v5, v6
	v_lshlrev_b64 v[2:3], v5, v[2:3]
	v_min_u32_e32 v2, 1, v2
	v_or_b32_e32 v2, v3, v2
	v_cvt_f32_i32_e32 v2, v2
	v_sub_u32_e32 v3, 32, v5
	v_ldexp_f32 v2, v2, v3
	v_cvt_f16_f32_e32 v2, v2
	s_branch .LBB160_498
.LBB160_495:
	s_mov_b64 s[0:1], -1
                                        ; implicit-def: $vgpr2
	s_branch .LBB160_504
.LBB160_496:
	s_mov_b64 s[0:1], -1
                                        ; implicit-def: $vgpr2
	s_branch .LBB160_501
.LBB160_497:
	s_mov_b64 s[0:1], -1
                                        ; implicit-def: $vgpr2
.LBB160_498:
	s_andn2_b64 vcc, exec, s[0:1]
	s_cbranch_vccnz .LBB160_500
; %bb.499:
	global_load_dword v2, v[0:1], off
	s_waitcnt vmcnt(0)
	v_cvt_f32_i32_e32 v2, v2
	v_cvt_f16_f32_e32 v2, v2
.LBB160_500:
	s_mov_b64 s[0:1], 0
.LBB160_501:
	s_andn2_b64 vcc, exec, s[0:1]
	s_cbranch_vccnz .LBB160_503
; %bb.502:
	global_load_ushort v2, v[0:1], off
	s_waitcnt vmcnt(0)
	v_cvt_f16_i16_e32 v2, v2
.LBB160_503:
	s_mov_b64 s[0:1], 0
.LBB160_504:
	s_andn2_b64 vcc, exec, s[0:1]
	s_cbranch_vccnz .LBB160_510
; %bb.505:
	s_cmp_gt_i32 s26, 0
	s_cbranch_scc0 .LBB160_507
; %bb.506:
	global_load_sbyte v2, v[0:1], off
	s_mov_b64 s[0:1], 0
	s_waitcnt vmcnt(0)
	v_cvt_f16_i16_e32 v2, v2
	s_branch .LBB160_508
.LBB160_507:
	s_mov_b64 s[0:1], -1
                                        ; implicit-def: $vgpr2
.LBB160_508:
	s_andn2_b64 vcc, exec, s[0:1]
	s_cbranch_vccnz .LBB160_510
; %bb.509:
	global_load_ubyte v0, v[0:1], off
	s_waitcnt vmcnt(0)
	v_cvt_f16_u16_e32 v2, v0
.LBB160_510:
	s_branch .LBB160_266
.LBB160_511:
	s_mov_b64 s[24:25], 0
                                        ; implicit-def: $vgpr4
	s_mov_b64 s[0:1], s[12:13]
.LBB160_512:
	s_andn2_b64 s[20:21], s[12:13], exec
	s_and_b64 s[0:1], s[0:1], exec
	s_or_b64 s[20:21], s[20:21], s[0:1]
	s_andn2_b64 s[0:1], s[14:15], exec
	s_and_b64 s[18:19], s[18:19], exec
	s_or_b64 s[18:19], s[0:1], s[18:19]
	s_orn2_b64 s[0:1], s[24:25], exec
.LBB160_513:
	s_or_b64 exec, exec, s[22:23]
	s_mov_b64 s[24:25], 0
	s_mov_b64 s[26:27], 0
	;; [unrolled: 1-line block ×3, first 2 shown]
                                        ; implicit-def: $vgpr0_vgpr1
                                        ; implicit-def: $vgpr3
	s_and_saveexec_b64 s[22:23], s[0:1]
	s_cbranch_execz .LBB160_858
; %bb.514:
	v_cmp_gt_i32_e32 vcc, s38, v4
	s_mov_b64 s[34:35], -1
	s_mov_b64 s[0:1], s[18:19]
	s_mov_b64 s[28:29], s[20:21]
	s_and_saveexec_b64 s[24:25], vcc
	s_cbranch_execz .LBB160_772
; %bb.515:
	v_mul_lo_u32 v0, v4, s9
	v_ashrrev_i32_e32 v1, 31, v0
	s_and_b32 s34, 0xffff, s42
	s_cmp_lt_i32 s34, 11
	v_lshl_add_u64 v[0:1], s[6:7], 0, v[0:1]
	s_cbranch_scc1 .LBB160_522
; %bb.516:
	s_cmp_gt_i32 s34, 25
	s_cbranch_scc0 .LBB160_523
; %bb.517:
	s_cmp_gt_i32 s34, 28
	s_cbranch_scc0 .LBB160_524
	;; [unrolled: 3-line block ×4, first 2 shown]
; %bb.520:
	s_cmp_eq_u32 s34, 46
	s_mov_b64 s[28:29], 0
	s_cbranch_scc0 .LBB160_531
; %bb.521:
	global_load_dword v2, v[0:1], off
	s_mov_b64 s[0:1], -1
	s_waitcnt vmcnt(0)
	v_lshlrev_b32_e32 v2, 16, v2
	v_cvt_f16_f32_e32 v2, v2
	s_branch .LBB160_532
.LBB160_522:
	s_mov_b64 s[28:29], -1
	s_mov_b64 s[0:1], 0
                                        ; implicit-def: $vgpr2
	s_mov_b64 s[26:27], s[18:19]
	s_branch .LBB160_597
.LBB160_523:
	s_mov_b64 s[28:29], -1
	s_mov_b64 s[0:1], 0
	s_mov_b64 s[26:27], s[18:19]
                                        ; implicit-def: $vgpr2
	s_branch .LBB160_561
.LBB160_524:
	s_mov_b64 s[28:29], -1
	s_mov_b64 s[0:1], 0
	s_mov_b64 s[26:27], s[18:19]
                                        ; implicit-def: $vgpr2
	s_branch .LBB160_542
.LBB160_525:
	s_mov_b64 s[28:29], -1
	s_mov_b64 s[0:1], 0
	s_mov_b64 s[26:27], s[18:19]
                                        ; implicit-def: $vgpr2
	s_branch .LBB160_537
.LBB160_526:
	s_andn2_saveexec_b64 s[26:27], s[26:27]
	s_cbranch_execz .LBB160_311
.LBB160_527:
	s_mov_b32 s30, 0x46000000
	v_add_f32_e64 v5, |v3|, s30
	v_and_b32_e32 v5, 0xff, v5
	v_cmp_ne_u32_e32 vcc, 0, v5
	s_andn2_b64 s[24:25], s[24:25], exec
	s_and_b64 s[30:31], vcc, exec
	s_or_b64 s[24:25], s[24:25], s[30:31]
	s_or_b64 exec, exec, s[26:27]
	v_mov_b32_e32 v6, 0
	s_and_saveexec_b64 s[26:27], s[24:25]
	s_cbranch_execnz .LBB160_312
	s_branch .LBB160_313
.LBB160_528:
	s_mov_b64 s[28:29], -1
	s_mov_b64 s[0:1], 0
	s_mov_b64 s[26:27], s[18:19]
                                        ; implicit-def: $vgpr2
	s_branch .LBB160_532
.LBB160_529:
	s_andn2_saveexec_b64 s[26:27], s[26:27]
	s_cbranch_execz .LBB160_324
.LBB160_530:
	s_mov_b32 s30, 0x42800000
	v_add_f32_e64 v5, |v3|, s30
	v_and_b32_e32 v5, 0xff, v5
	v_cmp_ne_u32_e32 vcc, 0, v5
	s_andn2_b64 s[24:25], s[24:25], exec
	s_and_b64 s[30:31], vcc, exec
	s_or_b64 s[24:25], s[24:25], s[30:31]
	s_or_b64 exec, exec, s[26:27]
	v_mov_b32_e32 v6, 0
	s_and_saveexec_b64 s[26:27], s[24:25]
	s_cbranch_execnz .LBB160_325
	s_branch .LBB160_326
.LBB160_531:
	s_mov_b64 s[26:27], -1
                                        ; implicit-def: $vgpr2
	s_mov_b64 s[0:1], 0
.LBB160_532:
	s_and_b64 vcc, exec, s[28:29]
	s_cbranch_vccz .LBB160_536
; %bb.533:
	s_cmp_eq_u32 s34, 44
	s_cbranch_scc0 .LBB160_535
; %bb.534:
	global_load_ubyte v2, v[0:1], off
	s_movk_i32 s26, 0xff
	v_mov_b32_e32 v5, 0x7e00
	s_mov_b64 s[0:1], -1
	s_waitcnt vmcnt(0)
	v_lshlrev_b32_e32 v3, 23, v2
	v_cvt_f16_f32_e32 v3, v3
	v_cmp_ne_u32_e32 vcc, s26, v2
	s_mov_b64 s[26:27], 0
	s_nop 0
	v_cndmask_b32_e32 v3, v5, v3, vcc
	v_cmp_ne_u32_e32 vcc, 0, v2
	s_nop 1
	v_cndmask_b32_e32 v2, 0, v3, vcc
	s_branch .LBB160_536
.LBB160_535:
	s_mov_b64 s[26:27], -1
                                        ; implicit-def: $vgpr2
.LBB160_536:
	s_mov_b64 s[28:29], 0
.LBB160_537:
	s_and_b64 vcc, exec, s[28:29]
	s_cbranch_vccz .LBB160_541
; %bb.538:
	s_cmp_eq_u32 s34, 29
	s_cbranch_scc0 .LBB160_540
; %bb.539:
	global_load_dwordx2 v[2:3], v[0:1], off
	s_mov_b64 s[0:1], -1
	s_mov_b64 s[26:27], 0
	s_mov_b64 s[28:29], 0
	s_waitcnt vmcnt(0)
	v_ffbh_u32_e32 v5, v3
	v_min_u32_e32 v5, 32, v5
	v_lshlrev_b64 v[2:3], v5, v[2:3]
	v_min_u32_e32 v2, 1, v2
	v_or_b32_e32 v2, v3, v2
	v_cvt_f32_u32_e32 v2, v2
	v_sub_u32_e32 v3, 32, v5
	v_ldexp_f32 v2, v2, v3
	v_cvt_f16_f32_e32 v2, v2
	s_branch .LBB160_542
.LBB160_540:
	s_mov_b64 s[26:27], -1
                                        ; implicit-def: $vgpr2
.LBB160_541:
	s_mov_b64 s[28:29], 0
.LBB160_542:
	s_and_b64 vcc, exec, s[28:29]
	s_cbranch_vccz .LBB160_560
; %bb.543:
	s_cmp_lt_i32 s34, 27
	s_cbranch_scc1 .LBB160_546
; %bb.544:
	s_cmp_gt_i32 s34, 27
	s_cbranch_scc0 .LBB160_547
; %bb.545:
	global_load_dword v2, v[0:1], off
	s_mov_b64 s[0:1], 0
	s_waitcnt vmcnt(0)
	v_cvt_f32_u32_e32 v2, v2
	v_cvt_f16_f32_e32 v2, v2
	s_branch .LBB160_548
.LBB160_546:
	s_mov_b64 s[0:1], -1
                                        ; implicit-def: $vgpr2
	s_branch .LBB160_551
.LBB160_547:
	s_mov_b64 s[0:1], -1
                                        ; implicit-def: $vgpr2
.LBB160_548:
	s_andn2_b64 vcc, exec, s[0:1]
	s_cbranch_vccnz .LBB160_550
; %bb.549:
	global_load_ushort v2, v[0:1], off
	s_waitcnt vmcnt(0)
	v_cvt_f16_u16_e32 v2, v2
.LBB160_550:
	s_mov_b64 s[0:1], 0
.LBB160_551:
	s_andn2_b64 vcc, exec, s[0:1]
	s_cbranch_vccnz .LBB160_559
; %bb.552:
	global_load_ubyte v3, v[0:1], off
	s_movk_i32 s0, 0x7f
	s_waitcnt vmcnt(0)
	v_cmp_lt_i16_e32 vcc, s0, v3
	s_mov_b64 s[0:1], 0
	s_and_saveexec_b64 s[28:29], vcc
	s_xor_b64 s[28:29], exec, s[28:29]
	s_cbranch_execz .LBB160_573
; %bb.553:
	s_movk_i32 s0, 0x80
	v_cmp_eq_u16_e32 vcc, s0, v3
	s_mov_b64 s[0:1], -1
	s_and_saveexec_b64 s[30:31], vcc
; %bb.554:
	s_xor_b64 s[0:1], exec, -1
; %bb.555:
	s_or_b64 exec, exec, s[30:31]
	s_and_b64 s[0:1], s[0:1], exec
	s_or_saveexec_b64 s[28:29], s[28:29]
	v_mov_b32_e32 v2, 0x7e00
	s_xor_b64 exec, exec, s[28:29]
	s_cbranch_execnz .LBB160_574
.LBB160_556:
	s_or_b64 exec, exec, s[28:29]
	s_and_saveexec_b64 s[28:29], s[0:1]
	s_cbranch_execz .LBB160_558
.LBB160_557:
	v_lshlrev_b32_e32 v2, 24, v3
	v_and_b32_e32 v3, 0xffff, v3
	v_and_b32_e32 v5, 7, v3
	v_ffbh_u32_e32 v7, v5
	v_min_u32_e32 v7, 32, v7
	v_subrev_u32_e32 v8, 28, v7
	v_bfe_u32 v6, v3, 3, 4
	v_lshlrev_b32_e32 v3, v8, v3
	v_sub_u32_e32 v7, 29, v7
	v_and_b32_e32 v3, 7, v3
	v_cmp_eq_u32_e32 vcc, 0, v6
	v_and_b32_e32 v2, 0x80000000, v2
	s_nop 0
	v_cndmask_b32_e32 v6, v6, v7, vcc
	v_cndmask_b32_e32 v3, v5, v3, vcc
	v_mov_b32_e32 v5, 0x3b800000
	v_lshlrev_b32_e32 v3, 20, v3
	v_lshl_add_u32 v5, v6, 23, v5
	v_or3_b32 v2, v2, v5, v3
	v_cvt_f16_f32_e32 v2, v2
.LBB160_558:
	s_or_b64 exec, exec, s[28:29]
.LBB160_559:
	s_mov_b64 s[0:1], -1
.LBB160_560:
	s_mov_b64 s[28:29], 0
.LBB160_561:
	s_and_b64 vcc, exec, s[28:29]
	s_cbranch_vccz .LBB160_596
; %bb.562:
	s_cmp_gt_i32 s34, 22
	s_cbranch_scc0 .LBB160_572
; %bb.563:
	s_cmp_lt_i32 s34, 24
	s_cbranch_scc1 .LBB160_575
; %bb.564:
	s_cmp_gt_i32 s34, 24
	s_cbranch_scc0 .LBB160_576
; %bb.565:
	global_load_ubyte v3, v[0:1], off
	s_movk_i32 s0, 0x7f
	s_waitcnt vmcnt(0)
	v_cmp_lt_i16_e32 vcc, s0, v3
	s_mov_b64 s[0:1], 0
	s_and_saveexec_b64 s[28:29], vcc
	s_xor_b64 s[28:29], exec, s[28:29]
	s_cbranch_execz .LBB160_588
; %bb.566:
	s_movk_i32 s0, 0x80
	v_cmp_eq_u16_e32 vcc, s0, v3
	s_mov_b64 s[0:1], -1
	s_and_saveexec_b64 s[30:31], vcc
; %bb.567:
	s_xor_b64 s[0:1], exec, -1
; %bb.568:
	s_or_b64 exec, exec, s[30:31]
	s_and_b64 s[0:1], s[0:1], exec
	s_or_saveexec_b64 s[28:29], s[28:29]
	v_mov_b32_e32 v2, 0x7e00
	s_xor_b64 exec, exec, s[28:29]
	s_cbranch_execnz .LBB160_589
.LBB160_569:
	s_or_b64 exec, exec, s[28:29]
	s_and_saveexec_b64 s[28:29], s[0:1]
	s_cbranch_execz .LBB160_571
.LBB160_570:
	v_lshlrev_b32_e32 v2, 24, v3
	v_and_b32_e32 v3, 0xffff, v3
	v_and_b32_e32 v5, 3, v3
	v_ffbh_u32_e32 v7, v5
	v_min_u32_e32 v7, 32, v7
	v_subrev_u32_e32 v8, 29, v7
	v_bfe_u32 v6, v3, 2, 5
	v_lshlrev_b32_e32 v3, v8, v3
	v_sub_u32_e32 v7, 30, v7
	v_and_b32_e32 v3, 3, v3
	v_cmp_eq_u32_e32 vcc, 0, v6
	v_and_b32_e32 v2, 0x80000000, v2
	s_nop 0
	v_cndmask_b32_e32 v6, v6, v7, vcc
	v_cndmask_b32_e32 v3, v5, v3, vcc
	v_mov_b32_e32 v5, 0x37800000
	v_lshlrev_b32_e32 v3, 21, v3
	v_lshl_add_u32 v5, v6, 23, v5
	v_or3_b32 v2, v2, v5, v3
	v_cvt_f16_f32_e32 v2, v2
.LBB160_571:
	s_or_b64 exec, exec, s[28:29]
	s_mov_b64 s[0:1], 0
	s_branch .LBB160_577
.LBB160_572:
	s_mov_b64 s[28:29], -1
                                        ; implicit-def: $vgpr2
	s_branch .LBB160_583
.LBB160_573:
	s_or_saveexec_b64 s[28:29], s[28:29]
	v_mov_b32_e32 v2, 0x7e00
	s_xor_b64 exec, exec, s[28:29]
	s_cbranch_execz .LBB160_556
.LBB160_574:
	v_cmp_ne_u16_e32 vcc, 0, v3
	s_andn2_b64 s[0:1], s[0:1], exec
	s_and_b64 s[30:31], vcc, exec
	s_or_b64 s[0:1], s[0:1], s[30:31]
	v_mov_b32_e32 v2, v3
	s_or_b64 exec, exec, s[28:29]
	s_and_saveexec_b64 s[28:29], s[0:1]
	s_cbranch_execnz .LBB160_557
	s_branch .LBB160_558
.LBB160_575:
	s_mov_b64 s[0:1], -1
                                        ; implicit-def: $vgpr2
	s_branch .LBB160_580
.LBB160_576:
	s_mov_b64 s[0:1], -1
                                        ; implicit-def: $vgpr2
.LBB160_577:
	s_and_b64 vcc, exec, s[0:1]
	s_cbranch_vccz .LBB160_579
; %bb.578:
	global_load_ubyte v2, v[0:1], off
	s_mov_b32 s0, 0x7f800000
	s_waitcnt vmcnt(0)
	v_lshlrev_b32_e32 v2, 24, v2
	v_and_b32_e32 v3, 0x7f000000, v2
	v_ffbh_u32_e32 v5, v3
	v_min_u32_e32 v5, 32, v5
	v_sub_u32_e64 v5, v5, 4 clamp
	v_lshlrev_b32_e32 v7, v5, v3
	v_lshlrev_b32_e32 v5, 23, v5
	v_lshrrev_b32_e32 v7, 4, v7
	v_add_u32_e32 v6, 0x1000000, v3
	v_sub_u32_e32 v5, v7, v5
	v_ashrrev_i32_e32 v6, 8, v6
	v_add_u32_e32 v5, 0x3c000000, v5
	v_and_or_b32 v5, v6, s0, v5
	v_cmp_ne_u32_e32 vcc, 0, v3
	s_brev_b32 s0, 1
	s_nop 0
	v_cndmask_b32_e32 v3, 0, v5, vcc
	v_and_or_b32 v2, v2, s0, v3
	v_cvt_f16_f32_e32 v2, v2
.LBB160_579:
	s_mov_b64 s[0:1], 0
.LBB160_580:
	s_andn2_b64 vcc, exec, s[0:1]
	s_cbranch_vccnz .LBB160_582
; %bb.581:
	global_load_ubyte v2, v[0:1], off
	s_movk_i32 s0, 0x7f00
	s_brev_b32 s1, 16
	s_waitcnt vmcnt(0)
	v_lshlrev_b16_e32 v3, 8, v2
	v_lshlrev_b32_e32 v2, 25, v2
	v_lshrrev_b32_e32 v5, 4, v2
	v_and_or_b32 v6, v3, s0, 0.5
	v_or_b32_e32 v5, 0x70000000, v5
	v_add_f32_e32 v6, -0.5, v6
	v_mul_f32_e32 v5, 0x7800000, v5
	v_cmp_gt_u32_e32 vcc, s1, v2
	v_bfe_i32 v3, v3, 0, 16
	s_brev_b32 s0, 1
	v_cndmask_b32_e32 v2, v5, v6, vcc
	v_and_or_b32 v2, v3, s0, v2
	v_cvt_f16_f32_e32 v2, v2
.LBB160_582:
	s_mov_b64 s[28:29], 0
	s_mov_b64 s[0:1], -1
.LBB160_583:
	s_andn2_b64 vcc, exec, s[28:29]
	s_cbranch_vccnz .LBB160_596
; %bb.584:
	s_cmp_gt_i32 s34, 14
	s_cbranch_scc0 .LBB160_587
; %bb.585:
	s_cmp_eq_u32 s34, 15
	s_cbranch_scc0 .LBB160_590
; %bb.586:
	global_load_ushort v2, v[0:1], off
	s_mov_b64 s[0:1], -1
	s_mov_b64 s[26:27], 0
	s_waitcnt vmcnt(0)
	v_lshlrev_b32_e32 v2, 16, v2
	v_cvt_f16_f32_e32 v2, v2
	s_branch .LBB160_591
.LBB160_587:
	s_mov_b64 s[28:29], -1
                                        ; implicit-def: $vgpr2
	s_branch .LBB160_592
.LBB160_588:
	s_or_saveexec_b64 s[28:29], s[28:29]
	v_mov_b32_e32 v2, 0x7e00
	s_xor_b64 exec, exec, s[28:29]
	s_cbranch_execz .LBB160_569
.LBB160_589:
	v_cmp_ne_u16_e32 vcc, 0, v3
	s_andn2_b64 s[0:1], s[0:1], exec
	s_and_b64 s[30:31], vcc, exec
	s_or_b64 s[0:1], s[0:1], s[30:31]
	v_mov_b32_e32 v2, v3
	s_or_b64 exec, exec, s[28:29]
	s_and_saveexec_b64 s[28:29], s[0:1]
	s_cbranch_execnz .LBB160_570
	s_branch .LBB160_571
.LBB160_590:
	s_mov_b64 s[26:27], -1
                                        ; implicit-def: $vgpr2
.LBB160_591:
	s_mov_b64 s[28:29], 0
.LBB160_592:
	s_and_b64 vcc, exec, s[28:29]
	s_cbranch_vccz .LBB160_596
; %bb.593:
	s_cmp_eq_u32 s34, 11
	s_cbranch_scc0 .LBB160_595
; %bb.594:
	global_load_ubyte v2, v[0:1], off
	v_mov_b32_e32 v3, 0x3c00
	s_mov_b64 s[0:1], -1
	s_mov_b64 s[26:27], 0
	s_waitcnt vmcnt(0)
	v_cmp_ne_u16_e32 vcc, 0, v2
	s_nop 1
	v_cndmask_b32_e32 v2, 0, v3, vcc
	s_branch .LBB160_596
.LBB160_595:
	s_mov_b64 s[26:27], -1
                                        ; implicit-def: $vgpr2
.LBB160_596:
	s_mov_b64 s[28:29], 0
.LBB160_597:
	s_and_b64 vcc, exec, s[28:29]
	s_cbranch_vccz .LBB160_646
; %bb.598:
	s_cmp_lt_i32 s34, 5
	s_cbranch_scc1 .LBB160_603
; %bb.599:
	s_cmp_lt_i32 s34, 8
	s_cbranch_scc1 .LBB160_604
	;; [unrolled: 3-line block ×3, first 2 shown]
; %bb.601:
	s_cmp_gt_i32 s34, 9
	s_cbranch_scc0 .LBB160_606
; %bb.602:
	global_load_dwordx2 v[2:3], v[0:1], off
	s_movk_i32 s0, 0x1ff
	s_movk_i32 s1, 0xffe
	v_mov_b32_e32 v5, 0x7c00
	v_mov_b32_e32 v6, 0x7e00
	s_movk_i32 s28, 0x40f
	s_mov_b32 s29, 0x8000
	s_waitcnt vmcnt(0)
	v_and_or_b32 v2, v3, s0, v2
	v_cmp_ne_u32_e32 vcc, 0, v2
	v_lshrrev_b32_e32 v7, 8, v3
	v_bfe_u32 v8, v3, 20, 11
	v_cndmask_b32_e64 v2, 0, 1, vcc
	v_sub_u32_e32 v9, 0x3f1, v8
	v_and_or_b32 v2, v7, s1, v2
	v_add_u32_e32 v8, 0xfffffc10, v8
	v_med3_i32 v7, v9, 0, 13
	v_or_b32_e32 v9, 0x1000, v2
	v_cmp_ne_u32_e32 vcc, 0, v2
	v_lshl_or_b32 v10, v8, 12, v2
	v_lshrrev_b32_e32 v3, 16, v3
	v_cndmask_b32_e32 v2, v5, v6, vcc
	v_lshrrev_b32_e32 v6, v7, v9
	v_lshlrev_b32_e32 v7, v7, v6
	v_cmp_ne_u32_e32 vcc, v7, v9
	s_mov_b64 s[0:1], 0
	s_nop 0
	v_cndmask_b32_e64 v7, 0, 1, vcc
	v_or_b32_e32 v6, v6, v7
	v_cmp_gt_i32_e32 vcc, 1, v8
	s_nop 1
	v_cndmask_b32_e32 v6, v10, v6, vcc
	v_and_b32_e32 v7, 7, v6
	v_cmp_lt_i32_e32 vcc, 5, v7
	v_lshrrev_b32_e32 v6, 2, v6
	s_nop 0
	v_cndmask_b32_e64 v9, 0, 1, vcc
	v_cmp_eq_u32_e32 vcc, 3, v7
	s_nop 1
	v_cndmask_b32_e64 v7, 0, 1, vcc
	v_or_b32_e32 v7, v7, v9
	v_add_u32_e32 v6, v6, v7
	v_cmp_gt_i32_e32 vcc, 31, v8
	s_nop 1
	v_cndmask_b32_e32 v5, v5, v6, vcc
	v_cmp_eq_u32_e32 vcc, s28, v8
	s_nop 1
	v_cndmask_b32_e32 v2, v5, v2, vcc
	v_and_or_b32 v2, v3, s29, v2
	s_branch .LBB160_607
.LBB160_603:
	s_mov_b64 s[0:1], -1
                                        ; implicit-def: $vgpr2
	s_branch .LBB160_625
.LBB160_604:
	s_mov_b64 s[0:1], -1
                                        ; implicit-def: $vgpr2
	s_branch .LBB160_613
.LBB160_605:
	s_mov_b64 s[0:1], -1
                                        ; implicit-def: $vgpr2
	s_branch .LBB160_610
.LBB160_606:
	s_mov_b64 s[0:1], -1
                                        ; implicit-def: $vgpr2
.LBB160_607:
	s_andn2_b64 vcc, exec, s[0:1]
	s_cbranch_vccnz .LBB160_609
; %bb.608:
	global_load_dword v2, v[0:1], off
	s_waitcnt vmcnt(0)
	v_cvt_f16_f32_e32 v2, v2
.LBB160_609:
	s_mov_b64 s[0:1], 0
.LBB160_610:
	s_andn2_b64 vcc, exec, s[0:1]
	s_cbranch_vccnz .LBB160_612
; %bb.611:
	global_load_dword v2, v[0:1], off
.LBB160_612:
	s_mov_b64 s[0:1], 0
.LBB160_613:
	s_andn2_b64 vcc, exec, s[0:1]
	s_cbranch_vccnz .LBB160_624
; %bb.614:
	s_cmp_lt_i32 s34, 6
	s_cbranch_scc1 .LBB160_617
; %bb.615:
	s_cmp_gt_i32 s34, 6
	s_cbranch_scc0 .LBB160_618
; %bb.616:
	global_load_dwordx2 v[2:3], v[0:1], off
	s_movk_i32 s0, 0x1ff
	s_movk_i32 s1, 0xffe
	v_mov_b32_e32 v5, 0x7c00
	v_mov_b32_e32 v6, 0x7e00
	s_movk_i32 s28, 0x40f
	s_mov_b32 s29, 0x8000
	s_waitcnt vmcnt(0)
	v_and_or_b32 v2, v3, s0, v2
	v_cmp_ne_u32_e32 vcc, 0, v2
	v_lshrrev_b32_e32 v7, 8, v3
	v_bfe_u32 v8, v3, 20, 11
	v_cndmask_b32_e64 v2, 0, 1, vcc
	v_sub_u32_e32 v9, 0x3f1, v8
	v_and_or_b32 v2, v7, s1, v2
	v_add_u32_e32 v8, 0xfffffc10, v8
	v_med3_i32 v7, v9, 0, 13
	v_or_b32_e32 v9, 0x1000, v2
	v_cmp_ne_u32_e32 vcc, 0, v2
	v_lshl_or_b32 v10, v8, 12, v2
	v_lshrrev_b32_e32 v3, 16, v3
	v_cndmask_b32_e32 v2, v5, v6, vcc
	v_lshrrev_b32_e32 v6, v7, v9
	v_lshlrev_b32_e32 v7, v7, v6
	v_cmp_ne_u32_e32 vcc, v7, v9
	s_mov_b64 s[0:1], 0
	s_nop 0
	v_cndmask_b32_e64 v7, 0, 1, vcc
	v_or_b32_e32 v6, v6, v7
	v_cmp_gt_i32_e32 vcc, 1, v8
	s_nop 1
	v_cndmask_b32_e32 v6, v10, v6, vcc
	v_and_b32_e32 v7, 7, v6
	v_cmp_lt_i32_e32 vcc, 5, v7
	v_lshrrev_b32_e32 v6, 2, v6
	s_nop 0
	v_cndmask_b32_e64 v9, 0, 1, vcc
	v_cmp_eq_u32_e32 vcc, 3, v7
	s_nop 1
	v_cndmask_b32_e64 v7, 0, 1, vcc
	v_or_b32_e32 v7, v7, v9
	v_add_u32_e32 v6, v6, v7
	v_cmp_gt_i32_e32 vcc, 31, v8
	s_nop 1
	v_cndmask_b32_e32 v5, v5, v6, vcc
	v_cmp_eq_u32_e32 vcc, s28, v8
	s_nop 1
	v_cndmask_b32_e32 v2, v5, v2, vcc
	v_and_or_b32 v2, v3, s29, v2
	s_branch .LBB160_619
.LBB160_617:
	s_mov_b64 s[0:1], -1
                                        ; implicit-def: $vgpr2
	s_branch .LBB160_622
.LBB160_618:
	s_mov_b64 s[0:1], -1
                                        ; implicit-def: $vgpr2
.LBB160_619:
	s_andn2_b64 vcc, exec, s[0:1]
	s_cbranch_vccnz .LBB160_621
; %bb.620:
	global_load_dword v2, v[0:1], off
	s_waitcnt vmcnt(0)
	v_cvt_f16_f32_e32 v2, v2
.LBB160_621:
	s_mov_b64 s[0:1], 0
.LBB160_622:
	s_andn2_b64 vcc, exec, s[0:1]
	s_cbranch_vccnz .LBB160_624
; %bb.623:
	global_load_ushort v2, v[0:1], off
.LBB160_624:
	s_mov_b64 s[0:1], 0
.LBB160_625:
	s_andn2_b64 vcc, exec, s[0:1]
	s_cbranch_vccnz .LBB160_645
; %bb.626:
	s_cmp_lt_i32 s34, 2
	s_cbranch_scc1 .LBB160_630
; %bb.627:
	s_cmp_lt_i32 s34, 3
	s_cbranch_scc1 .LBB160_631
; %bb.628:
	s_cmp_gt_i32 s34, 3
	s_cbranch_scc0 .LBB160_632
; %bb.629:
	global_load_dwordx2 v[2:3], v[0:1], off
	s_mov_b64 s[0:1], 0
	s_waitcnt vmcnt(0)
	v_xor_b32_e32 v6, v2, v3
	v_ffbh_i32_e32 v5, v3
	v_ashrrev_i32_e32 v6, 31, v6
	v_add_u32_e32 v5, -1, v5
	v_add_u32_e32 v6, 32, v6
	v_min_u32_e32 v5, v5, v6
	v_lshlrev_b64 v[2:3], v5, v[2:3]
	v_min_u32_e32 v2, 1, v2
	v_or_b32_e32 v2, v3, v2
	v_cvt_f32_i32_e32 v2, v2
	v_sub_u32_e32 v3, 32, v5
	v_ldexp_f32 v2, v2, v3
	v_cvt_f16_f32_e32 v2, v2
	s_branch .LBB160_633
.LBB160_630:
	s_mov_b64 s[0:1], -1
                                        ; implicit-def: $vgpr2
	s_branch .LBB160_639
.LBB160_631:
	s_mov_b64 s[0:1], -1
                                        ; implicit-def: $vgpr2
	s_branch .LBB160_636
.LBB160_632:
	s_mov_b64 s[0:1], -1
                                        ; implicit-def: $vgpr2
.LBB160_633:
	s_andn2_b64 vcc, exec, s[0:1]
	s_cbranch_vccnz .LBB160_635
; %bb.634:
	global_load_dword v2, v[0:1], off
	s_waitcnt vmcnt(0)
	v_cvt_f32_i32_e32 v2, v2
	v_cvt_f16_f32_e32 v2, v2
.LBB160_635:
	s_mov_b64 s[0:1], 0
.LBB160_636:
	s_andn2_b64 vcc, exec, s[0:1]
	s_cbranch_vccnz .LBB160_638
; %bb.637:
	global_load_ushort v2, v[0:1], off
	s_waitcnt vmcnt(0)
	v_cvt_f16_i16_e32 v2, v2
.LBB160_638:
	s_mov_b64 s[0:1], 0
.LBB160_639:
	s_andn2_b64 vcc, exec, s[0:1]
	s_cbranch_vccnz .LBB160_645
; %bb.640:
	s_cmp_gt_i32 s34, 0
	s_cbranch_scc0 .LBB160_642
; %bb.641:
	global_load_sbyte v2, v[0:1], off
	s_mov_b64 s[0:1], 0
	s_waitcnt vmcnt(0)
	v_cvt_f16_i16_e32 v2, v2
	s_branch .LBB160_643
.LBB160_642:
	s_mov_b64 s[0:1], -1
                                        ; implicit-def: $vgpr2
.LBB160_643:
	s_andn2_b64 vcc, exec, s[0:1]
	s_cbranch_vccnz .LBB160_645
; %bb.644:
	global_load_ubyte v0, v[0:1], off
	s_waitcnt vmcnt(0)
	v_cvt_f16_u16_e32 v2, v0
.LBB160_645:
	s_mov_b64 s[0:1], -1
.LBB160_646:
	s_andn2_b64 vcc, exec, s[0:1]
	s_cbranch_vccnz .LBB160_654
; %bb.647:
	s_waitcnt vmcnt(0)
	v_cvt_f32_f16_e32 v0, v2
	s_mov_b32 s0, 0xbf317218
	v_mov_b32_e32 v1, 0x3ab69700
	s_and_b32 s36, s33, 0xff
	v_mul_f32_e32 v3, 0x3fb8aa3b, v0
	v_rndne_f32_e32 v3, v3
	v_fma_mix_f32 v5, v3, s0, v2 op_sel_hi:[0,0,1]
	v_fmamk_f32 v5, v3, 0x3102e308, v5
	v_fmac_f32_e32 v1, 0x395133b1, v5
	v_fmaak_f32 v1, v5, v1, 0x3c0887f9
	v_cvt_i32_f32_e32 v6, v3
	v_fmaak_f32 v1, v5, v1, 0x3d2aaa81
	v_fmaak_f32 v1, v5, v1, 0x3e2aaaab
	v_fma_f32 v1, v5, v1, 0.5
	v_mul_f32_e32 v1, v5, v1
	s_mov_b32 s0, 0x43000000
	v_fmac_f32_e32 v5, v5, v1
	v_ldexp_f32 v1, 1.0, v6
	v_mov_b32_e32 v6, 0x7f000000
	v_cmp_eq_f32_e32 vcc, s0, v3
	s_mov_b32 s0, 0x42b17217
	s_cmp_lt_i32 s36, 11
	v_cndmask_b32_e32 v1, v1, v6, vcc
	v_add_f32_e32 v3, -1.0, v1
	v_fmac_f32_e32 v3, v1, v5
	v_add_f32_e32 v1, v3, v3
	v_cndmask_b32_e32 v1, v3, v1, vcc
	v_mov_b32_e32 v3, 0x7f800000
	v_cmp_nlt_f32_e32 vcc, s0, v0
	s_mov_b32 s0, 0xcc40
	s_nop 0
	v_cndmask_b32_e32 v0, v3, v1, vcc
	v_cvt_f16_f32_e32 v0, v0
	v_mov_b32_e32 v1, 0xbc00
	v_cmp_ngt_f16_e32 vcc, s0, v2
	s_nop 1
	v_cndmask_b32_e32 v2, v1, v0, vcc
	v_mul_lo_u32 v0, v4, s8
	v_ashrrev_i32_e32 v1, 31, v0
	v_lshl_add_u64 v[0:1], s[4:5], 0, v[0:1]
	s_cbranch_scc1 .LBB160_655
; %bb.648:
	s_and_b32 s37, 0xffff, s36
	s_cmp_gt_i32 s37, 25
	s_cbranch_scc0 .LBB160_656
; %bb.649:
	s_cmp_gt_i32 s37, 28
	s_cbranch_scc0 .LBB160_657
; %bb.650:
	;; [unrolled: 3-line block ×4, first 2 shown]
	s_mov_b64 s[30:31], 0
	s_mov_b64 s[0:1], -1
	s_cmp_eq_u32 s37, 46
	s_mov_b64 s[28:29], 0
	s_cbranch_scc0 .LBB160_660
; %bb.653:
	v_cvt_f32_f16_e32 v3, v2
	s_movk_i32 s0, 0x7fff
	v_cmp_o_f16_e32 vcc, v2, v2
	v_mov_b32_e32 v5, 0x7fc0
	v_bfe_u32 v6, v3, 16, 1
	v_add3_u32 v3, v3, v6, s0
	v_cndmask_b32_sdwa v3, v5, v3, vcc dst_sel:DWORD dst_unused:UNUSED_PAD src0_sel:DWORD src1_sel:WORD_1
	global_store_dword v[0:1], v3, off
	s_mov_b64 s[28:29], -1
	s_mov_b64 s[0:1], 0
	s_branch .LBB160_660
.LBB160_654:
	s_mov_b64 s[30:31], 0
                                        ; implicit-def: $vgpr4
	s_mov_b64 s[0:1], s[20:21]
	s_branch .LBB160_771
.LBB160_655:
	s_mov_b64 s[30:31], -1
	s_mov_b64 s[28:29], 0
	s_mov_b64 s[0:1], s[20:21]
	s_branch .LBB160_729
.LBB160_656:
	s_mov_b64 s[30:31], -1
	s_mov_b64 s[28:29], 0
	s_mov_b64 s[0:1], s[20:21]
	s_branch .LBB160_687
.LBB160_657:
	s_mov_b64 s[30:31], -1
	s_mov_b64 s[28:29], 0
	s_mov_b64 s[0:1], s[20:21]
	s_branch .LBB160_670
.LBB160_658:
	s_mov_b64 s[30:31], -1
	s_mov_b64 s[28:29], 0
	s_mov_b64 s[0:1], s[20:21]
	s_branch .LBB160_666
.LBB160_659:
	s_mov_b64 s[30:31], -1
	s_mov_b64 s[28:29], 0
	s_mov_b64 s[0:1], s[20:21]
.LBB160_660:
	s_and_b64 vcc, exec, s[30:31]
	s_cbranch_vccz .LBB160_665
; %bb.661:
	s_cmp_eq_u32 s37, 44
	s_mov_b64 s[0:1], -1
	s_cbranch_scc0 .LBB160_665
; %bb.662:
	v_cvt_f32_f16_e32 v3, v2
	s_movk_i32 s0, 0xff
	v_mov_b32_e32 v6, 0xff
	v_bfe_u32 v5, v3, 23, 8
	v_cmp_ne_u32_e32 vcc, s0, v5
	s_and_saveexec_b64 s[28:29], vcc
; %bb.663:
	s_mov_b32 s0, 0x3fffff
	v_lshrrev_b32_e32 v6, 23, v3
	v_and_b32_e32 v7, 0x400000, v3
	v_and_or_b32 v3, v3, s0, v5
	v_cmp_ne_u32_e32 vcc, 0, v7
	v_cmp_ne_u32_e64 s[0:1], 0, v3
	s_and_b64 s[0:1], vcc, s[0:1]
	s_nop 0
	v_cndmask_b32_e64 v3, 0, 1, s[0:1]
	v_add_u32_e32 v6, v6, v3
; %bb.664:
	s_or_b64 exec, exec, s[28:29]
	s_mov_b64 s[28:29], -1
	s_mov_b64 s[0:1], 0
	global_store_byte v[0:1], v6, off
.LBB160_665:
	s_mov_b64 s[30:31], 0
.LBB160_666:
	s_and_b64 vcc, exec, s[30:31]
	s_cbranch_vccz .LBB160_669
; %bb.667:
	s_cmp_eq_u32 s37, 29
	s_mov_b64 s[0:1], -1
	s_cbranch_scc0 .LBB160_669
; %bb.668:
	v_cvt_f32_f16_e32 v3, v2
	v_mov_b32_e32 v7, 0
	s_mov_b64 s[28:29], -1
	s_mov_b64 s[0:1], 0
	v_cvt_u32_f32_e32 v6, v3
	s_mov_b64 s[30:31], 0
	global_store_dwordx2 v[0:1], v[6:7], off
	s_branch .LBB160_670
.LBB160_669:
	s_mov_b64 s[30:31], 0
.LBB160_670:
	s_and_b64 vcc, exec, s[30:31]
	s_cbranch_vccz .LBB160_686
; %bb.671:
	s_cmp_lt_i32 s37, 27
	s_mov_b64 s[28:29], -1
	s_cbranch_scc1 .LBB160_677
; %bb.672:
	s_cmp_gt_i32 s37, 27
	s_cbranch_scc0 .LBB160_674
; %bb.673:
	v_cvt_f32_f16_e32 v3, v2
	s_mov_b64 s[28:29], 0
	v_cvt_u32_f32_e32 v3, v3
	global_store_dword v[0:1], v3, off
.LBB160_674:
	s_andn2_b64 vcc, exec, s[28:29]
	s_cbranch_vccnz .LBB160_676
; %bb.675:
	v_cvt_u16_f16_e32 v3, v2
	global_store_short v[0:1], v3, off
.LBB160_676:
	s_mov_b64 s[28:29], 0
.LBB160_677:
	s_andn2_b64 vcc, exec, s[28:29]
	s_cbranch_vccnz .LBB160_685
; %bb.678:
	v_cvt_f32_f16_e32 v3, v2
	s_mov_b32 s28, 0x43800000
	v_mov_b32_e32 v6, 0x80
	v_and_b32_e32 v5, 0x7fffffff, v3
	v_cmp_gt_u32_e32 vcc, s28, v5
	s_and_saveexec_b64 s[28:29], vcc
	s_cbranch_execz .LBB160_684
; %bb.679:
	s_mov_b32 s30, 0x3bffffff
	v_cmp_lt_u32_e32 vcc, s30, v5
	s_mov_b64 s[30:31], 0
                                        ; implicit-def: $vgpr5
	s_and_saveexec_b64 s[34:35], vcc
	s_xor_b64 s[34:35], exec, s[34:35]
	s_cbranch_execz .LBB160_785
; %bb.680:
	v_bfe_u32 v5, v3, 20, 1
	s_mov_b32 s39, 0x487ffff
	v_add3_u32 v5, v3, v5, s39
	s_mov_b64 s[30:31], exec
	v_lshrrev_b32_e32 v5, 20, v5
	s_andn2_saveexec_b64 s[34:35], s[34:35]
	s_cbranch_execnz .LBB160_786
.LBB160_681:
	s_or_b64 exec, exec, s[34:35]
	v_mov_b32_e32 v6, 0
	s_and_saveexec_b64 s[34:35], s[30:31]
.LBB160_682:
	v_lshrrev_b32_e32 v3, 24, v3
	s_movk_i32 s30, 0x80
	v_and_or_b32 v6, v3, s30, v5
.LBB160_683:
	s_or_b64 exec, exec, s[34:35]
.LBB160_684:
	s_or_b64 exec, exec, s[28:29]
	global_store_byte v[0:1], v6, off
.LBB160_685:
	s_mov_b64 s[28:29], -1
.LBB160_686:
	s_mov_b64 s[30:31], 0
.LBB160_687:
	s_and_b64 vcc, exec, s[30:31]
	s_cbranch_vccz .LBB160_728
; %bb.688:
	s_cmp_gt_i32 s37, 22
	s_mov_b64 s[30:31], -1
	s_cbranch_scc0 .LBB160_720
; %bb.689:
	s_cmp_lt_i32 s37, 24
	s_mov_b64 s[28:29], -1
	s_cbranch_scc1 .LBB160_709
; %bb.690:
	s_cmp_gt_i32 s37, 24
	s_cbranch_scc0 .LBB160_698
; %bb.691:
	v_cvt_f32_f16_e32 v3, v2
	s_mov_b32 s28, 0x47800000
	v_mov_b32_e32 v6, 0x80
	v_and_b32_e32 v5, 0x7fffffff, v3
	v_cmp_gt_u32_e32 vcc, s28, v5
	s_and_saveexec_b64 s[28:29], vcc
	s_cbranch_execz .LBB160_697
; %bb.692:
	s_mov_b32 s30, 0x37ffffff
	v_cmp_lt_u32_e32 vcc, s30, v5
	s_mov_b64 s[30:31], 0
                                        ; implicit-def: $vgpr5
	s_and_saveexec_b64 s[34:35], vcc
	s_xor_b64 s[34:35], exec, s[34:35]
	s_cbranch_execz .LBB160_788
; %bb.693:
	v_bfe_u32 v5, v3, 21, 1
	s_mov_b32 s39, 0x88fffff
	v_add3_u32 v5, v3, v5, s39
	s_mov_b64 s[30:31], exec
	v_lshrrev_b32_e32 v5, 21, v5
	s_andn2_saveexec_b64 s[34:35], s[34:35]
	s_cbranch_execnz .LBB160_789
.LBB160_694:
	s_or_b64 exec, exec, s[34:35]
	v_mov_b32_e32 v6, 0
	s_and_saveexec_b64 s[34:35], s[30:31]
.LBB160_695:
	v_lshrrev_b32_e32 v3, 24, v3
	s_movk_i32 s30, 0x80
	v_and_or_b32 v6, v3, s30, v5
.LBB160_696:
	s_or_b64 exec, exec, s[34:35]
.LBB160_697:
	s_or_b64 exec, exec, s[28:29]
	s_mov_b64 s[28:29], 0
	global_store_byte v[0:1], v6, off
.LBB160_698:
	s_and_b64 vcc, exec, s[28:29]
	s_cbranch_vccz .LBB160_708
; %bb.699:
	v_cvt_f32_f16_e32 v3, v2
	s_mov_b32 s28, 0x43f00000
                                        ; implicit-def: $vgpr5
	v_and_b32_e32 v6, 0x7fffffff, v3
	v_cmp_gt_u32_e32 vcc, s28, v6
	s_and_saveexec_b64 s[28:29], vcc
	s_xor_b64 s[28:29], exec, s[28:29]
	s_cbranch_execz .LBB160_705
; %bb.700:
	s_mov_b32 s30, 0x3c7fffff
	v_cmp_lt_u32_e32 vcc, s30, v6
                                        ; implicit-def: $vgpr5
	s_and_saveexec_b64 s[30:31], vcc
	s_xor_b64 s[30:31], exec, s[30:31]
; %bb.701:
	v_bfe_u32 v5, v3, 20, 1
	s_mov_b32 s34, 0x407ffff
	v_add3_u32 v5, v3, v5, s34
	v_lshrrev_b32_e32 v6, 20, v5
	v_and_b32_e32 v5, 0xff00000, v5
	s_mov_b32 s34, 0x7f00000
	v_mov_b32_e32 v7, 0x7e
	v_cmp_ne_u32_e32 vcc, s34, v5
	s_nop 1
	v_cndmask_b32_e32 v5, v7, v6, vcc
; %bb.702:
	s_andn2_saveexec_b64 s[30:31], s[30:31]
; %bb.703:
	s_mov_b32 s34, 0x46800000
	v_add_f32_e64 v5, |v3|, s34
; %bb.704:
	s_or_b64 exec, exec, s[30:31]
                                        ; implicit-def: $vgpr6
.LBB160_705:
	s_andn2_saveexec_b64 s[28:29], s[28:29]
; %bb.706:
	s_mov_b32 s30, 0x7f800000
	v_mov_b32_e32 v5, 0x7e
	v_mov_b32_e32 v7, 0x7f
	v_cmp_lt_u32_e32 vcc, s30, v6
	s_nop 1
	v_cndmask_b32_e32 v5, v5, v7, vcc
; %bb.707:
	s_or_b64 exec, exec, s[28:29]
	v_lshrrev_b32_e32 v3, 24, v3
	s_movk_i32 s28, 0x80
	v_and_or_b32 v3, v3, s28, v5
	global_store_byte v[0:1], v3, off
.LBB160_708:
	s_mov_b64 s[28:29], 0
.LBB160_709:
	s_andn2_b64 vcc, exec, s[28:29]
	s_cbranch_vccnz .LBB160_719
; %bb.710:
	v_cvt_f32_f16_e32 v3, v2
	s_mov_b32 s28, 0x47800000
                                        ; implicit-def: $vgpr5
	v_and_b32_e32 v6, 0x7fffffff, v3
	v_cmp_gt_u32_e32 vcc, s28, v6
	s_and_saveexec_b64 s[28:29], vcc
	s_xor_b64 s[28:29], exec, s[28:29]
	s_cbranch_execz .LBB160_716
; %bb.711:
	s_mov_b32 s30, 0x387fffff
	v_cmp_lt_u32_e32 vcc, s30, v6
                                        ; implicit-def: $vgpr5
	s_and_saveexec_b64 s[30:31], vcc
	s_xor_b64 s[30:31], exec, s[30:31]
; %bb.712:
	v_bfe_u32 v5, v3, 21, 1
	s_mov_b32 s34, 0x80fffff
	v_add3_u32 v5, v3, v5, s34
	v_lshrrev_b32_e32 v5, 21, v5
; %bb.713:
	s_andn2_saveexec_b64 s[30:31], s[30:31]
; %bb.714:
	s_mov_b32 s34, 0x43000000
	v_add_f32_e64 v5, |v3|, s34
; %bb.715:
	s_or_b64 exec, exec, s[30:31]
                                        ; implicit-def: $vgpr6
.LBB160_716:
	s_andn2_saveexec_b64 s[28:29], s[28:29]
; %bb.717:
	s_mov_b32 s30, 0x7f800000
	v_mov_b32_e32 v5, 0x7c
	v_mov_b32_e32 v7, 0x7f
	v_cmp_lt_u32_e32 vcc, s30, v6
	s_nop 1
	v_cndmask_b32_e32 v5, v5, v7, vcc
; %bb.718:
	s_or_b64 exec, exec, s[28:29]
	v_lshrrev_b32_e32 v3, 24, v3
	s_movk_i32 s28, 0x80
	v_and_or_b32 v3, v3, s28, v5
	global_store_byte v[0:1], v3, off
.LBB160_719:
	s_mov_b64 s[30:31], 0
	s_mov_b64 s[28:29], -1
.LBB160_720:
	s_andn2_b64 vcc, exec, s[30:31]
	s_cbranch_vccnz .LBB160_728
; %bb.721:
	s_cmp_gt_i32 s37, 14
	s_mov_b64 s[30:31], -1
	s_cbranch_scc0 .LBB160_725
; %bb.722:
	s_cmp_eq_u32 s37, 15
	s_mov_b64 s[0:1], -1
	s_cbranch_scc0 .LBB160_724
; %bb.723:
	v_cvt_f32_f16_e32 v3, v2
	s_movk_i32 s0, 0x7fff
	v_cmp_o_f16_e32 vcc, v2, v2
	v_mov_b32_e32 v5, 0x7fc0
	v_bfe_u32 v6, v3, 16, 1
	v_add3_u32 v3, v3, v6, s0
	v_cndmask_b32_sdwa v3, v5, v3, vcc dst_sel:DWORD dst_unused:UNUSED_PAD src0_sel:DWORD src1_sel:WORD_1
	global_store_short v[0:1], v3, off
	s_mov_b64 s[28:29], -1
	s_mov_b64 s[0:1], 0
.LBB160_724:
	s_mov_b64 s[30:31], 0
.LBB160_725:
	s_and_b64 vcc, exec, s[30:31]
	s_cbranch_vccz .LBB160_728
; %bb.726:
	s_cmp_eq_u32 s37, 11
	s_mov_b64 s[0:1], -1
	s_cbranch_scc0 .LBB160_728
; %bb.727:
	v_cmp_neq_f16_e32 vcc, 0, v2
	s_mov_b64 s[28:29], -1
	s_mov_b64 s[0:1], 0
	v_cndmask_b32_e64 v3, 0, 1, vcc
	global_store_byte v[0:1], v3, off
.LBB160_728:
	s_mov_b64 s[30:31], 0
.LBB160_729:
	s_and_b64 vcc, exec, s[30:31]
	s_cbranch_vccz .LBB160_768
; %bb.730:
	s_and_b32 s30, 0xffff, s36
	s_cmp_lt_i32 s30, 5
	s_mov_b64 s[28:29], -1
	s_cbranch_scc1 .LBB160_751
; %bb.731:
	s_cmp_lt_i32 s30, 8
	s_cbranch_scc1 .LBB160_741
; %bb.732:
	s_cmp_lt_i32 s30, 9
	s_cbranch_scc1 .LBB160_738
; %bb.733:
	s_cmp_gt_i32 s30, 9
	s_cbranch_scc0 .LBB160_735
; %bb.734:
	v_cvt_f32_f16_e32 v3, v2
	v_mov_b32_e32 v8, 0
	v_mov_b32_e32 v9, v8
	s_mov_b64 s[28:29], 0
	v_cvt_f64_f32_e32 v[6:7], v3
	global_store_dwordx4 v[0:1], v[6:9], off
.LBB160_735:
	s_andn2_b64 vcc, exec, s[28:29]
	s_cbranch_vccnz .LBB160_737
; %bb.736:
	v_cvt_f32_f16_e32 v6, v2
	v_mov_b32_e32 v7, 0
	global_store_dwordx2 v[0:1], v[6:7], off
.LBB160_737:
	s_mov_b64 s[28:29], 0
.LBB160_738:
	s_andn2_b64 vcc, exec, s[28:29]
	s_cbranch_vccnz .LBB160_740
; %bb.739:
	v_and_b32_e32 v3, 0xffff, v2
	global_store_dword v[0:1], v3, off
.LBB160_740:
	s_mov_b64 s[28:29], 0
.LBB160_741:
	s_andn2_b64 vcc, exec, s[28:29]
	s_cbranch_vccnz .LBB160_750
; %bb.742:
	s_cmp_lt_i32 s30, 6
	s_mov_b64 s[28:29], -1
	s_cbranch_scc1 .LBB160_748
; %bb.743:
	s_cmp_gt_i32 s30, 6
	s_cbranch_scc0 .LBB160_745
; %bb.744:
	v_cvt_f32_f16_e32 v3, v2
	s_mov_b64 s[28:29], 0
	v_cvt_f64_f32_e32 v[6:7], v3
	global_store_dwordx2 v[0:1], v[6:7], off
.LBB160_745:
	s_andn2_b64 vcc, exec, s[28:29]
	s_cbranch_vccnz .LBB160_747
; %bb.746:
	v_cvt_f32_f16_e32 v3, v2
	global_store_dword v[0:1], v3, off
.LBB160_747:
	s_mov_b64 s[28:29], 0
.LBB160_748:
	s_andn2_b64 vcc, exec, s[28:29]
	s_cbranch_vccnz .LBB160_750
; %bb.749:
	global_store_short v[0:1], v2, off
.LBB160_750:
	s_mov_b64 s[28:29], 0
.LBB160_751:
	s_andn2_b64 vcc, exec, s[28:29]
	s_cbranch_vccnz .LBB160_767
; %bb.752:
	s_cmp_lt_i32 s30, 2
	s_mov_b64 s[28:29], -1
	s_cbranch_scc1 .LBB160_762
; %bb.753:
	s_cmp_lt_i32 s30, 3
	s_cbranch_scc1 .LBB160_759
; %bb.754:
	s_cmp_gt_i32 s30, 3
	s_cbranch_scc0 .LBB160_756
; %bb.755:
	v_cvt_f32_f16_e32 v3, v2
	s_mov_b64 s[28:29], 0
	v_cvt_i32_f32_e32 v6, v3
	v_ashrrev_i32_e32 v7, 31, v6
	global_store_dwordx2 v[0:1], v[6:7], off
.LBB160_756:
	s_andn2_b64 vcc, exec, s[28:29]
	s_cbranch_vccnz .LBB160_758
; %bb.757:
	v_cvt_f32_f16_e32 v3, v2
	v_cvt_i32_f32_e32 v3, v3
	global_store_dword v[0:1], v3, off
.LBB160_758:
	s_mov_b64 s[28:29], 0
.LBB160_759:
	s_andn2_b64 vcc, exec, s[28:29]
	s_cbranch_vccnz .LBB160_761
; %bb.760:
	v_cvt_i16_f16_e32 v3, v2
	global_store_short v[0:1], v3, off
.LBB160_761:
	s_mov_b64 s[28:29], 0
.LBB160_762:
	s_andn2_b64 vcc, exec, s[28:29]
	s_cbranch_vccnz .LBB160_767
; %bb.763:
	s_cmp_gt_i32 s30, 0
	s_mov_b64 s[28:29], -1
	s_cbranch_scc0 .LBB160_765
; %bb.764:
	v_cvt_i16_f16_e32 v3, v2
	s_mov_b64 s[28:29], 0
	global_store_byte v[0:1], v3, off
.LBB160_765:
	s_andn2_b64 vcc, exec, s[28:29]
	s_cbranch_vccnz .LBB160_767
; %bb.766:
	v_cvt_f32_f16_e32 v2, v2
	v_cvt_i32_f32_e32 v2, v2
	global_store_byte v[0:1], v2, off
.LBB160_767:
	s_mov_b64 s[28:29], -1
.LBB160_768:
	s_andn2_b64 vcc, exec, s[28:29]
	s_cbranch_vccnz .LBB160_770
; %bb.769:
	v_add_u32_e32 v4, 0x80, v4
	s_mov_b64 s[30:31], -1
	s_branch .LBB160_771
.LBB160_770:
	s_mov_b64 s[30:31], 0
                                        ; implicit-def: $vgpr4
.LBB160_771:
	s_andn2_b64 s[28:29], s[20:21], exec
	s_and_b64 s[0:1], s[0:1], exec
	s_or_b64 s[28:29], s[28:29], s[0:1]
	s_andn2_b64 s[0:1], s[18:19], exec
	s_and_b64 s[26:27], s[26:27], exec
	s_or_b64 s[0:1], s[0:1], s[26:27]
	s_orn2_b64 s[34:35], s[30:31], exec
.LBB160_772:
	s_or_b64 exec, exec, s[24:25]
	s_mov_b64 s[30:31], 0
	s_mov_b64 s[26:27], 0
	;; [unrolled: 1-line block ×3, first 2 shown]
                                        ; implicit-def: $vgpr0_vgpr1
                                        ; implicit-def: $vgpr3
	s_and_saveexec_b64 s[24:25], s[34:35]
	s_cbranch_execz .LBB160_857
; %bb.773:
	v_cmp_gt_i32_e32 vcc, s38, v4
	s_mov_b64 s[34:35], 0
	s_mov_b64 s[38:39], s[0:1]
	s_mov_b64 s[40:41], 0
                                        ; implicit-def: $vgpr0_vgpr1
                                        ; implicit-def: $vgpr3
	s_and_saveexec_b64 s[26:27], vcc
	s_cbranch_execz .LBB160_856
; %bb.774:
	v_mul_lo_u32 v0, v4, s9
	v_ashrrev_i32_e32 v1, 31, v0
	s_and_b32 s43, 0xffff, s42
	s_cmp_lt_i32 s43, 11
	v_lshl_add_u64 v[0:1], s[6:7], 0, v[0:1]
	s_cbranch_scc1 .LBB160_781
; %bb.775:
	s_cmp_gt_i32 s43, 25
	s_cbranch_scc0 .LBB160_782
; %bb.776:
	s_cmp_gt_i32 s43, 28
	s_cbranch_scc0 .LBB160_783
	;; [unrolled: 3-line block ×4, first 2 shown]
; %bb.779:
	s_cmp_eq_u32 s43, 46
	s_mov_b64 s[38:39], 0
	s_cbranch_scc0 .LBB160_790
; %bb.780:
	global_load_dword v2, v[0:1], off
	s_mov_b64 s[36:37], -1
	s_waitcnt vmcnt(0)
	v_lshlrev_b32_e32 v2, 16, v2
	v_cvt_f16_f32_e32 v3, v2
	s_branch .LBB160_792
.LBB160_781:
	s_mov_b64 s[38:39], -1
                                        ; implicit-def: $vgpr3
	s_mov_b64 s[30:31], s[0:1]
	s_branch .LBB160_855
.LBB160_782:
	s_mov_b64 s[38:39], -1
	s_mov_b64 s[30:31], s[0:1]
                                        ; implicit-def: $vgpr3
	s_branch .LBB160_821
.LBB160_783:
	s_mov_b64 s[38:39], -1
	s_mov_b64 s[30:31], s[0:1]
                                        ; implicit-def: $vgpr3
	s_branch .LBB160_802
.LBB160_784:
	s_mov_b64 s[38:39], -1
	s_mov_b64 s[30:31], s[0:1]
                                        ; implicit-def: $vgpr3
	s_branch .LBB160_797
.LBB160_785:
	s_andn2_saveexec_b64 s[34:35], s[34:35]
	s_cbranch_execz .LBB160_681
.LBB160_786:
	s_mov_b32 s39, 0x46000000
	v_add_f32_e64 v5, |v3|, s39
	v_and_b32_e32 v5, 0xff, v5
	v_cmp_ne_u32_e32 vcc, 0, v5
	s_andn2_b64 s[30:31], s[30:31], exec
	s_and_b64 s[40:41], vcc, exec
	s_or_b64 s[30:31], s[30:31], s[40:41]
	s_or_b64 exec, exec, s[34:35]
	v_mov_b32_e32 v6, 0
	s_and_saveexec_b64 s[34:35], s[30:31]
	s_cbranch_execnz .LBB160_682
	s_branch .LBB160_683
.LBB160_787:
	s_mov_b64 s[38:39], -1
	s_mov_b64 s[30:31], s[0:1]
	s_branch .LBB160_791
.LBB160_788:
	s_andn2_saveexec_b64 s[34:35], s[34:35]
	s_cbranch_execz .LBB160_694
.LBB160_789:
	s_mov_b32 s39, 0x42800000
	v_add_f32_e64 v5, |v3|, s39
	v_and_b32_e32 v5, 0xff, v5
	v_cmp_ne_u32_e32 vcc, 0, v5
	s_andn2_b64 s[30:31], s[30:31], exec
	s_and_b64 s[40:41], vcc, exec
	s_or_b64 s[30:31], s[30:31], s[40:41]
	s_or_b64 exec, exec, s[34:35]
	v_mov_b32_e32 v6, 0
	s_and_saveexec_b64 s[34:35], s[30:31]
	s_cbranch_execnz .LBB160_695
	s_branch .LBB160_696
.LBB160_790:
	s_mov_b64 s[30:31], -1
.LBB160_791:
                                        ; implicit-def: $vgpr3
.LBB160_792:
	s_and_b64 vcc, exec, s[38:39]
	s_cbranch_vccz .LBB160_796
; %bb.793:
	s_cmp_eq_u32 s43, 44
	s_cbranch_scc0 .LBB160_795
; %bb.794:
	global_load_ubyte v2, v[0:1], off
	s_movk_i32 s36, 0xff
	v_mov_b32_e32 v5, 0x7e00
	s_mov_b64 s[30:31], 0
	s_waitcnt vmcnt(0)
	v_lshlrev_b32_e32 v3, 23, v2
	v_cvt_f16_f32_e32 v3, v3
	v_cmp_ne_u32_e32 vcc, s36, v2
	s_mov_b64 s[36:37], -1
	s_nop 0
	v_cndmask_b32_e32 v3, v5, v3, vcc
	v_cmp_ne_u32_e32 vcc, 0, v2
	s_nop 1
	v_cndmask_b32_e32 v3, 0, v3, vcc
	s_branch .LBB160_796
.LBB160_795:
	s_mov_b64 s[30:31], -1
                                        ; implicit-def: $vgpr3
.LBB160_796:
	s_mov_b64 s[38:39], 0
.LBB160_797:
	s_and_b64 vcc, exec, s[38:39]
	s_cbranch_vccz .LBB160_801
; %bb.798:
	s_cmp_eq_u32 s43, 29
	s_cbranch_scc0 .LBB160_800
; %bb.799:
	global_load_dwordx2 v[2:3], v[0:1], off
	s_mov_b64 s[30:31], 0
	s_mov_b64 s[36:37], -1
	s_mov_b64 s[38:39], 0
	s_waitcnt vmcnt(0)
	v_ffbh_u32_e32 v5, v3
	v_min_u32_e32 v5, 32, v5
	v_lshlrev_b64 v[2:3], v5, v[2:3]
	v_min_u32_e32 v2, 1, v2
	v_or_b32_e32 v2, v3, v2
	v_cvt_f32_u32_e32 v2, v2
	v_sub_u32_e32 v3, 32, v5
	v_ldexp_f32 v2, v2, v3
	v_cvt_f16_f32_e32 v3, v2
	s_branch .LBB160_802
.LBB160_800:
	s_mov_b64 s[30:31], -1
                                        ; implicit-def: $vgpr3
.LBB160_801:
	s_mov_b64 s[38:39], 0
.LBB160_802:
	s_and_b64 vcc, exec, s[38:39]
	s_cbranch_vccz .LBB160_820
; %bb.803:
	s_cmp_lt_i32 s43, 27
	s_cbranch_scc1 .LBB160_806
; %bb.804:
	s_cmp_gt_i32 s43, 27
	s_cbranch_scc0 .LBB160_807
; %bb.805:
	global_load_dword v2, v[0:1], off
	s_mov_b64 s[36:37], 0
	s_waitcnt vmcnt(0)
	v_cvt_f32_u32_e32 v2, v2
	v_cvt_f16_f32_e32 v3, v2
	s_branch .LBB160_808
.LBB160_806:
	s_mov_b64 s[36:37], -1
                                        ; implicit-def: $vgpr3
	s_branch .LBB160_811
.LBB160_807:
	s_mov_b64 s[36:37], -1
                                        ; implicit-def: $vgpr3
.LBB160_808:
	s_andn2_b64 vcc, exec, s[36:37]
	s_cbranch_vccnz .LBB160_810
; %bb.809:
	global_load_ushort v2, v[0:1], off
	s_waitcnt vmcnt(0)
	v_cvt_f16_u16_e32 v3, v2
.LBB160_810:
	s_mov_b64 s[36:37], 0
.LBB160_811:
	s_andn2_b64 vcc, exec, s[36:37]
	s_cbranch_vccnz .LBB160_819
; %bb.812:
	global_load_ubyte v2, v[0:1], off
	s_movk_i32 s36, 0x7f
	s_waitcnt vmcnt(0)
	v_cmp_lt_i16_e32 vcc, s36, v2
	s_mov_b64 s[36:37], 0
	s_and_saveexec_b64 s[38:39], vcc
	s_xor_b64 s[38:39], exec, s[38:39]
	s_cbranch_execz .LBB160_833
; %bb.813:
	s_movk_i32 s36, 0x80
	v_cmp_eq_u16_e32 vcc, s36, v2
	s_mov_b64 s[36:37], -1
	s_and_saveexec_b64 s[40:41], vcc
; %bb.814:
	s_xor_b64 s[36:37], exec, -1
; %bb.815:
	s_or_b64 exec, exec, s[40:41]
	s_and_b64 s[36:37], s[36:37], exec
	s_or_saveexec_b64 s[38:39], s[38:39]
	v_mov_b32_e32 v3, 0x7e00
	s_xor_b64 exec, exec, s[38:39]
	s_cbranch_execnz .LBB160_834
.LBB160_816:
	s_or_b64 exec, exec, s[38:39]
	s_and_saveexec_b64 s[38:39], s[36:37]
	s_cbranch_execz .LBB160_818
.LBB160_817:
	v_lshlrev_b32_e32 v3, 24, v2
	v_and_b32_e32 v2, 0xffff, v2
	v_and_b32_e32 v5, 7, v2
	v_ffbh_u32_e32 v7, v5
	v_min_u32_e32 v7, 32, v7
	v_subrev_u32_e32 v8, 28, v7
	v_bfe_u32 v6, v2, 3, 4
	v_lshlrev_b32_e32 v2, v8, v2
	v_sub_u32_e32 v7, 29, v7
	v_and_b32_e32 v2, 7, v2
	v_cmp_eq_u32_e32 vcc, 0, v6
	v_and_b32_e32 v3, 0x80000000, v3
	s_nop 0
	v_cndmask_b32_e32 v6, v6, v7, vcc
	v_cndmask_b32_e32 v2, v5, v2, vcc
	v_mov_b32_e32 v5, 0x3b800000
	v_lshlrev_b32_e32 v2, 20, v2
	v_lshl_add_u32 v5, v6, 23, v5
	v_or3_b32 v2, v3, v5, v2
	v_cvt_f16_f32_e32 v3, v2
.LBB160_818:
	s_or_b64 exec, exec, s[38:39]
.LBB160_819:
	s_mov_b64 s[36:37], -1
.LBB160_820:
	s_mov_b64 s[38:39], 0
.LBB160_821:
	s_and_b64 vcc, exec, s[38:39]
	s_cbranch_vccz .LBB160_854
; %bb.822:
	s_cmp_gt_i32 s43, 22
	s_cbranch_scc0 .LBB160_832
; %bb.823:
	s_cmp_lt_i32 s43, 24
	s_cbranch_scc1 .LBB160_835
; %bb.824:
	s_cmp_gt_i32 s43, 24
	s_cbranch_scc0 .LBB160_836
; %bb.825:
	global_load_ubyte v2, v[0:1], off
	s_movk_i32 s34, 0x7f
	s_waitcnt vmcnt(0)
	v_cmp_lt_i16_e32 vcc, s34, v2
	s_mov_b64 s[34:35], 0
	s_and_saveexec_b64 s[36:37], vcc
	s_xor_b64 s[36:37], exec, s[36:37]
	s_cbranch_execz .LBB160_848
; %bb.826:
	s_movk_i32 s34, 0x80
	v_cmp_eq_u16_e32 vcc, s34, v2
	s_mov_b64 s[34:35], -1
	s_and_saveexec_b64 s[38:39], vcc
; %bb.827:
	s_xor_b64 s[34:35], exec, -1
; %bb.828:
	s_or_b64 exec, exec, s[38:39]
	s_and_b64 s[34:35], s[34:35], exec
	s_or_saveexec_b64 s[36:37], s[36:37]
	v_mov_b32_e32 v3, 0x7e00
	s_xor_b64 exec, exec, s[36:37]
	s_cbranch_execnz .LBB160_849
.LBB160_829:
	s_or_b64 exec, exec, s[36:37]
	s_and_saveexec_b64 s[36:37], s[34:35]
	s_cbranch_execz .LBB160_831
.LBB160_830:
	v_lshlrev_b32_e32 v3, 24, v2
	v_and_b32_e32 v2, 0xffff, v2
	v_and_b32_e32 v5, 3, v2
	v_ffbh_u32_e32 v7, v5
	v_min_u32_e32 v7, 32, v7
	v_subrev_u32_e32 v8, 29, v7
	v_bfe_u32 v6, v2, 2, 5
	v_lshlrev_b32_e32 v2, v8, v2
	v_sub_u32_e32 v7, 30, v7
	v_and_b32_e32 v2, 3, v2
	v_cmp_eq_u32_e32 vcc, 0, v6
	v_and_b32_e32 v3, 0x80000000, v3
	s_nop 0
	v_cndmask_b32_e32 v6, v6, v7, vcc
	v_cndmask_b32_e32 v2, v5, v2, vcc
	v_mov_b32_e32 v5, 0x37800000
	v_lshlrev_b32_e32 v2, 21, v2
	v_lshl_add_u32 v5, v6, 23, v5
	v_or3_b32 v2, v3, v5, v2
	v_cvt_f16_f32_e32 v3, v2
.LBB160_831:
	s_or_b64 exec, exec, s[36:37]
	s_mov_b64 s[34:35], 0
	s_branch .LBB160_837
.LBB160_832:
	s_mov_b64 s[34:35], -1
                                        ; implicit-def: $vgpr3
	s_branch .LBB160_843
.LBB160_833:
	s_or_saveexec_b64 s[38:39], s[38:39]
	v_mov_b32_e32 v3, 0x7e00
	s_xor_b64 exec, exec, s[38:39]
	s_cbranch_execz .LBB160_816
.LBB160_834:
	v_cmp_ne_u16_e32 vcc, 0, v2
	s_andn2_b64 s[36:37], s[36:37], exec
	s_and_b64 s[40:41], vcc, exec
	s_or_b64 s[36:37], s[36:37], s[40:41]
	v_mov_b32_e32 v3, v2
	s_or_b64 exec, exec, s[38:39]
	s_and_saveexec_b64 s[38:39], s[36:37]
	s_cbranch_execnz .LBB160_817
	s_branch .LBB160_818
.LBB160_835:
	s_mov_b64 s[34:35], -1
                                        ; implicit-def: $vgpr3
	s_branch .LBB160_840
.LBB160_836:
	s_mov_b64 s[34:35], -1
                                        ; implicit-def: $vgpr3
.LBB160_837:
	s_and_b64 vcc, exec, s[34:35]
	s_cbranch_vccz .LBB160_839
; %bb.838:
	global_load_ubyte v2, v[0:1], off
	s_mov_b32 s34, 0x7f800000
	s_waitcnt vmcnt(0)
	v_lshlrev_b32_e32 v2, 24, v2
	v_and_b32_e32 v3, 0x7f000000, v2
	v_ffbh_u32_e32 v5, v3
	v_min_u32_e32 v5, 32, v5
	v_sub_u32_e64 v5, v5, 4 clamp
	v_lshlrev_b32_e32 v7, v5, v3
	v_lshlrev_b32_e32 v5, 23, v5
	v_lshrrev_b32_e32 v7, 4, v7
	v_add_u32_e32 v6, 0x1000000, v3
	v_sub_u32_e32 v5, v7, v5
	v_ashrrev_i32_e32 v6, 8, v6
	v_add_u32_e32 v5, 0x3c000000, v5
	v_and_or_b32 v5, v6, s34, v5
	v_cmp_ne_u32_e32 vcc, 0, v3
	s_brev_b32 s34, 1
	s_nop 0
	v_cndmask_b32_e32 v3, 0, v5, vcc
	v_and_or_b32 v2, v2, s34, v3
	v_cvt_f16_f32_e32 v3, v2
.LBB160_839:
	s_mov_b64 s[34:35], 0
.LBB160_840:
	s_andn2_b64 vcc, exec, s[34:35]
	s_cbranch_vccnz .LBB160_842
; %bb.841:
	global_load_ubyte v2, v[0:1], off
	s_movk_i32 s34, 0x7f00
	s_brev_b32 s35, 16
	s_waitcnt vmcnt(0)
	v_lshlrev_b16_e32 v3, 8, v2
	v_lshlrev_b32_e32 v2, 25, v2
	v_lshrrev_b32_e32 v5, 4, v2
	v_and_or_b32 v6, v3, s34, 0.5
	v_or_b32_e32 v5, 0x70000000, v5
	v_add_f32_e32 v6, -0.5, v6
	v_mul_f32_e32 v5, 0x7800000, v5
	v_cmp_gt_u32_e32 vcc, s35, v2
	v_bfe_i32 v3, v3, 0, 16
	s_brev_b32 s34, 1
	v_cndmask_b32_e32 v2, v5, v6, vcc
	v_and_or_b32 v2, v3, s34, v2
	v_cvt_f16_f32_e32 v3, v2
.LBB160_842:
	s_mov_b64 s[34:35], 0
	s_mov_b64 s[36:37], -1
.LBB160_843:
	s_andn2_b64 vcc, exec, s[34:35]
	s_mov_b64 s[34:35], 0
	s_cbranch_vccnz .LBB160_854
; %bb.844:
	s_cmp_gt_i32 s43, 14
	s_cbranch_scc0 .LBB160_847
; %bb.845:
	s_cmp_eq_u32 s43, 15
	s_cbranch_scc0 .LBB160_850
; %bb.846:
	global_load_ushort v2, v[0:1], off
	s_mov_b64 s[30:31], 0
	s_mov_b64 s[36:37], -1
	s_waitcnt vmcnt(0)
	v_lshlrev_b32_e32 v2, 16, v2
	v_cvt_f16_f32_e32 v3, v2
	s_branch .LBB160_851
.LBB160_847:
	s_mov_b64 s[38:39], -1
                                        ; implicit-def: $vgpr3
	s_branch .LBB160_852
.LBB160_848:
	s_or_saveexec_b64 s[36:37], s[36:37]
	v_mov_b32_e32 v3, 0x7e00
	s_xor_b64 exec, exec, s[36:37]
	s_cbranch_execz .LBB160_829
.LBB160_849:
	v_cmp_ne_u16_e32 vcc, 0, v2
	s_andn2_b64 s[34:35], s[34:35], exec
	s_and_b64 s[38:39], vcc, exec
	s_or_b64 s[34:35], s[34:35], s[38:39]
	v_mov_b32_e32 v3, v2
	s_or_b64 exec, exec, s[36:37]
	s_and_saveexec_b64 s[36:37], s[34:35]
	s_cbranch_execnz .LBB160_830
	s_branch .LBB160_831
.LBB160_850:
	s_mov_b64 s[30:31], -1
                                        ; implicit-def: $vgpr3
.LBB160_851:
	s_mov_b64 s[38:39], 0
.LBB160_852:
	s_and_b64 vcc, exec, s[38:39]
	s_cbranch_vccz .LBB160_854
; %bb.853:
	s_cmp_lg_u32 s43, 11
	s_cselect_b64 s[38:39], -1, 0
	s_andn2_b64 s[30:31], s[30:31], exec
	s_and_b64 s[38:39], s[38:39], exec
	s_mov_b64 s[34:35], -1
	s_or_b64 s[30:31], s[30:31], s[38:39]
.LBB160_854:
	s_mov_b64 s[38:39], 0
.LBB160_855:
	s_and_b64 s[40:41], s[38:39], exec
	s_andn2_b64 s[38:39], s[0:1], exec
	s_and_b64 s[30:31], s[30:31], exec
	s_and_b64 s[36:37], s[36:37], exec
	;; [unrolled: 1-line block ×3, first 2 shown]
	s_or_b64 s[38:39], s[38:39], s[30:31]
.LBB160_856:
	s_or_b64 exec, exec, s[26:27]
	s_and_b64 s[30:31], s[34:35], exec
	s_andn2_b64 s[0:1], s[0:1], exec
	s_and_b64 s[34:35], s[38:39], exec
	s_and_b64 s[36:37], s[36:37], exec
	;; [unrolled: 1-line block ×3, first 2 shown]
	s_or_b64 s[0:1], s[0:1], s[34:35]
.LBB160_857:
	s_or_b64 exec, exec, s[24:25]
	s_andn2_b64 s[20:21], s[20:21], exec
	s_and_b64 s[24:25], s[28:29], exec
	s_andn2_b64 s[18:19], s[18:19], exec
	s_and_b64 s[0:1], s[0:1], exec
	s_or_b64 s[20:21], s[20:21], s[24:25]
	s_and_b64 s[28:29], s[36:37], exec
	s_and_b64 s[26:27], s[26:27], exec
	;; [unrolled: 1-line block ×3, first 2 shown]
	s_or_b64 s[18:19], s[18:19], s[0:1]
.LBB160_858:
	s_or_b64 exec, exec, s[22:23]
	s_andn2_b64 s[0:1], s[12:13], exec
	s_and_b64 s[12:13], s[20:21], exec
	s_andn2_b64 s[14:15], s[14:15], exec
	s_and_b64 s[18:19], s[18:19], exec
	s_or_b64 s[12:13], s[0:1], s[12:13]
	s_and_b64 s[0:1], s[28:29], exec
	s_and_b64 s[22:23], s[26:27], exec
	;; [unrolled: 1-line block ×3, first 2 shown]
	s_or_b64 s[14:15], s[14:15], s[18:19]
	s_or_b64 exec, exec, s[16:17]
	s_mov_b64 s[16:17], 0
	s_and_saveexec_b64 s[18:19], s[14:15]
	s_cbranch_execz .LBB160_262
.LBB160_859:
	s_mov_b64 s[16:17], exec
	s_andn2_b64 s[20:21], s[20:21], exec
	s_trap 2
	s_or_b64 exec, exec, s[18:19]
	s_and_saveexec_b64 s[14:15], s[20:21]
	s_xor_b64 s[14:15], exec, s[14:15]
	s_cbranch_execnz .LBB160_263
.LBB160_860:
	s_or_b64 exec, exec, s[14:15]
	s_and_saveexec_b64 s[14:15], s[22:23]
	s_cbranch_execz .LBB160_906
.LBB160_861:
	s_sext_i32_i16 s18, s42
	s_cmp_lt_i32 s18, 5
	s_cbranch_scc1 .LBB160_866
; %bb.862:
	s_cmp_lt_i32 s18, 8
	s_cbranch_scc1 .LBB160_867
; %bb.863:
	;; [unrolled: 3-line block ×3, first 2 shown]
	s_cmp_gt_i32 s18, 9
	s_cbranch_scc0 .LBB160_869
; %bb.865:
	global_load_dwordx2 v[2:3], v[0:1], off
	s_movk_i32 s18, 0x1ff
	s_movk_i32 s19, 0xffe
	v_mov_b32_e32 v5, 0x7c00
	v_mov_b32_e32 v6, 0x7e00
	s_movk_i32 s20, 0x40f
	s_mov_b32 s21, 0x8000
	s_waitcnt vmcnt(0)
	v_and_or_b32 v2, v3, s18, v2
	v_cmp_ne_u32_e32 vcc, 0, v2
	v_lshrrev_b32_e32 v7, 8, v3
	v_bfe_u32 v8, v3, 20, 11
	v_cndmask_b32_e64 v2, 0, 1, vcc
	v_sub_u32_e32 v9, 0x3f1, v8
	v_and_or_b32 v2, v7, s19, v2
	v_add_u32_e32 v8, 0xfffffc10, v8
	v_med3_i32 v7, v9, 0, 13
	v_or_b32_e32 v9, 0x1000, v2
	v_cmp_ne_u32_e32 vcc, 0, v2
	v_lshl_or_b32 v10, v8, 12, v2
	v_lshrrev_b32_e32 v3, 16, v3
	v_cndmask_b32_e32 v2, v5, v6, vcc
	v_lshrrev_b32_e32 v6, v7, v9
	v_lshlrev_b32_e32 v7, v7, v6
	v_cmp_ne_u32_e32 vcc, v7, v9
	s_mov_b64 s[18:19], 0
	s_nop 0
	v_cndmask_b32_e64 v7, 0, 1, vcc
	v_or_b32_e32 v6, v6, v7
	v_cmp_gt_i32_e32 vcc, 1, v8
	s_nop 1
	v_cndmask_b32_e32 v6, v10, v6, vcc
	v_and_b32_e32 v7, 7, v6
	v_cmp_lt_i32_e32 vcc, 5, v7
	v_lshrrev_b32_e32 v6, 2, v6
	s_nop 0
	v_cndmask_b32_e64 v9, 0, 1, vcc
	v_cmp_eq_u32_e32 vcc, 3, v7
	s_nop 1
	v_cndmask_b32_e64 v7, 0, 1, vcc
	v_or_b32_e32 v7, v7, v9
	v_add_u32_e32 v6, v6, v7
	v_cmp_gt_i32_e32 vcc, 31, v8
	s_nop 1
	v_cndmask_b32_e32 v5, v5, v6, vcc
	v_cmp_eq_u32_e32 vcc, s20, v8
	s_nop 1
	v_cndmask_b32_e32 v2, v5, v2, vcc
	v_and_or_b32 v3, v3, s21, v2
	s_branch .LBB160_870
.LBB160_866:
                                        ; implicit-def: $vgpr3
	s_branch .LBB160_887
.LBB160_867:
                                        ; implicit-def: $vgpr3
	s_branch .LBB160_876
.LBB160_868:
	s_mov_b64 s[18:19], -1
                                        ; implicit-def: $vgpr3
	s_branch .LBB160_873
.LBB160_869:
	s_mov_b64 s[18:19], -1
                                        ; implicit-def: $vgpr3
.LBB160_870:
	s_andn2_b64 vcc, exec, s[18:19]
	s_cbranch_vccnz .LBB160_872
; %bb.871:
	global_load_dword v2, v[0:1], off
	s_waitcnt vmcnt(0)
	v_cvt_f16_f32_e32 v3, v2
.LBB160_872:
	s_mov_b64 s[18:19], 0
.LBB160_873:
	s_andn2_b64 vcc, exec, s[18:19]
	s_cbranch_vccnz .LBB160_875
; %bb.874:
	global_load_dword v3, v[0:1], off
.LBB160_875:
	s_cbranch_execnz .LBB160_886
.LBB160_876:
	s_sext_i32_i16 s18, s42
	s_cmp_lt_i32 s18, 6
	s_cbranch_scc1 .LBB160_879
; %bb.877:
	s_cmp_gt_i32 s18, 6
	s_cbranch_scc0 .LBB160_880
; %bb.878:
	global_load_dwordx2 v[2:3], v[0:1], off
	s_movk_i32 s18, 0x1ff
	s_movk_i32 s19, 0xffe
	v_mov_b32_e32 v5, 0x7c00
	v_mov_b32_e32 v6, 0x7e00
	s_movk_i32 s20, 0x40f
	s_mov_b32 s21, 0x8000
	s_waitcnt vmcnt(0)
	v_and_or_b32 v2, v3, s18, v2
	v_cmp_ne_u32_e32 vcc, 0, v2
	v_lshrrev_b32_e32 v7, 8, v3
	v_bfe_u32 v8, v3, 20, 11
	v_cndmask_b32_e64 v2, 0, 1, vcc
	v_sub_u32_e32 v9, 0x3f1, v8
	v_and_or_b32 v2, v7, s19, v2
	v_add_u32_e32 v8, 0xfffffc10, v8
	v_med3_i32 v7, v9, 0, 13
	v_or_b32_e32 v9, 0x1000, v2
	v_cmp_ne_u32_e32 vcc, 0, v2
	v_lshl_or_b32 v10, v8, 12, v2
	v_lshrrev_b32_e32 v3, 16, v3
	v_cndmask_b32_e32 v2, v5, v6, vcc
	v_lshrrev_b32_e32 v6, v7, v9
	v_lshlrev_b32_e32 v7, v7, v6
	v_cmp_ne_u32_e32 vcc, v7, v9
	s_mov_b64 s[18:19], 0
	s_nop 0
	v_cndmask_b32_e64 v7, 0, 1, vcc
	v_or_b32_e32 v6, v6, v7
	v_cmp_gt_i32_e32 vcc, 1, v8
	s_nop 1
	v_cndmask_b32_e32 v6, v10, v6, vcc
	v_and_b32_e32 v7, 7, v6
	v_cmp_lt_i32_e32 vcc, 5, v7
	v_lshrrev_b32_e32 v6, 2, v6
	s_nop 0
	v_cndmask_b32_e64 v9, 0, 1, vcc
	v_cmp_eq_u32_e32 vcc, 3, v7
	s_nop 1
	v_cndmask_b32_e64 v7, 0, 1, vcc
	v_or_b32_e32 v7, v7, v9
	v_add_u32_e32 v6, v6, v7
	v_cmp_gt_i32_e32 vcc, 31, v8
	s_nop 1
	v_cndmask_b32_e32 v5, v5, v6, vcc
	v_cmp_eq_u32_e32 vcc, s20, v8
	s_nop 1
	v_cndmask_b32_e32 v2, v5, v2, vcc
	v_and_or_b32 v3, v3, s21, v2
	s_branch .LBB160_881
.LBB160_879:
	s_mov_b64 s[18:19], -1
                                        ; implicit-def: $vgpr3
	s_branch .LBB160_884
.LBB160_880:
	s_mov_b64 s[18:19], -1
                                        ; implicit-def: $vgpr3
.LBB160_881:
	s_andn2_b64 vcc, exec, s[18:19]
	s_cbranch_vccnz .LBB160_883
; %bb.882:
	global_load_dword v2, v[0:1], off
	s_waitcnt vmcnt(0)
	v_cvt_f16_f32_e32 v3, v2
.LBB160_883:
	s_mov_b64 s[18:19], 0
.LBB160_884:
	s_andn2_b64 vcc, exec, s[18:19]
	s_cbranch_vccnz .LBB160_886
; %bb.885:
	global_load_ushort v3, v[0:1], off
.LBB160_886:
	s_cbranch_execnz .LBB160_905
.LBB160_887:
	s_sext_i32_i16 s18, s42
	s_cmp_lt_i32 s18, 2
	s_cbranch_scc1 .LBB160_891
; %bb.888:
	s_cmp_lt_i32 s18, 3
	s_cbranch_scc1 .LBB160_892
; %bb.889:
	s_cmp_gt_i32 s18, 3
	s_cbranch_scc0 .LBB160_893
; %bb.890:
	global_load_dwordx2 v[2:3], v[0:1], off
	s_mov_b64 s[18:19], 0
	s_waitcnt vmcnt(0)
	v_xor_b32_e32 v6, v2, v3
	v_ffbh_i32_e32 v5, v3
	v_ashrrev_i32_e32 v6, 31, v6
	v_add_u32_e32 v5, -1, v5
	v_add_u32_e32 v6, 32, v6
	v_min_u32_e32 v5, v5, v6
	v_lshlrev_b64 v[2:3], v5, v[2:3]
	v_min_u32_e32 v2, 1, v2
	v_or_b32_e32 v2, v3, v2
	v_cvt_f32_i32_e32 v2, v2
	v_sub_u32_e32 v3, 32, v5
	v_ldexp_f32 v2, v2, v3
	v_cvt_f16_f32_e32 v3, v2
	s_branch .LBB160_894
.LBB160_891:
                                        ; implicit-def: $vgpr3
	s_branch .LBB160_900
.LBB160_892:
	s_mov_b64 s[18:19], -1
                                        ; implicit-def: $vgpr3
	s_branch .LBB160_897
.LBB160_893:
	s_mov_b64 s[18:19], -1
                                        ; implicit-def: $vgpr3
.LBB160_894:
	s_andn2_b64 vcc, exec, s[18:19]
	s_cbranch_vccnz .LBB160_896
; %bb.895:
	global_load_dword v2, v[0:1], off
	s_waitcnt vmcnt(0)
	v_cvt_f32_i32_e32 v2, v2
	v_cvt_f16_f32_e32 v3, v2
.LBB160_896:
	s_mov_b64 s[18:19], 0
.LBB160_897:
	s_andn2_b64 vcc, exec, s[18:19]
	s_cbranch_vccnz .LBB160_899
; %bb.898:
	global_load_ushort v2, v[0:1], off
	s_waitcnt vmcnt(0)
	v_cvt_f16_i16_e32 v3, v2
.LBB160_899:
	s_cbranch_execnz .LBB160_905
.LBB160_900:
	s_sext_i32_i16 s18, s42
	s_cmp_gt_i32 s18, 0
	s_cbranch_scc0 .LBB160_902
; %bb.901:
	global_load_sbyte v2, v[0:1], off
	s_mov_b64 s[18:19], 0
	s_waitcnt vmcnt(0)
	v_cvt_f16_i16_e32 v3, v2
	s_branch .LBB160_903
.LBB160_902:
	s_mov_b64 s[18:19], -1
                                        ; implicit-def: $vgpr3
.LBB160_903:
	s_andn2_b64 vcc, exec, s[18:19]
	s_cbranch_vccnz .LBB160_905
; %bb.904:
	global_load_ubyte v0, v[0:1], off
	s_waitcnt vmcnt(0)
	v_cvt_f16_u16_e32 v3, v0
.LBB160_905:
	s_or_b64 s[0:1], s[0:1], exec
.LBB160_906:
	s_or_b64 exec, exec, s[14:15]
	s_mov_b64 s[20:21], 0
	s_mov_b64 s[18:19], 0
                                        ; implicit-def: $sgpr26
                                        ; implicit-def: $vgpr0_vgpr1
                                        ; implicit-def: $vgpr2
	s_and_saveexec_b64 s[14:15], s[0:1]
	s_cbranch_execz .LBB160_924
; %bb.907:
	s_waitcnt vmcnt(0)
	v_cvt_f32_f16_e32 v0, v3
	s_mov_b32 s0, 0xbf317218
	v_mov_b32_e32 v1, 0x3ab69700
	s_and_b32 s26, s33, 0xff
	v_mul_f32_e32 v2, 0x3fb8aa3b, v0
	v_rndne_f32_e32 v2, v2
	v_fma_mix_f32 v5, v2, s0, v3 op_sel_hi:[0,0,1]
	v_fmamk_f32 v5, v2, 0x3102e308, v5
	v_fmac_f32_e32 v1, 0x395133b1, v5
	v_fmaak_f32 v1, v5, v1, 0x3c0887f9
	v_cvt_i32_f32_e32 v6, v2
	v_fmaak_f32 v1, v5, v1, 0x3d2aaa81
	v_fmaak_f32 v1, v5, v1, 0x3e2aaaab
	v_fma_f32 v1, v5, v1, 0.5
	v_mul_f32_e32 v1, v5, v1
	s_mov_b32 s0, 0x43000000
	v_fmac_f32_e32 v5, v5, v1
	v_ldexp_f32 v1, 1.0, v6
	v_mov_b32_e32 v6, 0x7f000000
	v_cmp_eq_f32_e32 vcc, s0, v2
	s_mov_b32 s0, 0x42b17217
	s_cmp_lt_i32 s26, 11
	v_cndmask_b32_e32 v1, v1, v6, vcc
	v_add_f32_e32 v2, -1.0, v1
	v_fmac_f32_e32 v2, v1, v5
	v_add_f32_e32 v1, v2, v2
	v_cndmask_b32_e32 v1, v2, v1, vcc
	v_mov_b32_e32 v2, 0x7f800000
	v_cmp_nlt_f32_e32 vcc, s0, v0
	s_mov_b32 s0, 0xcc40
	s_nop 0
	v_cndmask_b32_e32 v0, v2, v1, vcc
	v_cvt_f16_f32_e32 v0, v0
	v_mov_b32_e32 v1, 0xbc00
	v_cmp_ngt_f16_e32 vcc, s0, v3
	s_nop 1
	v_cndmask_b32_e32 v2, v1, v0, vcc
	v_mul_lo_u32 v0, v4, s8
	v_ashrrev_i32_e32 v1, 31, v0
	v_lshl_add_u64 v[0:1], s[4:5], 0, v[0:1]
	s_cbranch_scc1 .LBB160_927
; %bb.908:
	s_and_b32 s27, 0xffff, s26
	s_mov_b64 s[20:21], -1
	s_cmp_gt_i32 s27, 25
	s_mov_b64 s[0:1], s[12:13]
	s_cbranch_scc0 .LBB160_945
; %bb.909:
	s_mov_b64 s[18:19], -1
	s_cmp_gt_i32 s27, 28
	s_mov_b64 s[0:1], s[12:13]
	s_cbranch_scc0 .LBB160_929
; %bb.910:
	s_cmp_gt_i32 s27, 43
	s_mov_b64 s[0:1], s[12:13]
	s_cbranch_scc0 .LBB160_921
; %bb.911:
	;; [unrolled: 4-line block ×3, first 2 shown]
	s_cmp_eq_u32 s27, 46
	s_mov_b64 s[0:1], -1
	s_cbranch_scc0 .LBB160_914
; %bb.913:
	v_cvt_f32_f16_e32 v3, v2
	s_movk_i32 s0, 0x7fff
	v_cmp_o_f16_e32 vcc, v2, v2
	v_mov_b32_e32 v4, 0x7fc0
	v_bfe_u32 v5, v3, 16, 1
	v_add3_u32 v3, v3, v5, s0
	v_cndmask_b32_sdwa v3, v4, v3, vcc dst_sel:DWORD dst_unused:UNUSED_PAD src0_sel:DWORD src1_sel:WORD_1
	global_store_dword v[0:1], v3, off
	s_mov_b64 s[0:1], 0
.LBB160_914:
	s_mov_b64 s[18:19], 0
.LBB160_915:
	s_and_b64 vcc, exec, s[18:19]
	s_cbranch_vccz .LBB160_920
; %bb.916:
	s_cmp_eq_u32 s27, 44
	s_mov_b64 s[0:1], -1
	s_cbranch_scc0 .LBB160_920
; %bb.917:
	v_cvt_f32_f16_e32 v3, v2
	s_movk_i32 s0, 0xff
	v_mov_b32_e32 v5, 0xff
	v_bfe_u32 v4, v3, 23, 8
	v_cmp_ne_u32_e32 vcc, s0, v4
	s_and_saveexec_b64 s[18:19], vcc
; %bb.918:
	s_mov_b32 s0, 0x3fffff
	v_lshrrev_b32_e32 v5, 23, v3
	v_and_b32_e32 v6, 0x400000, v3
	v_and_or_b32 v3, v3, s0, v4
	v_cmp_ne_u32_e32 vcc, 0, v6
	v_cmp_ne_u32_e64 s[0:1], 0, v3
	s_and_b64 s[0:1], vcc, s[0:1]
	s_nop 0
	v_cndmask_b32_e64 v3, 0, 1, s[0:1]
	v_add_u32_e32 v5, v5, v3
; %bb.919:
	s_or_b64 exec, exec, s[18:19]
	s_mov_b64 s[0:1], 0
	global_store_byte v[0:1], v5, off
.LBB160_920:
	s_mov_b64 s[18:19], 0
.LBB160_921:
	s_and_b64 vcc, exec, s[18:19]
	s_cbranch_vccz .LBB160_928
; %bb.922:
	s_cmp_eq_u32 s27, 29
	s_mov_b64 s[0:1], -1
	s_cbranch_scc0 .LBB160_928
; %bb.923:
	v_cvt_f32_f16_e32 v3, v2
	v_mov_b32_e32 v5, 0
	s_mov_b64 s[0:1], 0
	s_mov_b64 s[18:19], 0
	v_cvt_u32_f32_e32 v4, v3
	global_store_dwordx2 v[0:1], v[4:5], off
	s_branch .LBB160_929
.LBB160_924:
	s_or_b64 exec, exec, s[14:15]
	s_and_saveexec_b64 s[0:1], s[12:13]
	s_cbranch_execnz .LBB160_987
.LBB160_925:
	s_or_b64 exec, exec, s[0:1]
	s_and_saveexec_b64 s[0:1], s[20:21]
	s_xor_b64 s[0:1], exec, s[0:1]
	s_cbranch_execz .LBB160_988
.LBB160_926:
	s_waitcnt vmcnt(0)
	v_cmp_neq_f16_e32 vcc, 0, v2
	s_nop 1
	v_cndmask_b32_e64 v3, 0, 1, vcc
	global_store_byte v[0:1], v3, off
	s_or_b64 exec, exec, s[0:1]
	s_and_saveexec_b64 s[0:1], s[18:19]
	s_xor_b64 s[0:1], exec, s[0:1]
	s_cbranch_execz .LBB160_1026
	s_branch .LBB160_989
.LBB160_927:
	s_mov_b64 s[18:19], -1
	s_mov_b64 s[0:1], s[12:13]
	s_branch .LBB160_986
.LBB160_928:
	s_mov_b64 s[18:19], 0
.LBB160_929:
	s_and_b64 vcc, exec, s[18:19]
	s_cbranch_vccz .LBB160_944
; %bb.930:
	s_cmp_lt_i32 s27, 27
	s_mov_b64 s[18:19], -1
	s_cbranch_scc1 .LBB160_936
; %bb.931:
	s_cmp_gt_i32 s27, 27
	s_cbranch_scc0 .LBB160_933
; %bb.932:
	v_cvt_f32_f16_e32 v3, v2
	s_mov_b64 s[18:19], 0
	v_cvt_u32_f32_e32 v3, v3
	global_store_dword v[0:1], v3, off
.LBB160_933:
	s_andn2_b64 vcc, exec, s[18:19]
	s_cbranch_vccnz .LBB160_935
; %bb.934:
	v_cvt_u16_f16_e32 v3, v2
	global_store_short v[0:1], v3, off
.LBB160_935:
	s_mov_b64 s[18:19], 0
.LBB160_936:
	s_andn2_b64 vcc, exec, s[18:19]
	s_cbranch_vccnz .LBB160_944
; %bb.937:
	v_cvt_f32_f16_e32 v3, v2
	s_mov_b32 s18, 0x43800000
	v_mov_b32_e32 v5, 0x80
	v_and_b32_e32 v4, 0x7fffffff, v3
	v_cmp_gt_u32_e32 vcc, s18, v4
	s_and_saveexec_b64 s[18:19], vcc
	s_cbranch_execz .LBB160_943
; %bb.938:
	s_mov_b32 s20, 0x3bffffff
	v_cmp_lt_u32_e32 vcc, s20, v4
	s_mov_b64 s[20:21], 0
                                        ; implicit-def: $vgpr4
	s_and_saveexec_b64 s[22:23], vcc
	s_xor_b64 s[22:23], exec, s[22:23]
	s_cbranch_execz .LBB160_1041
; %bb.939:
	v_bfe_u32 v4, v3, 20, 1
	s_mov_b32 s24, 0x487ffff
	v_add3_u32 v4, v3, v4, s24
	s_mov_b64 s[20:21], exec
	v_lshrrev_b32_e32 v4, 20, v4
	s_andn2_saveexec_b64 s[22:23], s[22:23]
	s_cbranch_execnz .LBB160_1042
.LBB160_940:
	s_or_b64 exec, exec, s[22:23]
	v_mov_b32_e32 v5, 0
	s_and_saveexec_b64 s[22:23], s[20:21]
.LBB160_941:
	v_lshrrev_b32_e32 v3, 24, v3
	s_movk_i32 s20, 0x80
	v_and_or_b32 v5, v3, s20, v4
.LBB160_942:
	s_or_b64 exec, exec, s[22:23]
.LBB160_943:
	s_or_b64 exec, exec, s[18:19]
	global_store_byte v[0:1], v5, off
.LBB160_944:
	s_mov_b64 s[20:21], 0
.LBB160_945:
	s_mov_b64 s[18:19], 0
	s_and_b64 vcc, exec, s[20:21]
	s_cbranch_vccz .LBB160_985
; %bb.946:
	s_cmp_gt_i32 s27, 22
	s_mov_b64 s[20:21], -1
	s_cbranch_scc0 .LBB160_978
; %bb.947:
	s_cmp_lt_i32 s27, 24
	s_cbranch_scc1 .LBB160_967
; %bb.948:
	s_cmp_gt_i32 s27, 24
	s_cbranch_scc0 .LBB160_956
; %bb.949:
	v_cvt_f32_f16_e32 v3, v2
	s_mov_b32 s20, 0x47800000
	v_mov_b32_e32 v5, 0x80
	v_and_b32_e32 v4, 0x7fffffff, v3
	v_cmp_gt_u32_e32 vcc, s20, v4
	s_and_saveexec_b64 s[20:21], vcc
	s_cbranch_execz .LBB160_955
; %bb.950:
	s_mov_b32 s22, 0x37ffffff
	v_cmp_lt_u32_e32 vcc, s22, v4
	s_mov_b64 s[22:23], 0
                                        ; implicit-def: $vgpr4
	s_and_saveexec_b64 s[24:25], vcc
	s_xor_b64 s[24:25], exec, s[24:25]
	s_cbranch_execz .LBB160_1166
; %bb.951:
	v_bfe_u32 v4, v3, 21, 1
	s_mov_b32 s28, 0x88fffff
	v_add3_u32 v4, v3, v4, s28
	s_mov_b64 s[22:23], exec
	v_lshrrev_b32_e32 v4, 21, v4
	s_andn2_saveexec_b64 s[24:25], s[24:25]
	s_cbranch_execnz .LBB160_1167
.LBB160_952:
	s_or_b64 exec, exec, s[24:25]
	v_mov_b32_e32 v5, 0
	s_and_saveexec_b64 s[24:25], s[22:23]
.LBB160_953:
	v_lshrrev_b32_e32 v3, 24, v3
	s_movk_i32 s22, 0x80
	v_and_or_b32 v5, v3, s22, v4
.LBB160_954:
	s_or_b64 exec, exec, s[24:25]
.LBB160_955:
	s_or_b64 exec, exec, s[20:21]
	s_mov_b64 s[20:21], 0
	global_store_byte v[0:1], v5, off
.LBB160_956:
	s_and_b64 vcc, exec, s[20:21]
	s_cbranch_vccz .LBB160_966
; %bb.957:
	v_cvt_f32_f16_e32 v3, v2
	s_mov_b32 s20, 0x43f00000
                                        ; implicit-def: $vgpr4
	v_and_b32_e32 v5, 0x7fffffff, v3
	v_cmp_gt_u32_e32 vcc, s20, v5
	s_and_saveexec_b64 s[20:21], vcc
	s_xor_b64 s[20:21], exec, s[20:21]
	s_cbranch_execz .LBB160_963
; %bb.958:
	s_mov_b32 s22, 0x3c7fffff
	v_cmp_lt_u32_e32 vcc, s22, v5
                                        ; implicit-def: $vgpr4
	s_and_saveexec_b64 s[22:23], vcc
	s_xor_b64 s[22:23], exec, s[22:23]
; %bb.959:
	v_bfe_u32 v4, v3, 20, 1
	s_mov_b32 s24, 0x407ffff
	v_add3_u32 v4, v3, v4, s24
	v_lshrrev_b32_e32 v5, 20, v4
	v_and_b32_e32 v4, 0xff00000, v4
	s_mov_b32 s24, 0x7f00000
	v_mov_b32_e32 v6, 0x7e
	v_cmp_ne_u32_e32 vcc, s24, v4
	s_nop 1
	v_cndmask_b32_e32 v4, v6, v5, vcc
; %bb.960:
	s_andn2_saveexec_b64 s[22:23], s[22:23]
; %bb.961:
	s_mov_b32 s24, 0x46800000
	v_add_f32_e64 v4, |v3|, s24
; %bb.962:
	s_or_b64 exec, exec, s[22:23]
                                        ; implicit-def: $vgpr5
.LBB160_963:
	s_andn2_saveexec_b64 s[20:21], s[20:21]
; %bb.964:
	s_mov_b32 s22, 0x7f800000
	v_mov_b32_e32 v4, 0x7e
	v_mov_b32_e32 v6, 0x7f
	v_cmp_lt_u32_e32 vcc, s22, v5
	s_nop 1
	v_cndmask_b32_e32 v4, v4, v6, vcc
; %bb.965:
	s_or_b64 exec, exec, s[20:21]
	v_lshrrev_b32_e32 v3, 24, v3
	s_movk_i32 s20, 0x80
	v_and_or_b32 v3, v3, s20, v4
	global_store_byte v[0:1], v3, off
.LBB160_966:
	s_mov_b64 s[20:21], 0
.LBB160_967:
	s_andn2_b64 vcc, exec, s[20:21]
	s_cbranch_vccnz .LBB160_977
; %bb.968:
	v_cvt_f32_f16_e32 v3, v2
	s_mov_b32 s20, 0x47800000
                                        ; implicit-def: $vgpr4
	v_and_b32_e32 v5, 0x7fffffff, v3
	v_cmp_gt_u32_e32 vcc, s20, v5
	s_and_saveexec_b64 s[20:21], vcc
	s_xor_b64 s[20:21], exec, s[20:21]
	s_cbranch_execz .LBB160_974
; %bb.969:
	s_mov_b32 s22, 0x387fffff
	v_cmp_lt_u32_e32 vcc, s22, v5
                                        ; implicit-def: $vgpr4
	s_and_saveexec_b64 s[22:23], vcc
	s_xor_b64 s[22:23], exec, s[22:23]
; %bb.970:
	v_bfe_u32 v4, v3, 21, 1
	s_mov_b32 s24, 0x80fffff
	v_add3_u32 v4, v3, v4, s24
	v_lshrrev_b32_e32 v4, 21, v4
; %bb.971:
	s_andn2_saveexec_b64 s[22:23], s[22:23]
; %bb.972:
	s_mov_b32 s24, 0x43000000
	v_add_f32_e64 v4, |v3|, s24
; %bb.973:
	s_or_b64 exec, exec, s[22:23]
                                        ; implicit-def: $vgpr5
.LBB160_974:
	s_andn2_saveexec_b64 s[20:21], s[20:21]
; %bb.975:
	s_mov_b32 s22, 0x7f800000
	v_mov_b32_e32 v4, 0x7c
	v_mov_b32_e32 v6, 0x7f
	v_cmp_lt_u32_e32 vcc, s22, v5
	s_nop 1
	v_cndmask_b32_e32 v4, v4, v6, vcc
; %bb.976:
	s_or_b64 exec, exec, s[20:21]
	v_lshrrev_b32_e32 v3, 24, v3
	s_movk_i32 s20, 0x80
	v_and_or_b32 v3, v3, s20, v4
	global_store_byte v[0:1], v3, off
.LBB160_977:
	s_mov_b64 s[20:21], 0
.LBB160_978:
	s_andn2_b64 vcc, exec, s[20:21]
	s_mov_b64 s[20:21], 0
	s_cbranch_vccnz .LBB160_986
; %bb.979:
	s_cmp_gt_i32 s27, 14
	s_mov_b64 s[22:23], -1
	s_cbranch_scc0 .LBB160_983
; %bb.980:
	s_cmp_eq_u32 s27, 15
	s_mov_b64 s[0:1], -1
	s_cbranch_scc0 .LBB160_982
; %bb.981:
	v_cvt_f32_f16_e32 v3, v2
	s_movk_i32 s0, 0x7fff
	v_cmp_o_f16_e32 vcc, v2, v2
	v_mov_b32_e32 v4, 0x7fc0
	v_bfe_u32 v5, v3, 16, 1
	v_add3_u32 v3, v3, v5, s0
	v_cndmask_b32_sdwa v3, v4, v3, vcc dst_sel:DWORD dst_unused:UNUSED_PAD src0_sel:DWORD src1_sel:WORD_1
	global_store_short v[0:1], v3, off
	s_mov_b64 s[0:1], 0
.LBB160_982:
	s_mov_b64 s[22:23], 0
.LBB160_983:
	s_and_b64 vcc, exec, s[22:23]
	s_cbranch_vccz .LBB160_986
; %bb.984:
	s_cmp_lg_u32 s27, 11
	s_cselect_b64 s[22:23], -1, 0
	s_andn2_b64 s[0:1], s[0:1], exec
	s_and_b64 s[22:23], s[22:23], exec
	s_mov_b64 s[20:21], -1
	s_or_b64 s[0:1], s[0:1], s[22:23]
	s_branch .LBB160_986
.LBB160_985:
	s_mov_b64 s[20:21], 0
.LBB160_986:
	s_andn2_b64 s[12:13], s[12:13], exec
	s_and_b64 s[0:1], s[0:1], exec
	s_and_b64 s[18:19], s[18:19], exec
	;; [unrolled: 1-line block ×3, first 2 shown]
	s_or_b64 s[12:13], s[12:13], s[0:1]
	s_or_b64 exec, exec, s[14:15]
	s_and_saveexec_b64 s[0:1], s[12:13]
	s_cbranch_execz .LBB160_925
.LBB160_987:
	s_or_b64 s[16:17], s[16:17], exec
	s_andn2_b64 s[20:21], s[20:21], exec
	s_trap 2
	s_or_b64 exec, exec, s[0:1]
	s_and_saveexec_b64 s[0:1], s[20:21]
	s_xor_b64 s[0:1], exec, s[0:1]
	s_cbranch_execnz .LBB160_926
.LBB160_988:
	s_or_b64 exec, exec, s[0:1]
	s_and_saveexec_b64 s[0:1], s[18:19]
	s_xor_b64 s[0:1], exec, s[0:1]
	s_cbranch_execz .LBB160_1026
.LBB160_989:
	s_sext_i32_i16 s14, s26
	s_cmp_lt_i32 s14, 5
	s_mov_b64 s[12:13], -1
	s_cbranch_scc1 .LBB160_1010
; %bb.990:
	s_cmp_lt_i32 s14, 8
	s_cbranch_scc1 .LBB160_1000
; %bb.991:
	s_cmp_lt_i32 s14, 9
	s_cbranch_scc1 .LBB160_997
; %bb.992:
	s_cmp_gt_i32 s14, 9
	s_cbranch_scc0 .LBB160_994
; %bb.993:
	s_waitcnt vmcnt(0)
	v_cvt_f32_f16_e32 v3, v2
	v_mov_b32_e32 v6, 0
	v_mov_b32_e32 v7, v6
	s_mov_b64 s[12:13], 0
	v_cvt_f64_f32_e32 v[4:5], v3
	global_store_dwordx4 v[0:1], v[4:7], off
.LBB160_994:
	s_andn2_b64 vcc, exec, s[12:13]
	s_cbranch_vccnz .LBB160_996
; %bb.995:
	s_waitcnt vmcnt(0)
	v_cvt_f32_f16_e32 v4, v2
	v_mov_b32_e32 v5, 0
	global_store_dwordx2 v[0:1], v[4:5], off
.LBB160_996:
	s_mov_b64 s[12:13], 0
.LBB160_997:
	s_andn2_b64 vcc, exec, s[12:13]
	s_cbranch_vccnz .LBB160_999
; %bb.998:
	s_waitcnt vmcnt(0)
	v_and_b32_e32 v3, 0xffff, v2
	global_store_dword v[0:1], v3, off
.LBB160_999:
	s_mov_b64 s[12:13], 0
.LBB160_1000:
	s_andn2_b64 vcc, exec, s[12:13]
	s_cbranch_vccnz .LBB160_1009
; %bb.1001:
	s_sext_i32_i16 s14, s26
	s_cmp_lt_i32 s14, 6
	s_mov_b64 s[12:13], -1
	s_cbranch_scc1 .LBB160_1007
; %bb.1002:
	s_cmp_gt_i32 s14, 6
	s_cbranch_scc0 .LBB160_1004
; %bb.1003:
	s_waitcnt vmcnt(0)
	v_cvt_f32_f16_e32 v3, v2
	s_mov_b64 s[12:13], 0
	v_cvt_f64_f32_e32 v[4:5], v3
	global_store_dwordx2 v[0:1], v[4:5], off
.LBB160_1004:
	s_andn2_b64 vcc, exec, s[12:13]
	s_cbranch_vccnz .LBB160_1006
; %bb.1005:
	s_waitcnt vmcnt(0)
	v_cvt_f32_f16_e32 v3, v2
	global_store_dword v[0:1], v3, off
.LBB160_1006:
	s_mov_b64 s[12:13], 0
.LBB160_1007:
	s_andn2_b64 vcc, exec, s[12:13]
	s_cbranch_vccnz .LBB160_1009
; %bb.1008:
	s_waitcnt vmcnt(0)
	global_store_short v[0:1], v2, off
.LBB160_1009:
	s_mov_b64 s[12:13], 0
.LBB160_1010:
	s_andn2_b64 vcc, exec, s[12:13]
	s_cbranch_vccnz .LBB160_1026
; %bb.1011:
	s_sext_i32_i16 s14, s26
	s_cmp_lt_i32 s14, 2
	s_mov_b64 s[12:13], -1
	s_cbranch_scc1 .LBB160_1021
; %bb.1012:
	s_cmp_lt_i32 s14, 3
	s_cbranch_scc1 .LBB160_1018
; %bb.1013:
	s_cmp_gt_i32 s14, 3
	s_cbranch_scc0 .LBB160_1015
; %bb.1014:
	s_waitcnt vmcnt(0)
	v_cvt_f32_f16_e32 v3, v2
	s_mov_b64 s[12:13], 0
	v_cvt_i32_f32_e32 v4, v3
	v_ashrrev_i32_e32 v5, 31, v4
	global_store_dwordx2 v[0:1], v[4:5], off
.LBB160_1015:
	s_andn2_b64 vcc, exec, s[12:13]
	s_cbranch_vccnz .LBB160_1017
; %bb.1016:
	s_waitcnt vmcnt(0)
	v_cvt_f32_f16_e32 v3, v2
	v_cvt_i32_f32_e32 v3, v3
	global_store_dword v[0:1], v3, off
.LBB160_1017:
	s_mov_b64 s[12:13], 0
.LBB160_1018:
	s_andn2_b64 vcc, exec, s[12:13]
	s_cbranch_vccnz .LBB160_1020
; %bb.1019:
	s_waitcnt vmcnt(0)
	v_cvt_i16_f16_e32 v3, v2
	global_store_short v[0:1], v3, off
.LBB160_1020:
	s_mov_b64 s[12:13], 0
.LBB160_1021:
	s_andn2_b64 vcc, exec, s[12:13]
	s_cbranch_vccnz .LBB160_1026
; %bb.1022:
	s_sext_i32_i16 s12, s26
	s_cmp_gt_i32 s12, 0
	s_mov_b64 s[12:13], -1
	s_cbranch_scc0 .LBB160_1024
; %bb.1023:
	s_waitcnt vmcnt(0)
	v_cvt_i16_f16_e32 v3, v2
	s_mov_b64 s[12:13], 0
	global_store_byte v[0:1], v3, off
.LBB160_1024:
	s_andn2_b64 vcc, exec, s[12:13]
	s_cbranch_vccnz .LBB160_1026
; %bb.1025:
	s_waitcnt vmcnt(0)
	v_cvt_f32_f16_e32 v2, v2
	v_cvt_i32_f32_e32 v2, v2
	global_store_byte v[0:1], v2, off
.LBB160_1026:
	s_or_b64 exec, exec, s[0:1]
	s_and_b64 s[12:13], s[16:17], exec
                                        ; implicit-def: $vgpr4
.LBB160_1027:
	s_or_saveexec_b64 s[2:3], s[2:3]
	s_mov_b64 s[0:1], 0
                                        ; implicit-def: $sgpr20
                                        ; implicit-def: $vgpr0_vgpr1
                                        ; implicit-def: $vgpr2
	s_xor_b64 exec, exec, s[2:3]
	s_cbranch_execz .LBB160_1975
; %bb.1028:
	v_mul_lo_u32 v0, s9, v4
	v_ashrrev_i32_e32 v1, 31, v0
	s_and_b32 s22, 0xffff, s42
	s_cmp_lt_i32 s22, 11
	s_waitcnt vmcnt(0)
	v_lshl_add_u64 v[2:3], s[6:7], 0, v[0:1]
	s_cbranch_scc1 .LBB160_1035
; %bb.1029:
	s_cmp_gt_i32 s22, 25
	s_cbranch_scc0 .LBB160_1037
; %bb.1030:
	s_cmp_gt_i32 s22, 28
	s_cbranch_scc0 .LBB160_1038
	;; [unrolled: 3-line block ×4, first 2 shown]
; %bb.1033:
	s_cmp_eq_u32 s22, 46
	s_mov_b64 s[14:15], 0
	s_cbranch_scc0 .LBB160_1043
; %bb.1034:
	global_load_dword v1, v[2:3], off
	s_mov_b64 s[16:17], -1
	s_waitcnt vmcnt(0)
	v_lshlrev_b32_e32 v1, 16, v1
	v_cvt_f16_f32_e32 v5, v1
	s_branch .LBB160_1044
.LBB160_1035:
	s_mov_b64 s[16:17], 0
                                        ; implicit-def: $vgpr5
	s_mov_b64 s[14:15], s[12:13]
	s_cbranch_execnz .LBB160_1107
.LBB160_1036:
	s_andn2_b64 vcc, exec, s[16:17]
	s_cbranch_vccz .LBB160_1152
	s_branch .LBB160_1973
.LBB160_1037:
	s_mov_b64 s[16:17], 0
                                        ; implicit-def: $vgpr5
	s_cbranch_execnz .LBB160_1072
	s_branch .LBB160_1103
.LBB160_1038:
	s_mov_b64 s[14:15], -1
	s_mov_b64 s[16:17], 0
                                        ; implicit-def: $vgpr5
	s_branch .LBB160_1053
.LBB160_1039:
	s_mov_b64 s[16:17], 0
                                        ; implicit-def: $vgpr5
	s_cbranch_execnz .LBB160_1049
	s_branch .LBB160_1052
.LBB160_1040:
	s_mov_b64 s[14:15], -1
	s_mov_b64 s[16:17], 0
                                        ; implicit-def: $vgpr5
	s_branch .LBB160_1044
.LBB160_1041:
	s_andn2_saveexec_b64 s[22:23], s[22:23]
	s_cbranch_execz .LBB160_940
.LBB160_1042:
	s_mov_b32 s24, 0x46000000
	v_add_f32_e64 v4, |v3|, s24
	v_and_b32_e32 v4, 0xff, v4
	v_cmp_ne_u32_e32 vcc, 0, v4
	s_andn2_b64 s[20:21], s[20:21], exec
	s_and_b64 s[24:25], vcc, exec
	s_or_b64 s[20:21], s[20:21], s[24:25]
	s_or_b64 exec, exec, s[22:23]
	v_mov_b32_e32 v5, 0
	s_and_saveexec_b64 s[22:23], s[20:21]
	s_cbranch_execnz .LBB160_941
	s_branch .LBB160_942
.LBB160_1043:
	s_mov_b64 s[0:1], -1
                                        ; implicit-def: $vgpr5
	s_mov_b64 s[16:17], 0
.LBB160_1044:
	s_and_b64 vcc, exec, s[14:15]
	s_cbranch_vccz .LBB160_1047
; %bb.1045:
	s_cmp_eq_u32 s22, 44
	s_cbranch_scc0 .LBB160_1048
; %bb.1046:
	global_load_ubyte v1, v[2:3], off
	s_movk_i32 s14, 0xff
	v_mov_b32_e32 v6, 0x7e00
	s_mov_b64 s[0:1], 0
	s_mov_b64 s[16:17], -1
	s_waitcnt vmcnt(0)
	v_lshlrev_b32_e32 v5, 23, v1
	v_cvt_f16_f32_e32 v5, v5
	v_cmp_ne_u32_e32 vcc, s14, v1
	s_nop 1
	v_cndmask_b32_e32 v5, v6, v5, vcc
	v_cmp_ne_u32_e32 vcc, 0, v1
	s_nop 1
	v_cndmask_b32_e32 v5, 0, v5, vcc
.LBB160_1047:
	s_branch .LBB160_1052
.LBB160_1048:
	s_mov_b64 s[0:1], -1
                                        ; implicit-def: $vgpr5
	s_branch .LBB160_1052
.LBB160_1049:
	s_cmp_eq_u32 s22, 29
	s_cbranch_scc0 .LBB160_1051
; %bb.1050:
	global_load_dwordx2 v[6:7], v[2:3], off
	s_mov_b64 s[0:1], 0
	s_mov_b64 s[16:17], -1
	s_mov_b64 s[14:15], 0
	s_waitcnt vmcnt(0)
	v_ffbh_u32_e32 v1, v7
	v_min_u32_e32 v1, 32, v1
	v_lshlrev_b64 v[6:7], v1, v[6:7]
	v_min_u32_e32 v5, 1, v6
	v_or_b32_e32 v5, v7, v5
	v_cvt_f32_u32_e32 v5, v5
	v_sub_u32_e32 v1, 32, v1
	v_ldexp_f32 v1, v5, v1
	v_cvt_f16_f32_e32 v5, v1
	s_branch .LBB160_1053
.LBB160_1051:
	s_mov_b64 s[0:1], -1
                                        ; implicit-def: $vgpr5
.LBB160_1052:
	s_mov_b64 s[14:15], 0
.LBB160_1053:
	s_and_b64 vcc, exec, s[14:15]
	s_cbranch_vccz .LBB160_1071
; %bb.1054:
	s_cmp_lt_i32 s22, 27
	s_cbranch_scc1 .LBB160_1057
; %bb.1055:
	s_cmp_gt_i32 s22, 27
	s_cbranch_scc0 .LBB160_1058
; %bb.1056:
	global_load_dword v1, v[2:3], off
	s_mov_b64 s[14:15], 0
	s_waitcnt vmcnt(0)
	v_cvt_f32_u32_e32 v1, v1
	v_cvt_f16_f32_e32 v5, v1
	s_branch .LBB160_1059
.LBB160_1057:
	s_mov_b64 s[14:15], -1
                                        ; implicit-def: $vgpr5
	s_branch .LBB160_1062
.LBB160_1058:
	s_mov_b64 s[14:15], -1
                                        ; implicit-def: $vgpr5
.LBB160_1059:
	s_andn2_b64 vcc, exec, s[14:15]
	s_cbranch_vccnz .LBB160_1061
; %bb.1060:
	global_load_ushort v1, v[2:3], off
	s_waitcnt vmcnt(0)
	v_cvt_f16_u16_e32 v5, v1
.LBB160_1061:
	s_mov_b64 s[14:15], 0
.LBB160_1062:
	s_andn2_b64 vcc, exec, s[14:15]
	s_cbranch_vccnz .LBB160_1070
; %bb.1063:
	global_load_ubyte v1, v[2:3], off
	s_movk_i32 s14, 0x7f
	s_waitcnt vmcnt(0)
	v_cmp_lt_i16_e32 vcc, s14, v1
	s_mov_b64 s[14:15], 0
	s_and_saveexec_b64 s[16:17], vcc
	s_xor_b64 s[16:17], exec, s[16:17]
	s_cbranch_execz .LBB160_1083
; %bb.1064:
	s_movk_i32 s14, 0x80
	v_cmp_eq_u16_e32 vcc, s14, v1
	s_mov_b64 s[14:15], -1
	s_and_saveexec_b64 s[18:19], vcc
; %bb.1065:
	s_xor_b64 s[14:15], exec, -1
; %bb.1066:
	s_or_b64 exec, exec, s[18:19]
	s_and_b64 s[14:15], s[14:15], exec
	s_or_saveexec_b64 s[16:17], s[16:17]
	v_mov_b32_e32 v5, 0x7e00
	s_xor_b64 exec, exec, s[16:17]
	s_cbranch_execnz .LBB160_1084
.LBB160_1067:
	s_or_b64 exec, exec, s[16:17]
	s_and_saveexec_b64 s[16:17], s[14:15]
	s_cbranch_execz .LBB160_1069
.LBB160_1068:
	v_lshlrev_b32_e32 v5, 24, v1
	v_and_b32_e32 v1, 0xffff, v1
	v_and_b32_e32 v6, 7, v1
	v_ffbh_u32_e32 v8, v6
	v_min_u32_e32 v8, 32, v8
	v_subrev_u32_e32 v9, 28, v8
	v_bfe_u32 v7, v1, 3, 4
	v_lshlrev_b32_e32 v1, v9, v1
	v_sub_u32_e32 v8, 29, v8
	v_and_b32_e32 v1, 7, v1
	v_cmp_eq_u32_e32 vcc, 0, v7
	v_and_b32_e32 v5, 0x80000000, v5
	s_nop 0
	v_cndmask_b32_e32 v7, v7, v8, vcc
	v_cndmask_b32_e32 v1, v6, v1, vcc
	v_mov_b32_e32 v6, 0x3b800000
	v_lshlrev_b32_e32 v1, 20, v1
	v_lshl_add_u32 v6, v7, 23, v6
	v_or3_b32 v1, v5, v6, v1
	v_cvt_f16_f32_e32 v5, v1
.LBB160_1069:
	s_or_b64 exec, exec, s[16:17]
.LBB160_1070:
	s_mov_b64 s[16:17], -1
.LBB160_1071:
	s_branch .LBB160_1103
.LBB160_1072:
	s_cmp_gt_i32 s22, 22
	s_cbranch_scc0 .LBB160_1082
; %bb.1073:
	s_cmp_lt_i32 s22, 24
	s_cbranch_scc1 .LBB160_1085
; %bb.1074:
	s_cmp_gt_i32 s22, 24
	s_cbranch_scc0 .LBB160_1086
; %bb.1075:
	global_load_ubyte v1, v[2:3], off
	s_movk_i32 s10, 0x7f
	s_waitcnt vmcnt(0)
	v_cmp_lt_i16_e32 vcc, s10, v1
	s_mov_b64 s[10:11], 0
	s_and_saveexec_b64 s[14:15], vcc
	s_xor_b64 s[14:15], exec, s[14:15]
	s_cbranch_execz .LBB160_1097
; %bb.1076:
	s_movk_i32 s10, 0x80
	v_cmp_eq_u16_e32 vcc, s10, v1
	s_mov_b64 s[10:11], -1
	s_and_saveexec_b64 s[16:17], vcc
; %bb.1077:
	s_xor_b64 s[10:11], exec, -1
; %bb.1078:
	s_or_b64 exec, exec, s[16:17]
	s_and_b64 s[10:11], s[10:11], exec
	s_or_saveexec_b64 s[14:15], s[14:15]
	v_mov_b32_e32 v5, 0x7e00
	s_xor_b64 exec, exec, s[14:15]
	s_cbranch_execnz .LBB160_1098
.LBB160_1079:
	s_or_b64 exec, exec, s[14:15]
	s_and_saveexec_b64 s[14:15], s[10:11]
	s_cbranch_execz .LBB160_1081
.LBB160_1080:
	v_lshlrev_b32_e32 v5, 24, v1
	v_and_b32_e32 v1, 0xffff, v1
	v_and_b32_e32 v6, 3, v1
	v_ffbh_u32_e32 v8, v6
	v_min_u32_e32 v8, 32, v8
	v_subrev_u32_e32 v9, 29, v8
	v_bfe_u32 v7, v1, 2, 5
	v_lshlrev_b32_e32 v1, v9, v1
	v_sub_u32_e32 v8, 30, v8
	v_and_b32_e32 v1, 3, v1
	v_cmp_eq_u32_e32 vcc, 0, v7
	v_and_b32_e32 v5, 0x80000000, v5
	s_nop 0
	v_cndmask_b32_e32 v7, v7, v8, vcc
	v_cndmask_b32_e32 v1, v6, v1, vcc
	v_mov_b32_e32 v6, 0x37800000
	v_lshlrev_b32_e32 v1, 21, v1
	v_lshl_add_u32 v6, v7, 23, v6
	v_or3_b32 v1, v5, v6, v1
	v_cvt_f16_f32_e32 v5, v1
.LBB160_1081:
	s_or_b64 exec, exec, s[14:15]
	s_mov_b64 s[10:11], 0
	s_branch .LBB160_1087
.LBB160_1082:
                                        ; implicit-def: $vgpr5
	s_mov_b64 s[10:11], 0
	s_branch .LBB160_1093
.LBB160_1083:
	s_or_saveexec_b64 s[16:17], s[16:17]
	v_mov_b32_e32 v5, 0x7e00
	s_xor_b64 exec, exec, s[16:17]
	s_cbranch_execz .LBB160_1067
.LBB160_1084:
	v_cmp_ne_u16_e32 vcc, 0, v1
	s_andn2_b64 s[14:15], s[14:15], exec
	s_and_b64 s[18:19], vcc, exec
	s_or_b64 s[14:15], s[14:15], s[18:19]
	v_mov_b32_e32 v5, v1
	s_or_b64 exec, exec, s[16:17]
	s_and_saveexec_b64 s[16:17], s[14:15]
	s_cbranch_execnz .LBB160_1068
	s_branch .LBB160_1069
.LBB160_1085:
	s_mov_b64 s[10:11], -1
                                        ; implicit-def: $vgpr5
	s_branch .LBB160_1090
.LBB160_1086:
	s_mov_b64 s[10:11], -1
                                        ; implicit-def: $vgpr5
.LBB160_1087:
	s_and_b64 vcc, exec, s[10:11]
	s_cbranch_vccz .LBB160_1089
; %bb.1088:
	global_load_ubyte v1, v[2:3], off
	s_mov_b32 s10, 0x7f800000
	s_waitcnt vmcnt(0)
	v_lshlrev_b32_e32 v1, 24, v1
	v_and_b32_e32 v5, 0x7f000000, v1
	v_ffbh_u32_e32 v6, v5
	v_min_u32_e32 v6, 32, v6
	v_sub_u32_e64 v6, v6, 4 clamp
	v_lshlrev_b32_e32 v8, v6, v5
	v_lshlrev_b32_e32 v6, 23, v6
	v_lshrrev_b32_e32 v8, 4, v8
	v_add_u32_e32 v7, 0x1000000, v5
	v_sub_u32_e32 v6, v8, v6
	v_ashrrev_i32_e32 v7, 8, v7
	v_add_u32_e32 v6, 0x3c000000, v6
	v_and_or_b32 v6, v7, s10, v6
	v_cmp_ne_u32_e32 vcc, 0, v5
	s_brev_b32 s10, 1
	s_nop 0
	v_cndmask_b32_e32 v5, 0, v6, vcc
	v_and_or_b32 v1, v1, s10, v5
	v_cvt_f16_f32_e32 v5, v1
.LBB160_1089:
	s_mov_b64 s[10:11], 0
.LBB160_1090:
	s_andn2_b64 vcc, exec, s[10:11]
	s_cbranch_vccnz .LBB160_1092
; %bb.1091:
	global_load_ubyte v1, v[2:3], off
	s_movk_i32 s10, 0x7f00
	s_brev_b32 s11, 16
	s_waitcnt vmcnt(0)
	v_lshlrev_b16_e32 v5, 8, v1
	v_lshlrev_b32_e32 v1, 25, v1
	v_lshrrev_b32_e32 v6, 4, v1
	v_and_or_b32 v7, v5, s10, 0.5
	v_or_b32_e32 v6, 0x70000000, v6
	v_add_f32_e32 v7, -0.5, v7
	v_mul_f32_e32 v6, 0x7800000, v6
	v_cmp_gt_u32_e32 vcc, s11, v1
	v_bfe_i32 v5, v5, 0, 16
	s_brev_b32 s10, 1
	v_cndmask_b32_e32 v1, v6, v7, vcc
	v_and_or_b32 v1, v5, s10, v1
	v_cvt_f16_f32_e32 v5, v1
.LBB160_1092:
	s_mov_b64 s[16:17], -1
	s_mov_b64 s[10:11], 0
	s_cbranch_execnz .LBB160_1103
.LBB160_1093:
	s_cmp_gt_i32 s22, 14
	s_cbranch_scc0 .LBB160_1096
; %bb.1094:
	s_cmp_eq_u32 s22, 15
	s_cbranch_scc0 .LBB160_1099
; %bb.1095:
	global_load_ushort v1, v[2:3], off
	s_mov_b64 s[0:1], 0
	s_mov_b64 s[16:17], -1
	s_waitcnt vmcnt(0)
	v_lshlrev_b32_e32 v1, 16, v1
	v_cvt_f16_f32_e32 v5, v1
	s_branch .LBB160_1100
.LBB160_1096:
	s_mov_b64 s[14:15], -1
                                        ; implicit-def: $vgpr5
	s_branch .LBB160_1101
.LBB160_1097:
	s_or_saveexec_b64 s[14:15], s[14:15]
	v_mov_b32_e32 v5, 0x7e00
	s_xor_b64 exec, exec, s[14:15]
	s_cbranch_execz .LBB160_1079
.LBB160_1098:
	v_cmp_ne_u16_e32 vcc, 0, v1
	s_andn2_b64 s[10:11], s[10:11], exec
	s_and_b64 s[16:17], vcc, exec
	s_or_b64 s[10:11], s[10:11], s[16:17]
	v_mov_b32_e32 v5, v1
	s_or_b64 exec, exec, s[14:15]
	s_and_saveexec_b64 s[14:15], s[10:11]
	s_cbranch_execnz .LBB160_1080
	s_branch .LBB160_1081
.LBB160_1099:
	s_mov_b64 s[0:1], -1
                                        ; implicit-def: $vgpr5
.LBB160_1100:
	s_mov_b64 s[14:15], 0
.LBB160_1101:
	s_and_b64 vcc, exec, s[14:15]
	s_cbranch_vccz .LBB160_1103
; %bb.1102:
	s_cmp_lg_u32 s22, 11
	s_mov_b64 s[10:11], -1
	s_cselect_b64 s[0:1], -1, 0
.LBB160_1103:
	s_and_b64 vcc, exec, s[0:1]
	s_mov_b64 s[14:15], s[12:13]
	s_cbranch_vccnz .LBB160_1164
; %bb.1104:
	s_andn2_b64 vcc, exec, s[10:11]
	s_cbranch_vccnz .LBB160_1106
.LBB160_1105:
	global_load_ubyte v1, v[2:3], off
	v_mov_b32_e32 v5, 0x3c00
	s_mov_b64 s[16:17], -1
	s_waitcnt vmcnt(0)
	v_cmp_ne_u16_e32 vcc, 0, v1
	s_nop 1
	v_cndmask_b32_e32 v5, 0, v5, vcc
.LBB160_1106:
	s_branch .LBB160_1036
.LBB160_1107:
	s_cmp_lt_i32 s22, 5
	s_cbranch_scc1 .LBB160_1112
; %bb.1108:
	s_cmp_lt_i32 s22, 8
	s_cbranch_scc1 .LBB160_1113
; %bb.1109:
	;; [unrolled: 3-line block ×3, first 2 shown]
	s_cmp_gt_i32 s22, 9
	s_cbranch_scc0 .LBB160_1115
; %bb.1111:
	global_load_dwordx2 v[6:7], v[2:3], off
	s_movk_i32 s0, 0x1ff
	s_movk_i32 s1, 0xffe
	v_mov_b32_e32 v1, 0x7c00
	v_mov_b32_e32 v5, 0x7e00
	s_movk_i32 s10, 0x40f
	s_mov_b32 s11, 0x8000
	s_waitcnt vmcnt(0)
	v_and_or_b32 v6, v7, s0, v6
	v_cmp_ne_u32_e32 vcc, 0, v6
	v_lshrrev_b32_e32 v8, 8, v7
	v_bfe_u32 v9, v7, 20, 11
	v_cndmask_b32_e64 v6, 0, 1, vcc
	v_sub_u32_e32 v10, 0x3f1, v9
	v_and_or_b32 v6, v8, s1, v6
	v_add_u32_e32 v9, 0xfffffc10, v9
	v_med3_i32 v8, v10, 0, 13
	v_or_b32_e32 v10, 0x1000, v6
	v_lshl_or_b32 v11, v9, 12, v6
	v_cmp_ne_u32_e32 vcc, 0, v6
	v_lshrrev_b32_e32 v6, v8, v10
	v_lshlrev_b32_e32 v8, v8, v6
	v_cndmask_b32_e32 v5, v1, v5, vcc
	v_cmp_ne_u32_e32 vcc, v8, v10
	v_lshrrev_b32_e32 v7, 16, v7
	s_mov_b64 s[0:1], 0
	v_cndmask_b32_e64 v8, 0, 1, vcc
	v_or_b32_e32 v6, v6, v8
	v_cmp_gt_i32_e32 vcc, 1, v9
	s_nop 1
	v_cndmask_b32_e32 v6, v11, v6, vcc
	v_and_b32_e32 v8, 7, v6
	v_cmp_lt_i32_e32 vcc, 5, v8
	v_lshrrev_b32_e32 v6, 2, v6
	s_nop 0
	v_cndmask_b32_e64 v10, 0, 1, vcc
	v_cmp_eq_u32_e32 vcc, 3, v8
	s_nop 1
	v_cndmask_b32_e64 v8, 0, 1, vcc
	v_or_b32_e32 v8, v8, v10
	v_add_u32_e32 v6, v6, v8
	v_cmp_gt_i32_e32 vcc, 31, v9
	s_nop 1
	v_cndmask_b32_e32 v1, v1, v6, vcc
	v_cmp_eq_u32_e32 vcc, s10, v9
	s_nop 1
	v_cndmask_b32_e32 v1, v1, v5, vcc
	v_and_or_b32 v5, v7, s11, v1
	s_branch .LBB160_1116
.LBB160_1112:
                                        ; implicit-def: $vgpr5
	s_branch .LBB160_1133
.LBB160_1113:
                                        ; implicit-def: $vgpr5
	s_branch .LBB160_1122
.LBB160_1114:
	s_mov_b64 s[0:1], -1
                                        ; implicit-def: $vgpr5
	s_branch .LBB160_1119
.LBB160_1115:
	s_mov_b64 s[0:1], -1
                                        ; implicit-def: $vgpr5
.LBB160_1116:
	s_andn2_b64 vcc, exec, s[0:1]
	s_cbranch_vccnz .LBB160_1118
; %bb.1117:
	global_load_dword v1, v[2:3], off
	s_waitcnt vmcnt(0)
	v_cvt_f16_f32_e32 v5, v1
.LBB160_1118:
	s_mov_b64 s[0:1], 0
.LBB160_1119:
	s_andn2_b64 vcc, exec, s[0:1]
	s_cbranch_vccnz .LBB160_1121
; %bb.1120:
	global_load_dword v5, v[2:3], off
.LBB160_1121:
	s_cbranch_execnz .LBB160_1132
.LBB160_1122:
	s_cmp_lt_i32 s22, 6
	s_cbranch_scc1 .LBB160_1125
; %bb.1123:
	s_cmp_gt_i32 s22, 6
	s_cbranch_scc0 .LBB160_1126
; %bb.1124:
	global_load_dwordx2 v[6:7], v[2:3], off
	s_movk_i32 s0, 0x1ff
	s_movk_i32 s1, 0xffe
	v_mov_b32_e32 v1, 0x7c00
	s_waitcnt vmcnt(1)
	v_mov_b32_e32 v5, 0x7e00
	s_movk_i32 s10, 0x40f
	s_mov_b32 s11, 0x8000
	s_waitcnt vmcnt(0)
	v_and_or_b32 v6, v7, s0, v6
	v_cmp_ne_u32_e32 vcc, 0, v6
	v_lshrrev_b32_e32 v8, 8, v7
	v_bfe_u32 v9, v7, 20, 11
	v_cndmask_b32_e64 v6, 0, 1, vcc
	v_sub_u32_e32 v10, 0x3f1, v9
	v_and_or_b32 v6, v8, s1, v6
	v_add_u32_e32 v9, 0xfffffc10, v9
	v_med3_i32 v8, v10, 0, 13
	v_or_b32_e32 v10, 0x1000, v6
	v_lshl_or_b32 v11, v9, 12, v6
	v_cmp_ne_u32_e32 vcc, 0, v6
	v_lshrrev_b32_e32 v6, v8, v10
	v_lshlrev_b32_e32 v8, v8, v6
	v_cndmask_b32_e32 v5, v1, v5, vcc
	v_cmp_ne_u32_e32 vcc, v8, v10
	v_lshrrev_b32_e32 v7, 16, v7
	s_mov_b64 s[0:1], 0
	v_cndmask_b32_e64 v8, 0, 1, vcc
	v_or_b32_e32 v6, v6, v8
	v_cmp_gt_i32_e32 vcc, 1, v9
	s_nop 1
	v_cndmask_b32_e32 v6, v11, v6, vcc
	v_and_b32_e32 v8, 7, v6
	v_cmp_lt_i32_e32 vcc, 5, v8
	v_lshrrev_b32_e32 v6, 2, v6
	s_nop 0
	v_cndmask_b32_e64 v10, 0, 1, vcc
	v_cmp_eq_u32_e32 vcc, 3, v8
	s_nop 1
	v_cndmask_b32_e64 v8, 0, 1, vcc
	v_or_b32_e32 v8, v8, v10
	v_add_u32_e32 v6, v6, v8
	v_cmp_gt_i32_e32 vcc, 31, v9
	s_nop 1
	v_cndmask_b32_e32 v1, v1, v6, vcc
	v_cmp_eq_u32_e32 vcc, s10, v9
	s_nop 1
	v_cndmask_b32_e32 v1, v1, v5, vcc
	v_and_or_b32 v5, v7, s11, v1
	s_branch .LBB160_1127
.LBB160_1125:
	s_mov_b64 s[0:1], -1
                                        ; implicit-def: $vgpr5
	s_branch .LBB160_1130
.LBB160_1126:
	s_mov_b64 s[0:1], -1
                                        ; implicit-def: $vgpr5
.LBB160_1127:
	s_andn2_b64 vcc, exec, s[0:1]
	s_cbranch_vccnz .LBB160_1129
; %bb.1128:
	global_load_dword v1, v[2:3], off
	s_waitcnt vmcnt(0)
	v_cvt_f16_f32_e32 v5, v1
.LBB160_1129:
	s_mov_b64 s[0:1], 0
.LBB160_1130:
	s_andn2_b64 vcc, exec, s[0:1]
	s_cbranch_vccnz .LBB160_1132
; %bb.1131:
	global_load_ushort v5, v[2:3], off
.LBB160_1132:
	s_cbranch_execnz .LBB160_1151
.LBB160_1133:
	s_cmp_lt_i32 s22, 2
	s_cbranch_scc1 .LBB160_1137
; %bb.1134:
	s_cmp_lt_i32 s22, 3
	s_cbranch_scc1 .LBB160_1138
; %bb.1135:
	s_cmp_gt_i32 s22, 3
	s_cbranch_scc0 .LBB160_1139
; %bb.1136:
	global_load_dwordx2 v[6:7], v[2:3], off
	s_mov_b64 s[0:1], 0
	s_waitcnt vmcnt(0)
	v_xor_b32_e32 v5, v6, v7
	v_ffbh_i32_e32 v1, v7
	v_ashrrev_i32_e32 v5, 31, v5
	v_add_u32_e32 v1, -1, v1
	v_add_u32_e32 v5, 32, v5
	v_min_u32_e32 v1, v1, v5
	v_lshlrev_b64 v[6:7], v1, v[6:7]
	v_min_u32_e32 v5, 1, v6
	v_or_b32_e32 v5, v7, v5
	v_cvt_f32_i32_e32 v5, v5
	v_sub_u32_e32 v1, 32, v1
	v_ldexp_f32 v1, v5, v1
	v_cvt_f16_f32_e32 v5, v1
	s_branch .LBB160_1140
.LBB160_1137:
                                        ; implicit-def: $vgpr5
	s_branch .LBB160_1146
.LBB160_1138:
	s_mov_b64 s[0:1], -1
                                        ; implicit-def: $vgpr5
	s_branch .LBB160_1143
.LBB160_1139:
	s_mov_b64 s[0:1], -1
                                        ; implicit-def: $vgpr5
.LBB160_1140:
	s_andn2_b64 vcc, exec, s[0:1]
	s_cbranch_vccnz .LBB160_1142
; %bb.1141:
	global_load_dword v1, v[2:3], off
	s_waitcnt vmcnt(0)
	v_cvt_f32_i32_e32 v1, v1
	v_cvt_f16_f32_e32 v5, v1
.LBB160_1142:
	s_mov_b64 s[0:1], 0
.LBB160_1143:
	s_andn2_b64 vcc, exec, s[0:1]
	s_cbranch_vccnz .LBB160_1145
; %bb.1144:
	global_load_ushort v1, v[2:3], off
	s_waitcnt vmcnt(0)
	v_cvt_f16_i16_e32 v5, v1
.LBB160_1145:
	s_cbranch_execnz .LBB160_1151
.LBB160_1146:
	s_cmp_gt_i32 s22, 0
	s_cbranch_scc0 .LBB160_1148
; %bb.1147:
	global_load_sbyte v1, v[2:3], off
	s_mov_b64 s[0:1], 0
	s_waitcnt vmcnt(0)
	v_cvt_f16_i16_e32 v5, v1
	s_branch .LBB160_1149
.LBB160_1148:
	s_mov_b64 s[0:1], -1
                                        ; implicit-def: $vgpr5
.LBB160_1149:
	s_andn2_b64 vcc, exec, s[0:1]
	s_cbranch_vccnz .LBB160_1151
; %bb.1150:
	global_load_ubyte v1, v[2:3], off
	s_waitcnt vmcnt(0)
	v_cvt_f16_u16_e32 v5, v1
.LBB160_1151:
.LBB160_1152:
	s_lshl_b32 s9, s9, 7
	v_add_u32_e32 v0, s9, v0
	v_ashrrev_i32_e32 v1, 31, v0
	s_cmp_lt_i32 s22, 11
	v_lshl_add_u64 v[2:3], s[6:7], 0, v[0:1]
	s_cbranch_scc1 .LBB160_1159
; %bb.1153:
	s_cmp_gt_i32 s22, 25
	s_mov_b64 s[10:11], 0
	s_cbranch_scc0 .LBB160_1161
; %bb.1154:
	s_cmp_gt_i32 s22, 28
	s_cbranch_scc0 .LBB160_1162
; %bb.1155:
	s_cmp_gt_i32 s22, 43
	;; [unrolled: 3-line block ×3, first 2 shown]
	s_cbranch_scc0 .LBB160_1165
; %bb.1157:
	s_cmp_eq_u32 s22, 46
	s_mov_b64 s[18:19], 0
	s_cbranch_scc0 .LBB160_1168
; %bb.1158:
	global_load_dword v1, v[2:3], off
	s_mov_b64 s[0:1], 0
	s_mov_b64 s[16:17], -1
	s_waitcnt vmcnt(0)
	v_lshlrev_b32_e32 v1, 16, v1
	v_cvt_f16_f32_e32 v6, v1
	s_branch .LBB160_1169
.LBB160_1159:
	s_mov_b64 s[16:17], 0
                                        ; implicit-def: $vgpr6
	s_cbranch_execnz .LBB160_1234
.LBB160_1160:
	s_andn2_b64 vcc, exec, s[16:17]
	s_cbranch_vccnz .LBB160_1973
	s_branch .LBB160_1281
.LBB160_1161:
	s_mov_b64 s[16:17], 0
	s_mov_b64 s[0:1], 0
                                        ; implicit-def: $vgpr6
	s_cbranch_execnz .LBB160_1198
	s_branch .LBB160_1230
.LBB160_1162:
	s_mov_b64 s[18:19], -1
	s_mov_b64 s[16:17], 0
	s_mov_b64 s[0:1], 0
                                        ; implicit-def: $vgpr6
	s_branch .LBB160_1179
.LBB160_1163:
	s_mov_b64 s[18:19], -1
	s_mov_b64 s[16:17], 0
	s_mov_b64 s[0:1], 0
                                        ; implicit-def: $vgpr6
	s_branch .LBB160_1174
.LBB160_1164:
	s_or_b64 s[14:15], s[12:13], exec
	s_trap 2
	s_cbranch_execz .LBB160_1105
	s_branch .LBB160_1106
.LBB160_1165:
	s_mov_b64 s[18:19], -1
	s_mov_b64 s[16:17], 0
	s_mov_b64 s[0:1], 0
                                        ; implicit-def: $vgpr6
	s_branch .LBB160_1169
.LBB160_1166:
	s_andn2_saveexec_b64 s[24:25], s[24:25]
	s_cbranch_execz .LBB160_952
.LBB160_1167:
	s_mov_b32 s28, 0x42800000
	v_add_f32_e64 v4, |v3|, s28
	v_and_b32_e32 v4, 0xff, v4
	v_cmp_ne_u32_e32 vcc, 0, v4
	s_andn2_b64 s[22:23], s[22:23], exec
	s_and_b64 s[28:29], vcc, exec
	s_or_b64 s[22:23], s[22:23], s[28:29]
	s_or_b64 exec, exec, s[24:25]
	v_mov_b32_e32 v5, 0
	s_and_saveexec_b64 s[24:25], s[22:23]
	s_cbranch_execnz .LBB160_953
	s_branch .LBB160_954
.LBB160_1168:
	s_mov_b64 s[0:1], -1
                                        ; implicit-def: $vgpr6
	s_mov_b64 s[16:17], 0
.LBB160_1169:
	s_and_b64 vcc, exec, s[18:19]
	s_cbranch_vccz .LBB160_1173
; %bb.1170:
	s_cmp_eq_u32 s22, 44
	s_cbranch_scc0 .LBB160_1172
; %bb.1171:
	global_load_ubyte v1, v[2:3], off
	s_movk_i32 s16, 0xff
	v_mov_b32_e32 v7, 0x7e00
	s_mov_b64 s[0:1], 0
	s_waitcnt vmcnt(0)
	v_lshlrev_b32_e32 v6, 23, v1
	v_cvt_f16_f32_e32 v6, v6
	v_cmp_ne_u32_e32 vcc, s16, v1
	s_mov_b64 s[16:17], -1
	s_nop 0
	v_cndmask_b32_e32 v6, v7, v6, vcc
	v_cmp_ne_u32_e32 vcc, 0, v1
	s_nop 1
	v_cndmask_b32_e32 v6, 0, v6, vcc
	s_branch .LBB160_1173
.LBB160_1172:
	s_mov_b64 s[0:1], -1
                                        ; implicit-def: $vgpr6
.LBB160_1173:
	s_mov_b64 s[18:19], 0
.LBB160_1174:
	s_and_b64 vcc, exec, s[18:19]
	s_cbranch_vccz .LBB160_1178
; %bb.1175:
	s_cmp_eq_u32 s22, 29
	s_cbranch_scc0 .LBB160_1177
; %bb.1176:
	global_load_dwordx2 v[6:7], v[2:3], off
	s_mov_b64 s[0:1], 0
	s_mov_b64 s[16:17], -1
	s_mov_b64 s[18:19], 0
	s_waitcnt vmcnt(0)
	v_ffbh_u32_e32 v1, v7
	v_min_u32_e32 v1, 32, v1
	v_lshlrev_b64 v[6:7], v1, v[6:7]
	v_min_u32_e32 v6, 1, v6
	v_or_b32_e32 v6, v7, v6
	v_cvt_f32_u32_e32 v6, v6
	v_sub_u32_e32 v1, 32, v1
	v_ldexp_f32 v1, v6, v1
	v_cvt_f16_f32_e32 v6, v1
	s_branch .LBB160_1179
.LBB160_1177:
	s_mov_b64 s[0:1], -1
                                        ; implicit-def: $vgpr6
.LBB160_1178:
	s_mov_b64 s[18:19], 0
.LBB160_1179:
	s_and_b64 vcc, exec, s[18:19]
	s_cbranch_vccz .LBB160_1197
; %bb.1180:
	s_cmp_lt_i32 s22, 27
	s_cbranch_scc1 .LBB160_1183
; %bb.1181:
	s_cmp_gt_i32 s22, 27
	s_cbranch_scc0 .LBB160_1184
; %bb.1182:
	global_load_dword v1, v[2:3], off
	s_mov_b64 s[16:17], 0
	s_waitcnt vmcnt(0)
	v_cvt_f32_u32_e32 v1, v1
	v_cvt_f16_f32_e32 v6, v1
	s_branch .LBB160_1185
.LBB160_1183:
	s_mov_b64 s[16:17], -1
                                        ; implicit-def: $vgpr6
	s_branch .LBB160_1188
.LBB160_1184:
	s_mov_b64 s[16:17], -1
                                        ; implicit-def: $vgpr6
.LBB160_1185:
	s_andn2_b64 vcc, exec, s[16:17]
	s_cbranch_vccnz .LBB160_1187
; %bb.1186:
	global_load_ushort v1, v[2:3], off
	s_waitcnt vmcnt(0)
	v_cvt_f16_u16_e32 v6, v1
.LBB160_1187:
	s_mov_b64 s[16:17], 0
.LBB160_1188:
	s_andn2_b64 vcc, exec, s[16:17]
	s_cbranch_vccnz .LBB160_1196
; %bb.1189:
	global_load_ubyte v1, v[2:3], off
	s_movk_i32 s16, 0x7f
	s_waitcnt vmcnt(0)
	v_cmp_lt_i16_e32 vcc, s16, v1
	s_mov_b64 s[16:17], 0
	s_and_saveexec_b64 s[18:19], vcc
	s_xor_b64 s[18:19], exec, s[18:19]
	s_cbranch_execz .LBB160_1209
; %bb.1190:
	s_movk_i32 s16, 0x80
	v_cmp_eq_u16_e32 vcc, s16, v1
	s_mov_b64 s[16:17], -1
	s_and_saveexec_b64 s[20:21], vcc
; %bb.1191:
	s_xor_b64 s[16:17], exec, -1
; %bb.1192:
	s_or_b64 exec, exec, s[20:21]
	s_and_b64 s[16:17], s[16:17], exec
	s_or_saveexec_b64 s[18:19], s[18:19]
	v_mov_b32_e32 v6, 0x7e00
	s_xor_b64 exec, exec, s[18:19]
	s_cbranch_execnz .LBB160_1210
.LBB160_1193:
	s_or_b64 exec, exec, s[18:19]
	s_and_saveexec_b64 s[18:19], s[16:17]
	s_cbranch_execz .LBB160_1195
.LBB160_1194:
	v_lshlrev_b32_e32 v6, 24, v1
	v_and_b32_e32 v1, 0xffff, v1
	v_and_b32_e32 v7, 7, v1
	v_ffbh_u32_e32 v9, v7
	v_min_u32_e32 v9, 32, v9
	v_subrev_u32_e32 v10, 28, v9
	v_bfe_u32 v8, v1, 3, 4
	v_lshlrev_b32_e32 v1, v10, v1
	v_sub_u32_e32 v9, 29, v9
	v_and_b32_e32 v1, 7, v1
	v_cmp_eq_u32_e32 vcc, 0, v8
	v_and_b32_e32 v6, 0x80000000, v6
	s_nop 0
	v_cndmask_b32_e32 v8, v8, v9, vcc
	v_cndmask_b32_e32 v1, v7, v1, vcc
	v_mov_b32_e32 v7, 0x3b800000
	v_lshlrev_b32_e32 v1, 20, v1
	v_lshl_add_u32 v7, v8, 23, v7
	v_or3_b32 v1, v6, v7, v1
	v_cvt_f16_f32_e32 v6, v1
.LBB160_1195:
	s_or_b64 exec, exec, s[18:19]
.LBB160_1196:
	s_mov_b64 s[16:17], -1
.LBB160_1197:
	s_branch .LBB160_1230
.LBB160_1198:
	s_cmp_gt_i32 s22, 22
	s_cbranch_scc0 .LBB160_1208
; %bb.1199:
	s_cmp_lt_i32 s22, 24
	s_cbranch_scc1 .LBB160_1211
; %bb.1200:
	s_cmp_gt_i32 s22, 24
	s_cbranch_scc0 .LBB160_1212
; %bb.1201:
	global_load_ubyte v1, v[2:3], off
	s_movk_i32 s10, 0x7f
	s_waitcnt vmcnt(0)
	v_cmp_lt_i16_e32 vcc, s10, v1
	s_mov_b64 s[10:11], 0
	s_and_saveexec_b64 s[16:17], vcc
	s_xor_b64 s[16:17], exec, s[16:17]
	s_cbranch_execz .LBB160_1224
; %bb.1202:
	s_movk_i32 s10, 0x80
	v_cmp_eq_u16_e32 vcc, s10, v1
	s_mov_b64 s[10:11], -1
	s_and_saveexec_b64 s[18:19], vcc
; %bb.1203:
	s_xor_b64 s[10:11], exec, -1
; %bb.1204:
	s_or_b64 exec, exec, s[18:19]
	s_and_b64 s[10:11], s[10:11], exec
	s_or_saveexec_b64 s[16:17], s[16:17]
	v_mov_b32_e32 v6, 0x7e00
	s_xor_b64 exec, exec, s[16:17]
	s_cbranch_execnz .LBB160_1225
.LBB160_1205:
	s_or_b64 exec, exec, s[16:17]
	s_and_saveexec_b64 s[16:17], s[10:11]
	s_cbranch_execz .LBB160_1207
.LBB160_1206:
	v_lshlrev_b32_e32 v6, 24, v1
	v_and_b32_e32 v1, 0xffff, v1
	v_and_b32_e32 v7, 3, v1
	v_ffbh_u32_e32 v9, v7
	v_min_u32_e32 v9, 32, v9
	v_subrev_u32_e32 v10, 29, v9
	v_bfe_u32 v8, v1, 2, 5
	v_lshlrev_b32_e32 v1, v10, v1
	v_sub_u32_e32 v9, 30, v9
	v_and_b32_e32 v1, 3, v1
	v_cmp_eq_u32_e32 vcc, 0, v8
	v_and_b32_e32 v6, 0x80000000, v6
	s_nop 0
	v_cndmask_b32_e32 v8, v8, v9, vcc
	v_cndmask_b32_e32 v1, v7, v1, vcc
	v_mov_b32_e32 v7, 0x37800000
	v_lshlrev_b32_e32 v1, 21, v1
	v_lshl_add_u32 v7, v8, 23, v7
	v_or3_b32 v1, v6, v7, v1
	v_cvt_f16_f32_e32 v6, v1
.LBB160_1207:
	s_or_b64 exec, exec, s[16:17]
	s_mov_b64 s[10:11], 0
	s_branch .LBB160_1213
.LBB160_1208:
	s_mov_b64 s[10:11], -1
                                        ; implicit-def: $vgpr6
	s_branch .LBB160_1219
.LBB160_1209:
	s_or_saveexec_b64 s[18:19], s[18:19]
	v_mov_b32_e32 v6, 0x7e00
	s_xor_b64 exec, exec, s[18:19]
	s_cbranch_execz .LBB160_1193
.LBB160_1210:
	v_cmp_ne_u16_e32 vcc, 0, v1
	s_andn2_b64 s[16:17], s[16:17], exec
	s_and_b64 s[20:21], vcc, exec
	s_or_b64 s[16:17], s[16:17], s[20:21]
	v_mov_b32_e32 v6, v1
	s_or_b64 exec, exec, s[18:19]
	s_and_saveexec_b64 s[18:19], s[16:17]
	s_cbranch_execnz .LBB160_1194
	s_branch .LBB160_1195
.LBB160_1211:
	s_mov_b64 s[10:11], -1
                                        ; implicit-def: $vgpr6
	s_branch .LBB160_1216
.LBB160_1212:
	s_mov_b64 s[10:11], -1
                                        ; implicit-def: $vgpr6
.LBB160_1213:
	s_and_b64 vcc, exec, s[10:11]
	s_cbranch_vccz .LBB160_1215
; %bb.1214:
	global_load_ubyte v1, v[2:3], off
	s_mov_b32 s10, 0x7f800000
	s_waitcnt vmcnt(0)
	v_lshlrev_b32_e32 v1, 24, v1
	v_and_b32_e32 v6, 0x7f000000, v1
	v_ffbh_u32_e32 v7, v6
	v_min_u32_e32 v7, 32, v7
	v_sub_u32_e64 v7, v7, 4 clamp
	v_lshlrev_b32_e32 v9, v7, v6
	v_lshlrev_b32_e32 v7, 23, v7
	v_lshrrev_b32_e32 v9, 4, v9
	v_add_u32_e32 v8, 0x1000000, v6
	v_sub_u32_e32 v7, v9, v7
	v_ashrrev_i32_e32 v8, 8, v8
	v_add_u32_e32 v7, 0x3c000000, v7
	v_and_or_b32 v7, v8, s10, v7
	v_cmp_ne_u32_e32 vcc, 0, v6
	s_brev_b32 s10, 1
	s_nop 0
	v_cndmask_b32_e32 v6, 0, v7, vcc
	v_and_or_b32 v1, v1, s10, v6
	v_cvt_f16_f32_e32 v6, v1
.LBB160_1215:
	s_mov_b64 s[10:11], 0
.LBB160_1216:
	s_andn2_b64 vcc, exec, s[10:11]
	s_cbranch_vccnz .LBB160_1218
; %bb.1217:
	global_load_ubyte v1, v[2:3], off
	s_movk_i32 s10, 0x7f00
	s_brev_b32 s11, 16
	s_waitcnt vmcnt(0)
	v_lshlrev_b16_e32 v6, 8, v1
	v_lshlrev_b32_e32 v1, 25, v1
	v_lshrrev_b32_e32 v7, 4, v1
	v_and_or_b32 v8, v6, s10, 0.5
	v_or_b32_e32 v7, 0x70000000, v7
	v_add_f32_e32 v8, -0.5, v8
	v_mul_f32_e32 v7, 0x7800000, v7
	v_cmp_gt_u32_e32 vcc, s11, v1
	v_bfe_i32 v6, v6, 0, 16
	s_brev_b32 s10, 1
	v_cndmask_b32_e32 v1, v7, v8, vcc
	v_and_or_b32 v1, v6, s10, v1
	v_cvt_f16_f32_e32 v6, v1
.LBB160_1218:
	s_mov_b64 s[10:11], 0
	s_mov_b64 s[16:17], -1
.LBB160_1219:
	s_andn2_b64 vcc, exec, s[10:11]
	s_mov_b64 s[10:11], 0
	s_cbranch_vccnz .LBB160_1230
; %bb.1220:
	s_cmp_gt_i32 s22, 14
	s_cbranch_scc0 .LBB160_1223
; %bb.1221:
	s_cmp_eq_u32 s22, 15
	s_cbranch_scc0 .LBB160_1226
; %bb.1222:
	global_load_ushort v1, v[2:3], off
	s_mov_b64 s[0:1], 0
	s_mov_b64 s[16:17], -1
	s_waitcnt vmcnt(0)
	v_lshlrev_b32_e32 v1, 16, v1
	v_cvt_f16_f32_e32 v6, v1
	s_branch .LBB160_1227
.LBB160_1223:
	s_mov_b64 s[18:19], -1
                                        ; implicit-def: $vgpr6
	s_branch .LBB160_1228
.LBB160_1224:
	s_or_saveexec_b64 s[16:17], s[16:17]
	v_mov_b32_e32 v6, 0x7e00
	s_xor_b64 exec, exec, s[16:17]
	s_cbranch_execz .LBB160_1205
.LBB160_1225:
	v_cmp_ne_u16_e32 vcc, 0, v1
	s_andn2_b64 s[10:11], s[10:11], exec
	s_and_b64 s[18:19], vcc, exec
	s_or_b64 s[10:11], s[10:11], s[18:19]
	v_mov_b32_e32 v6, v1
	s_or_b64 exec, exec, s[16:17]
	s_and_saveexec_b64 s[16:17], s[10:11]
	s_cbranch_execnz .LBB160_1206
	s_branch .LBB160_1207
.LBB160_1226:
	s_mov_b64 s[0:1], -1
                                        ; implicit-def: $vgpr6
.LBB160_1227:
	s_mov_b64 s[18:19], 0
.LBB160_1228:
	s_and_b64 vcc, exec, s[18:19]
	s_cbranch_vccz .LBB160_1230
; %bb.1229:
	s_cmp_lg_u32 s22, 11
	s_mov_b64 s[10:11], -1
	s_cselect_b64 s[0:1], -1, 0
.LBB160_1230:
	s_and_b64 vcc, exec, s[0:1]
	s_cbranch_vccnz .LBB160_1293
; %bb.1231:
	s_andn2_b64 vcc, exec, s[10:11]
	s_cbranch_vccnz .LBB160_1233
.LBB160_1232:
	global_load_ubyte v1, v[2:3], off
	v_mov_b32_e32 v6, 0x3c00
	s_mov_b64 s[16:17], -1
	s_waitcnt vmcnt(0)
	v_cmp_ne_u16_e32 vcc, 0, v1
	s_nop 1
	v_cndmask_b32_e32 v6, 0, v6, vcc
.LBB160_1233:
	s_branch .LBB160_1160
.LBB160_1234:
	s_cmp_lt_i32 s22, 5
	s_cbranch_scc1 .LBB160_1239
; %bb.1235:
	s_cmp_lt_i32 s22, 8
	s_cbranch_scc1 .LBB160_1240
; %bb.1236:
	;; [unrolled: 3-line block ×3, first 2 shown]
	s_cmp_gt_i32 s22, 9
	s_cbranch_scc0 .LBB160_1242
; %bb.1238:
	global_load_dwordx2 v[6:7], v[2:3], off
	s_movk_i32 s0, 0x1ff
	s_movk_i32 s1, 0xffe
	v_mov_b32_e32 v1, 0x7c00
	v_mov_b32_e32 v8, 0x7e00
	s_movk_i32 s10, 0x40f
	s_mov_b32 s11, 0x8000
	s_waitcnt vmcnt(0)
	v_and_or_b32 v6, v7, s0, v6
	v_cmp_ne_u32_e32 vcc, 0, v6
	v_lshrrev_b32_e32 v9, 8, v7
	v_bfe_u32 v10, v7, 20, 11
	v_cndmask_b32_e64 v6, 0, 1, vcc
	v_sub_u32_e32 v11, 0x3f1, v10
	v_and_or_b32 v6, v9, s1, v6
	v_add_u32_e32 v10, 0xfffffc10, v10
	v_med3_i32 v9, v11, 0, 13
	v_or_b32_e32 v11, 0x1000, v6
	v_cmp_ne_u32_e32 vcc, 0, v6
	v_lshl_or_b32 v12, v10, 12, v6
	v_lshrrev_b32_e32 v7, 16, v7
	v_cndmask_b32_e32 v6, v1, v8, vcc
	v_lshrrev_b32_e32 v8, v9, v11
	v_lshlrev_b32_e32 v9, v9, v8
	v_cmp_ne_u32_e32 vcc, v9, v11
	s_mov_b64 s[0:1], 0
	s_nop 0
	v_cndmask_b32_e64 v9, 0, 1, vcc
	v_or_b32_e32 v8, v8, v9
	v_cmp_gt_i32_e32 vcc, 1, v10
	s_nop 1
	v_cndmask_b32_e32 v8, v12, v8, vcc
	v_and_b32_e32 v9, 7, v8
	v_cmp_lt_i32_e32 vcc, 5, v9
	v_lshrrev_b32_e32 v8, 2, v8
	s_nop 0
	v_cndmask_b32_e64 v11, 0, 1, vcc
	v_cmp_eq_u32_e32 vcc, 3, v9
	s_nop 1
	v_cndmask_b32_e64 v9, 0, 1, vcc
	v_or_b32_e32 v9, v9, v11
	v_add_u32_e32 v8, v8, v9
	v_cmp_gt_i32_e32 vcc, 31, v10
	s_nop 1
	v_cndmask_b32_e32 v1, v1, v8, vcc
	v_cmp_eq_u32_e32 vcc, s10, v10
	s_nop 1
	v_cndmask_b32_e32 v1, v1, v6, vcc
	v_and_or_b32 v6, v7, s11, v1
	s_branch .LBB160_1243
.LBB160_1239:
                                        ; implicit-def: $vgpr6
	s_branch .LBB160_1261
.LBB160_1240:
	s_mov_b64 s[0:1], -1
                                        ; implicit-def: $vgpr6
	s_branch .LBB160_1249
.LBB160_1241:
	s_mov_b64 s[0:1], -1
                                        ; implicit-def: $vgpr6
	s_branch .LBB160_1246
.LBB160_1242:
	s_mov_b64 s[0:1], -1
                                        ; implicit-def: $vgpr6
.LBB160_1243:
	s_andn2_b64 vcc, exec, s[0:1]
	s_cbranch_vccnz .LBB160_1245
; %bb.1244:
	global_load_dword v1, v[2:3], off
	s_waitcnt vmcnt(0)
	v_cvt_f16_f32_e32 v6, v1
.LBB160_1245:
	s_mov_b64 s[0:1], 0
.LBB160_1246:
	s_andn2_b64 vcc, exec, s[0:1]
	s_cbranch_vccnz .LBB160_1248
; %bb.1247:
	global_load_dword v6, v[2:3], off
.LBB160_1248:
	s_mov_b64 s[0:1], 0
.LBB160_1249:
	s_andn2_b64 vcc, exec, s[0:1]
	s_cbranch_vccnz .LBB160_1260
; %bb.1250:
	s_cmp_lt_i32 s22, 6
	s_cbranch_scc1 .LBB160_1253
; %bb.1251:
	s_cmp_gt_i32 s22, 6
	s_cbranch_scc0 .LBB160_1254
; %bb.1252:
	global_load_dwordx2 v[6:7], v[2:3], off
	s_movk_i32 s0, 0x1ff
	s_movk_i32 s1, 0xffe
	v_mov_b32_e32 v1, 0x7c00
	v_mov_b32_e32 v8, 0x7e00
	s_movk_i32 s10, 0x40f
	s_mov_b32 s11, 0x8000
	s_waitcnt vmcnt(0)
	v_and_or_b32 v6, v7, s0, v6
	v_cmp_ne_u32_e32 vcc, 0, v6
	v_lshrrev_b32_e32 v9, 8, v7
	v_bfe_u32 v10, v7, 20, 11
	v_cndmask_b32_e64 v6, 0, 1, vcc
	v_sub_u32_e32 v11, 0x3f1, v10
	v_and_or_b32 v6, v9, s1, v6
	v_add_u32_e32 v10, 0xfffffc10, v10
	v_med3_i32 v9, v11, 0, 13
	v_or_b32_e32 v11, 0x1000, v6
	v_cmp_ne_u32_e32 vcc, 0, v6
	v_lshl_or_b32 v12, v10, 12, v6
	v_lshrrev_b32_e32 v7, 16, v7
	v_cndmask_b32_e32 v6, v1, v8, vcc
	v_lshrrev_b32_e32 v8, v9, v11
	v_lshlrev_b32_e32 v9, v9, v8
	v_cmp_ne_u32_e32 vcc, v9, v11
	s_mov_b64 s[0:1], 0
	s_nop 0
	v_cndmask_b32_e64 v9, 0, 1, vcc
	v_or_b32_e32 v8, v8, v9
	v_cmp_gt_i32_e32 vcc, 1, v10
	s_nop 1
	v_cndmask_b32_e32 v8, v12, v8, vcc
	v_and_b32_e32 v9, 7, v8
	v_cmp_lt_i32_e32 vcc, 5, v9
	v_lshrrev_b32_e32 v8, 2, v8
	s_nop 0
	v_cndmask_b32_e64 v11, 0, 1, vcc
	v_cmp_eq_u32_e32 vcc, 3, v9
	s_nop 1
	v_cndmask_b32_e64 v9, 0, 1, vcc
	v_or_b32_e32 v9, v9, v11
	v_add_u32_e32 v8, v8, v9
	v_cmp_gt_i32_e32 vcc, 31, v10
	s_nop 1
	v_cndmask_b32_e32 v1, v1, v8, vcc
	v_cmp_eq_u32_e32 vcc, s10, v10
	s_nop 1
	v_cndmask_b32_e32 v1, v1, v6, vcc
	v_and_or_b32 v6, v7, s11, v1
	s_branch .LBB160_1255
.LBB160_1253:
	s_mov_b64 s[0:1], -1
                                        ; implicit-def: $vgpr6
	s_branch .LBB160_1258
.LBB160_1254:
	s_mov_b64 s[0:1], -1
                                        ; implicit-def: $vgpr6
.LBB160_1255:
	s_andn2_b64 vcc, exec, s[0:1]
	s_cbranch_vccnz .LBB160_1257
; %bb.1256:
	global_load_dword v1, v[2:3], off
	s_waitcnt vmcnt(0)
	v_cvt_f16_f32_e32 v6, v1
.LBB160_1257:
	s_mov_b64 s[0:1], 0
.LBB160_1258:
	s_andn2_b64 vcc, exec, s[0:1]
	s_cbranch_vccnz .LBB160_1260
; %bb.1259:
	global_load_ushort v6, v[2:3], off
.LBB160_1260:
	s_cbranch_execnz .LBB160_1280
.LBB160_1261:
	s_cmp_lt_i32 s22, 2
	s_cbranch_scc1 .LBB160_1265
; %bb.1262:
	s_cmp_lt_i32 s22, 3
	s_cbranch_scc1 .LBB160_1266
; %bb.1263:
	s_cmp_gt_i32 s22, 3
	s_cbranch_scc0 .LBB160_1267
; %bb.1264:
	global_load_dwordx2 v[6:7], v[2:3], off
	s_mov_b64 s[0:1], 0
	s_waitcnt vmcnt(0)
	v_xor_b32_e32 v8, v6, v7
	v_ffbh_i32_e32 v1, v7
	v_ashrrev_i32_e32 v8, 31, v8
	v_add_u32_e32 v1, -1, v1
	v_add_u32_e32 v8, 32, v8
	v_min_u32_e32 v1, v1, v8
	v_lshlrev_b64 v[6:7], v1, v[6:7]
	v_min_u32_e32 v6, 1, v6
	v_or_b32_e32 v6, v7, v6
	v_cvt_f32_i32_e32 v6, v6
	v_sub_u32_e32 v1, 32, v1
	v_ldexp_f32 v1, v6, v1
	v_cvt_f16_f32_e32 v6, v1
	s_branch .LBB160_1268
.LBB160_1265:
	s_mov_b64 s[0:1], -1
                                        ; implicit-def: $vgpr6
	s_branch .LBB160_1274
.LBB160_1266:
	s_mov_b64 s[0:1], -1
                                        ; implicit-def: $vgpr6
	s_branch .LBB160_1271
.LBB160_1267:
	s_mov_b64 s[0:1], -1
                                        ; implicit-def: $vgpr6
.LBB160_1268:
	s_andn2_b64 vcc, exec, s[0:1]
	s_cbranch_vccnz .LBB160_1270
; %bb.1269:
	global_load_dword v1, v[2:3], off
	s_waitcnt vmcnt(0)
	v_cvt_f32_i32_e32 v1, v1
	v_cvt_f16_f32_e32 v6, v1
.LBB160_1270:
	s_mov_b64 s[0:1], 0
.LBB160_1271:
	s_andn2_b64 vcc, exec, s[0:1]
	s_cbranch_vccnz .LBB160_1273
; %bb.1272:
	global_load_ushort v1, v[2:3], off
	s_waitcnt vmcnt(0)
	v_cvt_f16_i16_e32 v6, v1
.LBB160_1273:
	s_mov_b64 s[0:1], 0
.LBB160_1274:
	s_andn2_b64 vcc, exec, s[0:1]
	s_cbranch_vccnz .LBB160_1280
; %bb.1275:
	s_cmp_gt_i32 s22, 0
	s_cbranch_scc0 .LBB160_1277
; %bb.1276:
	global_load_sbyte v1, v[2:3], off
	s_mov_b64 s[0:1], 0
	s_waitcnt vmcnt(0)
	v_cvt_f16_i16_e32 v6, v1
	s_branch .LBB160_1278
.LBB160_1277:
	s_mov_b64 s[0:1], -1
                                        ; implicit-def: $vgpr6
.LBB160_1278:
	s_andn2_b64 vcc, exec, s[0:1]
	s_cbranch_vccnz .LBB160_1280
; %bb.1279:
	global_load_ubyte v1, v[2:3], off
	s_waitcnt vmcnt(0)
	v_cvt_f16_u16_e32 v6, v1
.LBB160_1280:
.LBB160_1281:
	v_add_u32_e32 v0, s9, v0
	v_ashrrev_i32_e32 v1, 31, v0
	s_cmp_lt_i32 s22, 11
	v_lshl_add_u64 v[2:3], s[6:7], 0, v[0:1]
	s_cbranch_scc1 .LBB160_1288
; %bb.1282:
	s_cmp_gt_i32 s22, 25
	s_mov_b64 s[10:11], 0
	s_cbranch_scc0 .LBB160_1290
; %bb.1283:
	s_cmp_gt_i32 s22, 28
	s_cbranch_scc0 .LBB160_1291
; %bb.1284:
	s_cmp_gt_i32 s22, 43
	;; [unrolled: 3-line block ×3, first 2 shown]
	s_cbranch_scc0 .LBB160_1294
; %bb.1286:
	s_cmp_eq_u32 s22, 46
	s_mov_b64 s[18:19], 0
	s_cbranch_scc0 .LBB160_1295
; %bb.1287:
	global_load_dword v1, v[2:3], off
	s_mov_b64 s[0:1], 0
	s_mov_b64 s[16:17], -1
	s_waitcnt vmcnt(0)
	v_lshlrev_b32_e32 v1, 16, v1
	v_cvt_f16_f32_e32 v7, v1
	s_branch .LBB160_1296
.LBB160_1288:
	s_mov_b64 s[16:17], 0
                                        ; implicit-def: $vgpr7
	s_cbranch_execnz .LBB160_1362
.LBB160_1289:
	s_andn2_b64 vcc, exec, s[16:17]
	s_cbranch_vccnz .LBB160_1973
	s_branch .LBB160_1410
.LBB160_1290:
	s_mov_b64 s[18:19], -1
	s_mov_b64 s[16:17], 0
	s_mov_b64 s[0:1], 0
                                        ; implicit-def: $vgpr7
	s_branch .LBB160_1325
.LBB160_1291:
	s_mov_b64 s[18:19], -1
	s_mov_b64 s[16:17], 0
	s_mov_b64 s[0:1], 0
                                        ; implicit-def: $vgpr7
	s_branch .LBB160_1306
.LBB160_1292:
	s_mov_b64 s[18:19], -1
	s_mov_b64 s[16:17], 0
	s_mov_b64 s[0:1], 0
                                        ; implicit-def: $vgpr7
	s_branch .LBB160_1301
.LBB160_1293:
	s_trap 2
	s_or_b64 s[14:15], s[14:15], exec
	s_cbranch_execz .LBB160_1232
	s_branch .LBB160_1233
.LBB160_1294:
	s_mov_b64 s[18:19], -1
	s_mov_b64 s[16:17], 0
	s_mov_b64 s[0:1], 0
                                        ; implicit-def: $vgpr7
	s_branch .LBB160_1296
.LBB160_1295:
	s_mov_b64 s[0:1], -1
                                        ; implicit-def: $vgpr7
	s_mov_b64 s[16:17], 0
.LBB160_1296:
	s_and_b64 vcc, exec, s[18:19]
	s_cbranch_vccz .LBB160_1300
; %bb.1297:
	s_cmp_eq_u32 s22, 44
	s_cbranch_scc0 .LBB160_1299
; %bb.1298:
	global_load_ubyte v1, v[2:3], off
	s_movk_i32 s16, 0xff
	v_mov_b32_e32 v8, 0x7e00
	s_mov_b64 s[0:1], 0
	s_waitcnt vmcnt(0)
	v_lshlrev_b32_e32 v7, 23, v1
	v_cvt_f16_f32_e32 v7, v7
	v_cmp_ne_u32_e32 vcc, s16, v1
	s_mov_b64 s[16:17], -1
	s_nop 0
	v_cndmask_b32_e32 v7, v8, v7, vcc
	v_cmp_ne_u32_e32 vcc, 0, v1
	s_nop 1
	v_cndmask_b32_e32 v7, 0, v7, vcc
	s_branch .LBB160_1300
.LBB160_1299:
	s_mov_b64 s[0:1], -1
                                        ; implicit-def: $vgpr7
.LBB160_1300:
	s_mov_b64 s[18:19], 0
.LBB160_1301:
	s_and_b64 vcc, exec, s[18:19]
	s_cbranch_vccz .LBB160_1305
; %bb.1302:
	s_cmp_eq_u32 s22, 29
	s_cbranch_scc0 .LBB160_1304
; %bb.1303:
	global_load_dwordx2 v[8:9], v[2:3], off
	s_mov_b64 s[0:1], 0
	s_mov_b64 s[16:17], -1
	s_mov_b64 s[18:19], 0
	s_waitcnt vmcnt(0)
	v_ffbh_u32_e32 v1, v9
	v_min_u32_e32 v1, 32, v1
	v_lshlrev_b64 v[8:9], v1, v[8:9]
	v_min_u32_e32 v7, 1, v8
	v_or_b32_e32 v7, v9, v7
	v_cvt_f32_u32_e32 v7, v7
	v_sub_u32_e32 v1, 32, v1
	v_ldexp_f32 v1, v7, v1
	v_cvt_f16_f32_e32 v7, v1
	s_branch .LBB160_1306
.LBB160_1304:
	s_mov_b64 s[0:1], -1
                                        ; implicit-def: $vgpr7
.LBB160_1305:
	s_mov_b64 s[18:19], 0
.LBB160_1306:
	s_and_b64 vcc, exec, s[18:19]
	s_cbranch_vccz .LBB160_1324
; %bb.1307:
	s_cmp_lt_i32 s22, 27
	s_cbranch_scc1 .LBB160_1310
; %bb.1308:
	s_cmp_gt_i32 s22, 27
	s_cbranch_scc0 .LBB160_1311
; %bb.1309:
	global_load_dword v1, v[2:3], off
	s_mov_b64 s[16:17], 0
	s_waitcnt vmcnt(0)
	v_cvt_f32_u32_e32 v1, v1
	v_cvt_f16_f32_e32 v7, v1
	s_branch .LBB160_1312
.LBB160_1310:
	s_mov_b64 s[16:17], -1
                                        ; implicit-def: $vgpr7
	s_branch .LBB160_1315
.LBB160_1311:
	s_mov_b64 s[16:17], -1
                                        ; implicit-def: $vgpr7
.LBB160_1312:
	s_andn2_b64 vcc, exec, s[16:17]
	s_cbranch_vccnz .LBB160_1314
; %bb.1313:
	global_load_ushort v1, v[2:3], off
	s_waitcnt vmcnt(0)
	v_cvt_f16_u16_e32 v7, v1
.LBB160_1314:
	s_mov_b64 s[16:17], 0
.LBB160_1315:
	s_andn2_b64 vcc, exec, s[16:17]
	s_cbranch_vccnz .LBB160_1323
; %bb.1316:
	global_load_ubyte v1, v[2:3], off
	s_movk_i32 s16, 0x7f
	s_waitcnt vmcnt(0)
	v_cmp_lt_i16_e32 vcc, s16, v1
	s_mov_b64 s[16:17], 0
	s_and_saveexec_b64 s[18:19], vcc
	s_xor_b64 s[18:19], exec, s[18:19]
	s_cbranch_execz .LBB160_1337
; %bb.1317:
	s_movk_i32 s16, 0x80
	v_cmp_eq_u16_e32 vcc, s16, v1
	s_mov_b64 s[16:17], -1
	s_and_saveexec_b64 s[20:21], vcc
; %bb.1318:
	s_xor_b64 s[16:17], exec, -1
; %bb.1319:
	s_or_b64 exec, exec, s[20:21]
	s_and_b64 s[16:17], s[16:17], exec
	s_or_saveexec_b64 s[18:19], s[18:19]
	v_mov_b32_e32 v7, 0x7e00
	s_xor_b64 exec, exec, s[18:19]
	s_cbranch_execnz .LBB160_1338
.LBB160_1320:
	s_or_b64 exec, exec, s[18:19]
	s_and_saveexec_b64 s[18:19], s[16:17]
	s_cbranch_execz .LBB160_1322
.LBB160_1321:
	v_lshlrev_b32_e32 v7, 24, v1
	v_and_b32_e32 v1, 0xffff, v1
	v_and_b32_e32 v8, 7, v1
	v_ffbh_u32_e32 v10, v8
	v_min_u32_e32 v10, 32, v10
	v_subrev_u32_e32 v11, 28, v10
	v_bfe_u32 v9, v1, 3, 4
	v_lshlrev_b32_e32 v1, v11, v1
	v_sub_u32_e32 v10, 29, v10
	v_and_b32_e32 v1, 7, v1
	v_cmp_eq_u32_e32 vcc, 0, v9
	v_and_b32_e32 v7, 0x80000000, v7
	s_nop 0
	v_cndmask_b32_e32 v9, v9, v10, vcc
	v_cndmask_b32_e32 v1, v8, v1, vcc
	v_mov_b32_e32 v8, 0x3b800000
	v_lshlrev_b32_e32 v1, 20, v1
	v_lshl_add_u32 v8, v9, 23, v8
	v_or3_b32 v1, v7, v8, v1
	v_cvt_f16_f32_e32 v7, v1
.LBB160_1322:
	s_or_b64 exec, exec, s[18:19]
.LBB160_1323:
	s_mov_b64 s[16:17], -1
.LBB160_1324:
	s_mov_b64 s[18:19], 0
.LBB160_1325:
	s_and_b64 vcc, exec, s[18:19]
	s_cbranch_vccz .LBB160_1358
; %bb.1326:
	s_cmp_gt_i32 s22, 22
	s_cbranch_scc0 .LBB160_1336
; %bb.1327:
	s_cmp_lt_i32 s22, 24
	s_cbranch_scc1 .LBB160_1339
; %bb.1328:
	s_cmp_gt_i32 s22, 24
	s_cbranch_scc0 .LBB160_1340
; %bb.1329:
	global_load_ubyte v1, v[2:3], off
	s_movk_i32 s10, 0x7f
	s_waitcnt vmcnt(0)
	v_cmp_lt_i16_e32 vcc, s10, v1
	s_mov_b64 s[10:11], 0
	s_and_saveexec_b64 s[16:17], vcc
	s_xor_b64 s[16:17], exec, s[16:17]
	s_cbranch_execz .LBB160_1352
; %bb.1330:
	s_movk_i32 s10, 0x80
	v_cmp_eq_u16_e32 vcc, s10, v1
	s_mov_b64 s[10:11], -1
	s_and_saveexec_b64 s[18:19], vcc
; %bb.1331:
	s_xor_b64 s[10:11], exec, -1
; %bb.1332:
	s_or_b64 exec, exec, s[18:19]
	s_and_b64 s[10:11], s[10:11], exec
	s_or_saveexec_b64 s[16:17], s[16:17]
	v_mov_b32_e32 v7, 0x7e00
	s_xor_b64 exec, exec, s[16:17]
	s_cbranch_execnz .LBB160_1353
.LBB160_1333:
	s_or_b64 exec, exec, s[16:17]
	s_and_saveexec_b64 s[16:17], s[10:11]
	s_cbranch_execz .LBB160_1335
.LBB160_1334:
	v_lshlrev_b32_e32 v7, 24, v1
	v_and_b32_e32 v1, 0xffff, v1
	v_and_b32_e32 v8, 3, v1
	v_ffbh_u32_e32 v10, v8
	v_min_u32_e32 v10, 32, v10
	v_subrev_u32_e32 v11, 29, v10
	v_bfe_u32 v9, v1, 2, 5
	v_lshlrev_b32_e32 v1, v11, v1
	v_sub_u32_e32 v10, 30, v10
	v_and_b32_e32 v1, 3, v1
	v_cmp_eq_u32_e32 vcc, 0, v9
	v_and_b32_e32 v7, 0x80000000, v7
	s_nop 0
	v_cndmask_b32_e32 v9, v9, v10, vcc
	v_cndmask_b32_e32 v1, v8, v1, vcc
	v_mov_b32_e32 v8, 0x37800000
	v_lshlrev_b32_e32 v1, 21, v1
	v_lshl_add_u32 v8, v9, 23, v8
	v_or3_b32 v1, v7, v8, v1
	v_cvt_f16_f32_e32 v7, v1
.LBB160_1335:
	s_or_b64 exec, exec, s[16:17]
	s_mov_b64 s[10:11], 0
	s_branch .LBB160_1341
.LBB160_1336:
	s_mov_b64 s[10:11], -1
                                        ; implicit-def: $vgpr7
	s_branch .LBB160_1347
.LBB160_1337:
	s_or_saveexec_b64 s[18:19], s[18:19]
	v_mov_b32_e32 v7, 0x7e00
	s_xor_b64 exec, exec, s[18:19]
	s_cbranch_execz .LBB160_1320
.LBB160_1338:
	v_cmp_ne_u16_e32 vcc, 0, v1
	s_andn2_b64 s[16:17], s[16:17], exec
	s_and_b64 s[20:21], vcc, exec
	s_or_b64 s[16:17], s[16:17], s[20:21]
	v_mov_b32_e32 v7, v1
	s_or_b64 exec, exec, s[18:19]
	s_and_saveexec_b64 s[18:19], s[16:17]
	s_cbranch_execnz .LBB160_1321
	s_branch .LBB160_1322
.LBB160_1339:
	s_mov_b64 s[10:11], -1
                                        ; implicit-def: $vgpr7
	s_branch .LBB160_1344
.LBB160_1340:
	s_mov_b64 s[10:11], -1
                                        ; implicit-def: $vgpr7
.LBB160_1341:
	s_and_b64 vcc, exec, s[10:11]
	s_cbranch_vccz .LBB160_1343
; %bb.1342:
	global_load_ubyte v1, v[2:3], off
	s_mov_b32 s10, 0x7f800000
	s_waitcnt vmcnt(0)
	v_lshlrev_b32_e32 v1, 24, v1
	v_and_b32_e32 v7, 0x7f000000, v1
	v_ffbh_u32_e32 v8, v7
	v_min_u32_e32 v8, 32, v8
	v_sub_u32_e64 v8, v8, 4 clamp
	v_lshlrev_b32_e32 v10, v8, v7
	v_lshlrev_b32_e32 v8, 23, v8
	v_lshrrev_b32_e32 v10, 4, v10
	v_add_u32_e32 v9, 0x1000000, v7
	v_sub_u32_e32 v8, v10, v8
	v_ashrrev_i32_e32 v9, 8, v9
	v_add_u32_e32 v8, 0x3c000000, v8
	v_and_or_b32 v8, v9, s10, v8
	v_cmp_ne_u32_e32 vcc, 0, v7
	s_brev_b32 s10, 1
	s_nop 0
	v_cndmask_b32_e32 v7, 0, v8, vcc
	v_and_or_b32 v1, v1, s10, v7
	v_cvt_f16_f32_e32 v7, v1
.LBB160_1343:
	s_mov_b64 s[10:11], 0
.LBB160_1344:
	s_andn2_b64 vcc, exec, s[10:11]
	s_cbranch_vccnz .LBB160_1346
; %bb.1345:
	global_load_ubyte v1, v[2:3], off
	s_movk_i32 s10, 0x7f00
	s_brev_b32 s11, 16
	s_waitcnt vmcnt(0)
	v_lshlrev_b16_e32 v7, 8, v1
	v_lshlrev_b32_e32 v1, 25, v1
	v_lshrrev_b32_e32 v8, 4, v1
	v_and_or_b32 v9, v7, s10, 0.5
	v_or_b32_e32 v8, 0x70000000, v8
	v_add_f32_e32 v9, -0.5, v9
	v_mul_f32_e32 v8, 0x7800000, v8
	v_cmp_gt_u32_e32 vcc, s11, v1
	v_bfe_i32 v7, v7, 0, 16
	s_brev_b32 s10, 1
	v_cndmask_b32_e32 v1, v8, v9, vcc
	v_and_or_b32 v1, v7, s10, v1
	v_cvt_f16_f32_e32 v7, v1
.LBB160_1346:
	s_mov_b64 s[10:11], 0
	s_mov_b64 s[16:17], -1
.LBB160_1347:
	s_andn2_b64 vcc, exec, s[10:11]
	s_mov_b64 s[10:11], 0
	s_cbranch_vccnz .LBB160_1358
; %bb.1348:
	s_cmp_gt_i32 s22, 14
	s_cbranch_scc0 .LBB160_1351
; %bb.1349:
	s_cmp_eq_u32 s22, 15
	s_cbranch_scc0 .LBB160_1354
; %bb.1350:
	global_load_ushort v1, v[2:3], off
	s_mov_b64 s[0:1], 0
	s_mov_b64 s[16:17], -1
	s_waitcnt vmcnt(0)
	v_lshlrev_b32_e32 v1, 16, v1
	v_cvt_f16_f32_e32 v7, v1
	s_branch .LBB160_1355
.LBB160_1351:
	s_mov_b64 s[18:19], -1
                                        ; implicit-def: $vgpr7
	s_branch .LBB160_1356
.LBB160_1352:
	s_or_saveexec_b64 s[16:17], s[16:17]
	v_mov_b32_e32 v7, 0x7e00
	s_xor_b64 exec, exec, s[16:17]
	s_cbranch_execz .LBB160_1333
.LBB160_1353:
	v_cmp_ne_u16_e32 vcc, 0, v1
	s_andn2_b64 s[10:11], s[10:11], exec
	s_and_b64 s[18:19], vcc, exec
	s_or_b64 s[10:11], s[10:11], s[18:19]
	v_mov_b32_e32 v7, v1
	s_or_b64 exec, exec, s[16:17]
	s_and_saveexec_b64 s[16:17], s[10:11]
	s_cbranch_execnz .LBB160_1334
	s_branch .LBB160_1335
.LBB160_1354:
	s_mov_b64 s[0:1], -1
                                        ; implicit-def: $vgpr7
.LBB160_1355:
	s_mov_b64 s[18:19], 0
.LBB160_1356:
	s_and_b64 vcc, exec, s[18:19]
	s_cbranch_vccz .LBB160_1358
; %bb.1357:
	s_cmp_lg_u32 s22, 11
	s_mov_b64 s[10:11], -1
	s_cselect_b64 s[0:1], -1, 0
.LBB160_1358:
	s_and_b64 vcc, exec, s[0:1]
	s_cbranch_vccnz .LBB160_1421
; %bb.1359:
	s_andn2_b64 vcc, exec, s[10:11]
	s_cbranch_vccnz .LBB160_1361
.LBB160_1360:
	global_load_ubyte v1, v[2:3], off
	v_mov_b32_e32 v7, 0x3c00
	s_mov_b64 s[16:17], -1
	s_waitcnt vmcnt(0)
	v_cmp_ne_u16_e32 vcc, 0, v1
	s_nop 1
	v_cndmask_b32_e32 v7, 0, v7, vcc
.LBB160_1361:
	s_branch .LBB160_1289
.LBB160_1362:
	s_cmp_lt_i32 s22, 5
	s_cbranch_scc1 .LBB160_1367
; %bb.1363:
	s_cmp_lt_i32 s22, 8
	s_cbranch_scc1 .LBB160_1368
; %bb.1364:
	;; [unrolled: 3-line block ×3, first 2 shown]
	s_cmp_gt_i32 s22, 9
	s_cbranch_scc0 .LBB160_1370
; %bb.1366:
	global_load_dwordx2 v[8:9], v[2:3], off
	s_movk_i32 s0, 0x1ff
	s_movk_i32 s1, 0xffe
	v_mov_b32_e32 v1, 0x7c00
	v_mov_b32_e32 v7, 0x7e00
	s_movk_i32 s10, 0x40f
	s_mov_b32 s11, 0x8000
	s_waitcnt vmcnt(0)
	v_and_or_b32 v8, v9, s0, v8
	v_cmp_ne_u32_e32 vcc, 0, v8
	v_lshrrev_b32_e32 v10, 8, v9
	v_bfe_u32 v11, v9, 20, 11
	v_cndmask_b32_e64 v8, 0, 1, vcc
	v_sub_u32_e32 v12, 0x3f1, v11
	v_and_or_b32 v8, v10, s1, v8
	v_add_u32_e32 v11, 0xfffffc10, v11
	v_med3_i32 v10, v12, 0, 13
	v_or_b32_e32 v12, 0x1000, v8
	v_lshl_or_b32 v13, v11, 12, v8
	v_cmp_ne_u32_e32 vcc, 0, v8
	v_lshrrev_b32_e32 v8, v10, v12
	v_lshlrev_b32_e32 v10, v10, v8
	v_cndmask_b32_e32 v7, v1, v7, vcc
	v_cmp_ne_u32_e32 vcc, v10, v12
	v_lshrrev_b32_e32 v9, 16, v9
	s_mov_b64 s[0:1], 0
	v_cndmask_b32_e64 v10, 0, 1, vcc
	v_or_b32_e32 v8, v8, v10
	v_cmp_gt_i32_e32 vcc, 1, v11
	s_nop 1
	v_cndmask_b32_e32 v8, v13, v8, vcc
	v_and_b32_e32 v10, 7, v8
	v_cmp_lt_i32_e32 vcc, 5, v10
	v_lshrrev_b32_e32 v8, 2, v8
	s_nop 0
	v_cndmask_b32_e64 v12, 0, 1, vcc
	v_cmp_eq_u32_e32 vcc, 3, v10
	s_nop 1
	v_cndmask_b32_e64 v10, 0, 1, vcc
	v_or_b32_e32 v10, v10, v12
	v_add_u32_e32 v8, v8, v10
	v_cmp_gt_i32_e32 vcc, 31, v11
	s_nop 1
	v_cndmask_b32_e32 v1, v1, v8, vcc
	v_cmp_eq_u32_e32 vcc, s10, v11
	s_nop 1
	v_cndmask_b32_e32 v1, v1, v7, vcc
	v_and_or_b32 v7, v9, s11, v1
	s_branch .LBB160_1371
.LBB160_1367:
	s_mov_b64 s[0:1], -1
                                        ; implicit-def: $vgpr7
	s_branch .LBB160_1389
.LBB160_1368:
	s_mov_b64 s[0:1], -1
                                        ; implicit-def: $vgpr7
	s_branch .LBB160_1377
.LBB160_1369:
	s_mov_b64 s[0:1], -1
                                        ; implicit-def: $vgpr7
	s_branch .LBB160_1374
.LBB160_1370:
	s_mov_b64 s[0:1], -1
                                        ; implicit-def: $vgpr7
.LBB160_1371:
	s_andn2_b64 vcc, exec, s[0:1]
	s_cbranch_vccnz .LBB160_1373
; %bb.1372:
	global_load_dword v1, v[2:3], off
	s_waitcnt vmcnt(0)
	v_cvt_f16_f32_e32 v7, v1
.LBB160_1373:
	s_mov_b64 s[0:1], 0
.LBB160_1374:
	s_andn2_b64 vcc, exec, s[0:1]
	s_cbranch_vccnz .LBB160_1376
; %bb.1375:
	global_load_dword v7, v[2:3], off
.LBB160_1376:
	s_mov_b64 s[0:1], 0
.LBB160_1377:
	s_andn2_b64 vcc, exec, s[0:1]
	s_cbranch_vccnz .LBB160_1388
; %bb.1378:
	s_cmp_lt_i32 s22, 6
	s_cbranch_scc1 .LBB160_1381
; %bb.1379:
	s_cmp_gt_i32 s22, 6
	s_cbranch_scc0 .LBB160_1382
; %bb.1380:
	global_load_dwordx2 v[8:9], v[2:3], off
	s_movk_i32 s0, 0x1ff
	s_movk_i32 s1, 0xffe
	v_mov_b32_e32 v1, 0x7c00
	s_waitcnt vmcnt(1)
	v_mov_b32_e32 v7, 0x7e00
	s_movk_i32 s10, 0x40f
	s_mov_b32 s11, 0x8000
	s_waitcnt vmcnt(0)
	v_and_or_b32 v8, v9, s0, v8
	v_cmp_ne_u32_e32 vcc, 0, v8
	v_lshrrev_b32_e32 v10, 8, v9
	v_bfe_u32 v11, v9, 20, 11
	v_cndmask_b32_e64 v8, 0, 1, vcc
	v_sub_u32_e32 v12, 0x3f1, v11
	v_and_or_b32 v8, v10, s1, v8
	v_add_u32_e32 v11, 0xfffffc10, v11
	v_med3_i32 v10, v12, 0, 13
	v_or_b32_e32 v12, 0x1000, v8
	v_lshl_or_b32 v13, v11, 12, v8
	v_cmp_ne_u32_e32 vcc, 0, v8
	v_lshrrev_b32_e32 v8, v10, v12
	v_lshlrev_b32_e32 v10, v10, v8
	v_cndmask_b32_e32 v7, v1, v7, vcc
	v_cmp_ne_u32_e32 vcc, v10, v12
	v_lshrrev_b32_e32 v9, 16, v9
	s_mov_b64 s[0:1], 0
	v_cndmask_b32_e64 v10, 0, 1, vcc
	v_or_b32_e32 v8, v8, v10
	v_cmp_gt_i32_e32 vcc, 1, v11
	s_nop 1
	v_cndmask_b32_e32 v8, v13, v8, vcc
	v_and_b32_e32 v10, 7, v8
	v_cmp_lt_i32_e32 vcc, 5, v10
	v_lshrrev_b32_e32 v8, 2, v8
	s_nop 0
	v_cndmask_b32_e64 v12, 0, 1, vcc
	v_cmp_eq_u32_e32 vcc, 3, v10
	s_nop 1
	v_cndmask_b32_e64 v10, 0, 1, vcc
	v_or_b32_e32 v10, v10, v12
	v_add_u32_e32 v8, v8, v10
	v_cmp_gt_i32_e32 vcc, 31, v11
	s_nop 1
	v_cndmask_b32_e32 v1, v1, v8, vcc
	v_cmp_eq_u32_e32 vcc, s10, v11
	s_nop 1
	v_cndmask_b32_e32 v1, v1, v7, vcc
	v_and_or_b32 v7, v9, s11, v1
	s_branch .LBB160_1383
.LBB160_1381:
	s_mov_b64 s[0:1], -1
                                        ; implicit-def: $vgpr7
	s_branch .LBB160_1386
.LBB160_1382:
	s_mov_b64 s[0:1], -1
                                        ; implicit-def: $vgpr7
.LBB160_1383:
	s_andn2_b64 vcc, exec, s[0:1]
	s_cbranch_vccnz .LBB160_1385
; %bb.1384:
	global_load_dword v1, v[2:3], off
	s_waitcnt vmcnt(0)
	v_cvt_f16_f32_e32 v7, v1
.LBB160_1385:
	s_mov_b64 s[0:1], 0
.LBB160_1386:
	s_andn2_b64 vcc, exec, s[0:1]
	s_cbranch_vccnz .LBB160_1388
; %bb.1387:
	global_load_ushort v7, v[2:3], off
.LBB160_1388:
	s_mov_b64 s[0:1], 0
.LBB160_1389:
	s_andn2_b64 vcc, exec, s[0:1]
	s_cbranch_vccnz .LBB160_1409
; %bb.1390:
	s_cmp_lt_i32 s22, 2
	s_cbranch_scc1 .LBB160_1394
; %bb.1391:
	s_cmp_lt_i32 s22, 3
	s_cbranch_scc1 .LBB160_1395
; %bb.1392:
	s_cmp_gt_i32 s22, 3
	s_cbranch_scc0 .LBB160_1396
; %bb.1393:
	global_load_dwordx2 v[8:9], v[2:3], off
	s_mov_b64 s[0:1], 0
	s_waitcnt vmcnt(0)
	v_xor_b32_e32 v7, v8, v9
	v_ffbh_i32_e32 v1, v9
	v_ashrrev_i32_e32 v7, 31, v7
	v_add_u32_e32 v1, -1, v1
	v_add_u32_e32 v7, 32, v7
	v_min_u32_e32 v1, v1, v7
	v_lshlrev_b64 v[8:9], v1, v[8:9]
	v_min_u32_e32 v7, 1, v8
	v_or_b32_e32 v7, v9, v7
	v_cvt_f32_i32_e32 v7, v7
	v_sub_u32_e32 v1, 32, v1
	v_ldexp_f32 v1, v7, v1
	v_cvt_f16_f32_e32 v7, v1
	s_branch .LBB160_1397
.LBB160_1394:
	s_mov_b64 s[0:1], -1
                                        ; implicit-def: $vgpr7
	s_branch .LBB160_1403
.LBB160_1395:
	s_mov_b64 s[0:1], -1
                                        ; implicit-def: $vgpr7
	s_branch .LBB160_1400
.LBB160_1396:
	s_mov_b64 s[0:1], -1
                                        ; implicit-def: $vgpr7
.LBB160_1397:
	s_andn2_b64 vcc, exec, s[0:1]
	s_cbranch_vccnz .LBB160_1399
; %bb.1398:
	global_load_dword v1, v[2:3], off
	s_waitcnt vmcnt(0)
	v_cvt_f32_i32_e32 v1, v1
	v_cvt_f16_f32_e32 v7, v1
.LBB160_1399:
	s_mov_b64 s[0:1], 0
.LBB160_1400:
	s_andn2_b64 vcc, exec, s[0:1]
	s_cbranch_vccnz .LBB160_1402
; %bb.1401:
	global_load_ushort v1, v[2:3], off
	s_waitcnt vmcnt(0)
	v_cvt_f16_i16_e32 v7, v1
.LBB160_1402:
	s_mov_b64 s[0:1], 0
.LBB160_1403:
	s_andn2_b64 vcc, exec, s[0:1]
	s_cbranch_vccnz .LBB160_1409
; %bb.1404:
	s_cmp_gt_i32 s22, 0
	s_cbranch_scc0 .LBB160_1406
; %bb.1405:
	global_load_sbyte v1, v[2:3], off
	s_mov_b64 s[0:1], 0
	s_waitcnt vmcnt(0)
	v_cvt_f16_i16_e32 v7, v1
	s_branch .LBB160_1407
.LBB160_1406:
	s_mov_b64 s[0:1], -1
                                        ; implicit-def: $vgpr7
.LBB160_1407:
	s_andn2_b64 vcc, exec, s[0:1]
	s_cbranch_vccnz .LBB160_1409
; %bb.1408:
	global_load_ubyte v1, v[2:3], off
	s_waitcnt vmcnt(0)
	v_cvt_f16_u16_e32 v7, v1
.LBB160_1409:
.LBB160_1410:
	v_add_u32_e32 v0, s9, v0
	v_ashrrev_i32_e32 v1, 31, v0
	s_cmp_lt_i32 s22, 11
	v_lshl_add_u64 v[0:1], s[6:7], 0, v[0:1]
	s_cbranch_scc1 .LBB160_1417
; %bb.1411:
	s_cmp_gt_i32 s22, 25
	s_mov_b64 s[6:7], 0
	s_cbranch_scc0 .LBB160_1418
; %bb.1412:
	s_cmp_gt_i32 s22, 28
	s_cbranch_scc0 .LBB160_1419
; %bb.1413:
	s_cmp_gt_i32 s22, 43
	;; [unrolled: 3-line block ×3, first 2 shown]
	s_cbranch_scc0 .LBB160_1422
; %bb.1415:
	s_cmp_eq_u32 s22, 46
	s_mov_b64 s[16:17], 0
	s_cbranch_scc0 .LBB160_1423
; %bb.1416:
	global_load_dword v2, v[0:1], off
	s_mov_b64 s[0:1], 0
	s_mov_b64 s[10:11], -1
	s_waitcnt vmcnt(0)
	v_lshlrev_b32_e32 v2, 16, v2
	v_cvt_f16_f32_e32 v8, v2
	s_branch .LBB160_1424
.LBB160_1417:
	s_mov_b64 s[0:1], -1
	s_mov_b64 s[10:11], 0
                                        ; implicit-def: $vgpr8
	s_branch .LBB160_1490
.LBB160_1418:
	s_mov_b64 s[16:17], -1
	s_mov_b64 s[10:11], 0
	s_mov_b64 s[0:1], 0
                                        ; implicit-def: $vgpr8
	s_branch .LBB160_1453
.LBB160_1419:
	s_mov_b64 s[16:17], -1
	s_mov_b64 s[10:11], 0
	s_mov_b64 s[0:1], 0
                                        ; implicit-def: $vgpr8
	s_branch .LBB160_1434
.LBB160_1420:
	s_mov_b64 s[16:17], -1
	s_mov_b64 s[10:11], 0
	s_mov_b64 s[0:1], 0
                                        ; implicit-def: $vgpr8
	s_branch .LBB160_1429
.LBB160_1421:
	s_trap 2
	s_or_b64 s[14:15], s[14:15], exec
	s_cbranch_execz .LBB160_1360
	s_branch .LBB160_1361
.LBB160_1422:
	s_mov_b64 s[16:17], -1
	s_mov_b64 s[10:11], 0
	s_mov_b64 s[0:1], 0
                                        ; implicit-def: $vgpr8
	s_branch .LBB160_1424
.LBB160_1423:
	s_mov_b64 s[0:1], -1
                                        ; implicit-def: $vgpr8
	s_mov_b64 s[10:11], 0
.LBB160_1424:
	s_and_b64 vcc, exec, s[16:17]
	s_cbranch_vccz .LBB160_1428
; %bb.1425:
	s_cmp_eq_u32 s22, 44
	s_cbranch_scc0 .LBB160_1427
; %bb.1426:
	global_load_ubyte v2, v[0:1], off
	s_movk_i32 s9, 0xff
	v_mov_b32_e32 v8, 0x7e00
	s_mov_b64 s[0:1], 0
	s_mov_b64 s[10:11], -1
	s_waitcnt vmcnt(0)
	v_lshlrev_b32_e32 v3, 23, v2
	v_cvt_f16_f32_e32 v3, v3
	v_cmp_ne_u32_e32 vcc, s9, v2
	s_nop 1
	v_cndmask_b32_e32 v3, v8, v3, vcc
	v_cmp_ne_u32_e32 vcc, 0, v2
	s_nop 1
	v_cndmask_b32_e32 v8, 0, v3, vcc
	s_branch .LBB160_1428
.LBB160_1427:
	s_mov_b64 s[0:1], -1
                                        ; implicit-def: $vgpr8
.LBB160_1428:
	s_mov_b64 s[16:17], 0
.LBB160_1429:
	s_and_b64 vcc, exec, s[16:17]
	s_cbranch_vccz .LBB160_1433
; %bb.1430:
	s_cmp_eq_u32 s22, 29
	s_cbranch_scc0 .LBB160_1432
; %bb.1431:
	global_load_dwordx2 v[2:3], v[0:1], off
	s_mov_b64 s[0:1], 0
	s_mov_b64 s[10:11], -1
	s_mov_b64 s[16:17], 0
	s_waitcnt vmcnt(0)
	v_ffbh_u32_e32 v8, v3
	v_min_u32_e32 v8, 32, v8
	v_lshlrev_b64 v[2:3], v8, v[2:3]
	v_min_u32_e32 v2, 1, v2
	v_or_b32_e32 v2, v3, v2
	v_cvt_f32_u32_e32 v2, v2
	v_sub_u32_e32 v3, 32, v8
	v_ldexp_f32 v2, v2, v3
	v_cvt_f16_f32_e32 v8, v2
	s_branch .LBB160_1434
.LBB160_1432:
	s_mov_b64 s[0:1], -1
                                        ; implicit-def: $vgpr8
.LBB160_1433:
	s_mov_b64 s[16:17], 0
.LBB160_1434:
	s_and_b64 vcc, exec, s[16:17]
	s_cbranch_vccz .LBB160_1452
; %bb.1435:
	s_cmp_lt_i32 s22, 27
	s_cbranch_scc1 .LBB160_1438
; %bb.1436:
	s_cmp_gt_i32 s22, 27
	s_cbranch_scc0 .LBB160_1439
; %bb.1437:
	global_load_dword v2, v[0:1], off
	s_mov_b64 s[10:11], 0
	s_waitcnt vmcnt(0)
	v_cvt_f32_u32_e32 v2, v2
	v_cvt_f16_f32_e32 v8, v2
	s_branch .LBB160_1440
.LBB160_1438:
	s_mov_b64 s[10:11], -1
                                        ; implicit-def: $vgpr8
	s_branch .LBB160_1443
.LBB160_1439:
	s_mov_b64 s[10:11], -1
                                        ; implicit-def: $vgpr8
.LBB160_1440:
	s_andn2_b64 vcc, exec, s[10:11]
	s_cbranch_vccnz .LBB160_1442
; %bb.1441:
	global_load_ushort v2, v[0:1], off
	s_waitcnt vmcnt(0)
	v_cvt_f16_u16_e32 v8, v2
.LBB160_1442:
	s_mov_b64 s[10:11], 0
.LBB160_1443:
	s_andn2_b64 vcc, exec, s[10:11]
	s_cbranch_vccnz .LBB160_1451
; %bb.1444:
	global_load_ubyte v2, v[0:1], off
	s_movk_i32 s9, 0x7f
	s_mov_b64 s[10:11], 0
	s_waitcnt vmcnt(0)
	v_cmp_lt_i16_e32 vcc, s9, v2
	s_and_saveexec_b64 s[16:17], vcc
	s_xor_b64 s[16:17], exec, s[16:17]
	s_cbranch_execz .LBB160_1465
; %bb.1445:
	s_movk_i32 s9, 0x80
	v_cmp_eq_u16_e32 vcc, s9, v2
	s_mov_b64 s[10:11], -1
	s_and_saveexec_b64 s[18:19], vcc
; %bb.1446:
	s_xor_b64 s[10:11], exec, -1
; %bb.1447:
	s_or_b64 exec, exec, s[18:19]
	s_and_b64 s[10:11], s[10:11], exec
	s_or_saveexec_b64 s[16:17], s[16:17]
	v_mov_b32_e32 v8, 0x7e00
	s_xor_b64 exec, exec, s[16:17]
	s_cbranch_execnz .LBB160_1466
.LBB160_1448:
	s_or_b64 exec, exec, s[16:17]
	s_and_saveexec_b64 s[16:17], s[10:11]
	s_cbranch_execz .LBB160_1450
.LBB160_1449:
	v_lshlrev_b32_e32 v3, 24, v2
	v_and_b32_e32 v2, 0xffff, v2
	v_and_b32_e32 v8, 7, v2
	v_ffbh_u32_e32 v10, v8
	v_min_u32_e32 v10, 32, v10
	v_subrev_u32_e32 v11, 28, v10
	v_bfe_u32 v9, v2, 3, 4
	v_lshlrev_b32_e32 v2, v11, v2
	v_sub_u32_e32 v10, 29, v10
	v_and_b32_e32 v2, 7, v2
	v_cmp_eq_u32_e32 vcc, 0, v9
	v_and_b32_e32 v3, 0x80000000, v3
	s_nop 0
	v_cndmask_b32_e32 v9, v9, v10, vcc
	v_cndmask_b32_e32 v2, v8, v2, vcc
	v_mov_b32_e32 v8, 0x3b800000
	v_lshlrev_b32_e32 v2, 20, v2
	v_lshl_add_u32 v8, v9, 23, v8
	v_or3_b32 v2, v3, v8, v2
	v_cvt_f16_f32_e32 v8, v2
.LBB160_1450:
	s_or_b64 exec, exec, s[16:17]
.LBB160_1451:
	s_mov_b64 s[10:11], -1
.LBB160_1452:
	s_mov_b64 s[16:17], 0
.LBB160_1453:
	s_and_b64 vcc, exec, s[16:17]
	s_cbranch_vccz .LBB160_1486
; %bb.1454:
	s_cmp_gt_i32 s22, 22
	s_cbranch_scc0 .LBB160_1464
; %bb.1455:
	s_cmp_lt_i32 s22, 24
	s_cbranch_scc1 .LBB160_1467
; %bb.1456:
	s_cmp_gt_i32 s22, 24
	s_cbranch_scc0 .LBB160_1468
; %bb.1457:
	global_load_ubyte v2, v[0:1], off
	s_movk_i32 s6, 0x7f
	s_waitcnt vmcnt(0)
	v_cmp_lt_i16_e32 vcc, s6, v2
	s_mov_b64 s[6:7], 0
	s_and_saveexec_b64 s[10:11], vcc
	s_xor_b64 s[10:11], exec, s[10:11]
	s_cbranch_execz .LBB160_1480
; %bb.1458:
	s_movk_i32 s6, 0x80
	v_cmp_eq_u16_e32 vcc, s6, v2
	s_mov_b64 s[6:7], -1
	s_and_saveexec_b64 s[16:17], vcc
; %bb.1459:
	s_xor_b64 s[6:7], exec, -1
; %bb.1460:
	s_or_b64 exec, exec, s[16:17]
	s_and_b64 s[6:7], s[6:7], exec
	s_or_saveexec_b64 s[10:11], s[10:11]
	v_mov_b32_e32 v8, 0x7e00
	s_xor_b64 exec, exec, s[10:11]
	s_cbranch_execnz .LBB160_1481
.LBB160_1461:
	s_or_b64 exec, exec, s[10:11]
	s_and_saveexec_b64 s[10:11], s[6:7]
	s_cbranch_execz .LBB160_1463
.LBB160_1462:
	v_lshlrev_b32_e32 v3, 24, v2
	v_and_b32_e32 v2, 0xffff, v2
	v_and_b32_e32 v8, 3, v2
	v_ffbh_u32_e32 v10, v8
	v_min_u32_e32 v10, 32, v10
	v_subrev_u32_e32 v11, 29, v10
	v_bfe_u32 v9, v2, 2, 5
	v_lshlrev_b32_e32 v2, v11, v2
	v_sub_u32_e32 v10, 30, v10
	v_and_b32_e32 v2, 3, v2
	v_cmp_eq_u32_e32 vcc, 0, v9
	v_and_b32_e32 v3, 0x80000000, v3
	s_nop 0
	v_cndmask_b32_e32 v9, v9, v10, vcc
	v_cndmask_b32_e32 v2, v8, v2, vcc
	v_mov_b32_e32 v8, 0x37800000
	v_lshlrev_b32_e32 v2, 21, v2
	v_lshl_add_u32 v8, v9, 23, v8
	v_or3_b32 v2, v3, v8, v2
	v_cvt_f16_f32_e32 v8, v2
.LBB160_1463:
	s_or_b64 exec, exec, s[10:11]
	s_mov_b64 s[6:7], 0
	s_branch .LBB160_1469
.LBB160_1464:
	s_mov_b64 s[6:7], -1
                                        ; implicit-def: $vgpr8
	s_branch .LBB160_1475
.LBB160_1465:
	s_or_saveexec_b64 s[16:17], s[16:17]
	v_mov_b32_e32 v8, 0x7e00
	s_xor_b64 exec, exec, s[16:17]
	s_cbranch_execz .LBB160_1448
.LBB160_1466:
	v_cmp_ne_u16_e32 vcc, 0, v2
	s_andn2_b64 s[10:11], s[10:11], exec
	s_and_b64 s[18:19], vcc, exec
	s_or_b64 s[10:11], s[10:11], s[18:19]
	v_mov_b32_e32 v8, v2
	s_or_b64 exec, exec, s[16:17]
	s_and_saveexec_b64 s[16:17], s[10:11]
	s_cbranch_execnz .LBB160_1449
	s_branch .LBB160_1450
.LBB160_1467:
	s_mov_b64 s[6:7], -1
                                        ; implicit-def: $vgpr8
	s_branch .LBB160_1472
.LBB160_1468:
	s_mov_b64 s[6:7], -1
                                        ; implicit-def: $vgpr8
.LBB160_1469:
	s_and_b64 vcc, exec, s[6:7]
	s_cbranch_vccz .LBB160_1471
; %bb.1470:
	global_load_ubyte v2, v[0:1], off
	s_mov_b32 s6, 0x7f800000
	s_waitcnt vmcnt(0)
	v_lshlrev_b32_e32 v2, 24, v2
	v_and_b32_e32 v3, 0x7f000000, v2
	v_ffbh_u32_e32 v8, v3
	v_min_u32_e32 v8, 32, v8
	v_sub_u32_e64 v8, v8, 4 clamp
	v_lshlrev_b32_e32 v10, v8, v3
	v_lshlrev_b32_e32 v8, 23, v8
	v_lshrrev_b32_e32 v10, 4, v10
	v_add_u32_e32 v9, 0x1000000, v3
	v_sub_u32_e32 v8, v10, v8
	v_ashrrev_i32_e32 v9, 8, v9
	v_add_u32_e32 v8, 0x3c000000, v8
	v_and_or_b32 v8, v9, s6, v8
	v_cmp_ne_u32_e32 vcc, 0, v3
	s_brev_b32 s6, 1
	s_nop 0
	v_cndmask_b32_e32 v3, 0, v8, vcc
	v_and_or_b32 v2, v2, s6, v3
	v_cvt_f16_f32_e32 v8, v2
.LBB160_1471:
	s_mov_b64 s[6:7], 0
.LBB160_1472:
	s_andn2_b64 vcc, exec, s[6:7]
	s_cbranch_vccnz .LBB160_1474
; %bb.1473:
	global_load_ubyte v2, v[0:1], off
	s_movk_i32 s6, 0x7f00
	s_brev_b32 s7, 16
	s_waitcnt vmcnt(0)
	v_lshlrev_b16_e32 v3, 8, v2
	v_lshlrev_b32_e32 v2, 25, v2
	v_lshrrev_b32_e32 v8, 4, v2
	v_and_or_b32 v9, v3, s6, 0.5
	v_or_b32_e32 v8, 0x70000000, v8
	v_add_f32_e32 v9, -0.5, v9
	v_mul_f32_e32 v8, 0x7800000, v8
	v_cmp_gt_u32_e32 vcc, s7, v2
	v_bfe_i32 v3, v3, 0, 16
	s_brev_b32 s6, 1
	v_cndmask_b32_e32 v2, v8, v9, vcc
	v_and_or_b32 v2, v3, s6, v2
	v_cvt_f16_f32_e32 v8, v2
.LBB160_1474:
	s_mov_b64 s[6:7], 0
	s_mov_b64 s[10:11], -1
.LBB160_1475:
	s_andn2_b64 vcc, exec, s[6:7]
	s_mov_b64 s[6:7], 0
	s_cbranch_vccnz .LBB160_1486
; %bb.1476:
	s_cmp_gt_i32 s22, 14
	s_cbranch_scc0 .LBB160_1479
; %bb.1477:
	s_cmp_eq_u32 s22, 15
	s_cbranch_scc0 .LBB160_1482
; %bb.1478:
	global_load_ushort v2, v[0:1], off
	s_mov_b64 s[0:1], 0
	s_mov_b64 s[10:11], -1
	s_waitcnt vmcnt(0)
	v_lshlrev_b32_e32 v2, 16, v2
	v_cvt_f16_f32_e32 v8, v2
	s_branch .LBB160_1483
.LBB160_1479:
	s_mov_b64 s[16:17], -1
                                        ; implicit-def: $vgpr8
	s_branch .LBB160_1484
.LBB160_1480:
	s_or_saveexec_b64 s[10:11], s[10:11]
	v_mov_b32_e32 v8, 0x7e00
	s_xor_b64 exec, exec, s[10:11]
	s_cbranch_execz .LBB160_1461
.LBB160_1481:
	v_cmp_ne_u16_e32 vcc, 0, v2
	s_andn2_b64 s[6:7], s[6:7], exec
	s_and_b64 s[16:17], vcc, exec
	s_or_b64 s[6:7], s[6:7], s[16:17]
	v_mov_b32_e32 v8, v2
	s_or_b64 exec, exec, s[10:11]
	s_and_saveexec_b64 s[10:11], s[6:7]
	s_cbranch_execnz .LBB160_1462
	s_branch .LBB160_1463
.LBB160_1482:
	s_mov_b64 s[0:1], -1
                                        ; implicit-def: $vgpr8
.LBB160_1483:
	s_mov_b64 s[16:17], 0
.LBB160_1484:
	s_and_b64 vcc, exec, s[16:17]
	s_cbranch_vccz .LBB160_1486
; %bb.1485:
	s_cmp_lg_u32 s22, 11
	s_mov_b64 s[6:7], -1
	s_cselect_b64 s[0:1], -1, 0
.LBB160_1486:
	s_and_b64 vcc, exec, s[0:1]
	s_cbranch_vccnz .LBB160_2019
; %bb.1487:
	s_andn2_b64 vcc, exec, s[6:7]
	s_cbranch_vccnz .LBB160_1489
.LBB160_1488:
	global_load_ubyte v2, v[0:1], off
	v_mov_b32_e32 v3, 0x3c00
	s_mov_b64 s[10:11], -1
	s_waitcnt vmcnt(0)
	v_cmp_ne_u16_e32 vcc, 0, v2
	s_nop 1
	v_cndmask_b32_e32 v8, 0, v3, vcc
.LBB160_1489:
	s_mov_b64 s[0:1], 0
.LBB160_1490:
	s_and_b64 vcc, exec, s[0:1]
	s_cbranch_vccz .LBB160_1539
; %bb.1491:
	s_cmp_lt_i32 s22, 5
	s_cbranch_scc1 .LBB160_1496
; %bb.1492:
	s_cmp_lt_i32 s22, 8
	s_cbranch_scc1 .LBB160_1497
	;; [unrolled: 3-line block ×3, first 2 shown]
; %bb.1494:
	s_cmp_gt_i32 s22, 9
	s_cbranch_scc0 .LBB160_1499
; %bb.1495:
	global_load_dwordx2 v[2:3], v[0:1], off
	s_movk_i32 s0, 0x1ff
	s_movk_i32 s1, 0xffe
	v_mov_b32_e32 v8, 0x7c00
	v_mov_b32_e32 v9, 0x7e00
	s_movk_i32 s6, 0x40f
	s_mov_b32 s7, 0x8000
	s_waitcnt vmcnt(0)
	v_and_or_b32 v2, v3, s0, v2
	v_cmp_ne_u32_e32 vcc, 0, v2
	v_lshrrev_b32_e32 v10, 8, v3
	v_bfe_u32 v11, v3, 20, 11
	v_cndmask_b32_e64 v2, 0, 1, vcc
	v_sub_u32_e32 v12, 0x3f1, v11
	v_and_or_b32 v2, v10, s1, v2
	v_add_u32_e32 v11, 0xfffffc10, v11
	v_med3_i32 v10, v12, 0, 13
	v_or_b32_e32 v12, 0x1000, v2
	v_cmp_ne_u32_e32 vcc, 0, v2
	v_lshl_or_b32 v13, v11, 12, v2
	v_lshrrev_b32_e32 v3, 16, v3
	v_cndmask_b32_e32 v2, v8, v9, vcc
	v_lshrrev_b32_e32 v9, v10, v12
	v_lshlrev_b32_e32 v10, v10, v9
	v_cmp_ne_u32_e32 vcc, v10, v12
	s_mov_b64 s[0:1], 0
	s_nop 0
	v_cndmask_b32_e64 v10, 0, 1, vcc
	v_or_b32_e32 v9, v9, v10
	v_cmp_gt_i32_e32 vcc, 1, v11
	s_nop 1
	v_cndmask_b32_e32 v9, v13, v9, vcc
	v_and_b32_e32 v10, 7, v9
	v_cmp_lt_i32_e32 vcc, 5, v10
	v_lshrrev_b32_e32 v9, 2, v9
	s_nop 0
	v_cndmask_b32_e64 v12, 0, 1, vcc
	v_cmp_eq_u32_e32 vcc, 3, v10
	s_nop 1
	v_cndmask_b32_e64 v10, 0, 1, vcc
	v_or_b32_e32 v10, v10, v12
	v_add_u32_e32 v9, v9, v10
	v_cmp_gt_i32_e32 vcc, 31, v11
	s_nop 1
	v_cndmask_b32_e32 v8, v8, v9, vcc
	v_cmp_eq_u32_e32 vcc, s6, v11
	s_nop 1
	v_cndmask_b32_e32 v2, v8, v2, vcc
	v_and_or_b32 v8, v3, s7, v2
	s_branch .LBB160_1500
.LBB160_1496:
	s_mov_b64 s[0:1], -1
                                        ; implicit-def: $vgpr8
	s_branch .LBB160_1518
.LBB160_1497:
	s_mov_b64 s[0:1], -1
                                        ; implicit-def: $vgpr8
	s_branch .LBB160_1506
.LBB160_1498:
	s_mov_b64 s[0:1], -1
                                        ; implicit-def: $vgpr8
	s_branch .LBB160_1503
.LBB160_1499:
	s_mov_b64 s[0:1], -1
                                        ; implicit-def: $vgpr8
.LBB160_1500:
	s_andn2_b64 vcc, exec, s[0:1]
	s_cbranch_vccnz .LBB160_1502
; %bb.1501:
	global_load_dword v2, v[0:1], off
	s_waitcnt vmcnt(0)
	v_cvt_f16_f32_e32 v8, v2
.LBB160_1502:
	s_mov_b64 s[0:1], 0
.LBB160_1503:
	s_andn2_b64 vcc, exec, s[0:1]
	s_cbranch_vccnz .LBB160_1505
; %bb.1504:
	global_load_dword v8, v[0:1], off
.LBB160_1505:
	s_mov_b64 s[0:1], 0
.LBB160_1506:
	s_andn2_b64 vcc, exec, s[0:1]
	s_cbranch_vccnz .LBB160_1517
; %bb.1507:
	s_cmp_lt_i32 s22, 6
	s_cbranch_scc1 .LBB160_1510
; %bb.1508:
	s_cmp_gt_i32 s22, 6
	s_cbranch_scc0 .LBB160_1511
; %bb.1509:
	global_load_dwordx2 v[2:3], v[0:1], off
	s_movk_i32 s0, 0x1ff
	s_movk_i32 s1, 0xffe
	s_waitcnt vmcnt(1)
	v_mov_b32_e32 v8, 0x7c00
	v_mov_b32_e32 v9, 0x7e00
	s_movk_i32 s6, 0x40f
	s_mov_b32 s7, 0x8000
	s_waitcnt vmcnt(0)
	v_and_or_b32 v2, v3, s0, v2
	v_cmp_ne_u32_e32 vcc, 0, v2
	v_lshrrev_b32_e32 v10, 8, v3
	v_bfe_u32 v11, v3, 20, 11
	v_cndmask_b32_e64 v2, 0, 1, vcc
	v_sub_u32_e32 v12, 0x3f1, v11
	v_and_or_b32 v2, v10, s1, v2
	v_add_u32_e32 v11, 0xfffffc10, v11
	v_med3_i32 v10, v12, 0, 13
	v_or_b32_e32 v12, 0x1000, v2
	v_cmp_ne_u32_e32 vcc, 0, v2
	v_lshl_or_b32 v13, v11, 12, v2
	v_lshrrev_b32_e32 v3, 16, v3
	v_cndmask_b32_e32 v2, v8, v9, vcc
	v_lshrrev_b32_e32 v9, v10, v12
	v_lshlrev_b32_e32 v10, v10, v9
	v_cmp_ne_u32_e32 vcc, v10, v12
	s_mov_b64 s[0:1], 0
	s_nop 0
	v_cndmask_b32_e64 v10, 0, 1, vcc
	v_or_b32_e32 v9, v9, v10
	v_cmp_gt_i32_e32 vcc, 1, v11
	s_nop 1
	v_cndmask_b32_e32 v9, v13, v9, vcc
	v_and_b32_e32 v10, 7, v9
	v_cmp_lt_i32_e32 vcc, 5, v10
	v_lshrrev_b32_e32 v9, 2, v9
	s_nop 0
	v_cndmask_b32_e64 v12, 0, 1, vcc
	v_cmp_eq_u32_e32 vcc, 3, v10
	s_nop 1
	v_cndmask_b32_e64 v10, 0, 1, vcc
	v_or_b32_e32 v10, v10, v12
	v_add_u32_e32 v9, v9, v10
	v_cmp_gt_i32_e32 vcc, 31, v11
	s_nop 1
	v_cndmask_b32_e32 v8, v8, v9, vcc
	v_cmp_eq_u32_e32 vcc, s6, v11
	s_nop 1
	v_cndmask_b32_e32 v2, v8, v2, vcc
	v_and_or_b32 v8, v3, s7, v2
	s_branch .LBB160_1512
.LBB160_1510:
	s_mov_b64 s[0:1], -1
                                        ; implicit-def: $vgpr8
	s_branch .LBB160_1515
.LBB160_1511:
	s_mov_b64 s[0:1], -1
                                        ; implicit-def: $vgpr8
.LBB160_1512:
	s_andn2_b64 vcc, exec, s[0:1]
	s_cbranch_vccnz .LBB160_1514
; %bb.1513:
	global_load_dword v2, v[0:1], off
	s_waitcnt vmcnt(0)
	v_cvt_f16_f32_e32 v8, v2
.LBB160_1514:
	s_mov_b64 s[0:1], 0
.LBB160_1515:
	s_andn2_b64 vcc, exec, s[0:1]
	s_cbranch_vccnz .LBB160_1517
; %bb.1516:
	global_load_ushort v8, v[0:1], off
.LBB160_1517:
	s_mov_b64 s[0:1], 0
.LBB160_1518:
	s_andn2_b64 vcc, exec, s[0:1]
	s_cbranch_vccnz .LBB160_1538
; %bb.1519:
	s_cmp_lt_i32 s22, 2
	s_cbranch_scc1 .LBB160_1523
; %bb.1520:
	s_cmp_lt_i32 s22, 3
	s_cbranch_scc1 .LBB160_1524
; %bb.1521:
	s_cmp_gt_i32 s22, 3
	s_cbranch_scc0 .LBB160_1525
; %bb.1522:
	global_load_dwordx2 v[2:3], v[0:1], off
	s_mov_b64 s[0:1], 0
	s_waitcnt vmcnt(0)
	v_xor_b32_e32 v9, v2, v3
	v_ffbh_i32_e32 v8, v3
	v_ashrrev_i32_e32 v9, 31, v9
	v_add_u32_e32 v8, -1, v8
	v_add_u32_e32 v9, 32, v9
	v_min_u32_e32 v8, v8, v9
	v_lshlrev_b64 v[2:3], v8, v[2:3]
	v_min_u32_e32 v2, 1, v2
	v_or_b32_e32 v2, v3, v2
	v_cvt_f32_i32_e32 v2, v2
	v_sub_u32_e32 v3, 32, v8
	v_ldexp_f32 v2, v2, v3
	v_cvt_f16_f32_e32 v8, v2
	s_branch .LBB160_1526
.LBB160_1523:
	s_mov_b64 s[0:1], -1
                                        ; implicit-def: $vgpr8
	s_branch .LBB160_1532
.LBB160_1524:
	s_mov_b64 s[0:1], -1
                                        ; implicit-def: $vgpr8
	s_branch .LBB160_1529
.LBB160_1525:
	s_mov_b64 s[0:1], -1
                                        ; implicit-def: $vgpr8
.LBB160_1526:
	s_andn2_b64 vcc, exec, s[0:1]
	s_cbranch_vccnz .LBB160_1528
; %bb.1527:
	global_load_dword v2, v[0:1], off
	s_waitcnt vmcnt(0)
	v_cvt_f32_i32_e32 v2, v2
	v_cvt_f16_f32_e32 v8, v2
.LBB160_1528:
	s_mov_b64 s[0:1], 0
.LBB160_1529:
	s_andn2_b64 vcc, exec, s[0:1]
	s_cbranch_vccnz .LBB160_1531
; %bb.1530:
	global_load_ushort v2, v[0:1], off
	s_waitcnt vmcnt(0)
	v_cvt_f16_i16_e32 v8, v2
.LBB160_1531:
	s_mov_b64 s[0:1], 0
.LBB160_1532:
	s_andn2_b64 vcc, exec, s[0:1]
	s_cbranch_vccnz .LBB160_1538
; %bb.1533:
	s_cmp_gt_i32 s22, 0
	s_cbranch_scc0 .LBB160_1535
; %bb.1534:
	global_load_sbyte v2, v[0:1], off
	s_mov_b64 s[0:1], 0
	s_waitcnt vmcnt(0)
	v_cvt_f16_i16_e32 v8, v2
	s_branch .LBB160_1536
.LBB160_1535:
	s_mov_b64 s[0:1], -1
                                        ; implicit-def: $vgpr8
.LBB160_1536:
	s_andn2_b64 vcc, exec, s[0:1]
	s_cbranch_vccnz .LBB160_1538
; %bb.1537:
	global_load_ubyte v0, v[0:1], off
	s_waitcnt vmcnt(0)
	v_cvt_f16_u16_e32 v8, v0
.LBB160_1538:
	s_mov_b64 s[10:11], -1
.LBB160_1539:
	s_andn2_b64 vcc, exec, s[10:11]
	s_cbranch_vccnz .LBB160_1973
; %bb.1540:
	s_waitcnt vmcnt(0)
	v_cvt_f32_f16_e32 v0, v5
	s_mov_b32 s0, 0xbf317218
	v_mov_b32_e32 v1, 0x3ab69700
	s_and_b32 s20, s33, 0xff
	v_mul_f32_e32 v2, 0x3fb8aa3b, v0
	v_rndne_f32_e32 v2, v2
	v_fma_mix_f32 v3, v2, s0, v5 op_sel_hi:[0,0,1]
	v_fmamk_f32 v3, v2, 0x3102e308, v3
	v_fmac_f32_e32 v1, 0x395133b1, v3
	v_fmaak_f32 v1, v3, v1, 0x3c0887f9
	v_cvt_i32_f32_e32 v9, v2
	v_fmaak_f32 v1, v3, v1, 0x3d2aaa81
	v_fmaak_f32 v1, v3, v1, 0x3e2aaaab
	v_fma_f32 v1, v3, v1, 0.5
	v_mul_f32_e32 v1, v3, v1
	s_mov_b32 s0, 0x43000000
	v_fmac_f32_e32 v3, v3, v1
	v_ldexp_f32 v1, 1.0, v9
	v_mov_b32_e32 v9, 0x7f000000
	v_cmp_eq_f32_e32 vcc, s0, v2
	s_mov_b32 s0, 0x42b17217
	s_cmp_lt_i32 s20, 11
	v_cndmask_b32_e32 v1, v1, v9, vcc
	v_add_f32_e32 v2, -1.0, v1
	v_fmac_f32_e32 v2, v1, v3
	v_add_f32_e32 v1, v2, v2
	v_cndmask_b32_e32 v1, v2, v1, vcc
	v_mov_b32_e32 v2, 0x7f800000
	v_cmp_nlt_f32_e32 vcc, s0, v0
	s_mov_b32 s0, 0xcc40
	s_nop 0
	v_cndmask_b32_e32 v0, v2, v1, vcc
	v_cvt_f16_f32_e32 v0, v0
	v_mov_b32_e32 v1, 0xbc00
	v_cmp_ngt_f16_e32 vcc, s0, v5
	s_nop 1
	v_cndmask_b32_e32 v5, v1, v0, vcc
	v_mul_lo_u32 v0, s8, v4
	v_ashrrev_i32_e32 v1, 31, v0
	v_lshl_add_u64 v[2:3], s[4:5], 0, v[0:1]
	s_cbranch_scc1 .LBB160_1618
; %bb.1541:
	s_and_b32 s9, 0xffff, s20
	s_mov_b64 s[16:17], -1
	s_mov_b64 s[6:7], 0
	s_cmp_gt_i32 s9, 25
	s_mov_b64 s[10:11], 0
	s_mov_b64 s[0:1], 0
	s_cbranch_scc0 .LBB160_1574
; %bb.1542:
	s_cmp_gt_i32 s9, 28
	s_cbranch_scc0 .LBB160_1557
; %bb.1543:
	s_cmp_gt_i32 s9, 43
	;; [unrolled: 3-line block ×3, first 2 shown]
	s_cbranch_scc0 .LBB160_1547
; %bb.1545:
	s_mov_b64 s[0:1], -1
	s_mov_b64 s[16:17], 0
	s_cmp_eq_u32 s9, 46
	s_cbranch_scc0 .LBB160_1547
; %bb.1546:
	v_cvt_f32_f16_e32 v1, v5
	s_movk_i32 s0, 0x7fff
	v_cmp_o_f16_e32 vcc, v5, v5
	v_mov_b32_e32 v4, 0x7fc0
	v_bfe_u32 v9, v1, 16, 1
	v_add3_u32 v1, v1, v9, s0
	v_cndmask_b32_sdwa v1, v4, v1, vcc dst_sel:DWORD dst_unused:UNUSED_PAD src0_sel:DWORD src1_sel:WORD_1
	global_store_dword v[2:3], v1, off
	s_mov_b64 s[0:1], 0
	s_mov_b64 s[10:11], -1
.LBB160_1547:
	s_and_b64 vcc, exec, s[16:17]
	s_cbranch_vccz .LBB160_1552
; %bb.1548:
	s_cmp_eq_u32 s9, 44
	s_mov_b64 s[0:1], -1
	s_cbranch_scc0 .LBB160_1552
; %bb.1549:
	v_cvt_f32_f16_e32 v1, v5
	s_movk_i32 s0, 0xff
	v_mov_b32_e32 v9, 0xff
	v_bfe_u32 v4, v1, 23, 8
	v_cmp_ne_u32_e32 vcc, s0, v4
	s_and_saveexec_b64 s[10:11], vcc
; %bb.1550:
	s_mov_b32 s0, 0x3fffff
	v_lshrrev_b32_e32 v9, 23, v1
	v_and_b32_e32 v10, 0x400000, v1
	v_and_or_b32 v1, v1, s0, v4
	v_cmp_ne_u32_e32 vcc, 0, v10
	v_cmp_ne_u32_e64 s[0:1], 0, v1
	s_and_b64 s[0:1], vcc, s[0:1]
	s_nop 0
	v_cndmask_b32_e64 v1, 0, 1, s[0:1]
	v_add_u32_e32 v9, v9, v1
; %bb.1551:
	s_or_b64 exec, exec, s[10:11]
	s_mov_b64 s[0:1], 0
	s_mov_b64 s[10:11], -1
	global_store_byte v[2:3], v9, off
.LBB160_1552:
	s_mov_b64 s[16:17], 0
.LBB160_1553:
	s_and_b64 vcc, exec, s[16:17]
	s_cbranch_vccz .LBB160_1556
; %bb.1554:
	s_cmp_eq_u32 s9, 29
	s_mov_b64 s[0:1], -1
	s_cbranch_scc0 .LBB160_1556
; %bb.1555:
	v_cvt_f32_f16_e32 v1, v5
	v_mov_b32_e32 v11, 0
	s_mov_b64 s[0:1], 0
	s_mov_b64 s[10:11], -1
	v_cvt_u32_f32_e32 v10, v1
	global_store_dwordx2 v[2:3], v[10:11], off
.LBB160_1556:
	s_mov_b64 s[16:17], 0
.LBB160_1557:
	s_and_b64 vcc, exec, s[16:17]
	s_cbranch_vccz .LBB160_1573
; %bb.1558:
	s_cmp_lt_i32 s9, 27
	s_mov_b64 s[10:11], -1
	s_cbranch_scc1 .LBB160_1564
; %bb.1559:
	s_cmp_gt_i32 s9, 27
	s_cbranch_scc0 .LBB160_1561
; %bb.1560:
	v_cvt_f32_f16_e32 v1, v5
	s_mov_b64 s[10:11], 0
	v_cvt_u32_f32_e32 v1, v1
	global_store_dword v[2:3], v1, off
.LBB160_1561:
	s_andn2_b64 vcc, exec, s[10:11]
	s_cbranch_vccnz .LBB160_1563
; %bb.1562:
	v_cvt_u16_f16_e32 v1, v5
	global_store_short v[2:3], v1, off
.LBB160_1563:
	s_mov_b64 s[10:11], 0
.LBB160_1564:
	s_andn2_b64 vcc, exec, s[10:11]
	s_cbranch_vccnz .LBB160_1572
; %bb.1565:
	v_cvt_f32_f16_e32 v1, v5
	s_mov_b32 s10, 0x43800000
	v_mov_b32_e32 v9, 0x80
	v_and_b32_e32 v4, 0x7fffffff, v1
	v_cmp_gt_u32_e32 vcc, s10, v4
	s_and_saveexec_b64 s[10:11], vcc
	s_cbranch_execz .LBB160_1571
; %bb.1566:
	s_mov_b32 s16, 0x3bffffff
	v_cmp_lt_u32_e32 vcc, s16, v4
	s_mov_b64 s[16:17], 0
                                        ; implicit-def: $vgpr4
	s_and_saveexec_b64 s[18:19], vcc
	s_xor_b64 s[18:19], exec, s[18:19]
	s_cbranch_execz .LBB160_2020
; %bb.1567:
	v_bfe_u32 v4, v1, 20, 1
	s_mov_b32 s21, 0x487ffff
	v_add3_u32 v4, v1, v4, s21
	s_mov_b64 s[16:17], exec
	v_lshrrev_b32_e32 v4, 20, v4
	s_andn2_saveexec_b64 s[18:19], s[18:19]
	s_cbranch_execnz .LBB160_2021
.LBB160_1568:
	s_or_b64 exec, exec, s[18:19]
	v_mov_b32_e32 v9, 0
	s_and_saveexec_b64 s[18:19], s[16:17]
.LBB160_1569:
	v_lshrrev_b32_e32 v1, 24, v1
	s_movk_i32 s16, 0x80
	v_and_or_b32 v9, v1, s16, v4
.LBB160_1570:
	s_or_b64 exec, exec, s[18:19]
.LBB160_1571:
	s_or_b64 exec, exec, s[10:11]
	global_store_byte v[2:3], v9, off
.LBB160_1572:
	s_mov_b64 s[10:11], -1
.LBB160_1573:
	s_mov_b64 s[16:17], 0
.LBB160_1574:
	s_and_b64 vcc, exec, s[16:17]
	s_cbranch_vccz .LBB160_1614
; %bb.1575:
	s_cmp_gt_i32 s9, 22
	s_mov_b64 s[6:7], -1
	s_cbranch_scc0 .LBB160_1607
; %bb.1576:
	s_cmp_lt_i32 s9, 24
	s_cbranch_scc1 .LBB160_1596
; %bb.1577:
	s_cmp_gt_i32 s9, 24
	s_cbranch_scc0 .LBB160_1585
; %bb.1578:
	v_cvt_f32_f16_e32 v1, v5
	s_mov_b32 s6, 0x47800000
	v_mov_b32_e32 v9, 0x80
	v_and_b32_e32 v4, 0x7fffffff, v1
	v_cmp_gt_u32_e32 vcc, s6, v4
	s_and_saveexec_b64 s[6:7], vcc
	s_cbranch_execz .LBB160_1584
; %bb.1579:
	s_mov_b32 s10, 0x37ffffff
	v_cmp_lt_u32_e32 vcc, s10, v4
	s_mov_b64 s[10:11], 0
                                        ; implicit-def: $vgpr4
	s_and_saveexec_b64 s[16:17], vcc
	s_xor_b64 s[16:17], exec, s[16:17]
	s_cbranch_execz .LBB160_2023
; %bb.1580:
	v_bfe_u32 v4, v1, 21, 1
	s_mov_b32 s18, 0x88fffff
	v_add3_u32 v4, v1, v4, s18
	s_mov_b64 s[10:11], exec
	v_lshrrev_b32_e32 v4, 21, v4
	s_andn2_saveexec_b64 s[16:17], s[16:17]
	s_cbranch_execnz .LBB160_2024
.LBB160_1581:
	s_or_b64 exec, exec, s[16:17]
	v_mov_b32_e32 v9, 0
	s_and_saveexec_b64 s[16:17], s[10:11]
.LBB160_1582:
	v_lshrrev_b32_e32 v1, 24, v1
	s_movk_i32 s10, 0x80
	v_and_or_b32 v9, v1, s10, v4
.LBB160_1583:
	s_or_b64 exec, exec, s[16:17]
.LBB160_1584:
	s_or_b64 exec, exec, s[6:7]
	s_mov_b64 s[6:7], 0
	global_store_byte v[2:3], v9, off
.LBB160_1585:
	s_and_b64 vcc, exec, s[6:7]
	s_cbranch_vccz .LBB160_1595
; %bb.1586:
	v_cvt_f32_f16_e32 v1, v5
	s_mov_b32 s6, 0x43f00000
                                        ; implicit-def: $vgpr4
	v_and_b32_e32 v9, 0x7fffffff, v1
	v_cmp_gt_u32_e32 vcc, s6, v9
	s_and_saveexec_b64 s[6:7], vcc
	s_xor_b64 s[6:7], exec, s[6:7]
	s_cbranch_execz .LBB160_1592
; %bb.1587:
	s_mov_b32 s10, 0x3c7fffff
	v_cmp_lt_u32_e32 vcc, s10, v9
                                        ; implicit-def: $vgpr4
	s_and_saveexec_b64 s[10:11], vcc
	s_xor_b64 s[10:11], exec, s[10:11]
; %bb.1588:
	v_bfe_u32 v4, v1, 20, 1
	s_mov_b32 s16, 0x407ffff
	v_add3_u32 v4, v1, v4, s16
	v_lshrrev_b32_e32 v9, 20, v4
	v_and_b32_e32 v4, 0xff00000, v4
	s_mov_b32 s16, 0x7f00000
	v_mov_b32_e32 v10, 0x7e
	v_cmp_ne_u32_e32 vcc, s16, v4
	s_nop 1
	v_cndmask_b32_e32 v4, v10, v9, vcc
; %bb.1589:
	s_andn2_saveexec_b64 s[10:11], s[10:11]
; %bb.1590:
	s_mov_b32 s16, 0x46800000
	v_add_f32_e64 v4, |v1|, s16
; %bb.1591:
	s_or_b64 exec, exec, s[10:11]
                                        ; implicit-def: $vgpr9
.LBB160_1592:
	s_andn2_saveexec_b64 s[6:7], s[6:7]
; %bb.1593:
	s_mov_b32 s10, 0x7f800000
	v_mov_b32_e32 v4, 0x7e
	v_mov_b32_e32 v10, 0x7f
	v_cmp_lt_u32_e32 vcc, s10, v9
	s_nop 1
	v_cndmask_b32_e32 v4, v4, v10, vcc
; %bb.1594:
	s_or_b64 exec, exec, s[6:7]
	v_lshrrev_b32_e32 v1, 24, v1
	s_movk_i32 s6, 0x80
	v_and_or_b32 v1, v1, s6, v4
	global_store_byte v[2:3], v1, off
.LBB160_1595:
	s_mov_b64 s[6:7], 0
.LBB160_1596:
	s_andn2_b64 vcc, exec, s[6:7]
	s_cbranch_vccnz .LBB160_1606
; %bb.1597:
	v_cvt_f32_f16_e32 v1, v5
	s_mov_b32 s6, 0x47800000
                                        ; implicit-def: $vgpr4
	v_and_b32_e32 v9, 0x7fffffff, v1
	v_cmp_gt_u32_e32 vcc, s6, v9
	s_and_saveexec_b64 s[6:7], vcc
	s_xor_b64 s[6:7], exec, s[6:7]
	s_cbranch_execz .LBB160_1603
; %bb.1598:
	s_mov_b32 s10, 0x387fffff
	v_cmp_lt_u32_e32 vcc, s10, v9
                                        ; implicit-def: $vgpr4
	s_and_saveexec_b64 s[10:11], vcc
	s_xor_b64 s[10:11], exec, s[10:11]
; %bb.1599:
	v_bfe_u32 v4, v1, 21, 1
	s_mov_b32 s16, 0x80fffff
	v_add3_u32 v4, v1, v4, s16
	v_lshrrev_b32_e32 v4, 21, v4
; %bb.1600:
	s_andn2_saveexec_b64 s[10:11], s[10:11]
; %bb.1601:
	s_mov_b32 s16, 0x43000000
	v_add_f32_e64 v4, |v1|, s16
; %bb.1602:
	s_or_b64 exec, exec, s[10:11]
                                        ; implicit-def: $vgpr9
.LBB160_1603:
	s_andn2_saveexec_b64 s[6:7], s[6:7]
; %bb.1604:
	s_mov_b32 s10, 0x7f800000
	v_mov_b32_e32 v4, 0x7c
	v_mov_b32_e32 v10, 0x7f
	v_cmp_lt_u32_e32 vcc, s10, v9
	s_nop 1
	v_cndmask_b32_e32 v4, v4, v10, vcc
; %bb.1605:
	s_or_b64 exec, exec, s[6:7]
	v_lshrrev_b32_e32 v1, 24, v1
	s_movk_i32 s6, 0x80
	v_and_or_b32 v1, v1, s6, v4
	global_store_byte v[2:3], v1, off
.LBB160_1606:
	s_mov_b64 s[6:7], 0
	s_mov_b64 s[10:11], -1
.LBB160_1607:
	s_andn2_b64 vcc, exec, s[6:7]
	s_mov_b64 s[6:7], 0
	s_cbranch_vccnz .LBB160_1614
; %bb.1608:
	s_cmp_gt_i32 s9, 14
	s_mov_b64 s[16:17], -1
	s_cbranch_scc0 .LBB160_1612
; %bb.1609:
	s_cmp_eq_u32 s9, 15
	s_mov_b64 s[0:1], -1
	s_cbranch_scc0 .LBB160_1611
; %bb.1610:
	v_cvt_f32_f16_e32 v1, v5
	s_movk_i32 s0, 0x7fff
	v_cmp_o_f16_e32 vcc, v5, v5
	v_mov_b32_e32 v4, 0x7fc0
	v_bfe_u32 v9, v1, 16, 1
	v_add3_u32 v1, v1, v9, s0
	v_cndmask_b32_sdwa v1, v4, v1, vcc dst_sel:DWORD dst_unused:UNUSED_PAD src0_sel:DWORD src1_sel:WORD_1
	global_store_short v[2:3], v1, off
	s_mov_b64 s[0:1], 0
	s_mov_b64 s[10:11], -1
.LBB160_1611:
	s_mov_b64 s[16:17], 0
.LBB160_1612:
	s_and_b64 vcc, exec, s[16:17]
	s_cbranch_vccz .LBB160_1614
; %bb.1613:
	s_cmp_lg_u32 s9, 11
	s_mov_b64 s[6:7], -1
	s_cselect_b64 s[0:1], -1, 0
.LBB160_1614:
	s_and_b64 vcc, exec, s[0:1]
	s_cbranch_vccnz .LBB160_2022
; %bb.1615:
	s_andn2_b64 vcc, exec, s[6:7]
	s_cbranch_vccnz .LBB160_1617
.LBB160_1616:
	v_cmp_neq_f16_e32 vcc, 0, v5
	s_mov_b64 s[10:11], -1
	s_nop 0
	v_cndmask_b32_e64 v1, 0, 1, vcc
	global_store_byte v[2:3], v1, off
.LBB160_1617:
	s_mov_b64 s[0:1], 0
	s_branch .LBB160_1619
.LBB160_1618:
	s_mov_b64 s[0:1], -1
	s_mov_b64 s[10:11], 0
.LBB160_1619:
	s_and_b64 vcc, exec, s[0:1]
	s_cbranch_vccz .LBB160_1658
; %bb.1620:
	s_and_b32 s6, 0xffff, s20
	s_cmp_lt_i32 s6, 5
	s_mov_b64 s[0:1], -1
	s_cbranch_scc1 .LBB160_1641
; %bb.1621:
	s_cmp_lt_i32 s6, 8
	s_cbranch_scc1 .LBB160_1631
; %bb.1622:
	s_cmp_lt_i32 s6, 9
	s_cbranch_scc1 .LBB160_1628
; %bb.1623:
	s_cmp_gt_i32 s6, 9
	s_cbranch_scc0 .LBB160_1625
; %bb.1624:
	v_cvt_f32_f16_e32 v1, v5
	v_mov_b32_e32 v12, 0
	v_mov_b32_e32 v13, v12
	s_mov_b64 s[0:1], 0
	v_cvt_f64_f32_e32 v[10:11], v1
	global_store_dwordx4 v[2:3], v[10:13], off
.LBB160_1625:
	s_andn2_b64 vcc, exec, s[0:1]
	s_cbranch_vccnz .LBB160_1627
; %bb.1626:
	v_cvt_f32_f16_e32 v10, v5
	v_mov_b32_e32 v11, 0
	global_store_dwordx2 v[2:3], v[10:11], off
.LBB160_1627:
	s_mov_b64 s[0:1], 0
.LBB160_1628:
	s_andn2_b64 vcc, exec, s[0:1]
	s_cbranch_vccnz .LBB160_1630
; %bb.1629:
	v_and_b32_e32 v1, 0xffff, v5
	global_store_dword v[2:3], v1, off
.LBB160_1630:
	s_mov_b64 s[0:1], 0
.LBB160_1631:
	s_andn2_b64 vcc, exec, s[0:1]
	s_cbranch_vccnz .LBB160_1640
; %bb.1632:
	s_cmp_lt_i32 s6, 6
	s_mov_b64 s[0:1], -1
	s_cbranch_scc1 .LBB160_1638
; %bb.1633:
	s_cmp_gt_i32 s6, 6
	s_cbranch_scc0 .LBB160_1635
; %bb.1634:
	v_cvt_f32_f16_e32 v1, v5
	s_mov_b64 s[0:1], 0
	v_cvt_f64_f32_e32 v[10:11], v1
	global_store_dwordx2 v[2:3], v[10:11], off
.LBB160_1635:
	s_andn2_b64 vcc, exec, s[0:1]
	s_cbranch_vccnz .LBB160_1637
; %bb.1636:
	v_cvt_f32_f16_e32 v1, v5
	global_store_dword v[2:3], v1, off
.LBB160_1637:
	s_mov_b64 s[0:1], 0
.LBB160_1638:
	s_andn2_b64 vcc, exec, s[0:1]
	s_cbranch_vccnz .LBB160_1640
; %bb.1639:
	global_store_short v[2:3], v5, off
.LBB160_1640:
	s_mov_b64 s[0:1], 0
.LBB160_1641:
	s_andn2_b64 vcc, exec, s[0:1]
	s_cbranch_vccnz .LBB160_1657
; %bb.1642:
	s_cmp_lt_i32 s6, 2
	s_mov_b64 s[0:1], -1
	s_cbranch_scc1 .LBB160_1652
; %bb.1643:
	s_cmp_lt_i32 s6, 3
	s_cbranch_scc1 .LBB160_1649
; %bb.1644:
	s_cmp_gt_i32 s6, 3
	s_cbranch_scc0 .LBB160_1646
; %bb.1645:
	v_cvt_f32_f16_e32 v1, v5
	s_mov_b64 s[0:1], 0
	v_cvt_i32_f32_e32 v10, v1
	v_ashrrev_i32_e32 v11, 31, v10
	global_store_dwordx2 v[2:3], v[10:11], off
.LBB160_1646:
	s_andn2_b64 vcc, exec, s[0:1]
	s_cbranch_vccnz .LBB160_1648
; %bb.1647:
	v_cvt_f32_f16_e32 v1, v5
	v_cvt_i32_f32_e32 v1, v1
	global_store_dword v[2:3], v1, off
.LBB160_1648:
	s_mov_b64 s[0:1], 0
.LBB160_1649:
	s_andn2_b64 vcc, exec, s[0:1]
	s_cbranch_vccnz .LBB160_1651
; %bb.1650:
	v_cvt_i16_f16_e32 v1, v5
	global_store_short v[2:3], v1, off
.LBB160_1651:
	s_mov_b64 s[0:1], 0
.LBB160_1652:
	s_andn2_b64 vcc, exec, s[0:1]
	s_cbranch_vccnz .LBB160_1657
; %bb.1653:
	s_cmp_gt_i32 s6, 0
	s_mov_b64 s[0:1], -1
	s_cbranch_scc0 .LBB160_1655
; %bb.1654:
	v_cvt_i16_f16_e32 v1, v5
	global_store_byte v[2:3], v1, off
	s_mov_b64 s[0:1], 0
.LBB160_1655:
	s_andn2_b64 vcc, exec, s[0:1]
	s_cbranch_vccnz .LBB160_1657
; %bb.1656:
	v_cvt_f32_f16_e32 v1, v5
	v_cvt_i32_f32_e32 v1, v1
	global_store_byte v[2:3], v1, off
.LBB160_1657:
	s_mov_b64 s[10:11], -1
.LBB160_1658:
	s_andn2_b64 vcc, exec, s[10:11]
	s_cbranch_vccnz .LBB160_1973
; %bb.1659:
	v_cvt_f32_f16_e32 v1, v6
	s_mov_b32 s0, 0xbf317218
	v_mov_b32_e32 v2, 0x3ab69700
	s_lshl_b32 s18, s8, 7
	v_mul_f32_e32 v3, 0x3fb8aa3b, v1
	v_rndne_f32_e32 v3, v3
	v_fma_mix_f32 v4, v3, s0, v6 op_sel_hi:[0,0,1]
	v_fmamk_f32 v4, v3, 0x3102e308, v4
	v_fmac_f32_e32 v2, 0x395133b1, v4
	v_fmaak_f32 v2, v4, v2, 0x3c0887f9
	v_cvt_i32_f32_e32 v5, v3
	v_fmaak_f32 v2, v4, v2, 0x3d2aaa81
	v_fmaak_f32 v2, v4, v2, 0x3e2aaaab
	v_fma_f32 v2, v4, v2, 0.5
	v_mul_f32_e32 v2, v4, v2
	s_mov_b32 s0, 0x43000000
	v_fmac_f32_e32 v4, v4, v2
	v_ldexp_f32 v2, 1.0, v5
	v_mov_b32_e32 v5, 0x7f000000
	v_cmp_eq_f32_e32 vcc, s0, v3
	s_mov_b32 s0, 0x42b17217
	v_add_u32_e32 v0, s18, v0
	v_cndmask_b32_e32 v2, v2, v5, vcc
	v_add_f32_e32 v3, -1.0, v2
	v_fmac_f32_e32 v3, v2, v4
	v_add_f32_e32 v2, v3, v3
	v_cndmask_b32_e32 v2, v3, v2, vcc
	v_mov_b32_e32 v3, 0x7f800000
	v_cmp_nlt_f32_e32 vcc, s0, v1
	s_mov_b32 s0, 0xcc40
	s_cmp_lt_i32 s20, 11
	v_cndmask_b32_e32 v1, v3, v2, vcc
	v_cvt_f16_f32_e32 v1, v1
	v_mov_b32_e32 v2, 0xbc00
	v_cmp_ngt_f16_e32 vcc, s0, v6
	s_nop 1
	v_cndmask_b32_e32 v4, v2, v1, vcc
	v_ashrrev_i32_e32 v1, 31, v0
	v_lshl_add_u64 v[2:3], s[4:5], 0, v[0:1]
	s_cbranch_scc1 .LBB160_1737
; %bb.1660:
	s_and_b32 s19, 0xffff, s20
	s_mov_b64 s[10:11], -1
	s_mov_b64 s[6:7], 0
	s_cmp_gt_i32 s19, 25
	s_mov_b64 s[8:9], 0
	s_mov_b64 s[0:1], 0
	s_cbranch_scc0 .LBB160_1693
; %bb.1661:
	s_cmp_gt_i32 s19, 28
	s_cbranch_scc0 .LBB160_1676
; %bb.1662:
	s_cmp_gt_i32 s19, 43
	;; [unrolled: 3-line block ×3, first 2 shown]
	s_cbranch_scc0 .LBB160_1666
; %bb.1664:
	s_mov_b64 s[0:1], -1
	s_mov_b64 s[10:11], 0
	s_cmp_eq_u32 s19, 46
	s_cbranch_scc0 .LBB160_1666
; %bb.1665:
	v_cvt_f32_f16_e32 v1, v4
	s_movk_i32 s0, 0x7fff
	v_cmp_o_f16_e32 vcc, v4, v4
	v_mov_b32_e32 v5, 0x7fc0
	v_bfe_u32 v6, v1, 16, 1
	v_add3_u32 v1, v1, v6, s0
	v_cndmask_b32_sdwa v1, v5, v1, vcc dst_sel:DWORD dst_unused:UNUSED_PAD src0_sel:DWORD src1_sel:WORD_1
	global_store_dword v[2:3], v1, off
	s_mov_b64 s[0:1], 0
	s_mov_b64 s[8:9], -1
.LBB160_1666:
	s_and_b64 vcc, exec, s[10:11]
	s_cbranch_vccz .LBB160_1671
; %bb.1667:
	s_cmp_eq_u32 s19, 44
	s_mov_b64 s[0:1], -1
	s_cbranch_scc0 .LBB160_1671
; %bb.1668:
	v_cvt_f32_f16_e32 v1, v4
	s_movk_i32 s0, 0xff
	v_mov_b32_e32 v6, 0xff
	v_bfe_u32 v5, v1, 23, 8
	v_cmp_ne_u32_e32 vcc, s0, v5
	s_and_saveexec_b64 s[8:9], vcc
; %bb.1669:
	s_mov_b32 s0, 0x3fffff
	v_lshrrev_b32_e32 v6, 23, v1
	v_and_b32_e32 v9, 0x400000, v1
	v_and_or_b32 v1, v1, s0, v5
	v_cmp_ne_u32_e32 vcc, 0, v9
	v_cmp_ne_u32_e64 s[0:1], 0, v1
	s_and_b64 s[0:1], vcc, s[0:1]
	s_nop 0
	v_cndmask_b32_e64 v1, 0, 1, s[0:1]
	v_add_u32_e32 v6, v6, v1
; %bb.1670:
	s_or_b64 exec, exec, s[8:9]
	s_mov_b64 s[0:1], 0
	s_mov_b64 s[8:9], -1
	global_store_byte v[2:3], v6, off
.LBB160_1671:
	s_mov_b64 s[10:11], 0
.LBB160_1672:
	s_and_b64 vcc, exec, s[10:11]
	s_cbranch_vccz .LBB160_1675
; %bb.1673:
	s_cmp_eq_u32 s19, 29
	s_mov_b64 s[0:1], -1
	s_cbranch_scc0 .LBB160_1675
; %bb.1674:
	v_cvt_f32_f16_e32 v1, v4
	v_mov_b32_e32 v11, 0
	s_mov_b64 s[0:1], 0
	s_mov_b64 s[8:9], -1
	v_cvt_u32_f32_e32 v10, v1
	global_store_dwordx2 v[2:3], v[10:11], off
.LBB160_1675:
	s_mov_b64 s[10:11], 0
.LBB160_1676:
	s_and_b64 vcc, exec, s[10:11]
	s_cbranch_vccz .LBB160_1692
; %bb.1677:
	s_cmp_lt_i32 s19, 27
	s_mov_b64 s[8:9], -1
	s_cbranch_scc1 .LBB160_1683
; %bb.1678:
	s_cmp_gt_i32 s19, 27
	s_cbranch_scc0 .LBB160_1680
; %bb.1679:
	v_cvt_f32_f16_e32 v1, v4
	s_mov_b64 s[8:9], 0
	v_cvt_u32_f32_e32 v1, v1
	global_store_dword v[2:3], v1, off
.LBB160_1680:
	s_andn2_b64 vcc, exec, s[8:9]
	s_cbranch_vccnz .LBB160_1682
; %bb.1681:
	v_cvt_u16_f16_e32 v1, v4
	global_store_short v[2:3], v1, off
.LBB160_1682:
	s_mov_b64 s[8:9], 0
.LBB160_1683:
	s_andn2_b64 vcc, exec, s[8:9]
	s_cbranch_vccnz .LBB160_1691
; %bb.1684:
	v_cvt_f32_f16_e32 v1, v4
	s_mov_b32 s8, 0x43800000
	v_mov_b32_e32 v6, 0x80
	v_and_b32_e32 v5, 0x7fffffff, v1
	v_cmp_gt_u32_e32 vcc, s8, v5
	s_and_saveexec_b64 s[8:9], vcc
	s_cbranch_execz .LBB160_1690
; %bb.1685:
	s_mov_b32 s10, 0x3bffffff
	v_cmp_lt_u32_e32 vcc, s10, v5
	s_mov_b64 s[10:11], 0
                                        ; implicit-def: $vgpr5
	s_and_saveexec_b64 s[16:17], vcc
	s_xor_b64 s[16:17], exec, s[16:17]
	s_cbranch_execz .LBB160_2025
; %bb.1686:
	v_bfe_u32 v5, v1, 20, 1
	s_mov_b32 s21, 0x487ffff
	v_add3_u32 v5, v1, v5, s21
	s_mov_b64 s[10:11], exec
	v_lshrrev_b32_e32 v5, 20, v5
	s_andn2_saveexec_b64 s[16:17], s[16:17]
	s_cbranch_execnz .LBB160_2026
.LBB160_1687:
	s_or_b64 exec, exec, s[16:17]
	v_mov_b32_e32 v6, 0
	s_and_saveexec_b64 s[16:17], s[10:11]
.LBB160_1688:
	v_lshrrev_b32_e32 v1, 24, v1
	s_movk_i32 s10, 0x80
	v_and_or_b32 v6, v1, s10, v5
.LBB160_1689:
	s_or_b64 exec, exec, s[16:17]
.LBB160_1690:
	s_or_b64 exec, exec, s[8:9]
	global_store_byte v[2:3], v6, off
.LBB160_1691:
	s_mov_b64 s[8:9], -1
.LBB160_1692:
	s_mov_b64 s[10:11], 0
.LBB160_1693:
	s_and_b64 vcc, exec, s[10:11]
	s_cbranch_vccz .LBB160_1733
; %bb.1694:
	s_cmp_gt_i32 s19, 22
	s_mov_b64 s[6:7], -1
	s_cbranch_scc0 .LBB160_1726
; %bb.1695:
	s_cmp_lt_i32 s19, 24
	s_cbranch_scc1 .LBB160_1715
; %bb.1696:
	s_cmp_gt_i32 s19, 24
	s_cbranch_scc0 .LBB160_1704
; %bb.1697:
	v_cvt_f32_f16_e32 v1, v4
	s_mov_b32 s6, 0x47800000
	v_mov_b32_e32 v6, 0x80
	v_and_b32_e32 v5, 0x7fffffff, v1
	v_cmp_gt_u32_e32 vcc, s6, v5
	s_and_saveexec_b64 s[6:7], vcc
	s_cbranch_execz .LBB160_1703
; %bb.1698:
	s_mov_b32 s8, 0x37ffffff
	v_cmp_lt_u32_e32 vcc, s8, v5
	s_mov_b64 s[8:9], 0
                                        ; implicit-def: $vgpr5
	s_and_saveexec_b64 s[10:11], vcc
	s_xor_b64 s[10:11], exec, s[10:11]
	s_cbranch_execz .LBB160_2028
; %bb.1699:
	v_bfe_u32 v5, v1, 21, 1
	s_mov_b32 s16, 0x88fffff
	v_add3_u32 v5, v1, v5, s16
	s_mov_b64 s[8:9], exec
	v_lshrrev_b32_e32 v5, 21, v5
	s_andn2_saveexec_b64 s[10:11], s[10:11]
	s_cbranch_execnz .LBB160_2029
.LBB160_1700:
	s_or_b64 exec, exec, s[10:11]
	v_mov_b32_e32 v6, 0
	s_and_saveexec_b64 s[10:11], s[8:9]
.LBB160_1701:
	v_lshrrev_b32_e32 v1, 24, v1
	s_movk_i32 s8, 0x80
	v_and_or_b32 v6, v1, s8, v5
.LBB160_1702:
	s_or_b64 exec, exec, s[10:11]
.LBB160_1703:
	s_or_b64 exec, exec, s[6:7]
	s_mov_b64 s[6:7], 0
	global_store_byte v[2:3], v6, off
.LBB160_1704:
	s_and_b64 vcc, exec, s[6:7]
	s_cbranch_vccz .LBB160_1714
; %bb.1705:
	v_cvt_f32_f16_e32 v1, v4
	s_mov_b32 s6, 0x43f00000
                                        ; implicit-def: $vgpr5
	v_and_b32_e32 v6, 0x7fffffff, v1
	v_cmp_gt_u32_e32 vcc, s6, v6
	s_and_saveexec_b64 s[6:7], vcc
	s_xor_b64 s[6:7], exec, s[6:7]
	s_cbranch_execz .LBB160_1711
; %bb.1706:
	s_mov_b32 s8, 0x3c7fffff
	v_cmp_lt_u32_e32 vcc, s8, v6
                                        ; implicit-def: $vgpr5
	s_and_saveexec_b64 s[8:9], vcc
	s_xor_b64 s[8:9], exec, s[8:9]
; %bb.1707:
	v_bfe_u32 v5, v1, 20, 1
	s_mov_b32 s10, 0x407ffff
	v_add3_u32 v5, v1, v5, s10
	v_lshrrev_b32_e32 v6, 20, v5
	v_and_b32_e32 v5, 0xff00000, v5
	s_mov_b32 s10, 0x7f00000
	v_mov_b32_e32 v9, 0x7e
	v_cmp_ne_u32_e32 vcc, s10, v5
	s_nop 1
	v_cndmask_b32_e32 v5, v9, v6, vcc
; %bb.1708:
	s_andn2_saveexec_b64 s[8:9], s[8:9]
; %bb.1709:
	s_mov_b32 s10, 0x46800000
	v_add_f32_e64 v5, |v1|, s10
; %bb.1710:
	s_or_b64 exec, exec, s[8:9]
                                        ; implicit-def: $vgpr6
.LBB160_1711:
	s_andn2_saveexec_b64 s[6:7], s[6:7]
; %bb.1712:
	s_mov_b32 s8, 0x7f800000
	v_mov_b32_e32 v5, 0x7e
	v_mov_b32_e32 v9, 0x7f
	v_cmp_lt_u32_e32 vcc, s8, v6
	s_nop 1
	v_cndmask_b32_e32 v5, v5, v9, vcc
; %bb.1713:
	s_or_b64 exec, exec, s[6:7]
	v_lshrrev_b32_e32 v1, 24, v1
	s_movk_i32 s6, 0x80
	v_and_or_b32 v1, v1, s6, v5
	global_store_byte v[2:3], v1, off
.LBB160_1714:
	s_mov_b64 s[6:7], 0
.LBB160_1715:
	s_andn2_b64 vcc, exec, s[6:7]
	s_cbranch_vccnz .LBB160_1725
; %bb.1716:
	v_cvt_f32_f16_e32 v1, v4
	s_mov_b32 s6, 0x47800000
                                        ; implicit-def: $vgpr5
	v_and_b32_e32 v6, 0x7fffffff, v1
	v_cmp_gt_u32_e32 vcc, s6, v6
	s_and_saveexec_b64 s[6:7], vcc
	s_xor_b64 s[6:7], exec, s[6:7]
	s_cbranch_execz .LBB160_1722
; %bb.1717:
	s_mov_b32 s8, 0x387fffff
	v_cmp_lt_u32_e32 vcc, s8, v6
                                        ; implicit-def: $vgpr5
	s_and_saveexec_b64 s[8:9], vcc
	s_xor_b64 s[8:9], exec, s[8:9]
; %bb.1718:
	v_bfe_u32 v5, v1, 21, 1
	s_mov_b32 s10, 0x80fffff
	v_add3_u32 v5, v1, v5, s10
	v_lshrrev_b32_e32 v5, 21, v5
; %bb.1719:
	s_andn2_saveexec_b64 s[8:9], s[8:9]
; %bb.1720:
	s_mov_b32 s10, 0x43000000
	v_add_f32_e64 v5, |v1|, s10
; %bb.1721:
	s_or_b64 exec, exec, s[8:9]
                                        ; implicit-def: $vgpr6
.LBB160_1722:
	s_andn2_saveexec_b64 s[6:7], s[6:7]
; %bb.1723:
	s_mov_b32 s8, 0x7f800000
	v_mov_b32_e32 v5, 0x7c
	v_mov_b32_e32 v9, 0x7f
	v_cmp_lt_u32_e32 vcc, s8, v6
	s_nop 1
	v_cndmask_b32_e32 v5, v5, v9, vcc
; %bb.1724:
	s_or_b64 exec, exec, s[6:7]
	v_lshrrev_b32_e32 v1, 24, v1
	s_movk_i32 s6, 0x80
	v_and_or_b32 v1, v1, s6, v5
	global_store_byte v[2:3], v1, off
.LBB160_1725:
	s_mov_b64 s[6:7], 0
	s_mov_b64 s[8:9], -1
.LBB160_1726:
	s_andn2_b64 vcc, exec, s[6:7]
	s_mov_b64 s[6:7], 0
	s_cbranch_vccnz .LBB160_1733
; %bb.1727:
	s_cmp_gt_i32 s19, 14
	s_mov_b64 s[10:11], -1
	s_cbranch_scc0 .LBB160_1731
; %bb.1728:
	s_cmp_eq_u32 s19, 15
	s_mov_b64 s[0:1], -1
	s_cbranch_scc0 .LBB160_1730
; %bb.1729:
	v_cvt_f32_f16_e32 v1, v4
	s_movk_i32 s0, 0x7fff
	v_cmp_o_f16_e32 vcc, v4, v4
	v_mov_b32_e32 v5, 0x7fc0
	v_bfe_u32 v6, v1, 16, 1
	v_add3_u32 v1, v1, v6, s0
	v_cndmask_b32_sdwa v1, v5, v1, vcc dst_sel:DWORD dst_unused:UNUSED_PAD src0_sel:DWORD src1_sel:WORD_1
	global_store_short v[2:3], v1, off
	s_mov_b64 s[0:1], 0
	s_mov_b64 s[8:9], -1
.LBB160_1730:
	s_mov_b64 s[10:11], 0
.LBB160_1731:
	s_and_b64 vcc, exec, s[10:11]
	s_cbranch_vccz .LBB160_1733
; %bb.1732:
	s_cmp_lg_u32 s19, 11
	s_mov_b64 s[6:7], -1
	s_cselect_b64 s[0:1], -1, 0
.LBB160_1733:
	s_and_b64 vcc, exec, s[0:1]
	s_cbranch_vccnz .LBB160_2027
; %bb.1734:
	s_andn2_b64 vcc, exec, s[6:7]
	s_cbranch_vccnz .LBB160_1736
.LBB160_1735:
	v_cmp_neq_f16_e32 vcc, 0, v4
	s_mov_b64 s[8:9], -1
	s_nop 0
	v_cndmask_b32_e64 v1, 0, 1, vcc
	global_store_byte v[2:3], v1, off
.LBB160_1736:
	s_mov_b64 s[0:1], 0
	s_branch .LBB160_1738
.LBB160_1737:
	s_mov_b64 s[0:1], -1
	s_mov_b64 s[8:9], 0
.LBB160_1738:
	s_and_b64 vcc, exec, s[0:1]
	s_cbranch_vccz .LBB160_1777
; %bb.1739:
	s_and_b32 s6, 0xffff, s20
	s_cmp_lt_i32 s6, 5
	s_mov_b64 s[0:1], -1
	s_cbranch_scc1 .LBB160_1760
; %bb.1740:
	s_cmp_lt_i32 s6, 8
	s_cbranch_scc1 .LBB160_1750
; %bb.1741:
	s_cmp_lt_i32 s6, 9
	s_cbranch_scc1 .LBB160_1747
; %bb.1742:
	s_cmp_gt_i32 s6, 9
	s_cbranch_scc0 .LBB160_1744
; %bb.1743:
	v_cvt_f32_f16_e32 v1, v4
	v_mov_b32_e32 v12, 0
	v_mov_b32_e32 v13, v12
	s_mov_b64 s[0:1], 0
	v_cvt_f64_f32_e32 v[10:11], v1
	global_store_dwordx4 v[2:3], v[10:13], off
.LBB160_1744:
	s_andn2_b64 vcc, exec, s[0:1]
	s_cbranch_vccnz .LBB160_1746
; %bb.1745:
	v_cvt_f32_f16_e32 v10, v4
	v_mov_b32_e32 v11, 0
	global_store_dwordx2 v[2:3], v[10:11], off
.LBB160_1746:
	s_mov_b64 s[0:1], 0
.LBB160_1747:
	s_andn2_b64 vcc, exec, s[0:1]
	s_cbranch_vccnz .LBB160_1749
; %bb.1748:
	v_and_b32_e32 v1, 0xffff, v4
	global_store_dword v[2:3], v1, off
.LBB160_1749:
	s_mov_b64 s[0:1], 0
.LBB160_1750:
	s_andn2_b64 vcc, exec, s[0:1]
	s_cbranch_vccnz .LBB160_1759
; %bb.1751:
	s_cmp_lt_i32 s6, 6
	s_mov_b64 s[0:1], -1
	s_cbranch_scc1 .LBB160_1757
; %bb.1752:
	s_cmp_gt_i32 s6, 6
	s_cbranch_scc0 .LBB160_1754
; %bb.1753:
	v_cvt_f32_f16_e32 v1, v4
	s_mov_b64 s[0:1], 0
	v_cvt_f64_f32_e32 v[10:11], v1
	global_store_dwordx2 v[2:3], v[10:11], off
.LBB160_1754:
	s_andn2_b64 vcc, exec, s[0:1]
	s_cbranch_vccnz .LBB160_1756
; %bb.1755:
	v_cvt_f32_f16_e32 v1, v4
	global_store_dword v[2:3], v1, off
.LBB160_1756:
	s_mov_b64 s[0:1], 0
.LBB160_1757:
	s_andn2_b64 vcc, exec, s[0:1]
	s_cbranch_vccnz .LBB160_1759
; %bb.1758:
	global_store_short v[2:3], v4, off
.LBB160_1759:
	s_mov_b64 s[0:1], 0
.LBB160_1760:
	s_andn2_b64 vcc, exec, s[0:1]
	s_cbranch_vccnz .LBB160_1776
; %bb.1761:
	s_cmp_lt_i32 s6, 2
	s_mov_b64 s[0:1], -1
	s_cbranch_scc1 .LBB160_1771
; %bb.1762:
	s_cmp_lt_i32 s6, 3
	s_cbranch_scc1 .LBB160_1768
; %bb.1763:
	s_cmp_gt_i32 s6, 3
	s_cbranch_scc0 .LBB160_1765
; %bb.1764:
	v_cvt_f32_f16_e32 v1, v4
	s_mov_b64 s[0:1], 0
	v_cvt_i32_f32_e32 v10, v1
	v_ashrrev_i32_e32 v11, 31, v10
	global_store_dwordx2 v[2:3], v[10:11], off
.LBB160_1765:
	s_andn2_b64 vcc, exec, s[0:1]
	s_cbranch_vccnz .LBB160_1767
; %bb.1766:
	v_cvt_f32_f16_e32 v1, v4
	v_cvt_i32_f32_e32 v1, v1
	global_store_dword v[2:3], v1, off
.LBB160_1767:
	s_mov_b64 s[0:1], 0
.LBB160_1768:
	s_andn2_b64 vcc, exec, s[0:1]
	s_cbranch_vccnz .LBB160_1770
; %bb.1769:
	v_cvt_i16_f16_e32 v1, v4
	global_store_short v[2:3], v1, off
.LBB160_1770:
	s_mov_b64 s[0:1], 0
.LBB160_1771:
	s_andn2_b64 vcc, exec, s[0:1]
	s_cbranch_vccnz .LBB160_1776
; %bb.1772:
	s_cmp_gt_i32 s6, 0
	s_mov_b64 s[0:1], -1
	s_cbranch_scc0 .LBB160_1774
; %bb.1773:
	v_cvt_i16_f16_e32 v1, v4
	global_store_byte v[2:3], v1, off
	s_mov_b64 s[0:1], 0
.LBB160_1774:
	s_andn2_b64 vcc, exec, s[0:1]
	s_cbranch_vccnz .LBB160_1776
; %bb.1775:
	v_cvt_f32_f16_e32 v1, v4
	v_cvt_i32_f32_e32 v1, v1
	global_store_byte v[2:3], v1, off
.LBB160_1776:
	s_mov_b64 s[8:9], -1
.LBB160_1777:
	s_andn2_b64 vcc, exec, s[8:9]
	s_cbranch_vccnz .LBB160_1973
; %bb.1778:
	v_cvt_f32_f16_e32 v1, v7
	s_mov_b32 s0, 0xbf317218
	v_mov_b32_e32 v2, 0x3ab69700
	v_add_u32_e32 v0, s18, v0
	v_mul_f32_e32 v3, 0x3fb8aa3b, v1
	v_rndne_f32_e32 v3, v3
	v_fma_mix_f32 v4, v3, s0, v7 op_sel_hi:[0,0,1]
	v_fmamk_f32 v4, v3, 0x3102e308, v4
	v_fmac_f32_e32 v2, 0x395133b1, v4
	v_fmaak_f32 v2, v4, v2, 0x3c0887f9
	v_cvt_i32_f32_e32 v5, v3
	v_fmaak_f32 v2, v4, v2, 0x3d2aaa81
	v_fmaak_f32 v2, v4, v2, 0x3e2aaaab
	v_fma_f32 v2, v4, v2, 0.5
	v_mul_f32_e32 v2, v4, v2
	s_mov_b32 s0, 0x43000000
	v_fmac_f32_e32 v4, v4, v2
	v_ldexp_f32 v2, 1.0, v5
	v_mov_b32_e32 v5, 0x7f000000
	v_cmp_eq_f32_e32 vcc, s0, v3
	s_mov_b32 s0, 0x42b17217
	s_cmp_lt_i32 s20, 11
	v_cndmask_b32_e32 v2, v2, v5, vcc
	v_add_f32_e32 v3, -1.0, v2
	v_fmac_f32_e32 v3, v2, v4
	v_add_f32_e32 v2, v3, v3
	v_cndmask_b32_e32 v2, v3, v2, vcc
	v_mov_b32_e32 v3, 0x7f800000
	v_cmp_nlt_f32_e32 vcc, s0, v1
	s_mov_b32 s0, 0xcc40
	s_nop 0
	v_cndmask_b32_e32 v1, v3, v2, vcc
	v_cvt_f16_f32_e32 v1, v1
	v_mov_b32_e32 v2, 0xbc00
	v_cmp_ngt_f16_e32 vcc, s0, v7
	s_nop 1
	v_cndmask_b32_e32 v4, v2, v1, vcc
	v_ashrrev_i32_e32 v1, 31, v0
	v_lshl_add_u64 v[2:3], s[4:5], 0, v[0:1]
	s_cbranch_scc1 .LBB160_1856
; %bb.1779:
	s_and_b32 s19, 0xffff, s20
	s_mov_b64 s[10:11], -1
	s_mov_b64 s[6:7], 0
	s_cmp_gt_i32 s19, 25
	s_mov_b64 s[8:9], 0
	s_mov_b64 s[0:1], 0
	s_cbranch_scc0 .LBB160_1812
; %bb.1780:
	s_cmp_gt_i32 s19, 28
	s_cbranch_scc0 .LBB160_1795
; %bb.1781:
	s_cmp_gt_i32 s19, 43
	;; [unrolled: 3-line block ×3, first 2 shown]
	s_cbranch_scc0 .LBB160_1785
; %bb.1783:
	s_mov_b64 s[0:1], -1
	s_mov_b64 s[10:11], 0
	s_cmp_eq_u32 s19, 46
	s_cbranch_scc0 .LBB160_1785
; %bb.1784:
	v_cvt_f32_f16_e32 v1, v4
	s_movk_i32 s0, 0x7fff
	v_cmp_o_f16_e32 vcc, v4, v4
	v_mov_b32_e32 v5, 0x7fc0
	v_bfe_u32 v6, v1, 16, 1
	v_add3_u32 v1, v1, v6, s0
	v_cndmask_b32_sdwa v1, v5, v1, vcc dst_sel:DWORD dst_unused:UNUSED_PAD src0_sel:DWORD src1_sel:WORD_1
	global_store_dword v[2:3], v1, off
	s_mov_b64 s[0:1], 0
	s_mov_b64 s[8:9], -1
.LBB160_1785:
	s_and_b64 vcc, exec, s[10:11]
	s_cbranch_vccz .LBB160_1790
; %bb.1786:
	s_cmp_eq_u32 s19, 44
	s_mov_b64 s[0:1], -1
	s_cbranch_scc0 .LBB160_1790
; %bb.1787:
	v_cvt_f32_f16_e32 v1, v4
	s_movk_i32 s0, 0xff
	v_mov_b32_e32 v6, 0xff
	v_bfe_u32 v5, v1, 23, 8
	v_cmp_ne_u32_e32 vcc, s0, v5
	s_and_saveexec_b64 s[8:9], vcc
; %bb.1788:
	s_mov_b32 s0, 0x3fffff
	v_lshrrev_b32_e32 v6, 23, v1
	v_and_b32_e32 v7, 0x400000, v1
	v_and_or_b32 v1, v1, s0, v5
	v_cmp_ne_u32_e32 vcc, 0, v7
	v_cmp_ne_u32_e64 s[0:1], 0, v1
	s_and_b64 s[0:1], vcc, s[0:1]
	s_nop 0
	v_cndmask_b32_e64 v1, 0, 1, s[0:1]
	v_add_u32_e32 v6, v6, v1
; %bb.1789:
	s_or_b64 exec, exec, s[8:9]
	s_mov_b64 s[0:1], 0
	s_mov_b64 s[8:9], -1
	global_store_byte v[2:3], v6, off
.LBB160_1790:
	s_mov_b64 s[10:11], 0
.LBB160_1791:
	s_and_b64 vcc, exec, s[10:11]
	s_cbranch_vccz .LBB160_1794
; %bb.1792:
	s_cmp_eq_u32 s19, 29
	s_mov_b64 s[0:1], -1
	s_cbranch_scc0 .LBB160_1794
; %bb.1793:
	v_cvt_f32_f16_e32 v1, v4
	v_mov_b32_e32 v7, 0
	s_mov_b64 s[0:1], 0
	s_mov_b64 s[8:9], -1
	v_cvt_u32_f32_e32 v6, v1
	global_store_dwordx2 v[2:3], v[6:7], off
.LBB160_1794:
	s_mov_b64 s[10:11], 0
.LBB160_1795:
	s_and_b64 vcc, exec, s[10:11]
	s_cbranch_vccz .LBB160_1811
; %bb.1796:
	s_cmp_lt_i32 s19, 27
	s_mov_b64 s[8:9], -1
	s_cbranch_scc1 .LBB160_1802
; %bb.1797:
	s_cmp_gt_i32 s19, 27
	s_cbranch_scc0 .LBB160_1799
; %bb.1798:
	v_cvt_f32_f16_e32 v1, v4
	s_mov_b64 s[8:9], 0
	v_cvt_u32_f32_e32 v1, v1
	global_store_dword v[2:3], v1, off
.LBB160_1799:
	s_andn2_b64 vcc, exec, s[8:9]
	s_cbranch_vccnz .LBB160_1801
; %bb.1800:
	v_cvt_u16_f16_e32 v1, v4
	global_store_short v[2:3], v1, off
.LBB160_1801:
	s_mov_b64 s[8:9], 0
.LBB160_1802:
	s_andn2_b64 vcc, exec, s[8:9]
	s_cbranch_vccnz .LBB160_1810
; %bb.1803:
	v_cvt_f32_f16_e32 v1, v4
	s_mov_b32 s8, 0x43800000
	v_mov_b32_e32 v6, 0x80
	v_and_b32_e32 v5, 0x7fffffff, v1
	v_cmp_gt_u32_e32 vcc, s8, v5
	s_and_saveexec_b64 s[8:9], vcc
	s_cbranch_execz .LBB160_1809
; %bb.1804:
	s_mov_b32 s10, 0x3bffffff
	v_cmp_lt_u32_e32 vcc, s10, v5
	s_mov_b64 s[10:11], 0
                                        ; implicit-def: $vgpr5
	s_and_saveexec_b64 s[16:17], vcc
	s_xor_b64 s[16:17], exec, s[16:17]
	s_cbranch_execz .LBB160_2030
; %bb.1805:
	v_bfe_u32 v5, v1, 20, 1
	s_mov_b32 s21, 0x487ffff
	v_add3_u32 v5, v1, v5, s21
	s_mov_b64 s[10:11], exec
	v_lshrrev_b32_e32 v5, 20, v5
	s_andn2_saveexec_b64 s[16:17], s[16:17]
	s_cbranch_execnz .LBB160_2031
.LBB160_1806:
	s_or_b64 exec, exec, s[16:17]
	v_mov_b32_e32 v6, 0
	s_and_saveexec_b64 s[16:17], s[10:11]
.LBB160_1807:
	v_lshrrev_b32_e32 v1, 24, v1
	s_movk_i32 s10, 0x80
	v_and_or_b32 v6, v1, s10, v5
.LBB160_1808:
	s_or_b64 exec, exec, s[16:17]
.LBB160_1809:
	s_or_b64 exec, exec, s[8:9]
	global_store_byte v[2:3], v6, off
.LBB160_1810:
	s_mov_b64 s[8:9], -1
.LBB160_1811:
	s_mov_b64 s[10:11], 0
.LBB160_1812:
	s_and_b64 vcc, exec, s[10:11]
	s_cbranch_vccz .LBB160_1852
; %bb.1813:
	s_cmp_gt_i32 s19, 22
	s_mov_b64 s[6:7], -1
	s_cbranch_scc0 .LBB160_1845
; %bb.1814:
	s_cmp_lt_i32 s19, 24
	s_cbranch_scc1 .LBB160_1834
; %bb.1815:
	s_cmp_gt_i32 s19, 24
	s_cbranch_scc0 .LBB160_1823
; %bb.1816:
	v_cvt_f32_f16_e32 v1, v4
	s_mov_b32 s6, 0x47800000
	v_mov_b32_e32 v6, 0x80
	v_and_b32_e32 v5, 0x7fffffff, v1
	v_cmp_gt_u32_e32 vcc, s6, v5
	s_and_saveexec_b64 s[6:7], vcc
	s_cbranch_execz .LBB160_1822
; %bb.1817:
	s_mov_b32 s8, 0x37ffffff
	v_cmp_lt_u32_e32 vcc, s8, v5
	s_mov_b64 s[8:9], 0
                                        ; implicit-def: $vgpr5
	s_and_saveexec_b64 s[10:11], vcc
	s_xor_b64 s[10:11], exec, s[10:11]
	s_cbranch_execz .LBB160_2033
; %bb.1818:
	v_bfe_u32 v5, v1, 21, 1
	s_mov_b32 s16, 0x88fffff
	v_add3_u32 v5, v1, v5, s16
	s_mov_b64 s[8:9], exec
	v_lshrrev_b32_e32 v5, 21, v5
	s_andn2_saveexec_b64 s[10:11], s[10:11]
	s_cbranch_execnz .LBB160_2034
.LBB160_1819:
	s_or_b64 exec, exec, s[10:11]
	v_mov_b32_e32 v6, 0
	s_and_saveexec_b64 s[10:11], s[8:9]
.LBB160_1820:
	v_lshrrev_b32_e32 v1, 24, v1
	s_movk_i32 s8, 0x80
	v_and_or_b32 v6, v1, s8, v5
.LBB160_1821:
	s_or_b64 exec, exec, s[10:11]
.LBB160_1822:
	s_or_b64 exec, exec, s[6:7]
	s_mov_b64 s[6:7], 0
	global_store_byte v[2:3], v6, off
.LBB160_1823:
	s_and_b64 vcc, exec, s[6:7]
	s_cbranch_vccz .LBB160_1833
; %bb.1824:
	v_cvt_f32_f16_e32 v1, v4
	s_mov_b32 s6, 0x43f00000
                                        ; implicit-def: $vgpr5
	v_and_b32_e32 v6, 0x7fffffff, v1
	v_cmp_gt_u32_e32 vcc, s6, v6
	s_and_saveexec_b64 s[6:7], vcc
	s_xor_b64 s[6:7], exec, s[6:7]
	s_cbranch_execz .LBB160_1830
; %bb.1825:
	s_mov_b32 s8, 0x3c7fffff
	v_cmp_lt_u32_e32 vcc, s8, v6
                                        ; implicit-def: $vgpr5
	s_and_saveexec_b64 s[8:9], vcc
	s_xor_b64 s[8:9], exec, s[8:9]
; %bb.1826:
	v_bfe_u32 v5, v1, 20, 1
	s_mov_b32 s10, 0x407ffff
	v_add3_u32 v5, v1, v5, s10
	v_lshrrev_b32_e32 v6, 20, v5
	v_and_b32_e32 v5, 0xff00000, v5
	s_mov_b32 s10, 0x7f00000
	v_mov_b32_e32 v7, 0x7e
	v_cmp_ne_u32_e32 vcc, s10, v5
	s_nop 1
	v_cndmask_b32_e32 v5, v7, v6, vcc
; %bb.1827:
	s_andn2_saveexec_b64 s[8:9], s[8:9]
; %bb.1828:
	s_mov_b32 s10, 0x46800000
	v_add_f32_e64 v5, |v1|, s10
; %bb.1829:
	s_or_b64 exec, exec, s[8:9]
                                        ; implicit-def: $vgpr6
.LBB160_1830:
	s_andn2_saveexec_b64 s[6:7], s[6:7]
; %bb.1831:
	s_mov_b32 s8, 0x7f800000
	v_mov_b32_e32 v5, 0x7e
	v_mov_b32_e32 v7, 0x7f
	v_cmp_lt_u32_e32 vcc, s8, v6
	s_nop 1
	v_cndmask_b32_e32 v5, v5, v7, vcc
; %bb.1832:
	s_or_b64 exec, exec, s[6:7]
	v_lshrrev_b32_e32 v1, 24, v1
	s_movk_i32 s6, 0x80
	v_and_or_b32 v1, v1, s6, v5
	global_store_byte v[2:3], v1, off
.LBB160_1833:
	s_mov_b64 s[6:7], 0
.LBB160_1834:
	s_andn2_b64 vcc, exec, s[6:7]
	s_cbranch_vccnz .LBB160_1844
; %bb.1835:
	v_cvt_f32_f16_e32 v1, v4
	s_mov_b32 s6, 0x47800000
                                        ; implicit-def: $vgpr5
	v_and_b32_e32 v6, 0x7fffffff, v1
	v_cmp_gt_u32_e32 vcc, s6, v6
	s_and_saveexec_b64 s[6:7], vcc
	s_xor_b64 s[6:7], exec, s[6:7]
	s_cbranch_execz .LBB160_1841
; %bb.1836:
	s_mov_b32 s8, 0x387fffff
	v_cmp_lt_u32_e32 vcc, s8, v6
                                        ; implicit-def: $vgpr5
	s_and_saveexec_b64 s[8:9], vcc
	s_xor_b64 s[8:9], exec, s[8:9]
; %bb.1837:
	v_bfe_u32 v5, v1, 21, 1
	s_mov_b32 s10, 0x80fffff
	v_add3_u32 v5, v1, v5, s10
	v_lshrrev_b32_e32 v5, 21, v5
; %bb.1838:
	s_andn2_saveexec_b64 s[8:9], s[8:9]
; %bb.1839:
	s_mov_b32 s10, 0x43000000
	v_add_f32_e64 v5, |v1|, s10
; %bb.1840:
	s_or_b64 exec, exec, s[8:9]
                                        ; implicit-def: $vgpr6
.LBB160_1841:
	s_andn2_saveexec_b64 s[6:7], s[6:7]
; %bb.1842:
	s_mov_b32 s8, 0x7f800000
	v_mov_b32_e32 v5, 0x7c
	v_mov_b32_e32 v7, 0x7f
	v_cmp_lt_u32_e32 vcc, s8, v6
	s_nop 1
	v_cndmask_b32_e32 v5, v5, v7, vcc
; %bb.1843:
	s_or_b64 exec, exec, s[6:7]
	v_lshrrev_b32_e32 v1, 24, v1
	s_movk_i32 s6, 0x80
	v_and_or_b32 v1, v1, s6, v5
	global_store_byte v[2:3], v1, off
.LBB160_1844:
	s_mov_b64 s[6:7], 0
	s_mov_b64 s[8:9], -1
.LBB160_1845:
	s_andn2_b64 vcc, exec, s[6:7]
	s_mov_b64 s[6:7], 0
	s_cbranch_vccnz .LBB160_1852
; %bb.1846:
	s_cmp_gt_i32 s19, 14
	s_mov_b64 s[10:11], -1
	s_cbranch_scc0 .LBB160_1850
; %bb.1847:
	s_cmp_eq_u32 s19, 15
	s_mov_b64 s[0:1], -1
	s_cbranch_scc0 .LBB160_1849
; %bb.1848:
	v_cvt_f32_f16_e32 v1, v4
	s_movk_i32 s0, 0x7fff
	v_cmp_o_f16_e32 vcc, v4, v4
	v_mov_b32_e32 v5, 0x7fc0
	v_bfe_u32 v6, v1, 16, 1
	v_add3_u32 v1, v1, v6, s0
	v_cndmask_b32_sdwa v1, v5, v1, vcc dst_sel:DWORD dst_unused:UNUSED_PAD src0_sel:DWORD src1_sel:WORD_1
	global_store_short v[2:3], v1, off
	s_mov_b64 s[0:1], 0
	s_mov_b64 s[8:9], -1
.LBB160_1849:
	s_mov_b64 s[10:11], 0
.LBB160_1850:
	s_and_b64 vcc, exec, s[10:11]
	s_cbranch_vccz .LBB160_1852
; %bb.1851:
	s_cmp_lg_u32 s19, 11
	s_mov_b64 s[6:7], -1
	s_cselect_b64 s[0:1], -1, 0
.LBB160_1852:
	s_and_b64 vcc, exec, s[0:1]
	s_cbranch_vccnz .LBB160_2032
; %bb.1853:
	s_andn2_b64 vcc, exec, s[6:7]
	s_cbranch_vccnz .LBB160_1855
.LBB160_1854:
	v_cmp_neq_f16_e32 vcc, 0, v4
	s_mov_b64 s[8:9], -1
	s_nop 0
	v_cndmask_b32_e64 v1, 0, 1, vcc
	global_store_byte v[2:3], v1, off
.LBB160_1855:
	s_mov_b64 s[0:1], 0
	s_branch .LBB160_1857
.LBB160_1856:
	s_mov_b64 s[0:1], -1
	s_mov_b64 s[8:9], 0
.LBB160_1857:
	s_and_b64 vcc, exec, s[0:1]
	s_cbranch_vccz .LBB160_1896
; %bb.1858:
	s_and_b32 s6, 0xffff, s20
	s_cmp_lt_i32 s6, 5
	s_mov_b64 s[0:1], -1
	s_cbranch_scc1 .LBB160_1879
; %bb.1859:
	s_cmp_lt_i32 s6, 8
	s_cbranch_scc1 .LBB160_1869
; %bb.1860:
	s_cmp_lt_i32 s6, 9
	s_cbranch_scc1 .LBB160_1866
; %bb.1861:
	s_cmp_gt_i32 s6, 9
	s_cbranch_scc0 .LBB160_1863
; %bb.1862:
	v_cvt_f32_f16_e32 v1, v4
	v_mov_b32_e32 v12, 0
	v_mov_b32_e32 v13, v12
	s_mov_b64 s[0:1], 0
	v_cvt_f64_f32_e32 v[10:11], v1
	global_store_dwordx4 v[2:3], v[10:13], off
.LBB160_1863:
	s_andn2_b64 vcc, exec, s[0:1]
	s_cbranch_vccnz .LBB160_1865
; %bb.1864:
	v_cvt_f32_f16_e32 v6, v4
	v_mov_b32_e32 v7, 0
	global_store_dwordx2 v[2:3], v[6:7], off
.LBB160_1865:
	s_mov_b64 s[0:1], 0
.LBB160_1866:
	s_andn2_b64 vcc, exec, s[0:1]
	s_cbranch_vccnz .LBB160_1868
; %bb.1867:
	v_and_b32_e32 v1, 0xffff, v4
	global_store_dword v[2:3], v1, off
.LBB160_1868:
	s_mov_b64 s[0:1], 0
.LBB160_1869:
	s_andn2_b64 vcc, exec, s[0:1]
	s_cbranch_vccnz .LBB160_1878
; %bb.1870:
	s_cmp_lt_i32 s6, 6
	s_mov_b64 s[0:1], -1
	s_cbranch_scc1 .LBB160_1876
; %bb.1871:
	s_cmp_gt_i32 s6, 6
	s_cbranch_scc0 .LBB160_1873
; %bb.1872:
	v_cvt_f32_f16_e32 v1, v4
	s_mov_b64 s[0:1], 0
	v_cvt_f64_f32_e32 v[6:7], v1
	global_store_dwordx2 v[2:3], v[6:7], off
.LBB160_1873:
	s_andn2_b64 vcc, exec, s[0:1]
	s_cbranch_vccnz .LBB160_1875
; %bb.1874:
	v_cvt_f32_f16_e32 v1, v4
	global_store_dword v[2:3], v1, off
.LBB160_1875:
	s_mov_b64 s[0:1], 0
.LBB160_1876:
	s_andn2_b64 vcc, exec, s[0:1]
	s_cbranch_vccnz .LBB160_1878
; %bb.1877:
	global_store_short v[2:3], v4, off
.LBB160_1878:
	s_mov_b64 s[0:1], 0
.LBB160_1879:
	s_andn2_b64 vcc, exec, s[0:1]
	s_cbranch_vccnz .LBB160_1895
; %bb.1880:
	s_cmp_lt_i32 s6, 2
	s_mov_b64 s[0:1], -1
	s_cbranch_scc1 .LBB160_1890
; %bb.1881:
	s_cmp_lt_i32 s6, 3
	s_cbranch_scc1 .LBB160_1887
; %bb.1882:
	s_cmp_gt_i32 s6, 3
	s_cbranch_scc0 .LBB160_1884
; %bb.1883:
	v_cvt_f32_f16_e32 v1, v4
	s_mov_b64 s[0:1], 0
	v_cvt_i32_f32_e32 v6, v1
	v_ashrrev_i32_e32 v7, 31, v6
	global_store_dwordx2 v[2:3], v[6:7], off
.LBB160_1884:
	s_andn2_b64 vcc, exec, s[0:1]
	s_cbranch_vccnz .LBB160_1886
; %bb.1885:
	v_cvt_f32_f16_e32 v1, v4
	v_cvt_i32_f32_e32 v1, v1
	global_store_dword v[2:3], v1, off
.LBB160_1886:
	s_mov_b64 s[0:1], 0
.LBB160_1887:
	s_andn2_b64 vcc, exec, s[0:1]
	s_cbranch_vccnz .LBB160_1889
; %bb.1888:
	v_cvt_i16_f16_e32 v1, v4
	global_store_short v[2:3], v1, off
.LBB160_1889:
	s_mov_b64 s[0:1], 0
.LBB160_1890:
	s_andn2_b64 vcc, exec, s[0:1]
	s_cbranch_vccnz .LBB160_1895
; %bb.1891:
	s_cmp_gt_i32 s6, 0
	s_mov_b64 s[0:1], -1
	s_cbranch_scc0 .LBB160_1893
; %bb.1892:
	v_cvt_i16_f16_e32 v1, v4
	global_store_byte v[2:3], v1, off
	s_mov_b64 s[0:1], 0
.LBB160_1893:
	s_andn2_b64 vcc, exec, s[0:1]
	s_cbranch_vccnz .LBB160_1895
; %bb.1894:
	v_cvt_f32_f16_e32 v1, v4
	v_cvt_i32_f32_e32 v1, v1
	global_store_byte v[2:3], v1, off
.LBB160_1895:
	s_mov_b64 s[8:9], -1
.LBB160_1896:
	s_andn2_b64 vcc, exec, s[8:9]
	s_cbranch_vccnz .LBB160_1973
; %bb.1897:
	v_cvt_f32_f16_e32 v1, v8
	s_mov_b32 s0, 0xbf317218
	v_mov_b32_e32 v2, 0x3ab69700
	v_add_u32_e32 v0, s18, v0
	v_mul_f32_e32 v3, 0x3fb8aa3b, v1
	v_rndne_f32_e32 v3, v3
	v_fma_mix_f32 v4, v3, s0, v8 op_sel_hi:[0,0,1]
	v_fmamk_f32 v4, v3, 0x3102e308, v4
	v_fmac_f32_e32 v2, 0x395133b1, v4
	v_fmaak_f32 v2, v4, v2, 0x3c0887f9
	v_cvt_i32_f32_e32 v5, v3
	v_fmaak_f32 v2, v4, v2, 0x3d2aaa81
	v_fmaak_f32 v2, v4, v2, 0x3e2aaaab
	v_fma_f32 v2, v4, v2, 0.5
	v_mul_f32_e32 v2, v4, v2
	s_mov_b32 s0, 0x43000000
	v_fmac_f32_e32 v4, v4, v2
	v_ldexp_f32 v2, 1.0, v5
	v_mov_b32_e32 v5, 0x7f000000
	v_cmp_eq_f32_e32 vcc, s0, v3
	s_mov_b32 s0, 0x42b17217
	s_cmp_lt_i32 s20, 11
	v_cndmask_b32_e32 v2, v2, v5, vcc
	v_add_f32_e32 v3, -1.0, v2
	v_fmac_f32_e32 v3, v2, v4
	v_add_f32_e32 v2, v3, v3
	v_cndmask_b32_e32 v2, v3, v2, vcc
	v_mov_b32_e32 v3, 0x7f800000
	v_cmp_nlt_f32_e32 vcc, s0, v1
	s_mov_b32 s0, 0xcc40
	s_nop 0
	v_cndmask_b32_e32 v1, v3, v2, vcc
	v_cvt_f16_f32_e32 v1, v1
	v_mov_b32_e32 v2, 0xbc00
	v_cmp_ngt_f16_e32 vcc, s0, v8
	s_nop 1
	v_cndmask_b32_e32 v2, v2, v1, vcc
	v_ashrrev_i32_e32 v1, 31, v0
	v_lshl_add_u64 v[0:1], s[4:5], 0, v[0:1]
	s_cbranch_scc1 .LBB160_2018
; %bb.1898:
	s_and_b32 s16, 0xffff, s20
	s_mov_b64 s[6:7], -1
	s_mov_b64 s[4:5], 0
	s_cmp_gt_i32 s16, 25
	s_mov_b64 s[0:1], 0
	s_cbranch_scc0 .LBB160_1931
; %bb.1899:
	s_cmp_gt_i32 s16, 28
	s_cbranch_scc0 .LBB160_1915
; %bb.1900:
	s_cmp_gt_i32 s16, 43
	;; [unrolled: 3-line block ×3, first 2 shown]
	s_cbranch_scc0 .LBB160_1905
; %bb.1902:
	s_cmp_eq_u32 s16, 46
	s_mov_b64 s[0:1], -1
	s_cbranch_scc0 .LBB160_1904
; %bb.1903:
	v_cvt_f32_f16_e32 v3, v2
	s_movk_i32 s0, 0x7fff
	v_cmp_o_f16_e32 vcc, v2, v2
	v_mov_b32_e32 v4, 0x7fc0
	v_bfe_u32 v5, v3, 16, 1
	v_add3_u32 v3, v3, v5, s0
	v_cndmask_b32_sdwa v3, v4, v3, vcc dst_sel:DWORD dst_unused:UNUSED_PAD src0_sel:DWORD src1_sel:WORD_1
	global_store_dword v[0:1], v3, off
	s_mov_b64 s[0:1], 0
.LBB160_1904:
	s_mov_b64 s[6:7], 0
.LBB160_1905:
	s_and_b64 vcc, exec, s[6:7]
	s_cbranch_vccz .LBB160_1910
; %bb.1906:
	s_cmp_eq_u32 s16, 44
	s_mov_b64 s[0:1], -1
	s_cbranch_scc0 .LBB160_1910
; %bb.1907:
	v_cvt_f32_f16_e32 v3, v2
	s_movk_i32 s0, 0xff
	v_mov_b32_e32 v5, 0xff
	v_bfe_u32 v4, v3, 23, 8
	v_cmp_ne_u32_e32 vcc, s0, v4
	s_and_saveexec_b64 s[6:7], vcc
; %bb.1908:
	s_mov_b32 s0, 0x3fffff
	v_lshrrev_b32_e32 v5, 23, v3
	v_and_b32_e32 v6, 0x400000, v3
	v_and_or_b32 v3, v3, s0, v4
	v_cmp_ne_u32_e32 vcc, 0, v6
	v_cmp_ne_u32_e64 s[0:1], 0, v3
	s_and_b64 s[0:1], vcc, s[0:1]
	s_nop 0
	v_cndmask_b32_e64 v3, 0, 1, s[0:1]
	v_add_u32_e32 v5, v5, v3
; %bb.1909:
	s_or_b64 exec, exec, s[6:7]
	s_mov_b64 s[0:1], 0
	global_store_byte v[0:1], v5, off
.LBB160_1910:
	s_mov_b64 s[6:7], 0
.LBB160_1911:
	s_and_b64 vcc, exec, s[6:7]
	s_cbranch_vccz .LBB160_1914
; %bb.1912:
	s_cmp_eq_u32 s16, 29
	s_mov_b64 s[0:1], -1
	s_cbranch_scc0 .LBB160_1914
; %bb.1913:
	v_cvt_f32_f16_e32 v3, v2
	v_mov_b32_e32 v5, 0
	s_mov_b64 s[0:1], 0
	v_cvt_u32_f32_e32 v4, v3
	global_store_dwordx2 v[0:1], v[4:5], off
.LBB160_1914:
	s_mov_b64 s[6:7], 0
.LBB160_1915:
	s_and_b64 vcc, exec, s[6:7]
	s_cbranch_vccz .LBB160_1930
; %bb.1916:
	s_cmp_lt_i32 s16, 27
	s_mov_b64 s[6:7], -1
	s_cbranch_scc1 .LBB160_1922
; %bb.1917:
	s_cmp_gt_i32 s16, 27
	s_cbranch_scc0 .LBB160_1919
; %bb.1918:
	v_cvt_f32_f16_e32 v3, v2
	s_mov_b64 s[6:7], 0
	v_cvt_u32_f32_e32 v3, v3
	global_store_dword v[0:1], v3, off
.LBB160_1919:
	s_andn2_b64 vcc, exec, s[6:7]
	s_cbranch_vccnz .LBB160_1921
; %bb.1920:
	v_cvt_u16_f16_e32 v3, v2
	global_store_short v[0:1], v3, off
.LBB160_1921:
	s_mov_b64 s[6:7], 0
.LBB160_1922:
	s_andn2_b64 vcc, exec, s[6:7]
	s_cbranch_vccnz .LBB160_1930
; %bb.1923:
	v_cvt_f32_f16_e32 v3, v2
	s_mov_b32 s6, 0x43800000
	v_mov_b32_e32 v5, 0x80
	v_and_b32_e32 v4, 0x7fffffff, v3
	v_cmp_gt_u32_e32 vcc, s6, v4
	s_and_saveexec_b64 s[6:7], vcc
	s_cbranch_execz .LBB160_1929
; %bb.1924:
	s_mov_b32 s8, 0x3bffffff
	v_cmp_lt_u32_e32 vcc, s8, v4
	s_mov_b64 s[8:9], 0
                                        ; implicit-def: $vgpr4
	s_and_saveexec_b64 s[10:11], vcc
	s_xor_b64 s[10:11], exec, s[10:11]
	s_cbranch_execz .LBB160_2035
; %bb.1925:
	v_bfe_u32 v4, v3, 20, 1
	s_mov_b32 s17, 0x487ffff
	v_add3_u32 v4, v3, v4, s17
	s_mov_b64 s[8:9], exec
	v_lshrrev_b32_e32 v4, 20, v4
	s_andn2_saveexec_b64 s[10:11], s[10:11]
	s_cbranch_execnz .LBB160_2036
.LBB160_1926:
	s_or_b64 exec, exec, s[10:11]
	v_mov_b32_e32 v5, 0
	s_and_saveexec_b64 s[10:11], s[8:9]
.LBB160_1927:
	v_lshrrev_b32_e32 v3, 24, v3
	s_movk_i32 s8, 0x80
	v_and_or_b32 v5, v3, s8, v4
.LBB160_1928:
	s_or_b64 exec, exec, s[10:11]
.LBB160_1929:
	s_or_b64 exec, exec, s[6:7]
	global_store_byte v[0:1], v5, off
.LBB160_1930:
	s_mov_b64 s[6:7], 0
.LBB160_1931:
	s_and_b64 vcc, exec, s[6:7]
	s_cbranch_vccz .LBB160_1971
; %bb.1932:
	s_cmp_gt_i32 s16, 22
	s_mov_b64 s[4:5], -1
	s_cbranch_scc0 .LBB160_1964
; %bb.1933:
	s_cmp_lt_i32 s16, 24
	s_cbranch_scc1 .LBB160_1953
; %bb.1934:
	s_cmp_gt_i32 s16, 24
	s_cbranch_scc0 .LBB160_1942
; %bb.1935:
	v_cvt_f32_f16_e32 v3, v2
	s_mov_b32 s4, 0x47800000
	v_mov_b32_e32 v5, 0x80
	v_and_b32_e32 v4, 0x7fffffff, v3
	v_cmp_gt_u32_e32 vcc, s4, v4
	s_and_saveexec_b64 s[4:5], vcc
	s_cbranch_execz .LBB160_1941
; %bb.1936:
	s_mov_b32 s6, 0x37ffffff
	v_cmp_lt_u32_e32 vcc, s6, v4
	s_mov_b64 s[6:7], 0
                                        ; implicit-def: $vgpr4
	s_and_saveexec_b64 s[8:9], vcc
	s_xor_b64 s[8:9], exec, s[8:9]
	s_cbranch_execz .LBB160_2038
; %bb.1937:
	v_bfe_u32 v4, v3, 21, 1
	s_mov_b32 s10, 0x88fffff
	v_add3_u32 v4, v3, v4, s10
	s_mov_b64 s[6:7], exec
	v_lshrrev_b32_e32 v4, 21, v4
	s_andn2_saveexec_b64 s[8:9], s[8:9]
	s_cbranch_execnz .LBB160_2039
.LBB160_1938:
	s_or_b64 exec, exec, s[8:9]
	v_mov_b32_e32 v5, 0
	s_and_saveexec_b64 s[8:9], s[6:7]
.LBB160_1939:
	v_lshrrev_b32_e32 v3, 24, v3
	s_movk_i32 s6, 0x80
	v_and_or_b32 v5, v3, s6, v4
.LBB160_1940:
	s_or_b64 exec, exec, s[8:9]
.LBB160_1941:
	s_or_b64 exec, exec, s[4:5]
	s_mov_b64 s[4:5], 0
	global_store_byte v[0:1], v5, off
.LBB160_1942:
	s_and_b64 vcc, exec, s[4:5]
	s_cbranch_vccz .LBB160_1952
; %bb.1943:
	v_cvt_f32_f16_e32 v3, v2
	s_mov_b32 s4, 0x43f00000
                                        ; implicit-def: $vgpr4
	v_and_b32_e32 v5, 0x7fffffff, v3
	v_cmp_gt_u32_e32 vcc, s4, v5
	s_and_saveexec_b64 s[4:5], vcc
	s_xor_b64 s[4:5], exec, s[4:5]
	s_cbranch_execz .LBB160_1949
; %bb.1944:
	s_mov_b32 s6, 0x3c7fffff
	v_cmp_lt_u32_e32 vcc, s6, v5
                                        ; implicit-def: $vgpr4
	s_and_saveexec_b64 s[6:7], vcc
	s_xor_b64 s[6:7], exec, s[6:7]
; %bb.1945:
	v_bfe_u32 v4, v3, 20, 1
	s_mov_b32 s8, 0x407ffff
	v_add3_u32 v4, v3, v4, s8
	v_lshrrev_b32_e32 v5, 20, v4
	v_and_b32_e32 v4, 0xff00000, v4
	s_mov_b32 s8, 0x7f00000
	v_mov_b32_e32 v6, 0x7e
	v_cmp_ne_u32_e32 vcc, s8, v4
	s_nop 1
	v_cndmask_b32_e32 v4, v6, v5, vcc
; %bb.1946:
	s_andn2_saveexec_b64 s[6:7], s[6:7]
; %bb.1947:
	s_mov_b32 s8, 0x46800000
	v_add_f32_e64 v4, |v3|, s8
; %bb.1948:
	s_or_b64 exec, exec, s[6:7]
                                        ; implicit-def: $vgpr5
.LBB160_1949:
	s_andn2_saveexec_b64 s[4:5], s[4:5]
; %bb.1950:
	s_mov_b32 s6, 0x7f800000
	v_mov_b32_e32 v4, 0x7e
	v_mov_b32_e32 v6, 0x7f
	v_cmp_lt_u32_e32 vcc, s6, v5
	s_nop 1
	v_cndmask_b32_e32 v4, v4, v6, vcc
; %bb.1951:
	s_or_b64 exec, exec, s[4:5]
	v_lshrrev_b32_e32 v3, 24, v3
	s_movk_i32 s4, 0x80
	v_and_or_b32 v3, v3, s4, v4
	global_store_byte v[0:1], v3, off
.LBB160_1952:
	s_mov_b64 s[4:5], 0
.LBB160_1953:
	s_andn2_b64 vcc, exec, s[4:5]
	s_cbranch_vccnz .LBB160_1963
; %bb.1954:
	v_cvt_f32_f16_e32 v3, v2
	s_mov_b32 s4, 0x47800000
                                        ; implicit-def: $vgpr4
	v_and_b32_e32 v5, 0x7fffffff, v3
	v_cmp_gt_u32_e32 vcc, s4, v5
	s_and_saveexec_b64 s[4:5], vcc
	s_xor_b64 s[4:5], exec, s[4:5]
	s_cbranch_execz .LBB160_1960
; %bb.1955:
	s_mov_b32 s6, 0x387fffff
	v_cmp_lt_u32_e32 vcc, s6, v5
                                        ; implicit-def: $vgpr4
	s_and_saveexec_b64 s[6:7], vcc
	s_xor_b64 s[6:7], exec, s[6:7]
; %bb.1956:
	v_bfe_u32 v4, v3, 21, 1
	s_mov_b32 s8, 0x80fffff
	v_add3_u32 v4, v3, v4, s8
	v_lshrrev_b32_e32 v4, 21, v4
; %bb.1957:
	s_andn2_saveexec_b64 s[6:7], s[6:7]
; %bb.1958:
	s_mov_b32 s8, 0x43000000
	v_add_f32_e64 v4, |v3|, s8
; %bb.1959:
	s_or_b64 exec, exec, s[6:7]
                                        ; implicit-def: $vgpr5
.LBB160_1960:
	s_andn2_saveexec_b64 s[4:5], s[4:5]
; %bb.1961:
	s_mov_b32 s6, 0x7f800000
	v_mov_b32_e32 v4, 0x7c
	v_mov_b32_e32 v6, 0x7f
	v_cmp_lt_u32_e32 vcc, s6, v5
	s_nop 1
	v_cndmask_b32_e32 v4, v4, v6, vcc
; %bb.1962:
	s_or_b64 exec, exec, s[4:5]
	v_lshrrev_b32_e32 v3, 24, v3
	s_movk_i32 s4, 0x80
	v_and_or_b32 v3, v3, s4, v4
	global_store_byte v[0:1], v3, off
.LBB160_1963:
	s_mov_b64 s[4:5], 0
.LBB160_1964:
	s_andn2_b64 vcc, exec, s[4:5]
	s_mov_b64 s[4:5], 0
	s_cbranch_vccnz .LBB160_1971
; %bb.1965:
	s_cmp_gt_i32 s16, 14
	s_mov_b64 s[6:7], -1
	s_cbranch_scc0 .LBB160_1969
; %bb.1966:
	s_cmp_eq_u32 s16, 15
	s_mov_b64 s[0:1], -1
	s_cbranch_scc0 .LBB160_1968
; %bb.1967:
	v_cvt_f32_f16_e32 v3, v2
	s_movk_i32 s0, 0x7fff
	v_cmp_o_f16_e32 vcc, v2, v2
	v_mov_b32_e32 v4, 0x7fc0
	v_bfe_u32 v5, v3, 16, 1
	v_add3_u32 v3, v3, v5, s0
	v_cndmask_b32_sdwa v3, v4, v3, vcc dst_sel:DWORD dst_unused:UNUSED_PAD src0_sel:DWORD src1_sel:WORD_1
	global_store_short v[0:1], v3, off
	s_mov_b64 s[0:1], 0
.LBB160_1968:
	s_mov_b64 s[6:7], 0
.LBB160_1969:
	s_and_b64 vcc, exec, s[6:7]
	s_cbranch_vccz .LBB160_1971
; %bb.1970:
	s_cmp_lg_u32 s16, 11
	s_mov_b64 s[4:5], -1
	s_cselect_b64 s[0:1], -1, 0
.LBB160_1971:
	s_and_b64 vcc, exec, s[0:1]
	s_cbranch_vccnz .LBB160_2037
.LBB160_1972:
	s_mov_b64 s[0:1], 0
	s_branch .LBB160_1974
.LBB160_1973:
	s_mov_b64 s[0:1], 0
	s_mov_b64 s[4:5], 0
                                        ; implicit-def: $sgpr20
                                        ; implicit-def: $vgpr0_vgpr1
                                        ; implicit-def: $vgpr2
.LBB160_1974:
	s_and_b64 s[10:11], s[4:5], exec
	s_andn2_b64 s[4:5], s[12:13], exec
	s_and_b64 s[6:7], s[14:15], exec
	s_and_b64 s[0:1], s[0:1], exec
	s_or_b64 s[12:13], s[4:5], s[6:7]
.LBB160_1975:
	s_or_b64 exec, exec, s[2:3]
	s_and_saveexec_b64 s[2:3], s[12:13]
	s_cbranch_execz .LBB160_1978
; %bb.1976:
	; divergent unreachable
	s_or_b64 exec, exec, s[2:3]
	s_and_saveexec_b64 s[2:3], s[10:11]
	s_xor_b64 s[2:3], exec, s[2:3]
	s_cbranch_execnz .LBB160_1979
.LBB160_1977:
	s_or_b64 exec, exec, s[2:3]
	s_and_saveexec_b64 s[2:3], s[0:1]
	s_cbranch_execnz .LBB160_1980
	s_branch .LBB160_2017
.LBB160_1978:
	s_or_b64 exec, exec, s[2:3]
	s_and_saveexec_b64 s[2:3], s[10:11]
	s_xor_b64 s[2:3], exec, s[2:3]
	s_cbranch_execz .LBB160_1977
.LBB160_1979:
	s_waitcnt vmcnt(0)
	v_cmp_neq_f16_e32 vcc, 0, v2
	s_nop 1
	v_cndmask_b32_e64 v3, 0, 1, vcc
	global_store_byte v[0:1], v3, off
	s_or_b64 exec, exec, s[2:3]
	s_and_saveexec_b64 s[2:3], s[0:1]
	s_cbranch_execz .LBB160_2017
.LBB160_1980:
	s_sext_i32_i16 s2, s20
	s_cmp_lt_i32 s2, 5
	s_mov_b64 s[0:1], -1
	s_cbranch_scc1 .LBB160_2001
; %bb.1981:
	s_cmp_lt_i32 s2, 8
	s_cbranch_scc1 .LBB160_1991
; %bb.1982:
	s_cmp_lt_i32 s2, 9
	s_cbranch_scc1 .LBB160_1988
; %bb.1983:
	s_cmp_gt_i32 s2, 9
	s_cbranch_scc0 .LBB160_1985
; %bb.1984:
	s_waitcnt vmcnt(0)
	v_cvt_f32_f16_e32 v3, v2
	v_mov_b32_e32 v6, 0
	v_mov_b32_e32 v7, v6
	s_mov_b64 s[0:1], 0
	v_cvt_f64_f32_e32 v[4:5], v3
	global_store_dwordx4 v[0:1], v[4:7], off
.LBB160_1985:
	s_andn2_b64 vcc, exec, s[0:1]
	s_cbranch_vccnz .LBB160_1987
; %bb.1986:
	s_waitcnt vmcnt(0)
	v_cvt_f32_f16_e32 v4, v2
	v_mov_b32_e32 v5, 0
	global_store_dwordx2 v[0:1], v[4:5], off
.LBB160_1987:
	s_mov_b64 s[0:1], 0
.LBB160_1988:
	s_andn2_b64 vcc, exec, s[0:1]
	s_cbranch_vccnz .LBB160_1990
; %bb.1989:
	s_waitcnt vmcnt(0)
	v_and_b32_e32 v3, 0xffff, v2
	global_store_dword v[0:1], v3, off
.LBB160_1990:
	s_mov_b64 s[0:1], 0
.LBB160_1991:
	s_andn2_b64 vcc, exec, s[0:1]
	s_cbranch_vccnz .LBB160_2000
; %bb.1992:
	s_sext_i32_i16 s2, s20
	s_cmp_lt_i32 s2, 6
	s_mov_b64 s[0:1], -1
	s_cbranch_scc1 .LBB160_1998
; %bb.1993:
	s_cmp_gt_i32 s2, 6
	s_cbranch_scc0 .LBB160_1995
; %bb.1994:
	s_waitcnt vmcnt(0)
	v_cvt_f32_f16_e32 v3, v2
	s_mov_b64 s[0:1], 0
	v_cvt_f64_f32_e32 v[4:5], v3
	global_store_dwordx2 v[0:1], v[4:5], off
.LBB160_1995:
	s_andn2_b64 vcc, exec, s[0:1]
	s_cbranch_vccnz .LBB160_1997
; %bb.1996:
	s_waitcnt vmcnt(0)
	v_cvt_f32_f16_e32 v3, v2
	global_store_dword v[0:1], v3, off
.LBB160_1997:
	s_mov_b64 s[0:1], 0
.LBB160_1998:
	s_andn2_b64 vcc, exec, s[0:1]
	s_cbranch_vccnz .LBB160_2000
; %bb.1999:
	s_waitcnt vmcnt(0)
	global_store_short v[0:1], v2, off
.LBB160_2000:
	s_mov_b64 s[0:1], 0
.LBB160_2001:
	s_andn2_b64 vcc, exec, s[0:1]
	s_cbranch_vccnz .LBB160_2017
; %bb.2002:
	s_sext_i32_i16 s2, s20
	s_cmp_lt_i32 s2, 2
	s_mov_b64 s[0:1], -1
	s_cbranch_scc1 .LBB160_2012
; %bb.2003:
	s_cmp_lt_i32 s2, 3
	s_cbranch_scc1 .LBB160_2009
; %bb.2004:
	s_cmp_gt_i32 s2, 3
	s_cbranch_scc0 .LBB160_2006
; %bb.2005:
	s_waitcnt vmcnt(0)
	v_cvt_f32_f16_e32 v3, v2
	s_mov_b64 s[0:1], 0
	v_cvt_i32_f32_e32 v4, v3
	v_ashrrev_i32_e32 v5, 31, v4
	global_store_dwordx2 v[0:1], v[4:5], off
.LBB160_2006:
	s_andn2_b64 vcc, exec, s[0:1]
	s_cbranch_vccnz .LBB160_2008
; %bb.2007:
	s_waitcnt vmcnt(0)
	v_cvt_f32_f16_e32 v3, v2
	v_cvt_i32_f32_e32 v3, v3
	global_store_dword v[0:1], v3, off
.LBB160_2008:
	s_mov_b64 s[0:1], 0
.LBB160_2009:
	s_andn2_b64 vcc, exec, s[0:1]
	s_cbranch_vccnz .LBB160_2011
; %bb.2010:
	s_waitcnt vmcnt(0)
	v_cvt_i16_f16_e32 v3, v2
	global_store_short v[0:1], v3, off
.LBB160_2011:
	s_mov_b64 s[0:1], 0
.LBB160_2012:
	s_andn2_b64 vcc, exec, s[0:1]
	s_cbranch_vccnz .LBB160_2017
; %bb.2013:
	s_sext_i32_i16 s0, s20
	s_cmp_gt_i32 s0, 0
	s_mov_b64 s[0:1], -1
	s_cbranch_scc0 .LBB160_2015
; %bb.2014:
	s_waitcnt vmcnt(0)
	v_cvt_i16_f16_e32 v3, v2
	global_store_byte v[0:1], v3, off
	s_mov_b64 s[0:1], 0
.LBB160_2015:
	s_andn2_b64 vcc, exec, s[0:1]
	s_cbranch_vccnz .LBB160_2017
; %bb.2016:
	s_waitcnt vmcnt(0)
	v_cvt_f32_f16_e32 v2, v2
	v_cvt_i32_f32_e32 v2, v2
	global_store_byte v[0:1], v2, off
	s_endpgm
.LBB160_2017:
	s_endpgm
.LBB160_2018:
	s_mov_b64 s[4:5], 0
	s_mov_b64 s[0:1], -1
	s_branch .LBB160_1974
.LBB160_2019:
	s_trap 2
	s_or_b64 s[14:15], s[14:15], exec
	s_cbranch_execz .LBB160_1488
	s_branch .LBB160_1489
.LBB160_2020:
	s_andn2_saveexec_b64 s[18:19], s[18:19]
	s_cbranch_execz .LBB160_1568
.LBB160_2021:
	s_mov_b32 s21, 0x46000000
	v_add_f32_e64 v4, |v1|, s21
	v_and_b32_e32 v4, 0xff, v4
	v_cmp_ne_u32_e32 vcc, 0, v4
	s_andn2_b64 s[16:17], s[16:17], exec
	s_and_b64 s[22:23], vcc, exec
	s_or_b64 s[16:17], s[16:17], s[22:23]
	s_or_b64 exec, exec, s[18:19]
	v_mov_b32_e32 v9, 0
	s_and_saveexec_b64 s[18:19], s[16:17]
	s_cbranch_execnz .LBB160_1569
	s_branch .LBB160_1570
.LBB160_2022:
	s_trap 2
	s_or_b64 s[14:15], s[14:15], exec
	s_cbranch_execz .LBB160_1616
	s_branch .LBB160_1617
.LBB160_2023:
	s_andn2_saveexec_b64 s[16:17], s[16:17]
	s_cbranch_execz .LBB160_1581
.LBB160_2024:
	s_mov_b32 s18, 0x42800000
	v_add_f32_e64 v4, |v1|, s18
	v_and_b32_e32 v4, 0xff, v4
	v_cmp_ne_u32_e32 vcc, 0, v4
	s_andn2_b64 s[10:11], s[10:11], exec
	s_and_b64 s[18:19], vcc, exec
	s_or_b64 s[10:11], s[10:11], s[18:19]
	s_or_b64 exec, exec, s[16:17]
	v_mov_b32_e32 v9, 0
	s_and_saveexec_b64 s[16:17], s[10:11]
	s_cbranch_execnz .LBB160_1582
	s_branch .LBB160_1583
.LBB160_2025:
	s_andn2_saveexec_b64 s[16:17], s[16:17]
	s_cbranch_execz .LBB160_1687
.LBB160_2026:
	s_mov_b32 s21, 0x46000000
	v_add_f32_e64 v5, |v1|, s21
	v_and_b32_e32 v5, 0xff, v5
	v_cmp_ne_u32_e32 vcc, 0, v5
	s_andn2_b64 s[10:11], s[10:11], exec
	s_and_b64 s[22:23], vcc, exec
	s_or_b64 s[10:11], s[10:11], s[22:23]
	s_or_b64 exec, exec, s[16:17]
	v_mov_b32_e32 v6, 0
	s_and_saveexec_b64 s[16:17], s[10:11]
	s_cbranch_execnz .LBB160_1688
	s_branch .LBB160_1689
.LBB160_2027:
	s_trap 2
	s_or_b64 s[14:15], s[14:15], exec
	s_cbranch_execz .LBB160_1735
	s_branch .LBB160_1736
.LBB160_2028:
	s_andn2_saveexec_b64 s[10:11], s[10:11]
	s_cbranch_execz .LBB160_1700
.LBB160_2029:
	s_mov_b32 s16, 0x42800000
	v_add_f32_e64 v5, |v1|, s16
	v_and_b32_e32 v5, 0xff, v5
	v_cmp_ne_u32_e32 vcc, 0, v5
	s_andn2_b64 s[8:9], s[8:9], exec
	s_and_b64 s[16:17], vcc, exec
	s_or_b64 s[8:9], s[8:9], s[16:17]
	s_or_b64 exec, exec, s[10:11]
	v_mov_b32_e32 v6, 0
	s_and_saveexec_b64 s[10:11], s[8:9]
	s_cbranch_execnz .LBB160_1701
	s_branch .LBB160_1702
.LBB160_2030:
	s_andn2_saveexec_b64 s[16:17], s[16:17]
	s_cbranch_execz .LBB160_1806
.LBB160_2031:
	s_mov_b32 s21, 0x46000000
	v_add_f32_e64 v5, |v1|, s21
	v_and_b32_e32 v5, 0xff, v5
	v_cmp_ne_u32_e32 vcc, 0, v5
	s_andn2_b64 s[10:11], s[10:11], exec
	s_and_b64 s[22:23], vcc, exec
	s_or_b64 s[10:11], s[10:11], s[22:23]
	s_or_b64 exec, exec, s[16:17]
	v_mov_b32_e32 v6, 0
	s_and_saveexec_b64 s[16:17], s[10:11]
	s_cbranch_execnz .LBB160_1807
	s_branch .LBB160_1808
.LBB160_2032:
	s_trap 2
	s_or_b64 s[14:15], s[14:15], exec
	s_cbranch_execz .LBB160_1854
	s_branch .LBB160_1855
.LBB160_2033:
	s_andn2_saveexec_b64 s[10:11], s[10:11]
	s_cbranch_execz .LBB160_1819
.LBB160_2034:
	s_mov_b32 s16, 0x42800000
	v_add_f32_e64 v5, |v1|, s16
	v_and_b32_e32 v5, 0xff, v5
	v_cmp_ne_u32_e32 vcc, 0, v5
	s_andn2_b64 s[8:9], s[8:9], exec
	s_and_b64 s[16:17], vcc, exec
	s_or_b64 s[8:9], s[8:9], s[16:17]
	s_or_b64 exec, exec, s[10:11]
	v_mov_b32_e32 v6, 0
	s_and_saveexec_b64 s[10:11], s[8:9]
	s_cbranch_execnz .LBB160_1820
	s_branch .LBB160_1821
.LBB160_2035:
	s_andn2_saveexec_b64 s[10:11], s[10:11]
	s_cbranch_execz .LBB160_1926
.LBB160_2036:
	s_mov_b32 s17, 0x46000000
	v_add_f32_e64 v4, |v3|, s17
	v_and_b32_e32 v4, 0xff, v4
	v_cmp_ne_u32_e32 vcc, 0, v4
	s_andn2_b64 s[8:9], s[8:9], exec
	s_and_b64 s[18:19], vcc, exec
	s_or_b64 s[8:9], s[8:9], s[18:19]
	s_or_b64 exec, exec, s[10:11]
	v_mov_b32_e32 v5, 0
	s_and_saveexec_b64 s[10:11], s[8:9]
	s_cbranch_execnz .LBB160_1927
	s_branch .LBB160_1928
.LBB160_2037:
	s_mov_b64 s[4:5], 0
	s_or_b64 s[14:15], s[14:15], exec
	s_trap 2
	s_branch .LBB160_1972
.LBB160_2038:
	s_andn2_saveexec_b64 s[8:9], s[8:9]
	s_cbranch_execz .LBB160_1938
.LBB160_2039:
	s_mov_b32 s10, 0x42800000
	v_add_f32_e64 v4, |v3|, s10
	v_and_b32_e32 v4, 0xff, v4
	v_cmp_ne_u32_e32 vcc, 0, v4
	s_andn2_b64 s[6:7], s[6:7], exec
	s_and_b64 s[10:11], vcc, exec
	s_or_b64 s[6:7], s[6:7], s[10:11]
	s_or_b64 exec, exec, s[8:9]
	v_mov_b32_e32 v5, 0
	s_and_saveexec_b64 s[8:9], s[6:7]
	s_cbranch_execnz .LBB160_1939
	s_branch .LBB160_1940
	.section	.rodata,"a",@progbits
	.p2align	6, 0x0
	.amdhsa_kernel _ZN2at6native32elementwise_kernel_manual_unrollILi128ELi4EZNS0_15gpu_kernel_implIZZZNS0_17expm1_kernel_cudaERNS_18TensorIteratorBaseEENKUlvE_clEvENKUlvE4_clEvEUlN3c104HalfEE_EEvS4_RKT_EUlibE_EEviT1_
		.amdhsa_group_segment_fixed_size 0
		.amdhsa_private_segment_fixed_size 0
		.amdhsa_kernarg_size 40
		.amdhsa_user_sgpr_count 2
		.amdhsa_user_sgpr_dispatch_ptr 0
		.amdhsa_user_sgpr_queue_ptr 0
		.amdhsa_user_sgpr_kernarg_segment_ptr 1
		.amdhsa_user_sgpr_dispatch_id 0
		.amdhsa_user_sgpr_kernarg_preload_length 0
		.amdhsa_user_sgpr_kernarg_preload_offset 0
		.amdhsa_user_sgpr_private_segment_size 0
		.amdhsa_uses_dynamic_stack 0
		.amdhsa_enable_private_segment 0
		.amdhsa_system_sgpr_workgroup_id_x 1
		.amdhsa_system_sgpr_workgroup_id_y 0
		.amdhsa_system_sgpr_workgroup_id_z 0
		.amdhsa_system_sgpr_workgroup_info 0
		.amdhsa_system_vgpr_workitem_id 0
		.amdhsa_next_free_vgpr 14
		.amdhsa_next_free_sgpr 44
		.amdhsa_accum_offset 16
		.amdhsa_reserve_vcc 1
		.amdhsa_float_round_mode_32 0
		.amdhsa_float_round_mode_16_64 0
		.amdhsa_float_denorm_mode_32 3
		.amdhsa_float_denorm_mode_16_64 3
		.amdhsa_dx10_clamp 1
		.amdhsa_ieee_mode 1
		.amdhsa_fp16_overflow 0
		.amdhsa_tg_split 0
		.amdhsa_exception_fp_ieee_invalid_op 0
		.amdhsa_exception_fp_denorm_src 0
		.amdhsa_exception_fp_ieee_div_zero 0
		.amdhsa_exception_fp_ieee_overflow 0
		.amdhsa_exception_fp_ieee_underflow 0
		.amdhsa_exception_fp_ieee_inexact 0
		.amdhsa_exception_int_div_zero 0
	.end_amdhsa_kernel
	.section	.text._ZN2at6native32elementwise_kernel_manual_unrollILi128ELi4EZNS0_15gpu_kernel_implIZZZNS0_17expm1_kernel_cudaERNS_18TensorIteratorBaseEENKUlvE_clEvENKUlvE4_clEvEUlN3c104HalfEE_EEvS4_RKT_EUlibE_EEviT1_,"axG",@progbits,_ZN2at6native32elementwise_kernel_manual_unrollILi128ELi4EZNS0_15gpu_kernel_implIZZZNS0_17expm1_kernel_cudaERNS_18TensorIteratorBaseEENKUlvE_clEvENKUlvE4_clEvEUlN3c104HalfEE_EEvS4_RKT_EUlibE_EEviT1_,comdat
.Lfunc_end160:
	.size	_ZN2at6native32elementwise_kernel_manual_unrollILi128ELi4EZNS0_15gpu_kernel_implIZZZNS0_17expm1_kernel_cudaERNS_18TensorIteratorBaseEENKUlvE_clEvENKUlvE4_clEvEUlN3c104HalfEE_EEvS4_RKT_EUlibE_EEviT1_, .Lfunc_end160-_ZN2at6native32elementwise_kernel_manual_unrollILi128ELi4EZNS0_15gpu_kernel_implIZZZNS0_17expm1_kernel_cudaERNS_18TensorIteratorBaseEENKUlvE_clEvENKUlvE4_clEvEUlN3c104HalfEE_EEvS4_RKT_EUlibE_EEviT1_
                                        ; -- End function
	.set _ZN2at6native32elementwise_kernel_manual_unrollILi128ELi4EZNS0_15gpu_kernel_implIZZZNS0_17expm1_kernel_cudaERNS_18TensorIteratorBaseEENKUlvE_clEvENKUlvE4_clEvEUlN3c104HalfEE_EEvS4_RKT_EUlibE_EEviT1_.num_vgpr, 14
	.set _ZN2at6native32elementwise_kernel_manual_unrollILi128ELi4EZNS0_15gpu_kernel_implIZZZNS0_17expm1_kernel_cudaERNS_18TensorIteratorBaseEENKUlvE_clEvENKUlvE4_clEvEUlN3c104HalfEE_EEvS4_RKT_EUlibE_EEviT1_.num_agpr, 0
	.set _ZN2at6native32elementwise_kernel_manual_unrollILi128ELi4EZNS0_15gpu_kernel_implIZZZNS0_17expm1_kernel_cudaERNS_18TensorIteratorBaseEENKUlvE_clEvENKUlvE4_clEvEUlN3c104HalfEE_EEvS4_RKT_EUlibE_EEviT1_.numbered_sgpr, 44
	.set _ZN2at6native32elementwise_kernel_manual_unrollILi128ELi4EZNS0_15gpu_kernel_implIZZZNS0_17expm1_kernel_cudaERNS_18TensorIteratorBaseEENKUlvE_clEvENKUlvE4_clEvEUlN3c104HalfEE_EEvS4_RKT_EUlibE_EEviT1_.num_named_barrier, 0
	.set _ZN2at6native32elementwise_kernel_manual_unrollILi128ELi4EZNS0_15gpu_kernel_implIZZZNS0_17expm1_kernel_cudaERNS_18TensorIteratorBaseEENKUlvE_clEvENKUlvE4_clEvEUlN3c104HalfEE_EEvS4_RKT_EUlibE_EEviT1_.private_seg_size, 0
	.set _ZN2at6native32elementwise_kernel_manual_unrollILi128ELi4EZNS0_15gpu_kernel_implIZZZNS0_17expm1_kernel_cudaERNS_18TensorIteratorBaseEENKUlvE_clEvENKUlvE4_clEvEUlN3c104HalfEE_EEvS4_RKT_EUlibE_EEviT1_.uses_vcc, 1
	.set _ZN2at6native32elementwise_kernel_manual_unrollILi128ELi4EZNS0_15gpu_kernel_implIZZZNS0_17expm1_kernel_cudaERNS_18TensorIteratorBaseEENKUlvE_clEvENKUlvE4_clEvEUlN3c104HalfEE_EEvS4_RKT_EUlibE_EEviT1_.uses_flat_scratch, 0
	.set _ZN2at6native32elementwise_kernel_manual_unrollILi128ELi4EZNS0_15gpu_kernel_implIZZZNS0_17expm1_kernel_cudaERNS_18TensorIteratorBaseEENKUlvE_clEvENKUlvE4_clEvEUlN3c104HalfEE_EEvS4_RKT_EUlibE_EEviT1_.has_dyn_sized_stack, 0
	.set _ZN2at6native32elementwise_kernel_manual_unrollILi128ELi4EZNS0_15gpu_kernel_implIZZZNS0_17expm1_kernel_cudaERNS_18TensorIteratorBaseEENKUlvE_clEvENKUlvE4_clEvEUlN3c104HalfEE_EEvS4_RKT_EUlibE_EEviT1_.has_recursion, 0
	.set _ZN2at6native32elementwise_kernel_manual_unrollILi128ELi4EZNS0_15gpu_kernel_implIZZZNS0_17expm1_kernel_cudaERNS_18TensorIteratorBaseEENKUlvE_clEvENKUlvE4_clEvEUlN3c104HalfEE_EEvS4_RKT_EUlibE_EEviT1_.has_indirect_call, 0
	.section	.AMDGPU.csdata,"",@progbits
; Kernel info:
; codeLenInByte = 37788
; TotalNumSgprs: 50
; NumVgprs: 14
; NumAgprs: 0
; TotalNumVgprs: 14
; ScratchSize: 0
; MemoryBound: 0
; FloatMode: 240
; IeeeMode: 1
; LDSByteSize: 0 bytes/workgroup (compile time only)
; SGPRBlocks: 6
; VGPRBlocks: 1
; NumSGPRsForWavesPerEU: 50
; NumVGPRsForWavesPerEU: 14
; AccumOffset: 16
; Occupancy: 8
; WaveLimiterHint : 0
; COMPUTE_PGM_RSRC2:SCRATCH_EN: 0
; COMPUTE_PGM_RSRC2:USER_SGPR: 2
; COMPUTE_PGM_RSRC2:TRAP_HANDLER: 0
; COMPUTE_PGM_RSRC2:TGID_X_EN: 1
; COMPUTE_PGM_RSRC2:TGID_Y_EN: 0
; COMPUTE_PGM_RSRC2:TGID_Z_EN: 0
; COMPUTE_PGM_RSRC2:TIDIG_COMP_CNT: 0
; COMPUTE_PGM_RSRC3_GFX90A:ACCUM_OFFSET: 3
; COMPUTE_PGM_RSRC3_GFX90A:TG_SPLIT: 0
	.section	.text._ZN2at6native32elementwise_kernel_manual_unrollILi128ELi4EZNS0_15gpu_kernel_implIZZZNS0_17expm1_kernel_cudaERNS_18TensorIteratorBaseEENKUlvE_clEvENKUlvE4_clEvEUlN3c104HalfEE_EEvS4_RKT_EUlibE0_EEviT1_,"axG",@progbits,_ZN2at6native32elementwise_kernel_manual_unrollILi128ELi4EZNS0_15gpu_kernel_implIZZZNS0_17expm1_kernel_cudaERNS_18TensorIteratorBaseEENKUlvE_clEvENKUlvE4_clEvEUlN3c104HalfEE_EEvS4_RKT_EUlibE0_EEviT1_,comdat
	.globl	_ZN2at6native32elementwise_kernel_manual_unrollILi128ELi4EZNS0_15gpu_kernel_implIZZZNS0_17expm1_kernel_cudaERNS_18TensorIteratorBaseEENKUlvE_clEvENKUlvE4_clEvEUlN3c104HalfEE_EEvS4_RKT_EUlibE0_EEviT1_ ; -- Begin function _ZN2at6native32elementwise_kernel_manual_unrollILi128ELi4EZNS0_15gpu_kernel_implIZZZNS0_17expm1_kernel_cudaERNS_18TensorIteratorBaseEENKUlvE_clEvENKUlvE4_clEvEUlN3c104HalfEE_EEvS4_RKT_EUlibE0_EEviT1_
	.p2align	8
	.type	_ZN2at6native32elementwise_kernel_manual_unrollILi128ELi4EZNS0_15gpu_kernel_implIZZZNS0_17expm1_kernel_cudaERNS_18TensorIteratorBaseEENKUlvE_clEvENKUlvE4_clEvEUlN3c104HalfEE_EEvS4_RKT_EUlibE0_EEviT1_,@function
_ZN2at6native32elementwise_kernel_manual_unrollILi128ELi4EZNS0_15gpu_kernel_implIZZZNS0_17expm1_kernel_cudaERNS_18TensorIteratorBaseEENKUlvE_clEvENKUlvE4_clEvEUlN3c104HalfEE_EEvS4_RKT_EUlibE0_EEviT1_: ; @_ZN2at6native32elementwise_kernel_manual_unrollILi128ELi4EZNS0_15gpu_kernel_implIZZZNS0_17expm1_kernel_cudaERNS_18TensorIteratorBaseEENKUlvE_clEvENKUlvE4_clEvEUlN3c104HalfEE_EEvS4_RKT_EUlibE0_EEviT1_
; %bb.0:
	s_load_dword s70, s[0:1], 0x0
	s_load_dword s33, s[0:1], 0x8
	s_add_u32 s34, s0, 8
	s_addc_u32 s35, s1, 0
	v_lshl_or_b32 v8, s2, 9, v0
	v_or_b32_e32 v16, 0x180, v8
	s_waitcnt lgkmcnt(0)
	s_add_i32 s72, s33, -1
	s_cmp_gt_u32 s72, 1
	v_cmp_le_i32_e32 vcc, s70, v16
	s_cselect_b64 s[42:43], -1, 0
	s_mov_b64 s[40:41], 0
	s_mov_b64 s[24:25], 0
	s_and_saveexec_b64 s[2:3], vcc
	s_xor_b64 s[44:45], exec, s[2:3]
	s_cbranch_execz .LBB161_1090
; %bb.1:
	v_mov_b32_e32 v0, 0
	global_load_ushort v0, v0, s[34:35] offset:345
	s_load_dwordx4 s[28:31], s[34:35], 0x4
	s_load_dwordx2 s[46:47], s[34:35], 0x14
	s_load_dwordx4 s[24:27], s[34:35], 0xc4
	s_load_dwordx4 s[20:23], s[34:35], 0x148
	s_cmp_lg_u32 s33, 0
	s_cselect_b64 s[52:53], -1, 0
	s_add_u32 s50, s34, 0xc4
	s_addc_u32 s51, s35, 0
	s_min_u32 s75, s72, 15
	s_cmp_gt_u32 s33, 1
	s_cselect_b64 s[48:49], -1, 0
	v_cmp_gt_i32_e32 vcc, s70, v8
	s_mov_b64 s[4:5], -1
	s_mov_b64 s[62:63], 0
	s_mov_b64 s[56:57], 0
	s_mov_b64 s[54:55], 0
	s_waitcnt vmcnt(0)
	v_readfirstlane_b32 s73, v0
	s_and_b32 s2, 0xffff, s73
	s_lshr_b32 s74, s2, 8
	s_and_saveexec_b64 s[58:59], vcc
	s_cbranch_execz .LBB161_267
; %bb.2:
	s_andn2_b64 vcc, exec, s[42:43]
	s_cbranch_vccnz .LBB161_8
; %bb.3:
	s_andn2_b64 vcc, exec, s[52:53]
	s_cbranch_vccnz .LBB161_9
; %bb.4:
	s_add_i32 s57, s75, 1
	s_cmp_eq_u32 s72, 2
	s_cbranch_scc1 .LBB161_10
; %bb.5:
	s_and_b32 s56, s57, 28
	s_mov_b32 s60, 0
	v_mov_b32_e32 v0, 0
	v_mov_b32_e32 v2, 0
	s_mov_b64 s[2:3], s[34:35]
	s_mov_b64 s[54:55], s[50:51]
	v_mov_b32_e32 v4, v8
.LBB161_6:                              ; =>This Inner Loop Header: Depth=1
	s_load_dwordx8 s[12:19], s[2:3], 0x4
	s_load_dwordx4 s[36:39], s[2:3], 0x24
	s_load_dwordx8 s[4:11], s[54:55], 0x0
	s_add_u32 s2, s2, 48
	s_addc_u32 s3, s3, 0
	s_waitcnt lgkmcnt(0)
	v_mul_hi_u32 v1, s13, v4
	v_add_u32_e32 v1, v4, v1
	v_lshrrev_b32_e32 v1, s14, v1
	v_mul_lo_u32 v3, v1, s12
	v_mul_hi_u32 v5, s16, v1
	v_sub_u32_e32 v3, v4, v3
	v_add_u32_e32 v4, v1, v5
	v_lshrrev_b32_e32 v4, s17, v4
	v_mul_lo_u32 v6, v4, s15
	v_mul_hi_u32 v7, s19, v4
	v_sub_u32_e32 v1, v1, v6
	v_add_u32_e32 v6, v4, v7
	v_mul_lo_u32 v5, v3, s5
	v_mul_lo_u32 v3, v3, s4
	;; [unrolled: 1-line block ×4, first 2 shown]
	v_lshrrev_b32_e32 v6, s36, v6
	v_add3_u32 v0, v3, v0, v1
	v_mul_hi_u32 v3, s38, v6
	v_add3_u32 v1, v5, v2, v7
	v_mul_lo_u32 v2, v6, s18
	v_add_u32_e32 v3, v6, v3
	v_sub_u32_e32 v2, v4, v2
	v_lshrrev_b32_e32 v4, s39, v3
	s_add_i32 s60, s60, 4
	v_mul_lo_u32 v3, v4, s37
	s_add_u32 s54, s54, 32
	v_sub_u32_e32 v3, v6, v3
	s_addc_u32 s55, s55, 0
	v_mul_lo_u32 v5, v2, s8
	v_mul_lo_u32 v2, v2, s9
	;; [unrolled: 1-line block ×4, first 2 shown]
	s_cmp_lg_u32 s56, s60
	v_add3_u32 v2, v2, v1, v3
	v_add3_u32 v0, v5, v0, v6
	s_cbranch_scc1 .LBB161_6
; %bb.7:
	v_mov_b32_e32 v1, v2
	s_branch .LBB161_11
.LBB161_8:
                                        ; implicit-def: $vgpr2
                                        ; implicit-def: $vgpr0
	s_branch .LBB161_15
.LBB161_9:
	v_mov_b32_e32 v2, 0
	v_mov_b32_e32 v0, 0
	s_branch .LBB161_14
.LBB161_10:
	v_mov_b32_e32 v0, 0
	s_mov_b32 s56, 0
	v_mov_b32_e32 v1, v0
                                        ; implicit-def: $vgpr2
	v_mov_b32_e32 v4, v8
.LBB161_11:
	s_and_b32 s6, s57, 3
	s_cmp_eq_u32 s6, 0
	s_cbranch_scc1 .LBB161_14
; %bb.12:
	s_lshl_b32 s2, s56, 3
	s_add_u32 s2, s34, s2
	s_addc_u32 s3, s35, 0
	s_add_u32 s2, s2, 0xc4
	s_addc_u32 s3, s3, 0
	s_mul_i32 s4, s56, 12
	s_add_u32 s4, s34, s4
	s_addc_u32 s5, s35, 0
.LBB161_13:                             ; =>This Inner Loop Header: Depth=1
	s_load_dwordx2 s[8:9], s[4:5], 0x4
	s_load_dword s7, s[4:5], 0xc
	s_load_dwordx2 s[10:11], s[2:3], 0x0
	v_mov_b32_e32 v2, v1
	s_add_u32 s4, s4, 12
	s_waitcnt lgkmcnt(0)
	v_mul_hi_u32 v1, s9, v4
	v_add_u32_e32 v1, v4, v1
	v_lshrrev_b32_e32 v1, s7, v1
	s_addc_u32 s5, s5, 0
	v_mul_lo_u32 v3, v1, s8
	s_add_u32 s2, s2, 8
	v_sub_u32_e32 v5, v4, v3
	s_addc_u32 s3, s3, 0
	s_add_i32 s6, s6, -1
	v_mov_b32_e32 v4, v1
	v_mad_u64_u32 v[2:3], s[8:9], v5, s11, v[2:3]
	v_mad_u64_u32 v[0:1], s[8:9], v5, s10, v[0:1]
	s_cmp_lg_u32 s6, 0
	v_mov_b32_e32 v1, v2
	s_cbranch_scc1 .LBB161_13
.LBB161_14:
	s_cbranch_execnz .LBB161_17
.LBB161_15:
	s_waitcnt lgkmcnt(0)
	v_mul_hi_u32 v0, s29, v8
	v_add_u32_e32 v0, v8, v0
	v_lshrrev_b32_e32 v1, s30, v0
	v_mul_lo_u32 v0, v1, s28
	v_sub_u32_e32 v0, v8, v0
	v_mul_lo_u32 v2, v0, s25
	s_andn2_b64 vcc, exec, s[48:49]
	v_mul_lo_u32 v0, v0, s24
	s_cbranch_vccnz .LBB161_17
; %bb.16:
	v_mul_hi_u32 v3, s46, v1
	v_add_u32_e32 v3, v1, v3
	v_lshrrev_b32_e32 v3, s47, v3
	v_mul_lo_u32 v3, v3, s31
	v_sub_u32_e32 v3, v1, v3
	v_mad_u64_u32 v[0:1], s[2:3], v3, s26, v[0:1]
	v_mad_u64_u32 v[2:3], s[2:3], v3, s27, v[2:3]
.LBB161_17:
	v_mov_b32_e32 v3, 0
	s_and_b32 s10, 0xffff, s74
	s_cmp_lt_i32 s10, 11
	s_waitcnt lgkmcnt(0)
	v_lshl_add_u64 v[2:3], s[22:23], 0, v[2:3]
	s_cbranch_scc1 .LBB161_24
; %bb.18:
	s_cmp_gt_i32 s10, 25
	s_cbranch_scc0 .LBB161_33
; %bb.19:
	s_cmp_gt_i32 s10, 28
	s_cbranch_scc0 .LBB161_36
	;; [unrolled: 3-line block ×4, first 2 shown]
; %bb.22:
	s_cmp_eq_u32 s10, 46
	s_mov_b64 s[6:7], 0
	s_cbranch_scc0 .LBB161_42
; %bb.23:
	global_load_dword v1, v[2:3], off
	s_mov_b64 s[2:3], -1
	s_mov_b64 s[4:5], 0
	s_waitcnt vmcnt(0)
	v_lshlrev_b32_e32 v1, 16, v1
	v_cvt_f16_f32_e32 v1, v1
	s_branch .LBB161_44
.LBB161_24:
	s_mov_b64 s[4:5], 0
                                        ; implicit-def: $vgpr1
	s_mov_b64 s[2:3], 0
	s_cbranch_execnz .LBB161_217
.LBB161_25:
	s_andn2_b64 vcc, exec, s[2:3]
	s_cbranch_vccnz .LBB161_264
.LBB161_26:
	s_waitcnt vmcnt(0)
	v_cvt_f32_f16_e32 v2, v1
	s_mov_b32 s2, 0xbf317218
	v_mov_b32_e32 v3, 0x3ab69700
	s_and_b32 s12, s73, 0xff
	v_mul_f32_e32 v4, 0x3fb8aa3b, v2
	v_rndne_f32_e32 v4, v4
	v_fma_mix_f32 v5, v4, s2, v1 op_sel_hi:[0,0,1]
	v_fmamk_f32 v5, v4, 0x3102e308, v5
	v_fmac_f32_e32 v3, 0x395133b1, v5
	v_fmaak_f32 v3, v5, v3, 0x3c0887f9
	v_cvt_i32_f32_e32 v6, v4
	v_fmaak_f32 v3, v5, v3, 0x3d2aaa81
	v_fmaak_f32 v3, v5, v3, 0x3e2aaaab
	v_fma_f32 v3, v5, v3, 0.5
	v_mul_f32_e32 v3, v5, v3
	s_mov_b32 s2, 0x43000000
	v_fmac_f32_e32 v5, v5, v3
	v_ldexp_f32 v3, 1.0, v6
	v_mov_b32_e32 v6, 0x7f000000
	v_cmp_eq_f32_e32 vcc, s2, v4
	s_mov_b32 s2, 0x42b17217
	s_cmp_lt_i32 s12, 11
	v_cndmask_b32_e32 v3, v3, v6, vcc
	v_add_f32_e32 v4, -1.0, v3
	v_fmac_f32_e32 v4, v3, v5
	v_add_f32_e32 v3, v4, v4
	v_cndmask_b32_e32 v3, v4, v3, vcc
	v_mov_b32_e32 v4, 0x7f800000
	v_cmp_nlt_f32_e32 vcc, s2, v2
	s_mov_b32 s2, 0xcc40
	s_nop 0
	v_cndmask_b32_e32 v2, v4, v3, vcc
	v_cvt_f16_f32_e32 v2, v2
	v_mov_b32_e32 v3, 0xbc00
	v_cmp_ngt_f16_e32 vcc, s2, v1
	v_mov_b32_e32 v1, 0
	v_lshl_add_u64 v[0:1], s[20:21], 0, v[0:1]
	v_cndmask_b32_e32 v2, v3, v2, vcc
	s_cbranch_scc1 .LBB161_34
; %bb.27:
	s_and_b32 s13, 0xffff, s12
	s_cmp_gt_i32 s13, 25
	s_cbranch_scc0 .LBB161_37
; %bb.28:
	s_cmp_gt_i32 s13, 28
	s_cbranch_scc0 .LBB161_39
; %bb.29:
	;; [unrolled: 3-line block ×4, first 2 shown]
	s_mov_b64 s[8:9], 0
	s_mov_b64 s[2:3], -1
	s_cmp_eq_u32 s13, 46
	s_mov_b64 s[6:7], 0
	s_cbranch_scc0 .LBB161_48
; %bb.32:
	v_cvt_f32_f16_e32 v3, v2
	s_movk_i32 s2, 0x7fff
	v_cmp_o_f16_e32 vcc, v2, v2
	v_mov_b32_e32 v4, 0x7fc0
	v_bfe_u32 v5, v3, 16, 1
	v_add3_u32 v3, v3, v5, s2
	v_cndmask_b32_sdwa v3, v4, v3, vcc dst_sel:DWORD dst_unused:UNUSED_PAD src0_sel:DWORD src1_sel:WORD_1
	global_store_dword v[0:1], v3, off
	s_mov_b64 s[6:7], -1
	s_mov_b64 s[2:3], 0
	s_branch .LBB161_48
.LBB161_33:
	s_mov_b64 s[4:5], 0
	s_mov_b64 s[2:3], 0
                                        ; implicit-def: $vgpr1
	s_cbranch_execnz .LBB161_182
	s_branch .LBB161_216
.LBB161_34:
	s_mov_b64 s[2:3], 0
	s_mov_b64 s[6:7], 0
	s_cbranch_execnz .LBB161_117
.LBB161_35:
	s_andn2_b64 vcc, exec, s[6:7]
	s_cbranch_vccnz .LBB161_265
	s_branch .LBB161_155
.LBB161_36:
	s_mov_b64 s[6:7], -1
	s_mov_b64 s[4:5], 0
	s_mov_b64 s[2:3], 0
                                        ; implicit-def: $vgpr1
	s_branch .LBB161_163
.LBB161_37:
	s_mov_b64 s[8:9], -1
	s_mov_b64 s[2:3], 0
	s_mov_b64 s[6:7], 0
	s_branch .LBB161_75
.LBB161_38:
	s_mov_b64 s[6:7], -1
	s_mov_b64 s[4:5], 0
	s_mov_b64 s[2:3], 0
                                        ; implicit-def: $vgpr1
	s_branch .LBB161_158
.LBB161_39:
	s_mov_b64 s[8:9], -1
	s_mov_b64 s[2:3], 0
	s_mov_b64 s[6:7], 0
	s_branch .LBB161_58
.LBB161_40:
	s_mov_b64 s[6:7], -1
	s_mov_b64 s[4:5], 0
	s_branch .LBB161_43
.LBB161_41:
	s_mov_b64 s[8:9], -1
	s_mov_b64 s[2:3], 0
	s_mov_b64 s[6:7], 0
	s_branch .LBB161_54
.LBB161_42:
	s_mov_b64 s[4:5], -1
.LBB161_43:
	s_mov_b64 s[2:3], 0
                                        ; implicit-def: $vgpr1
.LBB161_44:
	s_and_b64 vcc, exec, s[6:7]
	s_cbranch_vccz .LBB161_157
; %bb.45:
	s_cmp_eq_u32 s10, 44
	s_cbranch_scc0 .LBB161_156
; %bb.46:
	global_load_ubyte v1, v[2:3], off
	s_movk_i32 s4, 0xff
	v_mov_b32_e32 v5, 0x7e00
	s_mov_b64 s[2:3], -1
	s_waitcnt vmcnt(0)
	v_lshlrev_b32_e32 v4, 23, v1
	v_cvt_f16_f32_e32 v4, v4
	v_cmp_ne_u32_e32 vcc, s4, v1
	s_mov_b64 s[4:5], 0
	s_nop 0
	v_cndmask_b32_e32 v4, v5, v4, vcc
	v_cmp_ne_u32_e32 vcc, 0, v1
	s_nop 1
	v_cndmask_b32_e32 v1, 0, v4, vcc
	s_branch .LBB161_157
.LBB161_47:
	s_mov_b64 s[8:9], -1
	s_mov_b64 s[2:3], 0
	s_mov_b64 s[6:7], 0
.LBB161_48:
	s_and_b64 vcc, exec, s[8:9]
	s_cbranch_vccz .LBB161_53
; %bb.49:
	s_cmp_eq_u32 s13, 44
	s_mov_b64 s[2:3], -1
	s_cbranch_scc0 .LBB161_53
; %bb.50:
	v_cvt_f32_f16_e32 v3, v2
	s_movk_i32 s2, 0xff
	v_mov_b32_e32 v5, 0xff
	v_bfe_u32 v4, v3, 23, 8
	v_cmp_ne_u32_e32 vcc, s2, v4
	s_and_saveexec_b64 s[6:7], vcc
; %bb.51:
	s_mov_b32 s2, 0x3fffff
	v_lshrrev_b32_e32 v5, 23, v3
	v_and_b32_e32 v6, 0x400000, v3
	v_and_or_b32 v3, v3, s2, v4
	v_cmp_ne_u32_e32 vcc, 0, v6
	v_cmp_ne_u32_e64 s[2:3], 0, v3
	s_and_b64 s[2:3], vcc, s[2:3]
	s_nop 0
	v_cndmask_b32_e64 v3, 0, 1, s[2:3]
	v_add_u32_e32 v5, v5, v3
; %bb.52:
	s_or_b64 exec, exec, s[6:7]
	s_mov_b64 s[6:7], -1
	s_mov_b64 s[2:3], 0
	global_store_byte v[0:1], v5, off
.LBB161_53:
	s_mov_b64 s[8:9], 0
.LBB161_54:
	s_and_b64 vcc, exec, s[8:9]
	s_cbranch_vccz .LBB161_57
; %bb.55:
	s_cmp_eq_u32 s13, 29
	s_mov_b64 s[2:3], -1
	s_cbranch_scc0 .LBB161_57
; %bb.56:
	v_cvt_f32_f16_e32 v3, v2
	v_mov_b32_e32 v5, 0
	s_mov_b64 s[6:7], -1
	s_mov_b64 s[2:3], 0
	v_cvt_u32_f32_e32 v4, v3
	s_mov_b64 s[8:9], 0
	global_store_dwordx2 v[0:1], v[4:5], off
	s_branch .LBB161_58
.LBB161_57:
	s_mov_b64 s[8:9], 0
.LBB161_58:
	s_and_b64 vcc, exec, s[8:9]
	s_cbranch_vccz .LBB161_74
; %bb.59:
	s_cmp_lt_i32 s13, 27
	s_mov_b64 s[6:7], -1
	s_cbranch_scc1 .LBB161_65
; %bb.60:
	s_cmp_gt_i32 s13, 27
	s_cbranch_scc0 .LBB161_62
; %bb.61:
	v_cvt_f32_f16_e32 v3, v2
	s_mov_b64 s[6:7], 0
	v_cvt_u32_f32_e32 v3, v3
	global_store_dword v[0:1], v3, off
.LBB161_62:
	s_andn2_b64 vcc, exec, s[6:7]
	s_cbranch_vccnz .LBB161_64
; %bb.63:
	v_cvt_u16_f16_e32 v3, v2
	global_store_short v[0:1], v3, off
.LBB161_64:
	s_mov_b64 s[6:7], 0
.LBB161_65:
	s_andn2_b64 vcc, exec, s[6:7]
	s_cbranch_vccnz .LBB161_73
; %bb.66:
	v_cvt_f32_f16_e32 v3, v2
	s_mov_b32 s6, 0x43800000
	v_mov_b32_e32 v5, 0x80
	v_and_b32_e32 v4, 0x7fffffff, v3
	v_cmp_gt_u32_e32 vcc, s6, v4
	s_and_saveexec_b64 s[6:7], vcc
	s_cbranch_execz .LBB161_72
; %bb.67:
	s_mov_b32 s8, 0x3bffffff
	v_cmp_lt_u32_e32 vcc, s8, v4
	s_mov_b64 s[8:9], 0
                                        ; implicit-def: $vgpr4
	s_and_saveexec_b64 s[10:11], vcc
	s_xor_b64 s[10:11], exec, s[10:11]
	s_cbranch_execz .LBB161_309
; %bb.68:
	v_bfe_u32 v4, v3, 20, 1
	s_mov_b32 s14, 0x487ffff
	v_add3_u32 v4, v3, v4, s14
	s_mov_b64 s[8:9], exec
	v_lshrrev_b32_e32 v4, 20, v4
	s_andn2_saveexec_b64 s[10:11], s[10:11]
	s_cbranch_execnz .LBB161_310
.LBB161_69:
	s_or_b64 exec, exec, s[10:11]
	v_mov_b32_e32 v5, 0
	s_and_saveexec_b64 s[10:11], s[8:9]
.LBB161_70:
	v_lshrrev_b32_e32 v3, 24, v3
	s_movk_i32 s8, 0x80
	v_and_or_b32 v5, v3, s8, v4
.LBB161_71:
	s_or_b64 exec, exec, s[10:11]
.LBB161_72:
	s_or_b64 exec, exec, s[6:7]
	global_store_byte v[0:1], v5, off
.LBB161_73:
	s_mov_b64 s[6:7], -1
.LBB161_74:
	s_mov_b64 s[8:9], 0
.LBB161_75:
	s_and_b64 vcc, exec, s[8:9]
	s_cbranch_vccz .LBB161_116
; %bb.76:
	s_cmp_gt_i32 s13, 22
	s_mov_b64 s[8:9], -1
	s_cbranch_scc0 .LBB161_108
; %bb.77:
	s_cmp_lt_i32 s13, 24
	s_mov_b64 s[6:7], -1
	s_cbranch_scc1 .LBB161_97
; %bb.78:
	s_cmp_gt_i32 s13, 24
	s_cbranch_scc0 .LBB161_86
; %bb.79:
	v_cvt_f32_f16_e32 v3, v2
	s_mov_b32 s6, 0x47800000
	v_mov_b32_e32 v5, 0x80
	v_and_b32_e32 v4, 0x7fffffff, v3
	v_cmp_gt_u32_e32 vcc, s6, v4
	s_and_saveexec_b64 s[6:7], vcc
	s_cbranch_execz .LBB161_85
; %bb.80:
	s_mov_b32 s8, 0x37ffffff
	v_cmp_lt_u32_e32 vcc, s8, v4
	s_mov_b64 s[8:9], 0
                                        ; implicit-def: $vgpr4
	s_and_saveexec_b64 s[10:11], vcc
	s_xor_b64 s[10:11], exec, s[10:11]
	s_cbranch_execz .LBB161_313
; %bb.81:
	v_bfe_u32 v4, v3, 21, 1
	s_mov_b32 s14, 0x88fffff
	v_add3_u32 v4, v3, v4, s14
	s_mov_b64 s[8:9], exec
	v_lshrrev_b32_e32 v4, 21, v4
	s_andn2_saveexec_b64 s[10:11], s[10:11]
	s_cbranch_execnz .LBB161_314
.LBB161_82:
	s_or_b64 exec, exec, s[10:11]
	v_mov_b32_e32 v5, 0
	s_and_saveexec_b64 s[10:11], s[8:9]
.LBB161_83:
	v_lshrrev_b32_e32 v3, 24, v3
	s_movk_i32 s8, 0x80
	v_and_or_b32 v5, v3, s8, v4
.LBB161_84:
	s_or_b64 exec, exec, s[10:11]
.LBB161_85:
	s_or_b64 exec, exec, s[6:7]
	s_mov_b64 s[6:7], 0
	global_store_byte v[0:1], v5, off
.LBB161_86:
	s_and_b64 vcc, exec, s[6:7]
	s_cbranch_vccz .LBB161_96
; %bb.87:
	v_cvt_f32_f16_e32 v3, v2
	s_mov_b32 s6, 0x43f00000
                                        ; implicit-def: $vgpr4
	v_and_b32_e32 v5, 0x7fffffff, v3
	v_cmp_gt_u32_e32 vcc, s6, v5
	s_and_saveexec_b64 s[6:7], vcc
	s_xor_b64 s[6:7], exec, s[6:7]
	s_cbranch_execz .LBB161_93
; %bb.88:
	s_mov_b32 s8, 0x3c7fffff
	v_cmp_lt_u32_e32 vcc, s8, v5
                                        ; implicit-def: $vgpr4
	s_and_saveexec_b64 s[8:9], vcc
	s_xor_b64 s[8:9], exec, s[8:9]
; %bb.89:
	v_bfe_u32 v4, v3, 20, 1
	s_mov_b32 s10, 0x407ffff
	v_add3_u32 v4, v3, v4, s10
	v_lshrrev_b32_e32 v5, 20, v4
	v_and_b32_e32 v4, 0xff00000, v4
	s_mov_b32 s10, 0x7f00000
	v_mov_b32_e32 v6, 0x7e
	v_cmp_ne_u32_e32 vcc, s10, v4
	s_nop 1
	v_cndmask_b32_e32 v4, v6, v5, vcc
; %bb.90:
	s_andn2_saveexec_b64 s[8:9], s[8:9]
; %bb.91:
	s_mov_b32 s10, 0x46800000
	v_add_f32_e64 v4, |v3|, s10
; %bb.92:
	s_or_b64 exec, exec, s[8:9]
                                        ; implicit-def: $vgpr5
.LBB161_93:
	s_andn2_saveexec_b64 s[6:7], s[6:7]
; %bb.94:
	s_mov_b32 s8, 0x7f800000
	v_mov_b32_e32 v4, 0x7e
	v_mov_b32_e32 v6, 0x7f
	v_cmp_lt_u32_e32 vcc, s8, v5
	s_nop 1
	v_cndmask_b32_e32 v4, v4, v6, vcc
; %bb.95:
	s_or_b64 exec, exec, s[6:7]
	v_lshrrev_b32_e32 v3, 24, v3
	s_movk_i32 s6, 0x80
	v_and_or_b32 v3, v3, s6, v4
	global_store_byte v[0:1], v3, off
.LBB161_96:
	s_mov_b64 s[6:7], 0
.LBB161_97:
	s_andn2_b64 vcc, exec, s[6:7]
	s_cbranch_vccnz .LBB161_107
; %bb.98:
	v_cvt_f32_f16_e32 v3, v2
	s_mov_b32 s6, 0x47800000
                                        ; implicit-def: $vgpr4
	v_and_b32_e32 v5, 0x7fffffff, v3
	v_cmp_gt_u32_e32 vcc, s6, v5
	s_and_saveexec_b64 s[6:7], vcc
	s_xor_b64 s[6:7], exec, s[6:7]
	s_cbranch_execz .LBB161_104
; %bb.99:
	s_mov_b32 s8, 0x387fffff
	v_cmp_lt_u32_e32 vcc, s8, v5
                                        ; implicit-def: $vgpr4
	s_and_saveexec_b64 s[8:9], vcc
	s_xor_b64 s[8:9], exec, s[8:9]
; %bb.100:
	v_bfe_u32 v4, v3, 21, 1
	s_mov_b32 s10, 0x80fffff
	v_add3_u32 v4, v3, v4, s10
	v_lshrrev_b32_e32 v4, 21, v4
; %bb.101:
	s_andn2_saveexec_b64 s[8:9], s[8:9]
; %bb.102:
	s_mov_b32 s10, 0x43000000
	v_add_f32_e64 v4, |v3|, s10
; %bb.103:
	s_or_b64 exec, exec, s[8:9]
                                        ; implicit-def: $vgpr5
.LBB161_104:
	s_andn2_saveexec_b64 s[6:7], s[6:7]
; %bb.105:
	s_mov_b32 s8, 0x7f800000
	v_mov_b32_e32 v4, 0x7c
	v_mov_b32_e32 v6, 0x7f
	v_cmp_lt_u32_e32 vcc, s8, v5
	s_nop 1
	v_cndmask_b32_e32 v4, v4, v6, vcc
; %bb.106:
	s_or_b64 exec, exec, s[6:7]
	v_lshrrev_b32_e32 v3, 24, v3
	s_movk_i32 s6, 0x80
	v_and_or_b32 v3, v3, s6, v4
	global_store_byte v[0:1], v3, off
.LBB161_107:
	s_mov_b64 s[8:9], 0
	s_mov_b64 s[6:7], -1
.LBB161_108:
	s_andn2_b64 vcc, exec, s[8:9]
	s_cbranch_vccnz .LBB161_116
; %bb.109:
	s_cmp_gt_i32 s13, 14
	s_mov_b64 s[8:9], -1
	s_cbranch_scc0 .LBB161_113
; %bb.110:
	s_cmp_eq_u32 s13, 15
	s_mov_b64 s[2:3], -1
	s_cbranch_scc0 .LBB161_112
; %bb.111:
	v_cvt_f32_f16_e32 v3, v2
	s_movk_i32 s2, 0x7fff
	v_cmp_o_f16_e32 vcc, v2, v2
	v_mov_b32_e32 v4, 0x7fc0
	v_bfe_u32 v5, v3, 16, 1
	v_add3_u32 v3, v3, v5, s2
	v_cndmask_b32_sdwa v3, v4, v3, vcc dst_sel:DWORD dst_unused:UNUSED_PAD src0_sel:DWORD src1_sel:WORD_1
	global_store_short v[0:1], v3, off
	s_mov_b64 s[6:7], -1
	s_mov_b64 s[2:3], 0
.LBB161_112:
	s_mov_b64 s[8:9], 0
.LBB161_113:
	s_and_b64 vcc, exec, s[8:9]
	s_cbranch_vccz .LBB161_116
; %bb.114:
	s_cmp_eq_u32 s13, 11
	s_mov_b64 s[2:3], -1
	s_cbranch_scc0 .LBB161_116
; %bb.115:
	v_cmp_neq_f16_e32 vcc, 0, v2
	s_mov_b64 s[6:7], -1
	s_mov_b64 s[2:3], 0
	v_cndmask_b32_e64 v3, 0, 1, vcc
	global_store_byte v[0:1], v3, off
.LBB161_116:
	s_branch .LBB161_35
.LBB161_117:
	s_and_b32 s8, 0xffff, s12
	s_cmp_lt_i32 s8, 5
	s_mov_b64 s[6:7], -1
	s_cbranch_scc1 .LBB161_138
; %bb.118:
	s_cmp_lt_i32 s8, 8
	s_cbranch_scc1 .LBB161_128
; %bb.119:
	s_cmp_lt_i32 s8, 9
	s_cbranch_scc1 .LBB161_125
; %bb.120:
	s_cmp_gt_i32 s8, 9
	s_cbranch_scc0 .LBB161_122
; %bb.121:
	v_cvt_f32_f16_e32 v3, v2
	v_mov_b32_e32 v6, 0
	v_mov_b32_e32 v7, v6
	s_mov_b64 s[6:7], 0
	v_cvt_f64_f32_e32 v[4:5], v3
	global_store_dwordx4 v[0:1], v[4:7], off
.LBB161_122:
	s_andn2_b64 vcc, exec, s[6:7]
	s_cbranch_vccnz .LBB161_124
; %bb.123:
	v_cvt_f32_f16_e32 v4, v2
	v_mov_b32_e32 v5, 0
	global_store_dwordx2 v[0:1], v[4:5], off
.LBB161_124:
	s_mov_b64 s[6:7], 0
.LBB161_125:
	s_andn2_b64 vcc, exec, s[6:7]
	s_cbranch_vccnz .LBB161_127
; %bb.126:
	v_and_b32_e32 v3, 0xffff, v2
	global_store_dword v[0:1], v3, off
.LBB161_127:
	s_mov_b64 s[6:7], 0
.LBB161_128:
	s_andn2_b64 vcc, exec, s[6:7]
	s_cbranch_vccnz .LBB161_137
; %bb.129:
	s_cmp_lt_i32 s8, 6
	s_mov_b64 s[6:7], -1
	s_cbranch_scc1 .LBB161_135
; %bb.130:
	s_cmp_gt_i32 s8, 6
	s_cbranch_scc0 .LBB161_132
; %bb.131:
	v_cvt_f32_f16_e32 v3, v2
	s_mov_b64 s[6:7], 0
	v_cvt_f64_f32_e32 v[4:5], v3
	global_store_dwordx2 v[0:1], v[4:5], off
.LBB161_132:
	s_andn2_b64 vcc, exec, s[6:7]
	s_cbranch_vccnz .LBB161_134
; %bb.133:
	v_cvt_f32_f16_e32 v3, v2
	global_store_dword v[0:1], v3, off
.LBB161_134:
	s_mov_b64 s[6:7], 0
.LBB161_135:
	s_andn2_b64 vcc, exec, s[6:7]
	s_cbranch_vccnz .LBB161_137
; %bb.136:
	global_store_short v[0:1], v2, off
.LBB161_137:
	s_mov_b64 s[6:7], 0
.LBB161_138:
	s_andn2_b64 vcc, exec, s[6:7]
	s_cbranch_vccnz .LBB161_154
; %bb.139:
	s_cmp_lt_i32 s8, 2
	s_mov_b64 s[6:7], -1
	s_cbranch_scc1 .LBB161_149
; %bb.140:
	s_cmp_lt_i32 s8, 3
	s_cbranch_scc1 .LBB161_146
; %bb.141:
	s_cmp_gt_i32 s8, 3
	s_cbranch_scc0 .LBB161_143
; %bb.142:
	v_cvt_f32_f16_e32 v3, v2
	s_mov_b64 s[6:7], 0
	v_cvt_i32_f32_e32 v4, v3
	v_ashrrev_i32_e32 v5, 31, v4
	global_store_dwordx2 v[0:1], v[4:5], off
.LBB161_143:
	s_andn2_b64 vcc, exec, s[6:7]
	s_cbranch_vccnz .LBB161_145
; %bb.144:
	v_cvt_f32_f16_e32 v3, v2
	v_cvt_i32_f32_e32 v3, v3
	global_store_dword v[0:1], v3, off
.LBB161_145:
	s_mov_b64 s[6:7], 0
.LBB161_146:
	s_andn2_b64 vcc, exec, s[6:7]
	s_cbranch_vccnz .LBB161_148
; %bb.147:
	v_cvt_i16_f16_e32 v3, v2
	global_store_short v[0:1], v3, off
.LBB161_148:
	s_mov_b64 s[6:7], 0
.LBB161_149:
	s_andn2_b64 vcc, exec, s[6:7]
	s_cbranch_vccnz .LBB161_154
; %bb.150:
	s_cmp_gt_i32 s8, 0
	s_mov_b64 s[6:7], -1
	s_cbranch_scc0 .LBB161_152
; %bb.151:
	v_cvt_i16_f16_e32 v3, v2
	global_store_byte v[0:1], v3, off
	s_mov_b64 s[6:7], 0
.LBB161_152:
	s_andn2_b64 vcc, exec, s[6:7]
	s_cbranch_vccnz .LBB161_154
; %bb.153:
	v_cvt_f32_f16_e32 v2, v2
	v_cvt_i32_f32_e32 v2, v2
	global_store_byte v[0:1], v2, off
.LBB161_154:
.LBB161_155:
	v_add_u32_e32 v8, 0x80, v8
	s_mov_b64 s[6:7], -1
	s_branch .LBB161_266
.LBB161_156:
	s_mov_b64 s[4:5], -1
                                        ; implicit-def: $vgpr1
.LBB161_157:
	s_mov_b64 s[6:7], 0
.LBB161_158:
	s_and_b64 vcc, exec, s[6:7]
	s_cbranch_vccz .LBB161_162
; %bb.159:
	s_cmp_eq_u32 s10, 29
	s_cbranch_scc0 .LBB161_161
; %bb.160:
	global_load_dwordx2 v[4:5], v[2:3], off
	s_mov_b64 s[2:3], -1
	s_mov_b64 s[4:5], 0
	s_mov_b64 s[6:7], 0
	s_waitcnt vmcnt(0)
	v_ffbh_u32_e32 v1, v5
	v_min_u32_e32 v1, 32, v1
	v_lshlrev_b64 v[4:5], v1, v[4:5]
	v_min_u32_e32 v4, 1, v4
	v_or_b32_e32 v4, v5, v4
	v_cvt_f32_u32_e32 v4, v4
	v_sub_u32_e32 v1, 32, v1
	v_ldexp_f32 v1, v4, v1
	v_cvt_f16_f32_e32 v1, v1
	s_branch .LBB161_163
.LBB161_161:
	s_mov_b64 s[4:5], -1
                                        ; implicit-def: $vgpr1
.LBB161_162:
	s_mov_b64 s[6:7], 0
.LBB161_163:
	s_and_b64 vcc, exec, s[6:7]
	s_cbranch_vccz .LBB161_181
; %bb.164:
	s_cmp_lt_i32 s10, 27
	s_cbranch_scc1 .LBB161_167
; %bb.165:
	s_cmp_gt_i32 s10, 27
	s_cbranch_scc0 .LBB161_168
; %bb.166:
	global_load_dword v1, v[2:3], off
	s_mov_b64 s[2:3], 0
	s_waitcnt vmcnt(0)
	v_cvt_f32_u32_e32 v1, v1
	v_cvt_f16_f32_e32 v1, v1
	s_branch .LBB161_169
.LBB161_167:
	s_mov_b64 s[2:3], -1
                                        ; implicit-def: $vgpr1
	s_branch .LBB161_172
.LBB161_168:
	s_mov_b64 s[2:3], -1
                                        ; implicit-def: $vgpr1
.LBB161_169:
	s_andn2_b64 vcc, exec, s[2:3]
	s_cbranch_vccnz .LBB161_171
; %bb.170:
	global_load_ushort v1, v[2:3], off
	s_waitcnt vmcnt(0)
	v_cvt_f16_u16_e32 v1, v1
.LBB161_171:
	s_mov_b64 s[2:3], 0
.LBB161_172:
	s_andn2_b64 vcc, exec, s[2:3]
	s_cbranch_vccnz .LBB161_180
; %bb.173:
	global_load_ubyte v4, v[2:3], off
	s_movk_i32 s2, 0x7f
	s_waitcnt vmcnt(0)
	v_cmp_lt_i16_e32 vcc, s2, v4
	s_mov_b64 s[2:3], 0
	s_and_saveexec_b64 s[6:7], vcc
	s_xor_b64 s[6:7], exec, s[6:7]
	s_cbranch_execz .LBB161_193
; %bb.174:
	s_movk_i32 s2, 0x80
	v_cmp_eq_u16_e32 vcc, s2, v4
	s_mov_b64 s[2:3], -1
	s_and_saveexec_b64 s[8:9], vcc
; %bb.175:
	s_xor_b64 s[2:3], exec, -1
; %bb.176:
	s_or_b64 exec, exec, s[8:9]
	s_and_b64 s[2:3], s[2:3], exec
	s_or_saveexec_b64 s[6:7], s[6:7]
	v_mov_b32_e32 v1, 0x7e00
	s_xor_b64 exec, exec, s[6:7]
	s_cbranch_execnz .LBB161_194
.LBB161_177:
	s_or_b64 exec, exec, s[6:7]
	s_and_saveexec_b64 s[6:7], s[2:3]
	s_cbranch_execz .LBB161_179
.LBB161_178:
	v_lshlrev_b32_e32 v1, 24, v4
	v_and_b32_e32 v4, 0xffff, v4
	v_and_b32_e32 v5, 7, v4
	v_ffbh_u32_e32 v7, v5
	v_min_u32_e32 v7, 32, v7
	v_subrev_u32_e32 v9, 28, v7
	v_bfe_u32 v6, v4, 3, 4
	v_lshlrev_b32_e32 v4, v9, v4
	v_sub_u32_e32 v7, 29, v7
	v_and_b32_e32 v4, 7, v4
	v_cmp_eq_u32_e32 vcc, 0, v6
	v_and_b32_e32 v1, 0x80000000, v1
	s_nop 0
	v_cndmask_b32_e32 v6, v6, v7, vcc
	v_cndmask_b32_e32 v4, v5, v4, vcc
	v_mov_b32_e32 v5, 0x3b800000
	v_lshlrev_b32_e32 v4, 20, v4
	v_lshl_add_u32 v5, v6, 23, v5
	v_or3_b32 v1, v1, v5, v4
	v_cvt_f16_f32_e32 v1, v1
.LBB161_179:
	s_or_b64 exec, exec, s[6:7]
.LBB161_180:
	s_mov_b64 s[2:3], -1
.LBB161_181:
	s_branch .LBB161_216
.LBB161_182:
	s_cmp_gt_i32 s10, 22
	s_cbranch_scc0 .LBB161_192
; %bb.183:
	s_cmp_lt_i32 s10, 24
	s_cbranch_scc1 .LBB161_195
; %bb.184:
	s_cmp_gt_i32 s10, 24
	s_cbranch_scc0 .LBB161_196
; %bb.185:
	global_load_ubyte v4, v[2:3], off
	s_movk_i32 s2, 0x7f
	s_waitcnt vmcnt(0)
	v_cmp_lt_i16_e32 vcc, s2, v4
	s_mov_b64 s[2:3], 0
	s_and_saveexec_b64 s[6:7], vcc
	s_xor_b64 s[6:7], exec, s[6:7]
	s_cbranch_execz .LBB161_208
; %bb.186:
	s_movk_i32 s2, 0x80
	v_cmp_eq_u16_e32 vcc, s2, v4
	s_mov_b64 s[2:3], -1
	s_and_saveexec_b64 s[8:9], vcc
; %bb.187:
	s_xor_b64 s[2:3], exec, -1
; %bb.188:
	s_or_b64 exec, exec, s[8:9]
	s_and_b64 s[2:3], s[2:3], exec
	s_or_saveexec_b64 s[6:7], s[6:7]
	v_mov_b32_e32 v1, 0x7e00
	s_xor_b64 exec, exec, s[6:7]
	s_cbranch_execnz .LBB161_209
.LBB161_189:
	s_or_b64 exec, exec, s[6:7]
	s_and_saveexec_b64 s[6:7], s[2:3]
	s_cbranch_execz .LBB161_191
.LBB161_190:
	v_lshlrev_b32_e32 v1, 24, v4
	v_and_b32_e32 v4, 0xffff, v4
	v_and_b32_e32 v5, 3, v4
	v_ffbh_u32_e32 v7, v5
	v_min_u32_e32 v7, 32, v7
	v_subrev_u32_e32 v9, 29, v7
	v_bfe_u32 v6, v4, 2, 5
	v_lshlrev_b32_e32 v4, v9, v4
	v_sub_u32_e32 v7, 30, v7
	v_and_b32_e32 v4, 3, v4
	v_cmp_eq_u32_e32 vcc, 0, v6
	v_and_b32_e32 v1, 0x80000000, v1
	s_nop 0
	v_cndmask_b32_e32 v6, v6, v7, vcc
	v_cndmask_b32_e32 v4, v5, v4, vcc
	v_mov_b32_e32 v5, 0x37800000
	v_lshlrev_b32_e32 v4, 21, v4
	v_lshl_add_u32 v5, v6, 23, v5
	v_or3_b32 v1, v1, v5, v4
	v_cvt_f16_f32_e32 v1, v1
.LBB161_191:
	s_or_b64 exec, exec, s[6:7]
	s_mov_b64 s[2:3], 0
	s_branch .LBB161_197
.LBB161_192:
	s_mov_b64 s[6:7], -1
                                        ; implicit-def: $vgpr1
	s_branch .LBB161_203
.LBB161_193:
	s_or_saveexec_b64 s[6:7], s[6:7]
	v_mov_b32_e32 v1, 0x7e00
	s_xor_b64 exec, exec, s[6:7]
	s_cbranch_execz .LBB161_177
.LBB161_194:
	v_cmp_ne_u16_e32 vcc, 0, v4
	s_andn2_b64 s[2:3], s[2:3], exec
	s_and_b64 s[8:9], vcc, exec
	s_or_b64 s[2:3], s[2:3], s[8:9]
	v_mov_b32_e32 v1, v4
	s_or_b64 exec, exec, s[6:7]
	s_and_saveexec_b64 s[6:7], s[2:3]
	s_cbranch_execnz .LBB161_178
	s_branch .LBB161_179
.LBB161_195:
	s_mov_b64 s[2:3], -1
                                        ; implicit-def: $vgpr1
	s_branch .LBB161_200
.LBB161_196:
	s_mov_b64 s[2:3], -1
                                        ; implicit-def: $vgpr1
.LBB161_197:
	s_and_b64 vcc, exec, s[2:3]
	s_cbranch_vccz .LBB161_199
; %bb.198:
	global_load_ubyte v1, v[2:3], off
	s_mov_b32 s2, 0x7f800000
	s_waitcnt vmcnt(0)
	v_lshlrev_b32_e32 v1, 24, v1
	v_and_b32_e32 v4, 0x7f000000, v1
	v_ffbh_u32_e32 v5, v4
	v_min_u32_e32 v5, 32, v5
	v_sub_u32_e64 v5, v5, 4 clamp
	v_lshlrev_b32_e32 v7, v5, v4
	v_lshlrev_b32_e32 v5, 23, v5
	v_lshrrev_b32_e32 v7, 4, v7
	v_add_u32_e32 v6, 0x1000000, v4
	v_sub_u32_e32 v5, v7, v5
	v_ashrrev_i32_e32 v6, 8, v6
	v_add_u32_e32 v5, 0x3c000000, v5
	v_and_or_b32 v5, v6, s2, v5
	v_cmp_ne_u32_e32 vcc, 0, v4
	s_brev_b32 s2, 1
	s_nop 0
	v_cndmask_b32_e32 v4, 0, v5, vcc
	v_and_or_b32 v1, v1, s2, v4
	v_cvt_f16_f32_e32 v1, v1
.LBB161_199:
	s_mov_b64 s[2:3], 0
.LBB161_200:
	s_andn2_b64 vcc, exec, s[2:3]
	s_cbranch_vccnz .LBB161_202
; %bb.201:
	global_load_ubyte v1, v[2:3], off
	s_movk_i32 s2, 0x7f00
	s_brev_b32 s3, 16
	s_waitcnt vmcnt(0)
	v_lshlrev_b16_e32 v4, 8, v1
	v_lshlrev_b32_e32 v1, 25, v1
	v_lshrrev_b32_e32 v5, 4, v1
	v_and_or_b32 v6, v4, s2, 0.5
	v_or_b32_e32 v5, 0x70000000, v5
	v_add_f32_e32 v6, -0.5, v6
	v_mul_f32_e32 v5, 0x7800000, v5
	v_cmp_gt_u32_e32 vcc, s3, v1
	v_bfe_i32 v4, v4, 0, 16
	s_brev_b32 s2, 1
	v_cndmask_b32_e32 v1, v5, v6, vcc
	v_and_or_b32 v1, v4, s2, v1
	v_cvt_f16_f32_e32 v1, v1
.LBB161_202:
	s_mov_b64 s[6:7], 0
	s_mov_b64 s[2:3], -1
.LBB161_203:
	s_andn2_b64 vcc, exec, s[6:7]
	s_cbranch_vccnz .LBB161_216
; %bb.204:
	s_cmp_gt_i32 s10, 14
	s_cbranch_scc0 .LBB161_207
; %bb.205:
	s_cmp_eq_u32 s10, 15
	s_cbranch_scc0 .LBB161_210
; %bb.206:
	global_load_ushort v1, v[2:3], off
	s_mov_b64 s[2:3], -1
	s_mov_b64 s[4:5], 0
	s_waitcnt vmcnt(0)
	v_lshlrev_b32_e32 v1, 16, v1
	v_cvt_f16_f32_e32 v1, v1
	s_branch .LBB161_211
.LBB161_207:
	s_mov_b64 s[6:7], -1
                                        ; implicit-def: $vgpr1
	s_branch .LBB161_212
.LBB161_208:
	s_or_saveexec_b64 s[6:7], s[6:7]
	v_mov_b32_e32 v1, 0x7e00
	s_xor_b64 exec, exec, s[6:7]
	s_cbranch_execz .LBB161_189
.LBB161_209:
	v_cmp_ne_u16_e32 vcc, 0, v4
	s_andn2_b64 s[2:3], s[2:3], exec
	s_and_b64 s[8:9], vcc, exec
	s_or_b64 s[2:3], s[2:3], s[8:9]
	v_mov_b32_e32 v1, v4
	s_or_b64 exec, exec, s[6:7]
	s_and_saveexec_b64 s[6:7], s[2:3]
	s_cbranch_execnz .LBB161_190
	s_branch .LBB161_191
.LBB161_210:
	s_mov_b64 s[4:5], -1
                                        ; implicit-def: $vgpr1
.LBB161_211:
	s_mov_b64 s[6:7], 0
.LBB161_212:
	s_and_b64 vcc, exec, s[6:7]
	s_cbranch_vccz .LBB161_216
; %bb.213:
	s_cmp_eq_u32 s10, 11
	s_cbranch_scc0 .LBB161_215
; %bb.214:
	global_load_ubyte v1, v[2:3], off
	v_mov_b32_e32 v4, 0x3c00
	s_mov_b64 s[2:3], -1
	s_mov_b64 s[4:5], 0
	s_waitcnt vmcnt(0)
	v_cmp_ne_u16_e32 vcc, 0, v1
	s_nop 1
	v_cndmask_b32_e32 v1, 0, v4, vcc
	s_branch .LBB161_216
.LBB161_215:
	s_mov_b64 s[4:5], -1
                                        ; implicit-def: $vgpr1
.LBB161_216:
	s_branch .LBB161_25
.LBB161_217:
	s_cmp_lt_i32 s10, 5
	s_cbranch_scc1 .LBB161_222
; %bb.218:
	s_cmp_lt_i32 s10, 8
	s_cbranch_scc1 .LBB161_223
; %bb.219:
	;; [unrolled: 3-line block ×3, first 2 shown]
	s_cmp_gt_i32 s10, 9
	s_cbranch_scc0 .LBB161_225
; %bb.221:
	global_load_dwordx2 v[4:5], v[2:3], off
	s_movk_i32 s2, 0x1ff
	s_movk_i32 s3, 0xffe
	v_mov_b32_e32 v1, 0x7c00
	v_mov_b32_e32 v6, 0x7e00
	s_movk_i32 s6, 0x40f
	s_mov_b32 s7, 0x8000
	s_waitcnt vmcnt(0)
	v_and_or_b32 v4, v5, s2, v4
	v_cmp_ne_u32_e32 vcc, 0, v4
	v_lshrrev_b32_e32 v7, 8, v5
	v_bfe_u32 v9, v5, 20, 11
	v_cndmask_b32_e64 v4, 0, 1, vcc
	v_sub_u32_e32 v10, 0x3f1, v9
	v_and_or_b32 v4, v7, s3, v4
	v_add_u32_e32 v9, 0xfffffc10, v9
	v_med3_i32 v7, v10, 0, 13
	v_or_b32_e32 v10, 0x1000, v4
	v_cmp_ne_u32_e32 vcc, 0, v4
	v_lshl_or_b32 v11, v9, 12, v4
	v_lshrrev_b32_e32 v5, 16, v5
	v_cndmask_b32_e32 v4, v1, v6, vcc
	v_lshrrev_b32_e32 v6, v7, v10
	v_lshlrev_b32_e32 v7, v7, v6
	v_cmp_ne_u32_e32 vcc, v7, v10
	s_mov_b64 s[2:3], 0
	s_nop 0
	v_cndmask_b32_e64 v7, 0, 1, vcc
	v_or_b32_e32 v6, v6, v7
	v_cmp_gt_i32_e32 vcc, 1, v9
	s_nop 1
	v_cndmask_b32_e32 v6, v11, v6, vcc
	v_and_b32_e32 v7, 7, v6
	v_cmp_lt_i32_e32 vcc, 5, v7
	v_lshrrev_b32_e32 v6, 2, v6
	s_nop 0
	v_cndmask_b32_e64 v10, 0, 1, vcc
	v_cmp_eq_u32_e32 vcc, 3, v7
	s_nop 1
	v_cndmask_b32_e64 v7, 0, 1, vcc
	v_or_b32_e32 v7, v7, v10
	v_add_u32_e32 v6, v6, v7
	v_cmp_gt_i32_e32 vcc, 31, v9
	s_nop 1
	v_cndmask_b32_e32 v1, v1, v6, vcc
	v_cmp_eq_u32_e32 vcc, s6, v9
	s_nop 1
	v_cndmask_b32_e32 v1, v1, v4, vcc
	v_and_or_b32 v1, v5, s7, v1
	s_branch .LBB161_226
.LBB161_222:
                                        ; implicit-def: $vgpr1
	s_branch .LBB161_244
.LBB161_223:
	s_mov_b64 s[2:3], -1
                                        ; implicit-def: $vgpr1
	s_branch .LBB161_232
.LBB161_224:
	s_mov_b64 s[2:3], -1
                                        ; implicit-def: $vgpr1
	s_branch .LBB161_229
.LBB161_225:
	s_mov_b64 s[2:3], -1
                                        ; implicit-def: $vgpr1
.LBB161_226:
	s_andn2_b64 vcc, exec, s[2:3]
	s_cbranch_vccnz .LBB161_228
; %bb.227:
	global_load_dword v1, v[2:3], off
	s_waitcnt vmcnt(0)
	v_cvt_f16_f32_e32 v1, v1
.LBB161_228:
	s_mov_b64 s[2:3], 0
.LBB161_229:
	s_andn2_b64 vcc, exec, s[2:3]
	s_cbranch_vccnz .LBB161_231
; %bb.230:
	global_load_dword v1, v[2:3], off
.LBB161_231:
	s_mov_b64 s[2:3], 0
.LBB161_232:
	s_andn2_b64 vcc, exec, s[2:3]
	s_cbranch_vccnz .LBB161_243
; %bb.233:
	s_cmp_lt_i32 s10, 6
	s_cbranch_scc1 .LBB161_236
; %bb.234:
	s_cmp_gt_i32 s10, 6
	s_cbranch_scc0 .LBB161_237
; %bb.235:
	global_load_dwordx2 v[4:5], v[2:3], off
	s_movk_i32 s2, 0x1ff
	s_movk_i32 s3, 0xffe
	s_waitcnt vmcnt(1)
	v_mov_b32_e32 v1, 0x7c00
	v_mov_b32_e32 v6, 0x7e00
	s_movk_i32 s6, 0x40f
	s_mov_b32 s7, 0x8000
	s_waitcnt vmcnt(0)
	v_and_or_b32 v4, v5, s2, v4
	v_cmp_ne_u32_e32 vcc, 0, v4
	v_lshrrev_b32_e32 v7, 8, v5
	v_bfe_u32 v9, v5, 20, 11
	v_cndmask_b32_e64 v4, 0, 1, vcc
	v_sub_u32_e32 v10, 0x3f1, v9
	v_and_or_b32 v4, v7, s3, v4
	v_add_u32_e32 v9, 0xfffffc10, v9
	v_med3_i32 v7, v10, 0, 13
	v_or_b32_e32 v10, 0x1000, v4
	v_cmp_ne_u32_e32 vcc, 0, v4
	v_lshl_or_b32 v11, v9, 12, v4
	v_lshrrev_b32_e32 v5, 16, v5
	v_cndmask_b32_e32 v4, v1, v6, vcc
	v_lshrrev_b32_e32 v6, v7, v10
	v_lshlrev_b32_e32 v7, v7, v6
	v_cmp_ne_u32_e32 vcc, v7, v10
	s_mov_b64 s[2:3], 0
	s_nop 0
	v_cndmask_b32_e64 v7, 0, 1, vcc
	v_or_b32_e32 v6, v6, v7
	v_cmp_gt_i32_e32 vcc, 1, v9
	s_nop 1
	v_cndmask_b32_e32 v6, v11, v6, vcc
	v_and_b32_e32 v7, 7, v6
	v_cmp_lt_i32_e32 vcc, 5, v7
	v_lshrrev_b32_e32 v6, 2, v6
	s_nop 0
	v_cndmask_b32_e64 v10, 0, 1, vcc
	v_cmp_eq_u32_e32 vcc, 3, v7
	s_nop 1
	v_cndmask_b32_e64 v7, 0, 1, vcc
	v_or_b32_e32 v7, v7, v10
	v_add_u32_e32 v6, v6, v7
	v_cmp_gt_i32_e32 vcc, 31, v9
	s_nop 1
	v_cndmask_b32_e32 v1, v1, v6, vcc
	v_cmp_eq_u32_e32 vcc, s6, v9
	s_nop 1
	v_cndmask_b32_e32 v1, v1, v4, vcc
	v_and_or_b32 v1, v5, s7, v1
	s_branch .LBB161_238
.LBB161_236:
	s_mov_b64 s[2:3], -1
                                        ; implicit-def: $vgpr1
	s_branch .LBB161_241
.LBB161_237:
	s_mov_b64 s[2:3], -1
                                        ; implicit-def: $vgpr1
.LBB161_238:
	s_andn2_b64 vcc, exec, s[2:3]
	s_cbranch_vccnz .LBB161_240
; %bb.239:
	global_load_dword v1, v[2:3], off
	s_waitcnt vmcnt(0)
	v_cvt_f16_f32_e32 v1, v1
.LBB161_240:
	s_mov_b64 s[2:3], 0
.LBB161_241:
	s_andn2_b64 vcc, exec, s[2:3]
	s_cbranch_vccnz .LBB161_243
; %bb.242:
	global_load_ushort v1, v[2:3], off
.LBB161_243:
	s_cbranch_execnz .LBB161_263
.LBB161_244:
	s_cmp_lt_i32 s10, 2
	s_cbranch_scc1 .LBB161_248
; %bb.245:
	s_cmp_lt_i32 s10, 3
	s_cbranch_scc1 .LBB161_249
; %bb.246:
	s_cmp_gt_i32 s10, 3
	s_cbranch_scc0 .LBB161_250
; %bb.247:
	global_load_dwordx2 v[4:5], v[2:3], off
	s_mov_b64 s[2:3], 0
	s_waitcnt vmcnt(0)
	v_xor_b32_e32 v6, v4, v5
	v_ffbh_i32_e32 v1, v5
	v_ashrrev_i32_e32 v6, 31, v6
	v_add_u32_e32 v1, -1, v1
	v_add_u32_e32 v6, 32, v6
	v_min_u32_e32 v1, v1, v6
	v_lshlrev_b64 v[4:5], v1, v[4:5]
	v_min_u32_e32 v4, 1, v4
	v_or_b32_e32 v4, v5, v4
	v_cvt_f32_i32_e32 v4, v4
	v_sub_u32_e32 v1, 32, v1
	v_ldexp_f32 v1, v4, v1
	v_cvt_f16_f32_e32 v1, v1
	s_branch .LBB161_251
.LBB161_248:
	s_mov_b64 s[2:3], -1
                                        ; implicit-def: $vgpr1
	s_branch .LBB161_257
.LBB161_249:
	s_mov_b64 s[2:3], -1
                                        ; implicit-def: $vgpr1
	s_branch .LBB161_254
.LBB161_250:
	s_mov_b64 s[2:3], -1
                                        ; implicit-def: $vgpr1
.LBB161_251:
	s_andn2_b64 vcc, exec, s[2:3]
	s_cbranch_vccnz .LBB161_253
; %bb.252:
	global_load_dword v1, v[2:3], off
	s_waitcnt vmcnt(0)
	v_cvt_f32_i32_e32 v1, v1
	v_cvt_f16_f32_e32 v1, v1
.LBB161_253:
	s_mov_b64 s[2:3], 0
.LBB161_254:
	s_andn2_b64 vcc, exec, s[2:3]
	s_cbranch_vccnz .LBB161_256
; %bb.255:
	global_load_ushort v1, v[2:3], off
	s_waitcnt vmcnt(0)
	v_cvt_f16_i16_e32 v1, v1
.LBB161_256:
	s_mov_b64 s[2:3], 0
.LBB161_257:
	s_andn2_b64 vcc, exec, s[2:3]
	s_cbranch_vccnz .LBB161_263
; %bb.258:
	s_cmp_gt_i32 s10, 0
	s_cbranch_scc0 .LBB161_260
; %bb.259:
	global_load_sbyte v1, v[2:3], off
	s_mov_b64 s[2:3], 0
	s_waitcnt vmcnt(0)
	v_cvt_f16_i16_e32 v1, v1
	s_branch .LBB161_261
.LBB161_260:
	s_mov_b64 s[2:3], -1
                                        ; implicit-def: $vgpr1
.LBB161_261:
	s_andn2_b64 vcc, exec, s[2:3]
	s_cbranch_vccnz .LBB161_263
; %bb.262:
	global_load_ubyte v1, v[2:3], off
	s_waitcnt vmcnt(0)
	v_cvt_f16_u16_e32 v1, v1
.LBB161_263:
	s_branch .LBB161_26
.LBB161_264:
	s_mov_b64 s[2:3], 0
.LBB161_265:
	s_mov_b64 s[6:7], 0
                                        ; implicit-def: $vgpr8
.LBB161_266:
	s_and_b64 s[54:55], s[2:3], exec
	s_and_b64 s[56:57], s[4:5], exec
	s_orn2_b64 s[4:5], s[6:7], exec
.LBB161_267:
	s_or_b64 exec, exec, s[58:59]
	s_mov_b64 s[8:9], 0
	s_mov_b64 s[2:3], 0
                                        ; implicit-def: $vgpr2_vgpr3
                                        ; implicit-def: $vgpr0
                                        ; implicit-def: $vgpr1
	s_and_saveexec_b64 s[58:59], s[4:5]
	s_cbranch_execz .LBB161_275
; %bb.268:
	v_cmp_gt_i32_e32 vcc, s70, v8
	s_mov_b64 s[2:3], -1
	s_mov_b64 s[60:61], s[56:57]
	s_mov_b64 s[62:63], s[54:55]
	s_and_saveexec_b64 s[64:65], vcc
	s_cbranch_execz .LBB161_544
; %bb.269:
	s_andn2_b64 vcc, exec, s[42:43]
	s_cbranch_vccnz .LBB161_278
; %bb.270:
	s_andn2_b64 vcc, exec, s[52:53]
	s_cbranch_vccnz .LBB161_279
; %bb.271:
	s_add_i32 s63, s75, 1
	s_cmp_eq_u32 s72, 2
	s_cbranch_scc1 .LBB161_280
; %bb.272:
	s_and_b32 s62, s63, 28
	s_mov_b32 s66, 0
	v_mov_b32_e32 v0, 0
	v_mov_b32_e32 v2, 0
	s_mov_b64 s[2:3], s[34:35]
	s_mov_b64 s[60:61], s[50:51]
	v_mov_b32_e32 v4, v8
.LBB161_273:                            ; =>This Inner Loop Header: Depth=1
	s_load_dwordx8 s[12:19], s[2:3], 0x4
	s_load_dwordx4 s[36:39], s[2:3], 0x24
	s_load_dwordx8 s[4:11], s[60:61], 0x0
	s_add_u32 s2, s2, 48
	s_addc_u32 s3, s3, 0
	s_waitcnt vmcnt(0) lgkmcnt(0)
	v_mul_hi_u32 v1, s13, v4
	v_add_u32_e32 v1, v4, v1
	v_lshrrev_b32_e32 v1, s14, v1
	v_mul_lo_u32 v3, v1, s12
	v_mul_hi_u32 v5, s16, v1
	v_sub_u32_e32 v3, v4, v3
	v_add_u32_e32 v4, v1, v5
	v_lshrrev_b32_e32 v4, s17, v4
	v_mul_lo_u32 v6, v4, s15
	v_mul_hi_u32 v7, s19, v4
	v_sub_u32_e32 v1, v1, v6
	v_add_u32_e32 v6, v4, v7
	v_mul_lo_u32 v5, v3, s5
	v_mul_lo_u32 v3, v3, s4
	;; [unrolled: 1-line block ×4, first 2 shown]
	v_lshrrev_b32_e32 v6, s36, v6
	v_add3_u32 v0, v3, v0, v1
	v_mul_hi_u32 v3, s38, v6
	v_add3_u32 v1, v5, v2, v7
	v_mul_lo_u32 v2, v6, s18
	v_add_u32_e32 v3, v6, v3
	v_sub_u32_e32 v2, v4, v2
	v_lshrrev_b32_e32 v4, s39, v3
	s_add_i32 s66, s66, 4
	v_mul_lo_u32 v3, v4, s37
	s_add_u32 s60, s60, 32
	v_sub_u32_e32 v3, v6, v3
	s_addc_u32 s61, s61, 0
	v_mul_lo_u32 v5, v2, s8
	v_mul_lo_u32 v2, v2, s9
	;; [unrolled: 1-line block ×4, first 2 shown]
	s_cmp_eq_u32 s62, s66
	v_add3_u32 v2, v2, v1, v3
	v_add3_u32 v0, v5, v0, v6
	s_cbranch_scc0 .LBB161_273
; %bb.274:
	v_mov_b32_e32 v1, v2
	s_branch .LBB161_281
.LBB161_275:
	s_or_b64 exec, exec, s[58:59]
	s_mov_b64 s[4:5], 0
	s_and_saveexec_b64 s[6:7], s[56:57]
	s_cbranch_execnz .LBB161_922
.LBB161_276:
	s_or_b64 exec, exec, s[6:7]
	s_and_saveexec_b64 s[6:7], s[62:63]
	s_xor_b64 s[6:7], exec, s[6:7]
	s_cbranch_execz .LBB161_923
.LBB161_277:
	global_load_ubyte v1, v[2:3], off
	v_mov_b32_e32 v4, 0x3c00
	s_or_b64 s[2:3], s[2:3], exec
	s_waitcnt vmcnt(0)
	v_cmp_ne_u16_e32 vcc, 0, v1
	s_nop 1
	v_cndmask_b32_e32 v1, 0, v4, vcc
	s_or_b64 exec, exec, s[6:7]
	s_and_saveexec_b64 s[6:7], s[8:9]
	s_cbranch_execz .LBB161_969
	s_branch .LBB161_924
.LBB161_278:
                                        ; implicit-def: $vgpr2
                                        ; implicit-def: $vgpr0
	s_andn2_b64 vcc, exec, s[2:3]
	s_cbranch_vccz .LBB161_285
	s_branch .LBB161_287
.LBB161_279:
	v_mov_b32_e32 v2, 0
	v_mov_b32_e32 v0, 0
	s_branch .LBB161_284
.LBB161_280:
	v_mov_b32_e32 v0, 0
	s_mov_b32 s62, 0
	s_waitcnt vmcnt(0)
	v_mov_b32_e32 v1, v0
                                        ; implicit-def: $vgpr2
	v_mov_b32_e32 v4, v8
.LBB161_281:
	s_and_b32 s6, s63, 3
	s_cmp_eq_u32 s6, 0
	s_cbranch_scc1 .LBB161_284
; %bb.282:
	s_lshl_b32 s2, s62, 3
	s_add_u32 s2, s34, s2
	s_addc_u32 s3, s35, 0
	s_add_u32 s2, s2, 0xc4
	s_addc_u32 s3, s3, 0
	s_mul_i32 s4, s62, 12
	s_add_u32 s4, s34, s4
	s_addc_u32 s5, s35, 0
.LBB161_283:                            ; =>This Inner Loop Header: Depth=1
	s_load_dwordx2 s[8:9], s[4:5], 0x4
	s_load_dword s7, s[4:5], 0xc
	s_load_dwordx2 s[10:11], s[2:3], 0x0
	v_mov_b32_e32 v2, v1
	s_add_u32 s4, s4, 12
	s_waitcnt lgkmcnt(0)
	v_mul_hi_u32 v1, s9, v4
	v_add_u32_e32 v1, v4, v1
	v_lshrrev_b32_e32 v1, s7, v1
	s_addc_u32 s5, s5, 0
	v_mul_lo_u32 v3, v1, s8
	s_add_u32 s2, s2, 8
	v_sub_u32_e32 v5, v4, v3
	s_addc_u32 s3, s3, 0
	s_add_i32 s6, s6, -1
	v_mov_b32_e32 v4, v1
	v_mad_u64_u32 v[2:3], s[8:9], v5, s11, v[2:3]
	v_mad_u64_u32 v[0:1], s[8:9], v5, s10, v[0:1]
	s_cmp_lg_u32 s6, 0
	v_mov_b32_e32 v1, v2
	s_cbranch_scc1 .LBB161_283
.LBB161_284:
	s_cbranch_execnz .LBB161_287
.LBB161_285:
	s_waitcnt lgkmcnt(0)
	v_mul_hi_u32 v0, s29, v8
	v_add_u32_e32 v0, v8, v0
	s_waitcnt vmcnt(0)
	v_lshrrev_b32_e32 v1, s30, v0
	v_mul_lo_u32 v0, v1, s28
	v_sub_u32_e32 v0, v8, v0
	v_mul_lo_u32 v2, v0, s25
	s_andn2_b64 vcc, exec, s[48:49]
	v_mul_lo_u32 v0, v0, s24
	s_cbranch_vccnz .LBB161_287
; %bb.286:
	v_mul_hi_u32 v3, s46, v1
	v_add_u32_e32 v3, v1, v3
	v_lshrrev_b32_e32 v3, s47, v3
	v_mul_lo_u32 v3, v3, s31
	v_sub_u32_e32 v3, v1, v3
	v_mad_u64_u32 v[0:1], s[2:3], v3, s26, v[0:1]
	v_mad_u64_u32 v[2:3], s[2:3], v3, s27, v[2:3]
.LBB161_287:
	v_mov_b32_e32 v3, 0
	s_and_b32 s10, 0xffff, s74
	s_cmp_lt_i32 s10, 11
	s_waitcnt lgkmcnt(0)
	v_lshl_add_u64 v[2:3], s[22:23], 0, v[2:3]
	s_cbranch_scc1 .LBB161_294
; %bb.288:
	s_cmp_gt_i32 s10, 25
	s_cbranch_scc0 .LBB161_303
; %bb.289:
	s_cmp_gt_i32 s10, 28
	s_cbranch_scc0 .LBB161_305
	;; [unrolled: 3-line block ×4, first 2 shown]
; %bb.292:
	s_cmp_eq_u32 s10, 46
	s_mov_b64 s[6:7], 0
	s_cbranch_scc0 .LBB161_315
; %bb.293:
	global_load_dword v1, v[2:3], off
	s_mov_b64 s[2:3], -1
	s_mov_b64 s[4:5], 0
	s_waitcnt vmcnt(0)
	v_lshlrev_b32_e32 v1, 16, v1
	v_cvt_f16_f32_e32 v1, v1
	s_branch .LBB161_316
.LBB161_294:
	s_mov_b64 s[2:3], 0
                                        ; implicit-def: $vgpr1
	s_mov_b64 s[4:5], s[56:57]
	s_cbranch_execnz .LBB161_493
.LBB161_295:
	s_andn2_b64 vcc, exec, s[2:3]
	s_cbranch_vccnz .LBB161_541
.LBB161_296:
	s_waitcnt vmcnt(0)
	v_cvt_f32_f16_e32 v2, v1
	s_mov_b32 s2, 0xbf317218
	v_mov_b32_e32 v3, 0x3ab69700
	s_and_b32 s12, s73, 0xff
	v_mul_f32_e32 v4, 0x3fb8aa3b, v2
	v_rndne_f32_e32 v4, v4
	v_fma_mix_f32 v5, v4, s2, v1 op_sel_hi:[0,0,1]
	v_fmamk_f32 v5, v4, 0x3102e308, v5
	v_fmac_f32_e32 v3, 0x395133b1, v5
	v_fmaak_f32 v3, v5, v3, 0x3c0887f9
	v_cvt_i32_f32_e32 v6, v4
	v_fmaak_f32 v3, v5, v3, 0x3d2aaa81
	v_fmaak_f32 v3, v5, v3, 0x3e2aaaab
	v_fma_f32 v3, v5, v3, 0.5
	v_mul_f32_e32 v3, v5, v3
	s_mov_b32 s2, 0x43000000
	v_fmac_f32_e32 v5, v5, v3
	v_ldexp_f32 v3, 1.0, v6
	v_mov_b32_e32 v6, 0x7f000000
	v_cmp_eq_f32_e32 vcc, s2, v4
	s_mov_b32 s2, 0x42b17217
	s_cmp_lt_i32 s12, 11
	v_cndmask_b32_e32 v3, v3, v6, vcc
	v_add_f32_e32 v4, -1.0, v3
	v_fmac_f32_e32 v4, v3, v5
	v_add_f32_e32 v3, v4, v4
	v_cndmask_b32_e32 v3, v4, v3, vcc
	v_mov_b32_e32 v4, 0x7f800000
	v_cmp_nlt_f32_e32 vcc, s2, v2
	s_mov_b32 s2, 0xcc40
	s_nop 0
	v_cndmask_b32_e32 v2, v4, v3, vcc
	v_cvt_f16_f32_e32 v2, v2
	v_mov_b32_e32 v3, 0xbc00
	v_cmp_ngt_f16_e32 vcc, s2, v1
	v_mov_b32_e32 v1, 0
	v_lshl_add_u64 v[0:1], s[20:21], 0, v[0:1]
	v_cndmask_b32_e32 v2, v3, v2, vcc
	s_cbranch_scc1 .LBB161_304
; %bb.297:
	s_and_b32 s13, 0xffff, s12
	s_cmp_gt_i32 s13, 25
	s_cbranch_scc0 .LBB161_306
; %bb.298:
	s_cmp_gt_i32 s13, 28
	s_cbranch_scc0 .LBB161_308
; %bb.299:
	;; [unrolled: 3-line block ×4, first 2 shown]
	s_mov_b64 s[8:9], 0
	s_mov_b64 s[2:3], -1
	s_cmp_eq_u32 s13, 46
	s_mov_b64 s[6:7], 0
	s_cbranch_scc0 .LBB161_320
; %bb.302:
	v_cvt_f32_f16_e32 v3, v2
	s_movk_i32 s2, 0x7fff
	v_cmp_o_f16_e32 vcc, v2, v2
	v_mov_b32_e32 v4, 0x7fc0
	v_bfe_u32 v5, v3, 16, 1
	v_add3_u32 v3, v3, v5, s2
	v_cndmask_b32_sdwa v3, v4, v3, vcc dst_sel:DWORD dst_unused:UNUSED_PAD src0_sel:DWORD src1_sel:WORD_1
	global_store_dword v[0:1], v3, off
	s_mov_b64 s[6:7], -1
	s_mov_b64 s[2:3], 0
	s_branch .LBB161_320
.LBB161_303:
	s_mov_b64 s[6:7], -1
	s_mov_b64 s[2:3], 0
	s_mov_b64 s[4:5], s[56:57]
                                        ; implicit-def: $vgpr1
	s_branch .LBB161_457
.LBB161_304:
	s_mov_b64 s[8:9], -1
	s_mov_b64 s[6:7], 0
	s_mov_b64 s[2:3], s[54:55]
	s_branch .LBB161_389
.LBB161_305:
	s_mov_b64 s[6:7], -1
	s_mov_b64 s[2:3], 0
	s_mov_b64 s[4:5], s[56:57]
                                        ; implicit-def: $vgpr1
	s_branch .LBB161_438
.LBB161_306:
	s_mov_b64 s[8:9], -1
	s_mov_b64 s[6:7], 0
	s_mov_b64 s[2:3], s[54:55]
	s_branch .LBB161_347
.LBB161_307:
	s_mov_b64 s[6:7], -1
	s_mov_b64 s[2:3], 0
	s_mov_b64 s[4:5], s[56:57]
                                        ; implicit-def: $vgpr1
	s_branch .LBB161_433
.LBB161_308:
	s_mov_b64 s[8:9], -1
	s_mov_b64 s[6:7], 0
	s_mov_b64 s[2:3], s[54:55]
	s_branch .LBB161_330
.LBB161_309:
	s_andn2_saveexec_b64 s[10:11], s[10:11]
	s_cbranch_execz .LBB161_69
.LBB161_310:
	s_mov_b32 s14, 0x46000000
	v_add_f32_e64 v4, |v3|, s14
	v_and_b32_e32 v4, 0xff, v4
	v_cmp_ne_u32_e32 vcc, 0, v4
	s_andn2_b64 s[8:9], s[8:9], exec
	s_and_b64 s[14:15], vcc, exec
	s_or_b64 s[8:9], s[8:9], s[14:15]
	s_or_b64 exec, exec, s[10:11]
	v_mov_b32_e32 v5, 0
	s_and_saveexec_b64 s[10:11], s[8:9]
	s_cbranch_execnz .LBB161_70
	s_branch .LBB161_71
.LBB161_311:
	s_mov_b64 s[6:7], -1
	s_mov_b64 s[2:3], 0
	s_mov_b64 s[4:5], s[56:57]
                                        ; implicit-def: $vgpr1
	s_branch .LBB161_316
.LBB161_312:
	s_mov_b64 s[8:9], -1
	s_mov_b64 s[6:7], 0
	s_mov_b64 s[2:3], s[54:55]
	s_branch .LBB161_326
.LBB161_313:
	s_andn2_saveexec_b64 s[10:11], s[10:11]
	s_cbranch_execz .LBB161_82
.LBB161_314:
	s_mov_b32 s14, 0x42800000
	v_add_f32_e64 v4, |v3|, s14
	v_and_b32_e32 v4, 0xff, v4
	v_cmp_ne_u32_e32 vcc, 0, v4
	s_andn2_b64 s[8:9], s[8:9], exec
	s_and_b64 s[14:15], vcc, exec
	s_or_b64 s[8:9], s[8:9], s[14:15]
	s_or_b64 exec, exec, s[10:11]
	v_mov_b32_e32 v5, 0
	s_and_saveexec_b64 s[10:11], s[8:9]
	s_cbranch_execnz .LBB161_83
	s_branch .LBB161_84
.LBB161_315:
	s_mov_b64 s[4:5], -1
                                        ; implicit-def: $vgpr1
	s_mov_b64 s[2:3], 0
.LBB161_316:
	s_and_b64 vcc, exec, s[6:7]
	s_cbranch_vccz .LBB161_432
; %bb.317:
	s_cmp_eq_u32 s10, 44
	s_cbranch_scc0 .LBB161_431
; %bb.318:
	global_load_ubyte v1, v[2:3], off
	s_movk_i32 s4, 0xff
	v_mov_b32_e32 v5, 0x7e00
	s_mov_b64 s[2:3], -1
	s_waitcnt vmcnt(0)
	v_lshlrev_b32_e32 v4, 23, v1
	v_cvt_f16_f32_e32 v4, v4
	v_cmp_ne_u32_e32 vcc, s4, v1
	s_mov_b64 s[4:5], 0
	s_nop 0
	v_cndmask_b32_e32 v4, v5, v4, vcc
	v_cmp_ne_u32_e32 vcc, 0, v1
	s_nop 1
	v_cndmask_b32_e32 v1, 0, v4, vcc
	s_branch .LBB161_432
.LBB161_319:
	s_mov_b64 s[8:9], -1
	s_mov_b64 s[6:7], 0
	s_mov_b64 s[2:3], s[54:55]
.LBB161_320:
	s_and_b64 vcc, exec, s[8:9]
	s_cbranch_vccz .LBB161_325
; %bb.321:
	s_cmp_eq_u32 s13, 44
	s_mov_b64 s[2:3], -1
	s_cbranch_scc0 .LBB161_325
; %bb.322:
	v_cvt_f32_f16_e32 v3, v2
	s_movk_i32 s2, 0xff
	v_mov_b32_e32 v5, 0xff
	v_bfe_u32 v4, v3, 23, 8
	v_cmp_ne_u32_e32 vcc, s2, v4
	s_and_saveexec_b64 s[6:7], vcc
; %bb.323:
	s_mov_b32 s2, 0x3fffff
	v_lshrrev_b32_e32 v5, 23, v3
	v_and_b32_e32 v6, 0x400000, v3
	v_and_or_b32 v3, v3, s2, v4
	v_cmp_ne_u32_e32 vcc, 0, v6
	v_cmp_ne_u32_e64 s[2:3], 0, v3
	s_and_b64 s[2:3], vcc, s[2:3]
	s_nop 0
	v_cndmask_b32_e64 v3, 0, 1, s[2:3]
	v_add_u32_e32 v5, v5, v3
; %bb.324:
	s_or_b64 exec, exec, s[6:7]
	s_mov_b64 s[6:7], -1
	s_mov_b64 s[2:3], 0
	global_store_byte v[0:1], v5, off
.LBB161_325:
	s_mov_b64 s[8:9], 0
.LBB161_326:
	s_and_b64 vcc, exec, s[8:9]
	s_cbranch_vccz .LBB161_329
; %bb.327:
	s_cmp_eq_u32 s13, 29
	s_mov_b64 s[2:3], -1
	s_cbranch_scc0 .LBB161_329
; %bb.328:
	v_cvt_f32_f16_e32 v3, v2
	v_mov_b32_e32 v5, 0
	s_mov_b64 s[6:7], -1
	s_mov_b64 s[2:3], 0
	v_cvt_u32_f32_e32 v4, v3
	s_mov_b64 s[8:9], 0
	global_store_dwordx2 v[0:1], v[4:5], off
	s_branch .LBB161_330
.LBB161_329:
	s_mov_b64 s[8:9], 0
.LBB161_330:
	s_and_b64 vcc, exec, s[8:9]
	s_cbranch_vccz .LBB161_346
; %bb.331:
	s_cmp_lt_i32 s13, 27
	s_mov_b64 s[6:7], -1
	s_cbranch_scc1 .LBB161_337
; %bb.332:
	s_cmp_gt_i32 s13, 27
	s_cbranch_scc0 .LBB161_334
; %bb.333:
	v_cvt_f32_f16_e32 v3, v2
	s_mov_b64 s[6:7], 0
	v_cvt_u32_f32_e32 v3, v3
	global_store_dword v[0:1], v3, off
.LBB161_334:
	s_andn2_b64 vcc, exec, s[6:7]
	s_cbranch_vccnz .LBB161_336
; %bb.335:
	v_cvt_u16_f16_e32 v3, v2
	global_store_short v[0:1], v3, off
.LBB161_336:
	s_mov_b64 s[6:7], 0
.LBB161_337:
	s_andn2_b64 vcc, exec, s[6:7]
	s_cbranch_vccnz .LBB161_345
; %bb.338:
	v_cvt_f32_f16_e32 v3, v2
	s_mov_b32 s6, 0x43800000
	v_mov_b32_e32 v5, 0x80
	v_and_b32_e32 v4, 0x7fffffff, v3
	v_cmp_gt_u32_e32 vcc, s6, v4
	s_and_saveexec_b64 s[6:7], vcc
	s_cbranch_execz .LBB161_344
; %bb.339:
	s_mov_b32 s8, 0x3bffffff
	v_cmp_lt_u32_e32 vcc, s8, v4
	s_mov_b64 s[8:9], 0
                                        ; implicit-def: $vgpr4
	s_and_saveexec_b64 s[10:11], vcc
	s_xor_b64 s[10:11], exec, s[10:11]
	s_cbranch_execz .LBB161_573
; %bb.340:
	v_bfe_u32 v4, v3, 20, 1
	s_mov_b32 s14, 0x487ffff
	v_add3_u32 v4, v3, v4, s14
	s_mov_b64 s[8:9], exec
	v_lshrrev_b32_e32 v4, 20, v4
	s_andn2_saveexec_b64 s[10:11], s[10:11]
	s_cbranch_execnz .LBB161_574
.LBB161_341:
	s_or_b64 exec, exec, s[10:11]
	v_mov_b32_e32 v5, 0
	s_and_saveexec_b64 s[10:11], s[8:9]
.LBB161_342:
	v_lshrrev_b32_e32 v3, 24, v3
	s_movk_i32 s8, 0x80
	v_and_or_b32 v5, v3, s8, v4
.LBB161_343:
	s_or_b64 exec, exec, s[10:11]
.LBB161_344:
	s_or_b64 exec, exec, s[6:7]
	global_store_byte v[0:1], v5, off
.LBB161_345:
	s_mov_b64 s[6:7], -1
.LBB161_346:
	s_mov_b64 s[8:9], 0
.LBB161_347:
	s_and_b64 vcc, exec, s[8:9]
	s_cbranch_vccz .LBB161_388
; %bb.348:
	s_cmp_gt_i32 s13, 22
	s_mov_b64 s[8:9], -1
	s_cbranch_scc0 .LBB161_380
; %bb.349:
	s_cmp_lt_i32 s13, 24
	s_mov_b64 s[6:7], -1
	s_cbranch_scc1 .LBB161_369
; %bb.350:
	s_cmp_gt_i32 s13, 24
	s_cbranch_scc0 .LBB161_358
; %bb.351:
	v_cvt_f32_f16_e32 v3, v2
	s_mov_b32 s6, 0x47800000
	v_mov_b32_e32 v5, 0x80
	v_and_b32_e32 v4, 0x7fffffff, v3
	v_cmp_gt_u32_e32 vcc, s6, v4
	s_and_saveexec_b64 s[6:7], vcc
	s_cbranch_execz .LBB161_357
; %bb.352:
	s_mov_b32 s8, 0x37ffffff
	v_cmp_lt_u32_e32 vcc, s8, v4
	s_mov_b64 s[8:9], 0
                                        ; implicit-def: $vgpr4
	s_and_saveexec_b64 s[10:11], vcc
	s_xor_b64 s[10:11], exec, s[10:11]
	s_cbranch_execz .LBB161_576
; %bb.353:
	v_bfe_u32 v4, v3, 21, 1
	s_mov_b32 s14, 0x88fffff
	v_add3_u32 v4, v3, v4, s14
	s_mov_b64 s[8:9], exec
	v_lshrrev_b32_e32 v4, 21, v4
	s_andn2_saveexec_b64 s[10:11], s[10:11]
	s_cbranch_execnz .LBB161_577
.LBB161_354:
	s_or_b64 exec, exec, s[10:11]
	v_mov_b32_e32 v5, 0
	s_and_saveexec_b64 s[10:11], s[8:9]
.LBB161_355:
	v_lshrrev_b32_e32 v3, 24, v3
	s_movk_i32 s8, 0x80
	v_and_or_b32 v5, v3, s8, v4
.LBB161_356:
	s_or_b64 exec, exec, s[10:11]
.LBB161_357:
	s_or_b64 exec, exec, s[6:7]
	s_mov_b64 s[6:7], 0
	global_store_byte v[0:1], v5, off
.LBB161_358:
	s_and_b64 vcc, exec, s[6:7]
	s_cbranch_vccz .LBB161_368
; %bb.359:
	v_cvt_f32_f16_e32 v3, v2
	s_mov_b32 s6, 0x43f00000
                                        ; implicit-def: $vgpr4
	v_and_b32_e32 v5, 0x7fffffff, v3
	v_cmp_gt_u32_e32 vcc, s6, v5
	s_and_saveexec_b64 s[6:7], vcc
	s_xor_b64 s[6:7], exec, s[6:7]
	s_cbranch_execz .LBB161_365
; %bb.360:
	s_mov_b32 s8, 0x3c7fffff
	v_cmp_lt_u32_e32 vcc, s8, v5
                                        ; implicit-def: $vgpr4
	s_and_saveexec_b64 s[8:9], vcc
	s_xor_b64 s[8:9], exec, s[8:9]
; %bb.361:
	v_bfe_u32 v4, v3, 20, 1
	s_mov_b32 s10, 0x407ffff
	v_add3_u32 v4, v3, v4, s10
	v_lshrrev_b32_e32 v5, 20, v4
	v_and_b32_e32 v4, 0xff00000, v4
	s_mov_b32 s10, 0x7f00000
	v_mov_b32_e32 v6, 0x7e
	v_cmp_ne_u32_e32 vcc, s10, v4
	s_nop 1
	v_cndmask_b32_e32 v4, v6, v5, vcc
; %bb.362:
	s_andn2_saveexec_b64 s[8:9], s[8:9]
; %bb.363:
	s_mov_b32 s10, 0x46800000
	v_add_f32_e64 v4, |v3|, s10
; %bb.364:
	s_or_b64 exec, exec, s[8:9]
                                        ; implicit-def: $vgpr5
.LBB161_365:
	s_andn2_saveexec_b64 s[6:7], s[6:7]
; %bb.366:
	s_mov_b32 s8, 0x7f800000
	v_mov_b32_e32 v4, 0x7e
	v_mov_b32_e32 v6, 0x7f
	v_cmp_lt_u32_e32 vcc, s8, v5
	s_nop 1
	v_cndmask_b32_e32 v4, v4, v6, vcc
; %bb.367:
	s_or_b64 exec, exec, s[6:7]
	v_lshrrev_b32_e32 v3, 24, v3
	s_movk_i32 s6, 0x80
	v_and_or_b32 v3, v3, s6, v4
	global_store_byte v[0:1], v3, off
.LBB161_368:
	s_mov_b64 s[6:7], 0
.LBB161_369:
	s_andn2_b64 vcc, exec, s[6:7]
	s_cbranch_vccnz .LBB161_379
; %bb.370:
	v_cvt_f32_f16_e32 v3, v2
	s_mov_b32 s6, 0x47800000
                                        ; implicit-def: $vgpr4
	v_and_b32_e32 v5, 0x7fffffff, v3
	v_cmp_gt_u32_e32 vcc, s6, v5
	s_and_saveexec_b64 s[6:7], vcc
	s_xor_b64 s[6:7], exec, s[6:7]
	s_cbranch_execz .LBB161_376
; %bb.371:
	s_mov_b32 s8, 0x387fffff
	v_cmp_lt_u32_e32 vcc, s8, v5
                                        ; implicit-def: $vgpr4
	s_and_saveexec_b64 s[8:9], vcc
	s_xor_b64 s[8:9], exec, s[8:9]
; %bb.372:
	v_bfe_u32 v4, v3, 21, 1
	s_mov_b32 s10, 0x80fffff
	v_add3_u32 v4, v3, v4, s10
	v_lshrrev_b32_e32 v4, 21, v4
; %bb.373:
	s_andn2_saveexec_b64 s[8:9], s[8:9]
; %bb.374:
	s_mov_b32 s10, 0x43000000
	v_add_f32_e64 v4, |v3|, s10
; %bb.375:
	s_or_b64 exec, exec, s[8:9]
                                        ; implicit-def: $vgpr5
.LBB161_376:
	s_andn2_saveexec_b64 s[6:7], s[6:7]
; %bb.377:
	s_mov_b32 s8, 0x7f800000
	v_mov_b32_e32 v4, 0x7c
	v_mov_b32_e32 v6, 0x7f
	v_cmp_lt_u32_e32 vcc, s8, v5
	s_nop 1
	v_cndmask_b32_e32 v4, v4, v6, vcc
; %bb.378:
	s_or_b64 exec, exec, s[6:7]
	v_lshrrev_b32_e32 v3, 24, v3
	s_movk_i32 s6, 0x80
	v_and_or_b32 v3, v3, s6, v4
	global_store_byte v[0:1], v3, off
.LBB161_379:
	s_mov_b64 s[8:9], 0
	s_mov_b64 s[6:7], -1
.LBB161_380:
	s_andn2_b64 vcc, exec, s[8:9]
	s_cbranch_vccnz .LBB161_388
; %bb.381:
	s_cmp_gt_i32 s13, 14
	s_mov_b64 s[8:9], -1
	s_cbranch_scc0 .LBB161_385
; %bb.382:
	s_cmp_eq_u32 s13, 15
	s_mov_b64 s[2:3], -1
	s_cbranch_scc0 .LBB161_384
; %bb.383:
	v_cvt_f32_f16_e32 v3, v2
	s_movk_i32 s2, 0x7fff
	v_cmp_o_f16_e32 vcc, v2, v2
	v_mov_b32_e32 v4, 0x7fc0
	v_bfe_u32 v5, v3, 16, 1
	v_add3_u32 v3, v3, v5, s2
	v_cndmask_b32_sdwa v3, v4, v3, vcc dst_sel:DWORD dst_unused:UNUSED_PAD src0_sel:DWORD src1_sel:WORD_1
	global_store_short v[0:1], v3, off
	s_mov_b64 s[6:7], -1
	s_mov_b64 s[2:3], 0
.LBB161_384:
	s_mov_b64 s[8:9], 0
.LBB161_385:
	s_and_b64 vcc, exec, s[8:9]
	s_cbranch_vccz .LBB161_388
; %bb.386:
	s_cmp_eq_u32 s13, 11
	s_mov_b64 s[2:3], -1
	s_cbranch_scc0 .LBB161_388
; %bb.387:
	v_cmp_neq_f16_e32 vcc, 0, v2
	s_mov_b64 s[6:7], -1
	s_mov_b64 s[2:3], 0
	v_cndmask_b32_e64 v3, 0, 1, vcc
	global_store_byte v[0:1], v3, off
.LBB161_388:
	s_mov_b64 s[8:9], 0
.LBB161_389:
	s_and_b64 vcc, exec, s[8:9]
	s_cbranch_vccz .LBB161_428
; %bb.390:
	s_and_b32 s8, 0xffff, s12
	s_cmp_lt_i32 s8, 5
	s_mov_b64 s[6:7], -1
	s_cbranch_scc1 .LBB161_411
; %bb.391:
	s_cmp_lt_i32 s8, 8
	s_cbranch_scc1 .LBB161_401
; %bb.392:
	s_cmp_lt_i32 s8, 9
	s_cbranch_scc1 .LBB161_398
; %bb.393:
	s_cmp_gt_i32 s8, 9
	s_cbranch_scc0 .LBB161_395
; %bb.394:
	v_cvt_f32_f16_e32 v3, v2
	v_mov_b32_e32 v6, 0
	v_mov_b32_e32 v7, v6
	s_mov_b64 s[6:7], 0
	v_cvt_f64_f32_e32 v[4:5], v3
	global_store_dwordx4 v[0:1], v[4:7], off
.LBB161_395:
	s_andn2_b64 vcc, exec, s[6:7]
	s_cbranch_vccnz .LBB161_397
; %bb.396:
	v_cvt_f32_f16_e32 v4, v2
	v_mov_b32_e32 v5, 0
	global_store_dwordx2 v[0:1], v[4:5], off
.LBB161_397:
	s_mov_b64 s[6:7], 0
.LBB161_398:
	s_andn2_b64 vcc, exec, s[6:7]
	s_cbranch_vccnz .LBB161_400
; %bb.399:
	v_and_b32_e32 v3, 0xffff, v2
	global_store_dword v[0:1], v3, off
.LBB161_400:
	s_mov_b64 s[6:7], 0
.LBB161_401:
	s_andn2_b64 vcc, exec, s[6:7]
	s_cbranch_vccnz .LBB161_410
; %bb.402:
	s_cmp_lt_i32 s8, 6
	s_mov_b64 s[6:7], -1
	s_cbranch_scc1 .LBB161_408
; %bb.403:
	s_cmp_gt_i32 s8, 6
	s_cbranch_scc0 .LBB161_405
; %bb.404:
	v_cvt_f32_f16_e32 v3, v2
	s_mov_b64 s[6:7], 0
	v_cvt_f64_f32_e32 v[4:5], v3
	global_store_dwordx2 v[0:1], v[4:5], off
.LBB161_405:
	s_andn2_b64 vcc, exec, s[6:7]
	s_cbranch_vccnz .LBB161_407
; %bb.406:
	v_cvt_f32_f16_e32 v3, v2
	global_store_dword v[0:1], v3, off
.LBB161_407:
	s_mov_b64 s[6:7], 0
.LBB161_408:
	s_andn2_b64 vcc, exec, s[6:7]
	s_cbranch_vccnz .LBB161_410
; %bb.409:
	global_store_short v[0:1], v2, off
.LBB161_410:
	s_mov_b64 s[6:7], 0
.LBB161_411:
	s_andn2_b64 vcc, exec, s[6:7]
	s_cbranch_vccnz .LBB161_427
; %bb.412:
	s_cmp_lt_i32 s8, 2
	s_mov_b64 s[6:7], -1
	s_cbranch_scc1 .LBB161_422
; %bb.413:
	s_cmp_lt_i32 s8, 3
	s_cbranch_scc1 .LBB161_419
; %bb.414:
	s_cmp_gt_i32 s8, 3
	s_cbranch_scc0 .LBB161_416
; %bb.415:
	v_cvt_f32_f16_e32 v3, v2
	s_mov_b64 s[6:7], 0
	v_cvt_i32_f32_e32 v4, v3
	v_ashrrev_i32_e32 v5, 31, v4
	global_store_dwordx2 v[0:1], v[4:5], off
.LBB161_416:
	s_andn2_b64 vcc, exec, s[6:7]
	s_cbranch_vccnz .LBB161_418
; %bb.417:
	v_cvt_f32_f16_e32 v3, v2
	v_cvt_i32_f32_e32 v3, v3
	global_store_dword v[0:1], v3, off
.LBB161_418:
	s_mov_b64 s[6:7], 0
.LBB161_419:
	s_andn2_b64 vcc, exec, s[6:7]
	s_cbranch_vccnz .LBB161_421
; %bb.420:
	v_cvt_i16_f16_e32 v3, v2
	global_store_short v[0:1], v3, off
.LBB161_421:
	s_mov_b64 s[6:7], 0
.LBB161_422:
	s_andn2_b64 vcc, exec, s[6:7]
	s_cbranch_vccnz .LBB161_427
; %bb.423:
	s_cmp_gt_i32 s8, 0
	s_mov_b64 s[6:7], -1
	s_cbranch_scc0 .LBB161_425
; %bb.424:
	v_cvt_i16_f16_e32 v3, v2
	s_mov_b64 s[6:7], 0
	global_store_byte v[0:1], v3, off
.LBB161_425:
	s_andn2_b64 vcc, exec, s[6:7]
	s_cbranch_vccnz .LBB161_427
; %bb.426:
	v_cvt_f32_f16_e32 v2, v2
	v_cvt_i32_f32_e32 v2, v2
	global_store_byte v[0:1], v2, off
.LBB161_427:
	s_mov_b64 s[6:7], -1
.LBB161_428:
	s_andn2_b64 vcc, exec, s[6:7]
	s_cbranch_vccnz .LBB161_430
; %bb.429:
	v_add_u32_e32 v8, 0x80, v8
	s_mov_b64 s[6:7], -1
	s_branch .LBB161_543
.LBB161_430:
	s_mov_b64 s[6:7], 0
	s_branch .LBB161_542
.LBB161_431:
	s_mov_b64 s[4:5], -1
                                        ; implicit-def: $vgpr1
.LBB161_432:
	s_mov_b64 s[6:7], 0
.LBB161_433:
	s_and_b64 vcc, exec, s[6:7]
	s_cbranch_vccz .LBB161_437
; %bb.434:
	s_cmp_eq_u32 s10, 29
	s_cbranch_scc0 .LBB161_436
; %bb.435:
	global_load_dwordx2 v[4:5], v[2:3], off
	s_mov_b64 s[2:3], -1
	s_mov_b64 s[4:5], 0
	s_mov_b64 s[6:7], 0
	s_waitcnt vmcnt(0)
	v_ffbh_u32_e32 v1, v5
	v_min_u32_e32 v1, 32, v1
	v_lshlrev_b64 v[4:5], v1, v[4:5]
	v_min_u32_e32 v4, 1, v4
	v_or_b32_e32 v4, v5, v4
	v_cvt_f32_u32_e32 v4, v4
	v_sub_u32_e32 v1, 32, v1
	v_ldexp_f32 v1, v4, v1
	v_cvt_f16_f32_e32 v1, v1
	s_branch .LBB161_438
.LBB161_436:
	s_mov_b64 s[4:5], -1
                                        ; implicit-def: $vgpr1
.LBB161_437:
	s_mov_b64 s[6:7], 0
.LBB161_438:
	s_and_b64 vcc, exec, s[6:7]
	s_cbranch_vccz .LBB161_456
; %bb.439:
	s_cmp_lt_i32 s10, 27
	s_cbranch_scc1 .LBB161_442
; %bb.440:
	s_cmp_gt_i32 s10, 27
	s_cbranch_scc0 .LBB161_443
; %bb.441:
	global_load_dword v1, v[2:3], off
	s_mov_b64 s[2:3], 0
	s_waitcnt vmcnt(0)
	v_cvt_f32_u32_e32 v1, v1
	v_cvt_f16_f32_e32 v1, v1
	s_branch .LBB161_444
.LBB161_442:
	s_mov_b64 s[2:3], -1
                                        ; implicit-def: $vgpr1
	s_branch .LBB161_447
.LBB161_443:
	s_mov_b64 s[2:3], -1
                                        ; implicit-def: $vgpr1
.LBB161_444:
	s_andn2_b64 vcc, exec, s[2:3]
	s_cbranch_vccnz .LBB161_446
; %bb.445:
	global_load_ushort v1, v[2:3], off
	s_waitcnt vmcnt(0)
	v_cvt_f16_u16_e32 v1, v1
.LBB161_446:
	s_mov_b64 s[2:3], 0
.LBB161_447:
	s_andn2_b64 vcc, exec, s[2:3]
	s_cbranch_vccnz .LBB161_455
; %bb.448:
	global_load_ubyte v4, v[2:3], off
	s_movk_i32 s2, 0x7f
	s_waitcnt vmcnt(0)
	v_cmp_lt_i16_e32 vcc, s2, v4
	s_mov_b64 s[2:3], 0
	s_and_saveexec_b64 s[6:7], vcc
	s_xor_b64 s[6:7], exec, s[6:7]
	s_cbranch_execz .LBB161_469
; %bb.449:
	s_movk_i32 s2, 0x80
	v_cmp_eq_u16_e32 vcc, s2, v4
	s_mov_b64 s[2:3], -1
	s_and_saveexec_b64 s[8:9], vcc
; %bb.450:
	s_xor_b64 s[2:3], exec, -1
; %bb.451:
	s_or_b64 exec, exec, s[8:9]
	s_and_b64 s[2:3], s[2:3], exec
	s_or_saveexec_b64 s[6:7], s[6:7]
	v_mov_b32_e32 v1, 0x7e00
	s_xor_b64 exec, exec, s[6:7]
	s_cbranch_execnz .LBB161_470
.LBB161_452:
	s_or_b64 exec, exec, s[6:7]
	s_and_saveexec_b64 s[6:7], s[2:3]
	s_cbranch_execz .LBB161_454
.LBB161_453:
	v_lshlrev_b32_e32 v1, 24, v4
	v_and_b32_e32 v4, 0xffff, v4
	v_and_b32_e32 v5, 7, v4
	v_ffbh_u32_e32 v7, v5
	v_min_u32_e32 v7, 32, v7
	v_subrev_u32_e32 v9, 28, v7
	v_bfe_u32 v6, v4, 3, 4
	v_lshlrev_b32_e32 v4, v9, v4
	v_sub_u32_e32 v7, 29, v7
	v_and_b32_e32 v4, 7, v4
	v_cmp_eq_u32_e32 vcc, 0, v6
	v_and_b32_e32 v1, 0x80000000, v1
	s_nop 0
	v_cndmask_b32_e32 v6, v6, v7, vcc
	v_cndmask_b32_e32 v4, v5, v4, vcc
	v_mov_b32_e32 v5, 0x3b800000
	v_lshlrev_b32_e32 v4, 20, v4
	v_lshl_add_u32 v5, v6, 23, v5
	v_or3_b32 v1, v1, v5, v4
	v_cvt_f16_f32_e32 v1, v1
.LBB161_454:
	s_or_b64 exec, exec, s[6:7]
.LBB161_455:
	s_mov_b64 s[2:3], -1
.LBB161_456:
	s_mov_b64 s[6:7], 0
.LBB161_457:
	s_and_b64 vcc, exec, s[6:7]
	s_cbranch_vccz .LBB161_492
; %bb.458:
	s_cmp_gt_i32 s10, 22
	s_cbranch_scc0 .LBB161_468
; %bb.459:
	s_cmp_lt_i32 s10, 24
	s_cbranch_scc1 .LBB161_471
; %bb.460:
	s_cmp_gt_i32 s10, 24
	s_cbranch_scc0 .LBB161_472
; %bb.461:
	global_load_ubyte v4, v[2:3], off
	s_movk_i32 s2, 0x7f
	s_waitcnt vmcnt(0)
	v_cmp_lt_i16_e32 vcc, s2, v4
	s_mov_b64 s[2:3], 0
	s_and_saveexec_b64 s[6:7], vcc
	s_xor_b64 s[6:7], exec, s[6:7]
	s_cbranch_execz .LBB161_484
; %bb.462:
	s_movk_i32 s2, 0x80
	v_cmp_eq_u16_e32 vcc, s2, v4
	s_mov_b64 s[2:3], -1
	s_and_saveexec_b64 s[8:9], vcc
; %bb.463:
	s_xor_b64 s[2:3], exec, -1
; %bb.464:
	s_or_b64 exec, exec, s[8:9]
	s_and_b64 s[2:3], s[2:3], exec
	s_or_saveexec_b64 s[6:7], s[6:7]
	v_mov_b32_e32 v1, 0x7e00
	s_xor_b64 exec, exec, s[6:7]
	s_cbranch_execnz .LBB161_485
.LBB161_465:
	s_or_b64 exec, exec, s[6:7]
	s_and_saveexec_b64 s[6:7], s[2:3]
	s_cbranch_execz .LBB161_467
.LBB161_466:
	v_lshlrev_b32_e32 v1, 24, v4
	v_and_b32_e32 v4, 0xffff, v4
	v_and_b32_e32 v5, 3, v4
	v_ffbh_u32_e32 v7, v5
	v_min_u32_e32 v7, 32, v7
	v_subrev_u32_e32 v9, 29, v7
	v_bfe_u32 v6, v4, 2, 5
	v_lshlrev_b32_e32 v4, v9, v4
	v_sub_u32_e32 v7, 30, v7
	v_and_b32_e32 v4, 3, v4
	v_cmp_eq_u32_e32 vcc, 0, v6
	v_and_b32_e32 v1, 0x80000000, v1
	s_nop 0
	v_cndmask_b32_e32 v6, v6, v7, vcc
	v_cndmask_b32_e32 v4, v5, v4, vcc
	v_mov_b32_e32 v5, 0x37800000
	v_lshlrev_b32_e32 v4, 21, v4
	v_lshl_add_u32 v5, v6, 23, v5
	v_or3_b32 v1, v1, v5, v4
	v_cvt_f16_f32_e32 v1, v1
.LBB161_467:
	s_or_b64 exec, exec, s[6:7]
	s_mov_b64 s[2:3], 0
	s_branch .LBB161_473
.LBB161_468:
	s_mov_b64 s[6:7], -1
                                        ; implicit-def: $vgpr1
	s_branch .LBB161_479
.LBB161_469:
	s_or_saveexec_b64 s[6:7], s[6:7]
	v_mov_b32_e32 v1, 0x7e00
	s_xor_b64 exec, exec, s[6:7]
	s_cbranch_execz .LBB161_452
.LBB161_470:
	v_cmp_ne_u16_e32 vcc, 0, v4
	s_andn2_b64 s[2:3], s[2:3], exec
	s_and_b64 s[8:9], vcc, exec
	s_or_b64 s[2:3], s[2:3], s[8:9]
	v_mov_b32_e32 v1, v4
	s_or_b64 exec, exec, s[6:7]
	s_and_saveexec_b64 s[6:7], s[2:3]
	s_cbranch_execnz .LBB161_453
	s_branch .LBB161_454
.LBB161_471:
	s_mov_b64 s[2:3], -1
                                        ; implicit-def: $vgpr1
	s_branch .LBB161_476
.LBB161_472:
	s_mov_b64 s[2:3], -1
                                        ; implicit-def: $vgpr1
.LBB161_473:
	s_and_b64 vcc, exec, s[2:3]
	s_cbranch_vccz .LBB161_475
; %bb.474:
	global_load_ubyte v1, v[2:3], off
	s_mov_b32 s2, 0x7f800000
	s_waitcnt vmcnt(0)
	v_lshlrev_b32_e32 v1, 24, v1
	v_and_b32_e32 v4, 0x7f000000, v1
	v_ffbh_u32_e32 v5, v4
	v_min_u32_e32 v5, 32, v5
	v_sub_u32_e64 v5, v5, 4 clamp
	v_lshlrev_b32_e32 v7, v5, v4
	v_lshlrev_b32_e32 v5, 23, v5
	v_lshrrev_b32_e32 v7, 4, v7
	v_add_u32_e32 v6, 0x1000000, v4
	v_sub_u32_e32 v5, v7, v5
	v_ashrrev_i32_e32 v6, 8, v6
	v_add_u32_e32 v5, 0x3c000000, v5
	v_and_or_b32 v5, v6, s2, v5
	v_cmp_ne_u32_e32 vcc, 0, v4
	s_brev_b32 s2, 1
	s_nop 0
	v_cndmask_b32_e32 v4, 0, v5, vcc
	v_and_or_b32 v1, v1, s2, v4
	v_cvt_f16_f32_e32 v1, v1
.LBB161_475:
	s_mov_b64 s[2:3], 0
.LBB161_476:
	s_andn2_b64 vcc, exec, s[2:3]
	s_cbranch_vccnz .LBB161_478
; %bb.477:
	global_load_ubyte v1, v[2:3], off
	s_movk_i32 s2, 0x7f00
	s_brev_b32 s3, 16
	s_waitcnt vmcnt(0)
	v_lshlrev_b16_e32 v4, 8, v1
	v_lshlrev_b32_e32 v1, 25, v1
	v_lshrrev_b32_e32 v5, 4, v1
	v_and_or_b32 v6, v4, s2, 0.5
	v_or_b32_e32 v5, 0x70000000, v5
	v_add_f32_e32 v6, -0.5, v6
	v_mul_f32_e32 v5, 0x7800000, v5
	v_cmp_gt_u32_e32 vcc, s3, v1
	v_bfe_i32 v4, v4, 0, 16
	s_brev_b32 s2, 1
	v_cndmask_b32_e32 v1, v5, v6, vcc
	v_and_or_b32 v1, v4, s2, v1
	v_cvt_f16_f32_e32 v1, v1
.LBB161_478:
	s_mov_b64 s[6:7], 0
	s_mov_b64 s[2:3], -1
.LBB161_479:
	s_andn2_b64 vcc, exec, s[6:7]
	s_cbranch_vccnz .LBB161_492
; %bb.480:
	s_cmp_gt_i32 s10, 14
	s_cbranch_scc0 .LBB161_483
; %bb.481:
	s_cmp_eq_u32 s10, 15
	s_cbranch_scc0 .LBB161_486
; %bb.482:
	global_load_ushort v1, v[2:3], off
	s_mov_b64 s[2:3], -1
	s_mov_b64 s[4:5], 0
	s_waitcnt vmcnt(0)
	v_lshlrev_b32_e32 v1, 16, v1
	v_cvt_f16_f32_e32 v1, v1
	s_branch .LBB161_487
.LBB161_483:
	s_mov_b64 s[6:7], -1
                                        ; implicit-def: $vgpr1
	s_branch .LBB161_488
.LBB161_484:
	s_or_saveexec_b64 s[6:7], s[6:7]
	v_mov_b32_e32 v1, 0x7e00
	s_xor_b64 exec, exec, s[6:7]
	s_cbranch_execz .LBB161_465
.LBB161_485:
	v_cmp_ne_u16_e32 vcc, 0, v4
	s_andn2_b64 s[2:3], s[2:3], exec
	s_and_b64 s[8:9], vcc, exec
	s_or_b64 s[2:3], s[2:3], s[8:9]
	v_mov_b32_e32 v1, v4
	s_or_b64 exec, exec, s[6:7]
	s_and_saveexec_b64 s[6:7], s[2:3]
	s_cbranch_execnz .LBB161_466
	s_branch .LBB161_467
.LBB161_486:
	s_mov_b64 s[4:5], -1
                                        ; implicit-def: $vgpr1
.LBB161_487:
	s_mov_b64 s[6:7], 0
.LBB161_488:
	s_and_b64 vcc, exec, s[6:7]
	s_cbranch_vccz .LBB161_492
; %bb.489:
	s_cmp_eq_u32 s10, 11
	s_cbranch_scc0 .LBB161_491
; %bb.490:
	global_load_ubyte v1, v[2:3], off
	v_mov_b32_e32 v4, 0x3c00
	s_mov_b64 s[2:3], -1
	s_mov_b64 s[4:5], 0
	s_waitcnt vmcnt(0)
	v_cmp_ne_u16_e32 vcc, 0, v1
	s_nop 1
	v_cndmask_b32_e32 v1, 0, v4, vcc
	s_branch .LBB161_492
.LBB161_491:
	s_mov_b64 s[4:5], -1
                                        ; implicit-def: $vgpr1
.LBB161_492:
	s_branch .LBB161_295
.LBB161_493:
	s_cmp_lt_i32 s10, 5
	s_cbranch_scc1 .LBB161_498
; %bb.494:
	s_cmp_lt_i32 s10, 8
	s_cbranch_scc1 .LBB161_499
; %bb.495:
	;; [unrolled: 3-line block ×3, first 2 shown]
	s_cmp_gt_i32 s10, 9
	s_cbranch_scc0 .LBB161_501
; %bb.497:
	global_load_dwordx2 v[4:5], v[2:3], off
	s_movk_i32 s2, 0x1ff
	s_movk_i32 s3, 0xffe
	s_waitcnt vmcnt(1)
	v_mov_b32_e32 v1, 0x7c00
	v_mov_b32_e32 v6, 0x7e00
	s_movk_i32 s6, 0x40f
	s_mov_b32 s7, 0x8000
	s_waitcnt vmcnt(0)
	v_and_or_b32 v4, v5, s2, v4
	v_cmp_ne_u32_e32 vcc, 0, v4
	v_lshrrev_b32_e32 v7, 8, v5
	v_bfe_u32 v9, v5, 20, 11
	v_cndmask_b32_e64 v4, 0, 1, vcc
	v_sub_u32_e32 v10, 0x3f1, v9
	v_and_or_b32 v4, v7, s3, v4
	v_add_u32_e32 v9, 0xfffffc10, v9
	v_med3_i32 v7, v10, 0, 13
	v_or_b32_e32 v10, 0x1000, v4
	v_cmp_ne_u32_e32 vcc, 0, v4
	v_lshl_or_b32 v11, v9, 12, v4
	v_lshrrev_b32_e32 v5, 16, v5
	v_cndmask_b32_e32 v4, v1, v6, vcc
	v_lshrrev_b32_e32 v6, v7, v10
	v_lshlrev_b32_e32 v7, v7, v6
	v_cmp_ne_u32_e32 vcc, v7, v10
	s_mov_b64 s[2:3], 0
	s_nop 0
	v_cndmask_b32_e64 v7, 0, 1, vcc
	v_or_b32_e32 v6, v6, v7
	v_cmp_gt_i32_e32 vcc, 1, v9
	s_nop 1
	v_cndmask_b32_e32 v6, v11, v6, vcc
	v_and_b32_e32 v7, 7, v6
	v_cmp_lt_i32_e32 vcc, 5, v7
	v_lshrrev_b32_e32 v6, 2, v6
	s_nop 0
	v_cndmask_b32_e64 v10, 0, 1, vcc
	v_cmp_eq_u32_e32 vcc, 3, v7
	s_nop 1
	v_cndmask_b32_e64 v7, 0, 1, vcc
	v_or_b32_e32 v7, v7, v10
	v_add_u32_e32 v6, v6, v7
	v_cmp_gt_i32_e32 vcc, 31, v9
	s_nop 1
	v_cndmask_b32_e32 v1, v1, v6, vcc
	v_cmp_eq_u32_e32 vcc, s6, v9
	s_nop 1
	v_cndmask_b32_e32 v1, v1, v4, vcc
	v_and_or_b32 v1, v5, s7, v1
	s_branch .LBB161_502
.LBB161_498:
	s_mov_b64 s[2:3], -1
                                        ; implicit-def: $vgpr1
	s_branch .LBB161_520
.LBB161_499:
	s_mov_b64 s[2:3], -1
                                        ; implicit-def: $vgpr1
	s_branch .LBB161_508
.LBB161_500:
	s_mov_b64 s[2:3], -1
                                        ; implicit-def: $vgpr1
	s_branch .LBB161_505
.LBB161_501:
	s_mov_b64 s[2:3], -1
                                        ; implicit-def: $vgpr1
.LBB161_502:
	s_andn2_b64 vcc, exec, s[2:3]
	s_cbranch_vccnz .LBB161_504
; %bb.503:
	global_load_dword v1, v[2:3], off
	s_waitcnt vmcnt(0)
	v_cvt_f16_f32_e32 v1, v1
.LBB161_504:
	s_mov_b64 s[2:3], 0
.LBB161_505:
	s_andn2_b64 vcc, exec, s[2:3]
	s_cbranch_vccnz .LBB161_507
; %bb.506:
	global_load_dword v1, v[2:3], off
.LBB161_507:
	s_mov_b64 s[2:3], 0
.LBB161_508:
	s_andn2_b64 vcc, exec, s[2:3]
	s_cbranch_vccnz .LBB161_519
; %bb.509:
	s_cmp_lt_i32 s10, 6
	s_cbranch_scc1 .LBB161_512
; %bb.510:
	s_cmp_gt_i32 s10, 6
	s_cbranch_scc0 .LBB161_513
; %bb.511:
	global_load_dwordx2 v[4:5], v[2:3], off
	s_movk_i32 s2, 0x1ff
	s_movk_i32 s3, 0xffe
	s_waitcnt vmcnt(1)
	v_mov_b32_e32 v1, 0x7c00
	v_mov_b32_e32 v6, 0x7e00
	s_movk_i32 s6, 0x40f
	s_mov_b32 s7, 0x8000
	s_waitcnt vmcnt(0)
	v_and_or_b32 v4, v5, s2, v4
	v_cmp_ne_u32_e32 vcc, 0, v4
	v_lshrrev_b32_e32 v7, 8, v5
	v_bfe_u32 v9, v5, 20, 11
	v_cndmask_b32_e64 v4, 0, 1, vcc
	v_sub_u32_e32 v10, 0x3f1, v9
	v_and_or_b32 v4, v7, s3, v4
	v_add_u32_e32 v9, 0xfffffc10, v9
	v_med3_i32 v7, v10, 0, 13
	v_or_b32_e32 v10, 0x1000, v4
	v_cmp_ne_u32_e32 vcc, 0, v4
	v_lshl_or_b32 v11, v9, 12, v4
	v_lshrrev_b32_e32 v5, 16, v5
	v_cndmask_b32_e32 v4, v1, v6, vcc
	v_lshrrev_b32_e32 v6, v7, v10
	v_lshlrev_b32_e32 v7, v7, v6
	v_cmp_ne_u32_e32 vcc, v7, v10
	s_mov_b64 s[2:3], 0
	s_nop 0
	v_cndmask_b32_e64 v7, 0, 1, vcc
	v_or_b32_e32 v6, v6, v7
	v_cmp_gt_i32_e32 vcc, 1, v9
	s_nop 1
	v_cndmask_b32_e32 v6, v11, v6, vcc
	v_and_b32_e32 v7, 7, v6
	v_cmp_lt_i32_e32 vcc, 5, v7
	v_lshrrev_b32_e32 v6, 2, v6
	s_nop 0
	v_cndmask_b32_e64 v10, 0, 1, vcc
	v_cmp_eq_u32_e32 vcc, 3, v7
	s_nop 1
	v_cndmask_b32_e64 v7, 0, 1, vcc
	v_or_b32_e32 v7, v7, v10
	v_add_u32_e32 v6, v6, v7
	v_cmp_gt_i32_e32 vcc, 31, v9
	s_nop 1
	v_cndmask_b32_e32 v1, v1, v6, vcc
	v_cmp_eq_u32_e32 vcc, s6, v9
	s_nop 1
	v_cndmask_b32_e32 v1, v1, v4, vcc
	v_and_or_b32 v1, v5, s7, v1
	s_branch .LBB161_514
.LBB161_512:
	s_mov_b64 s[2:3], -1
                                        ; implicit-def: $vgpr1
	s_branch .LBB161_517
.LBB161_513:
	s_mov_b64 s[2:3], -1
                                        ; implicit-def: $vgpr1
.LBB161_514:
	s_andn2_b64 vcc, exec, s[2:3]
	s_cbranch_vccnz .LBB161_516
; %bb.515:
	global_load_dword v1, v[2:3], off
	s_waitcnt vmcnt(0)
	v_cvt_f16_f32_e32 v1, v1
.LBB161_516:
	s_mov_b64 s[2:3], 0
.LBB161_517:
	s_andn2_b64 vcc, exec, s[2:3]
	s_cbranch_vccnz .LBB161_519
; %bb.518:
	global_load_ushort v1, v[2:3], off
.LBB161_519:
	s_mov_b64 s[2:3], 0
.LBB161_520:
	s_andn2_b64 vcc, exec, s[2:3]
	s_cbranch_vccnz .LBB161_540
; %bb.521:
	s_cmp_lt_i32 s10, 2
	s_cbranch_scc1 .LBB161_525
; %bb.522:
	s_cmp_lt_i32 s10, 3
	s_cbranch_scc1 .LBB161_526
; %bb.523:
	s_cmp_gt_i32 s10, 3
	s_cbranch_scc0 .LBB161_527
; %bb.524:
	global_load_dwordx2 v[4:5], v[2:3], off
	s_mov_b64 s[2:3], 0
	s_waitcnt vmcnt(0)
	v_xor_b32_e32 v6, v4, v5
	v_ffbh_i32_e32 v1, v5
	v_ashrrev_i32_e32 v6, 31, v6
	v_add_u32_e32 v1, -1, v1
	v_add_u32_e32 v6, 32, v6
	v_min_u32_e32 v1, v1, v6
	v_lshlrev_b64 v[4:5], v1, v[4:5]
	v_min_u32_e32 v4, 1, v4
	v_or_b32_e32 v4, v5, v4
	v_cvt_f32_i32_e32 v4, v4
	v_sub_u32_e32 v1, 32, v1
	v_ldexp_f32 v1, v4, v1
	v_cvt_f16_f32_e32 v1, v1
	s_branch .LBB161_528
.LBB161_525:
	s_mov_b64 s[2:3], -1
                                        ; implicit-def: $vgpr1
	s_branch .LBB161_534
.LBB161_526:
	s_mov_b64 s[2:3], -1
                                        ; implicit-def: $vgpr1
	s_branch .LBB161_531
.LBB161_527:
	s_mov_b64 s[2:3], -1
                                        ; implicit-def: $vgpr1
.LBB161_528:
	s_andn2_b64 vcc, exec, s[2:3]
	s_cbranch_vccnz .LBB161_530
; %bb.529:
	global_load_dword v1, v[2:3], off
	s_waitcnt vmcnt(0)
	v_cvt_f32_i32_e32 v1, v1
	v_cvt_f16_f32_e32 v1, v1
.LBB161_530:
	s_mov_b64 s[2:3], 0
.LBB161_531:
	s_andn2_b64 vcc, exec, s[2:3]
	s_cbranch_vccnz .LBB161_533
; %bb.532:
	global_load_ushort v1, v[2:3], off
	s_waitcnt vmcnt(0)
	v_cvt_f16_i16_e32 v1, v1
.LBB161_533:
	s_mov_b64 s[2:3], 0
.LBB161_534:
	s_andn2_b64 vcc, exec, s[2:3]
	s_cbranch_vccnz .LBB161_540
; %bb.535:
	s_cmp_gt_i32 s10, 0
	s_cbranch_scc0 .LBB161_537
; %bb.536:
	global_load_sbyte v1, v[2:3], off
	s_mov_b64 s[2:3], 0
	s_waitcnt vmcnt(0)
	v_cvt_f16_i16_e32 v1, v1
	s_branch .LBB161_538
.LBB161_537:
	s_mov_b64 s[2:3], -1
                                        ; implicit-def: $vgpr1
.LBB161_538:
	s_andn2_b64 vcc, exec, s[2:3]
	s_cbranch_vccnz .LBB161_540
; %bb.539:
	global_load_ubyte v1, v[2:3], off
	s_waitcnt vmcnt(0)
	v_cvt_f16_u16_e32 v1, v1
.LBB161_540:
	s_branch .LBB161_296
.LBB161_541:
	s_mov_b64 s[6:7], 0
	s_mov_b64 s[2:3], s[54:55]
.LBB161_542:
                                        ; implicit-def: $vgpr8
.LBB161_543:
	s_andn2_b64 s[8:9], s[54:55], exec
	s_and_b64 s[2:3], s[2:3], exec
	s_or_b64 s[62:63], s[8:9], s[2:3]
	s_andn2_b64 s[2:3], s[56:57], exec
	s_and_b64 s[4:5], s[4:5], exec
	s_or_b64 s[60:61], s[2:3], s[4:5]
	s_orn2_b64 s[2:3], s[6:7], exec
.LBB161_544:
	s_or_b64 exec, exec, s[64:65]
	s_mov_b64 s[4:5], 0
	s_mov_b64 s[6:7], 0
	;; [unrolled: 1-line block ×3, first 2 shown]
                                        ; implicit-def: $vgpr2_vgpr3
                                        ; implicit-def: $vgpr0
                                        ; implicit-def: $vgpr1
	s_and_saveexec_b64 s[64:65], s[2:3]
	s_cbranch_execz .LBB161_921
; %bb.545:
	v_cmp_gt_i32_e32 vcc, s70, v8
	s_mov_b64 s[6:7], -1
	s_mov_b64 s[2:3], s[60:61]
	s_mov_b64 s[68:69], s[62:63]
	s_and_saveexec_b64 s[66:67], vcc
	s_cbranch_execz .LBB161_820
; %bb.546:
	s_andn2_b64 vcc, exec, s[42:43]
	s_cbranch_vccnz .LBB161_552
; %bb.547:
	s_andn2_b64 vcc, exec, s[52:53]
	s_cbranch_vccnz .LBB161_553
; %bb.548:
	s_add_i32 s76, s75, 1
	s_cmp_eq_u32 s72, 2
	s_cbranch_scc1 .LBB161_554
; %bb.549:
	s_and_b32 s71, s76, 28
	s_mov_b32 s77, 0
	v_mov_b32_e32 v0, 0
	v_mov_b32_e32 v2, 0
	s_mov_b64 s[2:3], s[34:35]
	s_mov_b64 s[68:69], s[50:51]
	v_mov_b32_e32 v4, v8
.LBB161_550:                            ; =>This Inner Loop Header: Depth=1
	s_load_dwordx8 s[12:19], s[2:3], 0x4
	s_load_dwordx4 s[36:39], s[2:3], 0x24
	s_load_dwordx8 s[4:11], s[68:69], 0x0
	s_add_u32 s2, s2, 48
	s_addc_u32 s3, s3, 0
	s_waitcnt vmcnt(0) lgkmcnt(0)
	v_mul_hi_u32 v1, s13, v4
	v_add_u32_e32 v1, v4, v1
	v_lshrrev_b32_e32 v1, s14, v1
	v_mul_lo_u32 v3, v1, s12
	v_mul_hi_u32 v5, s16, v1
	v_sub_u32_e32 v3, v4, v3
	v_add_u32_e32 v4, v1, v5
	v_lshrrev_b32_e32 v4, s17, v4
	v_mul_lo_u32 v6, v4, s15
	v_mul_hi_u32 v7, s19, v4
	v_sub_u32_e32 v1, v1, v6
	v_add_u32_e32 v6, v4, v7
	v_mul_lo_u32 v5, v3, s5
	v_mul_lo_u32 v3, v3, s4
	;; [unrolled: 1-line block ×4, first 2 shown]
	v_lshrrev_b32_e32 v6, s36, v6
	v_add3_u32 v0, v3, v0, v1
	v_mul_hi_u32 v3, s38, v6
	v_add3_u32 v1, v5, v2, v7
	v_mul_lo_u32 v2, v6, s18
	v_add_u32_e32 v3, v6, v3
	v_sub_u32_e32 v2, v4, v2
	v_lshrrev_b32_e32 v4, s39, v3
	s_add_i32 s77, s77, 4
	v_mul_lo_u32 v3, v4, s37
	s_add_u32 s68, s68, 32
	v_sub_u32_e32 v3, v6, v3
	s_addc_u32 s69, s69, 0
	v_mul_lo_u32 v5, v2, s8
	v_mul_lo_u32 v2, v2, s9
	;; [unrolled: 1-line block ×4, first 2 shown]
	s_cmp_eq_u32 s71, s77
	v_add3_u32 v2, v2, v1, v3
	v_add3_u32 v0, v5, v0, v6
	s_cbranch_scc0 .LBB161_550
; %bb.551:
	v_mov_b32_e32 v1, v2
	s_branch .LBB161_555
.LBB161_552:
	s_mov_b64 s[2:3], -1
                                        ; implicit-def: $vgpr2
                                        ; implicit-def: $vgpr0
	s_branch .LBB161_559
.LBB161_553:
	v_mov_b32_e32 v2, 0
	v_mov_b32_e32 v0, 0
	s_branch .LBB161_558
.LBB161_554:
	v_mov_b32_e32 v0, 0
	s_mov_b32 s71, 0
	s_waitcnt vmcnt(0)
	v_mov_b32_e32 v1, v0
                                        ; implicit-def: $vgpr2
	v_mov_b32_e32 v4, v8
.LBB161_555:
	s_and_b32 s6, s76, 3
	s_cmp_eq_u32 s6, 0
	s_cbranch_scc1 .LBB161_558
; %bb.556:
	s_lshl_b32 s2, s71, 3
	s_add_u32 s2, s34, s2
	s_addc_u32 s3, s35, 0
	s_add_u32 s2, s2, 0xc4
	s_addc_u32 s3, s3, 0
	s_mul_i32 s4, s71, 12
	s_add_u32 s4, s34, s4
	s_addc_u32 s5, s35, 0
.LBB161_557:                            ; =>This Inner Loop Header: Depth=1
	s_load_dwordx2 s[8:9], s[4:5], 0x4
	s_load_dword s7, s[4:5], 0xc
	s_load_dwordx2 s[10:11], s[2:3], 0x0
	v_mov_b32_e32 v2, v1
	s_add_u32 s4, s4, 12
	s_waitcnt lgkmcnt(0)
	v_mul_hi_u32 v1, s9, v4
	v_add_u32_e32 v1, v4, v1
	v_lshrrev_b32_e32 v1, s7, v1
	s_addc_u32 s5, s5, 0
	v_mul_lo_u32 v3, v1, s8
	s_add_u32 s2, s2, 8
	v_sub_u32_e32 v5, v4, v3
	s_addc_u32 s3, s3, 0
	s_add_i32 s6, s6, -1
	v_mov_b32_e32 v4, v1
	v_mad_u64_u32 v[2:3], s[8:9], v5, s11, v[2:3]
	v_mad_u64_u32 v[0:1], s[8:9], v5, s10, v[0:1]
	s_cmp_lg_u32 s6, 0
	v_mov_b32_e32 v1, v2
	s_cbranch_scc1 .LBB161_557
.LBB161_558:
	s_mov_b64 s[2:3], 0
.LBB161_559:
	s_andn2_b64 vcc, exec, s[2:3]
	s_cbranch_vccnz .LBB161_562
; %bb.560:
	s_waitcnt lgkmcnt(0)
	v_mul_hi_u32 v0, s29, v8
	v_add_u32_e32 v0, v8, v0
	s_waitcnt vmcnt(0)
	v_lshrrev_b32_e32 v1, s30, v0
	v_mul_lo_u32 v0, v1, s28
	v_sub_u32_e32 v0, v8, v0
	v_mul_lo_u32 v2, v0, s25
	s_andn2_b64 vcc, exec, s[48:49]
	v_mul_lo_u32 v0, v0, s24
	s_cbranch_vccnz .LBB161_562
; %bb.561:
	v_mul_hi_u32 v3, s46, v1
	v_add_u32_e32 v3, v1, v3
	v_lshrrev_b32_e32 v3, s47, v3
	v_mul_lo_u32 v3, v3, s31
	v_sub_u32_e32 v3, v1, v3
	v_mad_u64_u32 v[0:1], s[2:3], v3, s26, v[0:1]
	v_mad_u64_u32 v[2:3], s[2:3], v3, s27, v[2:3]
.LBB161_562:
	v_mov_b32_e32 v3, 0
	s_and_b32 s10, 0xffff, s74
	s_cmp_lt_i32 s10, 11
	s_waitcnt lgkmcnt(0)
	v_lshl_add_u64 v[2:3], s[22:23], 0, v[2:3]
	s_cbranch_scc1 .LBB161_569
; %bb.563:
	s_cmp_gt_i32 s10, 25
	s_cbranch_scc0 .LBB161_570
; %bb.564:
	s_cmp_gt_i32 s10, 28
	s_cbranch_scc0 .LBB161_571
	;; [unrolled: 3-line block ×4, first 2 shown]
; %bb.567:
	s_cmp_eq_u32 s10, 46
	s_mov_b64 s[6:7], 0
	s_cbranch_scc0 .LBB161_578
; %bb.568:
	global_load_dword v1, v[2:3], off
	s_mov_b64 s[2:3], -1
	s_mov_b64 s[4:5], 0
	s_waitcnt vmcnt(0)
	v_lshlrev_b32_e32 v1, 16, v1
	v_cvt_f16_f32_e32 v1, v1
	s_branch .LBB161_579
.LBB161_569:
	s_mov_b64 s[6:7], -1
	s_mov_b64 s[2:3], 0
                                        ; implicit-def: $vgpr1
	s_mov_b64 s[4:5], s[60:61]
	s_branch .LBB161_644
.LBB161_570:
	s_mov_b64 s[6:7], -1
	s_mov_b64 s[2:3], 0
	s_mov_b64 s[4:5], s[60:61]
                                        ; implicit-def: $vgpr1
	s_branch .LBB161_608
.LBB161_571:
	s_mov_b64 s[6:7], -1
	s_mov_b64 s[2:3], 0
	s_mov_b64 s[4:5], s[60:61]
                                        ; implicit-def: $vgpr1
	s_branch .LBB161_589
.LBB161_572:
	s_mov_b64 s[6:7], -1
	s_mov_b64 s[2:3], 0
	s_mov_b64 s[4:5], s[60:61]
                                        ; implicit-def: $vgpr1
	s_branch .LBB161_584
.LBB161_573:
	s_andn2_saveexec_b64 s[10:11], s[10:11]
	s_cbranch_execz .LBB161_341
.LBB161_574:
	s_mov_b32 s14, 0x46000000
	v_add_f32_e64 v4, |v3|, s14
	v_and_b32_e32 v4, 0xff, v4
	v_cmp_ne_u32_e32 vcc, 0, v4
	s_andn2_b64 s[8:9], s[8:9], exec
	s_and_b64 s[14:15], vcc, exec
	s_or_b64 s[8:9], s[8:9], s[14:15]
	s_or_b64 exec, exec, s[10:11]
	v_mov_b32_e32 v5, 0
	s_and_saveexec_b64 s[10:11], s[8:9]
	s_cbranch_execnz .LBB161_342
	s_branch .LBB161_343
.LBB161_575:
	s_mov_b64 s[6:7], -1
	s_mov_b64 s[2:3], 0
	s_mov_b64 s[4:5], s[60:61]
                                        ; implicit-def: $vgpr1
	s_branch .LBB161_579
.LBB161_576:
	s_andn2_saveexec_b64 s[10:11], s[10:11]
	s_cbranch_execz .LBB161_354
.LBB161_577:
	s_mov_b32 s14, 0x42800000
	v_add_f32_e64 v4, |v3|, s14
	v_and_b32_e32 v4, 0xff, v4
	v_cmp_ne_u32_e32 vcc, 0, v4
	s_andn2_b64 s[8:9], s[8:9], exec
	s_and_b64 s[14:15], vcc, exec
	s_or_b64 s[8:9], s[8:9], s[14:15]
	s_or_b64 exec, exec, s[10:11]
	v_mov_b32_e32 v5, 0
	s_and_saveexec_b64 s[10:11], s[8:9]
	s_cbranch_execnz .LBB161_355
	s_branch .LBB161_356
.LBB161_578:
	s_mov_b64 s[4:5], -1
                                        ; implicit-def: $vgpr1
	s_mov_b64 s[2:3], 0
.LBB161_579:
	s_and_b64 vcc, exec, s[6:7]
	s_cbranch_vccz .LBB161_583
; %bb.580:
	s_cmp_eq_u32 s10, 44
	s_cbranch_scc0 .LBB161_582
; %bb.581:
	global_load_ubyte v1, v[2:3], off
	s_movk_i32 s4, 0xff
	v_mov_b32_e32 v5, 0x7e00
	s_mov_b64 s[2:3], -1
	s_waitcnt vmcnt(0)
	v_lshlrev_b32_e32 v4, 23, v1
	v_cvt_f16_f32_e32 v4, v4
	v_cmp_ne_u32_e32 vcc, s4, v1
	s_mov_b64 s[4:5], 0
	s_nop 0
	v_cndmask_b32_e32 v4, v5, v4, vcc
	v_cmp_ne_u32_e32 vcc, 0, v1
	s_nop 1
	v_cndmask_b32_e32 v1, 0, v4, vcc
	s_branch .LBB161_583
.LBB161_582:
	s_mov_b64 s[4:5], -1
                                        ; implicit-def: $vgpr1
.LBB161_583:
	s_mov_b64 s[6:7], 0
.LBB161_584:
	s_and_b64 vcc, exec, s[6:7]
	s_cbranch_vccz .LBB161_588
; %bb.585:
	s_cmp_eq_u32 s10, 29
	s_cbranch_scc0 .LBB161_587
; %bb.586:
	global_load_dwordx2 v[4:5], v[2:3], off
	s_mov_b64 s[2:3], -1
	s_mov_b64 s[4:5], 0
	s_mov_b64 s[6:7], 0
	s_waitcnt vmcnt(0)
	v_ffbh_u32_e32 v1, v5
	v_min_u32_e32 v1, 32, v1
	v_lshlrev_b64 v[4:5], v1, v[4:5]
	v_min_u32_e32 v4, 1, v4
	v_or_b32_e32 v4, v5, v4
	v_cvt_f32_u32_e32 v4, v4
	v_sub_u32_e32 v1, 32, v1
	v_ldexp_f32 v1, v4, v1
	v_cvt_f16_f32_e32 v1, v1
	s_branch .LBB161_589
.LBB161_587:
	s_mov_b64 s[4:5], -1
                                        ; implicit-def: $vgpr1
.LBB161_588:
	s_mov_b64 s[6:7], 0
.LBB161_589:
	s_and_b64 vcc, exec, s[6:7]
	s_cbranch_vccz .LBB161_607
; %bb.590:
	s_cmp_lt_i32 s10, 27
	s_cbranch_scc1 .LBB161_593
; %bb.591:
	s_cmp_gt_i32 s10, 27
	s_cbranch_scc0 .LBB161_594
; %bb.592:
	global_load_dword v1, v[2:3], off
	s_mov_b64 s[2:3], 0
	s_waitcnt vmcnt(0)
	v_cvt_f32_u32_e32 v1, v1
	v_cvt_f16_f32_e32 v1, v1
	s_branch .LBB161_595
.LBB161_593:
	s_mov_b64 s[2:3], -1
                                        ; implicit-def: $vgpr1
	s_branch .LBB161_598
.LBB161_594:
	s_mov_b64 s[2:3], -1
                                        ; implicit-def: $vgpr1
.LBB161_595:
	s_andn2_b64 vcc, exec, s[2:3]
	s_cbranch_vccnz .LBB161_597
; %bb.596:
	global_load_ushort v1, v[2:3], off
	s_waitcnt vmcnt(0)
	v_cvt_f16_u16_e32 v1, v1
.LBB161_597:
	s_mov_b64 s[2:3], 0
.LBB161_598:
	s_andn2_b64 vcc, exec, s[2:3]
	s_cbranch_vccnz .LBB161_606
; %bb.599:
	global_load_ubyte v4, v[2:3], off
	s_movk_i32 s2, 0x7f
	s_waitcnt vmcnt(0)
	v_cmp_lt_i16_e32 vcc, s2, v4
	s_mov_b64 s[2:3], 0
	s_and_saveexec_b64 s[6:7], vcc
	s_xor_b64 s[6:7], exec, s[6:7]
	s_cbranch_execz .LBB161_620
; %bb.600:
	s_movk_i32 s2, 0x80
	v_cmp_eq_u16_e32 vcc, s2, v4
	s_mov_b64 s[2:3], -1
	s_and_saveexec_b64 s[8:9], vcc
; %bb.601:
	s_xor_b64 s[2:3], exec, -1
; %bb.602:
	s_or_b64 exec, exec, s[8:9]
	s_and_b64 s[2:3], s[2:3], exec
	s_or_saveexec_b64 s[6:7], s[6:7]
	v_mov_b32_e32 v1, 0x7e00
	s_xor_b64 exec, exec, s[6:7]
	s_cbranch_execnz .LBB161_621
.LBB161_603:
	s_or_b64 exec, exec, s[6:7]
	s_and_saveexec_b64 s[6:7], s[2:3]
	s_cbranch_execz .LBB161_605
.LBB161_604:
	v_lshlrev_b32_e32 v1, 24, v4
	v_and_b32_e32 v4, 0xffff, v4
	v_and_b32_e32 v5, 7, v4
	v_ffbh_u32_e32 v7, v5
	v_min_u32_e32 v7, 32, v7
	v_subrev_u32_e32 v9, 28, v7
	v_bfe_u32 v6, v4, 3, 4
	v_lshlrev_b32_e32 v4, v9, v4
	v_sub_u32_e32 v7, 29, v7
	v_and_b32_e32 v4, 7, v4
	v_cmp_eq_u32_e32 vcc, 0, v6
	v_and_b32_e32 v1, 0x80000000, v1
	s_nop 0
	v_cndmask_b32_e32 v6, v6, v7, vcc
	v_cndmask_b32_e32 v4, v5, v4, vcc
	v_mov_b32_e32 v5, 0x3b800000
	v_lshlrev_b32_e32 v4, 20, v4
	v_lshl_add_u32 v5, v6, 23, v5
	v_or3_b32 v1, v1, v5, v4
	v_cvt_f16_f32_e32 v1, v1
.LBB161_605:
	s_or_b64 exec, exec, s[6:7]
.LBB161_606:
	s_mov_b64 s[2:3], -1
.LBB161_607:
	s_mov_b64 s[6:7], 0
.LBB161_608:
	s_and_b64 vcc, exec, s[6:7]
	s_cbranch_vccz .LBB161_643
; %bb.609:
	s_cmp_gt_i32 s10, 22
	s_cbranch_scc0 .LBB161_619
; %bb.610:
	s_cmp_lt_i32 s10, 24
	s_cbranch_scc1 .LBB161_622
; %bb.611:
	s_cmp_gt_i32 s10, 24
	s_cbranch_scc0 .LBB161_623
; %bb.612:
	global_load_ubyte v4, v[2:3], off
	s_movk_i32 s2, 0x7f
	s_waitcnt vmcnt(0)
	v_cmp_lt_i16_e32 vcc, s2, v4
	s_mov_b64 s[2:3], 0
	s_and_saveexec_b64 s[6:7], vcc
	s_xor_b64 s[6:7], exec, s[6:7]
	s_cbranch_execz .LBB161_635
; %bb.613:
	s_movk_i32 s2, 0x80
	v_cmp_eq_u16_e32 vcc, s2, v4
	s_mov_b64 s[2:3], -1
	s_and_saveexec_b64 s[8:9], vcc
; %bb.614:
	s_xor_b64 s[2:3], exec, -1
; %bb.615:
	s_or_b64 exec, exec, s[8:9]
	s_and_b64 s[2:3], s[2:3], exec
	s_or_saveexec_b64 s[6:7], s[6:7]
	v_mov_b32_e32 v1, 0x7e00
	s_xor_b64 exec, exec, s[6:7]
	s_cbranch_execnz .LBB161_636
.LBB161_616:
	s_or_b64 exec, exec, s[6:7]
	s_and_saveexec_b64 s[6:7], s[2:3]
	s_cbranch_execz .LBB161_618
.LBB161_617:
	v_lshlrev_b32_e32 v1, 24, v4
	v_and_b32_e32 v4, 0xffff, v4
	v_and_b32_e32 v5, 3, v4
	v_ffbh_u32_e32 v7, v5
	v_min_u32_e32 v7, 32, v7
	v_subrev_u32_e32 v9, 29, v7
	v_bfe_u32 v6, v4, 2, 5
	v_lshlrev_b32_e32 v4, v9, v4
	v_sub_u32_e32 v7, 30, v7
	v_and_b32_e32 v4, 3, v4
	v_cmp_eq_u32_e32 vcc, 0, v6
	v_and_b32_e32 v1, 0x80000000, v1
	s_nop 0
	v_cndmask_b32_e32 v6, v6, v7, vcc
	v_cndmask_b32_e32 v4, v5, v4, vcc
	v_mov_b32_e32 v5, 0x37800000
	v_lshlrev_b32_e32 v4, 21, v4
	v_lshl_add_u32 v5, v6, 23, v5
	v_or3_b32 v1, v1, v5, v4
	v_cvt_f16_f32_e32 v1, v1
.LBB161_618:
	s_or_b64 exec, exec, s[6:7]
	s_mov_b64 s[2:3], 0
	s_branch .LBB161_624
.LBB161_619:
	s_mov_b64 s[6:7], -1
                                        ; implicit-def: $vgpr1
	s_branch .LBB161_630
.LBB161_620:
	s_or_saveexec_b64 s[6:7], s[6:7]
	v_mov_b32_e32 v1, 0x7e00
	s_xor_b64 exec, exec, s[6:7]
	s_cbranch_execz .LBB161_603
.LBB161_621:
	v_cmp_ne_u16_e32 vcc, 0, v4
	s_andn2_b64 s[2:3], s[2:3], exec
	s_and_b64 s[8:9], vcc, exec
	s_or_b64 s[2:3], s[2:3], s[8:9]
	v_mov_b32_e32 v1, v4
	s_or_b64 exec, exec, s[6:7]
	s_and_saveexec_b64 s[6:7], s[2:3]
	s_cbranch_execnz .LBB161_604
	s_branch .LBB161_605
.LBB161_622:
	s_mov_b64 s[2:3], -1
                                        ; implicit-def: $vgpr1
	s_branch .LBB161_627
.LBB161_623:
	s_mov_b64 s[2:3], -1
                                        ; implicit-def: $vgpr1
.LBB161_624:
	s_and_b64 vcc, exec, s[2:3]
	s_cbranch_vccz .LBB161_626
; %bb.625:
	global_load_ubyte v1, v[2:3], off
	s_mov_b32 s2, 0x7f800000
	s_waitcnt vmcnt(0)
	v_lshlrev_b32_e32 v1, 24, v1
	v_and_b32_e32 v4, 0x7f000000, v1
	v_ffbh_u32_e32 v5, v4
	v_min_u32_e32 v5, 32, v5
	v_sub_u32_e64 v5, v5, 4 clamp
	v_lshlrev_b32_e32 v7, v5, v4
	v_lshlrev_b32_e32 v5, 23, v5
	v_lshrrev_b32_e32 v7, 4, v7
	v_add_u32_e32 v6, 0x1000000, v4
	v_sub_u32_e32 v5, v7, v5
	v_ashrrev_i32_e32 v6, 8, v6
	v_add_u32_e32 v5, 0x3c000000, v5
	v_and_or_b32 v5, v6, s2, v5
	v_cmp_ne_u32_e32 vcc, 0, v4
	s_brev_b32 s2, 1
	s_nop 0
	v_cndmask_b32_e32 v4, 0, v5, vcc
	v_and_or_b32 v1, v1, s2, v4
	v_cvt_f16_f32_e32 v1, v1
.LBB161_626:
	s_mov_b64 s[2:3], 0
.LBB161_627:
	s_andn2_b64 vcc, exec, s[2:3]
	s_cbranch_vccnz .LBB161_629
; %bb.628:
	global_load_ubyte v1, v[2:3], off
	s_movk_i32 s2, 0x7f00
	s_brev_b32 s3, 16
	s_waitcnt vmcnt(0)
	v_lshlrev_b16_e32 v4, 8, v1
	v_lshlrev_b32_e32 v1, 25, v1
	v_lshrrev_b32_e32 v5, 4, v1
	v_and_or_b32 v6, v4, s2, 0.5
	v_or_b32_e32 v5, 0x70000000, v5
	v_add_f32_e32 v6, -0.5, v6
	v_mul_f32_e32 v5, 0x7800000, v5
	v_cmp_gt_u32_e32 vcc, s3, v1
	v_bfe_i32 v4, v4, 0, 16
	s_brev_b32 s2, 1
	v_cndmask_b32_e32 v1, v5, v6, vcc
	v_and_or_b32 v1, v4, s2, v1
	v_cvt_f16_f32_e32 v1, v1
.LBB161_629:
	s_mov_b64 s[6:7], 0
	s_mov_b64 s[2:3], -1
.LBB161_630:
	s_andn2_b64 vcc, exec, s[6:7]
	s_cbranch_vccnz .LBB161_643
; %bb.631:
	s_cmp_gt_i32 s10, 14
	s_cbranch_scc0 .LBB161_634
; %bb.632:
	s_cmp_eq_u32 s10, 15
	s_cbranch_scc0 .LBB161_637
; %bb.633:
	global_load_ushort v1, v[2:3], off
	s_mov_b64 s[2:3], -1
	s_mov_b64 s[4:5], 0
	s_waitcnt vmcnt(0)
	v_lshlrev_b32_e32 v1, 16, v1
	v_cvt_f16_f32_e32 v1, v1
	s_branch .LBB161_638
.LBB161_634:
	s_mov_b64 s[6:7], -1
                                        ; implicit-def: $vgpr1
	s_branch .LBB161_639
.LBB161_635:
	s_or_saveexec_b64 s[6:7], s[6:7]
	v_mov_b32_e32 v1, 0x7e00
	s_xor_b64 exec, exec, s[6:7]
	s_cbranch_execz .LBB161_616
.LBB161_636:
	v_cmp_ne_u16_e32 vcc, 0, v4
	s_andn2_b64 s[2:3], s[2:3], exec
	s_and_b64 s[8:9], vcc, exec
	s_or_b64 s[2:3], s[2:3], s[8:9]
	v_mov_b32_e32 v1, v4
	s_or_b64 exec, exec, s[6:7]
	s_and_saveexec_b64 s[6:7], s[2:3]
	s_cbranch_execnz .LBB161_617
	s_branch .LBB161_618
.LBB161_637:
	s_mov_b64 s[4:5], -1
                                        ; implicit-def: $vgpr1
.LBB161_638:
	s_mov_b64 s[6:7], 0
.LBB161_639:
	s_and_b64 vcc, exec, s[6:7]
	s_cbranch_vccz .LBB161_643
; %bb.640:
	s_cmp_eq_u32 s10, 11
	s_cbranch_scc0 .LBB161_642
; %bb.641:
	global_load_ubyte v1, v[2:3], off
	v_mov_b32_e32 v4, 0x3c00
	s_mov_b64 s[2:3], -1
	s_mov_b64 s[4:5], 0
	s_waitcnt vmcnt(0)
	v_cmp_ne_u16_e32 vcc, 0, v1
	s_nop 1
	v_cndmask_b32_e32 v1, 0, v4, vcc
	s_branch .LBB161_643
.LBB161_642:
	s_mov_b64 s[4:5], -1
                                        ; implicit-def: $vgpr1
.LBB161_643:
	s_mov_b64 s[6:7], 0
.LBB161_644:
	s_and_b64 vcc, exec, s[6:7]
	s_cbranch_vccz .LBB161_693
; %bb.645:
	s_cmp_lt_i32 s10, 5
	s_cbranch_scc1 .LBB161_650
; %bb.646:
	s_cmp_lt_i32 s10, 8
	s_cbranch_scc1 .LBB161_651
	;; [unrolled: 3-line block ×3, first 2 shown]
; %bb.648:
	s_cmp_gt_i32 s10, 9
	s_cbranch_scc0 .LBB161_653
; %bb.649:
	global_load_dwordx2 v[4:5], v[2:3], off
	s_movk_i32 s2, 0x1ff
	s_movk_i32 s3, 0xffe
	s_waitcnt vmcnt(1)
	v_mov_b32_e32 v1, 0x7c00
	v_mov_b32_e32 v6, 0x7e00
	s_movk_i32 s6, 0x40f
	s_mov_b32 s7, 0x8000
	s_waitcnt vmcnt(0)
	v_and_or_b32 v4, v5, s2, v4
	v_cmp_ne_u32_e32 vcc, 0, v4
	v_lshrrev_b32_e32 v7, 8, v5
	v_bfe_u32 v9, v5, 20, 11
	v_cndmask_b32_e64 v4, 0, 1, vcc
	v_sub_u32_e32 v10, 0x3f1, v9
	v_and_or_b32 v4, v7, s3, v4
	v_add_u32_e32 v9, 0xfffffc10, v9
	v_med3_i32 v7, v10, 0, 13
	v_or_b32_e32 v10, 0x1000, v4
	v_cmp_ne_u32_e32 vcc, 0, v4
	v_lshl_or_b32 v11, v9, 12, v4
	v_lshrrev_b32_e32 v5, 16, v5
	v_cndmask_b32_e32 v4, v1, v6, vcc
	v_lshrrev_b32_e32 v6, v7, v10
	v_lshlrev_b32_e32 v7, v7, v6
	v_cmp_ne_u32_e32 vcc, v7, v10
	s_mov_b64 s[2:3], 0
	s_nop 0
	v_cndmask_b32_e64 v7, 0, 1, vcc
	v_or_b32_e32 v6, v6, v7
	v_cmp_gt_i32_e32 vcc, 1, v9
	s_nop 1
	v_cndmask_b32_e32 v6, v11, v6, vcc
	v_and_b32_e32 v7, 7, v6
	v_cmp_lt_i32_e32 vcc, 5, v7
	v_lshrrev_b32_e32 v6, 2, v6
	s_nop 0
	v_cndmask_b32_e64 v10, 0, 1, vcc
	v_cmp_eq_u32_e32 vcc, 3, v7
	s_nop 1
	v_cndmask_b32_e64 v7, 0, 1, vcc
	v_or_b32_e32 v7, v7, v10
	v_add_u32_e32 v6, v6, v7
	v_cmp_gt_i32_e32 vcc, 31, v9
	s_nop 1
	v_cndmask_b32_e32 v1, v1, v6, vcc
	v_cmp_eq_u32_e32 vcc, s6, v9
	s_nop 1
	v_cndmask_b32_e32 v1, v1, v4, vcc
	v_and_or_b32 v1, v5, s7, v1
	s_branch .LBB161_654
.LBB161_650:
	s_mov_b64 s[2:3], -1
                                        ; implicit-def: $vgpr1
	s_branch .LBB161_672
.LBB161_651:
	s_mov_b64 s[2:3], -1
                                        ; implicit-def: $vgpr1
	s_branch .LBB161_660
.LBB161_652:
	s_mov_b64 s[2:3], -1
                                        ; implicit-def: $vgpr1
	s_branch .LBB161_657
.LBB161_653:
	s_mov_b64 s[2:3], -1
                                        ; implicit-def: $vgpr1
.LBB161_654:
	s_andn2_b64 vcc, exec, s[2:3]
	s_cbranch_vccnz .LBB161_656
; %bb.655:
	global_load_dword v1, v[2:3], off
	s_waitcnt vmcnt(0)
	v_cvt_f16_f32_e32 v1, v1
.LBB161_656:
	s_mov_b64 s[2:3], 0
.LBB161_657:
	s_andn2_b64 vcc, exec, s[2:3]
	s_cbranch_vccnz .LBB161_659
; %bb.658:
	global_load_dword v1, v[2:3], off
.LBB161_659:
	s_mov_b64 s[2:3], 0
.LBB161_660:
	s_andn2_b64 vcc, exec, s[2:3]
	s_cbranch_vccnz .LBB161_671
; %bb.661:
	s_cmp_lt_i32 s10, 6
	s_cbranch_scc1 .LBB161_664
; %bb.662:
	s_cmp_gt_i32 s10, 6
	s_cbranch_scc0 .LBB161_665
; %bb.663:
	global_load_dwordx2 v[4:5], v[2:3], off
	s_movk_i32 s2, 0x1ff
	s_movk_i32 s3, 0xffe
	s_waitcnt vmcnt(1)
	v_mov_b32_e32 v1, 0x7c00
	v_mov_b32_e32 v6, 0x7e00
	s_movk_i32 s6, 0x40f
	s_mov_b32 s7, 0x8000
	s_waitcnt vmcnt(0)
	v_and_or_b32 v4, v5, s2, v4
	v_cmp_ne_u32_e32 vcc, 0, v4
	v_lshrrev_b32_e32 v7, 8, v5
	v_bfe_u32 v9, v5, 20, 11
	v_cndmask_b32_e64 v4, 0, 1, vcc
	v_sub_u32_e32 v10, 0x3f1, v9
	v_and_or_b32 v4, v7, s3, v4
	v_add_u32_e32 v9, 0xfffffc10, v9
	v_med3_i32 v7, v10, 0, 13
	v_or_b32_e32 v10, 0x1000, v4
	v_cmp_ne_u32_e32 vcc, 0, v4
	v_lshl_or_b32 v11, v9, 12, v4
	v_lshrrev_b32_e32 v5, 16, v5
	v_cndmask_b32_e32 v4, v1, v6, vcc
	v_lshrrev_b32_e32 v6, v7, v10
	v_lshlrev_b32_e32 v7, v7, v6
	v_cmp_ne_u32_e32 vcc, v7, v10
	s_mov_b64 s[2:3], 0
	s_nop 0
	v_cndmask_b32_e64 v7, 0, 1, vcc
	v_or_b32_e32 v6, v6, v7
	v_cmp_gt_i32_e32 vcc, 1, v9
	s_nop 1
	v_cndmask_b32_e32 v6, v11, v6, vcc
	v_and_b32_e32 v7, 7, v6
	v_cmp_lt_i32_e32 vcc, 5, v7
	v_lshrrev_b32_e32 v6, 2, v6
	s_nop 0
	v_cndmask_b32_e64 v10, 0, 1, vcc
	v_cmp_eq_u32_e32 vcc, 3, v7
	s_nop 1
	v_cndmask_b32_e64 v7, 0, 1, vcc
	v_or_b32_e32 v7, v7, v10
	v_add_u32_e32 v6, v6, v7
	v_cmp_gt_i32_e32 vcc, 31, v9
	s_nop 1
	v_cndmask_b32_e32 v1, v1, v6, vcc
	v_cmp_eq_u32_e32 vcc, s6, v9
	s_nop 1
	v_cndmask_b32_e32 v1, v1, v4, vcc
	v_and_or_b32 v1, v5, s7, v1
	s_branch .LBB161_666
.LBB161_664:
	s_mov_b64 s[2:3], -1
                                        ; implicit-def: $vgpr1
	s_branch .LBB161_669
.LBB161_665:
	s_mov_b64 s[2:3], -1
                                        ; implicit-def: $vgpr1
.LBB161_666:
	s_andn2_b64 vcc, exec, s[2:3]
	s_cbranch_vccnz .LBB161_668
; %bb.667:
	global_load_dword v1, v[2:3], off
	s_waitcnt vmcnt(0)
	v_cvt_f16_f32_e32 v1, v1
.LBB161_668:
	s_mov_b64 s[2:3], 0
.LBB161_669:
	s_andn2_b64 vcc, exec, s[2:3]
	s_cbranch_vccnz .LBB161_671
; %bb.670:
	global_load_ushort v1, v[2:3], off
.LBB161_671:
	s_mov_b64 s[2:3], 0
.LBB161_672:
	s_andn2_b64 vcc, exec, s[2:3]
	s_cbranch_vccnz .LBB161_692
; %bb.673:
	s_cmp_lt_i32 s10, 2
	s_cbranch_scc1 .LBB161_677
; %bb.674:
	s_cmp_lt_i32 s10, 3
	s_cbranch_scc1 .LBB161_678
; %bb.675:
	s_cmp_gt_i32 s10, 3
	s_cbranch_scc0 .LBB161_679
; %bb.676:
	global_load_dwordx2 v[4:5], v[2:3], off
	s_mov_b64 s[2:3], 0
	s_waitcnt vmcnt(0)
	v_xor_b32_e32 v6, v4, v5
	v_ffbh_i32_e32 v1, v5
	v_ashrrev_i32_e32 v6, 31, v6
	v_add_u32_e32 v1, -1, v1
	v_add_u32_e32 v6, 32, v6
	v_min_u32_e32 v1, v1, v6
	v_lshlrev_b64 v[4:5], v1, v[4:5]
	v_min_u32_e32 v4, 1, v4
	v_or_b32_e32 v4, v5, v4
	v_cvt_f32_i32_e32 v4, v4
	v_sub_u32_e32 v1, 32, v1
	v_ldexp_f32 v1, v4, v1
	v_cvt_f16_f32_e32 v1, v1
	s_branch .LBB161_680
.LBB161_677:
	s_mov_b64 s[2:3], -1
                                        ; implicit-def: $vgpr1
	s_branch .LBB161_686
.LBB161_678:
	s_mov_b64 s[2:3], -1
                                        ; implicit-def: $vgpr1
	s_branch .LBB161_683
.LBB161_679:
	s_mov_b64 s[2:3], -1
                                        ; implicit-def: $vgpr1
.LBB161_680:
	s_andn2_b64 vcc, exec, s[2:3]
	s_cbranch_vccnz .LBB161_682
; %bb.681:
	global_load_dword v1, v[2:3], off
	s_waitcnt vmcnt(0)
	v_cvt_f32_i32_e32 v1, v1
	v_cvt_f16_f32_e32 v1, v1
.LBB161_682:
	s_mov_b64 s[2:3], 0
.LBB161_683:
	s_andn2_b64 vcc, exec, s[2:3]
	s_cbranch_vccnz .LBB161_685
; %bb.684:
	global_load_ushort v1, v[2:3], off
	s_waitcnt vmcnt(0)
	v_cvt_f16_i16_e32 v1, v1
.LBB161_685:
	s_mov_b64 s[2:3], 0
.LBB161_686:
	s_andn2_b64 vcc, exec, s[2:3]
	s_cbranch_vccnz .LBB161_692
; %bb.687:
	s_cmp_gt_i32 s10, 0
	s_cbranch_scc0 .LBB161_689
; %bb.688:
	global_load_sbyte v1, v[2:3], off
	s_mov_b64 s[2:3], 0
	s_waitcnt vmcnt(0)
	v_cvt_f16_i16_e32 v1, v1
	s_branch .LBB161_690
.LBB161_689:
	s_mov_b64 s[2:3], -1
                                        ; implicit-def: $vgpr1
.LBB161_690:
	s_andn2_b64 vcc, exec, s[2:3]
	s_cbranch_vccnz .LBB161_692
; %bb.691:
	global_load_ubyte v1, v[2:3], off
	s_waitcnt vmcnt(0)
	v_cvt_f16_u16_e32 v1, v1
.LBB161_692:
	s_mov_b64 s[2:3], -1
.LBB161_693:
	s_andn2_b64 vcc, exec, s[2:3]
	s_cbranch_vccnz .LBB161_701
; %bb.694:
	s_waitcnt vmcnt(0)
	v_cvt_f32_f16_e32 v2, v1
	s_mov_b32 s2, 0xbf317218
	v_mov_b32_e32 v3, 0x3ab69700
	s_and_b32 s12, s73, 0xff
	v_mul_f32_e32 v4, 0x3fb8aa3b, v2
	v_rndne_f32_e32 v4, v4
	v_fma_mix_f32 v5, v4, s2, v1 op_sel_hi:[0,0,1]
	v_fmamk_f32 v5, v4, 0x3102e308, v5
	v_fmac_f32_e32 v3, 0x395133b1, v5
	v_fmaak_f32 v3, v5, v3, 0x3c0887f9
	v_cvt_i32_f32_e32 v6, v4
	v_fmaak_f32 v3, v5, v3, 0x3d2aaa81
	v_fmaak_f32 v3, v5, v3, 0x3e2aaaab
	v_fma_f32 v3, v5, v3, 0.5
	v_mul_f32_e32 v3, v5, v3
	s_mov_b32 s2, 0x43000000
	v_fmac_f32_e32 v5, v5, v3
	v_ldexp_f32 v3, 1.0, v6
	v_mov_b32_e32 v6, 0x7f000000
	v_cmp_eq_f32_e32 vcc, s2, v4
	s_mov_b32 s2, 0x42b17217
	s_cmp_lt_i32 s12, 11
	v_cndmask_b32_e32 v3, v3, v6, vcc
	v_add_f32_e32 v4, -1.0, v3
	v_fmac_f32_e32 v4, v3, v5
	v_add_f32_e32 v3, v4, v4
	v_cndmask_b32_e32 v3, v4, v3, vcc
	v_mov_b32_e32 v4, 0x7f800000
	v_cmp_nlt_f32_e32 vcc, s2, v2
	s_mov_b32 s2, 0xcc40
	s_nop 0
	v_cndmask_b32_e32 v2, v4, v3, vcc
	v_cvt_f16_f32_e32 v2, v2
	v_mov_b32_e32 v3, 0xbc00
	v_cmp_ngt_f16_e32 vcc, s2, v1
	v_mov_b32_e32 v1, 0
	v_lshl_add_u64 v[0:1], s[20:21], 0, v[0:1]
	v_cndmask_b32_e32 v2, v3, v2, vcc
	s_cbranch_scc1 .LBB161_702
; %bb.695:
	s_and_b32 s13, 0xffff, s12
	s_cmp_gt_i32 s13, 25
	s_cbranch_scc0 .LBB161_703
; %bb.696:
	s_cmp_gt_i32 s13, 28
	s_cbranch_scc0 .LBB161_704
; %bb.697:
	;; [unrolled: 3-line block ×4, first 2 shown]
	s_mov_b64 s[8:9], 0
	s_mov_b64 s[2:3], -1
	s_cmp_eq_u32 s13, 46
	s_mov_b64 s[6:7], 0
	s_cbranch_scc0 .LBB161_707
; %bb.700:
	v_cvt_f32_f16_e32 v3, v2
	s_movk_i32 s2, 0x7fff
	v_cmp_o_f16_e32 vcc, v2, v2
	v_mov_b32_e32 v4, 0x7fc0
	v_bfe_u32 v5, v3, 16, 1
	v_add3_u32 v3, v3, v5, s2
	v_cndmask_b32_sdwa v3, v4, v3, vcc dst_sel:DWORD dst_unused:UNUSED_PAD src0_sel:DWORD src1_sel:WORD_1
	global_store_dword v[0:1], v3, off
	s_mov_b64 s[6:7], -1
	s_mov_b64 s[2:3], 0
	s_branch .LBB161_707
.LBB161_701:
	s_mov_b64 s[6:7], 0
	s_mov_b64 s[2:3], s[62:63]
	s_branch .LBB161_818
.LBB161_702:
	s_mov_b64 s[8:9], -1
	s_mov_b64 s[6:7], 0
	s_mov_b64 s[2:3], s[62:63]
	s_branch .LBB161_776
.LBB161_703:
	s_mov_b64 s[8:9], -1
	s_mov_b64 s[6:7], 0
	s_mov_b64 s[2:3], s[62:63]
	s_branch .LBB161_734
.LBB161_704:
	s_mov_b64 s[8:9], -1
	s_mov_b64 s[6:7], 0
	s_mov_b64 s[2:3], s[62:63]
	s_branch .LBB161_717
.LBB161_705:
	s_mov_b64 s[8:9], -1
	s_mov_b64 s[6:7], 0
	s_mov_b64 s[2:3], s[62:63]
	s_branch .LBB161_713
.LBB161_706:
	s_mov_b64 s[8:9], -1
	s_mov_b64 s[6:7], 0
	s_mov_b64 s[2:3], s[62:63]
.LBB161_707:
	s_and_b64 vcc, exec, s[8:9]
	s_cbranch_vccz .LBB161_712
; %bb.708:
	s_cmp_eq_u32 s13, 44
	s_mov_b64 s[2:3], -1
	s_cbranch_scc0 .LBB161_712
; %bb.709:
	v_cvt_f32_f16_e32 v3, v2
	s_movk_i32 s2, 0xff
	v_mov_b32_e32 v5, 0xff
	v_bfe_u32 v4, v3, 23, 8
	v_cmp_ne_u32_e32 vcc, s2, v4
	s_and_saveexec_b64 s[6:7], vcc
; %bb.710:
	s_mov_b32 s2, 0x3fffff
	v_lshrrev_b32_e32 v5, 23, v3
	v_and_b32_e32 v6, 0x400000, v3
	v_and_or_b32 v3, v3, s2, v4
	v_cmp_ne_u32_e32 vcc, 0, v6
	v_cmp_ne_u32_e64 s[2:3], 0, v3
	s_and_b64 s[2:3], vcc, s[2:3]
	s_nop 0
	v_cndmask_b32_e64 v3, 0, 1, s[2:3]
	v_add_u32_e32 v5, v5, v3
; %bb.711:
	s_or_b64 exec, exec, s[6:7]
	s_mov_b64 s[6:7], -1
	s_mov_b64 s[2:3], 0
	global_store_byte v[0:1], v5, off
.LBB161_712:
	s_mov_b64 s[8:9], 0
.LBB161_713:
	s_and_b64 vcc, exec, s[8:9]
	s_cbranch_vccz .LBB161_716
; %bb.714:
	s_cmp_eq_u32 s13, 29
	s_mov_b64 s[2:3], -1
	s_cbranch_scc0 .LBB161_716
; %bb.715:
	v_cvt_f32_f16_e32 v3, v2
	v_mov_b32_e32 v5, 0
	s_mov_b64 s[6:7], -1
	s_mov_b64 s[2:3], 0
	v_cvt_u32_f32_e32 v4, v3
	s_mov_b64 s[8:9], 0
	global_store_dwordx2 v[0:1], v[4:5], off
	s_branch .LBB161_717
.LBB161_716:
	s_mov_b64 s[8:9], 0
.LBB161_717:
	s_and_b64 vcc, exec, s[8:9]
	s_cbranch_vccz .LBB161_733
; %bb.718:
	s_cmp_lt_i32 s13, 27
	s_mov_b64 s[6:7], -1
	s_cbranch_scc1 .LBB161_724
; %bb.719:
	s_cmp_gt_i32 s13, 27
	s_cbranch_scc0 .LBB161_721
; %bb.720:
	v_cvt_f32_f16_e32 v3, v2
	s_mov_b64 s[6:7], 0
	v_cvt_u32_f32_e32 v3, v3
	global_store_dword v[0:1], v3, off
.LBB161_721:
	s_andn2_b64 vcc, exec, s[6:7]
	s_cbranch_vccnz .LBB161_723
; %bb.722:
	v_cvt_u16_f16_e32 v3, v2
	global_store_short v[0:1], v3, off
.LBB161_723:
	s_mov_b64 s[6:7], 0
.LBB161_724:
	s_andn2_b64 vcc, exec, s[6:7]
	s_cbranch_vccnz .LBB161_732
; %bb.725:
	v_cvt_f32_f16_e32 v3, v2
	s_mov_b32 s6, 0x43800000
	v_mov_b32_e32 v5, 0x80
	v_and_b32_e32 v4, 0x7fffffff, v3
	v_cmp_gt_u32_e32 vcc, s6, v4
	s_and_saveexec_b64 s[6:7], vcc
	s_cbranch_execz .LBB161_731
; %bb.726:
	s_mov_b32 s8, 0x3bffffff
	v_cmp_lt_u32_e32 vcc, s8, v4
	s_mov_b64 s[8:9], 0
                                        ; implicit-def: $vgpr4
	s_and_saveexec_b64 s[10:11], vcc
	s_xor_b64 s[10:11], exec, s[10:11]
	s_cbranch_execz .LBB161_849
; %bb.727:
	v_bfe_u32 v4, v3, 20, 1
	s_mov_b32 s14, 0x487ffff
	v_add3_u32 v4, v3, v4, s14
	s_mov_b64 s[8:9], exec
	v_lshrrev_b32_e32 v4, 20, v4
	s_andn2_saveexec_b64 s[10:11], s[10:11]
	s_cbranch_execnz .LBB161_850
.LBB161_728:
	s_or_b64 exec, exec, s[10:11]
	v_mov_b32_e32 v5, 0
	s_and_saveexec_b64 s[10:11], s[8:9]
.LBB161_729:
	v_lshrrev_b32_e32 v3, 24, v3
	s_movk_i32 s8, 0x80
	v_and_or_b32 v5, v3, s8, v4
.LBB161_730:
	s_or_b64 exec, exec, s[10:11]
.LBB161_731:
	s_or_b64 exec, exec, s[6:7]
	global_store_byte v[0:1], v5, off
.LBB161_732:
	s_mov_b64 s[6:7], -1
.LBB161_733:
	s_mov_b64 s[8:9], 0
.LBB161_734:
	s_and_b64 vcc, exec, s[8:9]
	s_cbranch_vccz .LBB161_775
; %bb.735:
	s_cmp_gt_i32 s13, 22
	s_mov_b64 s[8:9], -1
	s_cbranch_scc0 .LBB161_767
; %bb.736:
	s_cmp_lt_i32 s13, 24
	s_mov_b64 s[6:7], -1
	s_cbranch_scc1 .LBB161_756
; %bb.737:
	s_cmp_gt_i32 s13, 24
	s_cbranch_scc0 .LBB161_745
; %bb.738:
	v_cvt_f32_f16_e32 v3, v2
	s_mov_b32 s6, 0x47800000
	v_mov_b32_e32 v5, 0x80
	v_and_b32_e32 v4, 0x7fffffff, v3
	v_cmp_gt_u32_e32 vcc, s6, v4
	s_and_saveexec_b64 s[6:7], vcc
	s_cbranch_execz .LBB161_744
; %bb.739:
	s_mov_b32 s8, 0x37ffffff
	v_cmp_lt_u32_e32 vcc, s8, v4
	s_mov_b64 s[8:9], 0
                                        ; implicit-def: $vgpr4
	s_and_saveexec_b64 s[10:11], vcc
	s_xor_b64 s[10:11], exec, s[10:11]
	s_cbranch_execz .LBB161_852
; %bb.740:
	v_bfe_u32 v4, v3, 21, 1
	s_mov_b32 s14, 0x88fffff
	v_add3_u32 v4, v3, v4, s14
	s_mov_b64 s[8:9], exec
	v_lshrrev_b32_e32 v4, 21, v4
	s_andn2_saveexec_b64 s[10:11], s[10:11]
	s_cbranch_execnz .LBB161_853
.LBB161_741:
	s_or_b64 exec, exec, s[10:11]
	v_mov_b32_e32 v5, 0
	s_and_saveexec_b64 s[10:11], s[8:9]
.LBB161_742:
	v_lshrrev_b32_e32 v3, 24, v3
	s_movk_i32 s8, 0x80
	v_and_or_b32 v5, v3, s8, v4
.LBB161_743:
	s_or_b64 exec, exec, s[10:11]
.LBB161_744:
	s_or_b64 exec, exec, s[6:7]
	s_mov_b64 s[6:7], 0
	global_store_byte v[0:1], v5, off
.LBB161_745:
	s_and_b64 vcc, exec, s[6:7]
	s_cbranch_vccz .LBB161_755
; %bb.746:
	v_cvt_f32_f16_e32 v3, v2
	s_mov_b32 s6, 0x43f00000
                                        ; implicit-def: $vgpr4
	v_and_b32_e32 v5, 0x7fffffff, v3
	v_cmp_gt_u32_e32 vcc, s6, v5
	s_and_saveexec_b64 s[6:7], vcc
	s_xor_b64 s[6:7], exec, s[6:7]
	s_cbranch_execz .LBB161_752
; %bb.747:
	s_mov_b32 s8, 0x3c7fffff
	v_cmp_lt_u32_e32 vcc, s8, v5
                                        ; implicit-def: $vgpr4
	s_and_saveexec_b64 s[8:9], vcc
	s_xor_b64 s[8:9], exec, s[8:9]
; %bb.748:
	v_bfe_u32 v4, v3, 20, 1
	s_mov_b32 s10, 0x407ffff
	v_add3_u32 v4, v3, v4, s10
	v_lshrrev_b32_e32 v5, 20, v4
	v_and_b32_e32 v4, 0xff00000, v4
	s_mov_b32 s10, 0x7f00000
	v_mov_b32_e32 v6, 0x7e
	v_cmp_ne_u32_e32 vcc, s10, v4
	s_nop 1
	v_cndmask_b32_e32 v4, v6, v5, vcc
; %bb.749:
	s_andn2_saveexec_b64 s[8:9], s[8:9]
; %bb.750:
	s_mov_b32 s10, 0x46800000
	v_add_f32_e64 v4, |v3|, s10
; %bb.751:
	s_or_b64 exec, exec, s[8:9]
                                        ; implicit-def: $vgpr5
.LBB161_752:
	s_andn2_saveexec_b64 s[6:7], s[6:7]
; %bb.753:
	s_mov_b32 s8, 0x7f800000
	v_mov_b32_e32 v4, 0x7e
	v_mov_b32_e32 v6, 0x7f
	v_cmp_lt_u32_e32 vcc, s8, v5
	s_nop 1
	v_cndmask_b32_e32 v4, v4, v6, vcc
; %bb.754:
	s_or_b64 exec, exec, s[6:7]
	v_lshrrev_b32_e32 v3, 24, v3
	s_movk_i32 s6, 0x80
	v_and_or_b32 v3, v3, s6, v4
	global_store_byte v[0:1], v3, off
.LBB161_755:
	s_mov_b64 s[6:7], 0
.LBB161_756:
	s_andn2_b64 vcc, exec, s[6:7]
	s_cbranch_vccnz .LBB161_766
; %bb.757:
	v_cvt_f32_f16_e32 v3, v2
	s_mov_b32 s6, 0x47800000
                                        ; implicit-def: $vgpr4
	v_and_b32_e32 v5, 0x7fffffff, v3
	v_cmp_gt_u32_e32 vcc, s6, v5
	s_and_saveexec_b64 s[6:7], vcc
	s_xor_b64 s[6:7], exec, s[6:7]
	s_cbranch_execz .LBB161_763
; %bb.758:
	s_mov_b32 s8, 0x387fffff
	v_cmp_lt_u32_e32 vcc, s8, v5
                                        ; implicit-def: $vgpr4
	s_and_saveexec_b64 s[8:9], vcc
	s_xor_b64 s[8:9], exec, s[8:9]
; %bb.759:
	v_bfe_u32 v4, v3, 21, 1
	s_mov_b32 s10, 0x80fffff
	v_add3_u32 v4, v3, v4, s10
	v_lshrrev_b32_e32 v4, 21, v4
; %bb.760:
	s_andn2_saveexec_b64 s[8:9], s[8:9]
; %bb.761:
	s_mov_b32 s10, 0x43000000
	v_add_f32_e64 v4, |v3|, s10
; %bb.762:
	s_or_b64 exec, exec, s[8:9]
                                        ; implicit-def: $vgpr5
.LBB161_763:
	s_andn2_saveexec_b64 s[6:7], s[6:7]
; %bb.764:
	s_mov_b32 s8, 0x7f800000
	v_mov_b32_e32 v4, 0x7c
	v_mov_b32_e32 v6, 0x7f
	v_cmp_lt_u32_e32 vcc, s8, v5
	s_nop 1
	v_cndmask_b32_e32 v4, v4, v6, vcc
; %bb.765:
	s_or_b64 exec, exec, s[6:7]
	v_lshrrev_b32_e32 v3, 24, v3
	s_movk_i32 s6, 0x80
	v_and_or_b32 v3, v3, s6, v4
	global_store_byte v[0:1], v3, off
.LBB161_766:
	s_mov_b64 s[8:9], 0
	s_mov_b64 s[6:7], -1
.LBB161_767:
	s_andn2_b64 vcc, exec, s[8:9]
	s_cbranch_vccnz .LBB161_775
; %bb.768:
	s_cmp_gt_i32 s13, 14
	s_mov_b64 s[8:9], -1
	s_cbranch_scc0 .LBB161_772
; %bb.769:
	s_cmp_eq_u32 s13, 15
	s_mov_b64 s[2:3], -1
	s_cbranch_scc0 .LBB161_771
; %bb.770:
	v_cvt_f32_f16_e32 v3, v2
	s_movk_i32 s2, 0x7fff
	v_cmp_o_f16_e32 vcc, v2, v2
	v_mov_b32_e32 v4, 0x7fc0
	v_bfe_u32 v5, v3, 16, 1
	v_add3_u32 v3, v3, v5, s2
	v_cndmask_b32_sdwa v3, v4, v3, vcc dst_sel:DWORD dst_unused:UNUSED_PAD src0_sel:DWORD src1_sel:WORD_1
	global_store_short v[0:1], v3, off
	s_mov_b64 s[6:7], -1
	s_mov_b64 s[2:3], 0
.LBB161_771:
	s_mov_b64 s[8:9], 0
.LBB161_772:
	s_and_b64 vcc, exec, s[8:9]
	s_cbranch_vccz .LBB161_775
; %bb.773:
	s_cmp_eq_u32 s13, 11
	s_mov_b64 s[2:3], -1
	s_cbranch_scc0 .LBB161_775
; %bb.774:
	v_cmp_neq_f16_e32 vcc, 0, v2
	s_mov_b64 s[6:7], -1
	s_mov_b64 s[2:3], 0
	v_cndmask_b32_e64 v3, 0, 1, vcc
	global_store_byte v[0:1], v3, off
.LBB161_775:
	s_mov_b64 s[8:9], 0
.LBB161_776:
	s_and_b64 vcc, exec, s[8:9]
	s_cbranch_vccz .LBB161_815
; %bb.777:
	s_and_b32 s8, 0xffff, s12
	s_cmp_lt_i32 s8, 5
	s_mov_b64 s[6:7], -1
	s_cbranch_scc1 .LBB161_798
; %bb.778:
	s_cmp_lt_i32 s8, 8
	s_cbranch_scc1 .LBB161_788
; %bb.779:
	s_cmp_lt_i32 s8, 9
	s_cbranch_scc1 .LBB161_785
; %bb.780:
	s_cmp_gt_i32 s8, 9
	s_cbranch_scc0 .LBB161_782
; %bb.781:
	v_cvt_f32_f16_e32 v3, v2
	v_mov_b32_e32 v6, 0
	v_mov_b32_e32 v7, v6
	s_mov_b64 s[6:7], 0
	v_cvt_f64_f32_e32 v[4:5], v3
	global_store_dwordx4 v[0:1], v[4:7], off
.LBB161_782:
	s_andn2_b64 vcc, exec, s[6:7]
	s_cbranch_vccnz .LBB161_784
; %bb.783:
	v_cvt_f32_f16_e32 v4, v2
	v_mov_b32_e32 v5, 0
	global_store_dwordx2 v[0:1], v[4:5], off
.LBB161_784:
	s_mov_b64 s[6:7], 0
.LBB161_785:
	s_andn2_b64 vcc, exec, s[6:7]
	s_cbranch_vccnz .LBB161_787
; %bb.786:
	v_and_b32_e32 v3, 0xffff, v2
	global_store_dword v[0:1], v3, off
.LBB161_787:
	s_mov_b64 s[6:7], 0
.LBB161_788:
	s_andn2_b64 vcc, exec, s[6:7]
	s_cbranch_vccnz .LBB161_797
; %bb.789:
	s_cmp_lt_i32 s8, 6
	s_mov_b64 s[6:7], -1
	s_cbranch_scc1 .LBB161_795
; %bb.790:
	s_cmp_gt_i32 s8, 6
	s_cbranch_scc0 .LBB161_792
; %bb.791:
	v_cvt_f32_f16_e32 v3, v2
	s_mov_b64 s[6:7], 0
	v_cvt_f64_f32_e32 v[4:5], v3
	global_store_dwordx2 v[0:1], v[4:5], off
.LBB161_792:
	s_andn2_b64 vcc, exec, s[6:7]
	s_cbranch_vccnz .LBB161_794
; %bb.793:
	v_cvt_f32_f16_e32 v3, v2
	global_store_dword v[0:1], v3, off
.LBB161_794:
	s_mov_b64 s[6:7], 0
.LBB161_795:
	s_andn2_b64 vcc, exec, s[6:7]
	s_cbranch_vccnz .LBB161_797
; %bb.796:
	global_store_short v[0:1], v2, off
.LBB161_797:
	s_mov_b64 s[6:7], 0
.LBB161_798:
	s_andn2_b64 vcc, exec, s[6:7]
	s_cbranch_vccnz .LBB161_814
; %bb.799:
	s_cmp_lt_i32 s8, 2
	s_mov_b64 s[6:7], -1
	s_cbranch_scc1 .LBB161_809
; %bb.800:
	s_cmp_lt_i32 s8, 3
	s_cbranch_scc1 .LBB161_806
; %bb.801:
	s_cmp_gt_i32 s8, 3
	s_cbranch_scc0 .LBB161_803
; %bb.802:
	v_cvt_f32_f16_e32 v3, v2
	s_mov_b64 s[6:7], 0
	v_cvt_i32_f32_e32 v4, v3
	v_ashrrev_i32_e32 v5, 31, v4
	global_store_dwordx2 v[0:1], v[4:5], off
.LBB161_803:
	s_andn2_b64 vcc, exec, s[6:7]
	s_cbranch_vccnz .LBB161_805
; %bb.804:
	v_cvt_f32_f16_e32 v3, v2
	v_cvt_i32_f32_e32 v3, v3
	global_store_dword v[0:1], v3, off
.LBB161_805:
	s_mov_b64 s[6:7], 0
.LBB161_806:
	s_andn2_b64 vcc, exec, s[6:7]
	s_cbranch_vccnz .LBB161_808
; %bb.807:
	v_cvt_i16_f16_e32 v3, v2
	global_store_short v[0:1], v3, off
.LBB161_808:
	s_mov_b64 s[6:7], 0
.LBB161_809:
	s_andn2_b64 vcc, exec, s[6:7]
	s_cbranch_vccnz .LBB161_814
; %bb.810:
	s_cmp_gt_i32 s8, 0
	s_mov_b64 s[6:7], -1
	s_cbranch_scc0 .LBB161_812
; %bb.811:
	v_cvt_i16_f16_e32 v3, v2
	s_mov_b64 s[6:7], 0
	global_store_byte v[0:1], v3, off
.LBB161_812:
	s_andn2_b64 vcc, exec, s[6:7]
	s_cbranch_vccnz .LBB161_814
; %bb.813:
	v_cvt_f32_f16_e32 v2, v2
	v_cvt_i32_f32_e32 v2, v2
	global_store_byte v[0:1], v2, off
.LBB161_814:
	s_mov_b64 s[6:7], -1
.LBB161_815:
	s_andn2_b64 vcc, exec, s[6:7]
	s_cbranch_vccnz .LBB161_817
; %bb.816:
	v_add_u32_e32 v8, 0x80, v8
	s_mov_b64 s[6:7], -1
	s_branch .LBB161_819
.LBB161_817:
	s_mov_b64 s[6:7], 0
.LBB161_818:
                                        ; implicit-def: $vgpr8
.LBB161_819:
	s_andn2_b64 s[8:9], s[62:63], exec
	s_and_b64 s[2:3], s[2:3], exec
	s_or_b64 s[68:69], s[8:9], s[2:3]
	s_andn2_b64 s[2:3], s[60:61], exec
	s_and_b64 s[4:5], s[4:5], exec
	s_or_b64 s[2:3], s[2:3], s[4:5]
	s_orn2_b64 s[6:7], s[6:7], exec
.LBB161_820:
	s_or_b64 exec, exec, s[66:67]
	s_mov_b64 s[4:5], 0
	s_mov_b64 s[10:11], 0
	;; [unrolled: 1-line block ×3, first 2 shown]
                                        ; implicit-def: $vgpr2_vgpr3
                                        ; implicit-def: $vgpr0
                                        ; implicit-def: $vgpr1
	s_and_saveexec_b64 s[66:67], s[6:7]
	s_cbranch_execz .LBB161_920
; %bb.821:
	v_cmp_gt_i32_e32 vcc, s70, v8
	s_mov_b64 s[6:7], 0
	s_mov_b64 s[12:13], s[2:3]
                                        ; implicit-def: $vgpr2_vgpr3
                                        ; implicit-def: $vgpr0
                                        ; implicit-def: $vgpr1
	s_and_saveexec_b64 s[70:71], vcc
	s_cbranch_execz .LBB161_919
; %bb.822:
	s_andn2_b64 vcc, exec, s[42:43]
	s_cbranch_vccnz .LBB161_828
; %bb.823:
	s_andn2_b64 vcc, exec, s[52:53]
	s_cbranch_vccnz .LBB161_829
; %bb.824:
	s_add_i32 s76, s75, 1
	s_cmp_eq_u32 s72, 2
	s_cbranch_scc1 .LBB161_830
; %bb.825:
	s_and_b32 s75, s76, 28
	s_mov_b32 s77, 0
	v_mov_b32_e32 v0, 0
	v_mov_b32_e32 v2, 0
	s_mov_b64 s[52:53], s[34:35]
	v_mov_b32_e32 v4, v8
.LBB161_826:                            ; =>This Inner Loop Header: Depth=1
	s_load_dwordx8 s[12:19], s[52:53], 0x4
	s_load_dwordx4 s[36:39], s[52:53], 0x24
	s_load_dwordx8 s[4:11], s[50:51], 0x0
	s_add_u32 s52, s52, 48
	s_addc_u32 s53, s53, 0
	s_waitcnt vmcnt(0) lgkmcnt(0)
	v_mul_hi_u32 v1, s13, v4
	v_add_u32_e32 v1, v4, v1
	v_lshrrev_b32_e32 v1, s14, v1
	v_mul_lo_u32 v3, v1, s12
	v_mul_hi_u32 v5, s16, v1
	v_sub_u32_e32 v3, v4, v3
	v_add_u32_e32 v4, v1, v5
	v_lshrrev_b32_e32 v4, s17, v4
	v_mul_lo_u32 v6, v4, s15
	v_mul_hi_u32 v7, s19, v4
	v_sub_u32_e32 v1, v1, v6
	v_add_u32_e32 v6, v4, v7
	v_mul_lo_u32 v5, v3, s5
	v_mul_lo_u32 v3, v3, s4
	;; [unrolled: 1-line block ×4, first 2 shown]
	v_lshrrev_b32_e32 v6, s36, v6
	v_add3_u32 v0, v3, v0, v1
	v_mul_hi_u32 v3, s38, v6
	v_add3_u32 v1, v5, v2, v7
	v_mul_lo_u32 v2, v6, s18
	v_add_u32_e32 v3, v6, v3
	v_sub_u32_e32 v2, v4, v2
	v_lshrrev_b32_e32 v4, s39, v3
	s_add_i32 s77, s77, 4
	v_mul_lo_u32 v3, v4, s37
	s_add_u32 s50, s50, 32
	v_sub_u32_e32 v3, v6, v3
	s_addc_u32 s51, s51, 0
	v_mul_lo_u32 v5, v2, s8
	v_mul_lo_u32 v2, v2, s9
	;; [unrolled: 1-line block ×4, first 2 shown]
	s_cmp_eq_u32 s75, s77
	v_add3_u32 v2, v2, v1, v3
	v_add3_u32 v0, v5, v0, v6
	s_cbranch_scc0 .LBB161_826
; %bb.827:
	v_mov_b32_e32 v1, v2
	s_branch .LBB161_831
.LBB161_828:
	s_mov_b64 s[4:5], -1
                                        ; implicit-def: $vgpr2
                                        ; implicit-def: $vgpr0
	s_branch .LBB161_835
.LBB161_829:
	v_mov_b32_e32 v2, 0
	v_mov_b32_e32 v0, 0
	s_branch .LBB161_834
.LBB161_830:
	v_mov_b32_e32 v0, 0
	s_mov_b32 s75, 0
	s_waitcnt vmcnt(0)
	v_mov_b32_e32 v1, v0
                                        ; implicit-def: $vgpr2
	v_mov_b32_e32 v4, v8
.LBB161_831:
	s_and_b32 s8, s76, 3
	s_cmp_eq_u32 s8, 0
	s_cbranch_scc1 .LBB161_834
; %bb.832:
	s_lshl_b32 s4, s75, 3
	s_add_u32 s4, s34, s4
	s_addc_u32 s5, s35, 0
	s_add_u32 s4, s4, 0xc4
	s_addc_u32 s5, s5, 0
	s_mul_i32 s6, s75, 12
	s_add_u32 s6, s34, s6
	s_addc_u32 s7, s35, 0
.LBB161_833:                            ; =>This Inner Loop Header: Depth=1
	s_load_dwordx2 s[10:11], s[6:7], 0x4
	s_load_dword s9, s[6:7], 0xc
	s_load_dwordx2 s[12:13], s[4:5], 0x0
	v_mov_b32_e32 v2, v1
	s_add_u32 s6, s6, 12
	s_waitcnt lgkmcnt(0)
	v_mul_hi_u32 v1, s11, v4
	v_add_u32_e32 v1, v4, v1
	v_lshrrev_b32_e32 v1, s9, v1
	s_addc_u32 s7, s7, 0
	v_mul_lo_u32 v3, v1, s10
	s_add_u32 s4, s4, 8
	v_sub_u32_e32 v5, v4, v3
	s_addc_u32 s5, s5, 0
	s_add_i32 s8, s8, -1
	v_mov_b32_e32 v4, v1
	v_mad_u64_u32 v[2:3], s[10:11], v5, s13, v[2:3]
	v_mad_u64_u32 v[0:1], s[10:11], v5, s12, v[0:1]
	s_cmp_lg_u32 s8, 0
	v_mov_b32_e32 v1, v2
	s_cbranch_scc1 .LBB161_833
.LBB161_834:
	s_mov_b64 s[4:5], 0
.LBB161_835:
	s_andn2_b64 vcc, exec, s[4:5]
	s_cbranch_vccnz .LBB161_838
; %bb.836:
	s_waitcnt lgkmcnt(0)
	v_mul_hi_u32 v0, s29, v8
	v_add_u32_e32 v0, v8, v0
	s_waitcnt vmcnt(0)
	v_lshrrev_b32_e32 v1, s30, v0
	v_mul_lo_u32 v0, v1, s28
	v_sub_u32_e32 v0, v8, v0
	v_mul_lo_u32 v2, v0, s25
	s_andn2_b64 vcc, exec, s[48:49]
	v_mul_lo_u32 v0, v0, s24
	s_cbranch_vccnz .LBB161_838
; %bb.837:
	v_mul_hi_u32 v3, s46, v1
	v_add_u32_e32 v3, v1, v3
	v_lshrrev_b32_e32 v3, s47, v3
	v_mul_lo_u32 v3, v3, s31
	v_sub_u32_e32 v3, v1, v3
	v_mad_u64_u32 v[0:1], s[4:5], v3, s26, v[0:1]
	v_mad_u64_u32 v[2:3], s[4:5], v3, s27, v[2:3]
.LBB161_838:
	v_mov_b32_e32 v3, 0
	s_and_b32 s14, 0xffff, s74
	s_cmp_lt_i32 s14, 11
	s_waitcnt lgkmcnt(0)
	v_lshl_add_u64 v[2:3], s[22:23], 0, v[2:3]
	s_cbranch_scc1 .LBB161_845
; %bb.839:
	s_cmp_gt_i32 s14, 25
	s_mov_b64 s[6:7], 0
	s_cbranch_scc0 .LBB161_846
; %bb.840:
	s_cmp_gt_i32 s14, 28
	s_cbranch_scc0 .LBB161_847
; %bb.841:
	s_cmp_gt_i32 s14, 43
	;; [unrolled: 3-line block ×3, first 2 shown]
	s_cbranch_scc0 .LBB161_851
; %bb.843:
	s_cmp_eq_u32 s14, 46
	s_mov_b64 s[10:11], 0
	s_cbranch_scc0 .LBB161_854
; %bb.844:
	global_load_dword v1, v[2:3], off
	s_mov_b64 s[4:5], 0
	s_mov_b64 s[8:9], -1
	s_waitcnt vmcnt(0)
	v_lshlrev_b32_e32 v1, 16, v1
	v_cvt_f16_f32_e32 v1, v1
	s_branch .LBB161_855
.LBB161_845:
	s_mov_b64 s[10:11], -1
	s_mov_b64 s[8:9], 0
	s_mov_b64 s[6:7], 0
	;; [unrolled: 1-line block ×3, first 2 shown]
                                        ; implicit-def: $vgpr1
	s_branch .LBB161_918
.LBB161_846:
	s_mov_b64 s[10:11], -1
	s_mov_b64 s[8:9], 0
	s_mov_b64 s[4:5], s[2:3]
                                        ; implicit-def: $vgpr1
	s_branch .LBB161_884
.LBB161_847:
	s_mov_b64 s[10:11], -1
	s_mov_b64 s[8:9], 0
	s_mov_b64 s[4:5], s[2:3]
                                        ; implicit-def: $vgpr1
	s_branch .LBB161_865
.LBB161_848:
	s_mov_b64 s[10:11], -1
	s_mov_b64 s[8:9], 0
	s_mov_b64 s[4:5], s[2:3]
                                        ; implicit-def: $vgpr1
	s_branch .LBB161_860
.LBB161_849:
	s_andn2_saveexec_b64 s[10:11], s[10:11]
	s_cbranch_execz .LBB161_728
.LBB161_850:
	s_mov_b32 s14, 0x46000000
	v_add_f32_e64 v4, |v3|, s14
	v_and_b32_e32 v4, 0xff, v4
	v_cmp_ne_u32_e32 vcc, 0, v4
	s_andn2_b64 s[8:9], s[8:9], exec
	s_and_b64 s[14:15], vcc, exec
	s_or_b64 s[8:9], s[8:9], s[14:15]
	s_or_b64 exec, exec, s[10:11]
	v_mov_b32_e32 v5, 0
	s_and_saveexec_b64 s[10:11], s[8:9]
	s_cbranch_execnz .LBB161_729
	s_branch .LBB161_730
.LBB161_851:
	s_mov_b64 s[10:11], -1
	s_mov_b64 s[8:9], 0
	s_mov_b64 s[4:5], s[2:3]
                                        ; implicit-def: $vgpr1
	s_branch .LBB161_855
.LBB161_852:
	s_andn2_saveexec_b64 s[10:11], s[10:11]
	s_cbranch_execz .LBB161_741
.LBB161_853:
	s_mov_b32 s14, 0x42800000
	v_add_f32_e64 v4, |v3|, s14
	v_and_b32_e32 v4, 0xff, v4
	v_cmp_ne_u32_e32 vcc, 0, v4
	s_andn2_b64 s[8:9], s[8:9], exec
	s_and_b64 s[14:15], vcc, exec
	s_or_b64 s[8:9], s[8:9], s[14:15]
	s_or_b64 exec, exec, s[10:11]
	v_mov_b32_e32 v5, 0
	s_and_saveexec_b64 s[10:11], s[8:9]
	s_cbranch_execnz .LBB161_742
	s_branch .LBB161_743
.LBB161_854:
	s_mov_b64 s[4:5], -1
                                        ; implicit-def: $vgpr1
	s_mov_b64 s[8:9], 0
.LBB161_855:
	s_and_b64 vcc, exec, s[10:11]
	s_cbranch_vccz .LBB161_859
; %bb.856:
	s_cmp_eq_u32 s14, 44
	s_cbranch_scc0 .LBB161_858
; %bb.857:
	global_load_ubyte v1, v[2:3], off
	s_movk_i32 s8, 0xff
	v_mov_b32_e32 v5, 0x7e00
	s_mov_b64 s[4:5], 0
	s_waitcnt vmcnt(0)
	v_lshlrev_b32_e32 v4, 23, v1
	v_cvt_f16_f32_e32 v4, v4
	v_cmp_ne_u32_e32 vcc, s8, v1
	s_mov_b64 s[8:9], -1
	s_nop 0
	v_cndmask_b32_e32 v4, v5, v4, vcc
	v_cmp_ne_u32_e32 vcc, 0, v1
	s_nop 1
	v_cndmask_b32_e32 v1, 0, v4, vcc
	s_branch .LBB161_859
.LBB161_858:
	s_mov_b64 s[4:5], -1
                                        ; implicit-def: $vgpr1
.LBB161_859:
	s_mov_b64 s[10:11], 0
.LBB161_860:
	s_and_b64 vcc, exec, s[10:11]
	s_cbranch_vccz .LBB161_864
; %bb.861:
	s_cmp_eq_u32 s14, 29
	s_cbranch_scc0 .LBB161_863
; %bb.862:
	global_load_dwordx2 v[4:5], v[2:3], off
	s_mov_b64 s[4:5], 0
	s_mov_b64 s[8:9], -1
	s_mov_b64 s[10:11], 0
	s_waitcnt vmcnt(0)
	v_ffbh_u32_e32 v1, v5
	v_min_u32_e32 v1, 32, v1
	v_lshlrev_b64 v[4:5], v1, v[4:5]
	v_min_u32_e32 v4, 1, v4
	v_or_b32_e32 v4, v5, v4
	v_cvt_f32_u32_e32 v4, v4
	v_sub_u32_e32 v1, 32, v1
	v_ldexp_f32 v1, v4, v1
	v_cvt_f16_f32_e32 v1, v1
	s_branch .LBB161_865
.LBB161_863:
	s_mov_b64 s[4:5], -1
                                        ; implicit-def: $vgpr1
.LBB161_864:
	s_mov_b64 s[10:11], 0
.LBB161_865:
	s_and_b64 vcc, exec, s[10:11]
	s_cbranch_vccz .LBB161_883
; %bb.866:
	s_cmp_lt_i32 s14, 27
	s_cbranch_scc1 .LBB161_869
; %bb.867:
	s_cmp_gt_i32 s14, 27
	s_cbranch_scc0 .LBB161_870
; %bb.868:
	global_load_dword v1, v[2:3], off
	s_mov_b64 s[8:9], 0
	s_waitcnt vmcnt(0)
	v_cvt_f32_u32_e32 v1, v1
	v_cvt_f16_f32_e32 v1, v1
	s_branch .LBB161_871
.LBB161_869:
	s_mov_b64 s[8:9], -1
                                        ; implicit-def: $vgpr1
	s_branch .LBB161_874
.LBB161_870:
	s_mov_b64 s[8:9], -1
                                        ; implicit-def: $vgpr1
.LBB161_871:
	s_andn2_b64 vcc, exec, s[8:9]
	s_cbranch_vccnz .LBB161_873
; %bb.872:
	global_load_ushort v1, v[2:3], off
	s_waitcnt vmcnt(0)
	v_cvt_f16_u16_e32 v1, v1
.LBB161_873:
	s_mov_b64 s[8:9], 0
.LBB161_874:
	s_andn2_b64 vcc, exec, s[8:9]
	s_cbranch_vccnz .LBB161_882
; %bb.875:
	global_load_ubyte v4, v[2:3], off
	s_movk_i32 s8, 0x7f
	s_waitcnt vmcnt(0)
	v_cmp_lt_i16_e32 vcc, s8, v4
	s_mov_b64 s[8:9], 0
	s_and_saveexec_b64 s[10:11], vcc
	s_xor_b64 s[10:11], exec, s[10:11]
	s_cbranch_execz .LBB161_896
; %bb.876:
	s_movk_i32 s8, 0x80
	v_cmp_eq_u16_e32 vcc, s8, v4
	s_mov_b64 s[8:9], -1
	s_and_saveexec_b64 s[12:13], vcc
; %bb.877:
	s_xor_b64 s[8:9], exec, -1
; %bb.878:
	s_or_b64 exec, exec, s[12:13]
	s_and_b64 s[8:9], s[8:9], exec
	s_or_saveexec_b64 s[10:11], s[10:11]
	v_mov_b32_e32 v1, 0x7e00
	s_xor_b64 exec, exec, s[10:11]
	s_cbranch_execnz .LBB161_897
.LBB161_879:
	s_or_b64 exec, exec, s[10:11]
	s_and_saveexec_b64 s[10:11], s[8:9]
	s_cbranch_execz .LBB161_881
.LBB161_880:
	v_lshlrev_b32_e32 v1, 24, v4
	v_and_b32_e32 v4, 0xffff, v4
	v_and_b32_e32 v5, 7, v4
	v_ffbh_u32_e32 v7, v5
	v_min_u32_e32 v7, 32, v7
	v_subrev_u32_e32 v8, 28, v7
	v_bfe_u32 v6, v4, 3, 4
	v_lshlrev_b32_e32 v4, v8, v4
	v_sub_u32_e32 v7, 29, v7
	v_and_b32_e32 v4, 7, v4
	v_cmp_eq_u32_e32 vcc, 0, v6
	v_and_b32_e32 v1, 0x80000000, v1
	s_nop 0
	v_cndmask_b32_e32 v6, v6, v7, vcc
	v_cndmask_b32_e32 v4, v5, v4, vcc
	v_mov_b32_e32 v5, 0x3b800000
	v_lshlrev_b32_e32 v4, 20, v4
	v_lshl_add_u32 v5, v6, 23, v5
	v_or3_b32 v1, v1, v5, v4
	v_cvt_f16_f32_e32 v1, v1
.LBB161_881:
	s_or_b64 exec, exec, s[10:11]
.LBB161_882:
	s_mov_b64 s[8:9], -1
.LBB161_883:
	s_mov_b64 s[10:11], 0
.LBB161_884:
	s_and_b64 vcc, exec, s[10:11]
	s_cbranch_vccz .LBB161_917
; %bb.885:
	s_cmp_gt_i32 s14, 22
	s_cbranch_scc0 .LBB161_895
; %bb.886:
	s_cmp_lt_i32 s14, 24
	s_cbranch_scc1 .LBB161_898
; %bb.887:
	s_cmp_gt_i32 s14, 24
	s_cbranch_scc0 .LBB161_899
; %bb.888:
	global_load_ubyte v4, v[2:3], off
	s_movk_i32 s6, 0x7f
	s_waitcnt vmcnt(0)
	v_cmp_lt_i16_e32 vcc, s6, v4
	s_mov_b64 s[6:7], 0
	s_and_saveexec_b64 s[8:9], vcc
	s_xor_b64 s[8:9], exec, s[8:9]
	s_cbranch_execz .LBB161_911
; %bb.889:
	s_movk_i32 s6, 0x80
	v_cmp_eq_u16_e32 vcc, s6, v4
	s_mov_b64 s[6:7], -1
	s_and_saveexec_b64 s[10:11], vcc
; %bb.890:
	s_xor_b64 s[6:7], exec, -1
; %bb.891:
	s_or_b64 exec, exec, s[10:11]
	s_and_b64 s[6:7], s[6:7], exec
	s_or_saveexec_b64 s[8:9], s[8:9]
	v_mov_b32_e32 v1, 0x7e00
	s_xor_b64 exec, exec, s[8:9]
	s_cbranch_execnz .LBB161_912
.LBB161_892:
	s_or_b64 exec, exec, s[8:9]
	s_and_saveexec_b64 s[8:9], s[6:7]
	s_cbranch_execz .LBB161_894
.LBB161_893:
	v_lshlrev_b32_e32 v1, 24, v4
	v_and_b32_e32 v4, 0xffff, v4
	v_and_b32_e32 v5, 3, v4
	v_ffbh_u32_e32 v7, v5
	v_min_u32_e32 v7, 32, v7
	v_subrev_u32_e32 v8, 29, v7
	v_bfe_u32 v6, v4, 2, 5
	v_lshlrev_b32_e32 v4, v8, v4
	v_sub_u32_e32 v7, 30, v7
	v_and_b32_e32 v4, 3, v4
	v_cmp_eq_u32_e32 vcc, 0, v6
	v_and_b32_e32 v1, 0x80000000, v1
	s_nop 0
	v_cndmask_b32_e32 v6, v6, v7, vcc
	v_cndmask_b32_e32 v4, v5, v4, vcc
	v_mov_b32_e32 v5, 0x37800000
	v_lshlrev_b32_e32 v4, 21, v4
	v_lshl_add_u32 v5, v6, 23, v5
	v_or3_b32 v1, v1, v5, v4
	v_cvt_f16_f32_e32 v1, v1
.LBB161_894:
	s_or_b64 exec, exec, s[8:9]
	s_mov_b64 s[6:7], 0
	s_branch .LBB161_900
.LBB161_895:
	s_mov_b64 s[6:7], -1
                                        ; implicit-def: $vgpr1
	s_branch .LBB161_906
.LBB161_896:
	s_or_saveexec_b64 s[10:11], s[10:11]
	v_mov_b32_e32 v1, 0x7e00
	s_xor_b64 exec, exec, s[10:11]
	s_cbranch_execz .LBB161_879
.LBB161_897:
	v_cmp_ne_u16_e32 vcc, 0, v4
	s_andn2_b64 s[8:9], s[8:9], exec
	s_and_b64 s[12:13], vcc, exec
	s_or_b64 s[8:9], s[8:9], s[12:13]
	v_mov_b32_e32 v1, v4
	s_or_b64 exec, exec, s[10:11]
	s_and_saveexec_b64 s[10:11], s[8:9]
	s_cbranch_execnz .LBB161_880
	s_branch .LBB161_881
.LBB161_898:
	s_mov_b64 s[6:7], -1
                                        ; implicit-def: $vgpr1
	s_branch .LBB161_903
.LBB161_899:
	s_mov_b64 s[6:7], -1
                                        ; implicit-def: $vgpr1
.LBB161_900:
	s_and_b64 vcc, exec, s[6:7]
	s_cbranch_vccz .LBB161_902
; %bb.901:
	global_load_ubyte v1, v[2:3], off
	s_mov_b32 s6, 0x7f800000
	s_waitcnt vmcnt(0)
	v_lshlrev_b32_e32 v1, 24, v1
	v_and_b32_e32 v4, 0x7f000000, v1
	v_ffbh_u32_e32 v5, v4
	v_min_u32_e32 v5, 32, v5
	v_sub_u32_e64 v5, v5, 4 clamp
	v_lshlrev_b32_e32 v7, v5, v4
	v_lshlrev_b32_e32 v5, 23, v5
	v_lshrrev_b32_e32 v7, 4, v7
	v_add_u32_e32 v6, 0x1000000, v4
	v_sub_u32_e32 v5, v7, v5
	v_ashrrev_i32_e32 v6, 8, v6
	v_add_u32_e32 v5, 0x3c000000, v5
	v_and_or_b32 v5, v6, s6, v5
	v_cmp_ne_u32_e32 vcc, 0, v4
	s_brev_b32 s6, 1
	s_nop 0
	v_cndmask_b32_e32 v4, 0, v5, vcc
	v_and_or_b32 v1, v1, s6, v4
	v_cvt_f16_f32_e32 v1, v1
.LBB161_902:
	s_mov_b64 s[6:7], 0
.LBB161_903:
	s_andn2_b64 vcc, exec, s[6:7]
	s_cbranch_vccnz .LBB161_905
; %bb.904:
	global_load_ubyte v1, v[2:3], off
	s_movk_i32 s6, 0x7f00
	s_brev_b32 s7, 16
	s_waitcnt vmcnt(0)
	v_lshlrev_b16_e32 v4, 8, v1
	v_lshlrev_b32_e32 v1, 25, v1
	v_lshrrev_b32_e32 v5, 4, v1
	v_and_or_b32 v6, v4, s6, 0.5
	v_or_b32_e32 v5, 0x70000000, v5
	v_add_f32_e32 v6, -0.5, v6
	v_mul_f32_e32 v5, 0x7800000, v5
	v_cmp_gt_u32_e32 vcc, s7, v1
	v_bfe_i32 v4, v4, 0, 16
	s_brev_b32 s6, 1
	v_cndmask_b32_e32 v1, v5, v6, vcc
	v_and_or_b32 v1, v4, s6, v1
	v_cvt_f16_f32_e32 v1, v1
.LBB161_905:
	s_mov_b64 s[6:7], 0
	s_mov_b64 s[8:9], -1
.LBB161_906:
	s_andn2_b64 vcc, exec, s[6:7]
	s_mov_b64 s[6:7], 0
	s_cbranch_vccnz .LBB161_917
; %bb.907:
	s_cmp_gt_i32 s14, 14
	s_cbranch_scc0 .LBB161_910
; %bb.908:
	s_cmp_eq_u32 s14, 15
	s_cbranch_scc0 .LBB161_913
; %bb.909:
	global_load_ushort v1, v[2:3], off
	s_mov_b64 s[4:5], 0
	s_mov_b64 s[8:9], -1
	s_waitcnt vmcnt(0)
	v_lshlrev_b32_e32 v1, 16, v1
	v_cvt_f16_f32_e32 v1, v1
	s_branch .LBB161_914
.LBB161_910:
	s_mov_b64 s[10:11], -1
                                        ; implicit-def: $vgpr1
	s_branch .LBB161_915
.LBB161_911:
	s_or_saveexec_b64 s[8:9], s[8:9]
	v_mov_b32_e32 v1, 0x7e00
	s_xor_b64 exec, exec, s[8:9]
	s_cbranch_execz .LBB161_892
.LBB161_912:
	v_cmp_ne_u16_e32 vcc, 0, v4
	s_andn2_b64 s[6:7], s[6:7], exec
	s_and_b64 s[10:11], vcc, exec
	s_or_b64 s[6:7], s[6:7], s[10:11]
	v_mov_b32_e32 v1, v4
	s_or_b64 exec, exec, s[8:9]
	s_and_saveexec_b64 s[8:9], s[6:7]
	s_cbranch_execnz .LBB161_893
	s_branch .LBB161_894
.LBB161_913:
	s_mov_b64 s[4:5], -1
                                        ; implicit-def: $vgpr1
.LBB161_914:
	s_mov_b64 s[10:11], 0
.LBB161_915:
	s_and_b64 vcc, exec, s[10:11]
	s_cbranch_vccz .LBB161_917
; %bb.916:
	s_cmp_lg_u32 s14, 11
	s_cselect_b64 s[10:11], -1, 0
	s_andn2_b64 s[4:5], s[4:5], exec
	s_and_b64 s[10:11], s[10:11], exec
	s_mov_b64 s[6:7], -1
	s_or_b64 s[4:5], s[4:5], s[10:11]
.LBB161_917:
	s_mov_b64 s[10:11], 0
.LBB161_918:
	s_andn2_b64 s[12:13], s[2:3], exec
	s_and_b64 s[4:5], s[4:5], exec
	s_and_b64 s[8:9], s[8:9], exec
	;; [unrolled: 1-line block ×4, first 2 shown]
	s_or_b64 s[12:13], s[12:13], s[4:5]
.LBB161_919:
	s_or_b64 exec, exec, s[70:71]
	s_and_b64 s[4:5], s[6:7], exec
	s_andn2_b64 s[2:3], s[2:3], exec
	s_and_b64 s[6:7], s[12:13], exec
	s_and_b64 s[8:9], s[8:9], exec
	;; [unrolled: 1-line block ×3, first 2 shown]
	s_or_b64 s[2:3], s[2:3], s[6:7]
.LBB161_920:
	s_or_b64 exec, exec, s[66:67]
	s_andn2_b64 s[6:7], s[62:63], exec
	s_and_b64 s[12:13], s[68:69], exec
	s_or_b64 s[62:63], s[6:7], s[12:13]
	s_and_b64 s[6:7], s[10:11], exec
	s_andn2_b64 s[10:11], s[60:61], exec
	s_and_b64 s[2:3], s[2:3], exec
	s_and_b64 s[8:9], s[8:9], exec
	;; [unrolled: 1-line block ×3, first 2 shown]
	s_or_b64 s[60:61], s[10:11], s[2:3]
.LBB161_921:
	s_or_b64 exec, exec, s[64:65]
	s_andn2_b64 s[2:3], s[54:55], exec
	s_and_b64 s[10:11], s[62:63], exec
	s_or_b64 s[54:55], s[2:3], s[10:11]
	s_and_b64 s[2:3], s[8:9], exec
	s_and_b64 s[8:9], s[6:7], exec
	;; [unrolled: 1-line block ×3, first 2 shown]
	s_andn2_b64 s[4:5], s[56:57], exec
	s_and_b64 s[6:7], s[60:61], exec
	s_or_b64 s[56:57], s[4:5], s[6:7]
	s_or_b64 exec, exec, s[58:59]
	s_mov_b64 s[4:5], 0
	s_and_saveexec_b64 s[6:7], s[56:57]
	s_cbranch_execz .LBB161_276
.LBB161_922:
	s_mov_b64 s[4:5], exec
	s_andn2_b64 s[62:63], s[62:63], exec
	s_trap 2
	s_or_b64 exec, exec, s[6:7]
	s_and_saveexec_b64 s[6:7], s[62:63]
	s_xor_b64 s[6:7], exec, s[6:7]
	s_cbranch_execnz .LBB161_277
.LBB161_923:
	s_or_b64 exec, exec, s[6:7]
	s_and_saveexec_b64 s[6:7], s[8:9]
	s_cbranch_execz .LBB161_969
.LBB161_924:
	s_sext_i32_i16 s8, s74
	s_cmp_lt_i32 s8, 5
	s_cbranch_scc1 .LBB161_929
; %bb.925:
	s_cmp_lt_i32 s8, 8
	s_cbranch_scc1 .LBB161_930
; %bb.926:
	s_cmp_lt_i32 s8, 9
	s_cbranch_scc1 .LBB161_931
; %bb.927:
	s_cmp_gt_i32 s8, 9
	s_cbranch_scc0 .LBB161_932
; %bb.928:
	global_load_dwordx2 v[4:5], v[2:3], off
	s_movk_i32 s8, 0x1ff
	s_movk_i32 s9, 0xffe
	s_waitcnt vmcnt(1)
	v_mov_b32_e32 v1, 0x7c00
	v_mov_b32_e32 v6, 0x7e00
	s_movk_i32 s10, 0x40f
	s_mov_b32 s11, 0x8000
	s_waitcnt vmcnt(0)
	v_and_or_b32 v4, v5, s8, v4
	v_cmp_ne_u32_e32 vcc, 0, v4
	v_lshrrev_b32_e32 v7, 8, v5
	v_bfe_u32 v8, v5, 20, 11
	v_cndmask_b32_e64 v4, 0, 1, vcc
	v_sub_u32_e32 v9, 0x3f1, v8
	v_and_or_b32 v4, v7, s9, v4
	v_add_u32_e32 v8, 0xfffffc10, v8
	v_med3_i32 v7, v9, 0, 13
	v_or_b32_e32 v9, 0x1000, v4
	v_cmp_ne_u32_e32 vcc, 0, v4
	v_lshl_or_b32 v10, v8, 12, v4
	v_lshrrev_b32_e32 v5, 16, v5
	v_cndmask_b32_e32 v4, v1, v6, vcc
	v_lshrrev_b32_e32 v6, v7, v9
	v_lshlrev_b32_e32 v7, v7, v6
	v_cmp_ne_u32_e32 vcc, v7, v9
	s_mov_b64 s[8:9], 0
	s_nop 0
	v_cndmask_b32_e64 v7, 0, 1, vcc
	v_or_b32_e32 v6, v6, v7
	v_cmp_gt_i32_e32 vcc, 1, v8
	s_nop 1
	v_cndmask_b32_e32 v6, v10, v6, vcc
	v_and_b32_e32 v7, 7, v6
	v_cmp_lt_i32_e32 vcc, 5, v7
	v_lshrrev_b32_e32 v6, 2, v6
	s_nop 0
	v_cndmask_b32_e64 v9, 0, 1, vcc
	v_cmp_eq_u32_e32 vcc, 3, v7
	s_nop 1
	v_cndmask_b32_e64 v7, 0, 1, vcc
	v_or_b32_e32 v7, v7, v9
	v_add_u32_e32 v6, v6, v7
	v_cmp_gt_i32_e32 vcc, 31, v8
	s_nop 1
	v_cndmask_b32_e32 v1, v1, v6, vcc
	v_cmp_eq_u32_e32 vcc, s10, v8
	s_nop 1
	v_cndmask_b32_e32 v1, v1, v4, vcc
	v_and_or_b32 v1, v5, s11, v1
	s_branch .LBB161_933
.LBB161_929:
                                        ; implicit-def: $vgpr1
	s_branch .LBB161_950
.LBB161_930:
                                        ; implicit-def: $vgpr1
	s_branch .LBB161_939
.LBB161_931:
	s_mov_b64 s[8:9], -1
                                        ; implicit-def: $vgpr1
	s_branch .LBB161_936
.LBB161_932:
	s_mov_b64 s[8:9], -1
                                        ; implicit-def: $vgpr1
.LBB161_933:
	s_andn2_b64 vcc, exec, s[8:9]
	s_cbranch_vccnz .LBB161_935
; %bb.934:
	global_load_dword v1, v[2:3], off
	s_waitcnt vmcnt(0)
	v_cvt_f16_f32_e32 v1, v1
.LBB161_935:
	s_mov_b64 s[8:9], 0
.LBB161_936:
	s_andn2_b64 vcc, exec, s[8:9]
	s_cbranch_vccnz .LBB161_938
; %bb.937:
	global_load_dword v1, v[2:3], off
.LBB161_938:
	s_cbranch_execnz .LBB161_949
.LBB161_939:
	s_sext_i32_i16 s8, s74
	s_cmp_lt_i32 s8, 6
	s_cbranch_scc1 .LBB161_942
; %bb.940:
	s_cmp_gt_i32 s8, 6
	s_cbranch_scc0 .LBB161_943
; %bb.941:
	global_load_dwordx2 v[4:5], v[2:3], off
	s_movk_i32 s8, 0x1ff
	s_movk_i32 s9, 0xffe
	s_waitcnt vmcnt(1)
	v_mov_b32_e32 v1, 0x7c00
	v_mov_b32_e32 v6, 0x7e00
	s_movk_i32 s10, 0x40f
	s_mov_b32 s11, 0x8000
	s_waitcnt vmcnt(0)
	v_and_or_b32 v4, v5, s8, v4
	v_cmp_ne_u32_e32 vcc, 0, v4
	v_lshrrev_b32_e32 v7, 8, v5
	v_bfe_u32 v8, v5, 20, 11
	v_cndmask_b32_e64 v4, 0, 1, vcc
	v_sub_u32_e32 v9, 0x3f1, v8
	v_and_or_b32 v4, v7, s9, v4
	v_add_u32_e32 v8, 0xfffffc10, v8
	v_med3_i32 v7, v9, 0, 13
	v_or_b32_e32 v9, 0x1000, v4
	v_cmp_ne_u32_e32 vcc, 0, v4
	v_lshl_or_b32 v10, v8, 12, v4
	v_lshrrev_b32_e32 v5, 16, v5
	v_cndmask_b32_e32 v4, v1, v6, vcc
	v_lshrrev_b32_e32 v6, v7, v9
	v_lshlrev_b32_e32 v7, v7, v6
	v_cmp_ne_u32_e32 vcc, v7, v9
	s_mov_b64 s[8:9], 0
	s_nop 0
	v_cndmask_b32_e64 v7, 0, 1, vcc
	v_or_b32_e32 v6, v6, v7
	v_cmp_gt_i32_e32 vcc, 1, v8
	s_nop 1
	v_cndmask_b32_e32 v6, v10, v6, vcc
	v_and_b32_e32 v7, 7, v6
	v_cmp_lt_i32_e32 vcc, 5, v7
	v_lshrrev_b32_e32 v6, 2, v6
	s_nop 0
	v_cndmask_b32_e64 v9, 0, 1, vcc
	v_cmp_eq_u32_e32 vcc, 3, v7
	s_nop 1
	v_cndmask_b32_e64 v7, 0, 1, vcc
	v_or_b32_e32 v7, v7, v9
	v_add_u32_e32 v6, v6, v7
	v_cmp_gt_i32_e32 vcc, 31, v8
	s_nop 1
	v_cndmask_b32_e32 v1, v1, v6, vcc
	v_cmp_eq_u32_e32 vcc, s10, v8
	s_nop 1
	v_cndmask_b32_e32 v1, v1, v4, vcc
	v_and_or_b32 v1, v5, s11, v1
	s_branch .LBB161_944
.LBB161_942:
	s_mov_b64 s[8:9], -1
                                        ; implicit-def: $vgpr1
	s_branch .LBB161_947
.LBB161_943:
	s_mov_b64 s[8:9], -1
                                        ; implicit-def: $vgpr1
.LBB161_944:
	s_andn2_b64 vcc, exec, s[8:9]
	s_cbranch_vccnz .LBB161_946
; %bb.945:
	global_load_dword v1, v[2:3], off
	s_waitcnt vmcnt(0)
	v_cvt_f16_f32_e32 v1, v1
.LBB161_946:
	s_mov_b64 s[8:9], 0
.LBB161_947:
	s_andn2_b64 vcc, exec, s[8:9]
	s_cbranch_vccnz .LBB161_949
; %bb.948:
	global_load_ushort v1, v[2:3], off
.LBB161_949:
	s_cbranch_execnz .LBB161_968
.LBB161_950:
	s_sext_i32_i16 s8, s74
	s_cmp_lt_i32 s8, 2
	s_cbranch_scc1 .LBB161_954
; %bb.951:
	s_cmp_lt_i32 s8, 3
	s_cbranch_scc1 .LBB161_955
; %bb.952:
	s_cmp_gt_i32 s8, 3
	s_cbranch_scc0 .LBB161_956
; %bb.953:
	global_load_dwordx2 v[4:5], v[2:3], off
	s_mov_b64 s[8:9], 0
	s_waitcnt vmcnt(0)
	v_xor_b32_e32 v6, v4, v5
	v_ffbh_i32_e32 v1, v5
	v_ashrrev_i32_e32 v6, 31, v6
	v_add_u32_e32 v1, -1, v1
	v_add_u32_e32 v6, 32, v6
	v_min_u32_e32 v1, v1, v6
	v_lshlrev_b64 v[4:5], v1, v[4:5]
	v_min_u32_e32 v4, 1, v4
	v_or_b32_e32 v4, v5, v4
	v_cvt_f32_i32_e32 v4, v4
	v_sub_u32_e32 v1, 32, v1
	v_ldexp_f32 v1, v4, v1
	v_cvt_f16_f32_e32 v1, v1
	s_branch .LBB161_957
.LBB161_954:
                                        ; implicit-def: $vgpr1
	s_branch .LBB161_963
.LBB161_955:
	s_mov_b64 s[8:9], -1
                                        ; implicit-def: $vgpr1
	s_branch .LBB161_960
.LBB161_956:
	s_mov_b64 s[8:9], -1
                                        ; implicit-def: $vgpr1
.LBB161_957:
	s_andn2_b64 vcc, exec, s[8:9]
	s_cbranch_vccnz .LBB161_959
; %bb.958:
	global_load_dword v1, v[2:3], off
	s_waitcnt vmcnt(0)
	v_cvt_f32_i32_e32 v1, v1
	v_cvt_f16_f32_e32 v1, v1
.LBB161_959:
	s_mov_b64 s[8:9], 0
.LBB161_960:
	s_andn2_b64 vcc, exec, s[8:9]
	s_cbranch_vccnz .LBB161_962
; %bb.961:
	global_load_ushort v1, v[2:3], off
	s_waitcnt vmcnt(0)
	v_cvt_f16_i16_e32 v1, v1
.LBB161_962:
	s_cbranch_execnz .LBB161_968
.LBB161_963:
	s_sext_i32_i16 s8, s74
	s_cmp_gt_i32 s8, 0
	s_cbranch_scc0 .LBB161_965
; %bb.964:
	global_load_sbyte v1, v[2:3], off
	s_mov_b64 s[8:9], 0
	s_waitcnt vmcnt(0)
	v_cvt_f16_i16_e32 v1, v1
	s_branch .LBB161_966
.LBB161_965:
	s_mov_b64 s[8:9], -1
                                        ; implicit-def: $vgpr1
.LBB161_966:
	s_andn2_b64 vcc, exec, s[8:9]
	s_cbranch_vccnz .LBB161_968
; %bb.967:
	global_load_ubyte v1, v[2:3], off
	s_waitcnt vmcnt(0)
	v_cvt_f16_u16_e32 v1, v1
.LBB161_968:
	s_or_b64 s[2:3], s[2:3], exec
.LBB161_969:
	s_or_b64 exec, exec, s[6:7]
	s_mov_b64 s[10:11], 0
	s_mov_b64 s[8:9], 0
                                        ; implicit-def: $sgpr16
                                        ; implicit-def: $vgpr2_vgpr3
                                        ; implicit-def: $vgpr4
	s_and_saveexec_b64 s[6:7], s[2:3]
	s_cbranch_execz .LBB161_987
; %bb.970:
	s_waitcnt vmcnt(0)
	v_cvt_f32_f16_e32 v2, v1
	s_mov_b32 s2, 0xbf317218
	v_mov_b32_e32 v3, 0x3ab69700
	s_and_b32 s16, s73, 0xff
	v_mul_f32_e32 v4, 0x3fb8aa3b, v2
	v_rndne_f32_e32 v4, v4
	v_fma_mix_f32 v5, v4, s2, v1 op_sel_hi:[0,0,1]
	v_fmamk_f32 v5, v4, 0x3102e308, v5
	v_fmac_f32_e32 v3, 0x395133b1, v5
	v_fmaak_f32 v3, v5, v3, 0x3c0887f9
	v_cvt_i32_f32_e32 v6, v4
	v_fmaak_f32 v3, v5, v3, 0x3d2aaa81
	v_fmaak_f32 v3, v5, v3, 0x3e2aaaab
	v_fma_f32 v3, v5, v3, 0.5
	v_mul_f32_e32 v3, v5, v3
	s_mov_b32 s2, 0x43000000
	v_fmac_f32_e32 v5, v5, v3
	v_ldexp_f32 v3, 1.0, v6
	v_mov_b32_e32 v6, 0x7f000000
	v_cmp_eq_f32_e32 vcc, s2, v4
	s_mov_b32 s2, 0x42b17217
	s_cmp_lt_i32 s16, 11
	v_cndmask_b32_e32 v3, v3, v6, vcc
	v_add_f32_e32 v4, -1.0, v3
	v_fmac_f32_e32 v4, v3, v5
	v_add_f32_e32 v3, v4, v4
	v_cndmask_b32_e32 v3, v4, v3, vcc
	v_mov_b32_e32 v4, 0x7f800000
	v_cmp_nlt_f32_e32 vcc, s2, v2
	s_mov_b32 s2, 0xcc40
	s_nop 0
	v_cndmask_b32_e32 v2, v4, v3, vcc
	v_cvt_f16_f32_e32 v2, v2
	v_mov_b32_e32 v3, 0xbc00
	v_cmp_ngt_f16_e32 vcc, s2, v1
	v_mov_b32_e32 v1, 0
	s_nop 0
	v_cndmask_b32_e32 v4, v3, v2, vcc
	s_waitcnt lgkmcnt(0)
	v_lshl_add_u64 v[2:3], s[20:21], 0, v[0:1]
	s_cbranch_scc1 .LBB161_990
; %bb.971:
	s_and_b32 s17, 0xffff, s16
	s_mov_b64 s[10:11], -1
	s_cmp_gt_i32 s17, 25
	s_mov_b64 s[2:3], s[54:55]
	s_cbranch_scc0 .LBB161_1008
; %bb.972:
	s_mov_b64 s[8:9], -1
	s_cmp_gt_i32 s17, 28
	s_mov_b64 s[2:3], s[54:55]
	s_cbranch_scc0 .LBB161_992
; %bb.973:
	s_cmp_gt_i32 s17, 43
	s_mov_b64 s[2:3], s[54:55]
	s_cbranch_scc0 .LBB161_984
; %bb.974:
	;; [unrolled: 4-line block ×3, first 2 shown]
	s_cmp_eq_u32 s17, 46
	s_mov_b64 s[2:3], -1
	s_cbranch_scc0 .LBB161_977
; %bb.976:
	v_cvt_f32_f16_e32 v0, v4
	s_movk_i32 s2, 0x7fff
	v_cmp_o_f16_e32 vcc, v4, v4
	v_mov_b32_e32 v1, 0x7fc0
	v_bfe_u32 v5, v0, 16, 1
	v_add3_u32 v0, v0, v5, s2
	v_cndmask_b32_sdwa v0, v1, v0, vcc dst_sel:DWORD dst_unused:UNUSED_PAD src0_sel:DWORD src1_sel:WORD_1
	global_store_dword v[2:3], v0, off
	s_mov_b64 s[2:3], 0
.LBB161_977:
	s_mov_b64 s[8:9], 0
.LBB161_978:
	s_and_b64 vcc, exec, s[8:9]
	s_cbranch_vccz .LBB161_983
; %bb.979:
	s_cmp_eq_u32 s17, 44
	s_mov_b64 s[2:3], -1
	s_cbranch_scc0 .LBB161_983
; %bb.980:
	v_cvt_f32_f16_e32 v0, v4
	s_movk_i32 s2, 0xff
	v_mov_b32_e32 v5, 0xff
	v_bfe_u32 v1, v0, 23, 8
	v_cmp_ne_u32_e32 vcc, s2, v1
	s_and_saveexec_b64 s[8:9], vcc
; %bb.981:
	s_mov_b32 s2, 0x3fffff
	v_lshrrev_b32_e32 v5, 23, v0
	v_and_b32_e32 v6, 0x400000, v0
	v_and_or_b32 v0, v0, s2, v1
	v_cmp_ne_u32_e32 vcc, 0, v6
	v_cmp_ne_u32_e64 s[2:3], 0, v0
	s_and_b64 s[2:3], vcc, s[2:3]
	s_nop 0
	v_cndmask_b32_e64 v0, 0, 1, s[2:3]
	v_add_u32_e32 v5, v5, v0
; %bb.982:
	s_or_b64 exec, exec, s[8:9]
	s_mov_b64 s[2:3], 0
	global_store_byte v[2:3], v5, off
.LBB161_983:
	s_mov_b64 s[8:9], 0
.LBB161_984:
	s_and_b64 vcc, exec, s[8:9]
	s_cbranch_vccz .LBB161_991
; %bb.985:
	s_cmp_eq_u32 s17, 29
	s_mov_b64 s[2:3], -1
	s_cbranch_scc0 .LBB161_991
; %bb.986:
	v_cvt_f32_f16_e32 v0, v4
	v_mov_b32_e32 v1, 0
	s_mov_b64 s[2:3], 0
	s_mov_b64 s[8:9], 0
	v_cvt_u32_f32_e32 v0, v0
	global_store_dwordx2 v[2:3], v[0:1], off
	s_branch .LBB161_992
.LBB161_987:
	s_or_b64 exec, exec, s[6:7]
	s_and_saveexec_b64 s[2:3], s[54:55]
	s_cbranch_execnz .LBB161_1050
.LBB161_988:
	s_or_b64 exec, exec, s[2:3]
	s_and_saveexec_b64 s[2:3], s[10:11]
	s_xor_b64 s[2:3], exec, s[2:3]
	s_cbranch_execz .LBB161_1051
.LBB161_989:
	v_cmp_neq_f16_e32 vcc, 0, v4
	s_nop 1
	v_cndmask_b32_e64 v0, 0, 1, vcc
	global_store_byte v[2:3], v0, off
	s_or_b64 exec, exec, s[2:3]
	s_and_saveexec_b64 s[2:3], s[8:9]
	s_xor_b64 s[2:3], exec, s[2:3]
	s_cbranch_execz .LBB161_1089
	s_branch .LBB161_1052
.LBB161_990:
	s_mov_b64 s[8:9], -1
	s_mov_b64 s[2:3], s[54:55]
	s_branch .LBB161_1049
.LBB161_991:
	s_mov_b64 s[8:9], 0
.LBB161_992:
	s_and_b64 vcc, exec, s[8:9]
	s_cbranch_vccz .LBB161_1007
; %bb.993:
	s_cmp_lt_i32 s17, 27
	s_mov_b64 s[8:9], -1
	s_cbranch_scc1 .LBB161_999
; %bb.994:
	s_cmp_gt_i32 s17, 27
	s_cbranch_scc0 .LBB161_996
; %bb.995:
	v_cvt_f32_f16_e32 v0, v4
	s_mov_b64 s[8:9], 0
	v_cvt_u32_f32_e32 v0, v0
	global_store_dword v[2:3], v0, off
.LBB161_996:
	s_andn2_b64 vcc, exec, s[8:9]
	s_cbranch_vccnz .LBB161_998
; %bb.997:
	v_cvt_u16_f16_e32 v0, v4
	global_store_short v[2:3], v0, off
.LBB161_998:
	s_mov_b64 s[8:9], 0
.LBB161_999:
	s_andn2_b64 vcc, exec, s[8:9]
	s_cbranch_vccnz .LBB161_1007
; %bb.1000:
	v_cvt_f32_f16_e32 v0, v4
	s_mov_b32 s8, 0x43800000
	v_mov_b32_e32 v5, 0x80
	v_and_b32_e32 v1, 0x7fffffff, v0
	v_cmp_gt_u32_e32 vcc, s8, v1
	s_and_saveexec_b64 s[8:9], vcc
	s_cbranch_execz .LBB161_1006
; %bb.1001:
	s_mov_b32 s10, 0x3bffffff
	v_cmp_lt_u32_e32 vcc, s10, v1
	s_mov_b64 s[10:11], 0
                                        ; implicit-def: $vgpr1
	s_and_saveexec_b64 s[12:13], vcc
	s_xor_b64 s[12:13], exec, s[12:13]
	s_cbranch_execz .LBB161_1160
; %bb.1002:
	v_bfe_u32 v1, v0, 20, 1
	s_mov_b32 s14, 0x487ffff
	v_add3_u32 v1, v0, v1, s14
	s_mov_b64 s[10:11], exec
	v_lshrrev_b32_e32 v1, 20, v1
	s_andn2_saveexec_b64 s[12:13], s[12:13]
	s_cbranch_execnz .LBB161_1161
.LBB161_1003:
	s_or_b64 exec, exec, s[12:13]
	v_mov_b32_e32 v5, 0
	s_and_saveexec_b64 s[12:13], s[10:11]
.LBB161_1004:
	v_lshrrev_b32_e32 v0, 24, v0
	s_movk_i32 s10, 0x80
	v_and_or_b32 v5, v0, s10, v1
.LBB161_1005:
	s_or_b64 exec, exec, s[12:13]
.LBB161_1006:
	s_or_b64 exec, exec, s[8:9]
	global_store_byte v[2:3], v5, off
.LBB161_1007:
	s_mov_b64 s[10:11], 0
.LBB161_1008:
	s_mov_b64 s[8:9], 0
	s_and_b64 vcc, exec, s[10:11]
	s_cbranch_vccz .LBB161_1048
; %bb.1009:
	s_cmp_gt_i32 s17, 22
	s_mov_b64 s[10:11], -1
	s_cbranch_scc0 .LBB161_1041
; %bb.1010:
	s_cmp_lt_i32 s17, 24
	s_cbranch_scc1 .LBB161_1030
; %bb.1011:
	s_cmp_gt_i32 s17, 24
	s_cbranch_scc0 .LBB161_1019
; %bb.1012:
	v_cvt_f32_f16_e32 v0, v4
	s_mov_b32 s10, 0x47800000
	v_mov_b32_e32 v5, 0x80
	v_and_b32_e32 v1, 0x7fffffff, v0
	v_cmp_gt_u32_e32 vcc, s10, v1
	s_and_saveexec_b64 s[10:11], vcc
	s_cbranch_execz .LBB161_1018
; %bb.1013:
	s_mov_b32 s12, 0x37ffffff
	v_cmp_lt_u32_e32 vcc, s12, v1
	s_mov_b64 s[12:13], 0
                                        ; implicit-def: $vgpr1
	s_and_saveexec_b64 s[14:15], vcc
	s_xor_b64 s[14:15], exec, s[14:15]
	s_cbranch_execz .LBB161_1285
; %bb.1014:
	v_bfe_u32 v1, v0, 21, 1
	s_mov_b32 s18, 0x88fffff
	v_add3_u32 v1, v0, v1, s18
	s_mov_b64 s[12:13], exec
	v_lshrrev_b32_e32 v1, 21, v1
	s_andn2_saveexec_b64 s[14:15], s[14:15]
	s_cbranch_execnz .LBB161_1286
.LBB161_1015:
	s_or_b64 exec, exec, s[14:15]
	v_mov_b32_e32 v5, 0
	s_and_saveexec_b64 s[14:15], s[12:13]
.LBB161_1016:
	v_lshrrev_b32_e32 v0, 24, v0
	s_movk_i32 s12, 0x80
	v_and_or_b32 v5, v0, s12, v1
.LBB161_1017:
	s_or_b64 exec, exec, s[14:15]
.LBB161_1018:
	s_or_b64 exec, exec, s[10:11]
	s_mov_b64 s[10:11], 0
	global_store_byte v[2:3], v5, off
.LBB161_1019:
	s_and_b64 vcc, exec, s[10:11]
	s_cbranch_vccz .LBB161_1029
; %bb.1020:
	v_cvt_f32_f16_e32 v0, v4
	s_mov_b32 s10, 0x43f00000
                                        ; implicit-def: $vgpr1
	v_and_b32_e32 v5, 0x7fffffff, v0
	v_cmp_gt_u32_e32 vcc, s10, v5
	s_and_saveexec_b64 s[10:11], vcc
	s_xor_b64 s[10:11], exec, s[10:11]
	s_cbranch_execz .LBB161_1026
; %bb.1021:
	s_mov_b32 s12, 0x3c7fffff
	v_cmp_lt_u32_e32 vcc, s12, v5
                                        ; implicit-def: $vgpr1
	s_and_saveexec_b64 s[12:13], vcc
	s_xor_b64 s[12:13], exec, s[12:13]
; %bb.1022:
	v_bfe_u32 v1, v0, 20, 1
	s_mov_b32 s14, 0x407ffff
	v_add3_u32 v1, v0, v1, s14
	v_lshrrev_b32_e32 v5, 20, v1
	v_and_b32_e32 v1, 0xff00000, v1
	s_mov_b32 s14, 0x7f00000
	v_mov_b32_e32 v6, 0x7e
	v_cmp_ne_u32_e32 vcc, s14, v1
	s_nop 1
	v_cndmask_b32_e32 v1, v6, v5, vcc
; %bb.1023:
	s_andn2_saveexec_b64 s[12:13], s[12:13]
; %bb.1024:
	s_mov_b32 s14, 0x46800000
	v_add_f32_e64 v1, |v0|, s14
; %bb.1025:
	s_or_b64 exec, exec, s[12:13]
                                        ; implicit-def: $vgpr5
.LBB161_1026:
	s_andn2_saveexec_b64 s[10:11], s[10:11]
; %bb.1027:
	s_mov_b32 s12, 0x7f800000
	v_mov_b32_e32 v1, 0x7e
	v_mov_b32_e32 v6, 0x7f
	v_cmp_lt_u32_e32 vcc, s12, v5
	s_nop 1
	v_cndmask_b32_e32 v1, v1, v6, vcc
; %bb.1028:
	s_or_b64 exec, exec, s[10:11]
	v_lshrrev_b32_e32 v0, 24, v0
	s_movk_i32 s10, 0x80
	v_and_or_b32 v0, v0, s10, v1
	global_store_byte v[2:3], v0, off
.LBB161_1029:
	s_mov_b64 s[10:11], 0
.LBB161_1030:
	s_andn2_b64 vcc, exec, s[10:11]
	s_cbranch_vccnz .LBB161_1040
; %bb.1031:
	v_cvt_f32_f16_e32 v0, v4
	s_mov_b32 s10, 0x47800000
                                        ; implicit-def: $vgpr1
	v_and_b32_e32 v5, 0x7fffffff, v0
	v_cmp_gt_u32_e32 vcc, s10, v5
	s_and_saveexec_b64 s[10:11], vcc
	s_xor_b64 s[10:11], exec, s[10:11]
	s_cbranch_execz .LBB161_1037
; %bb.1032:
	s_mov_b32 s12, 0x387fffff
	v_cmp_lt_u32_e32 vcc, s12, v5
                                        ; implicit-def: $vgpr1
	s_and_saveexec_b64 s[12:13], vcc
	s_xor_b64 s[12:13], exec, s[12:13]
; %bb.1033:
	v_bfe_u32 v1, v0, 21, 1
	s_mov_b32 s14, 0x80fffff
	v_add3_u32 v1, v0, v1, s14
	v_lshrrev_b32_e32 v1, 21, v1
; %bb.1034:
	s_andn2_saveexec_b64 s[12:13], s[12:13]
; %bb.1035:
	s_mov_b32 s14, 0x43000000
	v_add_f32_e64 v1, |v0|, s14
; %bb.1036:
	s_or_b64 exec, exec, s[12:13]
                                        ; implicit-def: $vgpr5
.LBB161_1037:
	s_andn2_saveexec_b64 s[10:11], s[10:11]
; %bb.1038:
	s_mov_b32 s12, 0x7f800000
	v_mov_b32_e32 v1, 0x7c
	v_mov_b32_e32 v6, 0x7f
	v_cmp_lt_u32_e32 vcc, s12, v5
	s_nop 1
	v_cndmask_b32_e32 v1, v1, v6, vcc
; %bb.1039:
	s_or_b64 exec, exec, s[10:11]
	v_lshrrev_b32_e32 v0, 24, v0
	s_movk_i32 s10, 0x80
	v_and_or_b32 v0, v0, s10, v1
	global_store_byte v[2:3], v0, off
.LBB161_1040:
	s_mov_b64 s[10:11], 0
.LBB161_1041:
	s_andn2_b64 vcc, exec, s[10:11]
	s_mov_b64 s[10:11], 0
	s_cbranch_vccnz .LBB161_1049
; %bb.1042:
	s_cmp_gt_i32 s17, 14
	s_mov_b64 s[12:13], -1
	s_cbranch_scc0 .LBB161_1046
; %bb.1043:
	s_cmp_eq_u32 s17, 15
	s_mov_b64 s[2:3], -1
	s_cbranch_scc0 .LBB161_1045
; %bb.1044:
	v_cvt_f32_f16_e32 v0, v4
	s_movk_i32 s2, 0x7fff
	v_cmp_o_f16_e32 vcc, v4, v4
	v_mov_b32_e32 v1, 0x7fc0
	v_bfe_u32 v5, v0, 16, 1
	v_add3_u32 v0, v0, v5, s2
	v_cndmask_b32_sdwa v0, v1, v0, vcc dst_sel:DWORD dst_unused:UNUSED_PAD src0_sel:DWORD src1_sel:WORD_1
	global_store_short v[2:3], v0, off
	s_mov_b64 s[2:3], 0
.LBB161_1045:
	s_mov_b64 s[12:13], 0
.LBB161_1046:
	s_and_b64 vcc, exec, s[12:13]
	s_cbranch_vccz .LBB161_1049
; %bb.1047:
	s_cmp_lg_u32 s17, 11
	s_cselect_b64 s[12:13], -1, 0
	s_andn2_b64 s[2:3], s[2:3], exec
	s_and_b64 s[12:13], s[12:13], exec
	s_mov_b64 s[10:11], -1
	s_or_b64 s[2:3], s[2:3], s[12:13]
	s_branch .LBB161_1049
.LBB161_1048:
	s_mov_b64 s[10:11], 0
.LBB161_1049:
	s_andn2_b64 s[12:13], s[54:55], exec
	s_and_b64 s[2:3], s[2:3], exec
	s_and_b64 s[8:9], s[8:9], exec
	;; [unrolled: 1-line block ×3, first 2 shown]
	s_or_b64 s[54:55], s[12:13], s[2:3]
	s_or_b64 exec, exec, s[6:7]
	s_and_saveexec_b64 s[2:3], s[54:55]
	s_cbranch_execz .LBB161_988
.LBB161_1050:
	s_or_b64 s[4:5], s[4:5], exec
	s_andn2_b64 s[10:11], s[10:11], exec
	s_trap 2
	s_or_b64 exec, exec, s[2:3]
	s_and_saveexec_b64 s[2:3], s[10:11]
	s_xor_b64 s[2:3], exec, s[2:3]
	s_cbranch_execnz .LBB161_989
.LBB161_1051:
	s_or_b64 exec, exec, s[2:3]
	s_and_saveexec_b64 s[2:3], s[8:9]
	s_xor_b64 s[2:3], exec, s[2:3]
	s_cbranch_execz .LBB161_1089
.LBB161_1052:
	s_sext_i32_i16 s8, s16
	s_cmp_lt_i32 s8, 5
	s_mov_b64 s[6:7], -1
	s_cbranch_scc1 .LBB161_1073
; %bb.1053:
	s_cmp_lt_i32 s8, 8
	s_cbranch_scc1 .LBB161_1063
; %bb.1054:
	s_cmp_lt_i32 s8, 9
	s_cbranch_scc1 .LBB161_1060
; %bb.1055:
	s_cmp_gt_i32 s8, 9
	s_cbranch_scc0 .LBB161_1057
; %bb.1056:
	v_cvt_f32_f16_e32 v0, v4
	v_mov_b32_e32 v8, 0
	v_mov_b32_e32 v9, v8
	s_mov_b64 s[6:7], 0
	v_cvt_f64_f32_e32 v[6:7], v0
	global_store_dwordx4 v[2:3], v[6:9], off
.LBB161_1057:
	s_andn2_b64 vcc, exec, s[6:7]
	s_cbranch_vccnz .LBB161_1059
; %bb.1058:
	v_cvt_f32_f16_e32 v0, v4
	s_waitcnt vmcnt(0)
	v_mov_b32_e32 v1, 0
	global_store_dwordx2 v[2:3], v[0:1], off
.LBB161_1059:
	s_mov_b64 s[6:7], 0
.LBB161_1060:
	s_andn2_b64 vcc, exec, s[6:7]
	s_cbranch_vccnz .LBB161_1062
; %bb.1061:
	v_and_b32_e32 v0, 0xffff, v4
	global_store_dword v[2:3], v0, off
.LBB161_1062:
	s_mov_b64 s[6:7], 0
.LBB161_1063:
	s_andn2_b64 vcc, exec, s[6:7]
	s_cbranch_vccnz .LBB161_1072
; %bb.1064:
	s_sext_i32_i16 s8, s16
	s_cmp_lt_i32 s8, 6
	s_mov_b64 s[6:7], -1
	s_cbranch_scc1 .LBB161_1070
; %bb.1065:
	s_cmp_gt_i32 s8, 6
	s_cbranch_scc0 .LBB161_1067
; %bb.1066:
	v_cvt_f32_f16_e32 v0, v4
	s_mov_b64 s[6:7], 0
	s_waitcnt vmcnt(0)
	v_cvt_f64_f32_e32 v[0:1], v0
	global_store_dwordx2 v[2:3], v[0:1], off
.LBB161_1067:
	s_andn2_b64 vcc, exec, s[6:7]
	s_cbranch_vccnz .LBB161_1069
; %bb.1068:
	v_cvt_f32_f16_e32 v0, v4
	global_store_dword v[2:3], v0, off
.LBB161_1069:
	s_mov_b64 s[6:7], 0
.LBB161_1070:
	s_andn2_b64 vcc, exec, s[6:7]
	s_cbranch_vccnz .LBB161_1072
; %bb.1071:
	global_store_short v[2:3], v4, off
.LBB161_1072:
	s_mov_b64 s[6:7], 0
.LBB161_1073:
	s_andn2_b64 vcc, exec, s[6:7]
	s_cbranch_vccnz .LBB161_1089
; %bb.1074:
	s_sext_i32_i16 s8, s16
	s_cmp_lt_i32 s8, 2
	s_mov_b64 s[6:7], -1
	s_cbranch_scc1 .LBB161_1084
; %bb.1075:
	s_cmp_lt_i32 s8, 3
	s_cbranch_scc1 .LBB161_1081
; %bb.1076:
	s_cmp_gt_i32 s8, 3
	s_cbranch_scc0 .LBB161_1078
; %bb.1077:
	v_cvt_f32_f16_e32 v0, v4
	s_mov_b64 s[6:7], 0
	v_cvt_i32_f32_e32 v0, v0
	s_waitcnt vmcnt(0)
	v_ashrrev_i32_e32 v1, 31, v0
	global_store_dwordx2 v[2:3], v[0:1], off
.LBB161_1078:
	s_andn2_b64 vcc, exec, s[6:7]
	s_cbranch_vccnz .LBB161_1080
; %bb.1079:
	v_cvt_f32_f16_e32 v0, v4
	v_cvt_i32_f32_e32 v0, v0
	global_store_dword v[2:3], v0, off
.LBB161_1080:
	s_mov_b64 s[6:7], 0
.LBB161_1081:
	s_andn2_b64 vcc, exec, s[6:7]
	s_cbranch_vccnz .LBB161_1083
; %bb.1082:
	v_cvt_i16_f16_e32 v0, v4
	global_store_short v[2:3], v0, off
.LBB161_1083:
	s_mov_b64 s[6:7], 0
.LBB161_1084:
	s_andn2_b64 vcc, exec, s[6:7]
	s_cbranch_vccnz .LBB161_1089
; %bb.1085:
	s_sext_i32_i16 s6, s16
	s_cmp_gt_i32 s6, 0
	s_mov_b64 s[6:7], -1
	s_cbranch_scc0 .LBB161_1087
; %bb.1086:
	v_cvt_i16_f16_e32 v0, v4
	s_mov_b64 s[6:7], 0
	global_store_byte v[2:3], v0, off
.LBB161_1087:
	s_andn2_b64 vcc, exec, s[6:7]
	s_cbranch_vccnz .LBB161_1089
; %bb.1088:
	v_cvt_f32_f16_e32 v0, v4
	v_cvt_i32_f32_e32 v0, v0
	global_store_byte v[2:3], v0, off
.LBB161_1089:
	s_or_b64 exec, exec, s[2:3]
	s_waitcnt lgkmcnt(0)
	s_and_b64 s[24:25], s[4:5], exec
                                        ; implicit-def: $vgpr16
                                        ; implicit-def: $vgpr8
.LBB161_1090:
	s_or_saveexec_b64 s[26:27], s[44:45]
	s_mov_b64 s[6:7], 0
                                        ; implicit-def: $vgpr0_vgpr1
                                        ; implicit-def: $sgpr14
                                        ; implicit-def: $vgpr2
	s_xor_b64 exec, exec, s[26:27]
	s_cbranch_execz .LBB161_2094
; %bb.1091:
	v_cndmask_b32_e64 v0, 0, 1, s[42:43]
	v_cmp_ne_u32_e64 s[2:3], 1, v0
	s_andn2_b64 vcc, exec, s[42:43]
	s_cbranch_vccnz .LBB161_1097
; %bb.1092:
	s_cmp_lg_u32 s33, 0
	s_mov_b32 s36, 0
	s_cbranch_scc0 .LBB161_1098
; %bb.1093:
	s_min_u32 s37, s72, 15
	s_add_i32 s37, s37, 1
	s_cmp_eq_u32 s72, 2
	s_cbranch_scc1 .LBB161_1099
; %bb.1094:
	s_and_b32 s36, s37, 28
	s_add_u32 s28, s34, 0xc4
	s_addc_u32 s29, s35, 0
	s_mov_b32 s38, 0
	v_mov_b32_e32 v6, 0
	v_mov_b32_e32 v14, 0
	s_mov_b64 s[30:31], s[34:35]
	v_mov_b32_e32 v0, v8
.LBB161_1095:                           ; =>This Inner Loop Header: Depth=1
	s_load_dwordx8 s[12:19], s[30:31], 0x4
	s_load_dwordx4 s[20:23], s[30:31], 0x24
	s_load_dwordx8 s[4:11], s[28:29], 0x0
	s_add_u32 s30, s30, 48
	s_addc_u32 s31, s31, 0
	s_waitcnt vmcnt(0) lgkmcnt(0)
	v_mul_hi_u32 v1, s13, v0
	v_add_u32_e32 v1, v0, v1
	v_lshrrev_b32_e32 v1, s14, v1
	v_mul_lo_u32 v2, v1, s12
	v_mul_hi_u32 v3, s16, v1
	v_sub_u32_e32 v0, v0, v2
	v_add_u32_e32 v2, v1, v3
	v_lshrrev_b32_e32 v2, s17, v2
	v_mul_lo_u32 v4, v2, s15
	v_mul_hi_u32 v5, s19, v2
	v_sub_u32_e32 v1, v1, v4
	v_add_u32_e32 v4, v2, v5
	v_mul_lo_u32 v3, v0, s5
	v_mul_lo_u32 v0, v0, s4
	;; [unrolled: 1-line block ×4, first 2 shown]
	v_lshrrev_b32_e32 v4, s20, v4
	v_add3_u32 v1, v0, v6, v1
	v_add3_u32 v3, v3, v14, v5
	v_mul_lo_u32 v0, v4, s18
	v_mul_hi_u32 v5, s22, v4
	v_sub_u32_e32 v0, v2, v0
	v_add_u32_e32 v2, v4, v5
	v_mul_lo_u32 v5, v0, s8
	v_mul_lo_u32 v6, v0, s9
	v_lshrrev_b32_e32 v0, s23, v2
	s_add_i32 s38, s38, 4
	v_mul_lo_u32 v2, v0, s21
	s_add_u32 s28, s28, 32
	v_sub_u32_e32 v2, v4, v2
	s_addc_u32 s29, s29, 0
	v_mul_lo_u32 v4, v2, s10
	v_mul_lo_u32 v2, v2, s11
	s_cmp_lg_u32 s36, s38
	v_add3_u32 v14, v6, v3, v2
	v_add3_u32 v6, v5, v1, v4
	s_cbranch_scc1 .LBB161_1095
; %bb.1096:
	v_mov_b32_e32 v1, v14
	s_and_b32 s8, s37, 3
	s_cmp_eq_u32 s8, 0
	s_cbranch_scc0 .LBB161_1100
	s_branch .LBB161_1102
.LBB161_1097:
                                        ; implicit-def: $vgpr14
                                        ; implicit-def: $vgpr6
	s_branch .LBB161_1103
.LBB161_1098:
	v_mov_b32_e32 v14, 0
	v_mov_b32_e32 v6, 0
	s_branch .LBB161_1102
.LBB161_1099:
	v_mov_b32_e32 v6, 0
                                        ; implicit-def: $vgpr14
	s_waitcnt vmcnt(0)
	v_mov_b32_e32 v1, v6
	v_mov_b32_e32 v0, v8
	s_and_b32 s8, s37, 3
	s_cmp_eq_u32 s8, 0
	s_cbranch_scc1 .LBB161_1102
.LBB161_1100:
	s_lshl_b32 s4, s36, 3
	s_add_u32 s4, s34, s4
	s_addc_u32 s5, s35, 0
	s_add_u32 s4, s4, 0xc4
	s_addc_u32 s5, s5, 0
	s_mul_i32 s6, s36, 12
	s_add_u32 s6, s34, s6
	s_addc_u32 s7, s35, 0
.LBB161_1101:                           ; =>This Inner Loop Header: Depth=1
	s_load_dwordx2 s[10:11], s[6:7], 0x4
	s_load_dword s9, s[6:7], 0xc
	s_load_dwordx2 s[12:13], s[4:5], 0x0
	v_mov_b32_e32 v2, v1
	s_add_u32 s6, s6, 12
	s_waitcnt lgkmcnt(0)
	v_mul_hi_u32 v1, s11, v0
	v_add_u32_e32 v1, v0, v1
	v_lshrrev_b32_e32 v1, s9, v1
	s_addc_u32 s7, s7, 0
	v_mul_lo_u32 v3, v1, s10
	s_add_u32 s4, s4, 8
	v_sub_u32_e32 v3, v0, v3
	s_addc_u32 s5, s5, 0
	s_add_i32 s8, s8, -1
	v_mad_u64_u32 v[14:15], s[10:11], v3, s13, v[2:3]
	s_cmp_lg_u32 s8, 0
	v_mov_b32_e32 v0, v1
	v_mad_u64_u32 v[6:7], s[10:11], v3, s12, v[6:7]
	v_mov_b32_e32 v1, v14
	s_cbranch_scc1 .LBB161_1101
.LBB161_1102:
	s_cbranch_execnz .LBB161_1105
.LBB161_1103:
	s_load_dwordx4 s[4:7], s[34:35], 0x4
	s_load_dwordx2 s[8:9], s[34:35], 0xc4
	s_cmp_lt_u32 s33, 2
	s_waitcnt lgkmcnt(0)
	v_mul_hi_u32 v0, s5, v8
	v_add_u32_e32 v0, v8, v0
	v_lshrrev_b32_e32 v0, s6, v0
	s_waitcnt vmcnt(0)
	v_mul_lo_u32 v1, v0, s4
	v_sub_u32_e32 v1, v8, v1
	v_mul_lo_u32 v14, v1, s9
	v_mul_lo_u32 v6, v1, s8
	s_cbranch_scc1 .LBB161_1105
; %bb.1104:
	s_load_dwordx4 s[4:7], s[34:35], 0x10
	s_load_dwordx2 s[8:9], s[34:35], 0xcc
	s_waitcnt lgkmcnt(0)
	v_mul_hi_u32 v1, s5, v0
	v_add_u32_e32 v1, v0, v1
	v_lshrrev_b32_e32 v1, s6, v1
	v_mul_lo_u32 v1, v1, s4
	v_sub_u32_e32 v0, v0, v1
	v_mad_u64_u32 v[6:7], s[4:5], v0, s8, v[6:7]
	v_mad_u64_u32 v[14:15], s[4:5], v0, s9, v[14:15]
.LBB161_1105:
	s_and_b64 vcc, exec, s[2:3]
	v_add_u32_e32 v0, 0x80, v8
	s_cbranch_vccnz .LBB161_1111
; %bb.1106:
	s_cmp_lg_u32 s33, 0
	s_mov_b32 s36, 0
	s_cbranch_scc0 .LBB161_1112
; %bb.1107:
	s_min_u32 s37, s72, 15
	s_add_i32 s37, s37, 1
	s_cmp_eq_u32 s72, 2
	s_cbranch_scc1 .LBB161_1113
; %bb.1108:
	s_and_b32 s36, s37, 28
	s_add_u32 s28, s34, 0xc4
	s_addc_u32 s29, s35, 0
	s_mov_b32 s38, 0
	v_mov_b32_e32 v4, 0
	v_mov_b32_e32 v12, 0
	s_mov_b64 s[30:31], s[34:35]
	v_mov_b32_e32 v2, v0
.LBB161_1109:                           ; =>This Inner Loop Header: Depth=1
	s_load_dwordx8 s[12:19], s[30:31], 0x4
	s_load_dwordx4 s[20:23], s[30:31], 0x24
	s_load_dwordx8 s[4:11], s[28:29], 0x0
	s_add_u32 s30, s30, 48
	s_addc_u32 s31, s31, 0
	s_waitcnt vmcnt(0) lgkmcnt(0)
	v_mul_hi_u32 v1, s13, v2
	v_add_u32_e32 v1, v2, v1
	v_lshrrev_b32_e32 v1, s14, v1
	v_mul_lo_u32 v3, v1, s12
	v_mul_hi_u32 v5, s16, v1
	v_sub_u32_e32 v2, v2, v3
	v_add_u32_e32 v3, v1, v5
	v_lshrrev_b32_e32 v3, s17, v3
	v_mul_lo_u32 v7, v3, s15
	v_mul_hi_u32 v9, s19, v3
	v_sub_u32_e32 v1, v1, v7
	v_add_u32_e32 v7, v3, v9
	v_mul_lo_u32 v5, v2, s5
	v_mul_lo_u32 v2, v2, s4
	;; [unrolled: 1-line block ×4, first 2 shown]
	v_lshrrev_b32_e32 v7, s20, v7
	v_add3_u32 v1, v2, v4, v1
	v_add3_u32 v4, v5, v12, v9
	v_mul_lo_u32 v2, v7, s18
	v_mul_hi_u32 v5, s22, v7
	v_sub_u32_e32 v2, v3, v2
	v_add_u32_e32 v3, v7, v5
	v_mul_lo_u32 v5, v2, s8
	v_mul_lo_u32 v9, v2, s9
	v_lshrrev_b32_e32 v2, s23, v3
	s_add_i32 s38, s38, 4
	v_mul_lo_u32 v3, v2, s21
	s_add_u32 s28, s28, 32
	v_sub_u32_e32 v3, v7, v3
	s_addc_u32 s29, s29, 0
	v_mul_lo_u32 v7, v3, s10
	v_mul_lo_u32 v3, v3, s11
	s_cmp_lg_u32 s36, s38
	v_add3_u32 v12, v9, v4, v3
	v_add3_u32 v4, v5, v1, v7
	s_cbranch_scc1 .LBB161_1109
; %bb.1110:
	v_mov_b32_e32 v1, v12
	s_and_b32 s8, s37, 3
	s_cmp_eq_u32 s8, 0
	s_cbranch_scc0 .LBB161_1114
	s_branch .LBB161_1116
.LBB161_1111:
                                        ; implicit-def: $vgpr12
                                        ; implicit-def: $vgpr4
	s_branch .LBB161_1117
.LBB161_1112:
	v_mov_b32_e32 v12, 0
	v_mov_b32_e32 v4, 0
	s_branch .LBB161_1116
.LBB161_1113:
	v_mov_b32_e32 v4, 0
                                        ; implicit-def: $vgpr12
	s_waitcnt vmcnt(0)
	v_mov_b32_e32 v1, v4
	v_mov_b32_e32 v2, v0
	s_and_b32 s8, s37, 3
	s_cmp_eq_u32 s8, 0
	s_cbranch_scc1 .LBB161_1116
.LBB161_1114:
	s_lshl_b32 s4, s36, 3
	s_add_u32 s4, s34, s4
	s_addc_u32 s5, s35, 0
	s_add_u32 s4, s4, 0xc4
	s_addc_u32 s5, s5, 0
	s_mul_i32 s6, s36, 12
	s_add_u32 s6, s34, s6
	s_addc_u32 s7, s35, 0
.LBB161_1115:                           ; =>This Inner Loop Header: Depth=1
	s_load_dwordx2 s[10:11], s[6:7], 0x4
	s_load_dword s9, s[6:7], 0xc
	s_load_dwordx2 s[12:13], s[4:5], 0x0
	v_mov_b32_e32 v10, v1
	s_add_u32 s6, s6, 12
	s_waitcnt lgkmcnt(0)
	v_mul_hi_u32 v1, s11, v2
	v_add_u32_e32 v1, v2, v1
	v_lshrrev_b32_e32 v1, s9, v1
	s_addc_u32 s7, s7, 0
	v_mul_lo_u32 v3, v1, s10
	s_add_u32 s4, s4, 8
	v_sub_u32_e32 v3, v2, v3
	s_addc_u32 s5, s5, 0
	s_add_i32 s8, s8, -1
	v_mad_u64_u32 v[12:13], s[10:11], v3, s13, v[10:11]
	s_cmp_lg_u32 s8, 0
	v_mov_b32_e32 v2, v1
	v_mad_u64_u32 v[4:5], s[10:11], v3, s12, v[4:5]
	v_mov_b32_e32 v1, v12
	s_cbranch_scc1 .LBB161_1115
.LBB161_1116:
	s_cbranch_execnz .LBB161_1119
.LBB161_1117:
	s_load_dwordx4 s[4:7], s[34:35], 0x4
	s_load_dwordx2 s[8:9], s[34:35], 0xc4
	s_cmp_lt_u32 s33, 2
	s_waitcnt vmcnt(0) lgkmcnt(0)
	v_mul_hi_u32 v1, s5, v0
	v_add_u32_e32 v1, v0, v1
	v_lshrrev_b32_e32 v1, s6, v1
	v_mul_lo_u32 v2, v1, s4
	v_sub_u32_e32 v0, v0, v2
	v_mul_lo_u32 v12, v0, s9
	v_mul_lo_u32 v4, v0, s8
	s_cbranch_scc1 .LBB161_1119
; %bb.1118:
	s_load_dwordx4 s[4:7], s[34:35], 0x10
	s_load_dwordx2 s[8:9], s[34:35], 0xcc
	s_waitcnt lgkmcnt(0)
	v_mul_hi_u32 v0, s5, v1
	v_add_u32_e32 v0, v1, v0
	v_lshrrev_b32_e32 v0, s6, v0
	v_mul_lo_u32 v0, v0, s4
	v_sub_u32_e32 v0, v1, v0
	v_mad_u64_u32 v[4:5], s[4:5], v0, s8, v[4:5]
	v_mad_u64_u32 v[12:13], s[4:5], v0, s9, v[12:13]
.LBB161_1119:
	s_and_b64 vcc, exec, s[2:3]
	v_add_u32_e32 v0, 0x100, v8
	s_cbranch_vccnz .LBB161_1125
; %bb.1120:
	s_cmp_lg_u32 s33, 0
	s_mov_b32 s36, 0
	s_cbranch_scc0 .LBB161_1126
; %bb.1121:
	s_min_u32 s37, s72, 15
	s_add_i32 s37, s37, 1
	s_cmp_eq_u32 s72, 2
	s_cbranch_scc1 .LBB161_1127
; %bb.1122:
	s_and_b32 s36, s37, 28
	s_add_u32 s28, s34, 0xc4
	s_addc_u32 s29, s35, 0
	s_mov_b32 s38, 0
	v_mov_b32_e32 v2, 0
	v_mov_b32_e32 v10, 0
	s_mov_b64 s[30:31], s[34:35]
	v_mov_b32_e32 v5, v0
.LBB161_1123:                           ; =>This Inner Loop Header: Depth=1
	s_load_dwordx8 s[12:19], s[30:31], 0x4
	s_load_dwordx4 s[20:23], s[30:31], 0x24
	s_load_dwordx8 s[4:11], s[28:29], 0x0
	s_add_u32 s30, s30, 48
	s_addc_u32 s31, s31, 0
	s_waitcnt vmcnt(0) lgkmcnt(0)
	v_mul_hi_u32 v1, s13, v5
	v_add_u32_e32 v1, v5, v1
	v_lshrrev_b32_e32 v1, s14, v1
	v_mul_lo_u32 v3, v1, s12
	v_mul_hi_u32 v7, s16, v1
	v_sub_u32_e32 v3, v5, v3
	v_add_u32_e32 v5, v1, v7
	v_lshrrev_b32_e32 v5, s17, v5
	v_mul_lo_u32 v8, v5, s15
	v_mul_hi_u32 v9, s19, v5
	v_sub_u32_e32 v1, v1, v8
	v_add_u32_e32 v8, v5, v9
	v_mul_lo_u32 v7, v3, s5
	v_mul_lo_u32 v3, v3, s4
	;; [unrolled: 1-line block ×4, first 2 shown]
	v_lshrrev_b32_e32 v8, s20, v8
	v_add3_u32 v1, v3, v2, v1
	v_add3_u32 v2, v7, v10, v9
	v_mul_lo_u32 v3, v8, s18
	v_mul_hi_u32 v7, s22, v8
	v_sub_u32_e32 v3, v5, v3
	v_add_u32_e32 v5, v8, v7
	v_lshrrev_b32_e32 v5, s23, v5
	s_add_i32 s38, s38, 4
	v_mul_lo_u32 v9, v5, s21
	s_add_u32 s28, s28, 32
	v_sub_u32_e32 v8, v8, v9
	s_addc_u32 s29, s29, 0
	v_mul_lo_u32 v7, v3, s8
	v_mul_lo_u32 v3, v3, s9
	;; [unrolled: 1-line block ×4, first 2 shown]
	s_cmp_lg_u32 s36, s38
	v_add3_u32 v10, v3, v2, v8
	v_add3_u32 v2, v7, v1, v9
	s_cbranch_scc1 .LBB161_1123
; %bb.1124:
	v_mov_b32_e32 v1, v10
	s_and_b32 s8, s37, 3
	s_cmp_eq_u32 s8, 0
	s_cbranch_scc0 .LBB161_1128
	s_branch .LBB161_1130
.LBB161_1125:
                                        ; implicit-def: $vgpr10
                                        ; implicit-def: $vgpr2
	s_branch .LBB161_1131
.LBB161_1126:
	v_mov_b32_e32 v10, 0
	v_mov_b32_e32 v2, 0
	s_branch .LBB161_1130
.LBB161_1127:
	v_mov_b32_e32 v2, 0
                                        ; implicit-def: $vgpr10
	s_waitcnt vmcnt(0)
	v_mov_b32_e32 v1, v2
	v_mov_b32_e32 v5, v0
	s_and_b32 s8, s37, 3
	s_cmp_eq_u32 s8, 0
	s_cbranch_scc1 .LBB161_1130
.LBB161_1128:
	s_lshl_b32 s4, s36, 3
	s_add_u32 s4, s34, s4
	s_addc_u32 s5, s35, 0
	s_add_u32 s4, s4, 0xc4
	s_addc_u32 s5, s5, 0
	s_mul_i32 s6, s36, 12
	s_add_u32 s6, s34, s6
	s_addc_u32 s7, s35, 0
.LBB161_1129:                           ; =>This Inner Loop Header: Depth=1
	s_load_dwordx2 s[10:11], s[6:7], 0x4
	s_load_dword s9, s[6:7], 0xc
	s_load_dwordx2 s[12:13], s[4:5], 0x0
	v_mov_b32_e32 v8, v1
	s_add_u32 s6, s6, 12
	s_waitcnt lgkmcnt(0)
	v_mul_hi_u32 v1, s11, v5
	v_add_u32_e32 v1, v5, v1
	v_lshrrev_b32_e32 v1, s9, v1
	s_addc_u32 s7, s7, 0
	v_mul_lo_u32 v3, v1, s10
	s_add_u32 s4, s4, 8
	v_sub_u32_e32 v3, v5, v3
	s_addc_u32 s5, s5, 0
	s_add_i32 s8, s8, -1
	v_mad_u64_u32 v[10:11], s[10:11], v3, s13, v[8:9]
	s_cmp_lg_u32 s8, 0
	v_mov_b32_e32 v5, v1
	v_mad_u64_u32 v[2:3], s[10:11], v3, s12, v[2:3]
	v_mov_b32_e32 v1, v10
	s_cbranch_scc1 .LBB161_1129
.LBB161_1130:
	s_cbranch_execnz .LBB161_1133
.LBB161_1131:
	s_load_dwordx4 s[4:7], s[34:35], 0x4
	s_load_dwordx2 s[8:9], s[34:35], 0xc4
	s_cmp_lt_u32 s33, 2
	s_waitcnt vmcnt(0) lgkmcnt(0)
	v_mul_hi_u32 v1, s5, v0
	v_add_u32_e32 v1, v0, v1
	v_lshrrev_b32_e32 v1, s6, v1
	v_mul_lo_u32 v2, v1, s4
	v_sub_u32_e32 v0, v0, v2
	v_mul_lo_u32 v10, v0, s9
	v_mul_lo_u32 v2, v0, s8
	s_cbranch_scc1 .LBB161_1133
; %bb.1132:
	s_load_dwordx4 s[4:7], s[34:35], 0x10
	s_load_dwordx2 s[8:9], s[34:35], 0xcc
	s_waitcnt lgkmcnt(0)
	v_mul_hi_u32 v0, s5, v1
	v_add_u32_e32 v0, v1, v0
	v_lshrrev_b32_e32 v0, s6, v0
	v_mul_lo_u32 v0, v0, s4
	v_sub_u32_e32 v0, v1, v0
	v_mad_u64_u32 v[2:3], s[4:5], v0, s8, v[2:3]
	v_mad_u64_u32 v[10:11], s[4:5], v0, s9, v[10:11]
.LBB161_1133:
	s_and_b64 vcc, exec, s[2:3]
	s_cbranch_vccnz .LBB161_1139
; %bb.1134:
	s_cmp_lg_u32 s33, 0
	s_mov_b32 s30, 0
	s_cbranch_scc0 .LBB161_1140
; %bb.1135:
	s_min_u32 s31, s72, 15
	s_add_i32 s31, s31, 1
	s_cmp_eq_u32 s72, 2
	s_cbranch_scc1 .LBB161_1141
; %bb.1136:
	s_and_b32 s30, s31, 28
	s_add_u32 s2, s34, 0xc4
	s_addc_u32 s3, s35, 0
	s_mov_b32 s36, 0
	v_mov_b32_e32 v0, 0
	v_mov_b32_e32 v8, 0
	s_mov_b64 s[28:29], s[34:35]
	v_mov_b32_e32 v3, v16
.LBB161_1137:                           ; =>This Inner Loop Header: Depth=1
	s_load_dwordx8 s[12:19], s[28:29], 0x4
	s_load_dwordx4 s[20:23], s[28:29], 0x24
	s_load_dwordx8 s[4:11], s[2:3], 0x0
	s_add_u32 s28, s28, 48
	s_addc_u32 s29, s29, 0
	s_waitcnt vmcnt(0) lgkmcnt(0)
	v_mul_hi_u32 v1, s13, v3
	v_add_u32_e32 v1, v3, v1
	v_lshrrev_b32_e32 v1, s14, v1
	v_mul_lo_u32 v5, v1, s12
	v_mul_hi_u32 v7, s16, v1
	v_sub_u32_e32 v3, v3, v5
	v_add_u32_e32 v5, v1, v7
	v_lshrrev_b32_e32 v5, s17, v5
	v_mul_lo_u32 v9, v5, s15
	v_mul_hi_u32 v11, s19, v5
	v_sub_u32_e32 v1, v1, v9
	v_add_u32_e32 v9, v5, v11
	v_mul_lo_u32 v7, v3, s5
	v_mul_lo_u32 v3, v3, s4
	;; [unrolled: 1-line block ×4, first 2 shown]
	v_lshrrev_b32_e32 v9, s20, v9
	v_add3_u32 v0, v3, v0, v1
	v_add3_u32 v1, v7, v8, v11
	v_mul_lo_u32 v3, v9, s18
	v_mul_hi_u32 v7, s22, v9
	v_sub_u32_e32 v3, v5, v3
	v_add_u32_e32 v5, v9, v7
	v_mul_lo_u32 v7, v3, s8
	v_mul_lo_u32 v8, v3, s9
	v_lshrrev_b32_e32 v3, s23, v5
	s_add_i32 s36, s36, 4
	v_mul_lo_u32 v5, v3, s21
	s_add_u32 s2, s2, 32
	v_sub_u32_e32 v5, v9, v5
	s_addc_u32 s3, s3, 0
	v_mul_lo_u32 v9, v5, s10
	v_mul_lo_u32 v5, v5, s11
	s_cmp_lg_u32 s30, s36
	v_add3_u32 v8, v8, v1, v5
	v_add3_u32 v0, v7, v0, v9
	s_cbranch_scc1 .LBB161_1137
; %bb.1138:
	v_mov_b32_e32 v1, v8
	s_and_b32 s6, s31, 3
	s_cmp_eq_u32 s6, 0
	s_cbranch_scc0 .LBB161_1142
	s_branch .LBB161_1144
.LBB161_1139:
                                        ; implicit-def: $vgpr8
                                        ; implicit-def: $vgpr0
	s_branch .LBB161_1145
.LBB161_1140:
	v_mov_b32_e32 v8, 0
	v_mov_b32_e32 v0, 0
	s_branch .LBB161_1144
.LBB161_1141:
	v_mov_b32_e32 v0, 0
                                        ; implicit-def: $vgpr8
	s_waitcnt vmcnt(0)
	v_mov_b32_e32 v1, v0
	v_mov_b32_e32 v3, v16
	s_and_b32 s6, s31, 3
	s_cmp_eq_u32 s6, 0
	s_cbranch_scc1 .LBB161_1144
.LBB161_1142:
	s_lshl_b32 s2, s30, 3
	s_add_u32 s2, s34, s2
	s_addc_u32 s3, s35, 0
	s_add_u32 s2, s2, 0xc4
	s_addc_u32 s3, s3, 0
	s_mul_i32 s4, s30, 12
	s_add_u32 s4, s34, s4
	s_addc_u32 s5, s35, 0
.LBB161_1143:                           ; =>This Inner Loop Header: Depth=1
	s_load_dwordx2 s[8:9], s[4:5], 0x4
	s_load_dword s7, s[4:5], 0xc
	s_load_dwordx2 s[10:11], s[2:3], 0x0
	v_mov_b32_e32 v8, v1
	s_add_u32 s4, s4, 12
	s_waitcnt lgkmcnt(0)
	v_mul_hi_u32 v1, s9, v3
	v_add_u32_e32 v1, v3, v1
	v_lshrrev_b32_e32 v1, s7, v1
	s_addc_u32 s5, s5, 0
	v_mul_lo_u32 v5, v1, s8
	s_add_u32 s2, s2, 8
	v_sub_u32_e32 v5, v3, v5
	s_addc_u32 s3, s3, 0
	s_add_i32 s6, s6, -1
	v_mov_b32_e32 v3, v1
	v_mad_u64_u32 v[8:9], s[8:9], v5, s11, v[8:9]
	v_mad_u64_u32 v[0:1], s[8:9], v5, s10, v[0:1]
	s_cmp_lg_u32 s6, 0
	v_mov_b32_e32 v1, v8
	s_cbranch_scc1 .LBB161_1143
.LBB161_1144:
	s_cbranch_execnz .LBB161_1147
.LBB161_1145:
	s_load_dwordx4 s[4:7], s[34:35], 0x4
	s_load_dwordx2 s[2:3], s[34:35], 0xc4
	s_cmp_lt_u32 s33, 2
	s_waitcnt lgkmcnt(0)
	v_mul_hi_u32 v0, s5, v16
	v_add_u32_e32 v0, v16, v0
	s_waitcnt vmcnt(0)
	v_lshrrev_b32_e32 v1, s6, v0
	v_mul_lo_u32 v0, v1, s4
	v_sub_u32_e32 v0, v16, v0
	v_mul_lo_u32 v8, v0, s3
	v_mul_lo_u32 v0, v0, s2
	s_cbranch_scc1 .LBB161_1147
; %bb.1146:
	s_load_dwordx4 s[4:7], s[34:35], 0x10
	s_load_dwordx2 s[2:3], s[34:35], 0xcc
	s_waitcnt lgkmcnt(0)
	v_mul_hi_u32 v3, s5, v1
	v_add_u32_e32 v3, v1, v3
	v_lshrrev_b32_e32 v3, s6, v3
	v_mul_lo_u32 v3, v3, s4
	v_sub_u32_e32 v3, v1, v3
	v_mad_u64_u32 v[0:1], s[4:5], v3, s2, v[0:1]
	v_mad_u64_u32 v[8:9], s[2:3], v3, s3, v[8:9]
.LBB161_1147:
	s_load_dword s16, s[0:1], 0x160
	s_load_dwordx4 s[4:7], s[34:35], 0x148
	v_mov_b32_e32 v15, 0
	s_waitcnt lgkmcnt(0)
	s_bfe_u32 s14, s16, 0x80010
	s_cmp_lt_i32 s14, 11
	v_lshl_add_u64 v[14:15], s[6:7], 0, v[14:15]
	s_cbranch_scc1 .LBB161_1154
; %bb.1148:
	s_and_b32 s15, 0xffff, s14
	s_cmp_gt_i32 s15, 25
	s_mov_b64 s[8:9], 0
	s_cbranch_scc0 .LBB161_1156
; %bb.1149:
	s_cmp_gt_i32 s15, 28
	s_cbranch_scc0 .LBB161_1157
; %bb.1150:
	s_cmp_gt_i32 s15, 43
	;; [unrolled: 3-line block ×3, first 2 shown]
	s_cbranch_scc0 .LBB161_1159
; %bb.1152:
	s_cmp_eq_u32 s15, 46
	s_mov_b64 s[2:3], 0
	s_cbranch_scc0 .LBB161_1162
; %bb.1153:
	global_load_dword v1, v[14:15], off
	s_mov_b64 s[0:1], 0
	s_mov_b64 s[10:11], -1
	s_waitcnt vmcnt(0)
	v_lshlrev_b32_e32 v1, 16, v1
	v_cvt_f16_f32_e32 v1, v1
	s_branch .LBB161_1163
.LBB161_1154:
	s_mov_b64 s[10:11], 0
                                        ; implicit-def: $vgpr1
	s_mov_b64 s[2:3], s[24:25]
	s_cbranch_execnz .LBB161_1226
.LBB161_1155:
	s_andn2_b64 vcc, exec, s[10:11]
	s_cbranch_vccz .LBB161_1271
	s_branch .LBB161_2092
.LBB161_1156:
	s_mov_b64 s[10:11], 0
	s_mov_b64 s[0:1], 0
                                        ; implicit-def: $vgpr1
	s_cbranch_execnz .LBB161_1191
	s_branch .LBB161_1222
.LBB161_1157:
	s_mov_b64 s[2:3], -1
	s_mov_b64 s[10:11], 0
	s_mov_b64 s[0:1], 0
                                        ; implicit-def: $vgpr1
	s_branch .LBB161_1172
.LBB161_1158:
	s_mov_b64 s[10:11], 0
	s_mov_b64 s[0:1], 0
                                        ; implicit-def: $vgpr1
	s_cbranch_execnz .LBB161_1168
	s_branch .LBB161_1171
.LBB161_1159:
	s_mov_b64 s[2:3], -1
	s_mov_b64 s[10:11], 0
	s_mov_b64 s[0:1], 0
                                        ; implicit-def: $vgpr1
	s_branch .LBB161_1163
.LBB161_1160:
	s_andn2_saveexec_b64 s[12:13], s[12:13]
	s_cbranch_execz .LBB161_1003
.LBB161_1161:
	s_mov_b32 s14, 0x46000000
	v_add_f32_e64 v1, |v0|, s14
	v_and_b32_e32 v1, 0xff, v1
	v_cmp_ne_u32_e32 vcc, 0, v1
	s_andn2_b64 s[10:11], s[10:11], exec
	s_and_b64 s[14:15], vcc, exec
	s_or_b64 s[10:11], s[10:11], s[14:15]
	s_or_b64 exec, exec, s[12:13]
	v_mov_b32_e32 v5, 0
	s_and_saveexec_b64 s[12:13], s[10:11]
	s_cbranch_execnz .LBB161_1004
	s_branch .LBB161_1005
.LBB161_1162:
	s_mov_b64 s[0:1], -1
                                        ; implicit-def: $vgpr1
	s_mov_b64 s[10:11], 0
.LBB161_1163:
	s_and_b64 vcc, exec, s[2:3]
	s_cbranch_vccz .LBB161_1166
; %bb.1164:
	s_cmp_eq_u32 s15, 44
	s_cbranch_scc0 .LBB161_1167
; %bb.1165:
	global_load_ubyte v1, v[14:15], off
	s_movk_i32 s2, 0xff
	v_mov_b32_e32 v5, 0x7e00
	s_mov_b64 s[0:1], 0
	s_mov_b64 s[10:11], -1
	s_waitcnt vmcnt(0)
	v_lshlrev_b32_e32 v3, 23, v1
	v_cvt_f16_f32_e32 v3, v3
	v_cmp_ne_u32_e32 vcc, s2, v1
	s_nop 1
	v_cndmask_b32_e32 v3, v5, v3, vcc
	v_cmp_ne_u32_e32 vcc, 0, v1
	s_nop 1
	v_cndmask_b32_e32 v1, 0, v3, vcc
.LBB161_1166:
	s_branch .LBB161_1171
.LBB161_1167:
	s_mov_b64 s[0:1], -1
                                        ; implicit-def: $vgpr1
	s_branch .LBB161_1171
.LBB161_1168:
	s_cmp_eq_u32 s15, 29
	s_cbranch_scc0 .LBB161_1170
; %bb.1169:
	global_load_dwordx2 v[16:17], v[14:15], off
	s_mov_b64 s[0:1], 0
	s_mov_b64 s[10:11], -1
	s_mov_b64 s[2:3], 0
	s_waitcnt vmcnt(0)
	v_ffbh_u32_e32 v1, v17
	v_min_u32_e32 v1, 32, v1
	v_lshlrev_b64 v[16:17], v1, v[16:17]
	v_min_u32_e32 v3, 1, v16
	v_or_b32_e32 v3, v17, v3
	v_cvt_f32_u32_e32 v3, v3
	v_sub_u32_e32 v1, 32, v1
	v_ldexp_f32 v1, v3, v1
	v_cvt_f16_f32_e32 v1, v1
	s_branch .LBB161_1172
.LBB161_1170:
	s_mov_b64 s[0:1], -1
                                        ; implicit-def: $vgpr1
.LBB161_1171:
	s_mov_b64 s[2:3], 0
.LBB161_1172:
	s_and_b64 vcc, exec, s[2:3]
	s_cbranch_vccz .LBB161_1190
; %bb.1173:
	s_cmp_lt_i32 s15, 27
	s_cbranch_scc1 .LBB161_1176
; %bb.1174:
	s_cmp_gt_i32 s15, 27
	s_cbranch_scc0 .LBB161_1177
; %bb.1175:
	global_load_dword v1, v[14:15], off
	s_mov_b64 s[2:3], 0
	s_waitcnt vmcnt(0)
	v_cvt_f32_u32_e32 v1, v1
	v_cvt_f16_f32_e32 v1, v1
	s_branch .LBB161_1178
.LBB161_1176:
	s_mov_b64 s[2:3], -1
                                        ; implicit-def: $vgpr1
	s_branch .LBB161_1181
.LBB161_1177:
	s_mov_b64 s[2:3], -1
                                        ; implicit-def: $vgpr1
.LBB161_1178:
	s_andn2_b64 vcc, exec, s[2:3]
	s_cbranch_vccnz .LBB161_1180
; %bb.1179:
	global_load_ushort v1, v[14:15], off
	s_waitcnt vmcnt(0)
	v_cvt_f16_u16_e32 v1, v1
.LBB161_1180:
	s_mov_b64 s[2:3], 0
.LBB161_1181:
	s_andn2_b64 vcc, exec, s[2:3]
	s_cbranch_vccnz .LBB161_1189
; %bb.1182:
	global_load_ubyte v3, v[14:15], off
	s_movk_i32 s2, 0x7f
	s_waitcnt vmcnt(0)
	v_cmp_lt_i16_e32 vcc, s2, v3
	s_mov_b64 s[2:3], 0
	s_and_saveexec_b64 s[10:11], vcc
	s_xor_b64 s[10:11], exec, s[10:11]
	s_cbranch_execz .LBB161_1202
; %bb.1183:
	s_movk_i32 s2, 0x80
	v_cmp_eq_u16_e32 vcc, s2, v3
	s_mov_b64 s[2:3], -1
	s_and_saveexec_b64 s[12:13], vcc
; %bb.1184:
	s_xor_b64 s[2:3], exec, -1
; %bb.1185:
	s_or_b64 exec, exec, s[12:13]
	s_and_b64 s[2:3], s[2:3], exec
	s_or_saveexec_b64 s[10:11], s[10:11]
	v_mov_b32_e32 v1, 0x7e00
	s_xor_b64 exec, exec, s[10:11]
	s_cbranch_execnz .LBB161_1203
.LBB161_1186:
	s_or_b64 exec, exec, s[10:11]
	s_and_saveexec_b64 s[10:11], s[2:3]
	s_cbranch_execz .LBB161_1188
.LBB161_1187:
	v_lshlrev_b32_e32 v1, 24, v3
	v_and_b32_e32 v3, 0xffff, v3
	v_and_b32_e32 v5, 7, v3
	v_ffbh_u32_e32 v9, v5
	v_min_u32_e32 v9, 32, v9
	v_subrev_u32_e32 v11, 28, v9
	v_bfe_u32 v7, v3, 3, 4
	v_lshlrev_b32_e32 v3, v11, v3
	v_sub_u32_e32 v9, 29, v9
	v_and_b32_e32 v3, 7, v3
	v_cmp_eq_u32_e32 vcc, 0, v7
	v_and_b32_e32 v1, 0x80000000, v1
	s_nop 0
	v_cndmask_b32_e32 v7, v7, v9, vcc
	v_cndmask_b32_e32 v3, v5, v3, vcc
	v_mov_b32_e32 v5, 0x3b800000
	v_lshlrev_b32_e32 v3, 20, v3
	v_lshl_add_u32 v5, v7, 23, v5
	v_or3_b32 v1, v1, v5, v3
	v_cvt_f16_f32_e32 v1, v1
.LBB161_1188:
	s_or_b64 exec, exec, s[10:11]
.LBB161_1189:
	s_mov_b64 s[10:11], -1
.LBB161_1190:
	s_branch .LBB161_1222
.LBB161_1191:
	s_cmp_gt_i32 s15, 22
	s_cbranch_scc0 .LBB161_1201
; %bb.1192:
	s_cmp_lt_i32 s15, 24
	s_cbranch_scc1 .LBB161_1204
; %bb.1193:
	s_cmp_gt_i32 s15, 24
	s_cbranch_scc0 .LBB161_1205
; %bb.1194:
	global_load_ubyte v3, v[14:15], off
	s_movk_i32 s2, 0x7f
	s_waitcnt vmcnt(0)
	v_cmp_lt_i16_e32 vcc, s2, v3
	s_mov_b64 s[2:3], 0
	s_and_saveexec_b64 s[8:9], vcc
	s_xor_b64 s[8:9], exec, s[8:9]
	s_cbranch_execz .LBB161_1216
; %bb.1195:
	s_movk_i32 s2, 0x80
	v_cmp_eq_u16_e32 vcc, s2, v3
	s_mov_b64 s[2:3], -1
	s_and_saveexec_b64 s[10:11], vcc
; %bb.1196:
	s_xor_b64 s[2:3], exec, -1
; %bb.1197:
	s_or_b64 exec, exec, s[10:11]
	s_and_b64 s[2:3], s[2:3], exec
	s_or_saveexec_b64 s[8:9], s[8:9]
	v_mov_b32_e32 v1, 0x7e00
	s_xor_b64 exec, exec, s[8:9]
	s_cbranch_execnz .LBB161_1217
.LBB161_1198:
	s_or_b64 exec, exec, s[8:9]
	s_and_saveexec_b64 s[8:9], s[2:3]
	s_cbranch_execz .LBB161_1200
.LBB161_1199:
	v_lshlrev_b32_e32 v1, 24, v3
	v_and_b32_e32 v3, 0xffff, v3
	v_and_b32_e32 v5, 3, v3
	v_ffbh_u32_e32 v9, v5
	v_min_u32_e32 v9, 32, v9
	v_subrev_u32_e32 v11, 29, v9
	v_bfe_u32 v7, v3, 2, 5
	v_lshlrev_b32_e32 v3, v11, v3
	v_sub_u32_e32 v9, 30, v9
	v_and_b32_e32 v3, 3, v3
	v_cmp_eq_u32_e32 vcc, 0, v7
	v_and_b32_e32 v1, 0x80000000, v1
	s_nop 0
	v_cndmask_b32_e32 v7, v7, v9, vcc
	v_cndmask_b32_e32 v3, v5, v3, vcc
	v_mov_b32_e32 v5, 0x37800000
	v_lshlrev_b32_e32 v3, 21, v3
	v_lshl_add_u32 v5, v7, 23, v5
	v_or3_b32 v1, v1, v5, v3
	v_cvt_f16_f32_e32 v1, v1
.LBB161_1200:
	s_or_b64 exec, exec, s[8:9]
	s_mov_b64 s[2:3], 0
	s_branch .LBB161_1206
.LBB161_1201:
                                        ; implicit-def: $vgpr1
	s_mov_b64 s[8:9], 0
	s_branch .LBB161_1212
.LBB161_1202:
	s_or_saveexec_b64 s[10:11], s[10:11]
	v_mov_b32_e32 v1, 0x7e00
	s_xor_b64 exec, exec, s[10:11]
	s_cbranch_execz .LBB161_1186
.LBB161_1203:
	v_cmp_ne_u16_e32 vcc, 0, v3
	s_andn2_b64 s[2:3], s[2:3], exec
	s_and_b64 s[12:13], vcc, exec
	s_or_b64 s[2:3], s[2:3], s[12:13]
	v_mov_b32_e32 v1, v3
	s_or_b64 exec, exec, s[10:11]
	s_and_saveexec_b64 s[10:11], s[2:3]
	s_cbranch_execnz .LBB161_1187
	s_branch .LBB161_1188
.LBB161_1204:
	s_mov_b64 s[2:3], -1
                                        ; implicit-def: $vgpr1
	s_branch .LBB161_1209
.LBB161_1205:
	s_mov_b64 s[2:3], -1
                                        ; implicit-def: $vgpr1
.LBB161_1206:
	s_and_b64 vcc, exec, s[2:3]
	s_cbranch_vccz .LBB161_1208
; %bb.1207:
	global_load_ubyte v1, v[14:15], off
	s_mov_b32 s2, 0x7f800000
	s_waitcnt vmcnt(0)
	v_lshlrev_b32_e32 v1, 24, v1
	v_and_b32_e32 v3, 0x7f000000, v1
	v_ffbh_u32_e32 v5, v3
	v_min_u32_e32 v5, 32, v5
	v_sub_u32_e64 v5, v5, 4 clamp
	v_lshlrev_b32_e32 v9, v5, v3
	v_lshlrev_b32_e32 v5, 23, v5
	v_lshrrev_b32_e32 v9, 4, v9
	v_add_u32_e32 v7, 0x1000000, v3
	v_sub_u32_e32 v5, v9, v5
	v_ashrrev_i32_e32 v7, 8, v7
	v_add_u32_e32 v5, 0x3c000000, v5
	v_and_or_b32 v5, v7, s2, v5
	v_cmp_ne_u32_e32 vcc, 0, v3
	s_brev_b32 s2, 1
	s_nop 0
	v_cndmask_b32_e32 v3, 0, v5, vcc
	v_and_or_b32 v1, v1, s2, v3
	v_cvt_f16_f32_e32 v1, v1
.LBB161_1208:
	s_mov_b64 s[2:3], 0
.LBB161_1209:
	s_andn2_b64 vcc, exec, s[2:3]
	s_cbranch_vccnz .LBB161_1211
; %bb.1210:
	global_load_ubyte v1, v[14:15], off
	s_movk_i32 s2, 0x7f00
	s_brev_b32 s3, 16
	s_waitcnt vmcnt(0)
	v_lshlrev_b16_e32 v3, 8, v1
	v_lshlrev_b32_e32 v1, 25, v1
	v_lshrrev_b32_e32 v5, 4, v1
	v_and_or_b32 v7, v3, s2, 0.5
	v_or_b32_e32 v5, 0x70000000, v5
	v_add_f32_e32 v7, -0.5, v7
	v_mul_f32_e32 v5, 0x7800000, v5
	v_cmp_gt_u32_e32 vcc, s3, v1
	v_bfe_i32 v3, v3, 0, 16
	s_brev_b32 s2, 1
	v_cndmask_b32_e32 v1, v5, v7, vcc
	v_and_or_b32 v1, v3, s2, v1
	v_cvt_f16_f32_e32 v1, v1
.LBB161_1211:
	s_mov_b64 s[10:11], -1
	s_mov_b64 s[8:9], 0
	s_cbranch_execnz .LBB161_1222
.LBB161_1212:
	s_cmp_gt_i32 s15, 14
	s_cbranch_scc0 .LBB161_1215
; %bb.1213:
	s_cmp_eq_u32 s15, 15
	s_cbranch_scc0 .LBB161_1218
; %bb.1214:
	global_load_ushort v1, v[14:15], off
	s_mov_b64 s[0:1], 0
	s_mov_b64 s[10:11], -1
	s_waitcnt vmcnt(0)
	v_lshlrev_b32_e32 v1, 16, v1
	v_cvt_f16_f32_e32 v1, v1
	s_branch .LBB161_1219
.LBB161_1215:
	s_mov_b64 s[2:3], -1
                                        ; implicit-def: $vgpr1
	s_branch .LBB161_1220
.LBB161_1216:
	s_or_saveexec_b64 s[8:9], s[8:9]
	v_mov_b32_e32 v1, 0x7e00
	s_xor_b64 exec, exec, s[8:9]
	s_cbranch_execz .LBB161_1198
.LBB161_1217:
	v_cmp_ne_u16_e32 vcc, 0, v3
	s_andn2_b64 s[2:3], s[2:3], exec
	s_and_b64 s[10:11], vcc, exec
	s_or_b64 s[2:3], s[2:3], s[10:11]
	v_mov_b32_e32 v1, v3
	s_or_b64 exec, exec, s[8:9]
	s_and_saveexec_b64 s[8:9], s[2:3]
	s_cbranch_execnz .LBB161_1199
	s_branch .LBB161_1200
.LBB161_1218:
	s_mov_b64 s[0:1], -1
                                        ; implicit-def: $vgpr1
.LBB161_1219:
	s_mov_b64 s[2:3], 0
.LBB161_1220:
	s_and_b64 vcc, exec, s[2:3]
	s_cbranch_vccz .LBB161_1222
; %bb.1221:
	s_cmp_lg_u32 s15, 11
	s_mov_b64 s[8:9], -1
	s_cselect_b64 s[0:1], -1, 0
.LBB161_1222:
	s_and_b64 vcc, exec, s[0:1]
	s_mov_b64 s[2:3], s[24:25]
	s_cbranch_vccnz .LBB161_1283
; %bb.1223:
	s_andn2_b64 vcc, exec, s[8:9]
	s_cbranch_vccnz .LBB161_1225
.LBB161_1224:
	global_load_ubyte v1, v[14:15], off
	v_mov_b32_e32 v3, 0x3c00
	s_mov_b64 s[10:11], -1
	s_waitcnt vmcnt(0)
	v_cmp_ne_u16_e32 vcc, 0, v1
	s_nop 1
	v_cndmask_b32_e32 v1, 0, v3, vcc
.LBB161_1225:
	s_branch .LBB161_1155
.LBB161_1226:
	s_and_b32 s8, 0xffff, s14
	s_cmp_lt_i32 s8, 5
	s_cbranch_scc1 .LBB161_1231
; %bb.1227:
	s_cmp_lt_i32 s8, 8
	s_cbranch_scc1 .LBB161_1232
; %bb.1228:
	;; [unrolled: 3-line block ×3, first 2 shown]
	s_cmp_gt_i32 s8, 9
	s_cbranch_scc0 .LBB161_1234
; %bb.1230:
	global_load_dwordx2 v[16:17], v[14:15], off
	s_movk_i32 s0, 0x1ff
	s_movk_i32 s1, 0xffe
	s_waitcnt vmcnt(1)
	v_mov_b32_e32 v1, 0x7c00
	v_mov_b32_e32 v3, 0x7e00
	s_movk_i32 s9, 0x40f
	s_mov_b32 s10, 0x8000
	s_waitcnt vmcnt(0)
	v_and_or_b32 v5, v17, s0, v16
	v_cmp_ne_u32_e32 vcc, 0, v5
	v_lshrrev_b32_e32 v7, 8, v17
	v_bfe_u32 v9, v17, 20, 11
	v_cndmask_b32_e64 v5, 0, 1, vcc
	v_sub_u32_e32 v13, 0x3f1, v9
	v_and_or_b32 v5, v7, s1, v5
	v_add_u32_e32 v9, 0xfffffc10, v9
	v_med3_i32 v7, v13, 0, 13
	v_or_b32_e32 v13, 0x1000, v5
	v_lshl_or_b32 v16, v9, 12, v5
	v_cmp_ne_u32_e32 vcc, 0, v5
	v_lshrrev_b32_e32 v5, v7, v13
	v_lshlrev_b32_e32 v7, v7, v5
	v_cndmask_b32_e32 v3, v1, v3, vcc
	v_cmp_ne_u32_e32 vcc, v7, v13
	v_lshrrev_b32_e32 v11, 16, v17
	s_mov_b64 s[0:1], 0
	v_cndmask_b32_e64 v7, 0, 1, vcc
	v_or_b32_e32 v5, v5, v7
	v_cmp_gt_i32_e32 vcc, 1, v9
	s_nop 1
	v_cndmask_b32_e32 v5, v16, v5, vcc
	v_and_b32_e32 v7, 7, v5
	v_cmp_lt_i32_e32 vcc, 5, v7
	v_lshrrev_b32_e32 v5, 2, v5
	s_nop 0
	v_cndmask_b32_e64 v13, 0, 1, vcc
	v_cmp_eq_u32_e32 vcc, 3, v7
	s_nop 1
	v_cndmask_b32_e64 v7, 0, 1, vcc
	v_or_b32_e32 v7, v7, v13
	v_add_u32_e32 v5, v5, v7
	v_cmp_gt_i32_e32 vcc, 31, v9
	s_nop 1
	v_cndmask_b32_e32 v1, v1, v5, vcc
	v_cmp_eq_u32_e32 vcc, s9, v9
	s_nop 1
	v_cndmask_b32_e32 v1, v1, v3, vcc
	v_and_or_b32 v1, v11, s10, v1
	s_branch .LBB161_1235
.LBB161_1231:
                                        ; implicit-def: $vgpr1
	s_branch .LBB161_1252
.LBB161_1232:
                                        ; implicit-def: $vgpr1
	s_branch .LBB161_1241
.LBB161_1233:
	s_mov_b64 s[0:1], -1
                                        ; implicit-def: $vgpr1
	s_branch .LBB161_1238
.LBB161_1234:
	s_mov_b64 s[0:1], -1
                                        ; implicit-def: $vgpr1
.LBB161_1235:
	s_andn2_b64 vcc, exec, s[0:1]
	s_cbranch_vccnz .LBB161_1237
; %bb.1236:
	global_load_dword v1, v[14:15], off
	s_waitcnt vmcnt(0)
	v_cvt_f16_f32_e32 v1, v1
.LBB161_1237:
	s_mov_b64 s[0:1], 0
.LBB161_1238:
	s_andn2_b64 vcc, exec, s[0:1]
	s_cbranch_vccnz .LBB161_1240
; %bb.1239:
	global_load_dword v1, v[14:15], off
.LBB161_1240:
	s_cbranch_execnz .LBB161_1251
.LBB161_1241:
	s_cmp_lt_i32 s8, 6
	s_cbranch_scc1 .LBB161_1244
; %bb.1242:
	s_cmp_gt_i32 s8, 6
	s_cbranch_scc0 .LBB161_1245
; %bb.1243:
	global_load_dwordx2 v[16:17], v[14:15], off
	s_movk_i32 s0, 0x1ff
	s_movk_i32 s1, 0xffe
	s_waitcnt vmcnt(1)
	v_mov_b32_e32 v1, 0x7c00
	v_mov_b32_e32 v3, 0x7e00
	s_movk_i32 s9, 0x40f
	s_mov_b32 s10, 0x8000
	s_waitcnt vmcnt(0)
	v_and_or_b32 v5, v17, s0, v16
	v_cmp_ne_u32_e32 vcc, 0, v5
	v_lshrrev_b32_e32 v7, 8, v17
	v_bfe_u32 v9, v17, 20, 11
	v_cndmask_b32_e64 v5, 0, 1, vcc
	v_sub_u32_e32 v13, 0x3f1, v9
	v_and_or_b32 v5, v7, s1, v5
	v_add_u32_e32 v9, 0xfffffc10, v9
	v_med3_i32 v7, v13, 0, 13
	v_or_b32_e32 v13, 0x1000, v5
	v_lshl_or_b32 v16, v9, 12, v5
	v_cmp_ne_u32_e32 vcc, 0, v5
	v_lshrrev_b32_e32 v5, v7, v13
	v_lshlrev_b32_e32 v7, v7, v5
	v_cndmask_b32_e32 v3, v1, v3, vcc
	v_cmp_ne_u32_e32 vcc, v7, v13
	v_lshrrev_b32_e32 v11, 16, v17
	s_mov_b64 s[0:1], 0
	v_cndmask_b32_e64 v7, 0, 1, vcc
	v_or_b32_e32 v5, v5, v7
	v_cmp_gt_i32_e32 vcc, 1, v9
	s_nop 1
	v_cndmask_b32_e32 v5, v16, v5, vcc
	v_and_b32_e32 v7, 7, v5
	v_cmp_lt_i32_e32 vcc, 5, v7
	v_lshrrev_b32_e32 v5, 2, v5
	s_nop 0
	v_cndmask_b32_e64 v13, 0, 1, vcc
	v_cmp_eq_u32_e32 vcc, 3, v7
	s_nop 1
	v_cndmask_b32_e64 v7, 0, 1, vcc
	v_or_b32_e32 v7, v7, v13
	v_add_u32_e32 v5, v5, v7
	v_cmp_gt_i32_e32 vcc, 31, v9
	s_nop 1
	v_cndmask_b32_e32 v1, v1, v5, vcc
	v_cmp_eq_u32_e32 vcc, s9, v9
	s_nop 1
	v_cndmask_b32_e32 v1, v1, v3, vcc
	v_and_or_b32 v1, v11, s10, v1
	s_branch .LBB161_1246
.LBB161_1244:
	s_mov_b64 s[0:1], -1
                                        ; implicit-def: $vgpr1
	s_branch .LBB161_1249
.LBB161_1245:
	s_mov_b64 s[0:1], -1
                                        ; implicit-def: $vgpr1
.LBB161_1246:
	s_andn2_b64 vcc, exec, s[0:1]
	s_cbranch_vccnz .LBB161_1248
; %bb.1247:
	global_load_dword v1, v[14:15], off
	s_waitcnt vmcnt(0)
	v_cvt_f16_f32_e32 v1, v1
.LBB161_1248:
	s_mov_b64 s[0:1], 0
.LBB161_1249:
	s_andn2_b64 vcc, exec, s[0:1]
	s_cbranch_vccnz .LBB161_1251
; %bb.1250:
	global_load_ushort v1, v[14:15], off
.LBB161_1251:
	s_cbranch_execnz .LBB161_1270
.LBB161_1252:
	s_cmp_lt_i32 s8, 2
	s_cbranch_scc1 .LBB161_1256
; %bb.1253:
	s_cmp_lt_i32 s8, 3
	s_cbranch_scc1 .LBB161_1257
; %bb.1254:
	s_cmp_gt_i32 s8, 3
	s_cbranch_scc0 .LBB161_1258
; %bb.1255:
	global_load_dwordx2 v[16:17], v[14:15], off
	s_mov_b64 s[0:1], 0
	s_waitcnt vmcnt(0)
	v_xor_b32_e32 v3, v16, v17
	v_ffbh_i32_e32 v1, v17
	v_ashrrev_i32_e32 v3, 31, v3
	v_add_u32_e32 v1, -1, v1
	v_add_u32_e32 v3, 32, v3
	v_min_u32_e32 v1, v1, v3
	v_lshlrev_b64 v[16:17], v1, v[16:17]
	v_min_u32_e32 v3, 1, v16
	v_or_b32_e32 v3, v17, v3
	v_cvt_f32_i32_e32 v3, v3
	v_sub_u32_e32 v1, 32, v1
	v_ldexp_f32 v1, v3, v1
	v_cvt_f16_f32_e32 v1, v1
	s_branch .LBB161_1259
.LBB161_1256:
                                        ; implicit-def: $vgpr1
	s_branch .LBB161_1265
.LBB161_1257:
	s_mov_b64 s[0:1], -1
                                        ; implicit-def: $vgpr1
	s_branch .LBB161_1262
.LBB161_1258:
	s_mov_b64 s[0:1], -1
                                        ; implicit-def: $vgpr1
.LBB161_1259:
	s_andn2_b64 vcc, exec, s[0:1]
	s_cbranch_vccnz .LBB161_1261
; %bb.1260:
	global_load_dword v1, v[14:15], off
	s_waitcnt vmcnt(0)
	v_cvt_f32_i32_e32 v1, v1
	v_cvt_f16_f32_e32 v1, v1
.LBB161_1261:
	s_mov_b64 s[0:1], 0
.LBB161_1262:
	s_andn2_b64 vcc, exec, s[0:1]
	s_cbranch_vccnz .LBB161_1264
; %bb.1263:
	global_load_ushort v1, v[14:15], off
	s_waitcnt vmcnt(0)
	v_cvt_f16_i16_e32 v1, v1
.LBB161_1264:
	s_cbranch_execnz .LBB161_1270
.LBB161_1265:
	s_cmp_gt_i32 s8, 0
	s_cbranch_scc0 .LBB161_1267
; %bb.1266:
	global_load_sbyte v1, v[14:15], off
	s_mov_b64 s[0:1], 0
	s_waitcnt vmcnt(0)
	v_cvt_f16_i16_e32 v1, v1
	s_branch .LBB161_1268
.LBB161_1267:
	s_mov_b64 s[0:1], -1
                                        ; implicit-def: $vgpr1
.LBB161_1268:
	s_andn2_b64 vcc, exec, s[0:1]
	s_cbranch_vccnz .LBB161_1270
; %bb.1269:
	global_load_ubyte v1, v[14:15], off
	s_waitcnt vmcnt(0)
	v_cvt_f16_u16_e32 v1, v1
.LBB161_1270:
.LBB161_1271:
	s_lshr_b32 s0, s16, 16
	v_mov_b32_e32 v13, 0
	s_and_b32 s17, s0, 0xff
	s_cmp_lt_i32 s17, 11
	v_lshl_add_u64 v[12:13], s[6:7], 0, v[12:13]
	s_cbranch_scc1 .LBB161_1278
; %bb.1272:
	s_and_b32 s18, 0xffff, s17
	s_cmp_gt_i32 s18, 25
	s_mov_b64 s[8:9], 0
	s_cbranch_scc0 .LBB161_1280
; %bb.1273:
	s_cmp_gt_i32 s18, 28
	s_cbranch_scc0 .LBB161_1281
; %bb.1274:
	s_cmp_gt_i32 s18, 43
	;; [unrolled: 3-line block ×3, first 2 shown]
	s_cbranch_scc0 .LBB161_1284
; %bb.1276:
	s_cmp_eq_u32 s18, 46
	s_mov_b64 s[12:13], 0
	s_cbranch_scc0 .LBB161_1287
; %bb.1277:
	global_load_dword v3, v[12:13], off
	s_mov_b64 s[0:1], 0
	s_mov_b64 s[10:11], -1
	s_waitcnt vmcnt(0)
	v_lshlrev_b32_e32 v3, 16, v3
	v_cvt_f16_f32_e32 v3, v3
	s_branch .LBB161_1288
.LBB161_1278:
	s_mov_b64 s[10:11], 0
                                        ; implicit-def: $vgpr3
	s_cbranch_execnz .LBB161_1353
.LBB161_1279:
	s_andn2_b64 vcc, exec, s[10:11]
	s_cbranch_vccnz .LBB161_2092
	s_branch .LBB161_1400
.LBB161_1280:
	s_mov_b64 s[10:11], 0
	s_mov_b64 s[0:1], 0
                                        ; implicit-def: $vgpr3
	s_cbranch_execnz .LBB161_1317
	s_branch .LBB161_1349
.LBB161_1281:
	s_mov_b64 s[12:13], -1
	s_mov_b64 s[10:11], 0
	s_mov_b64 s[0:1], 0
                                        ; implicit-def: $vgpr3
	s_branch .LBB161_1298
.LBB161_1282:
	s_mov_b64 s[12:13], -1
	s_mov_b64 s[10:11], 0
	s_mov_b64 s[0:1], 0
                                        ; implicit-def: $vgpr3
	s_branch .LBB161_1293
.LBB161_1283:
	s_or_b64 s[2:3], s[24:25], exec
	s_trap 2
	s_cbranch_execz .LBB161_1224
	s_branch .LBB161_1225
.LBB161_1284:
	s_mov_b64 s[12:13], -1
	s_mov_b64 s[10:11], 0
	s_mov_b64 s[0:1], 0
                                        ; implicit-def: $vgpr3
	s_branch .LBB161_1288
.LBB161_1285:
	s_andn2_saveexec_b64 s[14:15], s[14:15]
	s_cbranch_execz .LBB161_1015
.LBB161_1286:
	s_mov_b32 s18, 0x42800000
	v_add_f32_e64 v1, |v0|, s18
	v_and_b32_e32 v1, 0xff, v1
	v_cmp_ne_u32_e32 vcc, 0, v1
	s_andn2_b64 s[12:13], s[12:13], exec
	s_and_b64 s[18:19], vcc, exec
	s_or_b64 s[12:13], s[12:13], s[18:19]
	s_or_b64 exec, exec, s[14:15]
	v_mov_b32_e32 v5, 0
	s_and_saveexec_b64 s[14:15], s[12:13]
	s_cbranch_execnz .LBB161_1016
	s_branch .LBB161_1017
.LBB161_1287:
	s_mov_b64 s[0:1], -1
                                        ; implicit-def: $vgpr3
	s_mov_b64 s[10:11], 0
.LBB161_1288:
	s_and_b64 vcc, exec, s[12:13]
	s_cbranch_vccz .LBB161_1292
; %bb.1289:
	s_cmp_eq_u32 s18, 44
	s_cbranch_scc0 .LBB161_1291
; %bb.1290:
	global_load_ubyte v3, v[12:13], off
	s_movk_i32 s10, 0xff
	v_mov_b32_e32 v7, 0x7e00
	s_mov_b64 s[0:1], 0
	s_waitcnt vmcnt(0)
	v_lshlrev_b32_e32 v5, 23, v3
	v_cvt_f16_f32_e32 v5, v5
	v_cmp_ne_u32_e32 vcc, s10, v3
	s_mov_b64 s[10:11], -1
	s_nop 0
	v_cndmask_b32_e32 v5, v7, v5, vcc
	v_cmp_ne_u32_e32 vcc, 0, v3
	s_nop 1
	v_cndmask_b32_e32 v3, 0, v5, vcc
	s_branch .LBB161_1292
.LBB161_1291:
	s_mov_b64 s[0:1], -1
                                        ; implicit-def: $vgpr3
.LBB161_1292:
	s_mov_b64 s[12:13], 0
.LBB161_1293:
	s_and_b64 vcc, exec, s[12:13]
	s_cbranch_vccz .LBB161_1297
; %bb.1294:
	s_cmp_eq_u32 s18, 29
	s_cbranch_scc0 .LBB161_1296
; %bb.1295:
	global_load_dwordx2 v[14:15], v[12:13], off
	s_mov_b64 s[0:1], 0
	s_mov_b64 s[10:11], -1
	s_mov_b64 s[12:13], 0
	s_waitcnt vmcnt(0)
	v_ffbh_u32_e32 v3, v15
	v_min_u32_e32 v3, 32, v3
	v_lshlrev_b64 v[14:15], v3, v[14:15]
	v_min_u32_e32 v5, 1, v14
	v_or_b32_e32 v5, v15, v5
	v_cvt_f32_u32_e32 v5, v5
	v_sub_u32_e32 v3, 32, v3
	v_ldexp_f32 v3, v5, v3
	v_cvt_f16_f32_e32 v3, v3
	s_branch .LBB161_1298
.LBB161_1296:
	s_mov_b64 s[0:1], -1
                                        ; implicit-def: $vgpr3
.LBB161_1297:
	s_mov_b64 s[12:13], 0
.LBB161_1298:
	s_and_b64 vcc, exec, s[12:13]
	s_cbranch_vccz .LBB161_1316
; %bb.1299:
	s_cmp_lt_i32 s18, 27
	s_cbranch_scc1 .LBB161_1302
; %bb.1300:
	s_cmp_gt_i32 s18, 27
	s_cbranch_scc0 .LBB161_1303
; %bb.1301:
	global_load_dword v3, v[12:13], off
	s_mov_b64 s[10:11], 0
	s_waitcnt vmcnt(0)
	v_cvt_f32_u32_e32 v3, v3
	v_cvt_f16_f32_e32 v3, v3
	s_branch .LBB161_1304
.LBB161_1302:
	s_mov_b64 s[10:11], -1
                                        ; implicit-def: $vgpr3
	s_branch .LBB161_1307
.LBB161_1303:
	s_mov_b64 s[10:11], -1
                                        ; implicit-def: $vgpr3
.LBB161_1304:
	s_andn2_b64 vcc, exec, s[10:11]
	s_cbranch_vccnz .LBB161_1306
; %bb.1305:
	global_load_ushort v3, v[12:13], off
	s_waitcnt vmcnt(0)
	v_cvt_f16_u16_e32 v3, v3
.LBB161_1306:
	s_mov_b64 s[10:11], 0
.LBB161_1307:
	s_andn2_b64 vcc, exec, s[10:11]
	s_cbranch_vccnz .LBB161_1315
; %bb.1308:
	global_load_ubyte v5, v[12:13], off
	s_movk_i32 s10, 0x7f
	s_waitcnt vmcnt(0)
	v_cmp_lt_i16_e32 vcc, s10, v5
	s_mov_b64 s[10:11], 0
	s_and_saveexec_b64 s[12:13], vcc
	s_xor_b64 s[12:13], exec, s[12:13]
	s_cbranch_execz .LBB161_1328
; %bb.1309:
	s_movk_i32 s10, 0x80
	v_cmp_eq_u16_e32 vcc, s10, v5
	s_mov_b64 s[10:11], -1
	s_and_saveexec_b64 s[14:15], vcc
; %bb.1310:
	s_xor_b64 s[10:11], exec, -1
; %bb.1311:
	s_or_b64 exec, exec, s[14:15]
	s_and_b64 s[10:11], s[10:11], exec
	s_or_saveexec_b64 s[12:13], s[12:13]
	v_mov_b32_e32 v3, 0x7e00
	s_xor_b64 exec, exec, s[12:13]
	s_cbranch_execnz .LBB161_1329
.LBB161_1312:
	s_or_b64 exec, exec, s[12:13]
	s_and_saveexec_b64 s[12:13], s[10:11]
	s_cbranch_execz .LBB161_1314
.LBB161_1313:
	v_lshlrev_b32_e32 v3, 24, v5
	v_and_b32_e32 v5, 0xffff, v5
	v_and_b32_e32 v7, 7, v5
	v_ffbh_u32_e32 v11, v7
	v_min_u32_e32 v11, 32, v11
	v_subrev_u32_e32 v14, 28, v11
	v_bfe_u32 v9, v5, 3, 4
	v_lshlrev_b32_e32 v5, v14, v5
	v_sub_u32_e32 v11, 29, v11
	v_and_b32_e32 v5, 7, v5
	v_cmp_eq_u32_e32 vcc, 0, v9
	v_and_b32_e32 v3, 0x80000000, v3
	s_nop 0
	v_cndmask_b32_e32 v9, v9, v11, vcc
	v_cndmask_b32_e32 v5, v7, v5, vcc
	v_mov_b32_e32 v7, 0x3b800000
	v_lshlrev_b32_e32 v5, 20, v5
	v_lshl_add_u32 v7, v9, 23, v7
	v_or3_b32 v3, v3, v7, v5
	v_cvt_f16_f32_e32 v3, v3
.LBB161_1314:
	s_or_b64 exec, exec, s[12:13]
.LBB161_1315:
	s_mov_b64 s[10:11], -1
.LBB161_1316:
	s_branch .LBB161_1349
.LBB161_1317:
	s_cmp_gt_i32 s18, 22
	s_cbranch_scc0 .LBB161_1327
; %bb.1318:
	s_cmp_lt_i32 s18, 24
	s_cbranch_scc1 .LBB161_1330
; %bb.1319:
	s_cmp_gt_i32 s18, 24
	s_cbranch_scc0 .LBB161_1331
; %bb.1320:
	global_load_ubyte v5, v[12:13], off
	s_movk_i32 s8, 0x7f
	s_waitcnt vmcnt(0)
	v_cmp_lt_i16_e32 vcc, s8, v5
	s_mov_b64 s[8:9], 0
	s_and_saveexec_b64 s[10:11], vcc
	s_xor_b64 s[10:11], exec, s[10:11]
	s_cbranch_execz .LBB161_1343
; %bb.1321:
	s_movk_i32 s8, 0x80
	v_cmp_eq_u16_e32 vcc, s8, v5
	s_mov_b64 s[8:9], -1
	s_and_saveexec_b64 s[12:13], vcc
; %bb.1322:
	s_xor_b64 s[8:9], exec, -1
; %bb.1323:
	s_or_b64 exec, exec, s[12:13]
	s_and_b64 s[8:9], s[8:9], exec
	s_or_saveexec_b64 s[10:11], s[10:11]
	v_mov_b32_e32 v3, 0x7e00
	s_xor_b64 exec, exec, s[10:11]
	s_cbranch_execnz .LBB161_1344
.LBB161_1324:
	s_or_b64 exec, exec, s[10:11]
	s_and_saveexec_b64 s[10:11], s[8:9]
	s_cbranch_execz .LBB161_1326
.LBB161_1325:
	v_lshlrev_b32_e32 v3, 24, v5
	v_and_b32_e32 v5, 0xffff, v5
	v_and_b32_e32 v7, 3, v5
	v_ffbh_u32_e32 v11, v7
	v_min_u32_e32 v11, 32, v11
	v_subrev_u32_e32 v14, 29, v11
	v_bfe_u32 v9, v5, 2, 5
	v_lshlrev_b32_e32 v5, v14, v5
	v_sub_u32_e32 v11, 30, v11
	v_and_b32_e32 v5, 3, v5
	v_cmp_eq_u32_e32 vcc, 0, v9
	v_and_b32_e32 v3, 0x80000000, v3
	s_nop 0
	v_cndmask_b32_e32 v9, v9, v11, vcc
	v_cndmask_b32_e32 v5, v7, v5, vcc
	v_mov_b32_e32 v7, 0x37800000
	v_lshlrev_b32_e32 v5, 21, v5
	v_lshl_add_u32 v7, v9, 23, v7
	v_or3_b32 v3, v3, v7, v5
	v_cvt_f16_f32_e32 v3, v3
.LBB161_1326:
	s_or_b64 exec, exec, s[10:11]
	s_mov_b64 s[8:9], 0
	s_branch .LBB161_1332
.LBB161_1327:
	s_mov_b64 s[8:9], -1
                                        ; implicit-def: $vgpr3
	s_branch .LBB161_1338
.LBB161_1328:
	s_or_saveexec_b64 s[12:13], s[12:13]
	v_mov_b32_e32 v3, 0x7e00
	s_xor_b64 exec, exec, s[12:13]
	s_cbranch_execz .LBB161_1312
.LBB161_1329:
	v_cmp_ne_u16_e32 vcc, 0, v5
	s_andn2_b64 s[10:11], s[10:11], exec
	s_and_b64 s[14:15], vcc, exec
	s_or_b64 s[10:11], s[10:11], s[14:15]
	v_mov_b32_e32 v3, v5
	s_or_b64 exec, exec, s[12:13]
	s_and_saveexec_b64 s[12:13], s[10:11]
	s_cbranch_execnz .LBB161_1313
	s_branch .LBB161_1314
.LBB161_1330:
	s_mov_b64 s[8:9], -1
                                        ; implicit-def: $vgpr3
	s_branch .LBB161_1335
.LBB161_1331:
	s_mov_b64 s[8:9], -1
                                        ; implicit-def: $vgpr3
.LBB161_1332:
	s_and_b64 vcc, exec, s[8:9]
	s_cbranch_vccz .LBB161_1334
; %bb.1333:
	global_load_ubyte v3, v[12:13], off
	s_mov_b32 s8, 0x7f800000
	s_waitcnt vmcnt(0)
	v_lshlrev_b32_e32 v3, 24, v3
	v_and_b32_e32 v5, 0x7f000000, v3
	v_ffbh_u32_e32 v7, v5
	v_min_u32_e32 v7, 32, v7
	v_sub_u32_e64 v7, v7, 4 clamp
	v_lshlrev_b32_e32 v11, v7, v5
	v_lshlrev_b32_e32 v7, 23, v7
	v_lshrrev_b32_e32 v11, 4, v11
	v_add_u32_e32 v9, 0x1000000, v5
	v_sub_u32_e32 v7, v11, v7
	v_ashrrev_i32_e32 v9, 8, v9
	v_add_u32_e32 v7, 0x3c000000, v7
	v_and_or_b32 v7, v9, s8, v7
	v_cmp_ne_u32_e32 vcc, 0, v5
	s_brev_b32 s8, 1
	s_nop 0
	v_cndmask_b32_e32 v5, 0, v7, vcc
	v_and_or_b32 v3, v3, s8, v5
	v_cvt_f16_f32_e32 v3, v3
.LBB161_1334:
	s_mov_b64 s[8:9], 0
.LBB161_1335:
	s_andn2_b64 vcc, exec, s[8:9]
	s_cbranch_vccnz .LBB161_1337
; %bb.1336:
	global_load_ubyte v3, v[12:13], off
	s_movk_i32 s8, 0x7f00
	s_brev_b32 s9, 16
	s_waitcnt vmcnt(0)
	v_lshlrev_b16_e32 v5, 8, v3
	v_lshlrev_b32_e32 v3, 25, v3
	v_lshrrev_b32_e32 v7, 4, v3
	v_and_or_b32 v9, v5, s8, 0.5
	v_or_b32_e32 v7, 0x70000000, v7
	v_add_f32_e32 v9, -0.5, v9
	v_mul_f32_e32 v7, 0x7800000, v7
	v_cmp_gt_u32_e32 vcc, s9, v3
	v_bfe_i32 v5, v5, 0, 16
	s_brev_b32 s8, 1
	v_cndmask_b32_e32 v3, v7, v9, vcc
	v_and_or_b32 v3, v5, s8, v3
	v_cvt_f16_f32_e32 v3, v3
.LBB161_1337:
	s_mov_b64 s[8:9], 0
	s_mov_b64 s[10:11], -1
.LBB161_1338:
	s_andn2_b64 vcc, exec, s[8:9]
	s_mov_b64 s[8:9], 0
	s_cbranch_vccnz .LBB161_1349
; %bb.1339:
	s_cmp_gt_i32 s18, 14
	s_cbranch_scc0 .LBB161_1342
; %bb.1340:
	s_cmp_eq_u32 s18, 15
	s_cbranch_scc0 .LBB161_1345
; %bb.1341:
	global_load_ushort v3, v[12:13], off
	s_mov_b64 s[0:1], 0
	s_mov_b64 s[10:11], -1
	s_waitcnt vmcnt(0)
	v_lshlrev_b32_e32 v3, 16, v3
	v_cvt_f16_f32_e32 v3, v3
	s_branch .LBB161_1346
.LBB161_1342:
	s_mov_b64 s[12:13], -1
                                        ; implicit-def: $vgpr3
	s_branch .LBB161_1347
.LBB161_1343:
	s_or_saveexec_b64 s[10:11], s[10:11]
	v_mov_b32_e32 v3, 0x7e00
	s_xor_b64 exec, exec, s[10:11]
	s_cbranch_execz .LBB161_1324
.LBB161_1344:
	v_cmp_ne_u16_e32 vcc, 0, v5
	s_andn2_b64 s[8:9], s[8:9], exec
	s_and_b64 s[12:13], vcc, exec
	s_or_b64 s[8:9], s[8:9], s[12:13]
	v_mov_b32_e32 v3, v5
	s_or_b64 exec, exec, s[10:11]
	s_and_saveexec_b64 s[10:11], s[8:9]
	s_cbranch_execnz .LBB161_1325
	s_branch .LBB161_1326
.LBB161_1345:
	s_mov_b64 s[0:1], -1
                                        ; implicit-def: $vgpr3
.LBB161_1346:
	s_mov_b64 s[12:13], 0
.LBB161_1347:
	s_and_b64 vcc, exec, s[12:13]
	s_cbranch_vccz .LBB161_1349
; %bb.1348:
	s_cmp_lg_u32 s18, 11
	s_mov_b64 s[8:9], -1
	s_cselect_b64 s[0:1], -1, 0
.LBB161_1349:
	s_and_b64 vcc, exec, s[0:1]
	s_cbranch_vccnz .LBB161_1412
; %bb.1350:
	s_andn2_b64 vcc, exec, s[8:9]
	s_cbranch_vccnz .LBB161_1352
.LBB161_1351:
	global_load_ubyte v3, v[12:13], off
	v_mov_b32_e32 v5, 0x3c00
	s_mov_b64 s[10:11], -1
	s_waitcnt vmcnt(0)
	v_cmp_ne_u16_e32 vcc, 0, v3
	s_nop 1
	v_cndmask_b32_e32 v3, 0, v5, vcc
.LBB161_1352:
	s_branch .LBB161_1279
.LBB161_1353:
	s_and_b32 s8, 0xffff, s17
	s_cmp_lt_i32 s8, 5
	s_cbranch_scc1 .LBB161_1358
; %bb.1354:
	s_cmp_lt_i32 s8, 8
	s_cbranch_scc1 .LBB161_1359
; %bb.1355:
	;; [unrolled: 3-line block ×3, first 2 shown]
	s_cmp_gt_i32 s8, 9
	s_cbranch_scc0 .LBB161_1361
; %bb.1357:
	global_load_dwordx2 v[14:15], v[12:13], off
	s_movk_i32 s0, 0x1ff
	s_movk_i32 s1, 0xffe
	v_mov_b32_e32 v3, 0x7c00
	v_mov_b32_e32 v5, 0x7e00
	s_movk_i32 s9, 0x40f
	s_mov_b32 s10, 0x8000
	s_waitcnt vmcnt(0)
	v_and_or_b32 v7, v15, s0, v14
	v_cmp_ne_u32_e32 vcc, 0, v7
	v_lshrrev_b32_e32 v9, 8, v15
	v_bfe_u32 v11, v15, 20, 11
	v_cndmask_b32_e64 v7, 0, 1, vcc
	v_lshrrev_b32_e32 v14, 16, v15
	v_sub_u32_e32 v15, 0x3f1, v11
	v_and_or_b32 v7, v9, s1, v7
	v_add_u32_e32 v11, 0xfffffc10, v11
	v_med3_i32 v9, v15, 0, 13
	v_or_b32_e32 v15, 0x1000, v7
	v_lshl_or_b32 v16, v11, 12, v7
	v_cmp_ne_u32_e32 vcc, 0, v7
	v_lshrrev_b32_e32 v7, v9, v15
	v_lshlrev_b32_e32 v9, v9, v7
	v_cndmask_b32_e32 v5, v3, v5, vcc
	v_cmp_ne_u32_e32 vcc, v9, v15
	s_mov_b64 s[0:1], 0
	s_nop 0
	v_cndmask_b32_e64 v9, 0, 1, vcc
	v_or_b32_e32 v7, v7, v9
	v_cmp_gt_i32_e32 vcc, 1, v11
	s_nop 1
	v_cndmask_b32_e32 v7, v16, v7, vcc
	v_and_b32_e32 v9, 7, v7
	v_cmp_lt_i32_e32 vcc, 5, v9
	v_lshrrev_b32_e32 v7, 2, v7
	s_nop 0
	v_cndmask_b32_e64 v15, 0, 1, vcc
	v_cmp_eq_u32_e32 vcc, 3, v9
	s_nop 1
	v_cndmask_b32_e64 v9, 0, 1, vcc
	v_or_b32_e32 v9, v9, v15
	v_add_u32_e32 v7, v7, v9
	v_cmp_gt_i32_e32 vcc, 31, v11
	s_nop 1
	v_cndmask_b32_e32 v3, v3, v7, vcc
	v_cmp_eq_u32_e32 vcc, s9, v11
	s_nop 1
	v_cndmask_b32_e32 v3, v3, v5, vcc
	v_and_or_b32 v3, v14, s10, v3
	s_branch .LBB161_1362
.LBB161_1358:
                                        ; implicit-def: $vgpr3
	s_branch .LBB161_1380
.LBB161_1359:
	s_mov_b64 s[0:1], -1
                                        ; implicit-def: $vgpr3
	s_branch .LBB161_1368
.LBB161_1360:
	s_mov_b64 s[0:1], -1
                                        ; implicit-def: $vgpr3
	s_branch .LBB161_1365
.LBB161_1361:
	s_mov_b64 s[0:1], -1
                                        ; implicit-def: $vgpr3
.LBB161_1362:
	s_andn2_b64 vcc, exec, s[0:1]
	s_cbranch_vccnz .LBB161_1364
; %bb.1363:
	global_load_dword v3, v[12:13], off
	s_waitcnt vmcnt(0)
	v_cvt_f16_f32_e32 v3, v3
.LBB161_1364:
	s_mov_b64 s[0:1], 0
.LBB161_1365:
	s_andn2_b64 vcc, exec, s[0:1]
	s_cbranch_vccnz .LBB161_1367
; %bb.1366:
	global_load_dword v3, v[12:13], off
.LBB161_1367:
	s_mov_b64 s[0:1], 0
.LBB161_1368:
	s_andn2_b64 vcc, exec, s[0:1]
	s_cbranch_vccnz .LBB161_1379
; %bb.1369:
	s_cmp_lt_i32 s8, 6
	s_cbranch_scc1 .LBB161_1372
; %bb.1370:
	s_cmp_gt_i32 s8, 6
	s_cbranch_scc0 .LBB161_1373
; %bb.1371:
	global_load_dwordx2 v[14:15], v[12:13], off
	s_movk_i32 s0, 0x1ff
	s_movk_i32 s1, 0xffe
	s_waitcnt vmcnt(1)
	v_mov_b32_e32 v3, 0x7c00
	v_mov_b32_e32 v5, 0x7e00
	s_movk_i32 s9, 0x40f
	s_mov_b32 s10, 0x8000
	s_waitcnt vmcnt(0)
	v_and_or_b32 v7, v15, s0, v14
	v_cmp_ne_u32_e32 vcc, 0, v7
	v_lshrrev_b32_e32 v9, 8, v15
	v_bfe_u32 v11, v15, 20, 11
	v_cndmask_b32_e64 v7, 0, 1, vcc
	v_lshrrev_b32_e32 v14, 16, v15
	v_sub_u32_e32 v15, 0x3f1, v11
	v_and_or_b32 v7, v9, s1, v7
	v_add_u32_e32 v11, 0xfffffc10, v11
	v_med3_i32 v9, v15, 0, 13
	v_or_b32_e32 v15, 0x1000, v7
	v_lshl_or_b32 v16, v11, 12, v7
	v_cmp_ne_u32_e32 vcc, 0, v7
	v_lshrrev_b32_e32 v7, v9, v15
	v_lshlrev_b32_e32 v9, v9, v7
	v_cndmask_b32_e32 v5, v3, v5, vcc
	v_cmp_ne_u32_e32 vcc, v9, v15
	s_mov_b64 s[0:1], 0
	s_nop 0
	v_cndmask_b32_e64 v9, 0, 1, vcc
	v_or_b32_e32 v7, v7, v9
	v_cmp_gt_i32_e32 vcc, 1, v11
	s_nop 1
	v_cndmask_b32_e32 v7, v16, v7, vcc
	v_and_b32_e32 v9, 7, v7
	v_cmp_lt_i32_e32 vcc, 5, v9
	v_lshrrev_b32_e32 v7, 2, v7
	s_nop 0
	v_cndmask_b32_e64 v15, 0, 1, vcc
	v_cmp_eq_u32_e32 vcc, 3, v9
	s_nop 1
	v_cndmask_b32_e64 v9, 0, 1, vcc
	v_or_b32_e32 v9, v9, v15
	v_add_u32_e32 v7, v7, v9
	v_cmp_gt_i32_e32 vcc, 31, v11
	s_nop 1
	v_cndmask_b32_e32 v3, v3, v7, vcc
	v_cmp_eq_u32_e32 vcc, s9, v11
	s_nop 1
	v_cndmask_b32_e32 v3, v3, v5, vcc
	v_and_or_b32 v3, v14, s10, v3
	s_branch .LBB161_1374
.LBB161_1372:
	s_mov_b64 s[0:1], -1
                                        ; implicit-def: $vgpr3
	s_branch .LBB161_1377
.LBB161_1373:
	s_mov_b64 s[0:1], -1
                                        ; implicit-def: $vgpr3
.LBB161_1374:
	s_andn2_b64 vcc, exec, s[0:1]
	s_cbranch_vccnz .LBB161_1376
; %bb.1375:
	global_load_dword v3, v[12:13], off
	s_waitcnt vmcnt(0)
	v_cvt_f16_f32_e32 v3, v3
.LBB161_1376:
	s_mov_b64 s[0:1], 0
.LBB161_1377:
	s_andn2_b64 vcc, exec, s[0:1]
	s_cbranch_vccnz .LBB161_1379
; %bb.1378:
	global_load_ushort v3, v[12:13], off
.LBB161_1379:
	s_cbranch_execnz .LBB161_1399
.LBB161_1380:
	s_cmp_lt_i32 s8, 2
	s_cbranch_scc1 .LBB161_1384
; %bb.1381:
	s_cmp_lt_i32 s8, 3
	s_cbranch_scc1 .LBB161_1385
; %bb.1382:
	s_cmp_gt_i32 s8, 3
	s_cbranch_scc0 .LBB161_1386
; %bb.1383:
	global_load_dwordx2 v[14:15], v[12:13], off
	s_mov_b64 s[0:1], 0
	s_waitcnt vmcnt(0)
	v_xor_b32_e32 v5, v14, v15
	v_ffbh_i32_e32 v3, v15
	v_ashrrev_i32_e32 v5, 31, v5
	v_add_u32_e32 v3, -1, v3
	v_add_u32_e32 v5, 32, v5
	v_min_u32_e32 v3, v3, v5
	v_lshlrev_b64 v[14:15], v3, v[14:15]
	v_min_u32_e32 v5, 1, v14
	v_or_b32_e32 v5, v15, v5
	v_cvt_f32_i32_e32 v5, v5
	v_sub_u32_e32 v3, 32, v3
	v_ldexp_f32 v3, v5, v3
	v_cvt_f16_f32_e32 v3, v3
	s_branch .LBB161_1387
.LBB161_1384:
	s_mov_b64 s[0:1], -1
                                        ; implicit-def: $vgpr3
	s_branch .LBB161_1393
.LBB161_1385:
	s_mov_b64 s[0:1], -1
                                        ; implicit-def: $vgpr3
	s_branch .LBB161_1390
.LBB161_1386:
	s_mov_b64 s[0:1], -1
                                        ; implicit-def: $vgpr3
.LBB161_1387:
	s_andn2_b64 vcc, exec, s[0:1]
	s_cbranch_vccnz .LBB161_1389
; %bb.1388:
	global_load_dword v3, v[12:13], off
	s_waitcnt vmcnt(0)
	v_cvt_f32_i32_e32 v3, v3
	v_cvt_f16_f32_e32 v3, v3
.LBB161_1389:
	s_mov_b64 s[0:1], 0
.LBB161_1390:
	s_andn2_b64 vcc, exec, s[0:1]
	s_cbranch_vccnz .LBB161_1392
; %bb.1391:
	global_load_ushort v3, v[12:13], off
	s_waitcnt vmcnt(0)
	v_cvt_f16_i16_e32 v3, v3
.LBB161_1392:
	s_mov_b64 s[0:1], 0
.LBB161_1393:
	s_andn2_b64 vcc, exec, s[0:1]
	s_cbranch_vccnz .LBB161_1399
; %bb.1394:
	s_cmp_gt_i32 s8, 0
	s_cbranch_scc0 .LBB161_1396
; %bb.1395:
	global_load_sbyte v3, v[12:13], off
	s_mov_b64 s[0:1], 0
	s_waitcnt vmcnt(0)
	v_cvt_f16_i16_e32 v3, v3
	s_branch .LBB161_1397
.LBB161_1396:
	s_mov_b64 s[0:1], -1
                                        ; implicit-def: $vgpr3
.LBB161_1397:
	s_andn2_b64 vcc, exec, s[0:1]
	s_cbranch_vccnz .LBB161_1399
; %bb.1398:
	global_load_ubyte v3, v[12:13], off
	s_waitcnt vmcnt(0)
	v_cvt_f16_u16_e32 v3, v3
.LBB161_1399:
.LBB161_1400:
	v_mov_b32_e32 v11, 0
	s_cmp_lt_i32 s17, 11
	v_lshl_add_u64 v[10:11], s[6:7], 0, v[10:11]
	s_cbranch_scc1 .LBB161_1407
; %bb.1401:
	s_and_b32 s18, 0xffff, s17
	s_cmp_gt_i32 s18, 25
	s_mov_b64 s[8:9], 0
	s_cbranch_scc0 .LBB161_1409
; %bb.1402:
	s_cmp_gt_i32 s18, 28
	s_cbranch_scc0 .LBB161_1410
; %bb.1403:
	s_cmp_gt_i32 s18, 43
	;; [unrolled: 3-line block ×3, first 2 shown]
	s_cbranch_scc0 .LBB161_1413
; %bb.1405:
	s_cmp_eq_u32 s18, 46
	s_mov_b64 s[12:13], 0
	s_cbranch_scc0 .LBB161_1414
; %bb.1406:
	global_load_dword v5, v[10:11], off
	s_mov_b64 s[0:1], 0
	s_mov_b64 s[10:11], -1
	s_waitcnt vmcnt(0)
	v_lshlrev_b32_e32 v5, 16, v5
	v_cvt_f16_f32_e32 v12, v5
	s_branch .LBB161_1415
.LBB161_1407:
	s_mov_b64 s[10:11], 0
                                        ; implicit-def: $vgpr12
	s_cbranch_execnz .LBB161_1481
.LBB161_1408:
	s_andn2_b64 vcc, exec, s[10:11]
	s_cbranch_vccnz .LBB161_2092
	s_branch .LBB161_1529
.LBB161_1409:
	s_mov_b64 s[12:13], -1
	s_mov_b64 s[10:11], 0
	s_mov_b64 s[0:1], 0
                                        ; implicit-def: $vgpr12
	s_branch .LBB161_1444
.LBB161_1410:
	s_mov_b64 s[12:13], -1
	s_mov_b64 s[10:11], 0
	s_mov_b64 s[0:1], 0
                                        ; implicit-def: $vgpr12
	s_branch .LBB161_1425
.LBB161_1411:
	s_mov_b64 s[12:13], -1
	s_mov_b64 s[10:11], 0
	s_mov_b64 s[0:1], 0
                                        ; implicit-def: $vgpr12
	s_branch .LBB161_1420
.LBB161_1412:
	s_trap 2
	s_or_b64 s[2:3], s[2:3], exec
	s_cbranch_execz .LBB161_1351
	s_branch .LBB161_1352
.LBB161_1413:
	s_mov_b64 s[12:13], -1
	s_mov_b64 s[10:11], 0
	s_mov_b64 s[0:1], 0
                                        ; implicit-def: $vgpr12
	s_branch .LBB161_1415
.LBB161_1414:
	s_mov_b64 s[0:1], -1
                                        ; implicit-def: $vgpr12
	s_mov_b64 s[10:11], 0
.LBB161_1415:
	s_and_b64 vcc, exec, s[12:13]
	s_cbranch_vccz .LBB161_1419
; %bb.1416:
	s_cmp_eq_u32 s18, 44
	s_cbranch_scc0 .LBB161_1418
; %bb.1417:
	global_load_ubyte v5, v[10:11], off
	s_movk_i32 s10, 0xff
	v_mov_b32_e32 v9, 0x7e00
	s_mov_b64 s[0:1], 0
	s_waitcnt vmcnt(0)
	v_lshlrev_b32_e32 v7, 23, v5
	v_cvt_f16_f32_e32 v7, v7
	v_cmp_ne_u32_e32 vcc, s10, v5
	s_mov_b64 s[10:11], -1
	s_nop 0
	v_cndmask_b32_e32 v7, v9, v7, vcc
	v_cmp_ne_u32_e32 vcc, 0, v5
	s_nop 1
	v_cndmask_b32_e32 v12, 0, v7, vcc
	s_branch .LBB161_1419
.LBB161_1418:
	s_mov_b64 s[0:1], -1
                                        ; implicit-def: $vgpr12
.LBB161_1419:
	s_mov_b64 s[12:13], 0
.LBB161_1420:
	s_and_b64 vcc, exec, s[12:13]
	s_cbranch_vccz .LBB161_1424
; %bb.1421:
	s_cmp_eq_u32 s18, 29
	s_cbranch_scc0 .LBB161_1423
; %bb.1422:
	global_load_dwordx2 v[12:13], v[10:11], off
	s_mov_b64 s[0:1], 0
	s_mov_b64 s[10:11], -1
	s_mov_b64 s[12:13], 0
	s_waitcnt vmcnt(0)
	v_ffbh_u32_e32 v5, v13
	v_min_u32_e32 v5, 32, v5
	v_lshlrev_b64 v[12:13], v5, v[12:13]
	v_min_u32_e32 v7, 1, v12
	v_or_b32_e32 v7, v13, v7
	v_cvt_f32_u32_e32 v7, v7
	v_sub_u32_e32 v5, 32, v5
	v_ldexp_f32 v5, v7, v5
	v_cvt_f16_f32_e32 v12, v5
	s_branch .LBB161_1425
.LBB161_1423:
	s_mov_b64 s[0:1], -1
                                        ; implicit-def: $vgpr12
.LBB161_1424:
	s_mov_b64 s[12:13], 0
.LBB161_1425:
	s_and_b64 vcc, exec, s[12:13]
	s_cbranch_vccz .LBB161_1443
; %bb.1426:
	s_cmp_lt_i32 s18, 27
	s_cbranch_scc1 .LBB161_1429
; %bb.1427:
	s_cmp_gt_i32 s18, 27
	s_cbranch_scc0 .LBB161_1430
; %bb.1428:
	global_load_dword v5, v[10:11], off
	s_mov_b64 s[10:11], 0
	s_waitcnt vmcnt(0)
	v_cvt_f32_u32_e32 v5, v5
	v_cvt_f16_f32_e32 v12, v5
	s_branch .LBB161_1431
.LBB161_1429:
	s_mov_b64 s[10:11], -1
                                        ; implicit-def: $vgpr12
	s_branch .LBB161_1434
.LBB161_1430:
	s_mov_b64 s[10:11], -1
                                        ; implicit-def: $vgpr12
.LBB161_1431:
	s_andn2_b64 vcc, exec, s[10:11]
	s_cbranch_vccnz .LBB161_1433
; %bb.1432:
	global_load_ushort v5, v[10:11], off
	s_waitcnt vmcnt(0)
	v_cvt_f16_u16_e32 v12, v5
.LBB161_1433:
	s_mov_b64 s[10:11], 0
.LBB161_1434:
	s_andn2_b64 vcc, exec, s[10:11]
	s_cbranch_vccnz .LBB161_1442
; %bb.1435:
	global_load_ubyte v5, v[10:11], off
	s_movk_i32 s10, 0x7f
	s_waitcnt vmcnt(0)
	v_cmp_lt_i16_e32 vcc, s10, v5
	s_mov_b64 s[10:11], 0
	s_and_saveexec_b64 s[12:13], vcc
	s_xor_b64 s[12:13], exec, s[12:13]
	s_cbranch_execz .LBB161_1456
; %bb.1436:
	s_movk_i32 s10, 0x80
	v_cmp_eq_u16_e32 vcc, s10, v5
	s_mov_b64 s[10:11], -1
	s_and_saveexec_b64 s[14:15], vcc
; %bb.1437:
	s_xor_b64 s[10:11], exec, -1
; %bb.1438:
	s_or_b64 exec, exec, s[14:15]
	s_and_b64 s[10:11], s[10:11], exec
	s_or_saveexec_b64 s[12:13], s[12:13]
	v_mov_b32_e32 v12, 0x7e00
	s_xor_b64 exec, exec, s[12:13]
	s_cbranch_execnz .LBB161_1457
.LBB161_1439:
	s_or_b64 exec, exec, s[12:13]
	s_and_saveexec_b64 s[12:13], s[10:11]
	s_cbranch_execz .LBB161_1441
.LBB161_1440:
	v_lshlrev_b32_e32 v7, 24, v5
	v_and_b32_e32 v5, 0xffff, v5
	v_and_b32_e32 v9, 7, v5
	v_ffbh_u32_e32 v13, v9
	v_min_u32_e32 v13, 32, v13
	v_subrev_u32_e32 v14, 28, v13
	v_bfe_u32 v12, v5, 3, 4
	v_lshlrev_b32_e32 v5, v14, v5
	v_sub_u32_e32 v13, 29, v13
	v_and_b32_e32 v5, 7, v5
	v_cmp_eq_u32_e32 vcc, 0, v12
	v_and_b32_e32 v7, 0x80000000, v7
	s_nop 0
	v_cndmask_b32_e32 v12, v12, v13, vcc
	v_cndmask_b32_e32 v5, v9, v5, vcc
	v_mov_b32_e32 v9, 0x3b800000
	v_lshlrev_b32_e32 v5, 20, v5
	v_lshl_add_u32 v9, v12, 23, v9
	v_or3_b32 v5, v7, v9, v5
	v_cvt_f16_f32_e32 v12, v5
.LBB161_1441:
	s_or_b64 exec, exec, s[12:13]
.LBB161_1442:
	s_mov_b64 s[10:11], -1
.LBB161_1443:
	s_mov_b64 s[12:13], 0
.LBB161_1444:
	s_and_b64 vcc, exec, s[12:13]
	s_cbranch_vccz .LBB161_1477
; %bb.1445:
	s_cmp_gt_i32 s18, 22
	s_cbranch_scc0 .LBB161_1455
; %bb.1446:
	s_cmp_lt_i32 s18, 24
	s_cbranch_scc1 .LBB161_1458
; %bb.1447:
	s_cmp_gt_i32 s18, 24
	s_cbranch_scc0 .LBB161_1459
; %bb.1448:
	global_load_ubyte v5, v[10:11], off
	s_movk_i32 s8, 0x7f
	s_waitcnt vmcnt(0)
	v_cmp_lt_i16_e32 vcc, s8, v5
	s_mov_b64 s[8:9], 0
	s_and_saveexec_b64 s[10:11], vcc
	s_xor_b64 s[10:11], exec, s[10:11]
	s_cbranch_execz .LBB161_1471
; %bb.1449:
	s_movk_i32 s8, 0x80
	v_cmp_eq_u16_e32 vcc, s8, v5
	s_mov_b64 s[8:9], -1
	s_and_saveexec_b64 s[12:13], vcc
; %bb.1450:
	s_xor_b64 s[8:9], exec, -1
; %bb.1451:
	s_or_b64 exec, exec, s[12:13]
	s_and_b64 s[8:9], s[8:9], exec
	s_or_saveexec_b64 s[10:11], s[10:11]
	v_mov_b32_e32 v12, 0x7e00
	s_xor_b64 exec, exec, s[10:11]
	s_cbranch_execnz .LBB161_1472
.LBB161_1452:
	s_or_b64 exec, exec, s[10:11]
	s_and_saveexec_b64 s[10:11], s[8:9]
	s_cbranch_execz .LBB161_1454
.LBB161_1453:
	v_lshlrev_b32_e32 v7, 24, v5
	v_and_b32_e32 v5, 0xffff, v5
	v_and_b32_e32 v9, 3, v5
	v_ffbh_u32_e32 v13, v9
	v_min_u32_e32 v13, 32, v13
	v_subrev_u32_e32 v14, 29, v13
	v_bfe_u32 v12, v5, 2, 5
	v_lshlrev_b32_e32 v5, v14, v5
	v_sub_u32_e32 v13, 30, v13
	v_and_b32_e32 v5, 3, v5
	v_cmp_eq_u32_e32 vcc, 0, v12
	v_and_b32_e32 v7, 0x80000000, v7
	s_nop 0
	v_cndmask_b32_e32 v12, v12, v13, vcc
	v_cndmask_b32_e32 v5, v9, v5, vcc
	v_mov_b32_e32 v9, 0x37800000
	v_lshlrev_b32_e32 v5, 21, v5
	v_lshl_add_u32 v9, v12, 23, v9
	v_or3_b32 v5, v7, v9, v5
	v_cvt_f16_f32_e32 v12, v5
.LBB161_1454:
	s_or_b64 exec, exec, s[10:11]
	s_mov_b64 s[8:9], 0
	s_branch .LBB161_1460
.LBB161_1455:
	s_mov_b64 s[8:9], -1
                                        ; implicit-def: $vgpr12
	s_branch .LBB161_1466
.LBB161_1456:
	s_or_saveexec_b64 s[12:13], s[12:13]
	v_mov_b32_e32 v12, 0x7e00
	s_xor_b64 exec, exec, s[12:13]
	s_cbranch_execz .LBB161_1439
.LBB161_1457:
	v_cmp_ne_u16_e32 vcc, 0, v5
	s_andn2_b64 s[10:11], s[10:11], exec
	s_and_b64 s[14:15], vcc, exec
	s_or_b64 s[10:11], s[10:11], s[14:15]
	v_mov_b32_e32 v12, v5
	s_or_b64 exec, exec, s[12:13]
	s_and_saveexec_b64 s[12:13], s[10:11]
	s_cbranch_execnz .LBB161_1440
	s_branch .LBB161_1441
.LBB161_1458:
	s_mov_b64 s[8:9], -1
                                        ; implicit-def: $vgpr12
	s_branch .LBB161_1463
.LBB161_1459:
	s_mov_b64 s[8:9], -1
                                        ; implicit-def: $vgpr12
.LBB161_1460:
	s_and_b64 vcc, exec, s[8:9]
	s_cbranch_vccz .LBB161_1462
; %bb.1461:
	global_load_ubyte v5, v[10:11], off
	s_mov_b32 s8, 0x7f800000
	s_waitcnt vmcnt(0)
	v_lshlrev_b32_e32 v5, 24, v5
	v_and_b32_e32 v7, 0x7f000000, v5
	v_ffbh_u32_e32 v9, v7
	v_min_u32_e32 v9, 32, v9
	v_sub_u32_e64 v9, v9, 4 clamp
	v_lshlrev_b32_e32 v13, v9, v7
	v_lshlrev_b32_e32 v9, 23, v9
	v_lshrrev_b32_e32 v13, 4, v13
	v_add_u32_e32 v12, 0x1000000, v7
	v_sub_u32_e32 v9, v13, v9
	v_ashrrev_i32_e32 v12, 8, v12
	v_add_u32_e32 v9, 0x3c000000, v9
	v_and_or_b32 v9, v12, s8, v9
	v_cmp_ne_u32_e32 vcc, 0, v7
	s_brev_b32 s8, 1
	s_nop 0
	v_cndmask_b32_e32 v7, 0, v9, vcc
	v_and_or_b32 v5, v5, s8, v7
	v_cvt_f16_f32_e32 v12, v5
.LBB161_1462:
	s_mov_b64 s[8:9], 0
.LBB161_1463:
	s_andn2_b64 vcc, exec, s[8:9]
	s_cbranch_vccnz .LBB161_1465
; %bb.1464:
	global_load_ubyte v5, v[10:11], off
	s_movk_i32 s8, 0x7f00
	s_brev_b32 s9, 16
	s_waitcnt vmcnt(0)
	v_lshlrev_b16_e32 v7, 8, v5
	v_lshlrev_b32_e32 v5, 25, v5
	v_lshrrev_b32_e32 v9, 4, v5
	v_and_or_b32 v12, v7, s8, 0.5
	v_or_b32_e32 v9, 0x70000000, v9
	v_add_f32_e32 v12, -0.5, v12
	v_mul_f32_e32 v9, 0x7800000, v9
	v_cmp_gt_u32_e32 vcc, s9, v5
	v_bfe_i32 v7, v7, 0, 16
	s_brev_b32 s8, 1
	v_cndmask_b32_e32 v5, v9, v12, vcc
	v_and_or_b32 v5, v7, s8, v5
	v_cvt_f16_f32_e32 v12, v5
.LBB161_1465:
	s_mov_b64 s[8:9], 0
	s_mov_b64 s[10:11], -1
.LBB161_1466:
	s_andn2_b64 vcc, exec, s[8:9]
	s_mov_b64 s[8:9], 0
	s_cbranch_vccnz .LBB161_1477
; %bb.1467:
	s_cmp_gt_i32 s18, 14
	s_cbranch_scc0 .LBB161_1470
; %bb.1468:
	s_cmp_eq_u32 s18, 15
	s_cbranch_scc0 .LBB161_1473
; %bb.1469:
	global_load_ushort v5, v[10:11], off
	s_mov_b64 s[0:1], 0
	s_mov_b64 s[10:11], -1
	s_waitcnt vmcnt(0)
	v_lshlrev_b32_e32 v5, 16, v5
	v_cvt_f16_f32_e32 v12, v5
	s_branch .LBB161_1474
.LBB161_1470:
	s_mov_b64 s[12:13], -1
                                        ; implicit-def: $vgpr12
	s_branch .LBB161_1475
.LBB161_1471:
	s_or_saveexec_b64 s[10:11], s[10:11]
	v_mov_b32_e32 v12, 0x7e00
	s_xor_b64 exec, exec, s[10:11]
	s_cbranch_execz .LBB161_1452
.LBB161_1472:
	v_cmp_ne_u16_e32 vcc, 0, v5
	s_andn2_b64 s[8:9], s[8:9], exec
	s_and_b64 s[12:13], vcc, exec
	s_or_b64 s[8:9], s[8:9], s[12:13]
	v_mov_b32_e32 v12, v5
	s_or_b64 exec, exec, s[10:11]
	s_and_saveexec_b64 s[10:11], s[8:9]
	s_cbranch_execnz .LBB161_1453
	s_branch .LBB161_1454
.LBB161_1473:
	s_mov_b64 s[0:1], -1
                                        ; implicit-def: $vgpr12
.LBB161_1474:
	s_mov_b64 s[12:13], 0
.LBB161_1475:
	s_and_b64 vcc, exec, s[12:13]
	s_cbranch_vccz .LBB161_1477
; %bb.1476:
	s_cmp_lg_u32 s18, 11
	s_mov_b64 s[8:9], -1
	s_cselect_b64 s[0:1], -1, 0
.LBB161_1477:
	s_and_b64 vcc, exec, s[0:1]
	s_cbranch_vccnz .LBB161_1540
; %bb.1478:
	s_andn2_b64 vcc, exec, s[8:9]
	s_cbranch_vccnz .LBB161_1480
.LBB161_1479:
	global_load_ubyte v5, v[10:11], off
	v_mov_b32_e32 v7, 0x3c00
	s_mov_b64 s[10:11], -1
	s_waitcnt vmcnt(0)
	v_cmp_ne_u16_e32 vcc, 0, v5
	s_nop 1
	v_cndmask_b32_e32 v12, 0, v7, vcc
.LBB161_1480:
	s_branch .LBB161_1408
.LBB161_1481:
	s_and_b32 s8, 0xffff, s17
	s_cmp_lt_i32 s8, 5
	s_cbranch_scc1 .LBB161_1486
; %bb.1482:
	s_cmp_lt_i32 s8, 8
	s_cbranch_scc1 .LBB161_1487
; %bb.1483:
	;; [unrolled: 3-line block ×3, first 2 shown]
	s_cmp_gt_i32 s8, 9
	s_cbranch_scc0 .LBB161_1489
; %bb.1485:
	global_load_dwordx2 v[12:13], v[10:11], off
	s_movk_i32 s0, 0x1ff
	s_movk_i32 s1, 0xffe
	v_mov_b32_e32 v5, 0x7c00
	v_mov_b32_e32 v7, 0x7e00
	s_movk_i32 s9, 0x40f
	s_mov_b32 s10, 0x8000
	s_waitcnt vmcnt(0)
	v_and_or_b32 v9, v13, s0, v12
	v_cmp_ne_u32_e32 vcc, 0, v9
	v_lshrrev_b32_e32 v12, 8, v13
	v_bfe_u32 v14, v13, 20, 11
	v_cndmask_b32_e64 v9, 0, 1, vcc
	v_sub_u32_e32 v15, 0x3f1, v14
	v_and_or_b32 v9, v12, s1, v9
	v_add_u32_e32 v14, 0xfffffc10, v14
	v_med3_i32 v12, v15, 0, 13
	v_or_b32_e32 v15, 0x1000, v9
	v_lshl_or_b32 v16, v14, 12, v9
	v_cmp_ne_u32_e32 vcc, 0, v9
	v_lshrrev_b32_e32 v9, v12, v15
	v_lshlrev_b32_e32 v12, v12, v9
	v_cndmask_b32_e32 v7, v5, v7, vcc
	v_cmp_ne_u32_e32 vcc, v12, v15
	v_lshrrev_b32_e32 v13, 16, v13
	s_mov_b64 s[0:1], 0
	v_cndmask_b32_e64 v12, 0, 1, vcc
	v_or_b32_e32 v9, v9, v12
	v_cmp_gt_i32_e32 vcc, 1, v14
	s_nop 1
	v_cndmask_b32_e32 v9, v16, v9, vcc
	v_and_b32_e32 v12, 7, v9
	v_cmp_lt_i32_e32 vcc, 5, v12
	v_lshrrev_b32_e32 v9, 2, v9
	s_nop 0
	v_cndmask_b32_e64 v15, 0, 1, vcc
	v_cmp_eq_u32_e32 vcc, 3, v12
	s_nop 1
	v_cndmask_b32_e64 v12, 0, 1, vcc
	v_or_b32_e32 v12, v12, v15
	v_add_u32_e32 v9, v9, v12
	v_cmp_gt_i32_e32 vcc, 31, v14
	s_nop 1
	v_cndmask_b32_e32 v5, v5, v9, vcc
	v_cmp_eq_u32_e32 vcc, s9, v14
	s_nop 1
	v_cndmask_b32_e32 v5, v5, v7, vcc
	v_and_or_b32 v12, v13, s10, v5
	s_branch .LBB161_1490
.LBB161_1486:
	s_mov_b64 s[0:1], -1
                                        ; implicit-def: $vgpr12
	s_branch .LBB161_1508
.LBB161_1487:
	s_mov_b64 s[0:1], -1
                                        ; implicit-def: $vgpr12
	s_branch .LBB161_1496
.LBB161_1488:
	s_mov_b64 s[0:1], -1
                                        ; implicit-def: $vgpr12
	s_branch .LBB161_1493
.LBB161_1489:
	s_mov_b64 s[0:1], -1
                                        ; implicit-def: $vgpr12
.LBB161_1490:
	s_andn2_b64 vcc, exec, s[0:1]
	s_cbranch_vccnz .LBB161_1492
; %bb.1491:
	global_load_dword v5, v[10:11], off
	s_waitcnt vmcnt(0)
	v_cvt_f16_f32_e32 v12, v5
.LBB161_1492:
	s_mov_b64 s[0:1], 0
.LBB161_1493:
	s_andn2_b64 vcc, exec, s[0:1]
	s_cbranch_vccnz .LBB161_1495
; %bb.1494:
	global_load_dword v12, v[10:11], off
.LBB161_1495:
	s_mov_b64 s[0:1], 0
.LBB161_1496:
	s_andn2_b64 vcc, exec, s[0:1]
	s_cbranch_vccnz .LBB161_1507
; %bb.1497:
	s_cmp_lt_i32 s8, 6
	s_cbranch_scc1 .LBB161_1500
; %bb.1498:
	s_cmp_gt_i32 s8, 6
	s_cbranch_scc0 .LBB161_1501
; %bb.1499:
	global_load_dwordx2 v[12:13], v[10:11], off
	s_movk_i32 s0, 0x1ff
	s_movk_i32 s1, 0xffe
	v_mov_b32_e32 v5, 0x7c00
	v_mov_b32_e32 v7, 0x7e00
	s_movk_i32 s9, 0x40f
	s_mov_b32 s10, 0x8000
	s_waitcnt vmcnt(0)
	v_and_or_b32 v9, v13, s0, v12
	v_cmp_ne_u32_e32 vcc, 0, v9
	v_lshrrev_b32_e32 v12, 8, v13
	v_bfe_u32 v14, v13, 20, 11
	v_cndmask_b32_e64 v9, 0, 1, vcc
	v_sub_u32_e32 v15, 0x3f1, v14
	v_and_or_b32 v9, v12, s1, v9
	v_add_u32_e32 v14, 0xfffffc10, v14
	v_med3_i32 v12, v15, 0, 13
	v_or_b32_e32 v15, 0x1000, v9
	v_lshl_or_b32 v16, v14, 12, v9
	v_cmp_ne_u32_e32 vcc, 0, v9
	v_lshrrev_b32_e32 v9, v12, v15
	v_lshlrev_b32_e32 v12, v12, v9
	v_cndmask_b32_e32 v7, v5, v7, vcc
	v_cmp_ne_u32_e32 vcc, v12, v15
	v_lshrrev_b32_e32 v13, 16, v13
	s_mov_b64 s[0:1], 0
	v_cndmask_b32_e64 v12, 0, 1, vcc
	v_or_b32_e32 v9, v9, v12
	v_cmp_gt_i32_e32 vcc, 1, v14
	s_nop 1
	v_cndmask_b32_e32 v9, v16, v9, vcc
	v_and_b32_e32 v12, 7, v9
	v_cmp_lt_i32_e32 vcc, 5, v12
	v_lshrrev_b32_e32 v9, 2, v9
	s_nop 0
	v_cndmask_b32_e64 v15, 0, 1, vcc
	v_cmp_eq_u32_e32 vcc, 3, v12
	s_nop 1
	v_cndmask_b32_e64 v12, 0, 1, vcc
	v_or_b32_e32 v12, v12, v15
	v_add_u32_e32 v9, v9, v12
	v_cmp_gt_i32_e32 vcc, 31, v14
	s_nop 1
	v_cndmask_b32_e32 v5, v5, v9, vcc
	v_cmp_eq_u32_e32 vcc, s9, v14
	s_nop 1
	v_cndmask_b32_e32 v5, v5, v7, vcc
	v_and_or_b32 v12, v13, s10, v5
	s_branch .LBB161_1502
.LBB161_1500:
	s_mov_b64 s[0:1], -1
                                        ; implicit-def: $vgpr12
	s_branch .LBB161_1505
.LBB161_1501:
	s_mov_b64 s[0:1], -1
                                        ; implicit-def: $vgpr12
.LBB161_1502:
	s_andn2_b64 vcc, exec, s[0:1]
	s_cbranch_vccnz .LBB161_1504
; %bb.1503:
	global_load_dword v5, v[10:11], off
	s_waitcnt vmcnt(0)
	v_cvt_f16_f32_e32 v12, v5
.LBB161_1504:
	s_mov_b64 s[0:1], 0
.LBB161_1505:
	s_andn2_b64 vcc, exec, s[0:1]
	s_cbranch_vccnz .LBB161_1507
; %bb.1506:
	global_load_ushort v12, v[10:11], off
.LBB161_1507:
	s_mov_b64 s[0:1], 0
.LBB161_1508:
	s_andn2_b64 vcc, exec, s[0:1]
	s_cbranch_vccnz .LBB161_1528
; %bb.1509:
	s_cmp_lt_i32 s8, 2
	s_cbranch_scc1 .LBB161_1513
; %bb.1510:
	s_cmp_lt_i32 s8, 3
	s_cbranch_scc1 .LBB161_1514
; %bb.1511:
	s_cmp_gt_i32 s8, 3
	s_cbranch_scc0 .LBB161_1515
; %bb.1512:
	global_load_dwordx2 v[12:13], v[10:11], off
	s_mov_b64 s[0:1], 0
	s_waitcnt vmcnt(0)
	v_xor_b32_e32 v7, v12, v13
	v_ffbh_i32_e32 v5, v13
	v_ashrrev_i32_e32 v7, 31, v7
	v_add_u32_e32 v5, -1, v5
	v_add_u32_e32 v7, 32, v7
	v_min_u32_e32 v5, v5, v7
	v_lshlrev_b64 v[12:13], v5, v[12:13]
	v_min_u32_e32 v7, 1, v12
	v_or_b32_e32 v7, v13, v7
	v_cvt_f32_i32_e32 v7, v7
	v_sub_u32_e32 v5, 32, v5
	v_ldexp_f32 v5, v7, v5
	v_cvt_f16_f32_e32 v12, v5
	s_branch .LBB161_1516
.LBB161_1513:
	s_mov_b64 s[0:1], -1
                                        ; implicit-def: $vgpr12
	s_branch .LBB161_1522
.LBB161_1514:
	s_mov_b64 s[0:1], -1
                                        ; implicit-def: $vgpr12
	s_branch .LBB161_1519
.LBB161_1515:
	s_mov_b64 s[0:1], -1
                                        ; implicit-def: $vgpr12
.LBB161_1516:
	s_andn2_b64 vcc, exec, s[0:1]
	s_cbranch_vccnz .LBB161_1518
; %bb.1517:
	global_load_dword v5, v[10:11], off
	s_waitcnt vmcnt(0)
	v_cvt_f32_i32_e32 v5, v5
	v_cvt_f16_f32_e32 v12, v5
.LBB161_1518:
	s_mov_b64 s[0:1], 0
.LBB161_1519:
	s_andn2_b64 vcc, exec, s[0:1]
	s_cbranch_vccnz .LBB161_1521
; %bb.1520:
	global_load_ushort v5, v[10:11], off
	s_waitcnt vmcnt(0)
	v_cvt_f16_i16_e32 v12, v5
.LBB161_1521:
	s_mov_b64 s[0:1], 0
.LBB161_1522:
	s_andn2_b64 vcc, exec, s[0:1]
	s_cbranch_vccnz .LBB161_1528
; %bb.1523:
	s_cmp_gt_i32 s8, 0
	s_cbranch_scc0 .LBB161_1525
; %bb.1524:
	global_load_sbyte v5, v[10:11], off
	s_mov_b64 s[0:1], 0
	s_waitcnt vmcnt(0)
	v_cvt_f16_i16_e32 v12, v5
	s_branch .LBB161_1526
.LBB161_1525:
	s_mov_b64 s[0:1], -1
                                        ; implicit-def: $vgpr12
.LBB161_1526:
	s_andn2_b64 vcc, exec, s[0:1]
	s_cbranch_vccnz .LBB161_1528
; %bb.1527:
	global_load_ubyte v5, v[10:11], off
	s_waitcnt vmcnt(0)
	v_cvt_f16_u16_e32 v12, v5
.LBB161_1528:
.LBB161_1529:
	v_mov_b32_e32 v9, 0
	s_cmp_lt_i32 s17, 11
	v_lshl_add_u64 v[8:9], s[6:7], 0, v[8:9]
	s_cbranch_scc1 .LBB161_1536
; %bb.1530:
	s_and_b32 s14, 0xffff, s17
	s_cmp_gt_i32 s14, 25
	s_mov_b64 s[6:7], 0
	s_cbranch_scc0 .LBB161_1537
; %bb.1531:
	s_cmp_gt_i32 s14, 28
	s_cbranch_scc0 .LBB161_1538
; %bb.1532:
	s_cmp_gt_i32 s14, 43
	;; [unrolled: 3-line block ×3, first 2 shown]
	s_cbranch_scc0 .LBB161_1541
; %bb.1534:
	s_cmp_eq_u32 s14, 46
	s_mov_b64 s[10:11], 0
	s_cbranch_scc0 .LBB161_1542
; %bb.1535:
	global_load_dword v5, v[8:9], off
	s_mov_b64 s[0:1], 0
	s_mov_b64 s[8:9], -1
	s_waitcnt vmcnt(0)
	v_lshlrev_b32_e32 v5, 16, v5
	v_cvt_f16_f32_e32 v10, v5
	s_branch .LBB161_1543
.LBB161_1536:
	s_mov_b64 s[0:1], -1
	s_mov_b64 s[8:9], 0
                                        ; implicit-def: $vgpr10
	s_branch .LBB161_1609
.LBB161_1537:
	s_mov_b64 s[10:11], -1
	s_mov_b64 s[8:9], 0
	s_mov_b64 s[0:1], 0
                                        ; implicit-def: $vgpr10
	s_branch .LBB161_1572
.LBB161_1538:
	s_mov_b64 s[10:11], -1
	s_mov_b64 s[8:9], 0
	s_mov_b64 s[0:1], 0
                                        ; implicit-def: $vgpr10
	s_branch .LBB161_1553
.LBB161_1539:
	s_mov_b64 s[10:11], -1
	s_mov_b64 s[8:9], 0
	s_mov_b64 s[0:1], 0
                                        ; implicit-def: $vgpr10
	s_branch .LBB161_1548
.LBB161_1540:
	s_trap 2
	s_or_b64 s[2:3], s[2:3], exec
	s_cbranch_execz .LBB161_1479
	s_branch .LBB161_1480
.LBB161_1541:
	s_mov_b64 s[10:11], -1
	s_mov_b64 s[8:9], 0
	s_mov_b64 s[0:1], 0
                                        ; implicit-def: $vgpr10
	s_branch .LBB161_1543
.LBB161_1542:
	s_mov_b64 s[0:1], -1
                                        ; implicit-def: $vgpr10
	s_mov_b64 s[8:9], 0
.LBB161_1543:
	s_and_b64 vcc, exec, s[10:11]
	s_cbranch_vccz .LBB161_1547
; %bb.1544:
	s_cmp_eq_u32 s14, 44
	s_cbranch_scc0 .LBB161_1546
; %bb.1545:
	global_load_ubyte v5, v[8:9], off
	s_movk_i32 s8, 0xff
	v_mov_b32_e32 v10, 0x7e00
	s_mov_b64 s[0:1], 0
	s_waitcnt vmcnt(0)
	v_lshlrev_b32_e32 v7, 23, v5
	v_cvt_f16_f32_e32 v7, v7
	v_cmp_ne_u32_e32 vcc, s8, v5
	s_mov_b64 s[8:9], -1
	s_nop 0
	v_cndmask_b32_e32 v7, v10, v7, vcc
	v_cmp_ne_u32_e32 vcc, 0, v5
	s_nop 1
	v_cndmask_b32_e32 v10, 0, v7, vcc
	s_branch .LBB161_1547
.LBB161_1546:
	s_mov_b64 s[0:1], -1
                                        ; implicit-def: $vgpr10
.LBB161_1547:
	s_mov_b64 s[10:11], 0
.LBB161_1548:
	s_and_b64 vcc, exec, s[10:11]
	s_cbranch_vccz .LBB161_1552
; %bb.1549:
	s_cmp_eq_u32 s14, 29
	s_cbranch_scc0 .LBB161_1551
; %bb.1550:
	global_load_dwordx2 v[10:11], v[8:9], off
	s_mov_b64 s[0:1], 0
	s_mov_b64 s[8:9], -1
	s_mov_b64 s[10:11], 0
	s_waitcnt vmcnt(0)
	v_ffbh_u32_e32 v5, v11
	v_min_u32_e32 v5, 32, v5
	v_lshlrev_b64 v[10:11], v5, v[10:11]
	v_min_u32_e32 v7, 1, v10
	v_or_b32_e32 v7, v11, v7
	v_cvt_f32_u32_e32 v7, v7
	v_sub_u32_e32 v5, 32, v5
	v_ldexp_f32 v5, v7, v5
	v_cvt_f16_f32_e32 v10, v5
	s_branch .LBB161_1553
.LBB161_1551:
	s_mov_b64 s[0:1], -1
                                        ; implicit-def: $vgpr10
.LBB161_1552:
	s_mov_b64 s[10:11], 0
.LBB161_1553:
	s_and_b64 vcc, exec, s[10:11]
	s_cbranch_vccz .LBB161_1571
; %bb.1554:
	s_cmp_lt_i32 s14, 27
	s_cbranch_scc1 .LBB161_1557
; %bb.1555:
	s_cmp_gt_i32 s14, 27
	s_cbranch_scc0 .LBB161_1558
; %bb.1556:
	global_load_dword v5, v[8:9], off
	s_mov_b64 s[8:9], 0
	s_waitcnt vmcnt(0)
	v_cvt_f32_u32_e32 v5, v5
	v_cvt_f16_f32_e32 v10, v5
	s_branch .LBB161_1559
.LBB161_1557:
	s_mov_b64 s[8:9], -1
                                        ; implicit-def: $vgpr10
	s_branch .LBB161_1562
.LBB161_1558:
	s_mov_b64 s[8:9], -1
                                        ; implicit-def: $vgpr10
.LBB161_1559:
	s_andn2_b64 vcc, exec, s[8:9]
	s_cbranch_vccnz .LBB161_1561
; %bb.1560:
	global_load_ushort v5, v[8:9], off
	s_waitcnt vmcnt(0)
	v_cvt_f16_u16_e32 v10, v5
.LBB161_1561:
	s_mov_b64 s[8:9], 0
.LBB161_1562:
	s_andn2_b64 vcc, exec, s[8:9]
	s_cbranch_vccnz .LBB161_1570
; %bb.1563:
	global_load_ubyte v5, v[8:9], off
	s_movk_i32 s8, 0x7f
	s_waitcnt vmcnt(0)
	v_cmp_lt_i16_e32 vcc, s8, v5
	s_mov_b64 s[8:9], 0
	s_and_saveexec_b64 s[10:11], vcc
	s_xor_b64 s[10:11], exec, s[10:11]
	s_cbranch_execz .LBB161_1584
; %bb.1564:
	s_movk_i32 s8, 0x80
	v_cmp_eq_u16_e32 vcc, s8, v5
	s_mov_b64 s[8:9], -1
	s_and_saveexec_b64 s[12:13], vcc
; %bb.1565:
	s_xor_b64 s[8:9], exec, -1
; %bb.1566:
	s_or_b64 exec, exec, s[12:13]
	s_and_b64 s[8:9], s[8:9], exec
	s_or_saveexec_b64 s[10:11], s[10:11]
	v_mov_b32_e32 v10, 0x7e00
	s_xor_b64 exec, exec, s[10:11]
	s_cbranch_execnz .LBB161_1585
.LBB161_1567:
	s_or_b64 exec, exec, s[10:11]
	s_and_saveexec_b64 s[10:11], s[8:9]
	s_cbranch_execz .LBB161_1569
.LBB161_1568:
	v_lshlrev_b32_e32 v7, 24, v5
	v_and_b32_e32 v5, 0xffff, v5
	v_and_b32_e32 v10, 7, v5
	v_ffbh_u32_e32 v13, v10
	v_min_u32_e32 v13, 32, v13
	v_subrev_u32_e32 v14, 28, v13
	v_bfe_u32 v11, v5, 3, 4
	v_lshlrev_b32_e32 v5, v14, v5
	v_sub_u32_e32 v13, 29, v13
	v_and_b32_e32 v5, 7, v5
	v_cmp_eq_u32_e32 vcc, 0, v11
	v_and_b32_e32 v7, 0x80000000, v7
	s_nop 0
	v_cndmask_b32_e32 v11, v11, v13, vcc
	v_cndmask_b32_e32 v5, v10, v5, vcc
	v_mov_b32_e32 v10, 0x3b800000
	v_lshlrev_b32_e32 v5, 20, v5
	v_lshl_add_u32 v10, v11, 23, v10
	v_or3_b32 v5, v7, v10, v5
	v_cvt_f16_f32_e32 v10, v5
.LBB161_1569:
	s_or_b64 exec, exec, s[10:11]
.LBB161_1570:
	s_mov_b64 s[8:9], -1
.LBB161_1571:
	s_mov_b64 s[10:11], 0
.LBB161_1572:
	s_and_b64 vcc, exec, s[10:11]
	s_cbranch_vccz .LBB161_1605
; %bb.1573:
	s_cmp_gt_i32 s14, 22
	s_cbranch_scc0 .LBB161_1583
; %bb.1574:
	s_cmp_lt_i32 s14, 24
	s_cbranch_scc1 .LBB161_1586
; %bb.1575:
	s_cmp_gt_i32 s14, 24
	s_cbranch_scc0 .LBB161_1587
; %bb.1576:
	global_load_ubyte v5, v[8:9], off
	s_movk_i32 s6, 0x7f
	s_waitcnt vmcnt(0)
	v_cmp_lt_i16_e32 vcc, s6, v5
	s_mov_b64 s[6:7], 0
	s_and_saveexec_b64 s[8:9], vcc
	s_xor_b64 s[8:9], exec, s[8:9]
	s_cbranch_execz .LBB161_1599
; %bb.1577:
	s_movk_i32 s6, 0x80
	v_cmp_eq_u16_e32 vcc, s6, v5
	s_mov_b64 s[6:7], -1
	s_and_saveexec_b64 s[10:11], vcc
; %bb.1578:
	s_xor_b64 s[6:7], exec, -1
; %bb.1579:
	s_or_b64 exec, exec, s[10:11]
	s_and_b64 s[6:7], s[6:7], exec
	s_or_saveexec_b64 s[8:9], s[8:9]
	v_mov_b32_e32 v10, 0x7e00
	s_xor_b64 exec, exec, s[8:9]
	s_cbranch_execnz .LBB161_1600
.LBB161_1580:
	s_or_b64 exec, exec, s[8:9]
	s_and_saveexec_b64 s[8:9], s[6:7]
	s_cbranch_execz .LBB161_1582
.LBB161_1581:
	v_lshlrev_b32_e32 v7, 24, v5
	v_and_b32_e32 v5, 0xffff, v5
	v_and_b32_e32 v10, 3, v5
	v_ffbh_u32_e32 v13, v10
	v_min_u32_e32 v13, 32, v13
	v_subrev_u32_e32 v14, 29, v13
	v_bfe_u32 v11, v5, 2, 5
	v_lshlrev_b32_e32 v5, v14, v5
	v_sub_u32_e32 v13, 30, v13
	v_and_b32_e32 v5, 3, v5
	v_cmp_eq_u32_e32 vcc, 0, v11
	v_and_b32_e32 v7, 0x80000000, v7
	s_nop 0
	v_cndmask_b32_e32 v11, v11, v13, vcc
	v_cndmask_b32_e32 v5, v10, v5, vcc
	v_mov_b32_e32 v10, 0x37800000
	v_lshlrev_b32_e32 v5, 21, v5
	v_lshl_add_u32 v10, v11, 23, v10
	v_or3_b32 v5, v7, v10, v5
	v_cvt_f16_f32_e32 v10, v5
.LBB161_1582:
	s_or_b64 exec, exec, s[8:9]
	s_mov_b64 s[6:7], 0
	s_branch .LBB161_1588
.LBB161_1583:
	s_mov_b64 s[6:7], -1
                                        ; implicit-def: $vgpr10
	s_branch .LBB161_1594
.LBB161_1584:
	s_or_saveexec_b64 s[10:11], s[10:11]
	v_mov_b32_e32 v10, 0x7e00
	s_xor_b64 exec, exec, s[10:11]
	s_cbranch_execz .LBB161_1567
.LBB161_1585:
	v_cmp_ne_u16_e32 vcc, 0, v5
	s_andn2_b64 s[8:9], s[8:9], exec
	s_and_b64 s[12:13], vcc, exec
	s_or_b64 s[8:9], s[8:9], s[12:13]
	v_mov_b32_e32 v10, v5
	s_or_b64 exec, exec, s[10:11]
	s_and_saveexec_b64 s[10:11], s[8:9]
	s_cbranch_execnz .LBB161_1568
	s_branch .LBB161_1569
.LBB161_1586:
	s_mov_b64 s[6:7], -1
                                        ; implicit-def: $vgpr10
	s_branch .LBB161_1591
.LBB161_1587:
	s_mov_b64 s[6:7], -1
                                        ; implicit-def: $vgpr10
.LBB161_1588:
	s_and_b64 vcc, exec, s[6:7]
	s_cbranch_vccz .LBB161_1590
; %bb.1589:
	global_load_ubyte v5, v[8:9], off
	s_mov_b32 s6, 0x7f800000
	s_waitcnt vmcnt(0)
	v_lshlrev_b32_e32 v5, 24, v5
	v_and_b32_e32 v7, 0x7f000000, v5
	v_ffbh_u32_e32 v10, v7
	v_min_u32_e32 v10, 32, v10
	v_sub_u32_e64 v10, v10, 4 clamp
	v_lshlrev_b32_e32 v13, v10, v7
	v_lshlrev_b32_e32 v10, 23, v10
	v_lshrrev_b32_e32 v13, 4, v13
	v_add_u32_e32 v11, 0x1000000, v7
	v_sub_u32_e32 v10, v13, v10
	v_ashrrev_i32_e32 v11, 8, v11
	v_add_u32_e32 v10, 0x3c000000, v10
	v_and_or_b32 v10, v11, s6, v10
	v_cmp_ne_u32_e32 vcc, 0, v7
	s_brev_b32 s6, 1
	s_nop 0
	v_cndmask_b32_e32 v7, 0, v10, vcc
	v_and_or_b32 v5, v5, s6, v7
	v_cvt_f16_f32_e32 v10, v5
.LBB161_1590:
	s_mov_b64 s[6:7], 0
.LBB161_1591:
	s_andn2_b64 vcc, exec, s[6:7]
	s_cbranch_vccnz .LBB161_1593
; %bb.1592:
	global_load_ubyte v5, v[8:9], off
	s_movk_i32 s6, 0x7f00
	s_brev_b32 s7, 16
	s_waitcnt vmcnt(0)
	v_lshlrev_b16_e32 v7, 8, v5
	v_lshlrev_b32_e32 v5, 25, v5
	v_lshrrev_b32_e32 v10, 4, v5
	v_and_or_b32 v11, v7, s6, 0.5
	v_or_b32_e32 v10, 0x70000000, v10
	v_add_f32_e32 v11, -0.5, v11
	v_mul_f32_e32 v10, 0x7800000, v10
	v_cmp_gt_u32_e32 vcc, s7, v5
	v_bfe_i32 v7, v7, 0, 16
	s_brev_b32 s6, 1
	v_cndmask_b32_e32 v5, v10, v11, vcc
	v_and_or_b32 v5, v7, s6, v5
	v_cvt_f16_f32_e32 v10, v5
.LBB161_1593:
	s_mov_b64 s[6:7], 0
	s_mov_b64 s[8:9], -1
.LBB161_1594:
	s_andn2_b64 vcc, exec, s[6:7]
	s_mov_b64 s[6:7], 0
	s_cbranch_vccnz .LBB161_1605
; %bb.1595:
	s_cmp_gt_i32 s14, 14
	s_cbranch_scc0 .LBB161_1598
; %bb.1596:
	s_cmp_eq_u32 s14, 15
	s_cbranch_scc0 .LBB161_1601
; %bb.1597:
	global_load_ushort v5, v[8:9], off
	s_mov_b64 s[0:1], 0
	s_mov_b64 s[8:9], -1
	s_waitcnt vmcnt(0)
	v_lshlrev_b32_e32 v5, 16, v5
	v_cvt_f16_f32_e32 v10, v5
	s_branch .LBB161_1602
.LBB161_1598:
	s_mov_b64 s[10:11], -1
                                        ; implicit-def: $vgpr10
	s_branch .LBB161_1603
.LBB161_1599:
	s_or_saveexec_b64 s[8:9], s[8:9]
	v_mov_b32_e32 v10, 0x7e00
	s_xor_b64 exec, exec, s[8:9]
	s_cbranch_execz .LBB161_1580
.LBB161_1600:
	v_cmp_ne_u16_e32 vcc, 0, v5
	s_andn2_b64 s[6:7], s[6:7], exec
	s_and_b64 s[10:11], vcc, exec
	s_or_b64 s[6:7], s[6:7], s[10:11]
	v_mov_b32_e32 v10, v5
	s_or_b64 exec, exec, s[8:9]
	s_and_saveexec_b64 s[8:9], s[6:7]
	s_cbranch_execnz .LBB161_1581
	s_branch .LBB161_1582
.LBB161_1601:
	s_mov_b64 s[0:1], -1
                                        ; implicit-def: $vgpr10
.LBB161_1602:
	s_mov_b64 s[10:11], 0
.LBB161_1603:
	s_and_b64 vcc, exec, s[10:11]
	s_cbranch_vccz .LBB161_1605
; %bb.1604:
	s_cmp_lg_u32 s14, 11
	s_mov_b64 s[6:7], -1
	s_cselect_b64 s[0:1], -1, 0
.LBB161_1605:
	s_and_b64 vcc, exec, s[0:1]
	s_cbranch_vccnz .LBB161_2138
; %bb.1606:
	s_andn2_b64 vcc, exec, s[6:7]
	s_cbranch_vccnz .LBB161_1608
.LBB161_1607:
	global_load_ubyte v5, v[8:9], off
	v_mov_b32_e32 v7, 0x3c00
	s_mov_b64 s[8:9], -1
	s_waitcnt vmcnt(0)
	v_cmp_ne_u16_e32 vcc, 0, v5
	s_nop 1
	v_cndmask_b32_e32 v10, 0, v7, vcc
.LBB161_1608:
	s_mov_b64 s[0:1], 0
.LBB161_1609:
	s_and_b64 vcc, exec, s[0:1]
	s_cbranch_vccz .LBB161_1658
; %bb.1610:
	s_and_b32 s6, 0xffff, s17
	s_cmp_lt_i32 s6, 5
	s_cbranch_scc1 .LBB161_1615
; %bb.1611:
	s_cmp_lt_i32 s6, 8
	s_cbranch_scc1 .LBB161_1616
; %bb.1612:
	;; [unrolled: 3-line block ×3, first 2 shown]
	s_cmp_gt_i32 s6, 9
	s_cbranch_scc0 .LBB161_1618
; %bb.1614:
	global_load_dwordx2 v[10:11], v[8:9], off
	s_movk_i32 s0, 0x1ff
	s_movk_i32 s1, 0xffe
	v_mov_b32_e32 v5, 0x7c00
	v_mov_b32_e32 v7, 0x7e00
	s_movk_i32 s7, 0x40f
	s_mov_b32 s8, 0x8000
	s_waitcnt vmcnt(0)
	v_and_or_b32 v10, v11, s0, v10
	v_cmp_ne_u32_e32 vcc, 0, v10
	v_lshrrev_b32_e32 v13, 8, v11
	v_bfe_u32 v14, v11, 20, 11
	v_cndmask_b32_e64 v10, 0, 1, vcc
	v_sub_u32_e32 v15, 0x3f1, v14
	v_and_or_b32 v10, v13, s1, v10
	v_add_u32_e32 v14, 0xfffffc10, v14
	v_med3_i32 v13, v15, 0, 13
	v_or_b32_e32 v15, 0x1000, v10
	v_lshl_or_b32 v16, v14, 12, v10
	v_cmp_ne_u32_e32 vcc, 0, v10
	v_lshrrev_b32_e32 v10, v13, v15
	v_lshlrev_b32_e32 v13, v13, v10
	v_cndmask_b32_e32 v7, v5, v7, vcc
	v_cmp_ne_u32_e32 vcc, v13, v15
	v_lshrrev_b32_e32 v11, 16, v11
	s_mov_b64 s[0:1], 0
	v_cndmask_b32_e64 v13, 0, 1, vcc
	v_or_b32_e32 v10, v10, v13
	v_cmp_gt_i32_e32 vcc, 1, v14
	s_nop 1
	v_cndmask_b32_e32 v10, v16, v10, vcc
	v_and_b32_e32 v13, 7, v10
	v_cmp_lt_i32_e32 vcc, 5, v13
	v_lshrrev_b32_e32 v10, 2, v10
	s_nop 0
	v_cndmask_b32_e64 v15, 0, 1, vcc
	v_cmp_eq_u32_e32 vcc, 3, v13
	s_nop 1
	v_cndmask_b32_e64 v13, 0, 1, vcc
	v_or_b32_e32 v13, v13, v15
	v_add_u32_e32 v10, v10, v13
	v_cmp_gt_i32_e32 vcc, 31, v14
	s_nop 1
	v_cndmask_b32_e32 v5, v5, v10, vcc
	v_cmp_eq_u32_e32 vcc, s7, v14
	s_nop 1
	v_cndmask_b32_e32 v5, v5, v7, vcc
	v_and_or_b32 v10, v11, s8, v5
	s_branch .LBB161_1619
.LBB161_1615:
	s_mov_b64 s[0:1], -1
                                        ; implicit-def: $vgpr10
	s_branch .LBB161_1637
.LBB161_1616:
	s_mov_b64 s[0:1], -1
                                        ; implicit-def: $vgpr10
	s_branch .LBB161_1625
.LBB161_1617:
	s_mov_b64 s[0:1], -1
                                        ; implicit-def: $vgpr10
	s_branch .LBB161_1622
.LBB161_1618:
	s_mov_b64 s[0:1], -1
                                        ; implicit-def: $vgpr10
.LBB161_1619:
	s_andn2_b64 vcc, exec, s[0:1]
	s_cbranch_vccnz .LBB161_1621
; %bb.1620:
	global_load_dword v5, v[8:9], off
	s_waitcnt vmcnt(0)
	v_cvt_f16_f32_e32 v10, v5
.LBB161_1621:
	s_mov_b64 s[0:1], 0
.LBB161_1622:
	s_andn2_b64 vcc, exec, s[0:1]
	s_cbranch_vccnz .LBB161_1624
; %bb.1623:
	global_load_dword v10, v[8:9], off
.LBB161_1624:
	s_mov_b64 s[0:1], 0
.LBB161_1625:
	s_andn2_b64 vcc, exec, s[0:1]
	s_cbranch_vccnz .LBB161_1636
; %bb.1626:
	s_cmp_lt_i32 s6, 6
	s_cbranch_scc1 .LBB161_1629
; %bb.1627:
	s_cmp_gt_i32 s6, 6
	s_cbranch_scc0 .LBB161_1630
; %bb.1628:
	global_load_dwordx2 v[10:11], v[8:9], off
	s_movk_i32 s0, 0x1ff
	s_movk_i32 s1, 0xffe
	v_mov_b32_e32 v5, 0x7c00
	v_mov_b32_e32 v7, 0x7e00
	s_movk_i32 s7, 0x40f
	s_mov_b32 s8, 0x8000
	s_waitcnt vmcnt(0)
	v_and_or_b32 v10, v11, s0, v10
	v_cmp_ne_u32_e32 vcc, 0, v10
	v_lshrrev_b32_e32 v13, 8, v11
	v_bfe_u32 v14, v11, 20, 11
	v_cndmask_b32_e64 v10, 0, 1, vcc
	v_sub_u32_e32 v15, 0x3f1, v14
	v_and_or_b32 v10, v13, s1, v10
	v_add_u32_e32 v14, 0xfffffc10, v14
	v_med3_i32 v13, v15, 0, 13
	v_or_b32_e32 v15, 0x1000, v10
	v_lshl_or_b32 v16, v14, 12, v10
	v_cmp_ne_u32_e32 vcc, 0, v10
	v_lshrrev_b32_e32 v10, v13, v15
	v_lshlrev_b32_e32 v13, v13, v10
	v_cndmask_b32_e32 v7, v5, v7, vcc
	v_cmp_ne_u32_e32 vcc, v13, v15
	v_lshrrev_b32_e32 v11, 16, v11
	s_mov_b64 s[0:1], 0
	v_cndmask_b32_e64 v13, 0, 1, vcc
	v_or_b32_e32 v10, v10, v13
	v_cmp_gt_i32_e32 vcc, 1, v14
	s_nop 1
	v_cndmask_b32_e32 v10, v16, v10, vcc
	v_and_b32_e32 v13, 7, v10
	v_cmp_lt_i32_e32 vcc, 5, v13
	v_lshrrev_b32_e32 v10, 2, v10
	s_nop 0
	v_cndmask_b32_e64 v15, 0, 1, vcc
	v_cmp_eq_u32_e32 vcc, 3, v13
	s_nop 1
	v_cndmask_b32_e64 v13, 0, 1, vcc
	v_or_b32_e32 v13, v13, v15
	v_add_u32_e32 v10, v10, v13
	v_cmp_gt_i32_e32 vcc, 31, v14
	s_nop 1
	v_cndmask_b32_e32 v5, v5, v10, vcc
	v_cmp_eq_u32_e32 vcc, s7, v14
	s_nop 1
	v_cndmask_b32_e32 v5, v5, v7, vcc
	v_and_or_b32 v10, v11, s8, v5
	s_branch .LBB161_1631
.LBB161_1629:
	s_mov_b64 s[0:1], -1
                                        ; implicit-def: $vgpr10
	s_branch .LBB161_1634
.LBB161_1630:
	s_mov_b64 s[0:1], -1
                                        ; implicit-def: $vgpr10
.LBB161_1631:
	s_andn2_b64 vcc, exec, s[0:1]
	s_cbranch_vccnz .LBB161_1633
; %bb.1632:
	global_load_dword v5, v[8:9], off
	s_waitcnt vmcnt(0)
	v_cvt_f16_f32_e32 v10, v5
.LBB161_1633:
	s_mov_b64 s[0:1], 0
.LBB161_1634:
	s_andn2_b64 vcc, exec, s[0:1]
	s_cbranch_vccnz .LBB161_1636
; %bb.1635:
	global_load_ushort v10, v[8:9], off
.LBB161_1636:
	s_mov_b64 s[0:1], 0
.LBB161_1637:
	s_andn2_b64 vcc, exec, s[0:1]
	s_cbranch_vccnz .LBB161_1657
; %bb.1638:
	s_cmp_lt_i32 s6, 2
	s_cbranch_scc1 .LBB161_1642
; %bb.1639:
	s_cmp_lt_i32 s6, 3
	s_cbranch_scc1 .LBB161_1643
; %bb.1640:
	s_cmp_gt_i32 s6, 3
	s_cbranch_scc0 .LBB161_1644
; %bb.1641:
	global_load_dwordx2 v[10:11], v[8:9], off
	s_mov_b64 s[0:1], 0
	s_waitcnt vmcnt(0)
	v_xor_b32_e32 v7, v10, v11
	v_ffbh_i32_e32 v5, v11
	v_ashrrev_i32_e32 v7, 31, v7
	v_add_u32_e32 v5, -1, v5
	v_add_u32_e32 v7, 32, v7
	v_min_u32_e32 v5, v5, v7
	v_lshlrev_b64 v[10:11], v5, v[10:11]
	v_min_u32_e32 v7, 1, v10
	v_or_b32_e32 v7, v11, v7
	v_cvt_f32_i32_e32 v7, v7
	v_sub_u32_e32 v5, 32, v5
	v_ldexp_f32 v5, v7, v5
	v_cvt_f16_f32_e32 v10, v5
	s_branch .LBB161_1645
.LBB161_1642:
	s_mov_b64 s[0:1], -1
                                        ; implicit-def: $vgpr10
	s_branch .LBB161_1651
.LBB161_1643:
	s_mov_b64 s[0:1], -1
                                        ; implicit-def: $vgpr10
	s_branch .LBB161_1648
.LBB161_1644:
	s_mov_b64 s[0:1], -1
                                        ; implicit-def: $vgpr10
.LBB161_1645:
	s_andn2_b64 vcc, exec, s[0:1]
	s_cbranch_vccnz .LBB161_1647
; %bb.1646:
	global_load_dword v5, v[8:9], off
	s_waitcnt vmcnt(0)
	v_cvt_f32_i32_e32 v5, v5
	v_cvt_f16_f32_e32 v10, v5
.LBB161_1647:
	s_mov_b64 s[0:1], 0
.LBB161_1648:
	s_andn2_b64 vcc, exec, s[0:1]
	s_cbranch_vccnz .LBB161_1650
; %bb.1649:
	global_load_ushort v5, v[8:9], off
	s_waitcnt vmcnt(0)
	v_cvt_f16_i16_e32 v10, v5
.LBB161_1650:
	s_mov_b64 s[0:1], 0
.LBB161_1651:
	s_andn2_b64 vcc, exec, s[0:1]
	s_cbranch_vccnz .LBB161_1657
; %bb.1652:
	s_cmp_gt_i32 s6, 0
	s_cbranch_scc0 .LBB161_1654
; %bb.1653:
	global_load_sbyte v5, v[8:9], off
	s_mov_b64 s[0:1], 0
	s_waitcnt vmcnt(0)
	v_cvt_f16_i16_e32 v10, v5
	s_branch .LBB161_1655
.LBB161_1654:
	s_mov_b64 s[0:1], -1
                                        ; implicit-def: $vgpr10
.LBB161_1655:
	s_andn2_b64 vcc, exec, s[0:1]
	s_cbranch_vccnz .LBB161_1657
; %bb.1656:
	global_load_ubyte v5, v[8:9], off
	s_waitcnt vmcnt(0)
	v_cvt_f16_u16_e32 v10, v5
.LBB161_1657:
	s_mov_b64 s[8:9], -1
.LBB161_1658:
	s_andn2_b64 vcc, exec, s[8:9]
	s_cbranch_vccnz .LBB161_2092
; %bb.1659:
	s_waitcnt vmcnt(0)
	v_cvt_f32_f16_e32 v5, v1
	s_mov_b32 s0, 0xbf317218
	v_mov_b32_e32 v7, 0x3ab69700
	s_bfe_u32 s14, s16, 0x80008
	v_mul_f32_e32 v8, 0x3fb8aa3b, v5
	v_rndne_f32_e32 v8, v8
	v_fma_mix_f32 v9, v8, s0, v1 op_sel_hi:[0,0,1]
	v_fmamk_f32 v9, v8, 0x3102e308, v9
	v_fmac_f32_e32 v7, 0x395133b1, v9
	v_fmaak_f32 v7, v9, v7, 0x3c0887f9
	v_fmaak_f32 v7, v9, v7, 0x3d2aaa81
	v_cvt_i32_f32_e32 v11, v8
	v_fmaak_f32 v7, v9, v7, 0x3e2aaaab
	v_fma_f32 v7, v9, v7, 0.5
	v_mul_f32_e32 v7, v9, v7
	s_mov_b32 s0, 0x43000000
	v_fmac_f32_e32 v9, v9, v7
	v_ldexp_f32 v7, 1.0, v11
	v_mov_b32_e32 v11, 0x7f000000
	v_cmp_eq_f32_e32 vcc, s0, v8
	s_mov_b32 s0, 0x42b17217
	s_cmp_lt_i32 s14, 11
	v_cndmask_b32_e32 v7, v7, v11, vcc
	v_add_f32_e32 v8, -1.0, v7
	v_fmac_f32_e32 v8, v7, v9
	v_add_f32_e32 v7, v8, v8
	v_cndmask_b32_e32 v7, v8, v7, vcc
	v_mov_b32_e32 v8, 0x7f800000
	v_cmp_nlt_f32_e32 vcc, s0, v5
	s_mov_b32 s0, 0xcc40
	s_nop 0
	v_cndmask_b32_e32 v5, v8, v7, vcc
	v_cvt_f16_f32_e32 v5, v5
	v_mov_b32_e32 v7, 0xbc00
	v_cmp_ngt_f16_e32 vcc, s0, v1
	s_nop 1
	v_cndmask_b32_e32 v1, v7, v5, vcc
	v_mov_b32_e32 v7, 0
	v_lshl_add_u64 v[6:7], s[4:5], 0, v[6:7]
	s_cbranch_scc1 .LBB161_1737
; %bb.1660:
	s_and_b32 s15, 0xffff, s14
	s_mov_b64 s[10:11], -1
	s_mov_b64 s[6:7], 0
	s_cmp_gt_i32 s15, 25
	s_mov_b64 s[8:9], 0
	s_mov_b64 s[0:1], 0
	s_cbranch_scc0 .LBB161_1693
; %bb.1661:
	s_cmp_gt_i32 s15, 28
	s_cbranch_scc0 .LBB161_1676
; %bb.1662:
	s_cmp_gt_i32 s15, 43
	;; [unrolled: 3-line block ×3, first 2 shown]
	s_cbranch_scc0 .LBB161_1666
; %bb.1664:
	s_mov_b64 s[0:1], -1
	s_mov_b64 s[10:11], 0
	s_cmp_eq_u32 s15, 46
	s_cbranch_scc0 .LBB161_1666
; %bb.1665:
	v_cvt_f32_f16_e32 v5, v1
	s_movk_i32 s0, 0x7fff
	v_cmp_o_f16_e32 vcc, v1, v1
	v_mov_b32_e32 v8, 0x7fc0
	v_bfe_u32 v9, v5, 16, 1
	v_add3_u32 v5, v5, v9, s0
	v_cndmask_b32_sdwa v5, v8, v5, vcc dst_sel:DWORD dst_unused:UNUSED_PAD src0_sel:DWORD src1_sel:WORD_1
	global_store_dword v[6:7], v5, off
	s_mov_b64 s[0:1], 0
	s_mov_b64 s[8:9], -1
.LBB161_1666:
	s_and_b64 vcc, exec, s[10:11]
	s_cbranch_vccz .LBB161_1671
; %bb.1667:
	s_cmp_eq_u32 s15, 44
	s_mov_b64 s[0:1], -1
	s_cbranch_scc0 .LBB161_1671
; %bb.1668:
	v_cvt_f32_f16_e32 v5, v1
	s_movk_i32 s0, 0xff
	v_mov_b32_e32 v9, 0xff
	v_bfe_u32 v8, v5, 23, 8
	v_cmp_ne_u32_e32 vcc, s0, v8
	s_and_saveexec_b64 s[8:9], vcc
; %bb.1669:
	s_mov_b32 s0, 0x3fffff
	v_lshrrev_b32_e32 v9, 23, v5
	v_and_b32_e32 v11, 0x400000, v5
	v_and_or_b32 v5, v5, s0, v8
	v_cmp_ne_u32_e32 vcc, 0, v11
	v_cmp_ne_u32_e64 s[0:1], 0, v5
	s_and_b64 s[0:1], vcc, s[0:1]
	s_nop 0
	v_cndmask_b32_e64 v5, 0, 1, s[0:1]
	v_add_u32_e32 v9, v9, v5
; %bb.1670:
	s_or_b64 exec, exec, s[8:9]
	s_mov_b64 s[0:1], 0
	s_mov_b64 s[8:9], -1
	global_store_byte v[6:7], v9, off
.LBB161_1671:
	s_mov_b64 s[10:11], 0
.LBB161_1672:
	s_and_b64 vcc, exec, s[10:11]
	s_cbranch_vccz .LBB161_1675
; %bb.1673:
	s_cmp_eq_u32 s15, 29
	s_mov_b64 s[0:1], -1
	s_cbranch_scc0 .LBB161_1675
; %bb.1674:
	v_cvt_f32_f16_e32 v5, v1
	v_mov_b32_e32 v9, 0
	s_mov_b64 s[0:1], 0
	s_mov_b64 s[8:9], -1
	v_cvt_u32_f32_e32 v8, v5
	global_store_dwordx2 v[6:7], v[8:9], off
.LBB161_1675:
	s_mov_b64 s[10:11], 0
.LBB161_1676:
	s_and_b64 vcc, exec, s[10:11]
	s_cbranch_vccz .LBB161_1692
; %bb.1677:
	s_cmp_lt_i32 s15, 27
	s_mov_b64 s[8:9], -1
	s_cbranch_scc1 .LBB161_1683
; %bb.1678:
	s_cmp_gt_i32 s15, 27
	s_cbranch_scc0 .LBB161_1680
; %bb.1679:
	v_cvt_f32_f16_e32 v5, v1
	s_mov_b64 s[8:9], 0
	v_cvt_u32_f32_e32 v5, v5
	global_store_dword v[6:7], v5, off
.LBB161_1680:
	s_andn2_b64 vcc, exec, s[8:9]
	s_cbranch_vccnz .LBB161_1682
; %bb.1681:
	v_cvt_u16_f16_e32 v5, v1
	global_store_short v[6:7], v5, off
.LBB161_1682:
	s_mov_b64 s[8:9], 0
.LBB161_1683:
	s_andn2_b64 vcc, exec, s[8:9]
	s_cbranch_vccnz .LBB161_1691
; %bb.1684:
	v_cvt_f32_f16_e32 v5, v1
	s_mov_b32 s8, 0x43800000
	v_mov_b32_e32 v9, 0x80
	v_and_b32_e32 v8, 0x7fffffff, v5
	v_cmp_gt_u32_e32 vcc, s8, v8
	s_and_saveexec_b64 s[8:9], vcc
	s_cbranch_execz .LBB161_1690
; %bb.1685:
	s_mov_b32 s10, 0x3bffffff
	v_cmp_lt_u32_e32 vcc, s10, v8
	s_mov_b64 s[10:11], 0
                                        ; implicit-def: $vgpr8
	s_and_saveexec_b64 s[12:13], vcc
	s_xor_b64 s[12:13], exec, s[12:13]
	s_cbranch_execz .LBB161_2139
; %bb.1686:
	v_bfe_u32 v8, v5, 20, 1
	s_mov_b32 s17, 0x487ffff
	v_add3_u32 v8, v5, v8, s17
	s_mov_b64 s[10:11], exec
	v_lshrrev_b32_e32 v8, 20, v8
	s_andn2_saveexec_b64 s[12:13], s[12:13]
	s_cbranch_execnz .LBB161_2140
.LBB161_1687:
	s_or_b64 exec, exec, s[12:13]
	v_mov_b32_e32 v9, 0
	s_and_saveexec_b64 s[12:13], s[10:11]
.LBB161_1688:
	v_lshrrev_b32_e32 v5, 24, v5
	s_movk_i32 s10, 0x80
	v_and_or_b32 v9, v5, s10, v8
.LBB161_1689:
	s_or_b64 exec, exec, s[12:13]
.LBB161_1690:
	s_or_b64 exec, exec, s[8:9]
	global_store_byte v[6:7], v9, off
.LBB161_1691:
	s_mov_b64 s[8:9], -1
.LBB161_1692:
	s_mov_b64 s[10:11], 0
.LBB161_1693:
	s_and_b64 vcc, exec, s[10:11]
	s_cbranch_vccz .LBB161_1733
; %bb.1694:
	s_cmp_gt_i32 s15, 22
	s_mov_b64 s[6:7], -1
	s_cbranch_scc0 .LBB161_1726
; %bb.1695:
	s_cmp_lt_i32 s15, 24
	s_cbranch_scc1 .LBB161_1715
; %bb.1696:
	s_cmp_gt_i32 s15, 24
	s_cbranch_scc0 .LBB161_1704
; %bb.1697:
	v_cvt_f32_f16_e32 v5, v1
	s_mov_b32 s6, 0x47800000
	v_mov_b32_e32 v9, 0x80
	v_and_b32_e32 v8, 0x7fffffff, v5
	v_cmp_gt_u32_e32 vcc, s6, v8
	s_and_saveexec_b64 s[6:7], vcc
	s_cbranch_execz .LBB161_1703
; %bb.1698:
	s_mov_b32 s8, 0x37ffffff
	v_cmp_lt_u32_e32 vcc, s8, v8
	s_mov_b64 s[8:9], 0
                                        ; implicit-def: $vgpr8
	s_and_saveexec_b64 s[10:11], vcc
	s_xor_b64 s[10:11], exec, s[10:11]
	s_cbranch_execz .LBB161_2142
; %bb.1699:
	v_bfe_u32 v8, v5, 21, 1
	s_mov_b32 s12, 0x88fffff
	v_add3_u32 v8, v5, v8, s12
	s_mov_b64 s[8:9], exec
	v_lshrrev_b32_e32 v8, 21, v8
	s_andn2_saveexec_b64 s[10:11], s[10:11]
	s_cbranch_execnz .LBB161_2143
.LBB161_1700:
	s_or_b64 exec, exec, s[10:11]
	v_mov_b32_e32 v9, 0
	s_and_saveexec_b64 s[10:11], s[8:9]
.LBB161_1701:
	v_lshrrev_b32_e32 v5, 24, v5
	s_movk_i32 s8, 0x80
	v_and_or_b32 v9, v5, s8, v8
.LBB161_1702:
	s_or_b64 exec, exec, s[10:11]
.LBB161_1703:
	s_or_b64 exec, exec, s[6:7]
	s_mov_b64 s[6:7], 0
	global_store_byte v[6:7], v9, off
.LBB161_1704:
	s_and_b64 vcc, exec, s[6:7]
	s_cbranch_vccz .LBB161_1714
; %bb.1705:
	v_cvt_f32_f16_e32 v5, v1
	s_mov_b32 s6, 0x43f00000
                                        ; implicit-def: $vgpr8
	v_and_b32_e32 v9, 0x7fffffff, v5
	v_cmp_gt_u32_e32 vcc, s6, v9
	s_and_saveexec_b64 s[6:7], vcc
	s_xor_b64 s[6:7], exec, s[6:7]
	s_cbranch_execz .LBB161_1711
; %bb.1706:
	s_mov_b32 s8, 0x3c7fffff
	v_cmp_lt_u32_e32 vcc, s8, v9
                                        ; implicit-def: $vgpr8
	s_and_saveexec_b64 s[8:9], vcc
	s_xor_b64 s[8:9], exec, s[8:9]
; %bb.1707:
	v_bfe_u32 v8, v5, 20, 1
	s_mov_b32 s10, 0x407ffff
	v_add3_u32 v8, v5, v8, s10
	v_lshrrev_b32_e32 v9, 20, v8
	v_and_b32_e32 v8, 0xff00000, v8
	s_mov_b32 s10, 0x7f00000
	v_mov_b32_e32 v11, 0x7e
	v_cmp_ne_u32_e32 vcc, s10, v8
	s_nop 1
	v_cndmask_b32_e32 v8, v11, v9, vcc
; %bb.1708:
	s_andn2_saveexec_b64 s[8:9], s[8:9]
; %bb.1709:
	s_mov_b32 s10, 0x46800000
	v_add_f32_e64 v8, |v5|, s10
; %bb.1710:
	s_or_b64 exec, exec, s[8:9]
                                        ; implicit-def: $vgpr9
.LBB161_1711:
	s_andn2_saveexec_b64 s[6:7], s[6:7]
; %bb.1712:
	s_mov_b32 s8, 0x7f800000
	v_mov_b32_e32 v8, 0x7e
	v_mov_b32_e32 v11, 0x7f
	v_cmp_lt_u32_e32 vcc, s8, v9
	s_nop 1
	v_cndmask_b32_e32 v8, v8, v11, vcc
; %bb.1713:
	s_or_b64 exec, exec, s[6:7]
	v_lshrrev_b32_e32 v5, 24, v5
	s_movk_i32 s6, 0x80
	v_and_or_b32 v5, v5, s6, v8
	global_store_byte v[6:7], v5, off
.LBB161_1714:
	s_mov_b64 s[6:7], 0
.LBB161_1715:
	s_andn2_b64 vcc, exec, s[6:7]
	s_cbranch_vccnz .LBB161_1725
; %bb.1716:
	v_cvt_f32_f16_e32 v5, v1
	s_mov_b32 s6, 0x47800000
                                        ; implicit-def: $vgpr8
	v_and_b32_e32 v9, 0x7fffffff, v5
	v_cmp_gt_u32_e32 vcc, s6, v9
	s_and_saveexec_b64 s[6:7], vcc
	s_xor_b64 s[6:7], exec, s[6:7]
	s_cbranch_execz .LBB161_1722
; %bb.1717:
	s_mov_b32 s8, 0x387fffff
	v_cmp_lt_u32_e32 vcc, s8, v9
                                        ; implicit-def: $vgpr8
	s_and_saveexec_b64 s[8:9], vcc
	s_xor_b64 s[8:9], exec, s[8:9]
; %bb.1718:
	v_bfe_u32 v8, v5, 21, 1
	s_mov_b32 s10, 0x80fffff
	v_add3_u32 v8, v5, v8, s10
	v_lshrrev_b32_e32 v8, 21, v8
; %bb.1719:
	s_andn2_saveexec_b64 s[8:9], s[8:9]
; %bb.1720:
	s_mov_b32 s10, 0x43000000
	v_add_f32_e64 v8, |v5|, s10
; %bb.1721:
	s_or_b64 exec, exec, s[8:9]
                                        ; implicit-def: $vgpr9
.LBB161_1722:
	s_andn2_saveexec_b64 s[6:7], s[6:7]
; %bb.1723:
	s_mov_b32 s8, 0x7f800000
	v_mov_b32_e32 v8, 0x7c
	v_mov_b32_e32 v11, 0x7f
	v_cmp_lt_u32_e32 vcc, s8, v9
	s_nop 1
	v_cndmask_b32_e32 v8, v8, v11, vcc
; %bb.1724:
	s_or_b64 exec, exec, s[6:7]
	v_lshrrev_b32_e32 v5, 24, v5
	s_movk_i32 s6, 0x80
	v_and_or_b32 v5, v5, s6, v8
	global_store_byte v[6:7], v5, off
.LBB161_1725:
	s_mov_b64 s[6:7], 0
	s_mov_b64 s[8:9], -1
.LBB161_1726:
	s_andn2_b64 vcc, exec, s[6:7]
	s_mov_b64 s[6:7], 0
	s_cbranch_vccnz .LBB161_1733
; %bb.1727:
	s_cmp_gt_i32 s15, 14
	s_mov_b64 s[10:11], -1
	s_cbranch_scc0 .LBB161_1731
; %bb.1728:
	s_cmp_eq_u32 s15, 15
	s_mov_b64 s[0:1], -1
	s_cbranch_scc0 .LBB161_1730
; %bb.1729:
	v_cvt_f32_f16_e32 v5, v1
	s_movk_i32 s0, 0x7fff
	v_cmp_o_f16_e32 vcc, v1, v1
	v_mov_b32_e32 v8, 0x7fc0
	v_bfe_u32 v9, v5, 16, 1
	v_add3_u32 v5, v5, v9, s0
	v_cndmask_b32_sdwa v5, v8, v5, vcc dst_sel:DWORD dst_unused:UNUSED_PAD src0_sel:DWORD src1_sel:WORD_1
	global_store_short v[6:7], v5, off
	s_mov_b64 s[0:1], 0
	s_mov_b64 s[8:9], -1
.LBB161_1730:
	s_mov_b64 s[10:11], 0
.LBB161_1731:
	s_and_b64 vcc, exec, s[10:11]
	s_cbranch_vccz .LBB161_1733
; %bb.1732:
	s_cmp_lg_u32 s15, 11
	s_mov_b64 s[6:7], -1
	s_cselect_b64 s[0:1], -1, 0
.LBB161_1733:
	s_and_b64 vcc, exec, s[0:1]
	s_cbranch_vccnz .LBB161_2141
; %bb.1734:
	s_andn2_b64 vcc, exec, s[6:7]
	s_cbranch_vccnz .LBB161_1736
.LBB161_1735:
	v_cmp_neq_f16_e32 vcc, 0, v1
	s_mov_b64 s[8:9], -1
	s_nop 0
	v_cndmask_b32_e64 v5, 0, 1, vcc
	global_store_byte v[6:7], v5, off
.LBB161_1736:
	s_mov_b64 s[0:1], 0
	s_branch .LBB161_1738
.LBB161_1737:
	s_mov_b64 s[0:1], -1
	s_mov_b64 s[8:9], 0
.LBB161_1738:
	s_and_b64 vcc, exec, s[0:1]
	s_cbranch_vccz .LBB161_1777
; %bb.1739:
	s_and_b32 s6, 0xffff, s14
	s_cmp_lt_i32 s6, 5
	s_mov_b64 s[0:1], -1
	s_cbranch_scc1 .LBB161_1760
; %bb.1740:
	s_cmp_lt_i32 s6, 8
	s_cbranch_scc1 .LBB161_1750
; %bb.1741:
	s_cmp_lt_i32 s6, 9
	s_cbranch_scc1 .LBB161_1747
; %bb.1742:
	s_cmp_gt_i32 s6, 9
	s_cbranch_scc0 .LBB161_1744
; %bb.1743:
	v_cvt_f32_f16_e32 v5, v1
	v_mov_b32_e32 v16, 0
	v_mov_b32_e32 v17, v16
	s_mov_b64 s[0:1], 0
	v_cvt_f64_f32_e32 v[14:15], v5
	global_store_dwordx4 v[6:7], v[14:17], off
.LBB161_1744:
	s_andn2_b64 vcc, exec, s[0:1]
	s_cbranch_vccnz .LBB161_1746
; %bb.1745:
	v_cvt_f32_f16_e32 v8, v1
	v_mov_b32_e32 v9, 0
	global_store_dwordx2 v[6:7], v[8:9], off
.LBB161_1746:
	s_mov_b64 s[0:1], 0
.LBB161_1747:
	s_andn2_b64 vcc, exec, s[0:1]
	s_cbranch_vccnz .LBB161_1749
; %bb.1748:
	v_and_b32_e32 v5, 0xffff, v1
	global_store_dword v[6:7], v5, off
.LBB161_1749:
	s_mov_b64 s[0:1], 0
.LBB161_1750:
	s_andn2_b64 vcc, exec, s[0:1]
	s_cbranch_vccnz .LBB161_1759
; %bb.1751:
	s_cmp_lt_i32 s6, 6
	s_mov_b64 s[0:1], -1
	s_cbranch_scc1 .LBB161_1757
; %bb.1752:
	s_cmp_gt_i32 s6, 6
	s_cbranch_scc0 .LBB161_1754
; %bb.1753:
	v_cvt_f32_f16_e32 v5, v1
	s_mov_b64 s[0:1], 0
	v_cvt_f64_f32_e32 v[8:9], v5
	global_store_dwordx2 v[6:7], v[8:9], off
.LBB161_1754:
	s_andn2_b64 vcc, exec, s[0:1]
	s_cbranch_vccnz .LBB161_1756
; %bb.1755:
	v_cvt_f32_f16_e32 v5, v1
	global_store_dword v[6:7], v5, off
.LBB161_1756:
	s_mov_b64 s[0:1], 0
.LBB161_1757:
	s_andn2_b64 vcc, exec, s[0:1]
	s_cbranch_vccnz .LBB161_1759
; %bb.1758:
	global_store_short v[6:7], v1, off
.LBB161_1759:
	s_mov_b64 s[0:1], 0
.LBB161_1760:
	s_andn2_b64 vcc, exec, s[0:1]
	s_cbranch_vccnz .LBB161_1776
; %bb.1761:
	s_cmp_lt_i32 s6, 2
	s_mov_b64 s[0:1], -1
	s_cbranch_scc1 .LBB161_1771
; %bb.1762:
	s_cmp_lt_i32 s6, 3
	s_cbranch_scc1 .LBB161_1768
; %bb.1763:
	s_cmp_gt_i32 s6, 3
	s_cbranch_scc0 .LBB161_1765
; %bb.1764:
	v_cvt_f32_f16_e32 v5, v1
	s_mov_b64 s[0:1], 0
	v_cvt_i32_f32_e32 v8, v5
	v_ashrrev_i32_e32 v9, 31, v8
	global_store_dwordx2 v[6:7], v[8:9], off
.LBB161_1765:
	s_andn2_b64 vcc, exec, s[0:1]
	s_cbranch_vccnz .LBB161_1767
; %bb.1766:
	v_cvt_f32_f16_e32 v5, v1
	v_cvt_i32_f32_e32 v5, v5
	global_store_dword v[6:7], v5, off
.LBB161_1767:
	s_mov_b64 s[0:1], 0
.LBB161_1768:
	s_andn2_b64 vcc, exec, s[0:1]
	s_cbranch_vccnz .LBB161_1770
; %bb.1769:
	v_cvt_i16_f16_e32 v5, v1
	global_store_short v[6:7], v5, off
.LBB161_1770:
	s_mov_b64 s[0:1], 0
.LBB161_1771:
	s_andn2_b64 vcc, exec, s[0:1]
	s_cbranch_vccnz .LBB161_1776
; %bb.1772:
	s_cmp_gt_i32 s6, 0
	s_mov_b64 s[0:1], -1
	s_cbranch_scc0 .LBB161_1774
; %bb.1773:
	v_cvt_i16_f16_e32 v5, v1
	global_store_byte v[6:7], v5, off
	s_mov_b64 s[0:1], 0
.LBB161_1774:
	s_andn2_b64 vcc, exec, s[0:1]
	s_cbranch_vccnz .LBB161_1776
; %bb.1775:
	v_cvt_f32_f16_e32 v1, v1
	v_cvt_i32_f32_e32 v1, v1
	global_store_byte v[6:7], v1, off
.LBB161_1776:
	s_mov_b64 s[8:9], -1
.LBB161_1777:
	s_andn2_b64 vcc, exec, s[8:9]
	s_cbranch_vccnz .LBB161_2092
; %bb.1778:
	v_cvt_f32_f16_e32 v1, v3
	s_mov_b32 s1, 0xbf317218
	v_mov_b32_e32 v7, 0x3ab69700
	s_lshr_b32 s0, s16, 8
	v_mul_f32_e32 v5, 0x3fb8aa3b, v1
	v_rndne_f32_e32 v5, v5
	v_fma_mix_f32 v6, v5, s1, v3 op_sel_hi:[0,0,1]
	v_fmamk_f32 v6, v5, 0x3102e308, v6
	v_fmac_f32_e32 v7, 0x395133b1, v6
	v_fmaak_f32 v7, v6, v7, 0x3c0887f9
	v_fmaak_f32 v7, v6, v7, 0x3d2aaa81
	v_cvt_i32_f32_e32 v8, v5
	v_fmaak_f32 v7, v6, v7, 0x3e2aaaab
	v_fma_f32 v7, v6, v7, 0.5
	s_and_b32 s14, s0, 0xff
	v_mul_f32_e32 v7, v6, v7
	s_mov_b32 s0, 0x43000000
	v_fmac_f32_e32 v6, v6, v7
	v_ldexp_f32 v7, 1.0, v8
	v_mov_b32_e32 v8, 0x7f000000
	v_cmp_eq_f32_e32 vcc, s0, v5
	s_mov_b32 s0, 0x42b17217
	s_cmp_lt_i32 s14, 11
	v_cndmask_b32_e32 v5, v7, v8, vcc
	v_add_f32_e32 v7, -1.0, v5
	v_fmac_f32_e32 v7, v5, v6
	v_add_f32_e32 v5, v7, v7
	v_cndmask_b32_e32 v5, v7, v5, vcc
	v_mov_b32_e32 v6, 0x7f800000
	v_cmp_nlt_f32_e32 vcc, s0, v1
	s_mov_b32 s0, 0xcc40
	s_nop 0
	v_cndmask_b32_e32 v1, v6, v5, vcc
	v_cvt_f16_f32_e32 v1, v1
	v_mov_b32_e32 v5, 0xbc00
	v_cmp_ngt_f16_e32 vcc, s0, v3
	s_nop 1
	v_cndmask_b32_e32 v1, v5, v1, vcc
	v_mov_b32_e32 v5, 0
	v_lshl_add_u64 v[4:5], s[4:5], 0, v[4:5]
	s_cbranch_scc1 .LBB161_1856
; %bb.1779:
	s_and_b32 s15, 0xffff, s14
	s_mov_b64 s[10:11], -1
	s_mov_b64 s[6:7], 0
	s_cmp_gt_i32 s15, 25
	s_mov_b64 s[8:9], 0
	s_mov_b64 s[0:1], 0
	s_cbranch_scc0 .LBB161_1812
; %bb.1780:
	s_cmp_gt_i32 s15, 28
	s_cbranch_scc0 .LBB161_1795
; %bb.1781:
	s_cmp_gt_i32 s15, 43
	;; [unrolled: 3-line block ×3, first 2 shown]
	s_cbranch_scc0 .LBB161_1785
; %bb.1783:
	s_mov_b64 s[0:1], -1
	s_mov_b64 s[10:11], 0
	s_cmp_eq_u32 s15, 46
	s_cbranch_scc0 .LBB161_1785
; %bb.1784:
	v_cvt_f32_f16_e32 v3, v1
	s_movk_i32 s0, 0x7fff
	v_cmp_o_f16_e32 vcc, v1, v1
	v_mov_b32_e32 v6, 0x7fc0
	v_bfe_u32 v7, v3, 16, 1
	v_add3_u32 v3, v3, v7, s0
	v_cndmask_b32_sdwa v3, v6, v3, vcc dst_sel:DWORD dst_unused:UNUSED_PAD src0_sel:DWORD src1_sel:WORD_1
	global_store_dword v[4:5], v3, off
	s_mov_b64 s[0:1], 0
	s_mov_b64 s[8:9], -1
.LBB161_1785:
	s_and_b64 vcc, exec, s[10:11]
	s_cbranch_vccz .LBB161_1790
; %bb.1786:
	s_cmp_eq_u32 s15, 44
	s_mov_b64 s[0:1], -1
	s_cbranch_scc0 .LBB161_1790
; %bb.1787:
	v_cvt_f32_f16_e32 v3, v1
	s_movk_i32 s0, 0xff
	v_mov_b32_e32 v7, 0xff
	v_bfe_u32 v6, v3, 23, 8
	v_cmp_ne_u32_e32 vcc, s0, v6
	s_and_saveexec_b64 s[8:9], vcc
; %bb.1788:
	s_mov_b32 s0, 0x3fffff
	v_lshrrev_b32_e32 v7, 23, v3
	v_and_b32_e32 v8, 0x400000, v3
	v_and_or_b32 v3, v3, s0, v6
	v_cmp_ne_u32_e32 vcc, 0, v8
	v_cmp_ne_u32_e64 s[0:1], 0, v3
	s_and_b64 s[0:1], vcc, s[0:1]
	s_nop 0
	v_cndmask_b32_e64 v3, 0, 1, s[0:1]
	v_add_u32_e32 v7, v7, v3
; %bb.1789:
	s_or_b64 exec, exec, s[8:9]
	s_mov_b64 s[0:1], 0
	s_mov_b64 s[8:9], -1
	global_store_byte v[4:5], v7, off
.LBB161_1790:
	s_mov_b64 s[10:11], 0
.LBB161_1791:
	s_and_b64 vcc, exec, s[10:11]
	s_cbranch_vccz .LBB161_1794
; %bb.1792:
	s_cmp_eq_u32 s15, 29
	s_mov_b64 s[0:1], -1
	s_cbranch_scc0 .LBB161_1794
; %bb.1793:
	v_cvt_f32_f16_e32 v3, v1
	v_mov_b32_e32 v7, 0
	s_mov_b64 s[0:1], 0
	s_mov_b64 s[8:9], -1
	v_cvt_u32_f32_e32 v6, v3
	global_store_dwordx2 v[4:5], v[6:7], off
.LBB161_1794:
	s_mov_b64 s[10:11], 0
.LBB161_1795:
	s_and_b64 vcc, exec, s[10:11]
	s_cbranch_vccz .LBB161_1811
; %bb.1796:
	s_cmp_lt_i32 s15, 27
	s_mov_b64 s[8:9], -1
	s_cbranch_scc1 .LBB161_1802
; %bb.1797:
	s_cmp_gt_i32 s15, 27
	s_cbranch_scc0 .LBB161_1799
; %bb.1798:
	v_cvt_f32_f16_e32 v3, v1
	s_mov_b64 s[8:9], 0
	v_cvt_u32_f32_e32 v3, v3
	global_store_dword v[4:5], v3, off
.LBB161_1799:
	s_andn2_b64 vcc, exec, s[8:9]
	s_cbranch_vccnz .LBB161_1801
; %bb.1800:
	v_cvt_u16_f16_e32 v3, v1
	global_store_short v[4:5], v3, off
.LBB161_1801:
	s_mov_b64 s[8:9], 0
.LBB161_1802:
	s_andn2_b64 vcc, exec, s[8:9]
	s_cbranch_vccnz .LBB161_1810
; %bb.1803:
	v_cvt_f32_f16_e32 v3, v1
	s_mov_b32 s8, 0x43800000
	v_mov_b32_e32 v7, 0x80
	v_and_b32_e32 v6, 0x7fffffff, v3
	v_cmp_gt_u32_e32 vcc, s8, v6
	s_and_saveexec_b64 s[8:9], vcc
	s_cbranch_execz .LBB161_1809
; %bb.1804:
	s_mov_b32 s10, 0x3bffffff
	v_cmp_lt_u32_e32 vcc, s10, v6
	s_mov_b64 s[10:11], 0
                                        ; implicit-def: $vgpr6
	s_and_saveexec_b64 s[12:13], vcc
	s_xor_b64 s[12:13], exec, s[12:13]
	s_cbranch_execz .LBB161_2144
; %bb.1805:
	v_bfe_u32 v6, v3, 20, 1
	s_mov_b32 s16, 0x487ffff
	v_add3_u32 v6, v3, v6, s16
	s_mov_b64 s[10:11], exec
	v_lshrrev_b32_e32 v6, 20, v6
	s_andn2_saveexec_b64 s[12:13], s[12:13]
	s_cbranch_execnz .LBB161_2145
.LBB161_1806:
	s_or_b64 exec, exec, s[12:13]
	v_mov_b32_e32 v7, 0
	s_and_saveexec_b64 s[12:13], s[10:11]
.LBB161_1807:
	v_lshrrev_b32_e32 v3, 24, v3
	s_movk_i32 s10, 0x80
	v_and_or_b32 v7, v3, s10, v6
.LBB161_1808:
	s_or_b64 exec, exec, s[12:13]
.LBB161_1809:
	s_or_b64 exec, exec, s[8:9]
	global_store_byte v[4:5], v7, off
.LBB161_1810:
	s_mov_b64 s[8:9], -1
.LBB161_1811:
	s_mov_b64 s[10:11], 0
.LBB161_1812:
	s_and_b64 vcc, exec, s[10:11]
	s_cbranch_vccz .LBB161_1852
; %bb.1813:
	s_cmp_gt_i32 s15, 22
	s_mov_b64 s[6:7], -1
	s_cbranch_scc0 .LBB161_1845
; %bb.1814:
	s_cmp_lt_i32 s15, 24
	s_cbranch_scc1 .LBB161_1834
; %bb.1815:
	s_cmp_gt_i32 s15, 24
	s_cbranch_scc0 .LBB161_1823
; %bb.1816:
	v_cvt_f32_f16_e32 v3, v1
	s_mov_b32 s6, 0x47800000
	v_mov_b32_e32 v7, 0x80
	v_and_b32_e32 v6, 0x7fffffff, v3
	v_cmp_gt_u32_e32 vcc, s6, v6
	s_and_saveexec_b64 s[6:7], vcc
	s_cbranch_execz .LBB161_1822
; %bb.1817:
	s_mov_b32 s8, 0x37ffffff
	v_cmp_lt_u32_e32 vcc, s8, v6
	s_mov_b64 s[8:9], 0
                                        ; implicit-def: $vgpr6
	s_and_saveexec_b64 s[10:11], vcc
	s_xor_b64 s[10:11], exec, s[10:11]
	s_cbranch_execz .LBB161_2147
; %bb.1818:
	v_bfe_u32 v6, v3, 21, 1
	s_mov_b32 s12, 0x88fffff
	v_add3_u32 v6, v3, v6, s12
	s_mov_b64 s[8:9], exec
	v_lshrrev_b32_e32 v6, 21, v6
	s_andn2_saveexec_b64 s[10:11], s[10:11]
	s_cbranch_execnz .LBB161_2148
.LBB161_1819:
	s_or_b64 exec, exec, s[10:11]
	v_mov_b32_e32 v7, 0
	s_and_saveexec_b64 s[10:11], s[8:9]
.LBB161_1820:
	v_lshrrev_b32_e32 v3, 24, v3
	s_movk_i32 s8, 0x80
	v_and_or_b32 v7, v3, s8, v6
.LBB161_1821:
	s_or_b64 exec, exec, s[10:11]
.LBB161_1822:
	s_or_b64 exec, exec, s[6:7]
	s_mov_b64 s[6:7], 0
	global_store_byte v[4:5], v7, off
.LBB161_1823:
	s_and_b64 vcc, exec, s[6:7]
	s_cbranch_vccz .LBB161_1833
; %bb.1824:
	v_cvt_f32_f16_e32 v3, v1
	s_mov_b32 s6, 0x43f00000
                                        ; implicit-def: $vgpr6
	v_and_b32_e32 v7, 0x7fffffff, v3
	v_cmp_gt_u32_e32 vcc, s6, v7
	s_and_saveexec_b64 s[6:7], vcc
	s_xor_b64 s[6:7], exec, s[6:7]
	s_cbranch_execz .LBB161_1830
; %bb.1825:
	s_mov_b32 s8, 0x3c7fffff
	v_cmp_lt_u32_e32 vcc, s8, v7
                                        ; implicit-def: $vgpr6
	s_and_saveexec_b64 s[8:9], vcc
	s_xor_b64 s[8:9], exec, s[8:9]
; %bb.1826:
	v_bfe_u32 v6, v3, 20, 1
	s_mov_b32 s10, 0x407ffff
	v_add3_u32 v6, v3, v6, s10
	v_lshrrev_b32_e32 v7, 20, v6
	v_and_b32_e32 v6, 0xff00000, v6
	s_mov_b32 s10, 0x7f00000
	v_mov_b32_e32 v8, 0x7e
	v_cmp_ne_u32_e32 vcc, s10, v6
	s_nop 1
	v_cndmask_b32_e32 v6, v8, v7, vcc
; %bb.1827:
	s_andn2_saveexec_b64 s[8:9], s[8:9]
; %bb.1828:
	s_mov_b32 s10, 0x46800000
	v_add_f32_e64 v6, |v3|, s10
; %bb.1829:
	s_or_b64 exec, exec, s[8:9]
                                        ; implicit-def: $vgpr7
.LBB161_1830:
	s_andn2_saveexec_b64 s[6:7], s[6:7]
; %bb.1831:
	s_mov_b32 s8, 0x7f800000
	v_mov_b32_e32 v6, 0x7e
	v_mov_b32_e32 v8, 0x7f
	v_cmp_lt_u32_e32 vcc, s8, v7
	s_nop 1
	v_cndmask_b32_e32 v6, v6, v8, vcc
; %bb.1832:
	s_or_b64 exec, exec, s[6:7]
	v_lshrrev_b32_e32 v3, 24, v3
	s_movk_i32 s6, 0x80
	v_and_or_b32 v3, v3, s6, v6
	global_store_byte v[4:5], v3, off
.LBB161_1833:
	s_mov_b64 s[6:7], 0
.LBB161_1834:
	s_andn2_b64 vcc, exec, s[6:7]
	s_cbranch_vccnz .LBB161_1844
; %bb.1835:
	v_cvt_f32_f16_e32 v3, v1
	s_mov_b32 s6, 0x47800000
                                        ; implicit-def: $vgpr6
	v_and_b32_e32 v7, 0x7fffffff, v3
	v_cmp_gt_u32_e32 vcc, s6, v7
	s_and_saveexec_b64 s[6:7], vcc
	s_xor_b64 s[6:7], exec, s[6:7]
	s_cbranch_execz .LBB161_1841
; %bb.1836:
	s_mov_b32 s8, 0x387fffff
	v_cmp_lt_u32_e32 vcc, s8, v7
                                        ; implicit-def: $vgpr6
	s_and_saveexec_b64 s[8:9], vcc
	s_xor_b64 s[8:9], exec, s[8:9]
; %bb.1837:
	v_bfe_u32 v6, v3, 21, 1
	s_mov_b32 s10, 0x80fffff
	v_add3_u32 v6, v3, v6, s10
	v_lshrrev_b32_e32 v6, 21, v6
; %bb.1838:
	s_andn2_saveexec_b64 s[8:9], s[8:9]
; %bb.1839:
	s_mov_b32 s10, 0x43000000
	v_add_f32_e64 v6, |v3|, s10
; %bb.1840:
	s_or_b64 exec, exec, s[8:9]
                                        ; implicit-def: $vgpr7
.LBB161_1841:
	s_andn2_saveexec_b64 s[6:7], s[6:7]
; %bb.1842:
	s_mov_b32 s8, 0x7f800000
	v_mov_b32_e32 v6, 0x7c
	v_mov_b32_e32 v8, 0x7f
	v_cmp_lt_u32_e32 vcc, s8, v7
	s_nop 1
	v_cndmask_b32_e32 v6, v6, v8, vcc
; %bb.1843:
	s_or_b64 exec, exec, s[6:7]
	v_lshrrev_b32_e32 v3, 24, v3
	s_movk_i32 s6, 0x80
	v_and_or_b32 v3, v3, s6, v6
	global_store_byte v[4:5], v3, off
.LBB161_1844:
	s_mov_b64 s[6:7], 0
	s_mov_b64 s[8:9], -1
.LBB161_1845:
	s_andn2_b64 vcc, exec, s[6:7]
	s_mov_b64 s[6:7], 0
	s_cbranch_vccnz .LBB161_1852
; %bb.1846:
	s_cmp_gt_i32 s15, 14
	s_mov_b64 s[10:11], -1
	s_cbranch_scc0 .LBB161_1850
; %bb.1847:
	s_cmp_eq_u32 s15, 15
	s_mov_b64 s[0:1], -1
	s_cbranch_scc0 .LBB161_1849
; %bb.1848:
	v_cvt_f32_f16_e32 v3, v1
	s_movk_i32 s0, 0x7fff
	v_cmp_o_f16_e32 vcc, v1, v1
	v_mov_b32_e32 v6, 0x7fc0
	v_bfe_u32 v7, v3, 16, 1
	v_add3_u32 v3, v3, v7, s0
	v_cndmask_b32_sdwa v3, v6, v3, vcc dst_sel:DWORD dst_unused:UNUSED_PAD src0_sel:DWORD src1_sel:WORD_1
	global_store_short v[4:5], v3, off
	s_mov_b64 s[0:1], 0
	s_mov_b64 s[8:9], -1
.LBB161_1849:
	s_mov_b64 s[10:11], 0
.LBB161_1850:
	s_and_b64 vcc, exec, s[10:11]
	s_cbranch_vccz .LBB161_1852
; %bb.1851:
	s_cmp_lg_u32 s15, 11
	s_mov_b64 s[6:7], -1
	s_cselect_b64 s[0:1], -1, 0
.LBB161_1852:
	s_and_b64 vcc, exec, s[0:1]
	s_cbranch_vccnz .LBB161_2146
; %bb.1853:
	s_andn2_b64 vcc, exec, s[6:7]
	s_cbranch_vccnz .LBB161_1855
.LBB161_1854:
	v_cmp_neq_f16_e32 vcc, 0, v1
	s_mov_b64 s[8:9], -1
	s_nop 0
	v_cndmask_b32_e64 v3, 0, 1, vcc
	global_store_byte v[4:5], v3, off
.LBB161_1855:
	s_mov_b64 s[0:1], 0
	s_branch .LBB161_1857
.LBB161_1856:
	s_mov_b64 s[0:1], -1
	s_mov_b64 s[8:9], 0
.LBB161_1857:
	s_and_b64 vcc, exec, s[0:1]
	s_cbranch_vccz .LBB161_1896
; %bb.1858:
	s_and_b32 s6, 0xffff, s14
	s_cmp_lt_i32 s6, 5
	s_mov_b64 s[0:1], -1
	s_cbranch_scc1 .LBB161_1879
; %bb.1859:
	s_cmp_lt_i32 s6, 8
	s_cbranch_scc1 .LBB161_1869
; %bb.1860:
	s_cmp_lt_i32 s6, 9
	s_cbranch_scc1 .LBB161_1866
; %bb.1861:
	s_cmp_gt_i32 s6, 9
	s_cbranch_scc0 .LBB161_1863
; %bb.1862:
	v_cvt_f32_f16_e32 v3, v1
	v_mov_b32_e32 v8, 0
	v_mov_b32_e32 v9, v8
	s_mov_b64 s[0:1], 0
	v_cvt_f64_f32_e32 v[6:7], v3
	global_store_dwordx4 v[4:5], v[6:9], off
.LBB161_1863:
	s_andn2_b64 vcc, exec, s[0:1]
	s_cbranch_vccnz .LBB161_1865
; %bb.1864:
	v_cvt_f32_f16_e32 v6, v1
	v_mov_b32_e32 v7, 0
	global_store_dwordx2 v[4:5], v[6:7], off
.LBB161_1865:
	s_mov_b64 s[0:1], 0
.LBB161_1866:
	s_andn2_b64 vcc, exec, s[0:1]
	s_cbranch_vccnz .LBB161_1868
; %bb.1867:
	v_and_b32_e32 v3, 0xffff, v1
	global_store_dword v[4:5], v3, off
.LBB161_1868:
	s_mov_b64 s[0:1], 0
.LBB161_1869:
	s_andn2_b64 vcc, exec, s[0:1]
	s_cbranch_vccnz .LBB161_1878
; %bb.1870:
	s_cmp_lt_i32 s6, 6
	s_mov_b64 s[0:1], -1
	s_cbranch_scc1 .LBB161_1876
; %bb.1871:
	s_cmp_gt_i32 s6, 6
	s_cbranch_scc0 .LBB161_1873
; %bb.1872:
	v_cvt_f32_f16_e32 v3, v1
	s_mov_b64 s[0:1], 0
	v_cvt_f64_f32_e32 v[6:7], v3
	global_store_dwordx2 v[4:5], v[6:7], off
.LBB161_1873:
	s_andn2_b64 vcc, exec, s[0:1]
	s_cbranch_vccnz .LBB161_1875
; %bb.1874:
	v_cvt_f32_f16_e32 v3, v1
	global_store_dword v[4:5], v3, off
.LBB161_1875:
	s_mov_b64 s[0:1], 0
.LBB161_1876:
	s_andn2_b64 vcc, exec, s[0:1]
	s_cbranch_vccnz .LBB161_1878
; %bb.1877:
	global_store_short v[4:5], v1, off
.LBB161_1878:
	s_mov_b64 s[0:1], 0
.LBB161_1879:
	s_andn2_b64 vcc, exec, s[0:1]
	s_cbranch_vccnz .LBB161_1895
; %bb.1880:
	s_cmp_lt_i32 s6, 2
	s_mov_b64 s[0:1], -1
	s_cbranch_scc1 .LBB161_1890
; %bb.1881:
	s_cmp_lt_i32 s6, 3
	s_cbranch_scc1 .LBB161_1887
; %bb.1882:
	s_cmp_gt_i32 s6, 3
	s_cbranch_scc0 .LBB161_1884
; %bb.1883:
	v_cvt_f32_f16_e32 v3, v1
	s_mov_b64 s[0:1], 0
	v_cvt_i32_f32_e32 v6, v3
	v_ashrrev_i32_e32 v7, 31, v6
	global_store_dwordx2 v[4:5], v[6:7], off
.LBB161_1884:
	s_andn2_b64 vcc, exec, s[0:1]
	s_cbranch_vccnz .LBB161_1886
; %bb.1885:
	v_cvt_f32_f16_e32 v3, v1
	v_cvt_i32_f32_e32 v3, v3
	global_store_dword v[4:5], v3, off
.LBB161_1886:
	s_mov_b64 s[0:1], 0
.LBB161_1887:
	s_andn2_b64 vcc, exec, s[0:1]
	s_cbranch_vccnz .LBB161_1889
; %bb.1888:
	v_cvt_i16_f16_e32 v3, v1
	global_store_short v[4:5], v3, off
.LBB161_1889:
	s_mov_b64 s[0:1], 0
.LBB161_1890:
	s_andn2_b64 vcc, exec, s[0:1]
	s_cbranch_vccnz .LBB161_1895
; %bb.1891:
	s_cmp_gt_i32 s6, 0
	s_mov_b64 s[0:1], -1
	s_cbranch_scc0 .LBB161_1893
; %bb.1892:
	v_cvt_i16_f16_e32 v3, v1
	global_store_byte v[4:5], v3, off
	s_mov_b64 s[0:1], 0
.LBB161_1893:
	s_andn2_b64 vcc, exec, s[0:1]
	s_cbranch_vccnz .LBB161_1895
; %bb.1894:
	v_cvt_f32_f16_e32 v1, v1
	v_cvt_i32_f32_e32 v1, v1
	global_store_byte v[4:5], v1, off
.LBB161_1895:
	s_mov_b64 s[8:9], -1
.LBB161_1896:
	s_andn2_b64 vcc, exec, s[8:9]
	s_cbranch_vccnz .LBB161_2092
; %bb.1897:
	v_cvt_f32_f16_e32 v1, v12
	s_mov_b32 s0, 0xbf317218
	v_mov_b32_e32 v3, 0x3ab69700
	s_cmp_lt_i32 s14, 11
	v_mul_f32_e32 v4, 0x3fb8aa3b, v1
	v_rndne_f32_e32 v4, v4
	v_fma_mix_f32 v5, v4, s0, v12 op_sel_hi:[0,0,1]
	v_fmamk_f32 v5, v4, 0x3102e308, v5
	v_fmac_f32_e32 v3, 0x395133b1, v5
	v_fmaak_f32 v3, v5, v3, 0x3c0887f9
	v_cvt_i32_f32_e32 v6, v4
	v_fmaak_f32 v3, v5, v3, 0x3d2aaa81
	v_fmaak_f32 v3, v5, v3, 0x3e2aaaab
	v_fma_f32 v3, v5, v3, 0.5
	v_mul_f32_e32 v3, v5, v3
	s_mov_b32 s0, 0x43000000
	v_fmac_f32_e32 v5, v5, v3
	v_ldexp_f32 v3, 1.0, v6
	v_mov_b32_e32 v6, 0x7f000000
	v_cmp_eq_f32_e32 vcc, s0, v4
	s_mov_b32 s0, 0x42b17217
	s_nop 0
	v_cndmask_b32_e32 v3, v3, v6, vcc
	v_add_f32_e32 v4, -1.0, v3
	v_fmac_f32_e32 v4, v3, v5
	v_add_f32_e32 v3, v4, v4
	v_cndmask_b32_e32 v3, v4, v3, vcc
	v_mov_b32_e32 v4, 0x7f800000
	v_cmp_nlt_f32_e32 vcc, s0, v1
	s_mov_b32 s0, 0xcc40
	s_nop 0
	v_cndmask_b32_e32 v1, v4, v3, vcc
	v_cvt_f16_f32_e32 v1, v1
	v_mov_b32_e32 v3, 0xbc00
	v_cmp_ngt_f16_e32 vcc, s0, v12
	s_nop 1
	v_cndmask_b32_e32 v1, v3, v1, vcc
	v_mov_b32_e32 v3, 0
	v_lshl_add_u64 v[2:3], s[4:5], 0, v[2:3]
	s_cbranch_scc1 .LBB161_1975
; %bb.1898:
	s_and_b32 s15, 0xffff, s14
	s_mov_b64 s[10:11], -1
	s_mov_b64 s[6:7], 0
	s_cmp_gt_i32 s15, 25
	s_mov_b64 s[8:9], 0
	s_mov_b64 s[0:1], 0
	s_cbranch_scc0 .LBB161_1931
; %bb.1899:
	s_cmp_gt_i32 s15, 28
	s_cbranch_scc0 .LBB161_1914
; %bb.1900:
	s_cmp_gt_i32 s15, 43
	;; [unrolled: 3-line block ×3, first 2 shown]
	s_cbranch_scc0 .LBB161_1904
; %bb.1902:
	s_mov_b64 s[0:1], -1
	s_mov_b64 s[10:11], 0
	s_cmp_eq_u32 s15, 46
	s_cbranch_scc0 .LBB161_1904
; %bb.1903:
	v_cvt_f32_f16_e32 v4, v1
	s_movk_i32 s0, 0x7fff
	v_cmp_o_f16_e32 vcc, v1, v1
	v_mov_b32_e32 v5, 0x7fc0
	v_bfe_u32 v6, v4, 16, 1
	v_add3_u32 v4, v4, v6, s0
	v_cndmask_b32_sdwa v4, v5, v4, vcc dst_sel:DWORD dst_unused:UNUSED_PAD src0_sel:DWORD src1_sel:WORD_1
	global_store_dword v[2:3], v4, off
	s_mov_b64 s[0:1], 0
	s_mov_b64 s[8:9], -1
.LBB161_1904:
	s_and_b64 vcc, exec, s[10:11]
	s_cbranch_vccz .LBB161_1909
; %bb.1905:
	s_cmp_eq_u32 s15, 44
	s_mov_b64 s[0:1], -1
	s_cbranch_scc0 .LBB161_1909
; %bb.1906:
	v_cvt_f32_f16_e32 v4, v1
	s_movk_i32 s0, 0xff
	v_mov_b32_e32 v6, 0xff
	v_bfe_u32 v5, v4, 23, 8
	v_cmp_ne_u32_e32 vcc, s0, v5
	s_and_saveexec_b64 s[8:9], vcc
; %bb.1907:
	s_mov_b32 s0, 0x3fffff
	v_lshrrev_b32_e32 v6, 23, v4
	v_and_b32_e32 v7, 0x400000, v4
	v_and_or_b32 v4, v4, s0, v5
	v_cmp_ne_u32_e32 vcc, 0, v7
	v_cmp_ne_u32_e64 s[0:1], 0, v4
	s_and_b64 s[0:1], vcc, s[0:1]
	s_nop 0
	v_cndmask_b32_e64 v4, 0, 1, s[0:1]
	v_add_u32_e32 v6, v6, v4
; %bb.1908:
	s_or_b64 exec, exec, s[8:9]
	s_mov_b64 s[0:1], 0
	s_mov_b64 s[8:9], -1
	global_store_byte v[2:3], v6, off
.LBB161_1909:
	s_mov_b64 s[10:11], 0
.LBB161_1910:
	s_and_b64 vcc, exec, s[10:11]
	s_cbranch_vccz .LBB161_1913
; %bb.1911:
	s_cmp_eq_u32 s15, 29
	s_mov_b64 s[0:1], -1
	s_cbranch_scc0 .LBB161_1913
; %bb.1912:
	v_cvt_f32_f16_e32 v4, v1
	v_mov_b32_e32 v5, 0
	s_mov_b64 s[0:1], 0
	s_mov_b64 s[8:9], -1
	v_cvt_u32_f32_e32 v4, v4
	global_store_dwordx2 v[2:3], v[4:5], off
.LBB161_1913:
	s_mov_b64 s[10:11], 0
.LBB161_1914:
	s_and_b64 vcc, exec, s[10:11]
	s_cbranch_vccz .LBB161_1930
; %bb.1915:
	s_cmp_lt_i32 s15, 27
	s_mov_b64 s[8:9], -1
	s_cbranch_scc1 .LBB161_1921
; %bb.1916:
	s_cmp_gt_i32 s15, 27
	s_cbranch_scc0 .LBB161_1918
; %bb.1917:
	v_cvt_f32_f16_e32 v4, v1
	s_mov_b64 s[8:9], 0
	v_cvt_u32_f32_e32 v4, v4
	global_store_dword v[2:3], v4, off
.LBB161_1918:
	s_andn2_b64 vcc, exec, s[8:9]
	s_cbranch_vccnz .LBB161_1920
; %bb.1919:
	v_cvt_u16_f16_e32 v4, v1
	global_store_short v[2:3], v4, off
.LBB161_1920:
	s_mov_b64 s[8:9], 0
.LBB161_1921:
	s_andn2_b64 vcc, exec, s[8:9]
	s_cbranch_vccnz .LBB161_1929
; %bb.1922:
	v_cvt_f32_f16_e32 v4, v1
	s_mov_b32 s8, 0x43800000
	v_mov_b32_e32 v6, 0x80
	v_and_b32_e32 v5, 0x7fffffff, v4
	v_cmp_gt_u32_e32 vcc, s8, v5
	s_and_saveexec_b64 s[8:9], vcc
	s_cbranch_execz .LBB161_1928
; %bb.1923:
	s_mov_b32 s10, 0x3bffffff
	v_cmp_lt_u32_e32 vcc, s10, v5
	s_mov_b64 s[10:11], 0
                                        ; implicit-def: $vgpr5
	s_and_saveexec_b64 s[12:13], vcc
	s_xor_b64 s[12:13], exec, s[12:13]
	s_cbranch_execz .LBB161_2149
; %bb.1924:
	v_bfe_u32 v5, v4, 20, 1
	s_mov_b32 s16, 0x487ffff
	v_add3_u32 v5, v4, v5, s16
	s_mov_b64 s[10:11], exec
	v_lshrrev_b32_e32 v5, 20, v5
	s_andn2_saveexec_b64 s[12:13], s[12:13]
	s_cbranch_execnz .LBB161_2150
.LBB161_1925:
	s_or_b64 exec, exec, s[12:13]
	v_mov_b32_e32 v6, 0
	s_and_saveexec_b64 s[12:13], s[10:11]
.LBB161_1926:
	v_lshrrev_b32_e32 v4, 24, v4
	s_movk_i32 s10, 0x80
	v_and_or_b32 v6, v4, s10, v5
.LBB161_1927:
	s_or_b64 exec, exec, s[12:13]
.LBB161_1928:
	s_or_b64 exec, exec, s[8:9]
	global_store_byte v[2:3], v6, off
.LBB161_1929:
	s_mov_b64 s[8:9], -1
.LBB161_1930:
	s_mov_b64 s[10:11], 0
.LBB161_1931:
	s_and_b64 vcc, exec, s[10:11]
	s_cbranch_vccz .LBB161_1971
; %bb.1932:
	s_cmp_gt_i32 s15, 22
	s_mov_b64 s[6:7], -1
	s_cbranch_scc0 .LBB161_1964
; %bb.1933:
	s_cmp_lt_i32 s15, 24
	s_cbranch_scc1 .LBB161_1953
; %bb.1934:
	s_cmp_gt_i32 s15, 24
	s_cbranch_scc0 .LBB161_1942
; %bb.1935:
	v_cvt_f32_f16_e32 v4, v1
	s_mov_b32 s6, 0x47800000
	v_mov_b32_e32 v6, 0x80
	v_and_b32_e32 v5, 0x7fffffff, v4
	v_cmp_gt_u32_e32 vcc, s6, v5
	s_and_saveexec_b64 s[6:7], vcc
	s_cbranch_execz .LBB161_1941
; %bb.1936:
	s_mov_b32 s8, 0x37ffffff
	v_cmp_lt_u32_e32 vcc, s8, v5
	s_mov_b64 s[8:9], 0
                                        ; implicit-def: $vgpr5
	s_and_saveexec_b64 s[10:11], vcc
	s_xor_b64 s[10:11], exec, s[10:11]
	s_cbranch_execz .LBB161_2152
; %bb.1937:
	v_bfe_u32 v5, v4, 21, 1
	s_mov_b32 s12, 0x88fffff
	v_add3_u32 v5, v4, v5, s12
	s_mov_b64 s[8:9], exec
	v_lshrrev_b32_e32 v5, 21, v5
	s_andn2_saveexec_b64 s[10:11], s[10:11]
	s_cbranch_execnz .LBB161_2153
.LBB161_1938:
	s_or_b64 exec, exec, s[10:11]
	v_mov_b32_e32 v6, 0
	s_and_saveexec_b64 s[10:11], s[8:9]
.LBB161_1939:
	v_lshrrev_b32_e32 v4, 24, v4
	s_movk_i32 s8, 0x80
	v_and_or_b32 v6, v4, s8, v5
.LBB161_1940:
	s_or_b64 exec, exec, s[10:11]
.LBB161_1941:
	s_or_b64 exec, exec, s[6:7]
	s_mov_b64 s[6:7], 0
	global_store_byte v[2:3], v6, off
.LBB161_1942:
	s_and_b64 vcc, exec, s[6:7]
	s_cbranch_vccz .LBB161_1952
; %bb.1943:
	v_cvt_f32_f16_e32 v4, v1
	s_mov_b32 s6, 0x43f00000
                                        ; implicit-def: $vgpr5
	v_and_b32_e32 v6, 0x7fffffff, v4
	v_cmp_gt_u32_e32 vcc, s6, v6
	s_and_saveexec_b64 s[6:7], vcc
	s_xor_b64 s[6:7], exec, s[6:7]
	s_cbranch_execz .LBB161_1949
; %bb.1944:
	s_mov_b32 s8, 0x3c7fffff
	v_cmp_lt_u32_e32 vcc, s8, v6
                                        ; implicit-def: $vgpr5
	s_and_saveexec_b64 s[8:9], vcc
	s_xor_b64 s[8:9], exec, s[8:9]
; %bb.1945:
	v_bfe_u32 v5, v4, 20, 1
	s_mov_b32 s10, 0x407ffff
	v_add3_u32 v5, v4, v5, s10
	v_lshrrev_b32_e32 v6, 20, v5
	v_and_b32_e32 v5, 0xff00000, v5
	s_mov_b32 s10, 0x7f00000
	v_mov_b32_e32 v7, 0x7e
	v_cmp_ne_u32_e32 vcc, s10, v5
	s_nop 1
	v_cndmask_b32_e32 v5, v7, v6, vcc
; %bb.1946:
	s_andn2_saveexec_b64 s[8:9], s[8:9]
; %bb.1947:
	s_mov_b32 s10, 0x46800000
	v_add_f32_e64 v5, |v4|, s10
; %bb.1948:
	s_or_b64 exec, exec, s[8:9]
                                        ; implicit-def: $vgpr6
.LBB161_1949:
	s_andn2_saveexec_b64 s[6:7], s[6:7]
; %bb.1950:
	s_mov_b32 s8, 0x7f800000
	v_mov_b32_e32 v5, 0x7e
	v_mov_b32_e32 v7, 0x7f
	v_cmp_lt_u32_e32 vcc, s8, v6
	s_nop 1
	v_cndmask_b32_e32 v5, v5, v7, vcc
; %bb.1951:
	s_or_b64 exec, exec, s[6:7]
	v_lshrrev_b32_e32 v4, 24, v4
	s_movk_i32 s6, 0x80
	v_and_or_b32 v4, v4, s6, v5
	global_store_byte v[2:3], v4, off
.LBB161_1952:
	s_mov_b64 s[6:7], 0
.LBB161_1953:
	s_andn2_b64 vcc, exec, s[6:7]
	s_cbranch_vccnz .LBB161_1963
; %bb.1954:
	v_cvt_f32_f16_e32 v4, v1
	s_mov_b32 s6, 0x47800000
                                        ; implicit-def: $vgpr5
	v_and_b32_e32 v6, 0x7fffffff, v4
	v_cmp_gt_u32_e32 vcc, s6, v6
	s_and_saveexec_b64 s[6:7], vcc
	s_xor_b64 s[6:7], exec, s[6:7]
	s_cbranch_execz .LBB161_1960
; %bb.1955:
	s_mov_b32 s8, 0x387fffff
	v_cmp_lt_u32_e32 vcc, s8, v6
                                        ; implicit-def: $vgpr5
	s_and_saveexec_b64 s[8:9], vcc
	s_xor_b64 s[8:9], exec, s[8:9]
; %bb.1956:
	v_bfe_u32 v5, v4, 21, 1
	s_mov_b32 s10, 0x80fffff
	v_add3_u32 v5, v4, v5, s10
	v_lshrrev_b32_e32 v5, 21, v5
; %bb.1957:
	s_andn2_saveexec_b64 s[8:9], s[8:9]
; %bb.1958:
	s_mov_b32 s10, 0x43000000
	v_add_f32_e64 v5, |v4|, s10
; %bb.1959:
	s_or_b64 exec, exec, s[8:9]
                                        ; implicit-def: $vgpr6
.LBB161_1960:
	s_andn2_saveexec_b64 s[6:7], s[6:7]
; %bb.1961:
	s_mov_b32 s8, 0x7f800000
	v_mov_b32_e32 v5, 0x7c
	v_mov_b32_e32 v7, 0x7f
	v_cmp_lt_u32_e32 vcc, s8, v6
	s_nop 1
	v_cndmask_b32_e32 v5, v5, v7, vcc
; %bb.1962:
	s_or_b64 exec, exec, s[6:7]
	v_lshrrev_b32_e32 v4, 24, v4
	s_movk_i32 s6, 0x80
	v_and_or_b32 v4, v4, s6, v5
	global_store_byte v[2:3], v4, off
.LBB161_1963:
	s_mov_b64 s[6:7], 0
	s_mov_b64 s[8:9], -1
.LBB161_1964:
	s_andn2_b64 vcc, exec, s[6:7]
	s_mov_b64 s[6:7], 0
	s_cbranch_vccnz .LBB161_1971
; %bb.1965:
	s_cmp_gt_i32 s15, 14
	s_mov_b64 s[10:11], -1
	s_cbranch_scc0 .LBB161_1969
; %bb.1966:
	s_cmp_eq_u32 s15, 15
	s_mov_b64 s[0:1], -1
	s_cbranch_scc0 .LBB161_1968
; %bb.1967:
	v_cvt_f32_f16_e32 v4, v1
	s_movk_i32 s0, 0x7fff
	v_cmp_o_f16_e32 vcc, v1, v1
	v_mov_b32_e32 v5, 0x7fc0
	v_bfe_u32 v6, v4, 16, 1
	v_add3_u32 v4, v4, v6, s0
	v_cndmask_b32_sdwa v4, v5, v4, vcc dst_sel:DWORD dst_unused:UNUSED_PAD src0_sel:DWORD src1_sel:WORD_1
	global_store_short v[2:3], v4, off
	s_mov_b64 s[0:1], 0
	s_mov_b64 s[8:9], -1
.LBB161_1968:
	s_mov_b64 s[10:11], 0
.LBB161_1969:
	s_and_b64 vcc, exec, s[10:11]
	s_cbranch_vccz .LBB161_1971
; %bb.1970:
	s_cmp_lg_u32 s15, 11
	s_mov_b64 s[6:7], -1
	s_cselect_b64 s[0:1], -1, 0
.LBB161_1971:
	s_and_b64 vcc, exec, s[0:1]
	s_cbranch_vccnz .LBB161_2151
; %bb.1972:
	s_andn2_b64 vcc, exec, s[6:7]
	s_cbranch_vccnz .LBB161_1974
.LBB161_1973:
	v_cmp_neq_f16_e32 vcc, 0, v1
	s_mov_b64 s[8:9], -1
	s_nop 0
	v_cndmask_b32_e64 v4, 0, 1, vcc
	global_store_byte v[2:3], v4, off
.LBB161_1974:
	s_mov_b64 s[0:1], 0
	s_branch .LBB161_1976
.LBB161_1975:
	s_mov_b64 s[0:1], -1
	s_mov_b64 s[8:9], 0
.LBB161_1976:
	s_and_b64 vcc, exec, s[0:1]
	s_cbranch_vccz .LBB161_2015
; %bb.1977:
	s_and_b32 s6, 0xffff, s14
	s_cmp_lt_i32 s6, 5
	s_mov_b64 s[0:1], -1
	s_cbranch_scc1 .LBB161_1998
; %bb.1978:
	s_cmp_lt_i32 s6, 8
	s_cbranch_scc1 .LBB161_1988
; %bb.1979:
	s_cmp_lt_i32 s6, 9
	s_cbranch_scc1 .LBB161_1985
; %bb.1980:
	s_cmp_gt_i32 s6, 9
	s_cbranch_scc0 .LBB161_1982
; %bb.1981:
	v_cvt_f32_f16_e32 v4, v1
	v_mov_b32_e32 v6, 0
	v_mov_b32_e32 v7, v6
	s_mov_b64 s[0:1], 0
	v_cvt_f64_f32_e32 v[4:5], v4
	global_store_dwordx4 v[2:3], v[4:7], off
.LBB161_1982:
	s_andn2_b64 vcc, exec, s[0:1]
	s_cbranch_vccnz .LBB161_1984
; %bb.1983:
	v_cvt_f32_f16_e32 v4, v1
	v_mov_b32_e32 v5, 0
	global_store_dwordx2 v[2:3], v[4:5], off
.LBB161_1984:
	s_mov_b64 s[0:1], 0
.LBB161_1985:
	s_andn2_b64 vcc, exec, s[0:1]
	s_cbranch_vccnz .LBB161_1987
; %bb.1986:
	v_and_b32_e32 v4, 0xffff, v1
	global_store_dword v[2:3], v4, off
.LBB161_1987:
	s_mov_b64 s[0:1], 0
.LBB161_1988:
	s_andn2_b64 vcc, exec, s[0:1]
	s_cbranch_vccnz .LBB161_1997
; %bb.1989:
	s_cmp_lt_i32 s6, 6
	s_mov_b64 s[0:1], -1
	s_cbranch_scc1 .LBB161_1995
; %bb.1990:
	s_cmp_gt_i32 s6, 6
	s_cbranch_scc0 .LBB161_1992
; %bb.1991:
	v_cvt_f32_f16_e32 v4, v1
	s_mov_b64 s[0:1], 0
	v_cvt_f64_f32_e32 v[4:5], v4
	global_store_dwordx2 v[2:3], v[4:5], off
.LBB161_1992:
	s_andn2_b64 vcc, exec, s[0:1]
	s_cbranch_vccnz .LBB161_1994
; %bb.1993:
	v_cvt_f32_f16_e32 v4, v1
	global_store_dword v[2:3], v4, off
.LBB161_1994:
	s_mov_b64 s[0:1], 0
.LBB161_1995:
	s_andn2_b64 vcc, exec, s[0:1]
	s_cbranch_vccnz .LBB161_1997
; %bb.1996:
	global_store_short v[2:3], v1, off
.LBB161_1997:
	s_mov_b64 s[0:1], 0
.LBB161_1998:
	s_andn2_b64 vcc, exec, s[0:1]
	s_cbranch_vccnz .LBB161_2014
; %bb.1999:
	s_cmp_lt_i32 s6, 2
	s_mov_b64 s[0:1], -1
	s_cbranch_scc1 .LBB161_2009
; %bb.2000:
	s_cmp_lt_i32 s6, 3
	s_cbranch_scc1 .LBB161_2006
; %bb.2001:
	s_cmp_gt_i32 s6, 3
	s_cbranch_scc0 .LBB161_2003
; %bb.2002:
	v_cvt_f32_f16_e32 v4, v1
	s_mov_b64 s[0:1], 0
	v_cvt_i32_f32_e32 v4, v4
	v_ashrrev_i32_e32 v5, 31, v4
	global_store_dwordx2 v[2:3], v[4:5], off
.LBB161_2003:
	s_andn2_b64 vcc, exec, s[0:1]
	s_cbranch_vccnz .LBB161_2005
; %bb.2004:
	v_cvt_f32_f16_e32 v4, v1
	v_cvt_i32_f32_e32 v4, v4
	global_store_dword v[2:3], v4, off
.LBB161_2005:
	s_mov_b64 s[0:1], 0
.LBB161_2006:
	s_andn2_b64 vcc, exec, s[0:1]
	s_cbranch_vccnz .LBB161_2008
; %bb.2007:
	v_cvt_i16_f16_e32 v4, v1
	global_store_short v[2:3], v4, off
.LBB161_2008:
	s_mov_b64 s[0:1], 0
.LBB161_2009:
	s_andn2_b64 vcc, exec, s[0:1]
	s_cbranch_vccnz .LBB161_2014
; %bb.2010:
	s_cmp_gt_i32 s6, 0
	s_mov_b64 s[0:1], -1
	s_cbranch_scc0 .LBB161_2012
; %bb.2011:
	v_cvt_i16_f16_e32 v4, v1
	global_store_byte v[2:3], v4, off
	s_mov_b64 s[0:1], 0
.LBB161_2012:
	s_andn2_b64 vcc, exec, s[0:1]
	s_cbranch_vccnz .LBB161_2014
; %bb.2013:
	v_cvt_f32_f16_e32 v1, v1
	v_cvt_i32_f32_e32 v1, v1
	global_store_byte v[2:3], v1, off
.LBB161_2014:
	s_mov_b64 s[8:9], -1
.LBB161_2015:
	s_andn2_b64 vcc, exec, s[8:9]
	s_cbranch_vccnz .LBB161_2092
; %bb.2016:
	v_cvt_f32_f16_e32 v1, v10
	s_mov_b32 s0, 0xbf317218
	v_mov_b32_e32 v2, 0x3ab69700
	s_cmp_lt_i32 s14, 11
	v_mul_f32_e32 v3, 0x3fb8aa3b, v1
	v_rndne_f32_e32 v3, v3
	v_fma_mix_f32 v4, v3, s0, v10 op_sel_hi:[0,0,1]
	v_fmamk_f32 v4, v3, 0x3102e308, v4
	v_fmac_f32_e32 v2, 0x395133b1, v4
	v_fmaak_f32 v2, v4, v2, 0x3c0887f9
	v_cvt_i32_f32_e32 v5, v3
	v_fmaak_f32 v2, v4, v2, 0x3d2aaa81
	v_fmaak_f32 v2, v4, v2, 0x3e2aaaab
	v_fma_f32 v2, v4, v2, 0.5
	v_mul_f32_e32 v2, v4, v2
	s_mov_b32 s0, 0x43000000
	v_fmac_f32_e32 v4, v4, v2
	v_ldexp_f32 v2, 1.0, v5
	v_mov_b32_e32 v5, 0x7f000000
	v_cmp_eq_f32_e32 vcc, s0, v3
	s_mov_b32 s0, 0x42b17217
	s_nop 0
	v_cndmask_b32_e32 v2, v2, v5, vcc
	v_add_f32_e32 v3, -1.0, v2
	v_fmac_f32_e32 v3, v2, v4
	v_add_f32_e32 v2, v3, v3
	v_cndmask_b32_e32 v2, v3, v2, vcc
	v_mov_b32_e32 v3, 0x7f800000
	v_cmp_nlt_f32_e32 vcc, s0, v1
	s_mov_b32 s0, 0xcc40
	s_nop 0
	v_cndmask_b32_e32 v1, v3, v2, vcc
	v_cvt_f16_f32_e32 v1, v1
	v_mov_b32_e32 v2, 0xbc00
	v_cmp_ngt_f16_e32 vcc, s0, v10
	s_nop 1
	v_cndmask_b32_e32 v2, v2, v1, vcc
	v_mov_b32_e32 v1, 0
	v_lshl_add_u64 v[0:1], s[4:5], 0, v[0:1]
	s_cbranch_scc1 .LBB161_2137
; %bb.2017:
	s_and_b32 s12, 0xffff, s14
	s_mov_b64 s[6:7], -1
	s_mov_b64 s[4:5], 0
	s_cmp_gt_i32 s12, 25
	s_mov_b64 s[0:1], 0
	s_cbranch_scc0 .LBB161_2050
; %bb.2018:
	s_cmp_gt_i32 s12, 28
	s_cbranch_scc0 .LBB161_2034
; %bb.2019:
	s_cmp_gt_i32 s12, 43
	;; [unrolled: 3-line block ×3, first 2 shown]
	s_cbranch_scc0 .LBB161_2024
; %bb.2021:
	s_cmp_eq_u32 s12, 46
	s_mov_b64 s[0:1], -1
	s_cbranch_scc0 .LBB161_2023
; %bb.2022:
	v_cvt_f32_f16_e32 v3, v2
	s_movk_i32 s0, 0x7fff
	v_cmp_o_f16_e32 vcc, v2, v2
	v_mov_b32_e32 v4, 0x7fc0
	v_bfe_u32 v5, v3, 16, 1
	v_add3_u32 v3, v3, v5, s0
	v_cndmask_b32_sdwa v3, v4, v3, vcc dst_sel:DWORD dst_unused:UNUSED_PAD src0_sel:DWORD src1_sel:WORD_1
	global_store_dword v[0:1], v3, off
	s_mov_b64 s[0:1], 0
.LBB161_2023:
	s_mov_b64 s[6:7], 0
.LBB161_2024:
	s_and_b64 vcc, exec, s[6:7]
	s_cbranch_vccz .LBB161_2029
; %bb.2025:
	s_cmp_eq_u32 s12, 44
	s_mov_b64 s[0:1], -1
	s_cbranch_scc0 .LBB161_2029
; %bb.2026:
	v_cvt_f32_f16_e32 v3, v2
	s_movk_i32 s0, 0xff
	v_mov_b32_e32 v5, 0xff
	v_bfe_u32 v4, v3, 23, 8
	v_cmp_ne_u32_e32 vcc, s0, v4
	s_and_saveexec_b64 s[6:7], vcc
; %bb.2027:
	s_mov_b32 s0, 0x3fffff
	v_lshrrev_b32_e32 v5, 23, v3
	v_and_b32_e32 v6, 0x400000, v3
	v_and_or_b32 v3, v3, s0, v4
	v_cmp_ne_u32_e32 vcc, 0, v6
	v_cmp_ne_u32_e64 s[0:1], 0, v3
	s_and_b64 s[0:1], vcc, s[0:1]
	s_nop 0
	v_cndmask_b32_e64 v3, 0, 1, s[0:1]
	v_add_u32_e32 v5, v5, v3
; %bb.2028:
	s_or_b64 exec, exec, s[6:7]
	s_mov_b64 s[0:1], 0
	global_store_byte v[0:1], v5, off
.LBB161_2029:
	s_mov_b64 s[6:7], 0
.LBB161_2030:
	s_and_b64 vcc, exec, s[6:7]
	s_cbranch_vccz .LBB161_2033
; %bb.2031:
	s_cmp_eq_u32 s12, 29
	s_mov_b64 s[0:1], -1
	s_cbranch_scc0 .LBB161_2033
; %bb.2032:
	v_cvt_f32_f16_e32 v3, v2
	v_mov_b32_e32 v5, 0
	s_mov_b64 s[0:1], 0
	v_cvt_u32_f32_e32 v4, v3
	global_store_dwordx2 v[0:1], v[4:5], off
.LBB161_2033:
	s_mov_b64 s[6:7], 0
.LBB161_2034:
	s_and_b64 vcc, exec, s[6:7]
	s_cbranch_vccz .LBB161_2049
; %bb.2035:
	s_cmp_lt_i32 s12, 27
	s_mov_b64 s[6:7], -1
	s_cbranch_scc1 .LBB161_2041
; %bb.2036:
	s_cmp_gt_i32 s12, 27
	s_cbranch_scc0 .LBB161_2038
; %bb.2037:
	v_cvt_f32_f16_e32 v3, v2
	s_mov_b64 s[6:7], 0
	v_cvt_u32_f32_e32 v3, v3
	global_store_dword v[0:1], v3, off
.LBB161_2038:
	s_andn2_b64 vcc, exec, s[6:7]
	s_cbranch_vccnz .LBB161_2040
; %bb.2039:
	v_cvt_u16_f16_e32 v3, v2
	global_store_short v[0:1], v3, off
.LBB161_2040:
	s_mov_b64 s[6:7], 0
.LBB161_2041:
	s_andn2_b64 vcc, exec, s[6:7]
	s_cbranch_vccnz .LBB161_2049
; %bb.2042:
	v_cvt_f32_f16_e32 v3, v2
	s_mov_b32 s6, 0x43800000
	v_mov_b32_e32 v5, 0x80
	v_and_b32_e32 v4, 0x7fffffff, v3
	v_cmp_gt_u32_e32 vcc, s6, v4
	s_and_saveexec_b64 s[6:7], vcc
	s_cbranch_execz .LBB161_2048
; %bb.2043:
	s_mov_b32 s8, 0x3bffffff
	v_cmp_lt_u32_e32 vcc, s8, v4
	s_mov_b64 s[8:9], 0
                                        ; implicit-def: $vgpr4
	s_and_saveexec_b64 s[10:11], vcc
	s_xor_b64 s[10:11], exec, s[10:11]
	s_cbranch_execz .LBB161_2154
; %bb.2044:
	v_bfe_u32 v4, v3, 20, 1
	s_mov_b32 s13, 0x487ffff
	v_add3_u32 v4, v3, v4, s13
	s_mov_b64 s[8:9], exec
	v_lshrrev_b32_e32 v4, 20, v4
	s_andn2_saveexec_b64 s[10:11], s[10:11]
	s_cbranch_execnz .LBB161_2155
.LBB161_2045:
	s_or_b64 exec, exec, s[10:11]
	v_mov_b32_e32 v5, 0
	s_and_saveexec_b64 s[10:11], s[8:9]
.LBB161_2046:
	v_lshrrev_b32_e32 v3, 24, v3
	s_movk_i32 s8, 0x80
	v_and_or_b32 v5, v3, s8, v4
.LBB161_2047:
	s_or_b64 exec, exec, s[10:11]
.LBB161_2048:
	s_or_b64 exec, exec, s[6:7]
	global_store_byte v[0:1], v5, off
.LBB161_2049:
	s_mov_b64 s[6:7], 0
.LBB161_2050:
	s_and_b64 vcc, exec, s[6:7]
	s_cbranch_vccz .LBB161_2090
; %bb.2051:
	s_cmp_gt_i32 s12, 22
	s_mov_b64 s[4:5], -1
	s_cbranch_scc0 .LBB161_2083
; %bb.2052:
	s_cmp_lt_i32 s12, 24
	s_cbranch_scc1 .LBB161_2072
; %bb.2053:
	s_cmp_gt_i32 s12, 24
	s_cbranch_scc0 .LBB161_2061
; %bb.2054:
	v_cvt_f32_f16_e32 v3, v2
	s_mov_b32 s4, 0x47800000
	v_mov_b32_e32 v5, 0x80
	v_and_b32_e32 v4, 0x7fffffff, v3
	v_cmp_gt_u32_e32 vcc, s4, v4
	s_and_saveexec_b64 s[4:5], vcc
	s_cbranch_execz .LBB161_2060
; %bb.2055:
	s_mov_b32 s6, 0x37ffffff
	v_cmp_lt_u32_e32 vcc, s6, v4
	s_mov_b64 s[6:7], 0
                                        ; implicit-def: $vgpr4
	s_and_saveexec_b64 s[8:9], vcc
	s_xor_b64 s[8:9], exec, s[8:9]
	s_cbranch_execz .LBB161_2157
; %bb.2056:
	v_bfe_u32 v4, v3, 21, 1
	s_mov_b32 s10, 0x88fffff
	v_add3_u32 v4, v3, v4, s10
	s_mov_b64 s[6:7], exec
	v_lshrrev_b32_e32 v4, 21, v4
	s_andn2_saveexec_b64 s[8:9], s[8:9]
	s_cbranch_execnz .LBB161_2158
.LBB161_2057:
	s_or_b64 exec, exec, s[8:9]
	v_mov_b32_e32 v5, 0
	s_and_saveexec_b64 s[8:9], s[6:7]
.LBB161_2058:
	v_lshrrev_b32_e32 v3, 24, v3
	s_movk_i32 s6, 0x80
	v_and_or_b32 v5, v3, s6, v4
.LBB161_2059:
	s_or_b64 exec, exec, s[8:9]
.LBB161_2060:
	s_or_b64 exec, exec, s[4:5]
	s_mov_b64 s[4:5], 0
	global_store_byte v[0:1], v5, off
.LBB161_2061:
	s_and_b64 vcc, exec, s[4:5]
	s_cbranch_vccz .LBB161_2071
; %bb.2062:
	v_cvt_f32_f16_e32 v3, v2
	s_mov_b32 s4, 0x43f00000
                                        ; implicit-def: $vgpr4
	v_and_b32_e32 v5, 0x7fffffff, v3
	v_cmp_gt_u32_e32 vcc, s4, v5
	s_and_saveexec_b64 s[4:5], vcc
	s_xor_b64 s[4:5], exec, s[4:5]
	s_cbranch_execz .LBB161_2068
; %bb.2063:
	s_mov_b32 s6, 0x3c7fffff
	v_cmp_lt_u32_e32 vcc, s6, v5
                                        ; implicit-def: $vgpr4
	s_and_saveexec_b64 s[6:7], vcc
	s_xor_b64 s[6:7], exec, s[6:7]
; %bb.2064:
	v_bfe_u32 v4, v3, 20, 1
	s_mov_b32 s8, 0x407ffff
	v_add3_u32 v4, v3, v4, s8
	v_lshrrev_b32_e32 v5, 20, v4
	v_and_b32_e32 v4, 0xff00000, v4
	s_mov_b32 s8, 0x7f00000
	v_mov_b32_e32 v6, 0x7e
	v_cmp_ne_u32_e32 vcc, s8, v4
	s_nop 1
	v_cndmask_b32_e32 v4, v6, v5, vcc
; %bb.2065:
	s_andn2_saveexec_b64 s[6:7], s[6:7]
; %bb.2066:
	s_mov_b32 s8, 0x46800000
	v_add_f32_e64 v4, |v3|, s8
; %bb.2067:
	s_or_b64 exec, exec, s[6:7]
                                        ; implicit-def: $vgpr5
.LBB161_2068:
	s_andn2_saveexec_b64 s[4:5], s[4:5]
; %bb.2069:
	s_mov_b32 s6, 0x7f800000
	v_mov_b32_e32 v4, 0x7e
	v_mov_b32_e32 v6, 0x7f
	v_cmp_lt_u32_e32 vcc, s6, v5
	s_nop 1
	v_cndmask_b32_e32 v4, v4, v6, vcc
; %bb.2070:
	s_or_b64 exec, exec, s[4:5]
	v_lshrrev_b32_e32 v3, 24, v3
	s_movk_i32 s4, 0x80
	v_and_or_b32 v3, v3, s4, v4
	global_store_byte v[0:1], v3, off
.LBB161_2071:
	s_mov_b64 s[4:5], 0
.LBB161_2072:
	s_andn2_b64 vcc, exec, s[4:5]
	s_cbranch_vccnz .LBB161_2082
; %bb.2073:
	v_cvt_f32_f16_e32 v3, v2
	s_mov_b32 s4, 0x47800000
                                        ; implicit-def: $vgpr4
	v_and_b32_e32 v5, 0x7fffffff, v3
	v_cmp_gt_u32_e32 vcc, s4, v5
	s_and_saveexec_b64 s[4:5], vcc
	s_xor_b64 s[4:5], exec, s[4:5]
	s_cbranch_execz .LBB161_2079
; %bb.2074:
	s_mov_b32 s6, 0x387fffff
	v_cmp_lt_u32_e32 vcc, s6, v5
                                        ; implicit-def: $vgpr4
	s_and_saveexec_b64 s[6:7], vcc
	s_xor_b64 s[6:7], exec, s[6:7]
; %bb.2075:
	v_bfe_u32 v4, v3, 21, 1
	s_mov_b32 s8, 0x80fffff
	v_add3_u32 v4, v3, v4, s8
	v_lshrrev_b32_e32 v4, 21, v4
; %bb.2076:
	s_andn2_saveexec_b64 s[6:7], s[6:7]
; %bb.2077:
	s_mov_b32 s8, 0x43000000
	v_add_f32_e64 v4, |v3|, s8
; %bb.2078:
	s_or_b64 exec, exec, s[6:7]
                                        ; implicit-def: $vgpr5
.LBB161_2079:
	s_andn2_saveexec_b64 s[4:5], s[4:5]
; %bb.2080:
	s_mov_b32 s6, 0x7f800000
	v_mov_b32_e32 v4, 0x7c
	v_mov_b32_e32 v6, 0x7f
	v_cmp_lt_u32_e32 vcc, s6, v5
	s_nop 1
	v_cndmask_b32_e32 v4, v4, v6, vcc
; %bb.2081:
	s_or_b64 exec, exec, s[4:5]
	v_lshrrev_b32_e32 v3, 24, v3
	s_movk_i32 s4, 0x80
	v_and_or_b32 v3, v3, s4, v4
	global_store_byte v[0:1], v3, off
.LBB161_2082:
	s_mov_b64 s[4:5], 0
.LBB161_2083:
	s_andn2_b64 vcc, exec, s[4:5]
	s_mov_b64 s[4:5], 0
	s_cbranch_vccnz .LBB161_2090
; %bb.2084:
	s_cmp_gt_i32 s12, 14
	s_mov_b64 s[6:7], -1
	s_cbranch_scc0 .LBB161_2088
; %bb.2085:
	s_cmp_eq_u32 s12, 15
	s_mov_b64 s[0:1], -1
	s_cbranch_scc0 .LBB161_2087
; %bb.2086:
	v_cvt_f32_f16_e32 v3, v2
	s_movk_i32 s0, 0x7fff
	v_cmp_o_f16_e32 vcc, v2, v2
	v_mov_b32_e32 v4, 0x7fc0
	v_bfe_u32 v5, v3, 16, 1
	v_add3_u32 v3, v3, v5, s0
	v_cndmask_b32_sdwa v3, v4, v3, vcc dst_sel:DWORD dst_unused:UNUSED_PAD src0_sel:DWORD src1_sel:WORD_1
	global_store_short v[0:1], v3, off
	s_mov_b64 s[0:1], 0
.LBB161_2087:
	s_mov_b64 s[6:7], 0
.LBB161_2088:
	s_and_b64 vcc, exec, s[6:7]
	s_cbranch_vccz .LBB161_2090
; %bb.2089:
	s_cmp_lg_u32 s12, 11
	s_mov_b64 s[4:5], -1
	s_cselect_b64 s[0:1], -1, 0
.LBB161_2090:
	s_and_b64 vcc, exec, s[0:1]
	s_cbranch_vccnz .LBB161_2156
.LBB161_2091:
	s_mov_b64 s[0:1], 0
	s_branch .LBB161_2093
.LBB161_2092:
	s_mov_b64 s[0:1], 0
	s_mov_b64 s[4:5], 0
                                        ; implicit-def: $vgpr0_vgpr1
                                        ; implicit-def: $sgpr14
                                        ; implicit-def: $vgpr2
.LBB161_2093:
	s_and_b64 s[6:7], s[0:1], exec
	s_andn2_b64 s[0:1], s[24:25], exec
	s_and_b64 s[2:3], s[2:3], exec
	s_and_b64 s[40:41], s[4:5], exec
	s_or_b64 s[24:25], s[0:1], s[2:3]
.LBB161_2094:
	s_or_b64 exec, exec, s[26:27]
	s_and_saveexec_b64 s[0:1], s[24:25]
	s_cbranch_execz .LBB161_2097
; %bb.2095:
	; divergent unreachable
	s_or_b64 exec, exec, s[0:1]
	s_and_saveexec_b64 s[0:1], s[40:41]
	s_xor_b64 s[0:1], exec, s[0:1]
	s_cbranch_execnz .LBB161_2098
.LBB161_2096:
	s_or_b64 exec, exec, s[0:1]
	s_and_saveexec_b64 s[0:1], s[6:7]
	s_cbranch_execnz .LBB161_2099
	s_branch .LBB161_2136
.LBB161_2097:
	s_or_b64 exec, exec, s[0:1]
	s_and_saveexec_b64 s[0:1], s[40:41]
	s_xor_b64 s[0:1], exec, s[0:1]
	s_cbranch_execz .LBB161_2096
.LBB161_2098:
	v_cmp_neq_f16_e32 vcc, 0, v2
	s_waitcnt vmcnt(0)
	s_nop 0
	v_cndmask_b32_e64 v3, 0, 1, vcc
	global_store_byte v[0:1], v3, off
	s_or_b64 exec, exec, s[0:1]
	s_and_saveexec_b64 s[0:1], s[6:7]
	s_cbranch_execz .LBB161_2136
.LBB161_2099:
	s_sext_i32_i16 s2, s14
	s_cmp_lt_i32 s2, 5
	s_mov_b64 s[0:1], -1
	s_cbranch_scc1 .LBB161_2120
; %bb.2100:
	s_cmp_lt_i32 s2, 8
	s_cbranch_scc1 .LBB161_2110
; %bb.2101:
	s_cmp_lt_i32 s2, 9
	s_cbranch_scc1 .LBB161_2107
; %bb.2102:
	s_cmp_gt_i32 s2, 9
	s_cbranch_scc0 .LBB161_2104
; %bb.2103:
	s_waitcnt vmcnt(0)
	v_cvt_f32_f16_e32 v3, v2
	v_mov_b32_e32 v6, 0
	v_mov_b32_e32 v7, v6
	s_mov_b64 s[0:1], 0
	v_cvt_f64_f32_e32 v[4:5], v3
	global_store_dwordx4 v[0:1], v[4:7], off
.LBB161_2104:
	s_andn2_b64 vcc, exec, s[0:1]
	s_cbranch_vccnz .LBB161_2106
; %bb.2105:
	v_cvt_f32_f16_e32 v4, v2
	v_mov_b32_e32 v5, 0
	s_waitcnt vmcnt(0)
	global_store_dwordx2 v[0:1], v[4:5], off
.LBB161_2106:
	s_mov_b64 s[0:1], 0
.LBB161_2107:
	s_andn2_b64 vcc, exec, s[0:1]
	s_cbranch_vccnz .LBB161_2109
; %bb.2108:
	s_waitcnt vmcnt(0)
	v_and_b32_e32 v3, 0xffff, v2
	global_store_dword v[0:1], v3, off
.LBB161_2109:
	s_mov_b64 s[0:1], 0
.LBB161_2110:
	s_andn2_b64 vcc, exec, s[0:1]
	s_cbranch_vccnz .LBB161_2119
; %bb.2111:
	s_sext_i32_i16 s2, s14
	s_cmp_lt_i32 s2, 6
	s_mov_b64 s[0:1], -1
	s_cbranch_scc1 .LBB161_2117
; %bb.2112:
	s_cmp_gt_i32 s2, 6
	s_cbranch_scc0 .LBB161_2114
; %bb.2113:
	s_waitcnt vmcnt(0)
	v_cvt_f32_f16_e32 v3, v2
	s_mov_b64 s[0:1], 0
	v_cvt_f64_f32_e32 v[4:5], v3
	global_store_dwordx2 v[0:1], v[4:5], off
.LBB161_2114:
	s_andn2_b64 vcc, exec, s[0:1]
	s_cbranch_vccnz .LBB161_2116
; %bb.2115:
	s_waitcnt vmcnt(0)
	v_cvt_f32_f16_e32 v3, v2
	global_store_dword v[0:1], v3, off
.LBB161_2116:
	s_mov_b64 s[0:1], 0
.LBB161_2117:
	s_andn2_b64 vcc, exec, s[0:1]
	s_cbranch_vccnz .LBB161_2119
; %bb.2118:
	s_waitcnt vmcnt(0)
	global_store_short v[0:1], v2, off
.LBB161_2119:
	s_mov_b64 s[0:1], 0
.LBB161_2120:
	s_andn2_b64 vcc, exec, s[0:1]
	s_cbranch_vccnz .LBB161_2136
; %bb.2121:
	s_sext_i32_i16 s2, s14
	s_cmp_lt_i32 s2, 2
	s_mov_b64 s[0:1], -1
	s_cbranch_scc1 .LBB161_2131
; %bb.2122:
	s_cmp_lt_i32 s2, 3
	s_cbranch_scc1 .LBB161_2128
; %bb.2123:
	s_cmp_gt_i32 s2, 3
	s_cbranch_scc0 .LBB161_2125
; %bb.2124:
	s_waitcnt vmcnt(0)
	v_cvt_f32_f16_e32 v3, v2
	s_mov_b64 s[0:1], 0
	v_cvt_i32_f32_e32 v4, v3
	v_ashrrev_i32_e32 v5, 31, v4
	global_store_dwordx2 v[0:1], v[4:5], off
.LBB161_2125:
	s_andn2_b64 vcc, exec, s[0:1]
	s_cbranch_vccnz .LBB161_2127
; %bb.2126:
	s_waitcnt vmcnt(0)
	v_cvt_f32_f16_e32 v3, v2
	v_cvt_i32_f32_e32 v3, v3
	global_store_dword v[0:1], v3, off
.LBB161_2127:
	s_mov_b64 s[0:1], 0
.LBB161_2128:
	s_andn2_b64 vcc, exec, s[0:1]
	s_cbranch_vccnz .LBB161_2130
; %bb.2129:
	s_waitcnt vmcnt(0)
	v_cvt_i16_f16_e32 v3, v2
	global_store_short v[0:1], v3, off
.LBB161_2130:
	s_mov_b64 s[0:1], 0
.LBB161_2131:
	s_andn2_b64 vcc, exec, s[0:1]
	s_cbranch_vccnz .LBB161_2136
; %bb.2132:
	s_sext_i32_i16 s0, s14
	s_cmp_gt_i32 s0, 0
	s_mov_b64 s[0:1], -1
	s_cbranch_scc0 .LBB161_2134
; %bb.2133:
	s_waitcnt vmcnt(0)
	v_cvt_i16_f16_e32 v3, v2
	global_store_byte v[0:1], v3, off
	s_mov_b64 s[0:1], 0
.LBB161_2134:
	s_andn2_b64 vcc, exec, s[0:1]
	s_cbranch_vccnz .LBB161_2136
; %bb.2135:
	v_cvt_f32_f16_e32 v2, v2
	v_cvt_i32_f32_e32 v2, v2
	s_waitcnt vmcnt(0)
	global_store_byte v[0:1], v2, off
	s_endpgm
.LBB161_2136:
	s_endpgm
.LBB161_2137:
	s_mov_b64 s[4:5], 0
	s_mov_b64 s[0:1], -1
	s_branch .LBB161_2093
.LBB161_2138:
	s_trap 2
	s_or_b64 s[2:3], s[2:3], exec
	s_cbranch_execz .LBB161_1607
	s_branch .LBB161_1608
.LBB161_2139:
	s_andn2_saveexec_b64 s[12:13], s[12:13]
	s_cbranch_execz .LBB161_1687
.LBB161_2140:
	s_mov_b32 s17, 0x46000000
	v_add_f32_e64 v8, |v5|, s17
	v_and_b32_e32 v8, 0xff, v8
	v_cmp_ne_u32_e32 vcc, 0, v8
	s_andn2_b64 s[10:11], s[10:11], exec
	s_and_b64 s[18:19], vcc, exec
	s_or_b64 s[10:11], s[10:11], s[18:19]
	s_or_b64 exec, exec, s[12:13]
	v_mov_b32_e32 v9, 0
	s_and_saveexec_b64 s[12:13], s[10:11]
	s_cbranch_execnz .LBB161_1688
	s_branch .LBB161_1689
.LBB161_2141:
	s_trap 2
	s_or_b64 s[2:3], s[2:3], exec
	s_cbranch_execz .LBB161_1735
	s_branch .LBB161_1736
.LBB161_2142:
	s_andn2_saveexec_b64 s[10:11], s[10:11]
	s_cbranch_execz .LBB161_1700
.LBB161_2143:
	s_mov_b32 s12, 0x42800000
	v_add_f32_e64 v8, |v5|, s12
	v_and_b32_e32 v8, 0xff, v8
	v_cmp_ne_u32_e32 vcc, 0, v8
	s_andn2_b64 s[8:9], s[8:9], exec
	s_and_b64 s[12:13], vcc, exec
	s_or_b64 s[8:9], s[8:9], s[12:13]
	s_or_b64 exec, exec, s[10:11]
	v_mov_b32_e32 v9, 0
	s_and_saveexec_b64 s[10:11], s[8:9]
	s_cbranch_execnz .LBB161_1701
	s_branch .LBB161_1702
.LBB161_2144:
	s_andn2_saveexec_b64 s[12:13], s[12:13]
	s_cbranch_execz .LBB161_1806
.LBB161_2145:
	s_mov_b32 s16, 0x46000000
	v_add_f32_e64 v6, |v3|, s16
	v_and_b32_e32 v6, 0xff, v6
	v_cmp_ne_u32_e32 vcc, 0, v6
	s_andn2_b64 s[10:11], s[10:11], exec
	s_and_b64 s[16:17], vcc, exec
	s_or_b64 s[10:11], s[10:11], s[16:17]
	s_or_b64 exec, exec, s[12:13]
	v_mov_b32_e32 v7, 0
	s_and_saveexec_b64 s[12:13], s[10:11]
	s_cbranch_execnz .LBB161_1807
	s_branch .LBB161_1808
.LBB161_2146:
	s_trap 2
	s_or_b64 s[2:3], s[2:3], exec
	s_cbranch_execz .LBB161_1854
	s_branch .LBB161_1855
.LBB161_2147:
	s_andn2_saveexec_b64 s[10:11], s[10:11]
	s_cbranch_execz .LBB161_1819
.LBB161_2148:
	s_mov_b32 s12, 0x42800000
	v_add_f32_e64 v6, |v3|, s12
	v_and_b32_e32 v6, 0xff, v6
	v_cmp_ne_u32_e32 vcc, 0, v6
	s_andn2_b64 s[8:9], s[8:9], exec
	s_and_b64 s[12:13], vcc, exec
	s_or_b64 s[8:9], s[8:9], s[12:13]
	s_or_b64 exec, exec, s[10:11]
	v_mov_b32_e32 v7, 0
	s_and_saveexec_b64 s[10:11], s[8:9]
	s_cbranch_execnz .LBB161_1820
	s_branch .LBB161_1821
.LBB161_2149:
	s_andn2_saveexec_b64 s[12:13], s[12:13]
	s_cbranch_execz .LBB161_1925
.LBB161_2150:
	s_mov_b32 s16, 0x46000000
	v_add_f32_e64 v5, |v4|, s16
	v_and_b32_e32 v5, 0xff, v5
	v_cmp_ne_u32_e32 vcc, 0, v5
	s_andn2_b64 s[10:11], s[10:11], exec
	s_and_b64 s[16:17], vcc, exec
	s_or_b64 s[10:11], s[10:11], s[16:17]
	s_or_b64 exec, exec, s[12:13]
	v_mov_b32_e32 v6, 0
	s_and_saveexec_b64 s[12:13], s[10:11]
	s_cbranch_execnz .LBB161_1926
	s_branch .LBB161_1927
.LBB161_2151:
	s_trap 2
	s_or_b64 s[2:3], s[2:3], exec
	s_cbranch_execz .LBB161_1973
	s_branch .LBB161_1974
.LBB161_2152:
	s_andn2_saveexec_b64 s[10:11], s[10:11]
	s_cbranch_execz .LBB161_1938
.LBB161_2153:
	s_mov_b32 s12, 0x42800000
	v_add_f32_e64 v5, |v4|, s12
	v_and_b32_e32 v5, 0xff, v5
	v_cmp_ne_u32_e32 vcc, 0, v5
	s_andn2_b64 s[8:9], s[8:9], exec
	s_and_b64 s[12:13], vcc, exec
	s_or_b64 s[8:9], s[8:9], s[12:13]
	s_or_b64 exec, exec, s[10:11]
	v_mov_b32_e32 v6, 0
	s_and_saveexec_b64 s[10:11], s[8:9]
	s_cbranch_execnz .LBB161_1939
	s_branch .LBB161_1940
.LBB161_2154:
	s_andn2_saveexec_b64 s[10:11], s[10:11]
	s_cbranch_execz .LBB161_2045
.LBB161_2155:
	s_mov_b32 s13, 0x46000000
	v_add_f32_e64 v4, |v3|, s13
	v_and_b32_e32 v4, 0xff, v4
	v_cmp_ne_u32_e32 vcc, 0, v4
	s_andn2_b64 s[8:9], s[8:9], exec
	s_and_b64 s[16:17], vcc, exec
	s_or_b64 s[8:9], s[8:9], s[16:17]
	s_or_b64 exec, exec, s[10:11]
	v_mov_b32_e32 v5, 0
	s_and_saveexec_b64 s[10:11], s[8:9]
	s_cbranch_execnz .LBB161_2046
	s_branch .LBB161_2047
.LBB161_2156:
	s_mov_b64 s[4:5], 0
	s_or_b64 s[2:3], s[2:3], exec
	s_trap 2
	s_branch .LBB161_2091
.LBB161_2157:
	s_andn2_saveexec_b64 s[8:9], s[8:9]
	s_cbranch_execz .LBB161_2057
.LBB161_2158:
	s_mov_b32 s10, 0x42800000
	v_add_f32_e64 v4, |v3|, s10
	v_and_b32_e32 v4, 0xff, v4
	v_cmp_ne_u32_e32 vcc, 0, v4
	s_andn2_b64 s[6:7], s[6:7], exec
	s_and_b64 s[10:11], vcc, exec
	s_or_b64 s[6:7], s[6:7], s[10:11]
	s_or_b64 exec, exec, s[8:9]
	v_mov_b32_e32 v5, 0
	s_and_saveexec_b64 s[8:9], s[6:7]
	s_cbranch_execnz .LBB161_2058
	s_branch .LBB161_2059
	.section	.rodata,"a",@progbits
	.p2align	6, 0x0
	.amdhsa_kernel _ZN2at6native32elementwise_kernel_manual_unrollILi128ELi4EZNS0_15gpu_kernel_implIZZZNS0_17expm1_kernel_cudaERNS_18TensorIteratorBaseEENKUlvE_clEvENKUlvE4_clEvEUlN3c104HalfEE_EEvS4_RKT_EUlibE0_EEviT1_
		.amdhsa_group_segment_fixed_size 0
		.amdhsa_private_segment_fixed_size 0
		.amdhsa_kernarg_size 360
		.amdhsa_user_sgpr_count 2
		.amdhsa_user_sgpr_dispatch_ptr 0
		.amdhsa_user_sgpr_queue_ptr 0
		.amdhsa_user_sgpr_kernarg_segment_ptr 1
		.amdhsa_user_sgpr_dispatch_id 0
		.amdhsa_user_sgpr_kernarg_preload_length 0
		.amdhsa_user_sgpr_kernarg_preload_offset 0
		.amdhsa_user_sgpr_private_segment_size 0
		.amdhsa_uses_dynamic_stack 0
		.amdhsa_enable_private_segment 0
		.amdhsa_system_sgpr_workgroup_id_x 1
		.amdhsa_system_sgpr_workgroup_id_y 0
		.amdhsa_system_sgpr_workgroup_id_z 0
		.amdhsa_system_sgpr_workgroup_info 0
		.amdhsa_system_vgpr_workitem_id 0
		.amdhsa_next_free_vgpr 18
		.amdhsa_next_free_sgpr 78
		.amdhsa_accum_offset 20
		.amdhsa_reserve_vcc 1
		.amdhsa_float_round_mode_32 0
		.amdhsa_float_round_mode_16_64 0
		.amdhsa_float_denorm_mode_32 3
		.amdhsa_float_denorm_mode_16_64 3
		.amdhsa_dx10_clamp 1
		.amdhsa_ieee_mode 1
		.amdhsa_fp16_overflow 0
		.amdhsa_tg_split 0
		.amdhsa_exception_fp_ieee_invalid_op 0
		.amdhsa_exception_fp_denorm_src 0
		.amdhsa_exception_fp_ieee_div_zero 0
		.amdhsa_exception_fp_ieee_overflow 0
		.amdhsa_exception_fp_ieee_underflow 0
		.amdhsa_exception_fp_ieee_inexact 0
		.amdhsa_exception_int_div_zero 0
	.end_amdhsa_kernel
	.section	.text._ZN2at6native32elementwise_kernel_manual_unrollILi128ELi4EZNS0_15gpu_kernel_implIZZZNS0_17expm1_kernel_cudaERNS_18TensorIteratorBaseEENKUlvE_clEvENKUlvE4_clEvEUlN3c104HalfEE_EEvS4_RKT_EUlibE0_EEviT1_,"axG",@progbits,_ZN2at6native32elementwise_kernel_manual_unrollILi128ELi4EZNS0_15gpu_kernel_implIZZZNS0_17expm1_kernel_cudaERNS_18TensorIteratorBaseEENKUlvE_clEvENKUlvE4_clEvEUlN3c104HalfEE_EEvS4_RKT_EUlibE0_EEviT1_,comdat
.Lfunc_end161:
	.size	_ZN2at6native32elementwise_kernel_manual_unrollILi128ELi4EZNS0_15gpu_kernel_implIZZZNS0_17expm1_kernel_cudaERNS_18TensorIteratorBaseEENKUlvE_clEvENKUlvE4_clEvEUlN3c104HalfEE_EEvS4_RKT_EUlibE0_EEviT1_, .Lfunc_end161-_ZN2at6native32elementwise_kernel_manual_unrollILi128ELi4EZNS0_15gpu_kernel_implIZZZNS0_17expm1_kernel_cudaERNS_18TensorIteratorBaseEENKUlvE_clEvENKUlvE4_clEvEUlN3c104HalfEE_EEvS4_RKT_EUlibE0_EEviT1_
                                        ; -- End function
	.set _ZN2at6native32elementwise_kernel_manual_unrollILi128ELi4EZNS0_15gpu_kernel_implIZZZNS0_17expm1_kernel_cudaERNS_18TensorIteratorBaseEENKUlvE_clEvENKUlvE4_clEvEUlN3c104HalfEE_EEvS4_RKT_EUlibE0_EEviT1_.num_vgpr, 18
	.set _ZN2at6native32elementwise_kernel_manual_unrollILi128ELi4EZNS0_15gpu_kernel_implIZZZNS0_17expm1_kernel_cudaERNS_18TensorIteratorBaseEENKUlvE_clEvENKUlvE4_clEvEUlN3c104HalfEE_EEvS4_RKT_EUlibE0_EEviT1_.num_agpr, 0
	.set _ZN2at6native32elementwise_kernel_manual_unrollILi128ELi4EZNS0_15gpu_kernel_implIZZZNS0_17expm1_kernel_cudaERNS_18TensorIteratorBaseEENKUlvE_clEvENKUlvE4_clEvEUlN3c104HalfEE_EEvS4_RKT_EUlibE0_EEviT1_.numbered_sgpr, 78
	.set _ZN2at6native32elementwise_kernel_manual_unrollILi128ELi4EZNS0_15gpu_kernel_implIZZZNS0_17expm1_kernel_cudaERNS_18TensorIteratorBaseEENKUlvE_clEvENKUlvE4_clEvEUlN3c104HalfEE_EEvS4_RKT_EUlibE0_EEviT1_.num_named_barrier, 0
	.set _ZN2at6native32elementwise_kernel_manual_unrollILi128ELi4EZNS0_15gpu_kernel_implIZZZNS0_17expm1_kernel_cudaERNS_18TensorIteratorBaseEENKUlvE_clEvENKUlvE4_clEvEUlN3c104HalfEE_EEvS4_RKT_EUlibE0_EEviT1_.private_seg_size, 0
	.set _ZN2at6native32elementwise_kernel_manual_unrollILi128ELi4EZNS0_15gpu_kernel_implIZZZNS0_17expm1_kernel_cudaERNS_18TensorIteratorBaseEENKUlvE_clEvENKUlvE4_clEvEUlN3c104HalfEE_EEvS4_RKT_EUlibE0_EEviT1_.uses_vcc, 1
	.set _ZN2at6native32elementwise_kernel_manual_unrollILi128ELi4EZNS0_15gpu_kernel_implIZZZNS0_17expm1_kernel_cudaERNS_18TensorIteratorBaseEENKUlvE_clEvENKUlvE4_clEvEUlN3c104HalfEE_EEvS4_RKT_EUlibE0_EEviT1_.uses_flat_scratch, 0
	.set _ZN2at6native32elementwise_kernel_manual_unrollILi128ELi4EZNS0_15gpu_kernel_implIZZZNS0_17expm1_kernel_cudaERNS_18TensorIteratorBaseEENKUlvE_clEvENKUlvE4_clEvEUlN3c104HalfEE_EEvS4_RKT_EUlibE0_EEviT1_.has_dyn_sized_stack, 0
	.set _ZN2at6native32elementwise_kernel_manual_unrollILi128ELi4EZNS0_15gpu_kernel_implIZZZNS0_17expm1_kernel_cudaERNS_18TensorIteratorBaseEENKUlvE_clEvENKUlvE4_clEvEUlN3c104HalfEE_EEvS4_RKT_EUlibE0_EEviT1_.has_recursion, 0
	.set _ZN2at6native32elementwise_kernel_manual_unrollILi128ELi4EZNS0_15gpu_kernel_implIZZZNS0_17expm1_kernel_cudaERNS_18TensorIteratorBaseEENKUlvE_clEvENKUlvE4_clEvEUlN3c104HalfEE_EEvS4_RKT_EUlibE0_EEviT1_.has_indirect_call, 0
	.section	.AMDGPU.csdata,"",@progbits
; Kernel info:
; codeLenInByte = 43292
; TotalNumSgprs: 84
; NumVgprs: 18
; NumAgprs: 0
; TotalNumVgprs: 18
; ScratchSize: 0
; MemoryBound: 0
; FloatMode: 240
; IeeeMode: 1
; LDSByteSize: 0 bytes/workgroup (compile time only)
; SGPRBlocks: 10
; VGPRBlocks: 2
; NumSGPRsForWavesPerEU: 84
; NumVGPRsForWavesPerEU: 18
; AccumOffset: 20
; Occupancy: 8
; WaveLimiterHint : 1
; COMPUTE_PGM_RSRC2:SCRATCH_EN: 0
; COMPUTE_PGM_RSRC2:USER_SGPR: 2
; COMPUTE_PGM_RSRC2:TRAP_HANDLER: 0
; COMPUTE_PGM_RSRC2:TGID_X_EN: 1
; COMPUTE_PGM_RSRC2:TGID_Y_EN: 0
; COMPUTE_PGM_RSRC2:TGID_Z_EN: 0
; COMPUTE_PGM_RSRC2:TIDIG_COMP_CNT: 0
; COMPUTE_PGM_RSRC3_GFX90A:ACCUM_OFFSET: 4
; COMPUTE_PGM_RSRC3_GFX90A:TG_SPLIT: 0
	.section	.text._ZN2at6native29vectorized_elementwise_kernelILi16EZZZNS0_17rsqrt_kernel_cudaERNS_18TensorIteratorBaseEENKUlvE_clEvENKUlvE_clEvEUlN3c107complexIdEEE_St5arrayIPcLm2EEEEviT0_T1_,"axG",@progbits,_ZN2at6native29vectorized_elementwise_kernelILi16EZZZNS0_17rsqrt_kernel_cudaERNS_18TensorIteratorBaseEENKUlvE_clEvENKUlvE_clEvEUlN3c107complexIdEEE_St5arrayIPcLm2EEEEviT0_T1_,comdat
	.globl	_ZN2at6native29vectorized_elementwise_kernelILi16EZZZNS0_17rsqrt_kernel_cudaERNS_18TensorIteratorBaseEENKUlvE_clEvENKUlvE_clEvEUlN3c107complexIdEEE_St5arrayIPcLm2EEEEviT0_T1_ ; -- Begin function _ZN2at6native29vectorized_elementwise_kernelILi16EZZZNS0_17rsqrt_kernel_cudaERNS_18TensorIteratorBaseEENKUlvE_clEvENKUlvE_clEvEUlN3c107complexIdEEE_St5arrayIPcLm2EEEEviT0_T1_
	.p2align	8
	.type	_ZN2at6native29vectorized_elementwise_kernelILi16EZZZNS0_17rsqrt_kernel_cudaERNS_18TensorIteratorBaseEENKUlvE_clEvENKUlvE_clEvEUlN3c107complexIdEEE_St5arrayIPcLm2EEEEviT0_T1_,@function
_ZN2at6native29vectorized_elementwise_kernelILi16EZZZNS0_17rsqrt_kernel_cudaERNS_18TensorIteratorBaseEENKUlvE_clEvENKUlvE_clEvEUlN3c107complexIdEEE_St5arrayIPcLm2EEEEviT0_T1_: ; @_ZN2at6native29vectorized_elementwise_kernelILi16EZZZNS0_17rsqrt_kernel_cudaERNS_18TensorIteratorBaseEENKUlvE_clEvENKUlvE_clEvEUlN3c107complexIdEEE_St5arrayIPcLm2EEEEviT0_T1_
; %bb.0:
	s_load_dword s3, s[0:1], 0x0
	s_load_dwordx4 s[8:11], s[0:1], 0x8
	s_lshl_b32 s6, s2, 10
	s_mov_b64 s[0:1], -1
	s_waitcnt lgkmcnt(0)
	s_sub_i32 s24, s3, s6
	s_cmpk_gt_i32 s24, 0x3ff
	s_cbranch_scc0 .LBB162_154
; %bb.1:
	s_ashr_i32 s7, s6, 31
	s_lshl_b64 s[4:5], s[6:7], 4
	s_add_u32 s0, s10, s4
	s_addc_u32 s1, s11, s5
	v_lshlrev_b32_e32 v1, 6, v0
	global_load_dwordx4 v[20:23], v1, s[0:1]
	global_load_dwordx4 v[16:19], v1, s[0:1] offset:16
	global_load_dwordx4 v[2:5], v1, s[0:1] offset:48
	;; [unrolled: 1-line block ×3, first 2 shown]
	v_mov_b64_e32 v[14:15], 0
	s_waitcnt vmcnt(3)
	v_cmp_neq_f64_e32 vcc, 0, v[20:21]
	v_cmp_neq_f64_e64 s[0:1], 0, v[22:23]
	s_or_b64 s[0:1], vcc, s[0:1]
	s_and_saveexec_b64 s[12:13], s[0:1]
	s_cbranch_execz .LBB162_31
; %bb.2:
	v_mov_b32_e32 v14, 0
	v_mov_b32_e32 v15, 0x7ff00000
	v_cmp_neq_f64_e64 s[0:1], |v[22:23]|, v[14:15]
	s_and_saveexec_b64 s[14:15], s[0:1]
	s_cbranch_execz .LBB162_30
; %bb.3:
	v_cmp_o_f64_e32 vcc, v[20:21], v[20:21]
                                        ; implicit-def: $vgpr14_vgpr15
	s_and_saveexec_b64 s[0:1], vcc
	s_xor_b64 s[16:17], exec, s[0:1]
	s_cbranch_execz .LBB162_27
; %bb.4:
	s_mov_b32 s0, 0
	s_mov_b32 s1, 0x7ff00000
	v_cmp_neq_f64_e64 s[0:1], |v[20:21]|, s[0:1]
                                        ; implicit-def: $vgpr14_vgpr15
	s_and_saveexec_b64 s[2:3], s[0:1]
	s_xor_b64 s[18:19], exec, s[2:3]
	s_cbranch_execz .LBB162_20
; %bb.5:
	v_max_f64 v[6:7], |v[22:23]|, |v[22:23]|
	v_max_f64 v[8:9], |v[20:21]|, |v[20:21]|
	s_mov_b32 s0, 0x99fcef32
	v_max_f64 v[6:7], v[8:9], v[6:7]
	s_mov_b32 s1, 0x7fda8279
	v_cmp_nle_f64_e64 s[0:1], s[0:1], v[6:7]
                                        ; implicit-def: $sgpr20_sgpr21
	s_and_saveexec_b64 s[2:3], s[0:1]
	s_xor_b64 s[2:3], exec, s[2:3]
	s_cbranch_execz .LBB162_9
; %bb.6:
	s_mov_b32 s20, 0
	s_mov_b32 s21, 0x200000
	v_cmp_le_f64_e64 s[22:23], |v[20:21]|, s[20:21]
	v_cmp_le_f64_e64 s[20:21], |v[22:23]|, s[20:21]
	s_and_b64 s[26:27], s[22:23], s[20:21]
	s_mov_b64 s[20:21], 0
	s_and_saveexec_b64 s[22:23], s[26:27]
; %bb.7:
	s_mov_b64 s[20:21], exec
	v_mul_f64 v[20:21], v[20:21], 4.0
	v_mul_f64 v[22:23], v[22:23], 4.0
; %bb.8:
	s_or_b64 exec, exec, s[22:23]
.LBB162_9:
	s_andn2_saveexec_b64 s[2:3], s[2:3]
; %bb.10:
	v_ldexp_f64 v[20:21], v[20:21], -2
	v_ldexp_f64 v[22:23], v[22:23], -2
	s_andn2_b64 s[20:21], s[20:21], exec
; %bb.11:
	s_or_b64 exec, exec, s[2:3]
	v_max_f64 v[6:7], |v[22:23]|, |v[22:23]|
	v_max_f64 v[8:9], |v[20:21]|, |v[20:21]|
	v_max_f64 v[6:7], v[8:9], v[6:7]
	v_frexp_exp_i32_f64_e32 v26, v[6:7]
	v_sub_u32_e32 v8, 0, v26
	v_ldexp_f64 v[6:7], |v[20:21]|, v8
	v_ldexp_f64 v[8:9], |v[22:23]|, v8
	v_mul_f64 v[8:9], v[8:9], v[8:9]
	v_fmac_f64_e32 v[8:9], v[6:7], v[6:7]
	v_rsq_f64_e32 v[6:7], v[8:9]
	v_cmp_eq_f64_e64 s[2:3], 0, v[8:9]
	s_movk_i32 s7, 0x204
	v_cmp_class_f64_e64 s[22:23], v[22:23], s7
	v_mul_f64 v[14:15], v[8:9], v[6:7]
	v_mul_f64 v[6:7], v[6:7], 0.5
	v_fma_f64 v[24:25], -v[6:7], v[14:15], 0.5
	v_fmac_f64_e32 v[14:15], v[14:15], v[24:25]
	v_fmac_f64_e32 v[6:7], v[6:7], v[24:25]
	v_fma_f64 v[24:25], -v[14:15], v[14:15], v[8:9]
	v_fmac_f64_e32 v[14:15], v[24:25], v[6:7]
	v_cndmask_b32_e64 v7, v15, v9, s[2:3]
	v_cndmask_b32_e64 v6, v14, v8, s[2:3]
	v_ldexp_f64 v[6:7], v[6:7], v26
	v_cmp_o_f64_e64 s[2:3], v[22:23], v[22:23]
	v_mov_b32_e32 v8, 0x7ff80000
	v_cmp_le_f64_e32 vcc, 0, v[20:21]
	v_cndmask_b32_e64 v6, 0, v6, s[2:3]
	v_cndmask_b32_e64 v7, v8, v7, s[2:3]
	v_cmp_class_f64_e64 s[2:3], v[20:21], s7
	v_mov_b32_e32 v8, 0x7ff00000
	s_or_b64 s[2:3], s[22:23], s[2:3]
	v_cndmask_b32_e64 v15, v7, v8, s[2:3]
	v_cndmask_b32_e64 v14, v6, 0, s[2:3]
                                        ; implicit-def: $vgpr6_vgpr7
                                        ; implicit-def: $vgpr8_vgpr9
	s_and_saveexec_b64 s[2:3], vcc
	s_xor_b64 s[2:3], exec, s[2:3]
	s_cbranch_execz .LBB162_13
; %bb.12:
	v_add_f64 v[6:7], v[20:21], v[14:15]
	s_mov_b32 s22, 0
	v_mul_f64 v[6:7], v[6:7], 0.5
	s_brev_b32 s23, 8
	v_mov_b32_e32 v8, 0x100
	v_cmp_gt_f64_e32 vcc, s[22:23], v[6:7]
	s_nop 1
	v_cndmask_b32_e32 v8, 0, v8, vcc
	v_ldexp_f64 v[6:7], v[6:7], v8
	v_rsq_f64_e32 v[8:9], v[6:7]
	s_nop 0
	v_mul_f64 v[14:15], v[6:7], v[8:9]
	v_mul_f64 v[8:9], v[8:9], 0.5
	v_fma_f64 v[20:21], -v[8:9], v[14:15], 0.5
	v_fmac_f64_e32 v[14:15], v[14:15], v[20:21]
	v_fma_f64 v[24:25], -v[14:15], v[14:15], v[6:7]
	v_fmac_f64_e32 v[8:9], v[8:9], v[20:21]
	v_fmac_f64_e32 v[14:15], v[24:25], v[8:9]
	v_fma_f64 v[20:21], -v[14:15], v[14:15], v[6:7]
	v_fmac_f64_e32 v[14:15], v[20:21], v[8:9]
	v_mov_b32_e32 v8, 0xffffff80
	v_cndmask_b32_e32 v8, 0, v8, vcc
	v_ldexp_f64 v[8:9], v[14:15], v8
	v_mov_b32_e32 v14, 0x260
	v_cmp_class_f64_e32 vcc, v[6:7], v14
	s_nop 1
	v_cndmask_b32_e32 v9, v9, v7, vcc
	v_cndmask_b32_e32 v8, v8, v6, vcc
	v_add_f64 v[6:7], v[8:9], v[8:9]
	v_div_scale_f64 v[14:15], s[22:23], v[6:7], v[6:7], v[22:23]
	v_rcp_f64_e32 v[20:21], v[14:15]
	s_nop 0
	v_fma_f64 v[24:25], -v[14:15], v[20:21], 1.0
	v_fmac_f64_e32 v[20:21], v[20:21], v[24:25]
	v_fma_f64 v[24:25], -v[14:15], v[20:21], 1.0
	v_fmac_f64_e32 v[20:21], v[20:21], v[24:25]
	v_div_scale_f64 v[24:25], vcc, v[22:23], v[6:7], v[22:23]
	v_mul_f64 v[26:27], v[24:25], v[20:21]
	v_fma_f64 v[14:15], -v[14:15], v[26:27], v[24:25]
	s_nop 1
	v_div_fmas_f64 v[14:15], v[14:15], v[20:21], v[26:27]
	v_div_fixup_f64 v[6:7], v[14:15], v[6:7], v[22:23]
                                        ; implicit-def: $vgpr14_vgpr15
                                        ; implicit-def: $vgpr20_vgpr21
	s_andn2_saveexec_b64 s[2:3], s[2:3]
	s_cbranch_execz .LBB162_15
	s_branch .LBB162_14
.LBB162_13:
	s_andn2_saveexec_b64 s[2:3], s[2:3]
	s_cbranch_execz .LBB162_15
.LBB162_14:
	v_add_f64 v[6:7], v[14:15], -v[20:21]
	s_mov_b32 s22, 0
	v_mul_f64 v[6:7], v[6:7], 0.5
	s_brev_b32 s23, 8
	v_mov_b32_e32 v8, 0x100
	v_cmp_gt_f64_e32 vcc, s[22:23], v[6:7]
	s_brev_b32 s7, -2
	s_nop 0
	v_cndmask_b32_e32 v8, 0, v8, vcc
	v_ldexp_f64 v[6:7], v[6:7], v8
	v_rsq_f64_e32 v[8:9], v[6:7]
	s_nop 0
	v_mul_f64 v[14:15], v[6:7], v[8:9]
	v_mul_f64 v[8:9], v[8:9], 0.5
	v_fma_f64 v[20:21], -v[8:9], v[14:15], 0.5
	v_fmac_f64_e32 v[14:15], v[14:15], v[20:21]
	v_fma_f64 v[24:25], -v[14:15], v[14:15], v[6:7]
	v_fmac_f64_e32 v[8:9], v[8:9], v[20:21]
	v_fmac_f64_e32 v[14:15], v[24:25], v[8:9]
	v_fma_f64 v[20:21], -v[14:15], v[14:15], v[6:7]
	v_fmac_f64_e32 v[14:15], v[20:21], v[8:9]
	v_mov_b32_e32 v8, 0xffffff80
	v_cndmask_b32_e32 v8, 0, v8, vcc
	v_ldexp_f64 v[8:9], v[14:15], v8
	v_mov_b32_e32 v14, 0x260
	v_cmp_class_f64_e32 vcc, v[6:7], v14
	v_and_b32_e32 v15, 0x7fffffff, v23
	v_mov_b32_e32 v14, v22
	v_cndmask_b32_e32 v7, v9, v7, vcc
	v_cndmask_b32_e32 v6, v8, v6, vcc
	v_add_f64 v[8:9], v[6:7], v[6:7]
	v_div_scale_f64 v[20:21], s[22:23], v[8:9], v[8:9], v[14:15]
	v_rcp_f64_e32 v[24:25], v[20:21]
	v_div_scale_f64 v[14:15], vcc, v[14:15], v[8:9], v[14:15]
	v_bfi_b32 v7, s7, v7, v23
	v_fma_f64 v[26:27], -v[20:21], v[24:25], 1.0
	v_fmac_f64_e32 v[24:25], v[24:25], v[26:27]
	v_fma_f64 v[26:27], -v[20:21], v[24:25], 1.0
	v_fmac_f64_e32 v[24:25], v[24:25], v[26:27]
	v_mul_f64 v[26:27], v[14:15], v[24:25]
	v_fma_f64 v[14:15], -v[20:21], v[26:27], v[14:15]
	v_div_fmas_f64 v[14:15], v[14:15], v[24:25], v[26:27]
	v_div_fixup_f64 v[8:9], v[14:15], v[8:9], |v[22:23]|
.LBB162_15:
	s_or_b64 exec, exec, s[2:3]
                                        ; implicit-def: $vgpr22_vgpr23
                                        ; implicit-def: $vgpr14_vgpr15
	s_and_saveexec_b64 s[2:3], s[0:1]
	s_xor_b64 s[0:1], exec, s[2:3]
	s_cbranch_execz .LBB162_17
; %bb.16:
	v_mul_f64 v[14:15], v[8:9], 0.5
	v_mul_f64 v[20:21], v[6:7], 0.5
	v_cndmask_b32_e64 v15, v9, v15, s[20:21]
	v_cndmask_b32_e64 v14, v8, v14, s[20:21]
	;; [unrolled: 1-line block ×4, first 2 shown]
                                        ; implicit-def: $vgpr8_vgpr9
                                        ; implicit-def: $vgpr6_vgpr7
	s_andn2_saveexec_b64 s[0:1], s[0:1]
	s_cbranch_execnz .LBB162_18
	s_branch .LBB162_19
.LBB162_17:
	s_andn2_saveexec_b64 s[0:1], s[0:1]
.LBB162_18:
	v_add_f64 v[14:15], v[8:9], v[8:9]
	v_add_f64 v[22:23], v[6:7], v[6:7]
.LBB162_19:
	s_or_b64 exec, exec, s[0:1]
.LBB162_20:
	s_andn2_saveexec_b64 s[0:1], s[18:19]
	s_cbranch_execz .LBB162_26
; %bb.21:
	v_add_f64 v[6:7], v[22:23], -v[22:23]
	v_cmp_lt_i64_e32 vcc, -1, v[20:21]
	s_brev_b32 s7, -2
	v_and_b32_e32 v15, 0x7fffffff, v7
	v_mov_b32_e32 v14, v6
	s_and_saveexec_b64 s[2:3], vcc
	s_xor_b64 s[2:3], exec, s[2:3]
; %bb.22:
	v_bfi_b32 v7, s7, v7, v23
	v_mov_b64_e32 v[22:23], v[6:7]
	v_mov_b64_e32 v[14:15], v[20:21]
; %bb.23:
	s_andn2_saveexec_b64 s[2:3], s[2:3]
; %bb.24:
	v_bfi_b32 v21, s7, v21, v23
	v_mov_b64_e32 v[22:23], v[20:21]
; %bb.25:
	s_or_b64 exec, exec, s[2:3]
.LBB162_26:
	s_or_b64 exec, exec, s[0:1]
.LBB162_27:
	s_andn2_saveexec_b64 s[0:1], s[16:17]
	s_cbranch_execz .LBB162_29
; %bb.28:
	v_add_f64 v[6:7], v[22:23], -v[22:23]
	v_div_scale_f64 v[8:9], vcc, v[6:7], v[6:7], v[6:7]
	v_rcp_f64_e32 v[14:15], v[8:9]
	s_nop 0
	v_fma_f64 v[22:23], -v[8:9], v[14:15], 1.0
	v_fmac_f64_e32 v[14:15], v[14:15], v[22:23]
	v_fma_f64 v[22:23], -v[8:9], v[14:15], 1.0
	v_fmac_f64_e32 v[14:15], v[14:15], v[22:23]
	v_mul_f64 v[22:23], v[8:9], v[14:15]
	v_fma_f64 v[8:9], -v[8:9], v[22:23], v[8:9]
	v_div_fmas_f64 v[8:9], v[8:9], v[14:15], v[22:23]
	v_div_fixup_f64 v[22:23], v[8:9], v[6:7], v[6:7]
	v_mov_b64_e32 v[14:15], v[20:21]
.LBB162_29:
	s_or_b64 exec, exec, s[0:1]
.LBB162_30:
	s_or_b64 exec, exec, s[14:15]
.LBB162_31:
	s_or_b64 exec, exec, s[12:13]
	v_xor_b32_e32 v6, 0x80000000, v15
	v_cmp_gt_f64_e32 vcc, 0, v[14:15]
	v_mov_b32_e32 v24, v14
	v_mov_b32_e32 v20, v22
	v_cndmask_b32_e32 v25, v15, v6, vcc
	v_xor_b32_e32 v6, 0x80000000, v23
	v_cmp_gt_f64_e32 vcc, 0, v[22:23]
	s_nop 1
	v_cndmask_b32_e32 v21, v23, v6, vcc
	v_cmp_ge_f64_e32 vcc, v[24:25], v[20:21]
                                        ; implicit-def: $vgpr8_vgpr9
	s_and_saveexec_b64 s[0:1], vcc
	s_xor_b64 s[2:3], exec, s[0:1]
	s_cbranch_execz .LBB162_37
; %bb.32:
	v_cmp_neq_f64_e32 vcc, 0, v[14:15]
	v_cmp_neq_f64_e64 s[0:1], 0, v[22:23]
	s_or_b64 s[0:1], vcc, s[0:1]
                                        ; implicit-def: $vgpr8_vgpr9
	s_and_saveexec_b64 s[12:13], s[0:1]
	s_xor_b64 s[0:1], exec, s[12:13]
	s_cbranch_execz .LBB162_34
; %bb.33:
	v_div_scale_f64 v[6:7], s[12:13], v[14:15], v[14:15], v[22:23]
	v_rcp_f64_e32 v[8:9], v[6:7]
	v_div_scale_f64 v[20:21], vcc, v[22:23], v[14:15], v[22:23]
	v_fma_f64 v[24:25], -v[6:7], v[8:9], 1.0
	v_fmac_f64_e32 v[8:9], v[8:9], v[24:25]
	v_fma_f64 v[24:25], -v[6:7], v[8:9], 1.0
	v_fmac_f64_e32 v[8:9], v[8:9], v[24:25]
	v_mul_f64 v[24:25], v[20:21], v[8:9]
	v_fma_f64 v[6:7], -v[6:7], v[24:25], v[20:21]
	v_div_fmas_f64 v[6:7], v[6:7], v[8:9], v[24:25]
	v_div_fixup_f64 v[8:9], v[6:7], v[14:15], v[22:23]
	v_fmac_f64_e32 v[14:15], v[22:23], v[8:9]
	v_div_scale_f64 v[6:7], s[12:13], v[14:15], v[14:15], 1.0
	v_rcp_f64_e32 v[20:21], v[6:7]
	s_nop 0
	v_fma_f64 v[22:23], -v[6:7], v[20:21], 1.0
	v_fmac_f64_e32 v[20:21], v[20:21], v[22:23]
	v_fma_f64 v[22:23], -v[6:7], v[20:21], 1.0
	v_fmac_f64_e32 v[20:21], v[20:21], v[22:23]
	v_div_scale_f64 v[22:23], vcc, 1.0, v[14:15], 1.0
	v_mul_f64 v[24:25], v[22:23], v[20:21]
	v_fma_f64 v[6:7], -v[6:7], v[24:25], v[22:23]
	s_nop 1
	v_div_fmas_f64 v[6:7], v[6:7], v[20:21], v[24:25]
	v_div_fixup_f64 v[14:15], v[6:7], v[14:15], 1.0
	v_fma_f64 v[6:7], v[8:9], 0, 1.0
	v_add_f64 v[8:9], -v[8:9], 0
	v_mul_f64 v[6:7], v[6:7], v[14:15]
	v_mul_f64 v[8:9], v[8:9], v[14:15]
                                        ; implicit-def: $vgpr24_vgpr25
                                        ; implicit-def: $vgpr20_vgpr21
.LBB162_34:
	s_andn2_saveexec_b64 s[0:1], s[0:1]
	s_cbranch_execz .LBB162_36
; %bb.35:
	v_div_scale_f64 v[6:7], s[12:13], v[24:25], v[24:25], 1.0
	v_rcp_f64_e32 v[8:9], v[6:7]
	v_div_scale_f64 v[14:15], vcc, 1.0, v[24:25], 1.0
	v_fma_f64 v[22:23], -v[6:7], v[8:9], 1.0
	v_fmac_f64_e32 v[8:9], v[8:9], v[22:23]
	v_fma_f64 v[22:23], -v[6:7], v[8:9], 1.0
	v_fmac_f64_e32 v[8:9], v[8:9], v[22:23]
	v_mul_f64 v[22:23], v[14:15], v[8:9]
	v_fma_f64 v[6:7], -v[6:7], v[22:23], v[14:15]
	v_div_scale_f64 v[14:15], s[12:13], v[20:21], v[20:21], 0
	v_rcp_f64_e32 v[26:27], v[14:15]
	v_div_fmas_f64 v[6:7], v[6:7], v[8:9], v[22:23]
	v_div_fixup_f64 v[6:7], v[6:7], v[24:25], 1.0
	v_fma_f64 v[8:9], -v[14:15], v[26:27], 1.0
	v_fmac_f64_e32 v[26:27], v[26:27], v[8:9]
	v_fma_f64 v[8:9], -v[14:15], v[26:27], 1.0
	v_fmac_f64_e32 v[26:27], v[26:27], v[8:9]
	v_div_scale_f64 v[8:9], vcc, 0, v[20:21], 0
	v_mul_f64 v[22:23], v[8:9], v[26:27]
	v_fma_f64 v[8:9], -v[14:15], v[22:23], v[8:9]
	s_nop 1
	v_div_fmas_f64 v[8:9], v[8:9], v[26:27], v[22:23]
	v_div_fixup_f64 v[8:9], v[8:9], v[20:21], 0
.LBB162_36:
	s_or_b64 exec, exec, s[0:1]
                                        ; implicit-def: $vgpr22_vgpr23
                                        ; implicit-def: $vgpr14_vgpr15
.LBB162_37:
	s_andn2_saveexec_b64 s[0:1], s[2:3]
	s_cbranch_execz .LBB162_39
; %bb.38:
	v_div_scale_f64 v[6:7], s[2:3], v[22:23], v[22:23], v[14:15]
	v_rcp_f64_e32 v[8:9], v[6:7]
	v_div_scale_f64 v[20:21], vcc, v[14:15], v[22:23], v[14:15]
	v_fma_f64 v[24:25], -v[6:7], v[8:9], 1.0
	v_fmac_f64_e32 v[8:9], v[8:9], v[24:25]
	v_fma_f64 v[24:25], -v[6:7], v[8:9], 1.0
	v_fmac_f64_e32 v[8:9], v[8:9], v[24:25]
	v_mul_f64 v[24:25], v[20:21], v[8:9]
	v_fma_f64 v[6:7], -v[6:7], v[24:25], v[20:21]
	v_div_fmas_f64 v[6:7], v[6:7], v[8:9], v[24:25]
	v_div_fixup_f64 v[8:9], v[6:7], v[22:23], v[14:15]
	v_fmac_f64_e32 v[22:23], v[14:15], v[8:9]
	v_div_scale_f64 v[6:7], s[2:3], v[22:23], v[22:23], 1.0
	v_rcp_f64_e32 v[14:15], v[6:7]
	s_nop 0
	v_fma_f64 v[20:21], -v[6:7], v[14:15], 1.0
	v_fmac_f64_e32 v[14:15], v[14:15], v[20:21]
	v_fma_f64 v[20:21], -v[6:7], v[14:15], 1.0
	v_fmac_f64_e32 v[14:15], v[14:15], v[20:21]
	v_div_scale_f64 v[20:21], vcc, 1.0, v[22:23], 1.0
	v_mul_f64 v[24:25], v[20:21], v[14:15]
	v_fma_f64 v[6:7], -v[6:7], v[24:25], v[20:21]
	s_nop 1
	v_div_fmas_f64 v[6:7], v[6:7], v[14:15], v[24:25]
	v_div_fixup_f64 v[14:15], v[6:7], v[22:23], 1.0
	v_add_f64 v[6:7], v[8:9], 0
	v_fma_f64 v[8:9], v[8:9], 0, -1.0
	v_mul_f64 v[6:7], v[6:7], v[14:15]
	v_mul_f64 v[8:9], v[8:9], v[14:15]
.LBB162_39:
	s_or_b64 exec, exec, s[0:1]
	s_waitcnt vmcnt(2)
	v_cmp_neq_f64_e32 vcc, 0, v[16:17]
	v_cmp_neq_f64_e64 s[0:1], 0, v[18:19]
	v_mov_b64_e32 v[20:21], 0
	s_or_b64 s[0:1], vcc, s[0:1]
	s_and_saveexec_b64 s[12:13], s[0:1]
	s_cbranch_execz .LBB162_69
; %bb.40:
	v_mov_b32_e32 v20, 0
	v_mov_b32_e32 v21, 0x7ff00000
	v_cmp_neq_f64_e64 s[0:1], |v[18:19]|, v[20:21]
	s_and_saveexec_b64 s[14:15], s[0:1]
	s_cbranch_execz .LBB162_68
; %bb.41:
	v_cmp_o_f64_e32 vcc, v[16:17], v[16:17]
                                        ; implicit-def: $vgpr20_vgpr21
	s_and_saveexec_b64 s[0:1], vcc
	s_xor_b64 s[16:17], exec, s[0:1]
	s_cbranch_execz .LBB162_65
; %bb.42:
	s_mov_b32 s0, 0
	s_mov_b32 s1, 0x7ff00000
	v_cmp_neq_f64_e64 s[0:1], |v[16:17]|, s[0:1]
                                        ; implicit-def: $vgpr20_vgpr21
	s_and_saveexec_b64 s[2:3], s[0:1]
	s_xor_b64 s[18:19], exec, s[2:3]
	s_cbranch_execz .LBB162_58
; %bb.43:
	v_max_f64 v[14:15], |v[18:19]|, |v[18:19]|
	v_max_f64 v[20:21], |v[16:17]|, |v[16:17]|
	s_mov_b32 s0, 0x99fcef32
	v_max_f64 v[14:15], v[20:21], v[14:15]
	s_mov_b32 s1, 0x7fda8279
	v_cmp_nle_f64_e64 s[0:1], s[0:1], v[14:15]
                                        ; implicit-def: $sgpr20_sgpr21
	s_and_saveexec_b64 s[2:3], s[0:1]
	s_xor_b64 s[2:3], exec, s[2:3]
	s_cbranch_execz .LBB162_47
; %bb.44:
	s_mov_b32 s20, 0
	s_mov_b32 s21, 0x200000
	v_cmp_le_f64_e64 s[22:23], |v[16:17]|, s[20:21]
	v_cmp_le_f64_e64 s[20:21], |v[18:19]|, s[20:21]
	s_and_b64 s[26:27], s[22:23], s[20:21]
	s_mov_b64 s[20:21], 0
	s_and_saveexec_b64 s[22:23], s[26:27]
; %bb.45:
	s_mov_b64 s[20:21], exec
	v_mul_f64 v[16:17], v[16:17], 4.0
	v_mul_f64 v[18:19], v[18:19], 4.0
; %bb.46:
	s_or_b64 exec, exec, s[22:23]
.LBB162_47:
	s_andn2_saveexec_b64 s[2:3], s[2:3]
; %bb.48:
	v_ldexp_f64 v[16:17], v[16:17], -2
	v_ldexp_f64 v[18:19], v[18:19], -2
	s_andn2_b64 s[20:21], s[20:21], exec
; %bb.49:
	s_or_b64 exec, exec, s[2:3]
	v_max_f64 v[14:15], |v[18:19]|, |v[18:19]|
	v_max_f64 v[20:21], |v[16:17]|, |v[16:17]|
	v_max_f64 v[14:15], v[20:21], v[14:15]
	v_frexp_exp_i32_f64_e32 v26, v[14:15]
	v_sub_u32_e32 v20, 0, v26
	v_ldexp_f64 v[14:15], |v[16:17]|, v20
	v_ldexp_f64 v[20:21], |v[18:19]|, v20
	v_mul_f64 v[20:21], v[20:21], v[20:21]
	v_fmac_f64_e32 v[20:21], v[14:15], v[14:15]
	v_rsq_f64_e32 v[14:15], v[20:21]
	v_cmp_eq_f64_e64 s[2:3], 0, v[20:21]
	s_movk_i32 s7, 0x204
	v_cmp_class_f64_e64 s[22:23], v[18:19], s7
	v_mul_f64 v[22:23], v[20:21], v[14:15]
	v_mul_f64 v[14:15], v[14:15], 0.5
	v_fma_f64 v[24:25], -v[14:15], v[22:23], 0.5
	v_fmac_f64_e32 v[22:23], v[22:23], v[24:25]
	v_fmac_f64_e32 v[14:15], v[14:15], v[24:25]
	v_fma_f64 v[24:25], -v[22:23], v[22:23], v[20:21]
	v_fmac_f64_e32 v[22:23], v[24:25], v[14:15]
	v_cndmask_b32_e64 v15, v23, v21, s[2:3]
	v_cndmask_b32_e64 v14, v22, v20, s[2:3]
	v_ldexp_f64 v[14:15], v[14:15], v26
	v_cmp_o_f64_e64 s[2:3], v[18:19], v[18:19]
	v_mov_b32_e32 v20, 0x7ff80000
	v_cmp_le_f64_e32 vcc, 0, v[16:17]
	v_cndmask_b32_e64 v14, 0, v14, s[2:3]
	v_cndmask_b32_e64 v15, v20, v15, s[2:3]
	v_cmp_class_f64_e64 s[2:3], v[16:17], s7
	v_mov_b32_e32 v20, 0x7ff00000
	s_or_b64 s[2:3], s[22:23], s[2:3]
	v_cndmask_b32_e64 v21, v15, v20, s[2:3]
	v_cndmask_b32_e64 v20, v14, 0, s[2:3]
                                        ; implicit-def: $vgpr14_vgpr15
                                        ; implicit-def: $vgpr22_vgpr23
	s_and_saveexec_b64 s[2:3], vcc
	s_xor_b64 s[2:3], exec, s[2:3]
	s_cbranch_execz .LBB162_51
; %bb.50:
	v_add_f64 v[14:15], v[16:17], v[20:21]
	s_mov_b32 s22, 0
	v_mul_f64 v[14:15], v[14:15], 0.5
	s_brev_b32 s23, 8
	v_mov_b32_e32 v16, 0x100
	v_cmp_gt_f64_e32 vcc, s[22:23], v[14:15]
	s_nop 1
	v_cndmask_b32_e32 v16, 0, v16, vcc
	v_ldexp_f64 v[14:15], v[14:15], v16
	v_rsq_f64_e32 v[16:17], v[14:15]
	s_nop 0
	v_mul_f64 v[20:21], v[14:15], v[16:17]
	v_mul_f64 v[16:17], v[16:17], 0.5
	v_fma_f64 v[22:23], -v[16:17], v[20:21], 0.5
	v_fmac_f64_e32 v[20:21], v[20:21], v[22:23]
	v_fma_f64 v[24:25], -v[20:21], v[20:21], v[14:15]
	v_fmac_f64_e32 v[16:17], v[16:17], v[22:23]
	v_fmac_f64_e32 v[20:21], v[24:25], v[16:17]
	v_fma_f64 v[22:23], -v[20:21], v[20:21], v[14:15]
	v_fmac_f64_e32 v[20:21], v[22:23], v[16:17]
	v_mov_b32_e32 v16, 0xffffff80
	v_cndmask_b32_e32 v16, 0, v16, vcc
	v_ldexp_f64 v[16:17], v[20:21], v16
	v_mov_b32_e32 v20, 0x260
	v_cmp_class_f64_e32 vcc, v[14:15], v20
	s_nop 1
	v_cndmask_b32_e32 v23, v17, v15, vcc
	v_cndmask_b32_e32 v22, v16, v14, vcc
	v_add_f64 v[14:15], v[22:23], v[22:23]
	v_div_scale_f64 v[16:17], s[22:23], v[14:15], v[14:15], v[18:19]
	v_rcp_f64_e32 v[20:21], v[16:17]
	s_nop 0
	v_fma_f64 v[24:25], -v[16:17], v[20:21], 1.0
	v_fmac_f64_e32 v[20:21], v[20:21], v[24:25]
	v_fma_f64 v[24:25], -v[16:17], v[20:21], 1.0
	v_fmac_f64_e32 v[20:21], v[20:21], v[24:25]
	v_div_scale_f64 v[24:25], vcc, v[18:19], v[14:15], v[18:19]
	v_mul_f64 v[26:27], v[24:25], v[20:21]
	v_fma_f64 v[16:17], -v[16:17], v[26:27], v[24:25]
	s_nop 1
	v_div_fmas_f64 v[16:17], v[16:17], v[20:21], v[26:27]
	v_div_fixup_f64 v[14:15], v[16:17], v[14:15], v[18:19]
                                        ; implicit-def: $vgpr20_vgpr21
                                        ; implicit-def: $vgpr16_vgpr17
	s_andn2_saveexec_b64 s[2:3], s[2:3]
	s_cbranch_execz .LBB162_53
	s_branch .LBB162_52
.LBB162_51:
	s_andn2_saveexec_b64 s[2:3], s[2:3]
	s_cbranch_execz .LBB162_53
.LBB162_52:
	v_add_f64 v[14:15], v[20:21], -v[16:17]
	s_mov_b32 s22, 0
	v_mul_f64 v[14:15], v[14:15], 0.5
	s_brev_b32 s23, 8
	v_mov_b32_e32 v16, 0x100
	v_cmp_gt_f64_e32 vcc, s[22:23], v[14:15]
	s_brev_b32 s7, -2
	s_nop 0
	v_cndmask_b32_e32 v16, 0, v16, vcc
	v_ldexp_f64 v[14:15], v[14:15], v16
	v_rsq_f64_e32 v[16:17], v[14:15]
	s_nop 0
	v_mul_f64 v[20:21], v[14:15], v[16:17]
	v_mul_f64 v[16:17], v[16:17], 0.5
	v_fma_f64 v[22:23], -v[16:17], v[20:21], 0.5
	v_fmac_f64_e32 v[20:21], v[20:21], v[22:23]
	v_fma_f64 v[24:25], -v[20:21], v[20:21], v[14:15]
	v_fmac_f64_e32 v[16:17], v[16:17], v[22:23]
	v_fmac_f64_e32 v[20:21], v[24:25], v[16:17]
	v_fma_f64 v[22:23], -v[20:21], v[20:21], v[14:15]
	v_fmac_f64_e32 v[20:21], v[22:23], v[16:17]
	v_mov_b32_e32 v16, 0xffffff80
	v_cndmask_b32_e32 v16, 0, v16, vcc
	v_ldexp_f64 v[16:17], v[20:21], v16
	v_mov_b32_e32 v20, 0x260
	v_cmp_class_f64_e32 vcc, v[14:15], v20
	v_and_b32_e32 v21, 0x7fffffff, v19
	v_mov_b32_e32 v20, v18
	v_cndmask_b32_e32 v15, v17, v15, vcc
	v_cndmask_b32_e32 v14, v16, v14, vcc
	v_add_f64 v[16:17], v[14:15], v[14:15]
	v_div_scale_f64 v[22:23], s[22:23], v[16:17], v[16:17], v[20:21]
	v_rcp_f64_e32 v[24:25], v[22:23]
	v_div_scale_f64 v[20:21], vcc, v[20:21], v[16:17], v[20:21]
	v_bfi_b32 v15, s7, v15, v19
	v_fma_f64 v[26:27], -v[22:23], v[24:25], 1.0
	v_fmac_f64_e32 v[24:25], v[24:25], v[26:27]
	v_fma_f64 v[26:27], -v[22:23], v[24:25], 1.0
	v_fmac_f64_e32 v[24:25], v[24:25], v[26:27]
	v_mul_f64 v[26:27], v[20:21], v[24:25]
	v_fma_f64 v[20:21], -v[22:23], v[26:27], v[20:21]
	v_div_fmas_f64 v[20:21], v[20:21], v[24:25], v[26:27]
	v_div_fixup_f64 v[22:23], v[20:21], v[16:17], |v[18:19]|
.LBB162_53:
	s_or_b64 exec, exec, s[2:3]
                                        ; implicit-def: $vgpr18_vgpr19
                                        ; implicit-def: $vgpr20_vgpr21
	s_and_saveexec_b64 s[2:3], s[0:1]
	s_xor_b64 s[0:1], exec, s[2:3]
	s_cbranch_execz .LBB162_55
; %bb.54:
	v_mul_f64 v[16:17], v[22:23], 0.5
	v_mul_f64 v[18:19], v[14:15], 0.5
	v_cndmask_b32_e64 v21, v23, v17, s[20:21]
	v_cndmask_b32_e64 v20, v22, v16, s[20:21]
	;; [unrolled: 1-line block ×4, first 2 shown]
                                        ; implicit-def: $vgpr22_vgpr23
                                        ; implicit-def: $vgpr14_vgpr15
	s_andn2_saveexec_b64 s[0:1], s[0:1]
	s_cbranch_execnz .LBB162_56
	s_branch .LBB162_57
.LBB162_55:
	s_andn2_saveexec_b64 s[0:1], s[0:1]
.LBB162_56:
	v_add_f64 v[20:21], v[22:23], v[22:23]
	v_add_f64 v[18:19], v[14:15], v[14:15]
.LBB162_57:
	s_or_b64 exec, exec, s[0:1]
.LBB162_58:
	s_andn2_saveexec_b64 s[0:1], s[18:19]
	s_cbranch_execz .LBB162_64
; %bb.59:
	v_add_f64 v[14:15], v[18:19], -v[18:19]
	v_cmp_lt_i64_e32 vcc, -1, v[16:17]
	s_brev_b32 s7, -2
	v_and_b32_e32 v21, 0x7fffffff, v15
	v_mov_b32_e32 v20, v14
	s_and_saveexec_b64 s[2:3], vcc
	s_xor_b64 s[2:3], exec, s[2:3]
; %bb.60:
	v_bfi_b32 v15, s7, v15, v19
	v_mov_b64_e32 v[18:19], v[14:15]
	v_mov_b64_e32 v[20:21], v[16:17]
; %bb.61:
	s_andn2_saveexec_b64 s[2:3], s[2:3]
; %bb.62:
	v_bfi_b32 v17, s7, v17, v19
	v_mov_b64_e32 v[18:19], v[16:17]
; %bb.63:
	s_or_b64 exec, exec, s[2:3]
.LBB162_64:
	s_or_b64 exec, exec, s[0:1]
.LBB162_65:
	s_andn2_saveexec_b64 s[0:1], s[16:17]
	s_cbranch_execz .LBB162_67
; %bb.66:
	v_add_f64 v[14:15], v[18:19], -v[18:19]
	v_div_scale_f64 v[18:19], vcc, v[14:15], v[14:15], v[14:15]
	v_rcp_f64_e32 v[20:21], v[18:19]
	s_nop 0
	v_fma_f64 v[22:23], -v[18:19], v[20:21], 1.0
	v_fmac_f64_e32 v[20:21], v[20:21], v[22:23]
	v_fma_f64 v[22:23], -v[18:19], v[20:21], 1.0
	v_fmac_f64_e32 v[20:21], v[20:21], v[22:23]
	v_mul_f64 v[22:23], v[18:19], v[20:21]
	v_fma_f64 v[18:19], -v[18:19], v[22:23], v[18:19]
	v_div_fmas_f64 v[18:19], v[18:19], v[20:21], v[22:23]
	v_div_fixup_f64 v[18:19], v[18:19], v[14:15], v[14:15]
	v_mov_b64_e32 v[20:21], v[16:17]
.LBB162_67:
	s_or_b64 exec, exec, s[0:1]
.LBB162_68:
	s_or_b64 exec, exec, s[14:15]
.LBB162_69:
	s_or_b64 exec, exec, s[12:13]
	v_xor_b32_e32 v14, 0x80000000, v21
	v_cmp_gt_f64_e32 vcc, 0, v[20:21]
	v_mov_b32_e32 v24, v20
	v_mov_b32_e32 v22, v18
	v_cndmask_b32_e32 v25, v21, v14, vcc
	v_xor_b32_e32 v14, 0x80000000, v19
	v_cmp_gt_f64_e32 vcc, 0, v[18:19]
	s_nop 1
	v_cndmask_b32_e32 v23, v19, v14, vcc
	v_cmp_ge_f64_e32 vcc, v[24:25], v[22:23]
                                        ; implicit-def: $vgpr16_vgpr17
	s_and_saveexec_b64 s[0:1], vcc
	s_xor_b64 s[2:3], exec, s[0:1]
	s_cbranch_execz .LBB162_75
; %bb.70:
	v_cmp_neq_f64_e32 vcc, 0, v[20:21]
	v_cmp_neq_f64_e64 s[0:1], 0, v[18:19]
	s_or_b64 s[0:1], vcc, s[0:1]
                                        ; implicit-def: $vgpr16_vgpr17
	s_and_saveexec_b64 s[12:13], s[0:1]
	s_xor_b64 s[0:1], exec, s[12:13]
	s_cbranch_execz .LBB162_72
; %bb.71:
	v_div_scale_f64 v[14:15], s[12:13], v[20:21], v[20:21], v[18:19]
	v_rcp_f64_e32 v[16:17], v[14:15]
	v_div_scale_f64 v[22:23], vcc, v[18:19], v[20:21], v[18:19]
	v_fma_f64 v[24:25], -v[14:15], v[16:17], 1.0
	v_fmac_f64_e32 v[16:17], v[16:17], v[24:25]
	v_fma_f64 v[24:25], -v[14:15], v[16:17], 1.0
	v_fmac_f64_e32 v[16:17], v[16:17], v[24:25]
	v_mul_f64 v[24:25], v[22:23], v[16:17]
	v_fma_f64 v[14:15], -v[14:15], v[24:25], v[22:23]
	v_div_fmas_f64 v[14:15], v[14:15], v[16:17], v[24:25]
	v_div_fixup_f64 v[16:17], v[14:15], v[20:21], v[18:19]
	v_fmac_f64_e32 v[20:21], v[18:19], v[16:17]
	v_div_scale_f64 v[14:15], s[12:13], v[20:21], v[20:21], 1.0
	v_rcp_f64_e32 v[18:19], v[14:15]
	s_nop 0
	v_fma_f64 v[22:23], -v[14:15], v[18:19], 1.0
	v_fmac_f64_e32 v[18:19], v[18:19], v[22:23]
	v_fma_f64 v[22:23], -v[14:15], v[18:19], 1.0
	v_fmac_f64_e32 v[18:19], v[18:19], v[22:23]
	v_div_scale_f64 v[22:23], vcc, 1.0, v[20:21], 1.0
	v_mul_f64 v[24:25], v[22:23], v[18:19]
	v_fma_f64 v[14:15], -v[14:15], v[24:25], v[22:23]
                                        ; implicit-def: $vgpr22_vgpr23
	s_nop 1
	v_div_fmas_f64 v[14:15], v[14:15], v[18:19], v[24:25]
	v_div_fixup_f64 v[18:19], v[14:15], v[20:21], 1.0
	v_fma_f64 v[14:15], v[16:17], 0, 1.0
	v_add_f64 v[16:17], -v[16:17], 0
	v_mul_f64 v[14:15], v[14:15], v[18:19]
	v_mul_f64 v[16:17], v[16:17], v[18:19]
                                        ; implicit-def: $vgpr24_vgpr25
.LBB162_72:
	s_andn2_saveexec_b64 s[0:1], s[0:1]
	s_cbranch_execz .LBB162_74
; %bb.73:
	v_div_scale_f64 v[14:15], s[12:13], v[24:25], v[24:25], 1.0
	v_rcp_f64_e32 v[16:17], v[14:15]
	v_div_scale_f64 v[18:19], vcc, 1.0, v[24:25], 1.0
	v_fma_f64 v[20:21], -v[14:15], v[16:17], 1.0
	v_fmac_f64_e32 v[16:17], v[16:17], v[20:21]
	v_fma_f64 v[20:21], -v[14:15], v[16:17], 1.0
	v_fmac_f64_e32 v[16:17], v[16:17], v[20:21]
	v_mul_f64 v[20:21], v[18:19], v[16:17]
	v_fma_f64 v[14:15], -v[14:15], v[20:21], v[18:19]
	v_div_scale_f64 v[18:19], s[12:13], v[22:23], v[22:23], 0
	v_rcp_f64_e32 v[26:27], v[18:19]
	v_div_fmas_f64 v[14:15], v[14:15], v[16:17], v[20:21]
	v_div_fixup_f64 v[14:15], v[14:15], v[24:25], 1.0
	v_fma_f64 v[16:17], -v[18:19], v[26:27], 1.0
	v_fmac_f64_e32 v[26:27], v[26:27], v[16:17]
	v_fma_f64 v[16:17], -v[18:19], v[26:27], 1.0
	v_fmac_f64_e32 v[26:27], v[26:27], v[16:17]
	v_div_scale_f64 v[16:17], vcc, 0, v[22:23], 0
	v_mul_f64 v[20:21], v[16:17], v[26:27]
	v_fma_f64 v[16:17], -v[18:19], v[20:21], v[16:17]
	s_nop 1
	v_div_fmas_f64 v[16:17], v[16:17], v[26:27], v[20:21]
	v_div_fixup_f64 v[16:17], v[16:17], v[22:23], 0
.LBB162_74:
	s_or_b64 exec, exec, s[0:1]
                                        ; implicit-def: $vgpr18_vgpr19
                                        ; implicit-def: $vgpr20_vgpr21
.LBB162_75:
	s_andn2_saveexec_b64 s[0:1], s[2:3]
	s_cbranch_execz .LBB162_77
; %bb.76:
	v_div_scale_f64 v[14:15], s[2:3], v[18:19], v[18:19], v[20:21]
	v_rcp_f64_e32 v[16:17], v[14:15]
	v_div_scale_f64 v[22:23], vcc, v[20:21], v[18:19], v[20:21]
	v_fma_f64 v[24:25], -v[14:15], v[16:17], 1.0
	v_fmac_f64_e32 v[16:17], v[16:17], v[24:25]
	v_fma_f64 v[24:25], -v[14:15], v[16:17], 1.0
	v_fmac_f64_e32 v[16:17], v[16:17], v[24:25]
	v_mul_f64 v[24:25], v[22:23], v[16:17]
	v_fma_f64 v[14:15], -v[14:15], v[24:25], v[22:23]
	v_div_fmas_f64 v[14:15], v[14:15], v[16:17], v[24:25]
	v_div_fixup_f64 v[16:17], v[14:15], v[18:19], v[20:21]
	v_fmac_f64_e32 v[18:19], v[20:21], v[16:17]
	v_div_scale_f64 v[14:15], s[2:3], v[18:19], v[18:19], 1.0
	v_rcp_f64_e32 v[20:21], v[14:15]
	s_nop 0
	v_fma_f64 v[22:23], -v[14:15], v[20:21], 1.0
	v_fmac_f64_e32 v[20:21], v[20:21], v[22:23]
	v_fma_f64 v[22:23], -v[14:15], v[20:21], 1.0
	v_fmac_f64_e32 v[20:21], v[20:21], v[22:23]
	v_div_scale_f64 v[22:23], vcc, 1.0, v[18:19], 1.0
	v_mul_f64 v[24:25], v[22:23], v[20:21]
	v_fma_f64 v[14:15], -v[14:15], v[24:25], v[22:23]
	s_nop 1
	v_div_fmas_f64 v[14:15], v[14:15], v[20:21], v[24:25]
	v_div_fixup_f64 v[18:19], v[14:15], v[18:19], 1.0
	v_add_f64 v[14:15], v[16:17], 0
	v_fma_f64 v[16:17], v[16:17], 0, -1.0
	v_mul_f64 v[14:15], v[14:15], v[18:19]
	v_mul_f64 v[16:17], v[16:17], v[18:19]
.LBB162_77:
	s_or_b64 exec, exec, s[0:1]
	s_waitcnt vmcnt(0)
	v_cmp_neq_f64_e32 vcc, 0, v[10:11]
	v_cmp_neq_f64_e64 s[0:1], 0, v[12:13]
	v_mov_b64_e32 v[22:23], 0
	s_or_b64 s[0:1], vcc, s[0:1]
	s_and_saveexec_b64 s[12:13], s[0:1]
	s_cbranch_execz .LBB162_107
; %bb.78:
	v_mov_b32_e32 v22, 0
	v_mov_b32_e32 v23, 0x7ff00000
	v_cmp_neq_f64_e64 s[0:1], |v[12:13]|, v[22:23]
	s_and_saveexec_b64 s[14:15], s[0:1]
	s_cbranch_execz .LBB162_106
; %bb.79:
	v_cmp_o_f64_e32 vcc, v[10:11], v[10:11]
                                        ; implicit-def: $vgpr22_vgpr23
	s_and_saveexec_b64 s[0:1], vcc
	s_xor_b64 s[16:17], exec, s[0:1]
	s_cbranch_execz .LBB162_103
; %bb.80:
	s_mov_b32 s0, 0
	s_mov_b32 s1, 0x7ff00000
	v_cmp_neq_f64_e64 s[0:1], |v[10:11]|, s[0:1]
                                        ; implicit-def: $vgpr22_vgpr23
	s_and_saveexec_b64 s[2:3], s[0:1]
	s_xor_b64 s[18:19], exec, s[2:3]
	s_cbranch_execz .LBB162_96
; %bb.81:
	v_max_f64 v[18:19], |v[12:13]|, |v[12:13]|
	v_max_f64 v[20:21], |v[10:11]|, |v[10:11]|
	s_mov_b32 s0, 0x99fcef32
	v_max_f64 v[18:19], v[20:21], v[18:19]
	s_mov_b32 s1, 0x7fda8279
	v_cmp_nle_f64_e64 s[0:1], s[0:1], v[18:19]
                                        ; implicit-def: $sgpr20_sgpr21
	s_and_saveexec_b64 s[2:3], s[0:1]
	s_xor_b64 s[2:3], exec, s[2:3]
	s_cbranch_execz .LBB162_85
; %bb.82:
	s_mov_b32 s20, 0
	s_mov_b32 s21, 0x200000
	v_cmp_le_f64_e64 s[22:23], |v[10:11]|, s[20:21]
	v_cmp_le_f64_e64 s[20:21], |v[12:13]|, s[20:21]
	s_and_b64 s[26:27], s[22:23], s[20:21]
	s_mov_b64 s[20:21], 0
	s_and_saveexec_b64 s[22:23], s[26:27]
; %bb.83:
	s_mov_b64 s[20:21], exec
	v_mul_f64 v[10:11], v[10:11], 4.0
	v_mul_f64 v[12:13], v[12:13], 4.0
; %bb.84:
	s_or_b64 exec, exec, s[22:23]
.LBB162_85:
	s_andn2_saveexec_b64 s[2:3], s[2:3]
; %bb.86:
	v_ldexp_f64 v[10:11], v[10:11], -2
	v_ldexp_f64 v[12:13], v[12:13], -2
	s_andn2_b64 s[20:21], s[20:21], exec
; %bb.87:
	s_or_b64 exec, exec, s[2:3]
	v_max_f64 v[18:19], |v[12:13]|, |v[12:13]|
	v_max_f64 v[20:21], |v[10:11]|, |v[10:11]|
	v_max_f64 v[18:19], v[20:21], v[18:19]
	v_frexp_exp_i32_f64_e32 v26, v[18:19]
	v_sub_u32_e32 v20, 0, v26
	v_ldexp_f64 v[18:19], |v[10:11]|, v20
	v_ldexp_f64 v[20:21], |v[12:13]|, v20
	v_mul_f64 v[20:21], v[20:21], v[20:21]
	v_fmac_f64_e32 v[20:21], v[18:19], v[18:19]
	v_rsq_f64_e32 v[18:19], v[20:21]
	v_cmp_eq_f64_e64 s[2:3], 0, v[20:21]
	s_movk_i32 s7, 0x204
	v_cmp_class_f64_e64 s[22:23], v[12:13], s7
	v_mul_f64 v[22:23], v[20:21], v[18:19]
	v_mul_f64 v[18:19], v[18:19], 0.5
	v_fma_f64 v[24:25], -v[18:19], v[22:23], 0.5
	v_fmac_f64_e32 v[22:23], v[22:23], v[24:25]
	v_fmac_f64_e32 v[18:19], v[18:19], v[24:25]
	v_fma_f64 v[24:25], -v[22:23], v[22:23], v[20:21]
	v_fmac_f64_e32 v[22:23], v[24:25], v[18:19]
	v_cndmask_b32_e64 v19, v23, v21, s[2:3]
	v_cndmask_b32_e64 v18, v22, v20, s[2:3]
	v_ldexp_f64 v[18:19], v[18:19], v26
	v_cmp_o_f64_e64 s[2:3], v[12:13], v[12:13]
	v_mov_b32_e32 v20, 0x7ff80000
	v_cmp_le_f64_e32 vcc, 0, v[10:11]
	v_cndmask_b32_e64 v18, 0, v18, s[2:3]
	v_cndmask_b32_e64 v19, v20, v19, s[2:3]
	v_cmp_class_f64_e64 s[2:3], v[10:11], s7
	v_mov_b32_e32 v20, 0x7ff00000
	s_or_b64 s[2:3], s[22:23], s[2:3]
	v_cndmask_b32_e64 v23, v19, v20, s[2:3]
	v_cndmask_b32_e64 v22, v18, 0, s[2:3]
                                        ; implicit-def: $vgpr18_vgpr19
                                        ; implicit-def: $vgpr20_vgpr21
	s_and_saveexec_b64 s[2:3], vcc
	s_xor_b64 s[2:3], exec, s[2:3]
	s_cbranch_execz .LBB162_89
; %bb.88:
	v_add_f64 v[10:11], v[10:11], v[22:23]
	s_mov_b32 s22, 0
	v_mul_f64 v[10:11], v[10:11], 0.5
	s_brev_b32 s23, 8
	v_mov_b32_e32 v18, 0x100
	v_cmp_gt_f64_e32 vcc, s[22:23], v[10:11]
	s_nop 1
	v_cndmask_b32_e32 v18, 0, v18, vcc
	v_ldexp_f64 v[10:11], v[10:11], v18
	v_rsq_f64_e32 v[18:19], v[10:11]
	s_nop 0
	v_mul_f64 v[20:21], v[10:11], v[18:19]
	v_mul_f64 v[18:19], v[18:19], 0.5
	v_fma_f64 v[22:23], -v[18:19], v[20:21], 0.5
	v_fmac_f64_e32 v[20:21], v[20:21], v[22:23]
	v_fma_f64 v[24:25], -v[20:21], v[20:21], v[10:11]
	v_fmac_f64_e32 v[18:19], v[18:19], v[22:23]
	v_fmac_f64_e32 v[20:21], v[24:25], v[18:19]
	v_fma_f64 v[22:23], -v[20:21], v[20:21], v[10:11]
	v_fmac_f64_e32 v[20:21], v[22:23], v[18:19]
	v_mov_b32_e32 v18, 0xffffff80
	v_cndmask_b32_e32 v18, 0, v18, vcc
	v_ldexp_f64 v[18:19], v[20:21], v18
	v_mov_b32_e32 v20, 0x260
	v_cmp_class_f64_e32 vcc, v[10:11], v20
	s_nop 1
	v_cndmask_b32_e32 v21, v19, v11, vcc
	v_cndmask_b32_e32 v20, v18, v10, vcc
	v_add_f64 v[10:11], v[20:21], v[20:21]
	v_div_scale_f64 v[18:19], s[22:23], v[10:11], v[10:11], v[12:13]
	v_rcp_f64_e32 v[22:23], v[18:19]
	s_nop 0
	v_fma_f64 v[24:25], -v[18:19], v[22:23], 1.0
	v_fmac_f64_e32 v[22:23], v[22:23], v[24:25]
	v_fma_f64 v[24:25], -v[18:19], v[22:23], 1.0
	v_fmac_f64_e32 v[22:23], v[22:23], v[24:25]
	v_div_scale_f64 v[24:25], vcc, v[12:13], v[10:11], v[12:13]
	v_mul_f64 v[26:27], v[24:25], v[22:23]
	v_fma_f64 v[18:19], -v[18:19], v[26:27], v[24:25]
	s_nop 1
	v_div_fmas_f64 v[18:19], v[18:19], v[22:23], v[26:27]
	v_div_fixup_f64 v[18:19], v[18:19], v[10:11], v[12:13]
                                        ; implicit-def: $vgpr22_vgpr23
                                        ; implicit-def: $vgpr10_vgpr11
	s_andn2_saveexec_b64 s[2:3], s[2:3]
	s_cbranch_execz .LBB162_91
	s_branch .LBB162_90
.LBB162_89:
	s_andn2_saveexec_b64 s[2:3], s[2:3]
	s_cbranch_execz .LBB162_91
.LBB162_90:
	v_add_f64 v[10:11], v[22:23], -v[10:11]
	s_mov_b32 s22, 0
	v_mul_f64 v[10:11], v[10:11], 0.5
	s_brev_b32 s23, 8
	v_mov_b32_e32 v18, 0x100
	v_cmp_gt_f64_e32 vcc, s[22:23], v[10:11]
	s_brev_b32 s7, -2
	s_nop 0
	v_cndmask_b32_e32 v18, 0, v18, vcc
	v_ldexp_f64 v[10:11], v[10:11], v18
	v_rsq_f64_e32 v[18:19], v[10:11]
	s_nop 0
	v_mul_f64 v[20:21], v[10:11], v[18:19]
	v_mul_f64 v[18:19], v[18:19], 0.5
	v_fma_f64 v[22:23], -v[18:19], v[20:21], 0.5
	v_fmac_f64_e32 v[20:21], v[20:21], v[22:23]
	v_fma_f64 v[24:25], -v[20:21], v[20:21], v[10:11]
	v_fmac_f64_e32 v[18:19], v[18:19], v[22:23]
	v_fmac_f64_e32 v[20:21], v[24:25], v[18:19]
	v_fma_f64 v[22:23], -v[20:21], v[20:21], v[10:11]
	v_fmac_f64_e32 v[20:21], v[22:23], v[18:19]
	v_mov_b32_e32 v18, 0xffffff80
	v_cndmask_b32_e32 v18, 0, v18, vcc
	v_ldexp_f64 v[18:19], v[20:21], v18
	v_mov_b32_e32 v20, 0x260
	v_cmp_class_f64_e32 vcc, v[10:11], v20
	v_and_b32_e32 v21, 0x7fffffff, v13
	v_mov_b32_e32 v20, v12
	v_cndmask_b32_e32 v19, v19, v11, vcc
	v_cndmask_b32_e32 v18, v18, v10, vcc
	v_add_f64 v[10:11], v[18:19], v[18:19]
	v_div_scale_f64 v[22:23], s[22:23], v[10:11], v[10:11], v[20:21]
	v_rcp_f64_e32 v[24:25], v[22:23]
	v_div_scale_f64 v[20:21], vcc, v[20:21], v[10:11], v[20:21]
	v_bfi_b32 v19, s7, v19, v13
	v_fma_f64 v[26:27], -v[22:23], v[24:25], 1.0
	v_fmac_f64_e32 v[24:25], v[24:25], v[26:27]
	v_fma_f64 v[26:27], -v[22:23], v[24:25], 1.0
	v_fmac_f64_e32 v[24:25], v[24:25], v[26:27]
	v_mul_f64 v[26:27], v[20:21], v[24:25]
	v_fma_f64 v[20:21], -v[22:23], v[26:27], v[20:21]
	v_div_fmas_f64 v[20:21], v[20:21], v[24:25], v[26:27]
	v_div_fixup_f64 v[20:21], v[20:21], v[10:11], |v[12:13]|
.LBB162_91:
	s_or_b64 exec, exec, s[2:3]
                                        ; implicit-def: $vgpr12_vgpr13
                                        ; implicit-def: $vgpr22_vgpr23
	s_and_saveexec_b64 s[2:3], s[0:1]
	s_xor_b64 s[0:1], exec, s[2:3]
	s_cbranch_execz .LBB162_93
; %bb.92:
	v_mul_f64 v[10:11], v[20:21], 0.5
	v_mul_f64 v[12:13], v[18:19], 0.5
	v_cndmask_b32_e64 v23, v21, v11, s[20:21]
	v_cndmask_b32_e64 v22, v20, v10, s[20:21]
	;; [unrolled: 1-line block ×4, first 2 shown]
                                        ; implicit-def: $vgpr20_vgpr21
                                        ; implicit-def: $vgpr18_vgpr19
	s_andn2_saveexec_b64 s[0:1], s[0:1]
	s_cbranch_execnz .LBB162_94
	s_branch .LBB162_95
.LBB162_93:
	s_andn2_saveexec_b64 s[0:1], s[0:1]
.LBB162_94:
	v_add_f64 v[22:23], v[20:21], v[20:21]
	v_add_f64 v[12:13], v[18:19], v[18:19]
.LBB162_95:
	s_or_b64 exec, exec, s[0:1]
.LBB162_96:
	s_andn2_saveexec_b64 s[0:1], s[18:19]
	s_cbranch_execz .LBB162_102
; %bb.97:
	v_add_f64 v[18:19], v[12:13], -v[12:13]
	v_cmp_lt_i64_e32 vcc, -1, v[10:11]
	s_brev_b32 s7, -2
	v_and_b32_e32 v23, 0x7fffffff, v19
	v_mov_b32_e32 v22, v18
	s_and_saveexec_b64 s[2:3], vcc
	s_xor_b64 s[2:3], exec, s[2:3]
; %bb.98:
	v_bfi_b32 v19, s7, v19, v13
	v_mov_b64_e32 v[12:13], v[18:19]
	v_mov_b64_e32 v[22:23], v[10:11]
; %bb.99:
	s_andn2_saveexec_b64 s[2:3], s[2:3]
; %bb.100:
	v_bfi_b32 v11, s7, v11, v13
	v_mov_b64_e32 v[12:13], v[10:11]
; %bb.101:
	s_or_b64 exec, exec, s[2:3]
.LBB162_102:
	s_or_b64 exec, exec, s[0:1]
.LBB162_103:
	s_andn2_saveexec_b64 s[0:1], s[16:17]
	s_cbranch_execz .LBB162_105
; %bb.104:
	v_add_f64 v[12:13], v[12:13], -v[12:13]
	v_div_scale_f64 v[18:19], vcc, v[12:13], v[12:13], v[12:13]
	v_rcp_f64_e32 v[20:21], v[18:19]
	s_nop 0
	v_fma_f64 v[22:23], -v[18:19], v[20:21], 1.0
	v_fmac_f64_e32 v[20:21], v[20:21], v[22:23]
	v_fma_f64 v[22:23], -v[18:19], v[20:21], 1.0
	v_fmac_f64_e32 v[20:21], v[20:21], v[22:23]
	v_mul_f64 v[22:23], v[18:19], v[20:21]
	v_fma_f64 v[18:19], -v[18:19], v[22:23], v[18:19]
	v_div_fmas_f64 v[18:19], v[18:19], v[20:21], v[22:23]
	v_div_fixup_f64 v[12:13], v[18:19], v[12:13], v[12:13]
	v_mov_b64_e32 v[22:23], v[10:11]
.LBB162_105:
	s_or_b64 exec, exec, s[0:1]
.LBB162_106:
	s_or_b64 exec, exec, s[14:15]
.LBB162_107:
	s_or_b64 exec, exec, s[12:13]
	v_xor_b32_e32 v10, 0x80000000, v23
	v_cmp_gt_f64_e32 vcc, 0, v[22:23]
	v_mov_b32_e32 v24, v22
                                        ; implicit-def: $vgpr20_vgpr21
	s_nop 0
	v_cndmask_b32_e32 v25, v23, v10, vcc
	v_xor_b32_e32 v10, 0x80000000, v13
	v_cmp_gt_f64_e32 vcc, 0, v[12:13]
	s_nop 1
	v_cndmask_b32_e32 v11, v13, v10, vcc
	v_mov_b32_e32 v10, v12
	v_cmp_ge_f64_e32 vcc, v[24:25], v[10:11]
	s_and_saveexec_b64 s[0:1], vcc
	s_xor_b64 s[2:3], exec, s[0:1]
	s_cbranch_execz .LBB162_113
; %bb.108:
	v_cmp_neq_f64_e32 vcc, 0, v[22:23]
	v_cmp_neq_f64_e64 s[0:1], 0, v[12:13]
	s_or_b64 s[0:1], vcc, s[0:1]
                                        ; implicit-def: $vgpr20_vgpr21
	s_and_saveexec_b64 s[12:13], s[0:1]
	s_xor_b64 s[0:1], exec, s[12:13]
	s_cbranch_execz .LBB162_110
; %bb.109:
	v_div_scale_f64 v[10:11], s[12:13], v[22:23], v[22:23], v[12:13]
	v_rcp_f64_e32 v[18:19], v[10:11]
	v_div_scale_f64 v[20:21], vcc, v[12:13], v[22:23], v[12:13]
	v_fma_f64 v[24:25], -v[10:11], v[18:19], 1.0
	v_fmac_f64_e32 v[18:19], v[18:19], v[24:25]
	v_fma_f64 v[24:25], -v[10:11], v[18:19], 1.0
	v_fmac_f64_e32 v[18:19], v[18:19], v[24:25]
	v_mul_f64 v[24:25], v[20:21], v[18:19]
	v_fma_f64 v[10:11], -v[10:11], v[24:25], v[20:21]
	v_div_fmas_f64 v[10:11], v[10:11], v[18:19], v[24:25]
	v_div_fixup_f64 v[10:11], v[10:11], v[22:23], v[12:13]
	v_fmac_f64_e32 v[22:23], v[12:13], v[10:11]
	v_div_scale_f64 v[12:13], s[12:13], v[22:23], v[22:23], 1.0
	v_rcp_f64_e32 v[18:19], v[12:13]
	s_nop 0
	v_fma_f64 v[20:21], -v[12:13], v[18:19], 1.0
	v_fmac_f64_e32 v[18:19], v[18:19], v[20:21]
	v_fma_f64 v[20:21], -v[12:13], v[18:19], 1.0
	v_fmac_f64_e32 v[18:19], v[18:19], v[20:21]
	v_div_scale_f64 v[20:21], vcc, 1.0, v[22:23], 1.0
	v_mul_f64 v[24:25], v[20:21], v[18:19]
	v_fma_f64 v[12:13], -v[12:13], v[24:25], v[20:21]
	s_nop 1
	v_div_fmas_f64 v[12:13], v[12:13], v[18:19], v[24:25]
	v_div_fixup_f64 v[12:13], v[12:13], v[22:23], 1.0
	v_fma_f64 v[18:19], v[10:11], 0, 1.0
	v_add_f64 v[10:11], -v[10:11], 0
	v_mul_f64 v[18:19], v[18:19], v[12:13]
	v_mul_f64 v[20:21], v[10:11], v[12:13]
                                        ; implicit-def: $vgpr24_vgpr25
                                        ; implicit-def: $vgpr10_vgpr11
.LBB162_110:
	s_andn2_saveexec_b64 s[0:1], s[0:1]
	s_cbranch_execz .LBB162_112
; %bb.111:
	v_div_scale_f64 v[12:13], s[12:13], v[24:25], v[24:25], 1.0
	v_rcp_f64_e32 v[18:19], v[12:13]
	v_div_scale_f64 v[20:21], vcc, 1.0, v[24:25], 1.0
	v_fma_f64 v[22:23], -v[12:13], v[18:19], 1.0
	v_fmac_f64_e32 v[18:19], v[18:19], v[22:23]
	v_fma_f64 v[22:23], -v[12:13], v[18:19], 1.0
	v_fmac_f64_e32 v[18:19], v[18:19], v[22:23]
	v_mul_f64 v[22:23], v[20:21], v[18:19]
	v_fma_f64 v[12:13], -v[12:13], v[22:23], v[20:21]
	v_div_scale_f64 v[20:21], s[12:13], v[10:11], v[10:11], 0
	v_rcp_f64_e32 v[26:27], v[20:21]
	v_div_fmas_f64 v[12:13], v[12:13], v[18:19], v[22:23]
	v_div_fixup_f64 v[18:19], v[12:13], v[24:25], 1.0
	v_fma_f64 v[12:13], -v[20:21], v[26:27], 1.0
	v_fmac_f64_e32 v[26:27], v[26:27], v[12:13]
	v_fma_f64 v[12:13], -v[20:21], v[26:27], 1.0
	v_fmac_f64_e32 v[26:27], v[26:27], v[12:13]
	v_div_scale_f64 v[12:13], vcc, 0, v[10:11], 0
	v_mul_f64 v[22:23], v[12:13], v[26:27]
	v_fma_f64 v[12:13], -v[20:21], v[22:23], v[12:13]
	s_nop 1
	v_div_fmas_f64 v[12:13], v[12:13], v[26:27], v[22:23]
	v_div_fixup_f64 v[20:21], v[12:13], v[10:11], 0
.LBB162_112:
	s_or_b64 exec, exec, s[0:1]
                                        ; implicit-def: $vgpr12_vgpr13
                                        ; implicit-def: $vgpr22_vgpr23
.LBB162_113:
	s_andn2_saveexec_b64 s[0:1], s[2:3]
	s_cbranch_execz .LBB162_115
; %bb.114:
	v_div_scale_f64 v[10:11], s[2:3], v[12:13], v[12:13], v[22:23]
	v_rcp_f64_e32 v[18:19], v[10:11]
	v_div_scale_f64 v[20:21], vcc, v[22:23], v[12:13], v[22:23]
	v_fma_f64 v[24:25], -v[10:11], v[18:19], 1.0
	v_fmac_f64_e32 v[18:19], v[18:19], v[24:25]
	v_fma_f64 v[24:25], -v[10:11], v[18:19], 1.0
	v_fmac_f64_e32 v[18:19], v[18:19], v[24:25]
	v_mul_f64 v[24:25], v[20:21], v[18:19]
	v_fma_f64 v[10:11], -v[10:11], v[24:25], v[20:21]
	v_div_fmas_f64 v[10:11], v[10:11], v[18:19], v[24:25]
	v_div_fixup_f64 v[10:11], v[10:11], v[12:13], v[22:23]
	v_fmac_f64_e32 v[12:13], v[22:23], v[10:11]
	v_div_scale_f64 v[18:19], s[2:3], v[12:13], v[12:13], 1.0
	v_rcp_f64_e32 v[20:21], v[18:19]
	s_nop 0
	v_fma_f64 v[22:23], -v[18:19], v[20:21], 1.0
	v_fmac_f64_e32 v[20:21], v[20:21], v[22:23]
	v_fma_f64 v[22:23], -v[18:19], v[20:21], 1.0
	v_fmac_f64_e32 v[20:21], v[20:21], v[22:23]
	v_div_scale_f64 v[22:23], vcc, 1.0, v[12:13], 1.0
	v_mul_f64 v[24:25], v[22:23], v[20:21]
	v_fma_f64 v[18:19], -v[18:19], v[24:25], v[22:23]
	s_nop 1
	v_div_fmas_f64 v[18:19], v[18:19], v[20:21], v[24:25]
	v_div_fixup_f64 v[12:13], v[18:19], v[12:13], 1.0
	v_add_f64 v[18:19], v[10:11], 0
	v_fma_f64 v[10:11], v[10:11], 0, -1.0
	v_mul_f64 v[18:19], v[18:19], v[12:13]
	v_mul_f64 v[20:21], v[10:11], v[12:13]
.LBB162_115:
	s_or_b64 exec, exec, s[0:1]
	v_cmp_neq_f64_e32 vcc, 0, v[2:3]
	v_cmp_neq_f64_e64 s[0:1], 0, v[4:5]
	v_mov_b64_e32 v[22:23], 0
	s_or_b64 s[0:1], vcc, s[0:1]
	s_and_saveexec_b64 s[12:13], s[0:1]
	s_cbranch_execz .LBB162_145
; %bb.116:
	v_mov_b32_e32 v22, 0
	v_mov_b32_e32 v23, 0x7ff00000
	v_cmp_neq_f64_e64 s[0:1], |v[4:5]|, v[22:23]
	s_and_saveexec_b64 s[14:15], s[0:1]
	s_cbranch_execz .LBB162_144
; %bb.117:
	v_cmp_o_f64_e32 vcc, v[2:3], v[2:3]
                                        ; implicit-def: $vgpr22_vgpr23
	s_and_saveexec_b64 s[0:1], vcc
	s_xor_b64 s[16:17], exec, s[0:1]
	s_cbranch_execz .LBB162_141
; %bb.118:
	s_mov_b32 s0, 0
	s_mov_b32 s1, 0x7ff00000
	v_cmp_neq_f64_e64 s[0:1], |v[2:3]|, s[0:1]
                                        ; implicit-def: $vgpr22_vgpr23
	s_and_saveexec_b64 s[2:3], s[0:1]
	s_xor_b64 s[18:19], exec, s[2:3]
	s_cbranch_execz .LBB162_134
; %bb.119:
	v_max_f64 v[10:11], |v[4:5]|, |v[4:5]|
	v_max_f64 v[12:13], |v[2:3]|, |v[2:3]|
	s_mov_b32 s0, 0x99fcef32
	v_max_f64 v[10:11], v[12:13], v[10:11]
	s_mov_b32 s1, 0x7fda8279
	v_cmp_nle_f64_e64 s[0:1], s[0:1], v[10:11]
                                        ; implicit-def: $sgpr20_sgpr21
	s_and_saveexec_b64 s[2:3], s[0:1]
	s_xor_b64 s[2:3], exec, s[2:3]
	s_cbranch_execz .LBB162_123
; %bb.120:
	s_mov_b32 s20, 0
	s_mov_b32 s21, 0x200000
	v_cmp_le_f64_e64 s[22:23], |v[2:3]|, s[20:21]
	v_cmp_le_f64_e64 s[20:21], |v[4:5]|, s[20:21]
	s_and_b64 s[26:27], s[22:23], s[20:21]
	s_mov_b64 s[20:21], 0
	s_and_saveexec_b64 s[22:23], s[26:27]
; %bb.121:
	s_mov_b64 s[20:21], exec
	v_mul_f64 v[2:3], v[2:3], 4.0
	v_mul_f64 v[4:5], v[4:5], 4.0
; %bb.122:
	s_or_b64 exec, exec, s[22:23]
.LBB162_123:
	s_andn2_saveexec_b64 s[2:3], s[2:3]
; %bb.124:
	v_ldexp_f64 v[2:3], v[2:3], -2
	v_ldexp_f64 v[4:5], v[4:5], -2
	s_andn2_b64 s[20:21], s[20:21], exec
; %bb.125:
	s_or_b64 exec, exec, s[2:3]
	v_max_f64 v[10:11], |v[4:5]|, |v[4:5]|
	v_max_f64 v[12:13], |v[2:3]|, |v[2:3]|
	v_max_f64 v[10:11], v[12:13], v[10:11]
	v_frexp_exp_i32_f64_e32 v26, v[10:11]
	v_sub_u32_e32 v12, 0, v26
	v_ldexp_f64 v[10:11], |v[2:3]|, v12
	v_ldexp_f64 v[12:13], |v[4:5]|, v12
	v_mul_f64 v[12:13], v[12:13], v[12:13]
	v_fmac_f64_e32 v[12:13], v[10:11], v[10:11]
	v_rsq_f64_e32 v[10:11], v[12:13]
	v_cmp_eq_f64_e64 s[2:3], 0, v[12:13]
	s_movk_i32 s7, 0x204
	v_cmp_class_f64_e64 s[22:23], v[4:5], s7
	v_mul_f64 v[22:23], v[12:13], v[10:11]
	v_mul_f64 v[10:11], v[10:11], 0.5
	v_fma_f64 v[24:25], -v[10:11], v[22:23], 0.5
	v_fmac_f64_e32 v[22:23], v[22:23], v[24:25]
	v_fmac_f64_e32 v[10:11], v[10:11], v[24:25]
	v_fma_f64 v[24:25], -v[22:23], v[22:23], v[12:13]
	v_fmac_f64_e32 v[22:23], v[24:25], v[10:11]
	v_cndmask_b32_e64 v11, v23, v13, s[2:3]
	v_cndmask_b32_e64 v10, v22, v12, s[2:3]
	v_ldexp_f64 v[10:11], v[10:11], v26
	v_cmp_o_f64_e64 s[2:3], v[4:5], v[4:5]
	v_mov_b32_e32 v12, 0x7ff80000
	v_cmp_le_f64_e32 vcc, 0, v[2:3]
	v_cndmask_b32_e64 v10, 0, v10, s[2:3]
	v_cndmask_b32_e64 v11, v12, v11, s[2:3]
	v_cmp_class_f64_e64 s[2:3], v[2:3], s7
	v_mov_b32_e32 v12, 0x7ff00000
	s_or_b64 s[2:3], s[22:23], s[2:3]
	v_cndmask_b32_e64 v23, v11, v12, s[2:3]
	v_cndmask_b32_e64 v22, v10, 0, s[2:3]
                                        ; implicit-def: $vgpr10_vgpr11
                                        ; implicit-def: $vgpr12_vgpr13
	s_and_saveexec_b64 s[2:3], vcc
	s_xor_b64 s[2:3], exec, s[2:3]
	s_cbranch_execz .LBB162_127
; %bb.126:
	v_add_f64 v[2:3], v[2:3], v[22:23]
	s_mov_b32 s22, 0
	v_mul_f64 v[2:3], v[2:3], 0.5
	s_brev_b32 s23, 8
	v_mov_b32_e32 v10, 0x100
	v_cmp_gt_f64_e32 vcc, s[22:23], v[2:3]
	s_nop 1
	v_cndmask_b32_e32 v10, 0, v10, vcc
	v_ldexp_f64 v[2:3], v[2:3], v10
	v_rsq_f64_e32 v[10:11], v[2:3]
	s_nop 0
	v_mul_f64 v[12:13], v[2:3], v[10:11]
	v_mul_f64 v[10:11], v[10:11], 0.5
	v_fma_f64 v[22:23], -v[10:11], v[12:13], 0.5
	v_fmac_f64_e32 v[12:13], v[12:13], v[22:23]
	v_fma_f64 v[24:25], -v[12:13], v[12:13], v[2:3]
	v_fmac_f64_e32 v[10:11], v[10:11], v[22:23]
	v_fmac_f64_e32 v[12:13], v[24:25], v[10:11]
	v_fma_f64 v[22:23], -v[12:13], v[12:13], v[2:3]
	v_fmac_f64_e32 v[12:13], v[22:23], v[10:11]
	v_mov_b32_e32 v10, 0xffffff80
	v_cndmask_b32_e32 v10, 0, v10, vcc
	v_ldexp_f64 v[10:11], v[12:13], v10
	v_mov_b32_e32 v12, 0x260
	v_cmp_class_f64_e32 vcc, v[2:3], v12
	s_nop 1
	v_cndmask_b32_e32 v13, v11, v3, vcc
	v_cndmask_b32_e32 v12, v10, v2, vcc
	v_add_f64 v[2:3], v[12:13], v[12:13]
	v_div_scale_f64 v[10:11], s[22:23], v[2:3], v[2:3], v[4:5]
	v_rcp_f64_e32 v[22:23], v[10:11]
	s_nop 0
	v_fma_f64 v[24:25], -v[10:11], v[22:23], 1.0
	v_fmac_f64_e32 v[22:23], v[22:23], v[24:25]
	v_fma_f64 v[24:25], -v[10:11], v[22:23], 1.0
	v_fmac_f64_e32 v[22:23], v[22:23], v[24:25]
	v_div_scale_f64 v[24:25], vcc, v[4:5], v[2:3], v[4:5]
	v_mul_f64 v[26:27], v[24:25], v[22:23]
	v_fma_f64 v[10:11], -v[10:11], v[26:27], v[24:25]
	s_nop 1
	v_div_fmas_f64 v[10:11], v[10:11], v[22:23], v[26:27]
	v_div_fixup_f64 v[10:11], v[10:11], v[2:3], v[4:5]
                                        ; implicit-def: $vgpr22_vgpr23
                                        ; implicit-def: $vgpr2_vgpr3
	s_andn2_saveexec_b64 s[2:3], s[2:3]
	s_cbranch_execz .LBB162_129
	s_branch .LBB162_128
.LBB162_127:
	s_andn2_saveexec_b64 s[2:3], s[2:3]
	s_cbranch_execz .LBB162_129
.LBB162_128:
	v_add_f64 v[2:3], v[22:23], -v[2:3]
	s_mov_b32 s22, 0
	v_mul_f64 v[2:3], v[2:3], 0.5
	s_brev_b32 s23, 8
	v_mov_b32_e32 v10, 0x100
	v_cmp_gt_f64_e32 vcc, s[22:23], v[2:3]
	s_brev_b32 s7, -2
	s_nop 0
	v_cndmask_b32_e32 v10, 0, v10, vcc
	v_ldexp_f64 v[2:3], v[2:3], v10
	v_rsq_f64_e32 v[10:11], v[2:3]
	s_nop 0
	v_mul_f64 v[12:13], v[2:3], v[10:11]
	v_mul_f64 v[10:11], v[10:11], 0.5
	v_fma_f64 v[22:23], -v[10:11], v[12:13], 0.5
	v_fmac_f64_e32 v[12:13], v[12:13], v[22:23]
	v_fma_f64 v[24:25], -v[12:13], v[12:13], v[2:3]
	v_fmac_f64_e32 v[10:11], v[10:11], v[22:23]
	v_fmac_f64_e32 v[12:13], v[24:25], v[10:11]
	v_fma_f64 v[22:23], -v[12:13], v[12:13], v[2:3]
	v_fmac_f64_e32 v[12:13], v[22:23], v[10:11]
	v_mov_b32_e32 v10, 0xffffff80
	v_cndmask_b32_e32 v10, 0, v10, vcc
	v_ldexp_f64 v[10:11], v[12:13], v10
	v_mov_b32_e32 v12, 0x260
	v_cmp_class_f64_e32 vcc, v[2:3], v12
	v_and_b32_e32 v13, 0x7fffffff, v5
	v_mov_b32_e32 v12, v4
	v_cndmask_b32_e32 v11, v11, v3, vcc
	v_cndmask_b32_e32 v10, v10, v2, vcc
	v_add_f64 v[2:3], v[10:11], v[10:11]
	v_div_scale_f64 v[22:23], s[22:23], v[2:3], v[2:3], v[12:13]
	v_rcp_f64_e32 v[24:25], v[22:23]
	v_div_scale_f64 v[12:13], vcc, v[12:13], v[2:3], v[12:13]
	v_bfi_b32 v11, s7, v11, v5
	v_fma_f64 v[26:27], -v[22:23], v[24:25], 1.0
	v_fmac_f64_e32 v[24:25], v[24:25], v[26:27]
	v_fma_f64 v[26:27], -v[22:23], v[24:25], 1.0
	v_fmac_f64_e32 v[24:25], v[24:25], v[26:27]
	v_mul_f64 v[26:27], v[12:13], v[24:25]
	v_fma_f64 v[12:13], -v[22:23], v[26:27], v[12:13]
	v_div_fmas_f64 v[12:13], v[12:13], v[24:25], v[26:27]
	v_div_fixup_f64 v[12:13], v[12:13], v[2:3], |v[4:5]|
.LBB162_129:
	s_or_b64 exec, exec, s[2:3]
                                        ; implicit-def: $vgpr4_vgpr5
                                        ; implicit-def: $vgpr22_vgpr23
	s_and_saveexec_b64 s[2:3], s[0:1]
	s_xor_b64 s[0:1], exec, s[2:3]
	s_cbranch_execz .LBB162_131
; %bb.130:
	v_mul_f64 v[2:3], v[12:13], 0.5
	v_mul_f64 v[4:5], v[10:11], 0.5
	v_cndmask_b32_e64 v23, v13, v3, s[20:21]
	v_cndmask_b32_e64 v22, v12, v2, s[20:21]
	;; [unrolled: 1-line block ×4, first 2 shown]
                                        ; implicit-def: $vgpr12_vgpr13
                                        ; implicit-def: $vgpr10_vgpr11
	s_andn2_saveexec_b64 s[0:1], s[0:1]
	s_cbranch_execnz .LBB162_132
	s_branch .LBB162_133
.LBB162_131:
	s_andn2_saveexec_b64 s[0:1], s[0:1]
.LBB162_132:
	v_add_f64 v[22:23], v[12:13], v[12:13]
	v_add_f64 v[4:5], v[10:11], v[10:11]
.LBB162_133:
	s_or_b64 exec, exec, s[0:1]
.LBB162_134:
	s_andn2_saveexec_b64 s[0:1], s[18:19]
	s_cbranch_execz .LBB162_140
; %bb.135:
	v_add_f64 v[10:11], v[4:5], -v[4:5]
	v_cmp_lt_i64_e32 vcc, -1, v[2:3]
	s_brev_b32 s7, -2
	v_and_b32_e32 v23, 0x7fffffff, v11
	v_mov_b32_e32 v22, v10
	s_and_saveexec_b64 s[2:3], vcc
	s_xor_b64 s[2:3], exec, s[2:3]
; %bb.136:
	v_bfi_b32 v11, s7, v11, v5
	v_mov_b64_e32 v[4:5], v[10:11]
	v_mov_b64_e32 v[22:23], v[2:3]
; %bb.137:
	s_andn2_saveexec_b64 s[2:3], s[2:3]
; %bb.138:
	v_bfi_b32 v3, s7, v3, v5
	v_mov_b64_e32 v[4:5], v[2:3]
; %bb.139:
	s_or_b64 exec, exec, s[2:3]
.LBB162_140:
	s_or_b64 exec, exec, s[0:1]
.LBB162_141:
	s_andn2_saveexec_b64 s[0:1], s[16:17]
	s_cbranch_execz .LBB162_143
; %bb.142:
	v_add_f64 v[4:5], v[4:5], -v[4:5]
	v_div_scale_f64 v[10:11], vcc, v[4:5], v[4:5], v[4:5]
	v_rcp_f64_e32 v[12:13], v[10:11]
	s_nop 0
	v_fma_f64 v[22:23], -v[10:11], v[12:13], 1.0
	v_fmac_f64_e32 v[12:13], v[12:13], v[22:23]
	v_fma_f64 v[22:23], -v[10:11], v[12:13], 1.0
	v_fmac_f64_e32 v[12:13], v[12:13], v[22:23]
	v_mul_f64 v[22:23], v[10:11], v[12:13]
	v_fma_f64 v[10:11], -v[10:11], v[22:23], v[10:11]
	v_div_fmas_f64 v[10:11], v[10:11], v[12:13], v[22:23]
	v_div_fixup_f64 v[4:5], v[10:11], v[4:5], v[4:5]
	v_mov_b64_e32 v[22:23], v[2:3]
.LBB162_143:
	s_or_b64 exec, exec, s[0:1]
.LBB162_144:
	s_or_b64 exec, exec, s[14:15]
.LBB162_145:
	s_or_b64 exec, exec, s[12:13]
	v_xor_b32_e32 v2, 0x80000000, v23
	v_cmp_gt_f64_e32 vcc, 0, v[22:23]
	v_mov_b32_e32 v24, v22
                                        ; implicit-def: $vgpr12_vgpr13
	s_nop 0
	v_cndmask_b32_e32 v25, v23, v2, vcc
	v_xor_b32_e32 v2, 0x80000000, v5
	v_cmp_gt_f64_e32 vcc, 0, v[4:5]
	s_nop 1
	v_cndmask_b32_e32 v3, v5, v2, vcc
	v_mov_b32_e32 v2, v4
	v_cmp_ge_f64_e32 vcc, v[24:25], v[2:3]
	s_and_saveexec_b64 s[0:1], vcc
	s_xor_b64 s[2:3], exec, s[0:1]
	s_cbranch_execz .LBB162_151
; %bb.146:
	v_cmp_neq_f64_e32 vcc, 0, v[22:23]
	v_cmp_neq_f64_e64 s[0:1], 0, v[4:5]
	s_or_b64 s[0:1], vcc, s[0:1]
                                        ; implicit-def: $vgpr12_vgpr13
	s_and_saveexec_b64 s[12:13], s[0:1]
	s_xor_b64 s[0:1], exec, s[12:13]
	s_cbranch_execz .LBB162_148
; %bb.147:
	v_div_scale_f64 v[2:3], s[12:13], v[22:23], v[22:23], v[4:5]
	v_rcp_f64_e32 v[10:11], v[2:3]
	v_div_scale_f64 v[12:13], vcc, v[4:5], v[22:23], v[4:5]
	v_fma_f64 v[24:25], -v[2:3], v[10:11], 1.0
	v_fmac_f64_e32 v[10:11], v[10:11], v[24:25]
	v_fma_f64 v[24:25], -v[2:3], v[10:11], 1.0
	v_fmac_f64_e32 v[10:11], v[10:11], v[24:25]
	v_mul_f64 v[24:25], v[12:13], v[10:11]
	v_fma_f64 v[2:3], -v[2:3], v[24:25], v[12:13]
	v_div_fmas_f64 v[2:3], v[2:3], v[10:11], v[24:25]
	v_div_fixup_f64 v[2:3], v[2:3], v[22:23], v[4:5]
	v_fmac_f64_e32 v[22:23], v[4:5], v[2:3]
	v_div_scale_f64 v[4:5], s[12:13], v[22:23], v[22:23], 1.0
	v_rcp_f64_e32 v[10:11], v[4:5]
	s_nop 0
	v_fma_f64 v[12:13], -v[4:5], v[10:11], 1.0
	v_fmac_f64_e32 v[10:11], v[10:11], v[12:13]
	v_fma_f64 v[12:13], -v[4:5], v[10:11], 1.0
	v_fmac_f64_e32 v[10:11], v[10:11], v[12:13]
	v_div_scale_f64 v[12:13], vcc, 1.0, v[22:23], 1.0
	v_mul_f64 v[24:25], v[12:13], v[10:11]
	v_fma_f64 v[4:5], -v[4:5], v[24:25], v[12:13]
	s_nop 1
	v_div_fmas_f64 v[4:5], v[4:5], v[10:11], v[24:25]
	v_div_fixup_f64 v[4:5], v[4:5], v[22:23], 1.0
	v_fma_f64 v[10:11], v[2:3], 0, 1.0
	v_add_f64 v[2:3], -v[2:3], 0
	v_mul_f64 v[10:11], v[10:11], v[4:5]
	v_mul_f64 v[12:13], v[2:3], v[4:5]
                                        ; implicit-def: $vgpr24_vgpr25
                                        ; implicit-def: $vgpr2_vgpr3
.LBB162_148:
	s_andn2_saveexec_b64 s[0:1], s[0:1]
	s_cbranch_execz .LBB162_150
; %bb.149:
	v_div_scale_f64 v[4:5], s[12:13], v[24:25], v[24:25], 1.0
	v_rcp_f64_e32 v[10:11], v[4:5]
	v_div_scale_f64 v[12:13], vcc, 1.0, v[24:25], 1.0
	v_fma_f64 v[22:23], -v[4:5], v[10:11], 1.0
	v_fmac_f64_e32 v[10:11], v[10:11], v[22:23]
	v_fma_f64 v[22:23], -v[4:5], v[10:11], 1.0
	v_fmac_f64_e32 v[10:11], v[10:11], v[22:23]
	v_mul_f64 v[22:23], v[12:13], v[10:11]
	v_fma_f64 v[4:5], -v[4:5], v[22:23], v[12:13]
	v_div_scale_f64 v[12:13], s[12:13], v[2:3], v[2:3], 0
	v_rcp_f64_e32 v[26:27], v[12:13]
	v_div_fmas_f64 v[4:5], v[4:5], v[10:11], v[22:23]
	v_div_fixup_f64 v[10:11], v[4:5], v[24:25], 1.0
	v_fma_f64 v[4:5], -v[12:13], v[26:27], 1.0
	v_fmac_f64_e32 v[26:27], v[26:27], v[4:5]
	v_fma_f64 v[4:5], -v[12:13], v[26:27], 1.0
	v_fmac_f64_e32 v[26:27], v[26:27], v[4:5]
	v_div_scale_f64 v[4:5], vcc, 0, v[2:3], 0
	v_mul_f64 v[22:23], v[4:5], v[26:27]
	v_fma_f64 v[4:5], -v[12:13], v[22:23], v[4:5]
	s_nop 1
	v_div_fmas_f64 v[4:5], v[4:5], v[26:27], v[22:23]
	v_div_fixup_f64 v[12:13], v[4:5], v[2:3], 0
.LBB162_150:
	s_or_b64 exec, exec, s[0:1]
                                        ; implicit-def: $vgpr4_vgpr5
                                        ; implicit-def: $vgpr22_vgpr23
.LBB162_151:
	s_andn2_saveexec_b64 s[0:1], s[2:3]
	s_cbranch_execz .LBB162_153
; %bb.152:
	v_div_scale_f64 v[2:3], s[2:3], v[4:5], v[4:5], v[22:23]
	v_rcp_f64_e32 v[10:11], v[2:3]
	v_div_scale_f64 v[12:13], vcc, v[22:23], v[4:5], v[22:23]
	v_fma_f64 v[24:25], -v[2:3], v[10:11], 1.0
	v_fmac_f64_e32 v[10:11], v[10:11], v[24:25]
	v_fma_f64 v[24:25], -v[2:3], v[10:11], 1.0
	v_fmac_f64_e32 v[10:11], v[10:11], v[24:25]
	v_mul_f64 v[24:25], v[12:13], v[10:11]
	v_fma_f64 v[2:3], -v[2:3], v[24:25], v[12:13]
	v_div_fmas_f64 v[2:3], v[2:3], v[10:11], v[24:25]
	v_div_fixup_f64 v[2:3], v[2:3], v[4:5], v[22:23]
	v_fmac_f64_e32 v[4:5], v[22:23], v[2:3]
	v_div_scale_f64 v[10:11], s[2:3], v[4:5], v[4:5], 1.0
	v_rcp_f64_e32 v[12:13], v[10:11]
	s_nop 0
	v_fma_f64 v[22:23], -v[10:11], v[12:13], 1.0
	v_fmac_f64_e32 v[12:13], v[12:13], v[22:23]
	v_fma_f64 v[22:23], -v[10:11], v[12:13], 1.0
	v_fmac_f64_e32 v[12:13], v[12:13], v[22:23]
	v_div_scale_f64 v[22:23], vcc, 1.0, v[4:5], 1.0
	v_mul_f64 v[24:25], v[22:23], v[12:13]
	v_fma_f64 v[10:11], -v[10:11], v[24:25], v[22:23]
	s_nop 1
	v_div_fmas_f64 v[10:11], v[10:11], v[12:13], v[24:25]
	v_div_fixup_f64 v[4:5], v[10:11], v[4:5], 1.0
	v_add_f64 v[10:11], v[2:3], 0
	v_fma_f64 v[2:3], v[2:3], 0, -1.0
	v_mul_f64 v[10:11], v[10:11], v[4:5]
	v_mul_f64 v[12:13], v[2:3], v[4:5]
.LBB162_153:
	s_or_b64 exec, exec, s[0:1]
	s_add_u32 s0, s8, s4
	s_addc_u32 s1, s9, s5
	global_store_dwordx4 v1, v[6:9], s[0:1]
	global_store_dwordx4 v1, v[14:17], s[0:1] offset:16
	global_store_dwordx4 v1, v[18:21], s[0:1] offset:32
	;; [unrolled: 1-line block ×3, first 2 shown]
	s_mov_b64 s[0:1], 0
.LBB162_154:
	s_and_b64 vcc, exec, s[0:1]
	s_cbranch_vccz .LBB162_331
; %bb.155:
	v_cmp_gt_i32_e64 s[0:1], s24, v0
	v_mov_b64_e32 v[18:19], 0
	v_or_b32_e32 v22, s6, v0
	v_mov_b64_e32 v[14:15], 0
	v_mov_b64_e32 v[16:17], 0
	v_mov_b32_e32 v1, v0
	s_and_saveexec_b64 s[2:3], s[0:1]
	s_cbranch_execz .LBB162_157
; %bb.156:
	v_mov_b32_e32 v23, 0
	v_lshl_add_u64 v[2:3], v[22:23], 4, s[10:11]
	global_load_dwordx4 v[14:17], v[2:3], off
	v_or_b32_e32 v1, 0x100, v0
.LBB162_157:
	s_or_b64 exec, exec, s[2:3]
	v_cmp_gt_i32_e32 vcc, s24, v1
	v_mov_b64_e32 v[20:21], 0
	s_and_saveexec_b64 s[2:3], vcc
	s_cbranch_execz .LBB162_159
; %bb.158:
	v_add_u32_e32 v2, s6, v1
	v_mov_b32_e32 v3, 0
	v_lshl_add_u64 v[2:3], v[2:3], 4, s[10:11]
	global_load_dwordx4 v[18:21], v[2:3], off
	v_add_u32_e32 v1, 0x100, v1
.LBB162_159:
	s_or_b64 exec, exec, s[2:3]
	v_cmp_gt_i32_e32 vcc, s24, v1
	v_mov_b64_e32 v[2:3], 0
	v_mov_b64_e32 v[10:11], 0
	;; [unrolled: 1-line block ×3, first 2 shown]
	s_and_saveexec_b64 s[2:3], vcc
	s_cbranch_execz .LBB162_161
; %bb.160:
	v_add_u32_e32 v4, s6, v1
	v_mov_b32_e32 v5, 0
	v_lshl_add_u64 v[4:5], v[4:5], 4, s[10:11]
	global_load_dwordx4 v[10:13], v[4:5], off
	v_add_u32_e32 v1, 0x100, v1
.LBB162_161:
	s_or_b64 exec, exec, s[2:3]
	v_cmp_gt_i32_e32 vcc, s24, v1
	v_mov_b64_e32 v[4:5], 0
	s_and_saveexec_b64 s[2:3], vcc
	s_cbranch_execz .LBB162_163
; %bb.162:
	v_add_u32_e32 v2, s6, v1
	v_mov_b32_e32 v3, 0
	v_lshl_add_u64 v[2:3], v[2:3], 4, s[10:11]
	global_load_dwordx4 v[2:5], v[2:3], off
.LBB162_163:
	s_or_b64 exec, exec, s[2:3]
	v_mov_b64_e32 v[6:7], 0
	v_mov_b64_e32 v[8:9], 0
	s_and_saveexec_b64 s[10:11], s[0:1]
	s_cbranch_execz .LBB162_203
; %bb.164:
	s_waitcnt vmcnt(0)
	v_cmp_neq_f64_e32 vcc, 0, v[14:15]
	v_cmp_neq_f64_e64 s[2:3], 0, v[16:17]
	v_mov_b64_e32 v[24:25], 0
	s_or_b64 s[2:3], vcc, s[2:3]
	s_and_saveexec_b64 s[12:13], s[2:3]
	s_cbranch_execz .LBB162_194
; %bb.165:
	v_mov_b32_e32 v24, 0
	v_mov_b32_e32 v25, 0x7ff00000
	v_cmp_neq_f64_e64 s[2:3], |v[16:17]|, v[24:25]
	s_and_saveexec_b64 s[14:15], s[2:3]
	s_cbranch_execz .LBB162_193
; %bb.166:
	v_cmp_o_f64_e32 vcc, v[14:15], v[14:15]
                                        ; implicit-def: $vgpr24_vgpr25
	s_and_saveexec_b64 s[2:3], vcc
	s_xor_b64 s[16:17], exec, s[2:3]
	s_cbranch_execz .LBB162_190
; %bb.167:
	s_mov_b32 s2, 0
	s_mov_b32 s3, 0x7ff00000
	v_cmp_neq_f64_e64 s[2:3], |v[14:15]|, s[2:3]
                                        ; implicit-def: $vgpr24_vgpr25
	s_and_saveexec_b64 s[4:5], s[2:3]
	s_xor_b64 s[18:19], exec, s[4:5]
	s_cbranch_execz .LBB162_183
; %bb.168:
	v_max_f64 v[6:7], |v[16:17]|, |v[16:17]|
	v_max_f64 v[8:9], |v[14:15]|, |v[14:15]|
	s_mov_b32 s2, 0x99fcef32
	v_max_f64 v[6:7], v[8:9], v[6:7]
	s_mov_b32 s3, 0x7fda8279
	v_cmp_nle_f64_e64 s[2:3], s[2:3], v[6:7]
                                        ; implicit-def: $sgpr20_sgpr21
	s_and_saveexec_b64 s[4:5], s[2:3]
	s_xor_b64 s[4:5], exec, s[4:5]
	s_cbranch_execz .LBB162_172
; %bb.169:
	s_mov_b32 s20, 0
	s_mov_b32 s21, 0x200000
	v_cmp_le_f64_e64 s[22:23], |v[14:15]|, s[20:21]
	v_cmp_le_f64_e64 s[20:21], |v[16:17]|, s[20:21]
	s_and_b64 s[26:27], s[22:23], s[20:21]
	s_mov_b64 s[20:21], 0
	s_and_saveexec_b64 s[22:23], s[26:27]
; %bb.170:
	s_mov_b64 s[20:21], exec
	v_mul_f64 v[14:15], v[14:15], 4.0
	v_mul_f64 v[16:17], v[16:17], 4.0
; %bb.171:
	s_or_b64 exec, exec, s[22:23]
.LBB162_172:
	s_andn2_saveexec_b64 s[4:5], s[4:5]
; %bb.173:
	v_ldexp_f64 v[14:15], v[14:15], -2
	v_ldexp_f64 v[16:17], v[16:17], -2
	s_andn2_b64 s[20:21], s[20:21], exec
; %bb.174:
	s_or_b64 exec, exec, s[4:5]
	v_max_f64 v[6:7], |v[16:17]|, |v[16:17]|
	v_max_f64 v[8:9], |v[14:15]|, |v[14:15]|
	v_max_f64 v[6:7], v[8:9], v[6:7]
	v_frexp_exp_i32_f64_e32 v1, v[6:7]
	v_sub_u32_e32 v8, 0, v1
	v_ldexp_f64 v[6:7], |v[14:15]|, v8
	v_ldexp_f64 v[8:9], |v[16:17]|, v8
	v_mul_f64 v[8:9], v[8:9], v[8:9]
	v_fmac_f64_e32 v[8:9], v[6:7], v[6:7]
	v_rsq_f64_e32 v[6:7], v[8:9]
	v_cmp_eq_f64_e64 s[4:5], 0, v[8:9]
	s_movk_i32 s7, 0x204
	v_cmp_class_f64_e64 s[22:23], v[16:17], s7
	v_mul_f64 v[24:25], v[8:9], v[6:7]
	v_mul_f64 v[6:7], v[6:7], 0.5
	v_fma_f64 v[26:27], -v[6:7], v[24:25], 0.5
	v_fmac_f64_e32 v[24:25], v[24:25], v[26:27]
	v_fmac_f64_e32 v[6:7], v[6:7], v[26:27]
	v_fma_f64 v[26:27], -v[24:25], v[24:25], v[8:9]
	v_fmac_f64_e32 v[24:25], v[26:27], v[6:7]
	v_cndmask_b32_e64 v7, v25, v9, s[4:5]
	v_cndmask_b32_e64 v6, v24, v8, s[4:5]
	v_ldexp_f64 v[6:7], v[6:7], v1
	v_cmp_o_f64_e64 s[4:5], v[16:17], v[16:17]
	v_cmp_le_f64_e32 vcc, 0, v[14:15]
                                        ; implicit-def: $vgpr8_vgpr9
	s_nop 0
	v_cndmask_b32_e64 v1, 0, v6, s[4:5]
	v_mov_b32_e32 v6, 0x7ff80000
	v_cndmask_b32_e64 v6, v6, v7, s[4:5]
	v_cmp_class_f64_e64 s[4:5], v[14:15], s7
	v_mov_b32_e32 v7, 0x7ff00000
	s_or_b64 s[4:5], s[22:23], s[4:5]
	v_cndmask_b32_e64 v25, v6, v7, s[4:5]
	v_cndmask_b32_e64 v24, v1, 0, s[4:5]
                                        ; implicit-def: $vgpr6_vgpr7
	s_and_saveexec_b64 s[4:5], vcc
	s_xor_b64 s[4:5], exec, s[4:5]
	s_cbranch_execz .LBB162_176
; %bb.175:
	v_add_f64 v[6:7], v[14:15], v[24:25]
	s_mov_b32 s22, 0
	v_mul_f64 v[6:7], v[6:7], 0.5
	s_brev_b32 s23, 8
	v_mov_b32_e32 v1, 0x100
	v_cmp_gt_f64_e32 vcc, s[22:23], v[6:7]
	s_nop 1
	v_cndmask_b32_e32 v1, 0, v1, vcc
	v_ldexp_f64 v[6:7], v[6:7], v1
	v_rsq_f64_e32 v[8:9], v[6:7]
	v_mov_b32_e32 v1, 0xffffff80
	v_cndmask_b32_e32 v1, 0, v1, vcc
	v_mul_f64 v[14:15], v[6:7], v[8:9]
	v_mul_f64 v[8:9], v[8:9], 0.5
	v_fma_f64 v[24:25], -v[8:9], v[14:15], 0.5
	v_fmac_f64_e32 v[14:15], v[14:15], v[24:25]
	v_fma_f64 v[26:27], -v[14:15], v[14:15], v[6:7]
	v_fmac_f64_e32 v[8:9], v[8:9], v[24:25]
	v_fmac_f64_e32 v[14:15], v[26:27], v[8:9]
	v_fma_f64 v[24:25], -v[14:15], v[14:15], v[6:7]
	v_fmac_f64_e32 v[14:15], v[24:25], v[8:9]
	v_ldexp_f64 v[8:9], v[14:15], v1
	v_mov_b32_e32 v1, 0x260
	v_cmp_class_f64_e32 vcc, v[6:7], v1
	s_nop 1
	v_cndmask_b32_e32 v9, v9, v7, vcc
	v_cndmask_b32_e32 v8, v8, v6, vcc
	v_add_f64 v[6:7], v[8:9], v[8:9]
	v_div_scale_f64 v[14:15], s[22:23], v[6:7], v[6:7], v[16:17]
	v_rcp_f64_e32 v[24:25], v[14:15]
	s_nop 0
	v_fma_f64 v[26:27], -v[14:15], v[24:25], 1.0
	v_fmac_f64_e32 v[24:25], v[24:25], v[26:27]
	v_fma_f64 v[26:27], -v[14:15], v[24:25], 1.0
	v_fmac_f64_e32 v[24:25], v[24:25], v[26:27]
	v_div_scale_f64 v[26:27], vcc, v[16:17], v[6:7], v[16:17]
	v_mul_f64 v[28:29], v[26:27], v[24:25]
	v_fma_f64 v[14:15], -v[14:15], v[28:29], v[26:27]
	s_nop 1
	v_div_fmas_f64 v[14:15], v[14:15], v[24:25], v[28:29]
	v_div_fixup_f64 v[6:7], v[14:15], v[6:7], v[16:17]
                                        ; implicit-def: $vgpr24_vgpr25
                                        ; implicit-def: $vgpr14_vgpr15
	s_andn2_saveexec_b64 s[4:5], s[4:5]
	s_cbranch_execz .LBB162_178
	s_branch .LBB162_177
.LBB162_176:
	s_andn2_saveexec_b64 s[4:5], s[4:5]
	s_cbranch_execz .LBB162_178
.LBB162_177:
	v_add_f64 v[6:7], v[24:25], -v[14:15]
	s_mov_b32 s22, 0
	v_mul_f64 v[6:7], v[6:7], 0.5
	s_brev_b32 s23, 8
	v_mov_b32_e32 v1, 0x100
	v_cmp_gt_f64_e32 vcc, s[22:23], v[6:7]
	s_brev_b32 s7, -2
	s_nop 0
	v_cndmask_b32_e32 v1, 0, v1, vcc
	v_ldexp_f64 v[6:7], v[6:7], v1
	v_rsq_f64_e32 v[8:9], v[6:7]
	v_mov_b32_e32 v1, 0xffffff80
	v_cndmask_b32_e32 v1, 0, v1, vcc
	v_mul_f64 v[14:15], v[6:7], v[8:9]
	v_mul_f64 v[8:9], v[8:9], 0.5
	v_fma_f64 v[24:25], -v[8:9], v[14:15], 0.5
	v_fmac_f64_e32 v[14:15], v[14:15], v[24:25]
	v_fma_f64 v[26:27], -v[14:15], v[14:15], v[6:7]
	v_fmac_f64_e32 v[8:9], v[8:9], v[24:25]
	v_fmac_f64_e32 v[14:15], v[26:27], v[8:9]
	v_fma_f64 v[24:25], -v[14:15], v[14:15], v[6:7]
	v_fmac_f64_e32 v[14:15], v[24:25], v[8:9]
	v_ldexp_f64 v[8:9], v[14:15], v1
	v_mov_b32_e32 v1, 0x260
	v_cmp_class_f64_e32 vcc, v[6:7], v1
	v_and_b32_e32 v15, 0x7fffffff, v17
	v_mov_b32_e32 v14, v16
	v_cndmask_b32_e32 v7, v9, v7, vcc
	v_cndmask_b32_e32 v6, v8, v6, vcc
	v_add_f64 v[8:9], v[6:7], v[6:7]
	v_div_scale_f64 v[24:25], s[22:23], v[8:9], v[8:9], v[14:15]
	v_rcp_f64_e32 v[26:27], v[24:25]
	v_div_scale_f64 v[14:15], vcc, v[14:15], v[8:9], v[14:15]
	v_bfi_b32 v7, s7, v7, v17
	v_fma_f64 v[28:29], -v[24:25], v[26:27], 1.0
	v_fmac_f64_e32 v[26:27], v[26:27], v[28:29]
	v_fma_f64 v[28:29], -v[24:25], v[26:27], 1.0
	v_fmac_f64_e32 v[26:27], v[26:27], v[28:29]
	v_mul_f64 v[28:29], v[14:15], v[26:27]
	v_fma_f64 v[14:15], -v[24:25], v[28:29], v[14:15]
	v_div_fmas_f64 v[14:15], v[14:15], v[26:27], v[28:29]
	v_div_fixup_f64 v[8:9], v[14:15], v[8:9], |v[16:17]|
.LBB162_178:
	s_or_b64 exec, exec, s[4:5]
                                        ; implicit-def: $vgpr16_vgpr17
                                        ; implicit-def: $vgpr24_vgpr25
	s_and_saveexec_b64 s[4:5], s[2:3]
	s_xor_b64 s[2:3], exec, s[4:5]
	s_cbranch_execz .LBB162_180
; %bb.179:
	v_mul_f64 v[14:15], v[8:9], 0.5
	v_mul_f64 v[16:17], v[6:7], 0.5
	v_cndmask_b32_e64 v25, v9, v15, s[20:21]
	v_cndmask_b32_e64 v24, v8, v14, s[20:21]
	v_cndmask_b32_e64 v17, v7, v17, s[20:21]
	v_cndmask_b32_e64 v16, v6, v16, s[20:21]
                                        ; implicit-def: $vgpr8_vgpr9
                                        ; implicit-def: $vgpr6_vgpr7
	s_andn2_saveexec_b64 s[2:3], s[2:3]
	s_cbranch_execnz .LBB162_181
	s_branch .LBB162_182
.LBB162_180:
	s_andn2_saveexec_b64 s[2:3], s[2:3]
.LBB162_181:
	v_add_f64 v[24:25], v[8:9], v[8:9]
	v_add_f64 v[16:17], v[6:7], v[6:7]
.LBB162_182:
	s_or_b64 exec, exec, s[2:3]
.LBB162_183:
	s_andn2_saveexec_b64 s[2:3], s[18:19]
	s_cbranch_execz .LBB162_189
; %bb.184:
	v_add_f64 v[6:7], v[16:17], -v[16:17]
	v_cmp_lt_i64_e32 vcc, -1, v[14:15]
	s_brev_b32 s7, -2
	v_and_b32_e32 v25, 0x7fffffff, v7
	v_mov_b32_e32 v24, v6
	s_and_saveexec_b64 s[4:5], vcc
	s_xor_b64 s[4:5], exec, s[4:5]
; %bb.185:
	v_bfi_b32 v7, s7, v7, v17
	v_mov_b64_e32 v[16:17], v[6:7]
	v_mov_b64_e32 v[24:25], v[14:15]
; %bb.186:
	s_andn2_saveexec_b64 s[4:5], s[4:5]
; %bb.187:
	v_bfi_b32 v15, s7, v15, v17
	v_mov_b64_e32 v[16:17], v[14:15]
; %bb.188:
	s_or_b64 exec, exec, s[4:5]
.LBB162_189:
	s_or_b64 exec, exec, s[2:3]
.LBB162_190:
	s_andn2_saveexec_b64 s[2:3], s[16:17]
	s_cbranch_execz .LBB162_192
; %bb.191:
	v_add_f64 v[6:7], v[16:17], -v[16:17]
	v_div_scale_f64 v[8:9], vcc, v[6:7], v[6:7], v[6:7]
	v_rcp_f64_e32 v[16:17], v[8:9]
	s_nop 0
	v_fma_f64 v[24:25], -v[8:9], v[16:17], 1.0
	v_fmac_f64_e32 v[16:17], v[16:17], v[24:25]
	v_fma_f64 v[24:25], -v[8:9], v[16:17], 1.0
	v_fmac_f64_e32 v[16:17], v[16:17], v[24:25]
	v_mul_f64 v[24:25], v[8:9], v[16:17]
	v_fma_f64 v[8:9], -v[8:9], v[24:25], v[8:9]
	v_div_fmas_f64 v[8:9], v[8:9], v[16:17], v[24:25]
	v_div_fixup_f64 v[16:17], v[8:9], v[6:7], v[6:7]
	v_mov_b64_e32 v[24:25], v[14:15]
.LBB162_192:
	s_or_b64 exec, exec, s[2:3]
.LBB162_193:
	s_or_b64 exec, exec, s[14:15]
.LBB162_194:
	s_or_b64 exec, exec, s[12:13]
	v_xor_b32_e32 v1, 0x80000000, v25
	v_cmp_gt_f64_e32 vcc, 0, v[24:25]
	v_mov_b32_e32 v26, v24
	v_mov_b32_e32 v14, v16
	v_cndmask_b32_e32 v27, v25, v1, vcc
	v_xor_b32_e32 v1, 0x80000000, v17
	v_cmp_gt_f64_e32 vcc, 0, v[16:17]
                                        ; implicit-def: $vgpr6_vgpr7
	s_nop 1
	v_cndmask_b32_e32 v15, v17, v1, vcc
	v_cmp_ge_f64_e32 vcc, v[26:27], v[14:15]
	s_and_saveexec_b64 s[2:3], vcc
	s_xor_b64 s[4:5], exec, s[2:3]
	s_cbranch_execz .LBB162_200
; %bb.195:
	v_cmp_neq_f64_e32 vcc, 0, v[24:25]
	v_cmp_neq_f64_e64 s[2:3], 0, v[16:17]
	s_or_b64 s[2:3], vcc, s[2:3]
                                        ; implicit-def: $vgpr6_vgpr7
	s_and_saveexec_b64 s[12:13], s[2:3]
	s_xor_b64 s[2:3], exec, s[12:13]
	s_cbranch_execz .LBB162_197
; %bb.196:
	v_div_scale_f64 v[6:7], s[12:13], v[24:25], v[24:25], v[16:17]
	v_rcp_f64_e32 v[8:9], v[6:7]
	v_div_scale_f64 v[14:15], vcc, v[16:17], v[24:25], v[16:17]
	v_fma_f64 v[26:27], -v[6:7], v[8:9], 1.0
	v_fmac_f64_e32 v[8:9], v[8:9], v[26:27]
	v_fma_f64 v[26:27], -v[6:7], v[8:9], 1.0
	v_fmac_f64_e32 v[8:9], v[8:9], v[26:27]
	v_mul_f64 v[26:27], v[14:15], v[8:9]
	v_fma_f64 v[6:7], -v[6:7], v[26:27], v[14:15]
	v_div_fmas_f64 v[6:7], v[6:7], v[8:9], v[26:27]
	v_div_fixup_f64 v[8:9], v[6:7], v[24:25], v[16:17]
	v_fmac_f64_e32 v[24:25], v[16:17], v[8:9]
	v_div_scale_f64 v[6:7], s[12:13], v[24:25], v[24:25], 1.0
	v_rcp_f64_e32 v[14:15], v[6:7]
	s_nop 0
	v_fma_f64 v[16:17], -v[6:7], v[14:15], 1.0
	v_fmac_f64_e32 v[14:15], v[14:15], v[16:17]
	v_fma_f64 v[16:17], -v[6:7], v[14:15], 1.0
	v_fmac_f64_e32 v[14:15], v[14:15], v[16:17]
	v_div_scale_f64 v[16:17], vcc, 1.0, v[24:25], 1.0
	v_mul_f64 v[26:27], v[16:17], v[14:15]
	v_fma_f64 v[6:7], -v[6:7], v[26:27], v[16:17]
	s_nop 1
	v_div_fmas_f64 v[6:7], v[6:7], v[14:15], v[26:27]
	v_div_fixup_f64 v[14:15], v[6:7], v[24:25], 1.0
	v_fma_f64 v[6:7], v[8:9], 0, 1.0
	v_add_f64 v[8:9], -v[8:9], 0
	v_mul_f64 v[6:7], v[6:7], v[14:15]
	v_mul_f64 v[8:9], v[8:9], v[14:15]
                                        ; implicit-def: $vgpr26_vgpr27
                                        ; implicit-def: $vgpr14_vgpr15
.LBB162_197:
	s_andn2_saveexec_b64 s[2:3], s[2:3]
	s_cbranch_execz .LBB162_199
; %bb.198:
	v_div_scale_f64 v[6:7], s[12:13], v[26:27], v[26:27], 1.0
	v_rcp_f64_e32 v[8:9], v[6:7]
	v_div_scale_f64 v[16:17], vcc, 1.0, v[26:27], 1.0
	v_fma_f64 v[24:25], -v[6:7], v[8:9], 1.0
	v_fmac_f64_e32 v[8:9], v[8:9], v[24:25]
	v_fma_f64 v[24:25], -v[6:7], v[8:9], 1.0
	v_fmac_f64_e32 v[8:9], v[8:9], v[24:25]
	v_mul_f64 v[24:25], v[16:17], v[8:9]
	v_fma_f64 v[6:7], -v[6:7], v[24:25], v[16:17]
	v_div_scale_f64 v[16:17], s[12:13], v[14:15], v[14:15], 0
	v_rcp_f64_e32 v[28:29], v[16:17]
	v_div_fmas_f64 v[6:7], v[6:7], v[8:9], v[24:25]
	v_div_fixup_f64 v[6:7], v[6:7], v[26:27], 1.0
	v_fma_f64 v[8:9], -v[16:17], v[28:29], 1.0
	v_fmac_f64_e32 v[28:29], v[28:29], v[8:9]
	v_fma_f64 v[8:9], -v[16:17], v[28:29], 1.0
	v_fmac_f64_e32 v[28:29], v[28:29], v[8:9]
	v_div_scale_f64 v[8:9], vcc, 0, v[14:15], 0
	v_mul_f64 v[24:25], v[8:9], v[28:29]
	v_fma_f64 v[8:9], -v[16:17], v[24:25], v[8:9]
	s_nop 1
	v_div_fmas_f64 v[8:9], v[8:9], v[28:29], v[24:25]
	v_div_fixup_f64 v[8:9], v[8:9], v[14:15], 0
.LBB162_199:
	s_or_b64 exec, exec, s[2:3]
                                        ; implicit-def: $vgpr16_vgpr17
                                        ; implicit-def: $vgpr24_vgpr25
.LBB162_200:
	s_andn2_saveexec_b64 s[2:3], s[4:5]
	s_cbranch_execz .LBB162_202
; %bb.201:
	v_div_scale_f64 v[6:7], s[4:5], v[16:17], v[16:17], v[24:25]
	v_rcp_f64_e32 v[8:9], v[6:7]
	v_div_scale_f64 v[14:15], vcc, v[24:25], v[16:17], v[24:25]
	v_fma_f64 v[26:27], -v[6:7], v[8:9], 1.0
	v_fmac_f64_e32 v[8:9], v[8:9], v[26:27]
	v_fma_f64 v[26:27], -v[6:7], v[8:9], 1.0
	v_fmac_f64_e32 v[8:9], v[8:9], v[26:27]
	v_mul_f64 v[26:27], v[14:15], v[8:9]
	v_fma_f64 v[6:7], -v[6:7], v[26:27], v[14:15]
	v_div_fmas_f64 v[6:7], v[6:7], v[8:9], v[26:27]
	v_div_fixup_f64 v[8:9], v[6:7], v[16:17], v[24:25]
	v_fmac_f64_e32 v[16:17], v[24:25], v[8:9]
	v_div_scale_f64 v[6:7], s[4:5], v[16:17], v[16:17], 1.0
	v_rcp_f64_e32 v[14:15], v[6:7]
	s_nop 0
	v_fma_f64 v[24:25], -v[6:7], v[14:15], 1.0
	v_fmac_f64_e32 v[14:15], v[14:15], v[24:25]
	v_fma_f64 v[24:25], -v[6:7], v[14:15], 1.0
	v_fmac_f64_e32 v[14:15], v[14:15], v[24:25]
	v_div_scale_f64 v[24:25], vcc, 1.0, v[16:17], 1.0
	v_mul_f64 v[26:27], v[24:25], v[14:15]
	v_fma_f64 v[6:7], -v[6:7], v[26:27], v[24:25]
	s_nop 1
	v_div_fmas_f64 v[6:7], v[6:7], v[14:15], v[26:27]
	v_div_fixup_f64 v[14:15], v[6:7], v[16:17], 1.0
	v_add_f64 v[6:7], v[8:9], 0
	v_fma_f64 v[8:9], v[8:9], 0, -1.0
	v_mul_f64 v[6:7], v[6:7], v[14:15]
	v_mul_f64 v[8:9], v[8:9], v[14:15]
.LBB162_202:
	s_or_b64 exec, exec, s[2:3]
.LBB162_203:
	s_or_b64 exec, exec, s[10:11]
	v_or_b32_e32 v1, 0x100, v0
	v_cmp_gt_i32_e32 vcc, s24, v1
	s_waitcnt vmcnt(0)
	v_mov_b64_e32 v[14:15], 0
	v_mov_b64_e32 v[16:17], 0
	s_and_saveexec_b64 s[10:11], vcc
	s_cbranch_execz .LBB162_243
; %bb.204:
	v_cmp_neq_f64_e32 vcc, 0, v[18:19]
	v_cmp_neq_f64_e64 s[2:3], 0, v[20:21]
	v_mov_b64_e32 v[24:25], 0
	s_or_b64 s[2:3], vcc, s[2:3]
	s_and_saveexec_b64 s[12:13], s[2:3]
	s_cbranch_execz .LBB162_234
; %bb.205:
	v_mov_b32_e32 v24, 0
	v_mov_b32_e32 v25, 0x7ff00000
	v_cmp_neq_f64_e64 s[2:3], |v[20:21]|, v[24:25]
	s_and_saveexec_b64 s[14:15], s[2:3]
	s_cbranch_execz .LBB162_233
; %bb.206:
	v_cmp_o_f64_e32 vcc, v[18:19], v[18:19]
                                        ; implicit-def: $vgpr24_vgpr25
	s_and_saveexec_b64 s[2:3], vcc
	s_xor_b64 s[16:17], exec, s[2:3]
	s_cbranch_execz .LBB162_230
; %bb.207:
	s_mov_b32 s2, 0
	s_mov_b32 s3, 0x7ff00000
	v_cmp_neq_f64_e64 s[2:3], |v[18:19]|, s[2:3]
                                        ; implicit-def: $vgpr24_vgpr25
	s_and_saveexec_b64 s[4:5], s[2:3]
	s_xor_b64 s[18:19], exec, s[4:5]
	s_cbranch_execz .LBB162_223
; %bb.208:
	v_max_f64 v[14:15], |v[20:21]|, |v[20:21]|
	v_max_f64 v[16:17], |v[18:19]|, |v[18:19]|
	s_mov_b32 s2, 0x99fcef32
	v_max_f64 v[14:15], v[16:17], v[14:15]
	s_mov_b32 s3, 0x7fda8279
	v_cmp_nle_f64_e64 s[2:3], s[2:3], v[14:15]
                                        ; implicit-def: $sgpr20_sgpr21
	s_and_saveexec_b64 s[4:5], s[2:3]
	s_xor_b64 s[4:5], exec, s[4:5]
	s_cbranch_execz .LBB162_212
; %bb.209:
	s_mov_b32 s20, 0
	s_mov_b32 s21, 0x200000
	v_cmp_le_f64_e64 s[22:23], |v[18:19]|, s[20:21]
	v_cmp_le_f64_e64 s[20:21], |v[20:21]|, s[20:21]
	s_and_b64 s[26:27], s[22:23], s[20:21]
	s_mov_b64 s[20:21], 0
	s_and_saveexec_b64 s[22:23], s[26:27]
; %bb.210:
	s_mov_b64 s[20:21], exec
	v_mul_f64 v[18:19], v[18:19], 4.0
	v_mul_f64 v[20:21], v[20:21], 4.0
; %bb.211:
	s_or_b64 exec, exec, s[22:23]
.LBB162_212:
	s_andn2_saveexec_b64 s[4:5], s[4:5]
; %bb.213:
	v_ldexp_f64 v[18:19], v[18:19], -2
	v_ldexp_f64 v[20:21], v[20:21], -2
	s_andn2_b64 s[20:21], s[20:21], exec
; %bb.214:
	s_or_b64 exec, exec, s[4:5]
	v_max_f64 v[14:15], |v[20:21]|, |v[20:21]|
	v_max_f64 v[16:17], |v[18:19]|, |v[18:19]|
	v_max_f64 v[14:15], v[16:17], v[14:15]
	v_frexp_exp_i32_f64_e32 v23, v[14:15]
	v_sub_u32_e32 v16, 0, v23
	v_ldexp_f64 v[14:15], |v[18:19]|, v16
	v_ldexp_f64 v[16:17], |v[20:21]|, v16
	v_mul_f64 v[16:17], v[16:17], v[16:17]
	v_fmac_f64_e32 v[16:17], v[14:15], v[14:15]
	v_rsq_f64_e32 v[14:15], v[16:17]
	v_cmp_eq_f64_e64 s[4:5], 0, v[16:17]
	s_movk_i32 s7, 0x204
	v_cmp_class_f64_e64 s[22:23], v[20:21], s7
	v_mul_f64 v[24:25], v[16:17], v[14:15]
	v_mul_f64 v[14:15], v[14:15], 0.5
	v_fma_f64 v[26:27], -v[14:15], v[24:25], 0.5
	v_fmac_f64_e32 v[24:25], v[24:25], v[26:27]
	v_fmac_f64_e32 v[14:15], v[14:15], v[26:27]
	v_fma_f64 v[26:27], -v[24:25], v[24:25], v[16:17]
	v_fmac_f64_e32 v[24:25], v[26:27], v[14:15]
	v_cndmask_b32_e64 v15, v25, v17, s[4:5]
	v_cndmask_b32_e64 v14, v24, v16, s[4:5]
	v_ldexp_f64 v[14:15], v[14:15], v23
	v_cmp_o_f64_e64 s[4:5], v[20:21], v[20:21]
	v_mov_b32_e32 v16, 0x7ff80000
	v_cmp_le_f64_e32 vcc, 0, v[18:19]
	v_cndmask_b32_e64 v14, 0, v14, s[4:5]
	v_cndmask_b32_e64 v15, v16, v15, s[4:5]
	v_cmp_class_f64_e64 s[4:5], v[18:19], s7
	v_mov_b32_e32 v16, 0x7ff00000
	s_or_b64 s[4:5], s[22:23], s[4:5]
	v_cndmask_b32_e64 v25, v15, v16, s[4:5]
	v_cndmask_b32_e64 v24, v14, 0, s[4:5]
                                        ; implicit-def: $vgpr14_vgpr15
                                        ; implicit-def: $vgpr16_vgpr17
	s_and_saveexec_b64 s[4:5], vcc
	s_xor_b64 s[4:5], exec, s[4:5]
	s_cbranch_execz .LBB162_216
; %bb.215:
	v_add_f64 v[14:15], v[18:19], v[24:25]
	s_mov_b32 s22, 0
	v_mul_f64 v[14:15], v[14:15], 0.5
	s_brev_b32 s23, 8
	v_mov_b32_e32 v16, 0x100
	v_cmp_gt_f64_e32 vcc, s[22:23], v[14:15]
	s_nop 1
	v_cndmask_b32_e32 v16, 0, v16, vcc
	v_ldexp_f64 v[14:15], v[14:15], v16
	v_rsq_f64_e32 v[16:17], v[14:15]
	s_nop 0
	v_mul_f64 v[18:19], v[14:15], v[16:17]
	v_mul_f64 v[16:17], v[16:17], 0.5
	v_fma_f64 v[24:25], -v[16:17], v[18:19], 0.5
	v_fmac_f64_e32 v[18:19], v[18:19], v[24:25]
	v_fma_f64 v[26:27], -v[18:19], v[18:19], v[14:15]
	v_fmac_f64_e32 v[16:17], v[16:17], v[24:25]
	v_fmac_f64_e32 v[18:19], v[26:27], v[16:17]
	v_fma_f64 v[24:25], -v[18:19], v[18:19], v[14:15]
	v_fmac_f64_e32 v[18:19], v[24:25], v[16:17]
	v_mov_b32_e32 v16, 0xffffff80
	v_cndmask_b32_e32 v16, 0, v16, vcc
	v_ldexp_f64 v[16:17], v[18:19], v16
	v_mov_b32_e32 v18, 0x260
	v_cmp_class_f64_e32 vcc, v[14:15], v18
	s_nop 1
	v_cndmask_b32_e32 v17, v17, v15, vcc
	v_cndmask_b32_e32 v16, v16, v14, vcc
	v_add_f64 v[14:15], v[16:17], v[16:17]
	v_div_scale_f64 v[18:19], s[22:23], v[14:15], v[14:15], v[20:21]
	v_rcp_f64_e32 v[24:25], v[18:19]
	s_nop 0
	v_fma_f64 v[26:27], -v[18:19], v[24:25], 1.0
	v_fmac_f64_e32 v[24:25], v[24:25], v[26:27]
	v_fma_f64 v[26:27], -v[18:19], v[24:25], 1.0
	v_fmac_f64_e32 v[24:25], v[24:25], v[26:27]
	v_div_scale_f64 v[26:27], vcc, v[20:21], v[14:15], v[20:21]
	v_mul_f64 v[28:29], v[26:27], v[24:25]
	v_fma_f64 v[18:19], -v[18:19], v[28:29], v[26:27]
	s_nop 1
	v_div_fmas_f64 v[18:19], v[18:19], v[24:25], v[28:29]
	v_div_fixup_f64 v[14:15], v[18:19], v[14:15], v[20:21]
                                        ; implicit-def: $vgpr24_vgpr25
                                        ; implicit-def: $vgpr18_vgpr19
	s_andn2_saveexec_b64 s[4:5], s[4:5]
	s_cbranch_execz .LBB162_218
	s_branch .LBB162_217
.LBB162_216:
	s_andn2_saveexec_b64 s[4:5], s[4:5]
	s_cbranch_execz .LBB162_218
.LBB162_217:
	v_add_f64 v[14:15], v[24:25], -v[18:19]
	s_mov_b32 s22, 0
	v_mul_f64 v[14:15], v[14:15], 0.5
	s_brev_b32 s23, 8
	v_mov_b32_e32 v16, 0x100
	v_cmp_gt_f64_e32 vcc, s[22:23], v[14:15]
	s_brev_b32 s7, -2
	s_nop 0
	v_cndmask_b32_e32 v16, 0, v16, vcc
	v_ldexp_f64 v[14:15], v[14:15], v16
	v_rsq_f64_e32 v[16:17], v[14:15]
	s_nop 0
	v_mul_f64 v[18:19], v[14:15], v[16:17]
	v_mul_f64 v[16:17], v[16:17], 0.5
	v_fma_f64 v[24:25], -v[16:17], v[18:19], 0.5
	v_fmac_f64_e32 v[18:19], v[18:19], v[24:25]
	v_fma_f64 v[26:27], -v[18:19], v[18:19], v[14:15]
	v_fmac_f64_e32 v[16:17], v[16:17], v[24:25]
	v_fmac_f64_e32 v[18:19], v[26:27], v[16:17]
	v_fma_f64 v[24:25], -v[18:19], v[18:19], v[14:15]
	v_fmac_f64_e32 v[18:19], v[24:25], v[16:17]
	v_mov_b32_e32 v16, 0xffffff80
	v_cndmask_b32_e32 v16, 0, v16, vcc
	v_ldexp_f64 v[16:17], v[18:19], v16
	v_mov_b32_e32 v18, 0x260
	v_cmp_class_f64_e32 vcc, v[14:15], v18
	v_and_b32_e32 v19, 0x7fffffff, v21
	v_mov_b32_e32 v18, v20
	v_cndmask_b32_e32 v15, v17, v15, vcc
	v_cndmask_b32_e32 v14, v16, v14, vcc
	v_add_f64 v[16:17], v[14:15], v[14:15]
	v_div_scale_f64 v[24:25], s[22:23], v[16:17], v[16:17], v[18:19]
	v_rcp_f64_e32 v[26:27], v[24:25]
	v_div_scale_f64 v[18:19], vcc, v[18:19], v[16:17], v[18:19]
	v_bfi_b32 v15, s7, v15, v21
	v_fma_f64 v[28:29], -v[24:25], v[26:27], 1.0
	v_fmac_f64_e32 v[26:27], v[26:27], v[28:29]
	v_fma_f64 v[28:29], -v[24:25], v[26:27], 1.0
	v_fmac_f64_e32 v[26:27], v[26:27], v[28:29]
	v_mul_f64 v[28:29], v[18:19], v[26:27]
	v_fma_f64 v[18:19], -v[24:25], v[28:29], v[18:19]
	v_div_fmas_f64 v[18:19], v[18:19], v[26:27], v[28:29]
	v_div_fixup_f64 v[16:17], v[18:19], v[16:17], |v[20:21]|
.LBB162_218:
	s_or_b64 exec, exec, s[4:5]
                                        ; implicit-def: $vgpr20_vgpr21
                                        ; implicit-def: $vgpr24_vgpr25
	s_and_saveexec_b64 s[4:5], s[2:3]
	s_xor_b64 s[2:3], exec, s[4:5]
	s_cbranch_execz .LBB162_220
; %bb.219:
	v_mul_f64 v[18:19], v[16:17], 0.5
	v_mul_f64 v[20:21], v[14:15], 0.5
	v_cndmask_b32_e64 v25, v17, v19, s[20:21]
	v_cndmask_b32_e64 v24, v16, v18, s[20:21]
	;; [unrolled: 1-line block ×4, first 2 shown]
                                        ; implicit-def: $vgpr16_vgpr17
                                        ; implicit-def: $vgpr14_vgpr15
	s_andn2_saveexec_b64 s[2:3], s[2:3]
	s_cbranch_execnz .LBB162_221
	s_branch .LBB162_222
.LBB162_220:
	s_andn2_saveexec_b64 s[2:3], s[2:3]
.LBB162_221:
	v_add_f64 v[24:25], v[16:17], v[16:17]
	v_add_f64 v[20:21], v[14:15], v[14:15]
.LBB162_222:
	s_or_b64 exec, exec, s[2:3]
.LBB162_223:
	s_andn2_saveexec_b64 s[2:3], s[18:19]
	s_cbranch_execz .LBB162_229
; %bb.224:
	v_add_f64 v[14:15], v[20:21], -v[20:21]
	v_cmp_lt_i64_e32 vcc, -1, v[18:19]
	s_brev_b32 s7, -2
	v_and_b32_e32 v25, 0x7fffffff, v15
	v_mov_b32_e32 v24, v14
	s_and_saveexec_b64 s[4:5], vcc
	s_xor_b64 s[4:5], exec, s[4:5]
; %bb.225:
	v_bfi_b32 v15, s7, v15, v21
	v_mov_b64_e32 v[20:21], v[14:15]
	v_mov_b64_e32 v[24:25], v[18:19]
; %bb.226:
	s_andn2_saveexec_b64 s[4:5], s[4:5]
; %bb.227:
	v_bfi_b32 v19, s7, v19, v21
	v_mov_b64_e32 v[20:21], v[18:19]
; %bb.228:
	s_or_b64 exec, exec, s[4:5]
.LBB162_229:
	s_or_b64 exec, exec, s[2:3]
.LBB162_230:
	s_andn2_saveexec_b64 s[2:3], s[16:17]
	s_cbranch_execz .LBB162_232
; %bb.231:
	v_add_f64 v[14:15], v[20:21], -v[20:21]
	v_div_scale_f64 v[16:17], vcc, v[14:15], v[14:15], v[14:15]
	v_rcp_f64_e32 v[20:21], v[16:17]
	s_nop 0
	v_fma_f64 v[24:25], -v[16:17], v[20:21], 1.0
	v_fmac_f64_e32 v[20:21], v[20:21], v[24:25]
	v_fma_f64 v[24:25], -v[16:17], v[20:21], 1.0
	v_fmac_f64_e32 v[20:21], v[20:21], v[24:25]
	v_mul_f64 v[24:25], v[16:17], v[20:21]
	v_fma_f64 v[16:17], -v[16:17], v[24:25], v[16:17]
	v_div_fmas_f64 v[16:17], v[16:17], v[20:21], v[24:25]
	v_div_fixup_f64 v[20:21], v[16:17], v[14:15], v[14:15]
	v_mov_b64_e32 v[24:25], v[18:19]
.LBB162_232:
	s_or_b64 exec, exec, s[2:3]
.LBB162_233:
	s_or_b64 exec, exec, s[14:15]
.LBB162_234:
	s_or_b64 exec, exec, s[12:13]
	v_xor_b32_e32 v14, 0x80000000, v25
	v_cmp_gt_f64_e32 vcc, 0, v[24:25]
	v_mov_b32_e32 v26, v24
	v_mov_b32_e32 v18, v20
	v_cndmask_b32_e32 v27, v25, v14, vcc
	v_xor_b32_e32 v14, 0x80000000, v21
	v_cmp_gt_f64_e32 vcc, 0, v[20:21]
	s_nop 1
	v_cndmask_b32_e32 v19, v21, v14, vcc
	v_cmp_ge_f64_e32 vcc, v[26:27], v[18:19]
                                        ; implicit-def: $vgpr14_vgpr15
	s_and_saveexec_b64 s[2:3], vcc
	s_xor_b64 s[4:5], exec, s[2:3]
	s_cbranch_execz .LBB162_240
; %bb.235:
	v_cmp_neq_f64_e32 vcc, 0, v[24:25]
	v_cmp_neq_f64_e64 s[2:3], 0, v[20:21]
	s_or_b64 s[2:3], vcc, s[2:3]
                                        ; implicit-def: $vgpr14_vgpr15
	s_and_saveexec_b64 s[12:13], s[2:3]
	s_xor_b64 s[2:3], exec, s[12:13]
	s_cbranch_execz .LBB162_237
; %bb.236:
	v_div_scale_f64 v[14:15], s[12:13], v[24:25], v[24:25], v[20:21]
	v_rcp_f64_e32 v[16:17], v[14:15]
	v_div_scale_f64 v[18:19], vcc, v[20:21], v[24:25], v[20:21]
	v_fma_f64 v[26:27], -v[14:15], v[16:17], 1.0
	v_fmac_f64_e32 v[16:17], v[16:17], v[26:27]
	v_fma_f64 v[26:27], -v[14:15], v[16:17], 1.0
	v_fmac_f64_e32 v[16:17], v[16:17], v[26:27]
	v_mul_f64 v[26:27], v[18:19], v[16:17]
	v_fma_f64 v[14:15], -v[14:15], v[26:27], v[18:19]
	v_div_fmas_f64 v[14:15], v[14:15], v[16:17], v[26:27]
	v_div_fixup_f64 v[16:17], v[14:15], v[24:25], v[20:21]
	v_fmac_f64_e32 v[24:25], v[20:21], v[16:17]
	v_div_scale_f64 v[14:15], s[12:13], v[24:25], v[24:25], 1.0
	v_rcp_f64_e32 v[18:19], v[14:15]
	s_nop 0
	v_fma_f64 v[20:21], -v[14:15], v[18:19], 1.0
	v_fmac_f64_e32 v[18:19], v[18:19], v[20:21]
	v_fma_f64 v[20:21], -v[14:15], v[18:19], 1.0
	v_fmac_f64_e32 v[18:19], v[18:19], v[20:21]
	v_div_scale_f64 v[20:21], vcc, 1.0, v[24:25], 1.0
	v_mul_f64 v[26:27], v[20:21], v[18:19]
	v_fma_f64 v[14:15], -v[14:15], v[26:27], v[20:21]
	s_nop 1
	v_div_fmas_f64 v[14:15], v[14:15], v[18:19], v[26:27]
	v_div_fixup_f64 v[18:19], v[14:15], v[24:25], 1.0
	v_fma_f64 v[14:15], v[16:17], 0, 1.0
	v_add_f64 v[16:17], -v[16:17], 0
	v_mul_f64 v[14:15], v[14:15], v[18:19]
	v_mul_f64 v[16:17], v[16:17], v[18:19]
                                        ; implicit-def: $vgpr26_vgpr27
                                        ; implicit-def: $vgpr18_vgpr19
.LBB162_237:
	s_andn2_saveexec_b64 s[2:3], s[2:3]
	s_cbranch_execz .LBB162_239
; %bb.238:
	v_div_scale_f64 v[14:15], s[12:13], v[26:27], v[26:27], 1.0
	v_rcp_f64_e32 v[16:17], v[14:15]
	v_div_scale_f64 v[20:21], vcc, 1.0, v[26:27], 1.0
	v_fma_f64 v[24:25], -v[14:15], v[16:17], 1.0
	v_fmac_f64_e32 v[16:17], v[16:17], v[24:25]
	v_fma_f64 v[24:25], -v[14:15], v[16:17], 1.0
	v_fmac_f64_e32 v[16:17], v[16:17], v[24:25]
	v_mul_f64 v[24:25], v[20:21], v[16:17]
	v_fma_f64 v[14:15], -v[14:15], v[24:25], v[20:21]
	v_div_scale_f64 v[20:21], s[12:13], v[18:19], v[18:19], 0
	v_rcp_f64_e32 v[28:29], v[20:21]
	v_div_fmas_f64 v[14:15], v[14:15], v[16:17], v[24:25]
	v_div_fixup_f64 v[14:15], v[14:15], v[26:27], 1.0
	v_fma_f64 v[16:17], -v[20:21], v[28:29], 1.0
	v_fmac_f64_e32 v[28:29], v[28:29], v[16:17]
	v_fma_f64 v[16:17], -v[20:21], v[28:29], 1.0
	v_fmac_f64_e32 v[28:29], v[28:29], v[16:17]
	v_div_scale_f64 v[16:17], vcc, 0, v[18:19], 0
	v_mul_f64 v[24:25], v[16:17], v[28:29]
	v_fma_f64 v[16:17], -v[20:21], v[24:25], v[16:17]
	s_nop 1
	v_div_fmas_f64 v[16:17], v[16:17], v[28:29], v[24:25]
	v_div_fixup_f64 v[16:17], v[16:17], v[18:19], 0
.LBB162_239:
	s_or_b64 exec, exec, s[2:3]
                                        ; implicit-def: $vgpr20_vgpr21
                                        ; implicit-def: $vgpr24_vgpr25
.LBB162_240:
	s_andn2_saveexec_b64 s[2:3], s[4:5]
	s_cbranch_execz .LBB162_242
; %bb.241:
	v_div_scale_f64 v[14:15], s[4:5], v[20:21], v[20:21], v[24:25]
	v_rcp_f64_e32 v[16:17], v[14:15]
	v_div_scale_f64 v[18:19], vcc, v[24:25], v[20:21], v[24:25]
	v_fma_f64 v[26:27], -v[14:15], v[16:17], 1.0
	v_fmac_f64_e32 v[16:17], v[16:17], v[26:27]
	v_fma_f64 v[26:27], -v[14:15], v[16:17], 1.0
	v_fmac_f64_e32 v[16:17], v[16:17], v[26:27]
	v_mul_f64 v[26:27], v[18:19], v[16:17]
	v_fma_f64 v[14:15], -v[14:15], v[26:27], v[18:19]
	v_div_fmas_f64 v[14:15], v[14:15], v[16:17], v[26:27]
	v_div_fixup_f64 v[16:17], v[14:15], v[20:21], v[24:25]
	v_fmac_f64_e32 v[20:21], v[24:25], v[16:17]
	v_div_scale_f64 v[14:15], s[4:5], v[20:21], v[20:21], 1.0
	v_rcp_f64_e32 v[18:19], v[14:15]
	s_nop 0
	v_fma_f64 v[24:25], -v[14:15], v[18:19], 1.0
	v_fmac_f64_e32 v[18:19], v[18:19], v[24:25]
	v_fma_f64 v[24:25], -v[14:15], v[18:19], 1.0
	v_fmac_f64_e32 v[18:19], v[18:19], v[24:25]
	v_div_scale_f64 v[24:25], vcc, 1.0, v[20:21], 1.0
	v_mul_f64 v[26:27], v[24:25], v[18:19]
	v_fma_f64 v[14:15], -v[14:15], v[26:27], v[24:25]
	s_nop 1
	v_div_fmas_f64 v[14:15], v[14:15], v[18:19], v[26:27]
	v_div_fixup_f64 v[18:19], v[14:15], v[20:21], 1.0
	v_add_f64 v[14:15], v[16:17], 0
	v_fma_f64 v[16:17], v[16:17], 0, -1.0
	v_mul_f64 v[14:15], v[14:15], v[18:19]
	v_mul_f64 v[16:17], v[16:17], v[18:19]
.LBB162_242:
	s_or_b64 exec, exec, s[2:3]
.LBB162_243:
	s_or_b64 exec, exec, s[10:11]
	v_or_b32_e32 v18, 0x200, v0
	v_cmp_gt_i32_e32 vcc, s24, v18
	v_mov_b64_e32 v[18:19], 0
	v_mov_b64_e32 v[20:21], 0
	s_and_saveexec_b64 s[10:11], vcc
	s_cbranch_execz .LBB162_283
; %bb.244:
	v_cmp_neq_f64_e32 vcc, 0, v[10:11]
	v_cmp_neq_f64_e64 s[2:3], 0, v[12:13]
	v_mov_b64_e32 v[24:25], 0
	s_or_b64 s[2:3], vcc, s[2:3]
	s_and_saveexec_b64 s[12:13], s[2:3]
	s_cbranch_execz .LBB162_274
; %bb.245:
	v_mov_b32_e32 v24, 0
	v_mov_b32_e32 v25, 0x7ff00000
	v_cmp_neq_f64_e64 s[2:3], |v[12:13]|, v[24:25]
	s_and_saveexec_b64 s[14:15], s[2:3]
	s_cbranch_execz .LBB162_273
; %bb.246:
	v_cmp_o_f64_e32 vcc, v[10:11], v[10:11]
                                        ; implicit-def: $vgpr24_vgpr25
	s_and_saveexec_b64 s[2:3], vcc
	s_xor_b64 s[16:17], exec, s[2:3]
	s_cbranch_execz .LBB162_270
; %bb.247:
	s_mov_b32 s2, 0
	s_mov_b32 s3, 0x7ff00000
	v_cmp_neq_f64_e64 s[2:3], |v[10:11]|, s[2:3]
                                        ; implicit-def: $vgpr24_vgpr25
	s_and_saveexec_b64 s[4:5], s[2:3]
	s_xor_b64 s[18:19], exec, s[4:5]
	s_cbranch_execz .LBB162_263
; %bb.248:
	v_max_f64 v[18:19], |v[12:13]|, |v[12:13]|
	v_max_f64 v[20:21], |v[10:11]|, |v[10:11]|
	s_mov_b32 s2, 0x99fcef32
	v_max_f64 v[18:19], v[20:21], v[18:19]
	s_mov_b32 s3, 0x7fda8279
	v_cmp_nle_f64_e64 s[2:3], s[2:3], v[18:19]
                                        ; implicit-def: $sgpr20_sgpr21
	s_and_saveexec_b64 s[4:5], s[2:3]
	s_xor_b64 s[4:5], exec, s[4:5]
	s_cbranch_execz .LBB162_252
; %bb.249:
	s_mov_b32 s20, 0
	s_mov_b32 s21, 0x200000
	v_cmp_le_f64_e64 s[22:23], |v[10:11]|, s[20:21]
	v_cmp_le_f64_e64 s[20:21], |v[12:13]|, s[20:21]
	s_and_b64 s[26:27], s[22:23], s[20:21]
	s_mov_b64 s[20:21], 0
	s_and_saveexec_b64 s[22:23], s[26:27]
; %bb.250:
	s_mov_b64 s[20:21], exec
	v_mul_f64 v[10:11], v[10:11], 4.0
	v_mul_f64 v[12:13], v[12:13], 4.0
; %bb.251:
	s_or_b64 exec, exec, s[22:23]
.LBB162_252:
	s_andn2_saveexec_b64 s[4:5], s[4:5]
; %bb.253:
	v_ldexp_f64 v[10:11], v[10:11], -2
	v_ldexp_f64 v[12:13], v[12:13], -2
	s_andn2_b64 s[20:21], s[20:21], exec
; %bb.254:
	s_or_b64 exec, exec, s[4:5]
	v_max_f64 v[18:19], |v[12:13]|, |v[12:13]|
	v_max_f64 v[20:21], |v[10:11]|, |v[10:11]|
	v_max_f64 v[18:19], v[20:21], v[18:19]
	v_frexp_exp_i32_f64_e32 v23, v[18:19]
	v_sub_u32_e32 v20, 0, v23
	v_ldexp_f64 v[18:19], |v[10:11]|, v20
	v_ldexp_f64 v[20:21], |v[12:13]|, v20
	v_mul_f64 v[20:21], v[20:21], v[20:21]
	v_fmac_f64_e32 v[20:21], v[18:19], v[18:19]
	v_rsq_f64_e32 v[18:19], v[20:21]
	v_cmp_eq_f64_e64 s[4:5], 0, v[20:21]
	s_movk_i32 s7, 0x204
	v_cmp_class_f64_e64 s[22:23], v[12:13], s7
	v_mul_f64 v[24:25], v[20:21], v[18:19]
	v_mul_f64 v[18:19], v[18:19], 0.5
	v_fma_f64 v[26:27], -v[18:19], v[24:25], 0.5
	v_fmac_f64_e32 v[24:25], v[24:25], v[26:27]
	v_fmac_f64_e32 v[18:19], v[18:19], v[26:27]
	v_fma_f64 v[26:27], -v[24:25], v[24:25], v[20:21]
	v_fmac_f64_e32 v[24:25], v[26:27], v[18:19]
	v_cndmask_b32_e64 v19, v25, v21, s[4:5]
	v_cndmask_b32_e64 v18, v24, v20, s[4:5]
	v_ldexp_f64 v[18:19], v[18:19], v23
	v_cmp_o_f64_e64 s[4:5], v[12:13], v[12:13]
	v_mov_b32_e32 v20, 0x7ff80000
	v_cmp_le_f64_e32 vcc, 0, v[10:11]
	v_cndmask_b32_e64 v18, 0, v18, s[4:5]
	v_cndmask_b32_e64 v19, v20, v19, s[4:5]
	v_cmp_class_f64_e64 s[4:5], v[10:11], s7
	v_mov_b32_e32 v20, 0x7ff00000
	s_or_b64 s[4:5], s[22:23], s[4:5]
	v_cndmask_b32_e64 v25, v19, v20, s[4:5]
	v_cndmask_b32_e64 v24, v18, 0, s[4:5]
                                        ; implicit-def: $vgpr18_vgpr19
                                        ; implicit-def: $vgpr20_vgpr21
	s_and_saveexec_b64 s[4:5], vcc
	s_xor_b64 s[4:5], exec, s[4:5]
	s_cbranch_execz .LBB162_256
; %bb.255:
	v_add_f64 v[10:11], v[10:11], v[24:25]
	s_mov_b32 s22, 0
	v_mul_f64 v[10:11], v[10:11], 0.5
	s_brev_b32 s23, 8
	v_mov_b32_e32 v18, 0x100
	v_cmp_gt_f64_e32 vcc, s[22:23], v[10:11]
	s_nop 1
	v_cndmask_b32_e32 v18, 0, v18, vcc
	v_ldexp_f64 v[10:11], v[10:11], v18
	v_rsq_f64_e32 v[18:19], v[10:11]
	s_nop 0
	v_mul_f64 v[20:21], v[10:11], v[18:19]
	v_mul_f64 v[18:19], v[18:19], 0.5
	v_fma_f64 v[24:25], -v[18:19], v[20:21], 0.5
	v_fmac_f64_e32 v[20:21], v[20:21], v[24:25]
	v_fma_f64 v[26:27], -v[20:21], v[20:21], v[10:11]
	v_fmac_f64_e32 v[18:19], v[18:19], v[24:25]
	v_fmac_f64_e32 v[20:21], v[26:27], v[18:19]
	v_fma_f64 v[24:25], -v[20:21], v[20:21], v[10:11]
	v_fmac_f64_e32 v[20:21], v[24:25], v[18:19]
	v_mov_b32_e32 v18, 0xffffff80
	v_cndmask_b32_e32 v18, 0, v18, vcc
	v_ldexp_f64 v[18:19], v[20:21], v18
	v_mov_b32_e32 v20, 0x260
	v_cmp_class_f64_e32 vcc, v[10:11], v20
	s_nop 1
	v_cndmask_b32_e32 v21, v19, v11, vcc
	v_cndmask_b32_e32 v20, v18, v10, vcc
	v_add_f64 v[10:11], v[20:21], v[20:21]
	v_div_scale_f64 v[18:19], s[22:23], v[10:11], v[10:11], v[12:13]
	v_rcp_f64_e32 v[24:25], v[18:19]
	s_nop 0
	v_fma_f64 v[26:27], -v[18:19], v[24:25], 1.0
	v_fmac_f64_e32 v[24:25], v[24:25], v[26:27]
	v_fma_f64 v[26:27], -v[18:19], v[24:25], 1.0
	v_fmac_f64_e32 v[24:25], v[24:25], v[26:27]
	v_div_scale_f64 v[26:27], vcc, v[12:13], v[10:11], v[12:13]
	v_mul_f64 v[28:29], v[26:27], v[24:25]
	v_fma_f64 v[18:19], -v[18:19], v[28:29], v[26:27]
	s_nop 1
	v_div_fmas_f64 v[18:19], v[18:19], v[24:25], v[28:29]
	v_div_fixup_f64 v[18:19], v[18:19], v[10:11], v[12:13]
                                        ; implicit-def: $vgpr24_vgpr25
                                        ; implicit-def: $vgpr10_vgpr11
	s_andn2_saveexec_b64 s[4:5], s[4:5]
	s_cbranch_execz .LBB162_258
	s_branch .LBB162_257
.LBB162_256:
	s_andn2_saveexec_b64 s[4:5], s[4:5]
	s_cbranch_execz .LBB162_258
.LBB162_257:
	v_add_f64 v[10:11], v[24:25], -v[10:11]
	s_mov_b32 s22, 0
	v_mul_f64 v[10:11], v[10:11], 0.5
	s_brev_b32 s23, 8
	v_mov_b32_e32 v18, 0x100
	v_cmp_gt_f64_e32 vcc, s[22:23], v[10:11]
	s_brev_b32 s7, -2
	s_nop 0
	v_cndmask_b32_e32 v18, 0, v18, vcc
	v_ldexp_f64 v[10:11], v[10:11], v18
	v_rsq_f64_e32 v[18:19], v[10:11]
	s_nop 0
	v_mul_f64 v[20:21], v[10:11], v[18:19]
	v_mul_f64 v[18:19], v[18:19], 0.5
	v_fma_f64 v[24:25], -v[18:19], v[20:21], 0.5
	v_fmac_f64_e32 v[20:21], v[20:21], v[24:25]
	v_fma_f64 v[26:27], -v[20:21], v[20:21], v[10:11]
	v_fmac_f64_e32 v[18:19], v[18:19], v[24:25]
	v_fmac_f64_e32 v[20:21], v[26:27], v[18:19]
	v_fma_f64 v[24:25], -v[20:21], v[20:21], v[10:11]
	v_fmac_f64_e32 v[20:21], v[24:25], v[18:19]
	v_mov_b32_e32 v18, 0xffffff80
	v_cndmask_b32_e32 v18, 0, v18, vcc
	v_ldexp_f64 v[18:19], v[20:21], v18
	v_mov_b32_e32 v20, 0x260
	v_cmp_class_f64_e32 vcc, v[10:11], v20
	v_and_b32_e32 v21, 0x7fffffff, v13
	v_mov_b32_e32 v20, v12
	v_cndmask_b32_e32 v19, v19, v11, vcc
	v_cndmask_b32_e32 v18, v18, v10, vcc
	v_add_f64 v[10:11], v[18:19], v[18:19]
	v_div_scale_f64 v[24:25], s[22:23], v[10:11], v[10:11], v[20:21]
	v_rcp_f64_e32 v[26:27], v[24:25]
	v_div_scale_f64 v[20:21], vcc, v[20:21], v[10:11], v[20:21]
	v_bfi_b32 v19, s7, v19, v13
	v_fma_f64 v[28:29], -v[24:25], v[26:27], 1.0
	v_fmac_f64_e32 v[26:27], v[26:27], v[28:29]
	v_fma_f64 v[28:29], -v[24:25], v[26:27], 1.0
	v_fmac_f64_e32 v[26:27], v[26:27], v[28:29]
	v_mul_f64 v[28:29], v[20:21], v[26:27]
	v_fma_f64 v[20:21], -v[24:25], v[28:29], v[20:21]
	v_div_fmas_f64 v[20:21], v[20:21], v[26:27], v[28:29]
	v_div_fixup_f64 v[20:21], v[20:21], v[10:11], |v[12:13]|
.LBB162_258:
	s_or_b64 exec, exec, s[4:5]
                                        ; implicit-def: $vgpr12_vgpr13
                                        ; implicit-def: $vgpr24_vgpr25
	s_and_saveexec_b64 s[4:5], s[2:3]
	s_xor_b64 s[2:3], exec, s[4:5]
	s_cbranch_execz .LBB162_260
; %bb.259:
	v_mul_f64 v[10:11], v[20:21], 0.5
	v_mul_f64 v[12:13], v[18:19], 0.5
	v_cndmask_b32_e64 v25, v21, v11, s[20:21]
	v_cndmask_b32_e64 v24, v20, v10, s[20:21]
	;; [unrolled: 1-line block ×4, first 2 shown]
                                        ; implicit-def: $vgpr20_vgpr21
                                        ; implicit-def: $vgpr18_vgpr19
	s_andn2_saveexec_b64 s[2:3], s[2:3]
	s_cbranch_execnz .LBB162_261
	s_branch .LBB162_262
.LBB162_260:
	s_andn2_saveexec_b64 s[2:3], s[2:3]
.LBB162_261:
	v_add_f64 v[24:25], v[20:21], v[20:21]
	v_add_f64 v[12:13], v[18:19], v[18:19]
.LBB162_262:
	s_or_b64 exec, exec, s[2:3]
.LBB162_263:
	s_andn2_saveexec_b64 s[2:3], s[18:19]
	s_cbranch_execz .LBB162_269
; %bb.264:
	v_add_f64 v[18:19], v[12:13], -v[12:13]
	v_cmp_lt_i64_e32 vcc, -1, v[10:11]
	s_brev_b32 s7, -2
	v_and_b32_e32 v25, 0x7fffffff, v19
	v_mov_b32_e32 v24, v18
	s_and_saveexec_b64 s[4:5], vcc
	s_xor_b64 s[4:5], exec, s[4:5]
; %bb.265:
	v_bfi_b32 v19, s7, v19, v13
	v_mov_b64_e32 v[12:13], v[18:19]
	v_mov_b64_e32 v[24:25], v[10:11]
; %bb.266:
	s_andn2_saveexec_b64 s[4:5], s[4:5]
; %bb.267:
	v_bfi_b32 v11, s7, v11, v13
	v_mov_b64_e32 v[12:13], v[10:11]
; %bb.268:
	s_or_b64 exec, exec, s[4:5]
.LBB162_269:
	s_or_b64 exec, exec, s[2:3]
.LBB162_270:
	s_andn2_saveexec_b64 s[2:3], s[16:17]
	s_cbranch_execz .LBB162_272
; %bb.271:
	v_add_f64 v[12:13], v[12:13], -v[12:13]
	v_div_scale_f64 v[18:19], vcc, v[12:13], v[12:13], v[12:13]
	v_rcp_f64_e32 v[20:21], v[18:19]
	s_nop 0
	v_fma_f64 v[24:25], -v[18:19], v[20:21], 1.0
	v_fmac_f64_e32 v[20:21], v[20:21], v[24:25]
	v_fma_f64 v[24:25], -v[18:19], v[20:21], 1.0
	v_fmac_f64_e32 v[20:21], v[20:21], v[24:25]
	v_mul_f64 v[24:25], v[18:19], v[20:21]
	v_fma_f64 v[18:19], -v[18:19], v[24:25], v[18:19]
	v_div_fmas_f64 v[18:19], v[18:19], v[20:21], v[24:25]
	v_div_fixup_f64 v[12:13], v[18:19], v[12:13], v[12:13]
	v_mov_b64_e32 v[24:25], v[10:11]
.LBB162_272:
	s_or_b64 exec, exec, s[2:3]
.LBB162_273:
	s_or_b64 exec, exec, s[14:15]
.LBB162_274:
	s_or_b64 exec, exec, s[12:13]
	v_xor_b32_e32 v10, 0x80000000, v25
	v_cmp_gt_f64_e32 vcc, 0, v[24:25]
	v_mov_b32_e32 v26, v24
                                        ; implicit-def: $vgpr18_vgpr19
	s_nop 0
	v_cndmask_b32_e32 v27, v25, v10, vcc
	v_xor_b32_e32 v10, 0x80000000, v13
	v_cmp_gt_f64_e32 vcc, 0, v[12:13]
	s_nop 1
	v_cndmask_b32_e32 v11, v13, v10, vcc
	v_mov_b32_e32 v10, v12
	v_cmp_ge_f64_e32 vcc, v[26:27], v[10:11]
	s_and_saveexec_b64 s[2:3], vcc
	s_xor_b64 s[4:5], exec, s[2:3]
	s_cbranch_execz .LBB162_280
; %bb.275:
	v_cmp_neq_f64_e32 vcc, 0, v[24:25]
	v_cmp_neq_f64_e64 s[2:3], 0, v[12:13]
	s_or_b64 s[2:3], vcc, s[2:3]
                                        ; implicit-def: $vgpr18_vgpr19
	s_and_saveexec_b64 s[12:13], s[2:3]
	s_xor_b64 s[2:3], exec, s[12:13]
	s_cbranch_execz .LBB162_277
; %bb.276:
	v_div_scale_f64 v[10:11], s[12:13], v[24:25], v[24:25], v[12:13]
	v_rcp_f64_e32 v[18:19], v[10:11]
	v_div_scale_f64 v[20:21], vcc, v[12:13], v[24:25], v[12:13]
	v_fma_f64 v[26:27], -v[10:11], v[18:19], 1.0
	v_fmac_f64_e32 v[18:19], v[18:19], v[26:27]
	v_fma_f64 v[26:27], -v[10:11], v[18:19], 1.0
	v_fmac_f64_e32 v[18:19], v[18:19], v[26:27]
	v_mul_f64 v[26:27], v[20:21], v[18:19]
	v_fma_f64 v[10:11], -v[10:11], v[26:27], v[20:21]
	v_div_fmas_f64 v[10:11], v[10:11], v[18:19], v[26:27]
	v_div_fixup_f64 v[10:11], v[10:11], v[24:25], v[12:13]
	v_fmac_f64_e32 v[24:25], v[12:13], v[10:11]
	v_div_scale_f64 v[12:13], s[12:13], v[24:25], v[24:25], 1.0
	v_rcp_f64_e32 v[18:19], v[12:13]
	s_nop 0
	v_fma_f64 v[20:21], -v[12:13], v[18:19], 1.0
	v_fmac_f64_e32 v[18:19], v[18:19], v[20:21]
	v_fma_f64 v[20:21], -v[12:13], v[18:19], 1.0
	v_fmac_f64_e32 v[18:19], v[18:19], v[20:21]
	v_div_scale_f64 v[20:21], vcc, 1.0, v[24:25], 1.0
	v_mul_f64 v[26:27], v[20:21], v[18:19]
	v_fma_f64 v[12:13], -v[12:13], v[26:27], v[20:21]
	s_nop 1
	v_div_fmas_f64 v[12:13], v[12:13], v[18:19], v[26:27]
	v_div_fixup_f64 v[12:13], v[12:13], v[24:25], 1.0
	v_fma_f64 v[18:19], v[10:11], 0, 1.0
	v_add_f64 v[10:11], -v[10:11], 0
	v_mul_f64 v[18:19], v[18:19], v[12:13]
	v_mul_f64 v[20:21], v[10:11], v[12:13]
                                        ; implicit-def: $vgpr26_vgpr27
                                        ; implicit-def: $vgpr10_vgpr11
.LBB162_277:
	s_andn2_saveexec_b64 s[2:3], s[2:3]
	s_cbranch_execz .LBB162_279
; %bb.278:
	v_div_scale_f64 v[12:13], s[12:13], v[26:27], v[26:27], 1.0
	v_rcp_f64_e32 v[18:19], v[12:13]
	v_div_scale_f64 v[20:21], vcc, 1.0, v[26:27], 1.0
	v_fma_f64 v[24:25], -v[12:13], v[18:19], 1.0
	v_fmac_f64_e32 v[18:19], v[18:19], v[24:25]
	v_fma_f64 v[24:25], -v[12:13], v[18:19], 1.0
	v_fmac_f64_e32 v[18:19], v[18:19], v[24:25]
	v_mul_f64 v[24:25], v[20:21], v[18:19]
	v_fma_f64 v[12:13], -v[12:13], v[24:25], v[20:21]
	v_div_scale_f64 v[20:21], s[12:13], v[10:11], v[10:11], 0
	v_rcp_f64_e32 v[28:29], v[20:21]
	v_div_fmas_f64 v[12:13], v[12:13], v[18:19], v[24:25]
	v_div_fixup_f64 v[18:19], v[12:13], v[26:27], 1.0
	v_fma_f64 v[12:13], -v[20:21], v[28:29], 1.0
	v_fmac_f64_e32 v[28:29], v[28:29], v[12:13]
	v_fma_f64 v[12:13], -v[20:21], v[28:29], 1.0
	v_fmac_f64_e32 v[28:29], v[28:29], v[12:13]
	v_div_scale_f64 v[12:13], vcc, 0, v[10:11], 0
	v_mul_f64 v[24:25], v[12:13], v[28:29]
	v_fma_f64 v[12:13], -v[20:21], v[24:25], v[12:13]
	s_nop 1
	v_div_fmas_f64 v[12:13], v[12:13], v[28:29], v[24:25]
	v_div_fixup_f64 v[20:21], v[12:13], v[10:11], 0
.LBB162_279:
	s_or_b64 exec, exec, s[2:3]
                                        ; implicit-def: $vgpr12_vgpr13
                                        ; implicit-def: $vgpr24_vgpr25
.LBB162_280:
	s_andn2_saveexec_b64 s[2:3], s[4:5]
	s_cbranch_execz .LBB162_282
; %bb.281:
	v_div_scale_f64 v[10:11], s[4:5], v[12:13], v[12:13], v[24:25]
	v_rcp_f64_e32 v[18:19], v[10:11]
	v_div_scale_f64 v[20:21], vcc, v[24:25], v[12:13], v[24:25]
	v_fma_f64 v[26:27], -v[10:11], v[18:19], 1.0
	v_fmac_f64_e32 v[18:19], v[18:19], v[26:27]
	v_fma_f64 v[26:27], -v[10:11], v[18:19], 1.0
	v_fmac_f64_e32 v[18:19], v[18:19], v[26:27]
	v_mul_f64 v[26:27], v[20:21], v[18:19]
	v_fma_f64 v[10:11], -v[10:11], v[26:27], v[20:21]
	v_div_fmas_f64 v[10:11], v[10:11], v[18:19], v[26:27]
	v_div_fixup_f64 v[10:11], v[10:11], v[12:13], v[24:25]
	v_fmac_f64_e32 v[12:13], v[24:25], v[10:11]
	v_div_scale_f64 v[18:19], s[4:5], v[12:13], v[12:13], 1.0
	v_rcp_f64_e32 v[20:21], v[18:19]
	s_nop 0
	v_fma_f64 v[24:25], -v[18:19], v[20:21], 1.0
	v_fmac_f64_e32 v[20:21], v[20:21], v[24:25]
	v_fma_f64 v[24:25], -v[18:19], v[20:21], 1.0
	v_fmac_f64_e32 v[20:21], v[20:21], v[24:25]
	v_div_scale_f64 v[24:25], vcc, 1.0, v[12:13], 1.0
	v_mul_f64 v[26:27], v[24:25], v[20:21]
	v_fma_f64 v[18:19], -v[18:19], v[26:27], v[24:25]
	s_nop 1
	v_div_fmas_f64 v[18:19], v[18:19], v[20:21], v[26:27]
	v_div_fixup_f64 v[12:13], v[18:19], v[12:13], 1.0
	v_add_f64 v[18:19], v[10:11], 0
	v_fma_f64 v[10:11], v[10:11], 0, -1.0
	v_mul_f64 v[18:19], v[18:19], v[12:13]
	v_mul_f64 v[20:21], v[10:11], v[12:13]
.LBB162_282:
	s_or_b64 exec, exec, s[2:3]
.LBB162_283:
	s_or_b64 exec, exec, s[10:11]
	v_or_b32_e32 v10, 0x300, v0
	v_cmp_gt_i32_e32 vcc, s24, v10
	v_mov_b64_e32 v[10:11], 0
	v_mov_b64_e32 v[12:13], 0
	s_and_saveexec_b64 s[10:11], vcc
	s_cbranch_execz .LBB162_296
; %bb.284:
	v_cmp_neq_f64_e32 vcc, 0, v[2:3]
	v_cmp_neq_f64_e64 s[2:3], 0, v[4:5]
	v_mov_b64_e32 v[24:25], 0
	s_or_b64 s[2:3], vcc, s[2:3]
	s_and_saveexec_b64 s[12:13], s[2:3]
	s_cbranch_execz .LBB162_318
; %bb.285:
	v_mov_b32_e32 v24, 0
	v_mov_b32_e32 v25, 0x7ff00000
	v_cmp_neq_f64_e64 s[2:3], |v[4:5]|, v[24:25]
	s_and_saveexec_b64 s[14:15], s[2:3]
	s_cbranch_execz .LBB162_317
; %bb.286:
	v_cmp_o_f64_e32 vcc, v[2:3], v[2:3]
                                        ; implicit-def: $vgpr24_vgpr25
	s_and_saveexec_b64 s[2:3], vcc
	s_xor_b64 s[16:17], exec, s[2:3]
	s_cbranch_execz .LBB162_314
; %bb.287:
	s_mov_b32 s2, 0
	s_mov_b32 s3, 0x7ff00000
	v_cmp_neq_f64_e64 s[2:3], |v[2:3]|, s[2:3]
                                        ; implicit-def: $vgpr24_vgpr25
	s_and_saveexec_b64 s[4:5], s[2:3]
	s_xor_b64 s[18:19], exec, s[4:5]
	s_cbranch_execz .LBB162_307
; %bb.288:
	v_max_f64 v[10:11], |v[4:5]|, |v[4:5]|
	v_max_f64 v[12:13], |v[2:3]|, |v[2:3]|
	s_mov_b32 s2, 0x99fcef32
	v_max_f64 v[10:11], v[12:13], v[10:11]
	s_mov_b32 s3, 0x7fda8279
	v_cmp_nle_f64_e64 s[2:3], s[2:3], v[10:11]
                                        ; implicit-def: $sgpr20_sgpr21
	s_and_saveexec_b64 s[4:5], s[2:3]
	s_xor_b64 s[4:5], exec, s[4:5]
	s_cbranch_execz .LBB162_292
; %bb.289:
	s_mov_b32 s20, 0
	s_mov_b32 s21, 0x200000
	v_cmp_le_f64_e64 s[22:23], |v[2:3]|, s[20:21]
	v_cmp_le_f64_e64 s[20:21], |v[4:5]|, s[20:21]
	s_and_b64 s[26:27], s[22:23], s[20:21]
	s_mov_b64 s[20:21], 0
	s_and_saveexec_b64 s[22:23], s[26:27]
; %bb.290:
	s_mov_b64 s[20:21], exec
	v_mul_f64 v[2:3], v[2:3], 4.0
	v_mul_f64 v[4:5], v[4:5], 4.0
; %bb.291:
	s_or_b64 exec, exec, s[22:23]
.LBB162_292:
	s_andn2_saveexec_b64 s[4:5], s[4:5]
; %bb.293:
	v_ldexp_f64 v[2:3], v[2:3], -2
	v_ldexp_f64 v[4:5], v[4:5], -2
	s_andn2_b64 s[20:21], s[20:21], exec
; %bb.294:
	s_or_b64 exec, exec, s[4:5]
	v_max_f64 v[10:11], |v[4:5]|, |v[4:5]|
	v_max_f64 v[12:13], |v[2:3]|, |v[2:3]|
	v_max_f64 v[10:11], v[12:13], v[10:11]
	v_frexp_exp_i32_f64_e32 v23, v[10:11]
	v_sub_u32_e32 v12, 0, v23
	v_ldexp_f64 v[10:11], |v[2:3]|, v12
	v_ldexp_f64 v[12:13], |v[4:5]|, v12
	v_mul_f64 v[12:13], v[12:13], v[12:13]
	v_fmac_f64_e32 v[12:13], v[10:11], v[10:11]
	v_rsq_f64_e32 v[10:11], v[12:13]
	v_cmp_eq_f64_e64 s[4:5], 0, v[12:13]
	s_movk_i32 s7, 0x204
	v_cmp_class_f64_e64 s[22:23], v[4:5], s7
	v_mul_f64 v[24:25], v[12:13], v[10:11]
	v_mul_f64 v[10:11], v[10:11], 0.5
	v_fma_f64 v[26:27], -v[10:11], v[24:25], 0.5
	v_fmac_f64_e32 v[24:25], v[24:25], v[26:27]
	v_fmac_f64_e32 v[10:11], v[10:11], v[26:27]
	v_fma_f64 v[26:27], -v[24:25], v[24:25], v[12:13]
	v_fmac_f64_e32 v[24:25], v[26:27], v[10:11]
	v_cndmask_b32_e64 v11, v25, v13, s[4:5]
	v_cndmask_b32_e64 v10, v24, v12, s[4:5]
	v_ldexp_f64 v[10:11], v[10:11], v23
	v_cmp_o_f64_e64 s[4:5], v[4:5], v[4:5]
	v_mov_b32_e32 v12, 0x7ff80000
	v_cmp_le_f64_e32 vcc, 0, v[2:3]
	v_cndmask_b32_e64 v10, 0, v10, s[4:5]
	v_cndmask_b32_e64 v11, v12, v11, s[4:5]
	v_cmp_class_f64_e64 s[4:5], v[2:3], s7
	v_mov_b32_e32 v12, 0x7ff00000
	s_or_b64 s[4:5], s[22:23], s[4:5]
	v_cndmask_b32_e64 v25, v11, v12, s[4:5]
	v_cndmask_b32_e64 v24, v10, 0, s[4:5]
                                        ; implicit-def: $vgpr10_vgpr11
                                        ; implicit-def: $vgpr12_vgpr13
	s_and_saveexec_b64 s[4:5], vcc
	s_xor_b64 s[4:5], exec, s[4:5]
	s_cbranch_execz .LBB162_300
; %bb.295:
	v_add_f64 v[2:3], v[2:3], v[24:25]
	s_mov_b32 s22, 0
	v_mul_f64 v[2:3], v[2:3], 0.5
	s_brev_b32 s23, 8
	v_mov_b32_e32 v10, 0x100
	v_cmp_gt_f64_e32 vcc, s[22:23], v[2:3]
	s_nop 1
	v_cndmask_b32_e32 v10, 0, v10, vcc
	v_ldexp_f64 v[2:3], v[2:3], v10
	v_rsq_f64_e32 v[10:11], v[2:3]
	s_nop 0
	v_mul_f64 v[12:13], v[2:3], v[10:11]
	v_mul_f64 v[10:11], v[10:11], 0.5
	v_fma_f64 v[24:25], -v[10:11], v[12:13], 0.5
	v_fmac_f64_e32 v[12:13], v[12:13], v[24:25]
	v_fma_f64 v[26:27], -v[12:13], v[12:13], v[2:3]
	v_fmac_f64_e32 v[10:11], v[10:11], v[24:25]
	v_fmac_f64_e32 v[12:13], v[26:27], v[10:11]
	v_fma_f64 v[24:25], -v[12:13], v[12:13], v[2:3]
	v_fmac_f64_e32 v[12:13], v[24:25], v[10:11]
	v_mov_b32_e32 v10, 0xffffff80
	v_cndmask_b32_e32 v10, 0, v10, vcc
	v_ldexp_f64 v[10:11], v[12:13], v10
	v_mov_b32_e32 v12, 0x260
	v_cmp_class_f64_e32 vcc, v[2:3], v12
	s_nop 1
	v_cndmask_b32_e32 v13, v11, v3, vcc
	v_cndmask_b32_e32 v12, v10, v2, vcc
	v_add_f64 v[2:3], v[12:13], v[12:13]
	v_div_scale_f64 v[10:11], s[22:23], v[2:3], v[2:3], v[4:5]
	v_rcp_f64_e32 v[24:25], v[10:11]
	s_nop 0
	v_fma_f64 v[26:27], -v[10:11], v[24:25], 1.0
	v_fmac_f64_e32 v[24:25], v[24:25], v[26:27]
	v_fma_f64 v[26:27], -v[10:11], v[24:25], 1.0
	v_fmac_f64_e32 v[24:25], v[24:25], v[26:27]
	v_div_scale_f64 v[26:27], vcc, v[4:5], v[2:3], v[4:5]
	v_mul_f64 v[28:29], v[26:27], v[24:25]
	v_fma_f64 v[10:11], -v[10:11], v[28:29], v[26:27]
	s_nop 1
	v_div_fmas_f64 v[10:11], v[10:11], v[24:25], v[28:29]
	v_div_fixup_f64 v[10:11], v[10:11], v[2:3], v[4:5]
                                        ; implicit-def: $vgpr24_vgpr25
                                        ; implicit-def: $vgpr2_vgpr3
	s_andn2_saveexec_b64 s[4:5], s[4:5]
	s_cbranch_execz .LBB162_302
	s_branch .LBB162_301
.LBB162_296:
	s_or_b64 exec, exec, s[10:11]
	s_and_saveexec_b64 s[2:3], s[0:1]
	s_xor_b64 s[0:1], exec, s[2:3]
	s_cbranch_execz .LBB162_327
.LBB162_297:
	v_mov_b32_e32 v23, 0
	v_lshl_add_u64 v[2:3], v[22:23], 4, s[8:9]
	v_mov_b32_e32 v0, v1
	global_store_dwordx4 v[2:3], v[6:9], off
	s_or_b64 exec, exec, s[0:1]
	v_cmp_gt_i32_e32 vcc, s24, v0
	s_and_saveexec_b64 s[0:1], vcc
	s_cbranch_execnz .LBB162_328
.LBB162_298:
	s_or_b64 exec, exec, s[0:1]
	v_cmp_gt_i32_e32 vcc, s24, v0
	s_and_saveexec_b64 s[0:1], vcc
	s_cbranch_execz .LBB162_329
.LBB162_299:
	v_add_u32_e32 v2, s6, v0
	v_mov_b32_e32 v3, 0
	v_lshl_add_u64 v[2:3], v[2:3], 4, s[8:9]
	v_add_u32_e32 v0, 0x100, v0
	global_store_dwordx4 v[2:3], v[18:21], off
	s_or_b64 exec, exec, s[0:1]
	v_cmp_gt_i32_e32 vcc, s24, v0
	s_and_saveexec_b64 s[0:1], vcc
	s_cbranch_execnz .LBB162_330
	s_branch .LBB162_331
.LBB162_300:
	s_andn2_saveexec_b64 s[4:5], s[4:5]
	s_cbranch_execz .LBB162_302
.LBB162_301:
	v_add_f64 v[2:3], v[24:25], -v[2:3]
	s_mov_b32 s22, 0
	v_mul_f64 v[2:3], v[2:3], 0.5
	s_brev_b32 s23, 8
	v_mov_b32_e32 v10, 0x100
	v_cmp_gt_f64_e32 vcc, s[22:23], v[2:3]
	s_brev_b32 s7, -2
	s_nop 0
	v_cndmask_b32_e32 v10, 0, v10, vcc
	v_ldexp_f64 v[2:3], v[2:3], v10
	v_rsq_f64_e32 v[10:11], v[2:3]
	s_nop 0
	v_mul_f64 v[12:13], v[2:3], v[10:11]
	v_mul_f64 v[10:11], v[10:11], 0.5
	v_fma_f64 v[24:25], -v[10:11], v[12:13], 0.5
	v_fmac_f64_e32 v[12:13], v[12:13], v[24:25]
	v_fma_f64 v[26:27], -v[12:13], v[12:13], v[2:3]
	v_fmac_f64_e32 v[10:11], v[10:11], v[24:25]
	v_fmac_f64_e32 v[12:13], v[26:27], v[10:11]
	v_fma_f64 v[24:25], -v[12:13], v[12:13], v[2:3]
	v_fmac_f64_e32 v[12:13], v[24:25], v[10:11]
	v_mov_b32_e32 v10, 0xffffff80
	v_cndmask_b32_e32 v10, 0, v10, vcc
	v_ldexp_f64 v[10:11], v[12:13], v10
	v_mov_b32_e32 v12, 0x260
	v_cmp_class_f64_e32 vcc, v[2:3], v12
	v_and_b32_e32 v13, 0x7fffffff, v5
	v_mov_b32_e32 v12, v4
	v_cndmask_b32_e32 v11, v11, v3, vcc
	v_cndmask_b32_e32 v10, v10, v2, vcc
	v_add_f64 v[2:3], v[10:11], v[10:11]
	v_div_scale_f64 v[24:25], s[22:23], v[2:3], v[2:3], v[12:13]
	v_rcp_f64_e32 v[26:27], v[24:25]
	v_div_scale_f64 v[12:13], vcc, v[12:13], v[2:3], v[12:13]
	v_bfi_b32 v11, s7, v11, v5
	v_fma_f64 v[28:29], -v[24:25], v[26:27], 1.0
	v_fmac_f64_e32 v[26:27], v[26:27], v[28:29]
	v_fma_f64 v[28:29], -v[24:25], v[26:27], 1.0
	v_fmac_f64_e32 v[26:27], v[26:27], v[28:29]
	v_mul_f64 v[28:29], v[12:13], v[26:27]
	v_fma_f64 v[12:13], -v[24:25], v[28:29], v[12:13]
	v_div_fmas_f64 v[12:13], v[12:13], v[26:27], v[28:29]
	v_div_fixup_f64 v[12:13], v[12:13], v[2:3], |v[4:5]|
.LBB162_302:
	s_or_b64 exec, exec, s[4:5]
                                        ; implicit-def: $vgpr4_vgpr5
                                        ; implicit-def: $vgpr24_vgpr25
	s_and_saveexec_b64 s[4:5], s[2:3]
	s_xor_b64 s[2:3], exec, s[4:5]
	s_cbranch_execz .LBB162_304
; %bb.303:
	v_mul_f64 v[2:3], v[12:13], 0.5
	v_mul_f64 v[4:5], v[10:11], 0.5
	v_cndmask_b32_e64 v25, v13, v3, s[20:21]
	v_cndmask_b32_e64 v24, v12, v2, s[20:21]
	;; [unrolled: 1-line block ×4, first 2 shown]
                                        ; implicit-def: $vgpr12_vgpr13
                                        ; implicit-def: $vgpr10_vgpr11
	s_andn2_saveexec_b64 s[2:3], s[2:3]
	s_cbranch_execnz .LBB162_305
	s_branch .LBB162_306
.LBB162_304:
	s_andn2_saveexec_b64 s[2:3], s[2:3]
.LBB162_305:
	v_add_f64 v[24:25], v[12:13], v[12:13]
	v_add_f64 v[4:5], v[10:11], v[10:11]
.LBB162_306:
	s_or_b64 exec, exec, s[2:3]
.LBB162_307:
	s_andn2_saveexec_b64 s[2:3], s[18:19]
	s_cbranch_execz .LBB162_313
; %bb.308:
	v_add_f64 v[10:11], v[4:5], -v[4:5]
	v_cmp_lt_i64_e32 vcc, -1, v[2:3]
	s_brev_b32 s7, -2
	v_and_b32_e32 v25, 0x7fffffff, v11
	v_mov_b32_e32 v24, v10
	s_and_saveexec_b64 s[4:5], vcc
	s_xor_b64 s[4:5], exec, s[4:5]
; %bb.309:
	v_bfi_b32 v11, s7, v11, v5
	v_mov_b64_e32 v[4:5], v[10:11]
	v_mov_b64_e32 v[24:25], v[2:3]
; %bb.310:
	s_andn2_saveexec_b64 s[4:5], s[4:5]
; %bb.311:
	v_bfi_b32 v3, s7, v3, v5
	v_mov_b64_e32 v[4:5], v[2:3]
; %bb.312:
	s_or_b64 exec, exec, s[4:5]
.LBB162_313:
	s_or_b64 exec, exec, s[2:3]
.LBB162_314:
	s_andn2_saveexec_b64 s[2:3], s[16:17]
	s_cbranch_execz .LBB162_316
; %bb.315:
	v_add_f64 v[4:5], v[4:5], -v[4:5]
	v_div_scale_f64 v[10:11], vcc, v[4:5], v[4:5], v[4:5]
	v_rcp_f64_e32 v[12:13], v[10:11]
	s_nop 0
	v_fma_f64 v[24:25], -v[10:11], v[12:13], 1.0
	v_fmac_f64_e32 v[12:13], v[12:13], v[24:25]
	v_fma_f64 v[24:25], -v[10:11], v[12:13], 1.0
	v_fmac_f64_e32 v[12:13], v[12:13], v[24:25]
	v_mul_f64 v[24:25], v[10:11], v[12:13]
	v_fma_f64 v[10:11], -v[10:11], v[24:25], v[10:11]
	v_div_fmas_f64 v[10:11], v[10:11], v[12:13], v[24:25]
	v_div_fixup_f64 v[4:5], v[10:11], v[4:5], v[4:5]
	v_mov_b64_e32 v[24:25], v[2:3]
.LBB162_316:
	s_or_b64 exec, exec, s[2:3]
.LBB162_317:
	s_or_b64 exec, exec, s[14:15]
.LBB162_318:
	s_or_b64 exec, exec, s[12:13]
	v_xor_b32_e32 v2, 0x80000000, v25
	v_cmp_gt_f64_e32 vcc, 0, v[24:25]
	v_mov_b32_e32 v26, v24
                                        ; implicit-def: $vgpr10_vgpr11
	s_nop 0
	v_cndmask_b32_e32 v27, v25, v2, vcc
	v_xor_b32_e32 v2, 0x80000000, v5
	v_cmp_gt_f64_e32 vcc, 0, v[4:5]
	s_nop 1
	v_cndmask_b32_e32 v3, v5, v2, vcc
	v_mov_b32_e32 v2, v4
	v_cmp_ge_f64_e32 vcc, v[26:27], v[2:3]
	s_and_saveexec_b64 s[2:3], vcc
	s_xor_b64 s[4:5], exec, s[2:3]
	s_cbranch_execz .LBB162_324
; %bb.319:
	v_cmp_neq_f64_e32 vcc, 0, v[24:25]
	v_cmp_neq_f64_e64 s[2:3], 0, v[4:5]
	s_or_b64 s[2:3], vcc, s[2:3]
                                        ; implicit-def: $vgpr10_vgpr11
	s_and_saveexec_b64 s[12:13], s[2:3]
	s_xor_b64 s[2:3], exec, s[12:13]
	s_cbranch_execz .LBB162_321
; %bb.320:
	v_div_scale_f64 v[2:3], s[12:13], v[24:25], v[24:25], v[4:5]
	v_rcp_f64_e32 v[10:11], v[2:3]
	v_div_scale_f64 v[12:13], vcc, v[4:5], v[24:25], v[4:5]
	v_fma_f64 v[26:27], -v[2:3], v[10:11], 1.0
	v_fmac_f64_e32 v[10:11], v[10:11], v[26:27]
	v_fma_f64 v[26:27], -v[2:3], v[10:11], 1.0
	v_fmac_f64_e32 v[10:11], v[10:11], v[26:27]
	v_mul_f64 v[26:27], v[12:13], v[10:11]
	v_fma_f64 v[2:3], -v[2:3], v[26:27], v[12:13]
	v_div_fmas_f64 v[2:3], v[2:3], v[10:11], v[26:27]
	v_div_fixup_f64 v[2:3], v[2:3], v[24:25], v[4:5]
	v_fmac_f64_e32 v[24:25], v[4:5], v[2:3]
	v_div_scale_f64 v[4:5], s[12:13], v[24:25], v[24:25], 1.0
	v_rcp_f64_e32 v[10:11], v[4:5]
	s_nop 0
	v_fma_f64 v[12:13], -v[4:5], v[10:11], 1.0
	v_fmac_f64_e32 v[10:11], v[10:11], v[12:13]
	v_fma_f64 v[12:13], -v[4:5], v[10:11], 1.0
	v_fmac_f64_e32 v[10:11], v[10:11], v[12:13]
	v_div_scale_f64 v[12:13], vcc, 1.0, v[24:25], 1.0
	v_mul_f64 v[26:27], v[12:13], v[10:11]
	v_fma_f64 v[4:5], -v[4:5], v[26:27], v[12:13]
	s_nop 1
	v_div_fmas_f64 v[4:5], v[4:5], v[10:11], v[26:27]
	v_div_fixup_f64 v[4:5], v[4:5], v[24:25], 1.0
	v_fma_f64 v[10:11], v[2:3], 0, 1.0
	v_add_f64 v[2:3], -v[2:3], 0
	v_mul_f64 v[10:11], v[10:11], v[4:5]
	v_mul_f64 v[12:13], v[2:3], v[4:5]
                                        ; implicit-def: $vgpr26_vgpr27
                                        ; implicit-def: $vgpr2_vgpr3
.LBB162_321:
	s_andn2_saveexec_b64 s[2:3], s[2:3]
	s_cbranch_execz .LBB162_323
; %bb.322:
	v_div_scale_f64 v[4:5], s[12:13], v[26:27], v[26:27], 1.0
	v_rcp_f64_e32 v[10:11], v[4:5]
	v_div_scale_f64 v[12:13], vcc, 1.0, v[26:27], 1.0
	v_fma_f64 v[24:25], -v[4:5], v[10:11], 1.0
	v_fmac_f64_e32 v[10:11], v[10:11], v[24:25]
	v_fma_f64 v[24:25], -v[4:5], v[10:11], 1.0
	v_fmac_f64_e32 v[10:11], v[10:11], v[24:25]
	v_mul_f64 v[24:25], v[12:13], v[10:11]
	v_fma_f64 v[4:5], -v[4:5], v[24:25], v[12:13]
	v_div_scale_f64 v[12:13], s[12:13], v[2:3], v[2:3], 0
	v_rcp_f64_e32 v[28:29], v[12:13]
	v_div_fmas_f64 v[4:5], v[4:5], v[10:11], v[24:25]
	v_div_fixup_f64 v[10:11], v[4:5], v[26:27], 1.0
	v_fma_f64 v[4:5], -v[12:13], v[28:29], 1.0
	v_fmac_f64_e32 v[28:29], v[28:29], v[4:5]
	v_fma_f64 v[4:5], -v[12:13], v[28:29], 1.0
	v_fmac_f64_e32 v[28:29], v[28:29], v[4:5]
	v_div_scale_f64 v[4:5], vcc, 0, v[2:3], 0
	v_mul_f64 v[24:25], v[4:5], v[28:29]
	v_fma_f64 v[4:5], -v[12:13], v[24:25], v[4:5]
	s_nop 1
	v_div_fmas_f64 v[4:5], v[4:5], v[28:29], v[24:25]
	v_div_fixup_f64 v[12:13], v[4:5], v[2:3], 0
.LBB162_323:
	s_or_b64 exec, exec, s[2:3]
                                        ; implicit-def: $vgpr4_vgpr5
                                        ; implicit-def: $vgpr24_vgpr25
.LBB162_324:
	s_andn2_saveexec_b64 s[2:3], s[4:5]
	s_cbranch_execz .LBB162_326
; %bb.325:
	v_div_scale_f64 v[2:3], s[4:5], v[4:5], v[4:5], v[24:25]
	v_rcp_f64_e32 v[10:11], v[2:3]
	v_div_scale_f64 v[12:13], vcc, v[24:25], v[4:5], v[24:25]
	v_fma_f64 v[26:27], -v[2:3], v[10:11], 1.0
	v_fmac_f64_e32 v[10:11], v[10:11], v[26:27]
	v_fma_f64 v[26:27], -v[2:3], v[10:11], 1.0
	v_fmac_f64_e32 v[10:11], v[10:11], v[26:27]
	v_mul_f64 v[26:27], v[12:13], v[10:11]
	v_fma_f64 v[2:3], -v[2:3], v[26:27], v[12:13]
	v_div_fmas_f64 v[2:3], v[2:3], v[10:11], v[26:27]
	v_div_fixup_f64 v[2:3], v[2:3], v[4:5], v[24:25]
	v_fmac_f64_e32 v[4:5], v[24:25], v[2:3]
	v_div_scale_f64 v[10:11], s[4:5], v[4:5], v[4:5], 1.0
	v_rcp_f64_e32 v[12:13], v[10:11]
	s_nop 0
	v_fma_f64 v[24:25], -v[10:11], v[12:13], 1.0
	v_fmac_f64_e32 v[12:13], v[12:13], v[24:25]
	v_fma_f64 v[24:25], -v[10:11], v[12:13], 1.0
	v_fmac_f64_e32 v[12:13], v[12:13], v[24:25]
	v_div_scale_f64 v[24:25], vcc, 1.0, v[4:5], 1.0
	v_mul_f64 v[26:27], v[24:25], v[12:13]
	v_fma_f64 v[10:11], -v[10:11], v[26:27], v[24:25]
	s_nop 1
	v_div_fmas_f64 v[10:11], v[10:11], v[12:13], v[26:27]
	v_div_fixup_f64 v[4:5], v[10:11], v[4:5], 1.0
	v_add_f64 v[10:11], v[2:3], 0
	v_fma_f64 v[2:3], v[2:3], 0, -1.0
	v_mul_f64 v[10:11], v[10:11], v[4:5]
	v_mul_f64 v[12:13], v[2:3], v[4:5]
.LBB162_326:
	s_or_b64 exec, exec, s[2:3]
	s_or_b64 exec, exec, s[10:11]
	s_and_saveexec_b64 s[2:3], s[0:1]
	s_xor_b64 s[0:1], exec, s[2:3]
	s_cbranch_execnz .LBB162_297
.LBB162_327:
	s_or_b64 exec, exec, s[0:1]
	v_cmp_gt_i32_e32 vcc, s24, v0
	s_and_saveexec_b64 s[0:1], vcc
	s_cbranch_execz .LBB162_298
.LBB162_328:
	v_add_u32_e32 v2, s6, v0
	v_mov_b32_e32 v3, 0
	v_lshl_add_u64 v[2:3], v[2:3], 4, s[8:9]
	v_add_u32_e32 v0, 0x100, v0
	global_store_dwordx4 v[2:3], v[14:17], off
	s_or_b64 exec, exec, s[0:1]
	v_cmp_gt_i32_e32 vcc, s24, v0
	s_and_saveexec_b64 s[0:1], vcc
	s_cbranch_execnz .LBB162_299
.LBB162_329:
	s_or_b64 exec, exec, s[0:1]
	v_cmp_gt_i32_e32 vcc, s24, v0
	s_and_saveexec_b64 s[0:1], vcc
	s_cbranch_execz .LBB162_331
.LBB162_330:
	v_add_u32_e32 v0, s6, v0
	v_mov_b32_e32 v1, 0
	v_lshl_add_u64 v[0:1], v[0:1], 4, s[8:9]
	global_store_dwordx4 v[0:1], v[10:13], off
.LBB162_331:
	s_endpgm
	.section	.rodata,"a",@progbits
	.p2align	6, 0x0
	.amdhsa_kernel _ZN2at6native29vectorized_elementwise_kernelILi16EZZZNS0_17rsqrt_kernel_cudaERNS_18TensorIteratorBaseEENKUlvE_clEvENKUlvE_clEvEUlN3c107complexIdEEE_St5arrayIPcLm2EEEEviT0_T1_
		.amdhsa_group_segment_fixed_size 0
		.amdhsa_private_segment_fixed_size 0
		.amdhsa_kernarg_size 24
		.amdhsa_user_sgpr_count 2
		.amdhsa_user_sgpr_dispatch_ptr 0
		.amdhsa_user_sgpr_queue_ptr 0
		.amdhsa_user_sgpr_kernarg_segment_ptr 1
		.amdhsa_user_sgpr_dispatch_id 0
		.amdhsa_user_sgpr_kernarg_preload_length 0
		.amdhsa_user_sgpr_kernarg_preload_offset 0
		.amdhsa_user_sgpr_private_segment_size 0
		.amdhsa_uses_dynamic_stack 0
		.amdhsa_enable_private_segment 0
		.amdhsa_system_sgpr_workgroup_id_x 1
		.amdhsa_system_sgpr_workgroup_id_y 0
		.amdhsa_system_sgpr_workgroup_id_z 0
		.amdhsa_system_sgpr_workgroup_info 0
		.amdhsa_system_vgpr_workitem_id 0
		.amdhsa_next_free_vgpr 30
		.amdhsa_next_free_sgpr 28
		.amdhsa_accum_offset 32
		.amdhsa_reserve_vcc 1
		.amdhsa_float_round_mode_32 0
		.amdhsa_float_round_mode_16_64 0
		.amdhsa_float_denorm_mode_32 3
		.amdhsa_float_denorm_mode_16_64 3
		.amdhsa_dx10_clamp 1
		.amdhsa_ieee_mode 1
		.amdhsa_fp16_overflow 0
		.amdhsa_tg_split 0
		.amdhsa_exception_fp_ieee_invalid_op 0
		.amdhsa_exception_fp_denorm_src 0
		.amdhsa_exception_fp_ieee_div_zero 0
		.amdhsa_exception_fp_ieee_overflow 0
		.amdhsa_exception_fp_ieee_underflow 0
		.amdhsa_exception_fp_ieee_inexact 0
		.amdhsa_exception_int_div_zero 0
	.end_amdhsa_kernel
	.section	.text._ZN2at6native29vectorized_elementwise_kernelILi16EZZZNS0_17rsqrt_kernel_cudaERNS_18TensorIteratorBaseEENKUlvE_clEvENKUlvE_clEvEUlN3c107complexIdEEE_St5arrayIPcLm2EEEEviT0_T1_,"axG",@progbits,_ZN2at6native29vectorized_elementwise_kernelILi16EZZZNS0_17rsqrt_kernel_cudaERNS_18TensorIteratorBaseEENKUlvE_clEvENKUlvE_clEvEUlN3c107complexIdEEE_St5arrayIPcLm2EEEEviT0_T1_,comdat
.Lfunc_end162:
	.size	_ZN2at6native29vectorized_elementwise_kernelILi16EZZZNS0_17rsqrt_kernel_cudaERNS_18TensorIteratorBaseEENKUlvE_clEvENKUlvE_clEvEUlN3c107complexIdEEE_St5arrayIPcLm2EEEEviT0_T1_, .Lfunc_end162-_ZN2at6native29vectorized_elementwise_kernelILi16EZZZNS0_17rsqrt_kernel_cudaERNS_18TensorIteratorBaseEENKUlvE_clEvENKUlvE_clEvEUlN3c107complexIdEEE_St5arrayIPcLm2EEEEviT0_T1_
                                        ; -- End function
	.set _ZN2at6native29vectorized_elementwise_kernelILi16EZZZNS0_17rsqrt_kernel_cudaERNS_18TensorIteratorBaseEENKUlvE_clEvENKUlvE_clEvEUlN3c107complexIdEEE_St5arrayIPcLm2EEEEviT0_T1_.num_vgpr, 30
	.set _ZN2at6native29vectorized_elementwise_kernelILi16EZZZNS0_17rsqrt_kernel_cudaERNS_18TensorIteratorBaseEENKUlvE_clEvENKUlvE_clEvEUlN3c107complexIdEEE_St5arrayIPcLm2EEEEviT0_T1_.num_agpr, 0
	.set _ZN2at6native29vectorized_elementwise_kernelILi16EZZZNS0_17rsqrt_kernel_cudaERNS_18TensorIteratorBaseEENKUlvE_clEvENKUlvE_clEvEUlN3c107complexIdEEE_St5arrayIPcLm2EEEEviT0_T1_.numbered_sgpr, 28
	.set _ZN2at6native29vectorized_elementwise_kernelILi16EZZZNS0_17rsqrt_kernel_cudaERNS_18TensorIteratorBaseEENKUlvE_clEvENKUlvE_clEvEUlN3c107complexIdEEE_St5arrayIPcLm2EEEEviT0_T1_.num_named_barrier, 0
	.set _ZN2at6native29vectorized_elementwise_kernelILi16EZZZNS0_17rsqrt_kernel_cudaERNS_18TensorIteratorBaseEENKUlvE_clEvENKUlvE_clEvEUlN3c107complexIdEEE_St5arrayIPcLm2EEEEviT0_T1_.private_seg_size, 0
	.set _ZN2at6native29vectorized_elementwise_kernelILi16EZZZNS0_17rsqrt_kernel_cudaERNS_18TensorIteratorBaseEENKUlvE_clEvENKUlvE_clEvEUlN3c107complexIdEEE_St5arrayIPcLm2EEEEviT0_T1_.uses_vcc, 1
	.set _ZN2at6native29vectorized_elementwise_kernelILi16EZZZNS0_17rsqrt_kernel_cudaERNS_18TensorIteratorBaseEENKUlvE_clEvENKUlvE_clEvEUlN3c107complexIdEEE_St5arrayIPcLm2EEEEviT0_T1_.uses_flat_scratch, 0
	.set _ZN2at6native29vectorized_elementwise_kernelILi16EZZZNS0_17rsqrt_kernel_cudaERNS_18TensorIteratorBaseEENKUlvE_clEvENKUlvE_clEvEUlN3c107complexIdEEE_St5arrayIPcLm2EEEEviT0_T1_.has_dyn_sized_stack, 0
	.set _ZN2at6native29vectorized_elementwise_kernelILi16EZZZNS0_17rsqrt_kernel_cudaERNS_18TensorIteratorBaseEENKUlvE_clEvENKUlvE_clEvEUlN3c107complexIdEEE_St5arrayIPcLm2EEEEviT0_T1_.has_recursion, 0
	.set _ZN2at6native29vectorized_elementwise_kernelILi16EZZZNS0_17rsqrt_kernel_cudaERNS_18TensorIteratorBaseEENKUlvE_clEvENKUlvE_clEvEUlN3c107complexIdEEE_St5arrayIPcLm2EEEEviT0_T1_.has_indirect_call, 0
	.section	.AMDGPU.csdata,"",@progbits
; Kernel info:
; codeLenInByte = 16568
; TotalNumSgprs: 34
; NumVgprs: 30
; NumAgprs: 0
; TotalNumVgprs: 30
; ScratchSize: 0
; MemoryBound: 1
; FloatMode: 240
; IeeeMode: 1
; LDSByteSize: 0 bytes/workgroup (compile time only)
; SGPRBlocks: 4
; VGPRBlocks: 3
; NumSGPRsForWavesPerEU: 34
; NumVGPRsForWavesPerEU: 30
; AccumOffset: 32
; Occupancy: 8
; WaveLimiterHint : 0
; COMPUTE_PGM_RSRC2:SCRATCH_EN: 0
; COMPUTE_PGM_RSRC2:USER_SGPR: 2
; COMPUTE_PGM_RSRC2:TRAP_HANDLER: 0
; COMPUTE_PGM_RSRC2:TGID_X_EN: 1
; COMPUTE_PGM_RSRC2:TGID_Y_EN: 0
; COMPUTE_PGM_RSRC2:TGID_Z_EN: 0
; COMPUTE_PGM_RSRC2:TIDIG_COMP_CNT: 0
; COMPUTE_PGM_RSRC3_GFX90A:ACCUM_OFFSET: 7
; COMPUTE_PGM_RSRC3_GFX90A:TG_SPLIT: 0
	.section	.text._ZN2at6native29vectorized_elementwise_kernelILi8EZZZNS0_17rsqrt_kernel_cudaERNS_18TensorIteratorBaseEENKUlvE_clEvENKUlvE_clEvEUlN3c107complexIdEEE_St5arrayIPcLm2EEEEviT0_T1_,"axG",@progbits,_ZN2at6native29vectorized_elementwise_kernelILi8EZZZNS0_17rsqrt_kernel_cudaERNS_18TensorIteratorBaseEENKUlvE_clEvENKUlvE_clEvEUlN3c107complexIdEEE_St5arrayIPcLm2EEEEviT0_T1_,comdat
	.globl	_ZN2at6native29vectorized_elementwise_kernelILi8EZZZNS0_17rsqrt_kernel_cudaERNS_18TensorIteratorBaseEENKUlvE_clEvENKUlvE_clEvEUlN3c107complexIdEEE_St5arrayIPcLm2EEEEviT0_T1_ ; -- Begin function _ZN2at6native29vectorized_elementwise_kernelILi8EZZZNS0_17rsqrt_kernel_cudaERNS_18TensorIteratorBaseEENKUlvE_clEvENKUlvE_clEvEUlN3c107complexIdEEE_St5arrayIPcLm2EEEEviT0_T1_
	.p2align	8
	.type	_ZN2at6native29vectorized_elementwise_kernelILi8EZZZNS0_17rsqrt_kernel_cudaERNS_18TensorIteratorBaseEENKUlvE_clEvENKUlvE_clEvEUlN3c107complexIdEEE_St5arrayIPcLm2EEEEviT0_T1_,@function
_ZN2at6native29vectorized_elementwise_kernelILi8EZZZNS0_17rsqrt_kernel_cudaERNS_18TensorIteratorBaseEENKUlvE_clEvENKUlvE_clEvEUlN3c107complexIdEEE_St5arrayIPcLm2EEEEviT0_T1_: ; @_ZN2at6native29vectorized_elementwise_kernelILi8EZZZNS0_17rsqrt_kernel_cudaERNS_18TensorIteratorBaseEENKUlvE_clEvENKUlvE_clEvEUlN3c107complexIdEEE_St5arrayIPcLm2EEEEviT0_T1_
; %bb.0:
	s_load_dword s3, s[0:1], 0x0
	s_load_dwordx4 s[8:11], s[0:1], 0x8
	s_lshl_b32 s6, s2, 10
	s_mov_b64 s[0:1], -1
	s_waitcnt lgkmcnt(0)
	s_sub_i32 s24, s3, s6
	s_cmpk_gt_i32 s24, 0x3ff
	s_cbranch_scc0 .LBB163_154
; %bb.1:
	s_ashr_i32 s7, s6, 31
	s_lshl_b64 s[4:5], s[6:7], 4
	s_add_u32 s0, s10, s4
	s_addc_u32 s1, s11, s5
	v_lshlrev_b32_e32 v1, 6, v0
	global_load_dwordx4 v[20:23], v1, s[0:1]
	global_load_dwordx4 v[16:19], v1, s[0:1] offset:16
	global_load_dwordx4 v[2:5], v1, s[0:1] offset:48
	;; [unrolled: 1-line block ×3, first 2 shown]
	v_mov_b64_e32 v[14:15], 0
	s_waitcnt vmcnt(3)
	v_cmp_neq_f64_e32 vcc, 0, v[20:21]
	v_cmp_neq_f64_e64 s[0:1], 0, v[22:23]
	s_or_b64 s[0:1], vcc, s[0:1]
	s_and_saveexec_b64 s[12:13], s[0:1]
	s_cbranch_execz .LBB163_31
; %bb.2:
	v_mov_b32_e32 v14, 0
	v_mov_b32_e32 v15, 0x7ff00000
	v_cmp_neq_f64_e64 s[0:1], |v[22:23]|, v[14:15]
	s_and_saveexec_b64 s[14:15], s[0:1]
	s_cbranch_execz .LBB163_30
; %bb.3:
	v_cmp_o_f64_e32 vcc, v[20:21], v[20:21]
                                        ; implicit-def: $vgpr14_vgpr15
	s_and_saveexec_b64 s[0:1], vcc
	s_xor_b64 s[16:17], exec, s[0:1]
	s_cbranch_execz .LBB163_27
; %bb.4:
	s_mov_b32 s0, 0
	s_mov_b32 s1, 0x7ff00000
	v_cmp_neq_f64_e64 s[0:1], |v[20:21]|, s[0:1]
                                        ; implicit-def: $vgpr14_vgpr15
	s_and_saveexec_b64 s[2:3], s[0:1]
	s_xor_b64 s[18:19], exec, s[2:3]
	s_cbranch_execz .LBB163_20
; %bb.5:
	v_max_f64 v[6:7], |v[22:23]|, |v[22:23]|
	v_max_f64 v[8:9], |v[20:21]|, |v[20:21]|
	s_mov_b32 s0, 0x99fcef32
	v_max_f64 v[6:7], v[8:9], v[6:7]
	s_mov_b32 s1, 0x7fda8279
	v_cmp_nle_f64_e64 s[0:1], s[0:1], v[6:7]
                                        ; implicit-def: $sgpr20_sgpr21
	s_and_saveexec_b64 s[2:3], s[0:1]
	s_xor_b64 s[2:3], exec, s[2:3]
	s_cbranch_execz .LBB163_9
; %bb.6:
	s_mov_b32 s20, 0
	s_mov_b32 s21, 0x200000
	v_cmp_le_f64_e64 s[22:23], |v[20:21]|, s[20:21]
	v_cmp_le_f64_e64 s[20:21], |v[22:23]|, s[20:21]
	s_and_b64 s[26:27], s[22:23], s[20:21]
	s_mov_b64 s[20:21], 0
	s_and_saveexec_b64 s[22:23], s[26:27]
; %bb.7:
	s_mov_b64 s[20:21], exec
	v_mul_f64 v[20:21], v[20:21], 4.0
	v_mul_f64 v[22:23], v[22:23], 4.0
; %bb.8:
	s_or_b64 exec, exec, s[22:23]
.LBB163_9:
	s_andn2_saveexec_b64 s[2:3], s[2:3]
; %bb.10:
	v_ldexp_f64 v[20:21], v[20:21], -2
	v_ldexp_f64 v[22:23], v[22:23], -2
	s_andn2_b64 s[20:21], s[20:21], exec
; %bb.11:
	s_or_b64 exec, exec, s[2:3]
	v_max_f64 v[6:7], |v[22:23]|, |v[22:23]|
	v_max_f64 v[8:9], |v[20:21]|, |v[20:21]|
	v_max_f64 v[6:7], v[8:9], v[6:7]
	v_frexp_exp_i32_f64_e32 v26, v[6:7]
	v_sub_u32_e32 v8, 0, v26
	v_ldexp_f64 v[6:7], |v[20:21]|, v8
	v_ldexp_f64 v[8:9], |v[22:23]|, v8
	v_mul_f64 v[8:9], v[8:9], v[8:9]
	v_fmac_f64_e32 v[8:9], v[6:7], v[6:7]
	v_rsq_f64_e32 v[6:7], v[8:9]
	v_cmp_eq_f64_e64 s[2:3], 0, v[8:9]
	s_movk_i32 s7, 0x204
	v_cmp_class_f64_e64 s[22:23], v[22:23], s7
	v_mul_f64 v[14:15], v[8:9], v[6:7]
	v_mul_f64 v[6:7], v[6:7], 0.5
	v_fma_f64 v[24:25], -v[6:7], v[14:15], 0.5
	v_fmac_f64_e32 v[14:15], v[14:15], v[24:25]
	v_fmac_f64_e32 v[6:7], v[6:7], v[24:25]
	v_fma_f64 v[24:25], -v[14:15], v[14:15], v[8:9]
	v_fmac_f64_e32 v[14:15], v[24:25], v[6:7]
	v_cndmask_b32_e64 v7, v15, v9, s[2:3]
	v_cndmask_b32_e64 v6, v14, v8, s[2:3]
	v_ldexp_f64 v[6:7], v[6:7], v26
	v_cmp_o_f64_e64 s[2:3], v[22:23], v[22:23]
	v_mov_b32_e32 v8, 0x7ff80000
	v_cmp_le_f64_e32 vcc, 0, v[20:21]
	v_cndmask_b32_e64 v6, 0, v6, s[2:3]
	v_cndmask_b32_e64 v7, v8, v7, s[2:3]
	v_cmp_class_f64_e64 s[2:3], v[20:21], s7
	v_mov_b32_e32 v8, 0x7ff00000
	s_or_b64 s[2:3], s[22:23], s[2:3]
	v_cndmask_b32_e64 v15, v7, v8, s[2:3]
	v_cndmask_b32_e64 v14, v6, 0, s[2:3]
                                        ; implicit-def: $vgpr6_vgpr7
                                        ; implicit-def: $vgpr8_vgpr9
	s_and_saveexec_b64 s[2:3], vcc
	s_xor_b64 s[2:3], exec, s[2:3]
	s_cbranch_execz .LBB163_13
; %bb.12:
	v_add_f64 v[6:7], v[20:21], v[14:15]
	s_mov_b32 s22, 0
	v_mul_f64 v[6:7], v[6:7], 0.5
	s_brev_b32 s23, 8
	v_mov_b32_e32 v8, 0x100
	v_cmp_gt_f64_e32 vcc, s[22:23], v[6:7]
	s_nop 1
	v_cndmask_b32_e32 v8, 0, v8, vcc
	v_ldexp_f64 v[6:7], v[6:7], v8
	v_rsq_f64_e32 v[8:9], v[6:7]
	s_nop 0
	v_mul_f64 v[14:15], v[6:7], v[8:9]
	v_mul_f64 v[8:9], v[8:9], 0.5
	v_fma_f64 v[20:21], -v[8:9], v[14:15], 0.5
	v_fmac_f64_e32 v[14:15], v[14:15], v[20:21]
	v_fma_f64 v[24:25], -v[14:15], v[14:15], v[6:7]
	v_fmac_f64_e32 v[8:9], v[8:9], v[20:21]
	v_fmac_f64_e32 v[14:15], v[24:25], v[8:9]
	v_fma_f64 v[20:21], -v[14:15], v[14:15], v[6:7]
	v_fmac_f64_e32 v[14:15], v[20:21], v[8:9]
	v_mov_b32_e32 v8, 0xffffff80
	v_cndmask_b32_e32 v8, 0, v8, vcc
	v_ldexp_f64 v[8:9], v[14:15], v8
	v_mov_b32_e32 v14, 0x260
	v_cmp_class_f64_e32 vcc, v[6:7], v14
	s_nop 1
	v_cndmask_b32_e32 v9, v9, v7, vcc
	v_cndmask_b32_e32 v8, v8, v6, vcc
	v_add_f64 v[6:7], v[8:9], v[8:9]
	v_div_scale_f64 v[14:15], s[22:23], v[6:7], v[6:7], v[22:23]
	v_rcp_f64_e32 v[20:21], v[14:15]
	s_nop 0
	v_fma_f64 v[24:25], -v[14:15], v[20:21], 1.0
	v_fmac_f64_e32 v[20:21], v[20:21], v[24:25]
	v_fma_f64 v[24:25], -v[14:15], v[20:21], 1.0
	v_fmac_f64_e32 v[20:21], v[20:21], v[24:25]
	v_div_scale_f64 v[24:25], vcc, v[22:23], v[6:7], v[22:23]
	v_mul_f64 v[26:27], v[24:25], v[20:21]
	v_fma_f64 v[14:15], -v[14:15], v[26:27], v[24:25]
	s_nop 1
	v_div_fmas_f64 v[14:15], v[14:15], v[20:21], v[26:27]
	v_div_fixup_f64 v[6:7], v[14:15], v[6:7], v[22:23]
                                        ; implicit-def: $vgpr14_vgpr15
                                        ; implicit-def: $vgpr20_vgpr21
	s_andn2_saveexec_b64 s[2:3], s[2:3]
	s_cbranch_execz .LBB163_15
	s_branch .LBB163_14
.LBB163_13:
	s_andn2_saveexec_b64 s[2:3], s[2:3]
	s_cbranch_execz .LBB163_15
.LBB163_14:
	v_add_f64 v[6:7], v[14:15], -v[20:21]
	s_mov_b32 s22, 0
	v_mul_f64 v[6:7], v[6:7], 0.5
	s_brev_b32 s23, 8
	v_mov_b32_e32 v8, 0x100
	v_cmp_gt_f64_e32 vcc, s[22:23], v[6:7]
	s_brev_b32 s7, -2
	s_nop 0
	v_cndmask_b32_e32 v8, 0, v8, vcc
	v_ldexp_f64 v[6:7], v[6:7], v8
	v_rsq_f64_e32 v[8:9], v[6:7]
	s_nop 0
	v_mul_f64 v[14:15], v[6:7], v[8:9]
	v_mul_f64 v[8:9], v[8:9], 0.5
	v_fma_f64 v[20:21], -v[8:9], v[14:15], 0.5
	v_fmac_f64_e32 v[14:15], v[14:15], v[20:21]
	v_fma_f64 v[24:25], -v[14:15], v[14:15], v[6:7]
	v_fmac_f64_e32 v[8:9], v[8:9], v[20:21]
	v_fmac_f64_e32 v[14:15], v[24:25], v[8:9]
	v_fma_f64 v[20:21], -v[14:15], v[14:15], v[6:7]
	v_fmac_f64_e32 v[14:15], v[20:21], v[8:9]
	v_mov_b32_e32 v8, 0xffffff80
	v_cndmask_b32_e32 v8, 0, v8, vcc
	v_ldexp_f64 v[8:9], v[14:15], v8
	v_mov_b32_e32 v14, 0x260
	v_cmp_class_f64_e32 vcc, v[6:7], v14
	v_and_b32_e32 v15, 0x7fffffff, v23
	v_mov_b32_e32 v14, v22
	v_cndmask_b32_e32 v7, v9, v7, vcc
	v_cndmask_b32_e32 v6, v8, v6, vcc
	v_add_f64 v[8:9], v[6:7], v[6:7]
	v_div_scale_f64 v[20:21], s[22:23], v[8:9], v[8:9], v[14:15]
	v_rcp_f64_e32 v[24:25], v[20:21]
	v_div_scale_f64 v[14:15], vcc, v[14:15], v[8:9], v[14:15]
	v_bfi_b32 v7, s7, v7, v23
	v_fma_f64 v[26:27], -v[20:21], v[24:25], 1.0
	v_fmac_f64_e32 v[24:25], v[24:25], v[26:27]
	v_fma_f64 v[26:27], -v[20:21], v[24:25], 1.0
	v_fmac_f64_e32 v[24:25], v[24:25], v[26:27]
	v_mul_f64 v[26:27], v[14:15], v[24:25]
	v_fma_f64 v[14:15], -v[20:21], v[26:27], v[14:15]
	v_div_fmas_f64 v[14:15], v[14:15], v[24:25], v[26:27]
	v_div_fixup_f64 v[8:9], v[14:15], v[8:9], |v[22:23]|
.LBB163_15:
	s_or_b64 exec, exec, s[2:3]
                                        ; implicit-def: $vgpr22_vgpr23
                                        ; implicit-def: $vgpr14_vgpr15
	s_and_saveexec_b64 s[2:3], s[0:1]
	s_xor_b64 s[0:1], exec, s[2:3]
	s_cbranch_execz .LBB163_17
; %bb.16:
	v_mul_f64 v[14:15], v[8:9], 0.5
	v_mul_f64 v[20:21], v[6:7], 0.5
	v_cndmask_b32_e64 v15, v9, v15, s[20:21]
	v_cndmask_b32_e64 v14, v8, v14, s[20:21]
	;; [unrolled: 1-line block ×4, first 2 shown]
                                        ; implicit-def: $vgpr8_vgpr9
                                        ; implicit-def: $vgpr6_vgpr7
	s_andn2_saveexec_b64 s[0:1], s[0:1]
	s_cbranch_execnz .LBB163_18
	s_branch .LBB163_19
.LBB163_17:
	s_andn2_saveexec_b64 s[0:1], s[0:1]
.LBB163_18:
	v_add_f64 v[14:15], v[8:9], v[8:9]
	v_add_f64 v[22:23], v[6:7], v[6:7]
.LBB163_19:
	s_or_b64 exec, exec, s[0:1]
.LBB163_20:
	s_andn2_saveexec_b64 s[0:1], s[18:19]
	s_cbranch_execz .LBB163_26
; %bb.21:
	v_add_f64 v[6:7], v[22:23], -v[22:23]
	v_cmp_lt_i64_e32 vcc, -1, v[20:21]
	s_brev_b32 s7, -2
	v_and_b32_e32 v15, 0x7fffffff, v7
	v_mov_b32_e32 v14, v6
	s_and_saveexec_b64 s[2:3], vcc
	s_xor_b64 s[2:3], exec, s[2:3]
; %bb.22:
	v_bfi_b32 v7, s7, v7, v23
	v_mov_b64_e32 v[22:23], v[6:7]
	v_mov_b64_e32 v[14:15], v[20:21]
; %bb.23:
	s_andn2_saveexec_b64 s[2:3], s[2:3]
; %bb.24:
	v_bfi_b32 v21, s7, v21, v23
	v_mov_b64_e32 v[22:23], v[20:21]
; %bb.25:
	s_or_b64 exec, exec, s[2:3]
.LBB163_26:
	s_or_b64 exec, exec, s[0:1]
.LBB163_27:
	s_andn2_saveexec_b64 s[0:1], s[16:17]
	s_cbranch_execz .LBB163_29
; %bb.28:
	v_add_f64 v[6:7], v[22:23], -v[22:23]
	v_div_scale_f64 v[8:9], vcc, v[6:7], v[6:7], v[6:7]
	v_rcp_f64_e32 v[14:15], v[8:9]
	s_nop 0
	v_fma_f64 v[22:23], -v[8:9], v[14:15], 1.0
	v_fmac_f64_e32 v[14:15], v[14:15], v[22:23]
	v_fma_f64 v[22:23], -v[8:9], v[14:15], 1.0
	v_fmac_f64_e32 v[14:15], v[14:15], v[22:23]
	v_mul_f64 v[22:23], v[8:9], v[14:15]
	v_fma_f64 v[8:9], -v[8:9], v[22:23], v[8:9]
	v_div_fmas_f64 v[8:9], v[8:9], v[14:15], v[22:23]
	v_div_fixup_f64 v[22:23], v[8:9], v[6:7], v[6:7]
	v_mov_b64_e32 v[14:15], v[20:21]
.LBB163_29:
	s_or_b64 exec, exec, s[0:1]
.LBB163_30:
	s_or_b64 exec, exec, s[14:15]
.LBB163_31:
	s_or_b64 exec, exec, s[12:13]
	v_xor_b32_e32 v6, 0x80000000, v15
	v_cmp_gt_f64_e32 vcc, 0, v[14:15]
	v_mov_b32_e32 v24, v14
	v_mov_b32_e32 v20, v22
	v_cndmask_b32_e32 v25, v15, v6, vcc
	v_xor_b32_e32 v6, 0x80000000, v23
	v_cmp_gt_f64_e32 vcc, 0, v[22:23]
	s_nop 1
	v_cndmask_b32_e32 v21, v23, v6, vcc
	v_cmp_ge_f64_e32 vcc, v[24:25], v[20:21]
                                        ; implicit-def: $vgpr8_vgpr9
	s_and_saveexec_b64 s[0:1], vcc
	s_xor_b64 s[2:3], exec, s[0:1]
	s_cbranch_execz .LBB163_37
; %bb.32:
	v_cmp_neq_f64_e32 vcc, 0, v[14:15]
	v_cmp_neq_f64_e64 s[0:1], 0, v[22:23]
	s_or_b64 s[0:1], vcc, s[0:1]
                                        ; implicit-def: $vgpr8_vgpr9
	s_and_saveexec_b64 s[12:13], s[0:1]
	s_xor_b64 s[0:1], exec, s[12:13]
	s_cbranch_execz .LBB163_34
; %bb.33:
	v_div_scale_f64 v[6:7], s[12:13], v[14:15], v[14:15], v[22:23]
	v_rcp_f64_e32 v[8:9], v[6:7]
	v_div_scale_f64 v[20:21], vcc, v[22:23], v[14:15], v[22:23]
	v_fma_f64 v[24:25], -v[6:7], v[8:9], 1.0
	v_fmac_f64_e32 v[8:9], v[8:9], v[24:25]
	v_fma_f64 v[24:25], -v[6:7], v[8:9], 1.0
	v_fmac_f64_e32 v[8:9], v[8:9], v[24:25]
	v_mul_f64 v[24:25], v[20:21], v[8:9]
	v_fma_f64 v[6:7], -v[6:7], v[24:25], v[20:21]
	v_div_fmas_f64 v[6:7], v[6:7], v[8:9], v[24:25]
	v_div_fixup_f64 v[8:9], v[6:7], v[14:15], v[22:23]
	v_fmac_f64_e32 v[14:15], v[22:23], v[8:9]
	v_div_scale_f64 v[6:7], s[12:13], v[14:15], v[14:15], 1.0
	v_rcp_f64_e32 v[20:21], v[6:7]
	s_nop 0
	v_fma_f64 v[22:23], -v[6:7], v[20:21], 1.0
	v_fmac_f64_e32 v[20:21], v[20:21], v[22:23]
	v_fma_f64 v[22:23], -v[6:7], v[20:21], 1.0
	v_fmac_f64_e32 v[20:21], v[20:21], v[22:23]
	v_div_scale_f64 v[22:23], vcc, 1.0, v[14:15], 1.0
	v_mul_f64 v[24:25], v[22:23], v[20:21]
	v_fma_f64 v[6:7], -v[6:7], v[24:25], v[22:23]
	s_nop 1
	v_div_fmas_f64 v[6:7], v[6:7], v[20:21], v[24:25]
	v_div_fixup_f64 v[14:15], v[6:7], v[14:15], 1.0
	v_fma_f64 v[6:7], v[8:9], 0, 1.0
	v_add_f64 v[8:9], -v[8:9], 0
	v_mul_f64 v[6:7], v[6:7], v[14:15]
	v_mul_f64 v[8:9], v[8:9], v[14:15]
                                        ; implicit-def: $vgpr24_vgpr25
                                        ; implicit-def: $vgpr20_vgpr21
.LBB163_34:
	s_andn2_saveexec_b64 s[0:1], s[0:1]
	s_cbranch_execz .LBB163_36
; %bb.35:
	v_div_scale_f64 v[6:7], s[12:13], v[24:25], v[24:25], 1.0
	v_rcp_f64_e32 v[8:9], v[6:7]
	v_div_scale_f64 v[14:15], vcc, 1.0, v[24:25], 1.0
	v_fma_f64 v[22:23], -v[6:7], v[8:9], 1.0
	v_fmac_f64_e32 v[8:9], v[8:9], v[22:23]
	v_fma_f64 v[22:23], -v[6:7], v[8:9], 1.0
	v_fmac_f64_e32 v[8:9], v[8:9], v[22:23]
	v_mul_f64 v[22:23], v[14:15], v[8:9]
	v_fma_f64 v[6:7], -v[6:7], v[22:23], v[14:15]
	v_div_scale_f64 v[14:15], s[12:13], v[20:21], v[20:21], 0
	v_rcp_f64_e32 v[26:27], v[14:15]
	v_div_fmas_f64 v[6:7], v[6:7], v[8:9], v[22:23]
	v_div_fixup_f64 v[6:7], v[6:7], v[24:25], 1.0
	v_fma_f64 v[8:9], -v[14:15], v[26:27], 1.0
	v_fmac_f64_e32 v[26:27], v[26:27], v[8:9]
	v_fma_f64 v[8:9], -v[14:15], v[26:27], 1.0
	v_fmac_f64_e32 v[26:27], v[26:27], v[8:9]
	v_div_scale_f64 v[8:9], vcc, 0, v[20:21], 0
	v_mul_f64 v[22:23], v[8:9], v[26:27]
	v_fma_f64 v[8:9], -v[14:15], v[22:23], v[8:9]
	s_nop 1
	v_div_fmas_f64 v[8:9], v[8:9], v[26:27], v[22:23]
	v_div_fixup_f64 v[8:9], v[8:9], v[20:21], 0
.LBB163_36:
	s_or_b64 exec, exec, s[0:1]
                                        ; implicit-def: $vgpr22_vgpr23
                                        ; implicit-def: $vgpr14_vgpr15
.LBB163_37:
	s_andn2_saveexec_b64 s[0:1], s[2:3]
	s_cbranch_execz .LBB163_39
; %bb.38:
	v_div_scale_f64 v[6:7], s[2:3], v[22:23], v[22:23], v[14:15]
	v_rcp_f64_e32 v[8:9], v[6:7]
	v_div_scale_f64 v[20:21], vcc, v[14:15], v[22:23], v[14:15]
	v_fma_f64 v[24:25], -v[6:7], v[8:9], 1.0
	v_fmac_f64_e32 v[8:9], v[8:9], v[24:25]
	v_fma_f64 v[24:25], -v[6:7], v[8:9], 1.0
	v_fmac_f64_e32 v[8:9], v[8:9], v[24:25]
	v_mul_f64 v[24:25], v[20:21], v[8:9]
	v_fma_f64 v[6:7], -v[6:7], v[24:25], v[20:21]
	v_div_fmas_f64 v[6:7], v[6:7], v[8:9], v[24:25]
	v_div_fixup_f64 v[8:9], v[6:7], v[22:23], v[14:15]
	v_fmac_f64_e32 v[22:23], v[14:15], v[8:9]
	v_div_scale_f64 v[6:7], s[2:3], v[22:23], v[22:23], 1.0
	v_rcp_f64_e32 v[14:15], v[6:7]
	s_nop 0
	v_fma_f64 v[20:21], -v[6:7], v[14:15], 1.0
	v_fmac_f64_e32 v[14:15], v[14:15], v[20:21]
	v_fma_f64 v[20:21], -v[6:7], v[14:15], 1.0
	v_fmac_f64_e32 v[14:15], v[14:15], v[20:21]
	v_div_scale_f64 v[20:21], vcc, 1.0, v[22:23], 1.0
	v_mul_f64 v[24:25], v[20:21], v[14:15]
	v_fma_f64 v[6:7], -v[6:7], v[24:25], v[20:21]
	s_nop 1
	v_div_fmas_f64 v[6:7], v[6:7], v[14:15], v[24:25]
	v_div_fixup_f64 v[14:15], v[6:7], v[22:23], 1.0
	v_add_f64 v[6:7], v[8:9], 0
	v_fma_f64 v[8:9], v[8:9], 0, -1.0
	v_mul_f64 v[6:7], v[6:7], v[14:15]
	v_mul_f64 v[8:9], v[8:9], v[14:15]
.LBB163_39:
	s_or_b64 exec, exec, s[0:1]
	s_waitcnt vmcnt(2)
	v_cmp_neq_f64_e32 vcc, 0, v[16:17]
	v_cmp_neq_f64_e64 s[0:1], 0, v[18:19]
	v_mov_b64_e32 v[20:21], 0
	s_or_b64 s[0:1], vcc, s[0:1]
	s_and_saveexec_b64 s[12:13], s[0:1]
	s_cbranch_execz .LBB163_69
; %bb.40:
	v_mov_b32_e32 v20, 0
	v_mov_b32_e32 v21, 0x7ff00000
	v_cmp_neq_f64_e64 s[0:1], |v[18:19]|, v[20:21]
	s_and_saveexec_b64 s[14:15], s[0:1]
	s_cbranch_execz .LBB163_68
; %bb.41:
	v_cmp_o_f64_e32 vcc, v[16:17], v[16:17]
                                        ; implicit-def: $vgpr20_vgpr21
	s_and_saveexec_b64 s[0:1], vcc
	s_xor_b64 s[16:17], exec, s[0:1]
	s_cbranch_execz .LBB163_65
; %bb.42:
	s_mov_b32 s0, 0
	s_mov_b32 s1, 0x7ff00000
	v_cmp_neq_f64_e64 s[0:1], |v[16:17]|, s[0:1]
                                        ; implicit-def: $vgpr20_vgpr21
	s_and_saveexec_b64 s[2:3], s[0:1]
	s_xor_b64 s[18:19], exec, s[2:3]
	s_cbranch_execz .LBB163_58
; %bb.43:
	v_max_f64 v[14:15], |v[18:19]|, |v[18:19]|
	v_max_f64 v[20:21], |v[16:17]|, |v[16:17]|
	s_mov_b32 s0, 0x99fcef32
	v_max_f64 v[14:15], v[20:21], v[14:15]
	s_mov_b32 s1, 0x7fda8279
	v_cmp_nle_f64_e64 s[0:1], s[0:1], v[14:15]
                                        ; implicit-def: $sgpr20_sgpr21
	s_and_saveexec_b64 s[2:3], s[0:1]
	s_xor_b64 s[2:3], exec, s[2:3]
	s_cbranch_execz .LBB163_47
; %bb.44:
	s_mov_b32 s20, 0
	s_mov_b32 s21, 0x200000
	v_cmp_le_f64_e64 s[22:23], |v[16:17]|, s[20:21]
	v_cmp_le_f64_e64 s[20:21], |v[18:19]|, s[20:21]
	s_and_b64 s[26:27], s[22:23], s[20:21]
	s_mov_b64 s[20:21], 0
	s_and_saveexec_b64 s[22:23], s[26:27]
; %bb.45:
	s_mov_b64 s[20:21], exec
	v_mul_f64 v[16:17], v[16:17], 4.0
	v_mul_f64 v[18:19], v[18:19], 4.0
; %bb.46:
	s_or_b64 exec, exec, s[22:23]
.LBB163_47:
	s_andn2_saveexec_b64 s[2:3], s[2:3]
; %bb.48:
	v_ldexp_f64 v[16:17], v[16:17], -2
	v_ldexp_f64 v[18:19], v[18:19], -2
	s_andn2_b64 s[20:21], s[20:21], exec
; %bb.49:
	s_or_b64 exec, exec, s[2:3]
	v_max_f64 v[14:15], |v[18:19]|, |v[18:19]|
	v_max_f64 v[20:21], |v[16:17]|, |v[16:17]|
	v_max_f64 v[14:15], v[20:21], v[14:15]
	v_frexp_exp_i32_f64_e32 v26, v[14:15]
	v_sub_u32_e32 v20, 0, v26
	v_ldexp_f64 v[14:15], |v[16:17]|, v20
	v_ldexp_f64 v[20:21], |v[18:19]|, v20
	v_mul_f64 v[20:21], v[20:21], v[20:21]
	v_fmac_f64_e32 v[20:21], v[14:15], v[14:15]
	v_rsq_f64_e32 v[14:15], v[20:21]
	v_cmp_eq_f64_e64 s[2:3], 0, v[20:21]
	s_movk_i32 s7, 0x204
	v_cmp_class_f64_e64 s[22:23], v[18:19], s7
	v_mul_f64 v[22:23], v[20:21], v[14:15]
	v_mul_f64 v[14:15], v[14:15], 0.5
	v_fma_f64 v[24:25], -v[14:15], v[22:23], 0.5
	v_fmac_f64_e32 v[22:23], v[22:23], v[24:25]
	v_fmac_f64_e32 v[14:15], v[14:15], v[24:25]
	v_fma_f64 v[24:25], -v[22:23], v[22:23], v[20:21]
	v_fmac_f64_e32 v[22:23], v[24:25], v[14:15]
	v_cndmask_b32_e64 v15, v23, v21, s[2:3]
	v_cndmask_b32_e64 v14, v22, v20, s[2:3]
	v_ldexp_f64 v[14:15], v[14:15], v26
	v_cmp_o_f64_e64 s[2:3], v[18:19], v[18:19]
	v_mov_b32_e32 v20, 0x7ff80000
	v_cmp_le_f64_e32 vcc, 0, v[16:17]
	v_cndmask_b32_e64 v14, 0, v14, s[2:3]
	v_cndmask_b32_e64 v15, v20, v15, s[2:3]
	v_cmp_class_f64_e64 s[2:3], v[16:17], s7
	v_mov_b32_e32 v20, 0x7ff00000
	s_or_b64 s[2:3], s[22:23], s[2:3]
	v_cndmask_b32_e64 v21, v15, v20, s[2:3]
	v_cndmask_b32_e64 v20, v14, 0, s[2:3]
                                        ; implicit-def: $vgpr14_vgpr15
                                        ; implicit-def: $vgpr22_vgpr23
	s_and_saveexec_b64 s[2:3], vcc
	s_xor_b64 s[2:3], exec, s[2:3]
	s_cbranch_execz .LBB163_51
; %bb.50:
	v_add_f64 v[14:15], v[16:17], v[20:21]
	s_mov_b32 s22, 0
	v_mul_f64 v[14:15], v[14:15], 0.5
	s_brev_b32 s23, 8
	v_mov_b32_e32 v16, 0x100
	v_cmp_gt_f64_e32 vcc, s[22:23], v[14:15]
	s_nop 1
	v_cndmask_b32_e32 v16, 0, v16, vcc
	v_ldexp_f64 v[14:15], v[14:15], v16
	v_rsq_f64_e32 v[16:17], v[14:15]
	s_nop 0
	v_mul_f64 v[20:21], v[14:15], v[16:17]
	v_mul_f64 v[16:17], v[16:17], 0.5
	v_fma_f64 v[22:23], -v[16:17], v[20:21], 0.5
	v_fmac_f64_e32 v[20:21], v[20:21], v[22:23]
	v_fma_f64 v[24:25], -v[20:21], v[20:21], v[14:15]
	v_fmac_f64_e32 v[16:17], v[16:17], v[22:23]
	v_fmac_f64_e32 v[20:21], v[24:25], v[16:17]
	v_fma_f64 v[22:23], -v[20:21], v[20:21], v[14:15]
	v_fmac_f64_e32 v[20:21], v[22:23], v[16:17]
	v_mov_b32_e32 v16, 0xffffff80
	v_cndmask_b32_e32 v16, 0, v16, vcc
	v_ldexp_f64 v[16:17], v[20:21], v16
	v_mov_b32_e32 v20, 0x260
	v_cmp_class_f64_e32 vcc, v[14:15], v20
	s_nop 1
	v_cndmask_b32_e32 v23, v17, v15, vcc
	v_cndmask_b32_e32 v22, v16, v14, vcc
	v_add_f64 v[14:15], v[22:23], v[22:23]
	v_div_scale_f64 v[16:17], s[22:23], v[14:15], v[14:15], v[18:19]
	v_rcp_f64_e32 v[20:21], v[16:17]
	s_nop 0
	v_fma_f64 v[24:25], -v[16:17], v[20:21], 1.0
	v_fmac_f64_e32 v[20:21], v[20:21], v[24:25]
	v_fma_f64 v[24:25], -v[16:17], v[20:21], 1.0
	v_fmac_f64_e32 v[20:21], v[20:21], v[24:25]
	v_div_scale_f64 v[24:25], vcc, v[18:19], v[14:15], v[18:19]
	v_mul_f64 v[26:27], v[24:25], v[20:21]
	v_fma_f64 v[16:17], -v[16:17], v[26:27], v[24:25]
	s_nop 1
	v_div_fmas_f64 v[16:17], v[16:17], v[20:21], v[26:27]
	v_div_fixup_f64 v[14:15], v[16:17], v[14:15], v[18:19]
                                        ; implicit-def: $vgpr20_vgpr21
                                        ; implicit-def: $vgpr16_vgpr17
	s_andn2_saveexec_b64 s[2:3], s[2:3]
	s_cbranch_execz .LBB163_53
	s_branch .LBB163_52
.LBB163_51:
	s_andn2_saveexec_b64 s[2:3], s[2:3]
	s_cbranch_execz .LBB163_53
.LBB163_52:
	v_add_f64 v[14:15], v[20:21], -v[16:17]
	s_mov_b32 s22, 0
	v_mul_f64 v[14:15], v[14:15], 0.5
	s_brev_b32 s23, 8
	v_mov_b32_e32 v16, 0x100
	v_cmp_gt_f64_e32 vcc, s[22:23], v[14:15]
	s_brev_b32 s7, -2
	s_nop 0
	v_cndmask_b32_e32 v16, 0, v16, vcc
	v_ldexp_f64 v[14:15], v[14:15], v16
	v_rsq_f64_e32 v[16:17], v[14:15]
	s_nop 0
	v_mul_f64 v[20:21], v[14:15], v[16:17]
	v_mul_f64 v[16:17], v[16:17], 0.5
	v_fma_f64 v[22:23], -v[16:17], v[20:21], 0.5
	v_fmac_f64_e32 v[20:21], v[20:21], v[22:23]
	v_fma_f64 v[24:25], -v[20:21], v[20:21], v[14:15]
	v_fmac_f64_e32 v[16:17], v[16:17], v[22:23]
	v_fmac_f64_e32 v[20:21], v[24:25], v[16:17]
	v_fma_f64 v[22:23], -v[20:21], v[20:21], v[14:15]
	v_fmac_f64_e32 v[20:21], v[22:23], v[16:17]
	v_mov_b32_e32 v16, 0xffffff80
	v_cndmask_b32_e32 v16, 0, v16, vcc
	v_ldexp_f64 v[16:17], v[20:21], v16
	v_mov_b32_e32 v20, 0x260
	v_cmp_class_f64_e32 vcc, v[14:15], v20
	v_and_b32_e32 v21, 0x7fffffff, v19
	v_mov_b32_e32 v20, v18
	v_cndmask_b32_e32 v15, v17, v15, vcc
	v_cndmask_b32_e32 v14, v16, v14, vcc
	v_add_f64 v[16:17], v[14:15], v[14:15]
	v_div_scale_f64 v[22:23], s[22:23], v[16:17], v[16:17], v[20:21]
	v_rcp_f64_e32 v[24:25], v[22:23]
	v_div_scale_f64 v[20:21], vcc, v[20:21], v[16:17], v[20:21]
	v_bfi_b32 v15, s7, v15, v19
	v_fma_f64 v[26:27], -v[22:23], v[24:25], 1.0
	v_fmac_f64_e32 v[24:25], v[24:25], v[26:27]
	v_fma_f64 v[26:27], -v[22:23], v[24:25], 1.0
	v_fmac_f64_e32 v[24:25], v[24:25], v[26:27]
	v_mul_f64 v[26:27], v[20:21], v[24:25]
	v_fma_f64 v[20:21], -v[22:23], v[26:27], v[20:21]
	v_div_fmas_f64 v[20:21], v[20:21], v[24:25], v[26:27]
	v_div_fixup_f64 v[22:23], v[20:21], v[16:17], |v[18:19]|
.LBB163_53:
	s_or_b64 exec, exec, s[2:3]
                                        ; implicit-def: $vgpr18_vgpr19
                                        ; implicit-def: $vgpr20_vgpr21
	s_and_saveexec_b64 s[2:3], s[0:1]
	s_xor_b64 s[0:1], exec, s[2:3]
	s_cbranch_execz .LBB163_55
; %bb.54:
	v_mul_f64 v[16:17], v[22:23], 0.5
	v_mul_f64 v[18:19], v[14:15], 0.5
	v_cndmask_b32_e64 v21, v23, v17, s[20:21]
	v_cndmask_b32_e64 v20, v22, v16, s[20:21]
	;; [unrolled: 1-line block ×4, first 2 shown]
                                        ; implicit-def: $vgpr22_vgpr23
                                        ; implicit-def: $vgpr14_vgpr15
	s_andn2_saveexec_b64 s[0:1], s[0:1]
	s_cbranch_execnz .LBB163_56
	s_branch .LBB163_57
.LBB163_55:
	s_andn2_saveexec_b64 s[0:1], s[0:1]
.LBB163_56:
	v_add_f64 v[20:21], v[22:23], v[22:23]
	v_add_f64 v[18:19], v[14:15], v[14:15]
.LBB163_57:
	s_or_b64 exec, exec, s[0:1]
.LBB163_58:
	s_andn2_saveexec_b64 s[0:1], s[18:19]
	s_cbranch_execz .LBB163_64
; %bb.59:
	v_add_f64 v[14:15], v[18:19], -v[18:19]
	v_cmp_lt_i64_e32 vcc, -1, v[16:17]
	s_brev_b32 s7, -2
	v_and_b32_e32 v21, 0x7fffffff, v15
	v_mov_b32_e32 v20, v14
	s_and_saveexec_b64 s[2:3], vcc
	s_xor_b64 s[2:3], exec, s[2:3]
; %bb.60:
	v_bfi_b32 v15, s7, v15, v19
	v_mov_b64_e32 v[18:19], v[14:15]
	v_mov_b64_e32 v[20:21], v[16:17]
; %bb.61:
	s_andn2_saveexec_b64 s[2:3], s[2:3]
; %bb.62:
	v_bfi_b32 v17, s7, v17, v19
	v_mov_b64_e32 v[18:19], v[16:17]
; %bb.63:
	s_or_b64 exec, exec, s[2:3]
.LBB163_64:
	s_or_b64 exec, exec, s[0:1]
.LBB163_65:
	s_andn2_saveexec_b64 s[0:1], s[16:17]
	s_cbranch_execz .LBB163_67
; %bb.66:
	v_add_f64 v[14:15], v[18:19], -v[18:19]
	v_div_scale_f64 v[18:19], vcc, v[14:15], v[14:15], v[14:15]
	v_rcp_f64_e32 v[20:21], v[18:19]
	s_nop 0
	v_fma_f64 v[22:23], -v[18:19], v[20:21], 1.0
	v_fmac_f64_e32 v[20:21], v[20:21], v[22:23]
	v_fma_f64 v[22:23], -v[18:19], v[20:21], 1.0
	v_fmac_f64_e32 v[20:21], v[20:21], v[22:23]
	v_mul_f64 v[22:23], v[18:19], v[20:21]
	v_fma_f64 v[18:19], -v[18:19], v[22:23], v[18:19]
	v_div_fmas_f64 v[18:19], v[18:19], v[20:21], v[22:23]
	v_div_fixup_f64 v[18:19], v[18:19], v[14:15], v[14:15]
	v_mov_b64_e32 v[20:21], v[16:17]
.LBB163_67:
	s_or_b64 exec, exec, s[0:1]
.LBB163_68:
	s_or_b64 exec, exec, s[14:15]
.LBB163_69:
	s_or_b64 exec, exec, s[12:13]
	v_xor_b32_e32 v14, 0x80000000, v21
	v_cmp_gt_f64_e32 vcc, 0, v[20:21]
	v_mov_b32_e32 v24, v20
	v_mov_b32_e32 v22, v18
	v_cndmask_b32_e32 v25, v21, v14, vcc
	v_xor_b32_e32 v14, 0x80000000, v19
	v_cmp_gt_f64_e32 vcc, 0, v[18:19]
	s_nop 1
	v_cndmask_b32_e32 v23, v19, v14, vcc
	v_cmp_ge_f64_e32 vcc, v[24:25], v[22:23]
                                        ; implicit-def: $vgpr16_vgpr17
	s_and_saveexec_b64 s[0:1], vcc
	s_xor_b64 s[2:3], exec, s[0:1]
	s_cbranch_execz .LBB163_75
; %bb.70:
	v_cmp_neq_f64_e32 vcc, 0, v[20:21]
	v_cmp_neq_f64_e64 s[0:1], 0, v[18:19]
	s_or_b64 s[0:1], vcc, s[0:1]
                                        ; implicit-def: $vgpr16_vgpr17
	s_and_saveexec_b64 s[12:13], s[0:1]
	s_xor_b64 s[0:1], exec, s[12:13]
	s_cbranch_execz .LBB163_72
; %bb.71:
	v_div_scale_f64 v[14:15], s[12:13], v[20:21], v[20:21], v[18:19]
	v_rcp_f64_e32 v[16:17], v[14:15]
	v_div_scale_f64 v[22:23], vcc, v[18:19], v[20:21], v[18:19]
	v_fma_f64 v[24:25], -v[14:15], v[16:17], 1.0
	v_fmac_f64_e32 v[16:17], v[16:17], v[24:25]
	v_fma_f64 v[24:25], -v[14:15], v[16:17], 1.0
	v_fmac_f64_e32 v[16:17], v[16:17], v[24:25]
	v_mul_f64 v[24:25], v[22:23], v[16:17]
	v_fma_f64 v[14:15], -v[14:15], v[24:25], v[22:23]
	v_div_fmas_f64 v[14:15], v[14:15], v[16:17], v[24:25]
	v_div_fixup_f64 v[16:17], v[14:15], v[20:21], v[18:19]
	v_fmac_f64_e32 v[20:21], v[18:19], v[16:17]
	v_div_scale_f64 v[14:15], s[12:13], v[20:21], v[20:21], 1.0
	v_rcp_f64_e32 v[18:19], v[14:15]
	s_nop 0
	v_fma_f64 v[22:23], -v[14:15], v[18:19], 1.0
	v_fmac_f64_e32 v[18:19], v[18:19], v[22:23]
	v_fma_f64 v[22:23], -v[14:15], v[18:19], 1.0
	v_fmac_f64_e32 v[18:19], v[18:19], v[22:23]
	v_div_scale_f64 v[22:23], vcc, 1.0, v[20:21], 1.0
	v_mul_f64 v[24:25], v[22:23], v[18:19]
	v_fma_f64 v[14:15], -v[14:15], v[24:25], v[22:23]
                                        ; implicit-def: $vgpr22_vgpr23
	s_nop 1
	v_div_fmas_f64 v[14:15], v[14:15], v[18:19], v[24:25]
	v_div_fixup_f64 v[18:19], v[14:15], v[20:21], 1.0
	v_fma_f64 v[14:15], v[16:17], 0, 1.0
	v_add_f64 v[16:17], -v[16:17], 0
	v_mul_f64 v[14:15], v[14:15], v[18:19]
	v_mul_f64 v[16:17], v[16:17], v[18:19]
                                        ; implicit-def: $vgpr24_vgpr25
.LBB163_72:
	s_andn2_saveexec_b64 s[0:1], s[0:1]
	s_cbranch_execz .LBB163_74
; %bb.73:
	v_div_scale_f64 v[14:15], s[12:13], v[24:25], v[24:25], 1.0
	v_rcp_f64_e32 v[16:17], v[14:15]
	v_div_scale_f64 v[18:19], vcc, 1.0, v[24:25], 1.0
	v_fma_f64 v[20:21], -v[14:15], v[16:17], 1.0
	v_fmac_f64_e32 v[16:17], v[16:17], v[20:21]
	v_fma_f64 v[20:21], -v[14:15], v[16:17], 1.0
	v_fmac_f64_e32 v[16:17], v[16:17], v[20:21]
	v_mul_f64 v[20:21], v[18:19], v[16:17]
	v_fma_f64 v[14:15], -v[14:15], v[20:21], v[18:19]
	v_div_scale_f64 v[18:19], s[12:13], v[22:23], v[22:23], 0
	v_rcp_f64_e32 v[26:27], v[18:19]
	v_div_fmas_f64 v[14:15], v[14:15], v[16:17], v[20:21]
	v_div_fixup_f64 v[14:15], v[14:15], v[24:25], 1.0
	v_fma_f64 v[16:17], -v[18:19], v[26:27], 1.0
	v_fmac_f64_e32 v[26:27], v[26:27], v[16:17]
	v_fma_f64 v[16:17], -v[18:19], v[26:27], 1.0
	v_fmac_f64_e32 v[26:27], v[26:27], v[16:17]
	v_div_scale_f64 v[16:17], vcc, 0, v[22:23], 0
	v_mul_f64 v[20:21], v[16:17], v[26:27]
	v_fma_f64 v[16:17], -v[18:19], v[20:21], v[16:17]
	s_nop 1
	v_div_fmas_f64 v[16:17], v[16:17], v[26:27], v[20:21]
	v_div_fixup_f64 v[16:17], v[16:17], v[22:23], 0
.LBB163_74:
	s_or_b64 exec, exec, s[0:1]
                                        ; implicit-def: $vgpr18_vgpr19
                                        ; implicit-def: $vgpr20_vgpr21
.LBB163_75:
	s_andn2_saveexec_b64 s[0:1], s[2:3]
	s_cbranch_execz .LBB163_77
; %bb.76:
	v_div_scale_f64 v[14:15], s[2:3], v[18:19], v[18:19], v[20:21]
	v_rcp_f64_e32 v[16:17], v[14:15]
	v_div_scale_f64 v[22:23], vcc, v[20:21], v[18:19], v[20:21]
	v_fma_f64 v[24:25], -v[14:15], v[16:17], 1.0
	v_fmac_f64_e32 v[16:17], v[16:17], v[24:25]
	v_fma_f64 v[24:25], -v[14:15], v[16:17], 1.0
	v_fmac_f64_e32 v[16:17], v[16:17], v[24:25]
	v_mul_f64 v[24:25], v[22:23], v[16:17]
	v_fma_f64 v[14:15], -v[14:15], v[24:25], v[22:23]
	v_div_fmas_f64 v[14:15], v[14:15], v[16:17], v[24:25]
	v_div_fixup_f64 v[16:17], v[14:15], v[18:19], v[20:21]
	v_fmac_f64_e32 v[18:19], v[20:21], v[16:17]
	v_div_scale_f64 v[14:15], s[2:3], v[18:19], v[18:19], 1.0
	v_rcp_f64_e32 v[20:21], v[14:15]
	s_nop 0
	v_fma_f64 v[22:23], -v[14:15], v[20:21], 1.0
	v_fmac_f64_e32 v[20:21], v[20:21], v[22:23]
	v_fma_f64 v[22:23], -v[14:15], v[20:21], 1.0
	v_fmac_f64_e32 v[20:21], v[20:21], v[22:23]
	v_div_scale_f64 v[22:23], vcc, 1.0, v[18:19], 1.0
	v_mul_f64 v[24:25], v[22:23], v[20:21]
	v_fma_f64 v[14:15], -v[14:15], v[24:25], v[22:23]
	s_nop 1
	v_div_fmas_f64 v[14:15], v[14:15], v[20:21], v[24:25]
	v_div_fixup_f64 v[18:19], v[14:15], v[18:19], 1.0
	v_add_f64 v[14:15], v[16:17], 0
	v_fma_f64 v[16:17], v[16:17], 0, -1.0
	v_mul_f64 v[14:15], v[14:15], v[18:19]
	v_mul_f64 v[16:17], v[16:17], v[18:19]
.LBB163_77:
	s_or_b64 exec, exec, s[0:1]
	s_waitcnt vmcnt(0)
	v_cmp_neq_f64_e32 vcc, 0, v[10:11]
	v_cmp_neq_f64_e64 s[0:1], 0, v[12:13]
	v_mov_b64_e32 v[22:23], 0
	s_or_b64 s[0:1], vcc, s[0:1]
	s_and_saveexec_b64 s[12:13], s[0:1]
	s_cbranch_execz .LBB163_107
; %bb.78:
	v_mov_b32_e32 v22, 0
	v_mov_b32_e32 v23, 0x7ff00000
	v_cmp_neq_f64_e64 s[0:1], |v[12:13]|, v[22:23]
	s_and_saveexec_b64 s[14:15], s[0:1]
	s_cbranch_execz .LBB163_106
; %bb.79:
	v_cmp_o_f64_e32 vcc, v[10:11], v[10:11]
                                        ; implicit-def: $vgpr22_vgpr23
	s_and_saveexec_b64 s[0:1], vcc
	s_xor_b64 s[16:17], exec, s[0:1]
	s_cbranch_execz .LBB163_103
; %bb.80:
	s_mov_b32 s0, 0
	s_mov_b32 s1, 0x7ff00000
	v_cmp_neq_f64_e64 s[0:1], |v[10:11]|, s[0:1]
                                        ; implicit-def: $vgpr22_vgpr23
	s_and_saveexec_b64 s[2:3], s[0:1]
	s_xor_b64 s[18:19], exec, s[2:3]
	s_cbranch_execz .LBB163_96
; %bb.81:
	v_max_f64 v[18:19], |v[12:13]|, |v[12:13]|
	v_max_f64 v[20:21], |v[10:11]|, |v[10:11]|
	s_mov_b32 s0, 0x99fcef32
	v_max_f64 v[18:19], v[20:21], v[18:19]
	s_mov_b32 s1, 0x7fda8279
	v_cmp_nle_f64_e64 s[0:1], s[0:1], v[18:19]
                                        ; implicit-def: $sgpr20_sgpr21
	s_and_saveexec_b64 s[2:3], s[0:1]
	s_xor_b64 s[2:3], exec, s[2:3]
	s_cbranch_execz .LBB163_85
; %bb.82:
	s_mov_b32 s20, 0
	s_mov_b32 s21, 0x200000
	v_cmp_le_f64_e64 s[22:23], |v[10:11]|, s[20:21]
	v_cmp_le_f64_e64 s[20:21], |v[12:13]|, s[20:21]
	s_and_b64 s[26:27], s[22:23], s[20:21]
	s_mov_b64 s[20:21], 0
	s_and_saveexec_b64 s[22:23], s[26:27]
; %bb.83:
	s_mov_b64 s[20:21], exec
	v_mul_f64 v[10:11], v[10:11], 4.0
	v_mul_f64 v[12:13], v[12:13], 4.0
; %bb.84:
	s_or_b64 exec, exec, s[22:23]
.LBB163_85:
	s_andn2_saveexec_b64 s[2:3], s[2:3]
; %bb.86:
	v_ldexp_f64 v[10:11], v[10:11], -2
	v_ldexp_f64 v[12:13], v[12:13], -2
	s_andn2_b64 s[20:21], s[20:21], exec
; %bb.87:
	s_or_b64 exec, exec, s[2:3]
	v_max_f64 v[18:19], |v[12:13]|, |v[12:13]|
	v_max_f64 v[20:21], |v[10:11]|, |v[10:11]|
	v_max_f64 v[18:19], v[20:21], v[18:19]
	v_frexp_exp_i32_f64_e32 v26, v[18:19]
	v_sub_u32_e32 v20, 0, v26
	v_ldexp_f64 v[18:19], |v[10:11]|, v20
	v_ldexp_f64 v[20:21], |v[12:13]|, v20
	v_mul_f64 v[20:21], v[20:21], v[20:21]
	v_fmac_f64_e32 v[20:21], v[18:19], v[18:19]
	v_rsq_f64_e32 v[18:19], v[20:21]
	v_cmp_eq_f64_e64 s[2:3], 0, v[20:21]
	s_movk_i32 s7, 0x204
	v_cmp_class_f64_e64 s[22:23], v[12:13], s7
	v_mul_f64 v[22:23], v[20:21], v[18:19]
	v_mul_f64 v[18:19], v[18:19], 0.5
	v_fma_f64 v[24:25], -v[18:19], v[22:23], 0.5
	v_fmac_f64_e32 v[22:23], v[22:23], v[24:25]
	v_fmac_f64_e32 v[18:19], v[18:19], v[24:25]
	v_fma_f64 v[24:25], -v[22:23], v[22:23], v[20:21]
	v_fmac_f64_e32 v[22:23], v[24:25], v[18:19]
	v_cndmask_b32_e64 v19, v23, v21, s[2:3]
	v_cndmask_b32_e64 v18, v22, v20, s[2:3]
	v_ldexp_f64 v[18:19], v[18:19], v26
	v_cmp_o_f64_e64 s[2:3], v[12:13], v[12:13]
	v_mov_b32_e32 v20, 0x7ff80000
	v_cmp_le_f64_e32 vcc, 0, v[10:11]
	v_cndmask_b32_e64 v18, 0, v18, s[2:3]
	v_cndmask_b32_e64 v19, v20, v19, s[2:3]
	v_cmp_class_f64_e64 s[2:3], v[10:11], s7
	v_mov_b32_e32 v20, 0x7ff00000
	s_or_b64 s[2:3], s[22:23], s[2:3]
	v_cndmask_b32_e64 v23, v19, v20, s[2:3]
	v_cndmask_b32_e64 v22, v18, 0, s[2:3]
                                        ; implicit-def: $vgpr18_vgpr19
                                        ; implicit-def: $vgpr20_vgpr21
	s_and_saveexec_b64 s[2:3], vcc
	s_xor_b64 s[2:3], exec, s[2:3]
	s_cbranch_execz .LBB163_89
; %bb.88:
	v_add_f64 v[10:11], v[10:11], v[22:23]
	s_mov_b32 s22, 0
	v_mul_f64 v[10:11], v[10:11], 0.5
	s_brev_b32 s23, 8
	v_mov_b32_e32 v18, 0x100
	v_cmp_gt_f64_e32 vcc, s[22:23], v[10:11]
	s_nop 1
	v_cndmask_b32_e32 v18, 0, v18, vcc
	v_ldexp_f64 v[10:11], v[10:11], v18
	v_rsq_f64_e32 v[18:19], v[10:11]
	s_nop 0
	v_mul_f64 v[20:21], v[10:11], v[18:19]
	v_mul_f64 v[18:19], v[18:19], 0.5
	v_fma_f64 v[22:23], -v[18:19], v[20:21], 0.5
	v_fmac_f64_e32 v[20:21], v[20:21], v[22:23]
	v_fma_f64 v[24:25], -v[20:21], v[20:21], v[10:11]
	v_fmac_f64_e32 v[18:19], v[18:19], v[22:23]
	v_fmac_f64_e32 v[20:21], v[24:25], v[18:19]
	v_fma_f64 v[22:23], -v[20:21], v[20:21], v[10:11]
	v_fmac_f64_e32 v[20:21], v[22:23], v[18:19]
	v_mov_b32_e32 v18, 0xffffff80
	v_cndmask_b32_e32 v18, 0, v18, vcc
	v_ldexp_f64 v[18:19], v[20:21], v18
	v_mov_b32_e32 v20, 0x260
	v_cmp_class_f64_e32 vcc, v[10:11], v20
	s_nop 1
	v_cndmask_b32_e32 v21, v19, v11, vcc
	v_cndmask_b32_e32 v20, v18, v10, vcc
	v_add_f64 v[10:11], v[20:21], v[20:21]
	v_div_scale_f64 v[18:19], s[22:23], v[10:11], v[10:11], v[12:13]
	v_rcp_f64_e32 v[22:23], v[18:19]
	s_nop 0
	v_fma_f64 v[24:25], -v[18:19], v[22:23], 1.0
	v_fmac_f64_e32 v[22:23], v[22:23], v[24:25]
	v_fma_f64 v[24:25], -v[18:19], v[22:23], 1.0
	v_fmac_f64_e32 v[22:23], v[22:23], v[24:25]
	v_div_scale_f64 v[24:25], vcc, v[12:13], v[10:11], v[12:13]
	v_mul_f64 v[26:27], v[24:25], v[22:23]
	v_fma_f64 v[18:19], -v[18:19], v[26:27], v[24:25]
	s_nop 1
	v_div_fmas_f64 v[18:19], v[18:19], v[22:23], v[26:27]
	v_div_fixup_f64 v[18:19], v[18:19], v[10:11], v[12:13]
                                        ; implicit-def: $vgpr22_vgpr23
                                        ; implicit-def: $vgpr10_vgpr11
	s_andn2_saveexec_b64 s[2:3], s[2:3]
	s_cbranch_execz .LBB163_91
	s_branch .LBB163_90
.LBB163_89:
	s_andn2_saveexec_b64 s[2:3], s[2:3]
	s_cbranch_execz .LBB163_91
.LBB163_90:
	v_add_f64 v[10:11], v[22:23], -v[10:11]
	s_mov_b32 s22, 0
	v_mul_f64 v[10:11], v[10:11], 0.5
	s_brev_b32 s23, 8
	v_mov_b32_e32 v18, 0x100
	v_cmp_gt_f64_e32 vcc, s[22:23], v[10:11]
	s_brev_b32 s7, -2
	s_nop 0
	v_cndmask_b32_e32 v18, 0, v18, vcc
	v_ldexp_f64 v[10:11], v[10:11], v18
	v_rsq_f64_e32 v[18:19], v[10:11]
	s_nop 0
	v_mul_f64 v[20:21], v[10:11], v[18:19]
	v_mul_f64 v[18:19], v[18:19], 0.5
	v_fma_f64 v[22:23], -v[18:19], v[20:21], 0.5
	v_fmac_f64_e32 v[20:21], v[20:21], v[22:23]
	v_fma_f64 v[24:25], -v[20:21], v[20:21], v[10:11]
	v_fmac_f64_e32 v[18:19], v[18:19], v[22:23]
	v_fmac_f64_e32 v[20:21], v[24:25], v[18:19]
	v_fma_f64 v[22:23], -v[20:21], v[20:21], v[10:11]
	v_fmac_f64_e32 v[20:21], v[22:23], v[18:19]
	v_mov_b32_e32 v18, 0xffffff80
	v_cndmask_b32_e32 v18, 0, v18, vcc
	v_ldexp_f64 v[18:19], v[20:21], v18
	v_mov_b32_e32 v20, 0x260
	v_cmp_class_f64_e32 vcc, v[10:11], v20
	v_and_b32_e32 v21, 0x7fffffff, v13
	v_mov_b32_e32 v20, v12
	v_cndmask_b32_e32 v19, v19, v11, vcc
	v_cndmask_b32_e32 v18, v18, v10, vcc
	v_add_f64 v[10:11], v[18:19], v[18:19]
	v_div_scale_f64 v[22:23], s[22:23], v[10:11], v[10:11], v[20:21]
	v_rcp_f64_e32 v[24:25], v[22:23]
	v_div_scale_f64 v[20:21], vcc, v[20:21], v[10:11], v[20:21]
	v_bfi_b32 v19, s7, v19, v13
	v_fma_f64 v[26:27], -v[22:23], v[24:25], 1.0
	v_fmac_f64_e32 v[24:25], v[24:25], v[26:27]
	v_fma_f64 v[26:27], -v[22:23], v[24:25], 1.0
	v_fmac_f64_e32 v[24:25], v[24:25], v[26:27]
	v_mul_f64 v[26:27], v[20:21], v[24:25]
	v_fma_f64 v[20:21], -v[22:23], v[26:27], v[20:21]
	v_div_fmas_f64 v[20:21], v[20:21], v[24:25], v[26:27]
	v_div_fixup_f64 v[20:21], v[20:21], v[10:11], |v[12:13]|
.LBB163_91:
	s_or_b64 exec, exec, s[2:3]
                                        ; implicit-def: $vgpr12_vgpr13
                                        ; implicit-def: $vgpr22_vgpr23
	s_and_saveexec_b64 s[2:3], s[0:1]
	s_xor_b64 s[0:1], exec, s[2:3]
	s_cbranch_execz .LBB163_93
; %bb.92:
	v_mul_f64 v[10:11], v[20:21], 0.5
	v_mul_f64 v[12:13], v[18:19], 0.5
	v_cndmask_b32_e64 v23, v21, v11, s[20:21]
	v_cndmask_b32_e64 v22, v20, v10, s[20:21]
	;; [unrolled: 1-line block ×4, first 2 shown]
                                        ; implicit-def: $vgpr20_vgpr21
                                        ; implicit-def: $vgpr18_vgpr19
	s_andn2_saveexec_b64 s[0:1], s[0:1]
	s_cbranch_execnz .LBB163_94
	s_branch .LBB163_95
.LBB163_93:
	s_andn2_saveexec_b64 s[0:1], s[0:1]
.LBB163_94:
	v_add_f64 v[22:23], v[20:21], v[20:21]
	v_add_f64 v[12:13], v[18:19], v[18:19]
.LBB163_95:
	s_or_b64 exec, exec, s[0:1]
.LBB163_96:
	s_andn2_saveexec_b64 s[0:1], s[18:19]
	s_cbranch_execz .LBB163_102
; %bb.97:
	v_add_f64 v[18:19], v[12:13], -v[12:13]
	v_cmp_lt_i64_e32 vcc, -1, v[10:11]
	s_brev_b32 s7, -2
	v_and_b32_e32 v23, 0x7fffffff, v19
	v_mov_b32_e32 v22, v18
	s_and_saveexec_b64 s[2:3], vcc
	s_xor_b64 s[2:3], exec, s[2:3]
; %bb.98:
	v_bfi_b32 v19, s7, v19, v13
	v_mov_b64_e32 v[12:13], v[18:19]
	v_mov_b64_e32 v[22:23], v[10:11]
; %bb.99:
	s_andn2_saveexec_b64 s[2:3], s[2:3]
; %bb.100:
	v_bfi_b32 v11, s7, v11, v13
	v_mov_b64_e32 v[12:13], v[10:11]
; %bb.101:
	s_or_b64 exec, exec, s[2:3]
.LBB163_102:
	s_or_b64 exec, exec, s[0:1]
.LBB163_103:
	s_andn2_saveexec_b64 s[0:1], s[16:17]
	s_cbranch_execz .LBB163_105
; %bb.104:
	v_add_f64 v[12:13], v[12:13], -v[12:13]
	v_div_scale_f64 v[18:19], vcc, v[12:13], v[12:13], v[12:13]
	v_rcp_f64_e32 v[20:21], v[18:19]
	s_nop 0
	v_fma_f64 v[22:23], -v[18:19], v[20:21], 1.0
	v_fmac_f64_e32 v[20:21], v[20:21], v[22:23]
	v_fma_f64 v[22:23], -v[18:19], v[20:21], 1.0
	v_fmac_f64_e32 v[20:21], v[20:21], v[22:23]
	v_mul_f64 v[22:23], v[18:19], v[20:21]
	v_fma_f64 v[18:19], -v[18:19], v[22:23], v[18:19]
	v_div_fmas_f64 v[18:19], v[18:19], v[20:21], v[22:23]
	v_div_fixup_f64 v[12:13], v[18:19], v[12:13], v[12:13]
	v_mov_b64_e32 v[22:23], v[10:11]
.LBB163_105:
	s_or_b64 exec, exec, s[0:1]
.LBB163_106:
	s_or_b64 exec, exec, s[14:15]
.LBB163_107:
	s_or_b64 exec, exec, s[12:13]
	v_xor_b32_e32 v10, 0x80000000, v23
	v_cmp_gt_f64_e32 vcc, 0, v[22:23]
	v_mov_b32_e32 v24, v22
                                        ; implicit-def: $vgpr20_vgpr21
	s_nop 0
	v_cndmask_b32_e32 v25, v23, v10, vcc
	v_xor_b32_e32 v10, 0x80000000, v13
	v_cmp_gt_f64_e32 vcc, 0, v[12:13]
	s_nop 1
	v_cndmask_b32_e32 v11, v13, v10, vcc
	v_mov_b32_e32 v10, v12
	v_cmp_ge_f64_e32 vcc, v[24:25], v[10:11]
	s_and_saveexec_b64 s[0:1], vcc
	s_xor_b64 s[2:3], exec, s[0:1]
	s_cbranch_execz .LBB163_113
; %bb.108:
	v_cmp_neq_f64_e32 vcc, 0, v[22:23]
	v_cmp_neq_f64_e64 s[0:1], 0, v[12:13]
	s_or_b64 s[0:1], vcc, s[0:1]
                                        ; implicit-def: $vgpr20_vgpr21
	s_and_saveexec_b64 s[12:13], s[0:1]
	s_xor_b64 s[0:1], exec, s[12:13]
	s_cbranch_execz .LBB163_110
; %bb.109:
	v_div_scale_f64 v[10:11], s[12:13], v[22:23], v[22:23], v[12:13]
	v_rcp_f64_e32 v[18:19], v[10:11]
	v_div_scale_f64 v[20:21], vcc, v[12:13], v[22:23], v[12:13]
	v_fma_f64 v[24:25], -v[10:11], v[18:19], 1.0
	v_fmac_f64_e32 v[18:19], v[18:19], v[24:25]
	v_fma_f64 v[24:25], -v[10:11], v[18:19], 1.0
	v_fmac_f64_e32 v[18:19], v[18:19], v[24:25]
	v_mul_f64 v[24:25], v[20:21], v[18:19]
	v_fma_f64 v[10:11], -v[10:11], v[24:25], v[20:21]
	v_div_fmas_f64 v[10:11], v[10:11], v[18:19], v[24:25]
	v_div_fixup_f64 v[10:11], v[10:11], v[22:23], v[12:13]
	v_fmac_f64_e32 v[22:23], v[12:13], v[10:11]
	v_div_scale_f64 v[12:13], s[12:13], v[22:23], v[22:23], 1.0
	v_rcp_f64_e32 v[18:19], v[12:13]
	s_nop 0
	v_fma_f64 v[20:21], -v[12:13], v[18:19], 1.0
	v_fmac_f64_e32 v[18:19], v[18:19], v[20:21]
	v_fma_f64 v[20:21], -v[12:13], v[18:19], 1.0
	v_fmac_f64_e32 v[18:19], v[18:19], v[20:21]
	v_div_scale_f64 v[20:21], vcc, 1.0, v[22:23], 1.0
	v_mul_f64 v[24:25], v[20:21], v[18:19]
	v_fma_f64 v[12:13], -v[12:13], v[24:25], v[20:21]
	s_nop 1
	v_div_fmas_f64 v[12:13], v[12:13], v[18:19], v[24:25]
	v_div_fixup_f64 v[12:13], v[12:13], v[22:23], 1.0
	v_fma_f64 v[18:19], v[10:11], 0, 1.0
	v_add_f64 v[10:11], -v[10:11], 0
	v_mul_f64 v[18:19], v[18:19], v[12:13]
	v_mul_f64 v[20:21], v[10:11], v[12:13]
                                        ; implicit-def: $vgpr24_vgpr25
                                        ; implicit-def: $vgpr10_vgpr11
.LBB163_110:
	s_andn2_saveexec_b64 s[0:1], s[0:1]
	s_cbranch_execz .LBB163_112
; %bb.111:
	v_div_scale_f64 v[12:13], s[12:13], v[24:25], v[24:25], 1.0
	v_rcp_f64_e32 v[18:19], v[12:13]
	v_div_scale_f64 v[20:21], vcc, 1.0, v[24:25], 1.0
	v_fma_f64 v[22:23], -v[12:13], v[18:19], 1.0
	v_fmac_f64_e32 v[18:19], v[18:19], v[22:23]
	v_fma_f64 v[22:23], -v[12:13], v[18:19], 1.0
	v_fmac_f64_e32 v[18:19], v[18:19], v[22:23]
	v_mul_f64 v[22:23], v[20:21], v[18:19]
	v_fma_f64 v[12:13], -v[12:13], v[22:23], v[20:21]
	v_div_scale_f64 v[20:21], s[12:13], v[10:11], v[10:11], 0
	v_rcp_f64_e32 v[26:27], v[20:21]
	v_div_fmas_f64 v[12:13], v[12:13], v[18:19], v[22:23]
	v_div_fixup_f64 v[18:19], v[12:13], v[24:25], 1.0
	v_fma_f64 v[12:13], -v[20:21], v[26:27], 1.0
	v_fmac_f64_e32 v[26:27], v[26:27], v[12:13]
	v_fma_f64 v[12:13], -v[20:21], v[26:27], 1.0
	v_fmac_f64_e32 v[26:27], v[26:27], v[12:13]
	v_div_scale_f64 v[12:13], vcc, 0, v[10:11], 0
	v_mul_f64 v[22:23], v[12:13], v[26:27]
	v_fma_f64 v[12:13], -v[20:21], v[22:23], v[12:13]
	s_nop 1
	v_div_fmas_f64 v[12:13], v[12:13], v[26:27], v[22:23]
	v_div_fixup_f64 v[20:21], v[12:13], v[10:11], 0
.LBB163_112:
	s_or_b64 exec, exec, s[0:1]
                                        ; implicit-def: $vgpr12_vgpr13
                                        ; implicit-def: $vgpr22_vgpr23
.LBB163_113:
	s_andn2_saveexec_b64 s[0:1], s[2:3]
	s_cbranch_execz .LBB163_115
; %bb.114:
	v_div_scale_f64 v[10:11], s[2:3], v[12:13], v[12:13], v[22:23]
	v_rcp_f64_e32 v[18:19], v[10:11]
	v_div_scale_f64 v[20:21], vcc, v[22:23], v[12:13], v[22:23]
	v_fma_f64 v[24:25], -v[10:11], v[18:19], 1.0
	v_fmac_f64_e32 v[18:19], v[18:19], v[24:25]
	v_fma_f64 v[24:25], -v[10:11], v[18:19], 1.0
	v_fmac_f64_e32 v[18:19], v[18:19], v[24:25]
	v_mul_f64 v[24:25], v[20:21], v[18:19]
	v_fma_f64 v[10:11], -v[10:11], v[24:25], v[20:21]
	v_div_fmas_f64 v[10:11], v[10:11], v[18:19], v[24:25]
	v_div_fixup_f64 v[10:11], v[10:11], v[12:13], v[22:23]
	v_fmac_f64_e32 v[12:13], v[22:23], v[10:11]
	v_div_scale_f64 v[18:19], s[2:3], v[12:13], v[12:13], 1.0
	v_rcp_f64_e32 v[20:21], v[18:19]
	s_nop 0
	v_fma_f64 v[22:23], -v[18:19], v[20:21], 1.0
	v_fmac_f64_e32 v[20:21], v[20:21], v[22:23]
	v_fma_f64 v[22:23], -v[18:19], v[20:21], 1.0
	v_fmac_f64_e32 v[20:21], v[20:21], v[22:23]
	v_div_scale_f64 v[22:23], vcc, 1.0, v[12:13], 1.0
	v_mul_f64 v[24:25], v[22:23], v[20:21]
	v_fma_f64 v[18:19], -v[18:19], v[24:25], v[22:23]
	s_nop 1
	v_div_fmas_f64 v[18:19], v[18:19], v[20:21], v[24:25]
	v_div_fixup_f64 v[12:13], v[18:19], v[12:13], 1.0
	v_add_f64 v[18:19], v[10:11], 0
	v_fma_f64 v[10:11], v[10:11], 0, -1.0
	v_mul_f64 v[18:19], v[18:19], v[12:13]
	v_mul_f64 v[20:21], v[10:11], v[12:13]
.LBB163_115:
	s_or_b64 exec, exec, s[0:1]
	v_cmp_neq_f64_e32 vcc, 0, v[2:3]
	v_cmp_neq_f64_e64 s[0:1], 0, v[4:5]
	v_mov_b64_e32 v[22:23], 0
	s_or_b64 s[0:1], vcc, s[0:1]
	s_and_saveexec_b64 s[12:13], s[0:1]
	s_cbranch_execz .LBB163_145
; %bb.116:
	v_mov_b32_e32 v22, 0
	v_mov_b32_e32 v23, 0x7ff00000
	v_cmp_neq_f64_e64 s[0:1], |v[4:5]|, v[22:23]
	s_and_saveexec_b64 s[14:15], s[0:1]
	s_cbranch_execz .LBB163_144
; %bb.117:
	v_cmp_o_f64_e32 vcc, v[2:3], v[2:3]
                                        ; implicit-def: $vgpr22_vgpr23
	s_and_saveexec_b64 s[0:1], vcc
	s_xor_b64 s[16:17], exec, s[0:1]
	s_cbranch_execz .LBB163_141
; %bb.118:
	s_mov_b32 s0, 0
	s_mov_b32 s1, 0x7ff00000
	v_cmp_neq_f64_e64 s[0:1], |v[2:3]|, s[0:1]
                                        ; implicit-def: $vgpr22_vgpr23
	s_and_saveexec_b64 s[2:3], s[0:1]
	s_xor_b64 s[18:19], exec, s[2:3]
	s_cbranch_execz .LBB163_134
; %bb.119:
	v_max_f64 v[10:11], |v[4:5]|, |v[4:5]|
	v_max_f64 v[12:13], |v[2:3]|, |v[2:3]|
	s_mov_b32 s0, 0x99fcef32
	v_max_f64 v[10:11], v[12:13], v[10:11]
	s_mov_b32 s1, 0x7fda8279
	v_cmp_nle_f64_e64 s[0:1], s[0:1], v[10:11]
                                        ; implicit-def: $sgpr20_sgpr21
	s_and_saveexec_b64 s[2:3], s[0:1]
	s_xor_b64 s[2:3], exec, s[2:3]
	s_cbranch_execz .LBB163_123
; %bb.120:
	s_mov_b32 s20, 0
	s_mov_b32 s21, 0x200000
	v_cmp_le_f64_e64 s[22:23], |v[2:3]|, s[20:21]
	v_cmp_le_f64_e64 s[20:21], |v[4:5]|, s[20:21]
	s_and_b64 s[26:27], s[22:23], s[20:21]
	s_mov_b64 s[20:21], 0
	s_and_saveexec_b64 s[22:23], s[26:27]
; %bb.121:
	s_mov_b64 s[20:21], exec
	v_mul_f64 v[2:3], v[2:3], 4.0
	v_mul_f64 v[4:5], v[4:5], 4.0
; %bb.122:
	s_or_b64 exec, exec, s[22:23]
.LBB163_123:
	s_andn2_saveexec_b64 s[2:3], s[2:3]
; %bb.124:
	v_ldexp_f64 v[2:3], v[2:3], -2
	v_ldexp_f64 v[4:5], v[4:5], -2
	s_andn2_b64 s[20:21], s[20:21], exec
; %bb.125:
	s_or_b64 exec, exec, s[2:3]
	v_max_f64 v[10:11], |v[4:5]|, |v[4:5]|
	v_max_f64 v[12:13], |v[2:3]|, |v[2:3]|
	v_max_f64 v[10:11], v[12:13], v[10:11]
	v_frexp_exp_i32_f64_e32 v26, v[10:11]
	v_sub_u32_e32 v12, 0, v26
	v_ldexp_f64 v[10:11], |v[2:3]|, v12
	v_ldexp_f64 v[12:13], |v[4:5]|, v12
	v_mul_f64 v[12:13], v[12:13], v[12:13]
	v_fmac_f64_e32 v[12:13], v[10:11], v[10:11]
	v_rsq_f64_e32 v[10:11], v[12:13]
	v_cmp_eq_f64_e64 s[2:3], 0, v[12:13]
	s_movk_i32 s7, 0x204
	v_cmp_class_f64_e64 s[22:23], v[4:5], s7
	v_mul_f64 v[22:23], v[12:13], v[10:11]
	v_mul_f64 v[10:11], v[10:11], 0.5
	v_fma_f64 v[24:25], -v[10:11], v[22:23], 0.5
	v_fmac_f64_e32 v[22:23], v[22:23], v[24:25]
	v_fmac_f64_e32 v[10:11], v[10:11], v[24:25]
	v_fma_f64 v[24:25], -v[22:23], v[22:23], v[12:13]
	v_fmac_f64_e32 v[22:23], v[24:25], v[10:11]
	v_cndmask_b32_e64 v11, v23, v13, s[2:3]
	v_cndmask_b32_e64 v10, v22, v12, s[2:3]
	v_ldexp_f64 v[10:11], v[10:11], v26
	v_cmp_o_f64_e64 s[2:3], v[4:5], v[4:5]
	v_mov_b32_e32 v12, 0x7ff80000
	v_cmp_le_f64_e32 vcc, 0, v[2:3]
	v_cndmask_b32_e64 v10, 0, v10, s[2:3]
	v_cndmask_b32_e64 v11, v12, v11, s[2:3]
	v_cmp_class_f64_e64 s[2:3], v[2:3], s7
	v_mov_b32_e32 v12, 0x7ff00000
	s_or_b64 s[2:3], s[22:23], s[2:3]
	v_cndmask_b32_e64 v23, v11, v12, s[2:3]
	v_cndmask_b32_e64 v22, v10, 0, s[2:3]
                                        ; implicit-def: $vgpr10_vgpr11
                                        ; implicit-def: $vgpr12_vgpr13
	s_and_saveexec_b64 s[2:3], vcc
	s_xor_b64 s[2:3], exec, s[2:3]
	s_cbranch_execz .LBB163_127
; %bb.126:
	v_add_f64 v[2:3], v[2:3], v[22:23]
	s_mov_b32 s22, 0
	v_mul_f64 v[2:3], v[2:3], 0.5
	s_brev_b32 s23, 8
	v_mov_b32_e32 v10, 0x100
	v_cmp_gt_f64_e32 vcc, s[22:23], v[2:3]
	s_nop 1
	v_cndmask_b32_e32 v10, 0, v10, vcc
	v_ldexp_f64 v[2:3], v[2:3], v10
	v_rsq_f64_e32 v[10:11], v[2:3]
	s_nop 0
	v_mul_f64 v[12:13], v[2:3], v[10:11]
	v_mul_f64 v[10:11], v[10:11], 0.5
	v_fma_f64 v[22:23], -v[10:11], v[12:13], 0.5
	v_fmac_f64_e32 v[12:13], v[12:13], v[22:23]
	v_fma_f64 v[24:25], -v[12:13], v[12:13], v[2:3]
	v_fmac_f64_e32 v[10:11], v[10:11], v[22:23]
	v_fmac_f64_e32 v[12:13], v[24:25], v[10:11]
	v_fma_f64 v[22:23], -v[12:13], v[12:13], v[2:3]
	v_fmac_f64_e32 v[12:13], v[22:23], v[10:11]
	v_mov_b32_e32 v10, 0xffffff80
	v_cndmask_b32_e32 v10, 0, v10, vcc
	v_ldexp_f64 v[10:11], v[12:13], v10
	v_mov_b32_e32 v12, 0x260
	v_cmp_class_f64_e32 vcc, v[2:3], v12
	s_nop 1
	v_cndmask_b32_e32 v13, v11, v3, vcc
	v_cndmask_b32_e32 v12, v10, v2, vcc
	v_add_f64 v[2:3], v[12:13], v[12:13]
	v_div_scale_f64 v[10:11], s[22:23], v[2:3], v[2:3], v[4:5]
	v_rcp_f64_e32 v[22:23], v[10:11]
	s_nop 0
	v_fma_f64 v[24:25], -v[10:11], v[22:23], 1.0
	v_fmac_f64_e32 v[22:23], v[22:23], v[24:25]
	v_fma_f64 v[24:25], -v[10:11], v[22:23], 1.0
	v_fmac_f64_e32 v[22:23], v[22:23], v[24:25]
	v_div_scale_f64 v[24:25], vcc, v[4:5], v[2:3], v[4:5]
	v_mul_f64 v[26:27], v[24:25], v[22:23]
	v_fma_f64 v[10:11], -v[10:11], v[26:27], v[24:25]
	s_nop 1
	v_div_fmas_f64 v[10:11], v[10:11], v[22:23], v[26:27]
	v_div_fixup_f64 v[10:11], v[10:11], v[2:3], v[4:5]
                                        ; implicit-def: $vgpr22_vgpr23
                                        ; implicit-def: $vgpr2_vgpr3
	s_andn2_saveexec_b64 s[2:3], s[2:3]
	s_cbranch_execz .LBB163_129
	s_branch .LBB163_128
.LBB163_127:
	s_andn2_saveexec_b64 s[2:3], s[2:3]
	s_cbranch_execz .LBB163_129
.LBB163_128:
	v_add_f64 v[2:3], v[22:23], -v[2:3]
	s_mov_b32 s22, 0
	v_mul_f64 v[2:3], v[2:3], 0.5
	s_brev_b32 s23, 8
	v_mov_b32_e32 v10, 0x100
	v_cmp_gt_f64_e32 vcc, s[22:23], v[2:3]
	s_brev_b32 s7, -2
	s_nop 0
	v_cndmask_b32_e32 v10, 0, v10, vcc
	v_ldexp_f64 v[2:3], v[2:3], v10
	v_rsq_f64_e32 v[10:11], v[2:3]
	s_nop 0
	v_mul_f64 v[12:13], v[2:3], v[10:11]
	v_mul_f64 v[10:11], v[10:11], 0.5
	v_fma_f64 v[22:23], -v[10:11], v[12:13], 0.5
	v_fmac_f64_e32 v[12:13], v[12:13], v[22:23]
	v_fma_f64 v[24:25], -v[12:13], v[12:13], v[2:3]
	v_fmac_f64_e32 v[10:11], v[10:11], v[22:23]
	v_fmac_f64_e32 v[12:13], v[24:25], v[10:11]
	v_fma_f64 v[22:23], -v[12:13], v[12:13], v[2:3]
	v_fmac_f64_e32 v[12:13], v[22:23], v[10:11]
	v_mov_b32_e32 v10, 0xffffff80
	v_cndmask_b32_e32 v10, 0, v10, vcc
	v_ldexp_f64 v[10:11], v[12:13], v10
	v_mov_b32_e32 v12, 0x260
	v_cmp_class_f64_e32 vcc, v[2:3], v12
	v_and_b32_e32 v13, 0x7fffffff, v5
	v_mov_b32_e32 v12, v4
	v_cndmask_b32_e32 v11, v11, v3, vcc
	v_cndmask_b32_e32 v10, v10, v2, vcc
	v_add_f64 v[2:3], v[10:11], v[10:11]
	v_div_scale_f64 v[22:23], s[22:23], v[2:3], v[2:3], v[12:13]
	v_rcp_f64_e32 v[24:25], v[22:23]
	v_div_scale_f64 v[12:13], vcc, v[12:13], v[2:3], v[12:13]
	v_bfi_b32 v11, s7, v11, v5
	v_fma_f64 v[26:27], -v[22:23], v[24:25], 1.0
	v_fmac_f64_e32 v[24:25], v[24:25], v[26:27]
	v_fma_f64 v[26:27], -v[22:23], v[24:25], 1.0
	v_fmac_f64_e32 v[24:25], v[24:25], v[26:27]
	v_mul_f64 v[26:27], v[12:13], v[24:25]
	v_fma_f64 v[12:13], -v[22:23], v[26:27], v[12:13]
	v_div_fmas_f64 v[12:13], v[12:13], v[24:25], v[26:27]
	v_div_fixup_f64 v[12:13], v[12:13], v[2:3], |v[4:5]|
.LBB163_129:
	s_or_b64 exec, exec, s[2:3]
                                        ; implicit-def: $vgpr4_vgpr5
                                        ; implicit-def: $vgpr22_vgpr23
	s_and_saveexec_b64 s[2:3], s[0:1]
	s_xor_b64 s[0:1], exec, s[2:3]
	s_cbranch_execz .LBB163_131
; %bb.130:
	v_mul_f64 v[2:3], v[12:13], 0.5
	v_mul_f64 v[4:5], v[10:11], 0.5
	v_cndmask_b32_e64 v23, v13, v3, s[20:21]
	v_cndmask_b32_e64 v22, v12, v2, s[20:21]
	;; [unrolled: 1-line block ×4, first 2 shown]
                                        ; implicit-def: $vgpr12_vgpr13
                                        ; implicit-def: $vgpr10_vgpr11
	s_andn2_saveexec_b64 s[0:1], s[0:1]
	s_cbranch_execnz .LBB163_132
	s_branch .LBB163_133
.LBB163_131:
	s_andn2_saveexec_b64 s[0:1], s[0:1]
.LBB163_132:
	v_add_f64 v[22:23], v[12:13], v[12:13]
	v_add_f64 v[4:5], v[10:11], v[10:11]
.LBB163_133:
	s_or_b64 exec, exec, s[0:1]
.LBB163_134:
	s_andn2_saveexec_b64 s[0:1], s[18:19]
	s_cbranch_execz .LBB163_140
; %bb.135:
	v_add_f64 v[10:11], v[4:5], -v[4:5]
	v_cmp_lt_i64_e32 vcc, -1, v[2:3]
	s_brev_b32 s7, -2
	v_and_b32_e32 v23, 0x7fffffff, v11
	v_mov_b32_e32 v22, v10
	s_and_saveexec_b64 s[2:3], vcc
	s_xor_b64 s[2:3], exec, s[2:3]
; %bb.136:
	v_bfi_b32 v11, s7, v11, v5
	v_mov_b64_e32 v[4:5], v[10:11]
	v_mov_b64_e32 v[22:23], v[2:3]
; %bb.137:
	s_andn2_saveexec_b64 s[2:3], s[2:3]
; %bb.138:
	v_bfi_b32 v3, s7, v3, v5
	v_mov_b64_e32 v[4:5], v[2:3]
; %bb.139:
	s_or_b64 exec, exec, s[2:3]
.LBB163_140:
	s_or_b64 exec, exec, s[0:1]
.LBB163_141:
	s_andn2_saveexec_b64 s[0:1], s[16:17]
	s_cbranch_execz .LBB163_143
; %bb.142:
	v_add_f64 v[4:5], v[4:5], -v[4:5]
	v_div_scale_f64 v[10:11], vcc, v[4:5], v[4:5], v[4:5]
	v_rcp_f64_e32 v[12:13], v[10:11]
	s_nop 0
	v_fma_f64 v[22:23], -v[10:11], v[12:13], 1.0
	v_fmac_f64_e32 v[12:13], v[12:13], v[22:23]
	v_fma_f64 v[22:23], -v[10:11], v[12:13], 1.0
	v_fmac_f64_e32 v[12:13], v[12:13], v[22:23]
	v_mul_f64 v[22:23], v[10:11], v[12:13]
	v_fma_f64 v[10:11], -v[10:11], v[22:23], v[10:11]
	v_div_fmas_f64 v[10:11], v[10:11], v[12:13], v[22:23]
	v_div_fixup_f64 v[4:5], v[10:11], v[4:5], v[4:5]
	v_mov_b64_e32 v[22:23], v[2:3]
.LBB163_143:
	s_or_b64 exec, exec, s[0:1]
.LBB163_144:
	s_or_b64 exec, exec, s[14:15]
.LBB163_145:
	s_or_b64 exec, exec, s[12:13]
	v_xor_b32_e32 v2, 0x80000000, v23
	v_cmp_gt_f64_e32 vcc, 0, v[22:23]
	v_mov_b32_e32 v24, v22
                                        ; implicit-def: $vgpr12_vgpr13
	s_nop 0
	v_cndmask_b32_e32 v25, v23, v2, vcc
	v_xor_b32_e32 v2, 0x80000000, v5
	v_cmp_gt_f64_e32 vcc, 0, v[4:5]
	s_nop 1
	v_cndmask_b32_e32 v3, v5, v2, vcc
	v_mov_b32_e32 v2, v4
	v_cmp_ge_f64_e32 vcc, v[24:25], v[2:3]
	s_and_saveexec_b64 s[0:1], vcc
	s_xor_b64 s[2:3], exec, s[0:1]
	s_cbranch_execz .LBB163_151
; %bb.146:
	v_cmp_neq_f64_e32 vcc, 0, v[22:23]
	v_cmp_neq_f64_e64 s[0:1], 0, v[4:5]
	s_or_b64 s[0:1], vcc, s[0:1]
                                        ; implicit-def: $vgpr12_vgpr13
	s_and_saveexec_b64 s[12:13], s[0:1]
	s_xor_b64 s[0:1], exec, s[12:13]
	s_cbranch_execz .LBB163_148
; %bb.147:
	v_div_scale_f64 v[2:3], s[12:13], v[22:23], v[22:23], v[4:5]
	v_rcp_f64_e32 v[10:11], v[2:3]
	v_div_scale_f64 v[12:13], vcc, v[4:5], v[22:23], v[4:5]
	v_fma_f64 v[24:25], -v[2:3], v[10:11], 1.0
	v_fmac_f64_e32 v[10:11], v[10:11], v[24:25]
	v_fma_f64 v[24:25], -v[2:3], v[10:11], 1.0
	v_fmac_f64_e32 v[10:11], v[10:11], v[24:25]
	v_mul_f64 v[24:25], v[12:13], v[10:11]
	v_fma_f64 v[2:3], -v[2:3], v[24:25], v[12:13]
	v_div_fmas_f64 v[2:3], v[2:3], v[10:11], v[24:25]
	v_div_fixup_f64 v[2:3], v[2:3], v[22:23], v[4:5]
	v_fmac_f64_e32 v[22:23], v[4:5], v[2:3]
	v_div_scale_f64 v[4:5], s[12:13], v[22:23], v[22:23], 1.0
	v_rcp_f64_e32 v[10:11], v[4:5]
	s_nop 0
	v_fma_f64 v[12:13], -v[4:5], v[10:11], 1.0
	v_fmac_f64_e32 v[10:11], v[10:11], v[12:13]
	v_fma_f64 v[12:13], -v[4:5], v[10:11], 1.0
	v_fmac_f64_e32 v[10:11], v[10:11], v[12:13]
	v_div_scale_f64 v[12:13], vcc, 1.0, v[22:23], 1.0
	v_mul_f64 v[24:25], v[12:13], v[10:11]
	v_fma_f64 v[4:5], -v[4:5], v[24:25], v[12:13]
	s_nop 1
	v_div_fmas_f64 v[4:5], v[4:5], v[10:11], v[24:25]
	v_div_fixup_f64 v[4:5], v[4:5], v[22:23], 1.0
	v_fma_f64 v[10:11], v[2:3], 0, 1.0
	v_add_f64 v[2:3], -v[2:3], 0
	v_mul_f64 v[10:11], v[10:11], v[4:5]
	v_mul_f64 v[12:13], v[2:3], v[4:5]
                                        ; implicit-def: $vgpr24_vgpr25
                                        ; implicit-def: $vgpr2_vgpr3
.LBB163_148:
	s_andn2_saveexec_b64 s[0:1], s[0:1]
	s_cbranch_execz .LBB163_150
; %bb.149:
	v_div_scale_f64 v[4:5], s[12:13], v[24:25], v[24:25], 1.0
	v_rcp_f64_e32 v[10:11], v[4:5]
	v_div_scale_f64 v[12:13], vcc, 1.0, v[24:25], 1.0
	v_fma_f64 v[22:23], -v[4:5], v[10:11], 1.0
	v_fmac_f64_e32 v[10:11], v[10:11], v[22:23]
	v_fma_f64 v[22:23], -v[4:5], v[10:11], 1.0
	v_fmac_f64_e32 v[10:11], v[10:11], v[22:23]
	v_mul_f64 v[22:23], v[12:13], v[10:11]
	v_fma_f64 v[4:5], -v[4:5], v[22:23], v[12:13]
	v_div_scale_f64 v[12:13], s[12:13], v[2:3], v[2:3], 0
	v_rcp_f64_e32 v[26:27], v[12:13]
	v_div_fmas_f64 v[4:5], v[4:5], v[10:11], v[22:23]
	v_div_fixup_f64 v[10:11], v[4:5], v[24:25], 1.0
	v_fma_f64 v[4:5], -v[12:13], v[26:27], 1.0
	v_fmac_f64_e32 v[26:27], v[26:27], v[4:5]
	v_fma_f64 v[4:5], -v[12:13], v[26:27], 1.0
	v_fmac_f64_e32 v[26:27], v[26:27], v[4:5]
	v_div_scale_f64 v[4:5], vcc, 0, v[2:3], 0
	v_mul_f64 v[22:23], v[4:5], v[26:27]
	v_fma_f64 v[4:5], -v[12:13], v[22:23], v[4:5]
	s_nop 1
	v_div_fmas_f64 v[4:5], v[4:5], v[26:27], v[22:23]
	v_div_fixup_f64 v[12:13], v[4:5], v[2:3], 0
.LBB163_150:
	s_or_b64 exec, exec, s[0:1]
                                        ; implicit-def: $vgpr4_vgpr5
                                        ; implicit-def: $vgpr22_vgpr23
.LBB163_151:
	s_andn2_saveexec_b64 s[0:1], s[2:3]
	s_cbranch_execz .LBB163_153
; %bb.152:
	v_div_scale_f64 v[2:3], s[2:3], v[4:5], v[4:5], v[22:23]
	v_rcp_f64_e32 v[10:11], v[2:3]
	v_div_scale_f64 v[12:13], vcc, v[22:23], v[4:5], v[22:23]
	v_fma_f64 v[24:25], -v[2:3], v[10:11], 1.0
	v_fmac_f64_e32 v[10:11], v[10:11], v[24:25]
	v_fma_f64 v[24:25], -v[2:3], v[10:11], 1.0
	v_fmac_f64_e32 v[10:11], v[10:11], v[24:25]
	v_mul_f64 v[24:25], v[12:13], v[10:11]
	v_fma_f64 v[2:3], -v[2:3], v[24:25], v[12:13]
	v_div_fmas_f64 v[2:3], v[2:3], v[10:11], v[24:25]
	v_div_fixup_f64 v[2:3], v[2:3], v[4:5], v[22:23]
	v_fmac_f64_e32 v[4:5], v[22:23], v[2:3]
	v_div_scale_f64 v[10:11], s[2:3], v[4:5], v[4:5], 1.0
	v_rcp_f64_e32 v[12:13], v[10:11]
	s_nop 0
	v_fma_f64 v[22:23], -v[10:11], v[12:13], 1.0
	v_fmac_f64_e32 v[12:13], v[12:13], v[22:23]
	v_fma_f64 v[22:23], -v[10:11], v[12:13], 1.0
	v_fmac_f64_e32 v[12:13], v[12:13], v[22:23]
	v_div_scale_f64 v[22:23], vcc, 1.0, v[4:5], 1.0
	v_mul_f64 v[24:25], v[22:23], v[12:13]
	v_fma_f64 v[10:11], -v[10:11], v[24:25], v[22:23]
	s_nop 1
	v_div_fmas_f64 v[10:11], v[10:11], v[12:13], v[24:25]
	v_div_fixup_f64 v[4:5], v[10:11], v[4:5], 1.0
	v_add_f64 v[10:11], v[2:3], 0
	v_fma_f64 v[2:3], v[2:3], 0, -1.0
	v_mul_f64 v[10:11], v[10:11], v[4:5]
	v_mul_f64 v[12:13], v[2:3], v[4:5]
.LBB163_153:
	s_or_b64 exec, exec, s[0:1]
	s_add_u32 s0, s8, s4
	s_addc_u32 s1, s9, s5
	global_store_dwordx4 v1, v[6:9], s[0:1]
	global_store_dwordx4 v1, v[14:17], s[0:1] offset:16
	global_store_dwordx4 v1, v[18:21], s[0:1] offset:32
	;; [unrolled: 1-line block ×3, first 2 shown]
	s_mov_b64 s[0:1], 0
.LBB163_154:
	s_and_b64 vcc, exec, s[0:1]
	s_cbranch_vccz .LBB163_331
; %bb.155:
	v_cmp_gt_i32_e64 s[0:1], s24, v0
	v_mov_b64_e32 v[18:19], 0
	v_or_b32_e32 v22, s6, v0
	v_mov_b64_e32 v[14:15], 0
	v_mov_b64_e32 v[16:17], 0
	v_mov_b32_e32 v1, v0
	s_and_saveexec_b64 s[2:3], s[0:1]
	s_cbranch_execz .LBB163_157
; %bb.156:
	v_mov_b32_e32 v23, 0
	v_lshl_add_u64 v[2:3], v[22:23], 4, s[10:11]
	global_load_dwordx4 v[14:17], v[2:3], off
	v_or_b32_e32 v1, 0x100, v0
.LBB163_157:
	s_or_b64 exec, exec, s[2:3]
	v_cmp_gt_i32_e32 vcc, s24, v1
	v_mov_b64_e32 v[20:21], 0
	s_and_saveexec_b64 s[2:3], vcc
	s_cbranch_execz .LBB163_159
; %bb.158:
	v_add_u32_e32 v2, s6, v1
	v_mov_b32_e32 v3, 0
	v_lshl_add_u64 v[2:3], v[2:3], 4, s[10:11]
	global_load_dwordx4 v[18:21], v[2:3], off
	v_add_u32_e32 v1, 0x100, v1
.LBB163_159:
	s_or_b64 exec, exec, s[2:3]
	v_cmp_gt_i32_e32 vcc, s24, v1
	v_mov_b64_e32 v[2:3], 0
	v_mov_b64_e32 v[10:11], 0
	;; [unrolled: 1-line block ×3, first 2 shown]
	s_and_saveexec_b64 s[2:3], vcc
	s_cbranch_execz .LBB163_161
; %bb.160:
	v_add_u32_e32 v4, s6, v1
	v_mov_b32_e32 v5, 0
	v_lshl_add_u64 v[4:5], v[4:5], 4, s[10:11]
	global_load_dwordx4 v[10:13], v[4:5], off
	v_add_u32_e32 v1, 0x100, v1
.LBB163_161:
	s_or_b64 exec, exec, s[2:3]
	v_cmp_gt_i32_e32 vcc, s24, v1
	v_mov_b64_e32 v[4:5], 0
	s_and_saveexec_b64 s[2:3], vcc
	s_cbranch_execz .LBB163_163
; %bb.162:
	v_add_u32_e32 v2, s6, v1
	v_mov_b32_e32 v3, 0
	v_lshl_add_u64 v[2:3], v[2:3], 4, s[10:11]
	global_load_dwordx4 v[2:5], v[2:3], off
.LBB163_163:
	s_or_b64 exec, exec, s[2:3]
	v_mov_b64_e32 v[6:7], 0
	v_mov_b64_e32 v[8:9], 0
	s_and_saveexec_b64 s[10:11], s[0:1]
	s_cbranch_execz .LBB163_203
; %bb.164:
	s_waitcnt vmcnt(0)
	v_cmp_neq_f64_e32 vcc, 0, v[14:15]
	v_cmp_neq_f64_e64 s[2:3], 0, v[16:17]
	v_mov_b64_e32 v[24:25], 0
	s_or_b64 s[2:3], vcc, s[2:3]
	s_and_saveexec_b64 s[12:13], s[2:3]
	s_cbranch_execz .LBB163_194
; %bb.165:
	v_mov_b32_e32 v24, 0
	v_mov_b32_e32 v25, 0x7ff00000
	v_cmp_neq_f64_e64 s[2:3], |v[16:17]|, v[24:25]
	s_and_saveexec_b64 s[14:15], s[2:3]
	s_cbranch_execz .LBB163_193
; %bb.166:
	v_cmp_o_f64_e32 vcc, v[14:15], v[14:15]
                                        ; implicit-def: $vgpr24_vgpr25
	s_and_saveexec_b64 s[2:3], vcc
	s_xor_b64 s[16:17], exec, s[2:3]
	s_cbranch_execz .LBB163_190
; %bb.167:
	s_mov_b32 s2, 0
	s_mov_b32 s3, 0x7ff00000
	v_cmp_neq_f64_e64 s[2:3], |v[14:15]|, s[2:3]
                                        ; implicit-def: $vgpr24_vgpr25
	s_and_saveexec_b64 s[4:5], s[2:3]
	s_xor_b64 s[18:19], exec, s[4:5]
	s_cbranch_execz .LBB163_183
; %bb.168:
	v_max_f64 v[6:7], |v[16:17]|, |v[16:17]|
	v_max_f64 v[8:9], |v[14:15]|, |v[14:15]|
	s_mov_b32 s2, 0x99fcef32
	v_max_f64 v[6:7], v[8:9], v[6:7]
	s_mov_b32 s3, 0x7fda8279
	v_cmp_nle_f64_e64 s[2:3], s[2:3], v[6:7]
                                        ; implicit-def: $sgpr20_sgpr21
	s_and_saveexec_b64 s[4:5], s[2:3]
	s_xor_b64 s[4:5], exec, s[4:5]
	s_cbranch_execz .LBB163_172
; %bb.169:
	s_mov_b32 s20, 0
	s_mov_b32 s21, 0x200000
	v_cmp_le_f64_e64 s[22:23], |v[14:15]|, s[20:21]
	v_cmp_le_f64_e64 s[20:21], |v[16:17]|, s[20:21]
	s_and_b64 s[26:27], s[22:23], s[20:21]
	s_mov_b64 s[20:21], 0
	s_and_saveexec_b64 s[22:23], s[26:27]
; %bb.170:
	s_mov_b64 s[20:21], exec
	v_mul_f64 v[14:15], v[14:15], 4.0
	v_mul_f64 v[16:17], v[16:17], 4.0
; %bb.171:
	s_or_b64 exec, exec, s[22:23]
.LBB163_172:
	s_andn2_saveexec_b64 s[4:5], s[4:5]
; %bb.173:
	v_ldexp_f64 v[14:15], v[14:15], -2
	v_ldexp_f64 v[16:17], v[16:17], -2
	s_andn2_b64 s[20:21], s[20:21], exec
; %bb.174:
	s_or_b64 exec, exec, s[4:5]
	v_max_f64 v[6:7], |v[16:17]|, |v[16:17]|
	v_max_f64 v[8:9], |v[14:15]|, |v[14:15]|
	v_max_f64 v[6:7], v[8:9], v[6:7]
	v_frexp_exp_i32_f64_e32 v1, v[6:7]
	v_sub_u32_e32 v8, 0, v1
	v_ldexp_f64 v[6:7], |v[14:15]|, v8
	v_ldexp_f64 v[8:9], |v[16:17]|, v8
	v_mul_f64 v[8:9], v[8:9], v[8:9]
	v_fmac_f64_e32 v[8:9], v[6:7], v[6:7]
	v_rsq_f64_e32 v[6:7], v[8:9]
	v_cmp_eq_f64_e64 s[4:5], 0, v[8:9]
	s_movk_i32 s7, 0x204
	v_cmp_class_f64_e64 s[22:23], v[16:17], s7
	v_mul_f64 v[24:25], v[8:9], v[6:7]
	v_mul_f64 v[6:7], v[6:7], 0.5
	v_fma_f64 v[26:27], -v[6:7], v[24:25], 0.5
	v_fmac_f64_e32 v[24:25], v[24:25], v[26:27]
	v_fmac_f64_e32 v[6:7], v[6:7], v[26:27]
	v_fma_f64 v[26:27], -v[24:25], v[24:25], v[8:9]
	v_fmac_f64_e32 v[24:25], v[26:27], v[6:7]
	v_cndmask_b32_e64 v7, v25, v9, s[4:5]
	v_cndmask_b32_e64 v6, v24, v8, s[4:5]
	v_ldexp_f64 v[6:7], v[6:7], v1
	v_cmp_o_f64_e64 s[4:5], v[16:17], v[16:17]
	v_cmp_le_f64_e32 vcc, 0, v[14:15]
                                        ; implicit-def: $vgpr8_vgpr9
	s_nop 0
	v_cndmask_b32_e64 v1, 0, v6, s[4:5]
	v_mov_b32_e32 v6, 0x7ff80000
	v_cndmask_b32_e64 v6, v6, v7, s[4:5]
	v_cmp_class_f64_e64 s[4:5], v[14:15], s7
	v_mov_b32_e32 v7, 0x7ff00000
	s_or_b64 s[4:5], s[22:23], s[4:5]
	v_cndmask_b32_e64 v25, v6, v7, s[4:5]
	v_cndmask_b32_e64 v24, v1, 0, s[4:5]
                                        ; implicit-def: $vgpr6_vgpr7
	s_and_saveexec_b64 s[4:5], vcc
	s_xor_b64 s[4:5], exec, s[4:5]
	s_cbranch_execz .LBB163_176
; %bb.175:
	v_add_f64 v[6:7], v[14:15], v[24:25]
	s_mov_b32 s22, 0
	v_mul_f64 v[6:7], v[6:7], 0.5
	s_brev_b32 s23, 8
	v_mov_b32_e32 v1, 0x100
	v_cmp_gt_f64_e32 vcc, s[22:23], v[6:7]
	s_nop 1
	v_cndmask_b32_e32 v1, 0, v1, vcc
	v_ldexp_f64 v[6:7], v[6:7], v1
	v_rsq_f64_e32 v[8:9], v[6:7]
	v_mov_b32_e32 v1, 0xffffff80
	v_cndmask_b32_e32 v1, 0, v1, vcc
	v_mul_f64 v[14:15], v[6:7], v[8:9]
	v_mul_f64 v[8:9], v[8:9], 0.5
	v_fma_f64 v[24:25], -v[8:9], v[14:15], 0.5
	v_fmac_f64_e32 v[14:15], v[14:15], v[24:25]
	v_fma_f64 v[26:27], -v[14:15], v[14:15], v[6:7]
	v_fmac_f64_e32 v[8:9], v[8:9], v[24:25]
	v_fmac_f64_e32 v[14:15], v[26:27], v[8:9]
	v_fma_f64 v[24:25], -v[14:15], v[14:15], v[6:7]
	v_fmac_f64_e32 v[14:15], v[24:25], v[8:9]
	v_ldexp_f64 v[8:9], v[14:15], v1
	v_mov_b32_e32 v1, 0x260
	v_cmp_class_f64_e32 vcc, v[6:7], v1
	s_nop 1
	v_cndmask_b32_e32 v9, v9, v7, vcc
	v_cndmask_b32_e32 v8, v8, v6, vcc
	v_add_f64 v[6:7], v[8:9], v[8:9]
	v_div_scale_f64 v[14:15], s[22:23], v[6:7], v[6:7], v[16:17]
	v_rcp_f64_e32 v[24:25], v[14:15]
	s_nop 0
	v_fma_f64 v[26:27], -v[14:15], v[24:25], 1.0
	v_fmac_f64_e32 v[24:25], v[24:25], v[26:27]
	v_fma_f64 v[26:27], -v[14:15], v[24:25], 1.0
	v_fmac_f64_e32 v[24:25], v[24:25], v[26:27]
	v_div_scale_f64 v[26:27], vcc, v[16:17], v[6:7], v[16:17]
	v_mul_f64 v[28:29], v[26:27], v[24:25]
	v_fma_f64 v[14:15], -v[14:15], v[28:29], v[26:27]
	s_nop 1
	v_div_fmas_f64 v[14:15], v[14:15], v[24:25], v[28:29]
	v_div_fixup_f64 v[6:7], v[14:15], v[6:7], v[16:17]
                                        ; implicit-def: $vgpr24_vgpr25
                                        ; implicit-def: $vgpr14_vgpr15
	s_andn2_saveexec_b64 s[4:5], s[4:5]
	s_cbranch_execz .LBB163_178
	s_branch .LBB163_177
.LBB163_176:
	s_andn2_saveexec_b64 s[4:5], s[4:5]
	s_cbranch_execz .LBB163_178
.LBB163_177:
	v_add_f64 v[6:7], v[24:25], -v[14:15]
	s_mov_b32 s22, 0
	v_mul_f64 v[6:7], v[6:7], 0.5
	s_brev_b32 s23, 8
	v_mov_b32_e32 v1, 0x100
	v_cmp_gt_f64_e32 vcc, s[22:23], v[6:7]
	s_brev_b32 s7, -2
	s_nop 0
	v_cndmask_b32_e32 v1, 0, v1, vcc
	v_ldexp_f64 v[6:7], v[6:7], v1
	v_rsq_f64_e32 v[8:9], v[6:7]
	v_mov_b32_e32 v1, 0xffffff80
	v_cndmask_b32_e32 v1, 0, v1, vcc
	v_mul_f64 v[14:15], v[6:7], v[8:9]
	v_mul_f64 v[8:9], v[8:9], 0.5
	v_fma_f64 v[24:25], -v[8:9], v[14:15], 0.5
	v_fmac_f64_e32 v[14:15], v[14:15], v[24:25]
	v_fma_f64 v[26:27], -v[14:15], v[14:15], v[6:7]
	v_fmac_f64_e32 v[8:9], v[8:9], v[24:25]
	v_fmac_f64_e32 v[14:15], v[26:27], v[8:9]
	v_fma_f64 v[24:25], -v[14:15], v[14:15], v[6:7]
	v_fmac_f64_e32 v[14:15], v[24:25], v[8:9]
	v_ldexp_f64 v[8:9], v[14:15], v1
	v_mov_b32_e32 v1, 0x260
	v_cmp_class_f64_e32 vcc, v[6:7], v1
	v_and_b32_e32 v15, 0x7fffffff, v17
	v_mov_b32_e32 v14, v16
	v_cndmask_b32_e32 v7, v9, v7, vcc
	v_cndmask_b32_e32 v6, v8, v6, vcc
	v_add_f64 v[8:9], v[6:7], v[6:7]
	v_div_scale_f64 v[24:25], s[22:23], v[8:9], v[8:9], v[14:15]
	v_rcp_f64_e32 v[26:27], v[24:25]
	v_div_scale_f64 v[14:15], vcc, v[14:15], v[8:9], v[14:15]
	v_bfi_b32 v7, s7, v7, v17
	v_fma_f64 v[28:29], -v[24:25], v[26:27], 1.0
	v_fmac_f64_e32 v[26:27], v[26:27], v[28:29]
	v_fma_f64 v[28:29], -v[24:25], v[26:27], 1.0
	v_fmac_f64_e32 v[26:27], v[26:27], v[28:29]
	v_mul_f64 v[28:29], v[14:15], v[26:27]
	v_fma_f64 v[14:15], -v[24:25], v[28:29], v[14:15]
	v_div_fmas_f64 v[14:15], v[14:15], v[26:27], v[28:29]
	v_div_fixup_f64 v[8:9], v[14:15], v[8:9], |v[16:17]|
.LBB163_178:
	s_or_b64 exec, exec, s[4:5]
                                        ; implicit-def: $vgpr16_vgpr17
                                        ; implicit-def: $vgpr24_vgpr25
	s_and_saveexec_b64 s[4:5], s[2:3]
	s_xor_b64 s[2:3], exec, s[4:5]
	s_cbranch_execz .LBB163_180
; %bb.179:
	v_mul_f64 v[14:15], v[8:9], 0.5
	v_mul_f64 v[16:17], v[6:7], 0.5
	v_cndmask_b32_e64 v25, v9, v15, s[20:21]
	v_cndmask_b32_e64 v24, v8, v14, s[20:21]
	;; [unrolled: 1-line block ×4, first 2 shown]
                                        ; implicit-def: $vgpr8_vgpr9
                                        ; implicit-def: $vgpr6_vgpr7
	s_andn2_saveexec_b64 s[2:3], s[2:3]
	s_cbranch_execnz .LBB163_181
	s_branch .LBB163_182
.LBB163_180:
	s_andn2_saveexec_b64 s[2:3], s[2:3]
.LBB163_181:
	v_add_f64 v[24:25], v[8:9], v[8:9]
	v_add_f64 v[16:17], v[6:7], v[6:7]
.LBB163_182:
	s_or_b64 exec, exec, s[2:3]
.LBB163_183:
	s_andn2_saveexec_b64 s[2:3], s[18:19]
	s_cbranch_execz .LBB163_189
; %bb.184:
	v_add_f64 v[6:7], v[16:17], -v[16:17]
	v_cmp_lt_i64_e32 vcc, -1, v[14:15]
	s_brev_b32 s7, -2
	v_and_b32_e32 v25, 0x7fffffff, v7
	v_mov_b32_e32 v24, v6
	s_and_saveexec_b64 s[4:5], vcc
	s_xor_b64 s[4:5], exec, s[4:5]
; %bb.185:
	v_bfi_b32 v7, s7, v7, v17
	v_mov_b64_e32 v[16:17], v[6:7]
	v_mov_b64_e32 v[24:25], v[14:15]
; %bb.186:
	s_andn2_saveexec_b64 s[4:5], s[4:5]
; %bb.187:
	v_bfi_b32 v15, s7, v15, v17
	v_mov_b64_e32 v[16:17], v[14:15]
; %bb.188:
	s_or_b64 exec, exec, s[4:5]
.LBB163_189:
	s_or_b64 exec, exec, s[2:3]
.LBB163_190:
	s_andn2_saveexec_b64 s[2:3], s[16:17]
	s_cbranch_execz .LBB163_192
; %bb.191:
	v_add_f64 v[6:7], v[16:17], -v[16:17]
	v_div_scale_f64 v[8:9], vcc, v[6:7], v[6:7], v[6:7]
	v_rcp_f64_e32 v[16:17], v[8:9]
	s_nop 0
	v_fma_f64 v[24:25], -v[8:9], v[16:17], 1.0
	v_fmac_f64_e32 v[16:17], v[16:17], v[24:25]
	v_fma_f64 v[24:25], -v[8:9], v[16:17], 1.0
	v_fmac_f64_e32 v[16:17], v[16:17], v[24:25]
	v_mul_f64 v[24:25], v[8:9], v[16:17]
	v_fma_f64 v[8:9], -v[8:9], v[24:25], v[8:9]
	v_div_fmas_f64 v[8:9], v[8:9], v[16:17], v[24:25]
	v_div_fixup_f64 v[16:17], v[8:9], v[6:7], v[6:7]
	v_mov_b64_e32 v[24:25], v[14:15]
.LBB163_192:
	s_or_b64 exec, exec, s[2:3]
.LBB163_193:
	s_or_b64 exec, exec, s[14:15]
.LBB163_194:
	s_or_b64 exec, exec, s[12:13]
	v_xor_b32_e32 v1, 0x80000000, v25
	v_cmp_gt_f64_e32 vcc, 0, v[24:25]
	v_mov_b32_e32 v26, v24
	v_mov_b32_e32 v14, v16
	v_cndmask_b32_e32 v27, v25, v1, vcc
	v_xor_b32_e32 v1, 0x80000000, v17
	v_cmp_gt_f64_e32 vcc, 0, v[16:17]
                                        ; implicit-def: $vgpr6_vgpr7
	s_nop 1
	v_cndmask_b32_e32 v15, v17, v1, vcc
	v_cmp_ge_f64_e32 vcc, v[26:27], v[14:15]
	s_and_saveexec_b64 s[2:3], vcc
	s_xor_b64 s[4:5], exec, s[2:3]
	s_cbranch_execz .LBB163_200
; %bb.195:
	v_cmp_neq_f64_e32 vcc, 0, v[24:25]
	v_cmp_neq_f64_e64 s[2:3], 0, v[16:17]
	s_or_b64 s[2:3], vcc, s[2:3]
                                        ; implicit-def: $vgpr6_vgpr7
	s_and_saveexec_b64 s[12:13], s[2:3]
	s_xor_b64 s[2:3], exec, s[12:13]
	s_cbranch_execz .LBB163_197
; %bb.196:
	v_div_scale_f64 v[6:7], s[12:13], v[24:25], v[24:25], v[16:17]
	v_rcp_f64_e32 v[8:9], v[6:7]
	v_div_scale_f64 v[14:15], vcc, v[16:17], v[24:25], v[16:17]
	v_fma_f64 v[26:27], -v[6:7], v[8:9], 1.0
	v_fmac_f64_e32 v[8:9], v[8:9], v[26:27]
	v_fma_f64 v[26:27], -v[6:7], v[8:9], 1.0
	v_fmac_f64_e32 v[8:9], v[8:9], v[26:27]
	v_mul_f64 v[26:27], v[14:15], v[8:9]
	v_fma_f64 v[6:7], -v[6:7], v[26:27], v[14:15]
	v_div_fmas_f64 v[6:7], v[6:7], v[8:9], v[26:27]
	v_div_fixup_f64 v[8:9], v[6:7], v[24:25], v[16:17]
	v_fmac_f64_e32 v[24:25], v[16:17], v[8:9]
	v_div_scale_f64 v[6:7], s[12:13], v[24:25], v[24:25], 1.0
	v_rcp_f64_e32 v[14:15], v[6:7]
	s_nop 0
	v_fma_f64 v[16:17], -v[6:7], v[14:15], 1.0
	v_fmac_f64_e32 v[14:15], v[14:15], v[16:17]
	v_fma_f64 v[16:17], -v[6:7], v[14:15], 1.0
	v_fmac_f64_e32 v[14:15], v[14:15], v[16:17]
	v_div_scale_f64 v[16:17], vcc, 1.0, v[24:25], 1.0
	v_mul_f64 v[26:27], v[16:17], v[14:15]
	v_fma_f64 v[6:7], -v[6:7], v[26:27], v[16:17]
	s_nop 1
	v_div_fmas_f64 v[6:7], v[6:7], v[14:15], v[26:27]
	v_div_fixup_f64 v[14:15], v[6:7], v[24:25], 1.0
	v_fma_f64 v[6:7], v[8:9], 0, 1.0
	v_add_f64 v[8:9], -v[8:9], 0
	v_mul_f64 v[6:7], v[6:7], v[14:15]
	v_mul_f64 v[8:9], v[8:9], v[14:15]
                                        ; implicit-def: $vgpr26_vgpr27
                                        ; implicit-def: $vgpr14_vgpr15
.LBB163_197:
	s_andn2_saveexec_b64 s[2:3], s[2:3]
	s_cbranch_execz .LBB163_199
; %bb.198:
	v_div_scale_f64 v[6:7], s[12:13], v[26:27], v[26:27], 1.0
	v_rcp_f64_e32 v[8:9], v[6:7]
	v_div_scale_f64 v[16:17], vcc, 1.0, v[26:27], 1.0
	v_fma_f64 v[24:25], -v[6:7], v[8:9], 1.0
	v_fmac_f64_e32 v[8:9], v[8:9], v[24:25]
	v_fma_f64 v[24:25], -v[6:7], v[8:9], 1.0
	v_fmac_f64_e32 v[8:9], v[8:9], v[24:25]
	v_mul_f64 v[24:25], v[16:17], v[8:9]
	v_fma_f64 v[6:7], -v[6:7], v[24:25], v[16:17]
	v_div_scale_f64 v[16:17], s[12:13], v[14:15], v[14:15], 0
	v_rcp_f64_e32 v[28:29], v[16:17]
	v_div_fmas_f64 v[6:7], v[6:7], v[8:9], v[24:25]
	v_div_fixup_f64 v[6:7], v[6:7], v[26:27], 1.0
	v_fma_f64 v[8:9], -v[16:17], v[28:29], 1.0
	v_fmac_f64_e32 v[28:29], v[28:29], v[8:9]
	v_fma_f64 v[8:9], -v[16:17], v[28:29], 1.0
	v_fmac_f64_e32 v[28:29], v[28:29], v[8:9]
	v_div_scale_f64 v[8:9], vcc, 0, v[14:15], 0
	v_mul_f64 v[24:25], v[8:9], v[28:29]
	v_fma_f64 v[8:9], -v[16:17], v[24:25], v[8:9]
	s_nop 1
	v_div_fmas_f64 v[8:9], v[8:9], v[28:29], v[24:25]
	v_div_fixup_f64 v[8:9], v[8:9], v[14:15], 0
.LBB163_199:
	s_or_b64 exec, exec, s[2:3]
                                        ; implicit-def: $vgpr16_vgpr17
                                        ; implicit-def: $vgpr24_vgpr25
.LBB163_200:
	s_andn2_saveexec_b64 s[2:3], s[4:5]
	s_cbranch_execz .LBB163_202
; %bb.201:
	v_div_scale_f64 v[6:7], s[4:5], v[16:17], v[16:17], v[24:25]
	v_rcp_f64_e32 v[8:9], v[6:7]
	v_div_scale_f64 v[14:15], vcc, v[24:25], v[16:17], v[24:25]
	v_fma_f64 v[26:27], -v[6:7], v[8:9], 1.0
	v_fmac_f64_e32 v[8:9], v[8:9], v[26:27]
	v_fma_f64 v[26:27], -v[6:7], v[8:9], 1.0
	v_fmac_f64_e32 v[8:9], v[8:9], v[26:27]
	v_mul_f64 v[26:27], v[14:15], v[8:9]
	v_fma_f64 v[6:7], -v[6:7], v[26:27], v[14:15]
	v_div_fmas_f64 v[6:7], v[6:7], v[8:9], v[26:27]
	v_div_fixup_f64 v[8:9], v[6:7], v[16:17], v[24:25]
	v_fmac_f64_e32 v[16:17], v[24:25], v[8:9]
	v_div_scale_f64 v[6:7], s[4:5], v[16:17], v[16:17], 1.0
	v_rcp_f64_e32 v[14:15], v[6:7]
	s_nop 0
	v_fma_f64 v[24:25], -v[6:7], v[14:15], 1.0
	v_fmac_f64_e32 v[14:15], v[14:15], v[24:25]
	v_fma_f64 v[24:25], -v[6:7], v[14:15], 1.0
	v_fmac_f64_e32 v[14:15], v[14:15], v[24:25]
	v_div_scale_f64 v[24:25], vcc, 1.0, v[16:17], 1.0
	v_mul_f64 v[26:27], v[24:25], v[14:15]
	v_fma_f64 v[6:7], -v[6:7], v[26:27], v[24:25]
	s_nop 1
	v_div_fmas_f64 v[6:7], v[6:7], v[14:15], v[26:27]
	v_div_fixup_f64 v[14:15], v[6:7], v[16:17], 1.0
	v_add_f64 v[6:7], v[8:9], 0
	v_fma_f64 v[8:9], v[8:9], 0, -1.0
	v_mul_f64 v[6:7], v[6:7], v[14:15]
	v_mul_f64 v[8:9], v[8:9], v[14:15]
.LBB163_202:
	s_or_b64 exec, exec, s[2:3]
.LBB163_203:
	s_or_b64 exec, exec, s[10:11]
	v_or_b32_e32 v1, 0x100, v0
	v_cmp_gt_i32_e32 vcc, s24, v1
	s_waitcnt vmcnt(0)
	v_mov_b64_e32 v[14:15], 0
	v_mov_b64_e32 v[16:17], 0
	s_and_saveexec_b64 s[10:11], vcc
	s_cbranch_execz .LBB163_243
; %bb.204:
	v_cmp_neq_f64_e32 vcc, 0, v[18:19]
	v_cmp_neq_f64_e64 s[2:3], 0, v[20:21]
	v_mov_b64_e32 v[24:25], 0
	s_or_b64 s[2:3], vcc, s[2:3]
	s_and_saveexec_b64 s[12:13], s[2:3]
	s_cbranch_execz .LBB163_234
; %bb.205:
	v_mov_b32_e32 v24, 0
	v_mov_b32_e32 v25, 0x7ff00000
	v_cmp_neq_f64_e64 s[2:3], |v[20:21]|, v[24:25]
	s_and_saveexec_b64 s[14:15], s[2:3]
	s_cbranch_execz .LBB163_233
; %bb.206:
	v_cmp_o_f64_e32 vcc, v[18:19], v[18:19]
                                        ; implicit-def: $vgpr24_vgpr25
	s_and_saveexec_b64 s[2:3], vcc
	s_xor_b64 s[16:17], exec, s[2:3]
	s_cbranch_execz .LBB163_230
; %bb.207:
	s_mov_b32 s2, 0
	s_mov_b32 s3, 0x7ff00000
	v_cmp_neq_f64_e64 s[2:3], |v[18:19]|, s[2:3]
                                        ; implicit-def: $vgpr24_vgpr25
	s_and_saveexec_b64 s[4:5], s[2:3]
	s_xor_b64 s[18:19], exec, s[4:5]
	s_cbranch_execz .LBB163_223
; %bb.208:
	v_max_f64 v[14:15], |v[20:21]|, |v[20:21]|
	v_max_f64 v[16:17], |v[18:19]|, |v[18:19]|
	s_mov_b32 s2, 0x99fcef32
	v_max_f64 v[14:15], v[16:17], v[14:15]
	s_mov_b32 s3, 0x7fda8279
	v_cmp_nle_f64_e64 s[2:3], s[2:3], v[14:15]
                                        ; implicit-def: $sgpr20_sgpr21
	s_and_saveexec_b64 s[4:5], s[2:3]
	s_xor_b64 s[4:5], exec, s[4:5]
	s_cbranch_execz .LBB163_212
; %bb.209:
	s_mov_b32 s20, 0
	s_mov_b32 s21, 0x200000
	v_cmp_le_f64_e64 s[22:23], |v[18:19]|, s[20:21]
	v_cmp_le_f64_e64 s[20:21], |v[20:21]|, s[20:21]
	s_and_b64 s[26:27], s[22:23], s[20:21]
	s_mov_b64 s[20:21], 0
	s_and_saveexec_b64 s[22:23], s[26:27]
; %bb.210:
	s_mov_b64 s[20:21], exec
	v_mul_f64 v[18:19], v[18:19], 4.0
	v_mul_f64 v[20:21], v[20:21], 4.0
; %bb.211:
	s_or_b64 exec, exec, s[22:23]
.LBB163_212:
	s_andn2_saveexec_b64 s[4:5], s[4:5]
; %bb.213:
	v_ldexp_f64 v[18:19], v[18:19], -2
	v_ldexp_f64 v[20:21], v[20:21], -2
	s_andn2_b64 s[20:21], s[20:21], exec
; %bb.214:
	s_or_b64 exec, exec, s[4:5]
	v_max_f64 v[14:15], |v[20:21]|, |v[20:21]|
	v_max_f64 v[16:17], |v[18:19]|, |v[18:19]|
	v_max_f64 v[14:15], v[16:17], v[14:15]
	v_frexp_exp_i32_f64_e32 v23, v[14:15]
	v_sub_u32_e32 v16, 0, v23
	v_ldexp_f64 v[14:15], |v[18:19]|, v16
	v_ldexp_f64 v[16:17], |v[20:21]|, v16
	v_mul_f64 v[16:17], v[16:17], v[16:17]
	v_fmac_f64_e32 v[16:17], v[14:15], v[14:15]
	v_rsq_f64_e32 v[14:15], v[16:17]
	v_cmp_eq_f64_e64 s[4:5], 0, v[16:17]
	s_movk_i32 s7, 0x204
	v_cmp_class_f64_e64 s[22:23], v[20:21], s7
	v_mul_f64 v[24:25], v[16:17], v[14:15]
	v_mul_f64 v[14:15], v[14:15], 0.5
	v_fma_f64 v[26:27], -v[14:15], v[24:25], 0.5
	v_fmac_f64_e32 v[24:25], v[24:25], v[26:27]
	v_fmac_f64_e32 v[14:15], v[14:15], v[26:27]
	v_fma_f64 v[26:27], -v[24:25], v[24:25], v[16:17]
	v_fmac_f64_e32 v[24:25], v[26:27], v[14:15]
	v_cndmask_b32_e64 v15, v25, v17, s[4:5]
	v_cndmask_b32_e64 v14, v24, v16, s[4:5]
	v_ldexp_f64 v[14:15], v[14:15], v23
	v_cmp_o_f64_e64 s[4:5], v[20:21], v[20:21]
	v_mov_b32_e32 v16, 0x7ff80000
	v_cmp_le_f64_e32 vcc, 0, v[18:19]
	v_cndmask_b32_e64 v14, 0, v14, s[4:5]
	v_cndmask_b32_e64 v15, v16, v15, s[4:5]
	v_cmp_class_f64_e64 s[4:5], v[18:19], s7
	v_mov_b32_e32 v16, 0x7ff00000
	s_or_b64 s[4:5], s[22:23], s[4:5]
	v_cndmask_b32_e64 v25, v15, v16, s[4:5]
	v_cndmask_b32_e64 v24, v14, 0, s[4:5]
                                        ; implicit-def: $vgpr14_vgpr15
                                        ; implicit-def: $vgpr16_vgpr17
	s_and_saveexec_b64 s[4:5], vcc
	s_xor_b64 s[4:5], exec, s[4:5]
	s_cbranch_execz .LBB163_216
; %bb.215:
	v_add_f64 v[14:15], v[18:19], v[24:25]
	s_mov_b32 s22, 0
	v_mul_f64 v[14:15], v[14:15], 0.5
	s_brev_b32 s23, 8
	v_mov_b32_e32 v16, 0x100
	v_cmp_gt_f64_e32 vcc, s[22:23], v[14:15]
	s_nop 1
	v_cndmask_b32_e32 v16, 0, v16, vcc
	v_ldexp_f64 v[14:15], v[14:15], v16
	v_rsq_f64_e32 v[16:17], v[14:15]
	s_nop 0
	v_mul_f64 v[18:19], v[14:15], v[16:17]
	v_mul_f64 v[16:17], v[16:17], 0.5
	v_fma_f64 v[24:25], -v[16:17], v[18:19], 0.5
	v_fmac_f64_e32 v[18:19], v[18:19], v[24:25]
	v_fma_f64 v[26:27], -v[18:19], v[18:19], v[14:15]
	v_fmac_f64_e32 v[16:17], v[16:17], v[24:25]
	v_fmac_f64_e32 v[18:19], v[26:27], v[16:17]
	v_fma_f64 v[24:25], -v[18:19], v[18:19], v[14:15]
	v_fmac_f64_e32 v[18:19], v[24:25], v[16:17]
	v_mov_b32_e32 v16, 0xffffff80
	v_cndmask_b32_e32 v16, 0, v16, vcc
	v_ldexp_f64 v[16:17], v[18:19], v16
	v_mov_b32_e32 v18, 0x260
	v_cmp_class_f64_e32 vcc, v[14:15], v18
	s_nop 1
	v_cndmask_b32_e32 v17, v17, v15, vcc
	v_cndmask_b32_e32 v16, v16, v14, vcc
	v_add_f64 v[14:15], v[16:17], v[16:17]
	v_div_scale_f64 v[18:19], s[22:23], v[14:15], v[14:15], v[20:21]
	v_rcp_f64_e32 v[24:25], v[18:19]
	s_nop 0
	v_fma_f64 v[26:27], -v[18:19], v[24:25], 1.0
	v_fmac_f64_e32 v[24:25], v[24:25], v[26:27]
	v_fma_f64 v[26:27], -v[18:19], v[24:25], 1.0
	v_fmac_f64_e32 v[24:25], v[24:25], v[26:27]
	v_div_scale_f64 v[26:27], vcc, v[20:21], v[14:15], v[20:21]
	v_mul_f64 v[28:29], v[26:27], v[24:25]
	v_fma_f64 v[18:19], -v[18:19], v[28:29], v[26:27]
	s_nop 1
	v_div_fmas_f64 v[18:19], v[18:19], v[24:25], v[28:29]
	v_div_fixup_f64 v[14:15], v[18:19], v[14:15], v[20:21]
                                        ; implicit-def: $vgpr24_vgpr25
                                        ; implicit-def: $vgpr18_vgpr19
	s_andn2_saveexec_b64 s[4:5], s[4:5]
	s_cbranch_execz .LBB163_218
	s_branch .LBB163_217
.LBB163_216:
	s_andn2_saveexec_b64 s[4:5], s[4:5]
	s_cbranch_execz .LBB163_218
.LBB163_217:
	v_add_f64 v[14:15], v[24:25], -v[18:19]
	s_mov_b32 s22, 0
	v_mul_f64 v[14:15], v[14:15], 0.5
	s_brev_b32 s23, 8
	v_mov_b32_e32 v16, 0x100
	v_cmp_gt_f64_e32 vcc, s[22:23], v[14:15]
	s_brev_b32 s7, -2
	s_nop 0
	v_cndmask_b32_e32 v16, 0, v16, vcc
	v_ldexp_f64 v[14:15], v[14:15], v16
	v_rsq_f64_e32 v[16:17], v[14:15]
	s_nop 0
	v_mul_f64 v[18:19], v[14:15], v[16:17]
	v_mul_f64 v[16:17], v[16:17], 0.5
	v_fma_f64 v[24:25], -v[16:17], v[18:19], 0.5
	v_fmac_f64_e32 v[18:19], v[18:19], v[24:25]
	v_fma_f64 v[26:27], -v[18:19], v[18:19], v[14:15]
	v_fmac_f64_e32 v[16:17], v[16:17], v[24:25]
	v_fmac_f64_e32 v[18:19], v[26:27], v[16:17]
	v_fma_f64 v[24:25], -v[18:19], v[18:19], v[14:15]
	v_fmac_f64_e32 v[18:19], v[24:25], v[16:17]
	v_mov_b32_e32 v16, 0xffffff80
	v_cndmask_b32_e32 v16, 0, v16, vcc
	v_ldexp_f64 v[16:17], v[18:19], v16
	v_mov_b32_e32 v18, 0x260
	v_cmp_class_f64_e32 vcc, v[14:15], v18
	v_and_b32_e32 v19, 0x7fffffff, v21
	v_mov_b32_e32 v18, v20
	v_cndmask_b32_e32 v15, v17, v15, vcc
	v_cndmask_b32_e32 v14, v16, v14, vcc
	v_add_f64 v[16:17], v[14:15], v[14:15]
	v_div_scale_f64 v[24:25], s[22:23], v[16:17], v[16:17], v[18:19]
	v_rcp_f64_e32 v[26:27], v[24:25]
	v_div_scale_f64 v[18:19], vcc, v[18:19], v[16:17], v[18:19]
	v_bfi_b32 v15, s7, v15, v21
	v_fma_f64 v[28:29], -v[24:25], v[26:27], 1.0
	v_fmac_f64_e32 v[26:27], v[26:27], v[28:29]
	v_fma_f64 v[28:29], -v[24:25], v[26:27], 1.0
	v_fmac_f64_e32 v[26:27], v[26:27], v[28:29]
	v_mul_f64 v[28:29], v[18:19], v[26:27]
	v_fma_f64 v[18:19], -v[24:25], v[28:29], v[18:19]
	v_div_fmas_f64 v[18:19], v[18:19], v[26:27], v[28:29]
	v_div_fixup_f64 v[16:17], v[18:19], v[16:17], |v[20:21]|
.LBB163_218:
	s_or_b64 exec, exec, s[4:5]
                                        ; implicit-def: $vgpr20_vgpr21
                                        ; implicit-def: $vgpr24_vgpr25
	s_and_saveexec_b64 s[4:5], s[2:3]
	s_xor_b64 s[2:3], exec, s[4:5]
	s_cbranch_execz .LBB163_220
; %bb.219:
	v_mul_f64 v[18:19], v[16:17], 0.5
	v_mul_f64 v[20:21], v[14:15], 0.5
	v_cndmask_b32_e64 v25, v17, v19, s[20:21]
	v_cndmask_b32_e64 v24, v16, v18, s[20:21]
	;; [unrolled: 1-line block ×4, first 2 shown]
                                        ; implicit-def: $vgpr16_vgpr17
                                        ; implicit-def: $vgpr14_vgpr15
	s_andn2_saveexec_b64 s[2:3], s[2:3]
	s_cbranch_execnz .LBB163_221
	s_branch .LBB163_222
.LBB163_220:
	s_andn2_saveexec_b64 s[2:3], s[2:3]
.LBB163_221:
	v_add_f64 v[24:25], v[16:17], v[16:17]
	v_add_f64 v[20:21], v[14:15], v[14:15]
.LBB163_222:
	s_or_b64 exec, exec, s[2:3]
.LBB163_223:
	s_andn2_saveexec_b64 s[2:3], s[18:19]
	s_cbranch_execz .LBB163_229
; %bb.224:
	v_add_f64 v[14:15], v[20:21], -v[20:21]
	v_cmp_lt_i64_e32 vcc, -1, v[18:19]
	s_brev_b32 s7, -2
	v_and_b32_e32 v25, 0x7fffffff, v15
	v_mov_b32_e32 v24, v14
	s_and_saveexec_b64 s[4:5], vcc
	s_xor_b64 s[4:5], exec, s[4:5]
; %bb.225:
	v_bfi_b32 v15, s7, v15, v21
	v_mov_b64_e32 v[20:21], v[14:15]
	v_mov_b64_e32 v[24:25], v[18:19]
; %bb.226:
	s_andn2_saveexec_b64 s[4:5], s[4:5]
; %bb.227:
	v_bfi_b32 v19, s7, v19, v21
	v_mov_b64_e32 v[20:21], v[18:19]
; %bb.228:
	s_or_b64 exec, exec, s[4:5]
.LBB163_229:
	s_or_b64 exec, exec, s[2:3]
.LBB163_230:
	s_andn2_saveexec_b64 s[2:3], s[16:17]
	s_cbranch_execz .LBB163_232
; %bb.231:
	v_add_f64 v[14:15], v[20:21], -v[20:21]
	v_div_scale_f64 v[16:17], vcc, v[14:15], v[14:15], v[14:15]
	v_rcp_f64_e32 v[20:21], v[16:17]
	s_nop 0
	v_fma_f64 v[24:25], -v[16:17], v[20:21], 1.0
	v_fmac_f64_e32 v[20:21], v[20:21], v[24:25]
	v_fma_f64 v[24:25], -v[16:17], v[20:21], 1.0
	v_fmac_f64_e32 v[20:21], v[20:21], v[24:25]
	v_mul_f64 v[24:25], v[16:17], v[20:21]
	v_fma_f64 v[16:17], -v[16:17], v[24:25], v[16:17]
	v_div_fmas_f64 v[16:17], v[16:17], v[20:21], v[24:25]
	v_div_fixup_f64 v[20:21], v[16:17], v[14:15], v[14:15]
	v_mov_b64_e32 v[24:25], v[18:19]
.LBB163_232:
	s_or_b64 exec, exec, s[2:3]
.LBB163_233:
	s_or_b64 exec, exec, s[14:15]
.LBB163_234:
	s_or_b64 exec, exec, s[12:13]
	v_xor_b32_e32 v14, 0x80000000, v25
	v_cmp_gt_f64_e32 vcc, 0, v[24:25]
	v_mov_b32_e32 v26, v24
	v_mov_b32_e32 v18, v20
	v_cndmask_b32_e32 v27, v25, v14, vcc
	v_xor_b32_e32 v14, 0x80000000, v21
	v_cmp_gt_f64_e32 vcc, 0, v[20:21]
	s_nop 1
	v_cndmask_b32_e32 v19, v21, v14, vcc
	v_cmp_ge_f64_e32 vcc, v[26:27], v[18:19]
                                        ; implicit-def: $vgpr14_vgpr15
	s_and_saveexec_b64 s[2:3], vcc
	s_xor_b64 s[4:5], exec, s[2:3]
	s_cbranch_execz .LBB163_240
; %bb.235:
	v_cmp_neq_f64_e32 vcc, 0, v[24:25]
	v_cmp_neq_f64_e64 s[2:3], 0, v[20:21]
	s_or_b64 s[2:3], vcc, s[2:3]
                                        ; implicit-def: $vgpr14_vgpr15
	s_and_saveexec_b64 s[12:13], s[2:3]
	s_xor_b64 s[2:3], exec, s[12:13]
	s_cbranch_execz .LBB163_237
; %bb.236:
	v_div_scale_f64 v[14:15], s[12:13], v[24:25], v[24:25], v[20:21]
	v_rcp_f64_e32 v[16:17], v[14:15]
	v_div_scale_f64 v[18:19], vcc, v[20:21], v[24:25], v[20:21]
	v_fma_f64 v[26:27], -v[14:15], v[16:17], 1.0
	v_fmac_f64_e32 v[16:17], v[16:17], v[26:27]
	v_fma_f64 v[26:27], -v[14:15], v[16:17], 1.0
	v_fmac_f64_e32 v[16:17], v[16:17], v[26:27]
	v_mul_f64 v[26:27], v[18:19], v[16:17]
	v_fma_f64 v[14:15], -v[14:15], v[26:27], v[18:19]
	v_div_fmas_f64 v[14:15], v[14:15], v[16:17], v[26:27]
	v_div_fixup_f64 v[16:17], v[14:15], v[24:25], v[20:21]
	v_fmac_f64_e32 v[24:25], v[20:21], v[16:17]
	v_div_scale_f64 v[14:15], s[12:13], v[24:25], v[24:25], 1.0
	v_rcp_f64_e32 v[18:19], v[14:15]
	s_nop 0
	v_fma_f64 v[20:21], -v[14:15], v[18:19], 1.0
	v_fmac_f64_e32 v[18:19], v[18:19], v[20:21]
	v_fma_f64 v[20:21], -v[14:15], v[18:19], 1.0
	v_fmac_f64_e32 v[18:19], v[18:19], v[20:21]
	v_div_scale_f64 v[20:21], vcc, 1.0, v[24:25], 1.0
	v_mul_f64 v[26:27], v[20:21], v[18:19]
	v_fma_f64 v[14:15], -v[14:15], v[26:27], v[20:21]
	s_nop 1
	v_div_fmas_f64 v[14:15], v[14:15], v[18:19], v[26:27]
	v_div_fixup_f64 v[18:19], v[14:15], v[24:25], 1.0
	v_fma_f64 v[14:15], v[16:17], 0, 1.0
	v_add_f64 v[16:17], -v[16:17], 0
	v_mul_f64 v[14:15], v[14:15], v[18:19]
	v_mul_f64 v[16:17], v[16:17], v[18:19]
                                        ; implicit-def: $vgpr26_vgpr27
                                        ; implicit-def: $vgpr18_vgpr19
.LBB163_237:
	s_andn2_saveexec_b64 s[2:3], s[2:3]
	s_cbranch_execz .LBB163_239
; %bb.238:
	v_div_scale_f64 v[14:15], s[12:13], v[26:27], v[26:27], 1.0
	v_rcp_f64_e32 v[16:17], v[14:15]
	v_div_scale_f64 v[20:21], vcc, 1.0, v[26:27], 1.0
	v_fma_f64 v[24:25], -v[14:15], v[16:17], 1.0
	v_fmac_f64_e32 v[16:17], v[16:17], v[24:25]
	v_fma_f64 v[24:25], -v[14:15], v[16:17], 1.0
	v_fmac_f64_e32 v[16:17], v[16:17], v[24:25]
	v_mul_f64 v[24:25], v[20:21], v[16:17]
	v_fma_f64 v[14:15], -v[14:15], v[24:25], v[20:21]
	v_div_scale_f64 v[20:21], s[12:13], v[18:19], v[18:19], 0
	v_rcp_f64_e32 v[28:29], v[20:21]
	v_div_fmas_f64 v[14:15], v[14:15], v[16:17], v[24:25]
	v_div_fixup_f64 v[14:15], v[14:15], v[26:27], 1.0
	v_fma_f64 v[16:17], -v[20:21], v[28:29], 1.0
	v_fmac_f64_e32 v[28:29], v[28:29], v[16:17]
	v_fma_f64 v[16:17], -v[20:21], v[28:29], 1.0
	v_fmac_f64_e32 v[28:29], v[28:29], v[16:17]
	v_div_scale_f64 v[16:17], vcc, 0, v[18:19], 0
	v_mul_f64 v[24:25], v[16:17], v[28:29]
	v_fma_f64 v[16:17], -v[20:21], v[24:25], v[16:17]
	s_nop 1
	v_div_fmas_f64 v[16:17], v[16:17], v[28:29], v[24:25]
	v_div_fixup_f64 v[16:17], v[16:17], v[18:19], 0
.LBB163_239:
	s_or_b64 exec, exec, s[2:3]
                                        ; implicit-def: $vgpr20_vgpr21
                                        ; implicit-def: $vgpr24_vgpr25
.LBB163_240:
	s_andn2_saveexec_b64 s[2:3], s[4:5]
	s_cbranch_execz .LBB163_242
; %bb.241:
	v_div_scale_f64 v[14:15], s[4:5], v[20:21], v[20:21], v[24:25]
	v_rcp_f64_e32 v[16:17], v[14:15]
	v_div_scale_f64 v[18:19], vcc, v[24:25], v[20:21], v[24:25]
	v_fma_f64 v[26:27], -v[14:15], v[16:17], 1.0
	v_fmac_f64_e32 v[16:17], v[16:17], v[26:27]
	v_fma_f64 v[26:27], -v[14:15], v[16:17], 1.0
	v_fmac_f64_e32 v[16:17], v[16:17], v[26:27]
	v_mul_f64 v[26:27], v[18:19], v[16:17]
	v_fma_f64 v[14:15], -v[14:15], v[26:27], v[18:19]
	v_div_fmas_f64 v[14:15], v[14:15], v[16:17], v[26:27]
	v_div_fixup_f64 v[16:17], v[14:15], v[20:21], v[24:25]
	v_fmac_f64_e32 v[20:21], v[24:25], v[16:17]
	v_div_scale_f64 v[14:15], s[4:5], v[20:21], v[20:21], 1.0
	v_rcp_f64_e32 v[18:19], v[14:15]
	s_nop 0
	v_fma_f64 v[24:25], -v[14:15], v[18:19], 1.0
	v_fmac_f64_e32 v[18:19], v[18:19], v[24:25]
	v_fma_f64 v[24:25], -v[14:15], v[18:19], 1.0
	v_fmac_f64_e32 v[18:19], v[18:19], v[24:25]
	v_div_scale_f64 v[24:25], vcc, 1.0, v[20:21], 1.0
	v_mul_f64 v[26:27], v[24:25], v[18:19]
	v_fma_f64 v[14:15], -v[14:15], v[26:27], v[24:25]
	s_nop 1
	v_div_fmas_f64 v[14:15], v[14:15], v[18:19], v[26:27]
	v_div_fixup_f64 v[18:19], v[14:15], v[20:21], 1.0
	v_add_f64 v[14:15], v[16:17], 0
	v_fma_f64 v[16:17], v[16:17], 0, -1.0
	v_mul_f64 v[14:15], v[14:15], v[18:19]
	v_mul_f64 v[16:17], v[16:17], v[18:19]
.LBB163_242:
	s_or_b64 exec, exec, s[2:3]
.LBB163_243:
	s_or_b64 exec, exec, s[10:11]
	v_or_b32_e32 v18, 0x200, v0
	v_cmp_gt_i32_e32 vcc, s24, v18
	v_mov_b64_e32 v[18:19], 0
	v_mov_b64_e32 v[20:21], 0
	s_and_saveexec_b64 s[10:11], vcc
	s_cbranch_execz .LBB163_283
; %bb.244:
	v_cmp_neq_f64_e32 vcc, 0, v[10:11]
	v_cmp_neq_f64_e64 s[2:3], 0, v[12:13]
	v_mov_b64_e32 v[24:25], 0
	s_or_b64 s[2:3], vcc, s[2:3]
	s_and_saveexec_b64 s[12:13], s[2:3]
	s_cbranch_execz .LBB163_274
; %bb.245:
	v_mov_b32_e32 v24, 0
	v_mov_b32_e32 v25, 0x7ff00000
	v_cmp_neq_f64_e64 s[2:3], |v[12:13]|, v[24:25]
	s_and_saveexec_b64 s[14:15], s[2:3]
	s_cbranch_execz .LBB163_273
; %bb.246:
	v_cmp_o_f64_e32 vcc, v[10:11], v[10:11]
                                        ; implicit-def: $vgpr24_vgpr25
	s_and_saveexec_b64 s[2:3], vcc
	s_xor_b64 s[16:17], exec, s[2:3]
	s_cbranch_execz .LBB163_270
; %bb.247:
	s_mov_b32 s2, 0
	s_mov_b32 s3, 0x7ff00000
	v_cmp_neq_f64_e64 s[2:3], |v[10:11]|, s[2:3]
                                        ; implicit-def: $vgpr24_vgpr25
	s_and_saveexec_b64 s[4:5], s[2:3]
	s_xor_b64 s[18:19], exec, s[4:5]
	s_cbranch_execz .LBB163_263
; %bb.248:
	v_max_f64 v[18:19], |v[12:13]|, |v[12:13]|
	v_max_f64 v[20:21], |v[10:11]|, |v[10:11]|
	s_mov_b32 s2, 0x99fcef32
	v_max_f64 v[18:19], v[20:21], v[18:19]
	s_mov_b32 s3, 0x7fda8279
	v_cmp_nle_f64_e64 s[2:3], s[2:3], v[18:19]
                                        ; implicit-def: $sgpr20_sgpr21
	s_and_saveexec_b64 s[4:5], s[2:3]
	s_xor_b64 s[4:5], exec, s[4:5]
	s_cbranch_execz .LBB163_252
; %bb.249:
	s_mov_b32 s20, 0
	s_mov_b32 s21, 0x200000
	v_cmp_le_f64_e64 s[22:23], |v[10:11]|, s[20:21]
	v_cmp_le_f64_e64 s[20:21], |v[12:13]|, s[20:21]
	s_and_b64 s[26:27], s[22:23], s[20:21]
	s_mov_b64 s[20:21], 0
	s_and_saveexec_b64 s[22:23], s[26:27]
; %bb.250:
	s_mov_b64 s[20:21], exec
	v_mul_f64 v[10:11], v[10:11], 4.0
	v_mul_f64 v[12:13], v[12:13], 4.0
; %bb.251:
	s_or_b64 exec, exec, s[22:23]
.LBB163_252:
	s_andn2_saveexec_b64 s[4:5], s[4:5]
; %bb.253:
	v_ldexp_f64 v[10:11], v[10:11], -2
	v_ldexp_f64 v[12:13], v[12:13], -2
	s_andn2_b64 s[20:21], s[20:21], exec
; %bb.254:
	s_or_b64 exec, exec, s[4:5]
	v_max_f64 v[18:19], |v[12:13]|, |v[12:13]|
	v_max_f64 v[20:21], |v[10:11]|, |v[10:11]|
	v_max_f64 v[18:19], v[20:21], v[18:19]
	v_frexp_exp_i32_f64_e32 v23, v[18:19]
	v_sub_u32_e32 v20, 0, v23
	v_ldexp_f64 v[18:19], |v[10:11]|, v20
	v_ldexp_f64 v[20:21], |v[12:13]|, v20
	v_mul_f64 v[20:21], v[20:21], v[20:21]
	v_fmac_f64_e32 v[20:21], v[18:19], v[18:19]
	v_rsq_f64_e32 v[18:19], v[20:21]
	v_cmp_eq_f64_e64 s[4:5], 0, v[20:21]
	s_movk_i32 s7, 0x204
	v_cmp_class_f64_e64 s[22:23], v[12:13], s7
	v_mul_f64 v[24:25], v[20:21], v[18:19]
	v_mul_f64 v[18:19], v[18:19], 0.5
	v_fma_f64 v[26:27], -v[18:19], v[24:25], 0.5
	v_fmac_f64_e32 v[24:25], v[24:25], v[26:27]
	v_fmac_f64_e32 v[18:19], v[18:19], v[26:27]
	v_fma_f64 v[26:27], -v[24:25], v[24:25], v[20:21]
	v_fmac_f64_e32 v[24:25], v[26:27], v[18:19]
	v_cndmask_b32_e64 v19, v25, v21, s[4:5]
	v_cndmask_b32_e64 v18, v24, v20, s[4:5]
	v_ldexp_f64 v[18:19], v[18:19], v23
	v_cmp_o_f64_e64 s[4:5], v[12:13], v[12:13]
	v_mov_b32_e32 v20, 0x7ff80000
	v_cmp_le_f64_e32 vcc, 0, v[10:11]
	v_cndmask_b32_e64 v18, 0, v18, s[4:5]
	v_cndmask_b32_e64 v19, v20, v19, s[4:5]
	v_cmp_class_f64_e64 s[4:5], v[10:11], s7
	v_mov_b32_e32 v20, 0x7ff00000
	s_or_b64 s[4:5], s[22:23], s[4:5]
	v_cndmask_b32_e64 v25, v19, v20, s[4:5]
	v_cndmask_b32_e64 v24, v18, 0, s[4:5]
                                        ; implicit-def: $vgpr18_vgpr19
                                        ; implicit-def: $vgpr20_vgpr21
	s_and_saveexec_b64 s[4:5], vcc
	s_xor_b64 s[4:5], exec, s[4:5]
	s_cbranch_execz .LBB163_256
; %bb.255:
	v_add_f64 v[10:11], v[10:11], v[24:25]
	s_mov_b32 s22, 0
	v_mul_f64 v[10:11], v[10:11], 0.5
	s_brev_b32 s23, 8
	v_mov_b32_e32 v18, 0x100
	v_cmp_gt_f64_e32 vcc, s[22:23], v[10:11]
	s_nop 1
	v_cndmask_b32_e32 v18, 0, v18, vcc
	v_ldexp_f64 v[10:11], v[10:11], v18
	v_rsq_f64_e32 v[18:19], v[10:11]
	s_nop 0
	v_mul_f64 v[20:21], v[10:11], v[18:19]
	v_mul_f64 v[18:19], v[18:19], 0.5
	v_fma_f64 v[24:25], -v[18:19], v[20:21], 0.5
	v_fmac_f64_e32 v[20:21], v[20:21], v[24:25]
	v_fma_f64 v[26:27], -v[20:21], v[20:21], v[10:11]
	v_fmac_f64_e32 v[18:19], v[18:19], v[24:25]
	v_fmac_f64_e32 v[20:21], v[26:27], v[18:19]
	v_fma_f64 v[24:25], -v[20:21], v[20:21], v[10:11]
	v_fmac_f64_e32 v[20:21], v[24:25], v[18:19]
	v_mov_b32_e32 v18, 0xffffff80
	v_cndmask_b32_e32 v18, 0, v18, vcc
	v_ldexp_f64 v[18:19], v[20:21], v18
	v_mov_b32_e32 v20, 0x260
	v_cmp_class_f64_e32 vcc, v[10:11], v20
	s_nop 1
	v_cndmask_b32_e32 v21, v19, v11, vcc
	v_cndmask_b32_e32 v20, v18, v10, vcc
	v_add_f64 v[10:11], v[20:21], v[20:21]
	v_div_scale_f64 v[18:19], s[22:23], v[10:11], v[10:11], v[12:13]
	v_rcp_f64_e32 v[24:25], v[18:19]
	s_nop 0
	v_fma_f64 v[26:27], -v[18:19], v[24:25], 1.0
	v_fmac_f64_e32 v[24:25], v[24:25], v[26:27]
	v_fma_f64 v[26:27], -v[18:19], v[24:25], 1.0
	v_fmac_f64_e32 v[24:25], v[24:25], v[26:27]
	v_div_scale_f64 v[26:27], vcc, v[12:13], v[10:11], v[12:13]
	v_mul_f64 v[28:29], v[26:27], v[24:25]
	v_fma_f64 v[18:19], -v[18:19], v[28:29], v[26:27]
	s_nop 1
	v_div_fmas_f64 v[18:19], v[18:19], v[24:25], v[28:29]
	v_div_fixup_f64 v[18:19], v[18:19], v[10:11], v[12:13]
                                        ; implicit-def: $vgpr24_vgpr25
                                        ; implicit-def: $vgpr10_vgpr11
	s_andn2_saveexec_b64 s[4:5], s[4:5]
	s_cbranch_execz .LBB163_258
	s_branch .LBB163_257
.LBB163_256:
	s_andn2_saveexec_b64 s[4:5], s[4:5]
	s_cbranch_execz .LBB163_258
.LBB163_257:
	v_add_f64 v[10:11], v[24:25], -v[10:11]
	s_mov_b32 s22, 0
	v_mul_f64 v[10:11], v[10:11], 0.5
	s_brev_b32 s23, 8
	v_mov_b32_e32 v18, 0x100
	v_cmp_gt_f64_e32 vcc, s[22:23], v[10:11]
	s_brev_b32 s7, -2
	s_nop 0
	v_cndmask_b32_e32 v18, 0, v18, vcc
	v_ldexp_f64 v[10:11], v[10:11], v18
	v_rsq_f64_e32 v[18:19], v[10:11]
	s_nop 0
	v_mul_f64 v[20:21], v[10:11], v[18:19]
	v_mul_f64 v[18:19], v[18:19], 0.5
	v_fma_f64 v[24:25], -v[18:19], v[20:21], 0.5
	v_fmac_f64_e32 v[20:21], v[20:21], v[24:25]
	v_fma_f64 v[26:27], -v[20:21], v[20:21], v[10:11]
	v_fmac_f64_e32 v[18:19], v[18:19], v[24:25]
	v_fmac_f64_e32 v[20:21], v[26:27], v[18:19]
	v_fma_f64 v[24:25], -v[20:21], v[20:21], v[10:11]
	v_fmac_f64_e32 v[20:21], v[24:25], v[18:19]
	v_mov_b32_e32 v18, 0xffffff80
	v_cndmask_b32_e32 v18, 0, v18, vcc
	v_ldexp_f64 v[18:19], v[20:21], v18
	v_mov_b32_e32 v20, 0x260
	v_cmp_class_f64_e32 vcc, v[10:11], v20
	v_and_b32_e32 v21, 0x7fffffff, v13
	v_mov_b32_e32 v20, v12
	v_cndmask_b32_e32 v19, v19, v11, vcc
	v_cndmask_b32_e32 v18, v18, v10, vcc
	v_add_f64 v[10:11], v[18:19], v[18:19]
	v_div_scale_f64 v[24:25], s[22:23], v[10:11], v[10:11], v[20:21]
	v_rcp_f64_e32 v[26:27], v[24:25]
	v_div_scale_f64 v[20:21], vcc, v[20:21], v[10:11], v[20:21]
	v_bfi_b32 v19, s7, v19, v13
	v_fma_f64 v[28:29], -v[24:25], v[26:27], 1.0
	v_fmac_f64_e32 v[26:27], v[26:27], v[28:29]
	v_fma_f64 v[28:29], -v[24:25], v[26:27], 1.0
	v_fmac_f64_e32 v[26:27], v[26:27], v[28:29]
	v_mul_f64 v[28:29], v[20:21], v[26:27]
	v_fma_f64 v[20:21], -v[24:25], v[28:29], v[20:21]
	v_div_fmas_f64 v[20:21], v[20:21], v[26:27], v[28:29]
	v_div_fixup_f64 v[20:21], v[20:21], v[10:11], |v[12:13]|
.LBB163_258:
	s_or_b64 exec, exec, s[4:5]
                                        ; implicit-def: $vgpr12_vgpr13
                                        ; implicit-def: $vgpr24_vgpr25
	s_and_saveexec_b64 s[4:5], s[2:3]
	s_xor_b64 s[2:3], exec, s[4:5]
	s_cbranch_execz .LBB163_260
; %bb.259:
	v_mul_f64 v[10:11], v[20:21], 0.5
	v_mul_f64 v[12:13], v[18:19], 0.5
	v_cndmask_b32_e64 v25, v21, v11, s[20:21]
	v_cndmask_b32_e64 v24, v20, v10, s[20:21]
	;; [unrolled: 1-line block ×4, first 2 shown]
                                        ; implicit-def: $vgpr20_vgpr21
                                        ; implicit-def: $vgpr18_vgpr19
	s_andn2_saveexec_b64 s[2:3], s[2:3]
	s_cbranch_execnz .LBB163_261
	s_branch .LBB163_262
.LBB163_260:
	s_andn2_saveexec_b64 s[2:3], s[2:3]
.LBB163_261:
	v_add_f64 v[24:25], v[20:21], v[20:21]
	v_add_f64 v[12:13], v[18:19], v[18:19]
.LBB163_262:
	s_or_b64 exec, exec, s[2:3]
.LBB163_263:
	s_andn2_saveexec_b64 s[2:3], s[18:19]
	s_cbranch_execz .LBB163_269
; %bb.264:
	v_add_f64 v[18:19], v[12:13], -v[12:13]
	v_cmp_lt_i64_e32 vcc, -1, v[10:11]
	s_brev_b32 s7, -2
	v_and_b32_e32 v25, 0x7fffffff, v19
	v_mov_b32_e32 v24, v18
	s_and_saveexec_b64 s[4:5], vcc
	s_xor_b64 s[4:5], exec, s[4:5]
; %bb.265:
	v_bfi_b32 v19, s7, v19, v13
	v_mov_b64_e32 v[12:13], v[18:19]
	v_mov_b64_e32 v[24:25], v[10:11]
; %bb.266:
	s_andn2_saveexec_b64 s[4:5], s[4:5]
; %bb.267:
	v_bfi_b32 v11, s7, v11, v13
	v_mov_b64_e32 v[12:13], v[10:11]
; %bb.268:
	s_or_b64 exec, exec, s[4:5]
.LBB163_269:
	s_or_b64 exec, exec, s[2:3]
.LBB163_270:
	s_andn2_saveexec_b64 s[2:3], s[16:17]
	s_cbranch_execz .LBB163_272
; %bb.271:
	v_add_f64 v[12:13], v[12:13], -v[12:13]
	v_div_scale_f64 v[18:19], vcc, v[12:13], v[12:13], v[12:13]
	v_rcp_f64_e32 v[20:21], v[18:19]
	s_nop 0
	v_fma_f64 v[24:25], -v[18:19], v[20:21], 1.0
	v_fmac_f64_e32 v[20:21], v[20:21], v[24:25]
	v_fma_f64 v[24:25], -v[18:19], v[20:21], 1.0
	v_fmac_f64_e32 v[20:21], v[20:21], v[24:25]
	v_mul_f64 v[24:25], v[18:19], v[20:21]
	v_fma_f64 v[18:19], -v[18:19], v[24:25], v[18:19]
	v_div_fmas_f64 v[18:19], v[18:19], v[20:21], v[24:25]
	v_div_fixup_f64 v[12:13], v[18:19], v[12:13], v[12:13]
	v_mov_b64_e32 v[24:25], v[10:11]
.LBB163_272:
	s_or_b64 exec, exec, s[2:3]
.LBB163_273:
	s_or_b64 exec, exec, s[14:15]
.LBB163_274:
	s_or_b64 exec, exec, s[12:13]
	v_xor_b32_e32 v10, 0x80000000, v25
	v_cmp_gt_f64_e32 vcc, 0, v[24:25]
	v_mov_b32_e32 v26, v24
                                        ; implicit-def: $vgpr18_vgpr19
	s_nop 0
	v_cndmask_b32_e32 v27, v25, v10, vcc
	v_xor_b32_e32 v10, 0x80000000, v13
	v_cmp_gt_f64_e32 vcc, 0, v[12:13]
	s_nop 1
	v_cndmask_b32_e32 v11, v13, v10, vcc
	v_mov_b32_e32 v10, v12
	v_cmp_ge_f64_e32 vcc, v[26:27], v[10:11]
	s_and_saveexec_b64 s[2:3], vcc
	s_xor_b64 s[4:5], exec, s[2:3]
	s_cbranch_execz .LBB163_280
; %bb.275:
	v_cmp_neq_f64_e32 vcc, 0, v[24:25]
	v_cmp_neq_f64_e64 s[2:3], 0, v[12:13]
	s_or_b64 s[2:3], vcc, s[2:3]
                                        ; implicit-def: $vgpr18_vgpr19
	s_and_saveexec_b64 s[12:13], s[2:3]
	s_xor_b64 s[2:3], exec, s[12:13]
	s_cbranch_execz .LBB163_277
; %bb.276:
	v_div_scale_f64 v[10:11], s[12:13], v[24:25], v[24:25], v[12:13]
	v_rcp_f64_e32 v[18:19], v[10:11]
	v_div_scale_f64 v[20:21], vcc, v[12:13], v[24:25], v[12:13]
	v_fma_f64 v[26:27], -v[10:11], v[18:19], 1.0
	v_fmac_f64_e32 v[18:19], v[18:19], v[26:27]
	v_fma_f64 v[26:27], -v[10:11], v[18:19], 1.0
	v_fmac_f64_e32 v[18:19], v[18:19], v[26:27]
	v_mul_f64 v[26:27], v[20:21], v[18:19]
	v_fma_f64 v[10:11], -v[10:11], v[26:27], v[20:21]
	v_div_fmas_f64 v[10:11], v[10:11], v[18:19], v[26:27]
	v_div_fixup_f64 v[10:11], v[10:11], v[24:25], v[12:13]
	v_fmac_f64_e32 v[24:25], v[12:13], v[10:11]
	v_div_scale_f64 v[12:13], s[12:13], v[24:25], v[24:25], 1.0
	v_rcp_f64_e32 v[18:19], v[12:13]
	s_nop 0
	v_fma_f64 v[20:21], -v[12:13], v[18:19], 1.0
	v_fmac_f64_e32 v[18:19], v[18:19], v[20:21]
	v_fma_f64 v[20:21], -v[12:13], v[18:19], 1.0
	v_fmac_f64_e32 v[18:19], v[18:19], v[20:21]
	v_div_scale_f64 v[20:21], vcc, 1.0, v[24:25], 1.0
	v_mul_f64 v[26:27], v[20:21], v[18:19]
	v_fma_f64 v[12:13], -v[12:13], v[26:27], v[20:21]
	s_nop 1
	v_div_fmas_f64 v[12:13], v[12:13], v[18:19], v[26:27]
	v_div_fixup_f64 v[12:13], v[12:13], v[24:25], 1.0
	v_fma_f64 v[18:19], v[10:11], 0, 1.0
	v_add_f64 v[10:11], -v[10:11], 0
	v_mul_f64 v[18:19], v[18:19], v[12:13]
	v_mul_f64 v[20:21], v[10:11], v[12:13]
                                        ; implicit-def: $vgpr26_vgpr27
                                        ; implicit-def: $vgpr10_vgpr11
.LBB163_277:
	s_andn2_saveexec_b64 s[2:3], s[2:3]
	s_cbranch_execz .LBB163_279
; %bb.278:
	v_div_scale_f64 v[12:13], s[12:13], v[26:27], v[26:27], 1.0
	v_rcp_f64_e32 v[18:19], v[12:13]
	v_div_scale_f64 v[20:21], vcc, 1.0, v[26:27], 1.0
	v_fma_f64 v[24:25], -v[12:13], v[18:19], 1.0
	v_fmac_f64_e32 v[18:19], v[18:19], v[24:25]
	v_fma_f64 v[24:25], -v[12:13], v[18:19], 1.0
	v_fmac_f64_e32 v[18:19], v[18:19], v[24:25]
	v_mul_f64 v[24:25], v[20:21], v[18:19]
	v_fma_f64 v[12:13], -v[12:13], v[24:25], v[20:21]
	v_div_scale_f64 v[20:21], s[12:13], v[10:11], v[10:11], 0
	v_rcp_f64_e32 v[28:29], v[20:21]
	v_div_fmas_f64 v[12:13], v[12:13], v[18:19], v[24:25]
	v_div_fixup_f64 v[18:19], v[12:13], v[26:27], 1.0
	v_fma_f64 v[12:13], -v[20:21], v[28:29], 1.0
	v_fmac_f64_e32 v[28:29], v[28:29], v[12:13]
	v_fma_f64 v[12:13], -v[20:21], v[28:29], 1.0
	v_fmac_f64_e32 v[28:29], v[28:29], v[12:13]
	v_div_scale_f64 v[12:13], vcc, 0, v[10:11], 0
	v_mul_f64 v[24:25], v[12:13], v[28:29]
	v_fma_f64 v[12:13], -v[20:21], v[24:25], v[12:13]
	s_nop 1
	v_div_fmas_f64 v[12:13], v[12:13], v[28:29], v[24:25]
	v_div_fixup_f64 v[20:21], v[12:13], v[10:11], 0
.LBB163_279:
	s_or_b64 exec, exec, s[2:3]
                                        ; implicit-def: $vgpr12_vgpr13
                                        ; implicit-def: $vgpr24_vgpr25
.LBB163_280:
	s_andn2_saveexec_b64 s[2:3], s[4:5]
	s_cbranch_execz .LBB163_282
; %bb.281:
	v_div_scale_f64 v[10:11], s[4:5], v[12:13], v[12:13], v[24:25]
	v_rcp_f64_e32 v[18:19], v[10:11]
	v_div_scale_f64 v[20:21], vcc, v[24:25], v[12:13], v[24:25]
	v_fma_f64 v[26:27], -v[10:11], v[18:19], 1.0
	v_fmac_f64_e32 v[18:19], v[18:19], v[26:27]
	v_fma_f64 v[26:27], -v[10:11], v[18:19], 1.0
	v_fmac_f64_e32 v[18:19], v[18:19], v[26:27]
	v_mul_f64 v[26:27], v[20:21], v[18:19]
	v_fma_f64 v[10:11], -v[10:11], v[26:27], v[20:21]
	v_div_fmas_f64 v[10:11], v[10:11], v[18:19], v[26:27]
	v_div_fixup_f64 v[10:11], v[10:11], v[12:13], v[24:25]
	v_fmac_f64_e32 v[12:13], v[24:25], v[10:11]
	v_div_scale_f64 v[18:19], s[4:5], v[12:13], v[12:13], 1.0
	v_rcp_f64_e32 v[20:21], v[18:19]
	s_nop 0
	v_fma_f64 v[24:25], -v[18:19], v[20:21], 1.0
	v_fmac_f64_e32 v[20:21], v[20:21], v[24:25]
	v_fma_f64 v[24:25], -v[18:19], v[20:21], 1.0
	v_fmac_f64_e32 v[20:21], v[20:21], v[24:25]
	v_div_scale_f64 v[24:25], vcc, 1.0, v[12:13], 1.0
	v_mul_f64 v[26:27], v[24:25], v[20:21]
	v_fma_f64 v[18:19], -v[18:19], v[26:27], v[24:25]
	s_nop 1
	v_div_fmas_f64 v[18:19], v[18:19], v[20:21], v[26:27]
	v_div_fixup_f64 v[12:13], v[18:19], v[12:13], 1.0
	v_add_f64 v[18:19], v[10:11], 0
	v_fma_f64 v[10:11], v[10:11], 0, -1.0
	v_mul_f64 v[18:19], v[18:19], v[12:13]
	v_mul_f64 v[20:21], v[10:11], v[12:13]
.LBB163_282:
	s_or_b64 exec, exec, s[2:3]
.LBB163_283:
	s_or_b64 exec, exec, s[10:11]
	v_or_b32_e32 v10, 0x300, v0
	v_cmp_gt_i32_e32 vcc, s24, v10
	v_mov_b64_e32 v[10:11], 0
	v_mov_b64_e32 v[12:13], 0
	s_and_saveexec_b64 s[10:11], vcc
	s_cbranch_execz .LBB163_296
; %bb.284:
	v_cmp_neq_f64_e32 vcc, 0, v[2:3]
	v_cmp_neq_f64_e64 s[2:3], 0, v[4:5]
	v_mov_b64_e32 v[24:25], 0
	s_or_b64 s[2:3], vcc, s[2:3]
	s_and_saveexec_b64 s[12:13], s[2:3]
	s_cbranch_execz .LBB163_318
; %bb.285:
	v_mov_b32_e32 v24, 0
	v_mov_b32_e32 v25, 0x7ff00000
	v_cmp_neq_f64_e64 s[2:3], |v[4:5]|, v[24:25]
	s_and_saveexec_b64 s[14:15], s[2:3]
	s_cbranch_execz .LBB163_317
; %bb.286:
	v_cmp_o_f64_e32 vcc, v[2:3], v[2:3]
                                        ; implicit-def: $vgpr24_vgpr25
	s_and_saveexec_b64 s[2:3], vcc
	s_xor_b64 s[16:17], exec, s[2:3]
	s_cbranch_execz .LBB163_314
; %bb.287:
	s_mov_b32 s2, 0
	s_mov_b32 s3, 0x7ff00000
	v_cmp_neq_f64_e64 s[2:3], |v[2:3]|, s[2:3]
                                        ; implicit-def: $vgpr24_vgpr25
	s_and_saveexec_b64 s[4:5], s[2:3]
	s_xor_b64 s[18:19], exec, s[4:5]
	s_cbranch_execz .LBB163_307
; %bb.288:
	v_max_f64 v[10:11], |v[4:5]|, |v[4:5]|
	v_max_f64 v[12:13], |v[2:3]|, |v[2:3]|
	s_mov_b32 s2, 0x99fcef32
	v_max_f64 v[10:11], v[12:13], v[10:11]
	s_mov_b32 s3, 0x7fda8279
	v_cmp_nle_f64_e64 s[2:3], s[2:3], v[10:11]
                                        ; implicit-def: $sgpr20_sgpr21
	s_and_saveexec_b64 s[4:5], s[2:3]
	s_xor_b64 s[4:5], exec, s[4:5]
	s_cbranch_execz .LBB163_292
; %bb.289:
	s_mov_b32 s20, 0
	s_mov_b32 s21, 0x200000
	v_cmp_le_f64_e64 s[22:23], |v[2:3]|, s[20:21]
	v_cmp_le_f64_e64 s[20:21], |v[4:5]|, s[20:21]
	s_and_b64 s[26:27], s[22:23], s[20:21]
	s_mov_b64 s[20:21], 0
	s_and_saveexec_b64 s[22:23], s[26:27]
; %bb.290:
	s_mov_b64 s[20:21], exec
	v_mul_f64 v[2:3], v[2:3], 4.0
	v_mul_f64 v[4:5], v[4:5], 4.0
; %bb.291:
	s_or_b64 exec, exec, s[22:23]
.LBB163_292:
	s_andn2_saveexec_b64 s[4:5], s[4:5]
; %bb.293:
	v_ldexp_f64 v[2:3], v[2:3], -2
	v_ldexp_f64 v[4:5], v[4:5], -2
	s_andn2_b64 s[20:21], s[20:21], exec
; %bb.294:
	s_or_b64 exec, exec, s[4:5]
	v_max_f64 v[10:11], |v[4:5]|, |v[4:5]|
	v_max_f64 v[12:13], |v[2:3]|, |v[2:3]|
	v_max_f64 v[10:11], v[12:13], v[10:11]
	v_frexp_exp_i32_f64_e32 v23, v[10:11]
	v_sub_u32_e32 v12, 0, v23
	v_ldexp_f64 v[10:11], |v[2:3]|, v12
	v_ldexp_f64 v[12:13], |v[4:5]|, v12
	v_mul_f64 v[12:13], v[12:13], v[12:13]
	v_fmac_f64_e32 v[12:13], v[10:11], v[10:11]
	v_rsq_f64_e32 v[10:11], v[12:13]
	v_cmp_eq_f64_e64 s[4:5], 0, v[12:13]
	s_movk_i32 s7, 0x204
	v_cmp_class_f64_e64 s[22:23], v[4:5], s7
	v_mul_f64 v[24:25], v[12:13], v[10:11]
	v_mul_f64 v[10:11], v[10:11], 0.5
	v_fma_f64 v[26:27], -v[10:11], v[24:25], 0.5
	v_fmac_f64_e32 v[24:25], v[24:25], v[26:27]
	v_fmac_f64_e32 v[10:11], v[10:11], v[26:27]
	v_fma_f64 v[26:27], -v[24:25], v[24:25], v[12:13]
	v_fmac_f64_e32 v[24:25], v[26:27], v[10:11]
	v_cndmask_b32_e64 v11, v25, v13, s[4:5]
	v_cndmask_b32_e64 v10, v24, v12, s[4:5]
	v_ldexp_f64 v[10:11], v[10:11], v23
	v_cmp_o_f64_e64 s[4:5], v[4:5], v[4:5]
	v_mov_b32_e32 v12, 0x7ff80000
	v_cmp_le_f64_e32 vcc, 0, v[2:3]
	v_cndmask_b32_e64 v10, 0, v10, s[4:5]
	v_cndmask_b32_e64 v11, v12, v11, s[4:5]
	v_cmp_class_f64_e64 s[4:5], v[2:3], s7
	v_mov_b32_e32 v12, 0x7ff00000
	s_or_b64 s[4:5], s[22:23], s[4:5]
	v_cndmask_b32_e64 v25, v11, v12, s[4:5]
	v_cndmask_b32_e64 v24, v10, 0, s[4:5]
                                        ; implicit-def: $vgpr10_vgpr11
                                        ; implicit-def: $vgpr12_vgpr13
	s_and_saveexec_b64 s[4:5], vcc
	s_xor_b64 s[4:5], exec, s[4:5]
	s_cbranch_execz .LBB163_300
; %bb.295:
	v_add_f64 v[2:3], v[2:3], v[24:25]
	s_mov_b32 s22, 0
	v_mul_f64 v[2:3], v[2:3], 0.5
	s_brev_b32 s23, 8
	v_mov_b32_e32 v10, 0x100
	v_cmp_gt_f64_e32 vcc, s[22:23], v[2:3]
	s_nop 1
	v_cndmask_b32_e32 v10, 0, v10, vcc
	v_ldexp_f64 v[2:3], v[2:3], v10
	v_rsq_f64_e32 v[10:11], v[2:3]
	s_nop 0
	v_mul_f64 v[12:13], v[2:3], v[10:11]
	v_mul_f64 v[10:11], v[10:11], 0.5
	v_fma_f64 v[24:25], -v[10:11], v[12:13], 0.5
	v_fmac_f64_e32 v[12:13], v[12:13], v[24:25]
	v_fma_f64 v[26:27], -v[12:13], v[12:13], v[2:3]
	v_fmac_f64_e32 v[10:11], v[10:11], v[24:25]
	v_fmac_f64_e32 v[12:13], v[26:27], v[10:11]
	v_fma_f64 v[24:25], -v[12:13], v[12:13], v[2:3]
	v_fmac_f64_e32 v[12:13], v[24:25], v[10:11]
	v_mov_b32_e32 v10, 0xffffff80
	v_cndmask_b32_e32 v10, 0, v10, vcc
	v_ldexp_f64 v[10:11], v[12:13], v10
	v_mov_b32_e32 v12, 0x260
	v_cmp_class_f64_e32 vcc, v[2:3], v12
	s_nop 1
	v_cndmask_b32_e32 v13, v11, v3, vcc
	v_cndmask_b32_e32 v12, v10, v2, vcc
	v_add_f64 v[2:3], v[12:13], v[12:13]
	v_div_scale_f64 v[10:11], s[22:23], v[2:3], v[2:3], v[4:5]
	v_rcp_f64_e32 v[24:25], v[10:11]
	s_nop 0
	v_fma_f64 v[26:27], -v[10:11], v[24:25], 1.0
	v_fmac_f64_e32 v[24:25], v[24:25], v[26:27]
	v_fma_f64 v[26:27], -v[10:11], v[24:25], 1.0
	v_fmac_f64_e32 v[24:25], v[24:25], v[26:27]
	v_div_scale_f64 v[26:27], vcc, v[4:5], v[2:3], v[4:5]
	v_mul_f64 v[28:29], v[26:27], v[24:25]
	v_fma_f64 v[10:11], -v[10:11], v[28:29], v[26:27]
	s_nop 1
	v_div_fmas_f64 v[10:11], v[10:11], v[24:25], v[28:29]
	v_div_fixup_f64 v[10:11], v[10:11], v[2:3], v[4:5]
                                        ; implicit-def: $vgpr24_vgpr25
                                        ; implicit-def: $vgpr2_vgpr3
	s_andn2_saveexec_b64 s[4:5], s[4:5]
	s_cbranch_execz .LBB163_302
	s_branch .LBB163_301
.LBB163_296:
	s_or_b64 exec, exec, s[10:11]
	s_and_saveexec_b64 s[2:3], s[0:1]
	s_xor_b64 s[0:1], exec, s[2:3]
	s_cbranch_execz .LBB163_327
.LBB163_297:
	v_mov_b32_e32 v23, 0
	v_lshl_add_u64 v[2:3], v[22:23], 4, s[8:9]
	v_mov_b32_e32 v0, v1
	global_store_dwordx4 v[2:3], v[6:9], off
	s_or_b64 exec, exec, s[0:1]
	v_cmp_gt_i32_e32 vcc, s24, v0
	s_and_saveexec_b64 s[0:1], vcc
	s_cbranch_execnz .LBB163_328
.LBB163_298:
	s_or_b64 exec, exec, s[0:1]
	v_cmp_gt_i32_e32 vcc, s24, v0
	s_and_saveexec_b64 s[0:1], vcc
	s_cbranch_execz .LBB163_329
.LBB163_299:
	v_add_u32_e32 v2, s6, v0
	v_mov_b32_e32 v3, 0
	v_lshl_add_u64 v[2:3], v[2:3], 4, s[8:9]
	v_add_u32_e32 v0, 0x100, v0
	global_store_dwordx4 v[2:3], v[18:21], off
	s_or_b64 exec, exec, s[0:1]
	v_cmp_gt_i32_e32 vcc, s24, v0
	s_and_saveexec_b64 s[0:1], vcc
	s_cbranch_execnz .LBB163_330
	s_branch .LBB163_331
.LBB163_300:
	s_andn2_saveexec_b64 s[4:5], s[4:5]
	s_cbranch_execz .LBB163_302
.LBB163_301:
	v_add_f64 v[2:3], v[24:25], -v[2:3]
	s_mov_b32 s22, 0
	v_mul_f64 v[2:3], v[2:3], 0.5
	s_brev_b32 s23, 8
	v_mov_b32_e32 v10, 0x100
	v_cmp_gt_f64_e32 vcc, s[22:23], v[2:3]
	s_brev_b32 s7, -2
	s_nop 0
	v_cndmask_b32_e32 v10, 0, v10, vcc
	v_ldexp_f64 v[2:3], v[2:3], v10
	v_rsq_f64_e32 v[10:11], v[2:3]
	s_nop 0
	v_mul_f64 v[12:13], v[2:3], v[10:11]
	v_mul_f64 v[10:11], v[10:11], 0.5
	v_fma_f64 v[24:25], -v[10:11], v[12:13], 0.5
	v_fmac_f64_e32 v[12:13], v[12:13], v[24:25]
	v_fma_f64 v[26:27], -v[12:13], v[12:13], v[2:3]
	v_fmac_f64_e32 v[10:11], v[10:11], v[24:25]
	v_fmac_f64_e32 v[12:13], v[26:27], v[10:11]
	v_fma_f64 v[24:25], -v[12:13], v[12:13], v[2:3]
	v_fmac_f64_e32 v[12:13], v[24:25], v[10:11]
	v_mov_b32_e32 v10, 0xffffff80
	v_cndmask_b32_e32 v10, 0, v10, vcc
	v_ldexp_f64 v[10:11], v[12:13], v10
	v_mov_b32_e32 v12, 0x260
	v_cmp_class_f64_e32 vcc, v[2:3], v12
	v_and_b32_e32 v13, 0x7fffffff, v5
	v_mov_b32_e32 v12, v4
	v_cndmask_b32_e32 v11, v11, v3, vcc
	v_cndmask_b32_e32 v10, v10, v2, vcc
	v_add_f64 v[2:3], v[10:11], v[10:11]
	v_div_scale_f64 v[24:25], s[22:23], v[2:3], v[2:3], v[12:13]
	v_rcp_f64_e32 v[26:27], v[24:25]
	v_div_scale_f64 v[12:13], vcc, v[12:13], v[2:3], v[12:13]
	v_bfi_b32 v11, s7, v11, v5
	v_fma_f64 v[28:29], -v[24:25], v[26:27], 1.0
	v_fmac_f64_e32 v[26:27], v[26:27], v[28:29]
	v_fma_f64 v[28:29], -v[24:25], v[26:27], 1.0
	v_fmac_f64_e32 v[26:27], v[26:27], v[28:29]
	v_mul_f64 v[28:29], v[12:13], v[26:27]
	v_fma_f64 v[12:13], -v[24:25], v[28:29], v[12:13]
	v_div_fmas_f64 v[12:13], v[12:13], v[26:27], v[28:29]
	v_div_fixup_f64 v[12:13], v[12:13], v[2:3], |v[4:5]|
.LBB163_302:
	s_or_b64 exec, exec, s[4:5]
                                        ; implicit-def: $vgpr4_vgpr5
                                        ; implicit-def: $vgpr24_vgpr25
	s_and_saveexec_b64 s[4:5], s[2:3]
	s_xor_b64 s[2:3], exec, s[4:5]
	s_cbranch_execz .LBB163_304
; %bb.303:
	v_mul_f64 v[2:3], v[12:13], 0.5
	v_mul_f64 v[4:5], v[10:11], 0.5
	v_cndmask_b32_e64 v25, v13, v3, s[20:21]
	v_cndmask_b32_e64 v24, v12, v2, s[20:21]
	v_cndmask_b32_e64 v5, v11, v5, s[20:21]
	v_cndmask_b32_e64 v4, v10, v4, s[20:21]
                                        ; implicit-def: $vgpr12_vgpr13
                                        ; implicit-def: $vgpr10_vgpr11
	s_andn2_saveexec_b64 s[2:3], s[2:3]
	s_cbranch_execnz .LBB163_305
	s_branch .LBB163_306
.LBB163_304:
	s_andn2_saveexec_b64 s[2:3], s[2:3]
.LBB163_305:
	v_add_f64 v[24:25], v[12:13], v[12:13]
	v_add_f64 v[4:5], v[10:11], v[10:11]
.LBB163_306:
	s_or_b64 exec, exec, s[2:3]
.LBB163_307:
	s_andn2_saveexec_b64 s[2:3], s[18:19]
	s_cbranch_execz .LBB163_313
; %bb.308:
	v_add_f64 v[10:11], v[4:5], -v[4:5]
	v_cmp_lt_i64_e32 vcc, -1, v[2:3]
	s_brev_b32 s7, -2
	v_and_b32_e32 v25, 0x7fffffff, v11
	v_mov_b32_e32 v24, v10
	s_and_saveexec_b64 s[4:5], vcc
	s_xor_b64 s[4:5], exec, s[4:5]
; %bb.309:
	v_bfi_b32 v11, s7, v11, v5
	v_mov_b64_e32 v[4:5], v[10:11]
	v_mov_b64_e32 v[24:25], v[2:3]
; %bb.310:
	s_andn2_saveexec_b64 s[4:5], s[4:5]
; %bb.311:
	v_bfi_b32 v3, s7, v3, v5
	v_mov_b64_e32 v[4:5], v[2:3]
; %bb.312:
	s_or_b64 exec, exec, s[4:5]
.LBB163_313:
	s_or_b64 exec, exec, s[2:3]
.LBB163_314:
	s_andn2_saveexec_b64 s[2:3], s[16:17]
	s_cbranch_execz .LBB163_316
; %bb.315:
	v_add_f64 v[4:5], v[4:5], -v[4:5]
	v_div_scale_f64 v[10:11], vcc, v[4:5], v[4:5], v[4:5]
	v_rcp_f64_e32 v[12:13], v[10:11]
	s_nop 0
	v_fma_f64 v[24:25], -v[10:11], v[12:13], 1.0
	v_fmac_f64_e32 v[12:13], v[12:13], v[24:25]
	v_fma_f64 v[24:25], -v[10:11], v[12:13], 1.0
	v_fmac_f64_e32 v[12:13], v[12:13], v[24:25]
	v_mul_f64 v[24:25], v[10:11], v[12:13]
	v_fma_f64 v[10:11], -v[10:11], v[24:25], v[10:11]
	v_div_fmas_f64 v[10:11], v[10:11], v[12:13], v[24:25]
	v_div_fixup_f64 v[4:5], v[10:11], v[4:5], v[4:5]
	v_mov_b64_e32 v[24:25], v[2:3]
.LBB163_316:
	s_or_b64 exec, exec, s[2:3]
.LBB163_317:
	s_or_b64 exec, exec, s[14:15]
.LBB163_318:
	s_or_b64 exec, exec, s[12:13]
	v_xor_b32_e32 v2, 0x80000000, v25
	v_cmp_gt_f64_e32 vcc, 0, v[24:25]
	v_mov_b32_e32 v26, v24
                                        ; implicit-def: $vgpr10_vgpr11
	s_nop 0
	v_cndmask_b32_e32 v27, v25, v2, vcc
	v_xor_b32_e32 v2, 0x80000000, v5
	v_cmp_gt_f64_e32 vcc, 0, v[4:5]
	s_nop 1
	v_cndmask_b32_e32 v3, v5, v2, vcc
	v_mov_b32_e32 v2, v4
	v_cmp_ge_f64_e32 vcc, v[26:27], v[2:3]
	s_and_saveexec_b64 s[2:3], vcc
	s_xor_b64 s[4:5], exec, s[2:3]
	s_cbranch_execz .LBB163_324
; %bb.319:
	v_cmp_neq_f64_e32 vcc, 0, v[24:25]
	v_cmp_neq_f64_e64 s[2:3], 0, v[4:5]
	s_or_b64 s[2:3], vcc, s[2:3]
                                        ; implicit-def: $vgpr10_vgpr11
	s_and_saveexec_b64 s[12:13], s[2:3]
	s_xor_b64 s[2:3], exec, s[12:13]
	s_cbranch_execz .LBB163_321
; %bb.320:
	v_div_scale_f64 v[2:3], s[12:13], v[24:25], v[24:25], v[4:5]
	v_rcp_f64_e32 v[10:11], v[2:3]
	v_div_scale_f64 v[12:13], vcc, v[4:5], v[24:25], v[4:5]
	v_fma_f64 v[26:27], -v[2:3], v[10:11], 1.0
	v_fmac_f64_e32 v[10:11], v[10:11], v[26:27]
	v_fma_f64 v[26:27], -v[2:3], v[10:11], 1.0
	v_fmac_f64_e32 v[10:11], v[10:11], v[26:27]
	v_mul_f64 v[26:27], v[12:13], v[10:11]
	v_fma_f64 v[2:3], -v[2:3], v[26:27], v[12:13]
	v_div_fmas_f64 v[2:3], v[2:3], v[10:11], v[26:27]
	v_div_fixup_f64 v[2:3], v[2:3], v[24:25], v[4:5]
	v_fmac_f64_e32 v[24:25], v[4:5], v[2:3]
	v_div_scale_f64 v[4:5], s[12:13], v[24:25], v[24:25], 1.0
	v_rcp_f64_e32 v[10:11], v[4:5]
	s_nop 0
	v_fma_f64 v[12:13], -v[4:5], v[10:11], 1.0
	v_fmac_f64_e32 v[10:11], v[10:11], v[12:13]
	v_fma_f64 v[12:13], -v[4:5], v[10:11], 1.0
	v_fmac_f64_e32 v[10:11], v[10:11], v[12:13]
	v_div_scale_f64 v[12:13], vcc, 1.0, v[24:25], 1.0
	v_mul_f64 v[26:27], v[12:13], v[10:11]
	v_fma_f64 v[4:5], -v[4:5], v[26:27], v[12:13]
	s_nop 1
	v_div_fmas_f64 v[4:5], v[4:5], v[10:11], v[26:27]
	v_div_fixup_f64 v[4:5], v[4:5], v[24:25], 1.0
	v_fma_f64 v[10:11], v[2:3], 0, 1.0
	v_add_f64 v[2:3], -v[2:3], 0
	v_mul_f64 v[10:11], v[10:11], v[4:5]
	v_mul_f64 v[12:13], v[2:3], v[4:5]
                                        ; implicit-def: $vgpr26_vgpr27
                                        ; implicit-def: $vgpr2_vgpr3
.LBB163_321:
	s_andn2_saveexec_b64 s[2:3], s[2:3]
	s_cbranch_execz .LBB163_323
; %bb.322:
	v_div_scale_f64 v[4:5], s[12:13], v[26:27], v[26:27], 1.0
	v_rcp_f64_e32 v[10:11], v[4:5]
	v_div_scale_f64 v[12:13], vcc, 1.0, v[26:27], 1.0
	v_fma_f64 v[24:25], -v[4:5], v[10:11], 1.0
	v_fmac_f64_e32 v[10:11], v[10:11], v[24:25]
	v_fma_f64 v[24:25], -v[4:5], v[10:11], 1.0
	v_fmac_f64_e32 v[10:11], v[10:11], v[24:25]
	v_mul_f64 v[24:25], v[12:13], v[10:11]
	v_fma_f64 v[4:5], -v[4:5], v[24:25], v[12:13]
	v_div_scale_f64 v[12:13], s[12:13], v[2:3], v[2:3], 0
	v_rcp_f64_e32 v[28:29], v[12:13]
	v_div_fmas_f64 v[4:5], v[4:5], v[10:11], v[24:25]
	v_div_fixup_f64 v[10:11], v[4:5], v[26:27], 1.0
	v_fma_f64 v[4:5], -v[12:13], v[28:29], 1.0
	v_fmac_f64_e32 v[28:29], v[28:29], v[4:5]
	v_fma_f64 v[4:5], -v[12:13], v[28:29], 1.0
	v_fmac_f64_e32 v[28:29], v[28:29], v[4:5]
	v_div_scale_f64 v[4:5], vcc, 0, v[2:3], 0
	v_mul_f64 v[24:25], v[4:5], v[28:29]
	v_fma_f64 v[4:5], -v[12:13], v[24:25], v[4:5]
	s_nop 1
	v_div_fmas_f64 v[4:5], v[4:5], v[28:29], v[24:25]
	v_div_fixup_f64 v[12:13], v[4:5], v[2:3], 0
.LBB163_323:
	s_or_b64 exec, exec, s[2:3]
                                        ; implicit-def: $vgpr4_vgpr5
                                        ; implicit-def: $vgpr24_vgpr25
.LBB163_324:
	s_andn2_saveexec_b64 s[2:3], s[4:5]
	s_cbranch_execz .LBB163_326
; %bb.325:
	v_div_scale_f64 v[2:3], s[4:5], v[4:5], v[4:5], v[24:25]
	v_rcp_f64_e32 v[10:11], v[2:3]
	v_div_scale_f64 v[12:13], vcc, v[24:25], v[4:5], v[24:25]
	v_fma_f64 v[26:27], -v[2:3], v[10:11], 1.0
	v_fmac_f64_e32 v[10:11], v[10:11], v[26:27]
	v_fma_f64 v[26:27], -v[2:3], v[10:11], 1.0
	v_fmac_f64_e32 v[10:11], v[10:11], v[26:27]
	v_mul_f64 v[26:27], v[12:13], v[10:11]
	v_fma_f64 v[2:3], -v[2:3], v[26:27], v[12:13]
	v_div_fmas_f64 v[2:3], v[2:3], v[10:11], v[26:27]
	v_div_fixup_f64 v[2:3], v[2:3], v[4:5], v[24:25]
	v_fmac_f64_e32 v[4:5], v[24:25], v[2:3]
	v_div_scale_f64 v[10:11], s[4:5], v[4:5], v[4:5], 1.0
	v_rcp_f64_e32 v[12:13], v[10:11]
	s_nop 0
	v_fma_f64 v[24:25], -v[10:11], v[12:13], 1.0
	v_fmac_f64_e32 v[12:13], v[12:13], v[24:25]
	v_fma_f64 v[24:25], -v[10:11], v[12:13], 1.0
	v_fmac_f64_e32 v[12:13], v[12:13], v[24:25]
	v_div_scale_f64 v[24:25], vcc, 1.0, v[4:5], 1.0
	v_mul_f64 v[26:27], v[24:25], v[12:13]
	v_fma_f64 v[10:11], -v[10:11], v[26:27], v[24:25]
	s_nop 1
	v_div_fmas_f64 v[10:11], v[10:11], v[12:13], v[26:27]
	v_div_fixup_f64 v[4:5], v[10:11], v[4:5], 1.0
	v_add_f64 v[10:11], v[2:3], 0
	v_fma_f64 v[2:3], v[2:3], 0, -1.0
	v_mul_f64 v[10:11], v[10:11], v[4:5]
	v_mul_f64 v[12:13], v[2:3], v[4:5]
.LBB163_326:
	s_or_b64 exec, exec, s[2:3]
	s_or_b64 exec, exec, s[10:11]
	s_and_saveexec_b64 s[2:3], s[0:1]
	s_xor_b64 s[0:1], exec, s[2:3]
	s_cbranch_execnz .LBB163_297
.LBB163_327:
	s_or_b64 exec, exec, s[0:1]
	v_cmp_gt_i32_e32 vcc, s24, v0
	s_and_saveexec_b64 s[0:1], vcc
	s_cbranch_execz .LBB163_298
.LBB163_328:
	v_add_u32_e32 v2, s6, v0
	v_mov_b32_e32 v3, 0
	v_lshl_add_u64 v[2:3], v[2:3], 4, s[8:9]
	v_add_u32_e32 v0, 0x100, v0
	global_store_dwordx4 v[2:3], v[14:17], off
	s_or_b64 exec, exec, s[0:1]
	v_cmp_gt_i32_e32 vcc, s24, v0
	s_and_saveexec_b64 s[0:1], vcc
	s_cbranch_execnz .LBB163_299
.LBB163_329:
	s_or_b64 exec, exec, s[0:1]
	v_cmp_gt_i32_e32 vcc, s24, v0
	s_and_saveexec_b64 s[0:1], vcc
	s_cbranch_execz .LBB163_331
.LBB163_330:
	v_add_u32_e32 v0, s6, v0
	v_mov_b32_e32 v1, 0
	v_lshl_add_u64 v[0:1], v[0:1], 4, s[8:9]
	global_store_dwordx4 v[0:1], v[10:13], off
.LBB163_331:
	s_endpgm
	.section	.rodata,"a",@progbits
	.p2align	6, 0x0
	.amdhsa_kernel _ZN2at6native29vectorized_elementwise_kernelILi8EZZZNS0_17rsqrt_kernel_cudaERNS_18TensorIteratorBaseEENKUlvE_clEvENKUlvE_clEvEUlN3c107complexIdEEE_St5arrayIPcLm2EEEEviT0_T1_
		.amdhsa_group_segment_fixed_size 0
		.amdhsa_private_segment_fixed_size 0
		.amdhsa_kernarg_size 24
		.amdhsa_user_sgpr_count 2
		.amdhsa_user_sgpr_dispatch_ptr 0
		.amdhsa_user_sgpr_queue_ptr 0
		.amdhsa_user_sgpr_kernarg_segment_ptr 1
		.amdhsa_user_sgpr_dispatch_id 0
		.amdhsa_user_sgpr_kernarg_preload_length 0
		.amdhsa_user_sgpr_kernarg_preload_offset 0
		.amdhsa_user_sgpr_private_segment_size 0
		.amdhsa_uses_dynamic_stack 0
		.amdhsa_enable_private_segment 0
		.amdhsa_system_sgpr_workgroup_id_x 1
		.amdhsa_system_sgpr_workgroup_id_y 0
		.amdhsa_system_sgpr_workgroup_id_z 0
		.amdhsa_system_sgpr_workgroup_info 0
		.amdhsa_system_vgpr_workitem_id 0
		.amdhsa_next_free_vgpr 30
		.amdhsa_next_free_sgpr 28
		.amdhsa_accum_offset 32
		.amdhsa_reserve_vcc 1
		.amdhsa_float_round_mode_32 0
		.amdhsa_float_round_mode_16_64 0
		.amdhsa_float_denorm_mode_32 3
		.amdhsa_float_denorm_mode_16_64 3
		.amdhsa_dx10_clamp 1
		.amdhsa_ieee_mode 1
		.amdhsa_fp16_overflow 0
		.amdhsa_tg_split 0
		.amdhsa_exception_fp_ieee_invalid_op 0
		.amdhsa_exception_fp_denorm_src 0
		.amdhsa_exception_fp_ieee_div_zero 0
		.amdhsa_exception_fp_ieee_overflow 0
		.amdhsa_exception_fp_ieee_underflow 0
		.amdhsa_exception_fp_ieee_inexact 0
		.amdhsa_exception_int_div_zero 0
	.end_amdhsa_kernel
	.section	.text._ZN2at6native29vectorized_elementwise_kernelILi8EZZZNS0_17rsqrt_kernel_cudaERNS_18TensorIteratorBaseEENKUlvE_clEvENKUlvE_clEvEUlN3c107complexIdEEE_St5arrayIPcLm2EEEEviT0_T1_,"axG",@progbits,_ZN2at6native29vectorized_elementwise_kernelILi8EZZZNS0_17rsqrt_kernel_cudaERNS_18TensorIteratorBaseEENKUlvE_clEvENKUlvE_clEvEUlN3c107complexIdEEE_St5arrayIPcLm2EEEEviT0_T1_,comdat
.Lfunc_end163:
	.size	_ZN2at6native29vectorized_elementwise_kernelILi8EZZZNS0_17rsqrt_kernel_cudaERNS_18TensorIteratorBaseEENKUlvE_clEvENKUlvE_clEvEUlN3c107complexIdEEE_St5arrayIPcLm2EEEEviT0_T1_, .Lfunc_end163-_ZN2at6native29vectorized_elementwise_kernelILi8EZZZNS0_17rsqrt_kernel_cudaERNS_18TensorIteratorBaseEENKUlvE_clEvENKUlvE_clEvEUlN3c107complexIdEEE_St5arrayIPcLm2EEEEviT0_T1_
                                        ; -- End function
	.set _ZN2at6native29vectorized_elementwise_kernelILi8EZZZNS0_17rsqrt_kernel_cudaERNS_18TensorIteratorBaseEENKUlvE_clEvENKUlvE_clEvEUlN3c107complexIdEEE_St5arrayIPcLm2EEEEviT0_T1_.num_vgpr, 30
	.set _ZN2at6native29vectorized_elementwise_kernelILi8EZZZNS0_17rsqrt_kernel_cudaERNS_18TensorIteratorBaseEENKUlvE_clEvENKUlvE_clEvEUlN3c107complexIdEEE_St5arrayIPcLm2EEEEviT0_T1_.num_agpr, 0
	.set _ZN2at6native29vectorized_elementwise_kernelILi8EZZZNS0_17rsqrt_kernel_cudaERNS_18TensorIteratorBaseEENKUlvE_clEvENKUlvE_clEvEUlN3c107complexIdEEE_St5arrayIPcLm2EEEEviT0_T1_.numbered_sgpr, 28
	.set _ZN2at6native29vectorized_elementwise_kernelILi8EZZZNS0_17rsqrt_kernel_cudaERNS_18TensorIteratorBaseEENKUlvE_clEvENKUlvE_clEvEUlN3c107complexIdEEE_St5arrayIPcLm2EEEEviT0_T1_.num_named_barrier, 0
	.set _ZN2at6native29vectorized_elementwise_kernelILi8EZZZNS0_17rsqrt_kernel_cudaERNS_18TensorIteratorBaseEENKUlvE_clEvENKUlvE_clEvEUlN3c107complexIdEEE_St5arrayIPcLm2EEEEviT0_T1_.private_seg_size, 0
	.set _ZN2at6native29vectorized_elementwise_kernelILi8EZZZNS0_17rsqrt_kernel_cudaERNS_18TensorIteratorBaseEENKUlvE_clEvENKUlvE_clEvEUlN3c107complexIdEEE_St5arrayIPcLm2EEEEviT0_T1_.uses_vcc, 1
	.set _ZN2at6native29vectorized_elementwise_kernelILi8EZZZNS0_17rsqrt_kernel_cudaERNS_18TensorIteratorBaseEENKUlvE_clEvENKUlvE_clEvEUlN3c107complexIdEEE_St5arrayIPcLm2EEEEviT0_T1_.uses_flat_scratch, 0
	.set _ZN2at6native29vectorized_elementwise_kernelILi8EZZZNS0_17rsqrt_kernel_cudaERNS_18TensorIteratorBaseEENKUlvE_clEvENKUlvE_clEvEUlN3c107complexIdEEE_St5arrayIPcLm2EEEEviT0_T1_.has_dyn_sized_stack, 0
	.set _ZN2at6native29vectorized_elementwise_kernelILi8EZZZNS0_17rsqrt_kernel_cudaERNS_18TensorIteratorBaseEENKUlvE_clEvENKUlvE_clEvEUlN3c107complexIdEEE_St5arrayIPcLm2EEEEviT0_T1_.has_recursion, 0
	.set _ZN2at6native29vectorized_elementwise_kernelILi8EZZZNS0_17rsqrt_kernel_cudaERNS_18TensorIteratorBaseEENKUlvE_clEvENKUlvE_clEvEUlN3c107complexIdEEE_St5arrayIPcLm2EEEEviT0_T1_.has_indirect_call, 0
	.section	.AMDGPU.csdata,"",@progbits
; Kernel info:
; codeLenInByte = 16568
; TotalNumSgprs: 34
; NumVgprs: 30
; NumAgprs: 0
; TotalNumVgprs: 30
; ScratchSize: 0
; MemoryBound: 1
; FloatMode: 240
; IeeeMode: 1
; LDSByteSize: 0 bytes/workgroup (compile time only)
; SGPRBlocks: 4
; VGPRBlocks: 3
; NumSGPRsForWavesPerEU: 34
; NumVGPRsForWavesPerEU: 30
; AccumOffset: 32
; Occupancy: 8
; WaveLimiterHint : 0
; COMPUTE_PGM_RSRC2:SCRATCH_EN: 0
; COMPUTE_PGM_RSRC2:USER_SGPR: 2
; COMPUTE_PGM_RSRC2:TRAP_HANDLER: 0
; COMPUTE_PGM_RSRC2:TGID_X_EN: 1
; COMPUTE_PGM_RSRC2:TGID_Y_EN: 0
; COMPUTE_PGM_RSRC2:TGID_Z_EN: 0
; COMPUTE_PGM_RSRC2:TIDIG_COMP_CNT: 0
; COMPUTE_PGM_RSRC3_GFX90A:ACCUM_OFFSET: 7
; COMPUTE_PGM_RSRC3_GFX90A:TG_SPLIT: 0
	.section	.text._ZN2at6native29vectorized_elementwise_kernelILi4EZZZNS0_17rsqrt_kernel_cudaERNS_18TensorIteratorBaseEENKUlvE_clEvENKUlvE_clEvEUlN3c107complexIdEEE_St5arrayIPcLm2EEEEviT0_T1_,"axG",@progbits,_ZN2at6native29vectorized_elementwise_kernelILi4EZZZNS0_17rsqrt_kernel_cudaERNS_18TensorIteratorBaseEENKUlvE_clEvENKUlvE_clEvEUlN3c107complexIdEEE_St5arrayIPcLm2EEEEviT0_T1_,comdat
	.globl	_ZN2at6native29vectorized_elementwise_kernelILi4EZZZNS0_17rsqrt_kernel_cudaERNS_18TensorIteratorBaseEENKUlvE_clEvENKUlvE_clEvEUlN3c107complexIdEEE_St5arrayIPcLm2EEEEviT0_T1_ ; -- Begin function _ZN2at6native29vectorized_elementwise_kernelILi4EZZZNS0_17rsqrt_kernel_cudaERNS_18TensorIteratorBaseEENKUlvE_clEvENKUlvE_clEvEUlN3c107complexIdEEE_St5arrayIPcLm2EEEEviT0_T1_
	.p2align	8
	.type	_ZN2at6native29vectorized_elementwise_kernelILi4EZZZNS0_17rsqrt_kernel_cudaERNS_18TensorIteratorBaseEENKUlvE_clEvENKUlvE_clEvEUlN3c107complexIdEEE_St5arrayIPcLm2EEEEviT0_T1_,@function
_ZN2at6native29vectorized_elementwise_kernelILi4EZZZNS0_17rsqrt_kernel_cudaERNS_18TensorIteratorBaseEENKUlvE_clEvENKUlvE_clEvEUlN3c107complexIdEEE_St5arrayIPcLm2EEEEviT0_T1_: ; @_ZN2at6native29vectorized_elementwise_kernelILi4EZZZNS0_17rsqrt_kernel_cudaERNS_18TensorIteratorBaseEENKUlvE_clEvENKUlvE_clEvEUlN3c107complexIdEEE_St5arrayIPcLm2EEEEviT0_T1_
; %bb.0:
	s_load_dword s3, s[0:1], 0x0
	s_load_dwordx4 s[8:11], s[0:1], 0x8
	s_lshl_b32 s6, s2, 10
	s_mov_b64 s[0:1], -1
	s_waitcnt lgkmcnt(0)
	s_sub_i32 s24, s3, s6
	s_cmpk_gt_i32 s24, 0x3ff
	s_cbranch_scc0 .LBB164_154
; %bb.1:
	s_ashr_i32 s7, s6, 31
	s_lshl_b64 s[4:5], s[6:7], 4
	s_add_u32 s0, s10, s4
	s_addc_u32 s1, s11, s5
	v_lshlrev_b32_e32 v1, 6, v0
	global_load_dwordx4 v[20:23], v1, s[0:1]
	global_load_dwordx4 v[16:19], v1, s[0:1] offset:16
	global_load_dwordx4 v[2:5], v1, s[0:1] offset:48
	global_load_dwordx4 v[10:13], v1, s[0:1] offset:32
	v_mov_b64_e32 v[14:15], 0
	s_waitcnt vmcnt(3)
	v_cmp_neq_f64_e32 vcc, 0, v[20:21]
	v_cmp_neq_f64_e64 s[0:1], 0, v[22:23]
	s_or_b64 s[0:1], vcc, s[0:1]
	s_and_saveexec_b64 s[12:13], s[0:1]
	s_cbranch_execz .LBB164_31
; %bb.2:
	v_mov_b32_e32 v14, 0
	v_mov_b32_e32 v15, 0x7ff00000
	v_cmp_neq_f64_e64 s[0:1], |v[22:23]|, v[14:15]
	s_and_saveexec_b64 s[14:15], s[0:1]
	s_cbranch_execz .LBB164_30
; %bb.3:
	v_cmp_o_f64_e32 vcc, v[20:21], v[20:21]
                                        ; implicit-def: $vgpr14_vgpr15
	s_and_saveexec_b64 s[0:1], vcc
	s_xor_b64 s[16:17], exec, s[0:1]
	s_cbranch_execz .LBB164_27
; %bb.4:
	s_mov_b32 s0, 0
	s_mov_b32 s1, 0x7ff00000
	v_cmp_neq_f64_e64 s[0:1], |v[20:21]|, s[0:1]
                                        ; implicit-def: $vgpr14_vgpr15
	s_and_saveexec_b64 s[2:3], s[0:1]
	s_xor_b64 s[18:19], exec, s[2:3]
	s_cbranch_execz .LBB164_20
; %bb.5:
	v_max_f64 v[6:7], |v[22:23]|, |v[22:23]|
	v_max_f64 v[8:9], |v[20:21]|, |v[20:21]|
	s_mov_b32 s0, 0x99fcef32
	v_max_f64 v[6:7], v[8:9], v[6:7]
	s_mov_b32 s1, 0x7fda8279
	v_cmp_nle_f64_e64 s[0:1], s[0:1], v[6:7]
                                        ; implicit-def: $sgpr20_sgpr21
	s_and_saveexec_b64 s[2:3], s[0:1]
	s_xor_b64 s[2:3], exec, s[2:3]
	s_cbranch_execz .LBB164_9
; %bb.6:
	s_mov_b32 s20, 0
	s_mov_b32 s21, 0x200000
	v_cmp_le_f64_e64 s[22:23], |v[20:21]|, s[20:21]
	v_cmp_le_f64_e64 s[20:21], |v[22:23]|, s[20:21]
	s_and_b64 s[26:27], s[22:23], s[20:21]
	s_mov_b64 s[20:21], 0
	s_and_saveexec_b64 s[22:23], s[26:27]
; %bb.7:
	s_mov_b64 s[20:21], exec
	v_mul_f64 v[20:21], v[20:21], 4.0
	v_mul_f64 v[22:23], v[22:23], 4.0
; %bb.8:
	s_or_b64 exec, exec, s[22:23]
.LBB164_9:
	s_andn2_saveexec_b64 s[2:3], s[2:3]
; %bb.10:
	v_ldexp_f64 v[20:21], v[20:21], -2
	v_ldexp_f64 v[22:23], v[22:23], -2
	s_andn2_b64 s[20:21], s[20:21], exec
; %bb.11:
	s_or_b64 exec, exec, s[2:3]
	v_max_f64 v[6:7], |v[22:23]|, |v[22:23]|
	v_max_f64 v[8:9], |v[20:21]|, |v[20:21]|
	v_max_f64 v[6:7], v[8:9], v[6:7]
	v_frexp_exp_i32_f64_e32 v26, v[6:7]
	v_sub_u32_e32 v8, 0, v26
	v_ldexp_f64 v[6:7], |v[20:21]|, v8
	v_ldexp_f64 v[8:9], |v[22:23]|, v8
	v_mul_f64 v[8:9], v[8:9], v[8:9]
	v_fmac_f64_e32 v[8:9], v[6:7], v[6:7]
	v_rsq_f64_e32 v[6:7], v[8:9]
	v_cmp_eq_f64_e64 s[2:3], 0, v[8:9]
	s_movk_i32 s7, 0x204
	v_cmp_class_f64_e64 s[22:23], v[22:23], s7
	v_mul_f64 v[14:15], v[8:9], v[6:7]
	v_mul_f64 v[6:7], v[6:7], 0.5
	v_fma_f64 v[24:25], -v[6:7], v[14:15], 0.5
	v_fmac_f64_e32 v[14:15], v[14:15], v[24:25]
	v_fmac_f64_e32 v[6:7], v[6:7], v[24:25]
	v_fma_f64 v[24:25], -v[14:15], v[14:15], v[8:9]
	v_fmac_f64_e32 v[14:15], v[24:25], v[6:7]
	v_cndmask_b32_e64 v7, v15, v9, s[2:3]
	v_cndmask_b32_e64 v6, v14, v8, s[2:3]
	v_ldexp_f64 v[6:7], v[6:7], v26
	v_cmp_o_f64_e64 s[2:3], v[22:23], v[22:23]
	v_mov_b32_e32 v8, 0x7ff80000
	v_cmp_le_f64_e32 vcc, 0, v[20:21]
	v_cndmask_b32_e64 v6, 0, v6, s[2:3]
	v_cndmask_b32_e64 v7, v8, v7, s[2:3]
	v_cmp_class_f64_e64 s[2:3], v[20:21], s7
	v_mov_b32_e32 v8, 0x7ff00000
	s_or_b64 s[2:3], s[22:23], s[2:3]
	v_cndmask_b32_e64 v15, v7, v8, s[2:3]
	v_cndmask_b32_e64 v14, v6, 0, s[2:3]
                                        ; implicit-def: $vgpr6_vgpr7
                                        ; implicit-def: $vgpr8_vgpr9
	s_and_saveexec_b64 s[2:3], vcc
	s_xor_b64 s[2:3], exec, s[2:3]
	s_cbranch_execz .LBB164_13
; %bb.12:
	v_add_f64 v[6:7], v[20:21], v[14:15]
	s_mov_b32 s22, 0
	v_mul_f64 v[6:7], v[6:7], 0.5
	s_brev_b32 s23, 8
	v_mov_b32_e32 v8, 0x100
	v_cmp_gt_f64_e32 vcc, s[22:23], v[6:7]
	s_nop 1
	v_cndmask_b32_e32 v8, 0, v8, vcc
	v_ldexp_f64 v[6:7], v[6:7], v8
	v_rsq_f64_e32 v[8:9], v[6:7]
	s_nop 0
	v_mul_f64 v[14:15], v[6:7], v[8:9]
	v_mul_f64 v[8:9], v[8:9], 0.5
	v_fma_f64 v[20:21], -v[8:9], v[14:15], 0.5
	v_fmac_f64_e32 v[14:15], v[14:15], v[20:21]
	v_fma_f64 v[24:25], -v[14:15], v[14:15], v[6:7]
	v_fmac_f64_e32 v[8:9], v[8:9], v[20:21]
	v_fmac_f64_e32 v[14:15], v[24:25], v[8:9]
	v_fma_f64 v[20:21], -v[14:15], v[14:15], v[6:7]
	v_fmac_f64_e32 v[14:15], v[20:21], v[8:9]
	v_mov_b32_e32 v8, 0xffffff80
	v_cndmask_b32_e32 v8, 0, v8, vcc
	v_ldexp_f64 v[8:9], v[14:15], v8
	v_mov_b32_e32 v14, 0x260
	v_cmp_class_f64_e32 vcc, v[6:7], v14
	s_nop 1
	v_cndmask_b32_e32 v9, v9, v7, vcc
	v_cndmask_b32_e32 v8, v8, v6, vcc
	v_add_f64 v[6:7], v[8:9], v[8:9]
	v_div_scale_f64 v[14:15], s[22:23], v[6:7], v[6:7], v[22:23]
	v_rcp_f64_e32 v[20:21], v[14:15]
	s_nop 0
	v_fma_f64 v[24:25], -v[14:15], v[20:21], 1.0
	v_fmac_f64_e32 v[20:21], v[20:21], v[24:25]
	v_fma_f64 v[24:25], -v[14:15], v[20:21], 1.0
	v_fmac_f64_e32 v[20:21], v[20:21], v[24:25]
	v_div_scale_f64 v[24:25], vcc, v[22:23], v[6:7], v[22:23]
	v_mul_f64 v[26:27], v[24:25], v[20:21]
	v_fma_f64 v[14:15], -v[14:15], v[26:27], v[24:25]
	s_nop 1
	v_div_fmas_f64 v[14:15], v[14:15], v[20:21], v[26:27]
	v_div_fixup_f64 v[6:7], v[14:15], v[6:7], v[22:23]
                                        ; implicit-def: $vgpr14_vgpr15
                                        ; implicit-def: $vgpr20_vgpr21
	s_andn2_saveexec_b64 s[2:3], s[2:3]
	s_cbranch_execz .LBB164_15
	s_branch .LBB164_14
.LBB164_13:
	s_andn2_saveexec_b64 s[2:3], s[2:3]
	s_cbranch_execz .LBB164_15
.LBB164_14:
	v_add_f64 v[6:7], v[14:15], -v[20:21]
	s_mov_b32 s22, 0
	v_mul_f64 v[6:7], v[6:7], 0.5
	s_brev_b32 s23, 8
	v_mov_b32_e32 v8, 0x100
	v_cmp_gt_f64_e32 vcc, s[22:23], v[6:7]
	s_brev_b32 s7, -2
	s_nop 0
	v_cndmask_b32_e32 v8, 0, v8, vcc
	v_ldexp_f64 v[6:7], v[6:7], v8
	v_rsq_f64_e32 v[8:9], v[6:7]
	s_nop 0
	v_mul_f64 v[14:15], v[6:7], v[8:9]
	v_mul_f64 v[8:9], v[8:9], 0.5
	v_fma_f64 v[20:21], -v[8:9], v[14:15], 0.5
	v_fmac_f64_e32 v[14:15], v[14:15], v[20:21]
	v_fma_f64 v[24:25], -v[14:15], v[14:15], v[6:7]
	v_fmac_f64_e32 v[8:9], v[8:9], v[20:21]
	v_fmac_f64_e32 v[14:15], v[24:25], v[8:9]
	v_fma_f64 v[20:21], -v[14:15], v[14:15], v[6:7]
	v_fmac_f64_e32 v[14:15], v[20:21], v[8:9]
	v_mov_b32_e32 v8, 0xffffff80
	v_cndmask_b32_e32 v8, 0, v8, vcc
	v_ldexp_f64 v[8:9], v[14:15], v8
	v_mov_b32_e32 v14, 0x260
	v_cmp_class_f64_e32 vcc, v[6:7], v14
	v_and_b32_e32 v15, 0x7fffffff, v23
	v_mov_b32_e32 v14, v22
	v_cndmask_b32_e32 v7, v9, v7, vcc
	v_cndmask_b32_e32 v6, v8, v6, vcc
	v_add_f64 v[8:9], v[6:7], v[6:7]
	v_div_scale_f64 v[20:21], s[22:23], v[8:9], v[8:9], v[14:15]
	v_rcp_f64_e32 v[24:25], v[20:21]
	v_div_scale_f64 v[14:15], vcc, v[14:15], v[8:9], v[14:15]
	v_bfi_b32 v7, s7, v7, v23
	v_fma_f64 v[26:27], -v[20:21], v[24:25], 1.0
	v_fmac_f64_e32 v[24:25], v[24:25], v[26:27]
	v_fma_f64 v[26:27], -v[20:21], v[24:25], 1.0
	v_fmac_f64_e32 v[24:25], v[24:25], v[26:27]
	v_mul_f64 v[26:27], v[14:15], v[24:25]
	v_fma_f64 v[14:15], -v[20:21], v[26:27], v[14:15]
	v_div_fmas_f64 v[14:15], v[14:15], v[24:25], v[26:27]
	v_div_fixup_f64 v[8:9], v[14:15], v[8:9], |v[22:23]|
.LBB164_15:
	s_or_b64 exec, exec, s[2:3]
                                        ; implicit-def: $vgpr22_vgpr23
                                        ; implicit-def: $vgpr14_vgpr15
	s_and_saveexec_b64 s[2:3], s[0:1]
	s_xor_b64 s[0:1], exec, s[2:3]
	s_cbranch_execz .LBB164_17
; %bb.16:
	v_mul_f64 v[14:15], v[8:9], 0.5
	v_mul_f64 v[20:21], v[6:7], 0.5
	v_cndmask_b32_e64 v15, v9, v15, s[20:21]
	v_cndmask_b32_e64 v14, v8, v14, s[20:21]
	;; [unrolled: 1-line block ×4, first 2 shown]
                                        ; implicit-def: $vgpr8_vgpr9
                                        ; implicit-def: $vgpr6_vgpr7
	s_andn2_saveexec_b64 s[0:1], s[0:1]
	s_cbranch_execnz .LBB164_18
	s_branch .LBB164_19
.LBB164_17:
	s_andn2_saveexec_b64 s[0:1], s[0:1]
.LBB164_18:
	v_add_f64 v[14:15], v[8:9], v[8:9]
	v_add_f64 v[22:23], v[6:7], v[6:7]
.LBB164_19:
	s_or_b64 exec, exec, s[0:1]
.LBB164_20:
	s_andn2_saveexec_b64 s[0:1], s[18:19]
	s_cbranch_execz .LBB164_26
; %bb.21:
	v_add_f64 v[6:7], v[22:23], -v[22:23]
	v_cmp_lt_i64_e32 vcc, -1, v[20:21]
	s_brev_b32 s7, -2
	v_and_b32_e32 v15, 0x7fffffff, v7
	v_mov_b32_e32 v14, v6
	s_and_saveexec_b64 s[2:3], vcc
	s_xor_b64 s[2:3], exec, s[2:3]
; %bb.22:
	v_bfi_b32 v7, s7, v7, v23
	v_mov_b64_e32 v[22:23], v[6:7]
	v_mov_b64_e32 v[14:15], v[20:21]
; %bb.23:
	s_andn2_saveexec_b64 s[2:3], s[2:3]
; %bb.24:
	v_bfi_b32 v21, s7, v21, v23
	v_mov_b64_e32 v[22:23], v[20:21]
; %bb.25:
	s_or_b64 exec, exec, s[2:3]
.LBB164_26:
	s_or_b64 exec, exec, s[0:1]
.LBB164_27:
	s_andn2_saveexec_b64 s[0:1], s[16:17]
	s_cbranch_execz .LBB164_29
; %bb.28:
	v_add_f64 v[6:7], v[22:23], -v[22:23]
	v_div_scale_f64 v[8:9], vcc, v[6:7], v[6:7], v[6:7]
	v_rcp_f64_e32 v[14:15], v[8:9]
	s_nop 0
	v_fma_f64 v[22:23], -v[8:9], v[14:15], 1.0
	v_fmac_f64_e32 v[14:15], v[14:15], v[22:23]
	v_fma_f64 v[22:23], -v[8:9], v[14:15], 1.0
	v_fmac_f64_e32 v[14:15], v[14:15], v[22:23]
	v_mul_f64 v[22:23], v[8:9], v[14:15]
	v_fma_f64 v[8:9], -v[8:9], v[22:23], v[8:9]
	v_div_fmas_f64 v[8:9], v[8:9], v[14:15], v[22:23]
	v_div_fixup_f64 v[22:23], v[8:9], v[6:7], v[6:7]
	v_mov_b64_e32 v[14:15], v[20:21]
.LBB164_29:
	s_or_b64 exec, exec, s[0:1]
.LBB164_30:
	s_or_b64 exec, exec, s[14:15]
.LBB164_31:
	s_or_b64 exec, exec, s[12:13]
	v_xor_b32_e32 v6, 0x80000000, v15
	v_cmp_gt_f64_e32 vcc, 0, v[14:15]
	v_mov_b32_e32 v24, v14
	v_mov_b32_e32 v20, v22
	v_cndmask_b32_e32 v25, v15, v6, vcc
	v_xor_b32_e32 v6, 0x80000000, v23
	v_cmp_gt_f64_e32 vcc, 0, v[22:23]
	s_nop 1
	v_cndmask_b32_e32 v21, v23, v6, vcc
	v_cmp_ge_f64_e32 vcc, v[24:25], v[20:21]
                                        ; implicit-def: $vgpr8_vgpr9
	s_and_saveexec_b64 s[0:1], vcc
	s_xor_b64 s[2:3], exec, s[0:1]
	s_cbranch_execz .LBB164_37
; %bb.32:
	v_cmp_neq_f64_e32 vcc, 0, v[14:15]
	v_cmp_neq_f64_e64 s[0:1], 0, v[22:23]
	s_or_b64 s[0:1], vcc, s[0:1]
                                        ; implicit-def: $vgpr8_vgpr9
	s_and_saveexec_b64 s[12:13], s[0:1]
	s_xor_b64 s[0:1], exec, s[12:13]
	s_cbranch_execz .LBB164_34
; %bb.33:
	v_div_scale_f64 v[6:7], s[12:13], v[14:15], v[14:15], v[22:23]
	v_rcp_f64_e32 v[8:9], v[6:7]
	v_div_scale_f64 v[20:21], vcc, v[22:23], v[14:15], v[22:23]
	v_fma_f64 v[24:25], -v[6:7], v[8:9], 1.0
	v_fmac_f64_e32 v[8:9], v[8:9], v[24:25]
	v_fma_f64 v[24:25], -v[6:7], v[8:9], 1.0
	v_fmac_f64_e32 v[8:9], v[8:9], v[24:25]
	v_mul_f64 v[24:25], v[20:21], v[8:9]
	v_fma_f64 v[6:7], -v[6:7], v[24:25], v[20:21]
	v_div_fmas_f64 v[6:7], v[6:7], v[8:9], v[24:25]
	v_div_fixup_f64 v[8:9], v[6:7], v[14:15], v[22:23]
	v_fmac_f64_e32 v[14:15], v[22:23], v[8:9]
	v_div_scale_f64 v[6:7], s[12:13], v[14:15], v[14:15], 1.0
	v_rcp_f64_e32 v[20:21], v[6:7]
	s_nop 0
	v_fma_f64 v[22:23], -v[6:7], v[20:21], 1.0
	v_fmac_f64_e32 v[20:21], v[20:21], v[22:23]
	v_fma_f64 v[22:23], -v[6:7], v[20:21], 1.0
	v_fmac_f64_e32 v[20:21], v[20:21], v[22:23]
	v_div_scale_f64 v[22:23], vcc, 1.0, v[14:15], 1.0
	v_mul_f64 v[24:25], v[22:23], v[20:21]
	v_fma_f64 v[6:7], -v[6:7], v[24:25], v[22:23]
	s_nop 1
	v_div_fmas_f64 v[6:7], v[6:7], v[20:21], v[24:25]
	v_div_fixup_f64 v[14:15], v[6:7], v[14:15], 1.0
	v_fma_f64 v[6:7], v[8:9], 0, 1.0
	v_add_f64 v[8:9], -v[8:9], 0
	v_mul_f64 v[6:7], v[6:7], v[14:15]
	v_mul_f64 v[8:9], v[8:9], v[14:15]
                                        ; implicit-def: $vgpr24_vgpr25
                                        ; implicit-def: $vgpr20_vgpr21
.LBB164_34:
	s_andn2_saveexec_b64 s[0:1], s[0:1]
	s_cbranch_execz .LBB164_36
; %bb.35:
	v_div_scale_f64 v[6:7], s[12:13], v[24:25], v[24:25], 1.0
	v_rcp_f64_e32 v[8:9], v[6:7]
	v_div_scale_f64 v[14:15], vcc, 1.0, v[24:25], 1.0
	v_fma_f64 v[22:23], -v[6:7], v[8:9], 1.0
	v_fmac_f64_e32 v[8:9], v[8:9], v[22:23]
	v_fma_f64 v[22:23], -v[6:7], v[8:9], 1.0
	v_fmac_f64_e32 v[8:9], v[8:9], v[22:23]
	v_mul_f64 v[22:23], v[14:15], v[8:9]
	v_fma_f64 v[6:7], -v[6:7], v[22:23], v[14:15]
	v_div_scale_f64 v[14:15], s[12:13], v[20:21], v[20:21], 0
	v_rcp_f64_e32 v[26:27], v[14:15]
	v_div_fmas_f64 v[6:7], v[6:7], v[8:9], v[22:23]
	v_div_fixup_f64 v[6:7], v[6:7], v[24:25], 1.0
	v_fma_f64 v[8:9], -v[14:15], v[26:27], 1.0
	v_fmac_f64_e32 v[26:27], v[26:27], v[8:9]
	v_fma_f64 v[8:9], -v[14:15], v[26:27], 1.0
	v_fmac_f64_e32 v[26:27], v[26:27], v[8:9]
	v_div_scale_f64 v[8:9], vcc, 0, v[20:21], 0
	v_mul_f64 v[22:23], v[8:9], v[26:27]
	v_fma_f64 v[8:9], -v[14:15], v[22:23], v[8:9]
	s_nop 1
	v_div_fmas_f64 v[8:9], v[8:9], v[26:27], v[22:23]
	v_div_fixup_f64 v[8:9], v[8:9], v[20:21], 0
.LBB164_36:
	s_or_b64 exec, exec, s[0:1]
                                        ; implicit-def: $vgpr22_vgpr23
                                        ; implicit-def: $vgpr14_vgpr15
.LBB164_37:
	s_andn2_saveexec_b64 s[0:1], s[2:3]
	s_cbranch_execz .LBB164_39
; %bb.38:
	v_div_scale_f64 v[6:7], s[2:3], v[22:23], v[22:23], v[14:15]
	v_rcp_f64_e32 v[8:9], v[6:7]
	v_div_scale_f64 v[20:21], vcc, v[14:15], v[22:23], v[14:15]
	v_fma_f64 v[24:25], -v[6:7], v[8:9], 1.0
	v_fmac_f64_e32 v[8:9], v[8:9], v[24:25]
	v_fma_f64 v[24:25], -v[6:7], v[8:9], 1.0
	v_fmac_f64_e32 v[8:9], v[8:9], v[24:25]
	v_mul_f64 v[24:25], v[20:21], v[8:9]
	v_fma_f64 v[6:7], -v[6:7], v[24:25], v[20:21]
	v_div_fmas_f64 v[6:7], v[6:7], v[8:9], v[24:25]
	v_div_fixup_f64 v[8:9], v[6:7], v[22:23], v[14:15]
	v_fmac_f64_e32 v[22:23], v[14:15], v[8:9]
	v_div_scale_f64 v[6:7], s[2:3], v[22:23], v[22:23], 1.0
	v_rcp_f64_e32 v[14:15], v[6:7]
	s_nop 0
	v_fma_f64 v[20:21], -v[6:7], v[14:15], 1.0
	v_fmac_f64_e32 v[14:15], v[14:15], v[20:21]
	v_fma_f64 v[20:21], -v[6:7], v[14:15], 1.0
	v_fmac_f64_e32 v[14:15], v[14:15], v[20:21]
	v_div_scale_f64 v[20:21], vcc, 1.0, v[22:23], 1.0
	v_mul_f64 v[24:25], v[20:21], v[14:15]
	v_fma_f64 v[6:7], -v[6:7], v[24:25], v[20:21]
	s_nop 1
	v_div_fmas_f64 v[6:7], v[6:7], v[14:15], v[24:25]
	v_div_fixup_f64 v[14:15], v[6:7], v[22:23], 1.0
	v_add_f64 v[6:7], v[8:9], 0
	v_fma_f64 v[8:9], v[8:9], 0, -1.0
	v_mul_f64 v[6:7], v[6:7], v[14:15]
	v_mul_f64 v[8:9], v[8:9], v[14:15]
.LBB164_39:
	s_or_b64 exec, exec, s[0:1]
	s_waitcnt vmcnt(2)
	v_cmp_neq_f64_e32 vcc, 0, v[16:17]
	v_cmp_neq_f64_e64 s[0:1], 0, v[18:19]
	v_mov_b64_e32 v[20:21], 0
	s_or_b64 s[0:1], vcc, s[0:1]
	s_and_saveexec_b64 s[12:13], s[0:1]
	s_cbranch_execz .LBB164_69
; %bb.40:
	v_mov_b32_e32 v20, 0
	v_mov_b32_e32 v21, 0x7ff00000
	v_cmp_neq_f64_e64 s[0:1], |v[18:19]|, v[20:21]
	s_and_saveexec_b64 s[14:15], s[0:1]
	s_cbranch_execz .LBB164_68
; %bb.41:
	v_cmp_o_f64_e32 vcc, v[16:17], v[16:17]
                                        ; implicit-def: $vgpr20_vgpr21
	s_and_saveexec_b64 s[0:1], vcc
	s_xor_b64 s[16:17], exec, s[0:1]
	s_cbranch_execz .LBB164_65
; %bb.42:
	s_mov_b32 s0, 0
	s_mov_b32 s1, 0x7ff00000
	v_cmp_neq_f64_e64 s[0:1], |v[16:17]|, s[0:1]
                                        ; implicit-def: $vgpr20_vgpr21
	s_and_saveexec_b64 s[2:3], s[0:1]
	s_xor_b64 s[18:19], exec, s[2:3]
	s_cbranch_execz .LBB164_58
; %bb.43:
	v_max_f64 v[14:15], |v[18:19]|, |v[18:19]|
	v_max_f64 v[20:21], |v[16:17]|, |v[16:17]|
	s_mov_b32 s0, 0x99fcef32
	v_max_f64 v[14:15], v[20:21], v[14:15]
	s_mov_b32 s1, 0x7fda8279
	v_cmp_nle_f64_e64 s[0:1], s[0:1], v[14:15]
                                        ; implicit-def: $sgpr20_sgpr21
	s_and_saveexec_b64 s[2:3], s[0:1]
	s_xor_b64 s[2:3], exec, s[2:3]
	s_cbranch_execz .LBB164_47
; %bb.44:
	s_mov_b32 s20, 0
	s_mov_b32 s21, 0x200000
	v_cmp_le_f64_e64 s[22:23], |v[16:17]|, s[20:21]
	v_cmp_le_f64_e64 s[20:21], |v[18:19]|, s[20:21]
	s_and_b64 s[26:27], s[22:23], s[20:21]
	s_mov_b64 s[20:21], 0
	s_and_saveexec_b64 s[22:23], s[26:27]
; %bb.45:
	s_mov_b64 s[20:21], exec
	v_mul_f64 v[16:17], v[16:17], 4.0
	v_mul_f64 v[18:19], v[18:19], 4.0
; %bb.46:
	s_or_b64 exec, exec, s[22:23]
.LBB164_47:
	s_andn2_saveexec_b64 s[2:3], s[2:3]
; %bb.48:
	v_ldexp_f64 v[16:17], v[16:17], -2
	v_ldexp_f64 v[18:19], v[18:19], -2
	s_andn2_b64 s[20:21], s[20:21], exec
; %bb.49:
	s_or_b64 exec, exec, s[2:3]
	v_max_f64 v[14:15], |v[18:19]|, |v[18:19]|
	v_max_f64 v[20:21], |v[16:17]|, |v[16:17]|
	v_max_f64 v[14:15], v[20:21], v[14:15]
	v_frexp_exp_i32_f64_e32 v26, v[14:15]
	v_sub_u32_e32 v20, 0, v26
	v_ldexp_f64 v[14:15], |v[16:17]|, v20
	v_ldexp_f64 v[20:21], |v[18:19]|, v20
	v_mul_f64 v[20:21], v[20:21], v[20:21]
	v_fmac_f64_e32 v[20:21], v[14:15], v[14:15]
	v_rsq_f64_e32 v[14:15], v[20:21]
	v_cmp_eq_f64_e64 s[2:3], 0, v[20:21]
	s_movk_i32 s7, 0x204
	v_cmp_class_f64_e64 s[22:23], v[18:19], s7
	v_mul_f64 v[22:23], v[20:21], v[14:15]
	v_mul_f64 v[14:15], v[14:15], 0.5
	v_fma_f64 v[24:25], -v[14:15], v[22:23], 0.5
	v_fmac_f64_e32 v[22:23], v[22:23], v[24:25]
	v_fmac_f64_e32 v[14:15], v[14:15], v[24:25]
	v_fma_f64 v[24:25], -v[22:23], v[22:23], v[20:21]
	v_fmac_f64_e32 v[22:23], v[24:25], v[14:15]
	v_cndmask_b32_e64 v15, v23, v21, s[2:3]
	v_cndmask_b32_e64 v14, v22, v20, s[2:3]
	v_ldexp_f64 v[14:15], v[14:15], v26
	v_cmp_o_f64_e64 s[2:3], v[18:19], v[18:19]
	v_mov_b32_e32 v20, 0x7ff80000
	v_cmp_le_f64_e32 vcc, 0, v[16:17]
	v_cndmask_b32_e64 v14, 0, v14, s[2:3]
	v_cndmask_b32_e64 v15, v20, v15, s[2:3]
	v_cmp_class_f64_e64 s[2:3], v[16:17], s7
	v_mov_b32_e32 v20, 0x7ff00000
	s_or_b64 s[2:3], s[22:23], s[2:3]
	v_cndmask_b32_e64 v21, v15, v20, s[2:3]
	v_cndmask_b32_e64 v20, v14, 0, s[2:3]
                                        ; implicit-def: $vgpr14_vgpr15
                                        ; implicit-def: $vgpr22_vgpr23
	s_and_saveexec_b64 s[2:3], vcc
	s_xor_b64 s[2:3], exec, s[2:3]
	s_cbranch_execz .LBB164_51
; %bb.50:
	v_add_f64 v[14:15], v[16:17], v[20:21]
	s_mov_b32 s22, 0
	v_mul_f64 v[14:15], v[14:15], 0.5
	s_brev_b32 s23, 8
	v_mov_b32_e32 v16, 0x100
	v_cmp_gt_f64_e32 vcc, s[22:23], v[14:15]
	s_nop 1
	v_cndmask_b32_e32 v16, 0, v16, vcc
	v_ldexp_f64 v[14:15], v[14:15], v16
	v_rsq_f64_e32 v[16:17], v[14:15]
	s_nop 0
	v_mul_f64 v[20:21], v[14:15], v[16:17]
	v_mul_f64 v[16:17], v[16:17], 0.5
	v_fma_f64 v[22:23], -v[16:17], v[20:21], 0.5
	v_fmac_f64_e32 v[20:21], v[20:21], v[22:23]
	v_fma_f64 v[24:25], -v[20:21], v[20:21], v[14:15]
	v_fmac_f64_e32 v[16:17], v[16:17], v[22:23]
	v_fmac_f64_e32 v[20:21], v[24:25], v[16:17]
	v_fma_f64 v[22:23], -v[20:21], v[20:21], v[14:15]
	v_fmac_f64_e32 v[20:21], v[22:23], v[16:17]
	v_mov_b32_e32 v16, 0xffffff80
	v_cndmask_b32_e32 v16, 0, v16, vcc
	v_ldexp_f64 v[16:17], v[20:21], v16
	v_mov_b32_e32 v20, 0x260
	v_cmp_class_f64_e32 vcc, v[14:15], v20
	s_nop 1
	v_cndmask_b32_e32 v23, v17, v15, vcc
	v_cndmask_b32_e32 v22, v16, v14, vcc
	v_add_f64 v[14:15], v[22:23], v[22:23]
	v_div_scale_f64 v[16:17], s[22:23], v[14:15], v[14:15], v[18:19]
	v_rcp_f64_e32 v[20:21], v[16:17]
	s_nop 0
	v_fma_f64 v[24:25], -v[16:17], v[20:21], 1.0
	v_fmac_f64_e32 v[20:21], v[20:21], v[24:25]
	v_fma_f64 v[24:25], -v[16:17], v[20:21], 1.0
	v_fmac_f64_e32 v[20:21], v[20:21], v[24:25]
	v_div_scale_f64 v[24:25], vcc, v[18:19], v[14:15], v[18:19]
	v_mul_f64 v[26:27], v[24:25], v[20:21]
	v_fma_f64 v[16:17], -v[16:17], v[26:27], v[24:25]
	s_nop 1
	v_div_fmas_f64 v[16:17], v[16:17], v[20:21], v[26:27]
	v_div_fixup_f64 v[14:15], v[16:17], v[14:15], v[18:19]
                                        ; implicit-def: $vgpr20_vgpr21
                                        ; implicit-def: $vgpr16_vgpr17
	s_andn2_saveexec_b64 s[2:3], s[2:3]
	s_cbranch_execz .LBB164_53
	s_branch .LBB164_52
.LBB164_51:
	s_andn2_saveexec_b64 s[2:3], s[2:3]
	s_cbranch_execz .LBB164_53
.LBB164_52:
	v_add_f64 v[14:15], v[20:21], -v[16:17]
	s_mov_b32 s22, 0
	v_mul_f64 v[14:15], v[14:15], 0.5
	s_brev_b32 s23, 8
	v_mov_b32_e32 v16, 0x100
	v_cmp_gt_f64_e32 vcc, s[22:23], v[14:15]
	s_brev_b32 s7, -2
	s_nop 0
	v_cndmask_b32_e32 v16, 0, v16, vcc
	v_ldexp_f64 v[14:15], v[14:15], v16
	v_rsq_f64_e32 v[16:17], v[14:15]
	s_nop 0
	v_mul_f64 v[20:21], v[14:15], v[16:17]
	v_mul_f64 v[16:17], v[16:17], 0.5
	v_fma_f64 v[22:23], -v[16:17], v[20:21], 0.5
	v_fmac_f64_e32 v[20:21], v[20:21], v[22:23]
	v_fma_f64 v[24:25], -v[20:21], v[20:21], v[14:15]
	v_fmac_f64_e32 v[16:17], v[16:17], v[22:23]
	v_fmac_f64_e32 v[20:21], v[24:25], v[16:17]
	v_fma_f64 v[22:23], -v[20:21], v[20:21], v[14:15]
	v_fmac_f64_e32 v[20:21], v[22:23], v[16:17]
	v_mov_b32_e32 v16, 0xffffff80
	v_cndmask_b32_e32 v16, 0, v16, vcc
	v_ldexp_f64 v[16:17], v[20:21], v16
	v_mov_b32_e32 v20, 0x260
	v_cmp_class_f64_e32 vcc, v[14:15], v20
	v_and_b32_e32 v21, 0x7fffffff, v19
	v_mov_b32_e32 v20, v18
	v_cndmask_b32_e32 v15, v17, v15, vcc
	v_cndmask_b32_e32 v14, v16, v14, vcc
	v_add_f64 v[16:17], v[14:15], v[14:15]
	v_div_scale_f64 v[22:23], s[22:23], v[16:17], v[16:17], v[20:21]
	v_rcp_f64_e32 v[24:25], v[22:23]
	v_div_scale_f64 v[20:21], vcc, v[20:21], v[16:17], v[20:21]
	v_bfi_b32 v15, s7, v15, v19
	v_fma_f64 v[26:27], -v[22:23], v[24:25], 1.0
	v_fmac_f64_e32 v[24:25], v[24:25], v[26:27]
	v_fma_f64 v[26:27], -v[22:23], v[24:25], 1.0
	v_fmac_f64_e32 v[24:25], v[24:25], v[26:27]
	v_mul_f64 v[26:27], v[20:21], v[24:25]
	v_fma_f64 v[20:21], -v[22:23], v[26:27], v[20:21]
	v_div_fmas_f64 v[20:21], v[20:21], v[24:25], v[26:27]
	v_div_fixup_f64 v[22:23], v[20:21], v[16:17], |v[18:19]|
.LBB164_53:
	s_or_b64 exec, exec, s[2:3]
                                        ; implicit-def: $vgpr18_vgpr19
                                        ; implicit-def: $vgpr20_vgpr21
	s_and_saveexec_b64 s[2:3], s[0:1]
	s_xor_b64 s[0:1], exec, s[2:3]
	s_cbranch_execz .LBB164_55
; %bb.54:
	v_mul_f64 v[16:17], v[22:23], 0.5
	v_mul_f64 v[18:19], v[14:15], 0.5
	v_cndmask_b32_e64 v21, v23, v17, s[20:21]
	v_cndmask_b32_e64 v20, v22, v16, s[20:21]
	;; [unrolled: 1-line block ×4, first 2 shown]
                                        ; implicit-def: $vgpr22_vgpr23
                                        ; implicit-def: $vgpr14_vgpr15
	s_andn2_saveexec_b64 s[0:1], s[0:1]
	s_cbranch_execnz .LBB164_56
	s_branch .LBB164_57
.LBB164_55:
	s_andn2_saveexec_b64 s[0:1], s[0:1]
.LBB164_56:
	v_add_f64 v[20:21], v[22:23], v[22:23]
	v_add_f64 v[18:19], v[14:15], v[14:15]
.LBB164_57:
	s_or_b64 exec, exec, s[0:1]
.LBB164_58:
	s_andn2_saveexec_b64 s[0:1], s[18:19]
	s_cbranch_execz .LBB164_64
; %bb.59:
	v_add_f64 v[14:15], v[18:19], -v[18:19]
	v_cmp_lt_i64_e32 vcc, -1, v[16:17]
	s_brev_b32 s7, -2
	v_and_b32_e32 v21, 0x7fffffff, v15
	v_mov_b32_e32 v20, v14
	s_and_saveexec_b64 s[2:3], vcc
	s_xor_b64 s[2:3], exec, s[2:3]
; %bb.60:
	v_bfi_b32 v15, s7, v15, v19
	v_mov_b64_e32 v[18:19], v[14:15]
	v_mov_b64_e32 v[20:21], v[16:17]
; %bb.61:
	s_andn2_saveexec_b64 s[2:3], s[2:3]
; %bb.62:
	v_bfi_b32 v17, s7, v17, v19
	v_mov_b64_e32 v[18:19], v[16:17]
; %bb.63:
	s_or_b64 exec, exec, s[2:3]
.LBB164_64:
	s_or_b64 exec, exec, s[0:1]
.LBB164_65:
	s_andn2_saveexec_b64 s[0:1], s[16:17]
	s_cbranch_execz .LBB164_67
; %bb.66:
	v_add_f64 v[14:15], v[18:19], -v[18:19]
	v_div_scale_f64 v[18:19], vcc, v[14:15], v[14:15], v[14:15]
	v_rcp_f64_e32 v[20:21], v[18:19]
	s_nop 0
	v_fma_f64 v[22:23], -v[18:19], v[20:21], 1.0
	v_fmac_f64_e32 v[20:21], v[20:21], v[22:23]
	v_fma_f64 v[22:23], -v[18:19], v[20:21], 1.0
	v_fmac_f64_e32 v[20:21], v[20:21], v[22:23]
	v_mul_f64 v[22:23], v[18:19], v[20:21]
	v_fma_f64 v[18:19], -v[18:19], v[22:23], v[18:19]
	v_div_fmas_f64 v[18:19], v[18:19], v[20:21], v[22:23]
	v_div_fixup_f64 v[18:19], v[18:19], v[14:15], v[14:15]
	v_mov_b64_e32 v[20:21], v[16:17]
.LBB164_67:
	s_or_b64 exec, exec, s[0:1]
.LBB164_68:
	s_or_b64 exec, exec, s[14:15]
.LBB164_69:
	s_or_b64 exec, exec, s[12:13]
	v_xor_b32_e32 v14, 0x80000000, v21
	v_cmp_gt_f64_e32 vcc, 0, v[20:21]
	v_mov_b32_e32 v24, v20
	v_mov_b32_e32 v22, v18
	v_cndmask_b32_e32 v25, v21, v14, vcc
	v_xor_b32_e32 v14, 0x80000000, v19
	v_cmp_gt_f64_e32 vcc, 0, v[18:19]
	s_nop 1
	v_cndmask_b32_e32 v23, v19, v14, vcc
	v_cmp_ge_f64_e32 vcc, v[24:25], v[22:23]
                                        ; implicit-def: $vgpr16_vgpr17
	s_and_saveexec_b64 s[0:1], vcc
	s_xor_b64 s[2:3], exec, s[0:1]
	s_cbranch_execz .LBB164_75
; %bb.70:
	v_cmp_neq_f64_e32 vcc, 0, v[20:21]
	v_cmp_neq_f64_e64 s[0:1], 0, v[18:19]
	s_or_b64 s[0:1], vcc, s[0:1]
                                        ; implicit-def: $vgpr16_vgpr17
	s_and_saveexec_b64 s[12:13], s[0:1]
	s_xor_b64 s[0:1], exec, s[12:13]
	s_cbranch_execz .LBB164_72
; %bb.71:
	v_div_scale_f64 v[14:15], s[12:13], v[20:21], v[20:21], v[18:19]
	v_rcp_f64_e32 v[16:17], v[14:15]
	v_div_scale_f64 v[22:23], vcc, v[18:19], v[20:21], v[18:19]
	v_fma_f64 v[24:25], -v[14:15], v[16:17], 1.0
	v_fmac_f64_e32 v[16:17], v[16:17], v[24:25]
	v_fma_f64 v[24:25], -v[14:15], v[16:17], 1.0
	v_fmac_f64_e32 v[16:17], v[16:17], v[24:25]
	v_mul_f64 v[24:25], v[22:23], v[16:17]
	v_fma_f64 v[14:15], -v[14:15], v[24:25], v[22:23]
	v_div_fmas_f64 v[14:15], v[14:15], v[16:17], v[24:25]
	v_div_fixup_f64 v[16:17], v[14:15], v[20:21], v[18:19]
	v_fmac_f64_e32 v[20:21], v[18:19], v[16:17]
	v_div_scale_f64 v[14:15], s[12:13], v[20:21], v[20:21], 1.0
	v_rcp_f64_e32 v[18:19], v[14:15]
	s_nop 0
	v_fma_f64 v[22:23], -v[14:15], v[18:19], 1.0
	v_fmac_f64_e32 v[18:19], v[18:19], v[22:23]
	v_fma_f64 v[22:23], -v[14:15], v[18:19], 1.0
	v_fmac_f64_e32 v[18:19], v[18:19], v[22:23]
	v_div_scale_f64 v[22:23], vcc, 1.0, v[20:21], 1.0
	v_mul_f64 v[24:25], v[22:23], v[18:19]
	v_fma_f64 v[14:15], -v[14:15], v[24:25], v[22:23]
                                        ; implicit-def: $vgpr22_vgpr23
	s_nop 1
	v_div_fmas_f64 v[14:15], v[14:15], v[18:19], v[24:25]
	v_div_fixup_f64 v[18:19], v[14:15], v[20:21], 1.0
	v_fma_f64 v[14:15], v[16:17], 0, 1.0
	v_add_f64 v[16:17], -v[16:17], 0
	v_mul_f64 v[14:15], v[14:15], v[18:19]
	v_mul_f64 v[16:17], v[16:17], v[18:19]
                                        ; implicit-def: $vgpr24_vgpr25
.LBB164_72:
	s_andn2_saveexec_b64 s[0:1], s[0:1]
	s_cbranch_execz .LBB164_74
; %bb.73:
	v_div_scale_f64 v[14:15], s[12:13], v[24:25], v[24:25], 1.0
	v_rcp_f64_e32 v[16:17], v[14:15]
	v_div_scale_f64 v[18:19], vcc, 1.0, v[24:25], 1.0
	v_fma_f64 v[20:21], -v[14:15], v[16:17], 1.0
	v_fmac_f64_e32 v[16:17], v[16:17], v[20:21]
	v_fma_f64 v[20:21], -v[14:15], v[16:17], 1.0
	v_fmac_f64_e32 v[16:17], v[16:17], v[20:21]
	v_mul_f64 v[20:21], v[18:19], v[16:17]
	v_fma_f64 v[14:15], -v[14:15], v[20:21], v[18:19]
	v_div_scale_f64 v[18:19], s[12:13], v[22:23], v[22:23], 0
	v_rcp_f64_e32 v[26:27], v[18:19]
	v_div_fmas_f64 v[14:15], v[14:15], v[16:17], v[20:21]
	v_div_fixup_f64 v[14:15], v[14:15], v[24:25], 1.0
	v_fma_f64 v[16:17], -v[18:19], v[26:27], 1.0
	v_fmac_f64_e32 v[26:27], v[26:27], v[16:17]
	v_fma_f64 v[16:17], -v[18:19], v[26:27], 1.0
	v_fmac_f64_e32 v[26:27], v[26:27], v[16:17]
	v_div_scale_f64 v[16:17], vcc, 0, v[22:23], 0
	v_mul_f64 v[20:21], v[16:17], v[26:27]
	v_fma_f64 v[16:17], -v[18:19], v[20:21], v[16:17]
	s_nop 1
	v_div_fmas_f64 v[16:17], v[16:17], v[26:27], v[20:21]
	v_div_fixup_f64 v[16:17], v[16:17], v[22:23], 0
.LBB164_74:
	s_or_b64 exec, exec, s[0:1]
                                        ; implicit-def: $vgpr18_vgpr19
                                        ; implicit-def: $vgpr20_vgpr21
.LBB164_75:
	s_andn2_saveexec_b64 s[0:1], s[2:3]
	s_cbranch_execz .LBB164_77
; %bb.76:
	v_div_scale_f64 v[14:15], s[2:3], v[18:19], v[18:19], v[20:21]
	v_rcp_f64_e32 v[16:17], v[14:15]
	v_div_scale_f64 v[22:23], vcc, v[20:21], v[18:19], v[20:21]
	v_fma_f64 v[24:25], -v[14:15], v[16:17], 1.0
	v_fmac_f64_e32 v[16:17], v[16:17], v[24:25]
	v_fma_f64 v[24:25], -v[14:15], v[16:17], 1.0
	v_fmac_f64_e32 v[16:17], v[16:17], v[24:25]
	v_mul_f64 v[24:25], v[22:23], v[16:17]
	v_fma_f64 v[14:15], -v[14:15], v[24:25], v[22:23]
	v_div_fmas_f64 v[14:15], v[14:15], v[16:17], v[24:25]
	v_div_fixup_f64 v[16:17], v[14:15], v[18:19], v[20:21]
	v_fmac_f64_e32 v[18:19], v[20:21], v[16:17]
	v_div_scale_f64 v[14:15], s[2:3], v[18:19], v[18:19], 1.0
	v_rcp_f64_e32 v[20:21], v[14:15]
	s_nop 0
	v_fma_f64 v[22:23], -v[14:15], v[20:21], 1.0
	v_fmac_f64_e32 v[20:21], v[20:21], v[22:23]
	v_fma_f64 v[22:23], -v[14:15], v[20:21], 1.0
	v_fmac_f64_e32 v[20:21], v[20:21], v[22:23]
	v_div_scale_f64 v[22:23], vcc, 1.0, v[18:19], 1.0
	v_mul_f64 v[24:25], v[22:23], v[20:21]
	v_fma_f64 v[14:15], -v[14:15], v[24:25], v[22:23]
	s_nop 1
	v_div_fmas_f64 v[14:15], v[14:15], v[20:21], v[24:25]
	v_div_fixup_f64 v[18:19], v[14:15], v[18:19], 1.0
	v_add_f64 v[14:15], v[16:17], 0
	v_fma_f64 v[16:17], v[16:17], 0, -1.0
	v_mul_f64 v[14:15], v[14:15], v[18:19]
	v_mul_f64 v[16:17], v[16:17], v[18:19]
.LBB164_77:
	s_or_b64 exec, exec, s[0:1]
	s_waitcnt vmcnt(0)
	v_cmp_neq_f64_e32 vcc, 0, v[10:11]
	v_cmp_neq_f64_e64 s[0:1], 0, v[12:13]
	v_mov_b64_e32 v[22:23], 0
	s_or_b64 s[0:1], vcc, s[0:1]
	s_and_saveexec_b64 s[12:13], s[0:1]
	s_cbranch_execz .LBB164_107
; %bb.78:
	v_mov_b32_e32 v22, 0
	v_mov_b32_e32 v23, 0x7ff00000
	v_cmp_neq_f64_e64 s[0:1], |v[12:13]|, v[22:23]
	s_and_saveexec_b64 s[14:15], s[0:1]
	s_cbranch_execz .LBB164_106
; %bb.79:
	v_cmp_o_f64_e32 vcc, v[10:11], v[10:11]
                                        ; implicit-def: $vgpr22_vgpr23
	s_and_saveexec_b64 s[0:1], vcc
	s_xor_b64 s[16:17], exec, s[0:1]
	s_cbranch_execz .LBB164_103
; %bb.80:
	s_mov_b32 s0, 0
	s_mov_b32 s1, 0x7ff00000
	v_cmp_neq_f64_e64 s[0:1], |v[10:11]|, s[0:1]
                                        ; implicit-def: $vgpr22_vgpr23
	s_and_saveexec_b64 s[2:3], s[0:1]
	s_xor_b64 s[18:19], exec, s[2:3]
	s_cbranch_execz .LBB164_96
; %bb.81:
	v_max_f64 v[18:19], |v[12:13]|, |v[12:13]|
	v_max_f64 v[20:21], |v[10:11]|, |v[10:11]|
	s_mov_b32 s0, 0x99fcef32
	v_max_f64 v[18:19], v[20:21], v[18:19]
	s_mov_b32 s1, 0x7fda8279
	v_cmp_nle_f64_e64 s[0:1], s[0:1], v[18:19]
                                        ; implicit-def: $sgpr20_sgpr21
	s_and_saveexec_b64 s[2:3], s[0:1]
	s_xor_b64 s[2:3], exec, s[2:3]
	s_cbranch_execz .LBB164_85
; %bb.82:
	s_mov_b32 s20, 0
	s_mov_b32 s21, 0x200000
	v_cmp_le_f64_e64 s[22:23], |v[10:11]|, s[20:21]
	v_cmp_le_f64_e64 s[20:21], |v[12:13]|, s[20:21]
	s_and_b64 s[26:27], s[22:23], s[20:21]
	s_mov_b64 s[20:21], 0
	s_and_saveexec_b64 s[22:23], s[26:27]
; %bb.83:
	s_mov_b64 s[20:21], exec
	v_mul_f64 v[10:11], v[10:11], 4.0
	v_mul_f64 v[12:13], v[12:13], 4.0
; %bb.84:
	s_or_b64 exec, exec, s[22:23]
.LBB164_85:
	s_andn2_saveexec_b64 s[2:3], s[2:3]
; %bb.86:
	v_ldexp_f64 v[10:11], v[10:11], -2
	v_ldexp_f64 v[12:13], v[12:13], -2
	s_andn2_b64 s[20:21], s[20:21], exec
; %bb.87:
	s_or_b64 exec, exec, s[2:3]
	v_max_f64 v[18:19], |v[12:13]|, |v[12:13]|
	v_max_f64 v[20:21], |v[10:11]|, |v[10:11]|
	v_max_f64 v[18:19], v[20:21], v[18:19]
	v_frexp_exp_i32_f64_e32 v26, v[18:19]
	v_sub_u32_e32 v20, 0, v26
	v_ldexp_f64 v[18:19], |v[10:11]|, v20
	v_ldexp_f64 v[20:21], |v[12:13]|, v20
	v_mul_f64 v[20:21], v[20:21], v[20:21]
	v_fmac_f64_e32 v[20:21], v[18:19], v[18:19]
	v_rsq_f64_e32 v[18:19], v[20:21]
	v_cmp_eq_f64_e64 s[2:3], 0, v[20:21]
	s_movk_i32 s7, 0x204
	v_cmp_class_f64_e64 s[22:23], v[12:13], s7
	v_mul_f64 v[22:23], v[20:21], v[18:19]
	v_mul_f64 v[18:19], v[18:19], 0.5
	v_fma_f64 v[24:25], -v[18:19], v[22:23], 0.5
	v_fmac_f64_e32 v[22:23], v[22:23], v[24:25]
	v_fmac_f64_e32 v[18:19], v[18:19], v[24:25]
	v_fma_f64 v[24:25], -v[22:23], v[22:23], v[20:21]
	v_fmac_f64_e32 v[22:23], v[24:25], v[18:19]
	v_cndmask_b32_e64 v19, v23, v21, s[2:3]
	v_cndmask_b32_e64 v18, v22, v20, s[2:3]
	v_ldexp_f64 v[18:19], v[18:19], v26
	v_cmp_o_f64_e64 s[2:3], v[12:13], v[12:13]
	v_mov_b32_e32 v20, 0x7ff80000
	v_cmp_le_f64_e32 vcc, 0, v[10:11]
	v_cndmask_b32_e64 v18, 0, v18, s[2:3]
	v_cndmask_b32_e64 v19, v20, v19, s[2:3]
	v_cmp_class_f64_e64 s[2:3], v[10:11], s7
	v_mov_b32_e32 v20, 0x7ff00000
	s_or_b64 s[2:3], s[22:23], s[2:3]
	v_cndmask_b32_e64 v23, v19, v20, s[2:3]
	v_cndmask_b32_e64 v22, v18, 0, s[2:3]
                                        ; implicit-def: $vgpr18_vgpr19
                                        ; implicit-def: $vgpr20_vgpr21
	s_and_saveexec_b64 s[2:3], vcc
	s_xor_b64 s[2:3], exec, s[2:3]
	s_cbranch_execz .LBB164_89
; %bb.88:
	v_add_f64 v[10:11], v[10:11], v[22:23]
	s_mov_b32 s22, 0
	v_mul_f64 v[10:11], v[10:11], 0.5
	s_brev_b32 s23, 8
	v_mov_b32_e32 v18, 0x100
	v_cmp_gt_f64_e32 vcc, s[22:23], v[10:11]
	s_nop 1
	v_cndmask_b32_e32 v18, 0, v18, vcc
	v_ldexp_f64 v[10:11], v[10:11], v18
	v_rsq_f64_e32 v[18:19], v[10:11]
	s_nop 0
	v_mul_f64 v[20:21], v[10:11], v[18:19]
	v_mul_f64 v[18:19], v[18:19], 0.5
	v_fma_f64 v[22:23], -v[18:19], v[20:21], 0.5
	v_fmac_f64_e32 v[20:21], v[20:21], v[22:23]
	v_fma_f64 v[24:25], -v[20:21], v[20:21], v[10:11]
	v_fmac_f64_e32 v[18:19], v[18:19], v[22:23]
	v_fmac_f64_e32 v[20:21], v[24:25], v[18:19]
	v_fma_f64 v[22:23], -v[20:21], v[20:21], v[10:11]
	v_fmac_f64_e32 v[20:21], v[22:23], v[18:19]
	v_mov_b32_e32 v18, 0xffffff80
	v_cndmask_b32_e32 v18, 0, v18, vcc
	v_ldexp_f64 v[18:19], v[20:21], v18
	v_mov_b32_e32 v20, 0x260
	v_cmp_class_f64_e32 vcc, v[10:11], v20
	s_nop 1
	v_cndmask_b32_e32 v21, v19, v11, vcc
	v_cndmask_b32_e32 v20, v18, v10, vcc
	v_add_f64 v[10:11], v[20:21], v[20:21]
	v_div_scale_f64 v[18:19], s[22:23], v[10:11], v[10:11], v[12:13]
	v_rcp_f64_e32 v[22:23], v[18:19]
	s_nop 0
	v_fma_f64 v[24:25], -v[18:19], v[22:23], 1.0
	v_fmac_f64_e32 v[22:23], v[22:23], v[24:25]
	v_fma_f64 v[24:25], -v[18:19], v[22:23], 1.0
	v_fmac_f64_e32 v[22:23], v[22:23], v[24:25]
	v_div_scale_f64 v[24:25], vcc, v[12:13], v[10:11], v[12:13]
	v_mul_f64 v[26:27], v[24:25], v[22:23]
	v_fma_f64 v[18:19], -v[18:19], v[26:27], v[24:25]
	s_nop 1
	v_div_fmas_f64 v[18:19], v[18:19], v[22:23], v[26:27]
	v_div_fixup_f64 v[18:19], v[18:19], v[10:11], v[12:13]
                                        ; implicit-def: $vgpr22_vgpr23
                                        ; implicit-def: $vgpr10_vgpr11
	s_andn2_saveexec_b64 s[2:3], s[2:3]
	s_cbranch_execz .LBB164_91
	s_branch .LBB164_90
.LBB164_89:
	s_andn2_saveexec_b64 s[2:3], s[2:3]
	s_cbranch_execz .LBB164_91
.LBB164_90:
	v_add_f64 v[10:11], v[22:23], -v[10:11]
	s_mov_b32 s22, 0
	v_mul_f64 v[10:11], v[10:11], 0.5
	s_brev_b32 s23, 8
	v_mov_b32_e32 v18, 0x100
	v_cmp_gt_f64_e32 vcc, s[22:23], v[10:11]
	s_brev_b32 s7, -2
	s_nop 0
	v_cndmask_b32_e32 v18, 0, v18, vcc
	v_ldexp_f64 v[10:11], v[10:11], v18
	v_rsq_f64_e32 v[18:19], v[10:11]
	s_nop 0
	v_mul_f64 v[20:21], v[10:11], v[18:19]
	v_mul_f64 v[18:19], v[18:19], 0.5
	v_fma_f64 v[22:23], -v[18:19], v[20:21], 0.5
	v_fmac_f64_e32 v[20:21], v[20:21], v[22:23]
	v_fma_f64 v[24:25], -v[20:21], v[20:21], v[10:11]
	v_fmac_f64_e32 v[18:19], v[18:19], v[22:23]
	v_fmac_f64_e32 v[20:21], v[24:25], v[18:19]
	v_fma_f64 v[22:23], -v[20:21], v[20:21], v[10:11]
	v_fmac_f64_e32 v[20:21], v[22:23], v[18:19]
	v_mov_b32_e32 v18, 0xffffff80
	v_cndmask_b32_e32 v18, 0, v18, vcc
	v_ldexp_f64 v[18:19], v[20:21], v18
	v_mov_b32_e32 v20, 0x260
	v_cmp_class_f64_e32 vcc, v[10:11], v20
	v_and_b32_e32 v21, 0x7fffffff, v13
	v_mov_b32_e32 v20, v12
	v_cndmask_b32_e32 v19, v19, v11, vcc
	v_cndmask_b32_e32 v18, v18, v10, vcc
	v_add_f64 v[10:11], v[18:19], v[18:19]
	v_div_scale_f64 v[22:23], s[22:23], v[10:11], v[10:11], v[20:21]
	v_rcp_f64_e32 v[24:25], v[22:23]
	v_div_scale_f64 v[20:21], vcc, v[20:21], v[10:11], v[20:21]
	v_bfi_b32 v19, s7, v19, v13
	v_fma_f64 v[26:27], -v[22:23], v[24:25], 1.0
	v_fmac_f64_e32 v[24:25], v[24:25], v[26:27]
	v_fma_f64 v[26:27], -v[22:23], v[24:25], 1.0
	v_fmac_f64_e32 v[24:25], v[24:25], v[26:27]
	v_mul_f64 v[26:27], v[20:21], v[24:25]
	v_fma_f64 v[20:21], -v[22:23], v[26:27], v[20:21]
	v_div_fmas_f64 v[20:21], v[20:21], v[24:25], v[26:27]
	v_div_fixup_f64 v[20:21], v[20:21], v[10:11], |v[12:13]|
.LBB164_91:
	s_or_b64 exec, exec, s[2:3]
                                        ; implicit-def: $vgpr12_vgpr13
                                        ; implicit-def: $vgpr22_vgpr23
	s_and_saveexec_b64 s[2:3], s[0:1]
	s_xor_b64 s[0:1], exec, s[2:3]
	s_cbranch_execz .LBB164_93
; %bb.92:
	v_mul_f64 v[10:11], v[20:21], 0.5
	v_mul_f64 v[12:13], v[18:19], 0.5
	v_cndmask_b32_e64 v23, v21, v11, s[20:21]
	v_cndmask_b32_e64 v22, v20, v10, s[20:21]
	;; [unrolled: 1-line block ×4, first 2 shown]
                                        ; implicit-def: $vgpr20_vgpr21
                                        ; implicit-def: $vgpr18_vgpr19
	s_andn2_saveexec_b64 s[0:1], s[0:1]
	s_cbranch_execnz .LBB164_94
	s_branch .LBB164_95
.LBB164_93:
	s_andn2_saveexec_b64 s[0:1], s[0:1]
.LBB164_94:
	v_add_f64 v[22:23], v[20:21], v[20:21]
	v_add_f64 v[12:13], v[18:19], v[18:19]
.LBB164_95:
	s_or_b64 exec, exec, s[0:1]
.LBB164_96:
	s_andn2_saveexec_b64 s[0:1], s[18:19]
	s_cbranch_execz .LBB164_102
; %bb.97:
	v_add_f64 v[18:19], v[12:13], -v[12:13]
	v_cmp_lt_i64_e32 vcc, -1, v[10:11]
	s_brev_b32 s7, -2
	v_and_b32_e32 v23, 0x7fffffff, v19
	v_mov_b32_e32 v22, v18
	s_and_saveexec_b64 s[2:3], vcc
	s_xor_b64 s[2:3], exec, s[2:3]
; %bb.98:
	v_bfi_b32 v19, s7, v19, v13
	v_mov_b64_e32 v[12:13], v[18:19]
	v_mov_b64_e32 v[22:23], v[10:11]
; %bb.99:
	s_andn2_saveexec_b64 s[2:3], s[2:3]
; %bb.100:
	v_bfi_b32 v11, s7, v11, v13
	v_mov_b64_e32 v[12:13], v[10:11]
; %bb.101:
	s_or_b64 exec, exec, s[2:3]
.LBB164_102:
	s_or_b64 exec, exec, s[0:1]
.LBB164_103:
	s_andn2_saveexec_b64 s[0:1], s[16:17]
	s_cbranch_execz .LBB164_105
; %bb.104:
	v_add_f64 v[12:13], v[12:13], -v[12:13]
	v_div_scale_f64 v[18:19], vcc, v[12:13], v[12:13], v[12:13]
	v_rcp_f64_e32 v[20:21], v[18:19]
	s_nop 0
	v_fma_f64 v[22:23], -v[18:19], v[20:21], 1.0
	v_fmac_f64_e32 v[20:21], v[20:21], v[22:23]
	v_fma_f64 v[22:23], -v[18:19], v[20:21], 1.0
	v_fmac_f64_e32 v[20:21], v[20:21], v[22:23]
	v_mul_f64 v[22:23], v[18:19], v[20:21]
	v_fma_f64 v[18:19], -v[18:19], v[22:23], v[18:19]
	v_div_fmas_f64 v[18:19], v[18:19], v[20:21], v[22:23]
	v_div_fixup_f64 v[12:13], v[18:19], v[12:13], v[12:13]
	v_mov_b64_e32 v[22:23], v[10:11]
.LBB164_105:
	s_or_b64 exec, exec, s[0:1]
.LBB164_106:
	s_or_b64 exec, exec, s[14:15]
.LBB164_107:
	s_or_b64 exec, exec, s[12:13]
	v_xor_b32_e32 v10, 0x80000000, v23
	v_cmp_gt_f64_e32 vcc, 0, v[22:23]
	v_mov_b32_e32 v24, v22
                                        ; implicit-def: $vgpr20_vgpr21
	s_nop 0
	v_cndmask_b32_e32 v25, v23, v10, vcc
	v_xor_b32_e32 v10, 0x80000000, v13
	v_cmp_gt_f64_e32 vcc, 0, v[12:13]
	s_nop 1
	v_cndmask_b32_e32 v11, v13, v10, vcc
	v_mov_b32_e32 v10, v12
	v_cmp_ge_f64_e32 vcc, v[24:25], v[10:11]
	s_and_saveexec_b64 s[0:1], vcc
	s_xor_b64 s[2:3], exec, s[0:1]
	s_cbranch_execz .LBB164_113
; %bb.108:
	v_cmp_neq_f64_e32 vcc, 0, v[22:23]
	v_cmp_neq_f64_e64 s[0:1], 0, v[12:13]
	s_or_b64 s[0:1], vcc, s[0:1]
                                        ; implicit-def: $vgpr20_vgpr21
	s_and_saveexec_b64 s[12:13], s[0:1]
	s_xor_b64 s[0:1], exec, s[12:13]
	s_cbranch_execz .LBB164_110
; %bb.109:
	v_div_scale_f64 v[10:11], s[12:13], v[22:23], v[22:23], v[12:13]
	v_rcp_f64_e32 v[18:19], v[10:11]
	v_div_scale_f64 v[20:21], vcc, v[12:13], v[22:23], v[12:13]
	v_fma_f64 v[24:25], -v[10:11], v[18:19], 1.0
	v_fmac_f64_e32 v[18:19], v[18:19], v[24:25]
	v_fma_f64 v[24:25], -v[10:11], v[18:19], 1.0
	v_fmac_f64_e32 v[18:19], v[18:19], v[24:25]
	v_mul_f64 v[24:25], v[20:21], v[18:19]
	v_fma_f64 v[10:11], -v[10:11], v[24:25], v[20:21]
	v_div_fmas_f64 v[10:11], v[10:11], v[18:19], v[24:25]
	v_div_fixup_f64 v[10:11], v[10:11], v[22:23], v[12:13]
	v_fmac_f64_e32 v[22:23], v[12:13], v[10:11]
	v_div_scale_f64 v[12:13], s[12:13], v[22:23], v[22:23], 1.0
	v_rcp_f64_e32 v[18:19], v[12:13]
	s_nop 0
	v_fma_f64 v[20:21], -v[12:13], v[18:19], 1.0
	v_fmac_f64_e32 v[18:19], v[18:19], v[20:21]
	v_fma_f64 v[20:21], -v[12:13], v[18:19], 1.0
	v_fmac_f64_e32 v[18:19], v[18:19], v[20:21]
	v_div_scale_f64 v[20:21], vcc, 1.0, v[22:23], 1.0
	v_mul_f64 v[24:25], v[20:21], v[18:19]
	v_fma_f64 v[12:13], -v[12:13], v[24:25], v[20:21]
	s_nop 1
	v_div_fmas_f64 v[12:13], v[12:13], v[18:19], v[24:25]
	v_div_fixup_f64 v[12:13], v[12:13], v[22:23], 1.0
	v_fma_f64 v[18:19], v[10:11], 0, 1.0
	v_add_f64 v[10:11], -v[10:11], 0
	v_mul_f64 v[18:19], v[18:19], v[12:13]
	v_mul_f64 v[20:21], v[10:11], v[12:13]
                                        ; implicit-def: $vgpr24_vgpr25
                                        ; implicit-def: $vgpr10_vgpr11
.LBB164_110:
	s_andn2_saveexec_b64 s[0:1], s[0:1]
	s_cbranch_execz .LBB164_112
; %bb.111:
	v_div_scale_f64 v[12:13], s[12:13], v[24:25], v[24:25], 1.0
	v_rcp_f64_e32 v[18:19], v[12:13]
	v_div_scale_f64 v[20:21], vcc, 1.0, v[24:25], 1.0
	v_fma_f64 v[22:23], -v[12:13], v[18:19], 1.0
	v_fmac_f64_e32 v[18:19], v[18:19], v[22:23]
	v_fma_f64 v[22:23], -v[12:13], v[18:19], 1.0
	v_fmac_f64_e32 v[18:19], v[18:19], v[22:23]
	v_mul_f64 v[22:23], v[20:21], v[18:19]
	v_fma_f64 v[12:13], -v[12:13], v[22:23], v[20:21]
	v_div_scale_f64 v[20:21], s[12:13], v[10:11], v[10:11], 0
	v_rcp_f64_e32 v[26:27], v[20:21]
	v_div_fmas_f64 v[12:13], v[12:13], v[18:19], v[22:23]
	v_div_fixup_f64 v[18:19], v[12:13], v[24:25], 1.0
	v_fma_f64 v[12:13], -v[20:21], v[26:27], 1.0
	v_fmac_f64_e32 v[26:27], v[26:27], v[12:13]
	v_fma_f64 v[12:13], -v[20:21], v[26:27], 1.0
	v_fmac_f64_e32 v[26:27], v[26:27], v[12:13]
	v_div_scale_f64 v[12:13], vcc, 0, v[10:11], 0
	v_mul_f64 v[22:23], v[12:13], v[26:27]
	v_fma_f64 v[12:13], -v[20:21], v[22:23], v[12:13]
	s_nop 1
	v_div_fmas_f64 v[12:13], v[12:13], v[26:27], v[22:23]
	v_div_fixup_f64 v[20:21], v[12:13], v[10:11], 0
.LBB164_112:
	s_or_b64 exec, exec, s[0:1]
                                        ; implicit-def: $vgpr12_vgpr13
                                        ; implicit-def: $vgpr22_vgpr23
.LBB164_113:
	s_andn2_saveexec_b64 s[0:1], s[2:3]
	s_cbranch_execz .LBB164_115
; %bb.114:
	v_div_scale_f64 v[10:11], s[2:3], v[12:13], v[12:13], v[22:23]
	v_rcp_f64_e32 v[18:19], v[10:11]
	v_div_scale_f64 v[20:21], vcc, v[22:23], v[12:13], v[22:23]
	v_fma_f64 v[24:25], -v[10:11], v[18:19], 1.0
	v_fmac_f64_e32 v[18:19], v[18:19], v[24:25]
	v_fma_f64 v[24:25], -v[10:11], v[18:19], 1.0
	v_fmac_f64_e32 v[18:19], v[18:19], v[24:25]
	v_mul_f64 v[24:25], v[20:21], v[18:19]
	v_fma_f64 v[10:11], -v[10:11], v[24:25], v[20:21]
	v_div_fmas_f64 v[10:11], v[10:11], v[18:19], v[24:25]
	v_div_fixup_f64 v[10:11], v[10:11], v[12:13], v[22:23]
	v_fmac_f64_e32 v[12:13], v[22:23], v[10:11]
	v_div_scale_f64 v[18:19], s[2:3], v[12:13], v[12:13], 1.0
	v_rcp_f64_e32 v[20:21], v[18:19]
	s_nop 0
	v_fma_f64 v[22:23], -v[18:19], v[20:21], 1.0
	v_fmac_f64_e32 v[20:21], v[20:21], v[22:23]
	v_fma_f64 v[22:23], -v[18:19], v[20:21], 1.0
	v_fmac_f64_e32 v[20:21], v[20:21], v[22:23]
	v_div_scale_f64 v[22:23], vcc, 1.0, v[12:13], 1.0
	v_mul_f64 v[24:25], v[22:23], v[20:21]
	v_fma_f64 v[18:19], -v[18:19], v[24:25], v[22:23]
	s_nop 1
	v_div_fmas_f64 v[18:19], v[18:19], v[20:21], v[24:25]
	v_div_fixup_f64 v[12:13], v[18:19], v[12:13], 1.0
	v_add_f64 v[18:19], v[10:11], 0
	v_fma_f64 v[10:11], v[10:11], 0, -1.0
	v_mul_f64 v[18:19], v[18:19], v[12:13]
	v_mul_f64 v[20:21], v[10:11], v[12:13]
.LBB164_115:
	s_or_b64 exec, exec, s[0:1]
	v_cmp_neq_f64_e32 vcc, 0, v[2:3]
	v_cmp_neq_f64_e64 s[0:1], 0, v[4:5]
	v_mov_b64_e32 v[22:23], 0
	s_or_b64 s[0:1], vcc, s[0:1]
	s_and_saveexec_b64 s[12:13], s[0:1]
	s_cbranch_execz .LBB164_145
; %bb.116:
	v_mov_b32_e32 v22, 0
	v_mov_b32_e32 v23, 0x7ff00000
	v_cmp_neq_f64_e64 s[0:1], |v[4:5]|, v[22:23]
	s_and_saveexec_b64 s[14:15], s[0:1]
	s_cbranch_execz .LBB164_144
; %bb.117:
	v_cmp_o_f64_e32 vcc, v[2:3], v[2:3]
                                        ; implicit-def: $vgpr22_vgpr23
	s_and_saveexec_b64 s[0:1], vcc
	s_xor_b64 s[16:17], exec, s[0:1]
	s_cbranch_execz .LBB164_141
; %bb.118:
	s_mov_b32 s0, 0
	s_mov_b32 s1, 0x7ff00000
	v_cmp_neq_f64_e64 s[0:1], |v[2:3]|, s[0:1]
                                        ; implicit-def: $vgpr22_vgpr23
	s_and_saveexec_b64 s[2:3], s[0:1]
	s_xor_b64 s[18:19], exec, s[2:3]
	s_cbranch_execz .LBB164_134
; %bb.119:
	v_max_f64 v[10:11], |v[4:5]|, |v[4:5]|
	v_max_f64 v[12:13], |v[2:3]|, |v[2:3]|
	s_mov_b32 s0, 0x99fcef32
	v_max_f64 v[10:11], v[12:13], v[10:11]
	s_mov_b32 s1, 0x7fda8279
	v_cmp_nle_f64_e64 s[0:1], s[0:1], v[10:11]
                                        ; implicit-def: $sgpr20_sgpr21
	s_and_saveexec_b64 s[2:3], s[0:1]
	s_xor_b64 s[2:3], exec, s[2:3]
	s_cbranch_execz .LBB164_123
; %bb.120:
	s_mov_b32 s20, 0
	s_mov_b32 s21, 0x200000
	v_cmp_le_f64_e64 s[22:23], |v[2:3]|, s[20:21]
	v_cmp_le_f64_e64 s[20:21], |v[4:5]|, s[20:21]
	s_and_b64 s[26:27], s[22:23], s[20:21]
	s_mov_b64 s[20:21], 0
	s_and_saveexec_b64 s[22:23], s[26:27]
; %bb.121:
	s_mov_b64 s[20:21], exec
	v_mul_f64 v[2:3], v[2:3], 4.0
	v_mul_f64 v[4:5], v[4:5], 4.0
; %bb.122:
	s_or_b64 exec, exec, s[22:23]
.LBB164_123:
	s_andn2_saveexec_b64 s[2:3], s[2:3]
; %bb.124:
	v_ldexp_f64 v[2:3], v[2:3], -2
	v_ldexp_f64 v[4:5], v[4:5], -2
	s_andn2_b64 s[20:21], s[20:21], exec
; %bb.125:
	s_or_b64 exec, exec, s[2:3]
	v_max_f64 v[10:11], |v[4:5]|, |v[4:5]|
	v_max_f64 v[12:13], |v[2:3]|, |v[2:3]|
	v_max_f64 v[10:11], v[12:13], v[10:11]
	v_frexp_exp_i32_f64_e32 v26, v[10:11]
	v_sub_u32_e32 v12, 0, v26
	v_ldexp_f64 v[10:11], |v[2:3]|, v12
	v_ldexp_f64 v[12:13], |v[4:5]|, v12
	v_mul_f64 v[12:13], v[12:13], v[12:13]
	v_fmac_f64_e32 v[12:13], v[10:11], v[10:11]
	v_rsq_f64_e32 v[10:11], v[12:13]
	v_cmp_eq_f64_e64 s[2:3], 0, v[12:13]
	s_movk_i32 s7, 0x204
	v_cmp_class_f64_e64 s[22:23], v[4:5], s7
	v_mul_f64 v[22:23], v[12:13], v[10:11]
	v_mul_f64 v[10:11], v[10:11], 0.5
	v_fma_f64 v[24:25], -v[10:11], v[22:23], 0.5
	v_fmac_f64_e32 v[22:23], v[22:23], v[24:25]
	v_fmac_f64_e32 v[10:11], v[10:11], v[24:25]
	v_fma_f64 v[24:25], -v[22:23], v[22:23], v[12:13]
	v_fmac_f64_e32 v[22:23], v[24:25], v[10:11]
	v_cndmask_b32_e64 v11, v23, v13, s[2:3]
	v_cndmask_b32_e64 v10, v22, v12, s[2:3]
	v_ldexp_f64 v[10:11], v[10:11], v26
	v_cmp_o_f64_e64 s[2:3], v[4:5], v[4:5]
	v_mov_b32_e32 v12, 0x7ff80000
	v_cmp_le_f64_e32 vcc, 0, v[2:3]
	v_cndmask_b32_e64 v10, 0, v10, s[2:3]
	v_cndmask_b32_e64 v11, v12, v11, s[2:3]
	v_cmp_class_f64_e64 s[2:3], v[2:3], s7
	v_mov_b32_e32 v12, 0x7ff00000
	s_or_b64 s[2:3], s[22:23], s[2:3]
	v_cndmask_b32_e64 v23, v11, v12, s[2:3]
	v_cndmask_b32_e64 v22, v10, 0, s[2:3]
                                        ; implicit-def: $vgpr10_vgpr11
                                        ; implicit-def: $vgpr12_vgpr13
	s_and_saveexec_b64 s[2:3], vcc
	s_xor_b64 s[2:3], exec, s[2:3]
	s_cbranch_execz .LBB164_127
; %bb.126:
	v_add_f64 v[2:3], v[2:3], v[22:23]
	s_mov_b32 s22, 0
	v_mul_f64 v[2:3], v[2:3], 0.5
	s_brev_b32 s23, 8
	v_mov_b32_e32 v10, 0x100
	v_cmp_gt_f64_e32 vcc, s[22:23], v[2:3]
	s_nop 1
	v_cndmask_b32_e32 v10, 0, v10, vcc
	v_ldexp_f64 v[2:3], v[2:3], v10
	v_rsq_f64_e32 v[10:11], v[2:3]
	s_nop 0
	v_mul_f64 v[12:13], v[2:3], v[10:11]
	v_mul_f64 v[10:11], v[10:11], 0.5
	v_fma_f64 v[22:23], -v[10:11], v[12:13], 0.5
	v_fmac_f64_e32 v[12:13], v[12:13], v[22:23]
	v_fma_f64 v[24:25], -v[12:13], v[12:13], v[2:3]
	v_fmac_f64_e32 v[10:11], v[10:11], v[22:23]
	v_fmac_f64_e32 v[12:13], v[24:25], v[10:11]
	v_fma_f64 v[22:23], -v[12:13], v[12:13], v[2:3]
	v_fmac_f64_e32 v[12:13], v[22:23], v[10:11]
	v_mov_b32_e32 v10, 0xffffff80
	v_cndmask_b32_e32 v10, 0, v10, vcc
	v_ldexp_f64 v[10:11], v[12:13], v10
	v_mov_b32_e32 v12, 0x260
	v_cmp_class_f64_e32 vcc, v[2:3], v12
	s_nop 1
	v_cndmask_b32_e32 v13, v11, v3, vcc
	v_cndmask_b32_e32 v12, v10, v2, vcc
	v_add_f64 v[2:3], v[12:13], v[12:13]
	v_div_scale_f64 v[10:11], s[22:23], v[2:3], v[2:3], v[4:5]
	v_rcp_f64_e32 v[22:23], v[10:11]
	s_nop 0
	v_fma_f64 v[24:25], -v[10:11], v[22:23], 1.0
	v_fmac_f64_e32 v[22:23], v[22:23], v[24:25]
	v_fma_f64 v[24:25], -v[10:11], v[22:23], 1.0
	v_fmac_f64_e32 v[22:23], v[22:23], v[24:25]
	v_div_scale_f64 v[24:25], vcc, v[4:5], v[2:3], v[4:5]
	v_mul_f64 v[26:27], v[24:25], v[22:23]
	v_fma_f64 v[10:11], -v[10:11], v[26:27], v[24:25]
	s_nop 1
	v_div_fmas_f64 v[10:11], v[10:11], v[22:23], v[26:27]
	v_div_fixup_f64 v[10:11], v[10:11], v[2:3], v[4:5]
                                        ; implicit-def: $vgpr22_vgpr23
                                        ; implicit-def: $vgpr2_vgpr3
	s_andn2_saveexec_b64 s[2:3], s[2:3]
	s_cbranch_execz .LBB164_129
	s_branch .LBB164_128
.LBB164_127:
	s_andn2_saveexec_b64 s[2:3], s[2:3]
	s_cbranch_execz .LBB164_129
.LBB164_128:
	v_add_f64 v[2:3], v[22:23], -v[2:3]
	s_mov_b32 s22, 0
	v_mul_f64 v[2:3], v[2:3], 0.5
	s_brev_b32 s23, 8
	v_mov_b32_e32 v10, 0x100
	v_cmp_gt_f64_e32 vcc, s[22:23], v[2:3]
	s_brev_b32 s7, -2
	s_nop 0
	v_cndmask_b32_e32 v10, 0, v10, vcc
	v_ldexp_f64 v[2:3], v[2:3], v10
	v_rsq_f64_e32 v[10:11], v[2:3]
	s_nop 0
	v_mul_f64 v[12:13], v[2:3], v[10:11]
	v_mul_f64 v[10:11], v[10:11], 0.5
	v_fma_f64 v[22:23], -v[10:11], v[12:13], 0.5
	v_fmac_f64_e32 v[12:13], v[12:13], v[22:23]
	v_fma_f64 v[24:25], -v[12:13], v[12:13], v[2:3]
	v_fmac_f64_e32 v[10:11], v[10:11], v[22:23]
	v_fmac_f64_e32 v[12:13], v[24:25], v[10:11]
	v_fma_f64 v[22:23], -v[12:13], v[12:13], v[2:3]
	v_fmac_f64_e32 v[12:13], v[22:23], v[10:11]
	v_mov_b32_e32 v10, 0xffffff80
	v_cndmask_b32_e32 v10, 0, v10, vcc
	v_ldexp_f64 v[10:11], v[12:13], v10
	v_mov_b32_e32 v12, 0x260
	v_cmp_class_f64_e32 vcc, v[2:3], v12
	v_and_b32_e32 v13, 0x7fffffff, v5
	v_mov_b32_e32 v12, v4
	v_cndmask_b32_e32 v11, v11, v3, vcc
	v_cndmask_b32_e32 v10, v10, v2, vcc
	v_add_f64 v[2:3], v[10:11], v[10:11]
	v_div_scale_f64 v[22:23], s[22:23], v[2:3], v[2:3], v[12:13]
	v_rcp_f64_e32 v[24:25], v[22:23]
	v_div_scale_f64 v[12:13], vcc, v[12:13], v[2:3], v[12:13]
	v_bfi_b32 v11, s7, v11, v5
	v_fma_f64 v[26:27], -v[22:23], v[24:25], 1.0
	v_fmac_f64_e32 v[24:25], v[24:25], v[26:27]
	v_fma_f64 v[26:27], -v[22:23], v[24:25], 1.0
	v_fmac_f64_e32 v[24:25], v[24:25], v[26:27]
	v_mul_f64 v[26:27], v[12:13], v[24:25]
	v_fma_f64 v[12:13], -v[22:23], v[26:27], v[12:13]
	v_div_fmas_f64 v[12:13], v[12:13], v[24:25], v[26:27]
	v_div_fixup_f64 v[12:13], v[12:13], v[2:3], |v[4:5]|
.LBB164_129:
	s_or_b64 exec, exec, s[2:3]
                                        ; implicit-def: $vgpr4_vgpr5
                                        ; implicit-def: $vgpr22_vgpr23
	s_and_saveexec_b64 s[2:3], s[0:1]
	s_xor_b64 s[0:1], exec, s[2:3]
	s_cbranch_execz .LBB164_131
; %bb.130:
	v_mul_f64 v[2:3], v[12:13], 0.5
	v_mul_f64 v[4:5], v[10:11], 0.5
	v_cndmask_b32_e64 v23, v13, v3, s[20:21]
	v_cndmask_b32_e64 v22, v12, v2, s[20:21]
	v_cndmask_b32_e64 v5, v11, v5, s[20:21]
	v_cndmask_b32_e64 v4, v10, v4, s[20:21]
                                        ; implicit-def: $vgpr12_vgpr13
                                        ; implicit-def: $vgpr10_vgpr11
	s_andn2_saveexec_b64 s[0:1], s[0:1]
	s_cbranch_execnz .LBB164_132
	s_branch .LBB164_133
.LBB164_131:
	s_andn2_saveexec_b64 s[0:1], s[0:1]
.LBB164_132:
	v_add_f64 v[22:23], v[12:13], v[12:13]
	v_add_f64 v[4:5], v[10:11], v[10:11]
.LBB164_133:
	s_or_b64 exec, exec, s[0:1]
.LBB164_134:
	s_andn2_saveexec_b64 s[0:1], s[18:19]
	s_cbranch_execz .LBB164_140
; %bb.135:
	v_add_f64 v[10:11], v[4:5], -v[4:5]
	v_cmp_lt_i64_e32 vcc, -1, v[2:3]
	s_brev_b32 s7, -2
	v_and_b32_e32 v23, 0x7fffffff, v11
	v_mov_b32_e32 v22, v10
	s_and_saveexec_b64 s[2:3], vcc
	s_xor_b64 s[2:3], exec, s[2:3]
; %bb.136:
	v_bfi_b32 v11, s7, v11, v5
	v_mov_b64_e32 v[4:5], v[10:11]
	v_mov_b64_e32 v[22:23], v[2:3]
; %bb.137:
	s_andn2_saveexec_b64 s[2:3], s[2:3]
; %bb.138:
	v_bfi_b32 v3, s7, v3, v5
	v_mov_b64_e32 v[4:5], v[2:3]
; %bb.139:
	s_or_b64 exec, exec, s[2:3]
.LBB164_140:
	s_or_b64 exec, exec, s[0:1]
.LBB164_141:
	s_andn2_saveexec_b64 s[0:1], s[16:17]
	s_cbranch_execz .LBB164_143
; %bb.142:
	v_add_f64 v[4:5], v[4:5], -v[4:5]
	v_div_scale_f64 v[10:11], vcc, v[4:5], v[4:5], v[4:5]
	v_rcp_f64_e32 v[12:13], v[10:11]
	s_nop 0
	v_fma_f64 v[22:23], -v[10:11], v[12:13], 1.0
	v_fmac_f64_e32 v[12:13], v[12:13], v[22:23]
	v_fma_f64 v[22:23], -v[10:11], v[12:13], 1.0
	v_fmac_f64_e32 v[12:13], v[12:13], v[22:23]
	v_mul_f64 v[22:23], v[10:11], v[12:13]
	v_fma_f64 v[10:11], -v[10:11], v[22:23], v[10:11]
	v_div_fmas_f64 v[10:11], v[10:11], v[12:13], v[22:23]
	v_div_fixup_f64 v[4:5], v[10:11], v[4:5], v[4:5]
	v_mov_b64_e32 v[22:23], v[2:3]
.LBB164_143:
	s_or_b64 exec, exec, s[0:1]
.LBB164_144:
	s_or_b64 exec, exec, s[14:15]
.LBB164_145:
	s_or_b64 exec, exec, s[12:13]
	v_xor_b32_e32 v2, 0x80000000, v23
	v_cmp_gt_f64_e32 vcc, 0, v[22:23]
	v_mov_b32_e32 v24, v22
                                        ; implicit-def: $vgpr12_vgpr13
	s_nop 0
	v_cndmask_b32_e32 v25, v23, v2, vcc
	v_xor_b32_e32 v2, 0x80000000, v5
	v_cmp_gt_f64_e32 vcc, 0, v[4:5]
	s_nop 1
	v_cndmask_b32_e32 v3, v5, v2, vcc
	v_mov_b32_e32 v2, v4
	v_cmp_ge_f64_e32 vcc, v[24:25], v[2:3]
	s_and_saveexec_b64 s[0:1], vcc
	s_xor_b64 s[2:3], exec, s[0:1]
	s_cbranch_execz .LBB164_151
; %bb.146:
	v_cmp_neq_f64_e32 vcc, 0, v[22:23]
	v_cmp_neq_f64_e64 s[0:1], 0, v[4:5]
	s_or_b64 s[0:1], vcc, s[0:1]
                                        ; implicit-def: $vgpr12_vgpr13
	s_and_saveexec_b64 s[12:13], s[0:1]
	s_xor_b64 s[0:1], exec, s[12:13]
	s_cbranch_execz .LBB164_148
; %bb.147:
	v_div_scale_f64 v[2:3], s[12:13], v[22:23], v[22:23], v[4:5]
	v_rcp_f64_e32 v[10:11], v[2:3]
	v_div_scale_f64 v[12:13], vcc, v[4:5], v[22:23], v[4:5]
	v_fma_f64 v[24:25], -v[2:3], v[10:11], 1.0
	v_fmac_f64_e32 v[10:11], v[10:11], v[24:25]
	v_fma_f64 v[24:25], -v[2:3], v[10:11], 1.0
	v_fmac_f64_e32 v[10:11], v[10:11], v[24:25]
	v_mul_f64 v[24:25], v[12:13], v[10:11]
	v_fma_f64 v[2:3], -v[2:3], v[24:25], v[12:13]
	v_div_fmas_f64 v[2:3], v[2:3], v[10:11], v[24:25]
	v_div_fixup_f64 v[2:3], v[2:3], v[22:23], v[4:5]
	v_fmac_f64_e32 v[22:23], v[4:5], v[2:3]
	v_div_scale_f64 v[4:5], s[12:13], v[22:23], v[22:23], 1.0
	v_rcp_f64_e32 v[10:11], v[4:5]
	s_nop 0
	v_fma_f64 v[12:13], -v[4:5], v[10:11], 1.0
	v_fmac_f64_e32 v[10:11], v[10:11], v[12:13]
	v_fma_f64 v[12:13], -v[4:5], v[10:11], 1.0
	v_fmac_f64_e32 v[10:11], v[10:11], v[12:13]
	v_div_scale_f64 v[12:13], vcc, 1.0, v[22:23], 1.0
	v_mul_f64 v[24:25], v[12:13], v[10:11]
	v_fma_f64 v[4:5], -v[4:5], v[24:25], v[12:13]
	s_nop 1
	v_div_fmas_f64 v[4:5], v[4:5], v[10:11], v[24:25]
	v_div_fixup_f64 v[4:5], v[4:5], v[22:23], 1.0
	v_fma_f64 v[10:11], v[2:3], 0, 1.0
	v_add_f64 v[2:3], -v[2:3], 0
	v_mul_f64 v[10:11], v[10:11], v[4:5]
	v_mul_f64 v[12:13], v[2:3], v[4:5]
                                        ; implicit-def: $vgpr24_vgpr25
                                        ; implicit-def: $vgpr2_vgpr3
.LBB164_148:
	s_andn2_saveexec_b64 s[0:1], s[0:1]
	s_cbranch_execz .LBB164_150
; %bb.149:
	v_div_scale_f64 v[4:5], s[12:13], v[24:25], v[24:25], 1.0
	v_rcp_f64_e32 v[10:11], v[4:5]
	v_div_scale_f64 v[12:13], vcc, 1.0, v[24:25], 1.0
	v_fma_f64 v[22:23], -v[4:5], v[10:11], 1.0
	v_fmac_f64_e32 v[10:11], v[10:11], v[22:23]
	v_fma_f64 v[22:23], -v[4:5], v[10:11], 1.0
	v_fmac_f64_e32 v[10:11], v[10:11], v[22:23]
	v_mul_f64 v[22:23], v[12:13], v[10:11]
	v_fma_f64 v[4:5], -v[4:5], v[22:23], v[12:13]
	v_div_scale_f64 v[12:13], s[12:13], v[2:3], v[2:3], 0
	v_rcp_f64_e32 v[26:27], v[12:13]
	v_div_fmas_f64 v[4:5], v[4:5], v[10:11], v[22:23]
	v_div_fixup_f64 v[10:11], v[4:5], v[24:25], 1.0
	v_fma_f64 v[4:5], -v[12:13], v[26:27], 1.0
	v_fmac_f64_e32 v[26:27], v[26:27], v[4:5]
	v_fma_f64 v[4:5], -v[12:13], v[26:27], 1.0
	v_fmac_f64_e32 v[26:27], v[26:27], v[4:5]
	v_div_scale_f64 v[4:5], vcc, 0, v[2:3], 0
	v_mul_f64 v[22:23], v[4:5], v[26:27]
	v_fma_f64 v[4:5], -v[12:13], v[22:23], v[4:5]
	s_nop 1
	v_div_fmas_f64 v[4:5], v[4:5], v[26:27], v[22:23]
	v_div_fixup_f64 v[12:13], v[4:5], v[2:3], 0
.LBB164_150:
	s_or_b64 exec, exec, s[0:1]
                                        ; implicit-def: $vgpr4_vgpr5
                                        ; implicit-def: $vgpr22_vgpr23
.LBB164_151:
	s_andn2_saveexec_b64 s[0:1], s[2:3]
	s_cbranch_execz .LBB164_153
; %bb.152:
	v_div_scale_f64 v[2:3], s[2:3], v[4:5], v[4:5], v[22:23]
	v_rcp_f64_e32 v[10:11], v[2:3]
	v_div_scale_f64 v[12:13], vcc, v[22:23], v[4:5], v[22:23]
	v_fma_f64 v[24:25], -v[2:3], v[10:11], 1.0
	v_fmac_f64_e32 v[10:11], v[10:11], v[24:25]
	v_fma_f64 v[24:25], -v[2:3], v[10:11], 1.0
	v_fmac_f64_e32 v[10:11], v[10:11], v[24:25]
	v_mul_f64 v[24:25], v[12:13], v[10:11]
	v_fma_f64 v[2:3], -v[2:3], v[24:25], v[12:13]
	v_div_fmas_f64 v[2:3], v[2:3], v[10:11], v[24:25]
	v_div_fixup_f64 v[2:3], v[2:3], v[4:5], v[22:23]
	v_fmac_f64_e32 v[4:5], v[22:23], v[2:3]
	v_div_scale_f64 v[10:11], s[2:3], v[4:5], v[4:5], 1.0
	v_rcp_f64_e32 v[12:13], v[10:11]
	s_nop 0
	v_fma_f64 v[22:23], -v[10:11], v[12:13], 1.0
	v_fmac_f64_e32 v[12:13], v[12:13], v[22:23]
	v_fma_f64 v[22:23], -v[10:11], v[12:13], 1.0
	v_fmac_f64_e32 v[12:13], v[12:13], v[22:23]
	v_div_scale_f64 v[22:23], vcc, 1.0, v[4:5], 1.0
	v_mul_f64 v[24:25], v[22:23], v[12:13]
	v_fma_f64 v[10:11], -v[10:11], v[24:25], v[22:23]
	s_nop 1
	v_div_fmas_f64 v[10:11], v[10:11], v[12:13], v[24:25]
	v_div_fixup_f64 v[4:5], v[10:11], v[4:5], 1.0
	v_add_f64 v[10:11], v[2:3], 0
	v_fma_f64 v[2:3], v[2:3], 0, -1.0
	v_mul_f64 v[10:11], v[10:11], v[4:5]
	v_mul_f64 v[12:13], v[2:3], v[4:5]
.LBB164_153:
	s_or_b64 exec, exec, s[0:1]
	s_add_u32 s0, s8, s4
	s_addc_u32 s1, s9, s5
	global_store_dwordx4 v1, v[6:9], s[0:1]
	global_store_dwordx4 v1, v[14:17], s[0:1] offset:16
	global_store_dwordx4 v1, v[18:21], s[0:1] offset:32
	;; [unrolled: 1-line block ×3, first 2 shown]
	s_mov_b64 s[0:1], 0
.LBB164_154:
	s_and_b64 vcc, exec, s[0:1]
	s_cbranch_vccz .LBB164_331
; %bb.155:
	v_cmp_gt_i32_e64 s[0:1], s24, v0
	v_mov_b64_e32 v[18:19], 0
	v_or_b32_e32 v22, s6, v0
	v_mov_b64_e32 v[14:15], 0
	v_mov_b64_e32 v[16:17], 0
	v_mov_b32_e32 v1, v0
	s_and_saveexec_b64 s[2:3], s[0:1]
	s_cbranch_execz .LBB164_157
; %bb.156:
	v_mov_b32_e32 v23, 0
	v_lshl_add_u64 v[2:3], v[22:23], 4, s[10:11]
	global_load_dwordx4 v[14:17], v[2:3], off
	v_or_b32_e32 v1, 0x100, v0
.LBB164_157:
	s_or_b64 exec, exec, s[2:3]
	v_cmp_gt_i32_e32 vcc, s24, v1
	v_mov_b64_e32 v[20:21], 0
	s_and_saveexec_b64 s[2:3], vcc
	s_cbranch_execz .LBB164_159
; %bb.158:
	v_add_u32_e32 v2, s6, v1
	v_mov_b32_e32 v3, 0
	v_lshl_add_u64 v[2:3], v[2:3], 4, s[10:11]
	global_load_dwordx4 v[18:21], v[2:3], off
	v_add_u32_e32 v1, 0x100, v1
.LBB164_159:
	s_or_b64 exec, exec, s[2:3]
	v_cmp_gt_i32_e32 vcc, s24, v1
	v_mov_b64_e32 v[2:3], 0
	v_mov_b64_e32 v[10:11], 0
	;; [unrolled: 1-line block ×3, first 2 shown]
	s_and_saveexec_b64 s[2:3], vcc
	s_cbranch_execz .LBB164_161
; %bb.160:
	v_add_u32_e32 v4, s6, v1
	v_mov_b32_e32 v5, 0
	v_lshl_add_u64 v[4:5], v[4:5], 4, s[10:11]
	global_load_dwordx4 v[10:13], v[4:5], off
	v_add_u32_e32 v1, 0x100, v1
.LBB164_161:
	s_or_b64 exec, exec, s[2:3]
	v_cmp_gt_i32_e32 vcc, s24, v1
	v_mov_b64_e32 v[4:5], 0
	s_and_saveexec_b64 s[2:3], vcc
	s_cbranch_execz .LBB164_163
; %bb.162:
	v_add_u32_e32 v2, s6, v1
	v_mov_b32_e32 v3, 0
	v_lshl_add_u64 v[2:3], v[2:3], 4, s[10:11]
	global_load_dwordx4 v[2:5], v[2:3], off
.LBB164_163:
	s_or_b64 exec, exec, s[2:3]
	v_mov_b64_e32 v[6:7], 0
	v_mov_b64_e32 v[8:9], 0
	s_and_saveexec_b64 s[10:11], s[0:1]
	s_cbranch_execz .LBB164_203
; %bb.164:
	s_waitcnt vmcnt(0)
	v_cmp_neq_f64_e32 vcc, 0, v[14:15]
	v_cmp_neq_f64_e64 s[2:3], 0, v[16:17]
	v_mov_b64_e32 v[24:25], 0
	s_or_b64 s[2:3], vcc, s[2:3]
	s_and_saveexec_b64 s[12:13], s[2:3]
	s_cbranch_execz .LBB164_194
; %bb.165:
	v_mov_b32_e32 v24, 0
	v_mov_b32_e32 v25, 0x7ff00000
	v_cmp_neq_f64_e64 s[2:3], |v[16:17]|, v[24:25]
	s_and_saveexec_b64 s[14:15], s[2:3]
	s_cbranch_execz .LBB164_193
; %bb.166:
	v_cmp_o_f64_e32 vcc, v[14:15], v[14:15]
                                        ; implicit-def: $vgpr24_vgpr25
	s_and_saveexec_b64 s[2:3], vcc
	s_xor_b64 s[16:17], exec, s[2:3]
	s_cbranch_execz .LBB164_190
; %bb.167:
	s_mov_b32 s2, 0
	s_mov_b32 s3, 0x7ff00000
	v_cmp_neq_f64_e64 s[2:3], |v[14:15]|, s[2:3]
                                        ; implicit-def: $vgpr24_vgpr25
	s_and_saveexec_b64 s[4:5], s[2:3]
	s_xor_b64 s[18:19], exec, s[4:5]
	s_cbranch_execz .LBB164_183
; %bb.168:
	v_max_f64 v[6:7], |v[16:17]|, |v[16:17]|
	v_max_f64 v[8:9], |v[14:15]|, |v[14:15]|
	s_mov_b32 s2, 0x99fcef32
	v_max_f64 v[6:7], v[8:9], v[6:7]
	s_mov_b32 s3, 0x7fda8279
	v_cmp_nle_f64_e64 s[2:3], s[2:3], v[6:7]
                                        ; implicit-def: $sgpr20_sgpr21
	s_and_saveexec_b64 s[4:5], s[2:3]
	s_xor_b64 s[4:5], exec, s[4:5]
	s_cbranch_execz .LBB164_172
; %bb.169:
	s_mov_b32 s20, 0
	s_mov_b32 s21, 0x200000
	v_cmp_le_f64_e64 s[22:23], |v[14:15]|, s[20:21]
	v_cmp_le_f64_e64 s[20:21], |v[16:17]|, s[20:21]
	s_and_b64 s[26:27], s[22:23], s[20:21]
	s_mov_b64 s[20:21], 0
	s_and_saveexec_b64 s[22:23], s[26:27]
; %bb.170:
	s_mov_b64 s[20:21], exec
	v_mul_f64 v[14:15], v[14:15], 4.0
	v_mul_f64 v[16:17], v[16:17], 4.0
; %bb.171:
	s_or_b64 exec, exec, s[22:23]
.LBB164_172:
	s_andn2_saveexec_b64 s[4:5], s[4:5]
; %bb.173:
	v_ldexp_f64 v[14:15], v[14:15], -2
	v_ldexp_f64 v[16:17], v[16:17], -2
	s_andn2_b64 s[20:21], s[20:21], exec
; %bb.174:
	s_or_b64 exec, exec, s[4:5]
	v_max_f64 v[6:7], |v[16:17]|, |v[16:17]|
	v_max_f64 v[8:9], |v[14:15]|, |v[14:15]|
	v_max_f64 v[6:7], v[8:9], v[6:7]
	v_frexp_exp_i32_f64_e32 v1, v[6:7]
	v_sub_u32_e32 v8, 0, v1
	v_ldexp_f64 v[6:7], |v[14:15]|, v8
	v_ldexp_f64 v[8:9], |v[16:17]|, v8
	v_mul_f64 v[8:9], v[8:9], v[8:9]
	v_fmac_f64_e32 v[8:9], v[6:7], v[6:7]
	v_rsq_f64_e32 v[6:7], v[8:9]
	v_cmp_eq_f64_e64 s[4:5], 0, v[8:9]
	s_movk_i32 s7, 0x204
	v_cmp_class_f64_e64 s[22:23], v[16:17], s7
	v_mul_f64 v[24:25], v[8:9], v[6:7]
	v_mul_f64 v[6:7], v[6:7], 0.5
	v_fma_f64 v[26:27], -v[6:7], v[24:25], 0.5
	v_fmac_f64_e32 v[24:25], v[24:25], v[26:27]
	v_fmac_f64_e32 v[6:7], v[6:7], v[26:27]
	v_fma_f64 v[26:27], -v[24:25], v[24:25], v[8:9]
	v_fmac_f64_e32 v[24:25], v[26:27], v[6:7]
	v_cndmask_b32_e64 v7, v25, v9, s[4:5]
	v_cndmask_b32_e64 v6, v24, v8, s[4:5]
	v_ldexp_f64 v[6:7], v[6:7], v1
	v_cmp_o_f64_e64 s[4:5], v[16:17], v[16:17]
	v_cmp_le_f64_e32 vcc, 0, v[14:15]
                                        ; implicit-def: $vgpr8_vgpr9
	s_nop 0
	v_cndmask_b32_e64 v1, 0, v6, s[4:5]
	v_mov_b32_e32 v6, 0x7ff80000
	v_cndmask_b32_e64 v6, v6, v7, s[4:5]
	v_cmp_class_f64_e64 s[4:5], v[14:15], s7
	v_mov_b32_e32 v7, 0x7ff00000
	s_or_b64 s[4:5], s[22:23], s[4:5]
	v_cndmask_b32_e64 v25, v6, v7, s[4:5]
	v_cndmask_b32_e64 v24, v1, 0, s[4:5]
                                        ; implicit-def: $vgpr6_vgpr7
	s_and_saveexec_b64 s[4:5], vcc
	s_xor_b64 s[4:5], exec, s[4:5]
	s_cbranch_execz .LBB164_176
; %bb.175:
	v_add_f64 v[6:7], v[14:15], v[24:25]
	s_mov_b32 s22, 0
	v_mul_f64 v[6:7], v[6:7], 0.5
	s_brev_b32 s23, 8
	v_mov_b32_e32 v1, 0x100
	v_cmp_gt_f64_e32 vcc, s[22:23], v[6:7]
	s_nop 1
	v_cndmask_b32_e32 v1, 0, v1, vcc
	v_ldexp_f64 v[6:7], v[6:7], v1
	v_rsq_f64_e32 v[8:9], v[6:7]
	v_mov_b32_e32 v1, 0xffffff80
	v_cndmask_b32_e32 v1, 0, v1, vcc
	v_mul_f64 v[14:15], v[6:7], v[8:9]
	v_mul_f64 v[8:9], v[8:9], 0.5
	v_fma_f64 v[24:25], -v[8:9], v[14:15], 0.5
	v_fmac_f64_e32 v[14:15], v[14:15], v[24:25]
	v_fma_f64 v[26:27], -v[14:15], v[14:15], v[6:7]
	v_fmac_f64_e32 v[8:9], v[8:9], v[24:25]
	v_fmac_f64_e32 v[14:15], v[26:27], v[8:9]
	v_fma_f64 v[24:25], -v[14:15], v[14:15], v[6:7]
	v_fmac_f64_e32 v[14:15], v[24:25], v[8:9]
	v_ldexp_f64 v[8:9], v[14:15], v1
	v_mov_b32_e32 v1, 0x260
	v_cmp_class_f64_e32 vcc, v[6:7], v1
	s_nop 1
	v_cndmask_b32_e32 v9, v9, v7, vcc
	v_cndmask_b32_e32 v8, v8, v6, vcc
	v_add_f64 v[6:7], v[8:9], v[8:9]
	v_div_scale_f64 v[14:15], s[22:23], v[6:7], v[6:7], v[16:17]
	v_rcp_f64_e32 v[24:25], v[14:15]
	s_nop 0
	v_fma_f64 v[26:27], -v[14:15], v[24:25], 1.0
	v_fmac_f64_e32 v[24:25], v[24:25], v[26:27]
	v_fma_f64 v[26:27], -v[14:15], v[24:25], 1.0
	v_fmac_f64_e32 v[24:25], v[24:25], v[26:27]
	v_div_scale_f64 v[26:27], vcc, v[16:17], v[6:7], v[16:17]
	v_mul_f64 v[28:29], v[26:27], v[24:25]
	v_fma_f64 v[14:15], -v[14:15], v[28:29], v[26:27]
	s_nop 1
	v_div_fmas_f64 v[14:15], v[14:15], v[24:25], v[28:29]
	v_div_fixup_f64 v[6:7], v[14:15], v[6:7], v[16:17]
                                        ; implicit-def: $vgpr24_vgpr25
                                        ; implicit-def: $vgpr14_vgpr15
	s_andn2_saveexec_b64 s[4:5], s[4:5]
	s_cbranch_execz .LBB164_178
	s_branch .LBB164_177
.LBB164_176:
	s_andn2_saveexec_b64 s[4:5], s[4:5]
	s_cbranch_execz .LBB164_178
.LBB164_177:
	v_add_f64 v[6:7], v[24:25], -v[14:15]
	s_mov_b32 s22, 0
	v_mul_f64 v[6:7], v[6:7], 0.5
	s_brev_b32 s23, 8
	v_mov_b32_e32 v1, 0x100
	v_cmp_gt_f64_e32 vcc, s[22:23], v[6:7]
	s_brev_b32 s7, -2
	s_nop 0
	v_cndmask_b32_e32 v1, 0, v1, vcc
	v_ldexp_f64 v[6:7], v[6:7], v1
	v_rsq_f64_e32 v[8:9], v[6:7]
	v_mov_b32_e32 v1, 0xffffff80
	v_cndmask_b32_e32 v1, 0, v1, vcc
	v_mul_f64 v[14:15], v[6:7], v[8:9]
	v_mul_f64 v[8:9], v[8:9], 0.5
	v_fma_f64 v[24:25], -v[8:9], v[14:15], 0.5
	v_fmac_f64_e32 v[14:15], v[14:15], v[24:25]
	v_fma_f64 v[26:27], -v[14:15], v[14:15], v[6:7]
	v_fmac_f64_e32 v[8:9], v[8:9], v[24:25]
	v_fmac_f64_e32 v[14:15], v[26:27], v[8:9]
	v_fma_f64 v[24:25], -v[14:15], v[14:15], v[6:7]
	v_fmac_f64_e32 v[14:15], v[24:25], v[8:9]
	v_ldexp_f64 v[8:9], v[14:15], v1
	v_mov_b32_e32 v1, 0x260
	v_cmp_class_f64_e32 vcc, v[6:7], v1
	v_and_b32_e32 v15, 0x7fffffff, v17
	v_mov_b32_e32 v14, v16
	v_cndmask_b32_e32 v7, v9, v7, vcc
	v_cndmask_b32_e32 v6, v8, v6, vcc
	v_add_f64 v[8:9], v[6:7], v[6:7]
	v_div_scale_f64 v[24:25], s[22:23], v[8:9], v[8:9], v[14:15]
	v_rcp_f64_e32 v[26:27], v[24:25]
	v_div_scale_f64 v[14:15], vcc, v[14:15], v[8:9], v[14:15]
	v_bfi_b32 v7, s7, v7, v17
	v_fma_f64 v[28:29], -v[24:25], v[26:27], 1.0
	v_fmac_f64_e32 v[26:27], v[26:27], v[28:29]
	v_fma_f64 v[28:29], -v[24:25], v[26:27], 1.0
	v_fmac_f64_e32 v[26:27], v[26:27], v[28:29]
	v_mul_f64 v[28:29], v[14:15], v[26:27]
	v_fma_f64 v[14:15], -v[24:25], v[28:29], v[14:15]
	v_div_fmas_f64 v[14:15], v[14:15], v[26:27], v[28:29]
	v_div_fixup_f64 v[8:9], v[14:15], v[8:9], |v[16:17]|
.LBB164_178:
	s_or_b64 exec, exec, s[4:5]
                                        ; implicit-def: $vgpr16_vgpr17
                                        ; implicit-def: $vgpr24_vgpr25
	s_and_saveexec_b64 s[4:5], s[2:3]
	s_xor_b64 s[2:3], exec, s[4:5]
	s_cbranch_execz .LBB164_180
; %bb.179:
	v_mul_f64 v[14:15], v[8:9], 0.5
	v_mul_f64 v[16:17], v[6:7], 0.5
	v_cndmask_b32_e64 v25, v9, v15, s[20:21]
	v_cndmask_b32_e64 v24, v8, v14, s[20:21]
	;; [unrolled: 1-line block ×4, first 2 shown]
                                        ; implicit-def: $vgpr8_vgpr9
                                        ; implicit-def: $vgpr6_vgpr7
	s_andn2_saveexec_b64 s[2:3], s[2:3]
	s_cbranch_execnz .LBB164_181
	s_branch .LBB164_182
.LBB164_180:
	s_andn2_saveexec_b64 s[2:3], s[2:3]
.LBB164_181:
	v_add_f64 v[24:25], v[8:9], v[8:9]
	v_add_f64 v[16:17], v[6:7], v[6:7]
.LBB164_182:
	s_or_b64 exec, exec, s[2:3]
.LBB164_183:
	s_andn2_saveexec_b64 s[2:3], s[18:19]
	s_cbranch_execz .LBB164_189
; %bb.184:
	v_add_f64 v[6:7], v[16:17], -v[16:17]
	v_cmp_lt_i64_e32 vcc, -1, v[14:15]
	s_brev_b32 s7, -2
	v_and_b32_e32 v25, 0x7fffffff, v7
	v_mov_b32_e32 v24, v6
	s_and_saveexec_b64 s[4:5], vcc
	s_xor_b64 s[4:5], exec, s[4:5]
; %bb.185:
	v_bfi_b32 v7, s7, v7, v17
	v_mov_b64_e32 v[16:17], v[6:7]
	v_mov_b64_e32 v[24:25], v[14:15]
; %bb.186:
	s_andn2_saveexec_b64 s[4:5], s[4:5]
; %bb.187:
	v_bfi_b32 v15, s7, v15, v17
	v_mov_b64_e32 v[16:17], v[14:15]
; %bb.188:
	s_or_b64 exec, exec, s[4:5]
.LBB164_189:
	s_or_b64 exec, exec, s[2:3]
.LBB164_190:
	s_andn2_saveexec_b64 s[2:3], s[16:17]
	s_cbranch_execz .LBB164_192
; %bb.191:
	v_add_f64 v[6:7], v[16:17], -v[16:17]
	v_div_scale_f64 v[8:9], vcc, v[6:7], v[6:7], v[6:7]
	v_rcp_f64_e32 v[16:17], v[8:9]
	s_nop 0
	v_fma_f64 v[24:25], -v[8:9], v[16:17], 1.0
	v_fmac_f64_e32 v[16:17], v[16:17], v[24:25]
	v_fma_f64 v[24:25], -v[8:9], v[16:17], 1.0
	v_fmac_f64_e32 v[16:17], v[16:17], v[24:25]
	v_mul_f64 v[24:25], v[8:9], v[16:17]
	v_fma_f64 v[8:9], -v[8:9], v[24:25], v[8:9]
	v_div_fmas_f64 v[8:9], v[8:9], v[16:17], v[24:25]
	v_div_fixup_f64 v[16:17], v[8:9], v[6:7], v[6:7]
	v_mov_b64_e32 v[24:25], v[14:15]
.LBB164_192:
	s_or_b64 exec, exec, s[2:3]
.LBB164_193:
	s_or_b64 exec, exec, s[14:15]
.LBB164_194:
	s_or_b64 exec, exec, s[12:13]
	v_xor_b32_e32 v1, 0x80000000, v25
	v_cmp_gt_f64_e32 vcc, 0, v[24:25]
	v_mov_b32_e32 v26, v24
	v_mov_b32_e32 v14, v16
	v_cndmask_b32_e32 v27, v25, v1, vcc
	v_xor_b32_e32 v1, 0x80000000, v17
	v_cmp_gt_f64_e32 vcc, 0, v[16:17]
                                        ; implicit-def: $vgpr6_vgpr7
	s_nop 1
	v_cndmask_b32_e32 v15, v17, v1, vcc
	v_cmp_ge_f64_e32 vcc, v[26:27], v[14:15]
	s_and_saveexec_b64 s[2:3], vcc
	s_xor_b64 s[4:5], exec, s[2:3]
	s_cbranch_execz .LBB164_200
; %bb.195:
	v_cmp_neq_f64_e32 vcc, 0, v[24:25]
	v_cmp_neq_f64_e64 s[2:3], 0, v[16:17]
	s_or_b64 s[2:3], vcc, s[2:3]
                                        ; implicit-def: $vgpr6_vgpr7
	s_and_saveexec_b64 s[12:13], s[2:3]
	s_xor_b64 s[2:3], exec, s[12:13]
	s_cbranch_execz .LBB164_197
; %bb.196:
	v_div_scale_f64 v[6:7], s[12:13], v[24:25], v[24:25], v[16:17]
	v_rcp_f64_e32 v[8:9], v[6:7]
	v_div_scale_f64 v[14:15], vcc, v[16:17], v[24:25], v[16:17]
	v_fma_f64 v[26:27], -v[6:7], v[8:9], 1.0
	v_fmac_f64_e32 v[8:9], v[8:9], v[26:27]
	v_fma_f64 v[26:27], -v[6:7], v[8:9], 1.0
	v_fmac_f64_e32 v[8:9], v[8:9], v[26:27]
	v_mul_f64 v[26:27], v[14:15], v[8:9]
	v_fma_f64 v[6:7], -v[6:7], v[26:27], v[14:15]
	v_div_fmas_f64 v[6:7], v[6:7], v[8:9], v[26:27]
	v_div_fixup_f64 v[8:9], v[6:7], v[24:25], v[16:17]
	v_fmac_f64_e32 v[24:25], v[16:17], v[8:9]
	v_div_scale_f64 v[6:7], s[12:13], v[24:25], v[24:25], 1.0
	v_rcp_f64_e32 v[14:15], v[6:7]
	s_nop 0
	v_fma_f64 v[16:17], -v[6:7], v[14:15], 1.0
	v_fmac_f64_e32 v[14:15], v[14:15], v[16:17]
	v_fma_f64 v[16:17], -v[6:7], v[14:15], 1.0
	v_fmac_f64_e32 v[14:15], v[14:15], v[16:17]
	v_div_scale_f64 v[16:17], vcc, 1.0, v[24:25], 1.0
	v_mul_f64 v[26:27], v[16:17], v[14:15]
	v_fma_f64 v[6:7], -v[6:7], v[26:27], v[16:17]
	s_nop 1
	v_div_fmas_f64 v[6:7], v[6:7], v[14:15], v[26:27]
	v_div_fixup_f64 v[14:15], v[6:7], v[24:25], 1.0
	v_fma_f64 v[6:7], v[8:9], 0, 1.0
	v_add_f64 v[8:9], -v[8:9], 0
	v_mul_f64 v[6:7], v[6:7], v[14:15]
	v_mul_f64 v[8:9], v[8:9], v[14:15]
                                        ; implicit-def: $vgpr26_vgpr27
                                        ; implicit-def: $vgpr14_vgpr15
.LBB164_197:
	s_andn2_saveexec_b64 s[2:3], s[2:3]
	s_cbranch_execz .LBB164_199
; %bb.198:
	v_div_scale_f64 v[6:7], s[12:13], v[26:27], v[26:27], 1.0
	v_rcp_f64_e32 v[8:9], v[6:7]
	v_div_scale_f64 v[16:17], vcc, 1.0, v[26:27], 1.0
	v_fma_f64 v[24:25], -v[6:7], v[8:9], 1.0
	v_fmac_f64_e32 v[8:9], v[8:9], v[24:25]
	v_fma_f64 v[24:25], -v[6:7], v[8:9], 1.0
	v_fmac_f64_e32 v[8:9], v[8:9], v[24:25]
	v_mul_f64 v[24:25], v[16:17], v[8:9]
	v_fma_f64 v[6:7], -v[6:7], v[24:25], v[16:17]
	v_div_scale_f64 v[16:17], s[12:13], v[14:15], v[14:15], 0
	v_rcp_f64_e32 v[28:29], v[16:17]
	v_div_fmas_f64 v[6:7], v[6:7], v[8:9], v[24:25]
	v_div_fixup_f64 v[6:7], v[6:7], v[26:27], 1.0
	v_fma_f64 v[8:9], -v[16:17], v[28:29], 1.0
	v_fmac_f64_e32 v[28:29], v[28:29], v[8:9]
	v_fma_f64 v[8:9], -v[16:17], v[28:29], 1.0
	v_fmac_f64_e32 v[28:29], v[28:29], v[8:9]
	v_div_scale_f64 v[8:9], vcc, 0, v[14:15], 0
	v_mul_f64 v[24:25], v[8:9], v[28:29]
	v_fma_f64 v[8:9], -v[16:17], v[24:25], v[8:9]
	s_nop 1
	v_div_fmas_f64 v[8:9], v[8:9], v[28:29], v[24:25]
	v_div_fixup_f64 v[8:9], v[8:9], v[14:15], 0
.LBB164_199:
	s_or_b64 exec, exec, s[2:3]
                                        ; implicit-def: $vgpr16_vgpr17
                                        ; implicit-def: $vgpr24_vgpr25
.LBB164_200:
	s_andn2_saveexec_b64 s[2:3], s[4:5]
	s_cbranch_execz .LBB164_202
; %bb.201:
	v_div_scale_f64 v[6:7], s[4:5], v[16:17], v[16:17], v[24:25]
	v_rcp_f64_e32 v[8:9], v[6:7]
	v_div_scale_f64 v[14:15], vcc, v[24:25], v[16:17], v[24:25]
	v_fma_f64 v[26:27], -v[6:7], v[8:9], 1.0
	v_fmac_f64_e32 v[8:9], v[8:9], v[26:27]
	v_fma_f64 v[26:27], -v[6:7], v[8:9], 1.0
	v_fmac_f64_e32 v[8:9], v[8:9], v[26:27]
	v_mul_f64 v[26:27], v[14:15], v[8:9]
	v_fma_f64 v[6:7], -v[6:7], v[26:27], v[14:15]
	v_div_fmas_f64 v[6:7], v[6:7], v[8:9], v[26:27]
	v_div_fixup_f64 v[8:9], v[6:7], v[16:17], v[24:25]
	v_fmac_f64_e32 v[16:17], v[24:25], v[8:9]
	v_div_scale_f64 v[6:7], s[4:5], v[16:17], v[16:17], 1.0
	v_rcp_f64_e32 v[14:15], v[6:7]
	s_nop 0
	v_fma_f64 v[24:25], -v[6:7], v[14:15], 1.0
	v_fmac_f64_e32 v[14:15], v[14:15], v[24:25]
	v_fma_f64 v[24:25], -v[6:7], v[14:15], 1.0
	v_fmac_f64_e32 v[14:15], v[14:15], v[24:25]
	v_div_scale_f64 v[24:25], vcc, 1.0, v[16:17], 1.0
	v_mul_f64 v[26:27], v[24:25], v[14:15]
	v_fma_f64 v[6:7], -v[6:7], v[26:27], v[24:25]
	s_nop 1
	v_div_fmas_f64 v[6:7], v[6:7], v[14:15], v[26:27]
	v_div_fixup_f64 v[14:15], v[6:7], v[16:17], 1.0
	v_add_f64 v[6:7], v[8:9], 0
	v_fma_f64 v[8:9], v[8:9], 0, -1.0
	v_mul_f64 v[6:7], v[6:7], v[14:15]
	v_mul_f64 v[8:9], v[8:9], v[14:15]
.LBB164_202:
	s_or_b64 exec, exec, s[2:3]
.LBB164_203:
	s_or_b64 exec, exec, s[10:11]
	v_or_b32_e32 v1, 0x100, v0
	v_cmp_gt_i32_e32 vcc, s24, v1
	s_waitcnt vmcnt(0)
	v_mov_b64_e32 v[14:15], 0
	v_mov_b64_e32 v[16:17], 0
	s_and_saveexec_b64 s[10:11], vcc
	s_cbranch_execz .LBB164_243
; %bb.204:
	v_cmp_neq_f64_e32 vcc, 0, v[18:19]
	v_cmp_neq_f64_e64 s[2:3], 0, v[20:21]
	v_mov_b64_e32 v[24:25], 0
	s_or_b64 s[2:3], vcc, s[2:3]
	s_and_saveexec_b64 s[12:13], s[2:3]
	s_cbranch_execz .LBB164_234
; %bb.205:
	v_mov_b32_e32 v24, 0
	v_mov_b32_e32 v25, 0x7ff00000
	v_cmp_neq_f64_e64 s[2:3], |v[20:21]|, v[24:25]
	s_and_saveexec_b64 s[14:15], s[2:3]
	s_cbranch_execz .LBB164_233
; %bb.206:
	v_cmp_o_f64_e32 vcc, v[18:19], v[18:19]
                                        ; implicit-def: $vgpr24_vgpr25
	s_and_saveexec_b64 s[2:3], vcc
	s_xor_b64 s[16:17], exec, s[2:3]
	s_cbranch_execz .LBB164_230
; %bb.207:
	s_mov_b32 s2, 0
	s_mov_b32 s3, 0x7ff00000
	v_cmp_neq_f64_e64 s[2:3], |v[18:19]|, s[2:3]
                                        ; implicit-def: $vgpr24_vgpr25
	s_and_saveexec_b64 s[4:5], s[2:3]
	s_xor_b64 s[18:19], exec, s[4:5]
	s_cbranch_execz .LBB164_223
; %bb.208:
	v_max_f64 v[14:15], |v[20:21]|, |v[20:21]|
	v_max_f64 v[16:17], |v[18:19]|, |v[18:19]|
	s_mov_b32 s2, 0x99fcef32
	v_max_f64 v[14:15], v[16:17], v[14:15]
	s_mov_b32 s3, 0x7fda8279
	v_cmp_nle_f64_e64 s[2:3], s[2:3], v[14:15]
                                        ; implicit-def: $sgpr20_sgpr21
	s_and_saveexec_b64 s[4:5], s[2:3]
	s_xor_b64 s[4:5], exec, s[4:5]
	s_cbranch_execz .LBB164_212
; %bb.209:
	s_mov_b32 s20, 0
	s_mov_b32 s21, 0x200000
	v_cmp_le_f64_e64 s[22:23], |v[18:19]|, s[20:21]
	v_cmp_le_f64_e64 s[20:21], |v[20:21]|, s[20:21]
	s_and_b64 s[26:27], s[22:23], s[20:21]
	s_mov_b64 s[20:21], 0
	s_and_saveexec_b64 s[22:23], s[26:27]
; %bb.210:
	s_mov_b64 s[20:21], exec
	v_mul_f64 v[18:19], v[18:19], 4.0
	v_mul_f64 v[20:21], v[20:21], 4.0
; %bb.211:
	s_or_b64 exec, exec, s[22:23]
.LBB164_212:
	s_andn2_saveexec_b64 s[4:5], s[4:5]
; %bb.213:
	v_ldexp_f64 v[18:19], v[18:19], -2
	v_ldexp_f64 v[20:21], v[20:21], -2
	s_andn2_b64 s[20:21], s[20:21], exec
; %bb.214:
	s_or_b64 exec, exec, s[4:5]
	v_max_f64 v[14:15], |v[20:21]|, |v[20:21]|
	v_max_f64 v[16:17], |v[18:19]|, |v[18:19]|
	v_max_f64 v[14:15], v[16:17], v[14:15]
	v_frexp_exp_i32_f64_e32 v23, v[14:15]
	v_sub_u32_e32 v16, 0, v23
	v_ldexp_f64 v[14:15], |v[18:19]|, v16
	v_ldexp_f64 v[16:17], |v[20:21]|, v16
	v_mul_f64 v[16:17], v[16:17], v[16:17]
	v_fmac_f64_e32 v[16:17], v[14:15], v[14:15]
	v_rsq_f64_e32 v[14:15], v[16:17]
	v_cmp_eq_f64_e64 s[4:5], 0, v[16:17]
	s_movk_i32 s7, 0x204
	v_cmp_class_f64_e64 s[22:23], v[20:21], s7
	v_mul_f64 v[24:25], v[16:17], v[14:15]
	v_mul_f64 v[14:15], v[14:15], 0.5
	v_fma_f64 v[26:27], -v[14:15], v[24:25], 0.5
	v_fmac_f64_e32 v[24:25], v[24:25], v[26:27]
	v_fmac_f64_e32 v[14:15], v[14:15], v[26:27]
	v_fma_f64 v[26:27], -v[24:25], v[24:25], v[16:17]
	v_fmac_f64_e32 v[24:25], v[26:27], v[14:15]
	v_cndmask_b32_e64 v15, v25, v17, s[4:5]
	v_cndmask_b32_e64 v14, v24, v16, s[4:5]
	v_ldexp_f64 v[14:15], v[14:15], v23
	v_cmp_o_f64_e64 s[4:5], v[20:21], v[20:21]
	v_mov_b32_e32 v16, 0x7ff80000
	v_cmp_le_f64_e32 vcc, 0, v[18:19]
	v_cndmask_b32_e64 v14, 0, v14, s[4:5]
	v_cndmask_b32_e64 v15, v16, v15, s[4:5]
	v_cmp_class_f64_e64 s[4:5], v[18:19], s7
	v_mov_b32_e32 v16, 0x7ff00000
	s_or_b64 s[4:5], s[22:23], s[4:5]
	v_cndmask_b32_e64 v25, v15, v16, s[4:5]
	v_cndmask_b32_e64 v24, v14, 0, s[4:5]
                                        ; implicit-def: $vgpr14_vgpr15
                                        ; implicit-def: $vgpr16_vgpr17
	s_and_saveexec_b64 s[4:5], vcc
	s_xor_b64 s[4:5], exec, s[4:5]
	s_cbranch_execz .LBB164_216
; %bb.215:
	v_add_f64 v[14:15], v[18:19], v[24:25]
	s_mov_b32 s22, 0
	v_mul_f64 v[14:15], v[14:15], 0.5
	s_brev_b32 s23, 8
	v_mov_b32_e32 v16, 0x100
	v_cmp_gt_f64_e32 vcc, s[22:23], v[14:15]
	s_nop 1
	v_cndmask_b32_e32 v16, 0, v16, vcc
	v_ldexp_f64 v[14:15], v[14:15], v16
	v_rsq_f64_e32 v[16:17], v[14:15]
	s_nop 0
	v_mul_f64 v[18:19], v[14:15], v[16:17]
	v_mul_f64 v[16:17], v[16:17], 0.5
	v_fma_f64 v[24:25], -v[16:17], v[18:19], 0.5
	v_fmac_f64_e32 v[18:19], v[18:19], v[24:25]
	v_fma_f64 v[26:27], -v[18:19], v[18:19], v[14:15]
	v_fmac_f64_e32 v[16:17], v[16:17], v[24:25]
	v_fmac_f64_e32 v[18:19], v[26:27], v[16:17]
	v_fma_f64 v[24:25], -v[18:19], v[18:19], v[14:15]
	v_fmac_f64_e32 v[18:19], v[24:25], v[16:17]
	v_mov_b32_e32 v16, 0xffffff80
	v_cndmask_b32_e32 v16, 0, v16, vcc
	v_ldexp_f64 v[16:17], v[18:19], v16
	v_mov_b32_e32 v18, 0x260
	v_cmp_class_f64_e32 vcc, v[14:15], v18
	s_nop 1
	v_cndmask_b32_e32 v17, v17, v15, vcc
	v_cndmask_b32_e32 v16, v16, v14, vcc
	v_add_f64 v[14:15], v[16:17], v[16:17]
	v_div_scale_f64 v[18:19], s[22:23], v[14:15], v[14:15], v[20:21]
	v_rcp_f64_e32 v[24:25], v[18:19]
	s_nop 0
	v_fma_f64 v[26:27], -v[18:19], v[24:25], 1.0
	v_fmac_f64_e32 v[24:25], v[24:25], v[26:27]
	v_fma_f64 v[26:27], -v[18:19], v[24:25], 1.0
	v_fmac_f64_e32 v[24:25], v[24:25], v[26:27]
	v_div_scale_f64 v[26:27], vcc, v[20:21], v[14:15], v[20:21]
	v_mul_f64 v[28:29], v[26:27], v[24:25]
	v_fma_f64 v[18:19], -v[18:19], v[28:29], v[26:27]
	s_nop 1
	v_div_fmas_f64 v[18:19], v[18:19], v[24:25], v[28:29]
	v_div_fixup_f64 v[14:15], v[18:19], v[14:15], v[20:21]
                                        ; implicit-def: $vgpr24_vgpr25
                                        ; implicit-def: $vgpr18_vgpr19
	s_andn2_saveexec_b64 s[4:5], s[4:5]
	s_cbranch_execz .LBB164_218
	s_branch .LBB164_217
.LBB164_216:
	s_andn2_saveexec_b64 s[4:5], s[4:5]
	s_cbranch_execz .LBB164_218
.LBB164_217:
	v_add_f64 v[14:15], v[24:25], -v[18:19]
	s_mov_b32 s22, 0
	v_mul_f64 v[14:15], v[14:15], 0.5
	s_brev_b32 s23, 8
	v_mov_b32_e32 v16, 0x100
	v_cmp_gt_f64_e32 vcc, s[22:23], v[14:15]
	s_brev_b32 s7, -2
	s_nop 0
	v_cndmask_b32_e32 v16, 0, v16, vcc
	v_ldexp_f64 v[14:15], v[14:15], v16
	v_rsq_f64_e32 v[16:17], v[14:15]
	s_nop 0
	v_mul_f64 v[18:19], v[14:15], v[16:17]
	v_mul_f64 v[16:17], v[16:17], 0.5
	v_fma_f64 v[24:25], -v[16:17], v[18:19], 0.5
	v_fmac_f64_e32 v[18:19], v[18:19], v[24:25]
	v_fma_f64 v[26:27], -v[18:19], v[18:19], v[14:15]
	v_fmac_f64_e32 v[16:17], v[16:17], v[24:25]
	v_fmac_f64_e32 v[18:19], v[26:27], v[16:17]
	v_fma_f64 v[24:25], -v[18:19], v[18:19], v[14:15]
	v_fmac_f64_e32 v[18:19], v[24:25], v[16:17]
	v_mov_b32_e32 v16, 0xffffff80
	v_cndmask_b32_e32 v16, 0, v16, vcc
	v_ldexp_f64 v[16:17], v[18:19], v16
	v_mov_b32_e32 v18, 0x260
	v_cmp_class_f64_e32 vcc, v[14:15], v18
	v_and_b32_e32 v19, 0x7fffffff, v21
	v_mov_b32_e32 v18, v20
	v_cndmask_b32_e32 v15, v17, v15, vcc
	v_cndmask_b32_e32 v14, v16, v14, vcc
	v_add_f64 v[16:17], v[14:15], v[14:15]
	v_div_scale_f64 v[24:25], s[22:23], v[16:17], v[16:17], v[18:19]
	v_rcp_f64_e32 v[26:27], v[24:25]
	v_div_scale_f64 v[18:19], vcc, v[18:19], v[16:17], v[18:19]
	v_bfi_b32 v15, s7, v15, v21
	v_fma_f64 v[28:29], -v[24:25], v[26:27], 1.0
	v_fmac_f64_e32 v[26:27], v[26:27], v[28:29]
	v_fma_f64 v[28:29], -v[24:25], v[26:27], 1.0
	v_fmac_f64_e32 v[26:27], v[26:27], v[28:29]
	v_mul_f64 v[28:29], v[18:19], v[26:27]
	v_fma_f64 v[18:19], -v[24:25], v[28:29], v[18:19]
	v_div_fmas_f64 v[18:19], v[18:19], v[26:27], v[28:29]
	v_div_fixup_f64 v[16:17], v[18:19], v[16:17], |v[20:21]|
.LBB164_218:
	s_or_b64 exec, exec, s[4:5]
                                        ; implicit-def: $vgpr20_vgpr21
                                        ; implicit-def: $vgpr24_vgpr25
	s_and_saveexec_b64 s[4:5], s[2:3]
	s_xor_b64 s[2:3], exec, s[4:5]
	s_cbranch_execz .LBB164_220
; %bb.219:
	v_mul_f64 v[18:19], v[16:17], 0.5
	v_mul_f64 v[20:21], v[14:15], 0.5
	v_cndmask_b32_e64 v25, v17, v19, s[20:21]
	v_cndmask_b32_e64 v24, v16, v18, s[20:21]
	;; [unrolled: 1-line block ×4, first 2 shown]
                                        ; implicit-def: $vgpr16_vgpr17
                                        ; implicit-def: $vgpr14_vgpr15
	s_andn2_saveexec_b64 s[2:3], s[2:3]
	s_cbranch_execnz .LBB164_221
	s_branch .LBB164_222
.LBB164_220:
	s_andn2_saveexec_b64 s[2:3], s[2:3]
.LBB164_221:
	v_add_f64 v[24:25], v[16:17], v[16:17]
	v_add_f64 v[20:21], v[14:15], v[14:15]
.LBB164_222:
	s_or_b64 exec, exec, s[2:3]
.LBB164_223:
	s_andn2_saveexec_b64 s[2:3], s[18:19]
	s_cbranch_execz .LBB164_229
; %bb.224:
	v_add_f64 v[14:15], v[20:21], -v[20:21]
	v_cmp_lt_i64_e32 vcc, -1, v[18:19]
	s_brev_b32 s7, -2
	v_and_b32_e32 v25, 0x7fffffff, v15
	v_mov_b32_e32 v24, v14
	s_and_saveexec_b64 s[4:5], vcc
	s_xor_b64 s[4:5], exec, s[4:5]
; %bb.225:
	v_bfi_b32 v15, s7, v15, v21
	v_mov_b64_e32 v[20:21], v[14:15]
	v_mov_b64_e32 v[24:25], v[18:19]
; %bb.226:
	s_andn2_saveexec_b64 s[4:5], s[4:5]
; %bb.227:
	v_bfi_b32 v19, s7, v19, v21
	v_mov_b64_e32 v[20:21], v[18:19]
; %bb.228:
	s_or_b64 exec, exec, s[4:5]
.LBB164_229:
	s_or_b64 exec, exec, s[2:3]
.LBB164_230:
	s_andn2_saveexec_b64 s[2:3], s[16:17]
	s_cbranch_execz .LBB164_232
; %bb.231:
	v_add_f64 v[14:15], v[20:21], -v[20:21]
	v_div_scale_f64 v[16:17], vcc, v[14:15], v[14:15], v[14:15]
	v_rcp_f64_e32 v[20:21], v[16:17]
	s_nop 0
	v_fma_f64 v[24:25], -v[16:17], v[20:21], 1.0
	v_fmac_f64_e32 v[20:21], v[20:21], v[24:25]
	v_fma_f64 v[24:25], -v[16:17], v[20:21], 1.0
	v_fmac_f64_e32 v[20:21], v[20:21], v[24:25]
	v_mul_f64 v[24:25], v[16:17], v[20:21]
	v_fma_f64 v[16:17], -v[16:17], v[24:25], v[16:17]
	v_div_fmas_f64 v[16:17], v[16:17], v[20:21], v[24:25]
	v_div_fixup_f64 v[20:21], v[16:17], v[14:15], v[14:15]
	v_mov_b64_e32 v[24:25], v[18:19]
.LBB164_232:
	s_or_b64 exec, exec, s[2:3]
.LBB164_233:
	s_or_b64 exec, exec, s[14:15]
.LBB164_234:
	s_or_b64 exec, exec, s[12:13]
	v_xor_b32_e32 v14, 0x80000000, v25
	v_cmp_gt_f64_e32 vcc, 0, v[24:25]
	v_mov_b32_e32 v26, v24
	v_mov_b32_e32 v18, v20
	v_cndmask_b32_e32 v27, v25, v14, vcc
	v_xor_b32_e32 v14, 0x80000000, v21
	v_cmp_gt_f64_e32 vcc, 0, v[20:21]
	s_nop 1
	v_cndmask_b32_e32 v19, v21, v14, vcc
	v_cmp_ge_f64_e32 vcc, v[26:27], v[18:19]
                                        ; implicit-def: $vgpr14_vgpr15
	s_and_saveexec_b64 s[2:3], vcc
	s_xor_b64 s[4:5], exec, s[2:3]
	s_cbranch_execz .LBB164_240
; %bb.235:
	v_cmp_neq_f64_e32 vcc, 0, v[24:25]
	v_cmp_neq_f64_e64 s[2:3], 0, v[20:21]
	s_or_b64 s[2:3], vcc, s[2:3]
                                        ; implicit-def: $vgpr14_vgpr15
	s_and_saveexec_b64 s[12:13], s[2:3]
	s_xor_b64 s[2:3], exec, s[12:13]
	s_cbranch_execz .LBB164_237
; %bb.236:
	v_div_scale_f64 v[14:15], s[12:13], v[24:25], v[24:25], v[20:21]
	v_rcp_f64_e32 v[16:17], v[14:15]
	v_div_scale_f64 v[18:19], vcc, v[20:21], v[24:25], v[20:21]
	v_fma_f64 v[26:27], -v[14:15], v[16:17], 1.0
	v_fmac_f64_e32 v[16:17], v[16:17], v[26:27]
	v_fma_f64 v[26:27], -v[14:15], v[16:17], 1.0
	v_fmac_f64_e32 v[16:17], v[16:17], v[26:27]
	v_mul_f64 v[26:27], v[18:19], v[16:17]
	v_fma_f64 v[14:15], -v[14:15], v[26:27], v[18:19]
	v_div_fmas_f64 v[14:15], v[14:15], v[16:17], v[26:27]
	v_div_fixup_f64 v[16:17], v[14:15], v[24:25], v[20:21]
	v_fmac_f64_e32 v[24:25], v[20:21], v[16:17]
	v_div_scale_f64 v[14:15], s[12:13], v[24:25], v[24:25], 1.0
	v_rcp_f64_e32 v[18:19], v[14:15]
	s_nop 0
	v_fma_f64 v[20:21], -v[14:15], v[18:19], 1.0
	v_fmac_f64_e32 v[18:19], v[18:19], v[20:21]
	v_fma_f64 v[20:21], -v[14:15], v[18:19], 1.0
	v_fmac_f64_e32 v[18:19], v[18:19], v[20:21]
	v_div_scale_f64 v[20:21], vcc, 1.0, v[24:25], 1.0
	v_mul_f64 v[26:27], v[20:21], v[18:19]
	v_fma_f64 v[14:15], -v[14:15], v[26:27], v[20:21]
	s_nop 1
	v_div_fmas_f64 v[14:15], v[14:15], v[18:19], v[26:27]
	v_div_fixup_f64 v[18:19], v[14:15], v[24:25], 1.0
	v_fma_f64 v[14:15], v[16:17], 0, 1.0
	v_add_f64 v[16:17], -v[16:17], 0
	v_mul_f64 v[14:15], v[14:15], v[18:19]
	v_mul_f64 v[16:17], v[16:17], v[18:19]
                                        ; implicit-def: $vgpr26_vgpr27
                                        ; implicit-def: $vgpr18_vgpr19
.LBB164_237:
	s_andn2_saveexec_b64 s[2:3], s[2:3]
	s_cbranch_execz .LBB164_239
; %bb.238:
	v_div_scale_f64 v[14:15], s[12:13], v[26:27], v[26:27], 1.0
	v_rcp_f64_e32 v[16:17], v[14:15]
	v_div_scale_f64 v[20:21], vcc, 1.0, v[26:27], 1.0
	v_fma_f64 v[24:25], -v[14:15], v[16:17], 1.0
	v_fmac_f64_e32 v[16:17], v[16:17], v[24:25]
	v_fma_f64 v[24:25], -v[14:15], v[16:17], 1.0
	v_fmac_f64_e32 v[16:17], v[16:17], v[24:25]
	v_mul_f64 v[24:25], v[20:21], v[16:17]
	v_fma_f64 v[14:15], -v[14:15], v[24:25], v[20:21]
	v_div_scale_f64 v[20:21], s[12:13], v[18:19], v[18:19], 0
	v_rcp_f64_e32 v[28:29], v[20:21]
	v_div_fmas_f64 v[14:15], v[14:15], v[16:17], v[24:25]
	v_div_fixup_f64 v[14:15], v[14:15], v[26:27], 1.0
	v_fma_f64 v[16:17], -v[20:21], v[28:29], 1.0
	v_fmac_f64_e32 v[28:29], v[28:29], v[16:17]
	v_fma_f64 v[16:17], -v[20:21], v[28:29], 1.0
	v_fmac_f64_e32 v[28:29], v[28:29], v[16:17]
	v_div_scale_f64 v[16:17], vcc, 0, v[18:19], 0
	v_mul_f64 v[24:25], v[16:17], v[28:29]
	v_fma_f64 v[16:17], -v[20:21], v[24:25], v[16:17]
	s_nop 1
	v_div_fmas_f64 v[16:17], v[16:17], v[28:29], v[24:25]
	v_div_fixup_f64 v[16:17], v[16:17], v[18:19], 0
.LBB164_239:
	s_or_b64 exec, exec, s[2:3]
                                        ; implicit-def: $vgpr20_vgpr21
                                        ; implicit-def: $vgpr24_vgpr25
.LBB164_240:
	s_andn2_saveexec_b64 s[2:3], s[4:5]
	s_cbranch_execz .LBB164_242
; %bb.241:
	v_div_scale_f64 v[14:15], s[4:5], v[20:21], v[20:21], v[24:25]
	v_rcp_f64_e32 v[16:17], v[14:15]
	v_div_scale_f64 v[18:19], vcc, v[24:25], v[20:21], v[24:25]
	v_fma_f64 v[26:27], -v[14:15], v[16:17], 1.0
	v_fmac_f64_e32 v[16:17], v[16:17], v[26:27]
	v_fma_f64 v[26:27], -v[14:15], v[16:17], 1.0
	v_fmac_f64_e32 v[16:17], v[16:17], v[26:27]
	v_mul_f64 v[26:27], v[18:19], v[16:17]
	v_fma_f64 v[14:15], -v[14:15], v[26:27], v[18:19]
	v_div_fmas_f64 v[14:15], v[14:15], v[16:17], v[26:27]
	v_div_fixup_f64 v[16:17], v[14:15], v[20:21], v[24:25]
	v_fmac_f64_e32 v[20:21], v[24:25], v[16:17]
	v_div_scale_f64 v[14:15], s[4:5], v[20:21], v[20:21], 1.0
	v_rcp_f64_e32 v[18:19], v[14:15]
	s_nop 0
	v_fma_f64 v[24:25], -v[14:15], v[18:19], 1.0
	v_fmac_f64_e32 v[18:19], v[18:19], v[24:25]
	v_fma_f64 v[24:25], -v[14:15], v[18:19], 1.0
	v_fmac_f64_e32 v[18:19], v[18:19], v[24:25]
	v_div_scale_f64 v[24:25], vcc, 1.0, v[20:21], 1.0
	v_mul_f64 v[26:27], v[24:25], v[18:19]
	v_fma_f64 v[14:15], -v[14:15], v[26:27], v[24:25]
	s_nop 1
	v_div_fmas_f64 v[14:15], v[14:15], v[18:19], v[26:27]
	v_div_fixup_f64 v[18:19], v[14:15], v[20:21], 1.0
	v_add_f64 v[14:15], v[16:17], 0
	v_fma_f64 v[16:17], v[16:17], 0, -1.0
	v_mul_f64 v[14:15], v[14:15], v[18:19]
	v_mul_f64 v[16:17], v[16:17], v[18:19]
.LBB164_242:
	s_or_b64 exec, exec, s[2:3]
.LBB164_243:
	s_or_b64 exec, exec, s[10:11]
	v_or_b32_e32 v18, 0x200, v0
	v_cmp_gt_i32_e32 vcc, s24, v18
	v_mov_b64_e32 v[18:19], 0
	v_mov_b64_e32 v[20:21], 0
	s_and_saveexec_b64 s[10:11], vcc
	s_cbranch_execz .LBB164_283
; %bb.244:
	v_cmp_neq_f64_e32 vcc, 0, v[10:11]
	v_cmp_neq_f64_e64 s[2:3], 0, v[12:13]
	v_mov_b64_e32 v[24:25], 0
	s_or_b64 s[2:3], vcc, s[2:3]
	s_and_saveexec_b64 s[12:13], s[2:3]
	s_cbranch_execz .LBB164_274
; %bb.245:
	v_mov_b32_e32 v24, 0
	v_mov_b32_e32 v25, 0x7ff00000
	v_cmp_neq_f64_e64 s[2:3], |v[12:13]|, v[24:25]
	s_and_saveexec_b64 s[14:15], s[2:3]
	s_cbranch_execz .LBB164_273
; %bb.246:
	v_cmp_o_f64_e32 vcc, v[10:11], v[10:11]
                                        ; implicit-def: $vgpr24_vgpr25
	s_and_saveexec_b64 s[2:3], vcc
	s_xor_b64 s[16:17], exec, s[2:3]
	s_cbranch_execz .LBB164_270
; %bb.247:
	s_mov_b32 s2, 0
	s_mov_b32 s3, 0x7ff00000
	v_cmp_neq_f64_e64 s[2:3], |v[10:11]|, s[2:3]
                                        ; implicit-def: $vgpr24_vgpr25
	s_and_saveexec_b64 s[4:5], s[2:3]
	s_xor_b64 s[18:19], exec, s[4:5]
	s_cbranch_execz .LBB164_263
; %bb.248:
	v_max_f64 v[18:19], |v[12:13]|, |v[12:13]|
	v_max_f64 v[20:21], |v[10:11]|, |v[10:11]|
	s_mov_b32 s2, 0x99fcef32
	v_max_f64 v[18:19], v[20:21], v[18:19]
	s_mov_b32 s3, 0x7fda8279
	v_cmp_nle_f64_e64 s[2:3], s[2:3], v[18:19]
                                        ; implicit-def: $sgpr20_sgpr21
	s_and_saveexec_b64 s[4:5], s[2:3]
	s_xor_b64 s[4:5], exec, s[4:5]
	s_cbranch_execz .LBB164_252
; %bb.249:
	s_mov_b32 s20, 0
	s_mov_b32 s21, 0x200000
	v_cmp_le_f64_e64 s[22:23], |v[10:11]|, s[20:21]
	v_cmp_le_f64_e64 s[20:21], |v[12:13]|, s[20:21]
	s_and_b64 s[26:27], s[22:23], s[20:21]
	s_mov_b64 s[20:21], 0
	s_and_saveexec_b64 s[22:23], s[26:27]
; %bb.250:
	s_mov_b64 s[20:21], exec
	v_mul_f64 v[10:11], v[10:11], 4.0
	v_mul_f64 v[12:13], v[12:13], 4.0
; %bb.251:
	s_or_b64 exec, exec, s[22:23]
.LBB164_252:
	s_andn2_saveexec_b64 s[4:5], s[4:5]
; %bb.253:
	v_ldexp_f64 v[10:11], v[10:11], -2
	v_ldexp_f64 v[12:13], v[12:13], -2
	s_andn2_b64 s[20:21], s[20:21], exec
; %bb.254:
	s_or_b64 exec, exec, s[4:5]
	v_max_f64 v[18:19], |v[12:13]|, |v[12:13]|
	v_max_f64 v[20:21], |v[10:11]|, |v[10:11]|
	v_max_f64 v[18:19], v[20:21], v[18:19]
	v_frexp_exp_i32_f64_e32 v23, v[18:19]
	v_sub_u32_e32 v20, 0, v23
	v_ldexp_f64 v[18:19], |v[10:11]|, v20
	v_ldexp_f64 v[20:21], |v[12:13]|, v20
	v_mul_f64 v[20:21], v[20:21], v[20:21]
	v_fmac_f64_e32 v[20:21], v[18:19], v[18:19]
	v_rsq_f64_e32 v[18:19], v[20:21]
	v_cmp_eq_f64_e64 s[4:5], 0, v[20:21]
	s_movk_i32 s7, 0x204
	v_cmp_class_f64_e64 s[22:23], v[12:13], s7
	v_mul_f64 v[24:25], v[20:21], v[18:19]
	v_mul_f64 v[18:19], v[18:19], 0.5
	v_fma_f64 v[26:27], -v[18:19], v[24:25], 0.5
	v_fmac_f64_e32 v[24:25], v[24:25], v[26:27]
	v_fmac_f64_e32 v[18:19], v[18:19], v[26:27]
	v_fma_f64 v[26:27], -v[24:25], v[24:25], v[20:21]
	v_fmac_f64_e32 v[24:25], v[26:27], v[18:19]
	v_cndmask_b32_e64 v19, v25, v21, s[4:5]
	v_cndmask_b32_e64 v18, v24, v20, s[4:5]
	v_ldexp_f64 v[18:19], v[18:19], v23
	v_cmp_o_f64_e64 s[4:5], v[12:13], v[12:13]
	v_mov_b32_e32 v20, 0x7ff80000
	v_cmp_le_f64_e32 vcc, 0, v[10:11]
	v_cndmask_b32_e64 v18, 0, v18, s[4:5]
	v_cndmask_b32_e64 v19, v20, v19, s[4:5]
	v_cmp_class_f64_e64 s[4:5], v[10:11], s7
	v_mov_b32_e32 v20, 0x7ff00000
	s_or_b64 s[4:5], s[22:23], s[4:5]
	v_cndmask_b32_e64 v25, v19, v20, s[4:5]
	v_cndmask_b32_e64 v24, v18, 0, s[4:5]
                                        ; implicit-def: $vgpr18_vgpr19
                                        ; implicit-def: $vgpr20_vgpr21
	s_and_saveexec_b64 s[4:5], vcc
	s_xor_b64 s[4:5], exec, s[4:5]
	s_cbranch_execz .LBB164_256
; %bb.255:
	v_add_f64 v[10:11], v[10:11], v[24:25]
	s_mov_b32 s22, 0
	v_mul_f64 v[10:11], v[10:11], 0.5
	s_brev_b32 s23, 8
	v_mov_b32_e32 v18, 0x100
	v_cmp_gt_f64_e32 vcc, s[22:23], v[10:11]
	s_nop 1
	v_cndmask_b32_e32 v18, 0, v18, vcc
	v_ldexp_f64 v[10:11], v[10:11], v18
	v_rsq_f64_e32 v[18:19], v[10:11]
	s_nop 0
	v_mul_f64 v[20:21], v[10:11], v[18:19]
	v_mul_f64 v[18:19], v[18:19], 0.5
	v_fma_f64 v[24:25], -v[18:19], v[20:21], 0.5
	v_fmac_f64_e32 v[20:21], v[20:21], v[24:25]
	v_fma_f64 v[26:27], -v[20:21], v[20:21], v[10:11]
	v_fmac_f64_e32 v[18:19], v[18:19], v[24:25]
	v_fmac_f64_e32 v[20:21], v[26:27], v[18:19]
	v_fma_f64 v[24:25], -v[20:21], v[20:21], v[10:11]
	v_fmac_f64_e32 v[20:21], v[24:25], v[18:19]
	v_mov_b32_e32 v18, 0xffffff80
	v_cndmask_b32_e32 v18, 0, v18, vcc
	v_ldexp_f64 v[18:19], v[20:21], v18
	v_mov_b32_e32 v20, 0x260
	v_cmp_class_f64_e32 vcc, v[10:11], v20
	s_nop 1
	v_cndmask_b32_e32 v21, v19, v11, vcc
	v_cndmask_b32_e32 v20, v18, v10, vcc
	v_add_f64 v[10:11], v[20:21], v[20:21]
	v_div_scale_f64 v[18:19], s[22:23], v[10:11], v[10:11], v[12:13]
	v_rcp_f64_e32 v[24:25], v[18:19]
	s_nop 0
	v_fma_f64 v[26:27], -v[18:19], v[24:25], 1.0
	v_fmac_f64_e32 v[24:25], v[24:25], v[26:27]
	v_fma_f64 v[26:27], -v[18:19], v[24:25], 1.0
	v_fmac_f64_e32 v[24:25], v[24:25], v[26:27]
	v_div_scale_f64 v[26:27], vcc, v[12:13], v[10:11], v[12:13]
	v_mul_f64 v[28:29], v[26:27], v[24:25]
	v_fma_f64 v[18:19], -v[18:19], v[28:29], v[26:27]
	s_nop 1
	v_div_fmas_f64 v[18:19], v[18:19], v[24:25], v[28:29]
	v_div_fixup_f64 v[18:19], v[18:19], v[10:11], v[12:13]
                                        ; implicit-def: $vgpr24_vgpr25
                                        ; implicit-def: $vgpr10_vgpr11
	s_andn2_saveexec_b64 s[4:5], s[4:5]
	s_cbranch_execz .LBB164_258
	s_branch .LBB164_257
.LBB164_256:
	s_andn2_saveexec_b64 s[4:5], s[4:5]
	s_cbranch_execz .LBB164_258
.LBB164_257:
	v_add_f64 v[10:11], v[24:25], -v[10:11]
	s_mov_b32 s22, 0
	v_mul_f64 v[10:11], v[10:11], 0.5
	s_brev_b32 s23, 8
	v_mov_b32_e32 v18, 0x100
	v_cmp_gt_f64_e32 vcc, s[22:23], v[10:11]
	s_brev_b32 s7, -2
	s_nop 0
	v_cndmask_b32_e32 v18, 0, v18, vcc
	v_ldexp_f64 v[10:11], v[10:11], v18
	v_rsq_f64_e32 v[18:19], v[10:11]
	s_nop 0
	v_mul_f64 v[20:21], v[10:11], v[18:19]
	v_mul_f64 v[18:19], v[18:19], 0.5
	v_fma_f64 v[24:25], -v[18:19], v[20:21], 0.5
	v_fmac_f64_e32 v[20:21], v[20:21], v[24:25]
	v_fma_f64 v[26:27], -v[20:21], v[20:21], v[10:11]
	v_fmac_f64_e32 v[18:19], v[18:19], v[24:25]
	v_fmac_f64_e32 v[20:21], v[26:27], v[18:19]
	v_fma_f64 v[24:25], -v[20:21], v[20:21], v[10:11]
	v_fmac_f64_e32 v[20:21], v[24:25], v[18:19]
	v_mov_b32_e32 v18, 0xffffff80
	v_cndmask_b32_e32 v18, 0, v18, vcc
	v_ldexp_f64 v[18:19], v[20:21], v18
	v_mov_b32_e32 v20, 0x260
	v_cmp_class_f64_e32 vcc, v[10:11], v20
	v_and_b32_e32 v21, 0x7fffffff, v13
	v_mov_b32_e32 v20, v12
	v_cndmask_b32_e32 v19, v19, v11, vcc
	v_cndmask_b32_e32 v18, v18, v10, vcc
	v_add_f64 v[10:11], v[18:19], v[18:19]
	v_div_scale_f64 v[24:25], s[22:23], v[10:11], v[10:11], v[20:21]
	v_rcp_f64_e32 v[26:27], v[24:25]
	v_div_scale_f64 v[20:21], vcc, v[20:21], v[10:11], v[20:21]
	v_bfi_b32 v19, s7, v19, v13
	v_fma_f64 v[28:29], -v[24:25], v[26:27], 1.0
	v_fmac_f64_e32 v[26:27], v[26:27], v[28:29]
	v_fma_f64 v[28:29], -v[24:25], v[26:27], 1.0
	v_fmac_f64_e32 v[26:27], v[26:27], v[28:29]
	v_mul_f64 v[28:29], v[20:21], v[26:27]
	v_fma_f64 v[20:21], -v[24:25], v[28:29], v[20:21]
	v_div_fmas_f64 v[20:21], v[20:21], v[26:27], v[28:29]
	v_div_fixup_f64 v[20:21], v[20:21], v[10:11], |v[12:13]|
.LBB164_258:
	s_or_b64 exec, exec, s[4:5]
                                        ; implicit-def: $vgpr12_vgpr13
                                        ; implicit-def: $vgpr24_vgpr25
	s_and_saveexec_b64 s[4:5], s[2:3]
	s_xor_b64 s[2:3], exec, s[4:5]
	s_cbranch_execz .LBB164_260
; %bb.259:
	v_mul_f64 v[10:11], v[20:21], 0.5
	v_mul_f64 v[12:13], v[18:19], 0.5
	v_cndmask_b32_e64 v25, v21, v11, s[20:21]
	v_cndmask_b32_e64 v24, v20, v10, s[20:21]
	;; [unrolled: 1-line block ×4, first 2 shown]
                                        ; implicit-def: $vgpr20_vgpr21
                                        ; implicit-def: $vgpr18_vgpr19
	s_andn2_saveexec_b64 s[2:3], s[2:3]
	s_cbranch_execnz .LBB164_261
	s_branch .LBB164_262
.LBB164_260:
	s_andn2_saveexec_b64 s[2:3], s[2:3]
.LBB164_261:
	v_add_f64 v[24:25], v[20:21], v[20:21]
	v_add_f64 v[12:13], v[18:19], v[18:19]
.LBB164_262:
	s_or_b64 exec, exec, s[2:3]
.LBB164_263:
	s_andn2_saveexec_b64 s[2:3], s[18:19]
	s_cbranch_execz .LBB164_269
; %bb.264:
	v_add_f64 v[18:19], v[12:13], -v[12:13]
	v_cmp_lt_i64_e32 vcc, -1, v[10:11]
	s_brev_b32 s7, -2
	v_and_b32_e32 v25, 0x7fffffff, v19
	v_mov_b32_e32 v24, v18
	s_and_saveexec_b64 s[4:5], vcc
	s_xor_b64 s[4:5], exec, s[4:5]
; %bb.265:
	v_bfi_b32 v19, s7, v19, v13
	v_mov_b64_e32 v[12:13], v[18:19]
	v_mov_b64_e32 v[24:25], v[10:11]
; %bb.266:
	s_andn2_saveexec_b64 s[4:5], s[4:5]
; %bb.267:
	v_bfi_b32 v11, s7, v11, v13
	v_mov_b64_e32 v[12:13], v[10:11]
; %bb.268:
	s_or_b64 exec, exec, s[4:5]
.LBB164_269:
	s_or_b64 exec, exec, s[2:3]
.LBB164_270:
	s_andn2_saveexec_b64 s[2:3], s[16:17]
	s_cbranch_execz .LBB164_272
; %bb.271:
	v_add_f64 v[12:13], v[12:13], -v[12:13]
	v_div_scale_f64 v[18:19], vcc, v[12:13], v[12:13], v[12:13]
	v_rcp_f64_e32 v[20:21], v[18:19]
	s_nop 0
	v_fma_f64 v[24:25], -v[18:19], v[20:21], 1.0
	v_fmac_f64_e32 v[20:21], v[20:21], v[24:25]
	v_fma_f64 v[24:25], -v[18:19], v[20:21], 1.0
	v_fmac_f64_e32 v[20:21], v[20:21], v[24:25]
	v_mul_f64 v[24:25], v[18:19], v[20:21]
	v_fma_f64 v[18:19], -v[18:19], v[24:25], v[18:19]
	v_div_fmas_f64 v[18:19], v[18:19], v[20:21], v[24:25]
	v_div_fixup_f64 v[12:13], v[18:19], v[12:13], v[12:13]
	v_mov_b64_e32 v[24:25], v[10:11]
.LBB164_272:
	s_or_b64 exec, exec, s[2:3]
.LBB164_273:
	s_or_b64 exec, exec, s[14:15]
.LBB164_274:
	s_or_b64 exec, exec, s[12:13]
	v_xor_b32_e32 v10, 0x80000000, v25
	v_cmp_gt_f64_e32 vcc, 0, v[24:25]
	v_mov_b32_e32 v26, v24
                                        ; implicit-def: $vgpr18_vgpr19
	s_nop 0
	v_cndmask_b32_e32 v27, v25, v10, vcc
	v_xor_b32_e32 v10, 0x80000000, v13
	v_cmp_gt_f64_e32 vcc, 0, v[12:13]
	s_nop 1
	v_cndmask_b32_e32 v11, v13, v10, vcc
	v_mov_b32_e32 v10, v12
	v_cmp_ge_f64_e32 vcc, v[26:27], v[10:11]
	s_and_saveexec_b64 s[2:3], vcc
	s_xor_b64 s[4:5], exec, s[2:3]
	s_cbranch_execz .LBB164_280
; %bb.275:
	v_cmp_neq_f64_e32 vcc, 0, v[24:25]
	v_cmp_neq_f64_e64 s[2:3], 0, v[12:13]
	s_or_b64 s[2:3], vcc, s[2:3]
                                        ; implicit-def: $vgpr18_vgpr19
	s_and_saveexec_b64 s[12:13], s[2:3]
	s_xor_b64 s[2:3], exec, s[12:13]
	s_cbranch_execz .LBB164_277
; %bb.276:
	v_div_scale_f64 v[10:11], s[12:13], v[24:25], v[24:25], v[12:13]
	v_rcp_f64_e32 v[18:19], v[10:11]
	v_div_scale_f64 v[20:21], vcc, v[12:13], v[24:25], v[12:13]
	v_fma_f64 v[26:27], -v[10:11], v[18:19], 1.0
	v_fmac_f64_e32 v[18:19], v[18:19], v[26:27]
	v_fma_f64 v[26:27], -v[10:11], v[18:19], 1.0
	v_fmac_f64_e32 v[18:19], v[18:19], v[26:27]
	v_mul_f64 v[26:27], v[20:21], v[18:19]
	v_fma_f64 v[10:11], -v[10:11], v[26:27], v[20:21]
	v_div_fmas_f64 v[10:11], v[10:11], v[18:19], v[26:27]
	v_div_fixup_f64 v[10:11], v[10:11], v[24:25], v[12:13]
	v_fmac_f64_e32 v[24:25], v[12:13], v[10:11]
	v_div_scale_f64 v[12:13], s[12:13], v[24:25], v[24:25], 1.0
	v_rcp_f64_e32 v[18:19], v[12:13]
	s_nop 0
	v_fma_f64 v[20:21], -v[12:13], v[18:19], 1.0
	v_fmac_f64_e32 v[18:19], v[18:19], v[20:21]
	v_fma_f64 v[20:21], -v[12:13], v[18:19], 1.0
	v_fmac_f64_e32 v[18:19], v[18:19], v[20:21]
	v_div_scale_f64 v[20:21], vcc, 1.0, v[24:25], 1.0
	v_mul_f64 v[26:27], v[20:21], v[18:19]
	v_fma_f64 v[12:13], -v[12:13], v[26:27], v[20:21]
	s_nop 1
	v_div_fmas_f64 v[12:13], v[12:13], v[18:19], v[26:27]
	v_div_fixup_f64 v[12:13], v[12:13], v[24:25], 1.0
	v_fma_f64 v[18:19], v[10:11], 0, 1.0
	v_add_f64 v[10:11], -v[10:11], 0
	v_mul_f64 v[18:19], v[18:19], v[12:13]
	v_mul_f64 v[20:21], v[10:11], v[12:13]
                                        ; implicit-def: $vgpr26_vgpr27
                                        ; implicit-def: $vgpr10_vgpr11
.LBB164_277:
	s_andn2_saveexec_b64 s[2:3], s[2:3]
	s_cbranch_execz .LBB164_279
; %bb.278:
	v_div_scale_f64 v[12:13], s[12:13], v[26:27], v[26:27], 1.0
	v_rcp_f64_e32 v[18:19], v[12:13]
	v_div_scale_f64 v[20:21], vcc, 1.0, v[26:27], 1.0
	v_fma_f64 v[24:25], -v[12:13], v[18:19], 1.0
	v_fmac_f64_e32 v[18:19], v[18:19], v[24:25]
	v_fma_f64 v[24:25], -v[12:13], v[18:19], 1.0
	v_fmac_f64_e32 v[18:19], v[18:19], v[24:25]
	v_mul_f64 v[24:25], v[20:21], v[18:19]
	v_fma_f64 v[12:13], -v[12:13], v[24:25], v[20:21]
	v_div_scale_f64 v[20:21], s[12:13], v[10:11], v[10:11], 0
	v_rcp_f64_e32 v[28:29], v[20:21]
	v_div_fmas_f64 v[12:13], v[12:13], v[18:19], v[24:25]
	v_div_fixup_f64 v[18:19], v[12:13], v[26:27], 1.0
	v_fma_f64 v[12:13], -v[20:21], v[28:29], 1.0
	v_fmac_f64_e32 v[28:29], v[28:29], v[12:13]
	v_fma_f64 v[12:13], -v[20:21], v[28:29], 1.0
	v_fmac_f64_e32 v[28:29], v[28:29], v[12:13]
	v_div_scale_f64 v[12:13], vcc, 0, v[10:11], 0
	v_mul_f64 v[24:25], v[12:13], v[28:29]
	v_fma_f64 v[12:13], -v[20:21], v[24:25], v[12:13]
	s_nop 1
	v_div_fmas_f64 v[12:13], v[12:13], v[28:29], v[24:25]
	v_div_fixup_f64 v[20:21], v[12:13], v[10:11], 0
.LBB164_279:
	s_or_b64 exec, exec, s[2:3]
                                        ; implicit-def: $vgpr12_vgpr13
                                        ; implicit-def: $vgpr24_vgpr25
.LBB164_280:
	s_andn2_saveexec_b64 s[2:3], s[4:5]
	s_cbranch_execz .LBB164_282
; %bb.281:
	v_div_scale_f64 v[10:11], s[4:5], v[12:13], v[12:13], v[24:25]
	v_rcp_f64_e32 v[18:19], v[10:11]
	v_div_scale_f64 v[20:21], vcc, v[24:25], v[12:13], v[24:25]
	v_fma_f64 v[26:27], -v[10:11], v[18:19], 1.0
	v_fmac_f64_e32 v[18:19], v[18:19], v[26:27]
	v_fma_f64 v[26:27], -v[10:11], v[18:19], 1.0
	v_fmac_f64_e32 v[18:19], v[18:19], v[26:27]
	v_mul_f64 v[26:27], v[20:21], v[18:19]
	v_fma_f64 v[10:11], -v[10:11], v[26:27], v[20:21]
	v_div_fmas_f64 v[10:11], v[10:11], v[18:19], v[26:27]
	v_div_fixup_f64 v[10:11], v[10:11], v[12:13], v[24:25]
	v_fmac_f64_e32 v[12:13], v[24:25], v[10:11]
	v_div_scale_f64 v[18:19], s[4:5], v[12:13], v[12:13], 1.0
	v_rcp_f64_e32 v[20:21], v[18:19]
	s_nop 0
	v_fma_f64 v[24:25], -v[18:19], v[20:21], 1.0
	v_fmac_f64_e32 v[20:21], v[20:21], v[24:25]
	v_fma_f64 v[24:25], -v[18:19], v[20:21], 1.0
	v_fmac_f64_e32 v[20:21], v[20:21], v[24:25]
	v_div_scale_f64 v[24:25], vcc, 1.0, v[12:13], 1.0
	v_mul_f64 v[26:27], v[24:25], v[20:21]
	v_fma_f64 v[18:19], -v[18:19], v[26:27], v[24:25]
	s_nop 1
	v_div_fmas_f64 v[18:19], v[18:19], v[20:21], v[26:27]
	v_div_fixup_f64 v[12:13], v[18:19], v[12:13], 1.0
	v_add_f64 v[18:19], v[10:11], 0
	v_fma_f64 v[10:11], v[10:11], 0, -1.0
	v_mul_f64 v[18:19], v[18:19], v[12:13]
	v_mul_f64 v[20:21], v[10:11], v[12:13]
.LBB164_282:
	s_or_b64 exec, exec, s[2:3]
.LBB164_283:
	s_or_b64 exec, exec, s[10:11]
	v_or_b32_e32 v10, 0x300, v0
	v_cmp_gt_i32_e32 vcc, s24, v10
	v_mov_b64_e32 v[10:11], 0
	v_mov_b64_e32 v[12:13], 0
	s_and_saveexec_b64 s[10:11], vcc
	s_cbranch_execz .LBB164_296
; %bb.284:
	v_cmp_neq_f64_e32 vcc, 0, v[2:3]
	v_cmp_neq_f64_e64 s[2:3], 0, v[4:5]
	v_mov_b64_e32 v[24:25], 0
	s_or_b64 s[2:3], vcc, s[2:3]
	s_and_saveexec_b64 s[12:13], s[2:3]
	s_cbranch_execz .LBB164_318
; %bb.285:
	v_mov_b32_e32 v24, 0
	v_mov_b32_e32 v25, 0x7ff00000
	v_cmp_neq_f64_e64 s[2:3], |v[4:5]|, v[24:25]
	s_and_saveexec_b64 s[14:15], s[2:3]
	s_cbranch_execz .LBB164_317
; %bb.286:
	v_cmp_o_f64_e32 vcc, v[2:3], v[2:3]
                                        ; implicit-def: $vgpr24_vgpr25
	s_and_saveexec_b64 s[2:3], vcc
	s_xor_b64 s[16:17], exec, s[2:3]
	s_cbranch_execz .LBB164_314
; %bb.287:
	s_mov_b32 s2, 0
	s_mov_b32 s3, 0x7ff00000
	v_cmp_neq_f64_e64 s[2:3], |v[2:3]|, s[2:3]
                                        ; implicit-def: $vgpr24_vgpr25
	s_and_saveexec_b64 s[4:5], s[2:3]
	s_xor_b64 s[18:19], exec, s[4:5]
	s_cbranch_execz .LBB164_307
; %bb.288:
	v_max_f64 v[10:11], |v[4:5]|, |v[4:5]|
	v_max_f64 v[12:13], |v[2:3]|, |v[2:3]|
	s_mov_b32 s2, 0x99fcef32
	v_max_f64 v[10:11], v[12:13], v[10:11]
	s_mov_b32 s3, 0x7fda8279
	v_cmp_nle_f64_e64 s[2:3], s[2:3], v[10:11]
                                        ; implicit-def: $sgpr20_sgpr21
	s_and_saveexec_b64 s[4:5], s[2:3]
	s_xor_b64 s[4:5], exec, s[4:5]
	s_cbranch_execz .LBB164_292
; %bb.289:
	s_mov_b32 s20, 0
	s_mov_b32 s21, 0x200000
	v_cmp_le_f64_e64 s[22:23], |v[2:3]|, s[20:21]
	v_cmp_le_f64_e64 s[20:21], |v[4:5]|, s[20:21]
	s_and_b64 s[26:27], s[22:23], s[20:21]
	s_mov_b64 s[20:21], 0
	s_and_saveexec_b64 s[22:23], s[26:27]
; %bb.290:
	s_mov_b64 s[20:21], exec
	v_mul_f64 v[2:3], v[2:3], 4.0
	v_mul_f64 v[4:5], v[4:5], 4.0
; %bb.291:
	s_or_b64 exec, exec, s[22:23]
.LBB164_292:
	s_andn2_saveexec_b64 s[4:5], s[4:5]
; %bb.293:
	v_ldexp_f64 v[2:3], v[2:3], -2
	v_ldexp_f64 v[4:5], v[4:5], -2
	s_andn2_b64 s[20:21], s[20:21], exec
; %bb.294:
	s_or_b64 exec, exec, s[4:5]
	v_max_f64 v[10:11], |v[4:5]|, |v[4:5]|
	v_max_f64 v[12:13], |v[2:3]|, |v[2:3]|
	v_max_f64 v[10:11], v[12:13], v[10:11]
	v_frexp_exp_i32_f64_e32 v23, v[10:11]
	v_sub_u32_e32 v12, 0, v23
	v_ldexp_f64 v[10:11], |v[2:3]|, v12
	v_ldexp_f64 v[12:13], |v[4:5]|, v12
	v_mul_f64 v[12:13], v[12:13], v[12:13]
	v_fmac_f64_e32 v[12:13], v[10:11], v[10:11]
	v_rsq_f64_e32 v[10:11], v[12:13]
	v_cmp_eq_f64_e64 s[4:5], 0, v[12:13]
	s_movk_i32 s7, 0x204
	v_cmp_class_f64_e64 s[22:23], v[4:5], s7
	v_mul_f64 v[24:25], v[12:13], v[10:11]
	v_mul_f64 v[10:11], v[10:11], 0.5
	v_fma_f64 v[26:27], -v[10:11], v[24:25], 0.5
	v_fmac_f64_e32 v[24:25], v[24:25], v[26:27]
	v_fmac_f64_e32 v[10:11], v[10:11], v[26:27]
	v_fma_f64 v[26:27], -v[24:25], v[24:25], v[12:13]
	v_fmac_f64_e32 v[24:25], v[26:27], v[10:11]
	v_cndmask_b32_e64 v11, v25, v13, s[4:5]
	v_cndmask_b32_e64 v10, v24, v12, s[4:5]
	v_ldexp_f64 v[10:11], v[10:11], v23
	v_cmp_o_f64_e64 s[4:5], v[4:5], v[4:5]
	v_mov_b32_e32 v12, 0x7ff80000
	v_cmp_le_f64_e32 vcc, 0, v[2:3]
	v_cndmask_b32_e64 v10, 0, v10, s[4:5]
	v_cndmask_b32_e64 v11, v12, v11, s[4:5]
	v_cmp_class_f64_e64 s[4:5], v[2:3], s7
	v_mov_b32_e32 v12, 0x7ff00000
	s_or_b64 s[4:5], s[22:23], s[4:5]
	v_cndmask_b32_e64 v25, v11, v12, s[4:5]
	v_cndmask_b32_e64 v24, v10, 0, s[4:5]
                                        ; implicit-def: $vgpr10_vgpr11
                                        ; implicit-def: $vgpr12_vgpr13
	s_and_saveexec_b64 s[4:5], vcc
	s_xor_b64 s[4:5], exec, s[4:5]
	s_cbranch_execz .LBB164_300
; %bb.295:
	v_add_f64 v[2:3], v[2:3], v[24:25]
	s_mov_b32 s22, 0
	v_mul_f64 v[2:3], v[2:3], 0.5
	s_brev_b32 s23, 8
	v_mov_b32_e32 v10, 0x100
	v_cmp_gt_f64_e32 vcc, s[22:23], v[2:3]
	s_nop 1
	v_cndmask_b32_e32 v10, 0, v10, vcc
	v_ldexp_f64 v[2:3], v[2:3], v10
	v_rsq_f64_e32 v[10:11], v[2:3]
	s_nop 0
	v_mul_f64 v[12:13], v[2:3], v[10:11]
	v_mul_f64 v[10:11], v[10:11], 0.5
	v_fma_f64 v[24:25], -v[10:11], v[12:13], 0.5
	v_fmac_f64_e32 v[12:13], v[12:13], v[24:25]
	v_fma_f64 v[26:27], -v[12:13], v[12:13], v[2:3]
	v_fmac_f64_e32 v[10:11], v[10:11], v[24:25]
	v_fmac_f64_e32 v[12:13], v[26:27], v[10:11]
	v_fma_f64 v[24:25], -v[12:13], v[12:13], v[2:3]
	v_fmac_f64_e32 v[12:13], v[24:25], v[10:11]
	v_mov_b32_e32 v10, 0xffffff80
	v_cndmask_b32_e32 v10, 0, v10, vcc
	v_ldexp_f64 v[10:11], v[12:13], v10
	v_mov_b32_e32 v12, 0x260
	v_cmp_class_f64_e32 vcc, v[2:3], v12
	s_nop 1
	v_cndmask_b32_e32 v13, v11, v3, vcc
	v_cndmask_b32_e32 v12, v10, v2, vcc
	v_add_f64 v[2:3], v[12:13], v[12:13]
	v_div_scale_f64 v[10:11], s[22:23], v[2:3], v[2:3], v[4:5]
	v_rcp_f64_e32 v[24:25], v[10:11]
	s_nop 0
	v_fma_f64 v[26:27], -v[10:11], v[24:25], 1.0
	v_fmac_f64_e32 v[24:25], v[24:25], v[26:27]
	v_fma_f64 v[26:27], -v[10:11], v[24:25], 1.0
	v_fmac_f64_e32 v[24:25], v[24:25], v[26:27]
	v_div_scale_f64 v[26:27], vcc, v[4:5], v[2:3], v[4:5]
	v_mul_f64 v[28:29], v[26:27], v[24:25]
	v_fma_f64 v[10:11], -v[10:11], v[28:29], v[26:27]
	s_nop 1
	v_div_fmas_f64 v[10:11], v[10:11], v[24:25], v[28:29]
	v_div_fixup_f64 v[10:11], v[10:11], v[2:3], v[4:5]
                                        ; implicit-def: $vgpr24_vgpr25
                                        ; implicit-def: $vgpr2_vgpr3
	s_andn2_saveexec_b64 s[4:5], s[4:5]
	s_cbranch_execz .LBB164_302
	s_branch .LBB164_301
.LBB164_296:
	s_or_b64 exec, exec, s[10:11]
	s_and_saveexec_b64 s[2:3], s[0:1]
	s_xor_b64 s[0:1], exec, s[2:3]
	s_cbranch_execz .LBB164_327
.LBB164_297:
	v_mov_b32_e32 v23, 0
	v_lshl_add_u64 v[2:3], v[22:23], 4, s[8:9]
	v_mov_b32_e32 v0, v1
	global_store_dwordx4 v[2:3], v[6:9], off
	s_or_b64 exec, exec, s[0:1]
	v_cmp_gt_i32_e32 vcc, s24, v0
	s_and_saveexec_b64 s[0:1], vcc
	s_cbranch_execnz .LBB164_328
.LBB164_298:
	s_or_b64 exec, exec, s[0:1]
	v_cmp_gt_i32_e32 vcc, s24, v0
	s_and_saveexec_b64 s[0:1], vcc
	s_cbranch_execz .LBB164_329
.LBB164_299:
	v_add_u32_e32 v2, s6, v0
	v_mov_b32_e32 v3, 0
	v_lshl_add_u64 v[2:3], v[2:3], 4, s[8:9]
	v_add_u32_e32 v0, 0x100, v0
	global_store_dwordx4 v[2:3], v[18:21], off
	s_or_b64 exec, exec, s[0:1]
	v_cmp_gt_i32_e32 vcc, s24, v0
	s_and_saveexec_b64 s[0:1], vcc
	s_cbranch_execnz .LBB164_330
	s_branch .LBB164_331
.LBB164_300:
	s_andn2_saveexec_b64 s[4:5], s[4:5]
	s_cbranch_execz .LBB164_302
.LBB164_301:
	v_add_f64 v[2:3], v[24:25], -v[2:3]
	s_mov_b32 s22, 0
	v_mul_f64 v[2:3], v[2:3], 0.5
	s_brev_b32 s23, 8
	v_mov_b32_e32 v10, 0x100
	v_cmp_gt_f64_e32 vcc, s[22:23], v[2:3]
	s_brev_b32 s7, -2
	s_nop 0
	v_cndmask_b32_e32 v10, 0, v10, vcc
	v_ldexp_f64 v[2:3], v[2:3], v10
	v_rsq_f64_e32 v[10:11], v[2:3]
	s_nop 0
	v_mul_f64 v[12:13], v[2:3], v[10:11]
	v_mul_f64 v[10:11], v[10:11], 0.5
	v_fma_f64 v[24:25], -v[10:11], v[12:13], 0.5
	v_fmac_f64_e32 v[12:13], v[12:13], v[24:25]
	v_fma_f64 v[26:27], -v[12:13], v[12:13], v[2:3]
	v_fmac_f64_e32 v[10:11], v[10:11], v[24:25]
	v_fmac_f64_e32 v[12:13], v[26:27], v[10:11]
	v_fma_f64 v[24:25], -v[12:13], v[12:13], v[2:3]
	v_fmac_f64_e32 v[12:13], v[24:25], v[10:11]
	v_mov_b32_e32 v10, 0xffffff80
	v_cndmask_b32_e32 v10, 0, v10, vcc
	v_ldexp_f64 v[10:11], v[12:13], v10
	v_mov_b32_e32 v12, 0x260
	v_cmp_class_f64_e32 vcc, v[2:3], v12
	v_and_b32_e32 v13, 0x7fffffff, v5
	v_mov_b32_e32 v12, v4
	v_cndmask_b32_e32 v11, v11, v3, vcc
	v_cndmask_b32_e32 v10, v10, v2, vcc
	v_add_f64 v[2:3], v[10:11], v[10:11]
	v_div_scale_f64 v[24:25], s[22:23], v[2:3], v[2:3], v[12:13]
	v_rcp_f64_e32 v[26:27], v[24:25]
	v_div_scale_f64 v[12:13], vcc, v[12:13], v[2:3], v[12:13]
	v_bfi_b32 v11, s7, v11, v5
	v_fma_f64 v[28:29], -v[24:25], v[26:27], 1.0
	v_fmac_f64_e32 v[26:27], v[26:27], v[28:29]
	v_fma_f64 v[28:29], -v[24:25], v[26:27], 1.0
	v_fmac_f64_e32 v[26:27], v[26:27], v[28:29]
	v_mul_f64 v[28:29], v[12:13], v[26:27]
	v_fma_f64 v[12:13], -v[24:25], v[28:29], v[12:13]
	v_div_fmas_f64 v[12:13], v[12:13], v[26:27], v[28:29]
	v_div_fixup_f64 v[12:13], v[12:13], v[2:3], |v[4:5]|
.LBB164_302:
	s_or_b64 exec, exec, s[4:5]
                                        ; implicit-def: $vgpr4_vgpr5
                                        ; implicit-def: $vgpr24_vgpr25
	s_and_saveexec_b64 s[4:5], s[2:3]
	s_xor_b64 s[2:3], exec, s[4:5]
	s_cbranch_execz .LBB164_304
; %bb.303:
	v_mul_f64 v[2:3], v[12:13], 0.5
	v_mul_f64 v[4:5], v[10:11], 0.5
	v_cndmask_b32_e64 v25, v13, v3, s[20:21]
	v_cndmask_b32_e64 v24, v12, v2, s[20:21]
	;; [unrolled: 1-line block ×4, first 2 shown]
                                        ; implicit-def: $vgpr12_vgpr13
                                        ; implicit-def: $vgpr10_vgpr11
	s_andn2_saveexec_b64 s[2:3], s[2:3]
	s_cbranch_execnz .LBB164_305
	s_branch .LBB164_306
.LBB164_304:
	s_andn2_saveexec_b64 s[2:3], s[2:3]
.LBB164_305:
	v_add_f64 v[24:25], v[12:13], v[12:13]
	v_add_f64 v[4:5], v[10:11], v[10:11]
.LBB164_306:
	s_or_b64 exec, exec, s[2:3]
.LBB164_307:
	s_andn2_saveexec_b64 s[2:3], s[18:19]
	s_cbranch_execz .LBB164_313
; %bb.308:
	v_add_f64 v[10:11], v[4:5], -v[4:5]
	v_cmp_lt_i64_e32 vcc, -1, v[2:3]
	s_brev_b32 s7, -2
	v_and_b32_e32 v25, 0x7fffffff, v11
	v_mov_b32_e32 v24, v10
	s_and_saveexec_b64 s[4:5], vcc
	s_xor_b64 s[4:5], exec, s[4:5]
; %bb.309:
	v_bfi_b32 v11, s7, v11, v5
	v_mov_b64_e32 v[4:5], v[10:11]
	v_mov_b64_e32 v[24:25], v[2:3]
; %bb.310:
	s_andn2_saveexec_b64 s[4:5], s[4:5]
; %bb.311:
	v_bfi_b32 v3, s7, v3, v5
	v_mov_b64_e32 v[4:5], v[2:3]
; %bb.312:
	s_or_b64 exec, exec, s[4:5]
.LBB164_313:
	s_or_b64 exec, exec, s[2:3]
.LBB164_314:
	s_andn2_saveexec_b64 s[2:3], s[16:17]
	s_cbranch_execz .LBB164_316
; %bb.315:
	v_add_f64 v[4:5], v[4:5], -v[4:5]
	v_div_scale_f64 v[10:11], vcc, v[4:5], v[4:5], v[4:5]
	v_rcp_f64_e32 v[12:13], v[10:11]
	s_nop 0
	v_fma_f64 v[24:25], -v[10:11], v[12:13], 1.0
	v_fmac_f64_e32 v[12:13], v[12:13], v[24:25]
	v_fma_f64 v[24:25], -v[10:11], v[12:13], 1.0
	v_fmac_f64_e32 v[12:13], v[12:13], v[24:25]
	v_mul_f64 v[24:25], v[10:11], v[12:13]
	v_fma_f64 v[10:11], -v[10:11], v[24:25], v[10:11]
	v_div_fmas_f64 v[10:11], v[10:11], v[12:13], v[24:25]
	v_div_fixup_f64 v[4:5], v[10:11], v[4:5], v[4:5]
	v_mov_b64_e32 v[24:25], v[2:3]
.LBB164_316:
	s_or_b64 exec, exec, s[2:3]
.LBB164_317:
	s_or_b64 exec, exec, s[14:15]
.LBB164_318:
	s_or_b64 exec, exec, s[12:13]
	v_xor_b32_e32 v2, 0x80000000, v25
	v_cmp_gt_f64_e32 vcc, 0, v[24:25]
	v_mov_b32_e32 v26, v24
                                        ; implicit-def: $vgpr10_vgpr11
	s_nop 0
	v_cndmask_b32_e32 v27, v25, v2, vcc
	v_xor_b32_e32 v2, 0x80000000, v5
	v_cmp_gt_f64_e32 vcc, 0, v[4:5]
	s_nop 1
	v_cndmask_b32_e32 v3, v5, v2, vcc
	v_mov_b32_e32 v2, v4
	v_cmp_ge_f64_e32 vcc, v[26:27], v[2:3]
	s_and_saveexec_b64 s[2:3], vcc
	s_xor_b64 s[4:5], exec, s[2:3]
	s_cbranch_execz .LBB164_324
; %bb.319:
	v_cmp_neq_f64_e32 vcc, 0, v[24:25]
	v_cmp_neq_f64_e64 s[2:3], 0, v[4:5]
	s_or_b64 s[2:3], vcc, s[2:3]
                                        ; implicit-def: $vgpr10_vgpr11
	s_and_saveexec_b64 s[12:13], s[2:3]
	s_xor_b64 s[2:3], exec, s[12:13]
	s_cbranch_execz .LBB164_321
; %bb.320:
	v_div_scale_f64 v[2:3], s[12:13], v[24:25], v[24:25], v[4:5]
	v_rcp_f64_e32 v[10:11], v[2:3]
	v_div_scale_f64 v[12:13], vcc, v[4:5], v[24:25], v[4:5]
	v_fma_f64 v[26:27], -v[2:3], v[10:11], 1.0
	v_fmac_f64_e32 v[10:11], v[10:11], v[26:27]
	v_fma_f64 v[26:27], -v[2:3], v[10:11], 1.0
	v_fmac_f64_e32 v[10:11], v[10:11], v[26:27]
	v_mul_f64 v[26:27], v[12:13], v[10:11]
	v_fma_f64 v[2:3], -v[2:3], v[26:27], v[12:13]
	v_div_fmas_f64 v[2:3], v[2:3], v[10:11], v[26:27]
	v_div_fixup_f64 v[2:3], v[2:3], v[24:25], v[4:5]
	v_fmac_f64_e32 v[24:25], v[4:5], v[2:3]
	v_div_scale_f64 v[4:5], s[12:13], v[24:25], v[24:25], 1.0
	v_rcp_f64_e32 v[10:11], v[4:5]
	s_nop 0
	v_fma_f64 v[12:13], -v[4:5], v[10:11], 1.0
	v_fmac_f64_e32 v[10:11], v[10:11], v[12:13]
	v_fma_f64 v[12:13], -v[4:5], v[10:11], 1.0
	v_fmac_f64_e32 v[10:11], v[10:11], v[12:13]
	v_div_scale_f64 v[12:13], vcc, 1.0, v[24:25], 1.0
	v_mul_f64 v[26:27], v[12:13], v[10:11]
	v_fma_f64 v[4:5], -v[4:5], v[26:27], v[12:13]
	s_nop 1
	v_div_fmas_f64 v[4:5], v[4:5], v[10:11], v[26:27]
	v_div_fixup_f64 v[4:5], v[4:5], v[24:25], 1.0
	v_fma_f64 v[10:11], v[2:3], 0, 1.0
	v_add_f64 v[2:3], -v[2:3], 0
	v_mul_f64 v[10:11], v[10:11], v[4:5]
	v_mul_f64 v[12:13], v[2:3], v[4:5]
                                        ; implicit-def: $vgpr26_vgpr27
                                        ; implicit-def: $vgpr2_vgpr3
.LBB164_321:
	s_andn2_saveexec_b64 s[2:3], s[2:3]
	s_cbranch_execz .LBB164_323
; %bb.322:
	v_div_scale_f64 v[4:5], s[12:13], v[26:27], v[26:27], 1.0
	v_rcp_f64_e32 v[10:11], v[4:5]
	v_div_scale_f64 v[12:13], vcc, 1.0, v[26:27], 1.0
	v_fma_f64 v[24:25], -v[4:5], v[10:11], 1.0
	v_fmac_f64_e32 v[10:11], v[10:11], v[24:25]
	v_fma_f64 v[24:25], -v[4:5], v[10:11], 1.0
	v_fmac_f64_e32 v[10:11], v[10:11], v[24:25]
	v_mul_f64 v[24:25], v[12:13], v[10:11]
	v_fma_f64 v[4:5], -v[4:5], v[24:25], v[12:13]
	v_div_scale_f64 v[12:13], s[12:13], v[2:3], v[2:3], 0
	v_rcp_f64_e32 v[28:29], v[12:13]
	v_div_fmas_f64 v[4:5], v[4:5], v[10:11], v[24:25]
	v_div_fixup_f64 v[10:11], v[4:5], v[26:27], 1.0
	v_fma_f64 v[4:5], -v[12:13], v[28:29], 1.0
	v_fmac_f64_e32 v[28:29], v[28:29], v[4:5]
	v_fma_f64 v[4:5], -v[12:13], v[28:29], 1.0
	v_fmac_f64_e32 v[28:29], v[28:29], v[4:5]
	v_div_scale_f64 v[4:5], vcc, 0, v[2:3], 0
	v_mul_f64 v[24:25], v[4:5], v[28:29]
	v_fma_f64 v[4:5], -v[12:13], v[24:25], v[4:5]
	s_nop 1
	v_div_fmas_f64 v[4:5], v[4:5], v[28:29], v[24:25]
	v_div_fixup_f64 v[12:13], v[4:5], v[2:3], 0
.LBB164_323:
	s_or_b64 exec, exec, s[2:3]
                                        ; implicit-def: $vgpr4_vgpr5
                                        ; implicit-def: $vgpr24_vgpr25
.LBB164_324:
	s_andn2_saveexec_b64 s[2:3], s[4:5]
	s_cbranch_execz .LBB164_326
; %bb.325:
	v_div_scale_f64 v[2:3], s[4:5], v[4:5], v[4:5], v[24:25]
	v_rcp_f64_e32 v[10:11], v[2:3]
	v_div_scale_f64 v[12:13], vcc, v[24:25], v[4:5], v[24:25]
	v_fma_f64 v[26:27], -v[2:3], v[10:11], 1.0
	v_fmac_f64_e32 v[10:11], v[10:11], v[26:27]
	v_fma_f64 v[26:27], -v[2:3], v[10:11], 1.0
	v_fmac_f64_e32 v[10:11], v[10:11], v[26:27]
	v_mul_f64 v[26:27], v[12:13], v[10:11]
	v_fma_f64 v[2:3], -v[2:3], v[26:27], v[12:13]
	v_div_fmas_f64 v[2:3], v[2:3], v[10:11], v[26:27]
	v_div_fixup_f64 v[2:3], v[2:3], v[4:5], v[24:25]
	v_fmac_f64_e32 v[4:5], v[24:25], v[2:3]
	v_div_scale_f64 v[10:11], s[4:5], v[4:5], v[4:5], 1.0
	v_rcp_f64_e32 v[12:13], v[10:11]
	s_nop 0
	v_fma_f64 v[24:25], -v[10:11], v[12:13], 1.0
	v_fmac_f64_e32 v[12:13], v[12:13], v[24:25]
	v_fma_f64 v[24:25], -v[10:11], v[12:13], 1.0
	v_fmac_f64_e32 v[12:13], v[12:13], v[24:25]
	v_div_scale_f64 v[24:25], vcc, 1.0, v[4:5], 1.0
	v_mul_f64 v[26:27], v[24:25], v[12:13]
	v_fma_f64 v[10:11], -v[10:11], v[26:27], v[24:25]
	s_nop 1
	v_div_fmas_f64 v[10:11], v[10:11], v[12:13], v[26:27]
	v_div_fixup_f64 v[4:5], v[10:11], v[4:5], 1.0
	v_add_f64 v[10:11], v[2:3], 0
	v_fma_f64 v[2:3], v[2:3], 0, -1.0
	v_mul_f64 v[10:11], v[10:11], v[4:5]
	v_mul_f64 v[12:13], v[2:3], v[4:5]
.LBB164_326:
	s_or_b64 exec, exec, s[2:3]
	s_or_b64 exec, exec, s[10:11]
	s_and_saveexec_b64 s[2:3], s[0:1]
	s_xor_b64 s[0:1], exec, s[2:3]
	s_cbranch_execnz .LBB164_297
.LBB164_327:
	s_or_b64 exec, exec, s[0:1]
	v_cmp_gt_i32_e32 vcc, s24, v0
	s_and_saveexec_b64 s[0:1], vcc
	s_cbranch_execz .LBB164_298
.LBB164_328:
	v_add_u32_e32 v2, s6, v0
	v_mov_b32_e32 v3, 0
	v_lshl_add_u64 v[2:3], v[2:3], 4, s[8:9]
	v_add_u32_e32 v0, 0x100, v0
	global_store_dwordx4 v[2:3], v[14:17], off
	s_or_b64 exec, exec, s[0:1]
	v_cmp_gt_i32_e32 vcc, s24, v0
	s_and_saveexec_b64 s[0:1], vcc
	s_cbranch_execnz .LBB164_299
.LBB164_329:
	s_or_b64 exec, exec, s[0:1]
	v_cmp_gt_i32_e32 vcc, s24, v0
	s_and_saveexec_b64 s[0:1], vcc
	s_cbranch_execz .LBB164_331
.LBB164_330:
	v_add_u32_e32 v0, s6, v0
	v_mov_b32_e32 v1, 0
	v_lshl_add_u64 v[0:1], v[0:1], 4, s[8:9]
	global_store_dwordx4 v[0:1], v[10:13], off
.LBB164_331:
	s_endpgm
	.section	.rodata,"a",@progbits
	.p2align	6, 0x0
	.amdhsa_kernel _ZN2at6native29vectorized_elementwise_kernelILi4EZZZNS0_17rsqrt_kernel_cudaERNS_18TensorIteratorBaseEENKUlvE_clEvENKUlvE_clEvEUlN3c107complexIdEEE_St5arrayIPcLm2EEEEviT0_T1_
		.amdhsa_group_segment_fixed_size 0
		.amdhsa_private_segment_fixed_size 0
		.amdhsa_kernarg_size 24
		.amdhsa_user_sgpr_count 2
		.amdhsa_user_sgpr_dispatch_ptr 0
		.amdhsa_user_sgpr_queue_ptr 0
		.amdhsa_user_sgpr_kernarg_segment_ptr 1
		.amdhsa_user_sgpr_dispatch_id 0
		.amdhsa_user_sgpr_kernarg_preload_length 0
		.amdhsa_user_sgpr_kernarg_preload_offset 0
		.amdhsa_user_sgpr_private_segment_size 0
		.amdhsa_uses_dynamic_stack 0
		.amdhsa_enable_private_segment 0
		.amdhsa_system_sgpr_workgroup_id_x 1
		.amdhsa_system_sgpr_workgroup_id_y 0
		.amdhsa_system_sgpr_workgroup_id_z 0
		.amdhsa_system_sgpr_workgroup_info 0
		.amdhsa_system_vgpr_workitem_id 0
		.amdhsa_next_free_vgpr 30
		.amdhsa_next_free_sgpr 28
		.amdhsa_accum_offset 32
		.amdhsa_reserve_vcc 1
		.amdhsa_float_round_mode_32 0
		.amdhsa_float_round_mode_16_64 0
		.amdhsa_float_denorm_mode_32 3
		.amdhsa_float_denorm_mode_16_64 3
		.amdhsa_dx10_clamp 1
		.amdhsa_ieee_mode 1
		.amdhsa_fp16_overflow 0
		.amdhsa_tg_split 0
		.amdhsa_exception_fp_ieee_invalid_op 0
		.amdhsa_exception_fp_denorm_src 0
		.amdhsa_exception_fp_ieee_div_zero 0
		.amdhsa_exception_fp_ieee_overflow 0
		.amdhsa_exception_fp_ieee_underflow 0
		.amdhsa_exception_fp_ieee_inexact 0
		.amdhsa_exception_int_div_zero 0
	.end_amdhsa_kernel
	.section	.text._ZN2at6native29vectorized_elementwise_kernelILi4EZZZNS0_17rsqrt_kernel_cudaERNS_18TensorIteratorBaseEENKUlvE_clEvENKUlvE_clEvEUlN3c107complexIdEEE_St5arrayIPcLm2EEEEviT0_T1_,"axG",@progbits,_ZN2at6native29vectorized_elementwise_kernelILi4EZZZNS0_17rsqrt_kernel_cudaERNS_18TensorIteratorBaseEENKUlvE_clEvENKUlvE_clEvEUlN3c107complexIdEEE_St5arrayIPcLm2EEEEviT0_T1_,comdat
.Lfunc_end164:
	.size	_ZN2at6native29vectorized_elementwise_kernelILi4EZZZNS0_17rsqrt_kernel_cudaERNS_18TensorIteratorBaseEENKUlvE_clEvENKUlvE_clEvEUlN3c107complexIdEEE_St5arrayIPcLm2EEEEviT0_T1_, .Lfunc_end164-_ZN2at6native29vectorized_elementwise_kernelILi4EZZZNS0_17rsqrt_kernel_cudaERNS_18TensorIteratorBaseEENKUlvE_clEvENKUlvE_clEvEUlN3c107complexIdEEE_St5arrayIPcLm2EEEEviT0_T1_
                                        ; -- End function
	.set _ZN2at6native29vectorized_elementwise_kernelILi4EZZZNS0_17rsqrt_kernel_cudaERNS_18TensorIteratorBaseEENKUlvE_clEvENKUlvE_clEvEUlN3c107complexIdEEE_St5arrayIPcLm2EEEEviT0_T1_.num_vgpr, 30
	.set _ZN2at6native29vectorized_elementwise_kernelILi4EZZZNS0_17rsqrt_kernel_cudaERNS_18TensorIteratorBaseEENKUlvE_clEvENKUlvE_clEvEUlN3c107complexIdEEE_St5arrayIPcLm2EEEEviT0_T1_.num_agpr, 0
	.set _ZN2at6native29vectorized_elementwise_kernelILi4EZZZNS0_17rsqrt_kernel_cudaERNS_18TensorIteratorBaseEENKUlvE_clEvENKUlvE_clEvEUlN3c107complexIdEEE_St5arrayIPcLm2EEEEviT0_T1_.numbered_sgpr, 28
	.set _ZN2at6native29vectorized_elementwise_kernelILi4EZZZNS0_17rsqrt_kernel_cudaERNS_18TensorIteratorBaseEENKUlvE_clEvENKUlvE_clEvEUlN3c107complexIdEEE_St5arrayIPcLm2EEEEviT0_T1_.num_named_barrier, 0
	.set _ZN2at6native29vectorized_elementwise_kernelILi4EZZZNS0_17rsqrt_kernel_cudaERNS_18TensorIteratorBaseEENKUlvE_clEvENKUlvE_clEvEUlN3c107complexIdEEE_St5arrayIPcLm2EEEEviT0_T1_.private_seg_size, 0
	.set _ZN2at6native29vectorized_elementwise_kernelILi4EZZZNS0_17rsqrt_kernel_cudaERNS_18TensorIteratorBaseEENKUlvE_clEvENKUlvE_clEvEUlN3c107complexIdEEE_St5arrayIPcLm2EEEEviT0_T1_.uses_vcc, 1
	.set _ZN2at6native29vectorized_elementwise_kernelILi4EZZZNS0_17rsqrt_kernel_cudaERNS_18TensorIteratorBaseEENKUlvE_clEvENKUlvE_clEvEUlN3c107complexIdEEE_St5arrayIPcLm2EEEEviT0_T1_.uses_flat_scratch, 0
	.set _ZN2at6native29vectorized_elementwise_kernelILi4EZZZNS0_17rsqrt_kernel_cudaERNS_18TensorIteratorBaseEENKUlvE_clEvENKUlvE_clEvEUlN3c107complexIdEEE_St5arrayIPcLm2EEEEviT0_T1_.has_dyn_sized_stack, 0
	.set _ZN2at6native29vectorized_elementwise_kernelILi4EZZZNS0_17rsqrt_kernel_cudaERNS_18TensorIteratorBaseEENKUlvE_clEvENKUlvE_clEvEUlN3c107complexIdEEE_St5arrayIPcLm2EEEEviT0_T1_.has_recursion, 0
	.set _ZN2at6native29vectorized_elementwise_kernelILi4EZZZNS0_17rsqrt_kernel_cudaERNS_18TensorIteratorBaseEENKUlvE_clEvENKUlvE_clEvEUlN3c107complexIdEEE_St5arrayIPcLm2EEEEviT0_T1_.has_indirect_call, 0
	.section	.AMDGPU.csdata,"",@progbits
; Kernel info:
; codeLenInByte = 16568
; TotalNumSgprs: 34
; NumVgprs: 30
; NumAgprs: 0
; TotalNumVgprs: 30
; ScratchSize: 0
; MemoryBound: 1
; FloatMode: 240
; IeeeMode: 1
; LDSByteSize: 0 bytes/workgroup (compile time only)
; SGPRBlocks: 4
; VGPRBlocks: 3
; NumSGPRsForWavesPerEU: 34
; NumVGPRsForWavesPerEU: 30
; AccumOffset: 32
; Occupancy: 8
; WaveLimiterHint : 0
; COMPUTE_PGM_RSRC2:SCRATCH_EN: 0
; COMPUTE_PGM_RSRC2:USER_SGPR: 2
; COMPUTE_PGM_RSRC2:TRAP_HANDLER: 0
; COMPUTE_PGM_RSRC2:TGID_X_EN: 1
; COMPUTE_PGM_RSRC2:TGID_Y_EN: 0
; COMPUTE_PGM_RSRC2:TGID_Z_EN: 0
; COMPUTE_PGM_RSRC2:TIDIG_COMP_CNT: 0
; COMPUTE_PGM_RSRC3_GFX90A:ACCUM_OFFSET: 7
; COMPUTE_PGM_RSRC3_GFX90A:TG_SPLIT: 0
	.section	.text._ZN2at6native29vectorized_elementwise_kernelILi2EZZZNS0_17rsqrt_kernel_cudaERNS_18TensorIteratorBaseEENKUlvE_clEvENKUlvE_clEvEUlN3c107complexIdEEE_St5arrayIPcLm2EEEEviT0_T1_,"axG",@progbits,_ZN2at6native29vectorized_elementwise_kernelILi2EZZZNS0_17rsqrt_kernel_cudaERNS_18TensorIteratorBaseEENKUlvE_clEvENKUlvE_clEvEUlN3c107complexIdEEE_St5arrayIPcLm2EEEEviT0_T1_,comdat
	.globl	_ZN2at6native29vectorized_elementwise_kernelILi2EZZZNS0_17rsqrt_kernel_cudaERNS_18TensorIteratorBaseEENKUlvE_clEvENKUlvE_clEvEUlN3c107complexIdEEE_St5arrayIPcLm2EEEEviT0_T1_ ; -- Begin function _ZN2at6native29vectorized_elementwise_kernelILi2EZZZNS0_17rsqrt_kernel_cudaERNS_18TensorIteratorBaseEENKUlvE_clEvENKUlvE_clEvEUlN3c107complexIdEEE_St5arrayIPcLm2EEEEviT0_T1_
	.p2align	8
	.type	_ZN2at6native29vectorized_elementwise_kernelILi2EZZZNS0_17rsqrt_kernel_cudaERNS_18TensorIteratorBaseEENKUlvE_clEvENKUlvE_clEvEUlN3c107complexIdEEE_St5arrayIPcLm2EEEEviT0_T1_,@function
_ZN2at6native29vectorized_elementwise_kernelILi2EZZZNS0_17rsqrt_kernel_cudaERNS_18TensorIteratorBaseEENKUlvE_clEvENKUlvE_clEvEUlN3c107complexIdEEE_St5arrayIPcLm2EEEEviT0_T1_: ; @_ZN2at6native29vectorized_elementwise_kernelILi2EZZZNS0_17rsqrt_kernel_cudaERNS_18TensorIteratorBaseEENKUlvE_clEvENKUlvE_clEvEUlN3c107complexIdEEE_St5arrayIPcLm2EEEEviT0_T1_
; %bb.0:
	s_load_dword s3, s[0:1], 0x0
	s_load_dwordx4 s[8:11], s[0:1], 0x8
	s_lshl_b32 s6, s2, 10
	s_mov_b64 s[0:1], -1
	s_waitcnt lgkmcnt(0)
	s_sub_i32 s24, s3, s6
	s_cmpk_gt_i32 s24, 0x3ff
	s_cbranch_scc0 .LBB165_154
; %bb.1:
	s_ashr_i32 s7, s6, 31
	s_lshl_b64 s[4:5], s[6:7], 4
	s_add_u32 s0, s10, s4
	s_addc_u32 s1, s11, s5
	v_mov_b32_e32 v25, 0
	v_lshlrev_b32_e32 v24, 5, v0
	v_lshl_add_u64 v[2:3], s[0:1], 0, v[24:25]
	global_load_dwordx4 v[16:19], v24, s[0:1] offset:16
	global_load_dwordx4 v[20:23], v24, s[0:1]
	v_add_co_u32_e32 v8, vcc, 0x2000, v2
	s_mov_b64 s[0:1], 0x2000
	s_nop 0
	v_addc_co_u32_e32 v9, vcc, 0, v3, vcc
	v_lshl_add_u64 v[6:7], v[2:3], 0, s[0:1]
	global_load_dwordx4 v[10:13], v[8:9], off
	global_load_dwordx4 v[2:5], v[6:7], off offset:16
	v_mov_b64_e32 v[14:15], 0
	s_waitcnt vmcnt(2)
	v_cmp_neq_f64_e32 vcc, 0, v[20:21]
	v_cmp_neq_f64_e64 s[0:1], 0, v[22:23]
	s_or_b64 s[0:1], vcc, s[0:1]
	s_and_saveexec_b64 s[12:13], s[0:1]
	s_cbranch_execz .LBB165_31
; %bb.2:
	v_mov_b32_e32 v14, 0
	v_mov_b32_e32 v15, 0x7ff00000
	v_cmp_neq_f64_e64 s[0:1], |v[22:23]|, v[14:15]
	s_and_saveexec_b64 s[14:15], s[0:1]
	s_cbranch_execz .LBB165_30
; %bb.3:
	v_cmp_o_f64_e32 vcc, v[20:21], v[20:21]
                                        ; implicit-def: $vgpr14_vgpr15
	s_and_saveexec_b64 s[0:1], vcc
	s_xor_b64 s[16:17], exec, s[0:1]
	s_cbranch_execz .LBB165_27
; %bb.4:
	s_mov_b32 s0, 0
	s_mov_b32 s1, 0x7ff00000
	v_cmp_neq_f64_e64 s[0:1], |v[20:21]|, s[0:1]
                                        ; implicit-def: $vgpr14_vgpr15
	s_and_saveexec_b64 s[2:3], s[0:1]
	s_xor_b64 s[18:19], exec, s[2:3]
	s_cbranch_execz .LBB165_20
; %bb.5:
	v_max_f64 v[6:7], |v[22:23]|, |v[22:23]|
	v_max_f64 v[8:9], |v[20:21]|, |v[20:21]|
	s_mov_b32 s0, 0x99fcef32
	v_max_f64 v[6:7], v[8:9], v[6:7]
	s_mov_b32 s1, 0x7fda8279
	v_cmp_nle_f64_e64 s[0:1], s[0:1], v[6:7]
                                        ; implicit-def: $sgpr20_sgpr21
	s_and_saveexec_b64 s[2:3], s[0:1]
	s_xor_b64 s[2:3], exec, s[2:3]
	s_cbranch_execz .LBB165_9
; %bb.6:
	s_mov_b32 s20, 0
	s_mov_b32 s21, 0x200000
	v_cmp_le_f64_e64 s[22:23], |v[20:21]|, s[20:21]
	v_cmp_le_f64_e64 s[20:21], |v[22:23]|, s[20:21]
	s_and_b64 s[26:27], s[22:23], s[20:21]
	s_mov_b64 s[20:21], 0
	s_and_saveexec_b64 s[22:23], s[26:27]
; %bb.7:
	s_mov_b64 s[20:21], exec
	v_mul_f64 v[20:21], v[20:21], 4.0
	v_mul_f64 v[22:23], v[22:23], 4.0
; %bb.8:
	s_or_b64 exec, exec, s[22:23]
.LBB165_9:
	s_andn2_saveexec_b64 s[2:3], s[2:3]
; %bb.10:
	v_ldexp_f64 v[20:21], v[20:21], -2
	v_ldexp_f64 v[22:23], v[22:23], -2
	s_andn2_b64 s[20:21], s[20:21], exec
; %bb.11:
	s_or_b64 exec, exec, s[2:3]
	v_max_f64 v[6:7], |v[22:23]|, |v[22:23]|
	v_max_f64 v[8:9], |v[20:21]|, |v[20:21]|
	v_max_f64 v[6:7], v[8:9], v[6:7]
	v_frexp_exp_i32_f64_e32 v1, v[6:7]
	v_sub_u32_e32 v8, 0, v1
	v_ldexp_f64 v[6:7], |v[20:21]|, v8
	v_ldexp_f64 v[8:9], |v[22:23]|, v8
	v_mul_f64 v[8:9], v[8:9], v[8:9]
	v_fmac_f64_e32 v[8:9], v[6:7], v[6:7]
	v_rsq_f64_e32 v[6:7], v[8:9]
	v_cmp_eq_f64_e64 s[2:3], 0, v[8:9]
	s_movk_i32 s7, 0x204
	v_cmp_class_f64_e64 s[22:23], v[22:23], s7
	v_mul_f64 v[14:15], v[8:9], v[6:7]
	v_mul_f64 v[6:7], v[6:7], 0.5
	v_fma_f64 v[26:27], -v[6:7], v[14:15], 0.5
	v_fmac_f64_e32 v[14:15], v[14:15], v[26:27]
	v_fmac_f64_e32 v[6:7], v[6:7], v[26:27]
	v_fma_f64 v[26:27], -v[14:15], v[14:15], v[8:9]
	v_fmac_f64_e32 v[14:15], v[26:27], v[6:7]
	v_cndmask_b32_e64 v7, v15, v9, s[2:3]
	v_cndmask_b32_e64 v6, v14, v8, s[2:3]
	v_ldexp_f64 v[6:7], v[6:7], v1
	v_cmp_o_f64_e64 s[2:3], v[22:23], v[22:23]
	v_cmp_le_f64_e32 vcc, 0, v[20:21]
                                        ; implicit-def: $vgpr8_vgpr9
	s_nop 0
	v_cndmask_b32_e64 v1, 0, v6, s[2:3]
	v_mov_b32_e32 v6, 0x7ff80000
	v_cndmask_b32_e64 v6, v6, v7, s[2:3]
	v_cmp_class_f64_e64 s[2:3], v[20:21], s7
	v_mov_b32_e32 v7, 0x7ff00000
	s_or_b64 s[2:3], s[22:23], s[2:3]
	v_cndmask_b32_e64 v15, v6, v7, s[2:3]
	v_cndmask_b32_e64 v14, v1, 0, s[2:3]
                                        ; implicit-def: $vgpr6_vgpr7
	s_and_saveexec_b64 s[2:3], vcc
	s_xor_b64 s[2:3], exec, s[2:3]
	s_cbranch_execz .LBB165_13
; %bb.12:
	v_add_f64 v[6:7], v[20:21], v[14:15]
	s_mov_b32 s22, 0
	v_mul_f64 v[6:7], v[6:7], 0.5
	s_brev_b32 s23, 8
	v_mov_b32_e32 v1, 0x100
	v_cmp_gt_f64_e32 vcc, s[22:23], v[6:7]
	s_nop 1
	v_cndmask_b32_e32 v1, 0, v1, vcc
	v_ldexp_f64 v[6:7], v[6:7], v1
	v_rsq_f64_e32 v[8:9], v[6:7]
	v_mov_b32_e32 v1, 0xffffff80
	v_cndmask_b32_e32 v1, 0, v1, vcc
	v_mul_f64 v[14:15], v[6:7], v[8:9]
	v_mul_f64 v[8:9], v[8:9], 0.5
	v_fma_f64 v[20:21], -v[8:9], v[14:15], 0.5
	v_fmac_f64_e32 v[14:15], v[14:15], v[20:21]
	v_fma_f64 v[26:27], -v[14:15], v[14:15], v[6:7]
	v_fmac_f64_e32 v[8:9], v[8:9], v[20:21]
	v_fmac_f64_e32 v[14:15], v[26:27], v[8:9]
	v_fma_f64 v[20:21], -v[14:15], v[14:15], v[6:7]
	v_fmac_f64_e32 v[14:15], v[20:21], v[8:9]
	v_ldexp_f64 v[8:9], v[14:15], v1
	v_mov_b32_e32 v1, 0x260
	v_cmp_class_f64_e32 vcc, v[6:7], v1
	s_nop 1
	v_cndmask_b32_e32 v9, v9, v7, vcc
	v_cndmask_b32_e32 v8, v8, v6, vcc
	v_add_f64 v[6:7], v[8:9], v[8:9]
	v_div_scale_f64 v[14:15], s[22:23], v[6:7], v[6:7], v[22:23]
	v_rcp_f64_e32 v[20:21], v[14:15]
	s_nop 0
	v_fma_f64 v[26:27], -v[14:15], v[20:21], 1.0
	v_fmac_f64_e32 v[20:21], v[20:21], v[26:27]
	v_fma_f64 v[26:27], -v[14:15], v[20:21], 1.0
	v_fmac_f64_e32 v[20:21], v[20:21], v[26:27]
	v_div_scale_f64 v[26:27], vcc, v[22:23], v[6:7], v[22:23]
	v_mul_f64 v[28:29], v[26:27], v[20:21]
	v_fma_f64 v[14:15], -v[14:15], v[28:29], v[26:27]
	s_nop 1
	v_div_fmas_f64 v[14:15], v[14:15], v[20:21], v[28:29]
	v_div_fixup_f64 v[6:7], v[14:15], v[6:7], v[22:23]
                                        ; implicit-def: $vgpr14_vgpr15
                                        ; implicit-def: $vgpr20_vgpr21
	s_andn2_saveexec_b64 s[2:3], s[2:3]
	s_cbranch_execz .LBB165_15
	s_branch .LBB165_14
.LBB165_13:
	s_andn2_saveexec_b64 s[2:3], s[2:3]
	s_cbranch_execz .LBB165_15
.LBB165_14:
	v_add_f64 v[6:7], v[14:15], -v[20:21]
	s_mov_b32 s22, 0
	v_mul_f64 v[6:7], v[6:7], 0.5
	s_brev_b32 s23, 8
	v_mov_b32_e32 v1, 0x100
	v_cmp_gt_f64_e32 vcc, s[22:23], v[6:7]
	s_brev_b32 s7, -2
	s_nop 0
	v_cndmask_b32_e32 v1, 0, v1, vcc
	v_ldexp_f64 v[6:7], v[6:7], v1
	v_rsq_f64_e32 v[8:9], v[6:7]
	v_mov_b32_e32 v1, 0xffffff80
	v_cndmask_b32_e32 v1, 0, v1, vcc
	v_mul_f64 v[14:15], v[6:7], v[8:9]
	v_mul_f64 v[8:9], v[8:9], 0.5
	v_fma_f64 v[20:21], -v[8:9], v[14:15], 0.5
	v_fmac_f64_e32 v[14:15], v[14:15], v[20:21]
	v_fma_f64 v[26:27], -v[14:15], v[14:15], v[6:7]
	v_fmac_f64_e32 v[8:9], v[8:9], v[20:21]
	v_fmac_f64_e32 v[14:15], v[26:27], v[8:9]
	v_fma_f64 v[20:21], -v[14:15], v[14:15], v[6:7]
	v_fmac_f64_e32 v[14:15], v[20:21], v[8:9]
	v_ldexp_f64 v[8:9], v[14:15], v1
	v_mov_b32_e32 v1, 0x260
	v_cmp_class_f64_e32 vcc, v[6:7], v1
	v_and_b32_e32 v15, 0x7fffffff, v23
	v_mov_b32_e32 v14, v22
	v_cndmask_b32_e32 v7, v9, v7, vcc
	v_cndmask_b32_e32 v6, v8, v6, vcc
	v_add_f64 v[8:9], v[6:7], v[6:7]
	v_div_scale_f64 v[20:21], s[22:23], v[8:9], v[8:9], v[14:15]
	v_rcp_f64_e32 v[26:27], v[20:21]
	v_div_scale_f64 v[14:15], vcc, v[14:15], v[8:9], v[14:15]
	v_bfi_b32 v7, s7, v7, v23
	v_fma_f64 v[28:29], -v[20:21], v[26:27], 1.0
	v_fmac_f64_e32 v[26:27], v[26:27], v[28:29]
	v_fma_f64 v[28:29], -v[20:21], v[26:27], 1.0
	v_fmac_f64_e32 v[26:27], v[26:27], v[28:29]
	v_mul_f64 v[28:29], v[14:15], v[26:27]
	v_fma_f64 v[14:15], -v[20:21], v[28:29], v[14:15]
	v_div_fmas_f64 v[14:15], v[14:15], v[26:27], v[28:29]
	v_div_fixup_f64 v[8:9], v[14:15], v[8:9], |v[22:23]|
.LBB165_15:
	s_or_b64 exec, exec, s[2:3]
                                        ; implicit-def: $vgpr22_vgpr23
                                        ; implicit-def: $vgpr14_vgpr15
	s_and_saveexec_b64 s[2:3], s[0:1]
	s_xor_b64 s[0:1], exec, s[2:3]
	s_cbranch_execz .LBB165_17
; %bb.16:
	v_mul_f64 v[14:15], v[8:9], 0.5
	v_mul_f64 v[20:21], v[6:7], 0.5
	v_cndmask_b32_e64 v15, v9, v15, s[20:21]
	v_cndmask_b32_e64 v14, v8, v14, s[20:21]
	;; [unrolled: 1-line block ×4, first 2 shown]
                                        ; implicit-def: $vgpr8_vgpr9
                                        ; implicit-def: $vgpr6_vgpr7
	s_andn2_saveexec_b64 s[0:1], s[0:1]
	s_cbranch_execnz .LBB165_18
	s_branch .LBB165_19
.LBB165_17:
	s_andn2_saveexec_b64 s[0:1], s[0:1]
.LBB165_18:
	v_add_f64 v[14:15], v[8:9], v[8:9]
	v_add_f64 v[22:23], v[6:7], v[6:7]
.LBB165_19:
	s_or_b64 exec, exec, s[0:1]
.LBB165_20:
	s_andn2_saveexec_b64 s[0:1], s[18:19]
	s_cbranch_execz .LBB165_26
; %bb.21:
	v_add_f64 v[6:7], v[22:23], -v[22:23]
	v_cmp_lt_i64_e32 vcc, -1, v[20:21]
	s_brev_b32 s7, -2
	v_and_b32_e32 v15, 0x7fffffff, v7
	v_mov_b32_e32 v14, v6
	s_and_saveexec_b64 s[2:3], vcc
	s_xor_b64 s[2:3], exec, s[2:3]
; %bb.22:
	v_bfi_b32 v7, s7, v7, v23
	v_mov_b64_e32 v[22:23], v[6:7]
	v_mov_b64_e32 v[14:15], v[20:21]
; %bb.23:
	s_andn2_saveexec_b64 s[2:3], s[2:3]
; %bb.24:
	v_bfi_b32 v21, s7, v21, v23
	v_mov_b64_e32 v[22:23], v[20:21]
; %bb.25:
	s_or_b64 exec, exec, s[2:3]
.LBB165_26:
	s_or_b64 exec, exec, s[0:1]
.LBB165_27:
	s_andn2_saveexec_b64 s[0:1], s[16:17]
	s_cbranch_execz .LBB165_29
; %bb.28:
	v_add_f64 v[6:7], v[22:23], -v[22:23]
	v_div_scale_f64 v[8:9], vcc, v[6:7], v[6:7], v[6:7]
	v_rcp_f64_e32 v[14:15], v[8:9]
	s_nop 0
	v_fma_f64 v[22:23], -v[8:9], v[14:15], 1.0
	v_fmac_f64_e32 v[14:15], v[14:15], v[22:23]
	v_fma_f64 v[22:23], -v[8:9], v[14:15], 1.0
	v_fmac_f64_e32 v[14:15], v[14:15], v[22:23]
	v_mul_f64 v[22:23], v[8:9], v[14:15]
	v_fma_f64 v[8:9], -v[8:9], v[22:23], v[8:9]
	v_div_fmas_f64 v[8:9], v[8:9], v[14:15], v[22:23]
	v_div_fixup_f64 v[22:23], v[8:9], v[6:7], v[6:7]
	v_mov_b64_e32 v[14:15], v[20:21]
.LBB165_29:
	s_or_b64 exec, exec, s[0:1]
.LBB165_30:
	s_or_b64 exec, exec, s[14:15]
.LBB165_31:
	s_or_b64 exec, exec, s[12:13]
	v_xor_b32_e32 v1, 0x80000000, v15
	v_cmp_gt_f64_e32 vcc, 0, v[14:15]
	v_mov_b32_e32 v26, v14
	v_mov_b32_e32 v20, v22
	v_cndmask_b32_e32 v27, v15, v1, vcc
	v_xor_b32_e32 v1, 0x80000000, v23
	v_cmp_gt_f64_e32 vcc, 0, v[22:23]
                                        ; implicit-def: $vgpr8_vgpr9
	s_nop 1
	v_cndmask_b32_e32 v21, v23, v1, vcc
	v_cmp_ge_f64_e32 vcc, v[26:27], v[20:21]
	s_and_saveexec_b64 s[0:1], vcc
	s_xor_b64 s[2:3], exec, s[0:1]
	s_cbranch_execz .LBB165_37
; %bb.32:
	v_cmp_neq_f64_e32 vcc, 0, v[14:15]
	v_cmp_neq_f64_e64 s[0:1], 0, v[22:23]
	s_or_b64 s[0:1], vcc, s[0:1]
                                        ; implicit-def: $vgpr8_vgpr9
	s_and_saveexec_b64 s[12:13], s[0:1]
	s_xor_b64 s[0:1], exec, s[12:13]
	s_cbranch_execz .LBB165_34
; %bb.33:
	v_div_scale_f64 v[6:7], s[12:13], v[14:15], v[14:15], v[22:23]
	v_rcp_f64_e32 v[8:9], v[6:7]
	v_div_scale_f64 v[20:21], vcc, v[22:23], v[14:15], v[22:23]
	v_fma_f64 v[26:27], -v[6:7], v[8:9], 1.0
	v_fmac_f64_e32 v[8:9], v[8:9], v[26:27]
	v_fma_f64 v[26:27], -v[6:7], v[8:9], 1.0
	v_fmac_f64_e32 v[8:9], v[8:9], v[26:27]
	v_mul_f64 v[26:27], v[20:21], v[8:9]
	v_fma_f64 v[6:7], -v[6:7], v[26:27], v[20:21]
	v_div_fmas_f64 v[6:7], v[6:7], v[8:9], v[26:27]
	v_div_fixup_f64 v[8:9], v[6:7], v[14:15], v[22:23]
	v_fmac_f64_e32 v[14:15], v[22:23], v[8:9]
	v_div_scale_f64 v[6:7], s[12:13], v[14:15], v[14:15], 1.0
	v_rcp_f64_e32 v[20:21], v[6:7]
	s_nop 0
	v_fma_f64 v[22:23], -v[6:7], v[20:21], 1.0
	v_fmac_f64_e32 v[20:21], v[20:21], v[22:23]
	v_fma_f64 v[22:23], -v[6:7], v[20:21], 1.0
	v_fmac_f64_e32 v[20:21], v[20:21], v[22:23]
	v_div_scale_f64 v[22:23], vcc, 1.0, v[14:15], 1.0
	v_mul_f64 v[26:27], v[22:23], v[20:21]
	v_fma_f64 v[6:7], -v[6:7], v[26:27], v[22:23]
	s_nop 1
	v_div_fmas_f64 v[6:7], v[6:7], v[20:21], v[26:27]
	v_div_fixup_f64 v[14:15], v[6:7], v[14:15], 1.0
	v_fma_f64 v[6:7], v[8:9], 0, 1.0
	v_add_f64 v[8:9], -v[8:9], 0
	v_mul_f64 v[6:7], v[6:7], v[14:15]
	v_mul_f64 v[8:9], v[8:9], v[14:15]
                                        ; implicit-def: $vgpr26_vgpr27
                                        ; implicit-def: $vgpr20_vgpr21
.LBB165_34:
	s_andn2_saveexec_b64 s[0:1], s[0:1]
	s_cbranch_execz .LBB165_36
; %bb.35:
	v_div_scale_f64 v[6:7], s[12:13], v[26:27], v[26:27], 1.0
	v_rcp_f64_e32 v[8:9], v[6:7]
	v_div_scale_f64 v[14:15], vcc, 1.0, v[26:27], 1.0
	v_fma_f64 v[22:23], -v[6:7], v[8:9], 1.0
	v_fmac_f64_e32 v[8:9], v[8:9], v[22:23]
	v_fma_f64 v[22:23], -v[6:7], v[8:9], 1.0
	v_fmac_f64_e32 v[8:9], v[8:9], v[22:23]
	v_mul_f64 v[22:23], v[14:15], v[8:9]
	v_fma_f64 v[6:7], -v[6:7], v[22:23], v[14:15]
	v_div_scale_f64 v[14:15], s[12:13], v[20:21], v[20:21], 0
	v_rcp_f64_e32 v[28:29], v[14:15]
	v_div_fmas_f64 v[6:7], v[6:7], v[8:9], v[22:23]
	v_div_fixup_f64 v[6:7], v[6:7], v[26:27], 1.0
	v_fma_f64 v[8:9], -v[14:15], v[28:29], 1.0
	v_fmac_f64_e32 v[28:29], v[28:29], v[8:9]
	v_fma_f64 v[8:9], -v[14:15], v[28:29], 1.0
	v_fmac_f64_e32 v[28:29], v[28:29], v[8:9]
	v_div_scale_f64 v[8:9], vcc, 0, v[20:21], 0
	v_mul_f64 v[22:23], v[8:9], v[28:29]
	v_fma_f64 v[8:9], -v[14:15], v[22:23], v[8:9]
	s_nop 1
	v_div_fmas_f64 v[8:9], v[8:9], v[28:29], v[22:23]
	v_div_fixup_f64 v[8:9], v[8:9], v[20:21], 0
.LBB165_36:
	s_or_b64 exec, exec, s[0:1]
                                        ; implicit-def: $vgpr22_vgpr23
                                        ; implicit-def: $vgpr14_vgpr15
.LBB165_37:
	s_andn2_saveexec_b64 s[0:1], s[2:3]
	s_cbranch_execz .LBB165_39
; %bb.38:
	v_div_scale_f64 v[6:7], s[2:3], v[22:23], v[22:23], v[14:15]
	v_rcp_f64_e32 v[8:9], v[6:7]
	v_div_scale_f64 v[20:21], vcc, v[14:15], v[22:23], v[14:15]
	v_fma_f64 v[26:27], -v[6:7], v[8:9], 1.0
	v_fmac_f64_e32 v[8:9], v[8:9], v[26:27]
	v_fma_f64 v[26:27], -v[6:7], v[8:9], 1.0
	v_fmac_f64_e32 v[8:9], v[8:9], v[26:27]
	v_mul_f64 v[26:27], v[20:21], v[8:9]
	v_fma_f64 v[6:7], -v[6:7], v[26:27], v[20:21]
	v_div_fmas_f64 v[6:7], v[6:7], v[8:9], v[26:27]
	v_div_fixup_f64 v[8:9], v[6:7], v[22:23], v[14:15]
	v_fmac_f64_e32 v[22:23], v[14:15], v[8:9]
	v_div_scale_f64 v[6:7], s[2:3], v[22:23], v[22:23], 1.0
	v_rcp_f64_e32 v[14:15], v[6:7]
	s_nop 0
	v_fma_f64 v[20:21], -v[6:7], v[14:15], 1.0
	v_fmac_f64_e32 v[14:15], v[14:15], v[20:21]
	v_fma_f64 v[20:21], -v[6:7], v[14:15], 1.0
	v_fmac_f64_e32 v[14:15], v[14:15], v[20:21]
	v_div_scale_f64 v[20:21], vcc, 1.0, v[22:23], 1.0
	v_mul_f64 v[26:27], v[20:21], v[14:15]
	v_fma_f64 v[6:7], -v[6:7], v[26:27], v[20:21]
	s_nop 1
	v_div_fmas_f64 v[6:7], v[6:7], v[14:15], v[26:27]
	v_div_fixup_f64 v[14:15], v[6:7], v[22:23], 1.0
	v_add_f64 v[6:7], v[8:9], 0
	v_fma_f64 v[8:9], v[8:9], 0, -1.0
	v_mul_f64 v[6:7], v[6:7], v[14:15]
	v_mul_f64 v[8:9], v[8:9], v[14:15]
.LBB165_39:
	s_or_b64 exec, exec, s[0:1]
	v_cmp_neq_f64_e32 vcc, 0, v[16:17]
	v_cmp_neq_f64_e64 s[0:1], 0, v[18:19]
	v_mov_b64_e32 v[20:21], 0
	s_or_b64 s[0:1], vcc, s[0:1]
	s_and_saveexec_b64 s[12:13], s[0:1]
	s_cbranch_execz .LBB165_69
; %bb.40:
	v_mov_b32_e32 v20, 0
	v_mov_b32_e32 v21, 0x7ff00000
	v_cmp_neq_f64_e64 s[0:1], |v[18:19]|, v[20:21]
	s_and_saveexec_b64 s[14:15], s[0:1]
	s_cbranch_execz .LBB165_68
; %bb.41:
	v_cmp_o_f64_e32 vcc, v[16:17], v[16:17]
                                        ; implicit-def: $vgpr20_vgpr21
	s_and_saveexec_b64 s[0:1], vcc
	s_xor_b64 s[16:17], exec, s[0:1]
	s_cbranch_execz .LBB165_65
; %bb.42:
	s_mov_b32 s0, 0
	s_mov_b32 s1, 0x7ff00000
	v_cmp_neq_f64_e64 s[0:1], |v[16:17]|, s[0:1]
                                        ; implicit-def: $vgpr20_vgpr21
	s_and_saveexec_b64 s[2:3], s[0:1]
	s_xor_b64 s[18:19], exec, s[2:3]
	s_cbranch_execz .LBB165_58
; %bb.43:
	v_max_f64 v[14:15], |v[18:19]|, |v[18:19]|
	v_max_f64 v[20:21], |v[16:17]|, |v[16:17]|
	s_mov_b32 s0, 0x99fcef32
	v_max_f64 v[14:15], v[20:21], v[14:15]
	s_mov_b32 s1, 0x7fda8279
	v_cmp_nle_f64_e64 s[0:1], s[0:1], v[14:15]
                                        ; implicit-def: $sgpr20_sgpr21
	s_and_saveexec_b64 s[2:3], s[0:1]
	s_xor_b64 s[2:3], exec, s[2:3]
	s_cbranch_execz .LBB165_47
; %bb.44:
	s_mov_b32 s20, 0
	s_mov_b32 s21, 0x200000
	v_cmp_le_f64_e64 s[22:23], |v[16:17]|, s[20:21]
	v_cmp_le_f64_e64 s[20:21], |v[18:19]|, s[20:21]
	s_and_b64 s[26:27], s[22:23], s[20:21]
	s_mov_b64 s[20:21], 0
	s_and_saveexec_b64 s[22:23], s[26:27]
; %bb.45:
	s_mov_b64 s[20:21], exec
	v_mul_f64 v[16:17], v[16:17], 4.0
	v_mul_f64 v[18:19], v[18:19], 4.0
; %bb.46:
	s_or_b64 exec, exec, s[22:23]
.LBB165_47:
	s_andn2_saveexec_b64 s[2:3], s[2:3]
; %bb.48:
	v_ldexp_f64 v[16:17], v[16:17], -2
	v_ldexp_f64 v[18:19], v[18:19], -2
	s_andn2_b64 s[20:21], s[20:21], exec
; %bb.49:
	s_or_b64 exec, exec, s[2:3]
	v_max_f64 v[14:15], |v[18:19]|, |v[18:19]|
	v_max_f64 v[20:21], |v[16:17]|, |v[16:17]|
	v_max_f64 v[14:15], v[20:21], v[14:15]
	v_frexp_exp_i32_f64_e32 v1, v[14:15]
	v_sub_u32_e32 v20, 0, v1
	v_ldexp_f64 v[14:15], |v[16:17]|, v20
	v_ldexp_f64 v[20:21], |v[18:19]|, v20
	v_mul_f64 v[20:21], v[20:21], v[20:21]
	v_fmac_f64_e32 v[20:21], v[14:15], v[14:15]
	v_rsq_f64_e32 v[14:15], v[20:21]
	v_cmp_eq_f64_e64 s[2:3], 0, v[20:21]
	s_movk_i32 s7, 0x204
	v_cmp_class_f64_e64 s[22:23], v[18:19], s7
	v_mul_f64 v[22:23], v[20:21], v[14:15]
	v_mul_f64 v[14:15], v[14:15], 0.5
	v_fma_f64 v[26:27], -v[14:15], v[22:23], 0.5
	v_fmac_f64_e32 v[22:23], v[22:23], v[26:27]
	v_fmac_f64_e32 v[14:15], v[14:15], v[26:27]
	v_fma_f64 v[26:27], -v[22:23], v[22:23], v[20:21]
	v_fmac_f64_e32 v[22:23], v[26:27], v[14:15]
	v_cndmask_b32_e64 v15, v23, v21, s[2:3]
	v_cndmask_b32_e64 v14, v22, v20, s[2:3]
	v_ldexp_f64 v[14:15], v[14:15], v1
	v_cmp_o_f64_e64 s[2:3], v[18:19], v[18:19]
	v_cmp_le_f64_e32 vcc, 0, v[16:17]
                                        ; implicit-def: $vgpr22_vgpr23
	s_nop 0
	v_cndmask_b32_e64 v1, 0, v14, s[2:3]
	v_mov_b32_e32 v14, 0x7ff80000
	v_cndmask_b32_e64 v14, v14, v15, s[2:3]
	v_cmp_class_f64_e64 s[2:3], v[16:17], s7
	v_mov_b32_e32 v15, 0x7ff00000
	s_or_b64 s[2:3], s[22:23], s[2:3]
	v_cndmask_b32_e64 v21, v14, v15, s[2:3]
	v_cndmask_b32_e64 v20, v1, 0, s[2:3]
                                        ; implicit-def: $vgpr14_vgpr15
	s_and_saveexec_b64 s[2:3], vcc
	s_xor_b64 s[2:3], exec, s[2:3]
	s_cbranch_execz .LBB165_51
; %bb.50:
	v_add_f64 v[14:15], v[16:17], v[20:21]
	s_mov_b32 s22, 0
	v_mul_f64 v[14:15], v[14:15], 0.5
	s_brev_b32 s23, 8
	v_mov_b32_e32 v1, 0x100
	v_cmp_gt_f64_e32 vcc, s[22:23], v[14:15]
	s_nop 1
	v_cndmask_b32_e32 v1, 0, v1, vcc
	v_ldexp_f64 v[14:15], v[14:15], v1
	v_rsq_f64_e32 v[16:17], v[14:15]
	v_mov_b32_e32 v1, 0xffffff80
	v_cndmask_b32_e32 v1, 0, v1, vcc
	v_mul_f64 v[20:21], v[14:15], v[16:17]
	v_mul_f64 v[16:17], v[16:17], 0.5
	v_fma_f64 v[22:23], -v[16:17], v[20:21], 0.5
	v_fmac_f64_e32 v[20:21], v[20:21], v[22:23]
	v_fma_f64 v[26:27], -v[20:21], v[20:21], v[14:15]
	v_fmac_f64_e32 v[16:17], v[16:17], v[22:23]
	v_fmac_f64_e32 v[20:21], v[26:27], v[16:17]
	v_fma_f64 v[22:23], -v[20:21], v[20:21], v[14:15]
	v_fmac_f64_e32 v[20:21], v[22:23], v[16:17]
	v_ldexp_f64 v[16:17], v[20:21], v1
	v_mov_b32_e32 v1, 0x260
	v_cmp_class_f64_e32 vcc, v[14:15], v1
	s_nop 1
	v_cndmask_b32_e32 v23, v17, v15, vcc
	v_cndmask_b32_e32 v22, v16, v14, vcc
	v_add_f64 v[14:15], v[22:23], v[22:23]
	v_div_scale_f64 v[16:17], s[22:23], v[14:15], v[14:15], v[18:19]
	v_rcp_f64_e32 v[20:21], v[16:17]
	s_nop 0
	v_fma_f64 v[26:27], -v[16:17], v[20:21], 1.0
	v_fmac_f64_e32 v[20:21], v[20:21], v[26:27]
	v_fma_f64 v[26:27], -v[16:17], v[20:21], 1.0
	v_fmac_f64_e32 v[20:21], v[20:21], v[26:27]
	v_div_scale_f64 v[26:27], vcc, v[18:19], v[14:15], v[18:19]
	v_mul_f64 v[28:29], v[26:27], v[20:21]
	v_fma_f64 v[16:17], -v[16:17], v[28:29], v[26:27]
	s_nop 1
	v_div_fmas_f64 v[16:17], v[16:17], v[20:21], v[28:29]
	v_div_fixup_f64 v[14:15], v[16:17], v[14:15], v[18:19]
                                        ; implicit-def: $vgpr20_vgpr21
                                        ; implicit-def: $vgpr16_vgpr17
	s_andn2_saveexec_b64 s[2:3], s[2:3]
	s_cbranch_execz .LBB165_53
	s_branch .LBB165_52
.LBB165_51:
	s_andn2_saveexec_b64 s[2:3], s[2:3]
	s_cbranch_execz .LBB165_53
.LBB165_52:
	v_add_f64 v[14:15], v[20:21], -v[16:17]
	s_mov_b32 s22, 0
	v_mul_f64 v[14:15], v[14:15], 0.5
	s_brev_b32 s23, 8
	v_mov_b32_e32 v1, 0x100
	v_cmp_gt_f64_e32 vcc, s[22:23], v[14:15]
	s_brev_b32 s7, -2
	s_nop 0
	v_cndmask_b32_e32 v1, 0, v1, vcc
	v_ldexp_f64 v[14:15], v[14:15], v1
	v_rsq_f64_e32 v[16:17], v[14:15]
	v_mov_b32_e32 v1, 0xffffff80
	v_cndmask_b32_e32 v1, 0, v1, vcc
	v_mul_f64 v[20:21], v[14:15], v[16:17]
	v_mul_f64 v[16:17], v[16:17], 0.5
	v_fma_f64 v[22:23], -v[16:17], v[20:21], 0.5
	v_fmac_f64_e32 v[20:21], v[20:21], v[22:23]
	v_fma_f64 v[26:27], -v[20:21], v[20:21], v[14:15]
	v_fmac_f64_e32 v[16:17], v[16:17], v[22:23]
	v_fmac_f64_e32 v[20:21], v[26:27], v[16:17]
	v_fma_f64 v[22:23], -v[20:21], v[20:21], v[14:15]
	v_fmac_f64_e32 v[20:21], v[22:23], v[16:17]
	v_ldexp_f64 v[16:17], v[20:21], v1
	v_mov_b32_e32 v1, 0x260
	v_cmp_class_f64_e32 vcc, v[14:15], v1
	v_and_b32_e32 v21, 0x7fffffff, v19
	v_mov_b32_e32 v20, v18
	v_cndmask_b32_e32 v15, v17, v15, vcc
	v_cndmask_b32_e32 v14, v16, v14, vcc
	v_add_f64 v[16:17], v[14:15], v[14:15]
	v_div_scale_f64 v[22:23], s[22:23], v[16:17], v[16:17], v[20:21]
	v_rcp_f64_e32 v[26:27], v[22:23]
	v_div_scale_f64 v[20:21], vcc, v[20:21], v[16:17], v[20:21]
	v_bfi_b32 v15, s7, v15, v19
	v_fma_f64 v[28:29], -v[22:23], v[26:27], 1.0
	v_fmac_f64_e32 v[26:27], v[26:27], v[28:29]
	v_fma_f64 v[28:29], -v[22:23], v[26:27], 1.0
	v_fmac_f64_e32 v[26:27], v[26:27], v[28:29]
	v_mul_f64 v[28:29], v[20:21], v[26:27]
	v_fma_f64 v[20:21], -v[22:23], v[28:29], v[20:21]
	v_div_fmas_f64 v[20:21], v[20:21], v[26:27], v[28:29]
	v_div_fixup_f64 v[22:23], v[20:21], v[16:17], |v[18:19]|
.LBB165_53:
	s_or_b64 exec, exec, s[2:3]
                                        ; implicit-def: $vgpr18_vgpr19
                                        ; implicit-def: $vgpr20_vgpr21
	s_and_saveexec_b64 s[2:3], s[0:1]
	s_xor_b64 s[0:1], exec, s[2:3]
	s_cbranch_execz .LBB165_55
; %bb.54:
	v_mul_f64 v[16:17], v[22:23], 0.5
	v_mul_f64 v[18:19], v[14:15], 0.5
	v_cndmask_b32_e64 v21, v23, v17, s[20:21]
	v_cndmask_b32_e64 v20, v22, v16, s[20:21]
	;; [unrolled: 1-line block ×4, first 2 shown]
                                        ; implicit-def: $vgpr22_vgpr23
                                        ; implicit-def: $vgpr14_vgpr15
	s_andn2_saveexec_b64 s[0:1], s[0:1]
	s_cbranch_execnz .LBB165_56
	s_branch .LBB165_57
.LBB165_55:
	s_andn2_saveexec_b64 s[0:1], s[0:1]
.LBB165_56:
	v_add_f64 v[20:21], v[22:23], v[22:23]
	v_add_f64 v[18:19], v[14:15], v[14:15]
.LBB165_57:
	s_or_b64 exec, exec, s[0:1]
.LBB165_58:
	s_andn2_saveexec_b64 s[0:1], s[18:19]
	s_cbranch_execz .LBB165_64
; %bb.59:
	v_add_f64 v[14:15], v[18:19], -v[18:19]
	v_cmp_lt_i64_e32 vcc, -1, v[16:17]
	s_brev_b32 s7, -2
	v_and_b32_e32 v21, 0x7fffffff, v15
	v_mov_b32_e32 v20, v14
	s_and_saveexec_b64 s[2:3], vcc
	s_xor_b64 s[2:3], exec, s[2:3]
; %bb.60:
	v_bfi_b32 v15, s7, v15, v19
	v_mov_b64_e32 v[18:19], v[14:15]
	v_mov_b64_e32 v[20:21], v[16:17]
; %bb.61:
	s_andn2_saveexec_b64 s[2:3], s[2:3]
; %bb.62:
	v_bfi_b32 v17, s7, v17, v19
	v_mov_b64_e32 v[18:19], v[16:17]
; %bb.63:
	s_or_b64 exec, exec, s[2:3]
.LBB165_64:
	s_or_b64 exec, exec, s[0:1]
.LBB165_65:
	s_andn2_saveexec_b64 s[0:1], s[16:17]
	s_cbranch_execz .LBB165_67
; %bb.66:
	v_add_f64 v[14:15], v[18:19], -v[18:19]
	v_div_scale_f64 v[18:19], vcc, v[14:15], v[14:15], v[14:15]
	v_rcp_f64_e32 v[20:21], v[18:19]
	s_nop 0
	v_fma_f64 v[22:23], -v[18:19], v[20:21], 1.0
	v_fmac_f64_e32 v[20:21], v[20:21], v[22:23]
	v_fma_f64 v[22:23], -v[18:19], v[20:21], 1.0
	v_fmac_f64_e32 v[20:21], v[20:21], v[22:23]
	v_mul_f64 v[22:23], v[18:19], v[20:21]
	v_fma_f64 v[18:19], -v[18:19], v[22:23], v[18:19]
	v_div_fmas_f64 v[18:19], v[18:19], v[20:21], v[22:23]
	v_div_fixup_f64 v[18:19], v[18:19], v[14:15], v[14:15]
	v_mov_b64_e32 v[20:21], v[16:17]
.LBB165_67:
	s_or_b64 exec, exec, s[0:1]
.LBB165_68:
	s_or_b64 exec, exec, s[14:15]
.LBB165_69:
	s_or_b64 exec, exec, s[12:13]
	v_xor_b32_e32 v1, 0x80000000, v21
	v_cmp_gt_f64_e32 vcc, 0, v[20:21]
	v_mov_b32_e32 v26, v20
	v_mov_b32_e32 v22, v18
	v_cndmask_b32_e32 v27, v21, v1, vcc
	v_xor_b32_e32 v1, 0x80000000, v19
	v_cmp_gt_f64_e32 vcc, 0, v[18:19]
                                        ; implicit-def: $vgpr16_vgpr17
	s_nop 1
	v_cndmask_b32_e32 v23, v19, v1, vcc
	v_cmp_ge_f64_e32 vcc, v[26:27], v[22:23]
	s_and_saveexec_b64 s[0:1], vcc
	s_xor_b64 s[2:3], exec, s[0:1]
	s_cbranch_execz .LBB165_75
; %bb.70:
	v_cmp_neq_f64_e32 vcc, 0, v[20:21]
	v_cmp_neq_f64_e64 s[0:1], 0, v[18:19]
	s_or_b64 s[0:1], vcc, s[0:1]
                                        ; implicit-def: $vgpr16_vgpr17
	s_and_saveexec_b64 s[12:13], s[0:1]
	s_xor_b64 s[0:1], exec, s[12:13]
	s_cbranch_execz .LBB165_72
; %bb.71:
	v_div_scale_f64 v[14:15], s[12:13], v[20:21], v[20:21], v[18:19]
	v_rcp_f64_e32 v[16:17], v[14:15]
	v_div_scale_f64 v[22:23], vcc, v[18:19], v[20:21], v[18:19]
	v_fma_f64 v[26:27], -v[14:15], v[16:17], 1.0
	v_fmac_f64_e32 v[16:17], v[16:17], v[26:27]
	v_fma_f64 v[26:27], -v[14:15], v[16:17], 1.0
	v_fmac_f64_e32 v[16:17], v[16:17], v[26:27]
	v_mul_f64 v[26:27], v[22:23], v[16:17]
	v_fma_f64 v[14:15], -v[14:15], v[26:27], v[22:23]
	v_div_fmas_f64 v[14:15], v[14:15], v[16:17], v[26:27]
	v_div_fixup_f64 v[16:17], v[14:15], v[20:21], v[18:19]
	v_fmac_f64_e32 v[20:21], v[18:19], v[16:17]
	v_div_scale_f64 v[14:15], s[12:13], v[20:21], v[20:21], 1.0
	v_rcp_f64_e32 v[18:19], v[14:15]
	s_nop 0
	v_fma_f64 v[22:23], -v[14:15], v[18:19], 1.0
	v_fmac_f64_e32 v[18:19], v[18:19], v[22:23]
	v_fma_f64 v[22:23], -v[14:15], v[18:19], 1.0
	v_fmac_f64_e32 v[18:19], v[18:19], v[22:23]
	v_div_scale_f64 v[22:23], vcc, 1.0, v[20:21], 1.0
	v_mul_f64 v[26:27], v[22:23], v[18:19]
	v_fma_f64 v[14:15], -v[14:15], v[26:27], v[22:23]
                                        ; implicit-def: $vgpr22_vgpr23
	s_nop 1
	v_div_fmas_f64 v[14:15], v[14:15], v[18:19], v[26:27]
	v_div_fixup_f64 v[18:19], v[14:15], v[20:21], 1.0
	v_fma_f64 v[14:15], v[16:17], 0, 1.0
	v_add_f64 v[16:17], -v[16:17], 0
	v_mul_f64 v[14:15], v[14:15], v[18:19]
	v_mul_f64 v[16:17], v[16:17], v[18:19]
                                        ; implicit-def: $vgpr26_vgpr27
.LBB165_72:
	s_andn2_saveexec_b64 s[0:1], s[0:1]
	s_cbranch_execz .LBB165_74
; %bb.73:
	v_div_scale_f64 v[14:15], s[12:13], v[26:27], v[26:27], 1.0
	v_rcp_f64_e32 v[16:17], v[14:15]
	v_div_scale_f64 v[18:19], vcc, 1.0, v[26:27], 1.0
	v_fma_f64 v[20:21], -v[14:15], v[16:17], 1.0
	v_fmac_f64_e32 v[16:17], v[16:17], v[20:21]
	v_fma_f64 v[20:21], -v[14:15], v[16:17], 1.0
	v_fmac_f64_e32 v[16:17], v[16:17], v[20:21]
	v_mul_f64 v[20:21], v[18:19], v[16:17]
	v_fma_f64 v[14:15], -v[14:15], v[20:21], v[18:19]
	v_div_scale_f64 v[18:19], s[12:13], v[22:23], v[22:23], 0
	v_rcp_f64_e32 v[28:29], v[18:19]
	v_div_fmas_f64 v[14:15], v[14:15], v[16:17], v[20:21]
	v_div_fixup_f64 v[14:15], v[14:15], v[26:27], 1.0
	v_fma_f64 v[16:17], -v[18:19], v[28:29], 1.0
	v_fmac_f64_e32 v[28:29], v[28:29], v[16:17]
	v_fma_f64 v[16:17], -v[18:19], v[28:29], 1.0
	v_fmac_f64_e32 v[28:29], v[28:29], v[16:17]
	v_div_scale_f64 v[16:17], vcc, 0, v[22:23], 0
	v_mul_f64 v[20:21], v[16:17], v[28:29]
	v_fma_f64 v[16:17], -v[18:19], v[20:21], v[16:17]
	s_nop 1
	v_div_fmas_f64 v[16:17], v[16:17], v[28:29], v[20:21]
	v_div_fixup_f64 v[16:17], v[16:17], v[22:23], 0
.LBB165_74:
	s_or_b64 exec, exec, s[0:1]
                                        ; implicit-def: $vgpr18_vgpr19
                                        ; implicit-def: $vgpr20_vgpr21
.LBB165_75:
	s_andn2_saveexec_b64 s[0:1], s[2:3]
	s_cbranch_execz .LBB165_77
; %bb.76:
	v_div_scale_f64 v[14:15], s[2:3], v[18:19], v[18:19], v[20:21]
	v_rcp_f64_e32 v[16:17], v[14:15]
	v_div_scale_f64 v[22:23], vcc, v[20:21], v[18:19], v[20:21]
	v_fma_f64 v[26:27], -v[14:15], v[16:17], 1.0
	v_fmac_f64_e32 v[16:17], v[16:17], v[26:27]
	v_fma_f64 v[26:27], -v[14:15], v[16:17], 1.0
	v_fmac_f64_e32 v[16:17], v[16:17], v[26:27]
	v_mul_f64 v[26:27], v[22:23], v[16:17]
	v_fma_f64 v[14:15], -v[14:15], v[26:27], v[22:23]
	v_div_fmas_f64 v[14:15], v[14:15], v[16:17], v[26:27]
	v_div_fixup_f64 v[16:17], v[14:15], v[18:19], v[20:21]
	v_fmac_f64_e32 v[18:19], v[20:21], v[16:17]
	v_div_scale_f64 v[14:15], s[2:3], v[18:19], v[18:19], 1.0
	v_rcp_f64_e32 v[20:21], v[14:15]
	s_nop 0
	v_fma_f64 v[22:23], -v[14:15], v[20:21], 1.0
	v_fmac_f64_e32 v[20:21], v[20:21], v[22:23]
	v_fma_f64 v[22:23], -v[14:15], v[20:21], 1.0
	v_fmac_f64_e32 v[20:21], v[20:21], v[22:23]
	v_div_scale_f64 v[22:23], vcc, 1.0, v[18:19], 1.0
	v_mul_f64 v[26:27], v[22:23], v[20:21]
	v_fma_f64 v[14:15], -v[14:15], v[26:27], v[22:23]
	s_nop 1
	v_div_fmas_f64 v[14:15], v[14:15], v[20:21], v[26:27]
	v_div_fixup_f64 v[18:19], v[14:15], v[18:19], 1.0
	v_add_f64 v[14:15], v[16:17], 0
	v_fma_f64 v[16:17], v[16:17], 0, -1.0
	v_mul_f64 v[14:15], v[14:15], v[18:19]
	v_mul_f64 v[16:17], v[16:17], v[18:19]
.LBB165_77:
	s_or_b64 exec, exec, s[0:1]
	s_waitcnt vmcnt(1)
	v_cmp_neq_f64_e32 vcc, 0, v[10:11]
	v_cmp_neq_f64_e64 s[0:1], 0, v[12:13]
	v_mov_b64_e32 v[22:23], 0
	s_or_b64 s[0:1], vcc, s[0:1]
	s_and_saveexec_b64 s[12:13], s[0:1]
	s_cbranch_execz .LBB165_107
; %bb.78:
	v_mov_b32_e32 v22, 0
	v_mov_b32_e32 v23, 0x7ff00000
	v_cmp_neq_f64_e64 s[0:1], |v[12:13]|, v[22:23]
	s_and_saveexec_b64 s[14:15], s[0:1]
	s_cbranch_execz .LBB165_106
; %bb.79:
	v_cmp_o_f64_e32 vcc, v[10:11], v[10:11]
                                        ; implicit-def: $vgpr22_vgpr23
	s_and_saveexec_b64 s[0:1], vcc
	s_xor_b64 s[16:17], exec, s[0:1]
	s_cbranch_execz .LBB165_103
; %bb.80:
	s_mov_b32 s0, 0
	s_mov_b32 s1, 0x7ff00000
	v_cmp_neq_f64_e64 s[0:1], |v[10:11]|, s[0:1]
                                        ; implicit-def: $vgpr22_vgpr23
	s_and_saveexec_b64 s[2:3], s[0:1]
	s_xor_b64 s[18:19], exec, s[2:3]
	s_cbranch_execz .LBB165_96
; %bb.81:
	v_max_f64 v[18:19], |v[12:13]|, |v[12:13]|
	v_max_f64 v[20:21], |v[10:11]|, |v[10:11]|
	s_mov_b32 s0, 0x99fcef32
	v_max_f64 v[18:19], v[20:21], v[18:19]
	s_mov_b32 s1, 0x7fda8279
	v_cmp_nle_f64_e64 s[0:1], s[0:1], v[18:19]
                                        ; implicit-def: $sgpr20_sgpr21
	s_and_saveexec_b64 s[2:3], s[0:1]
	s_xor_b64 s[2:3], exec, s[2:3]
	s_cbranch_execz .LBB165_85
; %bb.82:
	s_mov_b32 s20, 0
	s_mov_b32 s21, 0x200000
	v_cmp_le_f64_e64 s[22:23], |v[10:11]|, s[20:21]
	v_cmp_le_f64_e64 s[20:21], |v[12:13]|, s[20:21]
	s_and_b64 s[26:27], s[22:23], s[20:21]
	s_mov_b64 s[20:21], 0
	s_and_saveexec_b64 s[22:23], s[26:27]
; %bb.83:
	s_mov_b64 s[20:21], exec
	v_mul_f64 v[10:11], v[10:11], 4.0
	v_mul_f64 v[12:13], v[12:13], 4.0
; %bb.84:
	s_or_b64 exec, exec, s[22:23]
.LBB165_85:
	s_andn2_saveexec_b64 s[2:3], s[2:3]
; %bb.86:
	v_ldexp_f64 v[10:11], v[10:11], -2
	v_ldexp_f64 v[12:13], v[12:13], -2
	s_andn2_b64 s[20:21], s[20:21], exec
; %bb.87:
	s_or_b64 exec, exec, s[2:3]
	v_max_f64 v[18:19], |v[12:13]|, |v[12:13]|
	v_max_f64 v[20:21], |v[10:11]|, |v[10:11]|
	v_max_f64 v[18:19], v[20:21], v[18:19]
	v_frexp_exp_i32_f64_e32 v1, v[18:19]
	v_sub_u32_e32 v20, 0, v1
	v_ldexp_f64 v[18:19], |v[10:11]|, v20
	v_ldexp_f64 v[20:21], |v[12:13]|, v20
	v_mul_f64 v[20:21], v[20:21], v[20:21]
	v_fmac_f64_e32 v[20:21], v[18:19], v[18:19]
	v_rsq_f64_e32 v[18:19], v[20:21]
	v_cmp_eq_f64_e64 s[2:3], 0, v[20:21]
	s_movk_i32 s7, 0x204
	v_cmp_class_f64_e64 s[22:23], v[12:13], s7
	v_mul_f64 v[22:23], v[20:21], v[18:19]
	v_mul_f64 v[18:19], v[18:19], 0.5
	v_fma_f64 v[26:27], -v[18:19], v[22:23], 0.5
	v_fmac_f64_e32 v[22:23], v[22:23], v[26:27]
	v_fmac_f64_e32 v[18:19], v[18:19], v[26:27]
	v_fma_f64 v[26:27], -v[22:23], v[22:23], v[20:21]
	v_fmac_f64_e32 v[22:23], v[26:27], v[18:19]
	v_cndmask_b32_e64 v19, v23, v21, s[2:3]
	v_cndmask_b32_e64 v18, v22, v20, s[2:3]
	v_ldexp_f64 v[18:19], v[18:19], v1
	v_cmp_o_f64_e64 s[2:3], v[12:13], v[12:13]
	v_cmp_le_f64_e32 vcc, 0, v[10:11]
                                        ; implicit-def: $vgpr20_vgpr21
	s_nop 0
	v_cndmask_b32_e64 v1, 0, v18, s[2:3]
	v_mov_b32_e32 v18, 0x7ff80000
	v_cndmask_b32_e64 v18, v18, v19, s[2:3]
	v_cmp_class_f64_e64 s[2:3], v[10:11], s7
	v_mov_b32_e32 v19, 0x7ff00000
	s_or_b64 s[2:3], s[22:23], s[2:3]
	v_cndmask_b32_e64 v23, v18, v19, s[2:3]
	v_cndmask_b32_e64 v22, v1, 0, s[2:3]
                                        ; implicit-def: $vgpr18_vgpr19
	s_and_saveexec_b64 s[2:3], vcc
	s_xor_b64 s[2:3], exec, s[2:3]
	s_cbranch_execz .LBB165_89
; %bb.88:
	v_add_f64 v[10:11], v[10:11], v[22:23]
	s_mov_b32 s22, 0
	v_mul_f64 v[10:11], v[10:11], 0.5
	s_brev_b32 s23, 8
	v_mov_b32_e32 v1, 0x100
	v_cmp_gt_f64_e32 vcc, s[22:23], v[10:11]
	s_nop 1
	v_cndmask_b32_e32 v1, 0, v1, vcc
	v_ldexp_f64 v[10:11], v[10:11], v1
	v_rsq_f64_e32 v[18:19], v[10:11]
	v_mov_b32_e32 v1, 0xffffff80
	v_cndmask_b32_e32 v1, 0, v1, vcc
	v_mul_f64 v[20:21], v[10:11], v[18:19]
	v_mul_f64 v[18:19], v[18:19], 0.5
	v_fma_f64 v[22:23], -v[18:19], v[20:21], 0.5
	v_fmac_f64_e32 v[20:21], v[20:21], v[22:23]
	v_fma_f64 v[26:27], -v[20:21], v[20:21], v[10:11]
	v_fmac_f64_e32 v[18:19], v[18:19], v[22:23]
	v_fmac_f64_e32 v[20:21], v[26:27], v[18:19]
	v_fma_f64 v[22:23], -v[20:21], v[20:21], v[10:11]
	v_fmac_f64_e32 v[20:21], v[22:23], v[18:19]
	v_ldexp_f64 v[18:19], v[20:21], v1
	v_mov_b32_e32 v1, 0x260
	v_cmp_class_f64_e32 vcc, v[10:11], v1
	s_nop 1
	v_cndmask_b32_e32 v21, v19, v11, vcc
	v_cndmask_b32_e32 v20, v18, v10, vcc
	v_add_f64 v[10:11], v[20:21], v[20:21]
	v_div_scale_f64 v[18:19], s[22:23], v[10:11], v[10:11], v[12:13]
	v_rcp_f64_e32 v[22:23], v[18:19]
	s_nop 0
	v_fma_f64 v[26:27], -v[18:19], v[22:23], 1.0
	v_fmac_f64_e32 v[22:23], v[22:23], v[26:27]
	v_fma_f64 v[26:27], -v[18:19], v[22:23], 1.0
	v_fmac_f64_e32 v[22:23], v[22:23], v[26:27]
	v_div_scale_f64 v[26:27], vcc, v[12:13], v[10:11], v[12:13]
	v_mul_f64 v[28:29], v[26:27], v[22:23]
	v_fma_f64 v[18:19], -v[18:19], v[28:29], v[26:27]
	s_nop 1
	v_div_fmas_f64 v[18:19], v[18:19], v[22:23], v[28:29]
	v_div_fixup_f64 v[18:19], v[18:19], v[10:11], v[12:13]
                                        ; implicit-def: $vgpr22_vgpr23
                                        ; implicit-def: $vgpr10_vgpr11
	s_andn2_saveexec_b64 s[2:3], s[2:3]
	s_cbranch_execz .LBB165_91
	s_branch .LBB165_90
.LBB165_89:
	s_andn2_saveexec_b64 s[2:3], s[2:3]
	s_cbranch_execz .LBB165_91
.LBB165_90:
	v_add_f64 v[10:11], v[22:23], -v[10:11]
	s_mov_b32 s22, 0
	v_mul_f64 v[10:11], v[10:11], 0.5
	s_brev_b32 s23, 8
	v_mov_b32_e32 v1, 0x100
	v_cmp_gt_f64_e32 vcc, s[22:23], v[10:11]
	s_brev_b32 s7, -2
	s_nop 0
	v_cndmask_b32_e32 v1, 0, v1, vcc
	v_ldexp_f64 v[10:11], v[10:11], v1
	v_rsq_f64_e32 v[18:19], v[10:11]
	v_mov_b32_e32 v1, 0xffffff80
	v_cndmask_b32_e32 v1, 0, v1, vcc
	v_mul_f64 v[20:21], v[10:11], v[18:19]
	v_mul_f64 v[18:19], v[18:19], 0.5
	v_fma_f64 v[22:23], -v[18:19], v[20:21], 0.5
	v_fmac_f64_e32 v[20:21], v[20:21], v[22:23]
	v_fma_f64 v[26:27], -v[20:21], v[20:21], v[10:11]
	v_fmac_f64_e32 v[18:19], v[18:19], v[22:23]
	v_fmac_f64_e32 v[20:21], v[26:27], v[18:19]
	v_fma_f64 v[22:23], -v[20:21], v[20:21], v[10:11]
	v_fmac_f64_e32 v[20:21], v[22:23], v[18:19]
	v_ldexp_f64 v[18:19], v[20:21], v1
	v_mov_b32_e32 v1, 0x260
	v_cmp_class_f64_e32 vcc, v[10:11], v1
	v_and_b32_e32 v21, 0x7fffffff, v13
	v_mov_b32_e32 v20, v12
	v_cndmask_b32_e32 v19, v19, v11, vcc
	v_cndmask_b32_e32 v18, v18, v10, vcc
	v_add_f64 v[10:11], v[18:19], v[18:19]
	v_div_scale_f64 v[22:23], s[22:23], v[10:11], v[10:11], v[20:21]
	v_rcp_f64_e32 v[26:27], v[22:23]
	v_div_scale_f64 v[20:21], vcc, v[20:21], v[10:11], v[20:21]
	v_bfi_b32 v19, s7, v19, v13
	v_fma_f64 v[28:29], -v[22:23], v[26:27], 1.0
	v_fmac_f64_e32 v[26:27], v[26:27], v[28:29]
	v_fma_f64 v[28:29], -v[22:23], v[26:27], 1.0
	v_fmac_f64_e32 v[26:27], v[26:27], v[28:29]
	v_mul_f64 v[28:29], v[20:21], v[26:27]
	v_fma_f64 v[20:21], -v[22:23], v[28:29], v[20:21]
	v_div_fmas_f64 v[20:21], v[20:21], v[26:27], v[28:29]
	v_div_fixup_f64 v[20:21], v[20:21], v[10:11], |v[12:13]|
.LBB165_91:
	s_or_b64 exec, exec, s[2:3]
                                        ; implicit-def: $vgpr12_vgpr13
                                        ; implicit-def: $vgpr22_vgpr23
	s_and_saveexec_b64 s[2:3], s[0:1]
	s_xor_b64 s[0:1], exec, s[2:3]
	s_cbranch_execz .LBB165_93
; %bb.92:
	v_mul_f64 v[10:11], v[20:21], 0.5
	v_mul_f64 v[12:13], v[18:19], 0.5
	v_cndmask_b32_e64 v23, v21, v11, s[20:21]
	v_cndmask_b32_e64 v22, v20, v10, s[20:21]
	;; [unrolled: 1-line block ×4, first 2 shown]
                                        ; implicit-def: $vgpr20_vgpr21
                                        ; implicit-def: $vgpr18_vgpr19
	s_andn2_saveexec_b64 s[0:1], s[0:1]
	s_cbranch_execnz .LBB165_94
	s_branch .LBB165_95
.LBB165_93:
	s_andn2_saveexec_b64 s[0:1], s[0:1]
.LBB165_94:
	v_add_f64 v[22:23], v[20:21], v[20:21]
	v_add_f64 v[12:13], v[18:19], v[18:19]
.LBB165_95:
	s_or_b64 exec, exec, s[0:1]
.LBB165_96:
	s_andn2_saveexec_b64 s[0:1], s[18:19]
	s_cbranch_execz .LBB165_102
; %bb.97:
	v_add_f64 v[18:19], v[12:13], -v[12:13]
	v_cmp_lt_i64_e32 vcc, -1, v[10:11]
	s_brev_b32 s7, -2
	v_and_b32_e32 v23, 0x7fffffff, v19
	v_mov_b32_e32 v22, v18
	s_and_saveexec_b64 s[2:3], vcc
	s_xor_b64 s[2:3], exec, s[2:3]
; %bb.98:
	v_bfi_b32 v19, s7, v19, v13
	v_mov_b64_e32 v[12:13], v[18:19]
	v_mov_b64_e32 v[22:23], v[10:11]
; %bb.99:
	s_andn2_saveexec_b64 s[2:3], s[2:3]
; %bb.100:
	v_bfi_b32 v11, s7, v11, v13
	v_mov_b64_e32 v[12:13], v[10:11]
; %bb.101:
	s_or_b64 exec, exec, s[2:3]
.LBB165_102:
	s_or_b64 exec, exec, s[0:1]
.LBB165_103:
	s_andn2_saveexec_b64 s[0:1], s[16:17]
	s_cbranch_execz .LBB165_105
; %bb.104:
	v_add_f64 v[12:13], v[12:13], -v[12:13]
	v_div_scale_f64 v[18:19], vcc, v[12:13], v[12:13], v[12:13]
	v_rcp_f64_e32 v[20:21], v[18:19]
	s_nop 0
	v_fma_f64 v[22:23], -v[18:19], v[20:21], 1.0
	v_fmac_f64_e32 v[20:21], v[20:21], v[22:23]
	v_fma_f64 v[22:23], -v[18:19], v[20:21], 1.0
	v_fmac_f64_e32 v[20:21], v[20:21], v[22:23]
	v_mul_f64 v[22:23], v[18:19], v[20:21]
	v_fma_f64 v[18:19], -v[18:19], v[22:23], v[18:19]
	v_div_fmas_f64 v[18:19], v[18:19], v[20:21], v[22:23]
	v_div_fixup_f64 v[12:13], v[18:19], v[12:13], v[12:13]
	v_mov_b64_e32 v[22:23], v[10:11]
.LBB165_105:
	s_or_b64 exec, exec, s[0:1]
.LBB165_106:
	s_or_b64 exec, exec, s[14:15]
.LBB165_107:
	s_or_b64 exec, exec, s[12:13]
	v_xor_b32_e32 v1, 0x80000000, v23
	v_cmp_gt_f64_e32 vcc, 0, v[22:23]
	v_mov_b32_e32 v26, v22
	v_mov_b32_e32 v10, v12
	v_cndmask_b32_e32 v27, v23, v1, vcc
	v_xor_b32_e32 v1, 0x80000000, v13
	v_cmp_gt_f64_e32 vcc, 0, v[12:13]
                                        ; implicit-def: $vgpr20_vgpr21
	s_nop 1
	v_cndmask_b32_e32 v11, v13, v1, vcc
	v_cmp_ge_f64_e32 vcc, v[26:27], v[10:11]
	s_and_saveexec_b64 s[0:1], vcc
	s_xor_b64 s[2:3], exec, s[0:1]
	s_cbranch_execz .LBB165_113
; %bb.108:
	v_cmp_neq_f64_e32 vcc, 0, v[22:23]
	v_cmp_neq_f64_e64 s[0:1], 0, v[12:13]
	s_or_b64 s[0:1], vcc, s[0:1]
                                        ; implicit-def: $vgpr20_vgpr21
	s_and_saveexec_b64 s[12:13], s[0:1]
	s_xor_b64 s[0:1], exec, s[12:13]
	s_cbranch_execz .LBB165_110
; %bb.109:
	v_div_scale_f64 v[10:11], s[12:13], v[22:23], v[22:23], v[12:13]
	v_rcp_f64_e32 v[18:19], v[10:11]
	v_div_scale_f64 v[20:21], vcc, v[12:13], v[22:23], v[12:13]
	v_fma_f64 v[26:27], -v[10:11], v[18:19], 1.0
	v_fmac_f64_e32 v[18:19], v[18:19], v[26:27]
	v_fma_f64 v[26:27], -v[10:11], v[18:19], 1.0
	v_fmac_f64_e32 v[18:19], v[18:19], v[26:27]
	v_mul_f64 v[26:27], v[20:21], v[18:19]
	v_fma_f64 v[10:11], -v[10:11], v[26:27], v[20:21]
	v_div_fmas_f64 v[10:11], v[10:11], v[18:19], v[26:27]
	v_div_fixup_f64 v[10:11], v[10:11], v[22:23], v[12:13]
	v_fmac_f64_e32 v[22:23], v[12:13], v[10:11]
	v_div_scale_f64 v[12:13], s[12:13], v[22:23], v[22:23], 1.0
	v_rcp_f64_e32 v[18:19], v[12:13]
	s_nop 0
	v_fma_f64 v[20:21], -v[12:13], v[18:19], 1.0
	v_fmac_f64_e32 v[18:19], v[18:19], v[20:21]
	v_fma_f64 v[20:21], -v[12:13], v[18:19], 1.0
	v_fmac_f64_e32 v[18:19], v[18:19], v[20:21]
	v_div_scale_f64 v[20:21], vcc, 1.0, v[22:23], 1.0
	v_mul_f64 v[26:27], v[20:21], v[18:19]
	v_fma_f64 v[12:13], -v[12:13], v[26:27], v[20:21]
	s_nop 1
	v_div_fmas_f64 v[12:13], v[12:13], v[18:19], v[26:27]
	v_div_fixup_f64 v[12:13], v[12:13], v[22:23], 1.0
	v_fma_f64 v[18:19], v[10:11], 0, 1.0
	v_add_f64 v[10:11], -v[10:11], 0
	v_mul_f64 v[18:19], v[18:19], v[12:13]
	v_mul_f64 v[20:21], v[10:11], v[12:13]
                                        ; implicit-def: $vgpr26_vgpr27
                                        ; implicit-def: $vgpr10_vgpr11
.LBB165_110:
	s_andn2_saveexec_b64 s[0:1], s[0:1]
	s_cbranch_execz .LBB165_112
; %bb.111:
	v_div_scale_f64 v[12:13], s[12:13], v[26:27], v[26:27], 1.0
	v_rcp_f64_e32 v[18:19], v[12:13]
	v_div_scale_f64 v[20:21], vcc, 1.0, v[26:27], 1.0
	v_fma_f64 v[22:23], -v[12:13], v[18:19], 1.0
	v_fmac_f64_e32 v[18:19], v[18:19], v[22:23]
	v_fma_f64 v[22:23], -v[12:13], v[18:19], 1.0
	v_fmac_f64_e32 v[18:19], v[18:19], v[22:23]
	v_mul_f64 v[22:23], v[20:21], v[18:19]
	v_fma_f64 v[12:13], -v[12:13], v[22:23], v[20:21]
	v_div_scale_f64 v[20:21], s[12:13], v[10:11], v[10:11], 0
	v_rcp_f64_e32 v[28:29], v[20:21]
	v_div_fmas_f64 v[12:13], v[12:13], v[18:19], v[22:23]
	v_div_fixup_f64 v[18:19], v[12:13], v[26:27], 1.0
	v_fma_f64 v[12:13], -v[20:21], v[28:29], 1.0
	v_fmac_f64_e32 v[28:29], v[28:29], v[12:13]
	v_fma_f64 v[12:13], -v[20:21], v[28:29], 1.0
	v_fmac_f64_e32 v[28:29], v[28:29], v[12:13]
	v_div_scale_f64 v[12:13], vcc, 0, v[10:11], 0
	v_mul_f64 v[22:23], v[12:13], v[28:29]
	v_fma_f64 v[12:13], -v[20:21], v[22:23], v[12:13]
	s_nop 1
	v_div_fmas_f64 v[12:13], v[12:13], v[28:29], v[22:23]
	v_div_fixup_f64 v[20:21], v[12:13], v[10:11], 0
.LBB165_112:
	s_or_b64 exec, exec, s[0:1]
                                        ; implicit-def: $vgpr12_vgpr13
                                        ; implicit-def: $vgpr22_vgpr23
.LBB165_113:
	s_andn2_saveexec_b64 s[0:1], s[2:3]
	s_cbranch_execz .LBB165_115
; %bb.114:
	v_div_scale_f64 v[10:11], s[2:3], v[12:13], v[12:13], v[22:23]
	v_rcp_f64_e32 v[18:19], v[10:11]
	v_div_scale_f64 v[20:21], vcc, v[22:23], v[12:13], v[22:23]
	v_fma_f64 v[26:27], -v[10:11], v[18:19], 1.0
	v_fmac_f64_e32 v[18:19], v[18:19], v[26:27]
	v_fma_f64 v[26:27], -v[10:11], v[18:19], 1.0
	v_fmac_f64_e32 v[18:19], v[18:19], v[26:27]
	v_mul_f64 v[26:27], v[20:21], v[18:19]
	v_fma_f64 v[10:11], -v[10:11], v[26:27], v[20:21]
	v_div_fmas_f64 v[10:11], v[10:11], v[18:19], v[26:27]
	v_div_fixup_f64 v[10:11], v[10:11], v[12:13], v[22:23]
	v_fmac_f64_e32 v[12:13], v[22:23], v[10:11]
	v_div_scale_f64 v[18:19], s[2:3], v[12:13], v[12:13], 1.0
	v_rcp_f64_e32 v[20:21], v[18:19]
	s_nop 0
	v_fma_f64 v[22:23], -v[18:19], v[20:21], 1.0
	v_fmac_f64_e32 v[20:21], v[20:21], v[22:23]
	v_fma_f64 v[22:23], -v[18:19], v[20:21], 1.0
	v_fmac_f64_e32 v[20:21], v[20:21], v[22:23]
	v_div_scale_f64 v[22:23], vcc, 1.0, v[12:13], 1.0
	v_mul_f64 v[26:27], v[22:23], v[20:21]
	v_fma_f64 v[18:19], -v[18:19], v[26:27], v[22:23]
	s_nop 1
	v_div_fmas_f64 v[18:19], v[18:19], v[20:21], v[26:27]
	v_div_fixup_f64 v[12:13], v[18:19], v[12:13], 1.0
	v_add_f64 v[18:19], v[10:11], 0
	v_fma_f64 v[10:11], v[10:11], 0, -1.0
	v_mul_f64 v[18:19], v[18:19], v[12:13]
	v_mul_f64 v[20:21], v[10:11], v[12:13]
.LBB165_115:
	s_or_b64 exec, exec, s[0:1]
	s_waitcnt vmcnt(0)
	v_cmp_neq_f64_e32 vcc, 0, v[2:3]
	v_cmp_neq_f64_e64 s[0:1], 0, v[4:5]
	v_mov_b64_e32 v[22:23], 0
	s_or_b64 s[0:1], vcc, s[0:1]
	s_and_saveexec_b64 s[12:13], s[0:1]
	s_cbranch_execz .LBB165_145
; %bb.116:
	v_mov_b32_e32 v22, 0
	v_mov_b32_e32 v23, 0x7ff00000
	v_cmp_neq_f64_e64 s[0:1], |v[4:5]|, v[22:23]
	s_and_saveexec_b64 s[14:15], s[0:1]
	s_cbranch_execz .LBB165_144
; %bb.117:
	v_cmp_o_f64_e32 vcc, v[2:3], v[2:3]
                                        ; implicit-def: $vgpr22_vgpr23
	s_and_saveexec_b64 s[0:1], vcc
	s_xor_b64 s[16:17], exec, s[0:1]
	s_cbranch_execz .LBB165_141
; %bb.118:
	s_mov_b32 s0, 0
	s_mov_b32 s1, 0x7ff00000
	v_cmp_neq_f64_e64 s[0:1], |v[2:3]|, s[0:1]
                                        ; implicit-def: $vgpr22_vgpr23
	s_and_saveexec_b64 s[2:3], s[0:1]
	s_xor_b64 s[18:19], exec, s[2:3]
	s_cbranch_execz .LBB165_134
; %bb.119:
	v_max_f64 v[10:11], |v[4:5]|, |v[4:5]|
	v_max_f64 v[12:13], |v[2:3]|, |v[2:3]|
	s_mov_b32 s0, 0x99fcef32
	v_max_f64 v[10:11], v[12:13], v[10:11]
	s_mov_b32 s1, 0x7fda8279
	v_cmp_nle_f64_e64 s[0:1], s[0:1], v[10:11]
                                        ; implicit-def: $sgpr20_sgpr21
	s_and_saveexec_b64 s[2:3], s[0:1]
	s_xor_b64 s[2:3], exec, s[2:3]
	s_cbranch_execz .LBB165_123
; %bb.120:
	s_mov_b32 s20, 0
	s_mov_b32 s21, 0x200000
	v_cmp_le_f64_e64 s[22:23], |v[2:3]|, s[20:21]
	v_cmp_le_f64_e64 s[20:21], |v[4:5]|, s[20:21]
	s_and_b64 s[26:27], s[22:23], s[20:21]
	s_mov_b64 s[20:21], 0
	s_and_saveexec_b64 s[22:23], s[26:27]
; %bb.121:
	s_mov_b64 s[20:21], exec
	v_mul_f64 v[2:3], v[2:3], 4.0
	v_mul_f64 v[4:5], v[4:5], 4.0
; %bb.122:
	s_or_b64 exec, exec, s[22:23]
.LBB165_123:
	s_andn2_saveexec_b64 s[2:3], s[2:3]
; %bb.124:
	v_ldexp_f64 v[2:3], v[2:3], -2
	v_ldexp_f64 v[4:5], v[4:5], -2
	s_andn2_b64 s[20:21], s[20:21], exec
; %bb.125:
	s_or_b64 exec, exec, s[2:3]
	v_max_f64 v[10:11], |v[4:5]|, |v[4:5]|
	v_max_f64 v[12:13], |v[2:3]|, |v[2:3]|
	v_max_f64 v[10:11], v[12:13], v[10:11]
	v_frexp_exp_i32_f64_e32 v1, v[10:11]
	v_sub_u32_e32 v12, 0, v1
	v_ldexp_f64 v[10:11], |v[2:3]|, v12
	v_ldexp_f64 v[12:13], |v[4:5]|, v12
	v_mul_f64 v[12:13], v[12:13], v[12:13]
	v_fmac_f64_e32 v[12:13], v[10:11], v[10:11]
	v_rsq_f64_e32 v[10:11], v[12:13]
	v_cmp_eq_f64_e64 s[2:3], 0, v[12:13]
	s_movk_i32 s7, 0x204
	v_cmp_class_f64_e64 s[22:23], v[4:5], s7
	v_mul_f64 v[22:23], v[12:13], v[10:11]
	v_mul_f64 v[10:11], v[10:11], 0.5
	v_fma_f64 v[26:27], -v[10:11], v[22:23], 0.5
	v_fmac_f64_e32 v[22:23], v[22:23], v[26:27]
	v_fmac_f64_e32 v[10:11], v[10:11], v[26:27]
	v_fma_f64 v[26:27], -v[22:23], v[22:23], v[12:13]
	v_fmac_f64_e32 v[22:23], v[26:27], v[10:11]
	v_cndmask_b32_e64 v11, v23, v13, s[2:3]
	v_cndmask_b32_e64 v10, v22, v12, s[2:3]
	v_ldexp_f64 v[10:11], v[10:11], v1
	v_cmp_o_f64_e64 s[2:3], v[4:5], v[4:5]
	v_cmp_le_f64_e32 vcc, 0, v[2:3]
                                        ; implicit-def: $vgpr12_vgpr13
	s_nop 0
	v_cndmask_b32_e64 v1, 0, v10, s[2:3]
	v_mov_b32_e32 v10, 0x7ff80000
	v_cndmask_b32_e64 v10, v10, v11, s[2:3]
	v_cmp_class_f64_e64 s[2:3], v[2:3], s7
	v_mov_b32_e32 v11, 0x7ff00000
	s_or_b64 s[2:3], s[22:23], s[2:3]
	v_cndmask_b32_e64 v23, v10, v11, s[2:3]
	v_cndmask_b32_e64 v22, v1, 0, s[2:3]
                                        ; implicit-def: $vgpr10_vgpr11
	s_and_saveexec_b64 s[2:3], vcc
	s_xor_b64 s[2:3], exec, s[2:3]
	s_cbranch_execz .LBB165_127
; %bb.126:
	v_add_f64 v[2:3], v[2:3], v[22:23]
	s_mov_b32 s22, 0
	v_mul_f64 v[2:3], v[2:3], 0.5
	s_brev_b32 s23, 8
	v_mov_b32_e32 v1, 0x100
	v_cmp_gt_f64_e32 vcc, s[22:23], v[2:3]
	s_nop 1
	v_cndmask_b32_e32 v1, 0, v1, vcc
	v_ldexp_f64 v[2:3], v[2:3], v1
	v_rsq_f64_e32 v[10:11], v[2:3]
	v_mov_b32_e32 v1, 0xffffff80
	v_cndmask_b32_e32 v1, 0, v1, vcc
	v_mul_f64 v[12:13], v[2:3], v[10:11]
	v_mul_f64 v[10:11], v[10:11], 0.5
	v_fma_f64 v[22:23], -v[10:11], v[12:13], 0.5
	v_fmac_f64_e32 v[12:13], v[12:13], v[22:23]
	v_fma_f64 v[26:27], -v[12:13], v[12:13], v[2:3]
	v_fmac_f64_e32 v[10:11], v[10:11], v[22:23]
	v_fmac_f64_e32 v[12:13], v[26:27], v[10:11]
	v_fma_f64 v[22:23], -v[12:13], v[12:13], v[2:3]
	v_fmac_f64_e32 v[12:13], v[22:23], v[10:11]
	v_ldexp_f64 v[10:11], v[12:13], v1
	v_mov_b32_e32 v1, 0x260
	v_cmp_class_f64_e32 vcc, v[2:3], v1
	s_nop 1
	v_cndmask_b32_e32 v13, v11, v3, vcc
	v_cndmask_b32_e32 v12, v10, v2, vcc
	v_add_f64 v[2:3], v[12:13], v[12:13]
	v_div_scale_f64 v[10:11], s[22:23], v[2:3], v[2:3], v[4:5]
	v_rcp_f64_e32 v[22:23], v[10:11]
	s_nop 0
	v_fma_f64 v[26:27], -v[10:11], v[22:23], 1.0
	v_fmac_f64_e32 v[22:23], v[22:23], v[26:27]
	v_fma_f64 v[26:27], -v[10:11], v[22:23], 1.0
	v_fmac_f64_e32 v[22:23], v[22:23], v[26:27]
	v_div_scale_f64 v[26:27], vcc, v[4:5], v[2:3], v[4:5]
	v_mul_f64 v[28:29], v[26:27], v[22:23]
	v_fma_f64 v[10:11], -v[10:11], v[28:29], v[26:27]
	s_nop 1
	v_div_fmas_f64 v[10:11], v[10:11], v[22:23], v[28:29]
	v_div_fixup_f64 v[10:11], v[10:11], v[2:3], v[4:5]
                                        ; implicit-def: $vgpr22_vgpr23
                                        ; implicit-def: $vgpr2_vgpr3
	s_andn2_saveexec_b64 s[2:3], s[2:3]
	s_cbranch_execz .LBB165_129
	s_branch .LBB165_128
.LBB165_127:
	s_andn2_saveexec_b64 s[2:3], s[2:3]
	s_cbranch_execz .LBB165_129
.LBB165_128:
	v_add_f64 v[2:3], v[22:23], -v[2:3]
	s_mov_b32 s22, 0
	v_mul_f64 v[2:3], v[2:3], 0.5
	s_brev_b32 s23, 8
	v_mov_b32_e32 v1, 0x100
	v_cmp_gt_f64_e32 vcc, s[22:23], v[2:3]
	s_brev_b32 s7, -2
	s_nop 0
	v_cndmask_b32_e32 v1, 0, v1, vcc
	v_ldexp_f64 v[2:3], v[2:3], v1
	v_rsq_f64_e32 v[10:11], v[2:3]
	v_mov_b32_e32 v1, 0xffffff80
	v_cndmask_b32_e32 v1, 0, v1, vcc
	v_mul_f64 v[12:13], v[2:3], v[10:11]
	v_mul_f64 v[10:11], v[10:11], 0.5
	v_fma_f64 v[22:23], -v[10:11], v[12:13], 0.5
	v_fmac_f64_e32 v[12:13], v[12:13], v[22:23]
	v_fma_f64 v[26:27], -v[12:13], v[12:13], v[2:3]
	v_fmac_f64_e32 v[10:11], v[10:11], v[22:23]
	v_fmac_f64_e32 v[12:13], v[26:27], v[10:11]
	v_fma_f64 v[22:23], -v[12:13], v[12:13], v[2:3]
	v_fmac_f64_e32 v[12:13], v[22:23], v[10:11]
	v_ldexp_f64 v[10:11], v[12:13], v1
	v_mov_b32_e32 v1, 0x260
	v_cmp_class_f64_e32 vcc, v[2:3], v1
	v_and_b32_e32 v13, 0x7fffffff, v5
	v_mov_b32_e32 v12, v4
	v_cndmask_b32_e32 v11, v11, v3, vcc
	v_cndmask_b32_e32 v10, v10, v2, vcc
	v_add_f64 v[2:3], v[10:11], v[10:11]
	v_div_scale_f64 v[22:23], s[22:23], v[2:3], v[2:3], v[12:13]
	v_rcp_f64_e32 v[26:27], v[22:23]
	v_div_scale_f64 v[12:13], vcc, v[12:13], v[2:3], v[12:13]
	v_bfi_b32 v11, s7, v11, v5
	v_fma_f64 v[28:29], -v[22:23], v[26:27], 1.0
	v_fmac_f64_e32 v[26:27], v[26:27], v[28:29]
	v_fma_f64 v[28:29], -v[22:23], v[26:27], 1.0
	v_fmac_f64_e32 v[26:27], v[26:27], v[28:29]
	v_mul_f64 v[28:29], v[12:13], v[26:27]
	v_fma_f64 v[12:13], -v[22:23], v[28:29], v[12:13]
	v_div_fmas_f64 v[12:13], v[12:13], v[26:27], v[28:29]
	v_div_fixup_f64 v[12:13], v[12:13], v[2:3], |v[4:5]|
.LBB165_129:
	s_or_b64 exec, exec, s[2:3]
                                        ; implicit-def: $vgpr4_vgpr5
                                        ; implicit-def: $vgpr22_vgpr23
	s_and_saveexec_b64 s[2:3], s[0:1]
	s_xor_b64 s[0:1], exec, s[2:3]
	s_cbranch_execz .LBB165_131
; %bb.130:
	v_mul_f64 v[2:3], v[12:13], 0.5
	v_mul_f64 v[4:5], v[10:11], 0.5
	v_cndmask_b32_e64 v23, v13, v3, s[20:21]
	v_cndmask_b32_e64 v22, v12, v2, s[20:21]
	;; [unrolled: 1-line block ×4, first 2 shown]
                                        ; implicit-def: $vgpr12_vgpr13
                                        ; implicit-def: $vgpr10_vgpr11
	s_andn2_saveexec_b64 s[0:1], s[0:1]
	s_cbranch_execnz .LBB165_132
	s_branch .LBB165_133
.LBB165_131:
	s_andn2_saveexec_b64 s[0:1], s[0:1]
.LBB165_132:
	v_add_f64 v[22:23], v[12:13], v[12:13]
	v_add_f64 v[4:5], v[10:11], v[10:11]
.LBB165_133:
	s_or_b64 exec, exec, s[0:1]
.LBB165_134:
	s_andn2_saveexec_b64 s[0:1], s[18:19]
	s_cbranch_execz .LBB165_140
; %bb.135:
	v_add_f64 v[10:11], v[4:5], -v[4:5]
	v_cmp_lt_i64_e32 vcc, -1, v[2:3]
	s_brev_b32 s7, -2
	v_and_b32_e32 v23, 0x7fffffff, v11
	v_mov_b32_e32 v22, v10
	s_and_saveexec_b64 s[2:3], vcc
	s_xor_b64 s[2:3], exec, s[2:3]
; %bb.136:
	v_bfi_b32 v11, s7, v11, v5
	v_mov_b64_e32 v[4:5], v[10:11]
	v_mov_b64_e32 v[22:23], v[2:3]
; %bb.137:
	s_andn2_saveexec_b64 s[2:3], s[2:3]
; %bb.138:
	v_bfi_b32 v3, s7, v3, v5
	v_mov_b64_e32 v[4:5], v[2:3]
; %bb.139:
	s_or_b64 exec, exec, s[2:3]
.LBB165_140:
	s_or_b64 exec, exec, s[0:1]
.LBB165_141:
	s_andn2_saveexec_b64 s[0:1], s[16:17]
	s_cbranch_execz .LBB165_143
; %bb.142:
	v_add_f64 v[4:5], v[4:5], -v[4:5]
	v_div_scale_f64 v[10:11], vcc, v[4:5], v[4:5], v[4:5]
	v_rcp_f64_e32 v[12:13], v[10:11]
	s_nop 0
	v_fma_f64 v[22:23], -v[10:11], v[12:13], 1.0
	v_fmac_f64_e32 v[12:13], v[12:13], v[22:23]
	v_fma_f64 v[22:23], -v[10:11], v[12:13], 1.0
	v_fmac_f64_e32 v[12:13], v[12:13], v[22:23]
	v_mul_f64 v[22:23], v[10:11], v[12:13]
	v_fma_f64 v[10:11], -v[10:11], v[22:23], v[10:11]
	v_div_fmas_f64 v[10:11], v[10:11], v[12:13], v[22:23]
	v_div_fixup_f64 v[4:5], v[10:11], v[4:5], v[4:5]
	v_mov_b64_e32 v[22:23], v[2:3]
.LBB165_143:
	s_or_b64 exec, exec, s[0:1]
.LBB165_144:
	s_or_b64 exec, exec, s[14:15]
.LBB165_145:
	s_or_b64 exec, exec, s[12:13]
	v_xor_b32_e32 v1, 0x80000000, v23
	v_cmp_gt_f64_e32 vcc, 0, v[22:23]
	v_mov_b32_e32 v26, v22
	v_mov_b32_e32 v2, v4
	v_cndmask_b32_e32 v27, v23, v1, vcc
	v_xor_b32_e32 v1, 0x80000000, v5
	v_cmp_gt_f64_e32 vcc, 0, v[4:5]
                                        ; implicit-def: $vgpr12_vgpr13
	s_nop 1
	v_cndmask_b32_e32 v3, v5, v1, vcc
	v_cmp_ge_f64_e32 vcc, v[26:27], v[2:3]
	s_and_saveexec_b64 s[0:1], vcc
	s_xor_b64 s[2:3], exec, s[0:1]
	s_cbranch_execz .LBB165_151
; %bb.146:
	v_cmp_neq_f64_e32 vcc, 0, v[22:23]
	v_cmp_neq_f64_e64 s[0:1], 0, v[4:5]
	s_or_b64 s[0:1], vcc, s[0:1]
                                        ; implicit-def: $vgpr12_vgpr13
	s_and_saveexec_b64 s[12:13], s[0:1]
	s_xor_b64 s[0:1], exec, s[12:13]
	s_cbranch_execz .LBB165_148
; %bb.147:
	v_div_scale_f64 v[2:3], s[12:13], v[22:23], v[22:23], v[4:5]
	v_rcp_f64_e32 v[10:11], v[2:3]
	v_div_scale_f64 v[12:13], vcc, v[4:5], v[22:23], v[4:5]
	v_fma_f64 v[26:27], -v[2:3], v[10:11], 1.0
	v_fmac_f64_e32 v[10:11], v[10:11], v[26:27]
	v_fma_f64 v[26:27], -v[2:3], v[10:11], 1.0
	v_fmac_f64_e32 v[10:11], v[10:11], v[26:27]
	v_mul_f64 v[26:27], v[12:13], v[10:11]
	v_fma_f64 v[2:3], -v[2:3], v[26:27], v[12:13]
	v_div_fmas_f64 v[2:3], v[2:3], v[10:11], v[26:27]
	v_div_fixup_f64 v[2:3], v[2:3], v[22:23], v[4:5]
	v_fmac_f64_e32 v[22:23], v[4:5], v[2:3]
	v_div_scale_f64 v[4:5], s[12:13], v[22:23], v[22:23], 1.0
	v_rcp_f64_e32 v[10:11], v[4:5]
	s_nop 0
	v_fma_f64 v[12:13], -v[4:5], v[10:11], 1.0
	v_fmac_f64_e32 v[10:11], v[10:11], v[12:13]
	v_fma_f64 v[12:13], -v[4:5], v[10:11], 1.0
	v_fmac_f64_e32 v[10:11], v[10:11], v[12:13]
	v_div_scale_f64 v[12:13], vcc, 1.0, v[22:23], 1.0
	v_mul_f64 v[26:27], v[12:13], v[10:11]
	v_fma_f64 v[4:5], -v[4:5], v[26:27], v[12:13]
	s_nop 1
	v_div_fmas_f64 v[4:5], v[4:5], v[10:11], v[26:27]
	v_div_fixup_f64 v[4:5], v[4:5], v[22:23], 1.0
	v_fma_f64 v[10:11], v[2:3], 0, 1.0
	v_add_f64 v[2:3], -v[2:3], 0
	v_mul_f64 v[10:11], v[10:11], v[4:5]
	v_mul_f64 v[12:13], v[2:3], v[4:5]
                                        ; implicit-def: $vgpr26_vgpr27
                                        ; implicit-def: $vgpr2_vgpr3
.LBB165_148:
	s_andn2_saveexec_b64 s[0:1], s[0:1]
	s_cbranch_execz .LBB165_150
; %bb.149:
	v_div_scale_f64 v[4:5], s[12:13], v[26:27], v[26:27], 1.0
	v_rcp_f64_e32 v[10:11], v[4:5]
	v_div_scale_f64 v[12:13], vcc, 1.0, v[26:27], 1.0
	v_fma_f64 v[22:23], -v[4:5], v[10:11], 1.0
	v_fmac_f64_e32 v[10:11], v[10:11], v[22:23]
	v_fma_f64 v[22:23], -v[4:5], v[10:11], 1.0
	v_fmac_f64_e32 v[10:11], v[10:11], v[22:23]
	v_mul_f64 v[22:23], v[12:13], v[10:11]
	v_fma_f64 v[4:5], -v[4:5], v[22:23], v[12:13]
	v_div_scale_f64 v[12:13], s[12:13], v[2:3], v[2:3], 0
	v_rcp_f64_e32 v[28:29], v[12:13]
	v_div_fmas_f64 v[4:5], v[4:5], v[10:11], v[22:23]
	v_div_fixup_f64 v[10:11], v[4:5], v[26:27], 1.0
	v_fma_f64 v[4:5], -v[12:13], v[28:29], 1.0
	v_fmac_f64_e32 v[28:29], v[28:29], v[4:5]
	v_fma_f64 v[4:5], -v[12:13], v[28:29], 1.0
	v_fmac_f64_e32 v[28:29], v[28:29], v[4:5]
	v_div_scale_f64 v[4:5], vcc, 0, v[2:3], 0
	v_mul_f64 v[22:23], v[4:5], v[28:29]
	v_fma_f64 v[4:5], -v[12:13], v[22:23], v[4:5]
	s_nop 1
	v_div_fmas_f64 v[4:5], v[4:5], v[28:29], v[22:23]
	v_div_fixup_f64 v[12:13], v[4:5], v[2:3], 0
.LBB165_150:
	s_or_b64 exec, exec, s[0:1]
                                        ; implicit-def: $vgpr4_vgpr5
                                        ; implicit-def: $vgpr22_vgpr23
.LBB165_151:
	s_andn2_saveexec_b64 s[0:1], s[2:3]
	s_cbranch_execz .LBB165_153
; %bb.152:
	v_div_scale_f64 v[2:3], s[2:3], v[4:5], v[4:5], v[22:23]
	v_rcp_f64_e32 v[10:11], v[2:3]
	v_div_scale_f64 v[12:13], vcc, v[22:23], v[4:5], v[22:23]
	v_fma_f64 v[26:27], -v[2:3], v[10:11], 1.0
	v_fmac_f64_e32 v[10:11], v[10:11], v[26:27]
	v_fma_f64 v[26:27], -v[2:3], v[10:11], 1.0
	v_fmac_f64_e32 v[10:11], v[10:11], v[26:27]
	v_mul_f64 v[26:27], v[12:13], v[10:11]
	v_fma_f64 v[2:3], -v[2:3], v[26:27], v[12:13]
	v_div_fmas_f64 v[2:3], v[2:3], v[10:11], v[26:27]
	v_div_fixup_f64 v[2:3], v[2:3], v[4:5], v[22:23]
	v_fmac_f64_e32 v[4:5], v[22:23], v[2:3]
	v_div_scale_f64 v[10:11], s[2:3], v[4:5], v[4:5], 1.0
	v_rcp_f64_e32 v[12:13], v[10:11]
	s_nop 0
	v_fma_f64 v[22:23], -v[10:11], v[12:13], 1.0
	v_fmac_f64_e32 v[12:13], v[12:13], v[22:23]
	v_fma_f64 v[22:23], -v[10:11], v[12:13], 1.0
	v_fmac_f64_e32 v[12:13], v[12:13], v[22:23]
	v_div_scale_f64 v[22:23], vcc, 1.0, v[4:5], 1.0
	v_mul_f64 v[26:27], v[22:23], v[12:13]
	v_fma_f64 v[10:11], -v[10:11], v[26:27], v[22:23]
	s_nop 1
	v_div_fmas_f64 v[10:11], v[10:11], v[12:13], v[26:27]
	v_div_fixup_f64 v[4:5], v[10:11], v[4:5], 1.0
	v_add_f64 v[10:11], v[2:3], 0
	v_fma_f64 v[2:3], v[2:3], 0, -1.0
	v_mul_f64 v[10:11], v[10:11], v[4:5]
	v_mul_f64 v[12:13], v[2:3], v[4:5]
.LBB165_153:
	s_or_b64 exec, exec, s[0:1]
	s_add_u32 s0, s8, s4
	s_addc_u32 s1, s9, s5
	v_mov_b32_e32 v25, 0
	v_lshl_add_u64 v[2:3], s[0:1], 0, v[24:25]
	v_add_co_u32_e32 v2, vcc, 0x2000, v2
	global_store_dwordx4 v24, v[6:9], s[0:1]
	global_store_dwordx4 v24, v[14:17], s[0:1] offset:16
	v_addc_co_u32_e32 v3, vcc, 0, v3, vcc
	s_mov_b64 s[0:1], 0
	global_store_dwordx4 v[2:3], v[18:21], off
	global_store_dwordx4 v[2:3], v[10:13], off offset:16
.LBB165_154:
	s_and_b64 vcc, exec, s[0:1]
	s_cbranch_vccz .LBB165_331
; %bb.155:
	v_cmp_gt_i32_e64 s[0:1], s24, v0
	v_mov_b64_e32 v[18:19], 0
	v_or_b32_e32 v22, s6, v0
	v_mov_b64_e32 v[14:15], 0
	v_mov_b64_e32 v[16:17], 0
	v_mov_b32_e32 v1, v0
	s_and_saveexec_b64 s[2:3], s[0:1]
	s_cbranch_execz .LBB165_157
; %bb.156:
	v_mov_b32_e32 v23, 0
	v_lshl_add_u64 v[2:3], v[22:23], 4, s[10:11]
	global_load_dwordx4 v[14:17], v[2:3], off
	v_or_b32_e32 v1, 0x100, v0
.LBB165_157:
	s_or_b64 exec, exec, s[2:3]
	v_cmp_gt_i32_e32 vcc, s24, v1
	v_mov_b64_e32 v[20:21], 0
	s_and_saveexec_b64 s[2:3], vcc
	s_cbranch_execz .LBB165_159
; %bb.158:
	v_add_u32_e32 v2, s6, v1
	v_mov_b32_e32 v3, 0
	v_lshl_add_u64 v[2:3], v[2:3], 4, s[10:11]
	global_load_dwordx4 v[18:21], v[2:3], off
	v_add_u32_e32 v1, 0x100, v1
.LBB165_159:
	s_or_b64 exec, exec, s[2:3]
	v_cmp_gt_i32_e32 vcc, s24, v1
	v_mov_b64_e32 v[2:3], 0
	v_mov_b64_e32 v[10:11], 0
	;; [unrolled: 1-line block ×3, first 2 shown]
	s_and_saveexec_b64 s[2:3], vcc
	s_cbranch_execz .LBB165_161
; %bb.160:
	v_add_u32_e32 v4, s6, v1
	v_mov_b32_e32 v5, 0
	v_lshl_add_u64 v[4:5], v[4:5], 4, s[10:11]
	global_load_dwordx4 v[10:13], v[4:5], off
	v_add_u32_e32 v1, 0x100, v1
.LBB165_161:
	s_or_b64 exec, exec, s[2:3]
	v_cmp_gt_i32_e32 vcc, s24, v1
	v_mov_b64_e32 v[4:5], 0
	s_and_saveexec_b64 s[2:3], vcc
	s_cbranch_execz .LBB165_163
; %bb.162:
	v_add_u32_e32 v2, s6, v1
	v_mov_b32_e32 v3, 0
	v_lshl_add_u64 v[2:3], v[2:3], 4, s[10:11]
	global_load_dwordx4 v[2:5], v[2:3], off
.LBB165_163:
	s_or_b64 exec, exec, s[2:3]
	v_mov_b64_e32 v[6:7], 0
	v_mov_b64_e32 v[8:9], 0
	s_and_saveexec_b64 s[10:11], s[0:1]
	s_cbranch_execz .LBB165_203
; %bb.164:
	s_waitcnt vmcnt(0)
	v_cmp_neq_f64_e32 vcc, 0, v[14:15]
	v_cmp_neq_f64_e64 s[2:3], 0, v[16:17]
	v_mov_b64_e32 v[24:25], 0
	s_or_b64 s[2:3], vcc, s[2:3]
	s_and_saveexec_b64 s[12:13], s[2:3]
	s_cbranch_execz .LBB165_194
; %bb.165:
	v_mov_b32_e32 v24, 0
	v_mov_b32_e32 v25, 0x7ff00000
	v_cmp_neq_f64_e64 s[2:3], |v[16:17]|, v[24:25]
	s_and_saveexec_b64 s[14:15], s[2:3]
	s_cbranch_execz .LBB165_193
; %bb.166:
	v_cmp_o_f64_e32 vcc, v[14:15], v[14:15]
                                        ; implicit-def: $vgpr24_vgpr25
	s_and_saveexec_b64 s[2:3], vcc
	s_xor_b64 s[16:17], exec, s[2:3]
	s_cbranch_execz .LBB165_190
; %bb.167:
	s_mov_b32 s2, 0
	s_mov_b32 s3, 0x7ff00000
	v_cmp_neq_f64_e64 s[2:3], |v[14:15]|, s[2:3]
                                        ; implicit-def: $vgpr24_vgpr25
	s_and_saveexec_b64 s[4:5], s[2:3]
	s_xor_b64 s[18:19], exec, s[4:5]
	s_cbranch_execz .LBB165_183
; %bb.168:
	v_max_f64 v[6:7], |v[16:17]|, |v[16:17]|
	v_max_f64 v[8:9], |v[14:15]|, |v[14:15]|
	s_mov_b32 s2, 0x99fcef32
	v_max_f64 v[6:7], v[8:9], v[6:7]
	s_mov_b32 s3, 0x7fda8279
	v_cmp_nle_f64_e64 s[2:3], s[2:3], v[6:7]
                                        ; implicit-def: $sgpr20_sgpr21
	s_and_saveexec_b64 s[4:5], s[2:3]
	s_xor_b64 s[4:5], exec, s[4:5]
	s_cbranch_execz .LBB165_172
; %bb.169:
	s_mov_b32 s20, 0
	s_mov_b32 s21, 0x200000
	v_cmp_le_f64_e64 s[22:23], |v[14:15]|, s[20:21]
	v_cmp_le_f64_e64 s[20:21], |v[16:17]|, s[20:21]
	s_and_b64 s[26:27], s[22:23], s[20:21]
	s_mov_b64 s[20:21], 0
	s_and_saveexec_b64 s[22:23], s[26:27]
; %bb.170:
	s_mov_b64 s[20:21], exec
	v_mul_f64 v[14:15], v[14:15], 4.0
	v_mul_f64 v[16:17], v[16:17], 4.0
; %bb.171:
	s_or_b64 exec, exec, s[22:23]
.LBB165_172:
	s_andn2_saveexec_b64 s[4:5], s[4:5]
; %bb.173:
	v_ldexp_f64 v[14:15], v[14:15], -2
	v_ldexp_f64 v[16:17], v[16:17], -2
	s_andn2_b64 s[20:21], s[20:21], exec
; %bb.174:
	s_or_b64 exec, exec, s[4:5]
	v_max_f64 v[6:7], |v[16:17]|, |v[16:17]|
	v_max_f64 v[8:9], |v[14:15]|, |v[14:15]|
	v_max_f64 v[6:7], v[8:9], v[6:7]
	v_frexp_exp_i32_f64_e32 v1, v[6:7]
	v_sub_u32_e32 v8, 0, v1
	v_ldexp_f64 v[6:7], |v[14:15]|, v8
	v_ldexp_f64 v[8:9], |v[16:17]|, v8
	v_mul_f64 v[8:9], v[8:9], v[8:9]
	v_fmac_f64_e32 v[8:9], v[6:7], v[6:7]
	v_rsq_f64_e32 v[6:7], v[8:9]
	v_cmp_eq_f64_e64 s[4:5], 0, v[8:9]
	s_movk_i32 s7, 0x204
	v_cmp_class_f64_e64 s[22:23], v[16:17], s7
	v_mul_f64 v[24:25], v[8:9], v[6:7]
	v_mul_f64 v[6:7], v[6:7], 0.5
	v_fma_f64 v[26:27], -v[6:7], v[24:25], 0.5
	v_fmac_f64_e32 v[24:25], v[24:25], v[26:27]
	v_fmac_f64_e32 v[6:7], v[6:7], v[26:27]
	v_fma_f64 v[26:27], -v[24:25], v[24:25], v[8:9]
	v_fmac_f64_e32 v[24:25], v[26:27], v[6:7]
	v_cndmask_b32_e64 v7, v25, v9, s[4:5]
	v_cndmask_b32_e64 v6, v24, v8, s[4:5]
	v_ldexp_f64 v[6:7], v[6:7], v1
	v_cmp_o_f64_e64 s[4:5], v[16:17], v[16:17]
	v_cmp_le_f64_e32 vcc, 0, v[14:15]
                                        ; implicit-def: $vgpr8_vgpr9
	s_nop 0
	v_cndmask_b32_e64 v1, 0, v6, s[4:5]
	v_mov_b32_e32 v6, 0x7ff80000
	v_cndmask_b32_e64 v6, v6, v7, s[4:5]
	v_cmp_class_f64_e64 s[4:5], v[14:15], s7
	v_mov_b32_e32 v7, 0x7ff00000
	s_or_b64 s[4:5], s[22:23], s[4:5]
	v_cndmask_b32_e64 v25, v6, v7, s[4:5]
	v_cndmask_b32_e64 v24, v1, 0, s[4:5]
                                        ; implicit-def: $vgpr6_vgpr7
	s_and_saveexec_b64 s[4:5], vcc
	s_xor_b64 s[4:5], exec, s[4:5]
	s_cbranch_execz .LBB165_176
; %bb.175:
	v_add_f64 v[6:7], v[14:15], v[24:25]
	s_mov_b32 s22, 0
	v_mul_f64 v[6:7], v[6:7], 0.5
	s_brev_b32 s23, 8
	v_mov_b32_e32 v1, 0x100
	v_cmp_gt_f64_e32 vcc, s[22:23], v[6:7]
	s_nop 1
	v_cndmask_b32_e32 v1, 0, v1, vcc
	v_ldexp_f64 v[6:7], v[6:7], v1
	v_rsq_f64_e32 v[8:9], v[6:7]
	v_mov_b32_e32 v1, 0xffffff80
	v_cndmask_b32_e32 v1, 0, v1, vcc
	v_mul_f64 v[14:15], v[6:7], v[8:9]
	v_mul_f64 v[8:9], v[8:9], 0.5
	v_fma_f64 v[24:25], -v[8:9], v[14:15], 0.5
	v_fmac_f64_e32 v[14:15], v[14:15], v[24:25]
	v_fma_f64 v[26:27], -v[14:15], v[14:15], v[6:7]
	v_fmac_f64_e32 v[8:9], v[8:9], v[24:25]
	v_fmac_f64_e32 v[14:15], v[26:27], v[8:9]
	v_fma_f64 v[24:25], -v[14:15], v[14:15], v[6:7]
	v_fmac_f64_e32 v[14:15], v[24:25], v[8:9]
	v_ldexp_f64 v[8:9], v[14:15], v1
	v_mov_b32_e32 v1, 0x260
	v_cmp_class_f64_e32 vcc, v[6:7], v1
	s_nop 1
	v_cndmask_b32_e32 v9, v9, v7, vcc
	v_cndmask_b32_e32 v8, v8, v6, vcc
	v_add_f64 v[6:7], v[8:9], v[8:9]
	v_div_scale_f64 v[14:15], s[22:23], v[6:7], v[6:7], v[16:17]
	v_rcp_f64_e32 v[24:25], v[14:15]
	s_nop 0
	v_fma_f64 v[26:27], -v[14:15], v[24:25], 1.0
	v_fmac_f64_e32 v[24:25], v[24:25], v[26:27]
	v_fma_f64 v[26:27], -v[14:15], v[24:25], 1.0
	v_fmac_f64_e32 v[24:25], v[24:25], v[26:27]
	v_div_scale_f64 v[26:27], vcc, v[16:17], v[6:7], v[16:17]
	v_mul_f64 v[28:29], v[26:27], v[24:25]
	v_fma_f64 v[14:15], -v[14:15], v[28:29], v[26:27]
	s_nop 1
	v_div_fmas_f64 v[14:15], v[14:15], v[24:25], v[28:29]
	v_div_fixup_f64 v[6:7], v[14:15], v[6:7], v[16:17]
                                        ; implicit-def: $vgpr24_vgpr25
                                        ; implicit-def: $vgpr14_vgpr15
	s_andn2_saveexec_b64 s[4:5], s[4:5]
	s_cbranch_execz .LBB165_178
	s_branch .LBB165_177
.LBB165_176:
	s_andn2_saveexec_b64 s[4:5], s[4:5]
	s_cbranch_execz .LBB165_178
.LBB165_177:
	v_add_f64 v[6:7], v[24:25], -v[14:15]
	s_mov_b32 s22, 0
	v_mul_f64 v[6:7], v[6:7], 0.5
	s_brev_b32 s23, 8
	v_mov_b32_e32 v1, 0x100
	v_cmp_gt_f64_e32 vcc, s[22:23], v[6:7]
	s_brev_b32 s7, -2
	s_nop 0
	v_cndmask_b32_e32 v1, 0, v1, vcc
	v_ldexp_f64 v[6:7], v[6:7], v1
	v_rsq_f64_e32 v[8:9], v[6:7]
	v_mov_b32_e32 v1, 0xffffff80
	v_cndmask_b32_e32 v1, 0, v1, vcc
	v_mul_f64 v[14:15], v[6:7], v[8:9]
	v_mul_f64 v[8:9], v[8:9], 0.5
	v_fma_f64 v[24:25], -v[8:9], v[14:15], 0.5
	v_fmac_f64_e32 v[14:15], v[14:15], v[24:25]
	v_fma_f64 v[26:27], -v[14:15], v[14:15], v[6:7]
	v_fmac_f64_e32 v[8:9], v[8:9], v[24:25]
	v_fmac_f64_e32 v[14:15], v[26:27], v[8:9]
	v_fma_f64 v[24:25], -v[14:15], v[14:15], v[6:7]
	v_fmac_f64_e32 v[14:15], v[24:25], v[8:9]
	v_ldexp_f64 v[8:9], v[14:15], v1
	v_mov_b32_e32 v1, 0x260
	v_cmp_class_f64_e32 vcc, v[6:7], v1
	v_and_b32_e32 v15, 0x7fffffff, v17
	v_mov_b32_e32 v14, v16
	v_cndmask_b32_e32 v7, v9, v7, vcc
	v_cndmask_b32_e32 v6, v8, v6, vcc
	v_add_f64 v[8:9], v[6:7], v[6:7]
	v_div_scale_f64 v[24:25], s[22:23], v[8:9], v[8:9], v[14:15]
	v_rcp_f64_e32 v[26:27], v[24:25]
	v_div_scale_f64 v[14:15], vcc, v[14:15], v[8:9], v[14:15]
	v_bfi_b32 v7, s7, v7, v17
	v_fma_f64 v[28:29], -v[24:25], v[26:27], 1.0
	v_fmac_f64_e32 v[26:27], v[26:27], v[28:29]
	v_fma_f64 v[28:29], -v[24:25], v[26:27], 1.0
	v_fmac_f64_e32 v[26:27], v[26:27], v[28:29]
	v_mul_f64 v[28:29], v[14:15], v[26:27]
	v_fma_f64 v[14:15], -v[24:25], v[28:29], v[14:15]
	v_div_fmas_f64 v[14:15], v[14:15], v[26:27], v[28:29]
	v_div_fixup_f64 v[8:9], v[14:15], v[8:9], |v[16:17]|
.LBB165_178:
	s_or_b64 exec, exec, s[4:5]
                                        ; implicit-def: $vgpr16_vgpr17
                                        ; implicit-def: $vgpr24_vgpr25
	s_and_saveexec_b64 s[4:5], s[2:3]
	s_xor_b64 s[2:3], exec, s[4:5]
	s_cbranch_execz .LBB165_180
; %bb.179:
	v_mul_f64 v[14:15], v[8:9], 0.5
	v_mul_f64 v[16:17], v[6:7], 0.5
	v_cndmask_b32_e64 v25, v9, v15, s[20:21]
	v_cndmask_b32_e64 v24, v8, v14, s[20:21]
	;; [unrolled: 1-line block ×4, first 2 shown]
                                        ; implicit-def: $vgpr8_vgpr9
                                        ; implicit-def: $vgpr6_vgpr7
	s_andn2_saveexec_b64 s[2:3], s[2:3]
	s_cbranch_execnz .LBB165_181
	s_branch .LBB165_182
.LBB165_180:
	s_andn2_saveexec_b64 s[2:3], s[2:3]
.LBB165_181:
	v_add_f64 v[24:25], v[8:9], v[8:9]
	v_add_f64 v[16:17], v[6:7], v[6:7]
.LBB165_182:
	s_or_b64 exec, exec, s[2:3]
.LBB165_183:
	s_andn2_saveexec_b64 s[2:3], s[18:19]
	s_cbranch_execz .LBB165_189
; %bb.184:
	v_add_f64 v[6:7], v[16:17], -v[16:17]
	v_cmp_lt_i64_e32 vcc, -1, v[14:15]
	s_brev_b32 s7, -2
	v_and_b32_e32 v25, 0x7fffffff, v7
	v_mov_b32_e32 v24, v6
	s_and_saveexec_b64 s[4:5], vcc
	s_xor_b64 s[4:5], exec, s[4:5]
; %bb.185:
	v_bfi_b32 v7, s7, v7, v17
	v_mov_b64_e32 v[16:17], v[6:7]
	v_mov_b64_e32 v[24:25], v[14:15]
; %bb.186:
	s_andn2_saveexec_b64 s[4:5], s[4:5]
; %bb.187:
	v_bfi_b32 v15, s7, v15, v17
	v_mov_b64_e32 v[16:17], v[14:15]
; %bb.188:
	s_or_b64 exec, exec, s[4:5]
.LBB165_189:
	s_or_b64 exec, exec, s[2:3]
.LBB165_190:
	s_andn2_saveexec_b64 s[2:3], s[16:17]
	s_cbranch_execz .LBB165_192
; %bb.191:
	v_add_f64 v[6:7], v[16:17], -v[16:17]
	v_div_scale_f64 v[8:9], vcc, v[6:7], v[6:7], v[6:7]
	v_rcp_f64_e32 v[16:17], v[8:9]
	s_nop 0
	v_fma_f64 v[24:25], -v[8:9], v[16:17], 1.0
	v_fmac_f64_e32 v[16:17], v[16:17], v[24:25]
	v_fma_f64 v[24:25], -v[8:9], v[16:17], 1.0
	v_fmac_f64_e32 v[16:17], v[16:17], v[24:25]
	v_mul_f64 v[24:25], v[8:9], v[16:17]
	v_fma_f64 v[8:9], -v[8:9], v[24:25], v[8:9]
	v_div_fmas_f64 v[8:9], v[8:9], v[16:17], v[24:25]
	v_div_fixup_f64 v[16:17], v[8:9], v[6:7], v[6:7]
	v_mov_b64_e32 v[24:25], v[14:15]
.LBB165_192:
	s_or_b64 exec, exec, s[2:3]
.LBB165_193:
	s_or_b64 exec, exec, s[14:15]
.LBB165_194:
	s_or_b64 exec, exec, s[12:13]
	v_xor_b32_e32 v1, 0x80000000, v25
	v_cmp_gt_f64_e32 vcc, 0, v[24:25]
	v_mov_b32_e32 v26, v24
	v_mov_b32_e32 v14, v16
	v_cndmask_b32_e32 v27, v25, v1, vcc
	v_xor_b32_e32 v1, 0x80000000, v17
	v_cmp_gt_f64_e32 vcc, 0, v[16:17]
                                        ; implicit-def: $vgpr6_vgpr7
	s_nop 1
	v_cndmask_b32_e32 v15, v17, v1, vcc
	v_cmp_ge_f64_e32 vcc, v[26:27], v[14:15]
	s_and_saveexec_b64 s[2:3], vcc
	s_xor_b64 s[4:5], exec, s[2:3]
	s_cbranch_execz .LBB165_200
; %bb.195:
	v_cmp_neq_f64_e32 vcc, 0, v[24:25]
	v_cmp_neq_f64_e64 s[2:3], 0, v[16:17]
	s_or_b64 s[2:3], vcc, s[2:3]
                                        ; implicit-def: $vgpr6_vgpr7
	s_and_saveexec_b64 s[12:13], s[2:3]
	s_xor_b64 s[2:3], exec, s[12:13]
	s_cbranch_execz .LBB165_197
; %bb.196:
	v_div_scale_f64 v[6:7], s[12:13], v[24:25], v[24:25], v[16:17]
	v_rcp_f64_e32 v[8:9], v[6:7]
	v_div_scale_f64 v[14:15], vcc, v[16:17], v[24:25], v[16:17]
	v_fma_f64 v[26:27], -v[6:7], v[8:9], 1.0
	v_fmac_f64_e32 v[8:9], v[8:9], v[26:27]
	v_fma_f64 v[26:27], -v[6:7], v[8:9], 1.0
	v_fmac_f64_e32 v[8:9], v[8:9], v[26:27]
	v_mul_f64 v[26:27], v[14:15], v[8:9]
	v_fma_f64 v[6:7], -v[6:7], v[26:27], v[14:15]
	v_div_fmas_f64 v[6:7], v[6:7], v[8:9], v[26:27]
	v_div_fixup_f64 v[8:9], v[6:7], v[24:25], v[16:17]
	v_fmac_f64_e32 v[24:25], v[16:17], v[8:9]
	v_div_scale_f64 v[6:7], s[12:13], v[24:25], v[24:25], 1.0
	v_rcp_f64_e32 v[14:15], v[6:7]
	s_nop 0
	v_fma_f64 v[16:17], -v[6:7], v[14:15], 1.0
	v_fmac_f64_e32 v[14:15], v[14:15], v[16:17]
	v_fma_f64 v[16:17], -v[6:7], v[14:15], 1.0
	v_fmac_f64_e32 v[14:15], v[14:15], v[16:17]
	v_div_scale_f64 v[16:17], vcc, 1.0, v[24:25], 1.0
	v_mul_f64 v[26:27], v[16:17], v[14:15]
	v_fma_f64 v[6:7], -v[6:7], v[26:27], v[16:17]
	s_nop 1
	v_div_fmas_f64 v[6:7], v[6:7], v[14:15], v[26:27]
	v_div_fixup_f64 v[14:15], v[6:7], v[24:25], 1.0
	v_fma_f64 v[6:7], v[8:9], 0, 1.0
	v_add_f64 v[8:9], -v[8:9], 0
	v_mul_f64 v[6:7], v[6:7], v[14:15]
	v_mul_f64 v[8:9], v[8:9], v[14:15]
                                        ; implicit-def: $vgpr26_vgpr27
                                        ; implicit-def: $vgpr14_vgpr15
.LBB165_197:
	s_andn2_saveexec_b64 s[2:3], s[2:3]
	s_cbranch_execz .LBB165_199
; %bb.198:
	v_div_scale_f64 v[6:7], s[12:13], v[26:27], v[26:27], 1.0
	v_rcp_f64_e32 v[8:9], v[6:7]
	v_div_scale_f64 v[16:17], vcc, 1.0, v[26:27], 1.0
	v_fma_f64 v[24:25], -v[6:7], v[8:9], 1.0
	v_fmac_f64_e32 v[8:9], v[8:9], v[24:25]
	v_fma_f64 v[24:25], -v[6:7], v[8:9], 1.0
	v_fmac_f64_e32 v[8:9], v[8:9], v[24:25]
	v_mul_f64 v[24:25], v[16:17], v[8:9]
	v_fma_f64 v[6:7], -v[6:7], v[24:25], v[16:17]
	v_div_scale_f64 v[16:17], s[12:13], v[14:15], v[14:15], 0
	v_rcp_f64_e32 v[28:29], v[16:17]
	v_div_fmas_f64 v[6:7], v[6:7], v[8:9], v[24:25]
	v_div_fixup_f64 v[6:7], v[6:7], v[26:27], 1.0
	v_fma_f64 v[8:9], -v[16:17], v[28:29], 1.0
	v_fmac_f64_e32 v[28:29], v[28:29], v[8:9]
	v_fma_f64 v[8:9], -v[16:17], v[28:29], 1.0
	v_fmac_f64_e32 v[28:29], v[28:29], v[8:9]
	v_div_scale_f64 v[8:9], vcc, 0, v[14:15], 0
	v_mul_f64 v[24:25], v[8:9], v[28:29]
	v_fma_f64 v[8:9], -v[16:17], v[24:25], v[8:9]
	s_nop 1
	v_div_fmas_f64 v[8:9], v[8:9], v[28:29], v[24:25]
	v_div_fixup_f64 v[8:9], v[8:9], v[14:15], 0
.LBB165_199:
	s_or_b64 exec, exec, s[2:3]
                                        ; implicit-def: $vgpr16_vgpr17
                                        ; implicit-def: $vgpr24_vgpr25
.LBB165_200:
	s_andn2_saveexec_b64 s[2:3], s[4:5]
	s_cbranch_execz .LBB165_202
; %bb.201:
	v_div_scale_f64 v[6:7], s[4:5], v[16:17], v[16:17], v[24:25]
	v_rcp_f64_e32 v[8:9], v[6:7]
	v_div_scale_f64 v[14:15], vcc, v[24:25], v[16:17], v[24:25]
	v_fma_f64 v[26:27], -v[6:7], v[8:9], 1.0
	v_fmac_f64_e32 v[8:9], v[8:9], v[26:27]
	v_fma_f64 v[26:27], -v[6:7], v[8:9], 1.0
	v_fmac_f64_e32 v[8:9], v[8:9], v[26:27]
	v_mul_f64 v[26:27], v[14:15], v[8:9]
	v_fma_f64 v[6:7], -v[6:7], v[26:27], v[14:15]
	v_div_fmas_f64 v[6:7], v[6:7], v[8:9], v[26:27]
	v_div_fixup_f64 v[8:9], v[6:7], v[16:17], v[24:25]
	v_fmac_f64_e32 v[16:17], v[24:25], v[8:9]
	v_div_scale_f64 v[6:7], s[4:5], v[16:17], v[16:17], 1.0
	v_rcp_f64_e32 v[14:15], v[6:7]
	s_nop 0
	v_fma_f64 v[24:25], -v[6:7], v[14:15], 1.0
	v_fmac_f64_e32 v[14:15], v[14:15], v[24:25]
	v_fma_f64 v[24:25], -v[6:7], v[14:15], 1.0
	v_fmac_f64_e32 v[14:15], v[14:15], v[24:25]
	v_div_scale_f64 v[24:25], vcc, 1.0, v[16:17], 1.0
	v_mul_f64 v[26:27], v[24:25], v[14:15]
	v_fma_f64 v[6:7], -v[6:7], v[26:27], v[24:25]
	s_nop 1
	v_div_fmas_f64 v[6:7], v[6:7], v[14:15], v[26:27]
	v_div_fixup_f64 v[14:15], v[6:7], v[16:17], 1.0
	v_add_f64 v[6:7], v[8:9], 0
	v_fma_f64 v[8:9], v[8:9], 0, -1.0
	v_mul_f64 v[6:7], v[6:7], v[14:15]
	v_mul_f64 v[8:9], v[8:9], v[14:15]
.LBB165_202:
	s_or_b64 exec, exec, s[2:3]
.LBB165_203:
	s_or_b64 exec, exec, s[10:11]
	v_or_b32_e32 v1, 0x100, v0
	v_cmp_gt_i32_e32 vcc, s24, v1
	s_waitcnt vmcnt(0)
	v_mov_b64_e32 v[14:15], 0
	v_mov_b64_e32 v[16:17], 0
	s_and_saveexec_b64 s[10:11], vcc
	s_cbranch_execz .LBB165_243
; %bb.204:
	v_cmp_neq_f64_e32 vcc, 0, v[18:19]
	v_cmp_neq_f64_e64 s[2:3], 0, v[20:21]
	v_mov_b64_e32 v[24:25], 0
	s_or_b64 s[2:3], vcc, s[2:3]
	s_and_saveexec_b64 s[12:13], s[2:3]
	s_cbranch_execz .LBB165_234
; %bb.205:
	v_mov_b32_e32 v24, 0
	v_mov_b32_e32 v25, 0x7ff00000
	v_cmp_neq_f64_e64 s[2:3], |v[20:21]|, v[24:25]
	s_and_saveexec_b64 s[14:15], s[2:3]
	s_cbranch_execz .LBB165_233
; %bb.206:
	v_cmp_o_f64_e32 vcc, v[18:19], v[18:19]
                                        ; implicit-def: $vgpr24_vgpr25
	s_and_saveexec_b64 s[2:3], vcc
	s_xor_b64 s[16:17], exec, s[2:3]
	s_cbranch_execz .LBB165_230
; %bb.207:
	s_mov_b32 s2, 0
	s_mov_b32 s3, 0x7ff00000
	v_cmp_neq_f64_e64 s[2:3], |v[18:19]|, s[2:3]
                                        ; implicit-def: $vgpr24_vgpr25
	s_and_saveexec_b64 s[4:5], s[2:3]
	s_xor_b64 s[18:19], exec, s[4:5]
	s_cbranch_execz .LBB165_223
; %bb.208:
	v_max_f64 v[14:15], |v[20:21]|, |v[20:21]|
	v_max_f64 v[16:17], |v[18:19]|, |v[18:19]|
	s_mov_b32 s2, 0x99fcef32
	v_max_f64 v[14:15], v[16:17], v[14:15]
	s_mov_b32 s3, 0x7fda8279
	v_cmp_nle_f64_e64 s[2:3], s[2:3], v[14:15]
                                        ; implicit-def: $sgpr20_sgpr21
	s_and_saveexec_b64 s[4:5], s[2:3]
	s_xor_b64 s[4:5], exec, s[4:5]
	s_cbranch_execz .LBB165_212
; %bb.209:
	s_mov_b32 s20, 0
	s_mov_b32 s21, 0x200000
	v_cmp_le_f64_e64 s[22:23], |v[18:19]|, s[20:21]
	v_cmp_le_f64_e64 s[20:21], |v[20:21]|, s[20:21]
	s_and_b64 s[26:27], s[22:23], s[20:21]
	s_mov_b64 s[20:21], 0
	s_and_saveexec_b64 s[22:23], s[26:27]
; %bb.210:
	s_mov_b64 s[20:21], exec
	v_mul_f64 v[18:19], v[18:19], 4.0
	v_mul_f64 v[20:21], v[20:21], 4.0
; %bb.211:
	s_or_b64 exec, exec, s[22:23]
.LBB165_212:
	s_andn2_saveexec_b64 s[4:5], s[4:5]
; %bb.213:
	v_ldexp_f64 v[18:19], v[18:19], -2
	v_ldexp_f64 v[20:21], v[20:21], -2
	s_andn2_b64 s[20:21], s[20:21], exec
; %bb.214:
	s_or_b64 exec, exec, s[4:5]
	v_max_f64 v[14:15], |v[20:21]|, |v[20:21]|
	v_max_f64 v[16:17], |v[18:19]|, |v[18:19]|
	v_max_f64 v[14:15], v[16:17], v[14:15]
	v_frexp_exp_i32_f64_e32 v23, v[14:15]
	v_sub_u32_e32 v16, 0, v23
	v_ldexp_f64 v[14:15], |v[18:19]|, v16
	v_ldexp_f64 v[16:17], |v[20:21]|, v16
	v_mul_f64 v[16:17], v[16:17], v[16:17]
	v_fmac_f64_e32 v[16:17], v[14:15], v[14:15]
	v_rsq_f64_e32 v[14:15], v[16:17]
	v_cmp_eq_f64_e64 s[4:5], 0, v[16:17]
	s_movk_i32 s7, 0x204
	v_cmp_class_f64_e64 s[22:23], v[20:21], s7
	v_mul_f64 v[24:25], v[16:17], v[14:15]
	v_mul_f64 v[14:15], v[14:15], 0.5
	v_fma_f64 v[26:27], -v[14:15], v[24:25], 0.5
	v_fmac_f64_e32 v[24:25], v[24:25], v[26:27]
	v_fmac_f64_e32 v[14:15], v[14:15], v[26:27]
	v_fma_f64 v[26:27], -v[24:25], v[24:25], v[16:17]
	v_fmac_f64_e32 v[24:25], v[26:27], v[14:15]
	v_cndmask_b32_e64 v15, v25, v17, s[4:5]
	v_cndmask_b32_e64 v14, v24, v16, s[4:5]
	v_ldexp_f64 v[14:15], v[14:15], v23
	v_cmp_o_f64_e64 s[4:5], v[20:21], v[20:21]
	v_mov_b32_e32 v16, 0x7ff80000
	v_cmp_le_f64_e32 vcc, 0, v[18:19]
	v_cndmask_b32_e64 v14, 0, v14, s[4:5]
	v_cndmask_b32_e64 v15, v16, v15, s[4:5]
	v_cmp_class_f64_e64 s[4:5], v[18:19], s7
	v_mov_b32_e32 v16, 0x7ff00000
	s_or_b64 s[4:5], s[22:23], s[4:5]
	v_cndmask_b32_e64 v25, v15, v16, s[4:5]
	v_cndmask_b32_e64 v24, v14, 0, s[4:5]
                                        ; implicit-def: $vgpr14_vgpr15
                                        ; implicit-def: $vgpr16_vgpr17
	s_and_saveexec_b64 s[4:5], vcc
	s_xor_b64 s[4:5], exec, s[4:5]
	s_cbranch_execz .LBB165_216
; %bb.215:
	v_add_f64 v[14:15], v[18:19], v[24:25]
	s_mov_b32 s22, 0
	v_mul_f64 v[14:15], v[14:15], 0.5
	s_brev_b32 s23, 8
	v_mov_b32_e32 v16, 0x100
	v_cmp_gt_f64_e32 vcc, s[22:23], v[14:15]
	s_nop 1
	v_cndmask_b32_e32 v16, 0, v16, vcc
	v_ldexp_f64 v[14:15], v[14:15], v16
	v_rsq_f64_e32 v[16:17], v[14:15]
	s_nop 0
	v_mul_f64 v[18:19], v[14:15], v[16:17]
	v_mul_f64 v[16:17], v[16:17], 0.5
	v_fma_f64 v[24:25], -v[16:17], v[18:19], 0.5
	v_fmac_f64_e32 v[18:19], v[18:19], v[24:25]
	v_fma_f64 v[26:27], -v[18:19], v[18:19], v[14:15]
	v_fmac_f64_e32 v[16:17], v[16:17], v[24:25]
	v_fmac_f64_e32 v[18:19], v[26:27], v[16:17]
	v_fma_f64 v[24:25], -v[18:19], v[18:19], v[14:15]
	v_fmac_f64_e32 v[18:19], v[24:25], v[16:17]
	v_mov_b32_e32 v16, 0xffffff80
	v_cndmask_b32_e32 v16, 0, v16, vcc
	v_ldexp_f64 v[16:17], v[18:19], v16
	v_mov_b32_e32 v18, 0x260
	v_cmp_class_f64_e32 vcc, v[14:15], v18
	s_nop 1
	v_cndmask_b32_e32 v17, v17, v15, vcc
	v_cndmask_b32_e32 v16, v16, v14, vcc
	v_add_f64 v[14:15], v[16:17], v[16:17]
	v_div_scale_f64 v[18:19], s[22:23], v[14:15], v[14:15], v[20:21]
	v_rcp_f64_e32 v[24:25], v[18:19]
	s_nop 0
	v_fma_f64 v[26:27], -v[18:19], v[24:25], 1.0
	v_fmac_f64_e32 v[24:25], v[24:25], v[26:27]
	v_fma_f64 v[26:27], -v[18:19], v[24:25], 1.0
	v_fmac_f64_e32 v[24:25], v[24:25], v[26:27]
	v_div_scale_f64 v[26:27], vcc, v[20:21], v[14:15], v[20:21]
	v_mul_f64 v[28:29], v[26:27], v[24:25]
	v_fma_f64 v[18:19], -v[18:19], v[28:29], v[26:27]
	s_nop 1
	v_div_fmas_f64 v[18:19], v[18:19], v[24:25], v[28:29]
	v_div_fixup_f64 v[14:15], v[18:19], v[14:15], v[20:21]
                                        ; implicit-def: $vgpr24_vgpr25
                                        ; implicit-def: $vgpr18_vgpr19
	s_andn2_saveexec_b64 s[4:5], s[4:5]
	s_cbranch_execz .LBB165_218
	s_branch .LBB165_217
.LBB165_216:
	s_andn2_saveexec_b64 s[4:5], s[4:5]
	s_cbranch_execz .LBB165_218
.LBB165_217:
	v_add_f64 v[14:15], v[24:25], -v[18:19]
	s_mov_b32 s22, 0
	v_mul_f64 v[14:15], v[14:15], 0.5
	s_brev_b32 s23, 8
	v_mov_b32_e32 v16, 0x100
	v_cmp_gt_f64_e32 vcc, s[22:23], v[14:15]
	s_brev_b32 s7, -2
	s_nop 0
	v_cndmask_b32_e32 v16, 0, v16, vcc
	v_ldexp_f64 v[14:15], v[14:15], v16
	v_rsq_f64_e32 v[16:17], v[14:15]
	s_nop 0
	v_mul_f64 v[18:19], v[14:15], v[16:17]
	v_mul_f64 v[16:17], v[16:17], 0.5
	v_fma_f64 v[24:25], -v[16:17], v[18:19], 0.5
	v_fmac_f64_e32 v[18:19], v[18:19], v[24:25]
	v_fma_f64 v[26:27], -v[18:19], v[18:19], v[14:15]
	v_fmac_f64_e32 v[16:17], v[16:17], v[24:25]
	v_fmac_f64_e32 v[18:19], v[26:27], v[16:17]
	v_fma_f64 v[24:25], -v[18:19], v[18:19], v[14:15]
	v_fmac_f64_e32 v[18:19], v[24:25], v[16:17]
	v_mov_b32_e32 v16, 0xffffff80
	v_cndmask_b32_e32 v16, 0, v16, vcc
	v_ldexp_f64 v[16:17], v[18:19], v16
	v_mov_b32_e32 v18, 0x260
	v_cmp_class_f64_e32 vcc, v[14:15], v18
	v_and_b32_e32 v19, 0x7fffffff, v21
	v_mov_b32_e32 v18, v20
	v_cndmask_b32_e32 v15, v17, v15, vcc
	v_cndmask_b32_e32 v14, v16, v14, vcc
	v_add_f64 v[16:17], v[14:15], v[14:15]
	v_div_scale_f64 v[24:25], s[22:23], v[16:17], v[16:17], v[18:19]
	v_rcp_f64_e32 v[26:27], v[24:25]
	v_div_scale_f64 v[18:19], vcc, v[18:19], v[16:17], v[18:19]
	v_bfi_b32 v15, s7, v15, v21
	v_fma_f64 v[28:29], -v[24:25], v[26:27], 1.0
	v_fmac_f64_e32 v[26:27], v[26:27], v[28:29]
	v_fma_f64 v[28:29], -v[24:25], v[26:27], 1.0
	v_fmac_f64_e32 v[26:27], v[26:27], v[28:29]
	v_mul_f64 v[28:29], v[18:19], v[26:27]
	v_fma_f64 v[18:19], -v[24:25], v[28:29], v[18:19]
	v_div_fmas_f64 v[18:19], v[18:19], v[26:27], v[28:29]
	v_div_fixup_f64 v[16:17], v[18:19], v[16:17], |v[20:21]|
.LBB165_218:
	s_or_b64 exec, exec, s[4:5]
                                        ; implicit-def: $vgpr20_vgpr21
                                        ; implicit-def: $vgpr24_vgpr25
	s_and_saveexec_b64 s[4:5], s[2:3]
	s_xor_b64 s[2:3], exec, s[4:5]
	s_cbranch_execz .LBB165_220
; %bb.219:
	v_mul_f64 v[18:19], v[16:17], 0.5
	v_mul_f64 v[20:21], v[14:15], 0.5
	v_cndmask_b32_e64 v25, v17, v19, s[20:21]
	v_cndmask_b32_e64 v24, v16, v18, s[20:21]
	;; [unrolled: 1-line block ×4, first 2 shown]
                                        ; implicit-def: $vgpr16_vgpr17
                                        ; implicit-def: $vgpr14_vgpr15
	s_andn2_saveexec_b64 s[2:3], s[2:3]
	s_cbranch_execnz .LBB165_221
	s_branch .LBB165_222
.LBB165_220:
	s_andn2_saveexec_b64 s[2:3], s[2:3]
.LBB165_221:
	v_add_f64 v[24:25], v[16:17], v[16:17]
	v_add_f64 v[20:21], v[14:15], v[14:15]
.LBB165_222:
	s_or_b64 exec, exec, s[2:3]
.LBB165_223:
	s_andn2_saveexec_b64 s[2:3], s[18:19]
	s_cbranch_execz .LBB165_229
; %bb.224:
	v_add_f64 v[14:15], v[20:21], -v[20:21]
	v_cmp_lt_i64_e32 vcc, -1, v[18:19]
	s_brev_b32 s7, -2
	v_and_b32_e32 v25, 0x7fffffff, v15
	v_mov_b32_e32 v24, v14
	s_and_saveexec_b64 s[4:5], vcc
	s_xor_b64 s[4:5], exec, s[4:5]
; %bb.225:
	v_bfi_b32 v15, s7, v15, v21
	v_mov_b64_e32 v[20:21], v[14:15]
	v_mov_b64_e32 v[24:25], v[18:19]
; %bb.226:
	s_andn2_saveexec_b64 s[4:5], s[4:5]
; %bb.227:
	v_bfi_b32 v19, s7, v19, v21
	v_mov_b64_e32 v[20:21], v[18:19]
; %bb.228:
	s_or_b64 exec, exec, s[4:5]
.LBB165_229:
	s_or_b64 exec, exec, s[2:3]
.LBB165_230:
	s_andn2_saveexec_b64 s[2:3], s[16:17]
	s_cbranch_execz .LBB165_232
; %bb.231:
	v_add_f64 v[14:15], v[20:21], -v[20:21]
	v_div_scale_f64 v[16:17], vcc, v[14:15], v[14:15], v[14:15]
	v_rcp_f64_e32 v[20:21], v[16:17]
	s_nop 0
	v_fma_f64 v[24:25], -v[16:17], v[20:21], 1.0
	v_fmac_f64_e32 v[20:21], v[20:21], v[24:25]
	v_fma_f64 v[24:25], -v[16:17], v[20:21], 1.0
	v_fmac_f64_e32 v[20:21], v[20:21], v[24:25]
	v_mul_f64 v[24:25], v[16:17], v[20:21]
	v_fma_f64 v[16:17], -v[16:17], v[24:25], v[16:17]
	v_div_fmas_f64 v[16:17], v[16:17], v[20:21], v[24:25]
	v_div_fixup_f64 v[20:21], v[16:17], v[14:15], v[14:15]
	v_mov_b64_e32 v[24:25], v[18:19]
.LBB165_232:
	s_or_b64 exec, exec, s[2:3]
.LBB165_233:
	s_or_b64 exec, exec, s[14:15]
.LBB165_234:
	s_or_b64 exec, exec, s[12:13]
	v_xor_b32_e32 v14, 0x80000000, v25
	v_cmp_gt_f64_e32 vcc, 0, v[24:25]
	v_mov_b32_e32 v26, v24
	v_mov_b32_e32 v18, v20
	v_cndmask_b32_e32 v27, v25, v14, vcc
	v_xor_b32_e32 v14, 0x80000000, v21
	v_cmp_gt_f64_e32 vcc, 0, v[20:21]
	s_nop 1
	v_cndmask_b32_e32 v19, v21, v14, vcc
	v_cmp_ge_f64_e32 vcc, v[26:27], v[18:19]
                                        ; implicit-def: $vgpr14_vgpr15
	s_and_saveexec_b64 s[2:3], vcc
	s_xor_b64 s[4:5], exec, s[2:3]
	s_cbranch_execz .LBB165_240
; %bb.235:
	v_cmp_neq_f64_e32 vcc, 0, v[24:25]
	v_cmp_neq_f64_e64 s[2:3], 0, v[20:21]
	s_or_b64 s[2:3], vcc, s[2:3]
                                        ; implicit-def: $vgpr14_vgpr15
	s_and_saveexec_b64 s[12:13], s[2:3]
	s_xor_b64 s[2:3], exec, s[12:13]
	s_cbranch_execz .LBB165_237
; %bb.236:
	v_div_scale_f64 v[14:15], s[12:13], v[24:25], v[24:25], v[20:21]
	v_rcp_f64_e32 v[16:17], v[14:15]
	v_div_scale_f64 v[18:19], vcc, v[20:21], v[24:25], v[20:21]
	v_fma_f64 v[26:27], -v[14:15], v[16:17], 1.0
	v_fmac_f64_e32 v[16:17], v[16:17], v[26:27]
	v_fma_f64 v[26:27], -v[14:15], v[16:17], 1.0
	v_fmac_f64_e32 v[16:17], v[16:17], v[26:27]
	v_mul_f64 v[26:27], v[18:19], v[16:17]
	v_fma_f64 v[14:15], -v[14:15], v[26:27], v[18:19]
	v_div_fmas_f64 v[14:15], v[14:15], v[16:17], v[26:27]
	v_div_fixup_f64 v[16:17], v[14:15], v[24:25], v[20:21]
	v_fmac_f64_e32 v[24:25], v[20:21], v[16:17]
	v_div_scale_f64 v[14:15], s[12:13], v[24:25], v[24:25], 1.0
	v_rcp_f64_e32 v[18:19], v[14:15]
	s_nop 0
	v_fma_f64 v[20:21], -v[14:15], v[18:19], 1.0
	v_fmac_f64_e32 v[18:19], v[18:19], v[20:21]
	v_fma_f64 v[20:21], -v[14:15], v[18:19], 1.0
	v_fmac_f64_e32 v[18:19], v[18:19], v[20:21]
	v_div_scale_f64 v[20:21], vcc, 1.0, v[24:25], 1.0
	v_mul_f64 v[26:27], v[20:21], v[18:19]
	v_fma_f64 v[14:15], -v[14:15], v[26:27], v[20:21]
	s_nop 1
	v_div_fmas_f64 v[14:15], v[14:15], v[18:19], v[26:27]
	v_div_fixup_f64 v[18:19], v[14:15], v[24:25], 1.0
	v_fma_f64 v[14:15], v[16:17], 0, 1.0
	v_add_f64 v[16:17], -v[16:17], 0
	v_mul_f64 v[14:15], v[14:15], v[18:19]
	v_mul_f64 v[16:17], v[16:17], v[18:19]
                                        ; implicit-def: $vgpr26_vgpr27
                                        ; implicit-def: $vgpr18_vgpr19
.LBB165_237:
	s_andn2_saveexec_b64 s[2:3], s[2:3]
	s_cbranch_execz .LBB165_239
; %bb.238:
	v_div_scale_f64 v[14:15], s[12:13], v[26:27], v[26:27], 1.0
	v_rcp_f64_e32 v[16:17], v[14:15]
	v_div_scale_f64 v[20:21], vcc, 1.0, v[26:27], 1.0
	v_fma_f64 v[24:25], -v[14:15], v[16:17], 1.0
	v_fmac_f64_e32 v[16:17], v[16:17], v[24:25]
	v_fma_f64 v[24:25], -v[14:15], v[16:17], 1.0
	v_fmac_f64_e32 v[16:17], v[16:17], v[24:25]
	v_mul_f64 v[24:25], v[20:21], v[16:17]
	v_fma_f64 v[14:15], -v[14:15], v[24:25], v[20:21]
	v_div_scale_f64 v[20:21], s[12:13], v[18:19], v[18:19], 0
	v_rcp_f64_e32 v[28:29], v[20:21]
	v_div_fmas_f64 v[14:15], v[14:15], v[16:17], v[24:25]
	v_div_fixup_f64 v[14:15], v[14:15], v[26:27], 1.0
	v_fma_f64 v[16:17], -v[20:21], v[28:29], 1.0
	v_fmac_f64_e32 v[28:29], v[28:29], v[16:17]
	v_fma_f64 v[16:17], -v[20:21], v[28:29], 1.0
	v_fmac_f64_e32 v[28:29], v[28:29], v[16:17]
	v_div_scale_f64 v[16:17], vcc, 0, v[18:19], 0
	v_mul_f64 v[24:25], v[16:17], v[28:29]
	v_fma_f64 v[16:17], -v[20:21], v[24:25], v[16:17]
	s_nop 1
	v_div_fmas_f64 v[16:17], v[16:17], v[28:29], v[24:25]
	v_div_fixup_f64 v[16:17], v[16:17], v[18:19], 0
.LBB165_239:
	s_or_b64 exec, exec, s[2:3]
                                        ; implicit-def: $vgpr20_vgpr21
                                        ; implicit-def: $vgpr24_vgpr25
.LBB165_240:
	s_andn2_saveexec_b64 s[2:3], s[4:5]
	s_cbranch_execz .LBB165_242
; %bb.241:
	v_div_scale_f64 v[14:15], s[4:5], v[20:21], v[20:21], v[24:25]
	v_rcp_f64_e32 v[16:17], v[14:15]
	v_div_scale_f64 v[18:19], vcc, v[24:25], v[20:21], v[24:25]
	v_fma_f64 v[26:27], -v[14:15], v[16:17], 1.0
	v_fmac_f64_e32 v[16:17], v[16:17], v[26:27]
	v_fma_f64 v[26:27], -v[14:15], v[16:17], 1.0
	v_fmac_f64_e32 v[16:17], v[16:17], v[26:27]
	v_mul_f64 v[26:27], v[18:19], v[16:17]
	v_fma_f64 v[14:15], -v[14:15], v[26:27], v[18:19]
	v_div_fmas_f64 v[14:15], v[14:15], v[16:17], v[26:27]
	v_div_fixup_f64 v[16:17], v[14:15], v[20:21], v[24:25]
	v_fmac_f64_e32 v[20:21], v[24:25], v[16:17]
	v_div_scale_f64 v[14:15], s[4:5], v[20:21], v[20:21], 1.0
	v_rcp_f64_e32 v[18:19], v[14:15]
	s_nop 0
	v_fma_f64 v[24:25], -v[14:15], v[18:19], 1.0
	v_fmac_f64_e32 v[18:19], v[18:19], v[24:25]
	v_fma_f64 v[24:25], -v[14:15], v[18:19], 1.0
	v_fmac_f64_e32 v[18:19], v[18:19], v[24:25]
	v_div_scale_f64 v[24:25], vcc, 1.0, v[20:21], 1.0
	v_mul_f64 v[26:27], v[24:25], v[18:19]
	v_fma_f64 v[14:15], -v[14:15], v[26:27], v[24:25]
	s_nop 1
	v_div_fmas_f64 v[14:15], v[14:15], v[18:19], v[26:27]
	v_div_fixup_f64 v[18:19], v[14:15], v[20:21], 1.0
	v_add_f64 v[14:15], v[16:17], 0
	v_fma_f64 v[16:17], v[16:17], 0, -1.0
	v_mul_f64 v[14:15], v[14:15], v[18:19]
	v_mul_f64 v[16:17], v[16:17], v[18:19]
.LBB165_242:
	s_or_b64 exec, exec, s[2:3]
.LBB165_243:
	s_or_b64 exec, exec, s[10:11]
	v_or_b32_e32 v18, 0x200, v0
	v_cmp_gt_i32_e32 vcc, s24, v18
	v_mov_b64_e32 v[18:19], 0
	v_mov_b64_e32 v[20:21], 0
	s_and_saveexec_b64 s[10:11], vcc
	s_cbranch_execz .LBB165_283
; %bb.244:
	v_cmp_neq_f64_e32 vcc, 0, v[10:11]
	v_cmp_neq_f64_e64 s[2:3], 0, v[12:13]
	v_mov_b64_e32 v[24:25], 0
	s_or_b64 s[2:3], vcc, s[2:3]
	s_and_saveexec_b64 s[12:13], s[2:3]
	s_cbranch_execz .LBB165_274
; %bb.245:
	v_mov_b32_e32 v24, 0
	v_mov_b32_e32 v25, 0x7ff00000
	v_cmp_neq_f64_e64 s[2:3], |v[12:13]|, v[24:25]
	s_and_saveexec_b64 s[14:15], s[2:3]
	s_cbranch_execz .LBB165_273
; %bb.246:
	v_cmp_o_f64_e32 vcc, v[10:11], v[10:11]
                                        ; implicit-def: $vgpr24_vgpr25
	s_and_saveexec_b64 s[2:3], vcc
	s_xor_b64 s[16:17], exec, s[2:3]
	s_cbranch_execz .LBB165_270
; %bb.247:
	s_mov_b32 s2, 0
	s_mov_b32 s3, 0x7ff00000
	v_cmp_neq_f64_e64 s[2:3], |v[10:11]|, s[2:3]
                                        ; implicit-def: $vgpr24_vgpr25
	s_and_saveexec_b64 s[4:5], s[2:3]
	s_xor_b64 s[18:19], exec, s[4:5]
	s_cbranch_execz .LBB165_263
; %bb.248:
	v_max_f64 v[18:19], |v[12:13]|, |v[12:13]|
	v_max_f64 v[20:21], |v[10:11]|, |v[10:11]|
	s_mov_b32 s2, 0x99fcef32
	v_max_f64 v[18:19], v[20:21], v[18:19]
	s_mov_b32 s3, 0x7fda8279
	v_cmp_nle_f64_e64 s[2:3], s[2:3], v[18:19]
                                        ; implicit-def: $sgpr20_sgpr21
	s_and_saveexec_b64 s[4:5], s[2:3]
	s_xor_b64 s[4:5], exec, s[4:5]
	s_cbranch_execz .LBB165_252
; %bb.249:
	s_mov_b32 s20, 0
	s_mov_b32 s21, 0x200000
	v_cmp_le_f64_e64 s[22:23], |v[10:11]|, s[20:21]
	v_cmp_le_f64_e64 s[20:21], |v[12:13]|, s[20:21]
	s_and_b64 s[26:27], s[22:23], s[20:21]
	s_mov_b64 s[20:21], 0
	s_and_saveexec_b64 s[22:23], s[26:27]
; %bb.250:
	s_mov_b64 s[20:21], exec
	v_mul_f64 v[10:11], v[10:11], 4.0
	v_mul_f64 v[12:13], v[12:13], 4.0
; %bb.251:
	s_or_b64 exec, exec, s[22:23]
.LBB165_252:
	s_andn2_saveexec_b64 s[4:5], s[4:5]
; %bb.253:
	v_ldexp_f64 v[10:11], v[10:11], -2
	v_ldexp_f64 v[12:13], v[12:13], -2
	s_andn2_b64 s[20:21], s[20:21], exec
; %bb.254:
	s_or_b64 exec, exec, s[4:5]
	v_max_f64 v[18:19], |v[12:13]|, |v[12:13]|
	v_max_f64 v[20:21], |v[10:11]|, |v[10:11]|
	v_max_f64 v[18:19], v[20:21], v[18:19]
	v_frexp_exp_i32_f64_e32 v23, v[18:19]
	v_sub_u32_e32 v20, 0, v23
	v_ldexp_f64 v[18:19], |v[10:11]|, v20
	v_ldexp_f64 v[20:21], |v[12:13]|, v20
	v_mul_f64 v[20:21], v[20:21], v[20:21]
	v_fmac_f64_e32 v[20:21], v[18:19], v[18:19]
	v_rsq_f64_e32 v[18:19], v[20:21]
	v_cmp_eq_f64_e64 s[4:5], 0, v[20:21]
	s_movk_i32 s7, 0x204
	v_cmp_class_f64_e64 s[22:23], v[12:13], s7
	v_mul_f64 v[24:25], v[20:21], v[18:19]
	v_mul_f64 v[18:19], v[18:19], 0.5
	v_fma_f64 v[26:27], -v[18:19], v[24:25], 0.5
	v_fmac_f64_e32 v[24:25], v[24:25], v[26:27]
	v_fmac_f64_e32 v[18:19], v[18:19], v[26:27]
	v_fma_f64 v[26:27], -v[24:25], v[24:25], v[20:21]
	v_fmac_f64_e32 v[24:25], v[26:27], v[18:19]
	v_cndmask_b32_e64 v19, v25, v21, s[4:5]
	v_cndmask_b32_e64 v18, v24, v20, s[4:5]
	v_ldexp_f64 v[18:19], v[18:19], v23
	v_cmp_o_f64_e64 s[4:5], v[12:13], v[12:13]
	v_mov_b32_e32 v20, 0x7ff80000
	v_cmp_le_f64_e32 vcc, 0, v[10:11]
	v_cndmask_b32_e64 v18, 0, v18, s[4:5]
	v_cndmask_b32_e64 v19, v20, v19, s[4:5]
	v_cmp_class_f64_e64 s[4:5], v[10:11], s7
	v_mov_b32_e32 v20, 0x7ff00000
	s_or_b64 s[4:5], s[22:23], s[4:5]
	v_cndmask_b32_e64 v25, v19, v20, s[4:5]
	v_cndmask_b32_e64 v24, v18, 0, s[4:5]
                                        ; implicit-def: $vgpr18_vgpr19
                                        ; implicit-def: $vgpr20_vgpr21
	s_and_saveexec_b64 s[4:5], vcc
	s_xor_b64 s[4:5], exec, s[4:5]
	s_cbranch_execz .LBB165_256
; %bb.255:
	v_add_f64 v[10:11], v[10:11], v[24:25]
	s_mov_b32 s22, 0
	v_mul_f64 v[10:11], v[10:11], 0.5
	s_brev_b32 s23, 8
	v_mov_b32_e32 v18, 0x100
	v_cmp_gt_f64_e32 vcc, s[22:23], v[10:11]
	s_nop 1
	v_cndmask_b32_e32 v18, 0, v18, vcc
	v_ldexp_f64 v[10:11], v[10:11], v18
	v_rsq_f64_e32 v[18:19], v[10:11]
	s_nop 0
	v_mul_f64 v[20:21], v[10:11], v[18:19]
	v_mul_f64 v[18:19], v[18:19], 0.5
	v_fma_f64 v[24:25], -v[18:19], v[20:21], 0.5
	v_fmac_f64_e32 v[20:21], v[20:21], v[24:25]
	v_fma_f64 v[26:27], -v[20:21], v[20:21], v[10:11]
	v_fmac_f64_e32 v[18:19], v[18:19], v[24:25]
	v_fmac_f64_e32 v[20:21], v[26:27], v[18:19]
	v_fma_f64 v[24:25], -v[20:21], v[20:21], v[10:11]
	v_fmac_f64_e32 v[20:21], v[24:25], v[18:19]
	v_mov_b32_e32 v18, 0xffffff80
	v_cndmask_b32_e32 v18, 0, v18, vcc
	v_ldexp_f64 v[18:19], v[20:21], v18
	v_mov_b32_e32 v20, 0x260
	v_cmp_class_f64_e32 vcc, v[10:11], v20
	s_nop 1
	v_cndmask_b32_e32 v21, v19, v11, vcc
	v_cndmask_b32_e32 v20, v18, v10, vcc
	v_add_f64 v[10:11], v[20:21], v[20:21]
	v_div_scale_f64 v[18:19], s[22:23], v[10:11], v[10:11], v[12:13]
	v_rcp_f64_e32 v[24:25], v[18:19]
	s_nop 0
	v_fma_f64 v[26:27], -v[18:19], v[24:25], 1.0
	v_fmac_f64_e32 v[24:25], v[24:25], v[26:27]
	v_fma_f64 v[26:27], -v[18:19], v[24:25], 1.0
	v_fmac_f64_e32 v[24:25], v[24:25], v[26:27]
	v_div_scale_f64 v[26:27], vcc, v[12:13], v[10:11], v[12:13]
	v_mul_f64 v[28:29], v[26:27], v[24:25]
	v_fma_f64 v[18:19], -v[18:19], v[28:29], v[26:27]
	s_nop 1
	v_div_fmas_f64 v[18:19], v[18:19], v[24:25], v[28:29]
	v_div_fixup_f64 v[18:19], v[18:19], v[10:11], v[12:13]
                                        ; implicit-def: $vgpr24_vgpr25
                                        ; implicit-def: $vgpr10_vgpr11
	s_andn2_saveexec_b64 s[4:5], s[4:5]
	s_cbranch_execz .LBB165_258
	s_branch .LBB165_257
.LBB165_256:
	s_andn2_saveexec_b64 s[4:5], s[4:5]
	s_cbranch_execz .LBB165_258
.LBB165_257:
	v_add_f64 v[10:11], v[24:25], -v[10:11]
	s_mov_b32 s22, 0
	v_mul_f64 v[10:11], v[10:11], 0.5
	s_brev_b32 s23, 8
	v_mov_b32_e32 v18, 0x100
	v_cmp_gt_f64_e32 vcc, s[22:23], v[10:11]
	s_brev_b32 s7, -2
	s_nop 0
	v_cndmask_b32_e32 v18, 0, v18, vcc
	v_ldexp_f64 v[10:11], v[10:11], v18
	v_rsq_f64_e32 v[18:19], v[10:11]
	s_nop 0
	v_mul_f64 v[20:21], v[10:11], v[18:19]
	v_mul_f64 v[18:19], v[18:19], 0.5
	v_fma_f64 v[24:25], -v[18:19], v[20:21], 0.5
	v_fmac_f64_e32 v[20:21], v[20:21], v[24:25]
	v_fma_f64 v[26:27], -v[20:21], v[20:21], v[10:11]
	v_fmac_f64_e32 v[18:19], v[18:19], v[24:25]
	v_fmac_f64_e32 v[20:21], v[26:27], v[18:19]
	v_fma_f64 v[24:25], -v[20:21], v[20:21], v[10:11]
	v_fmac_f64_e32 v[20:21], v[24:25], v[18:19]
	v_mov_b32_e32 v18, 0xffffff80
	v_cndmask_b32_e32 v18, 0, v18, vcc
	v_ldexp_f64 v[18:19], v[20:21], v18
	v_mov_b32_e32 v20, 0x260
	v_cmp_class_f64_e32 vcc, v[10:11], v20
	v_and_b32_e32 v21, 0x7fffffff, v13
	v_mov_b32_e32 v20, v12
	v_cndmask_b32_e32 v19, v19, v11, vcc
	v_cndmask_b32_e32 v18, v18, v10, vcc
	v_add_f64 v[10:11], v[18:19], v[18:19]
	v_div_scale_f64 v[24:25], s[22:23], v[10:11], v[10:11], v[20:21]
	v_rcp_f64_e32 v[26:27], v[24:25]
	v_div_scale_f64 v[20:21], vcc, v[20:21], v[10:11], v[20:21]
	v_bfi_b32 v19, s7, v19, v13
	v_fma_f64 v[28:29], -v[24:25], v[26:27], 1.0
	v_fmac_f64_e32 v[26:27], v[26:27], v[28:29]
	v_fma_f64 v[28:29], -v[24:25], v[26:27], 1.0
	v_fmac_f64_e32 v[26:27], v[26:27], v[28:29]
	v_mul_f64 v[28:29], v[20:21], v[26:27]
	v_fma_f64 v[20:21], -v[24:25], v[28:29], v[20:21]
	v_div_fmas_f64 v[20:21], v[20:21], v[26:27], v[28:29]
	v_div_fixup_f64 v[20:21], v[20:21], v[10:11], |v[12:13]|
.LBB165_258:
	s_or_b64 exec, exec, s[4:5]
                                        ; implicit-def: $vgpr12_vgpr13
                                        ; implicit-def: $vgpr24_vgpr25
	s_and_saveexec_b64 s[4:5], s[2:3]
	s_xor_b64 s[2:3], exec, s[4:5]
	s_cbranch_execz .LBB165_260
; %bb.259:
	v_mul_f64 v[10:11], v[20:21], 0.5
	v_mul_f64 v[12:13], v[18:19], 0.5
	v_cndmask_b32_e64 v25, v21, v11, s[20:21]
	v_cndmask_b32_e64 v24, v20, v10, s[20:21]
	v_cndmask_b32_e64 v13, v19, v13, s[20:21]
	v_cndmask_b32_e64 v12, v18, v12, s[20:21]
                                        ; implicit-def: $vgpr20_vgpr21
                                        ; implicit-def: $vgpr18_vgpr19
	s_andn2_saveexec_b64 s[2:3], s[2:3]
	s_cbranch_execnz .LBB165_261
	s_branch .LBB165_262
.LBB165_260:
	s_andn2_saveexec_b64 s[2:3], s[2:3]
.LBB165_261:
	v_add_f64 v[24:25], v[20:21], v[20:21]
	v_add_f64 v[12:13], v[18:19], v[18:19]
.LBB165_262:
	s_or_b64 exec, exec, s[2:3]
.LBB165_263:
	s_andn2_saveexec_b64 s[2:3], s[18:19]
	s_cbranch_execz .LBB165_269
; %bb.264:
	v_add_f64 v[18:19], v[12:13], -v[12:13]
	v_cmp_lt_i64_e32 vcc, -1, v[10:11]
	s_brev_b32 s7, -2
	v_and_b32_e32 v25, 0x7fffffff, v19
	v_mov_b32_e32 v24, v18
	s_and_saveexec_b64 s[4:5], vcc
	s_xor_b64 s[4:5], exec, s[4:5]
; %bb.265:
	v_bfi_b32 v19, s7, v19, v13
	v_mov_b64_e32 v[12:13], v[18:19]
	v_mov_b64_e32 v[24:25], v[10:11]
; %bb.266:
	s_andn2_saveexec_b64 s[4:5], s[4:5]
; %bb.267:
	v_bfi_b32 v11, s7, v11, v13
	v_mov_b64_e32 v[12:13], v[10:11]
; %bb.268:
	s_or_b64 exec, exec, s[4:5]
.LBB165_269:
	s_or_b64 exec, exec, s[2:3]
.LBB165_270:
	s_andn2_saveexec_b64 s[2:3], s[16:17]
	s_cbranch_execz .LBB165_272
; %bb.271:
	v_add_f64 v[12:13], v[12:13], -v[12:13]
	v_div_scale_f64 v[18:19], vcc, v[12:13], v[12:13], v[12:13]
	v_rcp_f64_e32 v[20:21], v[18:19]
	s_nop 0
	v_fma_f64 v[24:25], -v[18:19], v[20:21], 1.0
	v_fmac_f64_e32 v[20:21], v[20:21], v[24:25]
	v_fma_f64 v[24:25], -v[18:19], v[20:21], 1.0
	v_fmac_f64_e32 v[20:21], v[20:21], v[24:25]
	v_mul_f64 v[24:25], v[18:19], v[20:21]
	v_fma_f64 v[18:19], -v[18:19], v[24:25], v[18:19]
	v_div_fmas_f64 v[18:19], v[18:19], v[20:21], v[24:25]
	v_div_fixup_f64 v[12:13], v[18:19], v[12:13], v[12:13]
	v_mov_b64_e32 v[24:25], v[10:11]
.LBB165_272:
	s_or_b64 exec, exec, s[2:3]
.LBB165_273:
	s_or_b64 exec, exec, s[14:15]
.LBB165_274:
	s_or_b64 exec, exec, s[12:13]
	v_xor_b32_e32 v10, 0x80000000, v25
	v_cmp_gt_f64_e32 vcc, 0, v[24:25]
	v_mov_b32_e32 v26, v24
                                        ; implicit-def: $vgpr18_vgpr19
	s_nop 0
	v_cndmask_b32_e32 v27, v25, v10, vcc
	v_xor_b32_e32 v10, 0x80000000, v13
	v_cmp_gt_f64_e32 vcc, 0, v[12:13]
	s_nop 1
	v_cndmask_b32_e32 v11, v13, v10, vcc
	v_mov_b32_e32 v10, v12
	v_cmp_ge_f64_e32 vcc, v[26:27], v[10:11]
	s_and_saveexec_b64 s[2:3], vcc
	s_xor_b64 s[4:5], exec, s[2:3]
	s_cbranch_execz .LBB165_280
; %bb.275:
	v_cmp_neq_f64_e32 vcc, 0, v[24:25]
	v_cmp_neq_f64_e64 s[2:3], 0, v[12:13]
	s_or_b64 s[2:3], vcc, s[2:3]
                                        ; implicit-def: $vgpr18_vgpr19
	s_and_saveexec_b64 s[12:13], s[2:3]
	s_xor_b64 s[2:3], exec, s[12:13]
	s_cbranch_execz .LBB165_277
; %bb.276:
	v_div_scale_f64 v[10:11], s[12:13], v[24:25], v[24:25], v[12:13]
	v_rcp_f64_e32 v[18:19], v[10:11]
	v_div_scale_f64 v[20:21], vcc, v[12:13], v[24:25], v[12:13]
	v_fma_f64 v[26:27], -v[10:11], v[18:19], 1.0
	v_fmac_f64_e32 v[18:19], v[18:19], v[26:27]
	v_fma_f64 v[26:27], -v[10:11], v[18:19], 1.0
	v_fmac_f64_e32 v[18:19], v[18:19], v[26:27]
	v_mul_f64 v[26:27], v[20:21], v[18:19]
	v_fma_f64 v[10:11], -v[10:11], v[26:27], v[20:21]
	v_div_fmas_f64 v[10:11], v[10:11], v[18:19], v[26:27]
	v_div_fixup_f64 v[10:11], v[10:11], v[24:25], v[12:13]
	v_fmac_f64_e32 v[24:25], v[12:13], v[10:11]
	v_div_scale_f64 v[12:13], s[12:13], v[24:25], v[24:25], 1.0
	v_rcp_f64_e32 v[18:19], v[12:13]
	s_nop 0
	v_fma_f64 v[20:21], -v[12:13], v[18:19], 1.0
	v_fmac_f64_e32 v[18:19], v[18:19], v[20:21]
	v_fma_f64 v[20:21], -v[12:13], v[18:19], 1.0
	v_fmac_f64_e32 v[18:19], v[18:19], v[20:21]
	v_div_scale_f64 v[20:21], vcc, 1.0, v[24:25], 1.0
	v_mul_f64 v[26:27], v[20:21], v[18:19]
	v_fma_f64 v[12:13], -v[12:13], v[26:27], v[20:21]
	s_nop 1
	v_div_fmas_f64 v[12:13], v[12:13], v[18:19], v[26:27]
	v_div_fixup_f64 v[12:13], v[12:13], v[24:25], 1.0
	v_fma_f64 v[18:19], v[10:11], 0, 1.0
	v_add_f64 v[10:11], -v[10:11], 0
	v_mul_f64 v[18:19], v[18:19], v[12:13]
	v_mul_f64 v[20:21], v[10:11], v[12:13]
                                        ; implicit-def: $vgpr26_vgpr27
                                        ; implicit-def: $vgpr10_vgpr11
.LBB165_277:
	s_andn2_saveexec_b64 s[2:3], s[2:3]
	s_cbranch_execz .LBB165_279
; %bb.278:
	v_div_scale_f64 v[12:13], s[12:13], v[26:27], v[26:27], 1.0
	v_rcp_f64_e32 v[18:19], v[12:13]
	v_div_scale_f64 v[20:21], vcc, 1.0, v[26:27], 1.0
	v_fma_f64 v[24:25], -v[12:13], v[18:19], 1.0
	v_fmac_f64_e32 v[18:19], v[18:19], v[24:25]
	v_fma_f64 v[24:25], -v[12:13], v[18:19], 1.0
	v_fmac_f64_e32 v[18:19], v[18:19], v[24:25]
	v_mul_f64 v[24:25], v[20:21], v[18:19]
	v_fma_f64 v[12:13], -v[12:13], v[24:25], v[20:21]
	v_div_scale_f64 v[20:21], s[12:13], v[10:11], v[10:11], 0
	v_rcp_f64_e32 v[28:29], v[20:21]
	v_div_fmas_f64 v[12:13], v[12:13], v[18:19], v[24:25]
	v_div_fixup_f64 v[18:19], v[12:13], v[26:27], 1.0
	v_fma_f64 v[12:13], -v[20:21], v[28:29], 1.0
	v_fmac_f64_e32 v[28:29], v[28:29], v[12:13]
	v_fma_f64 v[12:13], -v[20:21], v[28:29], 1.0
	v_fmac_f64_e32 v[28:29], v[28:29], v[12:13]
	v_div_scale_f64 v[12:13], vcc, 0, v[10:11], 0
	v_mul_f64 v[24:25], v[12:13], v[28:29]
	v_fma_f64 v[12:13], -v[20:21], v[24:25], v[12:13]
	s_nop 1
	v_div_fmas_f64 v[12:13], v[12:13], v[28:29], v[24:25]
	v_div_fixup_f64 v[20:21], v[12:13], v[10:11], 0
.LBB165_279:
	s_or_b64 exec, exec, s[2:3]
                                        ; implicit-def: $vgpr12_vgpr13
                                        ; implicit-def: $vgpr24_vgpr25
.LBB165_280:
	s_andn2_saveexec_b64 s[2:3], s[4:5]
	s_cbranch_execz .LBB165_282
; %bb.281:
	v_div_scale_f64 v[10:11], s[4:5], v[12:13], v[12:13], v[24:25]
	v_rcp_f64_e32 v[18:19], v[10:11]
	v_div_scale_f64 v[20:21], vcc, v[24:25], v[12:13], v[24:25]
	v_fma_f64 v[26:27], -v[10:11], v[18:19], 1.0
	v_fmac_f64_e32 v[18:19], v[18:19], v[26:27]
	v_fma_f64 v[26:27], -v[10:11], v[18:19], 1.0
	v_fmac_f64_e32 v[18:19], v[18:19], v[26:27]
	v_mul_f64 v[26:27], v[20:21], v[18:19]
	v_fma_f64 v[10:11], -v[10:11], v[26:27], v[20:21]
	v_div_fmas_f64 v[10:11], v[10:11], v[18:19], v[26:27]
	v_div_fixup_f64 v[10:11], v[10:11], v[12:13], v[24:25]
	v_fmac_f64_e32 v[12:13], v[24:25], v[10:11]
	v_div_scale_f64 v[18:19], s[4:5], v[12:13], v[12:13], 1.0
	v_rcp_f64_e32 v[20:21], v[18:19]
	s_nop 0
	v_fma_f64 v[24:25], -v[18:19], v[20:21], 1.0
	v_fmac_f64_e32 v[20:21], v[20:21], v[24:25]
	v_fma_f64 v[24:25], -v[18:19], v[20:21], 1.0
	v_fmac_f64_e32 v[20:21], v[20:21], v[24:25]
	v_div_scale_f64 v[24:25], vcc, 1.0, v[12:13], 1.0
	v_mul_f64 v[26:27], v[24:25], v[20:21]
	v_fma_f64 v[18:19], -v[18:19], v[26:27], v[24:25]
	s_nop 1
	v_div_fmas_f64 v[18:19], v[18:19], v[20:21], v[26:27]
	v_div_fixup_f64 v[12:13], v[18:19], v[12:13], 1.0
	v_add_f64 v[18:19], v[10:11], 0
	v_fma_f64 v[10:11], v[10:11], 0, -1.0
	v_mul_f64 v[18:19], v[18:19], v[12:13]
	v_mul_f64 v[20:21], v[10:11], v[12:13]
.LBB165_282:
	s_or_b64 exec, exec, s[2:3]
.LBB165_283:
	s_or_b64 exec, exec, s[10:11]
	v_or_b32_e32 v10, 0x300, v0
	v_cmp_gt_i32_e32 vcc, s24, v10
	v_mov_b64_e32 v[10:11], 0
	v_mov_b64_e32 v[12:13], 0
	s_and_saveexec_b64 s[10:11], vcc
	s_cbranch_execz .LBB165_296
; %bb.284:
	v_cmp_neq_f64_e32 vcc, 0, v[2:3]
	v_cmp_neq_f64_e64 s[2:3], 0, v[4:5]
	v_mov_b64_e32 v[24:25], 0
	s_or_b64 s[2:3], vcc, s[2:3]
	s_and_saveexec_b64 s[12:13], s[2:3]
	s_cbranch_execz .LBB165_318
; %bb.285:
	v_mov_b32_e32 v24, 0
	v_mov_b32_e32 v25, 0x7ff00000
	v_cmp_neq_f64_e64 s[2:3], |v[4:5]|, v[24:25]
	s_and_saveexec_b64 s[14:15], s[2:3]
	s_cbranch_execz .LBB165_317
; %bb.286:
	v_cmp_o_f64_e32 vcc, v[2:3], v[2:3]
                                        ; implicit-def: $vgpr24_vgpr25
	s_and_saveexec_b64 s[2:3], vcc
	s_xor_b64 s[16:17], exec, s[2:3]
	s_cbranch_execz .LBB165_314
; %bb.287:
	s_mov_b32 s2, 0
	s_mov_b32 s3, 0x7ff00000
	v_cmp_neq_f64_e64 s[2:3], |v[2:3]|, s[2:3]
                                        ; implicit-def: $vgpr24_vgpr25
	s_and_saveexec_b64 s[4:5], s[2:3]
	s_xor_b64 s[18:19], exec, s[4:5]
	s_cbranch_execz .LBB165_307
; %bb.288:
	v_max_f64 v[10:11], |v[4:5]|, |v[4:5]|
	v_max_f64 v[12:13], |v[2:3]|, |v[2:3]|
	s_mov_b32 s2, 0x99fcef32
	v_max_f64 v[10:11], v[12:13], v[10:11]
	s_mov_b32 s3, 0x7fda8279
	v_cmp_nle_f64_e64 s[2:3], s[2:3], v[10:11]
                                        ; implicit-def: $sgpr20_sgpr21
	s_and_saveexec_b64 s[4:5], s[2:3]
	s_xor_b64 s[4:5], exec, s[4:5]
	s_cbranch_execz .LBB165_292
; %bb.289:
	s_mov_b32 s20, 0
	s_mov_b32 s21, 0x200000
	v_cmp_le_f64_e64 s[22:23], |v[2:3]|, s[20:21]
	v_cmp_le_f64_e64 s[20:21], |v[4:5]|, s[20:21]
	s_and_b64 s[26:27], s[22:23], s[20:21]
	s_mov_b64 s[20:21], 0
	s_and_saveexec_b64 s[22:23], s[26:27]
; %bb.290:
	s_mov_b64 s[20:21], exec
	v_mul_f64 v[2:3], v[2:3], 4.0
	v_mul_f64 v[4:5], v[4:5], 4.0
; %bb.291:
	s_or_b64 exec, exec, s[22:23]
.LBB165_292:
	s_andn2_saveexec_b64 s[4:5], s[4:5]
; %bb.293:
	v_ldexp_f64 v[2:3], v[2:3], -2
	v_ldexp_f64 v[4:5], v[4:5], -2
	s_andn2_b64 s[20:21], s[20:21], exec
; %bb.294:
	s_or_b64 exec, exec, s[4:5]
	v_max_f64 v[10:11], |v[4:5]|, |v[4:5]|
	v_max_f64 v[12:13], |v[2:3]|, |v[2:3]|
	v_max_f64 v[10:11], v[12:13], v[10:11]
	v_frexp_exp_i32_f64_e32 v23, v[10:11]
	v_sub_u32_e32 v12, 0, v23
	v_ldexp_f64 v[10:11], |v[2:3]|, v12
	v_ldexp_f64 v[12:13], |v[4:5]|, v12
	v_mul_f64 v[12:13], v[12:13], v[12:13]
	v_fmac_f64_e32 v[12:13], v[10:11], v[10:11]
	v_rsq_f64_e32 v[10:11], v[12:13]
	v_cmp_eq_f64_e64 s[4:5], 0, v[12:13]
	s_movk_i32 s7, 0x204
	v_cmp_class_f64_e64 s[22:23], v[4:5], s7
	v_mul_f64 v[24:25], v[12:13], v[10:11]
	v_mul_f64 v[10:11], v[10:11], 0.5
	v_fma_f64 v[26:27], -v[10:11], v[24:25], 0.5
	v_fmac_f64_e32 v[24:25], v[24:25], v[26:27]
	v_fmac_f64_e32 v[10:11], v[10:11], v[26:27]
	v_fma_f64 v[26:27], -v[24:25], v[24:25], v[12:13]
	v_fmac_f64_e32 v[24:25], v[26:27], v[10:11]
	v_cndmask_b32_e64 v11, v25, v13, s[4:5]
	v_cndmask_b32_e64 v10, v24, v12, s[4:5]
	v_ldexp_f64 v[10:11], v[10:11], v23
	v_cmp_o_f64_e64 s[4:5], v[4:5], v[4:5]
	v_mov_b32_e32 v12, 0x7ff80000
	v_cmp_le_f64_e32 vcc, 0, v[2:3]
	v_cndmask_b32_e64 v10, 0, v10, s[4:5]
	v_cndmask_b32_e64 v11, v12, v11, s[4:5]
	v_cmp_class_f64_e64 s[4:5], v[2:3], s7
	v_mov_b32_e32 v12, 0x7ff00000
	s_or_b64 s[4:5], s[22:23], s[4:5]
	v_cndmask_b32_e64 v25, v11, v12, s[4:5]
	v_cndmask_b32_e64 v24, v10, 0, s[4:5]
                                        ; implicit-def: $vgpr10_vgpr11
                                        ; implicit-def: $vgpr12_vgpr13
	s_and_saveexec_b64 s[4:5], vcc
	s_xor_b64 s[4:5], exec, s[4:5]
	s_cbranch_execz .LBB165_300
; %bb.295:
	v_add_f64 v[2:3], v[2:3], v[24:25]
	s_mov_b32 s22, 0
	v_mul_f64 v[2:3], v[2:3], 0.5
	s_brev_b32 s23, 8
	v_mov_b32_e32 v10, 0x100
	v_cmp_gt_f64_e32 vcc, s[22:23], v[2:3]
	s_nop 1
	v_cndmask_b32_e32 v10, 0, v10, vcc
	v_ldexp_f64 v[2:3], v[2:3], v10
	v_rsq_f64_e32 v[10:11], v[2:3]
	s_nop 0
	v_mul_f64 v[12:13], v[2:3], v[10:11]
	v_mul_f64 v[10:11], v[10:11], 0.5
	v_fma_f64 v[24:25], -v[10:11], v[12:13], 0.5
	v_fmac_f64_e32 v[12:13], v[12:13], v[24:25]
	v_fma_f64 v[26:27], -v[12:13], v[12:13], v[2:3]
	v_fmac_f64_e32 v[10:11], v[10:11], v[24:25]
	v_fmac_f64_e32 v[12:13], v[26:27], v[10:11]
	v_fma_f64 v[24:25], -v[12:13], v[12:13], v[2:3]
	v_fmac_f64_e32 v[12:13], v[24:25], v[10:11]
	v_mov_b32_e32 v10, 0xffffff80
	v_cndmask_b32_e32 v10, 0, v10, vcc
	v_ldexp_f64 v[10:11], v[12:13], v10
	v_mov_b32_e32 v12, 0x260
	v_cmp_class_f64_e32 vcc, v[2:3], v12
	s_nop 1
	v_cndmask_b32_e32 v13, v11, v3, vcc
	v_cndmask_b32_e32 v12, v10, v2, vcc
	v_add_f64 v[2:3], v[12:13], v[12:13]
	v_div_scale_f64 v[10:11], s[22:23], v[2:3], v[2:3], v[4:5]
	v_rcp_f64_e32 v[24:25], v[10:11]
	s_nop 0
	v_fma_f64 v[26:27], -v[10:11], v[24:25], 1.0
	v_fmac_f64_e32 v[24:25], v[24:25], v[26:27]
	v_fma_f64 v[26:27], -v[10:11], v[24:25], 1.0
	v_fmac_f64_e32 v[24:25], v[24:25], v[26:27]
	v_div_scale_f64 v[26:27], vcc, v[4:5], v[2:3], v[4:5]
	v_mul_f64 v[28:29], v[26:27], v[24:25]
	v_fma_f64 v[10:11], -v[10:11], v[28:29], v[26:27]
	s_nop 1
	v_div_fmas_f64 v[10:11], v[10:11], v[24:25], v[28:29]
	v_div_fixup_f64 v[10:11], v[10:11], v[2:3], v[4:5]
                                        ; implicit-def: $vgpr24_vgpr25
                                        ; implicit-def: $vgpr2_vgpr3
	s_andn2_saveexec_b64 s[4:5], s[4:5]
	s_cbranch_execz .LBB165_302
	s_branch .LBB165_301
.LBB165_296:
	s_or_b64 exec, exec, s[10:11]
	s_and_saveexec_b64 s[2:3], s[0:1]
	s_xor_b64 s[0:1], exec, s[2:3]
	s_cbranch_execz .LBB165_327
.LBB165_297:
	v_mov_b32_e32 v23, 0
	v_lshl_add_u64 v[2:3], v[22:23], 4, s[8:9]
	v_mov_b32_e32 v0, v1
	global_store_dwordx4 v[2:3], v[6:9], off
	s_or_b64 exec, exec, s[0:1]
	v_cmp_gt_i32_e32 vcc, s24, v0
	s_and_saveexec_b64 s[0:1], vcc
	s_cbranch_execnz .LBB165_328
.LBB165_298:
	s_or_b64 exec, exec, s[0:1]
	v_cmp_gt_i32_e32 vcc, s24, v0
	s_and_saveexec_b64 s[0:1], vcc
	s_cbranch_execz .LBB165_329
.LBB165_299:
	v_add_u32_e32 v2, s6, v0
	v_mov_b32_e32 v3, 0
	v_lshl_add_u64 v[2:3], v[2:3], 4, s[8:9]
	v_add_u32_e32 v0, 0x100, v0
	global_store_dwordx4 v[2:3], v[18:21], off
	s_or_b64 exec, exec, s[0:1]
	v_cmp_gt_i32_e32 vcc, s24, v0
	s_and_saveexec_b64 s[0:1], vcc
	s_cbranch_execnz .LBB165_330
	s_branch .LBB165_331
.LBB165_300:
	s_andn2_saveexec_b64 s[4:5], s[4:5]
	s_cbranch_execz .LBB165_302
.LBB165_301:
	v_add_f64 v[2:3], v[24:25], -v[2:3]
	s_mov_b32 s22, 0
	v_mul_f64 v[2:3], v[2:3], 0.5
	s_brev_b32 s23, 8
	v_mov_b32_e32 v10, 0x100
	v_cmp_gt_f64_e32 vcc, s[22:23], v[2:3]
	s_brev_b32 s7, -2
	s_nop 0
	v_cndmask_b32_e32 v10, 0, v10, vcc
	v_ldexp_f64 v[2:3], v[2:3], v10
	v_rsq_f64_e32 v[10:11], v[2:3]
	s_nop 0
	v_mul_f64 v[12:13], v[2:3], v[10:11]
	v_mul_f64 v[10:11], v[10:11], 0.5
	v_fma_f64 v[24:25], -v[10:11], v[12:13], 0.5
	v_fmac_f64_e32 v[12:13], v[12:13], v[24:25]
	v_fma_f64 v[26:27], -v[12:13], v[12:13], v[2:3]
	v_fmac_f64_e32 v[10:11], v[10:11], v[24:25]
	v_fmac_f64_e32 v[12:13], v[26:27], v[10:11]
	v_fma_f64 v[24:25], -v[12:13], v[12:13], v[2:3]
	v_fmac_f64_e32 v[12:13], v[24:25], v[10:11]
	v_mov_b32_e32 v10, 0xffffff80
	v_cndmask_b32_e32 v10, 0, v10, vcc
	v_ldexp_f64 v[10:11], v[12:13], v10
	v_mov_b32_e32 v12, 0x260
	v_cmp_class_f64_e32 vcc, v[2:3], v12
	v_and_b32_e32 v13, 0x7fffffff, v5
	v_mov_b32_e32 v12, v4
	v_cndmask_b32_e32 v11, v11, v3, vcc
	v_cndmask_b32_e32 v10, v10, v2, vcc
	v_add_f64 v[2:3], v[10:11], v[10:11]
	v_div_scale_f64 v[24:25], s[22:23], v[2:3], v[2:3], v[12:13]
	v_rcp_f64_e32 v[26:27], v[24:25]
	v_div_scale_f64 v[12:13], vcc, v[12:13], v[2:3], v[12:13]
	v_bfi_b32 v11, s7, v11, v5
	v_fma_f64 v[28:29], -v[24:25], v[26:27], 1.0
	v_fmac_f64_e32 v[26:27], v[26:27], v[28:29]
	v_fma_f64 v[28:29], -v[24:25], v[26:27], 1.0
	v_fmac_f64_e32 v[26:27], v[26:27], v[28:29]
	v_mul_f64 v[28:29], v[12:13], v[26:27]
	v_fma_f64 v[12:13], -v[24:25], v[28:29], v[12:13]
	v_div_fmas_f64 v[12:13], v[12:13], v[26:27], v[28:29]
	v_div_fixup_f64 v[12:13], v[12:13], v[2:3], |v[4:5]|
.LBB165_302:
	s_or_b64 exec, exec, s[4:5]
                                        ; implicit-def: $vgpr4_vgpr5
                                        ; implicit-def: $vgpr24_vgpr25
	s_and_saveexec_b64 s[4:5], s[2:3]
	s_xor_b64 s[2:3], exec, s[4:5]
	s_cbranch_execz .LBB165_304
; %bb.303:
	v_mul_f64 v[2:3], v[12:13], 0.5
	v_mul_f64 v[4:5], v[10:11], 0.5
	v_cndmask_b32_e64 v25, v13, v3, s[20:21]
	v_cndmask_b32_e64 v24, v12, v2, s[20:21]
	;; [unrolled: 1-line block ×4, first 2 shown]
                                        ; implicit-def: $vgpr12_vgpr13
                                        ; implicit-def: $vgpr10_vgpr11
	s_andn2_saveexec_b64 s[2:3], s[2:3]
	s_cbranch_execnz .LBB165_305
	s_branch .LBB165_306
.LBB165_304:
	s_andn2_saveexec_b64 s[2:3], s[2:3]
.LBB165_305:
	v_add_f64 v[24:25], v[12:13], v[12:13]
	v_add_f64 v[4:5], v[10:11], v[10:11]
.LBB165_306:
	s_or_b64 exec, exec, s[2:3]
.LBB165_307:
	s_andn2_saveexec_b64 s[2:3], s[18:19]
	s_cbranch_execz .LBB165_313
; %bb.308:
	v_add_f64 v[10:11], v[4:5], -v[4:5]
	v_cmp_lt_i64_e32 vcc, -1, v[2:3]
	s_brev_b32 s7, -2
	v_and_b32_e32 v25, 0x7fffffff, v11
	v_mov_b32_e32 v24, v10
	s_and_saveexec_b64 s[4:5], vcc
	s_xor_b64 s[4:5], exec, s[4:5]
; %bb.309:
	v_bfi_b32 v11, s7, v11, v5
	v_mov_b64_e32 v[4:5], v[10:11]
	v_mov_b64_e32 v[24:25], v[2:3]
; %bb.310:
	s_andn2_saveexec_b64 s[4:5], s[4:5]
; %bb.311:
	v_bfi_b32 v3, s7, v3, v5
	v_mov_b64_e32 v[4:5], v[2:3]
; %bb.312:
	s_or_b64 exec, exec, s[4:5]
.LBB165_313:
	s_or_b64 exec, exec, s[2:3]
.LBB165_314:
	s_andn2_saveexec_b64 s[2:3], s[16:17]
	s_cbranch_execz .LBB165_316
; %bb.315:
	v_add_f64 v[4:5], v[4:5], -v[4:5]
	v_div_scale_f64 v[10:11], vcc, v[4:5], v[4:5], v[4:5]
	v_rcp_f64_e32 v[12:13], v[10:11]
	s_nop 0
	v_fma_f64 v[24:25], -v[10:11], v[12:13], 1.0
	v_fmac_f64_e32 v[12:13], v[12:13], v[24:25]
	v_fma_f64 v[24:25], -v[10:11], v[12:13], 1.0
	v_fmac_f64_e32 v[12:13], v[12:13], v[24:25]
	v_mul_f64 v[24:25], v[10:11], v[12:13]
	v_fma_f64 v[10:11], -v[10:11], v[24:25], v[10:11]
	v_div_fmas_f64 v[10:11], v[10:11], v[12:13], v[24:25]
	v_div_fixup_f64 v[4:5], v[10:11], v[4:5], v[4:5]
	v_mov_b64_e32 v[24:25], v[2:3]
.LBB165_316:
	s_or_b64 exec, exec, s[2:3]
.LBB165_317:
	s_or_b64 exec, exec, s[14:15]
.LBB165_318:
	s_or_b64 exec, exec, s[12:13]
	v_xor_b32_e32 v2, 0x80000000, v25
	v_cmp_gt_f64_e32 vcc, 0, v[24:25]
	v_mov_b32_e32 v26, v24
                                        ; implicit-def: $vgpr10_vgpr11
	s_nop 0
	v_cndmask_b32_e32 v27, v25, v2, vcc
	v_xor_b32_e32 v2, 0x80000000, v5
	v_cmp_gt_f64_e32 vcc, 0, v[4:5]
	s_nop 1
	v_cndmask_b32_e32 v3, v5, v2, vcc
	v_mov_b32_e32 v2, v4
	v_cmp_ge_f64_e32 vcc, v[26:27], v[2:3]
	s_and_saveexec_b64 s[2:3], vcc
	s_xor_b64 s[4:5], exec, s[2:3]
	s_cbranch_execz .LBB165_324
; %bb.319:
	v_cmp_neq_f64_e32 vcc, 0, v[24:25]
	v_cmp_neq_f64_e64 s[2:3], 0, v[4:5]
	s_or_b64 s[2:3], vcc, s[2:3]
                                        ; implicit-def: $vgpr10_vgpr11
	s_and_saveexec_b64 s[12:13], s[2:3]
	s_xor_b64 s[2:3], exec, s[12:13]
	s_cbranch_execz .LBB165_321
; %bb.320:
	v_div_scale_f64 v[2:3], s[12:13], v[24:25], v[24:25], v[4:5]
	v_rcp_f64_e32 v[10:11], v[2:3]
	v_div_scale_f64 v[12:13], vcc, v[4:5], v[24:25], v[4:5]
	v_fma_f64 v[26:27], -v[2:3], v[10:11], 1.0
	v_fmac_f64_e32 v[10:11], v[10:11], v[26:27]
	v_fma_f64 v[26:27], -v[2:3], v[10:11], 1.0
	v_fmac_f64_e32 v[10:11], v[10:11], v[26:27]
	v_mul_f64 v[26:27], v[12:13], v[10:11]
	v_fma_f64 v[2:3], -v[2:3], v[26:27], v[12:13]
	v_div_fmas_f64 v[2:3], v[2:3], v[10:11], v[26:27]
	v_div_fixup_f64 v[2:3], v[2:3], v[24:25], v[4:5]
	v_fmac_f64_e32 v[24:25], v[4:5], v[2:3]
	v_div_scale_f64 v[4:5], s[12:13], v[24:25], v[24:25], 1.0
	v_rcp_f64_e32 v[10:11], v[4:5]
	s_nop 0
	v_fma_f64 v[12:13], -v[4:5], v[10:11], 1.0
	v_fmac_f64_e32 v[10:11], v[10:11], v[12:13]
	v_fma_f64 v[12:13], -v[4:5], v[10:11], 1.0
	v_fmac_f64_e32 v[10:11], v[10:11], v[12:13]
	v_div_scale_f64 v[12:13], vcc, 1.0, v[24:25], 1.0
	v_mul_f64 v[26:27], v[12:13], v[10:11]
	v_fma_f64 v[4:5], -v[4:5], v[26:27], v[12:13]
	s_nop 1
	v_div_fmas_f64 v[4:5], v[4:5], v[10:11], v[26:27]
	v_div_fixup_f64 v[4:5], v[4:5], v[24:25], 1.0
	v_fma_f64 v[10:11], v[2:3], 0, 1.0
	v_add_f64 v[2:3], -v[2:3], 0
	v_mul_f64 v[10:11], v[10:11], v[4:5]
	v_mul_f64 v[12:13], v[2:3], v[4:5]
                                        ; implicit-def: $vgpr26_vgpr27
                                        ; implicit-def: $vgpr2_vgpr3
.LBB165_321:
	s_andn2_saveexec_b64 s[2:3], s[2:3]
	s_cbranch_execz .LBB165_323
; %bb.322:
	v_div_scale_f64 v[4:5], s[12:13], v[26:27], v[26:27], 1.0
	v_rcp_f64_e32 v[10:11], v[4:5]
	v_div_scale_f64 v[12:13], vcc, 1.0, v[26:27], 1.0
	v_fma_f64 v[24:25], -v[4:5], v[10:11], 1.0
	v_fmac_f64_e32 v[10:11], v[10:11], v[24:25]
	v_fma_f64 v[24:25], -v[4:5], v[10:11], 1.0
	v_fmac_f64_e32 v[10:11], v[10:11], v[24:25]
	v_mul_f64 v[24:25], v[12:13], v[10:11]
	v_fma_f64 v[4:5], -v[4:5], v[24:25], v[12:13]
	v_div_scale_f64 v[12:13], s[12:13], v[2:3], v[2:3], 0
	v_rcp_f64_e32 v[28:29], v[12:13]
	v_div_fmas_f64 v[4:5], v[4:5], v[10:11], v[24:25]
	v_div_fixup_f64 v[10:11], v[4:5], v[26:27], 1.0
	v_fma_f64 v[4:5], -v[12:13], v[28:29], 1.0
	v_fmac_f64_e32 v[28:29], v[28:29], v[4:5]
	v_fma_f64 v[4:5], -v[12:13], v[28:29], 1.0
	v_fmac_f64_e32 v[28:29], v[28:29], v[4:5]
	v_div_scale_f64 v[4:5], vcc, 0, v[2:3], 0
	v_mul_f64 v[24:25], v[4:5], v[28:29]
	v_fma_f64 v[4:5], -v[12:13], v[24:25], v[4:5]
	s_nop 1
	v_div_fmas_f64 v[4:5], v[4:5], v[28:29], v[24:25]
	v_div_fixup_f64 v[12:13], v[4:5], v[2:3], 0
.LBB165_323:
	s_or_b64 exec, exec, s[2:3]
                                        ; implicit-def: $vgpr4_vgpr5
                                        ; implicit-def: $vgpr24_vgpr25
.LBB165_324:
	s_andn2_saveexec_b64 s[2:3], s[4:5]
	s_cbranch_execz .LBB165_326
; %bb.325:
	v_div_scale_f64 v[2:3], s[4:5], v[4:5], v[4:5], v[24:25]
	v_rcp_f64_e32 v[10:11], v[2:3]
	v_div_scale_f64 v[12:13], vcc, v[24:25], v[4:5], v[24:25]
	v_fma_f64 v[26:27], -v[2:3], v[10:11], 1.0
	v_fmac_f64_e32 v[10:11], v[10:11], v[26:27]
	v_fma_f64 v[26:27], -v[2:3], v[10:11], 1.0
	v_fmac_f64_e32 v[10:11], v[10:11], v[26:27]
	v_mul_f64 v[26:27], v[12:13], v[10:11]
	v_fma_f64 v[2:3], -v[2:3], v[26:27], v[12:13]
	v_div_fmas_f64 v[2:3], v[2:3], v[10:11], v[26:27]
	v_div_fixup_f64 v[2:3], v[2:3], v[4:5], v[24:25]
	v_fmac_f64_e32 v[4:5], v[24:25], v[2:3]
	v_div_scale_f64 v[10:11], s[4:5], v[4:5], v[4:5], 1.0
	v_rcp_f64_e32 v[12:13], v[10:11]
	s_nop 0
	v_fma_f64 v[24:25], -v[10:11], v[12:13], 1.0
	v_fmac_f64_e32 v[12:13], v[12:13], v[24:25]
	v_fma_f64 v[24:25], -v[10:11], v[12:13], 1.0
	v_fmac_f64_e32 v[12:13], v[12:13], v[24:25]
	v_div_scale_f64 v[24:25], vcc, 1.0, v[4:5], 1.0
	v_mul_f64 v[26:27], v[24:25], v[12:13]
	v_fma_f64 v[10:11], -v[10:11], v[26:27], v[24:25]
	s_nop 1
	v_div_fmas_f64 v[10:11], v[10:11], v[12:13], v[26:27]
	v_div_fixup_f64 v[4:5], v[10:11], v[4:5], 1.0
	v_add_f64 v[10:11], v[2:3], 0
	v_fma_f64 v[2:3], v[2:3], 0, -1.0
	v_mul_f64 v[10:11], v[10:11], v[4:5]
	v_mul_f64 v[12:13], v[2:3], v[4:5]
.LBB165_326:
	s_or_b64 exec, exec, s[2:3]
	s_or_b64 exec, exec, s[10:11]
	s_and_saveexec_b64 s[2:3], s[0:1]
	s_xor_b64 s[0:1], exec, s[2:3]
	s_cbranch_execnz .LBB165_297
.LBB165_327:
	s_or_b64 exec, exec, s[0:1]
	v_cmp_gt_i32_e32 vcc, s24, v0
	s_and_saveexec_b64 s[0:1], vcc
	s_cbranch_execz .LBB165_298
.LBB165_328:
	v_add_u32_e32 v2, s6, v0
	v_mov_b32_e32 v3, 0
	v_lshl_add_u64 v[2:3], v[2:3], 4, s[8:9]
	v_add_u32_e32 v0, 0x100, v0
	global_store_dwordx4 v[2:3], v[14:17], off
	s_or_b64 exec, exec, s[0:1]
	v_cmp_gt_i32_e32 vcc, s24, v0
	s_and_saveexec_b64 s[0:1], vcc
	s_cbranch_execnz .LBB165_299
.LBB165_329:
	s_or_b64 exec, exec, s[0:1]
	v_cmp_gt_i32_e32 vcc, s24, v0
	s_and_saveexec_b64 s[0:1], vcc
	s_cbranch_execz .LBB165_331
.LBB165_330:
	v_add_u32_e32 v0, s6, v0
	v_mov_b32_e32 v1, 0
	v_lshl_add_u64 v[0:1], v[0:1], 4, s[8:9]
	global_store_dwordx4 v[0:1], v[10:13], off
.LBB165_331:
	s_endpgm
	.section	.rodata,"a",@progbits
	.p2align	6, 0x0
	.amdhsa_kernel _ZN2at6native29vectorized_elementwise_kernelILi2EZZZNS0_17rsqrt_kernel_cudaERNS_18TensorIteratorBaseEENKUlvE_clEvENKUlvE_clEvEUlN3c107complexIdEEE_St5arrayIPcLm2EEEEviT0_T1_
		.amdhsa_group_segment_fixed_size 0
		.amdhsa_private_segment_fixed_size 0
		.amdhsa_kernarg_size 24
		.amdhsa_user_sgpr_count 2
		.amdhsa_user_sgpr_dispatch_ptr 0
		.amdhsa_user_sgpr_queue_ptr 0
		.amdhsa_user_sgpr_kernarg_segment_ptr 1
		.amdhsa_user_sgpr_dispatch_id 0
		.amdhsa_user_sgpr_kernarg_preload_length 0
		.amdhsa_user_sgpr_kernarg_preload_offset 0
		.amdhsa_user_sgpr_private_segment_size 0
		.amdhsa_uses_dynamic_stack 0
		.amdhsa_enable_private_segment 0
		.amdhsa_system_sgpr_workgroup_id_x 1
		.amdhsa_system_sgpr_workgroup_id_y 0
		.amdhsa_system_sgpr_workgroup_id_z 0
		.amdhsa_system_sgpr_workgroup_info 0
		.amdhsa_system_vgpr_workitem_id 0
		.amdhsa_next_free_vgpr 30
		.amdhsa_next_free_sgpr 28
		.amdhsa_accum_offset 32
		.amdhsa_reserve_vcc 1
		.amdhsa_float_round_mode_32 0
		.amdhsa_float_round_mode_16_64 0
		.amdhsa_float_denorm_mode_32 3
		.amdhsa_float_denorm_mode_16_64 3
		.amdhsa_dx10_clamp 1
		.amdhsa_ieee_mode 1
		.amdhsa_fp16_overflow 0
		.amdhsa_tg_split 0
		.amdhsa_exception_fp_ieee_invalid_op 0
		.amdhsa_exception_fp_denorm_src 0
		.amdhsa_exception_fp_ieee_div_zero 0
		.amdhsa_exception_fp_ieee_overflow 0
		.amdhsa_exception_fp_ieee_underflow 0
		.amdhsa_exception_fp_ieee_inexact 0
		.amdhsa_exception_int_div_zero 0
	.end_amdhsa_kernel
	.section	.text._ZN2at6native29vectorized_elementwise_kernelILi2EZZZNS0_17rsqrt_kernel_cudaERNS_18TensorIteratorBaseEENKUlvE_clEvENKUlvE_clEvEUlN3c107complexIdEEE_St5arrayIPcLm2EEEEviT0_T1_,"axG",@progbits,_ZN2at6native29vectorized_elementwise_kernelILi2EZZZNS0_17rsqrt_kernel_cudaERNS_18TensorIteratorBaseEENKUlvE_clEvENKUlvE_clEvEUlN3c107complexIdEEE_St5arrayIPcLm2EEEEviT0_T1_,comdat
.Lfunc_end165:
	.size	_ZN2at6native29vectorized_elementwise_kernelILi2EZZZNS0_17rsqrt_kernel_cudaERNS_18TensorIteratorBaseEENKUlvE_clEvENKUlvE_clEvEUlN3c107complexIdEEE_St5arrayIPcLm2EEEEviT0_T1_, .Lfunc_end165-_ZN2at6native29vectorized_elementwise_kernelILi2EZZZNS0_17rsqrt_kernel_cudaERNS_18TensorIteratorBaseEENKUlvE_clEvENKUlvE_clEvEUlN3c107complexIdEEE_St5arrayIPcLm2EEEEviT0_T1_
                                        ; -- End function
	.set _ZN2at6native29vectorized_elementwise_kernelILi2EZZZNS0_17rsqrt_kernel_cudaERNS_18TensorIteratorBaseEENKUlvE_clEvENKUlvE_clEvEUlN3c107complexIdEEE_St5arrayIPcLm2EEEEviT0_T1_.num_vgpr, 30
	.set _ZN2at6native29vectorized_elementwise_kernelILi2EZZZNS0_17rsqrt_kernel_cudaERNS_18TensorIteratorBaseEENKUlvE_clEvENKUlvE_clEvEUlN3c107complexIdEEE_St5arrayIPcLm2EEEEviT0_T1_.num_agpr, 0
	.set _ZN2at6native29vectorized_elementwise_kernelILi2EZZZNS0_17rsqrt_kernel_cudaERNS_18TensorIteratorBaseEENKUlvE_clEvENKUlvE_clEvEUlN3c107complexIdEEE_St5arrayIPcLm2EEEEviT0_T1_.numbered_sgpr, 28
	.set _ZN2at6native29vectorized_elementwise_kernelILi2EZZZNS0_17rsqrt_kernel_cudaERNS_18TensorIteratorBaseEENKUlvE_clEvENKUlvE_clEvEUlN3c107complexIdEEE_St5arrayIPcLm2EEEEviT0_T1_.num_named_barrier, 0
	.set _ZN2at6native29vectorized_elementwise_kernelILi2EZZZNS0_17rsqrt_kernel_cudaERNS_18TensorIteratorBaseEENKUlvE_clEvENKUlvE_clEvEUlN3c107complexIdEEE_St5arrayIPcLm2EEEEviT0_T1_.private_seg_size, 0
	.set _ZN2at6native29vectorized_elementwise_kernelILi2EZZZNS0_17rsqrt_kernel_cudaERNS_18TensorIteratorBaseEENKUlvE_clEvENKUlvE_clEvEUlN3c107complexIdEEE_St5arrayIPcLm2EEEEviT0_T1_.uses_vcc, 1
	.set _ZN2at6native29vectorized_elementwise_kernelILi2EZZZNS0_17rsqrt_kernel_cudaERNS_18TensorIteratorBaseEENKUlvE_clEvENKUlvE_clEvEUlN3c107complexIdEEE_St5arrayIPcLm2EEEEviT0_T1_.uses_flat_scratch, 0
	.set _ZN2at6native29vectorized_elementwise_kernelILi2EZZZNS0_17rsqrt_kernel_cudaERNS_18TensorIteratorBaseEENKUlvE_clEvENKUlvE_clEvEUlN3c107complexIdEEE_St5arrayIPcLm2EEEEviT0_T1_.has_dyn_sized_stack, 0
	.set _ZN2at6native29vectorized_elementwise_kernelILi2EZZZNS0_17rsqrt_kernel_cudaERNS_18TensorIteratorBaseEENKUlvE_clEvENKUlvE_clEvEUlN3c107complexIdEEE_St5arrayIPcLm2EEEEviT0_T1_.has_recursion, 0
	.set _ZN2at6native29vectorized_elementwise_kernelILi2EZZZNS0_17rsqrt_kernel_cudaERNS_18TensorIteratorBaseEENKUlvE_clEvENKUlvE_clEvEUlN3c107complexIdEEE_St5arrayIPcLm2EEEEviT0_T1_.has_indirect_call, 0
	.section	.AMDGPU.csdata,"",@progbits
; Kernel info:
; codeLenInByte = 16612
; TotalNumSgprs: 34
; NumVgprs: 30
; NumAgprs: 0
; TotalNumVgprs: 30
; ScratchSize: 0
; MemoryBound: 0
; FloatMode: 240
; IeeeMode: 1
; LDSByteSize: 0 bytes/workgroup (compile time only)
; SGPRBlocks: 4
; VGPRBlocks: 3
; NumSGPRsForWavesPerEU: 34
; NumVGPRsForWavesPerEU: 30
; AccumOffset: 32
; Occupancy: 8
; WaveLimiterHint : 1
; COMPUTE_PGM_RSRC2:SCRATCH_EN: 0
; COMPUTE_PGM_RSRC2:USER_SGPR: 2
; COMPUTE_PGM_RSRC2:TRAP_HANDLER: 0
; COMPUTE_PGM_RSRC2:TGID_X_EN: 1
; COMPUTE_PGM_RSRC2:TGID_Y_EN: 0
; COMPUTE_PGM_RSRC2:TGID_Z_EN: 0
; COMPUTE_PGM_RSRC2:TIDIG_COMP_CNT: 0
; COMPUTE_PGM_RSRC3_GFX90A:ACCUM_OFFSET: 7
; COMPUTE_PGM_RSRC3_GFX90A:TG_SPLIT: 0
	.section	.text._ZN2at6native27unrolled_elementwise_kernelIZZZNS0_17rsqrt_kernel_cudaERNS_18TensorIteratorBaseEENKUlvE_clEvENKUlvE_clEvEUlN3c107complexIdEEE_St5arrayIPcLm2EELi4E23TrivialOffsetCalculatorILi1EjESE_NS0_6memory15LoadWithoutCastENSF_16StoreWithoutCastEEEviT_T0_T2_T3_T4_T5_,"axG",@progbits,_ZN2at6native27unrolled_elementwise_kernelIZZZNS0_17rsqrt_kernel_cudaERNS_18TensorIteratorBaseEENKUlvE_clEvENKUlvE_clEvEUlN3c107complexIdEEE_St5arrayIPcLm2EELi4E23TrivialOffsetCalculatorILi1EjESE_NS0_6memory15LoadWithoutCastENSF_16StoreWithoutCastEEEviT_T0_T2_T3_T4_T5_,comdat
	.globl	_ZN2at6native27unrolled_elementwise_kernelIZZZNS0_17rsqrt_kernel_cudaERNS_18TensorIteratorBaseEENKUlvE_clEvENKUlvE_clEvEUlN3c107complexIdEEE_St5arrayIPcLm2EELi4E23TrivialOffsetCalculatorILi1EjESE_NS0_6memory15LoadWithoutCastENSF_16StoreWithoutCastEEEviT_T0_T2_T3_T4_T5_ ; -- Begin function _ZN2at6native27unrolled_elementwise_kernelIZZZNS0_17rsqrt_kernel_cudaERNS_18TensorIteratorBaseEENKUlvE_clEvENKUlvE_clEvEUlN3c107complexIdEEE_St5arrayIPcLm2EELi4E23TrivialOffsetCalculatorILi1EjESE_NS0_6memory15LoadWithoutCastENSF_16StoreWithoutCastEEEviT_T0_T2_T3_T4_T5_
	.p2align	8
	.type	_ZN2at6native27unrolled_elementwise_kernelIZZZNS0_17rsqrt_kernel_cudaERNS_18TensorIteratorBaseEENKUlvE_clEvENKUlvE_clEvEUlN3c107complexIdEEE_St5arrayIPcLm2EELi4E23TrivialOffsetCalculatorILi1EjESE_NS0_6memory15LoadWithoutCastENSF_16StoreWithoutCastEEEviT_T0_T2_T3_T4_T5_,@function
_ZN2at6native27unrolled_elementwise_kernelIZZZNS0_17rsqrt_kernel_cudaERNS_18TensorIteratorBaseEENKUlvE_clEvENKUlvE_clEvEUlN3c107complexIdEEE_St5arrayIPcLm2EELi4E23TrivialOffsetCalculatorILi1EjESE_NS0_6memory15LoadWithoutCastENSF_16StoreWithoutCastEEEviT_T0_T2_T3_T4_T5_: ; @_ZN2at6native27unrolled_elementwise_kernelIZZZNS0_17rsqrt_kernel_cudaERNS_18TensorIteratorBaseEENKUlvE_clEvENKUlvE_clEvEUlN3c107complexIdEEE_St5arrayIPcLm2EELi4E23TrivialOffsetCalculatorILi1EjESE_NS0_6memory15LoadWithoutCastENSF_16StoreWithoutCastEEEviT_T0_T2_T3_T4_T5_
; %bb.0:
	s_load_dword s3, s[0:1], 0x0
	s_load_dwordx4 s[8:11], s[0:1], 0x8
	s_lshl_b32 s22, s2, 10
	v_mov_b64_e32 v[18:19], 0
	v_or_b32_e32 v22, s22, v0
	s_waitcnt lgkmcnt(0)
	s_sub_i32 s23, s3, s22
	v_cmp_gt_i32_e64 s[0:1], s23, v0
	v_mov_b64_e32 v[14:15], 0
	v_mov_b64_e32 v[16:17], 0
	v_mov_b32_e32 v1, v0
	s_and_saveexec_b64 s[2:3], s[0:1]
	s_cbranch_execz .LBB166_2
; %bb.1:
	v_mov_b32_e32 v23, 0
	v_lshl_add_u64 v[2:3], v[22:23], 4, s[10:11]
	global_load_dwordx4 v[14:17], v[2:3], off
	v_or_b32_e32 v1, 0x100, v0
.LBB166_2:
	s_or_b64 exec, exec, s[2:3]
	v_cmp_gt_i32_e32 vcc, s23, v1
	v_mov_b64_e32 v[20:21], 0
	s_and_saveexec_b64 s[2:3], vcc
	s_cbranch_execz .LBB166_4
; %bb.3:
	v_add_u32_e32 v2, s22, v1
	v_mov_b32_e32 v3, 0
	v_lshl_add_u64 v[2:3], v[2:3], 4, s[10:11]
	global_load_dwordx4 v[18:21], v[2:3], off
	v_add_u32_e32 v1, 0x100, v1
.LBB166_4:
	s_or_b64 exec, exec, s[2:3]
	v_cmp_gt_i32_e32 vcc, s23, v1
	v_mov_b64_e32 v[2:3], 0
	v_mov_b64_e32 v[10:11], 0
	v_mov_b64_e32 v[12:13], 0
	s_and_saveexec_b64 s[2:3], vcc
	s_cbranch_execz .LBB166_6
; %bb.5:
	v_add_u32_e32 v4, s22, v1
	v_mov_b32_e32 v5, 0
	v_lshl_add_u64 v[4:5], v[4:5], 4, s[10:11]
	global_load_dwordx4 v[10:13], v[4:5], off
	v_add_u32_e32 v1, 0x100, v1
.LBB166_6:
	s_or_b64 exec, exec, s[2:3]
	v_cmp_gt_i32_e32 vcc, s23, v1
	v_mov_b64_e32 v[4:5], 0
	s_and_saveexec_b64 s[2:3], vcc
	s_cbranch_execz .LBB166_8
; %bb.7:
	v_add_u32_e32 v2, s22, v1
	v_mov_b32_e32 v3, 0
	v_lshl_add_u64 v[2:3], v[2:3], 4, s[10:11]
	global_load_dwordx4 v[2:5], v[2:3], off
.LBB166_8:
	s_or_b64 exec, exec, s[2:3]
	v_mov_b64_e32 v[6:7], 0
	v_mov_b64_e32 v[8:9], 0
	s_and_saveexec_b64 s[6:7], s[0:1]
	s_cbranch_execz .LBB166_48
; %bb.9:
	s_waitcnt vmcnt(0)
	v_cmp_neq_f64_e32 vcc, 0, v[14:15]
	v_cmp_neq_f64_e64 s[2:3], 0, v[16:17]
	v_mov_b64_e32 v[24:25], 0
	s_or_b64 s[2:3], vcc, s[2:3]
	s_and_saveexec_b64 s[10:11], s[2:3]
	s_cbranch_execz .LBB166_39
; %bb.10:
	v_mov_b32_e32 v24, 0
	v_mov_b32_e32 v25, 0x7ff00000
	v_cmp_neq_f64_e64 s[2:3], |v[16:17]|, v[24:25]
	s_and_saveexec_b64 s[12:13], s[2:3]
	s_cbranch_execz .LBB166_38
; %bb.11:
	v_cmp_o_f64_e32 vcc, v[14:15], v[14:15]
                                        ; implicit-def: $vgpr24_vgpr25
	s_and_saveexec_b64 s[2:3], vcc
	s_xor_b64 s[14:15], exec, s[2:3]
	s_cbranch_execz .LBB166_35
; %bb.12:
	s_mov_b32 s2, 0
	s_mov_b32 s3, 0x7ff00000
	v_cmp_neq_f64_e64 s[2:3], |v[14:15]|, s[2:3]
                                        ; implicit-def: $vgpr24_vgpr25
	s_and_saveexec_b64 s[4:5], s[2:3]
	s_xor_b64 s[16:17], exec, s[4:5]
	s_cbranch_execz .LBB166_28
; %bb.13:
	v_max_f64 v[6:7], |v[16:17]|, |v[16:17]|
	v_max_f64 v[8:9], |v[14:15]|, |v[14:15]|
	s_mov_b32 s2, 0x99fcef32
	v_max_f64 v[6:7], v[8:9], v[6:7]
	s_mov_b32 s3, 0x7fda8279
	v_cmp_nle_f64_e64 s[2:3], s[2:3], v[6:7]
                                        ; implicit-def: $sgpr18_sgpr19
	s_and_saveexec_b64 s[4:5], s[2:3]
	s_xor_b64 s[4:5], exec, s[4:5]
	s_cbranch_execz .LBB166_17
; %bb.14:
	s_mov_b32 s18, 0
	s_mov_b32 s19, 0x200000
	v_cmp_le_f64_e64 s[20:21], |v[14:15]|, s[18:19]
	v_cmp_le_f64_e64 s[18:19], |v[16:17]|, s[18:19]
	s_and_b64 s[24:25], s[20:21], s[18:19]
	s_mov_b64 s[18:19], 0
	s_and_saveexec_b64 s[20:21], s[24:25]
; %bb.15:
	s_mov_b64 s[18:19], exec
	v_mul_f64 v[16:17], v[16:17], 4.0
	v_mul_f64 v[14:15], v[14:15], 4.0
; %bb.16:
	s_or_b64 exec, exec, s[20:21]
.LBB166_17:
	s_andn2_saveexec_b64 s[4:5], s[4:5]
; %bb.18:
	v_ldexp_f64 v[14:15], v[14:15], -2
	v_ldexp_f64 v[16:17], v[16:17], -2
	s_andn2_b64 s[18:19], s[18:19], exec
; %bb.19:
	s_or_b64 exec, exec, s[4:5]
	v_max_f64 v[6:7], |v[16:17]|, |v[16:17]|
	v_max_f64 v[8:9], |v[14:15]|, |v[14:15]|
	v_max_f64 v[6:7], v[8:9], v[6:7]
	v_frexp_exp_i32_f64_e32 v1, v[6:7]
	v_sub_u32_e32 v8, 0, v1
	v_ldexp_f64 v[6:7], |v[14:15]|, v8
	v_ldexp_f64 v[8:9], |v[16:17]|, v8
	v_mul_f64 v[8:9], v[8:9], v[8:9]
	v_fmac_f64_e32 v[8:9], v[6:7], v[6:7]
	v_rsq_f64_e32 v[6:7], v[8:9]
	v_cmp_eq_f64_e64 s[4:5], 0, v[8:9]
	s_movk_i32 s20, 0x204
	v_cmp_le_f64_e32 vcc, 0, v[14:15]
	v_mul_f64 v[24:25], v[8:9], v[6:7]
	v_mul_f64 v[6:7], v[6:7], 0.5
	v_fma_f64 v[26:27], -v[6:7], v[24:25], 0.5
	v_fmac_f64_e32 v[24:25], v[24:25], v[26:27]
	v_fmac_f64_e32 v[6:7], v[6:7], v[26:27]
	v_fma_f64 v[26:27], -v[24:25], v[24:25], v[8:9]
	v_fmac_f64_e32 v[24:25], v[26:27], v[6:7]
	v_cndmask_b32_e64 v7, v25, v9, s[4:5]
	v_cndmask_b32_e64 v6, v24, v8, s[4:5]
	v_ldexp_f64 v[6:7], v[6:7], v1
	v_cmp_o_f64_e64 s[4:5], v[16:17], v[16:17]
                                        ; implicit-def: $vgpr8_vgpr9
	s_nop 1
	v_cndmask_b32_e64 v1, 0, v6, s[4:5]
	v_mov_b32_e32 v6, 0x7ff80000
	v_cndmask_b32_e64 v6, v6, v7, s[4:5]
	v_cmp_class_f64_e64 s[4:5], v[14:15], s20
	v_cmp_class_f64_e64 s[20:21], v[16:17], s20
	v_mov_b32_e32 v7, 0x7ff00000
	s_or_b64 s[4:5], s[20:21], s[4:5]
	v_cndmask_b32_e64 v25, v6, v7, s[4:5]
	v_cndmask_b32_e64 v24, v1, 0, s[4:5]
                                        ; implicit-def: $vgpr6_vgpr7
	s_and_saveexec_b64 s[4:5], vcc
	s_xor_b64 s[4:5], exec, s[4:5]
	s_cbranch_execz .LBB166_21
; %bb.20:
	v_add_f64 v[6:7], v[14:15], v[24:25]
	s_mov_b32 s20, 0
	v_mul_f64 v[6:7], v[6:7], 0.5
	s_brev_b32 s21, 8
	v_mov_b32_e32 v1, 0x100
	v_cmp_gt_f64_e32 vcc, s[20:21], v[6:7]
	s_nop 1
	v_cndmask_b32_e32 v1, 0, v1, vcc
	v_ldexp_f64 v[6:7], v[6:7], v1
	v_rsq_f64_e32 v[8:9], v[6:7]
	v_mov_b32_e32 v1, 0xffffff80
	v_cndmask_b32_e32 v1, 0, v1, vcc
	v_mul_f64 v[14:15], v[6:7], v[8:9]
	v_mul_f64 v[8:9], v[8:9], 0.5
	v_fma_f64 v[24:25], -v[8:9], v[14:15], 0.5
	v_fmac_f64_e32 v[14:15], v[14:15], v[24:25]
	v_fma_f64 v[26:27], -v[14:15], v[14:15], v[6:7]
	v_fmac_f64_e32 v[8:9], v[8:9], v[24:25]
	v_fmac_f64_e32 v[14:15], v[26:27], v[8:9]
	v_fma_f64 v[24:25], -v[14:15], v[14:15], v[6:7]
	v_fmac_f64_e32 v[14:15], v[24:25], v[8:9]
	v_ldexp_f64 v[8:9], v[14:15], v1
	v_mov_b32_e32 v1, 0x260
	v_cmp_class_f64_e32 vcc, v[6:7], v1
	s_nop 1
	v_cndmask_b32_e32 v9, v9, v7, vcc
	v_cndmask_b32_e32 v8, v8, v6, vcc
	v_add_f64 v[6:7], v[8:9], v[8:9]
	v_div_scale_f64 v[14:15], s[20:21], v[6:7], v[6:7], v[16:17]
	v_rcp_f64_e32 v[24:25], v[14:15]
	s_nop 0
	v_fma_f64 v[26:27], -v[14:15], v[24:25], 1.0
	v_fmac_f64_e32 v[24:25], v[24:25], v[26:27]
	v_fma_f64 v[26:27], -v[14:15], v[24:25], 1.0
	v_fmac_f64_e32 v[24:25], v[24:25], v[26:27]
	v_div_scale_f64 v[26:27], vcc, v[16:17], v[6:7], v[16:17]
	v_mul_f64 v[28:29], v[26:27], v[24:25]
	v_fma_f64 v[14:15], -v[14:15], v[28:29], v[26:27]
	s_nop 1
	v_div_fmas_f64 v[14:15], v[14:15], v[24:25], v[28:29]
	v_div_fixup_f64 v[6:7], v[14:15], v[6:7], v[16:17]
                                        ; implicit-def: $vgpr24_vgpr25
                                        ; implicit-def: $vgpr14_vgpr15
	s_andn2_saveexec_b64 s[4:5], s[4:5]
	s_cbranch_execz .LBB166_23
	s_branch .LBB166_22
.LBB166_21:
	s_andn2_saveexec_b64 s[4:5], s[4:5]
	s_cbranch_execz .LBB166_23
.LBB166_22:
	v_add_f64 v[6:7], v[24:25], -v[14:15]
	s_mov_b32 s20, 0
	v_mul_f64 v[6:7], v[6:7], 0.5
	s_brev_b32 s21, 8
	v_mov_b32_e32 v1, 0x100
	v_cmp_gt_f64_e32 vcc, s[20:21], v[6:7]
	s_nop 1
	v_cndmask_b32_e32 v1, 0, v1, vcc
	v_ldexp_f64 v[6:7], v[6:7], v1
	v_rsq_f64_e32 v[8:9], v[6:7]
	v_mov_b32_e32 v1, 0xffffff80
	v_cndmask_b32_e32 v1, 0, v1, vcc
	v_mul_f64 v[14:15], v[6:7], v[8:9]
	v_mul_f64 v[8:9], v[8:9], 0.5
	v_fma_f64 v[24:25], -v[8:9], v[14:15], 0.5
	v_fmac_f64_e32 v[14:15], v[14:15], v[24:25]
	v_fma_f64 v[26:27], -v[14:15], v[14:15], v[6:7]
	v_fmac_f64_e32 v[8:9], v[8:9], v[24:25]
	v_fmac_f64_e32 v[14:15], v[26:27], v[8:9]
	v_fma_f64 v[24:25], -v[14:15], v[14:15], v[6:7]
	v_fmac_f64_e32 v[14:15], v[24:25], v[8:9]
	v_ldexp_f64 v[8:9], v[14:15], v1
	v_mov_b32_e32 v1, 0x260
	v_cmp_class_f64_e32 vcc, v[6:7], v1
	v_and_b32_e32 v15, 0x7fffffff, v17
	v_mov_b32_e32 v14, v16
	v_cndmask_b32_e32 v7, v9, v7, vcc
	v_cndmask_b32_e32 v6, v8, v6, vcc
	v_add_f64 v[8:9], v[6:7], v[6:7]
	v_div_scale_f64 v[24:25], s[20:21], v[8:9], v[8:9], v[14:15]
	v_rcp_f64_e32 v[26:27], v[24:25]
	v_div_scale_f64 v[14:15], vcc, v[14:15], v[8:9], v[14:15]
	s_brev_b32 s20, -2
	v_fma_f64 v[28:29], -v[24:25], v[26:27], 1.0
	v_fmac_f64_e32 v[26:27], v[26:27], v[28:29]
	v_fma_f64 v[28:29], -v[24:25], v[26:27], 1.0
	v_fmac_f64_e32 v[26:27], v[26:27], v[28:29]
	v_mul_f64 v[28:29], v[14:15], v[26:27]
	v_fma_f64 v[14:15], -v[24:25], v[28:29], v[14:15]
	v_div_fmas_f64 v[14:15], v[14:15], v[26:27], v[28:29]
	v_div_fixup_f64 v[8:9], v[14:15], v[8:9], |v[16:17]|
	v_bfi_b32 v7, s20, v7, v17
.LBB166_23:
	s_or_b64 exec, exec, s[4:5]
                                        ; implicit-def: $vgpr16_vgpr17
                                        ; implicit-def: $vgpr24_vgpr25
	s_and_saveexec_b64 s[4:5], s[2:3]
	s_xor_b64 s[2:3], exec, s[4:5]
	s_cbranch_execz .LBB166_25
; %bb.24:
	v_mul_f64 v[14:15], v[8:9], 0.5
	v_mul_f64 v[16:17], v[6:7], 0.5
	v_cndmask_b32_e64 v25, v9, v15, s[18:19]
	v_cndmask_b32_e64 v24, v8, v14, s[18:19]
	v_cndmask_b32_e64 v17, v7, v17, s[18:19]
	v_cndmask_b32_e64 v16, v6, v16, s[18:19]
                                        ; implicit-def: $vgpr8_vgpr9
                                        ; implicit-def: $vgpr6_vgpr7
	s_andn2_saveexec_b64 s[2:3], s[2:3]
	s_cbranch_execnz .LBB166_26
	s_branch .LBB166_27
.LBB166_25:
	s_andn2_saveexec_b64 s[2:3], s[2:3]
.LBB166_26:
	v_add_f64 v[24:25], v[8:9], v[8:9]
	v_add_f64 v[16:17], v[6:7], v[6:7]
.LBB166_27:
	s_or_b64 exec, exec, s[2:3]
.LBB166_28:
	s_andn2_saveexec_b64 s[2:3], s[16:17]
	s_cbranch_execz .LBB166_34
; %bb.29:
	v_add_f64 v[6:7], v[16:17], -v[16:17]
	v_cmp_lt_i64_e32 vcc, -1, v[14:15]
	s_brev_b32 s16, -2
	v_and_b32_e32 v25, 0x7fffffff, v7
	v_mov_b32_e32 v24, v6
	s_and_saveexec_b64 s[4:5], vcc
	s_xor_b64 s[4:5], exec, s[4:5]
; %bb.30:
	v_bfi_b32 v7, s16, v7, v17
	v_mov_b64_e32 v[16:17], v[6:7]
	v_mov_b64_e32 v[24:25], v[14:15]
; %bb.31:
	s_andn2_saveexec_b64 s[4:5], s[4:5]
; %bb.32:
	v_bfi_b32 v15, s16, v15, v17
	v_mov_b64_e32 v[16:17], v[14:15]
; %bb.33:
	s_or_b64 exec, exec, s[4:5]
.LBB166_34:
	s_or_b64 exec, exec, s[2:3]
.LBB166_35:
	s_andn2_saveexec_b64 s[2:3], s[14:15]
	s_cbranch_execz .LBB166_37
; %bb.36:
	v_add_f64 v[6:7], v[16:17], -v[16:17]
	v_div_scale_f64 v[8:9], vcc, v[6:7], v[6:7], v[6:7]
	v_rcp_f64_e32 v[16:17], v[8:9]
	s_nop 0
	v_fma_f64 v[24:25], -v[8:9], v[16:17], 1.0
	v_fmac_f64_e32 v[16:17], v[16:17], v[24:25]
	v_fma_f64 v[24:25], -v[8:9], v[16:17], 1.0
	v_fmac_f64_e32 v[16:17], v[16:17], v[24:25]
	v_mul_f64 v[24:25], v[8:9], v[16:17]
	v_fma_f64 v[8:9], -v[8:9], v[24:25], v[8:9]
	v_div_fmas_f64 v[8:9], v[8:9], v[16:17], v[24:25]
	v_div_fixup_f64 v[16:17], v[8:9], v[6:7], v[6:7]
	v_mov_b64_e32 v[24:25], v[14:15]
.LBB166_37:
	s_or_b64 exec, exec, s[2:3]
.LBB166_38:
	s_or_b64 exec, exec, s[12:13]
.LBB166_39:
	s_or_b64 exec, exec, s[10:11]
	v_xor_b32_e32 v1, 0x80000000, v25
	v_cmp_gt_f64_e32 vcc, 0, v[24:25]
	v_mov_b32_e32 v26, v24
	v_mov_b32_e32 v14, v16
	v_cndmask_b32_e32 v27, v25, v1, vcc
	v_xor_b32_e32 v1, 0x80000000, v17
	v_cmp_gt_f64_e32 vcc, 0, v[16:17]
                                        ; implicit-def: $vgpr6_vgpr7
	s_nop 1
	v_cndmask_b32_e32 v15, v17, v1, vcc
	v_cmp_ge_f64_e32 vcc, v[26:27], v[14:15]
	s_and_saveexec_b64 s[2:3], vcc
	s_xor_b64 s[4:5], exec, s[2:3]
	s_cbranch_execz .LBB166_45
; %bb.40:
	v_cmp_neq_f64_e32 vcc, 0, v[24:25]
	v_cmp_neq_f64_e64 s[2:3], 0, v[16:17]
	s_or_b64 s[2:3], vcc, s[2:3]
                                        ; implicit-def: $vgpr6_vgpr7
	s_and_saveexec_b64 s[10:11], s[2:3]
	s_xor_b64 s[2:3], exec, s[10:11]
	s_cbranch_execz .LBB166_42
; %bb.41:
	v_div_scale_f64 v[6:7], s[10:11], v[24:25], v[24:25], v[16:17]
	v_rcp_f64_e32 v[8:9], v[6:7]
	v_div_scale_f64 v[14:15], vcc, v[16:17], v[24:25], v[16:17]
	v_fma_f64 v[26:27], -v[6:7], v[8:9], 1.0
	v_fmac_f64_e32 v[8:9], v[8:9], v[26:27]
	v_fma_f64 v[26:27], -v[6:7], v[8:9], 1.0
	v_fmac_f64_e32 v[8:9], v[8:9], v[26:27]
	v_mul_f64 v[26:27], v[14:15], v[8:9]
	v_fma_f64 v[6:7], -v[6:7], v[26:27], v[14:15]
	v_div_fmas_f64 v[6:7], v[6:7], v[8:9], v[26:27]
	v_div_fixup_f64 v[8:9], v[6:7], v[24:25], v[16:17]
	v_fmac_f64_e32 v[24:25], v[16:17], v[8:9]
	v_div_scale_f64 v[6:7], s[10:11], v[24:25], v[24:25], 1.0
	v_rcp_f64_e32 v[14:15], v[6:7]
	s_nop 0
	v_fma_f64 v[16:17], -v[6:7], v[14:15], 1.0
	v_fmac_f64_e32 v[14:15], v[14:15], v[16:17]
	v_fma_f64 v[16:17], -v[6:7], v[14:15], 1.0
	v_fmac_f64_e32 v[14:15], v[14:15], v[16:17]
	v_div_scale_f64 v[16:17], vcc, 1.0, v[24:25], 1.0
	v_mul_f64 v[26:27], v[16:17], v[14:15]
	v_fma_f64 v[6:7], -v[6:7], v[26:27], v[16:17]
	s_nop 1
	v_div_fmas_f64 v[6:7], v[6:7], v[14:15], v[26:27]
	v_div_fixup_f64 v[14:15], v[6:7], v[24:25], 1.0
	v_fma_f64 v[6:7], v[8:9], 0, 1.0
	v_add_f64 v[8:9], -v[8:9], 0
	v_mul_f64 v[6:7], v[6:7], v[14:15]
	v_mul_f64 v[8:9], v[8:9], v[14:15]
                                        ; implicit-def: $vgpr26_vgpr27
                                        ; implicit-def: $vgpr14_vgpr15
.LBB166_42:
	s_andn2_saveexec_b64 s[2:3], s[2:3]
	s_cbranch_execz .LBB166_44
; %bb.43:
	v_div_scale_f64 v[6:7], s[10:11], v[26:27], v[26:27], 1.0
	v_rcp_f64_e32 v[8:9], v[6:7]
	v_div_scale_f64 v[16:17], vcc, 1.0, v[26:27], 1.0
	v_fma_f64 v[24:25], -v[6:7], v[8:9], 1.0
	v_fmac_f64_e32 v[8:9], v[8:9], v[24:25]
	v_fma_f64 v[24:25], -v[6:7], v[8:9], 1.0
	v_fmac_f64_e32 v[8:9], v[8:9], v[24:25]
	v_mul_f64 v[24:25], v[16:17], v[8:9]
	v_fma_f64 v[6:7], -v[6:7], v[24:25], v[16:17]
	v_div_scale_f64 v[16:17], s[10:11], v[14:15], v[14:15], 0
	v_rcp_f64_e32 v[28:29], v[16:17]
	v_div_fmas_f64 v[6:7], v[6:7], v[8:9], v[24:25]
	v_div_fixup_f64 v[6:7], v[6:7], v[26:27], 1.0
	v_fma_f64 v[8:9], -v[16:17], v[28:29], 1.0
	v_fmac_f64_e32 v[28:29], v[28:29], v[8:9]
	v_fma_f64 v[8:9], -v[16:17], v[28:29], 1.0
	v_fmac_f64_e32 v[28:29], v[28:29], v[8:9]
	v_div_scale_f64 v[8:9], vcc, 0, v[14:15], 0
	v_mul_f64 v[24:25], v[8:9], v[28:29]
	v_fma_f64 v[8:9], -v[16:17], v[24:25], v[8:9]
	s_nop 1
	v_div_fmas_f64 v[8:9], v[8:9], v[28:29], v[24:25]
	v_div_fixup_f64 v[8:9], v[8:9], v[14:15], 0
.LBB166_44:
	s_or_b64 exec, exec, s[2:3]
                                        ; implicit-def: $vgpr16_vgpr17
                                        ; implicit-def: $vgpr24_vgpr25
.LBB166_45:
	s_andn2_saveexec_b64 s[2:3], s[4:5]
	s_cbranch_execz .LBB166_47
; %bb.46:
	v_div_scale_f64 v[6:7], s[4:5], v[16:17], v[16:17], v[24:25]
	v_rcp_f64_e32 v[8:9], v[6:7]
	v_div_scale_f64 v[14:15], vcc, v[24:25], v[16:17], v[24:25]
	v_fma_f64 v[26:27], -v[6:7], v[8:9], 1.0
	v_fmac_f64_e32 v[8:9], v[8:9], v[26:27]
	v_fma_f64 v[26:27], -v[6:7], v[8:9], 1.0
	v_fmac_f64_e32 v[8:9], v[8:9], v[26:27]
	v_mul_f64 v[26:27], v[14:15], v[8:9]
	v_fma_f64 v[6:7], -v[6:7], v[26:27], v[14:15]
	v_div_fmas_f64 v[6:7], v[6:7], v[8:9], v[26:27]
	v_div_fixup_f64 v[8:9], v[6:7], v[16:17], v[24:25]
	v_fmac_f64_e32 v[16:17], v[24:25], v[8:9]
	v_div_scale_f64 v[6:7], s[4:5], v[16:17], v[16:17], 1.0
	v_rcp_f64_e32 v[14:15], v[6:7]
	s_nop 0
	v_fma_f64 v[24:25], -v[6:7], v[14:15], 1.0
	v_fmac_f64_e32 v[14:15], v[14:15], v[24:25]
	v_fma_f64 v[24:25], -v[6:7], v[14:15], 1.0
	v_fmac_f64_e32 v[14:15], v[14:15], v[24:25]
	v_div_scale_f64 v[24:25], vcc, 1.0, v[16:17], 1.0
	v_mul_f64 v[26:27], v[24:25], v[14:15]
	v_fma_f64 v[6:7], -v[6:7], v[26:27], v[24:25]
	s_nop 1
	v_div_fmas_f64 v[6:7], v[6:7], v[14:15], v[26:27]
	v_div_fixup_f64 v[14:15], v[6:7], v[16:17], 1.0
	v_add_f64 v[6:7], v[8:9], 0
	v_fma_f64 v[8:9], v[8:9], 0, -1.0
	v_mul_f64 v[6:7], v[6:7], v[14:15]
	v_mul_f64 v[8:9], v[8:9], v[14:15]
.LBB166_47:
	s_or_b64 exec, exec, s[2:3]
.LBB166_48:
	s_or_b64 exec, exec, s[6:7]
	v_or_b32_e32 v1, 0x100, v0
	v_cmp_gt_i32_e32 vcc, s23, v1
	s_waitcnt vmcnt(0)
	v_mov_b64_e32 v[14:15], 0
	v_mov_b64_e32 v[16:17], 0
	s_and_saveexec_b64 s[6:7], vcc
	s_cbranch_execz .LBB166_88
; %bb.49:
	v_cmp_neq_f64_e32 vcc, 0, v[18:19]
	v_cmp_neq_f64_e64 s[2:3], 0, v[20:21]
	v_mov_b64_e32 v[24:25], 0
	s_or_b64 s[2:3], vcc, s[2:3]
	s_and_saveexec_b64 s[10:11], s[2:3]
	s_cbranch_execz .LBB166_79
; %bb.50:
	v_mov_b32_e32 v24, 0
	v_mov_b32_e32 v25, 0x7ff00000
	v_cmp_neq_f64_e64 s[2:3], |v[20:21]|, v[24:25]
	s_and_saveexec_b64 s[12:13], s[2:3]
	s_cbranch_execz .LBB166_78
; %bb.51:
	v_cmp_o_f64_e32 vcc, v[18:19], v[18:19]
                                        ; implicit-def: $vgpr24_vgpr25
	s_and_saveexec_b64 s[2:3], vcc
	s_xor_b64 s[14:15], exec, s[2:3]
	s_cbranch_execz .LBB166_75
; %bb.52:
	s_mov_b32 s2, 0
	s_mov_b32 s3, 0x7ff00000
	v_cmp_neq_f64_e64 s[2:3], |v[18:19]|, s[2:3]
                                        ; implicit-def: $vgpr24_vgpr25
	s_and_saveexec_b64 s[4:5], s[2:3]
	s_xor_b64 s[16:17], exec, s[4:5]
	s_cbranch_execz .LBB166_68
; %bb.53:
	v_max_f64 v[14:15], |v[20:21]|, |v[20:21]|
	v_max_f64 v[16:17], |v[18:19]|, |v[18:19]|
	s_mov_b32 s2, 0x99fcef32
	v_max_f64 v[14:15], v[16:17], v[14:15]
	s_mov_b32 s3, 0x7fda8279
	v_cmp_nle_f64_e64 s[2:3], s[2:3], v[14:15]
                                        ; implicit-def: $sgpr18_sgpr19
	s_and_saveexec_b64 s[4:5], s[2:3]
	s_xor_b64 s[4:5], exec, s[4:5]
	s_cbranch_execz .LBB166_57
; %bb.54:
	s_mov_b32 s18, 0
	s_mov_b32 s19, 0x200000
	v_cmp_le_f64_e64 s[20:21], |v[18:19]|, s[18:19]
	v_cmp_le_f64_e64 s[18:19], |v[20:21]|, s[18:19]
	s_and_b64 s[24:25], s[20:21], s[18:19]
	s_mov_b64 s[18:19], 0
	s_and_saveexec_b64 s[20:21], s[24:25]
; %bb.55:
	s_mov_b64 s[18:19], exec
	v_mul_f64 v[20:21], v[20:21], 4.0
	v_mul_f64 v[18:19], v[18:19], 4.0
; %bb.56:
	s_or_b64 exec, exec, s[20:21]
.LBB166_57:
	s_andn2_saveexec_b64 s[4:5], s[4:5]
; %bb.58:
	v_ldexp_f64 v[18:19], v[18:19], -2
	v_ldexp_f64 v[20:21], v[20:21], -2
	s_andn2_b64 s[18:19], s[18:19], exec
; %bb.59:
	s_or_b64 exec, exec, s[4:5]
	v_max_f64 v[14:15], |v[20:21]|, |v[20:21]|
	v_max_f64 v[16:17], |v[18:19]|, |v[18:19]|
	v_max_f64 v[14:15], v[16:17], v[14:15]
	v_frexp_exp_i32_f64_e32 v23, v[14:15]
	v_sub_u32_e32 v16, 0, v23
	v_ldexp_f64 v[14:15], |v[18:19]|, v16
	v_ldexp_f64 v[16:17], |v[20:21]|, v16
	v_mul_f64 v[16:17], v[16:17], v[16:17]
	v_fmac_f64_e32 v[16:17], v[14:15], v[14:15]
	v_rsq_f64_e32 v[14:15], v[16:17]
	v_cmp_eq_f64_e64 s[4:5], 0, v[16:17]
	s_movk_i32 s20, 0x204
	v_cmp_le_f64_e32 vcc, 0, v[18:19]
	v_mul_f64 v[24:25], v[16:17], v[14:15]
	v_mul_f64 v[14:15], v[14:15], 0.5
	v_fma_f64 v[26:27], -v[14:15], v[24:25], 0.5
	v_fmac_f64_e32 v[24:25], v[24:25], v[26:27]
	v_fmac_f64_e32 v[14:15], v[14:15], v[26:27]
	v_fma_f64 v[26:27], -v[24:25], v[24:25], v[16:17]
	v_fmac_f64_e32 v[24:25], v[26:27], v[14:15]
	v_cndmask_b32_e64 v15, v25, v17, s[4:5]
	v_cndmask_b32_e64 v14, v24, v16, s[4:5]
	v_ldexp_f64 v[14:15], v[14:15], v23
	v_cmp_o_f64_e64 s[4:5], v[20:21], v[20:21]
	v_mov_b32_e32 v16, 0x7ff80000
	s_nop 0
	v_cndmask_b32_e64 v14, 0, v14, s[4:5]
	v_cndmask_b32_e64 v15, v16, v15, s[4:5]
	v_cmp_class_f64_e64 s[4:5], v[18:19], s20
	v_cmp_class_f64_e64 s[20:21], v[20:21], s20
	v_mov_b32_e32 v16, 0x7ff00000
	s_or_b64 s[4:5], s[20:21], s[4:5]
	v_cndmask_b32_e64 v25, v15, v16, s[4:5]
	v_cndmask_b32_e64 v24, v14, 0, s[4:5]
                                        ; implicit-def: $vgpr14_vgpr15
                                        ; implicit-def: $vgpr16_vgpr17
	s_and_saveexec_b64 s[4:5], vcc
	s_xor_b64 s[4:5], exec, s[4:5]
	s_cbranch_execz .LBB166_61
; %bb.60:
	v_add_f64 v[14:15], v[18:19], v[24:25]
	s_mov_b32 s20, 0
	v_mul_f64 v[14:15], v[14:15], 0.5
	s_brev_b32 s21, 8
	v_mov_b32_e32 v16, 0x100
	v_cmp_gt_f64_e32 vcc, s[20:21], v[14:15]
	s_nop 1
	v_cndmask_b32_e32 v16, 0, v16, vcc
	v_ldexp_f64 v[14:15], v[14:15], v16
	v_rsq_f64_e32 v[16:17], v[14:15]
	s_nop 0
	v_mul_f64 v[18:19], v[14:15], v[16:17]
	v_mul_f64 v[16:17], v[16:17], 0.5
	v_fma_f64 v[24:25], -v[16:17], v[18:19], 0.5
	v_fmac_f64_e32 v[18:19], v[18:19], v[24:25]
	v_fma_f64 v[26:27], -v[18:19], v[18:19], v[14:15]
	v_fmac_f64_e32 v[16:17], v[16:17], v[24:25]
	v_fmac_f64_e32 v[18:19], v[26:27], v[16:17]
	v_fma_f64 v[24:25], -v[18:19], v[18:19], v[14:15]
	v_fmac_f64_e32 v[18:19], v[24:25], v[16:17]
	v_mov_b32_e32 v16, 0xffffff80
	v_cndmask_b32_e32 v16, 0, v16, vcc
	v_ldexp_f64 v[16:17], v[18:19], v16
	v_mov_b32_e32 v18, 0x260
	v_cmp_class_f64_e32 vcc, v[14:15], v18
	s_nop 1
	v_cndmask_b32_e32 v17, v17, v15, vcc
	v_cndmask_b32_e32 v16, v16, v14, vcc
	v_add_f64 v[14:15], v[16:17], v[16:17]
	v_div_scale_f64 v[18:19], s[20:21], v[14:15], v[14:15], v[20:21]
	v_rcp_f64_e32 v[24:25], v[18:19]
	s_nop 0
	v_fma_f64 v[26:27], -v[18:19], v[24:25], 1.0
	v_fmac_f64_e32 v[24:25], v[24:25], v[26:27]
	v_fma_f64 v[26:27], -v[18:19], v[24:25], 1.0
	v_fmac_f64_e32 v[24:25], v[24:25], v[26:27]
	v_div_scale_f64 v[26:27], vcc, v[20:21], v[14:15], v[20:21]
	v_mul_f64 v[28:29], v[26:27], v[24:25]
	v_fma_f64 v[18:19], -v[18:19], v[28:29], v[26:27]
	s_nop 1
	v_div_fmas_f64 v[18:19], v[18:19], v[24:25], v[28:29]
	v_div_fixup_f64 v[14:15], v[18:19], v[14:15], v[20:21]
                                        ; implicit-def: $vgpr24_vgpr25
                                        ; implicit-def: $vgpr18_vgpr19
	s_andn2_saveexec_b64 s[4:5], s[4:5]
	s_cbranch_execz .LBB166_63
	s_branch .LBB166_62
.LBB166_61:
	s_andn2_saveexec_b64 s[4:5], s[4:5]
	s_cbranch_execz .LBB166_63
.LBB166_62:
	v_add_f64 v[14:15], v[24:25], -v[18:19]
	s_mov_b32 s20, 0
	v_mul_f64 v[14:15], v[14:15], 0.5
	s_brev_b32 s21, 8
	v_mov_b32_e32 v16, 0x100
	v_cmp_gt_f64_e32 vcc, s[20:21], v[14:15]
	s_nop 1
	v_cndmask_b32_e32 v16, 0, v16, vcc
	v_ldexp_f64 v[14:15], v[14:15], v16
	v_rsq_f64_e32 v[16:17], v[14:15]
	s_nop 0
	v_mul_f64 v[18:19], v[14:15], v[16:17]
	v_mul_f64 v[16:17], v[16:17], 0.5
	v_fma_f64 v[24:25], -v[16:17], v[18:19], 0.5
	v_fmac_f64_e32 v[18:19], v[18:19], v[24:25]
	v_fma_f64 v[26:27], -v[18:19], v[18:19], v[14:15]
	v_fmac_f64_e32 v[16:17], v[16:17], v[24:25]
	v_fmac_f64_e32 v[18:19], v[26:27], v[16:17]
	v_fma_f64 v[24:25], -v[18:19], v[18:19], v[14:15]
	v_fmac_f64_e32 v[18:19], v[24:25], v[16:17]
	v_mov_b32_e32 v16, 0xffffff80
	v_cndmask_b32_e32 v16, 0, v16, vcc
	v_ldexp_f64 v[16:17], v[18:19], v16
	v_mov_b32_e32 v18, 0x260
	v_cmp_class_f64_e32 vcc, v[14:15], v18
	v_and_b32_e32 v19, 0x7fffffff, v21
	v_mov_b32_e32 v18, v20
	v_cndmask_b32_e32 v15, v17, v15, vcc
	v_cndmask_b32_e32 v14, v16, v14, vcc
	v_add_f64 v[16:17], v[14:15], v[14:15]
	v_div_scale_f64 v[24:25], s[20:21], v[16:17], v[16:17], v[18:19]
	v_rcp_f64_e32 v[26:27], v[24:25]
	v_div_scale_f64 v[18:19], vcc, v[18:19], v[16:17], v[18:19]
	s_brev_b32 s20, -2
	v_fma_f64 v[28:29], -v[24:25], v[26:27], 1.0
	v_fmac_f64_e32 v[26:27], v[26:27], v[28:29]
	v_fma_f64 v[28:29], -v[24:25], v[26:27], 1.0
	v_fmac_f64_e32 v[26:27], v[26:27], v[28:29]
	v_mul_f64 v[28:29], v[18:19], v[26:27]
	v_fma_f64 v[18:19], -v[24:25], v[28:29], v[18:19]
	v_div_fmas_f64 v[18:19], v[18:19], v[26:27], v[28:29]
	v_div_fixup_f64 v[16:17], v[18:19], v[16:17], |v[20:21]|
	v_bfi_b32 v15, s20, v15, v21
.LBB166_63:
	s_or_b64 exec, exec, s[4:5]
                                        ; implicit-def: $vgpr20_vgpr21
                                        ; implicit-def: $vgpr24_vgpr25
	s_and_saveexec_b64 s[4:5], s[2:3]
	s_xor_b64 s[2:3], exec, s[4:5]
	s_cbranch_execz .LBB166_65
; %bb.64:
	v_mul_f64 v[18:19], v[16:17], 0.5
	v_mul_f64 v[20:21], v[14:15], 0.5
	v_cndmask_b32_e64 v25, v17, v19, s[18:19]
	v_cndmask_b32_e64 v24, v16, v18, s[18:19]
	;; [unrolled: 1-line block ×4, first 2 shown]
                                        ; implicit-def: $vgpr16_vgpr17
                                        ; implicit-def: $vgpr14_vgpr15
	s_andn2_saveexec_b64 s[2:3], s[2:3]
	s_cbranch_execnz .LBB166_66
	s_branch .LBB166_67
.LBB166_65:
	s_andn2_saveexec_b64 s[2:3], s[2:3]
.LBB166_66:
	v_add_f64 v[24:25], v[16:17], v[16:17]
	v_add_f64 v[20:21], v[14:15], v[14:15]
.LBB166_67:
	s_or_b64 exec, exec, s[2:3]
.LBB166_68:
	s_andn2_saveexec_b64 s[2:3], s[16:17]
	s_cbranch_execz .LBB166_74
; %bb.69:
	v_add_f64 v[14:15], v[20:21], -v[20:21]
	v_cmp_lt_i64_e32 vcc, -1, v[18:19]
	s_brev_b32 s16, -2
	v_and_b32_e32 v25, 0x7fffffff, v15
	v_mov_b32_e32 v24, v14
	s_and_saveexec_b64 s[4:5], vcc
	s_xor_b64 s[4:5], exec, s[4:5]
; %bb.70:
	v_bfi_b32 v15, s16, v15, v21
	v_mov_b64_e32 v[20:21], v[14:15]
	v_mov_b64_e32 v[24:25], v[18:19]
; %bb.71:
	s_andn2_saveexec_b64 s[4:5], s[4:5]
; %bb.72:
	v_bfi_b32 v19, s16, v19, v21
	v_mov_b64_e32 v[20:21], v[18:19]
; %bb.73:
	s_or_b64 exec, exec, s[4:5]
.LBB166_74:
	s_or_b64 exec, exec, s[2:3]
.LBB166_75:
	s_andn2_saveexec_b64 s[2:3], s[14:15]
	s_cbranch_execz .LBB166_77
; %bb.76:
	v_add_f64 v[14:15], v[20:21], -v[20:21]
	v_div_scale_f64 v[16:17], vcc, v[14:15], v[14:15], v[14:15]
	v_rcp_f64_e32 v[20:21], v[16:17]
	s_nop 0
	v_fma_f64 v[24:25], -v[16:17], v[20:21], 1.0
	v_fmac_f64_e32 v[20:21], v[20:21], v[24:25]
	v_fma_f64 v[24:25], -v[16:17], v[20:21], 1.0
	v_fmac_f64_e32 v[20:21], v[20:21], v[24:25]
	v_mul_f64 v[24:25], v[16:17], v[20:21]
	v_fma_f64 v[16:17], -v[16:17], v[24:25], v[16:17]
	v_div_fmas_f64 v[16:17], v[16:17], v[20:21], v[24:25]
	v_div_fixup_f64 v[20:21], v[16:17], v[14:15], v[14:15]
	v_mov_b64_e32 v[24:25], v[18:19]
.LBB166_77:
	s_or_b64 exec, exec, s[2:3]
.LBB166_78:
	s_or_b64 exec, exec, s[12:13]
.LBB166_79:
	s_or_b64 exec, exec, s[10:11]
	v_xor_b32_e32 v14, 0x80000000, v25
	v_cmp_gt_f64_e32 vcc, 0, v[24:25]
	v_mov_b32_e32 v26, v24
	v_mov_b32_e32 v18, v20
	v_cndmask_b32_e32 v27, v25, v14, vcc
	v_xor_b32_e32 v14, 0x80000000, v21
	v_cmp_gt_f64_e32 vcc, 0, v[20:21]
	s_nop 1
	v_cndmask_b32_e32 v19, v21, v14, vcc
	v_cmp_ge_f64_e32 vcc, v[26:27], v[18:19]
                                        ; implicit-def: $vgpr14_vgpr15
	s_and_saveexec_b64 s[2:3], vcc
	s_xor_b64 s[4:5], exec, s[2:3]
	s_cbranch_execz .LBB166_85
; %bb.80:
	v_cmp_neq_f64_e32 vcc, 0, v[24:25]
	v_cmp_neq_f64_e64 s[2:3], 0, v[20:21]
	s_or_b64 s[2:3], vcc, s[2:3]
                                        ; implicit-def: $vgpr14_vgpr15
	s_and_saveexec_b64 s[10:11], s[2:3]
	s_xor_b64 s[2:3], exec, s[10:11]
	s_cbranch_execz .LBB166_82
; %bb.81:
	v_div_scale_f64 v[14:15], s[10:11], v[24:25], v[24:25], v[20:21]
	v_rcp_f64_e32 v[16:17], v[14:15]
	v_div_scale_f64 v[18:19], vcc, v[20:21], v[24:25], v[20:21]
	v_fma_f64 v[26:27], -v[14:15], v[16:17], 1.0
	v_fmac_f64_e32 v[16:17], v[16:17], v[26:27]
	v_fma_f64 v[26:27], -v[14:15], v[16:17], 1.0
	v_fmac_f64_e32 v[16:17], v[16:17], v[26:27]
	v_mul_f64 v[26:27], v[18:19], v[16:17]
	v_fma_f64 v[14:15], -v[14:15], v[26:27], v[18:19]
	v_div_fmas_f64 v[14:15], v[14:15], v[16:17], v[26:27]
	v_div_fixup_f64 v[16:17], v[14:15], v[24:25], v[20:21]
	v_fmac_f64_e32 v[24:25], v[20:21], v[16:17]
	v_div_scale_f64 v[14:15], s[10:11], v[24:25], v[24:25], 1.0
	v_rcp_f64_e32 v[18:19], v[14:15]
	s_nop 0
	v_fma_f64 v[20:21], -v[14:15], v[18:19], 1.0
	v_fmac_f64_e32 v[18:19], v[18:19], v[20:21]
	v_fma_f64 v[20:21], -v[14:15], v[18:19], 1.0
	v_fmac_f64_e32 v[18:19], v[18:19], v[20:21]
	v_div_scale_f64 v[20:21], vcc, 1.0, v[24:25], 1.0
	v_mul_f64 v[26:27], v[20:21], v[18:19]
	v_fma_f64 v[14:15], -v[14:15], v[26:27], v[20:21]
	s_nop 1
	v_div_fmas_f64 v[14:15], v[14:15], v[18:19], v[26:27]
	v_div_fixup_f64 v[18:19], v[14:15], v[24:25], 1.0
	v_fma_f64 v[14:15], v[16:17], 0, 1.0
	v_add_f64 v[16:17], -v[16:17], 0
	v_mul_f64 v[14:15], v[14:15], v[18:19]
	v_mul_f64 v[16:17], v[16:17], v[18:19]
                                        ; implicit-def: $vgpr26_vgpr27
                                        ; implicit-def: $vgpr18_vgpr19
.LBB166_82:
	s_andn2_saveexec_b64 s[2:3], s[2:3]
	s_cbranch_execz .LBB166_84
; %bb.83:
	v_div_scale_f64 v[14:15], s[10:11], v[26:27], v[26:27], 1.0
	v_rcp_f64_e32 v[16:17], v[14:15]
	v_div_scale_f64 v[20:21], vcc, 1.0, v[26:27], 1.0
	v_fma_f64 v[24:25], -v[14:15], v[16:17], 1.0
	v_fmac_f64_e32 v[16:17], v[16:17], v[24:25]
	v_fma_f64 v[24:25], -v[14:15], v[16:17], 1.0
	v_fmac_f64_e32 v[16:17], v[16:17], v[24:25]
	v_mul_f64 v[24:25], v[20:21], v[16:17]
	v_fma_f64 v[14:15], -v[14:15], v[24:25], v[20:21]
	v_div_scale_f64 v[20:21], s[10:11], v[18:19], v[18:19], 0
	v_rcp_f64_e32 v[28:29], v[20:21]
	v_div_fmas_f64 v[14:15], v[14:15], v[16:17], v[24:25]
	v_div_fixup_f64 v[14:15], v[14:15], v[26:27], 1.0
	v_fma_f64 v[16:17], -v[20:21], v[28:29], 1.0
	v_fmac_f64_e32 v[28:29], v[28:29], v[16:17]
	v_fma_f64 v[16:17], -v[20:21], v[28:29], 1.0
	v_fmac_f64_e32 v[28:29], v[28:29], v[16:17]
	v_div_scale_f64 v[16:17], vcc, 0, v[18:19], 0
	v_mul_f64 v[24:25], v[16:17], v[28:29]
	v_fma_f64 v[16:17], -v[20:21], v[24:25], v[16:17]
	s_nop 1
	v_div_fmas_f64 v[16:17], v[16:17], v[28:29], v[24:25]
	v_div_fixup_f64 v[16:17], v[16:17], v[18:19], 0
.LBB166_84:
	s_or_b64 exec, exec, s[2:3]
                                        ; implicit-def: $vgpr20_vgpr21
                                        ; implicit-def: $vgpr24_vgpr25
.LBB166_85:
	s_andn2_saveexec_b64 s[2:3], s[4:5]
	s_cbranch_execz .LBB166_87
; %bb.86:
	v_div_scale_f64 v[14:15], s[4:5], v[20:21], v[20:21], v[24:25]
	v_rcp_f64_e32 v[16:17], v[14:15]
	v_div_scale_f64 v[18:19], vcc, v[24:25], v[20:21], v[24:25]
	v_fma_f64 v[26:27], -v[14:15], v[16:17], 1.0
	v_fmac_f64_e32 v[16:17], v[16:17], v[26:27]
	v_fma_f64 v[26:27], -v[14:15], v[16:17], 1.0
	v_fmac_f64_e32 v[16:17], v[16:17], v[26:27]
	v_mul_f64 v[26:27], v[18:19], v[16:17]
	v_fma_f64 v[14:15], -v[14:15], v[26:27], v[18:19]
	v_div_fmas_f64 v[14:15], v[14:15], v[16:17], v[26:27]
	v_div_fixup_f64 v[16:17], v[14:15], v[20:21], v[24:25]
	v_fmac_f64_e32 v[20:21], v[24:25], v[16:17]
	v_div_scale_f64 v[14:15], s[4:5], v[20:21], v[20:21], 1.0
	v_rcp_f64_e32 v[18:19], v[14:15]
	s_nop 0
	v_fma_f64 v[24:25], -v[14:15], v[18:19], 1.0
	v_fmac_f64_e32 v[18:19], v[18:19], v[24:25]
	v_fma_f64 v[24:25], -v[14:15], v[18:19], 1.0
	v_fmac_f64_e32 v[18:19], v[18:19], v[24:25]
	v_div_scale_f64 v[24:25], vcc, 1.0, v[20:21], 1.0
	v_mul_f64 v[26:27], v[24:25], v[18:19]
	v_fma_f64 v[14:15], -v[14:15], v[26:27], v[24:25]
	s_nop 1
	v_div_fmas_f64 v[14:15], v[14:15], v[18:19], v[26:27]
	v_div_fixup_f64 v[18:19], v[14:15], v[20:21], 1.0
	v_add_f64 v[14:15], v[16:17], 0
	v_fma_f64 v[16:17], v[16:17], 0, -1.0
	v_mul_f64 v[14:15], v[14:15], v[18:19]
	v_mul_f64 v[16:17], v[16:17], v[18:19]
.LBB166_87:
	s_or_b64 exec, exec, s[2:3]
.LBB166_88:
	s_or_b64 exec, exec, s[6:7]
	v_or_b32_e32 v18, 0x200, v0
	v_cmp_gt_i32_e32 vcc, s23, v18
	v_mov_b64_e32 v[18:19], 0
	v_mov_b64_e32 v[20:21], 0
	s_and_saveexec_b64 s[6:7], vcc
	s_cbranch_execz .LBB166_128
; %bb.89:
	v_cmp_neq_f64_e32 vcc, 0, v[10:11]
	v_cmp_neq_f64_e64 s[2:3], 0, v[12:13]
	v_mov_b64_e32 v[24:25], 0
	s_or_b64 s[2:3], vcc, s[2:3]
	s_and_saveexec_b64 s[10:11], s[2:3]
	s_cbranch_execz .LBB166_119
; %bb.90:
	v_mov_b32_e32 v24, 0
	v_mov_b32_e32 v25, 0x7ff00000
	v_cmp_neq_f64_e64 s[2:3], |v[12:13]|, v[24:25]
	s_and_saveexec_b64 s[12:13], s[2:3]
	s_cbranch_execz .LBB166_118
; %bb.91:
	v_cmp_o_f64_e32 vcc, v[10:11], v[10:11]
                                        ; implicit-def: $vgpr24_vgpr25
	s_and_saveexec_b64 s[2:3], vcc
	s_xor_b64 s[14:15], exec, s[2:3]
	s_cbranch_execz .LBB166_115
; %bb.92:
	s_mov_b32 s2, 0
	s_mov_b32 s3, 0x7ff00000
	v_cmp_neq_f64_e64 s[2:3], |v[10:11]|, s[2:3]
                                        ; implicit-def: $vgpr24_vgpr25
	s_and_saveexec_b64 s[4:5], s[2:3]
	s_xor_b64 s[16:17], exec, s[4:5]
	s_cbranch_execz .LBB166_108
; %bb.93:
	v_max_f64 v[18:19], |v[12:13]|, |v[12:13]|
	v_max_f64 v[20:21], |v[10:11]|, |v[10:11]|
	s_mov_b32 s2, 0x99fcef32
	v_max_f64 v[18:19], v[20:21], v[18:19]
	s_mov_b32 s3, 0x7fda8279
	v_cmp_nle_f64_e64 s[2:3], s[2:3], v[18:19]
                                        ; implicit-def: $sgpr18_sgpr19
	s_and_saveexec_b64 s[4:5], s[2:3]
	s_xor_b64 s[4:5], exec, s[4:5]
	s_cbranch_execz .LBB166_97
; %bb.94:
	s_mov_b32 s18, 0
	s_mov_b32 s19, 0x200000
	v_cmp_le_f64_e64 s[20:21], |v[10:11]|, s[18:19]
	v_cmp_le_f64_e64 s[18:19], |v[12:13]|, s[18:19]
	s_and_b64 s[24:25], s[20:21], s[18:19]
	s_mov_b64 s[18:19], 0
	s_and_saveexec_b64 s[20:21], s[24:25]
; %bb.95:
	s_mov_b64 s[18:19], exec
	v_mul_f64 v[12:13], v[12:13], 4.0
	v_mul_f64 v[10:11], v[10:11], 4.0
; %bb.96:
	s_or_b64 exec, exec, s[20:21]
.LBB166_97:
	s_andn2_saveexec_b64 s[4:5], s[4:5]
; %bb.98:
	v_ldexp_f64 v[10:11], v[10:11], -2
	v_ldexp_f64 v[12:13], v[12:13], -2
	s_andn2_b64 s[18:19], s[18:19], exec
; %bb.99:
	s_or_b64 exec, exec, s[4:5]
	v_max_f64 v[18:19], |v[12:13]|, |v[12:13]|
	v_max_f64 v[20:21], |v[10:11]|, |v[10:11]|
	v_max_f64 v[18:19], v[20:21], v[18:19]
	v_frexp_exp_i32_f64_e32 v23, v[18:19]
	v_sub_u32_e32 v20, 0, v23
	v_ldexp_f64 v[18:19], |v[10:11]|, v20
	v_ldexp_f64 v[20:21], |v[12:13]|, v20
	v_mul_f64 v[20:21], v[20:21], v[20:21]
	v_fmac_f64_e32 v[20:21], v[18:19], v[18:19]
	v_rsq_f64_e32 v[18:19], v[20:21]
	v_cmp_eq_f64_e64 s[4:5], 0, v[20:21]
	s_movk_i32 s20, 0x204
	v_cmp_le_f64_e32 vcc, 0, v[10:11]
	v_mul_f64 v[24:25], v[20:21], v[18:19]
	v_mul_f64 v[18:19], v[18:19], 0.5
	v_fma_f64 v[26:27], -v[18:19], v[24:25], 0.5
	v_fmac_f64_e32 v[24:25], v[24:25], v[26:27]
	v_fmac_f64_e32 v[18:19], v[18:19], v[26:27]
	v_fma_f64 v[26:27], -v[24:25], v[24:25], v[20:21]
	v_fmac_f64_e32 v[24:25], v[26:27], v[18:19]
	v_cndmask_b32_e64 v19, v25, v21, s[4:5]
	v_cndmask_b32_e64 v18, v24, v20, s[4:5]
	v_ldexp_f64 v[18:19], v[18:19], v23
	v_cmp_o_f64_e64 s[4:5], v[12:13], v[12:13]
	v_mov_b32_e32 v20, 0x7ff80000
	s_nop 0
	v_cndmask_b32_e64 v18, 0, v18, s[4:5]
	v_cndmask_b32_e64 v19, v20, v19, s[4:5]
	v_cmp_class_f64_e64 s[4:5], v[10:11], s20
	v_cmp_class_f64_e64 s[20:21], v[12:13], s20
	v_mov_b32_e32 v20, 0x7ff00000
	s_or_b64 s[4:5], s[20:21], s[4:5]
	v_cndmask_b32_e64 v25, v19, v20, s[4:5]
	v_cndmask_b32_e64 v24, v18, 0, s[4:5]
                                        ; implicit-def: $vgpr18_vgpr19
                                        ; implicit-def: $vgpr20_vgpr21
	s_and_saveexec_b64 s[4:5], vcc
	s_xor_b64 s[4:5], exec, s[4:5]
	s_cbranch_execz .LBB166_101
; %bb.100:
	v_add_f64 v[10:11], v[10:11], v[24:25]
	s_mov_b32 s20, 0
	v_mul_f64 v[10:11], v[10:11], 0.5
	s_brev_b32 s21, 8
	v_mov_b32_e32 v18, 0x100
	v_cmp_gt_f64_e32 vcc, s[20:21], v[10:11]
	s_nop 1
	v_cndmask_b32_e32 v18, 0, v18, vcc
	v_ldexp_f64 v[10:11], v[10:11], v18
	v_rsq_f64_e32 v[18:19], v[10:11]
	s_nop 0
	v_mul_f64 v[20:21], v[10:11], v[18:19]
	v_mul_f64 v[18:19], v[18:19], 0.5
	v_fma_f64 v[24:25], -v[18:19], v[20:21], 0.5
	v_fmac_f64_e32 v[20:21], v[20:21], v[24:25]
	v_fma_f64 v[26:27], -v[20:21], v[20:21], v[10:11]
	v_fmac_f64_e32 v[18:19], v[18:19], v[24:25]
	v_fmac_f64_e32 v[20:21], v[26:27], v[18:19]
	v_fma_f64 v[24:25], -v[20:21], v[20:21], v[10:11]
	v_fmac_f64_e32 v[20:21], v[24:25], v[18:19]
	v_mov_b32_e32 v18, 0xffffff80
	v_cndmask_b32_e32 v18, 0, v18, vcc
	v_ldexp_f64 v[18:19], v[20:21], v18
	v_mov_b32_e32 v20, 0x260
	v_cmp_class_f64_e32 vcc, v[10:11], v20
	s_nop 1
	v_cndmask_b32_e32 v21, v19, v11, vcc
	v_cndmask_b32_e32 v20, v18, v10, vcc
	v_add_f64 v[10:11], v[20:21], v[20:21]
	v_div_scale_f64 v[18:19], s[20:21], v[10:11], v[10:11], v[12:13]
	v_rcp_f64_e32 v[24:25], v[18:19]
	s_nop 0
	v_fma_f64 v[26:27], -v[18:19], v[24:25], 1.0
	v_fmac_f64_e32 v[24:25], v[24:25], v[26:27]
	v_fma_f64 v[26:27], -v[18:19], v[24:25], 1.0
	v_fmac_f64_e32 v[24:25], v[24:25], v[26:27]
	v_div_scale_f64 v[26:27], vcc, v[12:13], v[10:11], v[12:13]
	v_mul_f64 v[28:29], v[26:27], v[24:25]
	v_fma_f64 v[18:19], -v[18:19], v[28:29], v[26:27]
	s_nop 1
	v_div_fmas_f64 v[18:19], v[18:19], v[24:25], v[28:29]
	v_div_fixup_f64 v[18:19], v[18:19], v[10:11], v[12:13]
                                        ; implicit-def: $vgpr24_vgpr25
                                        ; implicit-def: $vgpr10_vgpr11
	s_andn2_saveexec_b64 s[4:5], s[4:5]
	s_cbranch_execz .LBB166_103
	s_branch .LBB166_102
.LBB166_101:
	s_andn2_saveexec_b64 s[4:5], s[4:5]
	s_cbranch_execz .LBB166_103
.LBB166_102:
	v_add_f64 v[10:11], v[24:25], -v[10:11]
	s_mov_b32 s20, 0
	v_mul_f64 v[10:11], v[10:11], 0.5
	s_brev_b32 s21, 8
	v_mov_b32_e32 v18, 0x100
	v_cmp_gt_f64_e32 vcc, s[20:21], v[10:11]
	s_nop 1
	v_cndmask_b32_e32 v18, 0, v18, vcc
	v_ldexp_f64 v[10:11], v[10:11], v18
	v_rsq_f64_e32 v[18:19], v[10:11]
	s_nop 0
	v_mul_f64 v[20:21], v[10:11], v[18:19]
	v_mul_f64 v[18:19], v[18:19], 0.5
	v_fma_f64 v[24:25], -v[18:19], v[20:21], 0.5
	v_fmac_f64_e32 v[20:21], v[20:21], v[24:25]
	v_fma_f64 v[26:27], -v[20:21], v[20:21], v[10:11]
	v_fmac_f64_e32 v[18:19], v[18:19], v[24:25]
	v_fmac_f64_e32 v[20:21], v[26:27], v[18:19]
	v_fma_f64 v[24:25], -v[20:21], v[20:21], v[10:11]
	v_fmac_f64_e32 v[20:21], v[24:25], v[18:19]
	v_mov_b32_e32 v18, 0xffffff80
	v_cndmask_b32_e32 v18, 0, v18, vcc
	v_ldexp_f64 v[18:19], v[20:21], v18
	v_mov_b32_e32 v20, 0x260
	v_cmp_class_f64_e32 vcc, v[10:11], v20
	v_and_b32_e32 v21, 0x7fffffff, v13
	v_mov_b32_e32 v20, v12
	v_cndmask_b32_e32 v19, v19, v11, vcc
	v_cndmask_b32_e32 v18, v18, v10, vcc
	v_add_f64 v[10:11], v[18:19], v[18:19]
	v_div_scale_f64 v[24:25], s[20:21], v[10:11], v[10:11], v[20:21]
	v_rcp_f64_e32 v[26:27], v[24:25]
	v_div_scale_f64 v[20:21], vcc, v[20:21], v[10:11], v[20:21]
	s_brev_b32 s20, -2
	v_fma_f64 v[28:29], -v[24:25], v[26:27], 1.0
	v_fmac_f64_e32 v[26:27], v[26:27], v[28:29]
	v_fma_f64 v[28:29], -v[24:25], v[26:27], 1.0
	v_fmac_f64_e32 v[26:27], v[26:27], v[28:29]
	v_mul_f64 v[28:29], v[20:21], v[26:27]
	v_fma_f64 v[20:21], -v[24:25], v[28:29], v[20:21]
	v_div_fmas_f64 v[20:21], v[20:21], v[26:27], v[28:29]
	v_div_fixup_f64 v[20:21], v[20:21], v[10:11], |v[12:13]|
	v_bfi_b32 v19, s20, v19, v13
.LBB166_103:
	s_or_b64 exec, exec, s[4:5]
                                        ; implicit-def: $vgpr12_vgpr13
                                        ; implicit-def: $vgpr24_vgpr25
	s_and_saveexec_b64 s[4:5], s[2:3]
	s_xor_b64 s[2:3], exec, s[4:5]
	s_cbranch_execz .LBB166_105
; %bb.104:
	v_mul_f64 v[10:11], v[20:21], 0.5
	v_mul_f64 v[12:13], v[18:19], 0.5
	v_cndmask_b32_e64 v25, v21, v11, s[18:19]
	v_cndmask_b32_e64 v24, v20, v10, s[18:19]
	;; [unrolled: 1-line block ×4, first 2 shown]
                                        ; implicit-def: $vgpr20_vgpr21
                                        ; implicit-def: $vgpr18_vgpr19
	s_andn2_saveexec_b64 s[2:3], s[2:3]
	s_cbranch_execnz .LBB166_106
	s_branch .LBB166_107
.LBB166_105:
	s_andn2_saveexec_b64 s[2:3], s[2:3]
.LBB166_106:
	v_add_f64 v[24:25], v[20:21], v[20:21]
	v_add_f64 v[12:13], v[18:19], v[18:19]
.LBB166_107:
	s_or_b64 exec, exec, s[2:3]
.LBB166_108:
	s_andn2_saveexec_b64 s[2:3], s[16:17]
	s_cbranch_execz .LBB166_114
; %bb.109:
	v_add_f64 v[18:19], v[12:13], -v[12:13]
	v_cmp_lt_i64_e32 vcc, -1, v[10:11]
	s_brev_b32 s16, -2
	v_and_b32_e32 v25, 0x7fffffff, v19
	v_mov_b32_e32 v24, v18
	s_and_saveexec_b64 s[4:5], vcc
	s_xor_b64 s[4:5], exec, s[4:5]
; %bb.110:
	v_bfi_b32 v19, s16, v19, v13
	v_mov_b64_e32 v[12:13], v[18:19]
	v_mov_b64_e32 v[24:25], v[10:11]
; %bb.111:
	s_andn2_saveexec_b64 s[4:5], s[4:5]
; %bb.112:
	v_bfi_b32 v11, s16, v11, v13
	v_mov_b64_e32 v[12:13], v[10:11]
; %bb.113:
	s_or_b64 exec, exec, s[4:5]
.LBB166_114:
	s_or_b64 exec, exec, s[2:3]
.LBB166_115:
	s_andn2_saveexec_b64 s[2:3], s[14:15]
	s_cbranch_execz .LBB166_117
; %bb.116:
	v_add_f64 v[12:13], v[12:13], -v[12:13]
	v_div_scale_f64 v[18:19], vcc, v[12:13], v[12:13], v[12:13]
	v_rcp_f64_e32 v[20:21], v[18:19]
	s_nop 0
	v_fma_f64 v[24:25], -v[18:19], v[20:21], 1.0
	v_fmac_f64_e32 v[20:21], v[20:21], v[24:25]
	v_fma_f64 v[24:25], -v[18:19], v[20:21], 1.0
	v_fmac_f64_e32 v[20:21], v[20:21], v[24:25]
	v_mul_f64 v[24:25], v[18:19], v[20:21]
	v_fma_f64 v[18:19], -v[18:19], v[24:25], v[18:19]
	v_div_fmas_f64 v[18:19], v[18:19], v[20:21], v[24:25]
	v_div_fixup_f64 v[12:13], v[18:19], v[12:13], v[12:13]
	v_mov_b64_e32 v[24:25], v[10:11]
.LBB166_117:
	s_or_b64 exec, exec, s[2:3]
.LBB166_118:
	s_or_b64 exec, exec, s[12:13]
.LBB166_119:
	s_or_b64 exec, exec, s[10:11]
	v_xor_b32_e32 v10, 0x80000000, v25
	v_cmp_gt_f64_e32 vcc, 0, v[24:25]
	v_mov_b32_e32 v26, v24
                                        ; implicit-def: $vgpr18_vgpr19
	s_nop 0
	v_cndmask_b32_e32 v27, v25, v10, vcc
	v_xor_b32_e32 v10, 0x80000000, v13
	v_cmp_gt_f64_e32 vcc, 0, v[12:13]
	s_nop 1
	v_cndmask_b32_e32 v11, v13, v10, vcc
	v_mov_b32_e32 v10, v12
	v_cmp_ge_f64_e32 vcc, v[26:27], v[10:11]
	s_and_saveexec_b64 s[2:3], vcc
	s_xor_b64 s[4:5], exec, s[2:3]
	s_cbranch_execz .LBB166_125
; %bb.120:
	v_cmp_neq_f64_e32 vcc, 0, v[24:25]
	v_cmp_neq_f64_e64 s[2:3], 0, v[12:13]
	s_or_b64 s[2:3], vcc, s[2:3]
                                        ; implicit-def: $vgpr18_vgpr19
	s_and_saveexec_b64 s[10:11], s[2:3]
	s_xor_b64 s[2:3], exec, s[10:11]
	s_cbranch_execz .LBB166_122
; %bb.121:
	v_div_scale_f64 v[10:11], s[10:11], v[24:25], v[24:25], v[12:13]
	v_rcp_f64_e32 v[18:19], v[10:11]
	v_div_scale_f64 v[20:21], vcc, v[12:13], v[24:25], v[12:13]
	v_fma_f64 v[26:27], -v[10:11], v[18:19], 1.0
	v_fmac_f64_e32 v[18:19], v[18:19], v[26:27]
	v_fma_f64 v[26:27], -v[10:11], v[18:19], 1.0
	v_fmac_f64_e32 v[18:19], v[18:19], v[26:27]
	v_mul_f64 v[26:27], v[20:21], v[18:19]
	v_fma_f64 v[10:11], -v[10:11], v[26:27], v[20:21]
	v_div_fmas_f64 v[10:11], v[10:11], v[18:19], v[26:27]
	v_div_fixup_f64 v[10:11], v[10:11], v[24:25], v[12:13]
	v_fmac_f64_e32 v[24:25], v[12:13], v[10:11]
	v_div_scale_f64 v[12:13], s[10:11], v[24:25], v[24:25], 1.0
	v_rcp_f64_e32 v[18:19], v[12:13]
	s_nop 0
	v_fma_f64 v[20:21], -v[12:13], v[18:19], 1.0
	v_fmac_f64_e32 v[18:19], v[18:19], v[20:21]
	v_fma_f64 v[20:21], -v[12:13], v[18:19], 1.0
	v_fmac_f64_e32 v[18:19], v[18:19], v[20:21]
	v_div_scale_f64 v[20:21], vcc, 1.0, v[24:25], 1.0
	v_mul_f64 v[26:27], v[20:21], v[18:19]
	v_fma_f64 v[12:13], -v[12:13], v[26:27], v[20:21]
	s_nop 1
	v_div_fmas_f64 v[12:13], v[12:13], v[18:19], v[26:27]
	v_div_fixup_f64 v[12:13], v[12:13], v[24:25], 1.0
	v_fma_f64 v[18:19], v[10:11], 0, 1.0
	v_add_f64 v[10:11], -v[10:11], 0
	v_mul_f64 v[18:19], v[18:19], v[12:13]
	v_mul_f64 v[20:21], v[10:11], v[12:13]
                                        ; implicit-def: $vgpr26_vgpr27
                                        ; implicit-def: $vgpr10_vgpr11
.LBB166_122:
	s_andn2_saveexec_b64 s[2:3], s[2:3]
	s_cbranch_execz .LBB166_124
; %bb.123:
	v_div_scale_f64 v[12:13], s[10:11], v[26:27], v[26:27], 1.0
	v_rcp_f64_e32 v[18:19], v[12:13]
	v_div_scale_f64 v[20:21], vcc, 1.0, v[26:27], 1.0
	v_fma_f64 v[24:25], -v[12:13], v[18:19], 1.0
	v_fmac_f64_e32 v[18:19], v[18:19], v[24:25]
	v_fma_f64 v[24:25], -v[12:13], v[18:19], 1.0
	v_fmac_f64_e32 v[18:19], v[18:19], v[24:25]
	v_mul_f64 v[24:25], v[20:21], v[18:19]
	v_fma_f64 v[12:13], -v[12:13], v[24:25], v[20:21]
	v_div_scale_f64 v[20:21], s[10:11], v[10:11], v[10:11], 0
	v_rcp_f64_e32 v[28:29], v[20:21]
	v_div_fmas_f64 v[12:13], v[12:13], v[18:19], v[24:25]
	v_div_fixup_f64 v[18:19], v[12:13], v[26:27], 1.0
	v_fma_f64 v[12:13], -v[20:21], v[28:29], 1.0
	v_fmac_f64_e32 v[28:29], v[28:29], v[12:13]
	v_fma_f64 v[12:13], -v[20:21], v[28:29], 1.0
	v_fmac_f64_e32 v[28:29], v[28:29], v[12:13]
	v_div_scale_f64 v[12:13], vcc, 0, v[10:11], 0
	v_mul_f64 v[24:25], v[12:13], v[28:29]
	v_fma_f64 v[12:13], -v[20:21], v[24:25], v[12:13]
	s_nop 1
	v_div_fmas_f64 v[12:13], v[12:13], v[28:29], v[24:25]
	v_div_fixup_f64 v[20:21], v[12:13], v[10:11], 0
.LBB166_124:
	s_or_b64 exec, exec, s[2:3]
                                        ; implicit-def: $vgpr12_vgpr13
                                        ; implicit-def: $vgpr24_vgpr25
.LBB166_125:
	s_andn2_saveexec_b64 s[2:3], s[4:5]
	s_cbranch_execz .LBB166_127
; %bb.126:
	v_div_scale_f64 v[10:11], s[4:5], v[12:13], v[12:13], v[24:25]
	v_rcp_f64_e32 v[18:19], v[10:11]
	v_div_scale_f64 v[20:21], vcc, v[24:25], v[12:13], v[24:25]
	v_fma_f64 v[26:27], -v[10:11], v[18:19], 1.0
	v_fmac_f64_e32 v[18:19], v[18:19], v[26:27]
	v_fma_f64 v[26:27], -v[10:11], v[18:19], 1.0
	v_fmac_f64_e32 v[18:19], v[18:19], v[26:27]
	v_mul_f64 v[26:27], v[20:21], v[18:19]
	v_fma_f64 v[10:11], -v[10:11], v[26:27], v[20:21]
	v_div_fmas_f64 v[10:11], v[10:11], v[18:19], v[26:27]
	v_div_fixup_f64 v[10:11], v[10:11], v[12:13], v[24:25]
	v_fmac_f64_e32 v[12:13], v[24:25], v[10:11]
	v_div_scale_f64 v[18:19], s[4:5], v[12:13], v[12:13], 1.0
	v_rcp_f64_e32 v[20:21], v[18:19]
	s_nop 0
	v_fma_f64 v[24:25], -v[18:19], v[20:21], 1.0
	v_fmac_f64_e32 v[20:21], v[20:21], v[24:25]
	v_fma_f64 v[24:25], -v[18:19], v[20:21], 1.0
	v_fmac_f64_e32 v[20:21], v[20:21], v[24:25]
	v_div_scale_f64 v[24:25], vcc, 1.0, v[12:13], 1.0
	v_mul_f64 v[26:27], v[24:25], v[20:21]
	v_fma_f64 v[18:19], -v[18:19], v[26:27], v[24:25]
	s_nop 1
	v_div_fmas_f64 v[18:19], v[18:19], v[20:21], v[26:27]
	v_div_fixup_f64 v[12:13], v[18:19], v[12:13], 1.0
	v_add_f64 v[18:19], v[10:11], 0
	v_fma_f64 v[10:11], v[10:11], 0, -1.0
	v_mul_f64 v[18:19], v[18:19], v[12:13]
	v_mul_f64 v[20:21], v[10:11], v[12:13]
.LBB166_127:
	s_or_b64 exec, exec, s[2:3]
.LBB166_128:
	s_or_b64 exec, exec, s[6:7]
	v_or_b32_e32 v10, 0x300, v0
	v_cmp_gt_i32_e32 vcc, s23, v10
	v_mov_b64_e32 v[10:11], 0
	v_mov_b64_e32 v[12:13], 0
	s_and_saveexec_b64 s[6:7], vcc
	s_cbranch_execz .LBB166_141
; %bb.129:
	v_cmp_neq_f64_e32 vcc, 0, v[2:3]
	v_cmp_neq_f64_e64 s[2:3], 0, v[4:5]
	v_mov_b64_e32 v[24:25], 0
	s_or_b64 s[2:3], vcc, s[2:3]
	s_and_saveexec_b64 s[10:11], s[2:3]
	s_cbranch_execz .LBB166_164
; %bb.130:
	v_mov_b32_e32 v24, 0
	v_mov_b32_e32 v25, 0x7ff00000
	v_cmp_neq_f64_e64 s[2:3], |v[4:5]|, v[24:25]
	s_and_saveexec_b64 s[12:13], s[2:3]
	s_cbranch_execz .LBB166_163
; %bb.131:
	v_cmp_o_f64_e32 vcc, v[2:3], v[2:3]
                                        ; implicit-def: $vgpr24_vgpr25
	s_and_saveexec_b64 s[2:3], vcc
	s_xor_b64 s[14:15], exec, s[2:3]
	s_cbranch_execz .LBB166_160
; %bb.132:
	s_mov_b32 s2, 0
	s_mov_b32 s3, 0x7ff00000
	v_cmp_neq_f64_e64 s[2:3], |v[2:3]|, s[2:3]
                                        ; implicit-def: $vgpr24_vgpr25
	s_and_saveexec_b64 s[4:5], s[2:3]
	s_xor_b64 s[16:17], exec, s[4:5]
	s_cbranch_execz .LBB166_153
; %bb.133:
	v_max_f64 v[10:11], |v[4:5]|, |v[4:5]|
	v_max_f64 v[12:13], |v[2:3]|, |v[2:3]|
	s_mov_b32 s2, 0x99fcef32
	v_max_f64 v[10:11], v[12:13], v[10:11]
	s_mov_b32 s3, 0x7fda8279
	v_cmp_nle_f64_e64 s[2:3], s[2:3], v[10:11]
                                        ; implicit-def: $sgpr18_sgpr19
	s_and_saveexec_b64 s[4:5], s[2:3]
	s_xor_b64 s[4:5], exec, s[4:5]
	s_cbranch_execz .LBB166_137
; %bb.134:
	s_mov_b32 s18, 0
	s_mov_b32 s19, 0x200000
	v_cmp_le_f64_e64 s[20:21], |v[2:3]|, s[18:19]
	v_cmp_le_f64_e64 s[18:19], |v[4:5]|, s[18:19]
	s_and_b64 s[24:25], s[20:21], s[18:19]
	s_mov_b64 s[18:19], 0
	s_and_saveexec_b64 s[20:21], s[24:25]
; %bb.135:
	s_mov_b64 s[18:19], exec
	v_mul_f64 v[4:5], v[4:5], 4.0
	v_mul_f64 v[2:3], v[2:3], 4.0
; %bb.136:
	s_or_b64 exec, exec, s[20:21]
.LBB166_137:
	s_andn2_saveexec_b64 s[4:5], s[4:5]
; %bb.138:
	v_ldexp_f64 v[2:3], v[2:3], -2
	v_ldexp_f64 v[4:5], v[4:5], -2
	s_andn2_b64 s[18:19], s[18:19], exec
; %bb.139:
	s_or_b64 exec, exec, s[4:5]
	v_max_f64 v[10:11], |v[4:5]|, |v[4:5]|
	v_max_f64 v[12:13], |v[2:3]|, |v[2:3]|
	v_max_f64 v[10:11], v[12:13], v[10:11]
	v_frexp_exp_i32_f64_e32 v23, v[10:11]
	v_sub_u32_e32 v12, 0, v23
	v_ldexp_f64 v[10:11], |v[2:3]|, v12
	v_ldexp_f64 v[12:13], |v[4:5]|, v12
	v_mul_f64 v[12:13], v[12:13], v[12:13]
	v_fmac_f64_e32 v[12:13], v[10:11], v[10:11]
	v_rsq_f64_e32 v[10:11], v[12:13]
	v_cmp_eq_f64_e64 s[4:5], 0, v[12:13]
	s_movk_i32 s20, 0x204
	v_cmp_le_f64_e32 vcc, 0, v[2:3]
	v_mul_f64 v[24:25], v[12:13], v[10:11]
	v_mul_f64 v[10:11], v[10:11], 0.5
	v_fma_f64 v[26:27], -v[10:11], v[24:25], 0.5
	v_fmac_f64_e32 v[24:25], v[24:25], v[26:27]
	v_fmac_f64_e32 v[10:11], v[10:11], v[26:27]
	v_fma_f64 v[26:27], -v[24:25], v[24:25], v[12:13]
	v_fmac_f64_e32 v[24:25], v[26:27], v[10:11]
	v_cndmask_b32_e64 v11, v25, v13, s[4:5]
	v_cndmask_b32_e64 v10, v24, v12, s[4:5]
	v_ldexp_f64 v[10:11], v[10:11], v23
	v_cmp_o_f64_e64 s[4:5], v[4:5], v[4:5]
	v_mov_b32_e32 v12, 0x7ff80000
	s_nop 0
	v_cndmask_b32_e64 v10, 0, v10, s[4:5]
	v_cndmask_b32_e64 v11, v12, v11, s[4:5]
	v_cmp_class_f64_e64 s[4:5], v[2:3], s20
	v_cmp_class_f64_e64 s[20:21], v[4:5], s20
	v_mov_b32_e32 v12, 0x7ff00000
	s_or_b64 s[4:5], s[20:21], s[4:5]
	v_cndmask_b32_e64 v25, v11, v12, s[4:5]
	v_cndmask_b32_e64 v24, v10, 0, s[4:5]
                                        ; implicit-def: $vgpr10_vgpr11
                                        ; implicit-def: $vgpr12_vgpr13
	s_and_saveexec_b64 s[4:5], vcc
	s_xor_b64 s[4:5], exec, s[4:5]
	s_cbranch_execz .LBB166_146
; %bb.140:
	v_add_f64 v[2:3], v[2:3], v[24:25]
	s_mov_b32 s20, 0
	v_mul_f64 v[2:3], v[2:3], 0.5
	s_brev_b32 s21, 8
	v_mov_b32_e32 v10, 0x100
	v_cmp_gt_f64_e32 vcc, s[20:21], v[2:3]
	s_nop 1
	v_cndmask_b32_e32 v10, 0, v10, vcc
	v_ldexp_f64 v[2:3], v[2:3], v10
	v_rsq_f64_e32 v[10:11], v[2:3]
	s_nop 0
	v_mul_f64 v[12:13], v[2:3], v[10:11]
	v_mul_f64 v[10:11], v[10:11], 0.5
	v_fma_f64 v[24:25], -v[10:11], v[12:13], 0.5
	v_fmac_f64_e32 v[12:13], v[12:13], v[24:25]
	v_fma_f64 v[26:27], -v[12:13], v[12:13], v[2:3]
	v_fmac_f64_e32 v[10:11], v[10:11], v[24:25]
	v_fmac_f64_e32 v[12:13], v[26:27], v[10:11]
	v_fma_f64 v[24:25], -v[12:13], v[12:13], v[2:3]
	v_fmac_f64_e32 v[12:13], v[24:25], v[10:11]
	v_mov_b32_e32 v10, 0xffffff80
	v_cndmask_b32_e32 v10, 0, v10, vcc
	v_ldexp_f64 v[10:11], v[12:13], v10
	v_mov_b32_e32 v12, 0x260
	v_cmp_class_f64_e32 vcc, v[2:3], v12
	s_nop 1
	v_cndmask_b32_e32 v13, v11, v3, vcc
	v_cndmask_b32_e32 v12, v10, v2, vcc
	v_add_f64 v[2:3], v[12:13], v[12:13]
	v_div_scale_f64 v[10:11], s[20:21], v[2:3], v[2:3], v[4:5]
	v_rcp_f64_e32 v[24:25], v[10:11]
	s_nop 0
	v_fma_f64 v[26:27], -v[10:11], v[24:25], 1.0
	v_fmac_f64_e32 v[24:25], v[24:25], v[26:27]
	v_fma_f64 v[26:27], -v[10:11], v[24:25], 1.0
	v_fmac_f64_e32 v[24:25], v[24:25], v[26:27]
	v_div_scale_f64 v[26:27], vcc, v[4:5], v[2:3], v[4:5]
	v_mul_f64 v[28:29], v[26:27], v[24:25]
	v_fma_f64 v[10:11], -v[10:11], v[28:29], v[26:27]
	s_nop 1
	v_div_fmas_f64 v[10:11], v[10:11], v[24:25], v[28:29]
	v_div_fixup_f64 v[10:11], v[10:11], v[2:3], v[4:5]
                                        ; implicit-def: $vgpr24_vgpr25
                                        ; implicit-def: $vgpr2_vgpr3
	s_andn2_saveexec_b64 s[4:5], s[4:5]
	s_cbranch_execz .LBB166_148
	s_branch .LBB166_147
.LBB166_141:
	s_or_b64 exec, exec, s[6:7]
	s_and_saveexec_b64 s[2:3], s[0:1]
	s_xor_b64 s[0:1], exec, s[2:3]
	s_cbranch_execz .LBB166_173
.LBB166_142:
	v_mov_b32_e32 v23, 0
	v_lshl_add_u64 v[2:3], v[22:23], 4, s[8:9]
	v_mov_b32_e32 v0, v1
	global_store_dwordx4 v[2:3], v[6:9], off
	s_or_b64 exec, exec, s[0:1]
	v_cmp_gt_i32_e32 vcc, s23, v0
	s_and_saveexec_b64 s[0:1], vcc
	s_cbranch_execnz .LBB166_174
.LBB166_143:
	s_or_b64 exec, exec, s[0:1]
	v_cmp_gt_i32_e32 vcc, s23, v0
	s_and_saveexec_b64 s[0:1], vcc
	s_cbranch_execz .LBB166_175
.LBB166_144:
	v_add_u32_e32 v2, 0x100, v0
	v_add_u32_e32 v0, s22, v0
	v_mov_b32_e32 v1, 0
	v_lshl_add_u64 v[0:1], v[0:1], 4, s[8:9]
	global_store_dwordx4 v[0:1], v[18:21], off
	v_mov_b32_e32 v0, v2
	s_or_b64 exec, exec, s[0:1]
	v_cmp_gt_i32_e32 vcc, s23, v0
	s_and_saveexec_b64 s[0:1], vcc
	s_cbranch_execnz .LBB166_176
.LBB166_145:
	s_endpgm
.LBB166_146:
	s_andn2_saveexec_b64 s[4:5], s[4:5]
	s_cbranch_execz .LBB166_148
.LBB166_147:
	v_add_f64 v[2:3], v[24:25], -v[2:3]
	s_mov_b32 s20, 0
	v_mul_f64 v[2:3], v[2:3], 0.5
	s_brev_b32 s21, 8
	v_mov_b32_e32 v10, 0x100
	v_cmp_gt_f64_e32 vcc, s[20:21], v[2:3]
	s_nop 1
	v_cndmask_b32_e32 v10, 0, v10, vcc
	v_ldexp_f64 v[2:3], v[2:3], v10
	v_rsq_f64_e32 v[10:11], v[2:3]
	s_nop 0
	v_mul_f64 v[12:13], v[2:3], v[10:11]
	v_mul_f64 v[10:11], v[10:11], 0.5
	v_fma_f64 v[24:25], -v[10:11], v[12:13], 0.5
	v_fmac_f64_e32 v[12:13], v[12:13], v[24:25]
	v_fma_f64 v[26:27], -v[12:13], v[12:13], v[2:3]
	v_fmac_f64_e32 v[10:11], v[10:11], v[24:25]
	v_fmac_f64_e32 v[12:13], v[26:27], v[10:11]
	v_fma_f64 v[24:25], -v[12:13], v[12:13], v[2:3]
	v_fmac_f64_e32 v[12:13], v[24:25], v[10:11]
	v_mov_b32_e32 v10, 0xffffff80
	v_cndmask_b32_e32 v10, 0, v10, vcc
	v_ldexp_f64 v[10:11], v[12:13], v10
	v_mov_b32_e32 v12, 0x260
	v_cmp_class_f64_e32 vcc, v[2:3], v12
	v_and_b32_e32 v13, 0x7fffffff, v5
	v_mov_b32_e32 v12, v4
	v_cndmask_b32_e32 v11, v11, v3, vcc
	v_cndmask_b32_e32 v10, v10, v2, vcc
	v_add_f64 v[2:3], v[10:11], v[10:11]
	v_div_scale_f64 v[24:25], s[20:21], v[2:3], v[2:3], v[12:13]
	v_rcp_f64_e32 v[26:27], v[24:25]
	v_div_scale_f64 v[12:13], vcc, v[12:13], v[2:3], v[12:13]
	s_brev_b32 s20, -2
	v_fma_f64 v[28:29], -v[24:25], v[26:27], 1.0
	v_fmac_f64_e32 v[26:27], v[26:27], v[28:29]
	v_fma_f64 v[28:29], -v[24:25], v[26:27], 1.0
	v_fmac_f64_e32 v[26:27], v[26:27], v[28:29]
	v_mul_f64 v[28:29], v[12:13], v[26:27]
	v_fma_f64 v[12:13], -v[24:25], v[28:29], v[12:13]
	v_div_fmas_f64 v[12:13], v[12:13], v[26:27], v[28:29]
	v_div_fixup_f64 v[12:13], v[12:13], v[2:3], |v[4:5]|
	v_bfi_b32 v11, s20, v11, v5
.LBB166_148:
	s_or_b64 exec, exec, s[4:5]
                                        ; implicit-def: $vgpr4_vgpr5
                                        ; implicit-def: $vgpr24_vgpr25
	s_and_saveexec_b64 s[4:5], s[2:3]
	s_xor_b64 s[2:3], exec, s[4:5]
	s_cbranch_execz .LBB166_150
; %bb.149:
	v_mul_f64 v[2:3], v[12:13], 0.5
	v_mul_f64 v[4:5], v[10:11], 0.5
	v_cndmask_b32_e64 v25, v13, v3, s[18:19]
	v_cndmask_b32_e64 v24, v12, v2, s[18:19]
	;; [unrolled: 1-line block ×4, first 2 shown]
                                        ; implicit-def: $vgpr12_vgpr13
                                        ; implicit-def: $vgpr10_vgpr11
	s_andn2_saveexec_b64 s[2:3], s[2:3]
	s_cbranch_execnz .LBB166_151
	s_branch .LBB166_152
.LBB166_150:
	s_andn2_saveexec_b64 s[2:3], s[2:3]
.LBB166_151:
	v_add_f64 v[24:25], v[12:13], v[12:13]
	v_add_f64 v[4:5], v[10:11], v[10:11]
.LBB166_152:
	s_or_b64 exec, exec, s[2:3]
.LBB166_153:
	s_andn2_saveexec_b64 s[2:3], s[16:17]
	s_cbranch_execz .LBB166_159
; %bb.154:
	v_add_f64 v[10:11], v[4:5], -v[4:5]
	v_cmp_lt_i64_e32 vcc, -1, v[2:3]
	s_brev_b32 s16, -2
	v_and_b32_e32 v25, 0x7fffffff, v11
	v_mov_b32_e32 v24, v10
	s_and_saveexec_b64 s[4:5], vcc
	s_xor_b64 s[4:5], exec, s[4:5]
; %bb.155:
	v_bfi_b32 v11, s16, v11, v5
	v_mov_b64_e32 v[4:5], v[10:11]
	v_mov_b64_e32 v[24:25], v[2:3]
; %bb.156:
	s_andn2_saveexec_b64 s[4:5], s[4:5]
; %bb.157:
	v_bfi_b32 v3, s16, v3, v5
	v_mov_b64_e32 v[4:5], v[2:3]
; %bb.158:
	s_or_b64 exec, exec, s[4:5]
.LBB166_159:
	s_or_b64 exec, exec, s[2:3]
.LBB166_160:
	s_andn2_saveexec_b64 s[2:3], s[14:15]
	s_cbranch_execz .LBB166_162
; %bb.161:
	v_add_f64 v[4:5], v[4:5], -v[4:5]
	v_div_scale_f64 v[10:11], vcc, v[4:5], v[4:5], v[4:5]
	v_rcp_f64_e32 v[12:13], v[10:11]
	s_nop 0
	v_fma_f64 v[24:25], -v[10:11], v[12:13], 1.0
	v_fmac_f64_e32 v[12:13], v[12:13], v[24:25]
	v_fma_f64 v[24:25], -v[10:11], v[12:13], 1.0
	v_fmac_f64_e32 v[12:13], v[12:13], v[24:25]
	v_mul_f64 v[24:25], v[10:11], v[12:13]
	v_fma_f64 v[10:11], -v[10:11], v[24:25], v[10:11]
	v_div_fmas_f64 v[10:11], v[10:11], v[12:13], v[24:25]
	v_div_fixup_f64 v[4:5], v[10:11], v[4:5], v[4:5]
	v_mov_b64_e32 v[24:25], v[2:3]
.LBB166_162:
	s_or_b64 exec, exec, s[2:3]
.LBB166_163:
	s_or_b64 exec, exec, s[12:13]
.LBB166_164:
	s_or_b64 exec, exec, s[10:11]
	v_xor_b32_e32 v2, 0x80000000, v25
	v_cmp_gt_f64_e32 vcc, 0, v[24:25]
	v_mov_b32_e32 v26, v24
                                        ; implicit-def: $vgpr10_vgpr11
	s_nop 0
	v_cndmask_b32_e32 v27, v25, v2, vcc
	v_xor_b32_e32 v2, 0x80000000, v5
	v_cmp_gt_f64_e32 vcc, 0, v[4:5]
	s_nop 1
	v_cndmask_b32_e32 v3, v5, v2, vcc
	v_mov_b32_e32 v2, v4
	v_cmp_ge_f64_e32 vcc, v[26:27], v[2:3]
	s_and_saveexec_b64 s[2:3], vcc
	s_xor_b64 s[4:5], exec, s[2:3]
	s_cbranch_execz .LBB166_170
; %bb.165:
	v_cmp_neq_f64_e32 vcc, 0, v[24:25]
	v_cmp_neq_f64_e64 s[2:3], 0, v[4:5]
	s_or_b64 s[2:3], vcc, s[2:3]
                                        ; implicit-def: $vgpr10_vgpr11
	s_and_saveexec_b64 s[10:11], s[2:3]
	s_xor_b64 s[2:3], exec, s[10:11]
	s_cbranch_execz .LBB166_167
; %bb.166:
	v_div_scale_f64 v[2:3], s[10:11], v[24:25], v[24:25], v[4:5]
	v_rcp_f64_e32 v[10:11], v[2:3]
	v_div_scale_f64 v[12:13], vcc, v[4:5], v[24:25], v[4:5]
	v_fma_f64 v[26:27], -v[2:3], v[10:11], 1.0
	v_fmac_f64_e32 v[10:11], v[10:11], v[26:27]
	v_fma_f64 v[26:27], -v[2:3], v[10:11], 1.0
	v_fmac_f64_e32 v[10:11], v[10:11], v[26:27]
	v_mul_f64 v[26:27], v[12:13], v[10:11]
	v_fma_f64 v[2:3], -v[2:3], v[26:27], v[12:13]
	v_div_fmas_f64 v[2:3], v[2:3], v[10:11], v[26:27]
	v_div_fixup_f64 v[2:3], v[2:3], v[24:25], v[4:5]
	v_fmac_f64_e32 v[24:25], v[4:5], v[2:3]
	v_div_scale_f64 v[4:5], s[10:11], v[24:25], v[24:25], 1.0
	v_rcp_f64_e32 v[10:11], v[4:5]
	s_nop 0
	v_fma_f64 v[12:13], -v[4:5], v[10:11], 1.0
	v_fmac_f64_e32 v[10:11], v[10:11], v[12:13]
	v_fma_f64 v[12:13], -v[4:5], v[10:11], 1.0
	v_fmac_f64_e32 v[10:11], v[10:11], v[12:13]
	v_div_scale_f64 v[12:13], vcc, 1.0, v[24:25], 1.0
	v_mul_f64 v[26:27], v[12:13], v[10:11]
	v_fma_f64 v[4:5], -v[4:5], v[26:27], v[12:13]
	s_nop 1
	v_div_fmas_f64 v[4:5], v[4:5], v[10:11], v[26:27]
	v_div_fixup_f64 v[4:5], v[4:5], v[24:25], 1.0
	v_fma_f64 v[10:11], v[2:3], 0, 1.0
	v_add_f64 v[2:3], -v[2:3], 0
	v_mul_f64 v[10:11], v[10:11], v[4:5]
	v_mul_f64 v[12:13], v[2:3], v[4:5]
                                        ; implicit-def: $vgpr26_vgpr27
                                        ; implicit-def: $vgpr2_vgpr3
.LBB166_167:
	s_andn2_saveexec_b64 s[2:3], s[2:3]
	s_cbranch_execz .LBB166_169
; %bb.168:
	v_div_scale_f64 v[4:5], s[10:11], v[26:27], v[26:27], 1.0
	v_rcp_f64_e32 v[10:11], v[4:5]
	v_div_scale_f64 v[12:13], vcc, 1.0, v[26:27], 1.0
	v_fma_f64 v[24:25], -v[4:5], v[10:11], 1.0
	v_fmac_f64_e32 v[10:11], v[10:11], v[24:25]
	v_fma_f64 v[24:25], -v[4:5], v[10:11], 1.0
	v_fmac_f64_e32 v[10:11], v[10:11], v[24:25]
	v_mul_f64 v[24:25], v[12:13], v[10:11]
	v_fma_f64 v[4:5], -v[4:5], v[24:25], v[12:13]
	v_div_scale_f64 v[12:13], s[10:11], v[2:3], v[2:3], 0
	v_rcp_f64_e32 v[28:29], v[12:13]
	v_div_fmas_f64 v[4:5], v[4:5], v[10:11], v[24:25]
	v_div_fixup_f64 v[10:11], v[4:5], v[26:27], 1.0
	v_fma_f64 v[4:5], -v[12:13], v[28:29], 1.0
	v_fmac_f64_e32 v[28:29], v[28:29], v[4:5]
	v_fma_f64 v[4:5], -v[12:13], v[28:29], 1.0
	v_fmac_f64_e32 v[28:29], v[28:29], v[4:5]
	v_div_scale_f64 v[4:5], vcc, 0, v[2:3], 0
	v_mul_f64 v[24:25], v[4:5], v[28:29]
	v_fma_f64 v[4:5], -v[12:13], v[24:25], v[4:5]
	s_nop 1
	v_div_fmas_f64 v[4:5], v[4:5], v[28:29], v[24:25]
	v_div_fixup_f64 v[12:13], v[4:5], v[2:3], 0
.LBB166_169:
	s_or_b64 exec, exec, s[2:3]
                                        ; implicit-def: $vgpr4_vgpr5
                                        ; implicit-def: $vgpr24_vgpr25
.LBB166_170:
	s_andn2_saveexec_b64 s[2:3], s[4:5]
	s_cbranch_execz .LBB166_172
; %bb.171:
	v_div_scale_f64 v[2:3], s[4:5], v[4:5], v[4:5], v[24:25]
	v_rcp_f64_e32 v[10:11], v[2:3]
	v_div_scale_f64 v[12:13], vcc, v[24:25], v[4:5], v[24:25]
	v_fma_f64 v[26:27], -v[2:3], v[10:11], 1.0
	v_fmac_f64_e32 v[10:11], v[10:11], v[26:27]
	v_fma_f64 v[26:27], -v[2:3], v[10:11], 1.0
	v_fmac_f64_e32 v[10:11], v[10:11], v[26:27]
	v_mul_f64 v[26:27], v[12:13], v[10:11]
	v_fma_f64 v[2:3], -v[2:3], v[26:27], v[12:13]
	v_div_fmas_f64 v[2:3], v[2:3], v[10:11], v[26:27]
	v_div_fixup_f64 v[2:3], v[2:3], v[4:5], v[24:25]
	v_fmac_f64_e32 v[4:5], v[24:25], v[2:3]
	v_div_scale_f64 v[10:11], s[4:5], v[4:5], v[4:5], 1.0
	v_rcp_f64_e32 v[12:13], v[10:11]
	s_nop 0
	v_fma_f64 v[24:25], -v[10:11], v[12:13], 1.0
	v_fmac_f64_e32 v[12:13], v[12:13], v[24:25]
	v_fma_f64 v[24:25], -v[10:11], v[12:13], 1.0
	v_fmac_f64_e32 v[12:13], v[12:13], v[24:25]
	v_div_scale_f64 v[24:25], vcc, 1.0, v[4:5], 1.0
	v_mul_f64 v[26:27], v[24:25], v[12:13]
	v_fma_f64 v[10:11], -v[10:11], v[26:27], v[24:25]
	s_nop 1
	v_div_fmas_f64 v[10:11], v[10:11], v[12:13], v[26:27]
	v_div_fixup_f64 v[4:5], v[10:11], v[4:5], 1.0
	v_add_f64 v[10:11], v[2:3], 0
	v_fma_f64 v[2:3], v[2:3], 0, -1.0
	v_mul_f64 v[10:11], v[10:11], v[4:5]
	v_mul_f64 v[12:13], v[2:3], v[4:5]
.LBB166_172:
	s_or_b64 exec, exec, s[2:3]
	s_or_b64 exec, exec, s[6:7]
	s_and_saveexec_b64 s[2:3], s[0:1]
	s_xor_b64 s[0:1], exec, s[2:3]
	s_cbranch_execnz .LBB166_142
.LBB166_173:
	s_or_b64 exec, exec, s[0:1]
	v_cmp_gt_i32_e32 vcc, s23, v0
	s_and_saveexec_b64 s[0:1], vcc
	s_cbranch_execz .LBB166_143
.LBB166_174:
	v_add_u32_e32 v2, 0x100, v0
	v_add_u32_e32 v0, s22, v0
	v_mov_b32_e32 v1, 0
	v_lshl_add_u64 v[0:1], v[0:1], 4, s[8:9]
	global_store_dwordx4 v[0:1], v[14:17], off
	v_mov_b32_e32 v0, v2
	s_or_b64 exec, exec, s[0:1]
	v_cmp_gt_i32_e32 vcc, s23, v0
	s_and_saveexec_b64 s[0:1], vcc
	s_cbranch_execnz .LBB166_144
.LBB166_175:
	s_or_b64 exec, exec, s[0:1]
	v_cmp_gt_i32_e32 vcc, s23, v0
	s_and_saveexec_b64 s[0:1], vcc
	s_cbranch_execz .LBB166_145
.LBB166_176:
	v_add_u32_e32 v0, s22, v0
	v_mov_b32_e32 v1, 0
	v_lshl_add_u64 v[0:1], v[0:1], 4, s[8:9]
	global_store_dwordx4 v[0:1], v[10:13], off
	s_endpgm
	.section	.rodata,"a",@progbits
	.p2align	6, 0x0
	.amdhsa_kernel _ZN2at6native27unrolled_elementwise_kernelIZZZNS0_17rsqrt_kernel_cudaERNS_18TensorIteratorBaseEENKUlvE_clEvENKUlvE_clEvEUlN3c107complexIdEEE_St5arrayIPcLm2EELi4E23TrivialOffsetCalculatorILi1EjESE_NS0_6memory15LoadWithoutCastENSF_16StoreWithoutCastEEEviT_T0_T2_T3_T4_T5_
		.amdhsa_group_segment_fixed_size 0
		.amdhsa_private_segment_fixed_size 0
		.amdhsa_kernarg_size 28
		.amdhsa_user_sgpr_count 2
		.amdhsa_user_sgpr_dispatch_ptr 0
		.amdhsa_user_sgpr_queue_ptr 0
		.amdhsa_user_sgpr_kernarg_segment_ptr 1
		.amdhsa_user_sgpr_dispatch_id 0
		.amdhsa_user_sgpr_kernarg_preload_length 0
		.amdhsa_user_sgpr_kernarg_preload_offset 0
		.amdhsa_user_sgpr_private_segment_size 0
		.amdhsa_uses_dynamic_stack 0
		.amdhsa_enable_private_segment 0
		.amdhsa_system_sgpr_workgroup_id_x 1
		.amdhsa_system_sgpr_workgroup_id_y 0
		.amdhsa_system_sgpr_workgroup_id_z 0
		.amdhsa_system_sgpr_workgroup_info 0
		.amdhsa_system_vgpr_workitem_id 0
		.amdhsa_next_free_vgpr 30
		.amdhsa_next_free_sgpr 26
		.amdhsa_accum_offset 32
		.amdhsa_reserve_vcc 1
		.amdhsa_float_round_mode_32 0
		.amdhsa_float_round_mode_16_64 0
		.amdhsa_float_denorm_mode_32 3
		.amdhsa_float_denorm_mode_16_64 3
		.amdhsa_dx10_clamp 1
		.amdhsa_ieee_mode 1
		.amdhsa_fp16_overflow 0
		.amdhsa_tg_split 0
		.amdhsa_exception_fp_ieee_invalid_op 0
		.amdhsa_exception_fp_denorm_src 0
		.amdhsa_exception_fp_ieee_div_zero 0
		.amdhsa_exception_fp_ieee_overflow 0
		.amdhsa_exception_fp_ieee_underflow 0
		.amdhsa_exception_fp_ieee_inexact 0
		.amdhsa_exception_int_div_zero 0
	.end_amdhsa_kernel
	.section	.text._ZN2at6native27unrolled_elementwise_kernelIZZZNS0_17rsqrt_kernel_cudaERNS_18TensorIteratorBaseEENKUlvE_clEvENKUlvE_clEvEUlN3c107complexIdEEE_St5arrayIPcLm2EELi4E23TrivialOffsetCalculatorILi1EjESE_NS0_6memory15LoadWithoutCastENSF_16StoreWithoutCastEEEviT_T0_T2_T3_T4_T5_,"axG",@progbits,_ZN2at6native27unrolled_elementwise_kernelIZZZNS0_17rsqrt_kernel_cudaERNS_18TensorIteratorBaseEENKUlvE_clEvENKUlvE_clEvEUlN3c107complexIdEEE_St5arrayIPcLm2EELi4E23TrivialOffsetCalculatorILi1EjESE_NS0_6memory15LoadWithoutCastENSF_16StoreWithoutCastEEEviT_T0_T2_T3_T4_T5_,comdat
.Lfunc_end166:
	.size	_ZN2at6native27unrolled_elementwise_kernelIZZZNS0_17rsqrt_kernel_cudaERNS_18TensorIteratorBaseEENKUlvE_clEvENKUlvE_clEvEUlN3c107complexIdEEE_St5arrayIPcLm2EELi4E23TrivialOffsetCalculatorILi1EjESE_NS0_6memory15LoadWithoutCastENSF_16StoreWithoutCastEEEviT_T0_T2_T3_T4_T5_, .Lfunc_end166-_ZN2at6native27unrolled_elementwise_kernelIZZZNS0_17rsqrt_kernel_cudaERNS_18TensorIteratorBaseEENKUlvE_clEvENKUlvE_clEvEUlN3c107complexIdEEE_St5arrayIPcLm2EELi4E23TrivialOffsetCalculatorILi1EjESE_NS0_6memory15LoadWithoutCastENSF_16StoreWithoutCastEEEviT_T0_T2_T3_T4_T5_
                                        ; -- End function
	.set _ZN2at6native27unrolled_elementwise_kernelIZZZNS0_17rsqrt_kernel_cudaERNS_18TensorIteratorBaseEENKUlvE_clEvENKUlvE_clEvEUlN3c107complexIdEEE_St5arrayIPcLm2EELi4E23TrivialOffsetCalculatorILi1EjESE_NS0_6memory15LoadWithoutCastENSF_16StoreWithoutCastEEEviT_T0_T2_T3_T4_T5_.num_vgpr, 30
	.set _ZN2at6native27unrolled_elementwise_kernelIZZZNS0_17rsqrt_kernel_cudaERNS_18TensorIteratorBaseEENKUlvE_clEvENKUlvE_clEvEUlN3c107complexIdEEE_St5arrayIPcLm2EELi4E23TrivialOffsetCalculatorILi1EjESE_NS0_6memory15LoadWithoutCastENSF_16StoreWithoutCastEEEviT_T0_T2_T3_T4_T5_.num_agpr, 0
	.set _ZN2at6native27unrolled_elementwise_kernelIZZZNS0_17rsqrt_kernel_cudaERNS_18TensorIteratorBaseEENKUlvE_clEvENKUlvE_clEvEUlN3c107complexIdEEE_St5arrayIPcLm2EELi4E23TrivialOffsetCalculatorILi1EjESE_NS0_6memory15LoadWithoutCastENSF_16StoreWithoutCastEEEviT_T0_T2_T3_T4_T5_.numbered_sgpr, 26
	.set _ZN2at6native27unrolled_elementwise_kernelIZZZNS0_17rsqrt_kernel_cudaERNS_18TensorIteratorBaseEENKUlvE_clEvENKUlvE_clEvEUlN3c107complexIdEEE_St5arrayIPcLm2EELi4E23TrivialOffsetCalculatorILi1EjESE_NS0_6memory15LoadWithoutCastENSF_16StoreWithoutCastEEEviT_T0_T2_T3_T4_T5_.num_named_barrier, 0
	.set _ZN2at6native27unrolled_elementwise_kernelIZZZNS0_17rsqrt_kernel_cudaERNS_18TensorIteratorBaseEENKUlvE_clEvENKUlvE_clEvEUlN3c107complexIdEEE_St5arrayIPcLm2EELi4E23TrivialOffsetCalculatorILi1EjESE_NS0_6memory15LoadWithoutCastENSF_16StoreWithoutCastEEEviT_T0_T2_T3_T4_T5_.private_seg_size, 0
	.set _ZN2at6native27unrolled_elementwise_kernelIZZZNS0_17rsqrt_kernel_cudaERNS_18TensorIteratorBaseEENKUlvE_clEvENKUlvE_clEvEUlN3c107complexIdEEE_St5arrayIPcLm2EELi4E23TrivialOffsetCalculatorILi1EjESE_NS0_6memory15LoadWithoutCastENSF_16StoreWithoutCastEEEviT_T0_T2_T3_T4_T5_.uses_vcc, 1
	.set _ZN2at6native27unrolled_elementwise_kernelIZZZNS0_17rsqrt_kernel_cudaERNS_18TensorIteratorBaseEENKUlvE_clEvENKUlvE_clEvEUlN3c107complexIdEEE_St5arrayIPcLm2EELi4E23TrivialOffsetCalculatorILi1EjESE_NS0_6memory15LoadWithoutCastENSF_16StoreWithoutCastEEEviT_T0_T2_T3_T4_T5_.uses_flat_scratch, 0
	.set _ZN2at6native27unrolled_elementwise_kernelIZZZNS0_17rsqrt_kernel_cudaERNS_18TensorIteratorBaseEENKUlvE_clEvENKUlvE_clEvEUlN3c107complexIdEEE_St5arrayIPcLm2EELi4E23TrivialOffsetCalculatorILi1EjESE_NS0_6memory15LoadWithoutCastENSF_16StoreWithoutCastEEEviT_T0_T2_T3_T4_T5_.has_dyn_sized_stack, 0
	.set _ZN2at6native27unrolled_elementwise_kernelIZZZNS0_17rsqrt_kernel_cudaERNS_18TensorIteratorBaseEENKUlvE_clEvENKUlvE_clEvEUlN3c107complexIdEEE_St5arrayIPcLm2EELi4E23TrivialOffsetCalculatorILi1EjESE_NS0_6memory15LoadWithoutCastENSF_16StoreWithoutCastEEEviT_T0_T2_T3_T4_T5_.has_recursion, 0
	.set _ZN2at6native27unrolled_elementwise_kernelIZZZNS0_17rsqrt_kernel_cudaERNS_18TensorIteratorBaseEENKUlvE_clEvENKUlvE_clEvEUlN3c107complexIdEEE_St5arrayIPcLm2EELi4E23TrivialOffsetCalculatorILi1EjESE_NS0_6memory15LoadWithoutCastENSF_16StoreWithoutCastEEEviT_T0_T2_T3_T4_T5_.has_indirect_call, 0
	.section	.AMDGPU.csdata,"",@progbits
; Kernel info:
; codeLenInByte = 8548
; TotalNumSgprs: 32
; NumVgprs: 30
; NumAgprs: 0
; TotalNumVgprs: 30
; ScratchSize: 0
; MemoryBound: 0
; FloatMode: 240
; IeeeMode: 1
; LDSByteSize: 0 bytes/workgroup (compile time only)
; SGPRBlocks: 3
; VGPRBlocks: 3
; NumSGPRsForWavesPerEU: 32
; NumVGPRsForWavesPerEU: 30
; AccumOffset: 32
; Occupancy: 8
; WaveLimiterHint : 0
; COMPUTE_PGM_RSRC2:SCRATCH_EN: 0
; COMPUTE_PGM_RSRC2:USER_SGPR: 2
; COMPUTE_PGM_RSRC2:TRAP_HANDLER: 0
; COMPUTE_PGM_RSRC2:TGID_X_EN: 1
; COMPUTE_PGM_RSRC2:TGID_Y_EN: 0
; COMPUTE_PGM_RSRC2:TGID_Z_EN: 0
; COMPUTE_PGM_RSRC2:TIDIG_COMP_CNT: 0
; COMPUTE_PGM_RSRC3_GFX90A:ACCUM_OFFSET: 7
; COMPUTE_PGM_RSRC3_GFX90A:TG_SPLIT: 0
	.section	.text._ZN2at6native32elementwise_kernel_manual_unrollILi128ELi4EZNS0_22gpu_kernel_impl_nocastIZZZNS0_17rsqrt_kernel_cudaERNS_18TensorIteratorBaseEENKUlvE_clEvENKUlvE_clEvEUlN3c107complexIdEEE_EEvS4_RKT_EUlibE_EEviT1_,"axG",@progbits,_ZN2at6native32elementwise_kernel_manual_unrollILi128ELi4EZNS0_22gpu_kernel_impl_nocastIZZZNS0_17rsqrt_kernel_cudaERNS_18TensorIteratorBaseEENKUlvE_clEvENKUlvE_clEvEUlN3c107complexIdEEE_EEvS4_RKT_EUlibE_EEviT1_,comdat
	.globl	_ZN2at6native32elementwise_kernel_manual_unrollILi128ELi4EZNS0_22gpu_kernel_impl_nocastIZZZNS0_17rsqrt_kernel_cudaERNS_18TensorIteratorBaseEENKUlvE_clEvENKUlvE_clEvEUlN3c107complexIdEEE_EEvS4_RKT_EUlibE_EEviT1_ ; -- Begin function _ZN2at6native32elementwise_kernel_manual_unrollILi128ELi4EZNS0_22gpu_kernel_impl_nocastIZZZNS0_17rsqrt_kernel_cudaERNS_18TensorIteratorBaseEENKUlvE_clEvENKUlvE_clEvEUlN3c107complexIdEEE_EEvS4_RKT_EUlibE_EEviT1_
	.p2align	8
	.type	_ZN2at6native32elementwise_kernel_manual_unrollILi128ELi4EZNS0_22gpu_kernel_impl_nocastIZZZNS0_17rsqrt_kernel_cudaERNS_18TensorIteratorBaseEENKUlvE_clEvENKUlvE_clEvEUlN3c107complexIdEEE_EEvS4_RKT_EUlibE_EEviT1_,@function
_ZN2at6native32elementwise_kernel_manual_unrollILi128ELi4EZNS0_22gpu_kernel_impl_nocastIZZZNS0_17rsqrt_kernel_cudaERNS_18TensorIteratorBaseEENKUlvE_clEvENKUlvE_clEvEUlN3c107complexIdEEE_EEvS4_RKT_EUlibE_EEviT1_: ; @_ZN2at6native32elementwise_kernel_manual_unrollILi128ELi4EZNS0_22gpu_kernel_impl_nocastIZZZNS0_17rsqrt_kernel_cudaERNS_18TensorIteratorBaseEENKUlvE_clEvENKUlvE_clEvEUlN3c107complexIdEEE_EEvS4_RKT_EUlibE_EEviT1_
; %bb.0:
	s_load_dword s55, s[0:1], 0x0
	s_load_dword s33, s[0:1], 0x8
	s_add_u32 s34, s0, 8
	s_addc_u32 s35, s1, 0
	v_lshl_or_b32 v20, s2, 9, v0
	v_or_b32_e32 v2, 0x180, v20
	s_waitcnt lgkmcnt(0)
	s_add_i32 s54, s33, -1
	s_cmp_gt_u32 s54, 1
	v_cmp_le_i32_e32 vcc, s55, v2
	s_cselect_b64 s[36:37], -1, 0
	s_mov_b64 s[24:25], 0
                                        ; implicit-def: $vgpr12_vgpr13
                                        ; implicit-def: $vgpr14_vgpr15
	s_and_saveexec_b64 s[0:1], vcc
	s_xor_b64 s[38:39], exec, s[0:1]
	s_cbranch_execz .LBB167_8
; %bb.1:
	s_load_dwordx4 s[24:27], s[34:35], 0x4
	s_load_dwordx2 s[40:41], s[34:35], 0x14
	s_load_dwordx4 s[20:23], s[34:35], 0xc4
	s_load_dwordx4 s[16:19], s[34:35], 0x148
	s_cmp_lg_u32 s33, 0
	s_cselect_b64 s[46:47], -1, 0
	s_add_u32 s44, s34, 0xc4
	s_addc_u32 s45, s35, 0
	s_min_u32 s56, s54, 15
	s_cmp_gt_u32 s33, 1
	s_cselect_b64 s[42:43], -1, 0
	v_cmp_gt_i32_e32 vcc, s55, v20
	s_and_saveexec_b64 s[48:49], vcc
	s_cbranch_execz .LBB167_15
; %bb.2:
	s_andn2_b64 vcc, exec, s[36:37]
	s_cbranch_vccnz .LBB167_23
; %bb.3:
	s_andn2_b64 vcc, exec, s[46:47]
	s_cbranch_vccnz .LBB167_86
; %bb.4:
	s_add_i32 s58, s56, 1
	s_cmp_eq_u32 s54, 2
	s_cbranch_scc1 .LBB167_88
; %bb.5:
	s_and_b32 s57, s58, 28
	s_mov_b32 s59, 0
	v_mov_b32_e32 v8, 0
	v_mov_b32_e32 v0, 0
	s_mov_b64 s[50:51], s[34:35]
	s_mov_b64 s[52:53], s[44:45]
	v_mov_b32_e32 v2, v20
.LBB167_6:                              ; =>This Inner Loop Header: Depth=1
	s_load_dwordx8 s[8:15], s[50:51], 0x4
	s_load_dwordx4 s[28:31], s[50:51], 0x24
	s_load_dwordx8 s[0:7], s[52:53], 0x0
	s_add_u32 s50, s50, 48
	s_addc_u32 s51, s51, 0
	s_waitcnt lgkmcnt(0)
	v_mul_hi_u32 v1, s9, v2
	v_add_u32_e32 v1, v2, v1
	v_lshrrev_b32_e32 v1, s10, v1
	v_mul_lo_u32 v3, v1, s8
	v_mul_hi_u32 v4, s12, v1
	v_sub_u32_e32 v2, v2, v3
	v_add_u32_e32 v3, v1, v4
	v_lshrrev_b32_e32 v3, s13, v3
	v_mul_lo_u32 v5, v3, s11
	v_mul_hi_u32 v6, s15, v3
	v_sub_u32_e32 v1, v1, v5
	v_add_u32_e32 v5, v3, v6
	v_mul_lo_u32 v4, v2, s1
	v_mul_lo_u32 v2, v2, s0
	;; [unrolled: 1-line block ×4, first 2 shown]
	v_lshrrev_b32_e32 v5, s28, v5
	v_add3_u32 v1, v2, v8, v1
	v_add3_u32 v0, v4, v0, v6
	v_mul_lo_u32 v2, v5, s14
	v_mul_hi_u32 v4, s30, v5
	v_sub_u32_e32 v2, v3, v2
	v_add_u32_e32 v3, v5, v4
	v_mul_lo_u32 v4, v2, s4
	v_mul_lo_u32 v6, v2, s5
	v_lshrrev_b32_e32 v2, s31, v3
	s_add_i32 s59, s59, 4
	v_mul_lo_u32 v3, v2, s29
	s_add_u32 s52, s52, 32
	v_sub_u32_e32 v3, v5, v3
	s_addc_u32 s53, s53, 0
	v_mul_lo_u32 v5, v3, s6
	v_mul_lo_u32 v3, v3, s7
	s_cmp_lg_u32 s57, s59
	v_add3_u32 v0, v6, v0, v3
	v_add3_u32 v8, v4, v1, v5
	s_cbranch_scc1 .LBB167_6
; %bb.7:
	v_mov_b32_e32 v1, v0
	s_branch .LBB167_89
.LBB167_8:
	s_andn2_saveexec_b64 s[26:27], s[38:39]
	s_cbranch_execz .LBB167_433
.LBB167_9:
	v_cndmask_b32_e64 v0, 0, 1, s[36:37]
	v_cmp_ne_u32_e64 s[0:1], 1, v0
	s_andn2_b64 vcc, exec, s[36:37]
	s_cbranch_vccnz .LBB167_22
; %bb.10:
	s_cmp_lg_u32 s33, 0
	s_mov_b32 s30, 0
	s_cbranch_scc0 .LBB167_25
; %bb.11:
	s_min_u32 s31, s54, 15
	s_add_i32 s31, s31, 1
	s_cmp_eq_u32 s54, 2
	s_cbranch_scc1 .LBB167_26
; %bb.12:
	s_and_b32 s30, s31, 28
	s_add_u32 s2, s34, 0xc4
	s_addc_u32 s3, s35, 0
	s_mov_b32 s36, 0
	v_mov_b32_e32 v16, 0
	v_mov_b32_e32 v0, 0
	s_mov_b64 s[28:29], s[34:35]
	v_mov_b32_e32 v3, v20
.LBB167_13:                             ; =>This Inner Loop Header: Depth=1
	s_load_dwordx8 s[12:19], s[28:29], 0x4
	s_load_dwordx4 s[20:23], s[28:29], 0x24
	s_load_dwordx8 s[4:11], s[2:3], 0x0
	s_add_u32 s28, s28, 48
	s_addc_u32 s29, s29, 0
	s_waitcnt lgkmcnt(0)
	v_mul_hi_u32 v1, s13, v3
	v_add_u32_e32 v1, v3, v1
	v_lshrrev_b32_e32 v1, s14, v1
	v_mul_lo_u32 v4, v1, s12
	v_mul_hi_u32 v5, s16, v1
	v_sub_u32_e32 v3, v3, v4
	v_add_u32_e32 v4, v1, v5
	v_lshrrev_b32_e32 v4, s17, v4
	v_mul_lo_u32 v6, v4, s15
	v_mul_hi_u32 v7, s19, v4
	v_sub_u32_e32 v1, v1, v6
	v_add_u32_e32 v6, v4, v7
	v_mul_lo_u32 v5, v3, s5
	v_mul_lo_u32 v3, v3, s4
	;; [unrolled: 1-line block ×4, first 2 shown]
	v_lshrrev_b32_e32 v6, s20, v6
	v_add3_u32 v1, v3, v16, v1
	v_add3_u32 v0, v5, v0, v7
	v_mul_lo_u32 v3, v6, s18
	v_mul_hi_u32 v5, s22, v6
	v_sub_u32_e32 v3, v4, v3
	v_add_u32_e32 v4, v6, v5
	v_mul_lo_u32 v5, v3, s8
	v_mul_lo_u32 v7, v3, s9
	v_lshrrev_b32_e32 v3, s23, v4
	s_add_i32 s36, s36, 4
	v_mul_lo_u32 v4, v3, s21
	s_add_u32 s2, s2, 32
	v_sub_u32_e32 v4, v6, v4
	s_addc_u32 s3, s3, 0
	v_mul_lo_u32 v6, v4, s10
	v_mul_lo_u32 v4, v4, s11
	s_cmp_lg_u32 s30, s36
	v_add3_u32 v0, v7, v0, v4
	v_add3_u32 v16, v5, v1, v6
	s_cbranch_scc1 .LBB167_13
; %bb.14:
	v_mov_b32_e32 v1, v0
	s_and_b32 s6, s31, 3
	s_cmp_eq_u32 s6, 0
	s_cbranch_scc0 .LBB167_27
	s_branch .LBB167_29
.LBB167_15:
	s_or_b64 exec, exec, s[48:49]
	v_cmp_gt_i32_e32 vcc, s55, v20
	s_and_saveexec_b64 s[48:49], vcc
	s_cbranch_execz .LBB167_299
.LBB167_16:
	s_andn2_b64 vcc, exec, s[36:37]
	s_cbranch_vccnz .LBB167_24
; %bb.17:
	s_andn2_b64 vcc, exec, s[46:47]
	s_cbranch_vccnz .LBB167_87
; %bb.18:
	s_add_i32 s58, s56, 1
	s_cmp_eq_u32 s54, 2
	s_cbranch_scc1 .LBB167_107
; %bb.19:
	s_and_b32 s57, s58, 28
	s_mov_b32 s59, 0
	v_mov_b32_e32 v8, 0
	v_mov_b32_e32 v0, 0
	s_mov_b64 s[50:51], s[34:35]
	s_mov_b64 s[52:53], s[44:45]
	v_mov_b32_e32 v2, v20
.LBB167_20:                             ; =>This Inner Loop Header: Depth=1
	s_load_dwordx8 s[8:15], s[50:51], 0x4
	s_load_dwordx4 s[28:31], s[50:51], 0x24
	s_load_dwordx8 s[0:7], s[52:53], 0x0
	s_add_u32 s50, s50, 48
	s_addc_u32 s51, s51, 0
	s_waitcnt lgkmcnt(0)
	v_mul_hi_u32 v1, s9, v2
	v_add_u32_e32 v1, v2, v1
	v_lshrrev_b32_e32 v1, s10, v1
	v_mul_lo_u32 v3, v1, s8
	v_mul_hi_u32 v4, s12, v1
	v_sub_u32_e32 v2, v2, v3
	v_add_u32_e32 v3, v1, v4
	v_lshrrev_b32_e32 v3, s13, v3
	v_mul_lo_u32 v5, v3, s11
	v_mul_hi_u32 v6, s15, v3
	v_sub_u32_e32 v1, v1, v5
	v_add_u32_e32 v5, v3, v6
	v_mul_lo_u32 v4, v2, s1
	v_mul_lo_u32 v2, v2, s0
	;; [unrolled: 1-line block ×4, first 2 shown]
	v_lshrrev_b32_e32 v5, s28, v5
	v_add3_u32 v1, v2, v8, v1
	v_add3_u32 v0, v4, v0, v6
	v_mul_lo_u32 v2, v5, s14
	v_mul_hi_u32 v4, s30, v5
	v_sub_u32_e32 v2, v3, v2
	v_add_u32_e32 v3, v5, v4
	v_mul_lo_u32 v4, v2, s4
	v_mul_lo_u32 v6, v2, s5
	v_lshrrev_b32_e32 v2, s31, v3
	s_add_i32 s59, s59, 4
	v_mul_lo_u32 v3, v2, s29
	s_add_u32 s52, s52, 32
	v_sub_u32_e32 v3, v5, v3
	s_addc_u32 s53, s53, 0
	v_mul_lo_u32 v5, v3, s6
	v_mul_lo_u32 v3, v3, s7
	s_cmp_eq_u32 s57, s59
	v_add3_u32 v0, v6, v0, v3
	v_add3_u32 v8, v4, v1, v5
	s_cbranch_scc0 .LBB167_20
; %bb.21:
	v_mov_b32_e32 v1, v0
	s_branch .LBB167_108
.LBB167_22:
                                        ; implicit-def: $vgpr0
                                        ; implicit-def: $vgpr16
	s_branch .LBB167_30
.LBB167_23:
                                        ; implicit-def: $vgpr0
                                        ; implicit-def: $vgpr8
	s_branch .LBB167_93
.LBB167_24:
                                        ; implicit-def: $vgpr0
                                        ; implicit-def: $vgpr8
	s_branch .LBB167_112
.LBB167_25:
	v_mov_b32_e32 v0, 0
	v_mov_b32_e32 v16, 0
	s_branch .LBB167_29
.LBB167_26:
	v_mov_b32_e32 v16, 0
                                        ; implicit-def: $vgpr0
	v_mov_b32_e32 v1, v16
	v_mov_b32_e32 v3, v20
	s_and_b32 s6, s31, 3
	s_cmp_eq_u32 s6, 0
	s_cbranch_scc1 .LBB167_29
.LBB167_27:
	s_lshl_b32 s2, s30, 3
	s_add_u32 s2, s34, s2
	s_addc_u32 s3, s35, 0
	s_add_u32 s2, s2, 0xc4
	s_addc_u32 s3, s3, 0
	s_mul_i32 s4, s30, 12
	s_add_u32 s4, s34, s4
	s_addc_u32 s5, s35, 0
.LBB167_28:                             ; =>This Inner Loop Header: Depth=1
	s_load_dwordx2 s[8:9], s[4:5], 0x4
	s_load_dword s7, s[4:5], 0xc
	s_load_dwordx2 s[10:11], s[2:3], 0x0
	v_mov_b32_e32 v0, v1
	s_add_u32 s4, s4, 12
	s_waitcnt lgkmcnt(0)
	v_mul_hi_u32 v1, s9, v3
	v_add_u32_e32 v1, v3, v1
	v_lshrrev_b32_e32 v1, s7, v1
	s_addc_u32 s5, s5, 0
	v_mul_lo_u32 v4, v1, s8
	s_add_u32 s2, s2, 8
	v_sub_u32_e32 v4, v3, v4
	s_addc_u32 s3, s3, 0
	s_add_i32 s6, s6, -1
	v_mov_b32_e32 v3, v1
	v_mad_u64_u32 v[0:1], s[8:9], v4, s11, v[0:1]
	s_cmp_lg_u32 s6, 0
	v_mad_u64_u32 v[16:17], s[8:9], v4, s10, v[16:17]
	v_mov_b32_e32 v1, v0
	s_cbranch_scc1 .LBB167_28
.LBB167_29:
	s_cbranch_execnz .LBB167_32
.LBB167_30:
	s_load_dwordx4 s[4:7], s[34:35], 0x4
	s_load_dwordx2 s[2:3], s[34:35], 0xc4
	s_cmp_lt_u32 s33, 2
	s_waitcnt lgkmcnt(0)
	v_mul_hi_u32 v0, s5, v20
	v_add_u32_e32 v0, v20, v0
	v_lshrrev_b32_e32 v1, s6, v0
	v_mul_lo_u32 v0, v1, s4
	v_sub_u32_e32 v3, v20, v0
	v_mul_lo_u32 v0, v3, s3
	v_mul_lo_u32 v16, v3, s2
	s_cbranch_scc1 .LBB167_32
; %bb.31:
	s_load_dwordx4 s[4:7], s[34:35], 0x10
	s_load_dwordx2 s[2:3], s[34:35], 0xcc
	s_waitcnt lgkmcnt(0)
	v_mul_hi_u32 v3, s5, v1
	v_add_u32_e32 v3, v1, v3
	v_lshrrev_b32_e32 v3, s6, v3
	v_mul_lo_u32 v3, v3, s4
	v_sub_u32_e32 v1, v1, v3
	v_mad_u64_u32 v[16:17], s[4:5], v1, s2, v[16:17]
	v_mad_u64_u32 v[0:1], s[2:3], v1, s3, v[0:1]
.LBB167_32:
	s_and_b64 vcc, exec, s[0:1]
	v_add_u32_e32 v3, 0x80, v20
	s_cbranch_vccnz .LBB167_38
; %bb.33:
	s_cmp_lg_u32 s33, 0
	s_mov_b32 s30, 0
	s_cbranch_scc0 .LBB167_39
; %bb.34:
	s_min_u32 s31, s54, 15
	s_add_i32 s31, s31, 1
	s_cmp_eq_u32 s54, 2
	s_cbranch_scc1 .LBB167_40
; %bb.35:
	s_and_b32 s30, s31, 28
	s_add_u32 s2, s34, 0xc4
	s_addc_u32 s3, s35, 0
	s_mov_b32 s36, 0
	v_mov_b32_e32 v18, 0
	v_mov_b32_e32 v6, 0
	s_mov_b64 s[28:29], s[34:35]
	v_mov_b32_e32 v4, v3
.LBB167_36:                             ; =>This Inner Loop Header: Depth=1
	s_load_dwordx8 s[12:19], s[28:29], 0x4
	s_load_dwordx4 s[20:23], s[28:29], 0x24
	s_load_dwordx8 s[4:11], s[2:3], 0x0
	s_add_u32 s28, s28, 48
	s_addc_u32 s29, s29, 0
	s_waitcnt lgkmcnt(0)
	v_mul_hi_u32 v1, s13, v4
	v_add_u32_e32 v1, v4, v1
	v_lshrrev_b32_e32 v1, s14, v1
	v_mul_lo_u32 v5, v1, s12
	v_mul_hi_u32 v7, s16, v1
	v_sub_u32_e32 v4, v4, v5
	v_add_u32_e32 v5, v1, v7
	v_lshrrev_b32_e32 v5, s17, v5
	v_mul_lo_u32 v8, v5, s15
	v_mul_hi_u32 v9, s19, v5
	v_sub_u32_e32 v1, v1, v8
	v_add_u32_e32 v8, v5, v9
	v_mul_lo_u32 v7, v4, s5
	v_mul_lo_u32 v4, v4, s4
	;; [unrolled: 1-line block ×4, first 2 shown]
	v_lshrrev_b32_e32 v8, s20, v8
	v_add3_u32 v1, v4, v18, v1
	v_add3_u32 v6, v7, v6, v9
	v_mul_lo_u32 v4, v8, s18
	v_mul_hi_u32 v7, s22, v8
	v_sub_u32_e32 v4, v5, v4
	v_add_u32_e32 v5, v8, v7
	v_mul_lo_u32 v7, v4, s8
	v_mul_lo_u32 v9, v4, s9
	v_lshrrev_b32_e32 v4, s23, v5
	s_add_i32 s36, s36, 4
	v_mul_lo_u32 v5, v4, s21
	s_add_u32 s2, s2, 32
	v_sub_u32_e32 v5, v8, v5
	s_addc_u32 s3, s3, 0
	v_mul_lo_u32 v8, v5, s10
	v_mul_lo_u32 v5, v5, s11
	s_cmp_lg_u32 s30, s36
	v_add3_u32 v6, v9, v6, v5
	v_add3_u32 v18, v7, v1, v8
	s_cbranch_scc1 .LBB167_36
; %bb.37:
	v_mov_b32_e32 v1, v6
	s_and_b32 s6, s31, 3
	s_cmp_eq_u32 s6, 0
	s_cbranch_scc0 .LBB167_41
	s_branch .LBB167_43
.LBB167_38:
                                        ; implicit-def: $vgpr6
                                        ; implicit-def: $vgpr18
	s_branch .LBB167_44
.LBB167_39:
	v_mov_b32_e32 v6, 0
	v_mov_b32_e32 v18, 0
	s_branch .LBB167_43
.LBB167_40:
	v_mov_b32_e32 v18, 0
                                        ; implicit-def: $vgpr6
	v_mov_b32_e32 v1, v18
	v_mov_b32_e32 v4, v3
	s_and_b32 s6, s31, 3
	s_cmp_eq_u32 s6, 0
	s_cbranch_scc1 .LBB167_43
.LBB167_41:
	s_lshl_b32 s2, s30, 3
	s_add_u32 s2, s34, s2
	s_addc_u32 s3, s35, 0
	s_add_u32 s2, s2, 0xc4
	s_addc_u32 s3, s3, 0
	s_mul_i32 s4, s30, 12
	s_add_u32 s4, s34, s4
	s_addc_u32 s5, s35, 0
.LBB167_42:                             ; =>This Inner Loop Header: Depth=1
	s_load_dwordx2 s[8:9], s[4:5], 0x4
	s_load_dword s7, s[4:5], 0xc
	s_load_dwordx2 s[10:11], s[2:3], 0x0
	v_mov_b32_e32 v6, v1
	s_add_u32 s4, s4, 12
	s_waitcnt lgkmcnt(0)
	v_mul_hi_u32 v1, s9, v4
	v_add_u32_e32 v1, v4, v1
	v_lshrrev_b32_e32 v1, s7, v1
	s_addc_u32 s5, s5, 0
	v_mul_lo_u32 v5, v1, s8
	s_add_u32 s2, s2, 8
	v_sub_u32_e32 v5, v4, v5
	s_addc_u32 s3, s3, 0
	s_add_i32 s6, s6, -1
	v_mad_u64_u32 v[6:7], s[8:9], v5, s11, v[6:7]
	s_cmp_lg_u32 s6, 0
	v_mov_b32_e32 v4, v1
	v_mad_u64_u32 v[18:19], s[8:9], v5, s10, v[18:19]
	v_mov_b32_e32 v1, v6
	s_cbranch_scc1 .LBB167_42
.LBB167_43:
	s_cbranch_execnz .LBB167_46
.LBB167_44:
	s_load_dwordx4 s[4:7], s[34:35], 0x4
	s_load_dwordx2 s[2:3], s[34:35], 0xc4
	s_cmp_lt_u32 s33, 2
	s_waitcnt lgkmcnt(0)
	v_mul_hi_u32 v1, s5, v3
	v_add_u32_e32 v1, v3, v1
	v_lshrrev_b32_e32 v1, s6, v1
	v_mul_lo_u32 v4, v1, s4
	v_sub_u32_e32 v3, v3, v4
	v_mul_lo_u32 v6, v3, s3
	v_mul_lo_u32 v18, v3, s2
	s_cbranch_scc1 .LBB167_46
; %bb.45:
	s_load_dwordx4 s[4:7], s[34:35], 0x10
	s_load_dwordx2 s[2:3], s[34:35], 0xcc
	s_waitcnt lgkmcnt(0)
	v_mul_hi_u32 v3, s5, v1
	v_add_u32_e32 v3, v1, v3
	v_lshrrev_b32_e32 v3, s6, v3
	v_mul_lo_u32 v3, v3, s4
	v_sub_u32_e32 v1, v1, v3
	v_mad_u64_u32 v[18:19], s[4:5], v1, s2, v[18:19]
	v_mad_u64_u32 v[6:7], s[2:3], v1, s3, v[6:7]
.LBB167_46:
	s_and_b64 vcc, exec, s[0:1]
	v_add_u32_e32 v3, 0x100, v20
	s_cbranch_vccnz .LBB167_52
; %bb.47:
	s_cmp_lg_u32 s33, 0
	s_mov_b32 s30, 0
	s_cbranch_scc0 .LBB167_53
; %bb.48:
	s_min_u32 s31, s54, 15
	s_add_i32 s31, s31, 1
	s_cmp_eq_u32 s54, 2
	s_cbranch_scc1 .LBB167_54
; %bb.49:
	s_and_b32 s30, s31, 28
	s_add_u32 s2, s34, 0xc4
	s_addc_u32 s3, s35, 0
	s_mov_b32 s36, 0
	v_mov_b32_e32 v20, 0
	v_mov_b32_e32 v10, 0
	s_mov_b64 s[28:29], s[34:35]
	v_mov_b32_e32 v4, v3
.LBB167_50:                             ; =>This Inner Loop Header: Depth=1
	s_load_dwordx8 s[12:19], s[28:29], 0x4
	s_load_dwordx4 s[20:23], s[28:29], 0x24
	s_load_dwordx8 s[4:11], s[2:3], 0x0
	s_add_u32 s28, s28, 48
	s_addc_u32 s29, s29, 0
	s_waitcnt lgkmcnt(0)
	v_mul_hi_u32 v1, s13, v4
	v_add_u32_e32 v1, v4, v1
	v_lshrrev_b32_e32 v1, s14, v1
	v_mul_lo_u32 v5, v1, s12
	v_mul_hi_u32 v7, s16, v1
	v_sub_u32_e32 v4, v4, v5
	v_add_u32_e32 v5, v1, v7
	v_lshrrev_b32_e32 v5, s17, v5
	v_mul_lo_u32 v8, v5, s15
	v_mul_hi_u32 v9, s19, v5
	v_sub_u32_e32 v1, v1, v8
	v_add_u32_e32 v8, v5, v9
	v_mul_lo_u32 v7, v4, s5
	v_mul_lo_u32 v4, v4, s4
	;; [unrolled: 1-line block ×4, first 2 shown]
	v_lshrrev_b32_e32 v8, s20, v8
	v_add3_u32 v1, v4, v20, v1
	v_add3_u32 v7, v7, v10, v9
	v_mul_lo_u32 v4, v8, s18
	v_mul_hi_u32 v9, s22, v8
	v_sub_u32_e32 v4, v5, v4
	v_add_u32_e32 v5, v8, v9
	v_mul_lo_u32 v9, v4, s8
	v_mul_lo_u32 v10, v4, s9
	v_lshrrev_b32_e32 v4, s23, v5
	s_add_i32 s36, s36, 4
	v_mul_lo_u32 v5, v4, s21
	s_add_u32 s2, s2, 32
	v_sub_u32_e32 v5, v8, v5
	s_addc_u32 s3, s3, 0
	v_mul_lo_u32 v8, v5, s10
	v_mul_lo_u32 v5, v5, s11
	s_cmp_lg_u32 s30, s36
	v_add3_u32 v10, v10, v7, v5
	v_add3_u32 v20, v9, v1, v8
	s_cbranch_scc1 .LBB167_50
; %bb.51:
	v_mov_b32_e32 v1, v10
	s_and_b32 s6, s31, 3
	s_cmp_eq_u32 s6, 0
	s_cbranch_scc0 .LBB167_55
	s_branch .LBB167_57
.LBB167_52:
                                        ; implicit-def: $vgpr10
                                        ; implicit-def: $vgpr20
	s_branch .LBB167_58
.LBB167_53:
	v_mov_b32_e32 v10, 0
	v_mov_b32_e32 v20, 0
	s_branch .LBB167_57
.LBB167_54:
	v_mov_b32_e32 v20, 0
                                        ; implicit-def: $vgpr10
	v_mov_b32_e32 v1, v20
	v_mov_b32_e32 v4, v3
	s_and_b32 s6, s31, 3
	s_cmp_eq_u32 s6, 0
	s_cbranch_scc1 .LBB167_57
.LBB167_55:
	s_lshl_b32 s2, s30, 3
	s_add_u32 s2, s34, s2
	s_addc_u32 s3, s35, 0
	s_add_u32 s2, s2, 0xc4
	s_addc_u32 s3, s3, 0
	s_mul_i32 s4, s30, 12
	s_add_u32 s4, s34, s4
	s_addc_u32 s5, s35, 0
.LBB167_56:                             ; =>This Inner Loop Header: Depth=1
	s_load_dwordx2 s[8:9], s[4:5], 0x4
	s_load_dword s7, s[4:5], 0xc
	s_load_dwordx2 s[10:11], s[2:3], 0x0
	v_mov_b32_e32 v8, v1
	s_add_u32 s4, s4, 12
	s_waitcnt lgkmcnt(0)
	v_mul_hi_u32 v1, s9, v4
	v_add_u32_e32 v1, v4, v1
	v_lshrrev_b32_e32 v1, s7, v1
	s_addc_u32 s5, s5, 0
	v_mul_lo_u32 v5, v1, s8
	s_add_u32 s2, s2, 8
	v_sub_u32_e32 v5, v4, v5
	s_addc_u32 s3, s3, 0
	s_add_i32 s6, s6, -1
	v_mad_u64_u32 v[10:11], s[8:9], v5, s11, v[8:9]
	s_cmp_lg_u32 s6, 0
	v_mov_b32_e32 v4, v1
	v_mad_u64_u32 v[20:21], s[8:9], v5, s10, v[20:21]
	v_mov_b32_e32 v1, v10
	s_cbranch_scc1 .LBB167_56
.LBB167_57:
	s_cbranch_execnz .LBB167_60
.LBB167_58:
	s_load_dwordx4 s[4:7], s[34:35], 0x4
	s_load_dwordx2 s[2:3], s[34:35], 0xc4
	s_cmp_lt_u32 s33, 2
	s_waitcnt lgkmcnt(0)
	v_mul_hi_u32 v1, s5, v3
	v_add_u32_e32 v1, v3, v1
	v_lshrrev_b32_e32 v1, s6, v1
	v_mul_lo_u32 v4, v1, s4
	v_sub_u32_e32 v3, v3, v4
	v_mul_lo_u32 v10, v3, s3
	v_mul_lo_u32 v20, v3, s2
	s_cbranch_scc1 .LBB167_60
; %bb.59:
	s_load_dwordx4 s[4:7], s[34:35], 0x10
	s_load_dwordx2 s[2:3], s[34:35], 0xcc
	s_waitcnt lgkmcnt(0)
	v_mul_hi_u32 v3, s5, v1
	v_add_u32_e32 v3, v1, v3
	v_lshrrev_b32_e32 v3, s6, v3
	v_mul_lo_u32 v3, v3, s4
	v_sub_u32_e32 v1, v1, v3
	v_mad_u64_u32 v[20:21], s[4:5], v1, s2, v[20:21]
	v_mad_u64_u32 v[10:11], s[2:3], v1, s3, v[10:11]
.LBB167_60:
	s_and_b64 vcc, exec, s[0:1]
	s_cbranch_vccnz .LBB167_66
; %bb.61:
	s_cmp_lg_u32 s33, 0
	s_mov_b32 s28, 0
	s_cbranch_scc0 .LBB167_67
; %bb.62:
	s_min_u32 s29, s54, 15
	s_add_i32 s29, s29, 1
	s_cmp_eq_u32 s54, 2
	s_cbranch_scc1 .LBB167_68
; %bb.63:
	s_and_b32 s28, s29, 28
	s_add_u32 s20, s34, 0xc4
	s_addc_u32 s21, s35, 0
	s_mov_b32 s30, 0
	v_mov_b32_e32 v22, 0
	v_mov_b32_e32 v14, 0
	s_mov_b64 s[22:23], s[34:35]
	v_mov_b32_e32 v3, v2
.LBB167_64:                             ; =>This Inner Loop Header: Depth=1
	s_load_dwordx8 s[8:15], s[22:23], 0x4
	s_load_dwordx4 s[16:19], s[22:23], 0x24
	s_load_dwordx8 s[0:7], s[20:21], 0x0
	s_add_u32 s22, s22, 48
	s_addc_u32 s23, s23, 0
	s_waitcnt lgkmcnt(0)
	v_mul_hi_u32 v1, s9, v3
	v_add_u32_e32 v1, v3, v1
	v_lshrrev_b32_e32 v1, s10, v1
	v_mul_lo_u32 v4, v1, s8
	v_mul_hi_u32 v5, s12, v1
	v_sub_u32_e32 v3, v3, v4
	v_add_u32_e32 v4, v1, v5
	v_lshrrev_b32_e32 v4, s13, v4
	v_mul_lo_u32 v7, v4, s11
	v_mul_hi_u32 v8, s15, v4
	v_sub_u32_e32 v1, v1, v7
	v_add_u32_e32 v7, v4, v8
	v_mul_lo_u32 v5, v3, s1
	v_mul_lo_u32 v3, v3, s0
	v_mul_lo_u32 v8, v1, s3
	v_mul_lo_u32 v1, v1, s2
	v_lshrrev_b32_e32 v7, s16, v7
	v_add3_u32 v1, v3, v22, v1
	v_add3_u32 v5, v5, v14, v8
	v_mul_lo_u32 v3, v7, s14
	v_mul_hi_u32 v8, s18, v7
	v_sub_u32_e32 v3, v4, v3
	v_add_u32_e32 v4, v7, v8
	v_mul_lo_u32 v8, v3, s4
	v_mul_lo_u32 v9, v3, s5
	v_lshrrev_b32_e32 v3, s19, v4
	s_add_i32 s30, s30, 4
	v_mul_lo_u32 v4, v3, s17
	s_add_u32 s20, s20, 32
	v_sub_u32_e32 v4, v7, v4
	s_addc_u32 s21, s21, 0
	v_mul_lo_u32 v7, v4, s6
	v_mul_lo_u32 v4, v4, s7
	s_cmp_lg_u32 s28, s30
	v_add3_u32 v14, v9, v5, v4
	v_add3_u32 v22, v8, v1, v7
	s_cbranch_scc1 .LBB167_64
; %bb.65:
	v_mov_b32_e32 v1, v14
	s_and_b32 s4, s29, 3
	s_cmp_eq_u32 s4, 0
	s_cbranch_scc0 .LBB167_69
	s_branch .LBB167_71
.LBB167_66:
                                        ; implicit-def: $vgpr14
                                        ; implicit-def: $vgpr22
	s_branch .LBB167_72
.LBB167_67:
	v_mov_b32_e32 v14, 0
	v_mov_b32_e32 v22, 0
	s_branch .LBB167_71
.LBB167_68:
	v_mov_b32_e32 v22, 0
                                        ; implicit-def: $vgpr14
	v_mov_b32_e32 v1, v22
	v_mov_b32_e32 v3, v2
	s_and_b32 s4, s29, 3
	s_cmp_eq_u32 s4, 0
	s_cbranch_scc1 .LBB167_71
.LBB167_69:
	s_lshl_b32 s0, s28, 3
	s_add_u32 s0, s34, s0
	s_addc_u32 s1, s35, 0
	s_add_u32 s0, s0, 0xc4
	s_addc_u32 s1, s1, 0
	s_mul_i32 s2, s28, 12
	s_add_u32 s2, s34, s2
	s_addc_u32 s3, s35, 0
.LBB167_70:                             ; =>This Inner Loop Header: Depth=1
	s_load_dwordx2 s[6:7], s[2:3], 0x4
	s_load_dword s5, s[2:3], 0xc
	s_load_dwordx2 s[8:9], s[0:1], 0x0
	v_mov_b32_e32 v4, v1
	s_add_u32 s2, s2, 12
	s_waitcnt lgkmcnt(0)
	v_mul_hi_u32 v1, s7, v3
	v_add_u32_e32 v1, v3, v1
	v_lshrrev_b32_e32 v1, s5, v1
	s_addc_u32 s3, s3, 0
	v_mul_lo_u32 v5, v1, s6
	s_add_u32 s0, s0, 8
	v_sub_u32_e32 v5, v3, v5
	s_addc_u32 s1, s1, 0
	s_add_i32 s4, s4, -1
	v_mad_u64_u32 v[14:15], s[6:7], v5, s9, v[4:5]
	s_cmp_lg_u32 s4, 0
	v_mov_b32_e32 v3, v1
	v_mad_u64_u32 v[22:23], s[6:7], v5, s8, v[22:23]
	v_mov_b32_e32 v1, v14
	s_cbranch_scc1 .LBB167_70
.LBB167_71:
	s_cbranch_execnz .LBB167_74
.LBB167_72:
	s_load_dwordx4 s[0:3], s[34:35], 0x4
	s_load_dwordx2 s[4:5], s[34:35], 0xc4
	s_cmp_lt_u32 s33, 2
	s_waitcnt lgkmcnt(0)
	v_mul_hi_u32 v1, s1, v2
	v_add_u32_e32 v1, v2, v1
	v_lshrrev_b32_e32 v1, s2, v1
	v_mul_lo_u32 v3, v1, s0
	v_sub_u32_e32 v2, v2, v3
	v_mul_lo_u32 v14, v2, s5
	v_mul_lo_u32 v22, v2, s4
	s_cbranch_scc1 .LBB167_74
; %bb.73:
	s_load_dwordx4 s[0:3], s[34:35], 0x10
	s_load_dwordx2 s[4:5], s[34:35], 0xcc
	s_waitcnt lgkmcnt(0)
	v_mul_hi_u32 v2, s1, v1
	v_add_u32_e32 v2, v1, v2
	v_lshrrev_b32_e32 v2, s2, v2
	v_mul_lo_u32 v2, v2, s0
	v_sub_u32_e32 v1, v1, v2
	v_mad_u64_u32 v[22:23], s[0:1], v1, s4, v[22:23]
	v_mad_u64_u32 v[14:15], s[0:1], v1, s5, v[14:15]
.LBB167_74:
	s_load_dwordx4 s[4:7], s[34:35], 0x148
	v_mov_b64_e32 v[8:9], 0
	s_waitcnt lgkmcnt(0)
	global_load_dwordx4 v[2:5], v0, s[6:7]
	s_waitcnt vmcnt(0)
	v_cmp_neq_f64_e32 vcc, 0, v[2:3]
	v_cmp_neq_f64_e64 s[0:1], 0, v[4:5]
	s_or_b64 s[0:1], vcc, s[0:1]
	s_and_saveexec_b64 s[8:9], s[0:1]
	s_cbranch_execz .LBB167_144
; %bb.75:
	v_mov_b32_e32 v8, 0
	v_mov_b32_e32 v9, 0x7ff00000
	v_cmp_neq_f64_e64 s[0:1], |v[4:5]|, v[8:9]
	s_and_saveexec_b64 s[10:11], s[0:1]
	s_cbranch_execz .LBB167_143
; %bb.76:
	v_cmp_o_f64_e32 vcc, v[2:3], v[2:3]
                                        ; implicit-def: $vgpr8_vgpr9
	s_and_saveexec_b64 s[0:1], vcc
	s_xor_b64 s[12:13], exec, s[0:1]
	s_cbranch_execz .LBB167_140
; %bb.77:
	s_mov_b32 s0, 0
	s_mov_b32 s1, 0x7ff00000
	v_cmp_neq_f64_e64 s[0:1], |v[2:3]|, s[0:1]
                                        ; implicit-def: $vgpr8_vgpr9
	s_and_saveexec_b64 s[2:3], s[0:1]
	s_xor_b64 s[14:15], exec, s[2:3]
	s_cbranch_execz .LBB167_133
; %bb.78:
	v_max_f64 v[0:1], |v[4:5]|, |v[4:5]|
	v_max_f64 v[8:9], |v[2:3]|, |v[2:3]|
	s_mov_b32 s0, 0x99fcef32
	v_max_f64 v[0:1], v[8:9], v[0:1]
	s_mov_b32 s1, 0x7fda8279
	v_cmp_nle_f64_e64 s[0:1], s[0:1], v[0:1]
                                        ; implicit-def: $sgpr16_sgpr17
	s_and_saveexec_b64 s[2:3], s[0:1]
	s_xor_b64 s[2:3], exec, s[2:3]
	s_cbranch_execz .LBB167_82
; %bb.79:
	s_mov_b32 s16, 0
	s_mov_b32 s17, 0x200000
	v_cmp_le_f64_e64 s[18:19], |v[2:3]|, s[16:17]
	v_cmp_le_f64_e64 s[16:17], |v[4:5]|, s[16:17]
	s_and_b64 s[20:21], s[18:19], s[16:17]
	s_mov_b64 s[16:17], 0
	s_and_saveexec_b64 s[18:19], s[20:21]
; %bb.80:
	s_mov_b64 s[16:17], exec
	v_mul_f64 v[4:5], v[4:5], 4.0
	v_mul_f64 v[2:3], v[2:3], 4.0
; %bb.81:
	s_or_b64 exec, exec, s[18:19]
.LBB167_82:
	s_andn2_saveexec_b64 s[2:3], s[2:3]
; %bb.83:
	v_ldexp_f64 v[2:3], v[2:3], -2
	v_ldexp_f64 v[4:5], v[4:5], -2
	s_andn2_b64 s[16:17], s[16:17], exec
; %bb.84:
	s_or_b64 exec, exec, s[2:3]
	v_max_f64 v[0:1], |v[4:5]|, |v[4:5]|
	v_max_f64 v[8:9], |v[2:3]|, |v[2:3]|
	v_max_f64 v[0:1], v[8:9], v[0:1]
	v_frexp_exp_i32_f64_e32 v7, v[0:1]
	v_sub_u32_e32 v8, 0, v7
	v_ldexp_f64 v[0:1], |v[2:3]|, v8
	v_ldexp_f64 v[8:9], |v[4:5]|, v8
	v_mul_f64 v[8:9], v[8:9], v[8:9]
	v_fmac_f64_e32 v[8:9], v[0:1], v[0:1]
	v_rsq_f64_e32 v[0:1], v[8:9]
	v_cmp_eq_f64_e64 s[2:3], 0, v[8:9]
	s_movk_i32 s18, 0x204
	v_cmp_le_f64_e32 vcc, 0, v[2:3]
	v_mul_f64 v[12:13], v[8:9], v[0:1]
	v_mul_f64 v[0:1], v[0:1], 0.5
	v_fma_f64 v[24:25], -v[0:1], v[12:13], 0.5
	v_fmac_f64_e32 v[12:13], v[12:13], v[24:25]
	v_fmac_f64_e32 v[0:1], v[0:1], v[24:25]
	v_fma_f64 v[24:25], -v[12:13], v[12:13], v[8:9]
	v_fmac_f64_e32 v[12:13], v[24:25], v[0:1]
	v_cndmask_b32_e64 v1, v13, v9, s[2:3]
	v_cndmask_b32_e64 v0, v12, v8, s[2:3]
	v_ldexp_f64 v[0:1], v[0:1], v7
	v_cmp_o_f64_e64 s[2:3], v[4:5], v[4:5]
	v_mov_b32_e32 v7, 0x7ff80000
                                        ; implicit-def: $vgpr12_vgpr13
	s_nop 0
	v_cndmask_b32_e64 v0, 0, v0, s[2:3]
	v_cndmask_b32_e64 v1, v7, v1, s[2:3]
	v_cmp_class_f64_e64 s[2:3], v[2:3], s18
	v_cmp_class_f64_e64 s[18:19], v[4:5], s18
	v_mov_b32_e32 v7, 0x7ff00000
	s_or_b64 s[2:3], s[18:19], s[2:3]
	v_cndmask_b32_e64 v9, v1, v7, s[2:3]
	v_cndmask_b32_e64 v8, v0, 0, s[2:3]
                                        ; implicit-def: $vgpr0_vgpr1
	s_and_saveexec_b64 s[2:3], vcc
	s_xor_b64 s[2:3], exec, s[2:3]
	s_cbranch_execz .LBB167_126
; %bb.85:
	v_add_f64 v[0:1], v[2:3], v[8:9]
	s_mov_b32 s18, 0
	v_mul_f64 v[0:1], v[0:1], 0.5
	s_brev_b32 s19, 8
	v_mov_b32_e32 v2, 0x100
	v_cmp_gt_f64_e32 vcc, s[18:19], v[0:1]
	v_mov_b32_e32 v7, 0x260
	s_nop 0
	v_cndmask_b32_e32 v2, 0, v2, vcc
	v_ldexp_f64 v[0:1], v[0:1], v2
	v_rsq_f64_e32 v[2:3], v[0:1]
	s_nop 0
	v_mul_f64 v[8:9], v[0:1], v[2:3]
	v_mul_f64 v[2:3], v[2:3], 0.5
	v_fma_f64 v[12:13], -v[2:3], v[8:9], 0.5
	v_fmac_f64_e32 v[8:9], v[8:9], v[12:13]
	v_fma_f64 v[24:25], -v[8:9], v[8:9], v[0:1]
	v_fmac_f64_e32 v[2:3], v[2:3], v[12:13]
	v_fmac_f64_e32 v[8:9], v[24:25], v[2:3]
	v_fma_f64 v[12:13], -v[8:9], v[8:9], v[0:1]
	v_fmac_f64_e32 v[8:9], v[12:13], v[2:3]
	v_mov_b32_e32 v2, 0xffffff80
	v_cndmask_b32_e32 v2, 0, v2, vcc
	v_ldexp_f64 v[2:3], v[8:9], v2
	v_cmp_class_f64_e32 vcc, v[0:1], v7
	s_nop 1
	v_cndmask_b32_e32 v13, v3, v1, vcc
	v_cndmask_b32_e32 v12, v2, v0, vcc
	v_add_f64 v[0:1], v[12:13], v[12:13]
	v_div_scale_f64 v[2:3], s[18:19], v[0:1], v[0:1], v[4:5]
	v_rcp_f64_e32 v[8:9], v[2:3]
	s_nop 0
	v_fma_f64 v[24:25], -v[2:3], v[8:9], 1.0
	v_fmac_f64_e32 v[8:9], v[8:9], v[24:25]
	v_fma_f64 v[24:25], -v[2:3], v[8:9], 1.0
	v_fmac_f64_e32 v[8:9], v[8:9], v[24:25]
	v_div_scale_f64 v[24:25], vcc, v[4:5], v[0:1], v[4:5]
	v_mul_f64 v[26:27], v[24:25], v[8:9]
	v_fma_f64 v[2:3], -v[2:3], v[26:27], v[24:25]
	s_nop 1
	v_div_fmas_f64 v[2:3], v[2:3], v[8:9], v[26:27]
	v_div_fixup_f64 v[0:1], v[2:3], v[0:1], v[4:5]
                                        ; implicit-def: $vgpr8_vgpr9
                                        ; implicit-def: $vgpr2_vgpr3
	s_andn2_saveexec_b64 s[2:3], s[2:3]
	s_cbranch_execz .LBB167_128
	s_branch .LBB167_127
.LBB167_86:
	v_mov_b32_e32 v0, 0
	v_mov_b32_e32 v8, 0
	s_branch .LBB167_92
.LBB167_87:
	v_mov_b32_e32 v0, 0
	v_mov_b32_e32 v8, 0
	s_branch .LBB167_111
.LBB167_88:
	v_mov_b32_e32 v8, 0
	s_mov_b32 s57, 0
	v_mov_b32_e32 v1, v8
                                        ; implicit-def: $vgpr0
	v_mov_b32_e32 v2, v20
.LBB167_89:
	s_and_b32 s4, s58, 3
	s_cmp_eq_u32 s4, 0
	s_cbranch_scc1 .LBB167_92
; %bb.90:
	s_lshl_b32 s0, s57, 3
	s_add_u32 s0, s34, s0
	s_addc_u32 s1, s35, 0
	s_add_u32 s0, s0, 0xc4
	s_addc_u32 s1, s1, 0
	s_mul_i32 s2, s57, 12
	s_add_u32 s2, s34, s2
	s_addc_u32 s3, s35, 0
.LBB167_91:                             ; =>This Inner Loop Header: Depth=1
	s_load_dwordx2 s[6:7], s[2:3], 0x4
	s_load_dword s5, s[2:3], 0xc
	s_load_dwordx2 s[8:9], s[0:1], 0x0
	v_mov_b32_e32 v0, v1
	s_add_u32 s2, s2, 12
	s_waitcnt lgkmcnt(0)
	v_mul_hi_u32 v1, s7, v2
	v_add_u32_e32 v1, v2, v1
	v_lshrrev_b32_e32 v1, s5, v1
	s_addc_u32 s3, s3, 0
	v_mul_lo_u32 v3, v1, s6
	s_add_u32 s0, s0, 8
	v_sub_u32_e32 v3, v2, v3
	s_addc_u32 s1, s1, 0
	s_add_i32 s4, s4, -1
	v_mov_b32_e32 v2, v1
	v_mad_u64_u32 v[0:1], s[6:7], v3, s9, v[0:1]
	s_cmp_lg_u32 s4, 0
	v_mad_u64_u32 v[8:9], s[6:7], v3, s8, v[8:9]
	v_mov_b32_e32 v1, v0
	s_cbranch_scc1 .LBB167_91
.LBB167_92:
	s_cbranch_execnz .LBB167_95
.LBB167_93:
	s_waitcnt lgkmcnt(0)
	v_mul_hi_u32 v0, s25, v20
	v_add_u32_e32 v0, v20, v0
	v_lshrrev_b32_e32 v1, s26, v0
	v_mul_lo_u32 v0, v1, s24
	v_sub_u32_e32 v2, v20, v0
	v_mul_lo_u32 v0, v2, s21
	s_andn2_b64 vcc, exec, s[42:43]
	v_mul_lo_u32 v8, v2, s20
	s_cbranch_vccnz .LBB167_95
; %bb.94:
	v_mul_hi_u32 v2, s40, v1
	v_add_u32_e32 v2, v1, v2
	v_lshrrev_b32_e32 v2, s41, v2
	v_mul_lo_u32 v2, v2, s27
	v_sub_u32_e32 v1, v1, v2
	v_mad_u64_u32 v[8:9], s[0:1], v1, s22, v[8:9]
	v_mad_u64_u32 v[0:1], s[0:1], v1, s23, v[0:1]
.LBB167_95:
	s_waitcnt lgkmcnt(0)
	global_load_dwordx4 v[0:3], v0, s[18:19]
	v_mov_b64_e32 v[10:11], 0
	s_waitcnt vmcnt(0)
	v_cmp_neq_f64_e32 vcc, 0, v[0:1]
	v_cmp_neq_f64_e64 s[0:1], 0, v[2:3]
	s_or_b64 s[0:1], vcc, s[0:1]
	s_and_saveexec_b64 s[4:5], s[0:1]
	s_cbranch_execz .LBB167_290
; %bb.96:
	v_mov_b32_e32 v10, 0
	v_mov_b32_e32 v11, 0x7ff00000
	v_cmp_neq_f64_e64 s[0:1], |v[2:3]|, v[10:11]
	s_and_saveexec_b64 s[6:7], s[0:1]
	s_cbranch_execz .LBB167_289
; %bb.97:
	v_cmp_o_f64_e32 vcc, v[0:1], v[0:1]
                                        ; implicit-def: $vgpr10_vgpr11
	s_and_saveexec_b64 s[0:1], vcc
	s_xor_b64 s[8:9], exec, s[0:1]
	s_cbranch_execz .LBB167_286
; %bb.98:
	s_mov_b32 s0, 0
	s_mov_b32 s1, 0x7ff00000
	v_cmp_neq_f64_e64 s[0:1], |v[0:1]|, s[0:1]
                                        ; implicit-def: $vgpr10_vgpr11
	s_and_saveexec_b64 s[2:3], s[0:1]
	s_xor_b64 s[10:11], exec, s[2:3]
	s_cbranch_execz .LBB167_279
; %bb.99:
	v_max_f64 v[4:5], |v[2:3]|, |v[2:3]|
	v_max_f64 v[6:7], |v[0:1]|, |v[0:1]|
	s_mov_b32 s0, 0x99fcef32
	v_max_f64 v[4:5], v[6:7], v[4:5]
	s_mov_b32 s1, 0x7fda8279
	v_cmp_nle_f64_e64 s[0:1], s[0:1], v[4:5]
                                        ; implicit-def: $sgpr12_sgpr13
	s_and_saveexec_b64 s[2:3], s[0:1]
	s_xor_b64 s[2:3], exec, s[2:3]
	s_cbranch_execz .LBB167_103
; %bb.100:
	s_mov_b32 s12, 0
	s_mov_b32 s13, 0x200000
	v_cmp_le_f64_e64 s[14:15], |v[0:1]|, s[12:13]
	v_cmp_le_f64_e64 s[12:13], |v[2:3]|, s[12:13]
	s_and_b64 s[28:29], s[14:15], s[12:13]
	s_mov_b64 s[12:13], 0
	s_and_saveexec_b64 s[14:15], s[28:29]
; %bb.101:
	s_mov_b64 s[12:13], exec
	v_mul_f64 v[2:3], v[2:3], 4.0
	v_mul_f64 v[0:1], v[0:1], 4.0
; %bb.102:
	s_or_b64 exec, exec, s[14:15]
.LBB167_103:
	s_andn2_saveexec_b64 s[2:3], s[2:3]
; %bb.104:
	v_ldexp_f64 v[0:1], v[0:1], -2
	v_ldexp_f64 v[2:3], v[2:3], -2
	s_andn2_b64 s[12:13], s[12:13], exec
; %bb.105:
	s_or_b64 exec, exec, s[2:3]
	v_max_f64 v[4:5], |v[2:3]|, |v[2:3]|
	v_max_f64 v[6:7], |v[0:1]|, |v[0:1]|
	v_max_f64 v[4:5], v[6:7], v[4:5]
	v_frexp_exp_i32_f64_e32 v9, v[4:5]
	v_sub_u32_e32 v6, 0, v9
	v_ldexp_f64 v[4:5], |v[0:1]|, v6
	v_ldexp_f64 v[6:7], |v[2:3]|, v6
	v_mul_f64 v[6:7], v[6:7], v[6:7]
	v_fmac_f64_e32 v[6:7], v[4:5], v[4:5]
	v_rsq_f64_e32 v[4:5], v[6:7]
	v_cmp_eq_f64_e64 s[2:3], 0, v[6:7]
	s_movk_i32 s14, 0x204
	v_cmp_le_f64_e32 vcc, 0, v[0:1]
	v_mul_f64 v[10:11], v[6:7], v[4:5]
	v_mul_f64 v[4:5], v[4:5], 0.5
	v_fma_f64 v[12:13], -v[4:5], v[10:11], 0.5
	v_fmac_f64_e32 v[10:11], v[10:11], v[12:13]
	v_fmac_f64_e32 v[4:5], v[4:5], v[12:13]
	v_fma_f64 v[12:13], -v[10:11], v[10:11], v[6:7]
	v_fmac_f64_e32 v[10:11], v[12:13], v[4:5]
	v_cndmask_b32_e64 v5, v11, v7, s[2:3]
	v_cndmask_b32_e64 v4, v10, v6, s[2:3]
	v_ldexp_f64 v[4:5], v[4:5], v9
	v_cmp_o_f64_e64 s[2:3], v[2:3], v[2:3]
	v_mov_b32_e32 v6, 0x7ff80000
	s_nop 0
	v_cndmask_b32_e64 v4, 0, v4, s[2:3]
	v_cndmask_b32_e64 v5, v6, v5, s[2:3]
	v_cmp_class_f64_e64 s[2:3], v[0:1], s14
	v_cmp_class_f64_e64 s[14:15], v[2:3], s14
	v_mov_b32_e32 v6, 0x7ff00000
	s_or_b64 s[2:3], s[14:15], s[2:3]
	v_cndmask_b32_e64 v11, v5, v6, s[2:3]
	v_cndmask_b32_e64 v10, v4, 0, s[2:3]
                                        ; implicit-def: $vgpr4_vgpr5
                                        ; implicit-def: $vgpr6_vgpr7
	s_and_saveexec_b64 s[2:3], vcc
	s_xor_b64 s[2:3], exec, s[2:3]
	s_cbranch_execz .LBB167_268
; %bb.106:
	v_add_f64 v[0:1], v[0:1], v[10:11]
	s_mov_b32 s14, 0
	v_mul_f64 v[0:1], v[0:1], 0.5
	s_brev_b32 s15, 8
	v_mov_b32_e32 v4, 0x100
	v_cmp_gt_f64_e32 vcc, s[14:15], v[0:1]
	s_nop 1
	v_cndmask_b32_e32 v4, 0, v4, vcc
	v_ldexp_f64 v[0:1], v[0:1], v4
	v_rsq_f64_e32 v[4:5], v[0:1]
	s_nop 0
	v_mul_f64 v[6:7], v[0:1], v[4:5]
	v_mul_f64 v[4:5], v[4:5], 0.5
	v_fma_f64 v[10:11], -v[4:5], v[6:7], 0.5
	v_fmac_f64_e32 v[6:7], v[6:7], v[10:11]
	v_fma_f64 v[12:13], -v[6:7], v[6:7], v[0:1]
	v_fmac_f64_e32 v[4:5], v[4:5], v[10:11]
	v_fmac_f64_e32 v[6:7], v[12:13], v[4:5]
	v_fma_f64 v[10:11], -v[6:7], v[6:7], v[0:1]
	v_fmac_f64_e32 v[6:7], v[10:11], v[4:5]
	v_mov_b32_e32 v4, 0xffffff80
	v_cndmask_b32_e32 v4, 0, v4, vcc
	v_ldexp_f64 v[4:5], v[6:7], v4
	v_mov_b32_e32 v6, 0x260
	v_cmp_class_f64_e32 vcc, v[0:1], v6
	s_nop 1
	v_cndmask_b32_e32 v7, v5, v1, vcc
	v_cndmask_b32_e32 v6, v4, v0, vcc
	v_add_f64 v[0:1], v[6:7], v[6:7]
	v_div_scale_f64 v[4:5], s[14:15], v[0:1], v[0:1], v[2:3]
	v_rcp_f64_e32 v[10:11], v[4:5]
	s_nop 0
	v_fma_f64 v[12:13], -v[4:5], v[10:11], 1.0
	v_fmac_f64_e32 v[10:11], v[10:11], v[12:13]
	v_fma_f64 v[12:13], -v[4:5], v[10:11], 1.0
	v_fmac_f64_e32 v[10:11], v[10:11], v[12:13]
	v_div_scale_f64 v[12:13], vcc, v[2:3], v[0:1], v[2:3]
	v_mul_f64 v[14:15], v[12:13], v[10:11]
	v_fma_f64 v[4:5], -v[4:5], v[14:15], v[12:13]
	s_nop 1
	v_div_fmas_f64 v[4:5], v[4:5], v[10:11], v[14:15]
	v_div_fixup_f64 v[4:5], v[4:5], v[0:1], v[2:3]
                                        ; implicit-def: $vgpr10_vgpr11
                                        ; implicit-def: $vgpr0_vgpr1
	s_andn2_saveexec_b64 s[2:3], s[2:3]
	s_cbranch_execz .LBB167_270
	s_branch .LBB167_269
.LBB167_107:
	v_mov_b32_e32 v8, 0
	s_mov_b32 s57, 0
	v_mov_b32_e32 v1, v8
                                        ; implicit-def: $vgpr0
	v_mov_b32_e32 v2, v20
.LBB167_108:
	s_and_b32 s4, s58, 3
	s_cmp_eq_u32 s4, 0
	s_cbranch_scc1 .LBB167_111
; %bb.109:
	s_lshl_b32 s0, s57, 3
	s_add_u32 s0, s34, s0
	s_addc_u32 s1, s35, 0
	s_add_u32 s0, s0, 0xc4
	s_addc_u32 s1, s1, 0
	s_mul_i32 s2, s57, 12
	s_add_u32 s2, s34, s2
	s_addc_u32 s3, s35, 0
.LBB167_110:                            ; =>This Inner Loop Header: Depth=1
	s_load_dwordx2 s[6:7], s[2:3], 0x4
	s_load_dword s5, s[2:3], 0xc
	s_load_dwordx2 s[8:9], s[0:1], 0x0
	v_mov_b32_e32 v0, v1
	s_add_u32 s2, s2, 12
	s_waitcnt lgkmcnt(0)
	v_mul_hi_u32 v1, s7, v2
	v_add_u32_e32 v1, v2, v1
	v_lshrrev_b32_e32 v1, s5, v1
	s_addc_u32 s3, s3, 0
	v_mul_lo_u32 v3, v1, s6
	s_add_u32 s0, s0, 8
	v_sub_u32_e32 v3, v2, v3
	s_addc_u32 s1, s1, 0
	s_add_i32 s4, s4, -1
	v_mov_b32_e32 v2, v1
	v_mad_u64_u32 v[0:1], s[6:7], v3, s9, v[0:1]
	s_cmp_lg_u32 s4, 0
	v_mad_u64_u32 v[8:9], s[6:7], v3, s8, v[8:9]
	v_mov_b32_e32 v1, v0
	s_cbranch_scc1 .LBB167_110
.LBB167_111:
	s_cbranch_execnz .LBB167_114
.LBB167_112:
	s_waitcnt lgkmcnt(0)
	v_mul_hi_u32 v0, s25, v20
	v_add_u32_e32 v0, v20, v0
	v_lshrrev_b32_e32 v1, s26, v0
	v_mul_lo_u32 v0, v1, s24
	v_sub_u32_e32 v2, v20, v0
	v_mul_lo_u32 v0, v2, s21
	s_andn2_b64 vcc, exec, s[42:43]
	v_mul_lo_u32 v8, v2, s20
	s_cbranch_vccnz .LBB167_114
; %bb.113:
	v_mul_hi_u32 v2, s40, v1
	v_add_u32_e32 v2, v1, v2
	v_lshrrev_b32_e32 v2, s41, v2
	v_mul_lo_u32 v2, v2, s27
	v_sub_u32_e32 v1, v1, v2
	v_mad_u64_u32 v[8:9], s[0:1], v1, s22, v[8:9]
	v_mad_u64_u32 v[0:1], s[0:1], v1, s23, v[0:1]
.LBB167_114:
	s_waitcnt lgkmcnt(0)
	global_load_dwordx4 v[0:3], v0, s[18:19]
	v_mov_b64_e32 v[10:11], 0
	s_waitcnt vmcnt(0)
	v_cmp_neq_f64_e32 vcc, 0, v[0:1]
	v_cmp_neq_f64_e64 s[0:1], 0, v[2:3]
	s_or_b64 s[0:1], vcc, s[0:1]
	s_and_saveexec_b64 s[4:5], s[0:1]
	s_cbranch_execz .LBB167_314
; %bb.115:
	v_mov_b32_e32 v10, 0
	v_mov_b32_e32 v11, 0x7ff00000
	v_cmp_neq_f64_e64 s[0:1], |v[2:3]|, v[10:11]
	s_and_saveexec_b64 s[6:7], s[0:1]
	s_cbranch_execz .LBB167_313
; %bb.116:
	v_cmp_o_f64_e32 vcc, v[0:1], v[0:1]
                                        ; implicit-def: $vgpr10_vgpr11
	s_and_saveexec_b64 s[0:1], vcc
	s_xor_b64 s[8:9], exec, s[0:1]
	s_cbranch_execz .LBB167_310
; %bb.117:
	s_mov_b32 s0, 0
	s_mov_b32 s1, 0x7ff00000
	v_cmp_neq_f64_e64 s[0:1], |v[0:1]|, s[0:1]
                                        ; implicit-def: $vgpr10_vgpr11
	s_and_saveexec_b64 s[2:3], s[0:1]
	s_xor_b64 s[10:11], exec, s[2:3]
	s_cbranch_execz .LBB167_303
; %bb.118:
	v_max_f64 v[4:5], |v[2:3]|, |v[2:3]|
	v_max_f64 v[6:7], |v[0:1]|, |v[0:1]|
	s_mov_b32 s0, 0x99fcef32
	v_max_f64 v[4:5], v[6:7], v[4:5]
	s_mov_b32 s1, 0x7fda8279
	v_cmp_nle_f64_e64 s[0:1], s[0:1], v[4:5]
                                        ; implicit-def: $sgpr12_sgpr13
	s_and_saveexec_b64 s[2:3], s[0:1]
	s_xor_b64 s[2:3], exec, s[2:3]
	s_cbranch_execz .LBB167_122
; %bb.119:
	s_mov_b32 s12, 0
	s_mov_b32 s13, 0x200000
	v_cmp_le_f64_e64 s[14:15], |v[0:1]|, s[12:13]
	v_cmp_le_f64_e64 s[12:13], |v[2:3]|, s[12:13]
	s_and_b64 s[28:29], s[14:15], s[12:13]
	s_mov_b64 s[12:13], 0
	s_and_saveexec_b64 s[14:15], s[28:29]
; %bb.120:
	s_mov_b64 s[12:13], exec
	v_mul_f64 v[2:3], v[2:3], 4.0
	v_mul_f64 v[0:1], v[0:1], 4.0
; %bb.121:
	s_or_b64 exec, exec, s[14:15]
.LBB167_122:
	s_andn2_saveexec_b64 s[2:3], s[2:3]
; %bb.123:
	v_ldexp_f64 v[0:1], v[0:1], -2
	v_ldexp_f64 v[2:3], v[2:3], -2
	s_andn2_b64 s[12:13], s[12:13], exec
; %bb.124:
	s_or_b64 exec, exec, s[2:3]
	v_max_f64 v[4:5], |v[2:3]|, |v[2:3]|
	v_max_f64 v[6:7], |v[0:1]|, |v[0:1]|
	v_max_f64 v[4:5], v[6:7], v[4:5]
	v_frexp_exp_i32_f64_e32 v9, v[4:5]
	v_sub_u32_e32 v6, 0, v9
	v_ldexp_f64 v[4:5], |v[0:1]|, v6
	v_ldexp_f64 v[6:7], |v[2:3]|, v6
	v_mul_f64 v[6:7], v[6:7], v[6:7]
	v_fmac_f64_e32 v[6:7], v[4:5], v[4:5]
	v_rsq_f64_e32 v[4:5], v[6:7]
	v_cmp_eq_f64_e64 s[2:3], 0, v[6:7]
	s_movk_i32 s14, 0x204
	v_cmp_le_f64_e32 vcc, 0, v[0:1]
	v_mul_f64 v[10:11], v[6:7], v[4:5]
	v_mul_f64 v[4:5], v[4:5], 0.5
	v_fma_f64 v[12:13], -v[4:5], v[10:11], 0.5
	v_fmac_f64_e32 v[10:11], v[10:11], v[12:13]
	v_fmac_f64_e32 v[4:5], v[4:5], v[12:13]
	v_fma_f64 v[12:13], -v[10:11], v[10:11], v[6:7]
	v_fmac_f64_e32 v[10:11], v[12:13], v[4:5]
	v_cndmask_b32_e64 v5, v11, v7, s[2:3]
	v_cndmask_b32_e64 v4, v10, v6, s[2:3]
	v_ldexp_f64 v[4:5], v[4:5], v9
	v_cmp_o_f64_e64 s[2:3], v[2:3], v[2:3]
	v_mov_b32_e32 v6, 0x7ff80000
	s_nop 0
	v_cndmask_b32_e64 v4, 0, v4, s[2:3]
	v_cndmask_b32_e64 v5, v6, v5, s[2:3]
	v_cmp_class_f64_e64 s[2:3], v[0:1], s14
	v_cmp_class_f64_e64 s[14:15], v[2:3], s14
	v_mov_b32_e32 v6, 0x7ff00000
	s_or_b64 s[2:3], s[14:15], s[2:3]
	v_cndmask_b32_e64 v11, v5, v6, s[2:3]
	v_cndmask_b32_e64 v10, v4, 0, s[2:3]
                                        ; implicit-def: $vgpr4_vgpr5
                                        ; implicit-def: $vgpr6_vgpr7
	s_and_saveexec_b64 s[2:3], vcc
	s_xor_b64 s[2:3], exec, s[2:3]
	s_cbranch_execz .LBB167_272
; %bb.125:
	v_add_f64 v[0:1], v[0:1], v[10:11]
	s_mov_b32 s14, 0
	v_mul_f64 v[0:1], v[0:1], 0.5
	s_brev_b32 s15, 8
	v_mov_b32_e32 v4, 0x100
	v_cmp_gt_f64_e32 vcc, s[14:15], v[0:1]
	s_nop 1
	v_cndmask_b32_e32 v4, 0, v4, vcc
	v_ldexp_f64 v[0:1], v[0:1], v4
	v_rsq_f64_e32 v[4:5], v[0:1]
	s_nop 0
	v_mul_f64 v[6:7], v[0:1], v[4:5]
	v_mul_f64 v[4:5], v[4:5], 0.5
	v_fma_f64 v[10:11], -v[4:5], v[6:7], 0.5
	v_fmac_f64_e32 v[6:7], v[6:7], v[10:11]
	v_fma_f64 v[12:13], -v[6:7], v[6:7], v[0:1]
	v_fmac_f64_e32 v[4:5], v[4:5], v[10:11]
	v_fmac_f64_e32 v[6:7], v[12:13], v[4:5]
	v_fma_f64 v[10:11], -v[6:7], v[6:7], v[0:1]
	v_fmac_f64_e32 v[6:7], v[10:11], v[4:5]
	v_mov_b32_e32 v4, 0xffffff80
	v_cndmask_b32_e32 v4, 0, v4, vcc
	v_ldexp_f64 v[4:5], v[6:7], v4
	v_mov_b32_e32 v6, 0x260
	v_cmp_class_f64_e32 vcc, v[0:1], v6
	s_nop 1
	v_cndmask_b32_e32 v7, v5, v1, vcc
	v_cndmask_b32_e32 v6, v4, v0, vcc
	v_add_f64 v[0:1], v[6:7], v[6:7]
	v_div_scale_f64 v[4:5], s[14:15], v[0:1], v[0:1], v[2:3]
	v_rcp_f64_e32 v[10:11], v[4:5]
	s_nop 0
	v_fma_f64 v[12:13], -v[4:5], v[10:11], 1.0
	v_fmac_f64_e32 v[10:11], v[10:11], v[12:13]
	v_fma_f64 v[12:13], -v[4:5], v[10:11], 1.0
	v_fmac_f64_e32 v[10:11], v[10:11], v[12:13]
	v_div_scale_f64 v[12:13], vcc, v[2:3], v[0:1], v[2:3]
	v_mul_f64 v[14:15], v[12:13], v[10:11]
	v_fma_f64 v[4:5], -v[4:5], v[14:15], v[12:13]
	s_nop 1
	v_div_fmas_f64 v[4:5], v[4:5], v[10:11], v[14:15]
	v_div_fixup_f64 v[4:5], v[4:5], v[0:1], v[2:3]
                                        ; implicit-def: $vgpr10_vgpr11
                                        ; implicit-def: $vgpr0_vgpr1
	s_andn2_saveexec_b64 s[2:3], s[2:3]
	s_cbranch_execz .LBB167_274
	s_branch .LBB167_273
.LBB167_126:
	s_andn2_saveexec_b64 s[2:3], s[2:3]
	s_cbranch_execz .LBB167_128
.LBB167_127:
	v_add_f64 v[0:1], v[8:9], -v[2:3]
	s_mov_b32 s18, 0
	v_mul_f64 v[0:1], v[0:1], 0.5
	s_brev_b32 s19, 8
	v_mov_b32_e32 v2, 0x100
	v_cmp_gt_f64_e32 vcc, s[18:19], v[0:1]
	v_mov_b32_e32 v7, 0x260
	s_nop 0
	v_cndmask_b32_e32 v2, 0, v2, vcc
	v_ldexp_f64 v[0:1], v[0:1], v2
	v_rsq_f64_e32 v[2:3], v[0:1]
	s_nop 0
	v_mul_f64 v[8:9], v[0:1], v[2:3]
	v_mul_f64 v[2:3], v[2:3], 0.5
	v_fma_f64 v[12:13], -v[2:3], v[8:9], 0.5
	v_fmac_f64_e32 v[8:9], v[8:9], v[12:13]
	v_fma_f64 v[24:25], -v[8:9], v[8:9], v[0:1]
	v_fmac_f64_e32 v[2:3], v[2:3], v[12:13]
	v_fmac_f64_e32 v[8:9], v[24:25], v[2:3]
	v_fma_f64 v[12:13], -v[8:9], v[8:9], v[0:1]
	v_fmac_f64_e32 v[8:9], v[12:13], v[2:3]
	v_mov_b32_e32 v2, 0xffffff80
	v_cndmask_b32_e32 v2, 0, v2, vcc
	v_ldexp_f64 v[2:3], v[8:9], v2
	v_cmp_class_f64_e32 vcc, v[0:1], v7
	v_and_b32_e32 v9, 0x7fffffff, v5
	v_mov_b32_e32 v8, v4
	v_cndmask_b32_e32 v1, v3, v1, vcc
	v_cndmask_b32_e32 v0, v2, v0, vcc
	v_add_f64 v[2:3], v[0:1], v[0:1]
	v_div_scale_f64 v[12:13], s[18:19], v[2:3], v[2:3], v[8:9]
	v_rcp_f64_e32 v[24:25], v[12:13]
	v_div_scale_f64 v[8:9], vcc, v[8:9], v[2:3], v[8:9]
	s_brev_b32 s18, -2
	v_fma_f64 v[26:27], -v[12:13], v[24:25], 1.0
	v_fmac_f64_e32 v[24:25], v[24:25], v[26:27]
	v_fma_f64 v[26:27], -v[12:13], v[24:25], 1.0
	v_fmac_f64_e32 v[24:25], v[24:25], v[26:27]
	v_mul_f64 v[26:27], v[8:9], v[24:25]
	v_fma_f64 v[8:9], -v[12:13], v[26:27], v[8:9]
	v_div_fmas_f64 v[8:9], v[8:9], v[24:25], v[26:27]
	v_div_fixup_f64 v[12:13], v[8:9], v[2:3], |v[4:5]|
	v_bfi_b32 v1, s18, v1, v5
.LBB167_128:
	s_or_b64 exec, exec, s[2:3]
                                        ; implicit-def: $vgpr4_vgpr5
                                        ; implicit-def: $vgpr8_vgpr9
	s_and_saveexec_b64 s[2:3], s[0:1]
	s_xor_b64 s[0:1], exec, s[2:3]
	s_cbranch_execz .LBB167_130
; %bb.129:
	v_mul_f64 v[2:3], v[12:13], 0.5
	v_mul_f64 v[4:5], v[0:1], 0.5
	v_cndmask_b32_e64 v9, v13, v3, s[16:17]
	v_cndmask_b32_e64 v8, v12, v2, s[16:17]
	;; [unrolled: 1-line block ×4, first 2 shown]
                                        ; implicit-def: $vgpr12_vgpr13
                                        ; implicit-def: $vgpr0_vgpr1
	s_andn2_saveexec_b64 s[0:1], s[0:1]
	s_cbranch_execnz .LBB167_131
	s_branch .LBB167_132
.LBB167_130:
	s_andn2_saveexec_b64 s[0:1], s[0:1]
.LBB167_131:
	v_add_f64 v[8:9], v[12:13], v[12:13]
	v_add_f64 v[4:5], v[0:1], v[0:1]
.LBB167_132:
	s_or_b64 exec, exec, s[0:1]
.LBB167_133:
	s_andn2_saveexec_b64 s[0:1], s[14:15]
	s_cbranch_execz .LBB167_139
; %bb.134:
	v_add_f64 v[0:1], v[4:5], -v[4:5]
	v_cmp_lt_i64_e32 vcc, -1, v[2:3]
	s_brev_b32 s14, -2
	v_and_b32_e32 v9, 0x7fffffff, v1
	v_mov_b32_e32 v8, v0
	s_and_saveexec_b64 s[2:3], vcc
	s_xor_b64 s[2:3], exec, s[2:3]
; %bb.135:
	v_bfi_b32 v1, s14, v1, v5
	v_mov_b64_e32 v[4:5], v[0:1]
	v_mov_b64_e32 v[8:9], v[2:3]
; %bb.136:
	s_andn2_saveexec_b64 s[2:3], s[2:3]
; %bb.137:
	v_bfi_b32 v3, s14, v3, v5
	v_mov_b64_e32 v[4:5], v[2:3]
; %bb.138:
	s_or_b64 exec, exec, s[2:3]
.LBB167_139:
	s_or_b64 exec, exec, s[0:1]
.LBB167_140:
	s_andn2_saveexec_b64 s[0:1], s[12:13]
	s_cbranch_execz .LBB167_142
; %bb.141:
	v_add_f64 v[0:1], v[4:5], -v[4:5]
	v_div_scale_f64 v[4:5], vcc, v[0:1], v[0:1], v[0:1]
	v_rcp_f64_e32 v[8:9], v[4:5]
	s_nop 0
	v_fma_f64 v[12:13], -v[4:5], v[8:9], 1.0
	v_fmac_f64_e32 v[8:9], v[8:9], v[12:13]
	v_fma_f64 v[12:13], -v[4:5], v[8:9], 1.0
	v_fmac_f64_e32 v[8:9], v[8:9], v[12:13]
	v_mul_f64 v[12:13], v[4:5], v[8:9]
	v_fma_f64 v[4:5], -v[4:5], v[12:13], v[4:5]
	v_div_fmas_f64 v[4:5], v[4:5], v[8:9], v[12:13]
	v_div_fixup_f64 v[4:5], v[4:5], v[0:1], v[0:1]
	v_mov_b64_e32 v[8:9], v[2:3]
.LBB167_142:
	s_or_b64 exec, exec, s[0:1]
.LBB167_143:
	s_or_b64 exec, exec, s[10:11]
.LBB167_144:
	s_or_b64 exec, exec, s[8:9]
	v_xor_b32_e32 v0, 0x80000000, v9
	v_cmp_gt_f64_e32 vcc, 0, v[8:9]
	v_mov_b32_e32 v24, v8
	v_mov_b32_e32 v12, v4
	v_cndmask_b32_e32 v25, v9, v0, vcc
	v_xor_b32_e32 v0, 0x80000000, v5
	v_cmp_gt_f64_e32 vcc, 0, v[4:5]
	s_nop 1
	v_cndmask_b32_e32 v13, v5, v0, vcc
	v_cmp_ge_f64_e32 vcc, v[24:25], v[12:13]
                                        ; implicit-def: $vgpr2_vgpr3
	s_and_saveexec_b64 s[0:1], vcc
	s_xor_b64 s[2:3], exec, s[0:1]
	s_cbranch_execz .LBB167_150
; %bb.145:
	v_cmp_neq_f64_e32 vcc, 0, v[8:9]
	v_cmp_neq_f64_e64 s[0:1], 0, v[4:5]
	s_or_b64 s[0:1], vcc, s[0:1]
                                        ; implicit-def: $vgpr2_vgpr3
	s_and_saveexec_b64 s[8:9], s[0:1]
	s_xor_b64 s[0:1], exec, s[8:9]
	s_cbranch_execz .LBB167_147
; %bb.146:
	v_div_scale_f64 v[0:1], s[8:9], v[8:9], v[8:9], v[4:5]
	v_rcp_f64_e32 v[2:3], v[0:1]
	v_div_scale_f64 v[12:13], vcc, v[4:5], v[8:9], v[4:5]
	v_fma_f64 v[24:25], -v[0:1], v[2:3], 1.0
	v_fmac_f64_e32 v[2:3], v[2:3], v[24:25]
	v_fma_f64 v[24:25], -v[0:1], v[2:3], 1.0
	v_fmac_f64_e32 v[2:3], v[2:3], v[24:25]
	v_mul_f64 v[24:25], v[12:13], v[2:3]
	v_fma_f64 v[0:1], -v[0:1], v[24:25], v[12:13]
	v_div_fmas_f64 v[0:1], v[0:1], v[2:3], v[24:25]
	v_div_fixup_f64 v[2:3], v[0:1], v[8:9], v[4:5]
	v_fmac_f64_e32 v[8:9], v[4:5], v[2:3]
	v_div_scale_f64 v[0:1], s[8:9], v[8:9], v[8:9], 1.0
	v_rcp_f64_e32 v[4:5], v[0:1]
	s_nop 0
	v_fma_f64 v[12:13], -v[0:1], v[4:5], 1.0
	v_fmac_f64_e32 v[4:5], v[4:5], v[12:13]
	v_fma_f64 v[12:13], -v[0:1], v[4:5], 1.0
	v_fmac_f64_e32 v[4:5], v[4:5], v[12:13]
	v_div_scale_f64 v[12:13], vcc, 1.0, v[8:9], 1.0
	v_mul_f64 v[24:25], v[12:13], v[4:5]
	v_fma_f64 v[0:1], -v[0:1], v[24:25], v[12:13]
                                        ; implicit-def: $vgpr12_vgpr13
	s_nop 1
	v_div_fmas_f64 v[0:1], v[0:1], v[4:5], v[24:25]
	v_div_fixup_f64 v[4:5], v[0:1], v[8:9], 1.0
	v_fma_f64 v[0:1], v[2:3], 0, 1.0
	v_add_f64 v[2:3], -v[2:3], 0
	v_mul_f64 v[0:1], v[0:1], v[4:5]
	v_mul_f64 v[2:3], v[2:3], v[4:5]
                                        ; implicit-def: $vgpr24_vgpr25
.LBB167_147:
	s_andn2_saveexec_b64 s[0:1], s[0:1]
	s_cbranch_execz .LBB167_149
; %bb.148:
	v_div_scale_f64 v[0:1], s[8:9], v[24:25], v[24:25], 1.0
	v_rcp_f64_e32 v[2:3], v[0:1]
	v_div_scale_f64 v[4:5], vcc, 1.0, v[24:25], 1.0
	v_fma_f64 v[8:9], -v[0:1], v[2:3], 1.0
	v_fmac_f64_e32 v[2:3], v[2:3], v[8:9]
	v_fma_f64 v[8:9], -v[0:1], v[2:3], 1.0
	v_fmac_f64_e32 v[2:3], v[2:3], v[8:9]
	v_mul_f64 v[8:9], v[4:5], v[2:3]
	v_fma_f64 v[0:1], -v[0:1], v[8:9], v[4:5]
	v_div_scale_f64 v[4:5], s[8:9], v[12:13], v[12:13], 0
	v_rcp_f64_e32 v[26:27], v[4:5]
	v_div_fmas_f64 v[0:1], v[0:1], v[2:3], v[8:9]
	v_div_fixup_f64 v[0:1], v[0:1], v[24:25], 1.0
	v_fma_f64 v[2:3], -v[4:5], v[26:27], 1.0
	v_fmac_f64_e32 v[26:27], v[26:27], v[2:3]
	v_fma_f64 v[2:3], -v[4:5], v[26:27], 1.0
	v_fmac_f64_e32 v[26:27], v[26:27], v[2:3]
	v_div_scale_f64 v[2:3], vcc, 0, v[12:13], 0
	v_mul_f64 v[8:9], v[2:3], v[26:27]
	v_fma_f64 v[2:3], -v[4:5], v[8:9], v[2:3]
	s_nop 1
	v_div_fmas_f64 v[2:3], v[2:3], v[26:27], v[8:9]
	v_div_fixup_f64 v[2:3], v[2:3], v[12:13], 0
.LBB167_149:
	s_or_b64 exec, exec, s[0:1]
                                        ; implicit-def: $vgpr4_vgpr5
                                        ; implicit-def: $vgpr8_vgpr9
.LBB167_150:
	s_andn2_saveexec_b64 s[0:1], s[2:3]
	s_cbranch_execz .LBB167_152
; %bb.151:
	v_div_scale_f64 v[0:1], s[2:3], v[4:5], v[4:5], v[8:9]
	v_rcp_f64_e32 v[2:3], v[0:1]
	v_div_scale_f64 v[12:13], vcc, v[8:9], v[4:5], v[8:9]
	v_fma_f64 v[24:25], -v[0:1], v[2:3], 1.0
	v_fmac_f64_e32 v[2:3], v[2:3], v[24:25]
	v_fma_f64 v[24:25], -v[0:1], v[2:3], 1.0
	v_fmac_f64_e32 v[2:3], v[2:3], v[24:25]
	v_mul_f64 v[24:25], v[12:13], v[2:3]
	v_fma_f64 v[0:1], -v[0:1], v[24:25], v[12:13]
	v_div_fmas_f64 v[0:1], v[0:1], v[2:3], v[24:25]
	v_div_fixup_f64 v[2:3], v[0:1], v[4:5], v[8:9]
	v_fmac_f64_e32 v[4:5], v[8:9], v[2:3]
	v_div_scale_f64 v[0:1], s[2:3], v[4:5], v[4:5], 1.0
	v_rcp_f64_e32 v[8:9], v[0:1]
	s_nop 0
	v_fma_f64 v[12:13], -v[0:1], v[8:9], 1.0
	v_fmac_f64_e32 v[8:9], v[8:9], v[12:13]
	v_fma_f64 v[12:13], -v[0:1], v[8:9], 1.0
	v_fmac_f64_e32 v[8:9], v[8:9], v[12:13]
	v_div_scale_f64 v[12:13], vcc, 1.0, v[4:5], 1.0
	v_mul_f64 v[24:25], v[12:13], v[8:9]
	v_fma_f64 v[0:1], -v[0:1], v[24:25], v[12:13]
	s_nop 1
	v_div_fmas_f64 v[0:1], v[0:1], v[8:9], v[24:25]
	v_div_fixup_f64 v[4:5], v[0:1], v[4:5], 1.0
	v_add_f64 v[0:1], v[2:3], 0
	v_fma_f64 v[2:3], v[2:3], 0, -1.0
	v_mul_f64 v[0:1], v[0:1], v[4:5]
	v_mul_f64 v[2:3], v[2:3], v[4:5]
.LBB167_152:
	s_or_b64 exec, exec, s[0:1]
	global_load_dwordx4 v[6:9], v6, s[6:7]
	v_mov_b64_e32 v[12:13], 0
	s_waitcnt vmcnt(0)
	v_cmp_neq_f64_e32 vcc, 0, v[6:7]
	v_cmp_neq_f64_e64 s[0:1], 0, v[8:9]
	s_or_b64 s[0:1], vcc, s[0:1]
	s_and_saveexec_b64 s[8:9], s[0:1]
	s_cbranch_execz .LBB167_182
; %bb.153:
	v_mov_b32_e32 v12, 0
	v_mov_b32_e32 v13, 0x7ff00000
	v_cmp_neq_f64_e64 s[0:1], |v[8:9]|, v[12:13]
	s_and_saveexec_b64 s[10:11], s[0:1]
	s_cbranch_execz .LBB167_181
; %bb.154:
	v_cmp_o_f64_e32 vcc, v[6:7], v[6:7]
                                        ; implicit-def: $vgpr12_vgpr13
	s_and_saveexec_b64 s[0:1], vcc
	s_xor_b64 s[12:13], exec, s[0:1]
	s_cbranch_execz .LBB167_178
; %bb.155:
	s_mov_b32 s0, 0
	s_mov_b32 s1, 0x7ff00000
	v_cmp_neq_f64_e64 s[0:1], |v[6:7]|, s[0:1]
                                        ; implicit-def: $vgpr12_vgpr13
	s_and_saveexec_b64 s[2:3], s[0:1]
	s_xor_b64 s[14:15], exec, s[2:3]
	s_cbranch_execz .LBB167_171
; %bb.156:
	v_max_f64 v[4:5], |v[8:9]|, |v[8:9]|
	v_max_f64 v[12:13], |v[6:7]|, |v[6:7]|
	s_mov_b32 s0, 0x99fcef32
	v_max_f64 v[4:5], v[12:13], v[4:5]
	s_mov_b32 s1, 0x7fda8279
	v_cmp_nle_f64_e64 s[0:1], s[0:1], v[4:5]
                                        ; implicit-def: $sgpr16_sgpr17
	s_and_saveexec_b64 s[2:3], s[0:1]
	s_xor_b64 s[2:3], exec, s[2:3]
	s_cbranch_execz .LBB167_160
; %bb.157:
	s_mov_b32 s16, 0
	s_mov_b32 s17, 0x200000
	v_cmp_le_f64_e64 s[18:19], |v[6:7]|, s[16:17]
	v_cmp_le_f64_e64 s[16:17], |v[8:9]|, s[16:17]
	s_and_b64 s[20:21], s[18:19], s[16:17]
	s_mov_b64 s[16:17], 0
	s_and_saveexec_b64 s[18:19], s[20:21]
; %bb.158:
	s_mov_b64 s[16:17], exec
	v_mul_f64 v[8:9], v[8:9], 4.0
	v_mul_f64 v[6:7], v[6:7], 4.0
; %bb.159:
	s_or_b64 exec, exec, s[18:19]
.LBB167_160:
	s_andn2_saveexec_b64 s[2:3], s[2:3]
; %bb.161:
	v_ldexp_f64 v[6:7], v[6:7], -2
	v_ldexp_f64 v[8:9], v[8:9], -2
	s_andn2_b64 s[16:17], s[16:17], exec
; %bb.162:
	s_or_b64 exec, exec, s[2:3]
	v_max_f64 v[4:5], |v[8:9]|, |v[8:9]|
	v_max_f64 v[12:13], |v[6:7]|, |v[6:7]|
	v_max_f64 v[4:5], v[12:13], v[4:5]
	v_frexp_exp_i32_f64_e32 v11, v[4:5]
	v_sub_u32_e32 v12, 0, v11
	v_ldexp_f64 v[4:5], |v[6:7]|, v12
	v_ldexp_f64 v[12:13], |v[8:9]|, v12
	v_mul_f64 v[12:13], v[12:13], v[12:13]
	v_fmac_f64_e32 v[12:13], v[4:5], v[4:5]
	v_rsq_f64_e32 v[4:5], v[12:13]
	v_cmp_eq_f64_e64 s[2:3], 0, v[12:13]
	s_movk_i32 s18, 0x204
	v_cmp_le_f64_e32 vcc, 0, v[6:7]
	v_mul_f64 v[24:25], v[12:13], v[4:5]
	v_mul_f64 v[4:5], v[4:5], 0.5
	v_fma_f64 v[26:27], -v[4:5], v[24:25], 0.5
	v_fmac_f64_e32 v[24:25], v[24:25], v[26:27]
	v_fmac_f64_e32 v[4:5], v[4:5], v[26:27]
	v_fma_f64 v[26:27], -v[24:25], v[24:25], v[12:13]
	v_fmac_f64_e32 v[24:25], v[26:27], v[4:5]
	v_cndmask_b32_e64 v5, v25, v13, s[2:3]
	v_cndmask_b32_e64 v4, v24, v12, s[2:3]
	v_ldexp_f64 v[4:5], v[4:5], v11
	v_cmp_o_f64_e64 s[2:3], v[8:9], v[8:9]
	v_mov_b32_e32 v11, 0x7ff80000
                                        ; implicit-def: $vgpr24_vgpr25
	s_nop 0
	v_cndmask_b32_e64 v4, 0, v4, s[2:3]
	v_cndmask_b32_e64 v5, v11, v5, s[2:3]
	v_cmp_class_f64_e64 s[2:3], v[6:7], s18
	v_cmp_class_f64_e64 s[18:19], v[8:9], s18
	v_mov_b32_e32 v11, 0x7ff00000
	s_or_b64 s[2:3], s[18:19], s[2:3]
	v_cndmask_b32_e64 v13, v5, v11, s[2:3]
	v_cndmask_b32_e64 v12, v4, 0, s[2:3]
                                        ; implicit-def: $vgpr4_vgpr5
	s_and_saveexec_b64 s[2:3], vcc
	s_xor_b64 s[2:3], exec, s[2:3]
	s_cbranch_execz .LBB167_164
; %bb.163:
	v_add_f64 v[4:5], v[6:7], v[12:13]
	s_mov_b32 s18, 0
	v_mul_f64 v[4:5], v[4:5], 0.5
	s_brev_b32 s19, 8
	v_mov_b32_e32 v6, 0x100
	v_cmp_gt_f64_e32 vcc, s[18:19], v[4:5]
	v_mov_b32_e32 v11, 0x260
	s_nop 0
	v_cndmask_b32_e32 v6, 0, v6, vcc
	v_ldexp_f64 v[4:5], v[4:5], v6
	v_rsq_f64_e32 v[6:7], v[4:5]
	s_nop 0
	v_mul_f64 v[12:13], v[4:5], v[6:7]
	v_mul_f64 v[6:7], v[6:7], 0.5
	v_fma_f64 v[24:25], -v[6:7], v[12:13], 0.5
	v_fmac_f64_e32 v[12:13], v[12:13], v[24:25]
	v_fma_f64 v[26:27], -v[12:13], v[12:13], v[4:5]
	v_fmac_f64_e32 v[6:7], v[6:7], v[24:25]
	v_fmac_f64_e32 v[12:13], v[26:27], v[6:7]
	v_fma_f64 v[24:25], -v[12:13], v[12:13], v[4:5]
	v_fmac_f64_e32 v[12:13], v[24:25], v[6:7]
	v_mov_b32_e32 v6, 0xffffff80
	v_cndmask_b32_e32 v6, 0, v6, vcc
	v_ldexp_f64 v[6:7], v[12:13], v6
	v_cmp_class_f64_e32 vcc, v[4:5], v11
	s_nop 1
	v_cndmask_b32_e32 v25, v7, v5, vcc
	v_cndmask_b32_e32 v24, v6, v4, vcc
	v_add_f64 v[4:5], v[24:25], v[24:25]
	v_div_scale_f64 v[6:7], s[18:19], v[4:5], v[4:5], v[8:9]
	v_rcp_f64_e32 v[12:13], v[6:7]
	s_nop 0
	v_fma_f64 v[26:27], -v[6:7], v[12:13], 1.0
	v_fmac_f64_e32 v[12:13], v[12:13], v[26:27]
	v_fma_f64 v[26:27], -v[6:7], v[12:13], 1.0
	v_fmac_f64_e32 v[12:13], v[12:13], v[26:27]
	v_div_scale_f64 v[26:27], vcc, v[8:9], v[4:5], v[8:9]
	v_mul_f64 v[28:29], v[26:27], v[12:13]
	v_fma_f64 v[6:7], -v[6:7], v[28:29], v[26:27]
	s_nop 1
	v_div_fmas_f64 v[6:7], v[6:7], v[12:13], v[28:29]
	v_div_fixup_f64 v[4:5], v[6:7], v[4:5], v[8:9]
                                        ; implicit-def: $vgpr12_vgpr13
                                        ; implicit-def: $vgpr6_vgpr7
	s_andn2_saveexec_b64 s[2:3], s[2:3]
	s_cbranch_execz .LBB167_166
	s_branch .LBB167_165
.LBB167_164:
	s_andn2_saveexec_b64 s[2:3], s[2:3]
	s_cbranch_execz .LBB167_166
.LBB167_165:
	v_add_f64 v[4:5], v[12:13], -v[6:7]
	s_mov_b32 s18, 0
	v_mul_f64 v[4:5], v[4:5], 0.5
	s_brev_b32 s19, 8
	v_mov_b32_e32 v6, 0x100
	v_cmp_gt_f64_e32 vcc, s[18:19], v[4:5]
	v_mov_b32_e32 v11, 0x260
	s_nop 0
	v_cndmask_b32_e32 v6, 0, v6, vcc
	v_ldexp_f64 v[4:5], v[4:5], v6
	v_rsq_f64_e32 v[6:7], v[4:5]
	s_nop 0
	v_mul_f64 v[12:13], v[4:5], v[6:7]
	v_mul_f64 v[6:7], v[6:7], 0.5
	v_fma_f64 v[24:25], -v[6:7], v[12:13], 0.5
	v_fmac_f64_e32 v[12:13], v[12:13], v[24:25]
	v_fma_f64 v[26:27], -v[12:13], v[12:13], v[4:5]
	v_fmac_f64_e32 v[6:7], v[6:7], v[24:25]
	v_fmac_f64_e32 v[12:13], v[26:27], v[6:7]
	v_fma_f64 v[24:25], -v[12:13], v[12:13], v[4:5]
	v_fmac_f64_e32 v[12:13], v[24:25], v[6:7]
	v_mov_b32_e32 v6, 0xffffff80
	v_cndmask_b32_e32 v6, 0, v6, vcc
	v_ldexp_f64 v[6:7], v[12:13], v6
	v_cmp_class_f64_e32 vcc, v[4:5], v11
	v_and_b32_e32 v13, 0x7fffffff, v9
	v_mov_b32_e32 v12, v8
	v_cndmask_b32_e32 v5, v7, v5, vcc
	v_cndmask_b32_e32 v4, v6, v4, vcc
	v_add_f64 v[6:7], v[4:5], v[4:5]
	v_div_scale_f64 v[24:25], s[18:19], v[6:7], v[6:7], v[12:13]
	v_rcp_f64_e32 v[26:27], v[24:25]
	v_div_scale_f64 v[12:13], vcc, v[12:13], v[6:7], v[12:13]
	s_brev_b32 s18, -2
	v_fma_f64 v[28:29], -v[24:25], v[26:27], 1.0
	v_fmac_f64_e32 v[26:27], v[26:27], v[28:29]
	v_fma_f64 v[28:29], -v[24:25], v[26:27], 1.0
	v_fmac_f64_e32 v[26:27], v[26:27], v[28:29]
	v_mul_f64 v[28:29], v[12:13], v[26:27]
	v_fma_f64 v[12:13], -v[24:25], v[28:29], v[12:13]
	v_div_fmas_f64 v[12:13], v[12:13], v[26:27], v[28:29]
	v_div_fixup_f64 v[24:25], v[12:13], v[6:7], |v[8:9]|
	v_bfi_b32 v5, s18, v5, v9
.LBB167_166:
	s_or_b64 exec, exec, s[2:3]
                                        ; implicit-def: $vgpr8_vgpr9
                                        ; implicit-def: $vgpr12_vgpr13
	s_and_saveexec_b64 s[2:3], s[0:1]
	s_xor_b64 s[0:1], exec, s[2:3]
	s_cbranch_execz .LBB167_168
; %bb.167:
	v_mul_f64 v[6:7], v[24:25], 0.5
	v_mul_f64 v[8:9], v[4:5], 0.5
	v_cndmask_b32_e64 v13, v25, v7, s[16:17]
	v_cndmask_b32_e64 v12, v24, v6, s[16:17]
	;; [unrolled: 1-line block ×4, first 2 shown]
                                        ; implicit-def: $vgpr24_vgpr25
                                        ; implicit-def: $vgpr4_vgpr5
	s_andn2_saveexec_b64 s[0:1], s[0:1]
	s_cbranch_execnz .LBB167_169
	s_branch .LBB167_170
.LBB167_168:
	s_andn2_saveexec_b64 s[0:1], s[0:1]
.LBB167_169:
	v_add_f64 v[12:13], v[24:25], v[24:25]
	v_add_f64 v[8:9], v[4:5], v[4:5]
.LBB167_170:
	s_or_b64 exec, exec, s[0:1]
.LBB167_171:
	s_andn2_saveexec_b64 s[0:1], s[14:15]
	s_cbranch_execz .LBB167_177
; %bb.172:
	v_add_f64 v[4:5], v[8:9], -v[8:9]
	v_cmp_lt_i64_e32 vcc, -1, v[6:7]
	s_brev_b32 s14, -2
	v_and_b32_e32 v13, 0x7fffffff, v5
	v_mov_b32_e32 v12, v4
	s_and_saveexec_b64 s[2:3], vcc
	s_xor_b64 s[2:3], exec, s[2:3]
; %bb.173:
	v_bfi_b32 v5, s14, v5, v9
	v_mov_b64_e32 v[8:9], v[4:5]
	v_mov_b64_e32 v[12:13], v[6:7]
; %bb.174:
	s_andn2_saveexec_b64 s[2:3], s[2:3]
; %bb.175:
	v_bfi_b32 v7, s14, v7, v9
	v_mov_b64_e32 v[8:9], v[6:7]
; %bb.176:
	s_or_b64 exec, exec, s[2:3]
.LBB167_177:
	s_or_b64 exec, exec, s[0:1]
.LBB167_178:
	s_andn2_saveexec_b64 s[0:1], s[12:13]
	s_cbranch_execz .LBB167_180
; %bb.179:
	v_add_f64 v[4:5], v[8:9], -v[8:9]
	v_div_scale_f64 v[8:9], vcc, v[4:5], v[4:5], v[4:5]
	v_rcp_f64_e32 v[12:13], v[8:9]
	s_nop 0
	v_fma_f64 v[24:25], -v[8:9], v[12:13], 1.0
	v_fmac_f64_e32 v[12:13], v[12:13], v[24:25]
	v_fma_f64 v[24:25], -v[8:9], v[12:13], 1.0
	v_fmac_f64_e32 v[12:13], v[12:13], v[24:25]
	v_mul_f64 v[24:25], v[8:9], v[12:13]
	v_fma_f64 v[8:9], -v[8:9], v[24:25], v[8:9]
	v_div_fmas_f64 v[8:9], v[8:9], v[12:13], v[24:25]
	v_div_fixup_f64 v[8:9], v[8:9], v[4:5], v[4:5]
	v_mov_b64_e32 v[12:13], v[6:7]
.LBB167_180:
	s_or_b64 exec, exec, s[0:1]
.LBB167_181:
	s_or_b64 exec, exec, s[10:11]
.LBB167_182:
	s_or_b64 exec, exec, s[8:9]
	v_xor_b32_e32 v4, 0x80000000, v13
	v_cmp_gt_f64_e32 vcc, 0, v[12:13]
	v_mov_b32_e32 v26, v12
	v_mov_b32_e32 v24, v8
	v_cndmask_b32_e32 v27, v13, v4, vcc
	v_xor_b32_e32 v4, 0x80000000, v9
	v_cmp_gt_f64_e32 vcc, 0, v[8:9]
	s_nop 1
	v_cndmask_b32_e32 v25, v9, v4, vcc
	v_cmp_ge_f64_e32 vcc, v[26:27], v[24:25]
                                        ; implicit-def: $vgpr6_vgpr7
	s_and_saveexec_b64 s[0:1], vcc
	s_xor_b64 s[2:3], exec, s[0:1]
	s_cbranch_execz .LBB167_188
; %bb.183:
	v_cmp_neq_f64_e32 vcc, 0, v[12:13]
	v_cmp_neq_f64_e64 s[0:1], 0, v[8:9]
	s_or_b64 s[0:1], vcc, s[0:1]
                                        ; implicit-def: $vgpr6_vgpr7
	s_and_saveexec_b64 s[8:9], s[0:1]
	s_xor_b64 s[0:1], exec, s[8:9]
	s_cbranch_execz .LBB167_185
; %bb.184:
	v_div_scale_f64 v[4:5], s[8:9], v[12:13], v[12:13], v[8:9]
	v_rcp_f64_e32 v[6:7], v[4:5]
	v_div_scale_f64 v[24:25], vcc, v[8:9], v[12:13], v[8:9]
	v_fma_f64 v[26:27], -v[4:5], v[6:7], 1.0
	v_fmac_f64_e32 v[6:7], v[6:7], v[26:27]
	v_fma_f64 v[26:27], -v[4:5], v[6:7], 1.0
	v_fmac_f64_e32 v[6:7], v[6:7], v[26:27]
	v_mul_f64 v[26:27], v[24:25], v[6:7]
	v_fma_f64 v[4:5], -v[4:5], v[26:27], v[24:25]
	v_div_fmas_f64 v[4:5], v[4:5], v[6:7], v[26:27]
	v_div_fixup_f64 v[6:7], v[4:5], v[12:13], v[8:9]
	v_fmac_f64_e32 v[12:13], v[8:9], v[6:7]
	v_div_scale_f64 v[4:5], s[8:9], v[12:13], v[12:13], 1.0
	v_rcp_f64_e32 v[8:9], v[4:5]
	s_nop 0
	v_fma_f64 v[24:25], -v[4:5], v[8:9], 1.0
	v_fmac_f64_e32 v[8:9], v[8:9], v[24:25]
	v_fma_f64 v[24:25], -v[4:5], v[8:9], 1.0
	v_fmac_f64_e32 v[8:9], v[8:9], v[24:25]
	v_div_scale_f64 v[24:25], vcc, 1.0, v[12:13], 1.0
	v_mul_f64 v[26:27], v[24:25], v[8:9]
	v_fma_f64 v[4:5], -v[4:5], v[26:27], v[24:25]
                                        ; implicit-def: $vgpr24_vgpr25
	s_nop 1
	v_div_fmas_f64 v[4:5], v[4:5], v[8:9], v[26:27]
	v_div_fixup_f64 v[8:9], v[4:5], v[12:13], 1.0
	v_fma_f64 v[4:5], v[6:7], 0, 1.0
	v_add_f64 v[6:7], -v[6:7], 0
	v_mul_f64 v[4:5], v[4:5], v[8:9]
	v_mul_f64 v[6:7], v[6:7], v[8:9]
                                        ; implicit-def: $vgpr26_vgpr27
.LBB167_185:
	s_andn2_saveexec_b64 s[0:1], s[0:1]
	s_cbranch_execz .LBB167_187
; %bb.186:
	v_div_scale_f64 v[4:5], s[8:9], v[26:27], v[26:27], 1.0
	v_rcp_f64_e32 v[6:7], v[4:5]
	v_div_scale_f64 v[8:9], vcc, 1.0, v[26:27], 1.0
	v_fma_f64 v[12:13], -v[4:5], v[6:7], 1.0
	v_fmac_f64_e32 v[6:7], v[6:7], v[12:13]
	v_fma_f64 v[12:13], -v[4:5], v[6:7], 1.0
	v_fmac_f64_e32 v[6:7], v[6:7], v[12:13]
	v_mul_f64 v[12:13], v[8:9], v[6:7]
	v_fma_f64 v[4:5], -v[4:5], v[12:13], v[8:9]
	v_div_scale_f64 v[8:9], s[8:9], v[24:25], v[24:25], 0
	v_rcp_f64_e32 v[28:29], v[8:9]
	v_div_fmas_f64 v[4:5], v[4:5], v[6:7], v[12:13]
	v_div_fixup_f64 v[4:5], v[4:5], v[26:27], 1.0
	v_fma_f64 v[6:7], -v[8:9], v[28:29], 1.0
	v_fmac_f64_e32 v[28:29], v[28:29], v[6:7]
	v_fma_f64 v[6:7], -v[8:9], v[28:29], 1.0
	v_fmac_f64_e32 v[28:29], v[28:29], v[6:7]
	v_div_scale_f64 v[6:7], vcc, 0, v[24:25], 0
	v_mul_f64 v[12:13], v[6:7], v[28:29]
	v_fma_f64 v[6:7], -v[8:9], v[12:13], v[6:7]
	s_nop 1
	v_div_fmas_f64 v[6:7], v[6:7], v[28:29], v[12:13]
	v_div_fixup_f64 v[6:7], v[6:7], v[24:25], 0
.LBB167_187:
	s_or_b64 exec, exec, s[0:1]
                                        ; implicit-def: $vgpr8_vgpr9
                                        ; implicit-def: $vgpr12_vgpr13
.LBB167_188:
	s_andn2_saveexec_b64 s[0:1], s[2:3]
	s_cbranch_execz .LBB167_190
; %bb.189:
	v_div_scale_f64 v[4:5], s[2:3], v[8:9], v[8:9], v[12:13]
	v_rcp_f64_e32 v[6:7], v[4:5]
	v_div_scale_f64 v[24:25], vcc, v[12:13], v[8:9], v[12:13]
	v_fma_f64 v[26:27], -v[4:5], v[6:7], 1.0
	v_fmac_f64_e32 v[6:7], v[6:7], v[26:27]
	v_fma_f64 v[26:27], -v[4:5], v[6:7], 1.0
	v_fmac_f64_e32 v[6:7], v[6:7], v[26:27]
	v_mul_f64 v[26:27], v[24:25], v[6:7]
	v_fma_f64 v[4:5], -v[4:5], v[26:27], v[24:25]
	v_div_fmas_f64 v[4:5], v[4:5], v[6:7], v[26:27]
	v_div_fixup_f64 v[6:7], v[4:5], v[8:9], v[12:13]
	v_fmac_f64_e32 v[8:9], v[12:13], v[6:7]
	v_div_scale_f64 v[4:5], s[2:3], v[8:9], v[8:9], 1.0
	v_rcp_f64_e32 v[12:13], v[4:5]
	s_nop 0
	v_fma_f64 v[24:25], -v[4:5], v[12:13], 1.0
	v_fmac_f64_e32 v[12:13], v[12:13], v[24:25]
	v_fma_f64 v[24:25], -v[4:5], v[12:13], 1.0
	v_fmac_f64_e32 v[12:13], v[12:13], v[24:25]
	v_div_scale_f64 v[24:25], vcc, 1.0, v[8:9], 1.0
	v_mul_f64 v[26:27], v[24:25], v[12:13]
	v_fma_f64 v[4:5], -v[4:5], v[26:27], v[24:25]
	s_nop 1
	v_div_fmas_f64 v[4:5], v[4:5], v[12:13], v[26:27]
	v_div_fixup_f64 v[8:9], v[4:5], v[8:9], 1.0
	v_add_f64 v[4:5], v[6:7], 0
	v_fma_f64 v[6:7], v[6:7], 0, -1.0
	v_mul_f64 v[4:5], v[4:5], v[8:9]
	v_mul_f64 v[6:7], v[6:7], v[8:9]
.LBB167_190:
	s_or_b64 exec, exec, s[0:1]
	global_load_dwordx4 v[10:13], v10, s[6:7]
	v_mov_b64_e32 v[24:25], 0
	s_waitcnt vmcnt(0)
	v_cmp_neq_f64_e32 vcc, 0, v[10:11]
	v_cmp_neq_f64_e64 s[0:1], 0, v[12:13]
	s_or_b64 s[0:1], vcc, s[0:1]
	s_and_saveexec_b64 s[8:9], s[0:1]
	s_cbranch_execz .LBB167_220
; %bb.191:
	v_mov_b32_e32 v24, 0
	v_mov_b32_e32 v25, 0x7ff00000
	v_cmp_neq_f64_e64 s[0:1], |v[12:13]|, v[24:25]
	s_and_saveexec_b64 s[10:11], s[0:1]
	s_cbranch_execz .LBB167_219
; %bb.192:
	v_cmp_o_f64_e32 vcc, v[10:11], v[10:11]
                                        ; implicit-def: $vgpr24_vgpr25
	s_and_saveexec_b64 s[0:1], vcc
	s_xor_b64 s[12:13], exec, s[0:1]
	s_cbranch_execz .LBB167_216
; %bb.193:
	s_mov_b32 s0, 0
	s_mov_b32 s1, 0x7ff00000
	v_cmp_neq_f64_e64 s[0:1], |v[10:11]|, s[0:1]
                                        ; implicit-def: $vgpr24_vgpr25
	s_and_saveexec_b64 s[2:3], s[0:1]
	s_xor_b64 s[14:15], exec, s[2:3]
	s_cbranch_execz .LBB167_209
; %bb.194:
	v_max_f64 v[8:9], |v[12:13]|, |v[12:13]|
	v_max_f64 v[24:25], |v[10:11]|, |v[10:11]|
	s_mov_b32 s0, 0x99fcef32
	v_max_f64 v[8:9], v[24:25], v[8:9]
	s_mov_b32 s1, 0x7fda8279
	v_cmp_nle_f64_e64 s[0:1], s[0:1], v[8:9]
                                        ; implicit-def: $sgpr16_sgpr17
	s_and_saveexec_b64 s[2:3], s[0:1]
	s_xor_b64 s[2:3], exec, s[2:3]
	s_cbranch_execz .LBB167_198
; %bb.195:
	s_mov_b32 s16, 0
	s_mov_b32 s17, 0x200000
	v_cmp_le_f64_e64 s[18:19], |v[10:11]|, s[16:17]
	v_cmp_le_f64_e64 s[16:17], |v[12:13]|, s[16:17]
	s_and_b64 s[20:21], s[18:19], s[16:17]
	s_mov_b64 s[16:17], 0
	s_and_saveexec_b64 s[18:19], s[20:21]
; %bb.196:
	s_mov_b64 s[16:17], exec
	v_mul_f64 v[12:13], v[12:13], 4.0
	v_mul_f64 v[10:11], v[10:11], 4.0
; %bb.197:
	s_or_b64 exec, exec, s[18:19]
.LBB167_198:
	s_andn2_saveexec_b64 s[2:3], s[2:3]
; %bb.199:
	v_ldexp_f64 v[10:11], v[10:11], -2
	v_ldexp_f64 v[12:13], v[12:13], -2
	s_andn2_b64 s[16:17], s[16:17], exec
; %bb.200:
	s_or_b64 exec, exec, s[2:3]
	v_max_f64 v[8:9], |v[12:13]|, |v[12:13]|
	v_max_f64 v[24:25], |v[10:11]|, |v[10:11]|
	v_max_f64 v[8:9], v[24:25], v[8:9]
	v_frexp_exp_i32_f64_e32 v15, v[8:9]
	v_sub_u32_e32 v17, 0, v15
	v_ldexp_f64 v[24:25], |v[12:13]|, v17
	v_ldexp_f64 v[8:9], |v[10:11]|, v17
	v_mul_f64 v[24:25], v[24:25], v[24:25]
	v_fmac_f64_e32 v[24:25], v[8:9], v[8:9]
	v_rsq_f64_e32 v[8:9], v[24:25]
	v_cmp_eq_f64_e64 s[2:3], 0, v[24:25]
	s_movk_i32 s18, 0x204
	v_cmp_le_f64_e32 vcc, 0, v[10:11]
	v_mul_f64 v[26:27], v[24:25], v[8:9]
	v_mul_f64 v[8:9], v[8:9], 0.5
	v_fma_f64 v[28:29], -v[8:9], v[26:27], 0.5
	v_fmac_f64_e32 v[26:27], v[26:27], v[28:29]
	v_fmac_f64_e32 v[8:9], v[8:9], v[28:29]
	v_fma_f64 v[28:29], -v[26:27], v[26:27], v[24:25]
	v_fmac_f64_e32 v[26:27], v[28:29], v[8:9]
	v_cndmask_b32_e64 v9, v27, v25, s[2:3]
	v_cndmask_b32_e64 v8, v26, v24, s[2:3]
	v_ldexp_f64 v[8:9], v[8:9], v15
	v_cmp_o_f64_e64 s[2:3], v[12:13], v[12:13]
	v_mov_b32_e32 v15, 0x7ff80000
                                        ; implicit-def: $vgpr26_vgpr27
	s_nop 0
	v_cndmask_b32_e64 v8, 0, v8, s[2:3]
	v_cndmask_b32_e64 v9, v15, v9, s[2:3]
	v_cmp_class_f64_e64 s[2:3], v[10:11], s18
	v_cmp_class_f64_e64 s[18:19], v[12:13], s18
	v_mov_b32_e32 v15, 0x7ff00000
	s_or_b64 s[2:3], s[18:19], s[2:3]
	v_cndmask_b32_e64 v25, v9, v15, s[2:3]
	v_cndmask_b32_e64 v24, v8, 0, s[2:3]
                                        ; implicit-def: $vgpr8_vgpr9
	s_and_saveexec_b64 s[2:3], vcc
	s_xor_b64 s[2:3], exec, s[2:3]
	s_cbranch_execz .LBB167_202
; %bb.201:
	v_add_f64 v[8:9], v[10:11], v[24:25]
	s_mov_b32 s18, 0
	v_mul_f64 v[8:9], v[8:9], 0.5
	s_brev_b32 s19, 8
	v_mov_b32_e32 v10, 0x100
	v_cmp_gt_f64_e32 vcc, s[18:19], v[8:9]
	v_mov_b32_e32 v15, 0x260
	s_nop 0
	v_cndmask_b32_e32 v10, 0, v10, vcc
	v_ldexp_f64 v[8:9], v[8:9], v10
	v_rsq_f64_e32 v[10:11], v[8:9]
	s_nop 0
	v_mul_f64 v[24:25], v[8:9], v[10:11]
	v_mul_f64 v[10:11], v[10:11], 0.5
	v_fma_f64 v[26:27], -v[10:11], v[24:25], 0.5
	v_fmac_f64_e32 v[24:25], v[24:25], v[26:27]
	v_fma_f64 v[28:29], -v[24:25], v[24:25], v[8:9]
	v_fmac_f64_e32 v[10:11], v[10:11], v[26:27]
	v_fmac_f64_e32 v[24:25], v[28:29], v[10:11]
	v_fma_f64 v[26:27], -v[24:25], v[24:25], v[8:9]
	v_fmac_f64_e32 v[24:25], v[26:27], v[10:11]
	v_mov_b32_e32 v10, 0xffffff80
	v_cndmask_b32_e32 v10, 0, v10, vcc
	v_ldexp_f64 v[10:11], v[24:25], v10
	v_cmp_class_f64_e32 vcc, v[8:9], v15
	s_nop 1
	v_cndmask_b32_e32 v27, v11, v9, vcc
	v_cndmask_b32_e32 v26, v10, v8, vcc
	v_add_f64 v[8:9], v[26:27], v[26:27]
	v_div_scale_f64 v[10:11], s[18:19], v[8:9], v[8:9], v[12:13]
	v_rcp_f64_e32 v[24:25], v[10:11]
	s_nop 0
	v_fma_f64 v[28:29], -v[10:11], v[24:25], 1.0
	v_fmac_f64_e32 v[24:25], v[24:25], v[28:29]
	v_fma_f64 v[28:29], -v[10:11], v[24:25], 1.0
	v_fmac_f64_e32 v[24:25], v[24:25], v[28:29]
	v_div_scale_f64 v[28:29], vcc, v[12:13], v[8:9], v[12:13]
	v_mul_f64 v[30:31], v[28:29], v[24:25]
	v_fma_f64 v[10:11], -v[10:11], v[30:31], v[28:29]
	s_nop 1
	v_div_fmas_f64 v[10:11], v[10:11], v[24:25], v[30:31]
	v_div_fixup_f64 v[8:9], v[10:11], v[8:9], v[12:13]
                                        ; implicit-def: $vgpr24_vgpr25
                                        ; implicit-def: $vgpr10_vgpr11
	s_andn2_saveexec_b64 s[2:3], s[2:3]
	s_cbranch_execz .LBB167_204
	s_branch .LBB167_203
.LBB167_202:
	s_andn2_saveexec_b64 s[2:3], s[2:3]
	s_cbranch_execz .LBB167_204
.LBB167_203:
	v_add_f64 v[8:9], v[24:25], -v[10:11]
	s_mov_b32 s18, 0
	v_mul_f64 v[8:9], v[8:9], 0.5
	s_brev_b32 s19, 8
	v_mov_b32_e32 v10, 0x100
	v_cmp_gt_f64_e32 vcc, s[18:19], v[8:9]
	v_mov_b32_e32 v15, 0x260
	s_nop 0
	v_cndmask_b32_e32 v10, 0, v10, vcc
	v_ldexp_f64 v[8:9], v[8:9], v10
	v_rsq_f64_e32 v[10:11], v[8:9]
	s_nop 0
	v_mul_f64 v[24:25], v[8:9], v[10:11]
	v_mul_f64 v[10:11], v[10:11], 0.5
	v_fma_f64 v[26:27], -v[10:11], v[24:25], 0.5
	v_fmac_f64_e32 v[24:25], v[24:25], v[26:27]
	v_fma_f64 v[28:29], -v[24:25], v[24:25], v[8:9]
	v_fmac_f64_e32 v[10:11], v[10:11], v[26:27]
	v_fmac_f64_e32 v[24:25], v[28:29], v[10:11]
	v_fma_f64 v[26:27], -v[24:25], v[24:25], v[8:9]
	v_fmac_f64_e32 v[24:25], v[26:27], v[10:11]
	v_mov_b32_e32 v10, 0xffffff80
	v_cndmask_b32_e32 v10, 0, v10, vcc
	v_ldexp_f64 v[10:11], v[24:25], v10
	v_cmp_class_f64_e32 vcc, v[8:9], v15
	v_and_b32_e32 v25, 0x7fffffff, v13
	v_mov_b32_e32 v24, v12
	v_cndmask_b32_e32 v9, v11, v9, vcc
	v_cndmask_b32_e32 v8, v10, v8, vcc
	v_add_f64 v[10:11], v[8:9], v[8:9]
	v_div_scale_f64 v[26:27], s[18:19], v[10:11], v[10:11], v[24:25]
	v_rcp_f64_e32 v[28:29], v[26:27]
	v_div_scale_f64 v[24:25], vcc, v[24:25], v[10:11], v[24:25]
	s_brev_b32 s18, -2
	v_fma_f64 v[30:31], -v[26:27], v[28:29], 1.0
	v_fmac_f64_e32 v[28:29], v[28:29], v[30:31]
	v_fma_f64 v[30:31], -v[26:27], v[28:29], 1.0
	v_fmac_f64_e32 v[28:29], v[28:29], v[30:31]
	v_mul_f64 v[30:31], v[24:25], v[28:29]
	v_fma_f64 v[24:25], -v[26:27], v[30:31], v[24:25]
	v_div_fmas_f64 v[24:25], v[24:25], v[28:29], v[30:31]
	v_div_fixup_f64 v[26:27], v[24:25], v[10:11], |v[12:13]|
	v_bfi_b32 v9, s18, v9, v13
.LBB167_204:
	s_or_b64 exec, exec, s[2:3]
                                        ; implicit-def: $vgpr12_vgpr13
                                        ; implicit-def: $vgpr24_vgpr25
	s_and_saveexec_b64 s[2:3], s[0:1]
	s_xor_b64 s[0:1], exec, s[2:3]
	s_cbranch_execz .LBB167_206
; %bb.205:
	v_mul_f64 v[10:11], v[26:27], 0.5
	v_mul_f64 v[12:13], v[8:9], 0.5
	v_cndmask_b32_e64 v25, v27, v11, s[16:17]
	v_cndmask_b32_e64 v24, v26, v10, s[16:17]
	;; [unrolled: 1-line block ×4, first 2 shown]
                                        ; implicit-def: $vgpr26_vgpr27
                                        ; implicit-def: $vgpr8_vgpr9
	s_andn2_saveexec_b64 s[0:1], s[0:1]
	s_cbranch_execnz .LBB167_207
	s_branch .LBB167_208
.LBB167_206:
	s_andn2_saveexec_b64 s[0:1], s[0:1]
.LBB167_207:
	v_add_f64 v[24:25], v[26:27], v[26:27]
	v_add_f64 v[12:13], v[8:9], v[8:9]
.LBB167_208:
	s_or_b64 exec, exec, s[0:1]
.LBB167_209:
	s_andn2_saveexec_b64 s[0:1], s[14:15]
	s_cbranch_execz .LBB167_215
; %bb.210:
	v_add_f64 v[8:9], v[12:13], -v[12:13]
	v_cmp_lt_i64_e32 vcc, -1, v[10:11]
	s_brev_b32 s14, -2
	v_and_b32_e32 v25, 0x7fffffff, v9
	v_mov_b32_e32 v24, v8
	s_and_saveexec_b64 s[2:3], vcc
	s_xor_b64 s[2:3], exec, s[2:3]
; %bb.211:
	v_bfi_b32 v9, s14, v9, v13
	v_mov_b64_e32 v[12:13], v[8:9]
	v_mov_b64_e32 v[24:25], v[10:11]
; %bb.212:
	s_andn2_saveexec_b64 s[2:3], s[2:3]
; %bb.213:
	v_bfi_b32 v11, s14, v11, v13
	v_mov_b64_e32 v[12:13], v[10:11]
; %bb.214:
	s_or_b64 exec, exec, s[2:3]
.LBB167_215:
	s_or_b64 exec, exec, s[0:1]
.LBB167_216:
	s_andn2_saveexec_b64 s[0:1], s[12:13]
	s_cbranch_execz .LBB167_218
; %bb.217:
	v_add_f64 v[8:9], v[12:13], -v[12:13]
	v_div_scale_f64 v[12:13], vcc, v[8:9], v[8:9], v[8:9]
	v_rcp_f64_e32 v[24:25], v[12:13]
	s_nop 0
	v_fma_f64 v[26:27], -v[12:13], v[24:25], 1.0
	v_fmac_f64_e32 v[24:25], v[24:25], v[26:27]
	v_fma_f64 v[26:27], -v[12:13], v[24:25], 1.0
	v_fmac_f64_e32 v[24:25], v[24:25], v[26:27]
	v_mul_f64 v[26:27], v[12:13], v[24:25]
	v_fma_f64 v[12:13], -v[12:13], v[26:27], v[12:13]
	v_div_fmas_f64 v[12:13], v[12:13], v[24:25], v[26:27]
	v_div_fixup_f64 v[12:13], v[12:13], v[8:9], v[8:9]
	v_mov_b64_e32 v[24:25], v[10:11]
.LBB167_218:
	s_or_b64 exec, exec, s[0:1]
.LBB167_219:
	s_or_b64 exec, exec, s[10:11]
.LBB167_220:
	s_or_b64 exec, exec, s[8:9]
	v_xor_b32_e32 v8, 0x80000000, v25
	v_cmp_gt_f64_e32 vcc, 0, v[24:25]
	v_mov_b32_e32 v28, v24
	v_mov_b32_e32 v26, v12
	v_cndmask_b32_e32 v29, v25, v8, vcc
	v_xor_b32_e32 v8, 0x80000000, v13
	v_cmp_gt_f64_e32 vcc, 0, v[12:13]
	s_nop 1
	v_cndmask_b32_e32 v27, v13, v8, vcc
	v_cmp_ge_f64_e32 vcc, v[28:29], v[26:27]
                                        ; implicit-def: $vgpr10_vgpr11
	s_and_saveexec_b64 s[0:1], vcc
	s_xor_b64 s[2:3], exec, s[0:1]
	s_cbranch_execz .LBB167_226
; %bb.221:
	v_cmp_neq_f64_e32 vcc, 0, v[24:25]
	v_cmp_neq_f64_e64 s[0:1], 0, v[12:13]
	s_or_b64 s[0:1], vcc, s[0:1]
                                        ; implicit-def: $vgpr10_vgpr11
	s_and_saveexec_b64 s[8:9], s[0:1]
	s_xor_b64 s[0:1], exec, s[8:9]
	s_cbranch_execz .LBB167_223
; %bb.222:
	v_div_scale_f64 v[8:9], s[8:9], v[24:25], v[24:25], v[12:13]
	v_rcp_f64_e32 v[10:11], v[8:9]
	v_div_scale_f64 v[26:27], vcc, v[12:13], v[24:25], v[12:13]
	v_fma_f64 v[28:29], -v[8:9], v[10:11], 1.0
	v_fmac_f64_e32 v[10:11], v[10:11], v[28:29]
	v_fma_f64 v[28:29], -v[8:9], v[10:11], 1.0
	v_fmac_f64_e32 v[10:11], v[10:11], v[28:29]
	v_mul_f64 v[28:29], v[26:27], v[10:11]
	v_fma_f64 v[8:9], -v[8:9], v[28:29], v[26:27]
	v_div_fmas_f64 v[8:9], v[8:9], v[10:11], v[28:29]
	v_div_fixup_f64 v[10:11], v[8:9], v[24:25], v[12:13]
	v_fmac_f64_e32 v[24:25], v[12:13], v[10:11]
	v_div_scale_f64 v[8:9], s[8:9], v[24:25], v[24:25], 1.0
	v_rcp_f64_e32 v[12:13], v[8:9]
	s_nop 0
	v_fma_f64 v[26:27], -v[8:9], v[12:13], 1.0
	v_fmac_f64_e32 v[12:13], v[12:13], v[26:27]
	v_fma_f64 v[26:27], -v[8:9], v[12:13], 1.0
	v_fmac_f64_e32 v[12:13], v[12:13], v[26:27]
	v_div_scale_f64 v[26:27], vcc, 1.0, v[24:25], 1.0
	v_mul_f64 v[28:29], v[26:27], v[12:13]
	v_fma_f64 v[8:9], -v[8:9], v[28:29], v[26:27]
                                        ; implicit-def: $vgpr26_vgpr27
	s_nop 1
	v_div_fmas_f64 v[8:9], v[8:9], v[12:13], v[28:29]
	v_div_fixup_f64 v[12:13], v[8:9], v[24:25], 1.0
	v_fma_f64 v[8:9], v[10:11], 0, 1.0
	v_add_f64 v[10:11], -v[10:11], 0
	v_mul_f64 v[8:9], v[8:9], v[12:13]
	v_mul_f64 v[10:11], v[10:11], v[12:13]
                                        ; implicit-def: $vgpr28_vgpr29
.LBB167_223:
	s_andn2_saveexec_b64 s[0:1], s[0:1]
	s_cbranch_execz .LBB167_225
; %bb.224:
	v_div_scale_f64 v[8:9], s[8:9], v[28:29], v[28:29], 1.0
	v_rcp_f64_e32 v[10:11], v[8:9]
	v_div_scale_f64 v[12:13], vcc, 1.0, v[28:29], 1.0
	v_fma_f64 v[24:25], -v[8:9], v[10:11], 1.0
	v_fmac_f64_e32 v[10:11], v[10:11], v[24:25]
	v_fma_f64 v[24:25], -v[8:9], v[10:11], 1.0
	v_fmac_f64_e32 v[10:11], v[10:11], v[24:25]
	v_mul_f64 v[24:25], v[12:13], v[10:11]
	v_fma_f64 v[8:9], -v[8:9], v[24:25], v[12:13]
	v_div_scale_f64 v[12:13], s[8:9], v[26:27], v[26:27], 0
	v_rcp_f64_e32 v[30:31], v[12:13]
	v_div_fmas_f64 v[8:9], v[8:9], v[10:11], v[24:25]
	v_div_fixup_f64 v[8:9], v[8:9], v[28:29], 1.0
	v_fma_f64 v[10:11], -v[12:13], v[30:31], 1.0
	v_fmac_f64_e32 v[30:31], v[30:31], v[10:11]
	v_fma_f64 v[10:11], -v[12:13], v[30:31], 1.0
	v_fmac_f64_e32 v[30:31], v[30:31], v[10:11]
	v_div_scale_f64 v[10:11], vcc, 0, v[26:27], 0
	v_mul_f64 v[24:25], v[10:11], v[30:31]
	v_fma_f64 v[10:11], -v[12:13], v[24:25], v[10:11]
	s_nop 1
	v_div_fmas_f64 v[10:11], v[10:11], v[30:31], v[24:25]
	v_div_fixup_f64 v[10:11], v[10:11], v[26:27], 0
.LBB167_225:
	s_or_b64 exec, exec, s[0:1]
                                        ; implicit-def: $vgpr12_vgpr13
                                        ; implicit-def: $vgpr24_vgpr25
.LBB167_226:
	s_andn2_saveexec_b64 s[0:1], s[2:3]
	s_cbranch_execz .LBB167_228
; %bb.227:
	v_div_scale_f64 v[8:9], s[2:3], v[12:13], v[12:13], v[24:25]
	v_rcp_f64_e32 v[10:11], v[8:9]
	v_div_scale_f64 v[26:27], vcc, v[24:25], v[12:13], v[24:25]
	v_fma_f64 v[28:29], -v[8:9], v[10:11], 1.0
	v_fmac_f64_e32 v[10:11], v[10:11], v[28:29]
	v_fma_f64 v[28:29], -v[8:9], v[10:11], 1.0
	v_fmac_f64_e32 v[10:11], v[10:11], v[28:29]
	v_mul_f64 v[28:29], v[26:27], v[10:11]
	v_fma_f64 v[8:9], -v[8:9], v[28:29], v[26:27]
	v_div_fmas_f64 v[8:9], v[8:9], v[10:11], v[28:29]
	v_div_fixup_f64 v[10:11], v[8:9], v[12:13], v[24:25]
	v_fmac_f64_e32 v[12:13], v[24:25], v[10:11]
	v_div_scale_f64 v[8:9], s[2:3], v[12:13], v[12:13], 1.0
	v_rcp_f64_e32 v[24:25], v[8:9]
	s_nop 0
	v_fma_f64 v[26:27], -v[8:9], v[24:25], 1.0
	v_fmac_f64_e32 v[24:25], v[24:25], v[26:27]
	v_fma_f64 v[26:27], -v[8:9], v[24:25], 1.0
	v_fmac_f64_e32 v[24:25], v[24:25], v[26:27]
	v_div_scale_f64 v[26:27], vcc, 1.0, v[12:13], 1.0
	v_mul_f64 v[28:29], v[26:27], v[24:25]
	v_fma_f64 v[8:9], -v[8:9], v[28:29], v[26:27]
	s_nop 1
	v_div_fmas_f64 v[8:9], v[8:9], v[24:25], v[28:29]
	v_div_fixup_f64 v[12:13], v[8:9], v[12:13], 1.0
	v_add_f64 v[8:9], v[10:11], 0
	v_fma_f64 v[10:11], v[10:11], 0, -1.0
	v_mul_f64 v[8:9], v[8:9], v[12:13]
	v_mul_f64 v[10:11], v[10:11], v[12:13]
.LBB167_228:
	s_or_b64 exec, exec, s[0:1]
	global_load_dwordx4 v[12:15], v14, s[6:7]
	v_mov_b64_e32 v[24:25], 0
	s_waitcnt vmcnt(0)
	v_cmp_neq_f64_e32 vcc, 0, v[12:13]
	v_cmp_neq_f64_e64 s[0:1], 0, v[14:15]
	s_or_b64 s[0:1], vcc, s[0:1]
	s_and_saveexec_b64 s[6:7], s[0:1]
	s_cbranch_execz .LBB167_258
; %bb.229:
	v_mov_b32_e32 v24, 0
	v_mov_b32_e32 v25, 0x7ff00000
	v_cmp_neq_f64_e64 s[0:1], |v[14:15]|, v[24:25]
	s_and_saveexec_b64 s[8:9], s[0:1]
	s_cbranch_execz .LBB167_257
; %bb.230:
	v_cmp_o_f64_e32 vcc, v[12:13], v[12:13]
                                        ; implicit-def: $vgpr24_vgpr25
	s_and_saveexec_b64 s[0:1], vcc
	s_xor_b64 s[10:11], exec, s[0:1]
	s_cbranch_execz .LBB167_254
; %bb.231:
	s_mov_b32 s0, 0
	s_mov_b32 s1, 0x7ff00000
	v_cmp_neq_f64_e64 s[0:1], |v[12:13]|, s[0:1]
                                        ; implicit-def: $vgpr24_vgpr25
	s_and_saveexec_b64 s[2:3], s[0:1]
	s_xor_b64 s[12:13], exec, s[2:3]
	s_cbranch_execz .LBB167_247
; %bb.232:
	v_max_f64 v[24:25], |v[14:15]|, |v[14:15]|
	v_max_f64 v[26:27], |v[12:13]|, |v[12:13]|
	s_mov_b32 s0, 0x99fcef32
	v_max_f64 v[24:25], v[26:27], v[24:25]
	s_mov_b32 s1, 0x7fda8279
	v_cmp_nle_f64_e64 s[0:1], s[0:1], v[24:25]
                                        ; implicit-def: $sgpr14_sgpr15
	s_and_saveexec_b64 s[2:3], s[0:1]
	s_xor_b64 s[2:3], exec, s[2:3]
	s_cbranch_execz .LBB167_236
; %bb.233:
	s_mov_b32 s14, 0
	s_mov_b32 s15, 0x200000
	v_cmp_le_f64_e64 s[16:17], |v[12:13]|, s[14:15]
	v_cmp_le_f64_e64 s[14:15], |v[14:15]|, s[14:15]
	s_and_b64 s[18:19], s[16:17], s[14:15]
	s_mov_b64 s[14:15], 0
	s_and_saveexec_b64 s[16:17], s[18:19]
; %bb.234:
	s_mov_b64 s[14:15], exec
	v_mul_f64 v[14:15], v[14:15], 4.0
	v_mul_f64 v[12:13], v[12:13], 4.0
; %bb.235:
	s_or_b64 exec, exec, s[16:17]
.LBB167_236:
	s_andn2_saveexec_b64 s[2:3], s[2:3]
; %bb.237:
	v_ldexp_f64 v[12:13], v[12:13], -2
	v_ldexp_f64 v[14:15], v[14:15], -2
	s_andn2_b64 s[14:15], s[14:15], exec
; %bb.238:
	s_or_b64 exec, exec, s[2:3]
	v_max_f64 v[24:25], |v[14:15]|, |v[14:15]|
	v_max_f64 v[26:27], |v[12:13]|, |v[12:13]|
	v_max_f64 v[24:25], v[26:27], v[24:25]
	v_frexp_exp_i32_f64_e32 v17, v[24:25]
	v_sub_u32_e32 v19, 0, v17
	v_ldexp_f64 v[26:27], |v[14:15]|, v19
	v_ldexp_f64 v[24:25], |v[12:13]|, v19
	v_mul_f64 v[26:27], v[26:27], v[26:27]
	v_fmac_f64_e32 v[26:27], v[24:25], v[24:25]
	v_rsq_f64_e32 v[24:25], v[26:27]
	v_cmp_eq_f64_e64 s[2:3], 0, v[26:27]
	v_mov_b32_e32 v19, 0x7ff80000
	s_movk_i32 s16, 0x204
	v_mul_f64 v[28:29], v[26:27], v[24:25]
	v_mul_f64 v[24:25], v[24:25], 0.5
	v_fma_f64 v[30:31], -v[24:25], v[28:29], 0.5
	v_fmac_f64_e32 v[28:29], v[28:29], v[30:31]
	v_fmac_f64_e32 v[24:25], v[24:25], v[30:31]
	v_fma_f64 v[30:31], -v[28:29], v[28:29], v[26:27]
	v_fmac_f64_e32 v[28:29], v[30:31], v[24:25]
	v_cndmask_b32_e64 v25, v29, v27, s[2:3]
	v_cndmask_b32_e64 v24, v28, v26, s[2:3]
	v_ldexp_f64 v[24:25], v[24:25], v17
	v_cmp_o_f64_e64 s[2:3], v[14:15], v[14:15]
	v_mov_b32_e32 v21, 0x7ff00000
	v_cmp_le_f64_e32 vcc, 0, v[12:13]
	v_cndmask_b32_e64 v17, 0, v24, s[2:3]
	v_cndmask_b32_e64 v19, v19, v25, s[2:3]
	v_cmp_class_f64_e64 s[2:3], v[12:13], s16
	v_cmp_class_f64_e64 s[16:17], v[14:15], s16
	s_or_b64 s[2:3], s[16:17], s[2:3]
	v_cndmask_b32_e64 v25, v19, v21, s[2:3]
	v_cndmask_b32_e64 v24, v17, 0, s[2:3]
                                        ; implicit-def: $vgpr26_vgpr27
                                        ; implicit-def: $vgpr28_vgpr29
	s_and_saveexec_b64 s[2:3], vcc
	s_xor_b64 s[2:3], exec, s[2:3]
	s_cbranch_execz .LBB167_240
; %bb.239:
	v_add_f64 v[12:13], v[12:13], v[24:25]
	s_mov_b32 s16, 0
	v_mul_f64 v[12:13], v[12:13], 0.5
	s_brev_b32 s17, 8
	v_mov_b32_e32 v17, 0x100
	v_cmp_gt_f64_e32 vcc, s[16:17], v[12:13]
	s_nop 1
	v_cndmask_b32_e32 v17, 0, v17, vcc
	v_ldexp_f64 v[12:13], v[12:13], v17
	v_rsq_f64_e32 v[24:25], v[12:13]
	v_mov_b32_e32 v17, 0xffffff80
	v_cndmask_b32_e32 v17, 0, v17, vcc
	v_mul_f64 v[26:27], v[12:13], v[24:25]
	v_mul_f64 v[24:25], v[24:25], 0.5
	v_fma_f64 v[28:29], -v[24:25], v[26:27], 0.5
	v_fmac_f64_e32 v[26:27], v[26:27], v[28:29]
	v_fma_f64 v[30:31], -v[26:27], v[26:27], v[12:13]
	v_fmac_f64_e32 v[24:25], v[24:25], v[28:29]
	v_fmac_f64_e32 v[26:27], v[30:31], v[24:25]
	v_fma_f64 v[28:29], -v[26:27], v[26:27], v[12:13]
	v_fmac_f64_e32 v[26:27], v[28:29], v[24:25]
	v_ldexp_f64 v[24:25], v[26:27], v17
	v_mov_b32_e32 v17, 0x260
	v_cmp_class_f64_e32 vcc, v[12:13], v17
	s_nop 1
	v_cndmask_b32_e32 v29, v25, v13, vcc
	v_cndmask_b32_e32 v28, v24, v12, vcc
	v_add_f64 v[12:13], v[28:29], v[28:29]
	v_div_scale_f64 v[24:25], s[16:17], v[12:13], v[12:13], v[14:15]
	v_rcp_f64_e32 v[26:27], v[24:25]
	s_nop 0
	v_fma_f64 v[30:31], -v[24:25], v[26:27], 1.0
	v_fmac_f64_e32 v[26:27], v[26:27], v[30:31]
	v_fma_f64 v[30:31], -v[24:25], v[26:27], 1.0
	v_fmac_f64_e32 v[26:27], v[26:27], v[30:31]
	v_div_scale_f64 v[30:31], vcc, v[14:15], v[12:13], v[14:15]
	v_mul_f64 v[32:33], v[30:31], v[26:27]
	v_fma_f64 v[24:25], -v[24:25], v[32:33], v[30:31]
	s_nop 1
	v_div_fmas_f64 v[24:25], v[24:25], v[26:27], v[32:33]
	v_div_fixup_f64 v[26:27], v[24:25], v[12:13], v[14:15]
                                        ; implicit-def: $vgpr24_vgpr25
                                        ; implicit-def: $vgpr12_vgpr13
	s_andn2_saveexec_b64 s[2:3], s[2:3]
	s_cbranch_execz .LBB167_242
	s_branch .LBB167_241
.LBB167_240:
	s_andn2_saveexec_b64 s[2:3], s[2:3]
	s_cbranch_execz .LBB167_242
.LBB167_241:
	v_add_f64 v[12:13], v[24:25], -v[12:13]
	s_mov_b32 s16, 0
	v_mul_f64 v[12:13], v[12:13], 0.5
	s_brev_b32 s17, 8
	v_mov_b32_e32 v17, 0x100
	v_cmp_gt_f64_e32 vcc, s[16:17], v[12:13]
	s_nop 1
	v_cndmask_b32_e32 v17, 0, v17, vcc
	v_ldexp_f64 v[12:13], v[12:13], v17
	v_rsq_f64_e32 v[24:25], v[12:13]
	v_mov_b32_e32 v17, 0xffffff80
	v_cndmask_b32_e32 v17, 0, v17, vcc
	v_mul_f64 v[26:27], v[12:13], v[24:25]
	v_mul_f64 v[24:25], v[24:25], 0.5
	v_fma_f64 v[28:29], -v[24:25], v[26:27], 0.5
	v_fmac_f64_e32 v[26:27], v[26:27], v[28:29]
	v_fma_f64 v[30:31], -v[26:27], v[26:27], v[12:13]
	v_fmac_f64_e32 v[24:25], v[24:25], v[28:29]
	v_fmac_f64_e32 v[26:27], v[30:31], v[24:25]
	v_fma_f64 v[28:29], -v[26:27], v[26:27], v[12:13]
	v_fmac_f64_e32 v[26:27], v[28:29], v[24:25]
	v_ldexp_f64 v[24:25], v[26:27], v17
	v_mov_b32_e32 v17, 0x260
	v_cmp_class_f64_e32 vcc, v[12:13], v17
	s_nop 1
	v_cndmask_b32_e32 v27, v25, v13, vcc
	v_cndmask_b32_e32 v26, v24, v12, vcc
	v_add_f64 v[12:13], v[26:27], v[26:27]
	v_and_b32_e32 v25, 0x7fffffff, v15
	v_mov_b32_e32 v24, v14
	v_div_scale_f64 v[28:29], s[16:17], v[12:13], v[12:13], v[24:25]
	v_rcp_f64_e32 v[30:31], v[28:29]
	v_div_scale_f64 v[24:25], vcc, v[24:25], v[12:13], v[24:25]
	s_brev_b32 s16, -2
	v_fma_f64 v[32:33], -v[28:29], v[30:31], 1.0
	v_fmac_f64_e32 v[30:31], v[30:31], v[32:33]
	v_fma_f64 v[32:33], -v[28:29], v[30:31], 1.0
	v_fmac_f64_e32 v[30:31], v[30:31], v[32:33]
	v_mul_f64 v[32:33], v[24:25], v[30:31]
	v_fma_f64 v[24:25], -v[28:29], v[32:33], v[24:25]
	v_div_fmas_f64 v[24:25], v[24:25], v[30:31], v[32:33]
	v_div_fixup_f64 v[28:29], v[24:25], v[12:13], |v[14:15]|
	v_bfi_b32 v27, s16, v27, v15
.LBB167_242:
	s_or_b64 exec, exec, s[2:3]
                                        ; implicit-def: $vgpr14_vgpr15
                                        ; implicit-def: $vgpr24_vgpr25
	s_and_saveexec_b64 s[2:3], s[0:1]
	s_xor_b64 s[0:1], exec, s[2:3]
	s_cbranch_execz .LBB167_244
; %bb.243:
	v_mul_f64 v[12:13], v[28:29], 0.5
	v_mul_f64 v[14:15], v[26:27], 0.5
	v_cndmask_b32_e64 v25, v29, v13, s[14:15]
	v_cndmask_b32_e64 v24, v28, v12, s[14:15]
	;; [unrolled: 1-line block ×4, first 2 shown]
                                        ; implicit-def: $vgpr28_vgpr29
                                        ; implicit-def: $vgpr26_vgpr27
	s_andn2_saveexec_b64 s[0:1], s[0:1]
	s_cbranch_execnz .LBB167_245
	s_branch .LBB167_246
.LBB167_244:
	s_andn2_saveexec_b64 s[0:1], s[0:1]
.LBB167_245:
	v_add_f64 v[24:25], v[28:29], v[28:29]
	v_add_f64 v[14:15], v[26:27], v[26:27]
.LBB167_246:
	s_or_b64 exec, exec, s[0:1]
.LBB167_247:
	s_andn2_saveexec_b64 s[0:1], s[12:13]
	s_cbranch_execz .LBB167_253
; %bb.248:
	v_add_f64 v[26:27], v[14:15], -v[14:15]
	v_cmp_lt_i64_e32 vcc, -1, v[12:13]
	s_brev_b32 s12, -2
	v_and_b32_e32 v25, 0x7fffffff, v27
	v_mov_b32_e32 v24, v26
	s_and_saveexec_b64 s[2:3], vcc
	s_xor_b64 s[2:3], exec, s[2:3]
; %bb.249:
	v_bfi_b32 v27, s12, v27, v15
	v_mov_b64_e32 v[14:15], v[26:27]
	v_mov_b64_e32 v[24:25], v[12:13]
; %bb.250:
	s_andn2_saveexec_b64 s[2:3], s[2:3]
; %bb.251:
	v_bfi_b32 v13, s12, v13, v15
	v_mov_b64_e32 v[14:15], v[12:13]
; %bb.252:
	s_or_b64 exec, exec, s[2:3]
.LBB167_253:
	s_or_b64 exec, exec, s[0:1]
.LBB167_254:
	s_andn2_saveexec_b64 s[0:1], s[10:11]
	s_cbranch_execz .LBB167_256
; %bb.255:
	v_add_f64 v[14:15], v[14:15], -v[14:15]
	v_div_scale_f64 v[24:25], vcc, v[14:15], v[14:15], v[14:15]
	v_rcp_f64_e32 v[26:27], v[24:25]
	s_nop 0
	v_fma_f64 v[28:29], -v[24:25], v[26:27], 1.0
	v_fmac_f64_e32 v[26:27], v[26:27], v[28:29]
	v_fma_f64 v[28:29], -v[24:25], v[26:27], 1.0
	v_fmac_f64_e32 v[26:27], v[26:27], v[28:29]
	v_mul_f64 v[28:29], v[24:25], v[26:27]
	v_fma_f64 v[24:25], -v[24:25], v[28:29], v[24:25]
	v_div_fmas_f64 v[24:25], v[24:25], v[26:27], v[28:29]
	v_div_fixup_f64 v[14:15], v[24:25], v[14:15], v[14:15]
	v_mov_b64_e32 v[24:25], v[12:13]
.LBB167_256:
	s_or_b64 exec, exec, s[0:1]
.LBB167_257:
	s_or_b64 exec, exec, s[8:9]
.LBB167_258:
	s_or_b64 exec, exec, s[6:7]
	v_xor_b32_e32 v12, 0x80000000, v25
	v_cmp_gt_f64_e32 vcc, 0, v[24:25]
	v_mov_b32_e32 v30, v24
	v_mov_b32_e32 v28, v14
	v_cndmask_b32_e32 v31, v25, v12, vcc
	v_xor_b32_e32 v12, 0x80000000, v15
	v_cmp_gt_f64_e32 vcc, 0, v[14:15]
                                        ; implicit-def: $vgpr26_vgpr27
	s_nop 1
	v_cndmask_b32_e32 v29, v15, v12, vcc
	v_cmp_ge_f64_e32 vcc, v[30:31], v[28:29]
                                        ; implicit-def: $vgpr12_vgpr13
	s_and_saveexec_b64 s[0:1], vcc
	s_xor_b64 s[2:3], exec, s[0:1]
	s_cbranch_execz .LBB167_264
; %bb.259:
	v_cmp_neq_f64_e32 vcc, 0, v[24:25]
	v_cmp_neq_f64_e64 s[0:1], 0, v[14:15]
	s_or_b64 s[0:1], vcc, s[0:1]
                                        ; implicit-def: $vgpr12_vgpr13
                                        ; implicit-def: $vgpr26_vgpr27
	s_and_saveexec_b64 s[6:7], s[0:1]
	s_xor_b64 s[0:1], exec, s[6:7]
	s_cbranch_execz .LBB167_261
; %bb.260:
	v_div_scale_f64 v[12:13], s[6:7], v[24:25], v[24:25], v[14:15]
	v_rcp_f64_e32 v[26:27], v[12:13]
	v_div_scale_f64 v[28:29], vcc, v[14:15], v[24:25], v[14:15]
	v_fma_f64 v[30:31], -v[12:13], v[26:27], 1.0
	v_fmac_f64_e32 v[26:27], v[26:27], v[30:31]
	v_fma_f64 v[30:31], -v[12:13], v[26:27], 1.0
	v_fmac_f64_e32 v[26:27], v[26:27], v[30:31]
	v_mul_f64 v[30:31], v[28:29], v[26:27]
	v_fma_f64 v[12:13], -v[12:13], v[30:31], v[28:29]
	v_div_fmas_f64 v[12:13], v[12:13], v[26:27], v[30:31]
	v_div_fixup_f64 v[12:13], v[12:13], v[24:25], v[14:15]
	v_fmac_f64_e32 v[24:25], v[14:15], v[12:13]
	v_div_scale_f64 v[14:15], s[6:7], v[24:25], v[24:25], 1.0
	v_rcp_f64_e32 v[26:27], v[14:15]
	s_nop 0
	v_fma_f64 v[28:29], -v[14:15], v[26:27], 1.0
	v_fmac_f64_e32 v[26:27], v[26:27], v[28:29]
	v_fma_f64 v[28:29], -v[14:15], v[26:27], 1.0
	v_fmac_f64_e32 v[26:27], v[26:27], v[28:29]
	v_div_scale_f64 v[28:29], vcc, 1.0, v[24:25], 1.0
	v_mul_f64 v[30:31], v[28:29], v[26:27]
	v_fma_f64 v[14:15], -v[14:15], v[30:31], v[28:29]
                                        ; implicit-def: $vgpr28_vgpr29
	s_nop 1
	v_div_fmas_f64 v[14:15], v[14:15], v[26:27], v[30:31]
	v_div_fixup_f64 v[14:15], v[14:15], v[24:25], 1.0
	v_fma_f64 v[24:25], v[12:13], 0, 1.0
	v_add_f64 v[12:13], -v[12:13], 0
	v_mul_f64 v[26:27], v[24:25], v[14:15]
	v_mul_f64 v[12:13], v[12:13], v[14:15]
                                        ; implicit-def: $vgpr30_vgpr31
.LBB167_261:
	s_andn2_saveexec_b64 s[0:1], s[0:1]
	s_cbranch_execz .LBB167_263
; %bb.262:
	v_div_scale_f64 v[12:13], s[6:7], v[30:31], v[30:31], 1.0
	v_rcp_f64_e32 v[14:15], v[12:13]
	v_div_scale_f64 v[24:25], vcc, 1.0, v[30:31], 1.0
	v_fma_f64 v[26:27], -v[12:13], v[14:15], 1.0
	v_fmac_f64_e32 v[14:15], v[14:15], v[26:27]
	v_fma_f64 v[26:27], -v[12:13], v[14:15], 1.0
	v_fmac_f64_e32 v[14:15], v[14:15], v[26:27]
	v_mul_f64 v[26:27], v[24:25], v[14:15]
	v_fma_f64 v[12:13], -v[12:13], v[26:27], v[24:25]
	v_div_scale_f64 v[24:25], s[6:7], v[28:29], v[28:29], 0
	v_rcp_f64_e32 v[32:33], v[24:25]
	v_div_fmas_f64 v[12:13], v[12:13], v[14:15], v[26:27]
	v_div_fixup_f64 v[26:27], v[12:13], v[30:31], 1.0
	v_fma_f64 v[12:13], -v[24:25], v[32:33], 1.0
	v_fmac_f64_e32 v[32:33], v[32:33], v[12:13]
	v_fma_f64 v[12:13], -v[24:25], v[32:33], 1.0
	v_fmac_f64_e32 v[32:33], v[32:33], v[12:13]
	v_div_scale_f64 v[12:13], vcc, 0, v[28:29], 0
	v_mul_f64 v[14:15], v[12:13], v[32:33]
	v_fma_f64 v[12:13], -v[24:25], v[14:15], v[12:13]
	s_nop 1
	v_div_fmas_f64 v[12:13], v[12:13], v[32:33], v[14:15]
	v_div_fixup_f64 v[12:13], v[12:13], v[28:29], 0
.LBB167_263:
	s_or_b64 exec, exec, s[0:1]
                                        ; implicit-def: $vgpr14_vgpr15
                                        ; implicit-def: $vgpr24_vgpr25
.LBB167_264:
	s_andn2_saveexec_b64 s[0:1], s[2:3]
	s_cbranch_execz .LBB167_266
; %bb.265:
	v_div_scale_f64 v[12:13], s[2:3], v[14:15], v[14:15], v[24:25]
	v_rcp_f64_e32 v[26:27], v[12:13]
	v_div_scale_f64 v[28:29], vcc, v[24:25], v[14:15], v[24:25]
	v_fma_f64 v[30:31], -v[12:13], v[26:27], 1.0
	v_fmac_f64_e32 v[26:27], v[26:27], v[30:31]
	v_fma_f64 v[30:31], -v[12:13], v[26:27], 1.0
	v_fmac_f64_e32 v[26:27], v[26:27], v[30:31]
	v_mul_f64 v[30:31], v[28:29], v[26:27]
	v_fma_f64 v[12:13], -v[12:13], v[30:31], v[28:29]
	v_div_fmas_f64 v[12:13], v[12:13], v[26:27], v[30:31]
	v_div_fixup_f64 v[12:13], v[12:13], v[14:15], v[24:25]
	v_fmac_f64_e32 v[14:15], v[24:25], v[12:13]
	v_div_scale_f64 v[24:25], s[2:3], v[14:15], v[14:15], 1.0
	v_rcp_f64_e32 v[26:27], v[24:25]
	s_nop 0
	v_fma_f64 v[28:29], -v[24:25], v[26:27], 1.0
	v_fmac_f64_e32 v[26:27], v[26:27], v[28:29]
	v_fma_f64 v[28:29], -v[24:25], v[26:27], 1.0
	v_fmac_f64_e32 v[26:27], v[26:27], v[28:29]
	v_div_scale_f64 v[28:29], vcc, 1.0, v[14:15], 1.0
	v_mul_f64 v[30:31], v[28:29], v[26:27]
	v_fma_f64 v[24:25], -v[24:25], v[30:31], v[28:29]
	s_nop 1
	v_div_fmas_f64 v[24:25], v[24:25], v[26:27], v[30:31]
	v_div_fixup_f64 v[14:15], v[24:25], v[14:15], 1.0
	v_add_f64 v[24:25], v[12:13], 0
	v_fma_f64 v[12:13], v[12:13], 0, -1.0
	v_mul_f64 v[26:27], v[24:25], v[14:15]
	v_mul_f64 v[12:13], v[12:13], v[14:15]
.LBB167_266:
	s_or_b64 exec, exec, s[0:1]
	v_mov_b32_e32 v23, 0
	v_lshl_add_u64 v[14:15], s[4:5], 0, v[22:23]
	s_or_b64 s[24:25], s[24:25], exec
	global_store_dwordx4 v16, v[0:3], s[4:5]
	global_store_dwordx4 v18, v[4:7], s[4:5]
	;; [unrolled: 1-line block ×3, first 2 shown]
	global_store_dwordx2 v22, v[26:27], s[4:5]
	s_or_b64 exec, exec, s[26:27]
	s_and_saveexec_b64 s[0:1], s[24:25]
	s_cbranch_execnz .LBB167_434
.LBB167_267:
	s_endpgm
.LBB167_268:
	s_andn2_saveexec_b64 s[2:3], s[2:3]
	s_cbranch_execz .LBB167_270
.LBB167_269:
	v_add_f64 v[0:1], v[10:11], -v[0:1]
	s_mov_b32 s14, 0
	v_mul_f64 v[0:1], v[0:1], 0.5
	s_brev_b32 s15, 8
	v_mov_b32_e32 v4, 0x100
	v_cmp_gt_f64_e32 vcc, s[14:15], v[0:1]
	s_nop 1
	v_cndmask_b32_e32 v4, 0, v4, vcc
	v_ldexp_f64 v[0:1], v[0:1], v4
	v_rsq_f64_e32 v[4:5], v[0:1]
	s_nop 0
	v_mul_f64 v[6:7], v[0:1], v[4:5]
	v_mul_f64 v[4:5], v[4:5], 0.5
	v_fma_f64 v[10:11], -v[4:5], v[6:7], 0.5
	v_fmac_f64_e32 v[6:7], v[6:7], v[10:11]
	v_fma_f64 v[12:13], -v[6:7], v[6:7], v[0:1]
	v_fmac_f64_e32 v[4:5], v[4:5], v[10:11]
	v_fmac_f64_e32 v[6:7], v[12:13], v[4:5]
	v_fma_f64 v[10:11], -v[6:7], v[6:7], v[0:1]
	v_fmac_f64_e32 v[6:7], v[10:11], v[4:5]
	v_mov_b32_e32 v4, 0xffffff80
	v_cndmask_b32_e32 v4, 0, v4, vcc
	v_ldexp_f64 v[4:5], v[6:7], v4
	v_mov_b32_e32 v6, 0x260
	v_cmp_class_f64_e32 vcc, v[0:1], v6
	v_and_b32_e32 v7, 0x7fffffff, v3
	v_mov_b32_e32 v6, v2
	v_cndmask_b32_e32 v5, v5, v1, vcc
	v_cndmask_b32_e32 v4, v4, v0, vcc
	v_add_f64 v[0:1], v[4:5], v[4:5]
	v_div_scale_f64 v[10:11], s[14:15], v[0:1], v[0:1], v[6:7]
	v_rcp_f64_e32 v[12:13], v[10:11]
	v_div_scale_f64 v[6:7], vcc, v[6:7], v[0:1], v[6:7]
	s_brev_b32 s14, -2
	v_fma_f64 v[14:15], -v[10:11], v[12:13], 1.0
	v_fmac_f64_e32 v[12:13], v[12:13], v[14:15]
	v_fma_f64 v[14:15], -v[10:11], v[12:13], 1.0
	v_fmac_f64_e32 v[12:13], v[12:13], v[14:15]
	v_mul_f64 v[14:15], v[6:7], v[12:13]
	v_fma_f64 v[6:7], -v[10:11], v[14:15], v[6:7]
	v_div_fmas_f64 v[6:7], v[6:7], v[12:13], v[14:15]
	v_div_fixup_f64 v[6:7], v[6:7], v[0:1], |v[2:3]|
	v_bfi_b32 v5, s14, v5, v3
.LBB167_270:
	s_or_b64 exec, exec, s[2:3]
                                        ; implicit-def: $vgpr2_vgpr3
                                        ; implicit-def: $vgpr10_vgpr11
	s_and_saveexec_b64 s[2:3], s[0:1]
	s_xor_b64 s[0:1], exec, s[2:3]
	s_cbranch_execz .LBB167_276
; %bb.271:
	v_mul_f64 v[0:1], v[6:7], 0.5
	v_mul_f64 v[2:3], v[4:5], 0.5
	v_cndmask_b32_e64 v11, v7, v1, s[12:13]
	v_cndmask_b32_e64 v10, v6, v0, s[12:13]
	;; [unrolled: 1-line block ×4, first 2 shown]
                                        ; implicit-def: $vgpr6_vgpr7
                                        ; implicit-def: $vgpr4_vgpr5
	s_andn2_saveexec_b64 s[0:1], s[0:1]
	s_cbranch_execnz .LBB167_277
	s_branch .LBB167_278
.LBB167_272:
	s_andn2_saveexec_b64 s[2:3], s[2:3]
	s_cbranch_execz .LBB167_274
.LBB167_273:
	v_add_f64 v[0:1], v[10:11], -v[0:1]
	s_mov_b32 s14, 0
	v_mul_f64 v[0:1], v[0:1], 0.5
	s_brev_b32 s15, 8
	v_mov_b32_e32 v4, 0x100
	v_cmp_gt_f64_e32 vcc, s[14:15], v[0:1]
	s_nop 1
	v_cndmask_b32_e32 v4, 0, v4, vcc
	v_ldexp_f64 v[0:1], v[0:1], v4
	v_rsq_f64_e32 v[4:5], v[0:1]
	s_nop 0
	v_mul_f64 v[6:7], v[0:1], v[4:5]
	v_mul_f64 v[4:5], v[4:5], 0.5
	v_fma_f64 v[10:11], -v[4:5], v[6:7], 0.5
	v_fmac_f64_e32 v[6:7], v[6:7], v[10:11]
	v_fma_f64 v[12:13], -v[6:7], v[6:7], v[0:1]
	v_fmac_f64_e32 v[4:5], v[4:5], v[10:11]
	v_fmac_f64_e32 v[6:7], v[12:13], v[4:5]
	v_fma_f64 v[10:11], -v[6:7], v[6:7], v[0:1]
	v_fmac_f64_e32 v[6:7], v[10:11], v[4:5]
	v_mov_b32_e32 v4, 0xffffff80
	v_cndmask_b32_e32 v4, 0, v4, vcc
	v_ldexp_f64 v[4:5], v[6:7], v4
	v_mov_b32_e32 v6, 0x260
	v_cmp_class_f64_e32 vcc, v[0:1], v6
	v_and_b32_e32 v7, 0x7fffffff, v3
	v_mov_b32_e32 v6, v2
	v_cndmask_b32_e32 v5, v5, v1, vcc
	v_cndmask_b32_e32 v4, v4, v0, vcc
	v_add_f64 v[0:1], v[4:5], v[4:5]
	v_div_scale_f64 v[10:11], s[14:15], v[0:1], v[0:1], v[6:7]
	v_rcp_f64_e32 v[12:13], v[10:11]
	v_div_scale_f64 v[6:7], vcc, v[6:7], v[0:1], v[6:7]
	s_brev_b32 s14, -2
	v_fma_f64 v[14:15], -v[10:11], v[12:13], 1.0
	v_fmac_f64_e32 v[12:13], v[12:13], v[14:15]
	v_fma_f64 v[14:15], -v[10:11], v[12:13], 1.0
	v_fmac_f64_e32 v[12:13], v[12:13], v[14:15]
	v_mul_f64 v[14:15], v[6:7], v[12:13]
	v_fma_f64 v[6:7], -v[10:11], v[14:15], v[6:7]
	v_div_fmas_f64 v[6:7], v[6:7], v[12:13], v[14:15]
	v_div_fixup_f64 v[6:7], v[6:7], v[0:1], |v[2:3]|
	v_bfi_b32 v5, s14, v5, v3
.LBB167_274:
	s_or_b64 exec, exec, s[2:3]
                                        ; implicit-def: $vgpr2_vgpr3
                                        ; implicit-def: $vgpr10_vgpr11
	s_and_saveexec_b64 s[2:3], s[0:1]
	s_xor_b64 s[0:1], exec, s[2:3]
	s_cbranch_execz .LBB167_300
; %bb.275:
	v_mul_f64 v[0:1], v[6:7], 0.5
	v_mul_f64 v[2:3], v[4:5], 0.5
	v_cndmask_b32_e64 v11, v7, v1, s[12:13]
	v_cndmask_b32_e64 v10, v6, v0, s[12:13]
	;; [unrolled: 1-line block ×4, first 2 shown]
                                        ; implicit-def: $vgpr6_vgpr7
                                        ; implicit-def: $vgpr4_vgpr5
	s_andn2_saveexec_b64 s[0:1], s[0:1]
	s_cbranch_execnz .LBB167_301
	s_branch .LBB167_302
.LBB167_276:
	s_andn2_saveexec_b64 s[0:1], s[0:1]
.LBB167_277:
	v_add_f64 v[10:11], v[6:7], v[6:7]
	v_add_f64 v[2:3], v[4:5], v[4:5]
.LBB167_278:
	s_or_b64 exec, exec, s[0:1]
.LBB167_279:
	s_andn2_saveexec_b64 s[0:1], s[10:11]
	s_cbranch_execz .LBB167_285
; %bb.280:
	v_add_f64 v[4:5], v[2:3], -v[2:3]
	v_cmp_lt_i64_e32 vcc, -1, v[0:1]
	s_brev_b32 s10, -2
	v_and_b32_e32 v11, 0x7fffffff, v5
	v_mov_b32_e32 v10, v4
	s_and_saveexec_b64 s[2:3], vcc
	s_xor_b64 s[2:3], exec, s[2:3]
; %bb.281:
	v_bfi_b32 v5, s10, v5, v3
	v_mov_b64_e32 v[2:3], v[4:5]
	v_mov_b64_e32 v[10:11], v[0:1]
; %bb.282:
	s_andn2_saveexec_b64 s[2:3], s[2:3]
; %bb.283:
	v_bfi_b32 v1, s10, v1, v3
	v_mov_b64_e32 v[2:3], v[0:1]
; %bb.284:
	s_or_b64 exec, exec, s[2:3]
.LBB167_285:
	s_or_b64 exec, exec, s[0:1]
.LBB167_286:
	s_andn2_saveexec_b64 s[0:1], s[8:9]
	s_cbranch_execz .LBB167_288
; %bb.287:
	v_add_f64 v[2:3], v[2:3], -v[2:3]
	v_div_scale_f64 v[4:5], vcc, v[2:3], v[2:3], v[2:3]
	v_rcp_f64_e32 v[6:7], v[4:5]
	s_nop 0
	v_fma_f64 v[10:11], -v[4:5], v[6:7], 1.0
	v_fmac_f64_e32 v[6:7], v[6:7], v[10:11]
	v_fma_f64 v[10:11], -v[4:5], v[6:7], 1.0
	v_fmac_f64_e32 v[6:7], v[6:7], v[10:11]
	v_mul_f64 v[10:11], v[4:5], v[6:7]
	v_fma_f64 v[4:5], -v[4:5], v[10:11], v[4:5]
	v_div_fmas_f64 v[4:5], v[4:5], v[6:7], v[10:11]
	v_div_fixup_f64 v[2:3], v[4:5], v[2:3], v[2:3]
	v_mov_b64_e32 v[10:11], v[0:1]
.LBB167_288:
	s_or_b64 exec, exec, s[0:1]
.LBB167_289:
	s_or_b64 exec, exec, s[6:7]
.LBB167_290:
	s_or_b64 exec, exec, s[4:5]
	v_xor_b32_e32 v0, 0x80000000, v11
	v_cmp_gt_f64_e32 vcc, 0, v[10:11]
	v_mov_b32_e32 v12, v10
                                        ; implicit-def: $vgpr6_vgpr7
	s_nop 0
	v_cndmask_b32_e32 v13, v11, v0, vcc
	v_xor_b32_e32 v0, 0x80000000, v3
	v_cmp_gt_f64_e32 vcc, 0, v[2:3]
	s_nop 1
	v_cndmask_b32_e32 v1, v3, v0, vcc
	v_mov_b32_e32 v0, v2
	v_cmp_ge_f64_e32 vcc, v[12:13], v[0:1]
	s_and_saveexec_b64 s[0:1], vcc
	s_xor_b64 s[2:3], exec, s[0:1]
	s_cbranch_execz .LBB167_296
; %bb.291:
	v_cmp_neq_f64_e32 vcc, 0, v[10:11]
	v_cmp_neq_f64_e64 s[0:1], 0, v[2:3]
	s_or_b64 s[0:1], vcc, s[0:1]
                                        ; implicit-def: $vgpr6_vgpr7
	s_and_saveexec_b64 s[4:5], s[0:1]
	s_xor_b64 s[0:1], exec, s[4:5]
	s_cbranch_execz .LBB167_293
; %bb.292:
	v_div_scale_f64 v[0:1], s[4:5], v[10:11], v[10:11], v[2:3]
	v_rcp_f64_e32 v[4:5], v[0:1]
	v_div_scale_f64 v[6:7], vcc, v[2:3], v[10:11], v[2:3]
	v_fma_f64 v[12:13], -v[0:1], v[4:5], 1.0
	v_fmac_f64_e32 v[4:5], v[4:5], v[12:13]
	v_fma_f64 v[12:13], -v[0:1], v[4:5], 1.0
	v_fmac_f64_e32 v[4:5], v[4:5], v[12:13]
	v_mul_f64 v[12:13], v[6:7], v[4:5]
	v_fma_f64 v[0:1], -v[0:1], v[12:13], v[6:7]
	v_div_fmas_f64 v[0:1], v[0:1], v[4:5], v[12:13]
	v_div_fixup_f64 v[0:1], v[0:1], v[10:11], v[2:3]
	v_fmac_f64_e32 v[10:11], v[2:3], v[0:1]
	v_div_scale_f64 v[2:3], s[4:5], v[10:11], v[10:11], 1.0
	v_rcp_f64_e32 v[4:5], v[2:3]
	s_nop 0
	v_fma_f64 v[6:7], -v[2:3], v[4:5], 1.0
	v_fmac_f64_e32 v[4:5], v[4:5], v[6:7]
	v_fma_f64 v[6:7], -v[2:3], v[4:5], 1.0
	v_fmac_f64_e32 v[4:5], v[4:5], v[6:7]
	v_div_scale_f64 v[6:7], vcc, 1.0, v[10:11], 1.0
	v_mul_f64 v[12:13], v[6:7], v[4:5]
	v_fma_f64 v[2:3], -v[2:3], v[12:13], v[6:7]
	s_nop 1
	v_div_fmas_f64 v[2:3], v[2:3], v[4:5], v[12:13]
	v_div_fixup_f64 v[2:3], v[2:3], v[10:11], 1.0
	v_fma_f64 v[4:5], v[0:1], 0, 1.0
	v_add_f64 v[0:1], -v[0:1], 0
	v_mul_f64 v[4:5], v[4:5], v[2:3]
	v_mul_f64 v[6:7], v[0:1], v[2:3]
                                        ; implicit-def: $vgpr12_vgpr13
                                        ; implicit-def: $vgpr0_vgpr1
.LBB167_293:
	s_andn2_saveexec_b64 s[0:1], s[0:1]
	s_cbranch_execz .LBB167_295
; %bb.294:
	v_div_scale_f64 v[2:3], s[4:5], v[12:13], v[12:13], 1.0
	v_rcp_f64_e32 v[4:5], v[2:3]
	v_div_scale_f64 v[6:7], vcc, 1.0, v[12:13], 1.0
	v_fma_f64 v[10:11], -v[2:3], v[4:5], 1.0
	v_fmac_f64_e32 v[4:5], v[4:5], v[10:11]
	v_fma_f64 v[10:11], -v[2:3], v[4:5], 1.0
	v_fmac_f64_e32 v[4:5], v[4:5], v[10:11]
	v_mul_f64 v[10:11], v[6:7], v[4:5]
	v_fma_f64 v[2:3], -v[2:3], v[10:11], v[6:7]
	v_div_scale_f64 v[6:7], s[4:5], v[0:1], v[0:1], 0
	v_rcp_f64_e32 v[14:15], v[6:7]
	v_div_fmas_f64 v[2:3], v[2:3], v[4:5], v[10:11]
	v_div_fixup_f64 v[4:5], v[2:3], v[12:13], 1.0
	v_fma_f64 v[2:3], -v[6:7], v[14:15], 1.0
	v_fmac_f64_e32 v[14:15], v[14:15], v[2:3]
	v_fma_f64 v[2:3], -v[6:7], v[14:15], 1.0
	v_fmac_f64_e32 v[14:15], v[14:15], v[2:3]
	v_div_scale_f64 v[2:3], vcc, 0, v[0:1], 0
	v_mul_f64 v[10:11], v[2:3], v[14:15]
	v_fma_f64 v[2:3], -v[6:7], v[10:11], v[2:3]
	s_nop 1
	v_div_fmas_f64 v[2:3], v[2:3], v[14:15], v[10:11]
	v_div_fixup_f64 v[6:7], v[2:3], v[0:1], 0
.LBB167_295:
	s_or_b64 exec, exec, s[0:1]
                                        ; implicit-def: $vgpr2_vgpr3
                                        ; implicit-def: $vgpr10_vgpr11
.LBB167_296:
	s_andn2_saveexec_b64 s[0:1], s[2:3]
	s_cbranch_execz .LBB167_298
; %bb.297:
	v_div_scale_f64 v[0:1], s[2:3], v[2:3], v[2:3], v[10:11]
	v_rcp_f64_e32 v[4:5], v[0:1]
	v_div_scale_f64 v[6:7], vcc, v[10:11], v[2:3], v[10:11]
	v_fma_f64 v[12:13], -v[0:1], v[4:5], 1.0
	v_fmac_f64_e32 v[4:5], v[4:5], v[12:13]
	v_fma_f64 v[12:13], -v[0:1], v[4:5], 1.0
	v_fmac_f64_e32 v[4:5], v[4:5], v[12:13]
	v_mul_f64 v[12:13], v[6:7], v[4:5]
	v_fma_f64 v[0:1], -v[0:1], v[12:13], v[6:7]
	v_div_fmas_f64 v[0:1], v[0:1], v[4:5], v[12:13]
	v_div_fixup_f64 v[0:1], v[0:1], v[2:3], v[10:11]
	v_fmac_f64_e32 v[2:3], v[10:11], v[0:1]
	v_div_scale_f64 v[4:5], s[2:3], v[2:3], v[2:3], 1.0
	v_rcp_f64_e32 v[6:7], v[4:5]
	s_nop 0
	v_fma_f64 v[10:11], -v[4:5], v[6:7], 1.0
	v_fmac_f64_e32 v[6:7], v[6:7], v[10:11]
	v_fma_f64 v[10:11], -v[4:5], v[6:7], 1.0
	v_fmac_f64_e32 v[6:7], v[6:7], v[10:11]
	v_div_scale_f64 v[10:11], vcc, 1.0, v[2:3], 1.0
	v_mul_f64 v[12:13], v[10:11], v[6:7]
	v_fma_f64 v[4:5], -v[4:5], v[12:13], v[10:11]
	s_nop 1
	v_div_fmas_f64 v[4:5], v[4:5], v[6:7], v[12:13]
	v_div_fixup_f64 v[2:3], v[4:5], v[2:3], 1.0
	v_add_f64 v[4:5], v[0:1], 0
	v_fma_f64 v[0:1], v[0:1], 0, -1.0
	v_mul_f64 v[4:5], v[4:5], v[2:3]
	v_mul_f64 v[6:7], v[0:1], v[2:3]
.LBB167_298:
	s_or_b64 exec, exec, s[0:1]
	v_add_u32_e32 v20, 0x80, v20
	global_store_dwordx4 v8, v[4:7], s[16:17]
	s_or_b64 exec, exec, s[48:49]
	v_cmp_gt_i32_e32 vcc, s55, v20
	s_and_saveexec_b64 s[48:49], vcc
	s_cbranch_execnz .LBB167_16
.LBB167_299:
	s_or_b64 exec, exec, s[48:49]
	v_cmp_gt_i32_e32 vcc, s55, v20
	s_and_saveexec_b64 s[48:49], vcc
	s_cbranch_execnz .LBB167_323
	s_branch .LBB167_377
.LBB167_300:
	s_andn2_saveexec_b64 s[0:1], s[0:1]
.LBB167_301:
	v_add_f64 v[10:11], v[6:7], v[6:7]
	v_add_f64 v[2:3], v[4:5], v[4:5]
.LBB167_302:
	s_or_b64 exec, exec, s[0:1]
.LBB167_303:
	s_andn2_saveexec_b64 s[0:1], s[10:11]
	s_cbranch_execz .LBB167_309
; %bb.304:
	v_add_f64 v[4:5], v[2:3], -v[2:3]
	v_cmp_lt_i64_e32 vcc, -1, v[0:1]
	s_brev_b32 s10, -2
	v_and_b32_e32 v11, 0x7fffffff, v5
	v_mov_b32_e32 v10, v4
	s_and_saveexec_b64 s[2:3], vcc
	s_xor_b64 s[2:3], exec, s[2:3]
; %bb.305:
	v_bfi_b32 v5, s10, v5, v3
	v_mov_b64_e32 v[2:3], v[4:5]
	v_mov_b64_e32 v[10:11], v[0:1]
; %bb.306:
	s_andn2_saveexec_b64 s[2:3], s[2:3]
; %bb.307:
	v_bfi_b32 v1, s10, v1, v3
	v_mov_b64_e32 v[2:3], v[0:1]
; %bb.308:
	s_or_b64 exec, exec, s[2:3]
.LBB167_309:
	s_or_b64 exec, exec, s[0:1]
.LBB167_310:
	s_andn2_saveexec_b64 s[0:1], s[8:9]
	s_cbranch_execz .LBB167_312
; %bb.311:
	v_add_f64 v[2:3], v[2:3], -v[2:3]
	v_div_scale_f64 v[4:5], vcc, v[2:3], v[2:3], v[2:3]
	v_rcp_f64_e32 v[6:7], v[4:5]
	s_nop 0
	v_fma_f64 v[10:11], -v[4:5], v[6:7], 1.0
	v_fmac_f64_e32 v[6:7], v[6:7], v[10:11]
	v_fma_f64 v[10:11], -v[4:5], v[6:7], 1.0
	v_fmac_f64_e32 v[6:7], v[6:7], v[10:11]
	v_mul_f64 v[10:11], v[4:5], v[6:7]
	v_fma_f64 v[4:5], -v[4:5], v[10:11], v[4:5]
	v_div_fmas_f64 v[4:5], v[4:5], v[6:7], v[10:11]
	v_div_fixup_f64 v[2:3], v[4:5], v[2:3], v[2:3]
	v_mov_b64_e32 v[10:11], v[0:1]
.LBB167_312:
	s_or_b64 exec, exec, s[0:1]
.LBB167_313:
	s_or_b64 exec, exec, s[6:7]
.LBB167_314:
	s_or_b64 exec, exec, s[4:5]
	v_xor_b32_e32 v0, 0x80000000, v11
	v_cmp_gt_f64_e32 vcc, 0, v[10:11]
	v_mov_b32_e32 v12, v10
                                        ; implicit-def: $vgpr6_vgpr7
	s_nop 0
	v_cndmask_b32_e32 v13, v11, v0, vcc
	v_xor_b32_e32 v0, 0x80000000, v3
	v_cmp_gt_f64_e32 vcc, 0, v[2:3]
	s_nop 1
	v_cndmask_b32_e32 v1, v3, v0, vcc
	v_mov_b32_e32 v0, v2
	v_cmp_ge_f64_e32 vcc, v[12:13], v[0:1]
	s_and_saveexec_b64 s[0:1], vcc
	s_xor_b64 s[2:3], exec, s[0:1]
	s_cbranch_execz .LBB167_320
; %bb.315:
	v_cmp_neq_f64_e32 vcc, 0, v[10:11]
	v_cmp_neq_f64_e64 s[0:1], 0, v[2:3]
	s_or_b64 s[0:1], vcc, s[0:1]
                                        ; implicit-def: $vgpr6_vgpr7
	s_and_saveexec_b64 s[4:5], s[0:1]
	s_xor_b64 s[0:1], exec, s[4:5]
	s_cbranch_execz .LBB167_317
; %bb.316:
	v_div_scale_f64 v[0:1], s[4:5], v[10:11], v[10:11], v[2:3]
	v_rcp_f64_e32 v[4:5], v[0:1]
	v_div_scale_f64 v[6:7], vcc, v[2:3], v[10:11], v[2:3]
	v_fma_f64 v[12:13], -v[0:1], v[4:5], 1.0
	v_fmac_f64_e32 v[4:5], v[4:5], v[12:13]
	v_fma_f64 v[12:13], -v[0:1], v[4:5], 1.0
	v_fmac_f64_e32 v[4:5], v[4:5], v[12:13]
	v_mul_f64 v[12:13], v[6:7], v[4:5]
	v_fma_f64 v[0:1], -v[0:1], v[12:13], v[6:7]
	v_div_fmas_f64 v[0:1], v[0:1], v[4:5], v[12:13]
	v_div_fixup_f64 v[0:1], v[0:1], v[10:11], v[2:3]
	v_fmac_f64_e32 v[10:11], v[2:3], v[0:1]
	v_div_scale_f64 v[2:3], s[4:5], v[10:11], v[10:11], 1.0
	v_rcp_f64_e32 v[4:5], v[2:3]
	s_nop 0
	v_fma_f64 v[6:7], -v[2:3], v[4:5], 1.0
	v_fmac_f64_e32 v[4:5], v[4:5], v[6:7]
	v_fma_f64 v[6:7], -v[2:3], v[4:5], 1.0
	v_fmac_f64_e32 v[4:5], v[4:5], v[6:7]
	v_div_scale_f64 v[6:7], vcc, 1.0, v[10:11], 1.0
	v_mul_f64 v[12:13], v[6:7], v[4:5]
	v_fma_f64 v[2:3], -v[2:3], v[12:13], v[6:7]
	s_nop 1
	v_div_fmas_f64 v[2:3], v[2:3], v[4:5], v[12:13]
	v_div_fixup_f64 v[2:3], v[2:3], v[10:11], 1.0
	v_fma_f64 v[4:5], v[0:1], 0, 1.0
	v_add_f64 v[0:1], -v[0:1], 0
	v_mul_f64 v[4:5], v[4:5], v[2:3]
	v_mul_f64 v[6:7], v[0:1], v[2:3]
                                        ; implicit-def: $vgpr12_vgpr13
                                        ; implicit-def: $vgpr0_vgpr1
.LBB167_317:
	s_andn2_saveexec_b64 s[0:1], s[0:1]
	s_cbranch_execz .LBB167_319
; %bb.318:
	v_div_scale_f64 v[2:3], s[4:5], v[12:13], v[12:13], 1.0
	v_rcp_f64_e32 v[4:5], v[2:3]
	v_div_scale_f64 v[6:7], vcc, 1.0, v[12:13], 1.0
	v_fma_f64 v[10:11], -v[2:3], v[4:5], 1.0
	v_fmac_f64_e32 v[4:5], v[4:5], v[10:11]
	v_fma_f64 v[10:11], -v[2:3], v[4:5], 1.0
	v_fmac_f64_e32 v[4:5], v[4:5], v[10:11]
	v_mul_f64 v[10:11], v[6:7], v[4:5]
	v_fma_f64 v[2:3], -v[2:3], v[10:11], v[6:7]
	v_div_scale_f64 v[6:7], s[4:5], v[0:1], v[0:1], 0
	v_rcp_f64_e32 v[14:15], v[6:7]
	v_div_fmas_f64 v[2:3], v[2:3], v[4:5], v[10:11]
	v_div_fixup_f64 v[4:5], v[2:3], v[12:13], 1.0
	v_fma_f64 v[2:3], -v[6:7], v[14:15], 1.0
	v_fmac_f64_e32 v[14:15], v[14:15], v[2:3]
	v_fma_f64 v[2:3], -v[6:7], v[14:15], 1.0
	v_fmac_f64_e32 v[14:15], v[14:15], v[2:3]
	v_div_scale_f64 v[2:3], vcc, 0, v[0:1], 0
	v_mul_f64 v[10:11], v[2:3], v[14:15]
	v_fma_f64 v[2:3], -v[6:7], v[10:11], v[2:3]
	s_nop 1
	v_div_fmas_f64 v[2:3], v[2:3], v[14:15], v[10:11]
	v_div_fixup_f64 v[6:7], v[2:3], v[0:1], 0
.LBB167_319:
	s_or_b64 exec, exec, s[0:1]
                                        ; implicit-def: $vgpr2_vgpr3
                                        ; implicit-def: $vgpr10_vgpr11
.LBB167_320:
	s_andn2_saveexec_b64 s[0:1], s[2:3]
	s_cbranch_execz .LBB167_322
; %bb.321:
	v_div_scale_f64 v[0:1], s[2:3], v[2:3], v[2:3], v[10:11]
	v_rcp_f64_e32 v[4:5], v[0:1]
	v_div_scale_f64 v[6:7], vcc, v[10:11], v[2:3], v[10:11]
	v_fma_f64 v[12:13], -v[0:1], v[4:5], 1.0
	v_fmac_f64_e32 v[4:5], v[4:5], v[12:13]
	v_fma_f64 v[12:13], -v[0:1], v[4:5], 1.0
	v_fmac_f64_e32 v[4:5], v[4:5], v[12:13]
	v_mul_f64 v[12:13], v[6:7], v[4:5]
	v_fma_f64 v[0:1], -v[0:1], v[12:13], v[6:7]
	v_div_fmas_f64 v[0:1], v[0:1], v[4:5], v[12:13]
	v_div_fixup_f64 v[0:1], v[0:1], v[2:3], v[10:11]
	v_fmac_f64_e32 v[2:3], v[10:11], v[0:1]
	v_div_scale_f64 v[4:5], s[2:3], v[2:3], v[2:3], 1.0
	v_rcp_f64_e32 v[6:7], v[4:5]
	s_nop 0
	v_fma_f64 v[10:11], -v[4:5], v[6:7], 1.0
	v_fmac_f64_e32 v[6:7], v[6:7], v[10:11]
	v_fma_f64 v[10:11], -v[4:5], v[6:7], 1.0
	v_fmac_f64_e32 v[6:7], v[6:7], v[10:11]
	v_div_scale_f64 v[10:11], vcc, 1.0, v[2:3], 1.0
	v_mul_f64 v[12:13], v[10:11], v[6:7]
	v_fma_f64 v[4:5], -v[4:5], v[12:13], v[10:11]
	s_nop 1
	v_div_fmas_f64 v[4:5], v[4:5], v[6:7], v[12:13]
	v_div_fixup_f64 v[2:3], v[4:5], v[2:3], 1.0
	v_add_f64 v[4:5], v[0:1], 0
	v_fma_f64 v[0:1], v[0:1], 0, -1.0
	v_mul_f64 v[4:5], v[4:5], v[2:3]
	v_mul_f64 v[6:7], v[0:1], v[2:3]
.LBB167_322:
	s_or_b64 exec, exec, s[0:1]
	v_add_u32_e32 v20, 0x80, v20
	global_store_dwordx4 v8, v[4:7], s[16:17]
	s_or_b64 exec, exec, s[48:49]
	v_cmp_gt_i32_e32 vcc, s55, v20
	s_and_saveexec_b64 s[48:49], vcc
	s_cbranch_execz .LBB167_377
.LBB167_323:
	s_andn2_b64 vcc, exec, s[36:37]
	s_cbranch_vccnz .LBB167_329
; %bb.324:
	s_andn2_b64 vcc, exec, s[46:47]
	s_cbranch_vccnz .LBB167_330
; %bb.325:
	s_add_i32 s58, s56, 1
	s_cmp_eq_u32 s54, 2
	s_cbranch_scc1 .LBB167_331
; %bb.326:
	s_and_b32 s57, s58, 28
	s_mov_b32 s59, 0
	v_mov_b32_e32 v8, 0
	v_mov_b32_e32 v0, 0
	s_mov_b64 s[50:51], s[34:35]
	s_mov_b64 s[52:53], s[44:45]
	v_mov_b32_e32 v2, v20
.LBB167_327:                            ; =>This Inner Loop Header: Depth=1
	s_load_dwordx8 s[8:15], s[50:51], 0x4
	s_load_dwordx4 s[28:31], s[50:51], 0x24
	s_load_dwordx8 s[0:7], s[52:53], 0x0
	s_add_u32 s50, s50, 48
	s_addc_u32 s51, s51, 0
	s_waitcnt lgkmcnt(0)
	v_mul_hi_u32 v1, s9, v2
	v_add_u32_e32 v1, v2, v1
	v_lshrrev_b32_e32 v1, s10, v1
	v_mul_lo_u32 v3, v1, s8
	v_mul_hi_u32 v4, s12, v1
	v_sub_u32_e32 v2, v2, v3
	v_add_u32_e32 v3, v1, v4
	v_lshrrev_b32_e32 v3, s13, v3
	v_mul_lo_u32 v5, v3, s11
	v_mul_hi_u32 v6, s15, v3
	v_sub_u32_e32 v1, v1, v5
	v_add_u32_e32 v5, v3, v6
	v_mul_lo_u32 v4, v2, s1
	v_mul_lo_u32 v2, v2, s0
	;; [unrolled: 1-line block ×4, first 2 shown]
	v_lshrrev_b32_e32 v5, s28, v5
	v_add3_u32 v1, v2, v8, v1
	v_add3_u32 v0, v4, v0, v6
	v_mul_lo_u32 v2, v5, s14
	v_mul_hi_u32 v4, s30, v5
	v_sub_u32_e32 v2, v3, v2
	v_add_u32_e32 v3, v5, v4
	v_mul_lo_u32 v4, v2, s4
	v_mul_lo_u32 v6, v2, s5
	v_lshrrev_b32_e32 v2, s31, v3
	s_add_i32 s59, s59, 4
	v_mul_lo_u32 v3, v2, s29
	s_add_u32 s52, s52, 32
	v_sub_u32_e32 v3, v5, v3
	s_addc_u32 s53, s53, 0
	v_mul_lo_u32 v5, v3, s6
	v_mul_lo_u32 v3, v3, s7
	s_cmp_eq_u32 s57, s59
	v_add3_u32 v0, v6, v0, v3
	v_add3_u32 v8, v4, v1, v5
	s_cbranch_scc0 .LBB167_327
; %bb.328:
	v_mov_b32_e32 v1, v0
	s_branch .LBB167_332
.LBB167_329:
                                        ; implicit-def: $vgpr0
                                        ; implicit-def: $vgpr8
	s_branch .LBB167_336
.LBB167_330:
	v_mov_b32_e32 v0, 0
	v_mov_b32_e32 v8, 0
	s_branch .LBB167_335
.LBB167_331:
	v_mov_b32_e32 v8, 0
	s_mov_b32 s57, 0
	v_mov_b32_e32 v1, v8
                                        ; implicit-def: $vgpr0
	v_mov_b32_e32 v2, v20
.LBB167_332:
	s_and_b32 s4, s58, 3
	s_cmp_eq_u32 s4, 0
	s_cbranch_scc1 .LBB167_335
; %bb.333:
	s_lshl_b32 s0, s57, 3
	s_add_u32 s0, s34, s0
	s_addc_u32 s1, s35, 0
	s_add_u32 s0, s0, 0xc4
	s_addc_u32 s1, s1, 0
	s_mul_i32 s2, s57, 12
	s_add_u32 s2, s34, s2
	s_addc_u32 s3, s35, 0
.LBB167_334:                            ; =>This Inner Loop Header: Depth=1
	s_load_dwordx2 s[6:7], s[2:3], 0x4
	s_load_dword s5, s[2:3], 0xc
	s_load_dwordx2 s[8:9], s[0:1], 0x0
	v_mov_b32_e32 v0, v1
	s_add_u32 s2, s2, 12
	s_waitcnt lgkmcnt(0)
	v_mul_hi_u32 v1, s7, v2
	v_add_u32_e32 v1, v2, v1
	v_lshrrev_b32_e32 v1, s5, v1
	s_addc_u32 s3, s3, 0
	v_mul_lo_u32 v3, v1, s6
	s_add_u32 s0, s0, 8
	v_sub_u32_e32 v3, v2, v3
	s_addc_u32 s1, s1, 0
	s_add_i32 s4, s4, -1
	v_mov_b32_e32 v2, v1
	v_mad_u64_u32 v[0:1], s[6:7], v3, s9, v[0:1]
	s_cmp_lg_u32 s4, 0
	v_mad_u64_u32 v[8:9], s[6:7], v3, s8, v[8:9]
	v_mov_b32_e32 v1, v0
	s_cbranch_scc1 .LBB167_334
.LBB167_335:
	s_cbranch_execnz .LBB167_338
.LBB167_336:
	s_waitcnt lgkmcnt(0)
	v_mul_hi_u32 v0, s25, v20
	v_add_u32_e32 v0, v20, v0
	v_lshrrev_b32_e32 v1, s26, v0
	v_mul_lo_u32 v0, v1, s24
	v_sub_u32_e32 v2, v20, v0
	v_mul_lo_u32 v0, v2, s21
	s_andn2_b64 vcc, exec, s[42:43]
	v_mul_lo_u32 v8, v2, s20
	s_cbranch_vccnz .LBB167_338
; %bb.337:
	v_mul_hi_u32 v2, s40, v1
	v_add_u32_e32 v2, v1, v2
	v_lshrrev_b32_e32 v2, s41, v2
	v_mul_lo_u32 v2, v2, s27
	v_sub_u32_e32 v1, v1, v2
	v_mad_u64_u32 v[8:9], s[0:1], v1, s22, v[8:9]
	v_mad_u64_u32 v[0:1], s[0:1], v1, s23, v[0:1]
.LBB167_338:
	s_waitcnt lgkmcnt(0)
	global_load_dwordx4 v[0:3], v0, s[18:19]
	v_mov_b64_e32 v[10:11], 0
	s_waitcnt vmcnt(0)
	v_cmp_neq_f64_e32 vcc, 0, v[0:1]
	v_cmp_neq_f64_e64 s[0:1], 0, v[2:3]
	s_or_b64 s[0:1], vcc, s[0:1]
	s_and_saveexec_b64 s[4:5], s[0:1]
	s_cbranch_execz .LBB167_368
; %bb.339:
	v_mov_b32_e32 v10, 0
	v_mov_b32_e32 v11, 0x7ff00000
	v_cmp_neq_f64_e64 s[0:1], |v[2:3]|, v[10:11]
	s_and_saveexec_b64 s[6:7], s[0:1]
	s_cbranch_execz .LBB167_367
; %bb.340:
	v_cmp_o_f64_e32 vcc, v[0:1], v[0:1]
                                        ; implicit-def: $vgpr10_vgpr11
	s_and_saveexec_b64 s[0:1], vcc
	s_xor_b64 s[8:9], exec, s[0:1]
	s_cbranch_execz .LBB167_364
; %bb.341:
	s_mov_b32 s0, 0
	s_mov_b32 s1, 0x7ff00000
	v_cmp_neq_f64_e64 s[0:1], |v[0:1]|, s[0:1]
                                        ; implicit-def: $vgpr10_vgpr11
	s_and_saveexec_b64 s[2:3], s[0:1]
	s_xor_b64 s[10:11], exec, s[2:3]
	s_cbranch_execz .LBB167_357
; %bb.342:
	v_max_f64 v[4:5], |v[2:3]|, |v[2:3]|
	v_max_f64 v[6:7], |v[0:1]|, |v[0:1]|
	s_mov_b32 s0, 0x99fcef32
	v_max_f64 v[4:5], v[6:7], v[4:5]
	s_mov_b32 s1, 0x7fda8279
	v_cmp_nle_f64_e64 s[0:1], s[0:1], v[4:5]
                                        ; implicit-def: $sgpr12_sgpr13
	s_and_saveexec_b64 s[2:3], s[0:1]
	s_xor_b64 s[2:3], exec, s[2:3]
	s_cbranch_execz .LBB167_346
; %bb.343:
	s_mov_b32 s12, 0
	s_mov_b32 s13, 0x200000
	v_cmp_le_f64_e64 s[14:15], |v[0:1]|, s[12:13]
	v_cmp_le_f64_e64 s[12:13], |v[2:3]|, s[12:13]
	s_and_b64 s[28:29], s[14:15], s[12:13]
	s_mov_b64 s[12:13], 0
	s_and_saveexec_b64 s[14:15], s[28:29]
; %bb.344:
	s_mov_b64 s[12:13], exec
	v_mul_f64 v[2:3], v[2:3], 4.0
	v_mul_f64 v[0:1], v[0:1], 4.0
; %bb.345:
	s_or_b64 exec, exec, s[14:15]
.LBB167_346:
	s_andn2_saveexec_b64 s[2:3], s[2:3]
; %bb.347:
	v_ldexp_f64 v[0:1], v[0:1], -2
	v_ldexp_f64 v[2:3], v[2:3], -2
	s_andn2_b64 s[12:13], s[12:13], exec
; %bb.348:
	s_or_b64 exec, exec, s[2:3]
	v_max_f64 v[4:5], |v[2:3]|, |v[2:3]|
	v_max_f64 v[6:7], |v[0:1]|, |v[0:1]|
	v_max_f64 v[4:5], v[6:7], v[4:5]
	v_frexp_exp_i32_f64_e32 v9, v[4:5]
	v_sub_u32_e32 v6, 0, v9
	v_ldexp_f64 v[4:5], |v[0:1]|, v6
	v_ldexp_f64 v[6:7], |v[2:3]|, v6
	v_mul_f64 v[6:7], v[6:7], v[6:7]
	v_fmac_f64_e32 v[6:7], v[4:5], v[4:5]
	v_rsq_f64_e32 v[4:5], v[6:7]
	v_cmp_eq_f64_e64 s[2:3], 0, v[6:7]
	s_movk_i32 s14, 0x204
	v_cmp_le_f64_e32 vcc, 0, v[0:1]
	v_mul_f64 v[10:11], v[6:7], v[4:5]
	v_mul_f64 v[4:5], v[4:5], 0.5
	v_fma_f64 v[12:13], -v[4:5], v[10:11], 0.5
	v_fmac_f64_e32 v[10:11], v[10:11], v[12:13]
	v_fmac_f64_e32 v[4:5], v[4:5], v[12:13]
	v_fma_f64 v[12:13], -v[10:11], v[10:11], v[6:7]
	v_fmac_f64_e32 v[10:11], v[12:13], v[4:5]
	v_cndmask_b32_e64 v5, v11, v7, s[2:3]
	v_cndmask_b32_e64 v4, v10, v6, s[2:3]
	v_ldexp_f64 v[4:5], v[4:5], v9
	v_cmp_o_f64_e64 s[2:3], v[2:3], v[2:3]
	v_mov_b32_e32 v6, 0x7ff80000
	s_nop 0
	v_cndmask_b32_e64 v4, 0, v4, s[2:3]
	v_cndmask_b32_e64 v5, v6, v5, s[2:3]
	v_cmp_class_f64_e64 s[2:3], v[0:1], s14
	v_cmp_class_f64_e64 s[14:15], v[2:3], s14
	v_mov_b32_e32 v6, 0x7ff00000
	s_or_b64 s[2:3], s[14:15], s[2:3]
	v_cndmask_b32_e64 v11, v5, v6, s[2:3]
	v_cndmask_b32_e64 v10, v4, 0, s[2:3]
                                        ; implicit-def: $vgpr4_vgpr5
                                        ; implicit-def: $vgpr6_vgpr7
	s_and_saveexec_b64 s[2:3], vcc
	s_xor_b64 s[2:3], exec, s[2:3]
	s_cbranch_execz .LBB167_350
; %bb.349:
	v_add_f64 v[0:1], v[0:1], v[10:11]
	s_mov_b32 s14, 0
	v_mul_f64 v[0:1], v[0:1], 0.5
	s_brev_b32 s15, 8
	v_mov_b32_e32 v4, 0x100
	v_cmp_gt_f64_e32 vcc, s[14:15], v[0:1]
	s_nop 1
	v_cndmask_b32_e32 v4, 0, v4, vcc
	v_ldexp_f64 v[0:1], v[0:1], v4
	v_rsq_f64_e32 v[4:5], v[0:1]
	s_nop 0
	v_mul_f64 v[6:7], v[0:1], v[4:5]
	v_mul_f64 v[4:5], v[4:5], 0.5
	v_fma_f64 v[10:11], -v[4:5], v[6:7], 0.5
	v_fmac_f64_e32 v[6:7], v[6:7], v[10:11]
	v_fma_f64 v[12:13], -v[6:7], v[6:7], v[0:1]
	v_fmac_f64_e32 v[4:5], v[4:5], v[10:11]
	v_fmac_f64_e32 v[6:7], v[12:13], v[4:5]
	v_fma_f64 v[10:11], -v[6:7], v[6:7], v[0:1]
	v_fmac_f64_e32 v[6:7], v[10:11], v[4:5]
	v_mov_b32_e32 v4, 0xffffff80
	v_cndmask_b32_e32 v4, 0, v4, vcc
	v_ldexp_f64 v[4:5], v[6:7], v4
	v_mov_b32_e32 v6, 0x260
	v_cmp_class_f64_e32 vcc, v[0:1], v6
	s_nop 1
	v_cndmask_b32_e32 v7, v5, v1, vcc
	v_cndmask_b32_e32 v6, v4, v0, vcc
	v_add_f64 v[0:1], v[6:7], v[6:7]
	v_div_scale_f64 v[4:5], s[14:15], v[0:1], v[0:1], v[2:3]
	v_rcp_f64_e32 v[10:11], v[4:5]
	s_nop 0
	v_fma_f64 v[12:13], -v[4:5], v[10:11], 1.0
	v_fmac_f64_e32 v[10:11], v[10:11], v[12:13]
	v_fma_f64 v[12:13], -v[4:5], v[10:11], 1.0
	v_fmac_f64_e32 v[10:11], v[10:11], v[12:13]
	v_div_scale_f64 v[12:13], vcc, v[2:3], v[0:1], v[2:3]
	v_mul_f64 v[14:15], v[12:13], v[10:11]
	v_fma_f64 v[4:5], -v[4:5], v[14:15], v[12:13]
	s_nop 1
	v_div_fmas_f64 v[4:5], v[4:5], v[10:11], v[14:15]
	v_div_fixup_f64 v[4:5], v[4:5], v[0:1], v[2:3]
                                        ; implicit-def: $vgpr10_vgpr11
                                        ; implicit-def: $vgpr0_vgpr1
	s_andn2_saveexec_b64 s[2:3], s[2:3]
	s_cbranch_execz .LBB167_352
	s_branch .LBB167_351
.LBB167_350:
	s_andn2_saveexec_b64 s[2:3], s[2:3]
	s_cbranch_execz .LBB167_352
.LBB167_351:
	v_add_f64 v[0:1], v[10:11], -v[0:1]
	s_mov_b32 s14, 0
	v_mul_f64 v[0:1], v[0:1], 0.5
	s_brev_b32 s15, 8
	v_mov_b32_e32 v4, 0x100
	v_cmp_gt_f64_e32 vcc, s[14:15], v[0:1]
	s_nop 1
	v_cndmask_b32_e32 v4, 0, v4, vcc
	v_ldexp_f64 v[0:1], v[0:1], v4
	v_rsq_f64_e32 v[4:5], v[0:1]
	s_nop 0
	v_mul_f64 v[6:7], v[0:1], v[4:5]
	v_mul_f64 v[4:5], v[4:5], 0.5
	v_fma_f64 v[10:11], -v[4:5], v[6:7], 0.5
	v_fmac_f64_e32 v[6:7], v[6:7], v[10:11]
	v_fma_f64 v[12:13], -v[6:7], v[6:7], v[0:1]
	v_fmac_f64_e32 v[4:5], v[4:5], v[10:11]
	v_fmac_f64_e32 v[6:7], v[12:13], v[4:5]
	v_fma_f64 v[10:11], -v[6:7], v[6:7], v[0:1]
	v_fmac_f64_e32 v[6:7], v[10:11], v[4:5]
	v_mov_b32_e32 v4, 0xffffff80
	v_cndmask_b32_e32 v4, 0, v4, vcc
	v_ldexp_f64 v[4:5], v[6:7], v4
	v_mov_b32_e32 v6, 0x260
	v_cmp_class_f64_e32 vcc, v[0:1], v6
	v_and_b32_e32 v7, 0x7fffffff, v3
	v_mov_b32_e32 v6, v2
	v_cndmask_b32_e32 v5, v5, v1, vcc
	v_cndmask_b32_e32 v4, v4, v0, vcc
	v_add_f64 v[0:1], v[4:5], v[4:5]
	v_div_scale_f64 v[10:11], s[14:15], v[0:1], v[0:1], v[6:7]
	v_rcp_f64_e32 v[12:13], v[10:11]
	v_div_scale_f64 v[6:7], vcc, v[6:7], v[0:1], v[6:7]
	s_brev_b32 s14, -2
	v_fma_f64 v[14:15], -v[10:11], v[12:13], 1.0
	v_fmac_f64_e32 v[12:13], v[12:13], v[14:15]
	v_fma_f64 v[14:15], -v[10:11], v[12:13], 1.0
	v_fmac_f64_e32 v[12:13], v[12:13], v[14:15]
	v_mul_f64 v[14:15], v[6:7], v[12:13]
	v_fma_f64 v[6:7], -v[10:11], v[14:15], v[6:7]
	v_div_fmas_f64 v[6:7], v[6:7], v[12:13], v[14:15]
	v_div_fixup_f64 v[6:7], v[6:7], v[0:1], |v[2:3]|
	v_bfi_b32 v5, s14, v5, v3
.LBB167_352:
	s_or_b64 exec, exec, s[2:3]
                                        ; implicit-def: $vgpr2_vgpr3
                                        ; implicit-def: $vgpr10_vgpr11
	s_and_saveexec_b64 s[2:3], s[0:1]
	s_xor_b64 s[0:1], exec, s[2:3]
	s_cbranch_execz .LBB167_354
; %bb.353:
	v_mul_f64 v[0:1], v[6:7], 0.5
	v_mul_f64 v[2:3], v[4:5], 0.5
	v_cndmask_b32_e64 v11, v7, v1, s[12:13]
	v_cndmask_b32_e64 v10, v6, v0, s[12:13]
	;; [unrolled: 1-line block ×4, first 2 shown]
                                        ; implicit-def: $vgpr6_vgpr7
                                        ; implicit-def: $vgpr4_vgpr5
	s_andn2_saveexec_b64 s[0:1], s[0:1]
	s_cbranch_execnz .LBB167_355
	s_branch .LBB167_356
.LBB167_354:
	s_andn2_saveexec_b64 s[0:1], s[0:1]
.LBB167_355:
	v_add_f64 v[10:11], v[6:7], v[6:7]
	v_add_f64 v[2:3], v[4:5], v[4:5]
.LBB167_356:
	s_or_b64 exec, exec, s[0:1]
.LBB167_357:
	s_andn2_saveexec_b64 s[0:1], s[10:11]
	s_cbranch_execz .LBB167_363
; %bb.358:
	v_add_f64 v[4:5], v[2:3], -v[2:3]
	v_cmp_lt_i64_e32 vcc, -1, v[0:1]
	s_brev_b32 s10, -2
	v_and_b32_e32 v11, 0x7fffffff, v5
	v_mov_b32_e32 v10, v4
	s_and_saveexec_b64 s[2:3], vcc
	s_xor_b64 s[2:3], exec, s[2:3]
; %bb.359:
	v_bfi_b32 v5, s10, v5, v3
	v_mov_b64_e32 v[2:3], v[4:5]
	v_mov_b64_e32 v[10:11], v[0:1]
; %bb.360:
	s_andn2_saveexec_b64 s[2:3], s[2:3]
; %bb.361:
	v_bfi_b32 v1, s10, v1, v3
	v_mov_b64_e32 v[2:3], v[0:1]
; %bb.362:
	s_or_b64 exec, exec, s[2:3]
.LBB167_363:
	s_or_b64 exec, exec, s[0:1]
.LBB167_364:
	s_andn2_saveexec_b64 s[0:1], s[8:9]
	s_cbranch_execz .LBB167_366
; %bb.365:
	v_add_f64 v[2:3], v[2:3], -v[2:3]
	v_div_scale_f64 v[4:5], vcc, v[2:3], v[2:3], v[2:3]
	v_rcp_f64_e32 v[6:7], v[4:5]
	s_nop 0
	v_fma_f64 v[10:11], -v[4:5], v[6:7], 1.0
	v_fmac_f64_e32 v[6:7], v[6:7], v[10:11]
	v_fma_f64 v[10:11], -v[4:5], v[6:7], 1.0
	v_fmac_f64_e32 v[6:7], v[6:7], v[10:11]
	v_mul_f64 v[10:11], v[4:5], v[6:7]
	v_fma_f64 v[4:5], -v[4:5], v[10:11], v[4:5]
	v_div_fmas_f64 v[4:5], v[4:5], v[6:7], v[10:11]
	v_div_fixup_f64 v[2:3], v[4:5], v[2:3], v[2:3]
	v_mov_b64_e32 v[10:11], v[0:1]
.LBB167_366:
	s_or_b64 exec, exec, s[0:1]
.LBB167_367:
	s_or_b64 exec, exec, s[6:7]
.LBB167_368:
	s_or_b64 exec, exec, s[4:5]
	v_xor_b32_e32 v0, 0x80000000, v11
	v_cmp_gt_f64_e32 vcc, 0, v[10:11]
	v_mov_b32_e32 v12, v10
                                        ; implicit-def: $vgpr6_vgpr7
	s_nop 0
	v_cndmask_b32_e32 v13, v11, v0, vcc
	v_xor_b32_e32 v0, 0x80000000, v3
	v_cmp_gt_f64_e32 vcc, 0, v[2:3]
	s_nop 1
	v_cndmask_b32_e32 v1, v3, v0, vcc
	v_mov_b32_e32 v0, v2
	v_cmp_ge_f64_e32 vcc, v[12:13], v[0:1]
	s_and_saveexec_b64 s[0:1], vcc
	s_xor_b64 s[2:3], exec, s[0:1]
	s_cbranch_execz .LBB167_374
; %bb.369:
	v_cmp_neq_f64_e32 vcc, 0, v[10:11]
	v_cmp_neq_f64_e64 s[0:1], 0, v[2:3]
	s_or_b64 s[0:1], vcc, s[0:1]
                                        ; implicit-def: $vgpr6_vgpr7
	s_and_saveexec_b64 s[4:5], s[0:1]
	s_xor_b64 s[0:1], exec, s[4:5]
	s_cbranch_execz .LBB167_371
; %bb.370:
	v_div_scale_f64 v[0:1], s[4:5], v[10:11], v[10:11], v[2:3]
	v_rcp_f64_e32 v[4:5], v[0:1]
	v_div_scale_f64 v[6:7], vcc, v[2:3], v[10:11], v[2:3]
	v_fma_f64 v[12:13], -v[0:1], v[4:5], 1.0
	v_fmac_f64_e32 v[4:5], v[4:5], v[12:13]
	v_fma_f64 v[12:13], -v[0:1], v[4:5], 1.0
	v_fmac_f64_e32 v[4:5], v[4:5], v[12:13]
	v_mul_f64 v[12:13], v[6:7], v[4:5]
	v_fma_f64 v[0:1], -v[0:1], v[12:13], v[6:7]
	v_div_fmas_f64 v[0:1], v[0:1], v[4:5], v[12:13]
	v_div_fixup_f64 v[0:1], v[0:1], v[10:11], v[2:3]
	v_fmac_f64_e32 v[10:11], v[2:3], v[0:1]
	v_div_scale_f64 v[2:3], s[4:5], v[10:11], v[10:11], 1.0
	v_rcp_f64_e32 v[4:5], v[2:3]
	s_nop 0
	v_fma_f64 v[6:7], -v[2:3], v[4:5], 1.0
	v_fmac_f64_e32 v[4:5], v[4:5], v[6:7]
	v_fma_f64 v[6:7], -v[2:3], v[4:5], 1.0
	v_fmac_f64_e32 v[4:5], v[4:5], v[6:7]
	v_div_scale_f64 v[6:7], vcc, 1.0, v[10:11], 1.0
	v_mul_f64 v[12:13], v[6:7], v[4:5]
	v_fma_f64 v[2:3], -v[2:3], v[12:13], v[6:7]
	s_nop 1
	v_div_fmas_f64 v[2:3], v[2:3], v[4:5], v[12:13]
	v_div_fixup_f64 v[2:3], v[2:3], v[10:11], 1.0
	v_fma_f64 v[4:5], v[0:1], 0, 1.0
	v_add_f64 v[0:1], -v[0:1], 0
	v_mul_f64 v[4:5], v[4:5], v[2:3]
	v_mul_f64 v[6:7], v[0:1], v[2:3]
                                        ; implicit-def: $vgpr12_vgpr13
                                        ; implicit-def: $vgpr0_vgpr1
.LBB167_371:
	s_andn2_saveexec_b64 s[0:1], s[0:1]
	s_cbranch_execz .LBB167_373
; %bb.372:
	v_div_scale_f64 v[2:3], s[4:5], v[12:13], v[12:13], 1.0
	v_rcp_f64_e32 v[4:5], v[2:3]
	v_div_scale_f64 v[6:7], vcc, 1.0, v[12:13], 1.0
	v_fma_f64 v[10:11], -v[2:3], v[4:5], 1.0
	v_fmac_f64_e32 v[4:5], v[4:5], v[10:11]
	v_fma_f64 v[10:11], -v[2:3], v[4:5], 1.0
	v_fmac_f64_e32 v[4:5], v[4:5], v[10:11]
	v_mul_f64 v[10:11], v[6:7], v[4:5]
	v_fma_f64 v[2:3], -v[2:3], v[10:11], v[6:7]
	v_div_scale_f64 v[6:7], s[4:5], v[0:1], v[0:1], 0
	v_rcp_f64_e32 v[14:15], v[6:7]
	v_div_fmas_f64 v[2:3], v[2:3], v[4:5], v[10:11]
	v_div_fixup_f64 v[4:5], v[2:3], v[12:13], 1.0
	v_fma_f64 v[2:3], -v[6:7], v[14:15], 1.0
	v_fmac_f64_e32 v[14:15], v[14:15], v[2:3]
	v_fma_f64 v[2:3], -v[6:7], v[14:15], 1.0
	v_fmac_f64_e32 v[14:15], v[14:15], v[2:3]
	v_div_scale_f64 v[2:3], vcc, 0, v[0:1], 0
	v_mul_f64 v[10:11], v[2:3], v[14:15]
	v_fma_f64 v[2:3], -v[6:7], v[10:11], v[2:3]
	s_nop 1
	v_div_fmas_f64 v[2:3], v[2:3], v[14:15], v[10:11]
	v_div_fixup_f64 v[6:7], v[2:3], v[0:1], 0
.LBB167_373:
	s_or_b64 exec, exec, s[0:1]
                                        ; implicit-def: $vgpr2_vgpr3
                                        ; implicit-def: $vgpr10_vgpr11
.LBB167_374:
	s_andn2_saveexec_b64 s[0:1], s[2:3]
	s_cbranch_execz .LBB167_376
; %bb.375:
	v_div_scale_f64 v[0:1], s[2:3], v[2:3], v[2:3], v[10:11]
	v_rcp_f64_e32 v[4:5], v[0:1]
	v_div_scale_f64 v[6:7], vcc, v[10:11], v[2:3], v[10:11]
	v_fma_f64 v[12:13], -v[0:1], v[4:5], 1.0
	v_fmac_f64_e32 v[4:5], v[4:5], v[12:13]
	v_fma_f64 v[12:13], -v[0:1], v[4:5], 1.0
	v_fmac_f64_e32 v[4:5], v[4:5], v[12:13]
	v_mul_f64 v[12:13], v[6:7], v[4:5]
	v_fma_f64 v[0:1], -v[0:1], v[12:13], v[6:7]
	v_div_fmas_f64 v[0:1], v[0:1], v[4:5], v[12:13]
	v_div_fixup_f64 v[0:1], v[0:1], v[2:3], v[10:11]
	v_fmac_f64_e32 v[2:3], v[10:11], v[0:1]
	v_div_scale_f64 v[4:5], s[2:3], v[2:3], v[2:3], 1.0
	v_rcp_f64_e32 v[6:7], v[4:5]
	s_nop 0
	v_fma_f64 v[10:11], -v[4:5], v[6:7], 1.0
	v_fmac_f64_e32 v[6:7], v[6:7], v[10:11]
	v_fma_f64 v[10:11], -v[4:5], v[6:7], 1.0
	v_fmac_f64_e32 v[6:7], v[6:7], v[10:11]
	v_div_scale_f64 v[10:11], vcc, 1.0, v[2:3], 1.0
	v_mul_f64 v[12:13], v[10:11], v[6:7]
	v_fma_f64 v[4:5], -v[4:5], v[12:13], v[10:11]
	s_nop 1
	v_div_fmas_f64 v[4:5], v[4:5], v[6:7], v[12:13]
	v_div_fixup_f64 v[2:3], v[4:5], v[2:3], 1.0
	v_add_f64 v[4:5], v[0:1], 0
	v_fma_f64 v[0:1], v[0:1], 0, -1.0
	v_mul_f64 v[4:5], v[4:5], v[2:3]
	v_mul_f64 v[6:7], v[0:1], v[2:3]
.LBB167_376:
	s_or_b64 exec, exec, s[0:1]
	v_add_u32_e32 v20, 0x80, v20
	global_store_dwordx4 v8, v[4:7], s[16:17]
.LBB167_377:
	s_or_b64 exec, exec, s[48:49]
	v_cmp_gt_i32_e32 vcc, s55, v20
	s_mov_b64 s[0:1], 0
                                        ; implicit-def: $vgpr12_vgpr13
                                        ; implicit-def: $vgpr14_vgpr15
	s_and_saveexec_b64 s[48:49], vcc
	s_cbranch_execz .LBB167_432
; %bb.378:
	s_andn2_b64 vcc, exec, s[36:37]
	s_cbranch_vccnz .LBB167_384
; %bb.379:
	s_andn2_b64 vcc, exec, s[46:47]
	s_cbranch_vccnz .LBB167_385
; %bb.380:
	s_add_i32 s56, s56, 1
	s_cmp_eq_u32 s54, 2
	s_cbranch_scc1 .LBB167_386
; %bb.381:
	s_and_b32 s50, s56, 28
	s_mov_b32 s51, 0
	v_mov_b32_e32 v4, 0
	v_mov_b32_e32 v0, 0
	s_mov_b64 s[46:47], s[34:35]
	v_mov_b32_e32 v2, v20
.LBB167_382:                            ; =>This Inner Loop Header: Depth=1
	s_load_dwordx8 s[8:15], s[46:47], 0x4
	s_load_dwordx4 s[28:31], s[46:47], 0x24
	s_load_dwordx8 s[0:7], s[44:45], 0x0
	s_add_u32 s46, s46, 48
	s_addc_u32 s47, s47, 0
	s_waitcnt lgkmcnt(0)
	v_mul_hi_u32 v1, s9, v2
	v_add_u32_e32 v1, v2, v1
	v_lshrrev_b32_e32 v1, s10, v1
	v_mul_lo_u32 v3, v1, s8
	v_mul_hi_u32 v5, s12, v1
	v_sub_u32_e32 v2, v2, v3
	v_add_u32_e32 v3, v1, v5
	v_lshrrev_b32_e32 v3, s13, v3
	v_mul_lo_u32 v6, v3, s11
	v_mul_hi_u32 v7, s15, v3
	v_sub_u32_e32 v1, v1, v6
	v_add_u32_e32 v6, v3, v7
	v_mul_lo_u32 v5, v2, s1
	v_mul_lo_u32 v2, v2, s0
	;; [unrolled: 1-line block ×4, first 2 shown]
	v_lshrrev_b32_e32 v6, s28, v6
	v_add3_u32 v1, v2, v4, v1
	v_mul_lo_u32 v2, v6, s14
	v_mul_hi_u32 v4, s30, v6
	v_sub_u32_e32 v2, v3, v2
	v_add_u32_e32 v3, v6, v4
	v_add3_u32 v0, v5, v0, v7
	v_mul_lo_u32 v4, v2, s4
	v_mul_lo_u32 v5, v2, s5
	v_lshrrev_b32_e32 v2, s31, v3
	s_add_i32 s51, s51, 4
	v_mul_lo_u32 v3, v2, s29
	s_add_u32 s44, s44, 32
	v_sub_u32_e32 v3, v6, v3
	s_addc_u32 s45, s45, 0
	v_mul_lo_u32 v6, v3, s6
	v_mul_lo_u32 v3, v3, s7
	s_cmp_eq_u32 s50, s51
	v_add3_u32 v0, v5, v0, v3
	v_add3_u32 v4, v4, v1, v6
	s_cbranch_scc0 .LBB167_382
; %bb.383:
	v_mov_b32_e32 v1, v0
	s_branch .LBB167_387
.LBB167_384:
                                        ; implicit-def: $vgpr0
                                        ; implicit-def: $vgpr4
	s_branch .LBB167_391
.LBB167_385:
	v_mov_b32_e32 v0, 0
	v_mov_b32_e32 v4, 0
	s_branch .LBB167_390
.LBB167_386:
	v_mov_b32_e32 v4, 0
	s_mov_b32 s50, 0
	v_mov_b32_e32 v1, v4
                                        ; implicit-def: $vgpr0
	v_mov_b32_e32 v2, v20
.LBB167_387:
	s_and_b32 s4, s56, 3
	s_cmp_eq_u32 s4, 0
	s_cbranch_scc1 .LBB167_390
; %bb.388:
	s_lshl_b32 s0, s50, 3
	s_add_u32 s0, s34, s0
	s_addc_u32 s1, s35, 0
	s_add_u32 s0, s0, 0xc4
	s_addc_u32 s1, s1, 0
	s_mul_i32 s2, s50, 12
	s_add_u32 s2, s34, s2
	s_addc_u32 s3, s35, 0
.LBB167_389:                            ; =>This Inner Loop Header: Depth=1
	s_load_dwordx2 s[6:7], s[2:3], 0x4
	s_load_dword s5, s[2:3], 0xc
	s_load_dwordx2 s[8:9], s[0:1], 0x0
	v_mov_b32_e32 v0, v1
	s_add_u32 s2, s2, 12
	s_waitcnt lgkmcnt(0)
	v_mul_hi_u32 v1, s7, v2
	v_add_u32_e32 v1, v2, v1
	v_lshrrev_b32_e32 v1, s5, v1
	s_addc_u32 s3, s3, 0
	v_mul_lo_u32 v3, v1, s6
	s_add_u32 s0, s0, 8
	v_sub_u32_e32 v3, v2, v3
	s_addc_u32 s1, s1, 0
	s_add_i32 s4, s4, -1
	v_mov_b32_e32 v2, v1
	v_mad_u64_u32 v[0:1], s[6:7], v3, s9, v[0:1]
	s_cmp_lg_u32 s4, 0
	v_mad_u64_u32 v[4:5], s[6:7], v3, s8, v[4:5]
	v_mov_b32_e32 v1, v0
	s_cbranch_scc1 .LBB167_389
.LBB167_390:
	s_cbranch_execnz .LBB167_393
.LBB167_391:
	s_waitcnt lgkmcnt(0)
	v_mul_hi_u32 v0, s25, v20
	v_add_u32_e32 v0, v20, v0
	v_lshrrev_b32_e32 v1, s26, v0
	v_mul_lo_u32 v0, v1, s24
	v_sub_u32_e32 v2, v20, v0
	v_mul_lo_u32 v0, v2, s21
	s_andn2_b64 vcc, exec, s[42:43]
	v_mul_lo_u32 v4, v2, s20
	s_cbranch_vccnz .LBB167_393
; %bb.392:
	v_mul_hi_u32 v2, s40, v1
	v_add_u32_e32 v2, v1, v2
	v_lshrrev_b32_e32 v2, s41, v2
	v_mul_lo_u32 v2, v2, s27
	v_sub_u32_e32 v1, v1, v2
	v_mad_u64_u32 v[4:5], s[0:1], v1, s22, v[4:5]
	v_mad_u64_u32 v[0:1], s[0:1], v1, s23, v[0:1]
.LBB167_393:
	s_waitcnt lgkmcnt(0)
	global_load_dwordx4 v[0:3], v0, s[18:19]
	v_mov_b64_e32 v[6:7], 0
	s_waitcnt vmcnt(0)
	v_cmp_neq_f64_e32 vcc, 0, v[0:1]
	v_cmp_neq_f64_e64 s[0:1], 0, v[2:3]
	s_or_b64 s[0:1], vcc, s[0:1]
	s_and_saveexec_b64 s[4:5], s[0:1]
	s_cbranch_execz .LBB167_423
; %bb.394:
	v_mov_b32_e32 v6, 0
	v_mov_b32_e32 v7, 0x7ff00000
	v_cmp_neq_f64_e64 s[0:1], |v[2:3]|, v[6:7]
	s_and_saveexec_b64 s[6:7], s[0:1]
	s_cbranch_execz .LBB167_422
; %bb.395:
	v_cmp_o_f64_e32 vcc, v[0:1], v[0:1]
                                        ; implicit-def: $vgpr6_vgpr7
	s_and_saveexec_b64 s[0:1], vcc
	s_xor_b64 s[8:9], exec, s[0:1]
	s_cbranch_execz .LBB167_419
; %bb.396:
	s_mov_b32 s0, 0
	s_mov_b32 s1, 0x7ff00000
	v_cmp_neq_f64_e64 s[0:1], |v[0:1]|, s[0:1]
                                        ; implicit-def: $vgpr6_vgpr7
	s_and_saveexec_b64 s[2:3], s[0:1]
	s_xor_b64 s[10:11], exec, s[2:3]
	s_cbranch_execz .LBB167_412
; %bb.397:
	v_max_f64 v[6:7], |v[2:3]|, |v[2:3]|
	v_max_f64 v[8:9], |v[0:1]|, |v[0:1]|
	s_mov_b32 s0, 0x99fcef32
	v_max_f64 v[6:7], v[8:9], v[6:7]
	s_mov_b32 s1, 0x7fda8279
	v_cmp_nle_f64_e64 s[0:1], s[0:1], v[6:7]
                                        ; implicit-def: $sgpr12_sgpr13
	s_and_saveexec_b64 s[2:3], s[0:1]
	s_xor_b64 s[2:3], exec, s[2:3]
	s_cbranch_execz .LBB167_401
; %bb.398:
	s_mov_b32 s12, 0
	s_mov_b32 s13, 0x200000
	v_cmp_le_f64_e64 s[14:15], |v[0:1]|, s[12:13]
	v_cmp_le_f64_e64 s[12:13], |v[2:3]|, s[12:13]
	s_and_b64 s[18:19], s[14:15], s[12:13]
	s_mov_b64 s[12:13], 0
	s_and_saveexec_b64 s[14:15], s[18:19]
; %bb.399:
	s_mov_b64 s[12:13], exec
	v_mul_f64 v[2:3], v[2:3], 4.0
	v_mul_f64 v[0:1], v[0:1], 4.0
; %bb.400:
	s_or_b64 exec, exec, s[14:15]
.LBB167_401:
	s_andn2_saveexec_b64 s[2:3], s[2:3]
; %bb.402:
	v_ldexp_f64 v[0:1], v[0:1], -2
	v_ldexp_f64 v[2:3], v[2:3], -2
	s_andn2_b64 s[12:13], s[12:13], exec
; %bb.403:
	s_or_b64 exec, exec, s[2:3]
	v_max_f64 v[6:7], |v[2:3]|, |v[2:3]|
	v_max_f64 v[8:9], |v[0:1]|, |v[0:1]|
	v_max_f64 v[6:7], v[8:9], v[6:7]
	v_frexp_exp_i32_f64_e32 v5, v[6:7]
	v_sub_u32_e32 v8, 0, v5
	v_ldexp_f64 v[6:7], |v[0:1]|, v8
	v_ldexp_f64 v[8:9], |v[2:3]|, v8
	v_mul_f64 v[8:9], v[8:9], v[8:9]
	v_fmac_f64_e32 v[8:9], v[6:7], v[6:7]
	v_rsq_f64_e32 v[6:7], v[8:9]
	v_cmp_eq_f64_e64 s[2:3], 0, v[8:9]
	s_movk_i32 s14, 0x204
	v_cmp_le_f64_e32 vcc, 0, v[0:1]
	v_mul_f64 v[10:11], v[8:9], v[6:7]
	v_mul_f64 v[6:7], v[6:7], 0.5
	v_fma_f64 v[12:13], -v[6:7], v[10:11], 0.5
	v_fmac_f64_e32 v[10:11], v[10:11], v[12:13]
	v_fmac_f64_e32 v[6:7], v[6:7], v[12:13]
	v_fma_f64 v[12:13], -v[10:11], v[10:11], v[8:9]
	v_fmac_f64_e32 v[10:11], v[12:13], v[6:7]
	v_cndmask_b32_e64 v7, v11, v9, s[2:3]
	v_cndmask_b32_e64 v6, v10, v8, s[2:3]
	v_ldexp_f64 v[6:7], v[6:7], v5
	v_cmp_o_f64_e64 s[2:3], v[2:3], v[2:3]
                                        ; implicit-def: $vgpr8_vgpr9
                                        ; implicit-def: $vgpr10_vgpr11
	s_nop 1
	v_cndmask_b32_e64 v5, 0, v6, s[2:3]
	v_mov_b32_e32 v6, 0x7ff80000
	v_cndmask_b32_e64 v6, v6, v7, s[2:3]
	v_cmp_class_f64_e64 s[2:3], v[0:1], s14
	v_cmp_class_f64_e64 s[14:15], v[2:3], s14
	v_mov_b32_e32 v7, 0x7ff00000
	s_or_b64 s[2:3], s[14:15], s[2:3]
	v_cndmask_b32_e64 v7, v6, v7, s[2:3]
	v_cndmask_b32_e64 v6, v5, 0, s[2:3]
	s_and_saveexec_b64 s[2:3], vcc
	s_xor_b64 s[2:3], exec, s[2:3]
	s_cbranch_execz .LBB167_405
; %bb.404:
	v_add_f64 v[0:1], v[0:1], v[6:7]
	s_mov_b32 s14, 0
	v_mul_f64 v[0:1], v[0:1], 0.5
	s_brev_b32 s15, 8
	v_mov_b32_e32 v5, 0x100
	v_cmp_gt_f64_e32 vcc, s[14:15], v[0:1]
	s_nop 1
	v_cndmask_b32_e32 v5, 0, v5, vcc
	v_ldexp_f64 v[0:1], v[0:1], v5
	v_rsq_f64_e32 v[6:7], v[0:1]
	v_mov_b32_e32 v5, 0xffffff80
	v_cndmask_b32_e32 v5, 0, v5, vcc
	v_mul_f64 v[8:9], v[0:1], v[6:7]
	v_mul_f64 v[6:7], v[6:7], 0.5
	v_fma_f64 v[10:11], -v[6:7], v[8:9], 0.5
	v_fmac_f64_e32 v[8:9], v[8:9], v[10:11]
	v_fma_f64 v[12:13], -v[8:9], v[8:9], v[0:1]
	v_fmac_f64_e32 v[6:7], v[6:7], v[10:11]
	v_fmac_f64_e32 v[8:9], v[12:13], v[6:7]
	v_fma_f64 v[10:11], -v[8:9], v[8:9], v[0:1]
	v_fmac_f64_e32 v[8:9], v[10:11], v[6:7]
	v_ldexp_f64 v[6:7], v[8:9], v5
	v_mov_b32_e32 v5, 0x260
	v_cmp_class_f64_e32 vcc, v[0:1], v5
	s_nop 1
	v_cndmask_b32_e32 v11, v7, v1, vcc
	v_cndmask_b32_e32 v10, v6, v0, vcc
	v_add_f64 v[0:1], v[10:11], v[10:11]
	v_div_scale_f64 v[6:7], s[14:15], v[0:1], v[0:1], v[2:3]
	v_rcp_f64_e32 v[8:9], v[6:7]
	s_nop 0
	v_fma_f64 v[12:13], -v[6:7], v[8:9], 1.0
	v_fmac_f64_e32 v[8:9], v[8:9], v[12:13]
	v_fma_f64 v[12:13], -v[6:7], v[8:9], 1.0
	v_fmac_f64_e32 v[8:9], v[8:9], v[12:13]
	v_div_scale_f64 v[12:13], vcc, v[2:3], v[0:1], v[2:3]
	v_mul_f64 v[14:15], v[12:13], v[8:9]
	v_fma_f64 v[6:7], -v[6:7], v[14:15], v[12:13]
	s_nop 1
	v_div_fmas_f64 v[6:7], v[6:7], v[8:9], v[14:15]
	v_div_fixup_f64 v[8:9], v[6:7], v[0:1], v[2:3]
                                        ; implicit-def: $vgpr6_vgpr7
                                        ; implicit-def: $vgpr0_vgpr1
	s_andn2_saveexec_b64 s[2:3], s[2:3]
	s_cbranch_execz .LBB167_407
	s_branch .LBB167_406
.LBB167_405:
	s_andn2_saveexec_b64 s[2:3], s[2:3]
	s_cbranch_execz .LBB167_407
.LBB167_406:
	v_add_f64 v[0:1], v[6:7], -v[0:1]
	s_mov_b32 s14, 0
	v_mul_f64 v[0:1], v[0:1], 0.5
	s_brev_b32 s15, 8
	v_mov_b32_e32 v5, 0x100
	v_cmp_gt_f64_e32 vcc, s[14:15], v[0:1]
	s_nop 1
	v_cndmask_b32_e32 v5, 0, v5, vcc
	v_ldexp_f64 v[0:1], v[0:1], v5
	v_rsq_f64_e32 v[6:7], v[0:1]
	v_mov_b32_e32 v5, 0xffffff80
	v_cndmask_b32_e32 v5, 0, v5, vcc
	v_mul_f64 v[8:9], v[0:1], v[6:7]
	v_mul_f64 v[6:7], v[6:7], 0.5
	v_fma_f64 v[10:11], -v[6:7], v[8:9], 0.5
	v_fmac_f64_e32 v[8:9], v[8:9], v[10:11]
	v_fma_f64 v[12:13], -v[8:9], v[8:9], v[0:1]
	v_fmac_f64_e32 v[6:7], v[6:7], v[10:11]
	v_fmac_f64_e32 v[8:9], v[12:13], v[6:7]
	v_fma_f64 v[10:11], -v[8:9], v[8:9], v[0:1]
	v_fmac_f64_e32 v[8:9], v[10:11], v[6:7]
	v_ldexp_f64 v[6:7], v[8:9], v5
	v_mov_b32_e32 v5, 0x260
	v_cmp_class_f64_e32 vcc, v[0:1], v5
	s_nop 1
	v_cndmask_b32_e32 v9, v7, v1, vcc
	v_cndmask_b32_e32 v8, v6, v0, vcc
	v_add_f64 v[0:1], v[8:9], v[8:9]
	v_and_b32_e32 v7, 0x7fffffff, v3
	v_mov_b32_e32 v6, v2
	v_div_scale_f64 v[10:11], s[14:15], v[0:1], v[0:1], v[6:7]
	v_rcp_f64_e32 v[12:13], v[10:11]
	v_div_scale_f64 v[6:7], vcc, v[6:7], v[0:1], v[6:7]
	s_brev_b32 s14, -2
	v_fma_f64 v[14:15], -v[10:11], v[12:13], 1.0
	v_fmac_f64_e32 v[12:13], v[12:13], v[14:15]
	v_fma_f64 v[14:15], -v[10:11], v[12:13], 1.0
	v_fmac_f64_e32 v[12:13], v[12:13], v[14:15]
	v_mul_f64 v[14:15], v[6:7], v[12:13]
	v_fma_f64 v[6:7], -v[10:11], v[14:15], v[6:7]
	v_div_fmas_f64 v[6:7], v[6:7], v[12:13], v[14:15]
	v_div_fixup_f64 v[10:11], v[6:7], v[0:1], |v[2:3]|
	v_bfi_b32 v9, s14, v9, v3
.LBB167_407:
	s_or_b64 exec, exec, s[2:3]
                                        ; implicit-def: $vgpr2_vgpr3
                                        ; implicit-def: $vgpr6_vgpr7
	s_and_saveexec_b64 s[2:3], s[0:1]
	s_xor_b64 s[0:1], exec, s[2:3]
	s_cbranch_execz .LBB167_409
; %bb.408:
	v_mul_f64 v[0:1], v[10:11], 0.5
	v_mul_f64 v[2:3], v[8:9], 0.5
	v_cndmask_b32_e64 v7, v11, v1, s[12:13]
	v_cndmask_b32_e64 v6, v10, v0, s[12:13]
	;; [unrolled: 1-line block ×4, first 2 shown]
                                        ; implicit-def: $vgpr10_vgpr11
                                        ; implicit-def: $vgpr8_vgpr9
	s_andn2_saveexec_b64 s[0:1], s[0:1]
	s_cbranch_execnz .LBB167_410
	s_branch .LBB167_411
.LBB167_409:
	s_andn2_saveexec_b64 s[0:1], s[0:1]
.LBB167_410:
	v_add_f64 v[6:7], v[10:11], v[10:11]
	v_add_f64 v[2:3], v[8:9], v[8:9]
.LBB167_411:
	s_or_b64 exec, exec, s[0:1]
.LBB167_412:
	s_andn2_saveexec_b64 s[0:1], s[10:11]
	s_cbranch_execz .LBB167_418
; %bb.413:
	v_add_f64 v[8:9], v[2:3], -v[2:3]
	v_cmp_lt_i64_e32 vcc, -1, v[0:1]
	s_brev_b32 s10, -2
	v_and_b32_e32 v7, 0x7fffffff, v9
	v_mov_b32_e32 v6, v8
	s_and_saveexec_b64 s[2:3], vcc
	s_xor_b64 s[2:3], exec, s[2:3]
; %bb.414:
	v_bfi_b32 v9, s10, v9, v3
	v_mov_b64_e32 v[2:3], v[8:9]
	v_mov_b64_e32 v[6:7], v[0:1]
; %bb.415:
	s_andn2_saveexec_b64 s[2:3], s[2:3]
; %bb.416:
	v_bfi_b32 v1, s10, v1, v3
	v_mov_b64_e32 v[2:3], v[0:1]
; %bb.417:
	s_or_b64 exec, exec, s[2:3]
.LBB167_418:
	s_or_b64 exec, exec, s[0:1]
.LBB167_419:
	s_andn2_saveexec_b64 s[0:1], s[8:9]
	s_cbranch_execz .LBB167_421
; %bb.420:
	v_add_f64 v[2:3], v[2:3], -v[2:3]
	v_div_scale_f64 v[6:7], vcc, v[2:3], v[2:3], v[2:3]
	v_rcp_f64_e32 v[8:9], v[6:7]
	s_nop 0
	v_fma_f64 v[10:11], -v[6:7], v[8:9], 1.0
	v_fmac_f64_e32 v[8:9], v[8:9], v[10:11]
	v_fma_f64 v[10:11], -v[6:7], v[8:9], 1.0
	v_fmac_f64_e32 v[8:9], v[8:9], v[10:11]
	v_mul_f64 v[10:11], v[6:7], v[8:9]
	v_fma_f64 v[6:7], -v[6:7], v[10:11], v[6:7]
	v_div_fmas_f64 v[6:7], v[6:7], v[8:9], v[10:11]
	v_div_fixup_f64 v[2:3], v[6:7], v[2:3], v[2:3]
	v_mov_b64_e32 v[6:7], v[0:1]
.LBB167_421:
	s_or_b64 exec, exec, s[0:1]
.LBB167_422:
	s_or_b64 exec, exec, s[6:7]
.LBB167_423:
	s_or_b64 exec, exec, s[4:5]
	v_xor_b32_e32 v0, 0x80000000, v7
	v_cmp_gt_f64_e32 vcc, 0, v[6:7]
	v_mov_b32_e32 v10, v6
	v_mov_b32_e32 v8, v2
	v_cndmask_b32_e32 v11, v7, v0, vcc
	v_xor_b32_e32 v0, 0x80000000, v3
	v_cmp_gt_f64_e32 vcc, 0, v[2:3]
                                        ; implicit-def: $vgpr12_vgpr13
	s_nop 1
	v_cndmask_b32_e32 v9, v3, v0, vcc
	v_cmp_ge_f64_e32 vcc, v[10:11], v[8:9]
                                        ; implicit-def: $vgpr0_vgpr1
	s_and_saveexec_b64 s[0:1], vcc
	s_xor_b64 s[2:3], exec, s[0:1]
	s_cbranch_execz .LBB167_429
; %bb.424:
	v_cmp_neq_f64_e32 vcc, 0, v[6:7]
	v_cmp_neq_f64_e64 s[0:1], 0, v[2:3]
	s_or_b64 s[0:1], vcc, s[0:1]
                                        ; implicit-def: $vgpr12_vgpr13
                                        ; implicit-def: $vgpr0_vgpr1
	s_and_saveexec_b64 s[4:5], s[0:1]
	s_xor_b64 s[0:1], exec, s[4:5]
	s_cbranch_execz .LBB167_426
; %bb.425:
	v_div_scale_f64 v[0:1], s[4:5], v[6:7], v[6:7], v[2:3]
	v_rcp_f64_e32 v[8:9], v[0:1]
	v_div_scale_f64 v[10:11], vcc, v[2:3], v[6:7], v[2:3]
	v_fma_f64 v[12:13], -v[0:1], v[8:9], 1.0
	v_fmac_f64_e32 v[8:9], v[8:9], v[12:13]
	v_fma_f64 v[12:13], -v[0:1], v[8:9], 1.0
	v_fmac_f64_e32 v[8:9], v[8:9], v[12:13]
	v_mul_f64 v[12:13], v[10:11], v[8:9]
	v_fma_f64 v[0:1], -v[0:1], v[12:13], v[10:11]
	v_div_fmas_f64 v[0:1], v[0:1], v[8:9], v[12:13]
	v_div_fixup_f64 v[8:9], v[0:1], v[6:7], v[2:3]
	v_fmac_f64_e32 v[6:7], v[2:3], v[8:9]
	v_div_scale_f64 v[0:1], s[4:5], v[6:7], v[6:7], 1.0
	v_rcp_f64_e32 v[2:3], v[0:1]
	s_nop 0
	v_fma_f64 v[10:11], -v[0:1], v[2:3], 1.0
	v_fmac_f64_e32 v[2:3], v[2:3], v[10:11]
	v_fma_f64 v[10:11], -v[0:1], v[2:3], 1.0
	v_fmac_f64_e32 v[2:3], v[2:3], v[10:11]
	v_div_scale_f64 v[10:11], vcc, 1.0, v[6:7], 1.0
	v_mul_f64 v[12:13], v[10:11], v[2:3]
	v_fma_f64 v[0:1], -v[0:1], v[12:13], v[10:11]
                                        ; implicit-def: $vgpr10_vgpr11
	s_nop 1
	v_div_fmas_f64 v[0:1], v[0:1], v[2:3], v[12:13]
	v_div_fixup_f64 v[2:3], v[0:1], v[6:7], 1.0
	v_fma_f64 v[0:1], v[8:9], 0, 1.0
	v_add_f64 v[6:7], -v[8:9], 0
	v_mul_f64 v[0:1], v[0:1], v[2:3]
	v_mul_f64 v[12:13], v[6:7], v[2:3]
                                        ; implicit-def: $vgpr8_vgpr9
.LBB167_426:
	s_andn2_saveexec_b64 s[0:1], s[0:1]
	s_cbranch_execz .LBB167_428
; %bb.427:
	v_div_scale_f64 v[0:1], s[4:5], v[10:11], v[10:11], 1.0
	v_rcp_f64_e32 v[2:3], v[0:1]
	v_div_scale_f64 v[6:7], vcc, 1.0, v[10:11], 1.0
	v_fma_f64 v[12:13], -v[0:1], v[2:3], 1.0
	v_fmac_f64_e32 v[2:3], v[2:3], v[12:13]
	v_fma_f64 v[12:13], -v[0:1], v[2:3], 1.0
	v_fmac_f64_e32 v[2:3], v[2:3], v[12:13]
	v_mul_f64 v[12:13], v[6:7], v[2:3]
	v_fma_f64 v[0:1], -v[0:1], v[12:13], v[6:7]
	v_div_scale_f64 v[6:7], s[4:5], v[8:9], v[8:9], 0
	v_rcp_f64_e32 v[14:15], v[6:7]
	v_div_fmas_f64 v[0:1], v[0:1], v[2:3], v[12:13]
	v_div_fixup_f64 v[0:1], v[0:1], v[10:11], 1.0
	v_fma_f64 v[2:3], -v[6:7], v[14:15], 1.0
	v_fmac_f64_e32 v[14:15], v[14:15], v[2:3]
	v_fma_f64 v[2:3], -v[6:7], v[14:15], 1.0
	v_fmac_f64_e32 v[14:15], v[14:15], v[2:3]
	v_div_scale_f64 v[2:3], vcc, 0, v[8:9], 0
	v_mul_f64 v[10:11], v[2:3], v[14:15]
	v_fma_f64 v[2:3], -v[6:7], v[10:11], v[2:3]
	s_nop 1
	v_div_fmas_f64 v[2:3], v[2:3], v[14:15], v[10:11]
	v_div_fixup_f64 v[12:13], v[2:3], v[8:9], 0
.LBB167_428:
	s_or_b64 exec, exec, s[0:1]
                                        ; implicit-def: $vgpr2_vgpr3
                                        ; implicit-def: $vgpr6_vgpr7
.LBB167_429:
	s_andn2_saveexec_b64 s[0:1], s[2:3]
	s_cbranch_execz .LBB167_431
; %bb.430:
	v_div_scale_f64 v[0:1], s[2:3], v[2:3], v[2:3], v[6:7]
	v_rcp_f64_e32 v[8:9], v[0:1]
	v_div_scale_f64 v[10:11], vcc, v[6:7], v[2:3], v[6:7]
	v_fma_f64 v[12:13], -v[0:1], v[8:9], 1.0
	v_fmac_f64_e32 v[8:9], v[8:9], v[12:13]
	v_fma_f64 v[12:13], -v[0:1], v[8:9], 1.0
	v_fmac_f64_e32 v[8:9], v[8:9], v[12:13]
	v_mul_f64 v[12:13], v[10:11], v[8:9]
	v_fma_f64 v[0:1], -v[0:1], v[12:13], v[10:11]
	v_div_fmas_f64 v[0:1], v[0:1], v[8:9], v[12:13]
	v_div_fixup_f64 v[8:9], v[0:1], v[2:3], v[6:7]
	v_fmac_f64_e32 v[2:3], v[6:7], v[8:9]
	v_div_scale_f64 v[0:1], s[2:3], v[2:3], v[2:3], 1.0
	v_rcp_f64_e32 v[6:7], v[0:1]
	s_nop 0
	v_fma_f64 v[10:11], -v[0:1], v[6:7], 1.0
	v_fmac_f64_e32 v[6:7], v[6:7], v[10:11]
	v_fma_f64 v[10:11], -v[0:1], v[6:7], 1.0
	v_fmac_f64_e32 v[6:7], v[6:7], v[10:11]
	v_div_scale_f64 v[10:11], vcc, 1.0, v[2:3], 1.0
	v_mul_f64 v[12:13], v[10:11], v[6:7]
	v_fma_f64 v[0:1], -v[0:1], v[12:13], v[10:11]
	s_nop 1
	v_div_fmas_f64 v[0:1], v[0:1], v[6:7], v[12:13]
	v_div_fixup_f64 v[2:3], v[0:1], v[2:3], 1.0
	v_add_f64 v[0:1], v[8:9], 0
	v_fma_f64 v[6:7], v[8:9], 0, -1.0
	v_mul_f64 v[0:1], v[0:1], v[2:3]
	v_mul_f64 v[12:13], v[6:7], v[2:3]
.LBB167_431:
	s_or_b64 exec, exec, s[0:1]
	v_mov_b32_e32 v5, 0
	s_mov_b64 s[0:1], exec
	v_lshl_add_u64 v[14:15], s[16:17], 0, v[4:5]
	global_store_dwordx2 v4, v[0:1], s[16:17]
.LBB167_432:
	s_or_b64 exec, exec, s[48:49]
	s_waitcnt lgkmcnt(0)
	s_and_b64 s[24:25], s[0:1], exec
                                        ; implicit-def: $vgpr2
                                        ; implicit-def: $vgpr20
	s_andn2_saveexec_b64 s[26:27], s[38:39]
	s_cbranch_execnz .LBB167_9
.LBB167_433:
	s_or_b64 exec, exec, s[26:27]
	s_and_saveexec_b64 s[0:1], s[24:25]
	s_cbranch_execz .LBB167_267
.LBB167_434:
	global_store_dwordx2 v[14:15], v[12:13], off offset:8
	s_endpgm
	.section	.rodata,"a",@progbits
	.p2align	6, 0x0
	.amdhsa_kernel _ZN2at6native32elementwise_kernel_manual_unrollILi128ELi4EZNS0_22gpu_kernel_impl_nocastIZZZNS0_17rsqrt_kernel_cudaERNS_18TensorIteratorBaseEENKUlvE_clEvENKUlvE_clEvEUlN3c107complexIdEEE_EEvS4_RKT_EUlibE_EEviT1_
		.amdhsa_group_segment_fixed_size 0
		.amdhsa_private_segment_fixed_size 0
		.amdhsa_kernarg_size 360
		.amdhsa_user_sgpr_count 2
		.amdhsa_user_sgpr_dispatch_ptr 0
		.amdhsa_user_sgpr_queue_ptr 0
		.amdhsa_user_sgpr_kernarg_segment_ptr 1
		.amdhsa_user_sgpr_dispatch_id 0
		.amdhsa_user_sgpr_kernarg_preload_length 0
		.amdhsa_user_sgpr_kernarg_preload_offset 0
		.amdhsa_user_sgpr_private_segment_size 0
		.amdhsa_uses_dynamic_stack 0
		.amdhsa_enable_private_segment 0
		.amdhsa_system_sgpr_workgroup_id_x 1
		.amdhsa_system_sgpr_workgroup_id_y 0
		.amdhsa_system_sgpr_workgroup_id_z 0
		.amdhsa_system_sgpr_workgroup_info 0
		.amdhsa_system_vgpr_workitem_id 0
		.amdhsa_next_free_vgpr 34
		.amdhsa_next_free_sgpr 60
		.amdhsa_accum_offset 36
		.amdhsa_reserve_vcc 1
		.amdhsa_float_round_mode_32 0
		.amdhsa_float_round_mode_16_64 0
		.amdhsa_float_denorm_mode_32 3
		.amdhsa_float_denorm_mode_16_64 3
		.amdhsa_dx10_clamp 1
		.amdhsa_ieee_mode 1
		.amdhsa_fp16_overflow 0
		.amdhsa_tg_split 0
		.amdhsa_exception_fp_ieee_invalid_op 0
		.amdhsa_exception_fp_denorm_src 0
		.amdhsa_exception_fp_ieee_div_zero 0
		.amdhsa_exception_fp_ieee_overflow 0
		.amdhsa_exception_fp_ieee_underflow 0
		.amdhsa_exception_fp_ieee_inexact 0
		.amdhsa_exception_int_div_zero 0
	.end_amdhsa_kernel
	.section	.text._ZN2at6native32elementwise_kernel_manual_unrollILi128ELi4EZNS0_22gpu_kernel_impl_nocastIZZZNS0_17rsqrt_kernel_cudaERNS_18TensorIteratorBaseEENKUlvE_clEvENKUlvE_clEvEUlN3c107complexIdEEE_EEvS4_RKT_EUlibE_EEviT1_,"axG",@progbits,_ZN2at6native32elementwise_kernel_manual_unrollILi128ELi4EZNS0_22gpu_kernel_impl_nocastIZZZNS0_17rsqrt_kernel_cudaERNS_18TensorIteratorBaseEENKUlvE_clEvENKUlvE_clEvEUlN3c107complexIdEEE_EEvS4_RKT_EUlibE_EEviT1_,comdat
.Lfunc_end167:
	.size	_ZN2at6native32elementwise_kernel_manual_unrollILi128ELi4EZNS0_22gpu_kernel_impl_nocastIZZZNS0_17rsqrt_kernel_cudaERNS_18TensorIteratorBaseEENKUlvE_clEvENKUlvE_clEvEUlN3c107complexIdEEE_EEvS4_RKT_EUlibE_EEviT1_, .Lfunc_end167-_ZN2at6native32elementwise_kernel_manual_unrollILi128ELi4EZNS0_22gpu_kernel_impl_nocastIZZZNS0_17rsqrt_kernel_cudaERNS_18TensorIteratorBaseEENKUlvE_clEvENKUlvE_clEvEUlN3c107complexIdEEE_EEvS4_RKT_EUlibE_EEviT1_
                                        ; -- End function
	.set _ZN2at6native32elementwise_kernel_manual_unrollILi128ELi4EZNS0_22gpu_kernel_impl_nocastIZZZNS0_17rsqrt_kernel_cudaERNS_18TensorIteratorBaseEENKUlvE_clEvENKUlvE_clEvEUlN3c107complexIdEEE_EEvS4_RKT_EUlibE_EEviT1_.num_vgpr, 34
	.set _ZN2at6native32elementwise_kernel_manual_unrollILi128ELi4EZNS0_22gpu_kernel_impl_nocastIZZZNS0_17rsqrt_kernel_cudaERNS_18TensorIteratorBaseEENKUlvE_clEvENKUlvE_clEvEUlN3c107complexIdEEE_EEvS4_RKT_EUlibE_EEviT1_.num_agpr, 0
	.set _ZN2at6native32elementwise_kernel_manual_unrollILi128ELi4EZNS0_22gpu_kernel_impl_nocastIZZZNS0_17rsqrt_kernel_cudaERNS_18TensorIteratorBaseEENKUlvE_clEvENKUlvE_clEvEUlN3c107complexIdEEE_EEvS4_RKT_EUlibE_EEviT1_.numbered_sgpr, 60
	.set _ZN2at6native32elementwise_kernel_manual_unrollILi128ELi4EZNS0_22gpu_kernel_impl_nocastIZZZNS0_17rsqrt_kernel_cudaERNS_18TensorIteratorBaseEENKUlvE_clEvENKUlvE_clEvEUlN3c107complexIdEEE_EEvS4_RKT_EUlibE_EEviT1_.num_named_barrier, 0
	.set _ZN2at6native32elementwise_kernel_manual_unrollILi128ELi4EZNS0_22gpu_kernel_impl_nocastIZZZNS0_17rsqrt_kernel_cudaERNS_18TensorIteratorBaseEENKUlvE_clEvENKUlvE_clEvEUlN3c107complexIdEEE_EEvS4_RKT_EUlibE_EEviT1_.private_seg_size, 0
	.set _ZN2at6native32elementwise_kernel_manual_unrollILi128ELi4EZNS0_22gpu_kernel_impl_nocastIZZZNS0_17rsqrt_kernel_cudaERNS_18TensorIteratorBaseEENKUlvE_clEvENKUlvE_clEvEUlN3c107complexIdEEE_EEvS4_RKT_EUlibE_EEviT1_.uses_vcc, 1
	.set _ZN2at6native32elementwise_kernel_manual_unrollILi128ELi4EZNS0_22gpu_kernel_impl_nocastIZZZNS0_17rsqrt_kernel_cudaERNS_18TensorIteratorBaseEENKUlvE_clEvENKUlvE_clEvEUlN3c107complexIdEEE_EEvS4_RKT_EUlibE_EEviT1_.uses_flat_scratch, 0
	.set _ZN2at6native32elementwise_kernel_manual_unrollILi128ELi4EZNS0_22gpu_kernel_impl_nocastIZZZNS0_17rsqrt_kernel_cudaERNS_18TensorIteratorBaseEENKUlvE_clEvENKUlvE_clEvEUlN3c107complexIdEEE_EEvS4_RKT_EUlibE_EEviT1_.has_dyn_sized_stack, 0
	.set _ZN2at6native32elementwise_kernel_manual_unrollILi128ELi4EZNS0_22gpu_kernel_impl_nocastIZZZNS0_17rsqrt_kernel_cudaERNS_18TensorIteratorBaseEENKUlvE_clEvENKUlvE_clEvEUlN3c107complexIdEEE_EEvS4_RKT_EUlibE_EEviT1_.has_recursion, 0
	.set _ZN2at6native32elementwise_kernel_manual_unrollILi128ELi4EZNS0_22gpu_kernel_impl_nocastIZZZNS0_17rsqrt_kernel_cudaERNS_18TensorIteratorBaseEENKUlvE_clEvENKUlvE_clEvEUlN3c107complexIdEEE_EEvS4_RKT_EUlibE_EEviT1_.has_indirect_call, 0
	.section	.AMDGPU.csdata,"",@progbits
; Kernel info:
; codeLenInByte = 21652
; TotalNumSgprs: 66
; NumVgprs: 34
; NumAgprs: 0
; TotalNumVgprs: 34
; ScratchSize: 0
; MemoryBound: 0
; FloatMode: 240
; IeeeMode: 1
; LDSByteSize: 0 bytes/workgroup (compile time only)
; SGPRBlocks: 8
; VGPRBlocks: 4
; NumSGPRsForWavesPerEU: 66
; NumVGPRsForWavesPerEU: 34
; AccumOffset: 36
; Occupancy: 8
; WaveLimiterHint : 1
; COMPUTE_PGM_RSRC2:SCRATCH_EN: 0
; COMPUTE_PGM_RSRC2:USER_SGPR: 2
; COMPUTE_PGM_RSRC2:TRAP_HANDLER: 0
; COMPUTE_PGM_RSRC2:TGID_X_EN: 1
; COMPUTE_PGM_RSRC2:TGID_Y_EN: 0
; COMPUTE_PGM_RSRC2:TGID_Z_EN: 0
; COMPUTE_PGM_RSRC2:TIDIG_COMP_CNT: 0
; COMPUTE_PGM_RSRC3_GFX90A:ACCUM_OFFSET: 8
; COMPUTE_PGM_RSRC3_GFX90A:TG_SPLIT: 0
	.section	.text._ZN2at6native32elementwise_kernel_manual_unrollILi128ELi4EZNS0_15gpu_kernel_implIZZZNS0_17rsqrt_kernel_cudaERNS_18TensorIteratorBaseEENKUlvE_clEvENKUlvE_clEvEUlN3c107complexIdEEE_EEvS4_RKT_EUlibE_EEviT1_,"axG",@progbits,_ZN2at6native32elementwise_kernel_manual_unrollILi128ELi4EZNS0_15gpu_kernel_implIZZZNS0_17rsqrt_kernel_cudaERNS_18TensorIteratorBaseEENKUlvE_clEvENKUlvE_clEvEUlN3c107complexIdEEE_EEvS4_RKT_EUlibE_EEviT1_,comdat
	.globl	_ZN2at6native32elementwise_kernel_manual_unrollILi128ELi4EZNS0_15gpu_kernel_implIZZZNS0_17rsqrt_kernel_cudaERNS_18TensorIteratorBaseEENKUlvE_clEvENKUlvE_clEvEUlN3c107complexIdEEE_EEvS4_RKT_EUlibE_EEviT1_ ; -- Begin function _ZN2at6native32elementwise_kernel_manual_unrollILi128ELi4EZNS0_15gpu_kernel_implIZZZNS0_17rsqrt_kernel_cudaERNS_18TensorIteratorBaseEENKUlvE_clEvENKUlvE_clEvEUlN3c107complexIdEEE_EEvS4_RKT_EUlibE_EEviT1_
	.p2align	8
	.type	_ZN2at6native32elementwise_kernel_manual_unrollILi128ELi4EZNS0_15gpu_kernel_implIZZZNS0_17rsqrt_kernel_cudaERNS_18TensorIteratorBaseEENKUlvE_clEvENKUlvE_clEvEUlN3c107complexIdEEE_EEvS4_RKT_EUlibE_EEviT1_,@function
_ZN2at6native32elementwise_kernel_manual_unrollILi128ELi4EZNS0_15gpu_kernel_implIZZZNS0_17rsqrt_kernel_cudaERNS_18TensorIteratorBaseEENKUlvE_clEvENKUlvE_clEvEUlN3c107complexIdEEE_EEvS4_RKT_EUlibE_EEviT1_: ; @_ZN2at6native32elementwise_kernel_manual_unrollILi128ELi4EZNS0_15gpu_kernel_implIZZZNS0_17rsqrt_kernel_cudaERNS_18TensorIteratorBaseEENKUlvE_clEvENKUlvE_clEvEUlN3c107complexIdEEE_EEvS4_RKT_EUlibE_EEviT1_
; %bb.0:
	v_mov_b32_e32 v1, 0
	global_load_ushort v1, v1, s[0:1] offset:33
	s_load_dwordx4 s[4:7], s[0:1], 0x8
	s_load_dwordx2 s[8:9], s[0:1], 0x18
	s_load_dword s45, s[0:1], 0x0
	v_lshl_or_b32 v24, s2, 9, v0
	v_or_b32_e32 v0, 0x180, v24
	s_mov_b64 s[10:11], 0
	s_mov_b64 s[14:15], 0
	s_waitcnt lgkmcnt(0)
	v_cmp_le_i32_e32 vcc, s45, v0
	s_waitcnt vmcnt(0)
	v_readfirstlane_b32 s33, v1
	s_and_b32 s0, 0xffff, s33
	s_lshr_b32 s44, s0, 8
	s_and_saveexec_b64 s[0:1], vcc
	s_xor_b64 s[12:13], exec, s[0:1]
	s_cbranch_execz .LBB168_1197
; %bb.1:
	v_cmp_gt_i32_e32 vcc, s45, v24
	s_mov_b64 s[2:3], -1
	s_mov_b64 s[22:23], 0
	s_mov_b64 s[16:17], 0
	s_and_saveexec_b64 s[18:19], vcc
	s_cbranch_execz .LBB168_293
; %bb.2:
	v_mul_lo_u32 v0, v24, s9
	v_ashrrev_i32_e32 v1, 31, v0
	s_and_b32 s20, 0xffff, s44
	s_cmp_lt_i32 s20, 11
	v_lshl_add_u64 v[4:5], s[6:7], 0, v[0:1]
	s_cbranch_scc1 .LBB168_9
; %bb.3:
	s_cmp_gt_i32 s20, 25
	s_cbranch_scc0 .LBB168_23
; %bb.4:
	s_cmp_gt_i32 s20, 28
	s_cbranch_scc0 .LBB168_24
	;; [unrolled: 3-line block ×4, first 2 shown]
; %bb.7:
	s_cmp_eq_u32 s20, 46
	s_mov_b64 s[2:3], 0
	s_cbranch_scc0 .LBB168_65
; %bb.8:
	global_load_dword v0, v[4:5], off
	s_mov_b64 s[0:1], -1
	s_waitcnt vmcnt(0)
	v_and_b32_e32 v2, 0xffff0000, v0
	v_lshlrev_b32_e32 v0, 16, v0
	v_cvt_f64_f32_e32 v[0:1], v0
	v_cvt_f64_f32_e32 v[2:3], v2
	s_branch .LBB168_67
.LBB168_9:
                                        ; implicit-def: $vgpr2_vgpr3
	s_mov_b64 s[0:1], 0
	s_and_b64 vcc, exec, s[2:3]
	s_cbranch_vccnz .LBB168_242
.LBB168_10:
	s_andn2_b64 vcc, exec, s[0:1]
	s_cbranch_vccnz .LBB168_291
.LBB168_11:
	s_waitcnt vmcnt(0)
	v_cmp_neq_f64_e32 vcc, 0, v[0:1]
	v_cmp_neq_f64_e64 s[0:1], 0, v[2:3]
	v_mov_b64_e32 v[8:9], 0
	s_or_b64 s[0:1], vcc, s[0:1]
	s_and_saveexec_b64 s[14:15], s[0:1]
	s_cbranch_execz .LBB168_44
; %bb.12:
	v_mov_b32_e32 v8, 0
	v_mov_b32_e32 v9, 0x7ff00000
	v_cmp_neq_f64_e64 s[0:1], |v[2:3]|, v[8:9]
	s_and_saveexec_b64 s[20:21], s[0:1]
	s_cbranch_execz .LBB168_43
; %bb.13:
	v_cmp_o_f64_e32 vcc, v[0:1], v[0:1]
                                        ; implicit-def: $vgpr8_vgpr9
	s_and_saveexec_b64 s[0:1], vcc
	s_xor_b64 s[24:25], exec, s[0:1]
	s_cbranch_execz .LBB168_40
; %bb.14:
	s_mov_b32 s0, 0
	s_mov_b32 s1, 0x7ff00000
	v_cmp_neq_f64_e64 s[0:1], |v[0:1]|, s[0:1]
                                        ; implicit-def: $vgpr8_vgpr9
	s_and_saveexec_b64 s[2:3], s[0:1]
	s_xor_b64 s[26:27], exec, s[2:3]
	s_cbranch_execz .LBB168_33
; %bb.15:
	v_max_f64 v[4:5], |v[2:3]|, |v[2:3]|
	v_max_f64 v[6:7], |v[0:1]|, |v[0:1]|
	s_mov_b32 s0, 0x99fcef32
	v_max_f64 v[4:5], v[6:7], v[4:5]
	s_mov_b32 s1, 0x7fda8279
	v_cmp_nle_f64_e64 s[0:1], s[0:1], v[4:5]
                                        ; implicit-def: $sgpr28_sgpr29
	s_and_saveexec_b64 s[2:3], s[0:1]
	s_xor_b64 s[2:3], exec, s[2:3]
	s_cbranch_execz .LBB168_19
; %bb.16:
	s_mov_b32 s28, 0
	s_mov_b32 s29, 0x200000
	v_cmp_le_f64_e64 s[30:31], |v[0:1]|, s[28:29]
	v_cmp_le_f64_e64 s[28:29], |v[2:3]|, s[28:29]
	s_and_b64 s[34:35], s[30:31], s[28:29]
	s_mov_b64 s[28:29], 0
	s_and_saveexec_b64 s[30:31], s[34:35]
; %bb.17:
	s_mov_b64 s[28:29], exec
	v_mul_f64 v[2:3], v[2:3], 4.0
	v_mul_f64 v[0:1], v[0:1], 4.0
; %bb.18:
	s_or_b64 exec, exec, s[30:31]
.LBB168_19:
	s_andn2_saveexec_b64 s[2:3], s[2:3]
; %bb.20:
	v_ldexp_f64 v[0:1], v[0:1], -2
	v_ldexp_f64 v[2:3], v[2:3], -2
	s_andn2_b64 s[28:29], s[28:29], exec
; %bb.21:
	s_or_b64 exec, exec, s[2:3]
	v_max_f64 v[4:5], |v[2:3]|, |v[2:3]|
	v_max_f64 v[6:7], |v[0:1]|, |v[0:1]|
	v_max_f64 v[4:5], v[6:7], v[4:5]
	v_frexp_exp_i32_f64_e32 v12, v[4:5]
	v_sub_u32_e32 v6, 0, v12
	v_ldexp_f64 v[4:5], |v[0:1]|, v6
	v_ldexp_f64 v[6:7], |v[2:3]|, v6
	v_mul_f64 v[6:7], v[6:7], v[6:7]
	v_fmac_f64_e32 v[6:7], v[4:5], v[4:5]
	v_rsq_f64_e32 v[4:5], v[6:7]
	v_cmp_eq_f64_e64 s[2:3], 0, v[6:7]
	s_movk_i32 s30, 0x204
	v_cmp_le_f64_e32 vcc, 0, v[0:1]
	v_mul_f64 v[8:9], v[6:7], v[4:5]
	v_mul_f64 v[4:5], v[4:5], 0.5
	v_fma_f64 v[10:11], -v[4:5], v[8:9], 0.5
	v_fmac_f64_e32 v[8:9], v[8:9], v[10:11]
	v_fmac_f64_e32 v[4:5], v[4:5], v[10:11]
	v_fma_f64 v[10:11], -v[8:9], v[8:9], v[6:7]
	v_fmac_f64_e32 v[8:9], v[10:11], v[4:5]
	v_cndmask_b32_e64 v5, v9, v7, s[2:3]
	v_cndmask_b32_e64 v4, v8, v6, s[2:3]
	v_ldexp_f64 v[4:5], v[4:5], v12
	v_cmp_o_f64_e64 s[2:3], v[2:3], v[2:3]
	v_mov_b32_e32 v6, 0x7ff80000
	s_nop 0
	v_cndmask_b32_e64 v4, 0, v4, s[2:3]
	v_cndmask_b32_e64 v5, v6, v5, s[2:3]
	v_cmp_class_f64_e64 s[2:3], v[0:1], s30
	v_cmp_class_f64_e64 s[30:31], v[2:3], s30
	v_mov_b32_e32 v6, 0x7ff00000
	s_or_b64 s[2:3], s[30:31], s[2:3]
	v_cndmask_b32_e64 v9, v5, v6, s[2:3]
	v_cndmask_b32_e64 v8, v4, 0, s[2:3]
                                        ; implicit-def: $vgpr4_vgpr5
                                        ; implicit-def: $vgpr6_vgpr7
	s_and_saveexec_b64 s[2:3], vcc
	s_xor_b64 s[2:3], exec, s[2:3]
	s_cbranch_execz .LBB168_26
; %bb.22:
	v_add_f64 v[0:1], v[0:1], v[8:9]
	s_mov_b32 s30, 0
	v_mul_f64 v[0:1], v[0:1], 0.5
	s_brev_b32 s31, 8
	v_mov_b32_e32 v4, 0x100
	v_cmp_gt_f64_e32 vcc, s[30:31], v[0:1]
	s_nop 1
	v_cndmask_b32_e32 v4, 0, v4, vcc
	v_ldexp_f64 v[0:1], v[0:1], v4
	v_rsq_f64_e32 v[4:5], v[0:1]
	s_nop 0
	v_mul_f64 v[6:7], v[0:1], v[4:5]
	v_mul_f64 v[4:5], v[4:5], 0.5
	v_fma_f64 v[8:9], -v[4:5], v[6:7], 0.5
	v_fmac_f64_e32 v[6:7], v[6:7], v[8:9]
	v_fma_f64 v[10:11], -v[6:7], v[6:7], v[0:1]
	v_fmac_f64_e32 v[4:5], v[4:5], v[8:9]
	v_fmac_f64_e32 v[6:7], v[10:11], v[4:5]
	v_fma_f64 v[8:9], -v[6:7], v[6:7], v[0:1]
	v_fmac_f64_e32 v[6:7], v[8:9], v[4:5]
	v_mov_b32_e32 v4, 0xffffff80
	v_cndmask_b32_e32 v4, 0, v4, vcc
	v_ldexp_f64 v[4:5], v[6:7], v4
	v_mov_b32_e32 v6, 0x260
	v_cmp_class_f64_e32 vcc, v[0:1], v6
	s_nop 1
	v_cndmask_b32_e32 v7, v5, v1, vcc
	v_cndmask_b32_e32 v6, v4, v0, vcc
	v_add_f64 v[0:1], v[6:7], v[6:7]
	v_div_scale_f64 v[4:5], s[30:31], v[0:1], v[0:1], v[2:3]
	v_rcp_f64_e32 v[8:9], v[4:5]
	s_nop 0
	v_fma_f64 v[10:11], -v[4:5], v[8:9], 1.0
	v_fmac_f64_e32 v[8:9], v[8:9], v[10:11]
	v_fma_f64 v[10:11], -v[4:5], v[8:9], 1.0
	v_fmac_f64_e32 v[8:9], v[8:9], v[10:11]
	v_div_scale_f64 v[10:11], vcc, v[2:3], v[0:1], v[2:3]
	v_mul_f64 v[12:13], v[10:11], v[8:9]
	v_fma_f64 v[4:5], -v[4:5], v[12:13], v[10:11]
	s_nop 1
	v_div_fmas_f64 v[4:5], v[4:5], v[8:9], v[12:13]
	v_div_fixup_f64 v[4:5], v[4:5], v[0:1], v[2:3]
                                        ; implicit-def: $vgpr8_vgpr9
                                        ; implicit-def: $vgpr0_vgpr1
	s_andn2_saveexec_b64 s[2:3], s[2:3]
	s_cbranch_execz .LBB168_28
	s_branch .LBB168_27
.LBB168_23:
	s_mov_b64 s[0:1], 0
                                        ; implicit-def: $vgpr2_vgpr3
	s_and_b64 vcc, exec, s[2:3]
	s_cbranch_vccnz .LBB168_209
	s_branch .LBB168_241
.LBB168_24:
	s_mov_b64 s[0:1], 0
                                        ; implicit-def: $vgpr2_vgpr3
	s_branch .LBB168_188
.LBB168_25:
	s_mov_b64 s[0:1], 0
                                        ; implicit-def: $vgpr2_vgpr3
	s_branch .LBB168_182
.LBB168_26:
	s_andn2_saveexec_b64 s[2:3], s[2:3]
	s_cbranch_execz .LBB168_28
.LBB168_27:
	v_add_f64 v[0:1], v[8:9], -v[0:1]
	s_mov_b32 s30, 0
	v_mul_f64 v[0:1], v[0:1], 0.5
	s_brev_b32 s31, 8
	v_mov_b32_e32 v4, 0x100
	v_cmp_gt_f64_e32 vcc, s[30:31], v[0:1]
	s_nop 1
	v_cndmask_b32_e32 v4, 0, v4, vcc
	v_ldexp_f64 v[0:1], v[0:1], v4
	v_rsq_f64_e32 v[4:5], v[0:1]
	s_nop 0
	v_mul_f64 v[6:7], v[0:1], v[4:5]
	v_mul_f64 v[4:5], v[4:5], 0.5
	v_fma_f64 v[8:9], -v[4:5], v[6:7], 0.5
	v_fmac_f64_e32 v[6:7], v[6:7], v[8:9]
	v_fma_f64 v[10:11], -v[6:7], v[6:7], v[0:1]
	v_fmac_f64_e32 v[4:5], v[4:5], v[8:9]
	v_fmac_f64_e32 v[6:7], v[10:11], v[4:5]
	v_fma_f64 v[8:9], -v[6:7], v[6:7], v[0:1]
	v_fmac_f64_e32 v[6:7], v[8:9], v[4:5]
	v_mov_b32_e32 v4, 0xffffff80
	v_cndmask_b32_e32 v4, 0, v4, vcc
	v_ldexp_f64 v[4:5], v[6:7], v4
	v_mov_b32_e32 v6, 0x260
	v_cmp_class_f64_e32 vcc, v[0:1], v6
	v_and_b32_e32 v7, 0x7fffffff, v3
	v_mov_b32_e32 v6, v2
	v_cndmask_b32_e32 v5, v5, v1, vcc
	v_cndmask_b32_e32 v4, v4, v0, vcc
	v_add_f64 v[0:1], v[4:5], v[4:5]
	v_div_scale_f64 v[8:9], s[30:31], v[0:1], v[0:1], v[6:7]
	v_rcp_f64_e32 v[10:11], v[8:9]
	v_div_scale_f64 v[6:7], vcc, v[6:7], v[0:1], v[6:7]
	s_brev_b32 s30, -2
	v_fma_f64 v[12:13], -v[8:9], v[10:11], 1.0
	v_fmac_f64_e32 v[10:11], v[10:11], v[12:13]
	v_fma_f64 v[12:13], -v[8:9], v[10:11], 1.0
	v_fmac_f64_e32 v[10:11], v[10:11], v[12:13]
	v_mul_f64 v[12:13], v[6:7], v[10:11]
	v_fma_f64 v[6:7], -v[8:9], v[12:13], v[6:7]
	v_div_fmas_f64 v[6:7], v[6:7], v[10:11], v[12:13]
	v_div_fixup_f64 v[6:7], v[6:7], v[0:1], |v[2:3]|
	v_bfi_b32 v5, s30, v5, v3
.LBB168_28:
	s_or_b64 exec, exec, s[2:3]
                                        ; implicit-def: $vgpr2_vgpr3
                                        ; implicit-def: $vgpr8_vgpr9
	s_and_saveexec_b64 s[2:3], s[0:1]
	s_xor_b64 s[0:1], exec, s[2:3]
	s_cbranch_execz .LBB168_30
; %bb.29:
	v_mul_f64 v[0:1], v[6:7], 0.5
	v_mul_f64 v[2:3], v[4:5], 0.5
	v_cndmask_b32_e64 v9, v7, v1, s[28:29]
	v_cndmask_b32_e64 v8, v6, v0, s[28:29]
	;; [unrolled: 1-line block ×4, first 2 shown]
                                        ; implicit-def: $vgpr6_vgpr7
                                        ; implicit-def: $vgpr4_vgpr5
	s_andn2_saveexec_b64 s[0:1], s[0:1]
	s_cbranch_execnz .LBB168_31
	s_branch .LBB168_32
.LBB168_30:
	s_andn2_saveexec_b64 s[0:1], s[0:1]
.LBB168_31:
	v_add_f64 v[8:9], v[6:7], v[6:7]
	v_add_f64 v[2:3], v[4:5], v[4:5]
.LBB168_32:
	s_or_b64 exec, exec, s[0:1]
.LBB168_33:
	s_andn2_saveexec_b64 s[0:1], s[26:27]
	s_cbranch_execz .LBB168_39
; %bb.34:
	v_add_f64 v[4:5], v[2:3], -v[2:3]
	v_cmp_lt_i64_e32 vcc, -1, v[0:1]
	s_brev_b32 s26, -2
	v_and_b32_e32 v9, 0x7fffffff, v5
	v_mov_b32_e32 v8, v4
	s_and_saveexec_b64 s[2:3], vcc
	s_xor_b64 s[2:3], exec, s[2:3]
; %bb.35:
	v_bfi_b32 v5, s26, v5, v3
	v_mov_b64_e32 v[2:3], v[4:5]
	v_mov_b64_e32 v[8:9], v[0:1]
; %bb.36:
	s_andn2_saveexec_b64 s[2:3], s[2:3]
; %bb.37:
	v_bfi_b32 v1, s26, v1, v3
	v_mov_b64_e32 v[2:3], v[0:1]
; %bb.38:
	s_or_b64 exec, exec, s[2:3]
.LBB168_39:
	s_or_b64 exec, exec, s[0:1]
.LBB168_40:
	s_andn2_saveexec_b64 s[0:1], s[24:25]
	s_cbranch_execz .LBB168_42
; %bb.41:
	v_add_f64 v[2:3], v[2:3], -v[2:3]
	v_div_scale_f64 v[4:5], vcc, v[2:3], v[2:3], v[2:3]
	v_rcp_f64_e32 v[6:7], v[4:5]
	s_nop 0
	v_fma_f64 v[8:9], -v[4:5], v[6:7], 1.0
	v_fmac_f64_e32 v[6:7], v[6:7], v[8:9]
	v_fma_f64 v[8:9], -v[4:5], v[6:7], 1.0
	v_fmac_f64_e32 v[6:7], v[6:7], v[8:9]
	v_mul_f64 v[8:9], v[4:5], v[6:7]
	v_fma_f64 v[4:5], -v[4:5], v[8:9], v[4:5]
	v_div_fmas_f64 v[4:5], v[4:5], v[6:7], v[8:9]
	v_div_fixup_f64 v[2:3], v[4:5], v[2:3], v[2:3]
	v_mov_b64_e32 v[8:9], v[0:1]
.LBB168_42:
	s_or_b64 exec, exec, s[0:1]
.LBB168_43:
	s_or_b64 exec, exec, s[20:21]
.LBB168_44:
	s_or_b64 exec, exec, s[14:15]
	v_xor_b32_e32 v0, 0x80000000, v9
	v_cmp_gt_f64_e32 vcc, 0, v[8:9]
	v_mov_b32_e32 v10, v8
                                        ; implicit-def: $vgpr6_vgpr7
	s_nop 0
	v_cndmask_b32_e32 v11, v9, v0, vcc
	v_xor_b32_e32 v0, 0x80000000, v3
	v_cmp_gt_f64_e32 vcc, 0, v[2:3]
	s_nop 1
	v_cndmask_b32_e32 v1, v3, v0, vcc
	v_mov_b32_e32 v0, v2
	v_cmp_ge_f64_e32 vcc, v[10:11], v[0:1]
	s_and_saveexec_b64 s[0:1], vcc
	s_xor_b64 s[2:3], exec, s[0:1]
	s_cbranch_execz .LBB168_50
; %bb.45:
	v_cmp_neq_f64_e32 vcc, 0, v[8:9]
	v_cmp_neq_f64_e64 s[0:1], 0, v[2:3]
	s_or_b64 s[0:1], vcc, s[0:1]
                                        ; implicit-def: $vgpr6_vgpr7
	s_and_saveexec_b64 s[14:15], s[0:1]
	s_xor_b64 s[0:1], exec, s[14:15]
	s_cbranch_execz .LBB168_47
; %bb.46:
	v_div_scale_f64 v[0:1], s[14:15], v[8:9], v[8:9], v[2:3]
	v_rcp_f64_e32 v[4:5], v[0:1]
	v_div_scale_f64 v[6:7], vcc, v[2:3], v[8:9], v[2:3]
	v_fma_f64 v[10:11], -v[0:1], v[4:5], 1.0
	v_fmac_f64_e32 v[4:5], v[4:5], v[10:11]
	v_fma_f64 v[10:11], -v[0:1], v[4:5], 1.0
	v_fmac_f64_e32 v[4:5], v[4:5], v[10:11]
	v_mul_f64 v[10:11], v[6:7], v[4:5]
	v_fma_f64 v[0:1], -v[0:1], v[10:11], v[6:7]
	v_div_fmas_f64 v[0:1], v[0:1], v[4:5], v[10:11]
	v_div_fixup_f64 v[0:1], v[0:1], v[8:9], v[2:3]
	v_fmac_f64_e32 v[8:9], v[2:3], v[0:1]
	v_div_scale_f64 v[2:3], s[14:15], v[8:9], v[8:9], 1.0
	v_rcp_f64_e32 v[4:5], v[2:3]
	s_nop 0
	v_fma_f64 v[6:7], -v[2:3], v[4:5], 1.0
	v_fmac_f64_e32 v[4:5], v[4:5], v[6:7]
	v_fma_f64 v[6:7], -v[2:3], v[4:5], 1.0
	v_fmac_f64_e32 v[4:5], v[4:5], v[6:7]
	v_div_scale_f64 v[6:7], vcc, 1.0, v[8:9], 1.0
	v_mul_f64 v[10:11], v[6:7], v[4:5]
	v_fma_f64 v[2:3], -v[2:3], v[10:11], v[6:7]
	s_nop 1
	v_div_fmas_f64 v[2:3], v[2:3], v[4:5], v[10:11]
	v_div_fixup_f64 v[2:3], v[2:3], v[8:9], 1.0
	v_fma_f64 v[4:5], v[0:1], 0, 1.0
	v_add_f64 v[0:1], -v[0:1], 0
	v_mul_f64 v[4:5], v[4:5], v[2:3]
	v_mul_f64 v[6:7], v[0:1], v[2:3]
                                        ; implicit-def: $vgpr10_vgpr11
                                        ; implicit-def: $vgpr0_vgpr1
.LBB168_47:
	s_andn2_saveexec_b64 s[0:1], s[0:1]
	s_cbranch_execz .LBB168_49
; %bb.48:
	v_div_scale_f64 v[2:3], s[14:15], v[10:11], v[10:11], 1.0
	v_rcp_f64_e32 v[4:5], v[2:3]
	v_div_scale_f64 v[6:7], vcc, 1.0, v[10:11], 1.0
	v_fma_f64 v[8:9], -v[2:3], v[4:5], 1.0
	v_fmac_f64_e32 v[4:5], v[4:5], v[8:9]
	v_fma_f64 v[8:9], -v[2:3], v[4:5], 1.0
	v_fmac_f64_e32 v[4:5], v[4:5], v[8:9]
	v_mul_f64 v[8:9], v[6:7], v[4:5]
	v_fma_f64 v[2:3], -v[2:3], v[8:9], v[6:7]
	v_div_scale_f64 v[6:7], s[14:15], v[0:1], v[0:1], 0
	v_rcp_f64_e32 v[12:13], v[6:7]
	v_div_fmas_f64 v[2:3], v[2:3], v[4:5], v[8:9]
	v_div_fixup_f64 v[4:5], v[2:3], v[10:11], 1.0
	v_fma_f64 v[2:3], -v[6:7], v[12:13], 1.0
	v_fmac_f64_e32 v[12:13], v[12:13], v[2:3]
	v_fma_f64 v[2:3], -v[6:7], v[12:13], 1.0
	v_fmac_f64_e32 v[12:13], v[12:13], v[2:3]
	v_div_scale_f64 v[2:3], vcc, 0, v[0:1], 0
	v_mul_f64 v[8:9], v[2:3], v[12:13]
	v_fma_f64 v[2:3], -v[6:7], v[8:9], v[2:3]
	s_nop 1
	v_div_fmas_f64 v[2:3], v[2:3], v[12:13], v[8:9]
	v_div_fixup_f64 v[6:7], v[2:3], v[0:1], 0
.LBB168_49:
	s_or_b64 exec, exec, s[0:1]
                                        ; implicit-def: $vgpr2_vgpr3
                                        ; implicit-def: $vgpr8_vgpr9
.LBB168_50:
	s_andn2_saveexec_b64 s[0:1], s[2:3]
	s_cbranch_execz .LBB168_52
; %bb.51:
	v_div_scale_f64 v[0:1], s[2:3], v[2:3], v[2:3], v[8:9]
	v_rcp_f64_e32 v[4:5], v[0:1]
	v_div_scale_f64 v[6:7], vcc, v[8:9], v[2:3], v[8:9]
	v_fma_f64 v[10:11], -v[0:1], v[4:5], 1.0
	v_fmac_f64_e32 v[4:5], v[4:5], v[10:11]
	v_fma_f64 v[10:11], -v[0:1], v[4:5], 1.0
	v_fmac_f64_e32 v[4:5], v[4:5], v[10:11]
	v_mul_f64 v[10:11], v[6:7], v[4:5]
	v_fma_f64 v[0:1], -v[0:1], v[10:11], v[6:7]
	v_div_fmas_f64 v[0:1], v[0:1], v[4:5], v[10:11]
	v_div_fixup_f64 v[0:1], v[0:1], v[2:3], v[8:9]
	v_fmac_f64_e32 v[2:3], v[8:9], v[0:1]
	v_div_scale_f64 v[4:5], s[2:3], v[2:3], v[2:3], 1.0
	v_rcp_f64_e32 v[6:7], v[4:5]
	s_nop 0
	v_fma_f64 v[8:9], -v[4:5], v[6:7], 1.0
	v_fmac_f64_e32 v[6:7], v[6:7], v[8:9]
	v_fma_f64 v[8:9], -v[4:5], v[6:7], 1.0
	v_fmac_f64_e32 v[6:7], v[6:7], v[8:9]
	v_div_scale_f64 v[8:9], vcc, 1.0, v[2:3], 1.0
	v_mul_f64 v[10:11], v[8:9], v[6:7]
	v_fma_f64 v[4:5], -v[4:5], v[10:11], v[8:9]
	s_nop 1
	v_div_fmas_f64 v[4:5], v[4:5], v[6:7], v[10:11]
	v_div_fixup_f64 v[2:3], v[4:5], v[2:3], 1.0
	v_add_f64 v[4:5], v[0:1], 0
	v_fma_f64 v[0:1], v[0:1], 0, -1.0
	v_mul_f64 v[4:5], v[4:5], v[2:3]
	v_mul_f64 v[6:7], v[0:1], v[2:3]
.LBB168_52:
	s_or_b64 exec, exec, s[0:1]
	v_mul_lo_u32 v0, v24, s8
	v_ashrrev_i32_e32 v1, 31, v0
	s_and_b32 s24, s33, 0xff
	s_cmp_lt_i32 s24, 11
	v_lshl_add_u64 v[0:1], s[4:5], 0, v[0:1]
	s_cbranch_scc1 .LBB168_59
; %bb.53:
	s_and_b32 s25, 0xffff, s24
	s_cmp_gt_i32 s25, 25
	s_cbranch_scc0 .LBB168_62
; %bb.54:
	s_cmp_gt_i32 s25, 28
	s_cbranch_scc0 .LBB168_63
; %bb.55:
	s_cmp_gt_i32 s25, 43
	s_cbranch_scc0 .LBB168_64
; %bb.56:
	s_cmp_gt_i32 s25, 45
	s_cbranch_scc0 .LBB168_70
; %bb.57:
	s_mov_b64 s[14:15], 0
	s_mov_b64 s[2:3], -1
	s_cmp_eq_u32 s25, 46
	s_mov_b64 s[0:1], 0
	s_cbranch_scc0 .LBB168_71
; %bb.58:
	v_cvt_f32_f64_e32 v3, v[6:7]
	s_movk_i32 s0, 0x7fff
	v_bfe_u32 v9, v3, 16, 1
	v_cvt_f32_f64_e32 v2, v[4:5]
	v_add3_u32 v9, v3, v9, s0
	v_bfe_u32 v8, v2, 16, 1
	v_and_b32_e32 v9, 0xffff0000, v9
	v_mov_b32_e32 v10, 0x7fc00000
	v_cmp_o_f32_e32 vcc, v3, v3
	v_add3_u32 v8, v2, v8, s0
	s_mov_b64 s[0:1], -1
	v_cndmask_b32_e32 v3, v10, v9, vcc
	v_cmp_o_f32_e32 vcc, v2, v2
	v_mov_b32_e32 v2, 0x7fc0
	s_mov_b64 s[2:3], 0
	v_cndmask_b32_sdwa v2, v2, v8, vcc dst_sel:DWORD dst_unused:UNUSED_PAD src0_sel:DWORD src1_sel:WORD_1
	v_or_b32_e32 v2, v3, v2
	global_store_dword v[0:1], v2, off
	s_branch .LBB168_71
.LBB168_59:
	s_mov_b64 s[2:3], 0
	s_mov_b64 s[0:1], 0
	s_cbranch_execnz .LBB168_140
.LBB168_60:
	s_andn2_b64 vcc, exec, s[0:1]
	s_cbranch_vccnz .LBB168_178
.LBB168_61:
	v_add_u32_e32 v24, 0x80, v24
	s_mov_b64 s[0:1], -1
	s_branch .LBB168_292
.LBB168_62:
	s_mov_b64 s[14:15], -1
	s_mov_b64 s[2:3], 0
	s_mov_b64 s[0:1], 0
	s_branch .LBB168_98
.LBB168_63:
	s_mov_b64 s[14:15], -1
	s_mov_b64 s[2:3], 0
	s_mov_b64 s[0:1], 0
	s_branch .LBB168_81
.LBB168_64:
	s_mov_b64 s[14:15], -1
	s_mov_b64 s[2:3], 0
	s_mov_b64 s[0:1], 0
	s_branch .LBB168_77
.LBB168_65:
	s_mov_b64 s[16:17], -1
.LBB168_66:
	s_mov_b64 s[0:1], 0
                                        ; implicit-def: $vgpr2_vgpr3
.LBB168_67:
	s_and_b64 vcc, exec, s[2:3]
	s_cbranch_vccz .LBB168_181
; %bb.68:
	s_cmp_eq_u32 s20, 44
	s_cbranch_scc0 .LBB168_179
; %bb.69:
	global_load_ubyte v2, v[4:5], off
	s_movk_i32 s2, 0xff
	v_bfrev_b32_e32 v3, 4
	v_mov_b32_e32 v6, 0x7ff80000
	v_bfrev_b32_e32 v7, 28
	s_mov_b64 s[0:1], -1
	s_mov_b64 s[16:17], 0
	s_waitcnt vmcnt(0)
	v_lshlrev_b32_e32 v0, 23, v2
	v_cvt_f64_f32_e32 v[0:1], v0
	v_cmp_ne_u32_e32 vcc, s2, v2
	s_nop 1
	v_cndmask_b32_e32 v0, v3, v0, vcc
	v_cndmask_b32_e32 v1, v6, v1, vcc
	v_cmp_ne_u32_e32 vcc, 0, v2
	s_nop 1
	v_cndmask_b32_e32 v1, v7, v1, vcc
	v_cndmask_b32_e32 v0, 0, v0, vcc
	s_branch .LBB168_180
.LBB168_70:
	s_mov_b64 s[14:15], -1
	s_mov_b64 s[2:3], 0
	s_mov_b64 s[0:1], 0
.LBB168_71:
	s_and_b64 vcc, exec, s[14:15]
	s_cbranch_vccz .LBB168_76
; %bb.72:
	s_cmp_eq_u32 s25, 44
	s_mov_b64 s[2:3], -1
	s_cbranch_scc0 .LBB168_76
; %bb.73:
	v_cvt_f32_f64_e32 v2, v[4:5]
	v_bfe_u32 v3, v2, 23, 8
	s_movk_i32 s0, 0xff
	v_cmp_ne_u32_e32 vcc, s0, v3
	v_mov_b32_e32 v8, 0xff
	s_and_saveexec_b64 s[2:3], vcc
; %bb.74:
	s_mov_b32 s0, 0x3fffff
	v_lshrrev_b32_e32 v8, 23, v2
	v_and_b32_e32 v9, 0x400000, v2
	v_and_or_b32 v2, v2, s0, v3
	v_cmp_ne_u32_e32 vcc, 0, v9
	v_cmp_ne_u32_e64 s[0:1], 0, v2
	s_and_b64 s[0:1], vcc, s[0:1]
	s_nop 0
	v_cndmask_b32_e64 v2, 0, 1, s[0:1]
	v_add_u32_e32 v8, v8, v2
; %bb.75:
	s_or_b64 exec, exec, s[2:3]
	s_mov_b64 s[0:1], -1
	s_mov_b64 s[2:3], 0
	global_store_byte v[0:1], v8, off
.LBB168_76:
	s_mov_b64 s[14:15], 0
.LBB168_77:
	s_and_b64 vcc, exec, s[14:15]
	s_cbranch_vccz .LBB168_80
; %bb.78:
	s_cmp_eq_u32 s25, 29
	s_mov_b64 s[2:3], -1
	s_cbranch_scc0 .LBB168_80
; %bb.79:
	v_trunc_f64_e32 v[2:3], v[4:5]
	s_movk_i32 s0, 0xffe0
	v_ldexp_f64 v[8:9], v[2:3], s0
	v_floor_f64_e32 v[8:9], v[8:9]
	v_fmac_f64_e32 v[2:3], 0xc1f00000, v[8:9]
	v_cvt_u32_f64_e32 v11, v[8:9]
	v_cvt_u32_f64_e32 v10, v[2:3]
	global_store_dwordx2 v[0:1], v[10:11], off
	s_mov_b64 s[0:1], -1
	s_mov_b64 s[2:3], 0
.LBB168_80:
	s_mov_b64 s[14:15], 0
.LBB168_81:
	s_and_b64 vcc, exec, s[14:15]
	s_cbranch_vccz .LBB168_97
; %bb.82:
	s_cmp_lt_i32 s25, 27
	s_mov_b64 s[0:1], -1
	s_cbranch_scc1 .LBB168_88
; %bb.83:
	s_cmp_gt_i32 s25, 27
	v_cvt_u32_f64_e32 v2, v[4:5]
	s_cbranch_scc0 .LBB168_85
; %bb.84:
	s_mov_b64 s[0:1], 0
	global_store_dword v[0:1], v2, off
.LBB168_85:
	s_andn2_b64 vcc, exec, s[0:1]
	s_cbranch_vccnz .LBB168_87
; %bb.86:
	global_store_short v[0:1], v2, off
.LBB168_87:
	s_mov_b64 s[0:1], 0
.LBB168_88:
	s_andn2_b64 vcc, exec, s[0:1]
	s_cbranch_vccnz .LBB168_96
; %bb.89:
	v_cvt_f32_f64_e32 v2, v[4:5]
	v_and_b32_e32 v3, 0x7fffffff, v2
	s_mov_b32 s0, 0x43800000
	v_cmp_gt_u32_e32 vcc, s0, v3
	v_mov_b32_e32 v8, 0x80
	s_and_saveexec_b64 s[0:1], vcc
	s_cbranch_execz .LBB168_95
; %bb.90:
	s_mov_b32 s14, 0x3bffffff
	v_cmp_lt_u32_e32 vcc, s14, v3
	s_mov_b64 s[14:15], 0
                                        ; implicit-def: $vgpr3
	s_and_saveexec_b64 s[20:21], vcc
	s_xor_b64 s[20:21], exec, s[20:21]
	s_cbranch_execz .LBB168_322
; %bb.91:
	v_bfe_u32 v3, v2, 20, 1
	s_mov_b32 s26, 0x487ffff
	v_add3_u32 v3, v2, v3, s26
	s_mov_b64 s[14:15], exec
	v_lshrrev_b32_e32 v3, 20, v3
	s_andn2_saveexec_b64 s[20:21], s[20:21]
	s_cbranch_execnz .LBB168_323
.LBB168_92:
	s_or_b64 exec, exec, s[20:21]
	v_mov_b32_e32 v8, 0
	s_and_saveexec_b64 s[20:21], s[14:15]
.LBB168_93:
	v_lshrrev_b32_e32 v2, 24, v2
	s_movk_i32 s14, 0x80
	v_and_or_b32 v8, v2, s14, v3
.LBB168_94:
	s_or_b64 exec, exec, s[20:21]
.LBB168_95:
	s_or_b64 exec, exec, s[0:1]
	global_store_byte v[0:1], v8, off
.LBB168_96:
	s_mov_b64 s[0:1], -1
.LBB168_97:
	s_mov_b64 s[14:15], 0
.LBB168_98:
	s_and_b64 vcc, exec, s[14:15]
	s_cbranch_vccz .LBB168_139
; %bb.99:
	s_cmp_gt_i32 s25, 22
	s_mov_b64 s[14:15], -1
	s_cbranch_scc0 .LBB168_131
; %bb.100:
	s_cmp_lt_i32 s25, 24
	s_mov_b64 s[0:1], -1
	s_cbranch_scc1 .LBB168_120
; %bb.101:
	s_cmp_gt_i32 s25, 24
	s_cbranch_scc0 .LBB168_109
; %bb.102:
	v_cvt_f32_f64_e32 v2, v[4:5]
	v_and_b32_e32 v3, 0x7fffffff, v2
	s_mov_b32 s0, 0x47800000
	v_cmp_gt_u32_e32 vcc, s0, v3
	v_mov_b32_e32 v8, 0x80
	s_and_saveexec_b64 s[0:1], vcc
	s_cbranch_execz .LBB168_108
; %bb.103:
	s_mov_b32 s14, 0x37ffffff
	v_cmp_lt_u32_e32 vcc, s14, v3
	s_mov_b64 s[14:15], 0
                                        ; implicit-def: $vgpr3
	s_and_saveexec_b64 s[20:21], vcc
	s_xor_b64 s[20:21], exec, s[20:21]
	s_cbranch_execz .LBB168_362
; %bb.104:
	v_bfe_u32 v3, v2, 21, 1
	s_mov_b32 s26, 0x88fffff
	v_add3_u32 v3, v2, v3, s26
	s_mov_b64 s[14:15], exec
	v_lshrrev_b32_e32 v3, 21, v3
	s_andn2_saveexec_b64 s[20:21], s[20:21]
	s_cbranch_execnz .LBB168_363
.LBB168_105:
	s_or_b64 exec, exec, s[20:21]
	v_mov_b32_e32 v8, 0
	s_and_saveexec_b64 s[20:21], s[14:15]
.LBB168_106:
	v_lshrrev_b32_e32 v2, 24, v2
	s_movk_i32 s14, 0x80
	v_and_or_b32 v8, v2, s14, v3
.LBB168_107:
	s_or_b64 exec, exec, s[20:21]
.LBB168_108:
	s_or_b64 exec, exec, s[0:1]
	s_mov_b64 s[0:1], 0
	global_store_byte v[0:1], v8, off
.LBB168_109:
	s_and_b64 vcc, exec, s[0:1]
	s_cbranch_vccz .LBB168_119
; %bb.110:
	v_cvt_f32_f64_e32 v2, v[4:5]
	v_and_b32_e32 v8, 0x7fffffff, v2
	s_mov_b32 s0, 0x43f00000
	v_cmp_gt_u32_e32 vcc, s0, v8
                                        ; implicit-def: $vgpr3
	s_and_saveexec_b64 s[0:1], vcc
	s_xor_b64 s[0:1], exec, s[0:1]
	s_cbranch_execz .LBB168_116
; %bb.111:
	s_mov_b32 s14, 0x3c7fffff
	v_cmp_lt_u32_e32 vcc, s14, v8
                                        ; implicit-def: $vgpr3
	s_and_saveexec_b64 s[14:15], vcc
	s_xor_b64 s[14:15], exec, s[14:15]
; %bb.112:
	v_bfe_u32 v3, v2, 20, 1
	s_mov_b32 s20, 0x407ffff
	v_add3_u32 v3, v2, v3, s20
	v_lshrrev_b32_e32 v8, 20, v3
	v_and_b32_e32 v3, 0xff00000, v3
	s_mov_b32 s20, 0x7f00000
	v_mov_b32_e32 v9, 0x7e
	v_cmp_ne_u32_e32 vcc, s20, v3
	s_nop 1
	v_cndmask_b32_e32 v3, v9, v8, vcc
; %bb.113:
	s_andn2_saveexec_b64 s[14:15], s[14:15]
; %bb.114:
	s_mov_b32 s20, 0x46800000
	v_add_f32_e64 v3, |v2|, s20
; %bb.115:
	s_or_b64 exec, exec, s[14:15]
                                        ; implicit-def: $vgpr8
.LBB168_116:
	s_andn2_saveexec_b64 s[0:1], s[0:1]
; %bb.117:
	s_mov_b32 s14, 0x7f800000
	v_mov_b32_e32 v3, 0x7e
	v_mov_b32_e32 v9, 0x7f
	v_cmp_lt_u32_e32 vcc, s14, v8
	s_nop 1
	v_cndmask_b32_e32 v3, v3, v9, vcc
; %bb.118:
	s_or_b64 exec, exec, s[0:1]
	v_lshrrev_b32_e32 v2, 24, v2
	s_movk_i32 s0, 0x80
	v_and_or_b32 v2, v2, s0, v3
	global_store_byte v[0:1], v2, off
.LBB168_119:
	s_mov_b64 s[0:1], 0
.LBB168_120:
	s_andn2_b64 vcc, exec, s[0:1]
	s_cbranch_vccnz .LBB168_130
; %bb.121:
	v_cvt_f32_f64_e32 v2, v[4:5]
	v_and_b32_e32 v8, 0x7fffffff, v2
	s_mov_b32 s0, 0x47800000
	v_cmp_gt_u32_e32 vcc, s0, v8
                                        ; implicit-def: $vgpr3
	s_and_saveexec_b64 s[0:1], vcc
	s_xor_b64 s[0:1], exec, s[0:1]
	s_cbranch_execz .LBB168_127
; %bb.122:
	s_mov_b32 s14, 0x387fffff
	v_cmp_lt_u32_e32 vcc, s14, v8
                                        ; implicit-def: $vgpr3
	s_and_saveexec_b64 s[14:15], vcc
	s_xor_b64 s[14:15], exec, s[14:15]
; %bb.123:
	v_bfe_u32 v3, v2, 21, 1
	s_mov_b32 s20, 0x80fffff
	v_add3_u32 v3, v2, v3, s20
	v_lshrrev_b32_e32 v3, 21, v3
; %bb.124:
	s_andn2_saveexec_b64 s[14:15], s[14:15]
; %bb.125:
	s_mov_b32 s20, 0x43000000
	v_add_f32_e64 v3, |v2|, s20
; %bb.126:
	s_or_b64 exec, exec, s[14:15]
                                        ; implicit-def: $vgpr8
.LBB168_127:
	s_andn2_saveexec_b64 s[0:1], s[0:1]
; %bb.128:
	s_mov_b32 s14, 0x7f800000
	v_mov_b32_e32 v3, 0x7c
	v_mov_b32_e32 v9, 0x7f
	v_cmp_lt_u32_e32 vcc, s14, v8
	s_nop 1
	v_cndmask_b32_e32 v3, v3, v9, vcc
; %bb.129:
	s_or_b64 exec, exec, s[0:1]
	v_lshrrev_b32_e32 v2, 24, v2
	s_movk_i32 s0, 0x80
	v_and_or_b32 v2, v2, s0, v3
	global_store_byte v[0:1], v2, off
.LBB168_130:
	s_mov_b64 s[14:15], 0
	s_mov_b64 s[0:1], -1
.LBB168_131:
	s_andn2_b64 vcc, exec, s[14:15]
	s_cbranch_vccnz .LBB168_139
; %bb.132:
	s_cmp_gt_i32 s25, 14
	s_mov_b64 s[14:15], -1
	s_cbranch_scc0 .LBB168_136
; %bb.133:
	s_cmp_eq_u32 s25, 15
	s_mov_b64 s[2:3], -1
	s_cbranch_scc0 .LBB168_135
; %bb.134:
	v_cvt_f32_f64_e32 v2, v[4:5]
	v_bfe_u32 v3, v2, 16, 1
	s_movk_i32 s0, 0x7fff
	v_add3_u32 v3, v2, v3, s0
	v_cmp_o_f32_e32 vcc, v2, v2
	v_mov_b32_e32 v2, 0x7fc0
	s_mov_b64 s[0:1], -1
	v_cndmask_b32_sdwa v2, v2, v3, vcc dst_sel:DWORD dst_unused:UNUSED_PAD src0_sel:DWORD src1_sel:WORD_1
	global_store_short v[0:1], v2, off
	s_mov_b64 s[2:3], 0
.LBB168_135:
	s_mov_b64 s[14:15], 0
.LBB168_136:
	s_and_b64 vcc, exec, s[14:15]
	s_cbranch_vccz .LBB168_139
; %bb.137:
	s_cmp_eq_u32 s25, 11
	s_mov_b64 s[2:3], -1
	s_cbranch_scc0 .LBB168_139
; %bb.138:
	v_cmp_neq_f64_e32 vcc, 0, v[4:5]
	v_cmp_neq_f64_e64 s[0:1], 0, v[6:7]
	s_or_b64 s[0:1], vcc, s[0:1]
	s_mov_b64 s[2:3], 0
	v_cndmask_b32_e64 v2, 0, 1, s[0:1]
	s_mov_b64 s[0:1], -1
	global_store_byte v[0:1], v2, off
.LBB168_139:
	s_branch .LBB168_60
.LBB168_140:
	s_and_b32 s14, 0xffff, s24
	s_cmp_lt_i32 s14, 5
	s_mov_b64 s[0:1], -1
	s_cbranch_scc1 .LBB168_161
; %bb.141:
	s_cmp_lt_i32 s14, 8
	s_cbranch_scc1 .LBB168_151
; %bb.142:
	s_cmp_lt_i32 s14, 9
	s_cbranch_scc1 .LBB168_148
; %bb.143:
	s_cmp_gt_i32 s14, 9
	s_cbranch_scc0 .LBB168_145
; %bb.144:
	global_store_dwordx4 v[0:1], v[4:7], off
	s_mov_b64 s[0:1], 0
.LBB168_145:
	s_andn2_b64 vcc, exec, s[0:1]
	s_cbranch_vccnz .LBB168_147
; %bb.146:
	v_cvt_f32_f64_e32 v2, v[4:5]
	v_cvt_f32_f64_e32 v3, v[6:7]
	global_store_dwordx2 v[0:1], v[2:3], off
.LBB168_147:
	s_mov_b64 s[0:1], 0
.LBB168_148:
	s_andn2_b64 vcc, exec, s[0:1]
	s_cbranch_vccnz .LBB168_150
; %bb.149:
	s_movk_i32 s0, 0x1ff
	v_and_or_b32 v2, v5, s0, v4
	v_cmp_ne_u32_e32 vcc, 0, v2
	v_lshrrev_b32_e32 v3, 8, v5
	s_movk_i32 s1, 0xffe
	v_cndmask_b32_e64 v2, 0, 1, vcc
	v_bfe_u32 v8, v5, 20, 11
	v_and_or_b32 v2, v3, s1, v2
	v_sub_u32_e32 v9, 0x3f1, v8
	v_or_b32_e32 v3, 0x1000, v2
	v_med3_i32 v9, v9, 0, 13
	v_lshrrev_b32_e32 v10, v9, v3
	v_lshlrev_b32_e32 v9, v9, v10
	v_cmp_ne_u32_e32 vcc, v9, v3
	v_add_u32_e32 v8, 0xfffffc10, v8
	v_lshl_or_b32 v9, v8, 12, v2
	v_cndmask_b32_e64 v3, 0, 1, vcc
	v_or_b32_e32 v3, v10, v3
	v_cmp_gt_i32_e32 vcc, 1, v8
	s_movk_i32 s15, 0x40f
	v_and_or_b32 v6, v7, s0, v6
	v_cndmask_b32_e32 v3, v9, v3, vcc
	v_and_b32_e32 v9, 7, v3
	v_cmp_lt_i32_e32 vcc, 5, v9
	v_lshrrev_b32_e32 v3, 2, v3
	v_bfe_u32 v11, v7, 20, 11
	v_cndmask_b32_e64 v10, 0, 1, vcc
	v_cmp_eq_u32_e32 vcc, 3, v9
	v_sub_u32_e32 v12, 0x3f1, v11
	v_med3_i32 v12, v12, 0, 13
	v_cndmask_b32_e64 v9, 0, 1, vcc
	v_or_b32_e32 v9, v9, v10
	v_add_u32_e32 v3, v3, v9
	v_mov_b32_e32 v9, 0x7c00
	v_cmp_gt_i32_e32 vcc, 31, v8
	v_mov_b32_e32 v10, 0x7e00
	v_add_u32_e32 v11, 0xfffffc10, v11
	v_cndmask_b32_e32 v3, v9, v3, vcc
	v_cmp_ne_u32_e32 vcc, 0, v2
	s_mov_b32 s20, 0x8000
	s_mov_b32 s0, 0xffff
	v_cndmask_b32_e32 v2, v9, v10, vcc
	v_cmp_eq_u32_e32 vcc, s15, v8
	v_lshrrev_b32_e32 v8, 8, v7
	v_lshrrev_b32_e32 v7, 16, v7
	v_cndmask_b32_e32 v2, v3, v2, vcc
	v_cmp_ne_u32_e32 vcc, 0, v6
	v_and_b32_sdwa v3, v5, s20 dst_sel:DWORD dst_unused:UNUSED_PAD src0_sel:WORD_1 src1_sel:DWORD
	v_bitop3_b32 v2, v3, s0, v2 bitop3:0xc8
	v_cndmask_b32_e64 v6, 0, 1, vcc
	v_and_or_b32 v6, v8, s1, v6
	v_or_b32_e32 v8, 0x1000, v6
	v_lshrrev_b32_e32 v13, v12, v8
	v_lshlrev_b32_e32 v12, v12, v13
	v_cmp_ne_u32_e32 vcc, v12, v8
	v_lshl_or_b32 v12, v11, 12, v6
	s_nop 0
	v_cndmask_b32_e64 v8, 0, 1, vcc
	v_or_b32_e32 v8, v13, v8
	v_cmp_gt_i32_e32 vcc, 1, v11
	s_nop 1
	v_cndmask_b32_e32 v8, v12, v8, vcc
	v_and_b32_e32 v12, 7, v8
	v_cmp_lt_i32_e32 vcc, 5, v12
	v_lshrrev_b32_e32 v8, 2, v8
	s_nop 0
	v_cndmask_b32_e64 v13, 0, 1, vcc
	v_cmp_eq_u32_e32 vcc, 3, v12
	s_nop 1
	v_cndmask_b32_e64 v12, 0, 1, vcc
	v_or_b32_e32 v12, v12, v13
	v_add_u32_e32 v8, v8, v12
	v_cmp_gt_i32_e32 vcc, 31, v11
	s_nop 1
	v_cndmask_b32_e32 v8, v9, v8, vcc
	v_cmp_ne_u32_e32 vcc, 0, v6
	s_nop 1
	v_cndmask_b32_e32 v6, v9, v10, vcc
	v_cmp_eq_u32_e32 vcc, s15, v11
	s_nop 1
	v_cndmask_b32_e32 v6, v8, v6, vcc
	v_and_or_b32 v6, v7, s20, v6
	v_lshl_or_b32 v2, v6, 16, v2
	global_store_dword v[0:1], v2, off
.LBB168_150:
	s_mov_b64 s[0:1], 0
.LBB168_151:
	s_andn2_b64 vcc, exec, s[0:1]
	s_cbranch_vccnz .LBB168_160
; %bb.152:
	s_cmp_lt_i32 s14, 6
	s_mov_b64 s[0:1], -1
	s_cbranch_scc1 .LBB168_158
; %bb.153:
	s_cmp_gt_i32 s14, 6
	s_cbranch_scc0 .LBB168_155
; %bb.154:
	global_store_dwordx2 v[0:1], v[4:5], off
	s_mov_b64 s[0:1], 0
.LBB168_155:
	s_andn2_b64 vcc, exec, s[0:1]
	s_cbranch_vccnz .LBB168_157
; %bb.156:
	v_cvt_f32_f64_e32 v2, v[4:5]
	global_store_dword v[0:1], v2, off
.LBB168_157:
	s_mov_b64 s[0:1], 0
.LBB168_158:
	s_andn2_b64 vcc, exec, s[0:1]
	s_cbranch_vccnz .LBB168_160
; %bb.159:
	s_movk_i32 s0, 0x1ff
	v_and_or_b32 v2, v5, s0, v4
	v_cmp_ne_u32_e32 vcc, 0, v2
	v_lshrrev_b32_e32 v3, 8, v5
	s_movk_i32 s0, 0xffe
	v_cndmask_b32_e64 v2, 0, 1, vcc
	v_bfe_u32 v6, v5, 20, 11
	v_and_or_b32 v2, v3, s0, v2
	v_sub_u32_e32 v7, 0x3f1, v6
	v_or_b32_e32 v3, 0x1000, v2
	v_med3_i32 v7, v7, 0, 13
	v_lshrrev_b32_e32 v8, v7, v3
	v_lshlrev_b32_e32 v7, v7, v8
	v_cmp_ne_u32_e32 vcc, v7, v3
	v_add_u32_e32 v6, 0xfffffc10, v6
	v_lshl_or_b32 v7, v6, 12, v2
	v_cndmask_b32_e64 v3, 0, 1, vcc
	v_or_b32_e32 v3, v8, v3
	v_cmp_gt_i32_e32 vcc, 1, v6
	s_movk_i32 s0, 0x40f
	s_nop 0
	v_cndmask_b32_e32 v3, v7, v3, vcc
	v_and_b32_e32 v7, 7, v3
	v_cmp_lt_i32_e32 vcc, 5, v7
	v_lshrrev_b32_e32 v3, 2, v3
	s_nop 0
	v_cndmask_b32_e64 v8, 0, 1, vcc
	v_cmp_eq_u32_e32 vcc, 3, v7
	s_nop 1
	v_cndmask_b32_e64 v7, 0, 1, vcc
	v_or_b32_e32 v7, v7, v8
	v_add_u32_e32 v3, v3, v7
	v_mov_b32_e32 v7, 0x7c00
	v_cmp_gt_i32_e32 vcc, 31, v6
	v_mov_b32_e32 v8, 0x7e00
	s_nop 0
	v_cndmask_b32_e32 v3, v7, v3, vcc
	v_cmp_ne_u32_e32 vcc, 0, v2
	s_nop 1
	v_cndmask_b32_e32 v2, v7, v8, vcc
	v_cmp_eq_u32_e32 vcc, s0, v6
	s_mov_b32 s0, 0x8000
	s_nop 0
	v_cndmask_b32_e32 v2, v3, v2, vcc
	v_lshrrev_b32_e32 v3, 16, v5
	v_and_or_b32 v2, v3, s0, v2
	global_store_short v[0:1], v2, off
.LBB168_160:
	s_mov_b64 s[0:1], 0
.LBB168_161:
	s_andn2_b64 vcc, exec, s[0:1]
	s_cbranch_vccnz .LBB168_177
; %bb.162:
	s_cmp_lt_i32 s14, 2
	s_mov_b64 s[0:1], -1
	s_cbranch_scc1 .LBB168_172
; %bb.163:
	s_cmp_lt_i32 s14, 3
	s_cbranch_scc1 .LBB168_169
; %bb.164:
	s_cmp_gt_i32 s14, 3
	s_cbranch_scc0 .LBB168_166
; %bb.165:
	v_trunc_f64_e32 v[2:3], v[4:5]
	s_movk_i32 s0, 0xffe0
	v_ldexp_f64 v[6:7], v[2:3], s0
	v_floor_f64_e32 v[6:7], v[6:7]
	v_fmac_f64_e32 v[2:3], 0xc1f00000, v[6:7]
	v_cvt_i32_f64_e32 v9, v[6:7]
	v_cvt_u32_f64_e32 v8, v[2:3]
	global_store_dwordx2 v[0:1], v[8:9], off
	s_mov_b64 s[0:1], 0
.LBB168_166:
	s_andn2_b64 vcc, exec, s[0:1]
	s_cbranch_vccnz .LBB168_168
; %bb.167:
	v_cvt_i32_f64_e32 v2, v[4:5]
	global_store_dword v[0:1], v2, off
.LBB168_168:
	s_mov_b64 s[0:1], 0
.LBB168_169:
	s_andn2_b64 vcc, exec, s[0:1]
	s_cbranch_vccnz .LBB168_171
; %bb.170:
	v_cvt_i32_f64_e32 v2, v[4:5]
	global_store_short v[0:1], v2, off
.LBB168_171:
	s_mov_b64 s[0:1], 0
.LBB168_172:
	s_andn2_b64 vcc, exec, s[0:1]
	s_cbranch_vccnz .LBB168_177
; %bb.173:
	s_cmp_gt_i32 s14, 0
	s_mov_b64 s[0:1], -1
	s_cbranch_scc0 .LBB168_175
; %bb.174:
	v_cvt_i32_f64_e32 v2, v[4:5]
	global_store_byte v[0:1], v2, off
	s_mov_b64 s[0:1], 0
.LBB168_175:
	s_andn2_b64 vcc, exec, s[0:1]
	s_cbranch_vccnz .LBB168_177
; %bb.176:
	v_trunc_f64_e32 v[2:3], v[4:5]
	s_movk_i32 s0, 0xffe0
	v_ldexp_f64 v[4:5], v[2:3], s0
	v_floor_f64_e32 v[4:5], v[4:5]
	v_fmac_f64_e32 v[2:3], 0xc1f00000, v[4:5]
	v_cvt_u32_f64_e32 v2, v[2:3]
	global_store_byte v[0:1], v2, off
.LBB168_177:
	s_branch .LBB168_61
.LBB168_178:
	s_mov_b64 s[0:1], 0
                                        ; implicit-def: $vgpr24
	s_branch .LBB168_292
.LBB168_179:
	s_mov_b64 s[16:17], -1
                                        ; implicit-def: $vgpr0_vgpr1
.LBB168_180:
	v_mov_b64_e32 v[2:3], 0
.LBB168_181:
	s_mov_b64 s[2:3], 0
.LBB168_182:
	s_and_b64 vcc, exec, s[2:3]
	s_cbranch_vccz .LBB168_187
; %bb.183:
	s_cmp_eq_u32 s20, 29
	s_cbranch_scc0 .LBB168_185
; %bb.184:
	global_load_dwordx2 v[0:1], v[4:5], off
	s_mov_b64 s[0:1], -1
	s_mov_b64 s[16:17], 0
	s_waitcnt vmcnt(0)
	v_cvt_f64_u32_e32 v[2:3], v1
	v_cvt_f64_u32_e32 v[0:1], v0
	v_ldexp_f64 v[2:3], v[2:3], 32
	v_add_f64 v[0:1], v[2:3], v[0:1]
	s_branch .LBB168_186
.LBB168_185:
	s_mov_b64 s[16:17], -1
                                        ; implicit-def: $vgpr0_vgpr1
.LBB168_186:
	v_mov_b64_e32 v[2:3], 0
.LBB168_187:
	s_mov_b64 s[2:3], 0
.LBB168_188:
	s_and_b64 vcc, exec, s[2:3]
	s_cbranch_vccz .LBB168_208
; %bb.189:
	s_cmp_lt_i32 s20, 27
	s_cbranch_scc1 .LBB168_192
; %bb.190:
	s_cmp_gt_i32 s20, 27
	s_cbranch_scc0 .LBB168_193
; %bb.191:
	global_load_dword v0, v[4:5], off
	s_mov_b64 s[0:1], 0
	s_waitcnt vmcnt(0)
	v_cvt_f64_u32_e32 v[0:1], v0
	s_branch .LBB168_194
.LBB168_192:
	s_mov_b64 s[0:1], -1
                                        ; implicit-def: $vgpr0_vgpr1
	s_branch .LBB168_197
.LBB168_193:
	s_mov_b64 s[0:1], -1
                                        ; implicit-def: $vgpr0_vgpr1
.LBB168_194:
	s_andn2_b64 vcc, exec, s[0:1]
	s_cbranch_vccnz .LBB168_196
; %bb.195:
	global_load_ushort v0, v[4:5], off
	s_waitcnt vmcnt(0)
	v_cvt_f64_u32_e32 v[0:1], v0
.LBB168_196:
	s_mov_b64 s[0:1], 0
.LBB168_197:
	s_andn2_b64 vcc, exec, s[0:1]
	s_cbranch_vccnz .LBB168_207
; %bb.198:
	global_load_ubyte v2, v[4:5], off
	s_movk_i32 s0, 0x7f
	s_waitcnt vmcnt(0)
	v_cmp_lt_i16_e32 vcc, s0, v2
	s_mov_b64 s[0:1], 0
	s_and_saveexec_b64 s[2:3], vcc
	s_xor_b64 s[2:3], exec, s[2:3]
	s_cbranch_execz .LBB168_202
; %bb.199:
	s_movk_i32 s0, 0x80
	v_cmp_eq_u16_e32 vcc, s0, v2
	s_mov_b64 s[0:1], -1
	s_and_saveexec_b64 s[14:15], vcc
; %bb.200:
	s_xor_b64 s[0:1], exec, -1
; %bb.201:
	s_or_b64 exec, exec, s[14:15]
	s_and_b64 s[0:1], s[0:1], exec
.LBB168_202:
	s_or_saveexec_b64 s[2:3], s[2:3]
	v_bfrev_b32_e32 v0, 4
	v_mov_b32_e32 v1, 0x7ff80000
	s_xor_b64 exec, exec, s[2:3]
; %bb.203:
	v_cmp_ne_u16_e32 vcc, 0, v2
	s_andn2_b64 s[0:1], s[0:1], exec
	s_and_b64 s[14:15], vcc, exec
	v_mov_b64_e32 v[0:1], 0
	s_or_b64 s[0:1], s[0:1], s[14:15]
; %bb.204:
	s_or_b64 exec, exec, s[2:3]
	s_and_saveexec_b64 s[2:3], s[0:1]
	s_cbranch_execz .LBB168_206
; %bb.205:
	v_and_b32_e32 v1, 0xffff, v2
	v_lshlrev_b32_e32 v0, 24, v2
	v_and_b32_e32 v2, 7, v1
	v_ffbh_u32_e32 v6, v2
	v_min_u32_e32 v6, 32, v6
	v_subrev_u32_e32 v7, 28, v6
	v_bfe_u32 v3, v1, 3, 4
	v_lshlrev_b32_e32 v1, v7, v1
	v_sub_u32_e32 v6, 29, v6
	v_and_b32_e32 v1, 7, v1
	v_cmp_eq_u32_e32 vcc, 0, v3
	v_and_b32_e32 v0, 0x80000000, v0
	s_nop 0
	v_cndmask_b32_e32 v3, v3, v6, vcc
	v_cndmask_b32_e32 v1, v2, v1, vcc
	v_mov_b32_e32 v2, 0x3b800000
	v_lshlrev_b32_e32 v1, 20, v1
	v_lshl_add_u32 v2, v3, 23, v2
	v_or3_b32 v0, v0, v2, v1
	v_cvt_f64_f32_e32 v[0:1], v0
.LBB168_206:
	s_or_b64 exec, exec, s[2:3]
.LBB168_207:
	s_mov_b64 s[0:1], -1
	v_mov_b64_e32 v[2:3], 0
.LBB168_208:
	s_branch .LBB168_241
.LBB168_209:
	s_cmp_gt_i32 s20, 22
	s_cbranch_scc0 .LBB168_221
; %bb.210:
	s_cmp_lt_i32 s20, 24
	s_cbranch_scc1 .LBB168_222
; %bb.211:
	s_cmp_gt_i32 s20, 24
	s_cbranch_scc0 .LBB168_223
; %bb.212:
	global_load_ubyte v2, v[4:5], off
	s_movk_i32 s0, 0x7f
	s_waitcnt vmcnt(0)
	v_cmp_lt_i16_e32 vcc, s0, v2
	s_mov_b64 s[0:1], 0
	s_and_saveexec_b64 s[2:3], vcc
	s_xor_b64 s[2:3], exec, s[2:3]
	s_cbranch_execz .LBB168_216
; %bb.213:
	s_movk_i32 s0, 0x80
	v_cmp_eq_u16_e32 vcc, s0, v2
	s_mov_b64 s[0:1], -1
	s_and_saveexec_b64 s[14:15], vcc
; %bb.214:
	s_xor_b64 s[0:1], exec, -1
; %bb.215:
	s_or_b64 exec, exec, s[14:15]
	s_and_b64 s[0:1], s[0:1], exec
.LBB168_216:
	s_or_saveexec_b64 s[2:3], s[2:3]
	v_bfrev_b32_e32 v0, 4
	v_mov_b32_e32 v1, 0x7ff80000
	s_xor_b64 exec, exec, s[2:3]
; %bb.217:
	v_cmp_ne_u16_e32 vcc, 0, v2
	s_andn2_b64 s[0:1], s[0:1], exec
	s_and_b64 s[14:15], vcc, exec
	v_mov_b64_e32 v[0:1], 0
	s_or_b64 s[0:1], s[0:1], s[14:15]
; %bb.218:
	s_or_b64 exec, exec, s[2:3]
	s_and_saveexec_b64 s[2:3], s[0:1]
	s_cbranch_execz .LBB168_220
; %bb.219:
	v_and_b32_e32 v1, 0xffff, v2
	v_lshlrev_b32_e32 v0, 24, v2
	v_and_b32_e32 v2, 3, v1
	v_ffbh_u32_e32 v6, v2
	v_min_u32_e32 v6, 32, v6
	v_subrev_u32_e32 v7, 29, v6
	v_bfe_u32 v3, v1, 2, 5
	v_lshlrev_b32_e32 v1, v7, v1
	v_sub_u32_e32 v6, 30, v6
	v_and_b32_e32 v1, 3, v1
	v_cmp_eq_u32_e32 vcc, 0, v3
	v_and_b32_e32 v0, 0x80000000, v0
	s_nop 0
	v_cndmask_b32_e32 v3, v3, v6, vcc
	v_cndmask_b32_e32 v1, v2, v1, vcc
	v_mov_b32_e32 v2, 0x37800000
	v_lshlrev_b32_e32 v1, 21, v1
	v_lshl_add_u32 v2, v3, 23, v2
	v_or3_b32 v0, v0, v2, v1
	v_cvt_f64_f32_e32 v[0:1], v0
.LBB168_220:
	s_or_b64 exec, exec, s[2:3]
	s_mov_b64 s[0:1], 0
	s_branch .LBB168_224
.LBB168_221:
                                        ; implicit-def: $vgpr0_vgpr1
	s_branch .LBB168_230
.LBB168_222:
	s_mov_b64 s[0:1], -1
                                        ; implicit-def: $vgpr0_vgpr1
	s_branch .LBB168_227
.LBB168_223:
	s_mov_b64 s[0:1], -1
                                        ; implicit-def: $vgpr0_vgpr1
.LBB168_224:
	s_and_b64 vcc, exec, s[0:1]
	s_cbranch_vccz .LBB168_226
; %bb.225:
	global_load_ubyte v0, v[4:5], off
	s_mov_b32 s0, 0x7f800000
	s_waitcnt vmcnt(0)
	v_lshlrev_b32_e32 v0, 24, v0
	v_and_b32_e32 v1, 0x7f000000, v0
	v_ffbh_u32_e32 v2, v1
	v_min_u32_e32 v2, 32, v2
	v_sub_u32_e64 v2, v2, 4 clamp
	v_lshlrev_b32_e32 v6, v2, v1
	v_lshlrev_b32_e32 v2, 23, v2
	v_lshrrev_b32_e32 v6, 4, v6
	v_add_u32_e32 v3, 0x1000000, v1
	v_sub_u32_e32 v2, v6, v2
	v_ashrrev_i32_e32 v3, 8, v3
	v_add_u32_e32 v2, 0x3c000000, v2
	v_and_or_b32 v2, v3, s0, v2
	v_cmp_ne_u32_e32 vcc, 0, v1
	s_brev_b32 s0, 1
	s_nop 0
	v_cndmask_b32_e32 v1, 0, v2, vcc
	v_and_or_b32 v0, v0, s0, v1
	v_cvt_f64_f32_e32 v[0:1], v0
.LBB168_226:
	s_mov_b64 s[0:1], 0
.LBB168_227:
	s_andn2_b64 vcc, exec, s[0:1]
	s_cbranch_vccnz .LBB168_229
; %bb.228:
	global_load_ubyte v0, v[4:5], off
	s_movk_i32 s0, 0x7f00
	s_brev_b32 s1, 16
	s_waitcnt vmcnt(0)
	v_lshlrev_b16_e32 v1, 8, v0
	v_lshlrev_b32_e32 v0, 25, v0
	v_lshrrev_b32_e32 v2, 4, v0
	v_and_or_b32 v3, v1, s0, 0.5
	v_or_b32_e32 v2, 0x70000000, v2
	v_add_f32_e32 v3, -0.5, v3
	v_mul_f32_e32 v2, 0x7800000, v2
	v_cmp_gt_u32_e32 vcc, s1, v0
	v_bfe_i32 v1, v1, 0, 16
	s_brev_b32 s0, 1
	v_cndmask_b32_e32 v0, v2, v3, vcc
	v_and_or_b32 v0, v1, s0, v0
	v_cvt_f64_f32_e32 v[0:1], v0
.LBB168_229:
	s_mov_b64 s[0:1], -1
	s_cbranch_execnz .LBB168_240
.LBB168_230:
	s_cmp_gt_i32 s20, 14
	s_cbranch_scc0 .LBB168_233
; %bb.231:
	s_cmp_eq_u32 s20, 15
	s_cbranch_scc0 .LBB168_234
; %bb.232:
	global_load_ushort v0, v[4:5], off
	s_mov_b64 s[0:1], -1
	s_mov_b64 s[16:17], 0
	s_waitcnt vmcnt(0)
	v_lshlrev_b32_e32 v0, 16, v0
	v_cvt_f64_f32_e32 v[0:1], v0
	s_branch .LBB168_235
.LBB168_233:
	s_mov_b64 s[2:3], -1
                                        ; implicit-def: $vgpr0_vgpr1
	s_branch .LBB168_236
.LBB168_234:
	s_mov_b64 s[16:17], -1
                                        ; implicit-def: $vgpr0_vgpr1
.LBB168_235:
	s_mov_b64 s[2:3], 0
.LBB168_236:
	s_and_b64 vcc, exec, s[2:3]
	s_cbranch_vccz .LBB168_240
; %bb.237:
	s_cmp_eq_u32 s20, 11
	s_cbranch_scc0 .LBB168_239
; %bb.238:
	global_load_ubyte v1, v[4:5], off
	v_mov_b32_e32 v2, 0x3ff00000
	v_mov_b32_e32 v0, 0
	s_mov_b64 s[0:1], -1
	s_mov_b64 s[16:17], 0
	s_waitcnt vmcnt(0)
	v_cmp_ne_u16_e32 vcc, 0, v1
	s_nop 1
	v_cndmask_b32_e32 v1, 0, v2, vcc
	s_branch .LBB168_240
.LBB168_239:
	s_mov_b64 s[16:17], -1
                                        ; implicit-def: $vgpr0_vgpr1
.LBB168_240:
	v_mov_b64_e32 v[2:3], 0
.LBB168_241:
	s_branch .LBB168_10
.LBB168_242:
	s_cmp_lt_i32 s20, 5
	s_cbranch_scc1 .LBB168_247
; %bb.243:
	s_cmp_lt_i32 s20, 8
	s_cbranch_scc1 .LBB168_248
; %bb.244:
	s_cmp_lt_i32 s20, 9
	s_cbranch_scc1 .LBB168_249
; %bb.245:
	s_cmp_gt_i32 s20, 9
	s_cbranch_scc0 .LBB168_250
; %bb.246:
	global_load_dwordx4 v[0:3], v[4:5], off
	s_mov_b64 s[0:1], 0
	s_branch .LBB168_251
.LBB168_247:
                                        ; implicit-def: $vgpr2_vgpr3
	s_branch .LBB168_270
.LBB168_248:
	s_mov_b64 s[0:1], -1
                                        ; implicit-def: $vgpr2_vgpr3
	s_branch .LBB168_257
.LBB168_249:
	s_mov_b64 s[0:1], -1
                                        ; implicit-def: $vgpr2_vgpr3
	s_branch .LBB168_254
.LBB168_250:
	s_mov_b64 s[0:1], -1
                                        ; implicit-def: $vgpr2_vgpr3
.LBB168_251:
	s_andn2_b64 vcc, exec, s[0:1]
	s_cbranch_vccnz .LBB168_253
; %bb.252:
	global_load_dwordx2 v[2:3], v[4:5], off
	s_waitcnt vmcnt(0)
	v_cvt_f64_f32_e32 v[0:1], v2
	v_cvt_f64_f32_e32 v[2:3], v3
.LBB168_253:
	s_mov_b64 s[0:1], 0
.LBB168_254:
	s_andn2_b64 vcc, exec, s[0:1]
	s_cbranch_vccnz .LBB168_256
; %bb.255:
	global_load_dword v0, v[4:5], off
	s_waitcnt vmcnt(0)
	v_cvt_f32_f16_e32 v1, v0
	v_cvt_f32_f16_sdwa v2, v0 dst_sel:DWORD dst_unused:UNUSED_PAD src0_sel:WORD_1
	v_cvt_f64_f32_e32 v[0:1], v1
	v_cvt_f64_f32_e32 v[2:3], v2
.LBB168_256:
	s_mov_b64 s[0:1], 0
.LBB168_257:
	s_andn2_b64 vcc, exec, s[0:1]
	s_cbranch_vccnz .LBB168_269
; %bb.258:
	s_cmp_lt_i32 s20, 6
	s_cbranch_scc1 .LBB168_261
; %bb.259:
	s_cmp_gt_i32 s20, 6
	s_cbranch_scc0 .LBB168_262
; %bb.260:
	global_load_dwordx2 v[0:1], v[4:5], off
	s_mov_b64 s[0:1], 0
	s_branch .LBB168_263
.LBB168_261:
	s_mov_b64 s[0:1], -1
                                        ; implicit-def: $vgpr0_vgpr1
	s_branch .LBB168_266
.LBB168_262:
	s_mov_b64 s[0:1], -1
                                        ; implicit-def: $vgpr0_vgpr1
.LBB168_263:
	s_andn2_b64 vcc, exec, s[0:1]
	s_cbranch_vccnz .LBB168_265
; %bb.264:
	global_load_dword v0, v[4:5], off
	s_waitcnt vmcnt(0)
	v_cvt_f64_f32_e32 v[0:1], v0
.LBB168_265:
	s_mov_b64 s[0:1], 0
.LBB168_266:
	s_andn2_b64 vcc, exec, s[0:1]
	s_cbranch_vccnz .LBB168_268
; %bb.267:
	global_load_ushort v0, v[4:5], off
	s_waitcnt vmcnt(0)
	v_cvt_f32_f16_e32 v0, v0
	v_cvt_f64_f32_e32 v[0:1], v0
.LBB168_268:
	s_waitcnt vmcnt(0)
	v_mov_b64_e32 v[2:3], 0
.LBB168_269:
	s_cbranch_execnz .LBB168_290
.LBB168_270:
	s_cmp_lt_i32 s20, 2
	s_cbranch_scc1 .LBB168_274
; %bb.271:
	s_cmp_lt_i32 s20, 3
	s_cbranch_scc1 .LBB168_275
; %bb.272:
	s_cmp_gt_i32 s20, 3
	s_cbranch_scc0 .LBB168_276
; %bb.273:
	global_load_dwordx2 v[0:1], v[4:5], off
	s_mov_b64 s[0:1], 0
	s_waitcnt vmcnt(0)
	v_cvt_f64_i32_e32 v[2:3], v1
	v_cvt_f64_u32_e32 v[0:1], v0
	v_ldexp_f64 v[2:3], v[2:3], 32
	v_add_f64 v[0:1], v[2:3], v[0:1]
	s_branch .LBB168_277
.LBB168_274:
	s_mov_b64 s[0:1], -1
                                        ; implicit-def: $vgpr0_vgpr1
	s_branch .LBB168_283
.LBB168_275:
	s_mov_b64 s[0:1], -1
                                        ; implicit-def: $vgpr0_vgpr1
	s_branch .LBB168_280
.LBB168_276:
	s_mov_b64 s[0:1], -1
                                        ; implicit-def: $vgpr0_vgpr1
.LBB168_277:
	s_andn2_b64 vcc, exec, s[0:1]
	s_cbranch_vccnz .LBB168_279
; %bb.278:
	global_load_dword v0, v[4:5], off
	s_waitcnt vmcnt(0)
	v_cvt_f64_i32_e32 v[0:1], v0
.LBB168_279:
	s_mov_b64 s[0:1], 0
.LBB168_280:
	s_andn2_b64 vcc, exec, s[0:1]
	s_cbranch_vccnz .LBB168_282
; %bb.281:
	global_load_sshort v0, v[4:5], off
	s_waitcnt vmcnt(0)
	v_cvt_f64_i32_e32 v[0:1], v0
.LBB168_282:
	s_mov_b64 s[0:1], 0
.LBB168_283:
	s_andn2_b64 vcc, exec, s[0:1]
	s_cbranch_vccnz .LBB168_289
; %bb.284:
	s_cmp_gt_i32 s20, 0
	s_cbranch_scc0 .LBB168_286
; %bb.285:
	global_load_sbyte v0, v[4:5], off
	s_mov_b64 s[0:1], 0
	s_waitcnt vmcnt(0)
	v_cvt_f64_i32_e32 v[0:1], v0
	s_branch .LBB168_287
.LBB168_286:
	s_mov_b64 s[0:1], -1
                                        ; implicit-def: $vgpr0_vgpr1
.LBB168_287:
	s_andn2_b64 vcc, exec, s[0:1]
	s_cbranch_vccnz .LBB168_289
; %bb.288:
	global_load_ubyte v0, v[4:5], off
	s_waitcnt vmcnt(0)
	v_cvt_f64_u32_e32 v[0:1], v0
.LBB168_289:
	s_waitcnt vmcnt(0)
	v_mov_b64_e32 v[2:3], 0
.LBB168_290:
	s_branch .LBB168_11
.LBB168_291:
	s_mov_b64 s[2:3], 0
                                        ; implicit-def: $vgpr24
	s_mov_b64 s[0:1], 0
.LBB168_292:
	s_and_b64 s[14:15], s[2:3], exec
	s_and_b64 s[16:17], s[16:17], exec
	s_orn2_b64 s[2:3], s[0:1], exec
.LBB168_293:
	s_or_b64 exec, exec, s[18:19]
	s_mov_b64 s[24:25], 0
	s_mov_b64 s[0:1], 0
                                        ; implicit-def: $vgpr4_vgpr5
                                        ; implicit-def: $vgpr2_vgpr3
	s_and_saveexec_b64 s[18:19], s[2:3]
	s_cbranch_execz .LBB168_302
; %bb.294:
	v_cmp_gt_i32_e32 vcc, s45, v24
	s_mov_b64 s[0:1], -1
	s_mov_b64 s[20:21], s[16:17]
	s_mov_b64 s[22:23], s[14:15]
	s_and_saveexec_b64 s[24:25], vcc
	s_cbranch_execz .LBB168_597
; %bb.295:
	s_waitcnt vmcnt(0)
	v_mul_lo_u32 v0, v24, s9
	v_ashrrev_i32_e32 v1, 31, v0
	s_and_b32 s26, 0xffff, s44
	s_cmp_lt_i32 s26, 11
	v_lshl_add_u64 v[4:5], s[6:7], 0, v[0:1]
	s_cbranch_scc1 .LBB168_305
; %bb.296:
	s_cmp_gt_i32 s26, 25
	s_cbranch_scc0 .LBB168_319
; %bb.297:
	s_cmp_gt_i32 s26, 28
	s_cbranch_scc0 .LBB168_320
	;; [unrolled: 3-line block ×4, first 2 shown]
; %bb.300:
	s_cmp_eq_u32 s26, 46
	s_mov_b64 s[2:3], 0
	s_cbranch_scc0 .LBB168_364
; %bb.301:
	global_load_dword v0, v[4:5], off
	s_mov_b64 s[20:21], 0
	s_waitcnt vmcnt(0)
	v_and_b32_e32 v2, 0xffff0000, v0
	v_lshlrev_b32_e32 v0, 16, v0
	v_cvt_f64_f32_e32 v[0:1], v0
	v_cvt_f64_f32_e32 v[2:3], v2
	s_branch .LBB168_365
.LBB168_302:
	s_or_b64 exec, exec, s[18:19]
	s_mov_b64 s[18:19], 0
	s_and_saveexec_b64 s[2:3], s[16:17]
	s_cbranch_execnz .LBB168_989
.LBB168_303:
	s_or_b64 exec, exec, s[2:3]
	s_and_saveexec_b64 s[2:3], s[22:23]
	s_xor_b64 s[2:3], exec, s[2:3]
	s_cbranch_execz .LBB168_990
.LBB168_304:
	global_load_ubyte v1, v[4:5], off
	v_mov_b32_e32 v6, 0x3ff00000
	s_waitcnt vmcnt(1)
	v_mov_b32_e32 v0, 0
	v_mov_b64_e32 v[2:3], 0
	s_or_b64 s[0:1], s[0:1], exec
	s_waitcnt vmcnt(0)
	v_cmp_ne_u16_e32 vcc, 0, v1
	s_nop 1
	v_cndmask_b32_e32 v1, 0, v6, vcc
	s_or_b64 exec, exec, s[2:3]
	s_and_saveexec_b64 s[2:3], s[24:25]
	s_cbranch_execz .LBB168_1038
	s_branch .LBB168_991
.LBB168_305:
	s_mov_b64 s[0:1], 0
                                        ; implicit-def: $vgpr2_vgpr3
	s_mov_b64 s[20:21], s[16:17]
	s_cbranch_execnz .LBB168_545
.LBB168_306:
	s_andn2_b64 vcc, exec, s[0:1]
	s_cbranch_vccnz .LBB168_595
.LBB168_307:
	s_waitcnt vmcnt(0)
	v_cmp_neq_f64_e32 vcc, 0, v[0:1]
	v_cmp_neq_f64_e64 s[0:1], 0, v[2:3]
	v_mov_b64_e32 v[8:9], 0
	s_or_b64 s[0:1], vcc, s[0:1]
	s_and_saveexec_b64 s[22:23], s[0:1]
	s_cbranch_execz .LBB168_343
; %bb.308:
	v_mov_b32_e32 v8, 0
	v_mov_b32_e32 v9, 0x7ff00000
	v_cmp_neq_f64_e64 s[0:1], |v[2:3]|, v[8:9]
	s_and_saveexec_b64 s[26:27], s[0:1]
	s_cbranch_execz .LBB168_342
; %bb.309:
	v_cmp_o_f64_e32 vcc, v[0:1], v[0:1]
                                        ; implicit-def: $vgpr8_vgpr9
	s_and_saveexec_b64 s[0:1], vcc
	s_xor_b64 s[28:29], exec, s[0:1]
	s_cbranch_execz .LBB168_339
; %bb.310:
	s_mov_b32 s0, 0
	s_mov_b32 s1, 0x7ff00000
	v_cmp_neq_f64_e64 s[0:1], |v[0:1]|, s[0:1]
                                        ; implicit-def: $vgpr8_vgpr9
	s_and_saveexec_b64 s[2:3], s[0:1]
	s_xor_b64 s[30:31], exec, s[2:3]
	s_cbranch_execz .LBB168_332
; %bb.311:
	v_max_f64 v[4:5], |v[2:3]|, |v[2:3]|
	v_max_f64 v[6:7], |v[0:1]|, |v[0:1]|
	s_mov_b32 s0, 0x99fcef32
	v_max_f64 v[4:5], v[6:7], v[4:5]
	s_mov_b32 s1, 0x7fda8279
	v_cmp_nle_f64_e64 s[0:1], s[0:1], v[4:5]
                                        ; implicit-def: $sgpr34_sgpr35
	s_and_saveexec_b64 s[2:3], s[0:1]
	s_xor_b64 s[2:3], exec, s[2:3]
	s_cbranch_execz .LBB168_315
; %bb.312:
	s_mov_b32 s34, 0
	s_mov_b32 s35, 0x200000
	v_cmp_le_f64_e64 s[36:37], |v[0:1]|, s[34:35]
	v_cmp_le_f64_e64 s[34:35], |v[2:3]|, s[34:35]
	s_and_b64 s[38:39], s[36:37], s[34:35]
	s_mov_b64 s[34:35], 0
	s_and_saveexec_b64 s[36:37], s[38:39]
; %bb.313:
	s_mov_b64 s[34:35], exec
	v_mul_f64 v[2:3], v[2:3], 4.0
	v_mul_f64 v[0:1], v[0:1], 4.0
; %bb.314:
	s_or_b64 exec, exec, s[36:37]
.LBB168_315:
	s_andn2_saveexec_b64 s[2:3], s[2:3]
; %bb.316:
	v_ldexp_f64 v[0:1], v[0:1], -2
	v_ldexp_f64 v[2:3], v[2:3], -2
	s_andn2_b64 s[34:35], s[34:35], exec
; %bb.317:
	s_or_b64 exec, exec, s[2:3]
	v_max_f64 v[4:5], |v[2:3]|, |v[2:3]|
	v_max_f64 v[6:7], |v[0:1]|, |v[0:1]|
	v_max_f64 v[4:5], v[6:7], v[4:5]
	v_frexp_exp_i32_f64_e32 v12, v[4:5]
	v_sub_u32_e32 v6, 0, v12
	v_ldexp_f64 v[4:5], |v[0:1]|, v6
	v_ldexp_f64 v[6:7], |v[2:3]|, v6
	v_mul_f64 v[6:7], v[6:7], v[6:7]
	v_fmac_f64_e32 v[6:7], v[4:5], v[4:5]
	v_rsq_f64_e32 v[4:5], v[6:7]
	v_cmp_eq_f64_e64 s[2:3], 0, v[6:7]
	s_movk_i32 s36, 0x204
	v_cmp_le_f64_e32 vcc, 0, v[0:1]
	v_mul_f64 v[8:9], v[6:7], v[4:5]
	v_mul_f64 v[4:5], v[4:5], 0.5
	v_fma_f64 v[10:11], -v[4:5], v[8:9], 0.5
	v_fmac_f64_e32 v[8:9], v[8:9], v[10:11]
	v_fmac_f64_e32 v[4:5], v[4:5], v[10:11]
	v_fma_f64 v[10:11], -v[8:9], v[8:9], v[6:7]
	v_fmac_f64_e32 v[8:9], v[10:11], v[4:5]
	v_cndmask_b32_e64 v5, v9, v7, s[2:3]
	v_cndmask_b32_e64 v4, v8, v6, s[2:3]
	v_ldexp_f64 v[4:5], v[4:5], v12
	v_cmp_o_f64_e64 s[2:3], v[2:3], v[2:3]
	v_mov_b32_e32 v6, 0x7ff80000
	s_nop 0
	v_cndmask_b32_e64 v4, 0, v4, s[2:3]
	v_cndmask_b32_e64 v5, v6, v5, s[2:3]
	v_cmp_class_f64_e64 s[2:3], v[0:1], s36
	v_cmp_class_f64_e64 s[36:37], v[2:3], s36
	v_mov_b32_e32 v6, 0x7ff00000
	s_or_b64 s[2:3], s[36:37], s[2:3]
	v_cndmask_b32_e64 v9, v5, v6, s[2:3]
	v_cndmask_b32_e64 v8, v4, 0, s[2:3]
                                        ; implicit-def: $vgpr4_vgpr5
                                        ; implicit-def: $vgpr6_vgpr7
	s_and_saveexec_b64 s[2:3], vcc
	s_xor_b64 s[2:3], exec, s[2:3]
	s_cbranch_execz .LBB168_325
; %bb.318:
	v_add_f64 v[0:1], v[0:1], v[8:9]
	s_mov_b32 s36, 0
	v_mul_f64 v[0:1], v[0:1], 0.5
	s_brev_b32 s37, 8
	v_mov_b32_e32 v4, 0x100
	v_cmp_gt_f64_e32 vcc, s[36:37], v[0:1]
	s_nop 1
	v_cndmask_b32_e32 v4, 0, v4, vcc
	v_ldexp_f64 v[0:1], v[0:1], v4
	v_rsq_f64_e32 v[4:5], v[0:1]
	s_nop 0
	v_mul_f64 v[6:7], v[0:1], v[4:5]
	v_mul_f64 v[4:5], v[4:5], 0.5
	v_fma_f64 v[8:9], -v[4:5], v[6:7], 0.5
	v_fmac_f64_e32 v[6:7], v[6:7], v[8:9]
	v_fma_f64 v[10:11], -v[6:7], v[6:7], v[0:1]
	v_fmac_f64_e32 v[4:5], v[4:5], v[8:9]
	v_fmac_f64_e32 v[6:7], v[10:11], v[4:5]
	v_fma_f64 v[8:9], -v[6:7], v[6:7], v[0:1]
	v_fmac_f64_e32 v[6:7], v[8:9], v[4:5]
	v_mov_b32_e32 v4, 0xffffff80
	v_cndmask_b32_e32 v4, 0, v4, vcc
	v_ldexp_f64 v[4:5], v[6:7], v4
	v_mov_b32_e32 v6, 0x260
	v_cmp_class_f64_e32 vcc, v[0:1], v6
	s_nop 1
	v_cndmask_b32_e32 v7, v5, v1, vcc
	v_cndmask_b32_e32 v6, v4, v0, vcc
	v_add_f64 v[0:1], v[6:7], v[6:7]
	v_div_scale_f64 v[4:5], s[36:37], v[0:1], v[0:1], v[2:3]
	v_rcp_f64_e32 v[8:9], v[4:5]
	s_nop 0
	v_fma_f64 v[10:11], -v[4:5], v[8:9], 1.0
	v_fmac_f64_e32 v[8:9], v[8:9], v[10:11]
	v_fma_f64 v[10:11], -v[4:5], v[8:9], 1.0
	v_fmac_f64_e32 v[8:9], v[8:9], v[10:11]
	v_div_scale_f64 v[10:11], vcc, v[2:3], v[0:1], v[2:3]
	v_mul_f64 v[12:13], v[10:11], v[8:9]
	v_fma_f64 v[4:5], -v[4:5], v[12:13], v[10:11]
	s_nop 1
	v_div_fmas_f64 v[4:5], v[4:5], v[8:9], v[12:13]
	v_div_fixup_f64 v[4:5], v[4:5], v[0:1], v[2:3]
                                        ; implicit-def: $vgpr8_vgpr9
                                        ; implicit-def: $vgpr0_vgpr1
	s_andn2_saveexec_b64 s[2:3], s[2:3]
	s_cbranch_execz .LBB168_327
	s_branch .LBB168_326
.LBB168_319:
	s_mov_b64 s[2:3], -1
	s_mov_b64 s[0:1], 0
	s_mov_b64 s[20:21], s[16:17]
                                        ; implicit-def: $vgpr2_vgpr3
	s_branch .LBB168_510
.LBB168_320:
	s_mov_b64 s[2:3], -1
	s_mov_b64 s[0:1], 0
	s_mov_b64 s[20:21], s[16:17]
                                        ; implicit-def: $vgpr2_vgpr3
	s_branch .LBB168_489
.LBB168_321:
	s_mov_b64 s[2:3], -1
	s_mov_b64 s[0:1], 0
	s_mov_b64 s[20:21], s[16:17]
                                        ; implicit-def: $vgpr2_vgpr3
	s_branch .LBB168_483
.LBB168_322:
	s_andn2_saveexec_b64 s[20:21], s[20:21]
	s_cbranch_execz .LBB168_92
.LBB168_323:
	s_mov_b32 s26, 0x46000000
	v_add_f32_e64 v3, |v2|, s26
	v_and_b32_e32 v3, 0xff, v3
	v_cmp_ne_u32_e32 vcc, 0, v3
	s_andn2_b64 s[14:15], s[14:15], exec
	s_and_b64 s[26:27], vcc, exec
	s_or_b64 s[14:15], s[14:15], s[26:27]
	s_or_b64 exec, exec, s[20:21]
	v_mov_b32_e32 v8, 0
	s_and_saveexec_b64 s[20:21], s[14:15]
	s_cbranch_execnz .LBB168_93
	s_branch .LBB168_94
.LBB168_324:
	s_mov_b64 s[2:3], -1
	s_mov_b64 s[0:1], 0
	s_mov_b64 s[20:21], s[16:17]
                                        ; implicit-def: $vgpr2_vgpr3
	s_branch .LBB168_365
.LBB168_325:
	s_andn2_saveexec_b64 s[2:3], s[2:3]
	s_cbranch_execz .LBB168_327
.LBB168_326:
	v_add_f64 v[0:1], v[8:9], -v[0:1]
	s_mov_b32 s36, 0
	v_mul_f64 v[0:1], v[0:1], 0.5
	s_brev_b32 s37, 8
	v_mov_b32_e32 v4, 0x100
	v_cmp_gt_f64_e32 vcc, s[36:37], v[0:1]
	s_nop 1
	v_cndmask_b32_e32 v4, 0, v4, vcc
	v_ldexp_f64 v[0:1], v[0:1], v4
	v_rsq_f64_e32 v[4:5], v[0:1]
	s_nop 0
	v_mul_f64 v[6:7], v[0:1], v[4:5]
	v_mul_f64 v[4:5], v[4:5], 0.5
	v_fma_f64 v[8:9], -v[4:5], v[6:7], 0.5
	v_fmac_f64_e32 v[6:7], v[6:7], v[8:9]
	v_fma_f64 v[10:11], -v[6:7], v[6:7], v[0:1]
	v_fmac_f64_e32 v[4:5], v[4:5], v[8:9]
	v_fmac_f64_e32 v[6:7], v[10:11], v[4:5]
	v_fma_f64 v[8:9], -v[6:7], v[6:7], v[0:1]
	v_fmac_f64_e32 v[6:7], v[8:9], v[4:5]
	v_mov_b32_e32 v4, 0xffffff80
	v_cndmask_b32_e32 v4, 0, v4, vcc
	v_ldexp_f64 v[4:5], v[6:7], v4
	v_mov_b32_e32 v6, 0x260
	v_cmp_class_f64_e32 vcc, v[0:1], v6
	v_and_b32_e32 v7, 0x7fffffff, v3
	v_mov_b32_e32 v6, v2
	v_cndmask_b32_e32 v5, v5, v1, vcc
	v_cndmask_b32_e32 v4, v4, v0, vcc
	v_add_f64 v[0:1], v[4:5], v[4:5]
	v_div_scale_f64 v[8:9], s[36:37], v[0:1], v[0:1], v[6:7]
	v_rcp_f64_e32 v[10:11], v[8:9]
	v_div_scale_f64 v[6:7], vcc, v[6:7], v[0:1], v[6:7]
	s_brev_b32 s36, -2
	v_fma_f64 v[12:13], -v[8:9], v[10:11], 1.0
	v_fmac_f64_e32 v[10:11], v[10:11], v[12:13]
	v_fma_f64 v[12:13], -v[8:9], v[10:11], 1.0
	v_fmac_f64_e32 v[10:11], v[10:11], v[12:13]
	v_mul_f64 v[12:13], v[6:7], v[10:11]
	v_fma_f64 v[6:7], -v[8:9], v[12:13], v[6:7]
	v_div_fmas_f64 v[6:7], v[6:7], v[10:11], v[12:13]
	v_div_fixup_f64 v[6:7], v[6:7], v[0:1], |v[2:3]|
	v_bfi_b32 v5, s36, v5, v3
.LBB168_327:
	s_or_b64 exec, exec, s[2:3]
                                        ; implicit-def: $vgpr2_vgpr3
                                        ; implicit-def: $vgpr8_vgpr9
	s_and_saveexec_b64 s[2:3], s[0:1]
	s_xor_b64 s[0:1], exec, s[2:3]
	s_cbranch_execz .LBB168_329
; %bb.328:
	v_mul_f64 v[0:1], v[6:7], 0.5
	v_mul_f64 v[2:3], v[4:5], 0.5
	v_cndmask_b32_e64 v9, v7, v1, s[34:35]
	v_cndmask_b32_e64 v8, v6, v0, s[34:35]
	;; [unrolled: 1-line block ×4, first 2 shown]
                                        ; implicit-def: $vgpr6_vgpr7
                                        ; implicit-def: $vgpr4_vgpr5
	s_andn2_saveexec_b64 s[0:1], s[0:1]
	s_cbranch_execnz .LBB168_330
	s_branch .LBB168_331
.LBB168_329:
	s_andn2_saveexec_b64 s[0:1], s[0:1]
.LBB168_330:
	v_add_f64 v[8:9], v[6:7], v[6:7]
	v_add_f64 v[2:3], v[4:5], v[4:5]
.LBB168_331:
	s_or_b64 exec, exec, s[0:1]
.LBB168_332:
	s_andn2_saveexec_b64 s[0:1], s[30:31]
	s_cbranch_execz .LBB168_338
; %bb.333:
	v_add_f64 v[4:5], v[2:3], -v[2:3]
	v_cmp_lt_i64_e32 vcc, -1, v[0:1]
	s_brev_b32 s30, -2
	v_and_b32_e32 v9, 0x7fffffff, v5
	v_mov_b32_e32 v8, v4
	s_and_saveexec_b64 s[2:3], vcc
	s_xor_b64 s[2:3], exec, s[2:3]
; %bb.334:
	v_bfi_b32 v5, s30, v5, v3
	v_mov_b64_e32 v[2:3], v[4:5]
	v_mov_b64_e32 v[8:9], v[0:1]
; %bb.335:
	s_andn2_saveexec_b64 s[2:3], s[2:3]
; %bb.336:
	v_bfi_b32 v1, s30, v1, v3
	v_mov_b64_e32 v[2:3], v[0:1]
; %bb.337:
	s_or_b64 exec, exec, s[2:3]
.LBB168_338:
	s_or_b64 exec, exec, s[0:1]
.LBB168_339:
	s_andn2_saveexec_b64 s[0:1], s[28:29]
	s_cbranch_execz .LBB168_341
; %bb.340:
	v_add_f64 v[2:3], v[2:3], -v[2:3]
	v_div_scale_f64 v[4:5], vcc, v[2:3], v[2:3], v[2:3]
	v_rcp_f64_e32 v[6:7], v[4:5]
	s_nop 0
	v_fma_f64 v[8:9], -v[4:5], v[6:7], 1.0
	v_fmac_f64_e32 v[6:7], v[6:7], v[8:9]
	v_fma_f64 v[8:9], -v[4:5], v[6:7], 1.0
	v_fmac_f64_e32 v[6:7], v[6:7], v[8:9]
	v_mul_f64 v[8:9], v[4:5], v[6:7]
	v_fma_f64 v[4:5], -v[4:5], v[8:9], v[4:5]
	v_div_fmas_f64 v[4:5], v[4:5], v[6:7], v[8:9]
	v_div_fixup_f64 v[2:3], v[4:5], v[2:3], v[2:3]
	v_mov_b64_e32 v[8:9], v[0:1]
.LBB168_341:
	s_or_b64 exec, exec, s[0:1]
.LBB168_342:
	s_or_b64 exec, exec, s[26:27]
.LBB168_343:
	s_or_b64 exec, exec, s[22:23]
	v_xor_b32_e32 v0, 0x80000000, v9
	v_cmp_gt_f64_e32 vcc, 0, v[8:9]
	v_mov_b32_e32 v10, v8
                                        ; implicit-def: $vgpr6_vgpr7
	s_nop 0
	v_cndmask_b32_e32 v11, v9, v0, vcc
	v_xor_b32_e32 v0, 0x80000000, v3
	v_cmp_gt_f64_e32 vcc, 0, v[2:3]
	s_nop 1
	v_cndmask_b32_e32 v1, v3, v0, vcc
	v_mov_b32_e32 v0, v2
	v_cmp_ge_f64_e32 vcc, v[10:11], v[0:1]
	s_and_saveexec_b64 s[0:1], vcc
	s_xor_b64 s[2:3], exec, s[0:1]
	s_cbranch_execz .LBB168_349
; %bb.344:
	v_cmp_neq_f64_e32 vcc, 0, v[8:9]
	v_cmp_neq_f64_e64 s[0:1], 0, v[2:3]
	s_or_b64 s[0:1], vcc, s[0:1]
                                        ; implicit-def: $vgpr6_vgpr7
	s_and_saveexec_b64 s[22:23], s[0:1]
	s_xor_b64 s[0:1], exec, s[22:23]
	s_cbranch_execz .LBB168_346
; %bb.345:
	v_div_scale_f64 v[0:1], s[22:23], v[8:9], v[8:9], v[2:3]
	v_rcp_f64_e32 v[4:5], v[0:1]
	v_div_scale_f64 v[6:7], vcc, v[2:3], v[8:9], v[2:3]
	v_fma_f64 v[10:11], -v[0:1], v[4:5], 1.0
	v_fmac_f64_e32 v[4:5], v[4:5], v[10:11]
	v_fma_f64 v[10:11], -v[0:1], v[4:5], 1.0
	v_fmac_f64_e32 v[4:5], v[4:5], v[10:11]
	v_mul_f64 v[10:11], v[6:7], v[4:5]
	v_fma_f64 v[0:1], -v[0:1], v[10:11], v[6:7]
	v_div_fmas_f64 v[0:1], v[0:1], v[4:5], v[10:11]
	v_div_fixup_f64 v[0:1], v[0:1], v[8:9], v[2:3]
	v_fmac_f64_e32 v[8:9], v[2:3], v[0:1]
	v_div_scale_f64 v[2:3], s[22:23], v[8:9], v[8:9], 1.0
	v_rcp_f64_e32 v[4:5], v[2:3]
	s_nop 0
	v_fma_f64 v[6:7], -v[2:3], v[4:5], 1.0
	v_fmac_f64_e32 v[4:5], v[4:5], v[6:7]
	v_fma_f64 v[6:7], -v[2:3], v[4:5], 1.0
	v_fmac_f64_e32 v[4:5], v[4:5], v[6:7]
	v_div_scale_f64 v[6:7], vcc, 1.0, v[8:9], 1.0
	v_mul_f64 v[10:11], v[6:7], v[4:5]
	v_fma_f64 v[2:3], -v[2:3], v[10:11], v[6:7]
	s_nop 1
	v_div_fmas_f64 v[2:3], v[2:3], v[4:5], v[10:11]
	v_div_fixup_f64 v[2:3], v[2:3], v[8:9], 1.0
	v_fma_f64 v[4:5], v[0:1], 0, 1.0
	v_add_f64 v[0:1], -v[0:1], 0
	v_mul_f64 v[4:5], v[4:5], v[2:3]
	v_mul_f64 v[6:7], v[0:1], v[2:3]
                                        ; implicit-def: $vgpr10_vgpr11
                                        ; implicit-def: $vgpr0_vgpr1
.LBB168_346:
	s_andn2_saveexec_b64 s[0:1], s[0:1]
	s_cbranch_execz .LBB168_348
; %bb.347:
	v_div_scale_f64 v[2:3], s[22:23], v[10:11], v[10:11], 1.0
	v_rcp_f64_e32 v[4:5], v[2:3]
	v_div_scale_f64 v[6:7], vcc, 1.0, v[10:11], 1.0
	v_fma_f64 v[8:9], -v[2:3], v[4:5], 1.0
	v_fmac_f64_e32 v[4:5], v[4:5], v[8:9]
	v_fma_f64 v[8:9], -v[2:3], v[4:5], 1.0
	v_fmac_f64_e32 v[4:5], v[4:5], v[8:9]
	v_mul_f64 v[8:9], v[6:7], v[4:5]
	v_fma_f64 v[2:3], -v[2:3], v[8:9], v[6:7]
	v_div_scale_f64 v[6:7], s[22:23], v[0:1], v[0:1], 0
	v_rcp_f64_e32 v[12:13], v[6:7]
	v_div_fmas_f64 v[2:3], v[2:3], v[4:5], v[8:9]
	v_div_fixup_f64 v[4:5], v[2:3], v[10:11], 1.0
	v_fma_f64 v[2:3], -v[6:7], v[12:13], 1.0
	v_fmac_f64_e32 v[12:13], v[12:13], v[2:3]
	v_fma_f64 v[2:3], -v[6:7], v[12:13], 1.0
	v_fmac_f64_e32 v[12:13], v[12:13], v[2:3]
	v_div_scale_f64 v[2:3], vcc, 0, v[0:1], 0
	v_mul_f64 v[8:9], v[2:3], v[12:13]
	v_fma_f64 v[2:3], -v[6:7], v[8:9], v[2:3]
	s_nop 1
	v_div_fmas_f64 v[2:3], v[2:3], v[12:13], v[8:9]
	v_div_fixup_f64 v[6:7], v[2:3], v[0:1], 0
.LBB168_348:
	s_or_b64 exec, exec, s[0:1]
                                        ; implicit-def: $vgpr2_vgpr3
                                        ; implicit-def: $vgpr8_vgpr9
.LBB168_349:
	s_andn2_saveexec_b64 s[0:1], s[2:3]
	s_cbranch_execz .LBB168_351
; %bb.350:
	v_div_scale_f64 v[0:1], s[2:3], v[2:3], v[2:3], v[8:9]
	v_rcp_f64_e32 v[4:5], v[0:1]
	v_div_scale_f64 v[6:7], vcc, v[8:9], v[2:3], v[8:9]
	v_fma_f64 v[10:11], -v[0:1], v[4:5], 1.0
	v_fmac_f64_e32 v[4:5], v[4:5], v[10:11]
	v_fma_f64 v[10:11], -v[0:1], v[4:5], 1.0
	v_fmac_f64_e32 v[4:5], v[4:5], v[10:11]
	v_mul_f64 v[10:11], v[6:7], v[4:5]
	v_fma_f64 v[0:1], -v[0:1], v[10:11], v[6:7]
	v_div_fmas_f64 v[0:1], v[0:1], v[4:5], v[10:11]
	v_div_fixup_f64 v[0:1], v[0:1], v[2:3], v[8:9]
	v_fmac_f64_e32 v[2:3], v[8:9], v[0:1]
	v_div_scale_f64 v[4:5], s[2:3], v[2:3], v[2:3], 1.0
	v_rcp_f64_e32 v[6:7], v[4:5]
	s_nop 0
	v_fma_f64 v[8:9], -v[4:5], v[6:7], 1.0
	v_fmac_f64_e32 v[6:7], v[6:7], v[8:9]
	v_fma_f64 v[8:9], -v[4:5], v[6:7], 1.0
	v_fmac_f64_e32 v[6:7], v[6:7], v[8:9]
	v_div_scale_f64 v[8:9], vcc, 1.0, v[2:3], 1.0
	v_mul_f64 v[10:11], v[8:9], v[6:7]
	v_fma_f64 v[4:5], -v[4:5], v[10:11], v[8:9]
	s_nop 1
	v_div_fmas_f64 v[4:5], v[4:5], v[6:7], v[10:11]
	v_div_fixup_f64 v[2:3], v[4:5], v[2:3], 1.0
	v_add_f64 v[4:5], v[0:1], 0
	v_fma_f64 v[0:1], v[0:1], 0, -1.0
	v_mul_f64 v[4:5], v[4:5], v[2:3]
	v_mul_f64 v[6:7], v[0:1], v[2:3]
.LBB168_351:
	s_or_b64 exec, exec, s[0:1]
	v_mul_lo_u32 v0, v24, s8
	v_ashrrev_i32_e32 v1, 31, v0
	s_and_b32 s28, s33, 0xff
	s_cmp_lt_i32 s28, 11
	v_lshl_add_u64 v[0:1], s[4:5], 0, v[0:1]
	s_cbranch_scc1 .LBB168_358
; %bb.352:
	s_and_b32 s29, 0xffff, s28
	s_cmp_gt_i32 s29, 25
	s_cbranch_scc0 .LBB168_359
; %bb.353:
	s_cmp_gt_i32 s29, 28
	s_cbranch_scc0 .LBB168_360
; %bb.354:
	;; [unrolled: 3-line block ×4, first 2 shown]
	s_mov_b64 s[22:23], 0
	s_mov_b64 s[2:3], -1
	s_cmp_eq_u32 s29, 46
	s_mov_b64 s[0:1], 0
	s_cbranch_scc0 .LBB168_369
; %bb.357:
	v_cvt_f32_f64_e32 v3, v[6:7]
	s_movk_i32 s0, 0x7fff
	v_bfe_u32 v9, v3, 16, 1
	v_cvt_f32_f64_e32 v2, v[4:5]
	v_add3_u32 v9, v3, v9, s0
	v_bfe_u32 v8, v2, 16, 1
	v_and_b32_e32 v9, 0xffff0000, v9
	v_mov_b32_e32 v10, 0x7fc00000
	v_cmp_o_f32_e32 vcc, v3, v3
	v_add3_u32 v8, v2, v8, s0
	s_mov_b64 s[0:1], -1
	v_cndmask_b32_e32 v3, v10, v9, vcc
	v_cmp_o_f32_e32 vcc, v2, v2
	v_mov_b32_e32 v2, 0x7fc0
	s_mov_b64 s[2:3], 0
	v_cndmask_b32_sdwa v2, v2, v8, vcc dst_sel:DWORD dst_unused:UNUSED_PAD src0_sel:DWORD src1_sel:WORD_1
	v_or_b32_e32 v2, v3, v2
	global_store_dword v[0:1], v2, off
	s_branch .LBB168_369
.LBB168_358:
	s_mov_b64 s[22:23], -1
	s_mov_b64 s[0:1], 0
	s_mov_b64 s[2:3], s[14:15]
	s_branch .LBB168_438
.LBB168_359:
	s_mov_b64 s[22:23], -1
	s_mov_b64 s[0:1], 0
	s_mov_b64 s[2:3], s[14:15]
	s_branch .LBB168_396
.LBB168_360:
	s_mov_b64 s[22:23], -1
	s_mov_b64 s[0:1], 0
	s_mov_b64 s[2:3], s[14:15]
	s_branch .LBB168_379
.LBB168_361:
	s_mov_b64 s[22:23], -1
	s_mov_b64 s[0:1], 0
	s_mov_b64 s[2:3], s[14:15]
	s_branch .LBB168_375
.LBB168_362:
	s_andn2_saveexec_b64 s[20:21], s[20:21]
	s_cbranch_execz .LBB168_105
.LBB168_363:
	s_mov_b32 s26, 0x42800000
	v_add_f32_e64 v3, |v2|, s26
	v_and_b32_e32 v3, 0xff, v3
	v_cmp_ne_u32_e32 vcc, 0, v3
	s_andn2_b64 s[14:15], s[14:15], exec
	s_and_b64 s[26:27], vcc, exec
	s_or_b64 s[14:15], s[14:15], s[26:27]
	s_or_b64 exec, exec, s[20:21]
	v_mov_b32_e32 v8, 0
	s_and_saveexec_b64 s[20:21], s[14:15]
	s_cbranch_execnz .LBB168_106
	s_branch .LBB168_107
.LBB168_364:
	s_mov_b64 s[20:21], -1
                                        ; implicit-def: $vgpr2_vgpr3
	s_mov_b64 s[0:1], 0
.LBB168_365:
	s_and_b64 vcc, exec, s[2:3]
	s_cbranch_vccz .LBB168_482
; %bb.366:
	s_cmp_eq_u32 s26, 44
	s_cbranch_scc0 .LBB168_480
; %bb.367:
	global_load_ubyte v2, v[4:5], off
	s_movk_i32 s2, 0xff
	v_bfrev_b32_e32 v3, 4
	v_mov_b32_e32 v6, 0x7ff80000
	v_bfrev_b32_e32 v7, 28
	s_mov_b64 s[0:1], -1
	s_mov_b64 s[20:21], 0
	s_waitcnt vmcnt(0)
	v_lshlrev_b32_e32 v0, 23, v2
	v_cvt_f64_f32_e32 v[0:1], v0
	v_cmp_ne_u32_e32 vcc, s2, v2
	s_nop 1
	v_cndmask_b32_e32 v0, v3, v0, vcc
	v_cndmask_b32_e32 v1, v6, v1, vcc
	v_cmp_ne_u32_e32 vcc, 0, v2
	s_nop 1
	v_cndmask_b32_e32 v1, v7, v1, vcc
	v_cndmask_b32_e32 v0, 0, v0, vcc
	s_branch .LBB168_481
.LBB168_368:
	s_mov_b64 s[22:23], -1
	s_mov_b64 s[0:1], 0
	s_mov_b64 s[2:3], s[14:15]
.LBB168_369:
	s_and_b64 vcc, exec, s[22:23]
	s_cbranch_vccz .LBB168_374
; %bb.370:
	s_cmp_eq_u32 s29, 44
	s_mov_b64 s[2:3], -1
	s_cbranch_scc0 .LBB168_374
; %bb.371:
	v_cvt_f32_f64_e32 v2, v[4:5]
	v_bfe_u32 v3, v2, 23, 8
	s_movk_i32 s0, 0xff
	v_cmp_ne_u32_e32 vcc, s0, v3
	v_mov_b32_e32 v8, 0xff
	s_and_saveexec_b64 s[2:3], vcc
; %bb.372:
	s_mov_b32 s0, 0x3fffff
	v_lshrrev_b32_e32 v8, 23, v2
	v_and_b32_e32 v9, 0x400000, v2
	v_and_or_b32 v2, v2, s0, v3
	v_cmp_ne_u32_e32 vcc, 0, v9
	v_cmp_ne_u32_e64 s[0:1], 0, v2
	s_and_b64 s[0:1], vcc, s[0:1]
	s_nop 0
	v_cndmask_b32_e64 v2, 0, 1, s[0:1]
	v_add_u32_e32 v8, v8, v2
; %bb.373:
	s_or_b64 exec, exec, s[2:3]
	s_mov_b64 s[0:1], -1
	s_mov_b64 s[2:3], 0
	global_store_byte v[0:1], v8, off
.LBB168_374:
	s_mov_b64 s[22:23], 0
.LBB168_375:
	s_and_b64 vcc, exec, s[22:23]
	s_cbranch_vccz .LBB168_378
; %bb.376:
	s_cmp_eq_u32 s29, 29
	s_mov_b64 s[2:3], -1
	s_cbranch_scc0 .LBB168_378
; %bb.377:
	v_trunc_f64_e32 v[2:3], v[4:5]
	s_movk_i32 s0, 0xffe0
	v_ldexp_f64 v[8:9], v[2:3], s0
	v_floor_f64_e32 v[8:9], v[8:9]
	v_fmac_f64_e32 v[2:3], 0xc1f00000, v[8:9]
	v_cvt_u32_f64_e32 v11, v[8:9]
	v_cvt_u32_f64_e32 v10, v[2:3]
	global_store_dwordx2 v[0:1], v[10:11], off
	s_mov_b64 s[0:1], -1
	s_mov_b64 s[2:3], 0
.LBB168_378:
	s_mov_b64 s[22:23], 0
.LBB168_379:
	s_and_b64 vcc, exec, s[22:23]
	s_cbranch_vccz .LBB168_395
; %bb.380:
	s_cmp_lt_i32 s29, 27
	s_mov_b64 s[0:1], -1
	s_cbranch_scc1 .LBB168_386
; %bb.381:
	s_cmp_gt_i32 s29, 27
	v_cvt_u32_f64_e32 v2, v[4:5]
	s_cbranch_scc0 .LBB168_383
; %bb.382:
	s_mov_b64 s[0:1], 0
	global_store_dword v[0:1], v2, off
.LBB168_383:
	s_andn2_b64 vcc, exec, s[0:1]
	s_cbranch_vccnz .LBB168_385
; %bb.384:
	global_store_short v[0:1], v2, off
.LBB168_385:
	s_mov_b64 s[0:1], 0
.LBB168_386:
	s_andn2_b64 vcc, exec, s[0:1]
	s_cbranch_vccnz .LBB168_394
; %bb.387:
	v_cvt_f32_f64_e32 v2, v[4:5]
	v_and_b32_e32 v3, 0x7fffffff, v2
	s_mov_b32 s0, 0x43800000
	v_cmp_gt_u32_e32 vcc, s0, v3
	v_mov_b32_e32 v8, 0x80
	s_and_saveexec_b64 s[0:1], vcc
	s_cbranch_execz .LBB168_393
; %bb.388:
	s_mov_b32 s22, 0x3bffffff
	v_cmp_lt_u32_e32 vcc, s22, v3
	s_mov_b64 s[22:23], 0
                                        ; implicit-def: $vgpr3
	s_and_saveexec_b64 s[26:27], vcc
	s_xor_b64 s[26:27], exec, s[26:27]
	s_cbranch_execz .LBB168_610
; %bb.389:
	v_bfe_u32 v3, v2, 20, 1
	s_mov_b32 s30, 0x487ffff
	v_add3_u32 v3, v2, v3, s30
	s_mov_b64 s[22:23], exec
	v_lshrrev_b32_e32 v3, 20, v3
	s_andn2_saveexec_b64 s[26:27], s[26:27]
	s_cbranch_execnz .LBB168_611
.LBB168_390:
	s_or_b64 exec, exec, s[26:27]
	v_mov_b32_e32 v8, 0
	s_and_saveexec_b64 s[26:27], s[22:23]
.LBB168_391:
	v_lshrrev_b32_e32 v2, 24, v2
	s_movk_i32 s22, 0x80
	v_and_or_b32 v8, v2, s22, v3
.LBB168_392:
	s_or_b64 exec, exec, s[26:27]
.LBB168_393:
	s_or_b64 exec, exec, s[0:1]
	global_store_byte v[0:1], v8, off
.LBB168_394:
	s_mov_b64 s[0:1], -1
.LBB168_395:
	s_mov_b64 s[22:23], 0
.LBB168_396:
	s_and_b64 vcc, exec, s[22:23]
	s_cbranch_vccz .LBB168_437
; %bb.397:
	s_cmp_gt_i32 s29, 22
	s_mov_b64 s[22:23], -1
	s_cbranch_scc0 .LBB168_429
; %bb.398:
	s_cmp_lt_i32 s29, 24
	s_mov_b64 s[0:1], -1
	s_cbranch_scc1 .LBB168_418
; %bb.399:
	s_cmp_gt_i32 s29, 24
	s_cbranch_scc0 .LBB168_407
; %bb.400:
	v_cvt_f32_f64_e32 v2, v[4:5]
	v_and_b32_e32 v3, 0x7fffffff, v2
	s_mov_b32 s0, 0x47800000
	v_cmp_gt_u32_e32 vcc, s0, v3
	v_mov_b32_e32 v8, 0x80
	s_and_saveexec_b64 s[0:1], vcc
	s_cbranch_execz .LBB168_406
; %bb.401:
	s_mov_b32 s22, 0x37ffffff
	v_cmp_lt_u32_e32 vcc, s22, v3
	s_mov_b64 s[22:23], 0
                                        ; implicit-def: $vgpr3
	s_and_saveexec_b64 s[26:27], vcc
	s_xor_b64 s[26:27], exec, s[26:27]
	s_cbranch_execz .LBB168_613
; %bb.402:
	v_bfe_u32 v3, v2, 21, 1
	s_mov_b32 s30, 0x88fffff
	v_add3_u32 v3, v2, v3, s30
	s_mov_b64 s[22:23], exec
	v_lshrrev_b32_e32 v3, 21, v3
	s_andn2_saveexec_b64 s[26:27], s[26:27]
	s_cbranch_execnz .LBB168_614
.LBB168_403:
	s_or_b64 exec, exec, s[26:27]
	v_mov_b32_e32 v8, 0
	s_and_saveexec_b64 s[26:27], s[22:23]
.LBB168_404:
	v_lshrrev_b32_e32 v2, 24, v2
	s_movk_i32 s22, 0x80
	v_and_or_b32 v8, v2, s22, v3
.LBB168_405:
	s_or_b64 exec, exec, s[26:27]
.LBB168_406:
	s_or_b64 exec, exec, s[0:1]
	s_mov_b64 s[0:1], 0
	global_store_byte v[0:1], v8, off
.LBB168_407:
	s_and_b64 vcc, exec, s[0:1]
	s_cbranch_vccz .LBB168_417
; %bb.408:
	v_cvt_f32_f64_e32 v2, v[4:5]
	v_and_b32_e32 v8, 0x7fffffff, v2
	s_mov_b32 s0, 0x43f00000
	v_cmp_gt_u32_e32 vcc, s0, v8
                                        ; implicit-def: $vgpr3
	s_and_saveexec_b64 s[0:1], vcc
	s_xor_b64 s[0:1], exec, s[0:1]
	s_cbranch_execz .LBB168_414
; %bb.409:
	s_mov_b32 s22, 0x3c7fffff
	v_cmp_lt_u32_e32 vcc, s22, v8
                                        ; implicit-def: $vgpr3
	s_and_saveexec_b64 s[22:23], vcc
	s_xor_b64 s[22:23], exec, s[22:23]
; %bb.410:
	v_bfe_u32 v3, v2, 20, 1
	s_mov_b32 s26, 0x407ffff
	v_add3_u32 v3, v2, v3, s26
	v_lshrrev_b32_e32 v8, 20, v3
	v_and_b32_e32 v3, 0xff00000, v3
	s_mov_b32 s26, 0x7f00000
	v_mov_b32_e32 v9, 0x7e
	v_cmp_ne_u32_e32 vcc, s26, v3
	s_nop 1
	v_cndmask_b32_e32 v3, v9, v8, vcc
; %bb.411:
	s_andn2_saveexec_b64 s[22:23], s[22:23]
; %bb.412:
	s_mov_b32 s26, 0x46800000
	v_add_f32_e64 v3, |v2|, s26
; %bb.413:
	s_or_b64 exec, exec, s[22:23]
                                        ; implicit-def: $vgpr8
.LBB168_414:
	s_andn2_saveexec_b64 s[0:1], s[0:1]
; %bb.415:
	s_mov_b32 s22, 0x7f800000
	v_mov_b32_e32 v3, 0x7e
	v_mov_b32_e32 v9, 0x7f
	v_cmp_lt_u32_e32 vcc, s22, v8
	s_nop 1
	v_cndmask_b32_e32 v3, v3, v9, vcc
; %bb.416:
	s_or_b64 exec, exec, s[0:1]
	v_lshrrev_b32_e32 v2, 24, v2
	s_movk_i32 s0, 0x80
	v_and_or_b32 v2, v2, s0, v3
	global_store_byte v[0:1], v2, off
.LBB168_417:
	s_mov_b64 s[0:1], 0
.LBB168_418:
	s_andn2_b64 vcc, exec, s[0:1]
	s_cbranch_vccnz .LBB168_428
; %bb.419:
	v_cvt_f32_f64_e32 v2, v[4:5]
	v_and_b32_e32 v8, 0x7fffffff, v2
	s_mov_b32 s0, 0x47800000
	v_cmp_gt_u32_e32 vcc, s0, v8
                                        ; implicit-def: $vgpr3
	s_and_saveexec_b64 s[0:1], vcc
	s_xor_b64 s[0:1], exec, s[0:1]
	s_cbranch_execz .LBB168_425
; %bb.420:
	s_mov_b32 s22, 0x387fffff
	v_cmp_lt_u32_e32 vcc, s22, v8
                                        ; implicit-def: $vgpr3
	s_and_saveexec_b64 s[22:23], vcc
	s_xor_b64 s[22:23], exec, s[22:23]
; %bb.421:
	v_bfe_u32 v3, v2, 21, 1
	s_mov_b32 s26, 0x80fffff
	v_add3_u32 v3, v2, v3, s26
	v_lshrrev_b32_e32 v3, 21, v3
; %bb.422:
	s_andn2_saveexec_b64 s[22:23], s[22:23]
; %bb.423:
	s_mov_b32 s26, 0x43000000
	v_add_f32_e64 v3, |v2|, s26
; %bb.424:
	s_or_b64 exec, exec, s[22:23]
                                        ; implicit-def: $vgpr8
.LBB168_425:
	s_andn2_saveexec_b64 s[0:1], s[0:1]
; %bb.426:
	s_mov_b32 s22, 0x7f800000
	v_mov_b32_e32 v3, 0x7c
	v_mov_b32_e32 v9, 0x7f
	v_cmp_lt_u32_e32 vcc, s22, v8
	s_nop 1
	v_cndmask_b32_e32 v3, v3, v9, vcc
; %bb.427:
	s_or_b64 exec, exec, s[0:1]
	v_lshrrev_b32_e32 v2, 24, v2
	s_movk_i32 s0, 0x80
	v_and_or_b32 v2, v2, s0, v3
	global_store_byte v[0:1], v2, off
.LBB168_428:
	s_mov_b64 s[22:23], 0
	s_mov_b64 s[0:1], -1
.LBB168_429:
	s_andn2_b64 vcc, exec, s[22:23]
	s_cbranch_vccnz .LBB168_437
; %bb.430:
	s_cmp_gt_i32 s29, 14
	s_mov_b64 s[22:23], -1
	s_cbranch_scc0 .LBB168_434
; %bb.431:
	s_cmp_eq_u32 s29, 15
	s_mov_b64 s[2:3], -1
	s_cbranch_scc0 .LBB168_433
; %bb.432:
	v_cvt_f32_f64_e32 v2, v[4:5]
	v_bfe_u32 v3, v2, 16, 1
	s_movk_i32 s0, 0x7fff
	v_add3_u32 v3, v2, v3, s0
	v_cmp_o_f32_e32 vcc, v2, v2
	v_mov_b32_e32 v2, 0x7fc0
	s_mov_b64 s[0:1], -1
	v_cndmask_b32_sdwa v2, v2, v3, vcc dst_sel:DWORD dst_unused:UNUSED_PAD src0_sel:DWORD src1_sel:WORD_1
	global_store_short v[0:1], v2, off
	s_mov_b64 s[2:3], 0
.LBB168_433:
	s_mov_b64 s[22:23], 0
.LBB168_434:
	s_and_b64 vcc, exec, s[22:23]
	s_cbranch_vccz .LBB168_437
; %bb.435:
	s_cmp_eq_u32 s29, 11
	s_mov_b64 s[2:3], -1
	s_cbranch_scc0 .LBB168_437
; %bb.436:
	v_cmp_neq_f64_e32 vcc, 0, v[4:5]
	v_cmp_neq_f64_e64 s[0:1], 0, v[6:7]
	s_or_b64 s[0:1], vcc, s[0:1]
	s_mov_b64 s[2:3], 0
	v_cndmask_b32_e64 v2, 0, 1, s[0:1]
	s_mov_b64 s[0:1], -1
	global_store_byte v[0:1], v2, off
.LBB168_437:
	s_mov_b64 s[22:23], 0
.LBB168_438:
	s_and_b64 vcc, exec, s[22:23]
	s_cbranch_vccz .LBB168_477
; %bb.439:
	s_and_b32 s22, 0xffff, s28
	s_cmp_lt_i32 s22, 5
	s_mov_b64 s[0:1], -1
	s_cbranch_scc1 .LBB168_460
; %bb.440:
	s_cmp_lt_i32 s22, 8
	s_cbranch_scc1 .LBB168_450
; %bb.441:
	s_cmp_lt_i32 s22, 9
	s_cbranch_scc1 .LBB168_447
; %bb.442:
	s_cmp_gt_i32 s22, 9
	s_cbranch_scc0 .LBB168_444
; %bb.443:
	s_mov_b64 s[0:1], 0
	global_store_dwordx4 v[0:1], v[4:7], off
.LBB168_444:
	s_andn2_b64 vcc, exec, s[0:1]
	s_cbranch_vccnz .LBB168_446
; %bb.445:
	v_cvt_f32_f64_e32 v2, v[4:5]
	v_cvt_f32_f64_e32 v3, v[6:7]
	global_store_dwordx2 v[0:1], v[2:3], off
.LBB168_446:
	s_mov_b64 s[0:1], 0
.LBB168_447:
	s_andn2_b64 vcc, exec, s[0:1]
	s_cbranch_vccnz .LBB168_449
; %bb.448:
	s_movk_i32 s0, 0x1ff
	v_and_or_b32 v2, v5, s0, v4
	v_cmp_ne_u32_e32 vcc, 0, v2
	v_lshrrev_b32_e32 v3, 8, v5
	s_movk_i32 s1, 0xffe
	v_cndmask_b32_e64 v2, 0, 1, vcc
	v_bfe_u32 v8, v5, 20, 11
	v_and_or_b32 v2, v3, s1, v2
	v_sub_u32_e32 v9, 0x3f1, v8
	v_or_b32_e32 v3, 0x1000, v2
	v_med3_i32 v9, v9, 0, 13
	v_lshrrev_b32_e32 v10, v9, v3
	v_lshlrev_b32_e32 v9, v9, v10
	v_cmp_ne_u32_e32 vcc, v9, v3
	v_add_u32_e32 v8, 0xfffffc10, v8
	v_lshl_or_b32 v9, v8, 12, v2
	v_cndmask_b32_e64 v3, 0, 1, vcc
	v_or_b32_e32 v3, v10, v3
	v_cmp_gt_i32_e32 vcc, 1, v8
	s_movk_i32 s23, 0x40f
	v_and_or_b32 v6, v7, s0, v6
	v_cndmask_b32_e32 v3, v9, v3, vcc
	v_and_b32_e32 v9, 7, v3
	v_cmp_lt_i32_e32 vcc, 5, v9
	v_lshrrev_b32_e32 v3, 2, v3
	v_bfe_u32 v11, v7, 20, 11
	v_cndmask_b32_e64 v10, 0, 1, vcc
	v_cmp_eq_u32_e32 vcc, 3, v9
	v_sub_u32_e32 v12, 0x3f1, v11
	v_med3_i32 v12, v12, 0, 13
	v_cndmask_b32_e64 v9, 0, 1, vcc
	v_or_b32_e32 v9, v9, v10
	v_add_u32_e32 v3, v3, v9
	v_mov_b32_e32 v9, 0x7c00
	v_cmp_gt_i32_e32 vcc, 31, v8
	v_mov_b32_e32 v10, 0x7e00
	v_add_u32_e32 v11, 0xfffffc10, v11
	v_cndmask_b32_e32 v3, v9, v3, vcc
	v_cmp_ne_u32_e32 vcc, 0, v2
	s_mov_b32 s26, 0x8000
	s_mov_b32 s0, 0xffff
	v_cndmask_b32_e32 v2, v9, v10, vcc
	v_cmp_eq_u32_e32 vcc, s23, v8
	v_lshrrev_b32_e32 v8, 8, v7
	v_lshrrev_b32_e32 v7, 16, v7
	v_cndmask_b32_e32 v2, v3, v2, vcc
	v_cmp_ne_u32_e32 vcc, 0, v6
	v_and_b32_sdwa v3, v5, s26 dst_sel:DWORD dst_unused:UNUSED_PAD src0_sel:WORD_1 src1_sel:DWORD
	v_bitop3_b32 v2, v3, s0, v2 bitop3:0xc8
	v_cndmask_b32_e64 v6, 0, 1, vcc
	v_and_or_b32 v6, v8, s1, v6
	v_or_b32_e32 v8, 0x1000, v6
	v_lshrrev_b32_e32 v13, v12, v8
	v_lshlrev_b32_e32 v12, v12, v13
	v_cmp_ne_u32_e32 vcc, v12, v8
	v_lshl_or_b32 v12, v11, 12, v6
	s_nop 0
	v_cndmask_b32_e64 v8, 0, 1, vcc
	v_or_b32_e32 v8, v13, v8
	v_cmp_gt_i32_e32 vcc, 1, v11
	s_nop 1
	v_cndmask_b32_e32 v8, v12, v8, vcc
	v_and_b32_e32 v12, 7, v8
	v_cmp_lt_i32_e32 vcc, 5, v12
	v_lshrrev_b32_e32 v8, 2, v8
	s_nop 0
	v_cndmask_b32_e64 v13, 0, 1, vcc
	v_cmp_eq_u32_e32 vcc, 3, v12
	s_nop 1
	v_cndmask_b32_e64 v12, 0, 1, vcc
	v_or_b32_e32 v12, v12, v13
	v_add_u32_e32 v8, v8, v12
	v_cmp_gt_i32_e32 vcc, 31, v11
	s_nop 1
	v_cndmask_b32_e32 v8, v9, v8, vcc
	v_cmp_ne_u32_e32 vcc, 0, v6
	s_nop 1
	v_cndmask_b32_e32 v6, v9, v10, vcc
	v_cmp_eq_u32_e32 vcc, s23, v11
	s_nop 1
	v_cndmask_b32_e32 v6, v8, v6, vcc
	v_and_or_b32 v6, v7, s26, v6
	v_lshl_or_b32 v2, v6, 16, v2
	global_store_dword v[0:1], v2, off
.LBB168_449:
	s_mov_b64 s[0:1], 0
.LBB168_450:
	s_andn2_b64 vcc, exec, s[0:1]
	s_cbranch_vccnz .LBB168_459
; %bb.451:
	s_cmp_lt_i32 s22, 6
	s_mov_b64 s[0:1], -1
	s_cbranch_scc1 .LBB168_457
; %bb.452:
	s_cmp_gt_i32 s22, 6
	s_cbranch_scc0 .LBB168_454
; %bb.453:
	s_mov_b64 s[0:1], 0
	global_store_dwordx2 v[0:1], v[4:5], off
.LBB168_454:
	s_andn2_b64 vcc, exec, s[0:1]
	s_cbranch_vccnz .LBB168_456
; %bb.455:
	v_cvt_f32_f64_e32 v2, v[4:5]
	global_store_dword v[0:1], v2, off
.LBB168_456:
	s_mov_b64 s[0:1], 0
.LBB168_457:
	s_andn2_b64 vcc, exec, s[0:1]
	s_cbranch_vccnz .LBB168_459
; %bb.458:
	s_movk_i32 s0, 0x1ff
	v_and_or_b32 v2, v5, s0, v4
	v_cmp_ne_u32_e32 vcc, 0, v2
	v_lshrrev_b32_e32 v3, 8, v5
	s_movk_i32 s0, 0xffe
	v_cndmask_b32_e64 v2, 0, 1, vcc
	v_bfe_u32 v6, v5, 20, 11
	v_and_or_b32 v2, v3, s0, v2
	v_sub_u32_e32 v7, 0x3f1, v6
	v_or_b32_e32 v3, 0x1000, v2
	v_med3_i32 v7, v7, 0, 13
	v_lshrrev_b32_e32 v8, v7, v3
	v_lshlrev_b32_e32 v7, v7, v8
	v_cmp_ne_u32_e32 vcc, v7, v3
	v_add_u32_e32 v6, 0xfffffc10, v6
	v_lshl_or_b32 v7, v6, 12, v2
	v_cndmask_b32_e64 v3, 0, 1, vcc
	v_or_b32_e32 v3, v8, v3
	v_cmp_gt_i32_e32 vcc, 1, v6
	s_movk_i32 s0, 0x40f
	s_nop 0
	v_cndmask_b32_e32 v3, v7, v3, vcc
	v_and_b32_e32 v7, 7, v3
	v_cmp_lt_i32_e32 vcc, 5, v7
	v_lshrrev_b32_e32 v3, 2, v3
	s_nop 0
	v_cndmask_b32_e64 v8, 0, 1, vcc
	v_cmp_eq_u32_e32 vcc, 3, v7
	s_nop 1
	v_cndmask_b32_e64 v7, 0, 1, vcc
	v_or_b32_e32 v7, v7, v8
	v_add_u32_e32 v3, v3, v7
	v_mov_b32_e32 v7, 0x7c00
	v_cmp_gt_i32_e32 vcc, 31, v6
	v_mov_b32_e32 v8, 0x7e00
	s_nop 0
	v_cndmask_b32_e32 v3, v7, v3, vcc
	v_cmp_ne_u32_e32 vcc, 0, v2
	s_nop 1
	v_cndmask_b32_e32 v2, v7, v8, vcc
	v_cmp_eq_u32_e32 vcc, s0, v6
	s_mov_b32 s0, 0x8000
	s_nop 0
	v_cndmask_b32_e32 v2, v3, v2, vcc
	v_lshrrev_b32_e32 v3, 16, v5
	v_and_or_b32 v2, v3, s0, v2
	global_store_short v[0:1], v2, off
.LBB168_459:
	s_mov_b64 s[0:1], 0
.LBB168_460:
	s_andn2_b64 vcc, exec, s[0:1]
	s_cbranch_vccnz .LBB168_476
; %bb.461:
	s_cmp_lt_i32 s22, 2
	s_mov_b64 s[0:1], -1
	s_cbranch_scc1 .LBB168_471
; %bb.462:
	s_cmp_lt_i32 s22, 3
	s_cbranch_scc1 .LBB168_468
; %bb.463:
	s_cmp_gt_i32 s22, 3
	s_cbranch_scc0 .LBB168_465
; %bb.464:
	v_trunc_f64_e32 v[2:3], v[4:5]
	s_movk_i32 s0, 0xffe0
	v_ldexp_f64 v[6:7], v[2:3], s0
	v_floor_f64_e32 v[6:7], v[6:7]
	v_fmac_f64_e32 v[2:3], 0xc1f00000, v[6:7]
	v_cvt_i32_f64_e32 v9, v[6:7]
	v_cvt_u32_f64_e32 v8, v[2:3]
	s_mov_b64 s[0:1], 0
	global_store_dwordx2 v[0:1], v[8:9], off
.LBB168_465:
	s_andn2_b64 vcc, exec, s[0:1]
	s_cbranch_vccnz .LBB168_467
; %bb.466:
	v_cvt_i32_f64_e32 v2, v[4:5]
	global_store_dword v[0:1], v2, off
.LBB168_467:
	s_mov_b64 s[0:1], 0
.LBB168_468:
	s_andn2_b64 vcc, exec, s[0:1]
	s_cbranch_vccnz .LBB168_470
; %bb.469:
	v_cvt_i32_f64_e32 v2, v[4:5]
	global_store_short v[0:1], v2, off
.LBB168_470:
	s_mov_b64 s[0:1], 0
.LBB168_471:
	s_andn2_b64 vcc, exec, s[0:1]
	s_cbranch_vccnz .LBB168_476
; %bb.472:
	s_cmp_gt_i32 s22, 0
	s_mov_b64 s[0:1], -1
	s_cbranch_scc0 .LBB168_474
; %bb.473:
	v_cvt_i32_f64_e32 v2, v[4:5]
	s_mov_b64 s[0:1], 0
	global_store_byte v[0:1], v2, off
.LBB168_474:
	s_andn2_b64 vcc, exec, s[0:1]
	s_cbranch_vccnz .LBB168_476
; %bb.475:
	v_trunc_f64_e32 v[2:3], v[4:5]
	s_movk_i32 s0, 0xffe0
	v_ldexp_f64 v[4:5], v[2:3], s0
	v_floor_f64_e32 v[4:5], v[4:5]
	v_fmac_f64_e32 v[2:3], 0xc1f00000, v[4:5]
	v_cvt_u32_f64_e32 v2, v[2:3]
	global_store_byte v[0:1], v2, off
.LBB168_476:
	s_mov_b64 s[0:1], -1
.LBB168_477:
	s_andn2_b64 vcc, exec, s[0:1]
	s_cbranch_vccnz .LBB168_479
; %bb.478:
	v_add_u32_e32 v24, 0x80, v24
	s_mov_b64 s[0:1], -1
	s_branch .LBB168_596
.LBB168_479:
	s_mov_b64 s[0:1], 0
                                        ; implicit-def: $vgpr24
	s_branch .LBB168_596
.LBB168_480:
	s_mov_b64 s[20:21], -1
                                        ; implicit-def: $vgpr0_vgpr1
.LBB168_481:
	v_mov_b64_e32 v[2:3], 0
.LBB168_482:
	s_mov_b64 s[2:3], 0
.LBB168_483:
	s_and_b64 vcc, exec, s[2:3]
	s_cbranch_vccz .LBB168_488
; %bb.484:
	s_cmp_eq_u32 s26, 29
	s_cbranch_scc0 .LBB168_486
; %bb.485:
	global_load_dwordx2 v[0:1], v[4:5], off
	s_mov_b64 s[0:1], -1
	s_mov_b64 s[20:21], 0
	s_waitcnt vmcnt(0)
	v_cvt_f64_u32_e32 v[2:3], v1
	v_cvt_f64_u32_e32 v[0:1], v0
	v_ldexp_f64 v[2:3], v[2:3], 32
	v_add_f64 v[0:1], v[2:3], v[0:1]
	s_branch .LBB168_487
.LBB168_486:
	s_mov_b64 s[20:21], -1
                                        ; implicit-def: $vgpr0_vgpr1
.LBB168_487:
	v_mov_b64_e32 v[2:3], 0
.LBB168_488:
	s_mov_b64 s[2:3], 0
.LBB168_489:
	s_and_b64 vcc, exec, s[2:3]
	s_cbranch_vccz .LBB168_509
; %bb.490:
	s_cmp_lt_i32 s26, 27
	s_cbranch_scc1 .LBB168_493
; %bb.491:
	s_cmp_gt_i32 s26, 27
	s_cbranch_scc0 .LBB168_494
; %bb.492:
	global_load_dword v0, v[4:5], off
	s_mov_b64 s[0:1], 0
	s_waitcnt vmcnt(0)
	v_cvt_f64_u32_e32 v[0:1], v0
	s_branch .LBB168_495
.LBB168_493:
	s_mov_b64 s[0:1], -1
                                        ; implicit-def: $vgpr0_vgpr1
	s_branch .LBB168_498
.LBB168_494:
	s_mov_b64 s[0:1], -1
                                        ; implicit-def: $vgpr0_vgpr1
.LBB168_495:
	s_andn2_b64 vcc, exec, s[0:1]
	s_cbranch_vccnz .LBB168_497
; %bb.496:
	global_load_ushort v0, v[4:5], off
	s_waitcnt vmcnt(0)
	v_cvt_f64_u32_e32 v[0:1], v0
.LBB168_497:
	s_mov_b64 s[0:1], 0
.LBB168_498:
	s_andn2_b64 vcc, exec, s[0:1]
	s_cbranch_vccnz .LBB168_508
; %bb.499:
	global_load_ubyte v2, v[4:5], off
	s_movk_i32 s0, 0x7f
	s_waitcnt vmcnt(0)
	v_cmp_lt_i16_e32 vcc, s0, v2
	s_mov_b64 s[0:1], 0
	s_and_saveexec_b64 s[2:3], vcc
	s_xor_b64 s[2:3], exec, s[2:3]
	s_cbranch_execz .LBB168_503
; %bb.500:
	s_movk_i32 s0, 0x80
	v_cmp_eq_u16_e32 vcc, s0, v2
	s_mov_b64 s[0:1], -1
	s_and_saveexec_b64 s[22:23], vcc
; %bb.501:
	s_xor_b64 s[0:1], exec, -1
; %bb.502:
	s_or_b64 exec, exec, s[22:23]
	s_and_b64 s[0:1], s[0:1], exec
.LBB168_503:
	s_or_saveexec_b64 s[2:3], s[2:3]
	v_bfrev_b32_e32 v0, 4
	v_mov_b32_e32 v1, 0x7ff80000
	s_xor_b64 exec, exec, s[2:3]
; %bb.504:
	v_cmp_ne_u16_e32 vcc, 0, v2
	s_andn2_b64 s[0:1], s[0:1], exec
	s_and_b64 s[22:23], vcc, exec
	v_mov_b64_e32 v[0:1], 0
	s_or_b64 s[0:1], s[0:1], s[22:23]
; %bb.505:
	s_or_b64 exec, exec, s[2:3]
	s_and_saveexec_b64 s[2:3], s[0:1]
	s_cbranch_execz .LBB168_507
; %bb.506:
	v_and_b32_e32 v1, 0xffff, v2
	v_lshlrev_b32_e32 v0, 24, v2
	v_and_b32_e32 v2, 7, v1
	v_ffbh_u32_e32 v6, v2
	v_min_u32_e32 v6, 32, v6
	v_subrev_u32_e32 v7, 28, v6
	v_bfe_u32 v3, v1, 3, 4
	v_lshlrev_b32_e32 v1, v7, v1
	v_sub_u32_e32 v6, 29, v6
	v_and_b32_e32 v1, 7, v1
	v_cmp_eq_u32_e32 vcc, 0, v3
	v_and_b32_e32 v0, 0x80000000, v0
	s_nop 0
	v_cndmask_b32_e32 v3, v3, v6, vcc
	v_cndmask_b32_e32 v1, v2, v1, vcc
	v_mov_b32_e32 v2, 0x3b800000
	v_lshlrev_b32_e32 v1, 20, v1
	v_lshl_add_u32 v2, v3, 23, v2
	v_or3_b32 v0, v0, v2, v1
	v_cvt_f64_f32_e32 v[0:1], v0
.LBB168_507:
	s_or_b64 exec, exec, s[2:3]
.LBB168_508:
	s_mov_b64 s[0:1], -1
	v_mov_b64_e32 v[2:3], 0
.LBB168_509:
	s_mov_b64 s[2:3], 0
.LBB168_510:
	s_and_b64 vcc, exec, s[2:3]
	s_cbranch_vccz .LBB168_544
; %bb.511:
	s_cmp_gt_i32 s26, 22
	s_cbranch_scc0 .LBB168_523
; %bb.512:
	s_cmp_lt_i32 s26, 24
	s_cbranch_scc1 .LBB168_524
; %bb.513:
	s_cmp_gt_i32 s26, 24
	s_cbranch_scc0 .LBB168_525
; %bb.514:
	global_load_ubyte v2, v[4:5], off
	s_movk_i32 s0, 0x7f
	s_waitcnt vmcnt(0)
	v_cmp_lt_i16_e32 vcc, s0, v2
	s_mov_b64 s[0:1], 0
	s_and_saveexec_b64 s[2:3], vcc
	s_xor_b64 s[2:3], exec, s[2:3]
	s_cbranch_execz .LBB168_518
; %bb.515:
	s_movk_i32 s0, 0x80
	v_cmp_eq_u16_e32 vcc, s0, v2
	s_mov_b64 s[0:1], -1
	s_and_saveexec_b64 s[22:23], vcc
; %bb.516:
	s_xor_b64 s[0:1], exec, -1
; %bb.517:
	s_or_b64 exec, exec, s[22:23]
	s_and_b64 s[0:1], s[0:1], exec
.LBB168_518:
	s_or_saveexec_b64 s[2:3], s[2:3]
	v_bfrev_b32_e32 v0, 4
	v_mov_b32_e32 v1, 0x7ff80000
	s_xor_b64 exec, exec, s[2:3]
; %bb.519:
	v_cmp_ne_u16_e32 vcc, 0, v2
	s_andn2_b64 s[0:1], s[0:1], exec
	s_and_b64 s[22:23], vcc, exec
	v_mov_b64_e32 v[0:1], 0
	s_or_b64 s[0:1], s[0:1], s[22:23]
; %bb.520:
	s_or_b64 exec, exec, s[2:3]
	s_and_saveexec_b64 s[2:3], s[0:1]
	s_cbranch_execz .LBB168_522
; %bb.521:
	v_and_b32_e32 v1, 0xffff, v2
	v_lshlrev_b32_e32 v0, 24, v2
	v_and_b32_e32 v2, 3, v1
	v_ffbh_u32_e32 v6, v2
	v_min_u32_e32 v6, 32, v6
	v_subrev_u32_e32 v7, 29, v6
	v_bfe_u32 v3, v1, 2, 5
	v_lshlrev_b32_e32 v1, v7, v1
	v_sub_u32_e32 v6, 30, v6
	v_and_b32_e32 v1, 3, v1
	v_cmp_eq_u32_e32 vcc, 0, v3
	v_and_b32_e32 v0, 0x80000000, v0
	s_nop 0
	v_cndmask_b32_e32 v3, v3, v6, vcc
	v_cndmask_b32_e32 v1, v2, v1, vcc
	v_mov_b32_e32 v2, 0x37800000
	v_lshlrev_b32_e32 v1, 21, v1
	v_lshl_add_u32 v2, v3, 23, v2
	v_or3_b32 v0, v0, v2, v1
	v_cvt_f64_f32_e32 v[0:1], v0
.LBB168_522:
	s_or_b64 exec, exec, s[2:3]
	s_mov_b64 s[0:1], 0
	s_branch .LBB168_526
.LBB168_523:
	s_mov_b64 s[2:3], -1
                                        ; implicit-def: $vgpr0_vgpr1
	s_branch .LBB168_532
.LBB168_524:
	s_mov_b64 s[0:1], -1
                                        ; implicit-def: $vgpr0_vgpr1
	s_branch .LBB168_529
.LBB168_525:
	s_mov_b64 s[0:1], -1
                                        ; implicit-def: $vgpr0_vgpr1
.LBB168_526:
	s_and_b64 vcc, exec, s[0:1]
	s_cbranch_vccz .LBB168_528
; %bb.527:
	global_load_ubyte v0, v[4:5], off
	s_mov_b32 s0, 0x7f800000
	s_waitcnt vmcnt(0)
	v_lshlrev_b32_e32 v0, 24, v0
	v_and_b32_e32 v1, 0x7f000000, v0
	v_ffbh_u32_e32 v2, v1
	v_min_u32_e32 v2, 32, v2
	v_sub_u32_e64 v2, v2, 4 clamp
	v_lshlrev_b32_e32 v6, v2, v1
	v_lshlrev_b32_e32 v2, 23, v2
	v_lshrrev_b32_e32 v6, 4, v6
	v_add_u32_e32 v3, 0x1000000, v1
	v_sub_u32_e32 v2, v6, v2
	v_ashrrev_i32_e32 v3, 8, v3
	v_add_u32_e32 v2, 0x3c000000, v2
	v_and_or_b32 v2, v3, s0, v2
	v_cmp_ne_u32_e32 vcc, 0, v1
	s_brev_b32 s0, 1
	s_nop 0
	v_cndmask_b32_e32 v1, 0, v2, vcc
	v_and_or_b32 v0, v0, s0, v1
	v_cvt_f64_f32_e32 v[0:1], v0
.LBB168_528:
	s_mov_b64 s[0:1], 0
.LBB168_529:
	s_andn2_b64 vcc, exec, s[0:1]
	s_cbranch_vccnz .LBB168_531
; %bb.530:
	global_load_ubyte v0, v[4:5], off
	s_movk_i32 s0, 0x7f00
	s_brev_b32 s1, 16
	s_waitcnt vmcnt(0)
	v_lshlrev_b16_e32 v1, 8, v0
	v_lshlrev_b32_e32 v0, 25, v0
	v_lshrrev_b32_e32 v2, 4, v0
	v_and_or_b32 v3, v1, s0, 0.5
	v_or_b32_e32 v2, 0x70000000, v2
	v_add_f32_e32 v3, -0.5, v3
	v_mul_f32_e32 v2, 0x7800000, v2
	v_cmp_gt_u32_e32 vcc, s1, v0
	v_bfe_i32 v1, v1, 0, 16
	s_brev_b32 s0, 1
	v_cndmask_b32_e32 v0, v2, v3, vcc
	v_and_or_b32 v0, v1, s0, v0
	v_cvt_f64_f32_e32 v[0:1], v0
.LBB168_531:
	s_mov_b64 s[2:3], 0
	s_mov_b64 s[0:1], -1
.LBB168_532:
	s_andn2_b64 vcc, exec, s[2:3]
	s_cbranch_vccnz .LBB168_543
; %bb.533:
	s_cmp_gt_i32 s26, 14
	s_cbranch_scc0 .LBB168_536
; %bb.534:
	s_cmp_eq_u32 s26, 15
	s_cbranch_scc0 .LBB168_537
; %bb.535:
	global_load_ushort v0, v[4:5], off
	s_mov_b64 s[0:1], -1
	s_mov_b64 s[20:21], 0
	s_waitcnt vmcnt(0)
	v_lshlrev_b32_e32 v0, 16, v0
	v_cvt_f64_f32_e32 v[0:1], v0
	s_branch .LBB168_538
.LBB168_536:
	s_mov_b64 s[2:3], -1
                                        ; implicit-def: $vgpr0_vgpr1
	s_branch .LBB168_539
.LBB168_537:
	s_mov_b64 s[20:21], -1
                                        ; implicit-def: $vgpr0_vgpr1
.LBB168_538:
	s_mov_b64 s[2:3], 0
.LBB168_539:
	s_and_b64 vcc, exec, s[2:3]
	s_cbranch_vccz .LBB168_543
; %bb.540:
	s_cmp_eq_u32 s26, 11
	s_cbranch_scc0 .LBB168_542
; %bb.541:
	global_load_ubyte v1, v[4:5], off
	v_mov_b32_e32 v2, 0x3ff00000
	v_mov_b32_e32 v0, 0
	s_mov_b64 s[0:1], -1
	s_mov_b64 s[20:21], 0
	s_waitcnt vmcnt(0)
	v_cmp_ne_u16_e32 vcc, 0, v1
	s_nop 1
	v_cndmask_b32_e32 v1, 0, v2, vcc
	s_branch .LBB168_543
.LBB168_542:
	s_mov_b64 s[20:21], -1
                                        ; implicit-def: $vgpr0_vgpr1
.LBB168_543:
	v_mov_b64_e32 v[2:3], 0
.LBB168_544:
	s_branch .LBB168_306
.LBB168_545:
	s_cmp_lt_i32 s26, 5
	s_cbranch_scc1 .LBB168_550
; %bb.546:
	s_cmp_lt_i32 s26, 8
	s_cbranch_scc1 .LBB168_551
; %bb.547:
	;; [unrolled: 3-line block ×3, first 2 shown]
	s_cmp_gt_i32 s26, 9
	s_cbranch_scc0 .LBB168_553
; %bb.549:
	global_load_dwordx4 v[0:3], v[4:5], off
	s_mov_b64 s[0:1], 0
	s_branch .LBB168_554
.LBB168_550:
	s_mov_b64 s[0:1], -1
                                        ; implicit-def: $vgpr2_vgpr3
	s_branch .LBB168_573
.LBB168_551:
	s_mov_b64 s[0:1], -1
                                        ; implicit-def: $vgpr2_vgpr3
	s_branch .LBB168_560
.LBB168_552:
	s_mov_b64 s[0:1], -1
                                        ; implicit-def: $vgpr2_vgpr3
	s_branch .LBB168_557
.LBB168_553:
	s_mov_b64 s[0:1], -1
                                        ; implicit-def: $vgpr2_vgpr3
.LBB168_554:
	s_andn2_b64 vcc, exec, s[0:1]
	s_cbranch_vccnz .LBB168_556
; %bb.555:
	global_load_dwordx2 v[2:3], v[4:5], off
	s_waitcnt vmcnt(0)
	v_cvt_f64_f32_e32 v[0:1], v2
	v_cvt_f64_f32_e32 v[2:3], v3
.LBB168_556:
	s_mov_b64 s[0:1], 0
.LBB168_557:
	s_andn2_b64 vcc, exec, s[0:1]
	s_cbranch_vccnz .LBB168_559
; %bb.558:
	global_load_dword v0, v[4:5], off
	s_waitcnt vmcnt(0)
	v_cvt_f32_f16_e32 v1, v0
	v_cvt_f32_f16_sdwa v2, v0 dst_sel:DWORD dst_unused:UNUSED_PAD src0_sel:WORD_1
	v_cvt_f64_f32_e32 v[0:1], v1
	v_cvt_f64_f32_e32 v[2:3], v2
.LBB168_559:
	s_mov_b64 s[0:1], 0
.LBB168_560:
	s_andn2_b64 vcc, exec, s[0:1]
	s_cbranch_vccnz .LBB168_572
; %bb.561:
	s_cmp_lt_i32 s26, 6
	s_cbranch_scc1 .LBB168_564
; %bb.562:
	s_cmp_gt_i32 s26, 6
	s_cbranch_scc0 .LBB168_565
; %bb.563:
	global_load_dwordx2 v[0:1], v[4:5], off
	s_mov_b64 s[0:1], 0
	s_branch .LBB168_566
.LBB168_564:
	s_mov_b64 s[0:1], -1
                                        ; implicit-def: $vgpr0_vgpr1
	s_branch .LBB168_569
.LBB168_565:
	s_mov_b64 s[0:1], -1
                                        ; implicit-def: $vgpr0_vgpr1
.LBB168_566:
	s_andn2_b64 vcc, exec, s[0:1]
	s_cbranch_vccnz .LBB168_568
; %bb.567:
	global_load_dword v0, v[4:5], off
	s_waitcnt vmcnt(0)
	v_cvt_f64_f32_e32 v[0:1], v0
.LBB168_568:
	s_mov_b64 s[0:1], 0
.LBB168_569:
	s_andn2_b64 vcc, exec, s[0:1]
	s_cbranch_vccnz .LBB168_571
; %bb.570:
	global_load_ushort v0, v[4:5], off
	s_waitcnt vmcnt(0)
	v_cvt_f32_f16_e32 v0, v0
	v_cvt_f64_f32_e32 v[0:1], v0
.LBB168_571:
	s_waitcnt vmcnt(0)
	v_mov_b64_e32 v[2:3], 0
.LBB168_572:
	s_mov_b64 s[0:1], 0
.LBB168_573:
	s_andn2_b64 vcc, exec, s[0:1]
	s_cbranch_vccnz .LBB168_594
; %bb.574:
	s_cmp_lt_i32 s26, 2
	s_cbranch_scc1 .LBB168_578
; %bb.575:
	s_cmp_lt_i32 s26, 3
	s_cbranch_scc1 .LBB168_579
; %bb.576:
	s_cmp_gt_i32 s26, 3
	s_cbranch_scc0 .LBB168_580
; %bb.577:
	global_load_dwordx2 v[0:1], v[4:5], off
	s_mov_b64 s[0:1], 0
	s_waitcnt vmcnt(0)
	v_cvt_f64_i32_e32 v[2:3], v1
	v_cvt_f64_u32_e32 v[0:1], v0
	v_ldexp_f64 v[2:3], v[2:3], 32
	v_add_f64 v[0:1], v[2:3], v[0:1]
	s_branch .LBB168_581
.LBB168_578:
	s_mov_b64 s[0:1], -1
                                        ; implicit-def: $vgpr0_vgpr1
	s_branch .LBB168_587
.LBB168_579:
	s_mov_b64 s[0:1], -1
                                        ; implicit-def: $vgpr0_vgpr1
	s_branch .LBB168_584
.LBB168_580:
	s_mov_b64 s[0:1], -1
                                        ; implicit-def: $vgpr0_vgpr1
.LBB168_581:
	s_andn2_b64 vcc, exec, s[0:1]
	s_cbranch_vccnz .LBB168_583
; %bb.582:
	global_load_dword v0, v[4:5], off
	s_waitcnt vmcnt(0)
	v_cvt_f64_i32_e32 v[0:1], v0
.LBB168_583:
	s_mov_b64 s[0:1], 0
.LBB168_584:
	s_andn2_b64 vcc, exec, s[0:1]
	s_cbranch_vccnz .LBB168_586
; %bb.585:
	global_load_sshort v0, v[4:5], off
	s_waitcnt vmcnt(0)
	v_cvt_f64_i32_e32 v[0:1], v0
.LBB168_586:
	s_mov_b64 s[0:1], 0
.LBB168_587:
	s_andn2_b64 vcc, exec, s[0:1]
	s_cbranch_vccnz .LBB168_593
; %bb.588:
	s_cmp_gt_i32 s26, 0
	s_cbranch_scc0 .LBB168_590
; %bb.589:
	global_load_sbyte v0, v[4:5], off
	s_mov_b64 s[0:1], 0
	s_waitcnt vmcnt(0)
	v_cvt_f64_i32_e32 v[0:1], v0
	s_branch .LBB168_591
.LBB168_590:
	s_mov_b64 s[0:1], -1
                                        ; implicit-def: $vgpr0_vgpr1
.LBB168_591:
	s_andn2_b64 vcc, exec, s[0:1]
	s_cbranch_vccnz .LBB168_593
; %bb.592:
	global_load_ubyte v0, v[4:5], off
	s_waitcnt vmcnt(0)
	v_cvt_f64_u32_e32 v[0:1], v0
.LBB168_593:
	s_waitcnt vmcnt(0)
	v_mov_b64_e32 v[2:3], 0
.LBB168_594:
	s_branch .LBB168_307
.LBB168_595:
	s_mov_b64 s[0:1], 0
                                        ; implicit-def: $vgpr24
	s_mov_b64 s[2:3], s[14:15]
.LBB168_596:
	s_andn2_b64 s[22:23], s[14:15], exec
	s_and_b64 s[2:3], s[2:3], exec
	s_or_b64 s[22:23], s[22:23], s[2:3]
	s_andn2_b64 s[2:3], s[16:17], exec
	s_and_b64 s[20:21], s[20:21], exec
	s_or_b64 s[20:21], s[2:3], s[20:21]
	s_orn2_b64 s[0:1], s[0:1], exec
.LBB168_597:
	s_or_b64 exec, exec, s[24:25]
	s_mov_b64 s[2:3], 0
	s_mov_b64 s[26:27], 0
	;; [unrolled: 1-line block ×3, first 2 shown]
                                        ; implicit-def: $vgpr4_vgpr5
                                        ; implicit-def: $vgpr2_vgpr3
	s_and_saveexec_b64 s[24:25], s[0:1]
	s_cbranch_execz .LBB168_988
; %bb.598:
	v_cmp_gt_i32_e32 vcc, s45, v24
	s_mov_b64 s[34:35], -1
	s_mov_b64 s[0:1], s[20:21]
	s_mov_b64 s[2:3], s[22:23]
	s_and_saveexec_b64 s[26:27], vcc
	s_cbranch_execz .LBB168_899
; %bb.599:
	s_waitcnt vmcnt(0)
	v_mul_lo_u32 v0, v24, s9
	v_ashrrev_i32_e32 v1, 31, v0
	s_and_b32 s34, 0xffff, s44
	s_cmp_lt_i32 s34, 11
	v_lshl_add_u64 v[4:5], s[6:7], 0, v[0:1]
	s_cbranch_scc1 .LBB168_606
; %bb.600:
	s_cmp_gt_i32 s34, 25
	s_cbranch_scc0 .LBB168_607
; %bb.601:
	s_cmp_gt_i32 s34, 28
	s_cbranch_scc0 .LBB168_608
	;; [unrolled: 3-line block ×4, first 2 shown]
; %bb.604:
	s_cmp_eq_u32 s34, 46
	s_mov_b64 s[2:3], 0
	s_cbranch_scc0 .LBB168_615
; %bb.605:
	global_load_dword v0, v[4:5], off
	s_mov_b64 s[0:1], -1
	s_waitcnt vmcnt(0)
	v_and_b32_e32 v2, 0xffff0000, v0
	v_lshlrev_b32_e32 v0, 16, v0
	v_cvt_f64_f32_e32 v[0:1], v0
	v_cvt_f64_f32_e32 v[2:3], v2
	s_branch .LBB168_616
.LBB168_606:
	s_mov_b64 s[2:3], -1
	s_mov_b64 s[0:1], 0
                                        ; implicit-def: $vgpr2_vgpr3
	s_mov_b64 s[28:29], s[20:21]
	s_branch .LBB168_684
.LBB168_607:
	s_mov_b64 s[2:3], -1
	s_mov_b64 s[0:1], 0
	s_mov_b64 s[28:29], s[20:21]
                                        ; implicit-def: $vgpr2_vgpr3
	s_branch .LBB168_649
.LBB168_608:
	s_mov_b64 s[2:3], -1
	s_mov_b64 s[0:1], 0
	s_mov_b64 s[28:29], s[20:21]
                                        ; implicit-def: $vgpr2_vgpr3
	s_branch .LBB168_628
.LBB168_609:
	s_mov_b64 s[2:3], -1
	s_mov_b64 s[0:1], 0
	s_mov_b64 s[28:29], s[20:21]
                                        ; implicit-def: $vgpr2_vgpr3
	s_branch .LBB168_622
.LBB168_610:
	s_andn2_saveexec_b64 s[26:27], s[26:27]
	s_cbranch_execz .LBB168_390
.LBB168_611:
	s_mov_b32 s30, 0x46000000
	v_add_f32_e64 v3, |v2|, s30
	v_and_b32_e32 v3, 0xff, v3
	v_cmp_ne_u32_e32 vcc, 0, v3
	s_andn2_b64 s[22:23], s[22:23], exec
	s_and_b64 s[30:31], vcc, exec
	s_or_b64 s[22:23], s[22:23], s[30:31]
	s_or_b64 exec, exec, s[26:27]
	v_mov_b32_e32 v8, 0
	s_and_saveexec_b64 s[26:27], s[22:23]
	s_cbranch_execnz .LBB168_391
	s_branch .LBB168_392
.LBB168_612:
	s_mov_b64 s[2:3], -1
	s_mov_b64 s[0:1], 0
	s_mov_b64 s[28:29], s[20:21]
                                        ; implicit-def: $vgpr2_vgpr3
	s_branch .LBB168_616
.LBB168_613:
	s_andn2_saveexec_b64 s[26:27], s[26:27]
	s_cbranch_execz .LBB168_403
.LBB168_614:
	s_mov_b32 s30, 0x42800000
	v_add_f32_e64 v3, |v2|, s30
	v_and_b32_e32 v3, 0xff, v3
	v_cmp_ne_u32_e32 vcc, 0, v3
	s_andn2_b64 s[22:23], s[22:23], exec
	s_and_b64 s[30:31], vcc, exec
	s_or_b64 s[22:23], s[22:23], s[30:31]
	s_or_b64 exec, exec, s[26:27]
	v_mov_b32_e32 v8, 0
	s_and_saveexec_b64 s[26:27], s[22:23]
	s_cbranch_execnz .LBB168_404
	s_branch .LBB168_405
.LBB168_615:
	s_mov_b64 s[28:29], -1
                                        ; implicit-def: $vgpr2_vgpr3
	s_mov_b64 s[0:1], 0
.LBB168_616:
	s_and_b64 vcc, exec, s[2:3]
	s_cbranch_vccz .LBB168_621
; %bb.617:
	s_cmp_eq_u32 s34, 44
	s_cbranch_scc0 .LBB168_619
; %bb.618:
	global_load_ubyte v2, v[4:5], off
	s_movk_i32 s2, 0xff
	v_bfrev_b32_e32 v3, 4
	v_mov_b32_e32 v6, 0x7ff80000
	v_bfrev_b32_e32 v7, 28
	s_mov_b64 s[0:1], -1
	s_mov_b64 s[28:29], 0
	s_waitcnt vmcnt(0)
	v_lshlrev_b32_e32 v0, 23, v2
	v_cvt_f64_f32_e32 v[0:1], v0
	v_cmp_ne_u32_e32 vcc, s2, v2
	s_nop 1
	v_cndmask_b32_e32 v0, v3, v0, vcc
	v_cndmask_b32_e32 v1, v6, v1, vcc
	v_cmp_ne_u32_e32 vcc, 0, v2
	s_nop 1
	v_cndmask_b32_e32 v1, v7, v1, vcc
	v_cndmask_b32_e32 v0, 0, v0, vcc
	s_branch .LBB168_620
.LBB168_619:
	s_mov_b64 s[28:29], -1
                                        ; implicit-def: $vgpr0_vgpr1
.LBB168_620:
	v_mov_b64_e32 v[2:3], 0
.LBB168_621:
	s_mov_b64 s[2:3], 0
.LBB168_622:
	s_and_b64 vcc, exec, s[2:3]
	s_cbranch_vccz .LBB168_627
; %bb.623:
	s_cmp_eq_u32 s34, 29
	s_cbranch_scc0 .LBB168_625
; %bb.624:
	global_load_dwordx2 v[0:1], v[4:5], off
	s_mov_b64 s[0:1], -1
	s_mov_b64 s[28:29], 0
	s_waitcnt vmcnt(0)
	v_cvt_f64_u32_e32 v[2:3], v1
	v_cvt_f64_u32_e32 v[0:1], v0
	v_ldexp_f64 v[2:3], v[2:3], 32
	v_add_f64 v[0:1], v[2:3], v[0:1]
	s_branch .LBB168_626
.LBB168_625:
	s_mov_b64 s[28:29], -1
                                        ; implicit-def: $vgpr0_vgpr1
.LBB168_626:
	v_mov_b64_e32 v[2:3], 0
.LBB168_627:
	s_mov_b64 s[2:3], 0
.LBB168_628:
	s_and_b64 vcc, exec, s[2:3]
	s_cbranch_vccz .LBB168_648
; %bb.629:
	s_cmp_lt_i32 s34, 27
	s_cbranch_scc1 .LBB168_632
; %bb.630:
	s_cmp_gt_i32 s34, 27
	s_cbranch_scc0 .LBB168_633
; %bb.631:
	global_load_dword v0, v[4:5], off
	s_mov_b64 s[0:1], 0
	s_waitcnt vmcnt(0)
	v_cvt_f64_u32_e32 v[0:1], v0
	s_branch .LBB168_634
.LBB168_632:
	s_mov_b64 s[0:1], -1
                                        ; implicit-def: $vgpr0_vgpr1
	s_branch .LBB168_637
.LBB168_633:
	s_mov_b64 s[0:1], -1
                                        ; implicit-def: $vgpr0_vgpr1
.LBB168_634:
	s_andn2_b64 vcc, exec, s[0:1]
	s_cbranch_vccnz .LBB168_636
; %bb.635:
	global_load_ushort v0, v[4:5], off
	s_waitcnt vmcnt(0)
	v_cvt_f64_u32_e32 v[0:1], v0
.LBB168_636:
	s_mov_b64 s[0:1], 0
.LBB168_637:
	s_andn2_b64 vcc, exec, s[0:1]
	s_cbranch_vccnz .LBB168_647
; %bb.638:
	global_load_ubyte v2, v[4:5], off
	s_movk_i32 s0, 0x7f
	s_waitcnt vmcnt(0)
	v_cmp_lt_i16_e32 vcc, s0, v2
	s_mov_b64 s[0:1], 0
	s_and_saveexec_b64 s[2:3], vcc
	s_xor_b64 s[2:3], exec, s[2:3]
	s_cbranch_execz .LBB168_642
; %bb.639:
	s_movk_i32 s0, 0x80
	v_cmp_eq_u16_e32 vcc, s0, v2
	s_mov_b64 s[0:1], -1
	s_and_saveexec_b64 s[30:31], vcc
; %bb.640:
	s_xor_b64 s[0:1], exec, -1
; %bb.641:
	s_or_b64 exec, exec, s[30:31]
	s_and_b64 s[0:1], s[0:1], exec
.LBB168_642:
	s_or_saveexec_b64 s[2:3], s[2:3]
	v_bfrev_b32_e32 v0, 4
	v_mov_b32_e32 v1, 0x7ff80000
	s_xor_b64 exec, exec, s[2:3]
; %bb.643:
	v_cmp_ne_u16_e32 vcc, 0, v2
	s_andn2_b64 s[0:1], s[0:1], exec
	s_and_b64 s[30:31], vcc, exec
	v_mov_b64_e32 v[0:1], 0
	s_or_b64 s[0:1], s[0:1], s[30:31]
; %bb.644:
	s_or_b64 exec, exec, s[2:3]
	s_and_saveexec_b64 s[2:3], s[0:1]
	s_cbranch_execz .LBB168_646
; %bb.645:
	v_and_b32_e32 v1, 0xffff, v2
	v_lshlrev_b32_e32 v0, 24, v2
	v_and_b32_e32 v2, 7, v1
	v_ffbh_u32_e32 v6, v2
	v_min_u32_e32 v6, 32, v6
	v_subrev_u32_e32 v7, 28, v6
	v_bfe_u32 v3, v1, 3, 4
	v_lshlrev_b32_e32 v1, v7, v1
	v_sub_u32_e32 v6, 29, v6
	v_and_b32_e32 v1, 7, v1
	v_cmp_eq_u32_e32 vcc, 0, v3
	v_and_b32_e32 v0, 0x80000000, v0
	s_nop 0
	v_cndmask_b32_e32 v3, v3, v6, vcc
	v_cndmask_b32_e32 v1, v2, v1, vcc
	v_mov_b32_e32 v2, 0x3b800000
	v_lshlrev_b32_e32 v1, 20, v1
	v_lshl_add_u32 v2, v3, 23, v2
	v_or3_b32 v0, v0, v2, v1
	v_cvt_f64_f32_e32 v[0:1], v0
.LBB168_646:
	s_or_b64 exec, exec, s[2:3]
.LBB168_647:
	s_mov_b64 s[0:1], -1
	v_mov_b64_e32 v[2:3], 0
.LBB168_648:
	s_mov_b64 s[2:3], 0
.LBB168_649:
	s_and_b64 vcc, exec, s[2:3]
	s_cbranch_vccz .LBB168_683
; %bb.650:
	s_cmp_gt_i32 s34, 22
	s_cbranch_scc0 .LBB168_662
; %bb.651:
	s_cmp_lt_i32 s34, 24
	s_cbranch_scc1 .LBB168_663
; %bb.652:
	s_cmp_gt_i32 s34, 24
	s_cbranch_scc0 .LBB168_664
; %bb.653:
	global_load_ubyte v2, v[4:5], off
	s_movk_i32 s0, 0x7f
	s_waitcnt vmcnt(0)
	v_cmp_lt_i16_e32 vcc, s0, v2
	s_mov_b64 s[0:1], 0
	s_and_saveexec_b64 s[2:3], vcc
	s_xor_b64 s[2:3], exec, s[2:3]
	s_cbranch_execz .LBB168_657
; %bb.654:
	s_movk_i32 s0, 0x80
	v_cmp_eq_u16_e32 vcc, s0, v2
	s_mov_b64 s[0:1], -1
	s_and_saveexec_b64 s[30:31], vcc
; %bb.655:
	s_xor_b64 s[0:1], exec, -1
; %bb.656:
	s_or_b64 exec, exec, s[30:31]
	s_and_b64 s[0:1], s[0:1], exec
.LBB168_657:
	s_or_saveexec_b64 s[2:3], s[2:3]
	v_bfrev_b32_e32 v0, 4
	v_mov_b32_e32 v1, 0x7ff80000
	s_xor_b64 exec, exec, s[2:3]
; %bb.658:
	v_cmp_ne_u16_e32 vcc, 0, v2
	s_andn2_b64 s[0:1], s[0:1], exec
	s_and_b64 s[30:31], vcc, exec
	v_mov_b64_e32 v[0:1], 0
	s_or_b64 s[0:1], s[0:1], s[30:31]
; %bb.659:
	s_or_b64 exec, exec, s[2:3]
	s_and_saveexec_b64 s[2:3], s[0:1]
	s_cbranch_execz .LBB168_661
; %bb.660:
	v_and_b32_e32 v1, 0xffff, v2
	v_lshlrev_b32_e32 v0, 24, v2
	v_and_b32_e32 v2, 3, v1
	v_ffbh_u32_e32 v6, v2
	v_min_u32_e32 v6, 32, v6
	v_subrev_u32_e32 v7, 29, v6
	v_bfe_u32 v3, v1, 2, 5
	v_lshlrev_b32_e32 v1, v7, v1
	v_sub_u32_e32 v6, 30, v6
	v_and_b32_e32 v1, 3, v1
	v_cmp_eq_u32_e32 vcc, 0, v3
	v_and_b32_e32 v0, 0x80000000, v0
	s_nop 0
	v_cndmask_b32_e32 v3, v3, v6, vcc
	v_cndmask_b32_e32 v1, v2, v1, vcc
	v_mov_b32_e32 v2, 0x37800000
	v_lshlrev_b32_e32 v1, 21, v1
	v_lshl_add_u32 v2, v3, 23, v2
	v_or3_b32 v0, v0, v2, v1
	v_cvt_f64_f32_e32 v[0:1], v0
.LBB168_661:
	s_or_b64 exec, exec, s[2:3]
	s_mov_b64 s[0:1], 0
	s_branch .LBB168_665
.LBB168_662:
	s_mov_b64 s[2:3], -1
                                        ; implicit-def: $vgpr0_vgpr1
	s_branch .LBB168_671
.LBB168_663:
	s_mov_b64 s[0:1], -1
                                        ; implicit-def: $vgpr0_vgpr1
	s_branch .LBB168_668
.LBB168_664:
	s_mov_b64 s[0:1], -1
                                        ; implicit-def: $vgpr0_vgpr1
.LBB168_665:
	s_and_b64 vcc, exec, s[0:1]
	s_cbranch_vccz .LBB168_667
; %bb.666:
	global_load_ubyte v0, v[4:5], off
	s_mov_b32 s0, 0x7f800000
	s_waitcnt vmcnt(0)
	v_lshlrev_b32_e32 v0, 24, v0
	v_and_b32_e32 v1, 0x7f000000, v0
	v_ffbh_u32_e32 v2, v1
	v_min_u32_e32 v2, 32, v2
	v_sub_u32_e64 v2, v2, 4 clamp
	v_lshlrev_b32_e32 v6, v2, v1
	v_lshlrev_b32_e32 v2, 23, v2
	v_lshrrev_b32_e32 v6, 4, v6
	v_add_u32_e32 v3, 0x1000000, v1
	v_sub_u32_e32 v2, v6, v2
	v_ashrrev_i32_e32 v3, 8, v3
	v_add_u32_e32 v2, 0x3c000000, v2
	v_and_or_b32 v2, v3, s0, v2
	v_cmp_ne_u32_e32 vcc, 0, v1
	s_brev_b32 s0, 1
	s_nop 0
	v_cndmask_b32_e32 v1, 0, v2, vcc
	v_and_or_b32 v0, v0, s0, v1
	v_cvt_f64_f32_e32 v[0:1], v0
.LBB168_667:
	s_mov_b64 s[0:1], 0
.LBB168_668:
	s_andn2_b64 vcc, exec, s[0:1]
	s_cbranch_vccnz .LBB168_670
; %bb.669:
	global_load_ubyte v0, v[4:5], off
	s_movk_i32 s0, 0x7f00
	s_brev_b32 s1, 16
	s_waitcnt vmcnt(0)
	v_lshlrev_b16_e32 v1, 8, v0
	v_lshlrev_b32_e32 v0, 25, v0
	v_lshrrev_b32_e32 v2, 4, v0
	v_and_or_b32 v3, v1, s0, 0.5
	v_or_b32_e32 v2, 0x70000000, v2
	v_add_f32_e32 v3, -0.5, v3
	v_mul_f32_e32 v2, 0x7800000, v2
	v_cmp_gt_u32_e32 vcc, s1, v0
	v_bfe_i32 v1, v1, 0, 16
	s_brev_b32 s0, 1
	v_cndmask_b32_e32 v0, v2, v3, vcc
	v_and_or_b32 v0, v1, s0, v0
	v_cvt_f64_f32_e32 v[0:1], v0
.LBB168_670:
	s_mov_b64 s[2:3], 0
	s_mov_b64 s[0:1], -1
.LBB168_671:
	s_andn2_b64 vcc, exec, s[2:3]
	s_cbranch_vccnz .LBB168_682
; %bb.672:
	s_cmp_gt_i32 s34, 14
	s_cbranch_scc0 .LBB168_675
; %bb.673:
	s_cmp_eq_u32 s34, 15
	s_cbranch_scc0 .LBB168_676
; %bb.674:
	global_load_ushort v0, v[4:5], off
	s_mov_b64 s[0:1], -1
	s_mov_b64 s[28:29], 0
	s_waitcnt vmcnt(0)
	v_lshlrev_b32_e32 v0, 16, v0
	v_cvt_f64_f32_e32 v[0:1], v0
	s_branch .LBB168_677
.LBB168_675:
	s_mov_b64 s[2:3], -1
                                        ; implicit-def: $vgpr0_vgpr1
	s_branch .LBB168_678
.LBB168_676:
	s_mov_b64 s[28:29], -1
                                        ; implicit-def: $vgpr0_vgpr1
.LBB168_677:
	s_mov_b64 s[2:3], 0
.LBB168_678:
	s_and_b64 vcc, exec, s[2:3]
	s_cbranch_vccz .LBB168_682
; %bb.679:
	s_cmp_eq_u32 s34, 11
	s_cbranch_scc0 .LBB168_681
; %bb.680:
	global_load_ubyte v1, v[4:5], off
	v_mov_b32_e32 v2, 0x3ff00000
	v_mov_b32_e32 v0, 0
	s_mov_b64 s[0:1], -1
	s_mov_b64 s[28:29], 0
	s_waitcnt vmcnt(0)
	v_cmp_ne_u16_e32 vcc, 0, v1
	s_nop 1
	v_cndmask_b32_e32 v1, 0, v2, vcc
	s_branch .LBB168_682
.LBB168_681:
	s_mov_b64 s[28:29], -1
                                        ; implicit-def: $vgpr0_vgpr1
.LBB168_682:
	v_mov_b64_e32 v[2:3], 0
.LBB168_683:
	s_mov_b64 s[2:3], 0
.LBB168_684:
	s_and_b64 vcc, exec, s[2:3]
	s_cbranch_vccz .LBB168_735
; %bb.685:
	s_cmp_lt_i32 s34, 5
	s_cbranch_scc1 .LBB168_690
; %bb.686:
	s_cmp_lt_i32 s34, 8
	s_cbranch_scc1 .LBB168_691
	;; [unrolled: 3-line block ×3, first 2 shown]
; %bb.688:
	s_cmp_gt_i32 s34, 9
	s_cbranch_scc0 .LBB168_693
; %bb.689:
	global_load_dwordx4 v[0:3], v[4:5], off
	s_mov_b64 s[0:1], 0
	s_branch .LBB168_694
.LBB168_690:
	s_mov_b64 s[0:1], -1
                                        ; implicit-def: $vgpr2_vgpr3
	s_branch .LBB168_713
.LBB168_691:
	s_mov_b64 s[0:1], -1
                                        ; implicit-def: $vgpr2_vgpr3
	s_branch .LBB168_700
.LBB168_692:
	s_mov_b64 s[0:1], -1
                                        ; implicit-def: $vgpr2_vgpr3
	s_branch .LBB168_697
.LBB168_693:
	s_mov_b64 s[0:1], -1
                                        ; implicit-def: $vgpr2_vgpr3
.LBB168_694:
	s_andn2_b64 vcc, exec, s[0:1]
	s_cbranch_vccnz .LBB168_696
; %bb.695:
	global_load_dwordx2 v[2:3], v[4:5], off
	s_waitcnt vmcnt(0)
	v_cvt_f64_f32_e32 v[0:1], v2
	v_cvt_f64_f32_e32 v[2:3], v3
.LBB168_696:
	s_mov_b64 s[0:1], 0
.LBB168_697:
	s_andn2_b64 vcc, exec, s[0:1]
	s_cbranch_vccnz .LBB168_699
; %bb.698:
	global_load_dword v0, v[4:5], off
	s_waitcnt vmcnt(0)
	v_cvt_f32_f16_e32 v1, v0
	v_cvt_f32_f16_sdwa v2, v0 dst_sel:DWORD dst_unused:UNUSED_PAD src0_sel:WORD_1
	v_cvt_f64_f32_e32 v[0:1], v1
	v_cvt_f64_f32_e32 v[2:3], v2
.LBB168_699:
	s_mov_b64 s[0:1], 0
.LBB168_700:
	s_andn2_b64 vcc, exec, s[0:1]
	s_cbranch_vccnz .LBB168_712
; %bb.701:
	s_cmp_lt_i32 s34, 6
	s_cbranch_scc1 .LBB168_704
; %bb.702:
	s_cmp_gt_i32 s34, 6
	s_cbranch_scc0 .LBB168_705
; %bb.703:
	global_load_dwordx2 v[0:1], v[4:5], off
	s_mov_b64 s[0:1], 0
	s_branch .LBB168_706
.LBB168_704:
	s_mov_b64 s[0:1], -1
                                        ; implicit-def: $vgpr0_vgpr1
	s_branch .LBB168_709
.LBB168_705:
	s_mov_b64 s[0:1], -1
                                        ; implicit-def: $vgpr0_vgpr1
.LBB168_706:
	s_andn2_b64 vcc, exec, s[0:1]
	s_cbranch_vccnz .LBB168_708
; %bb.707:
	global_load_dword v0, v[4:5], off
	s_waitcnt vmcnt(0)
	v_cvt_f64_f32_e32 v[0:1], v0
.LBB168_708:
	s_mov_b64 s[0:1], 0
.LBB168_709:
	s_andn2_b64 vcc, exec, s[0:1]
	s_cbranch_vccnz .LBB168_711
; %bb.710:
	global_load_ushort v0, v[4:5], off
	s_waitcnt vmcnt(0)
	v_cvt_f32_f16_e32 v0, v0
	v_cvt_f64_f32_e32 v[0:1], v0
.LBB168_711:
	s_waitcnt vmcnt(0)
	v_mov_b64_e32 v[2:3], 0
.LBB168_712:
	s_mov_b64 s[0:1], 0
.LBB168_713:
	s_andn2_b64 vcc, exec, s[0:1]
	s_cbranch_vccnz .LBB168_734
; %bb.714:
	s_cmp_lt_i32 s34, 2
	s_cbranch_scc1 .LBB168_718
; %bb.715:
	s_cmp_lt_i32 s34, 3
	s_cbranch_scc1 .LBB168_719
; %bb.716:
	s_cmp_gt_i32 s34, 3
	s_cbranch_scc0 .LBB168_720
; %bb.717:
	global_load_dwordx2 v[0:1], v[4:5], off
	s_mov_b64 s[0:1], 0
	s_waitcnt vmcnt(0)
	v_cvt_f64_i32_e32 v[2:3], v1
	v_cvt_f64_u32_e32 v[0:1], v0
	v_ldexp_f64 v[2:3], v[2:3], 32
	v_add_f64 v[0:1], v[2:3], v[0:1]
	s_branch .LBB168_721
.LBB168_718:
	s_mov_b64 s[0:1], -1
                                        ; implicit-def: $vgpr0_vgpr1
	s_branch .LBB168_727
.LBB168_719:
	s_mov_b64 s[0:1], -1
                                        ; implicit-def: $vgpr0_vgpr1
	s_branch .LBB168_724
.LBB168_720:
	s_mov_b64 s[0:1], -1
                                        ; implicit-def: $vgpr0_vgpr1
.LBB168_721:
	s_andn2_b64 vcc, exec, s[0:1]
	s_cbranch_vccnz .LBB168_723
; %bb.722:
	global_load_dword v0, v[4:5], off
	s_waitcnt vmcnt(0)
	v_cvt_f64_i32_e32 v[0:1], v0
.LBB168_723:
	s_mov_b64 s[0:1], 0
.LBB168_724:
	s_andn2_b64 vcc, exec, s[0:1]
	s_cbranch_vccnz .LBB168_726
; %bb.725:
	global_load_sshort v0, v[4:5], off
	s_waitcnt vmcnt(0)
	v_cvt_f64_i32_e32 v[0:1], v0
.LBB168_726:
	s_mov_b64 s[0:1], 0
.LBB168_727:
	s_andn2_b64 vcc, exec, s[0:1]
	s_cbranch_vccnz .LBB168_733
; %bb.728:
	s_cmp_gt_i32 s34, 0
	s_cbranch_scc0 .LBB168_730
; %bb.729:
	global_load_sbyte v0, v[4:5], off
	s_mov_b64 s[0:1], 0
	s_waitcnt vmcnt(0)
	v_cvt_f64_i32_e32 v[0:1], v0
	s_branch .LBB168_731
.LBB168_730:
	s_mov_b64 s[0:1], -1
                                        ; implicit-def: $vgpr0_vgpr1
.LBB168_731:
	s_andn2_b64 vcc, exec, s[0:1]
	s_cbranch_vccnz .LBB168_733
; %bb.732:
	global_load_ubyte v0, v[4:5], off
	s_waitcnt vmcnt(0)
	v_cvt_f64_u32_e32 v[0:1], v0
.LBB168_733:
	s_waitcnt vmcnt(0)
	v_mov_b64_e32 v[2:3], 0
.LBB168_734:
	s_mov_b64 s[0:1], -1
.LBB168_735:
	s_andn2_b64 vcc, exec, s[0:1]
	s_cbranch_vccnz .LBB168_748
; %bb.736:
	s_waitcnt vmcnt(0)
	v_cmp_neq_f64_e32 vcc, 0, v[0:1]
	v_cmp_neq_f64_e64 s[0:1], 0, v[2:3]
	v_mov_b64_e32 v[8:9], 0
	s_or_b64 s[0:1], vcc, s[0:1]
	s_and_saveexec_b64 s[30:31], s[0:1]
	s_cbranch_execz .LBB168_767
; %bb.737:
	v_mov_b32_e32 v8, 0
	v_mov_b32_e32 v9, 0x7ff00000
	v_cmp_neq_f64_e64 s[0:1], |v[2:3]|, v[8:9]
	s_and_saveexec_b64 s[34:35], s[0:1]
	s_cbranch_execz .LBB168_766
; %bb.738:
	v_cmp_o_f64_e32 vcc, v[0:1], v[0:1]
                                        ; implicit-def: $vgpr8_vgpr9
	s_and_saveexec_b64 s[0:1], vcc
	s_xor_b64 s[36:37], exec, s[0:1]
	s_cbranch_execz .LBB168_763
; %bb.739:
	s_mov_b32 s0, 0
	s_mov_b32 s1, 0x7ff00000
	v_cmp_neq_f64_e64 s[0:1], |v[0:1]|, s[0:1]
                                        ; implicit-def: $vgpr8_vgpr9
	s_and_saveexec_b64 s[2:3], s[0:1]
	s_xor_b64 s[38:39], exec, s[2:3]
	s_cbranch_execz .LBB168_756
; %bb.740:
	v_max_f64 v[4:5], |v[2:3]|, |v[2:3]|
	v_max_f64 v[6:7], |v[0:1]|, |v[0:1]|
	s_mov_b32 s0, 0x99fcef32
	v_max_f64 v[4:5], v[6:7], v[4:5]
	s_mov_b32 s1, 0x7fda8279
	v_cmp_nle_f64_e64 s[0:1], s[0:1], v[4:5]
                                        ; implicit-def: $sgpr40_sgpr41
	s_and_saveexec_b64 s[2:3], s[0:1]
	s_xor_b64 s[2:3], exec, s[2:3]
	s_cbranch_execz .LBB168_744
; %bb.741:
	s_mov_b32 s40, 0
	s_mov_b32 s41, 0x200000
	v_cmp_le_f64_e64 s[42:43], |v[0:1]|, s[40:41]
	v_cmp_le_f64_e64 s[40:41], |v[2:3]|, s[40:41]
	s_and_b64 s[46:47], s[42:43], s[40:41]
	s_mov_b64 s[40:41], 0
	s_and_saveexec_b64 s[42:43], s[46:47]
; %bb.742:
	s_mov_b64 s[40:41], exec
	v_mul_f64 v[2:3], v[2:3], 4.0
	v_mul_f64 v[0:1], v[0:1], 4.0
; %bb.743:
	s_or_b64 exec, exec, s[42:43]
.LBB168_744:
	s_andn2_saveexec_b64 s[2:3], s[2:3]
; %bb.745:
	v_ldexp_f64 v[0:1], v[0:1], -2
	v_ldexp_f64 v[2:3], v[2:3], -2
	s_andn2_b64 s[40:41], s[40:41], exec
; %bb.746:
	s_or_b64 exec, exec, s[2:3]
	v_max_f64 v[4:5], |v[2:3]|, |v[2:3]|
	v_max_f64 v[6:7], |v[0:1]|, |v[0:1]|
	v_max_f64 v[4:5], v[6:7], v[4:5]
	v_frexp_exp_i32_f64_e32 v12, v[4:5]
	v_sub_u32_e32 v6, 0, v12
	v_ldexp_f64 v[4:5], |v[0:1]|, v6
	v_ldexp_f64 v[6:7], |v[2:3]|, v6
	v_mul_f64 v[6:7], v[6:7], v[6:7]
	v_fmac_f64_e32 v[6:7], v[4:5], v[4:5]
	v_rsq_f64_e32 v[4:5], v[6:7]
	v_cmp_eq_f64_e64 s[2:3], 0, v[6:7]
	s_movk_i32 s42, 0x204
	v_cmp_le_f64_e32 vcc, 0, v[0:1]
	v_mul_f64 v[8:9], v[6:7], v[4:5]
	v_mul_f64 v[4:5], v[4:5], 0.5
	v_fma_f64 v[10:11], -v[4:5], v[8:9], 0.5
	v_fmac_f64_e32 v[8:9], v[8:9], v[10:11]
	v_fmac_f64_e32 v[4:5], v[4:5], v[10:11]
	v_fma_f64 v[10:11], -v[8:9], v[8:9], v[6:7]
	v_fmac_f64_e32 v[8:9], v[10:11], v[4:5]
	v_cndmask_b32_e64 v5, v9, v7, s[2:3]
	v_cndmask_b32_e64 v4, v8, v6, s[2:3]
	v_ldexp_f64 v[4:5], v[4:5], v12
	v_cmp_o_f64_e64 s[2:3], v[2:3], v[2:3]
	v_mov_b32_e32 v6, 0x7ff80000
	s_nop 0
	v_cndmask_b32_e64 v4, 0, v4, s[2:3]
	v_cndmask_b32_e64 v5, v6, v5, s[2:3]
	v_cmp_class_f64_e64 s[2:3], v[0:1], s42
	v_cmp_class_f64_e64 s[42:43], v[2:3], s42
	v_mov_b32_e32 v6, 0x7ff00000
	s_or_b64 s[2:3], s[42:43], s[2:3]
	v_cndmask_b32_e64 v9, v5, v6, s[2:3]
	v_cndmask_b32_e64 v8, v4, 0, s[2:3]
                                        ; implicit-def: $vgpr4_vgpr5
                                        ; implicit-def: $vgpr6_vgpr7
	s_and_saveexec_b64 s[2:3], vcc
	s_xor_b64 s[2:3], exec, s[2:3]
	s_cbranch_execz .LBB168_749
; %bb.747:
	v_add_f64 v[0:1], v[0:1], v[8:9]
	s_mov_b32 s42, 0
	v_mul_f64 v[0:1], v[0:1], 0.5
	s_brev_b32 s43, 8
	v_mov_b32_e32 v4, 0x100
	v_cmp_gt_f64_e32 vcc, s[42:43], v[0:1]
	s_nop 1
	v_cndmask_b32_e32 v4, 0, v4, vcc
	v_ldexp_f64 v[0:1], v[0:1], v4
	v_rsq_f64_e32 v[4:5], v[0:1]
	s_nop 0
	v_mul_f64 v[6:7], v[0:1], v[4:5]
	v_mul_f64 v[4:5], v[4:5], 0.5
	v_fma_f64 v[8:9], -v[4:5], v[6:7], 0.5
	v_fmac_f64_e32 v[6:7], v[6:7], v[8:9]
	v_fma_f64 v[10:11], -v[6:7], v[6:7], v[0:1]
	v_fmac_f64_e32 v[4:5], v[4:5], v[8:9]
	v_fmac_f64_e32 v[6:7], v[10:11], v[4:5]
	v_fma_f64 v[8:9], -v[6:7], v[6:7], v[0:1]
	v_fmac_f64_e32 v[6:7], v[8:9], v[4:5]
	v_mov_b32_e32 v4, 0xffffff80
	v_cndmask_b32_e32 v4, 0, v4, vcc
	v_ldexp_f64 v[4:5], v[6:7], v4
	v_mov_b32_e32 v6, 0x260
	v_cmp_class_f64_e32 vcc, v[0:1], v6
	s_nop 1
	v_cndmask_b32_e32 v7, v5, v1, vcc
	v_cndmask_b32_e32 v6, v4, v0, vcc
	v_add_f64 v[0:1], v[6:7], v[6:7]
	v_div_scale_f64 v[4:5], s[42:43], v[0:1], v[0:1], v[2:3]
	v_rcp_f64_e32 v[8:9], v[4:5]
	s_nop 0
	v_fma_f64 v[10:11], -v[4:5], v[8:9], 1.0
	v_fmac_f64_e32 v[8:9], v[8:9], v[10:11]
	v_fma_f64 v[10:11], -v[4:5], v[8:9], 1.0
	v_fmac_f64_e32 v[8:9], v[8:9], v[10:11]
	v_div_scale_f64 v[10:11], vcc, v[2:3], v[0:1], v[2:3]
	v_mul_f64 v[12:13], v[10:11], v[8:9]
	v_fma_f64 v[4:5], -v[4:5], v[12:13], v[10:11]
	s_nop 1
	v_div_fmas_f64 v[4:5], v[4:5], v[8:9], v[12:13]
	v_div_fixup_f64 v[4:5], v[4:5], v[0:1], v[2:3]
                                        ; implicit-def: $vgpr8_vgpr9
                                        ; implicit-def: $vgpr0_vgpr1
	s_andn2_saveexec_b64 s[2:3], s[2:3]
	s_cbranch_execz .LBB168_751
	s_branch .LBB168_750
.LBB168_748:
	s_mov_b64 s[30:31], 0
                                        ; implicit-def: $vgpr24
	s_mov_b64 s[2:3], s[22:23]
	s_branch .LBB168_898
.LBB168_749:
	s_andn2_saveexec_b64 s[2:3], s[2:3]
	s_cbranch_execz .LBB168_751
.LBB168_750:
	v_add_f64 v[0:1], v[8:9], -v[0:1]
	s_mov_b32 s42, 0
	v_mul_f64 v[0:1], v[0:1], 0.5
	s_brev_b32 s43, 8
	v_mov_b32_e32 v4, 0x100
	v_cmp_gt_f64_e32 vcc, s[42:43], v[0:1]
	s_nop 1
	v_cndmask_b32_e32 v4, 0, v4, vcc
	v_ldexp_f64 v[0:1], v[0:1], v4
	v_rsq_f64_e32 v[4:5], v[0:1]
	s_nop 0
	v_mul_f64 v[6:7], v[0:1], v[4:5]
	v_mul_f64 v[4:5], v[4:5], 0.5
	v_fma_f64 v[8:9], -v[4:5], v[6:7], 0.5
	v_fmac_f64_e32 v[6:7], v[6:7], v[8:9]
	v_fma_f64 v[10:11], -v[6:7], v[6:7], v[0:1]
	v_fmac_f64_e32 v[4:5], v[4:5], v[8:9]
	v_fmac_f64_e32 v[6:7], v[10:11], v[4:5]
	v_fma_f64 v[8:9], -v[6:7], v[6:7], v[0:1]
	v_fmac_f64_e32 v[6:7], v[8:9], v[4:5]
	v_mov_b32_e32 v4, 0xffffff80
	v_cndmask_b32_e32 v4, 0, v4, vcc
	v_ldexp_f64 v[4:5], v[6:7], v4
	v_mov_b32_e32 v6, 0x260
	v_cmp_class_f64_e32 vcc, v[0:1], v6
	v_and_b32_e32 v7, 0x7fffffff, v3
	v_mov_b32_e32 v6, v2
	v_cndmask_b32_e32 v5, v5, v1, vcc
	v_cndmask_b32_e32 v4, v4, v0, vcc
	v_add_f64 v[0:1], v[4:5], v[4:5]
	v_div_scale_f64 v[8:9], s[42:43], v[0:1], v[0:1], v[6:7]
	v_rcp_f64_e32 v[10:11], v[8:9]
	v_div_scale_f64 v[6:7], vcc, v[6:7], v[0:1], v[6:7]
	s_brev_b32 s42, -2
	v_fma_f64 v[12:13], -v[8:9], v[10:11], 1.0
	v_fmac_f64_e32 v[10:11], v[10:11], v[12:13]
	v_fma_f64 v[12:13], -v[8:9], v[10:11], 1.0
	v_fmac_f64_e32 v[10:11], v[10:11], v[12:13]
	v_mul_f64 v[12:13], v[6:7], v[10:11]
	v_fma_f64 v[6:7], -v[8:9], v[12:13], v[6:7]
	v_div_fmas_f64 v[6:7], v[6:7], v[10:11], v[12:13]
	v_div_fixup_f64 v[6:7], v[6:7], v[0:1], |v[2:3]|
	v_bfi_b32 v5, s42, v5, v3
.LBB168_751:
	s_or_b64 exec, exec, s[2:3]
                                        ; implicit-def: $vgpr2_vgpr3
                                        ; implicit-def: $vgpr8_vgpr9
	s_and_saveexec_b64 s[2:3], s[0:1]
	s_xor_b64 s[0:1], exec, s[2:3]
	s_cbranch_execz .LBB168_753
; %bb.752:
	v_mul_f64 v[0:1], v[6:7], 0.5
	v_mul_f64 v[2:3], v[4:5], 0.5
	v_cndmask_b32_e64 v9, v7, v1, s[40:41]
	v_cndmask_b32_e64 v8, v6, v0, s[40:41]
	;; [unrolled: 1-line block ×4, first 2 shown]
                                        ; implicit-def: $vgpr6_vgpr7
                                        ; implicit-def: $vgpr4_vgpr5
	s_andn2_saveexec_b64 s[0:1], s[0:1]
	s_cbranch_execnz .LBB168_754
	s_branch .LBB168_755
.LBB168_753:
	s_andn2_saveexec_b64 s[0:1], s[0:1]
.LBB168_754:
	v_add_f64 v[8:9], v[6:7], v[6:7]
	v_add_f64 v[2:3], v[4:5], v[4:5]
.LBB168_755:
	s_or_b64 exec, exec, s[0:1]
.LBB168_756:
	s_andn2_saveexec_b64 s[0:1], s[38:39]
	s_cbranch_execz .LBB168_762
; %bb.757:
	v_add_f64 v[4:5], v[2:3], -v[2:3]
	v_cmp_lt_i64_e32 vcc, -1, v[0:1]
	s_brev_b32 s38, -2
	v_and_b32_e32 v9, 0x7fffffff, v5
	v_mov_b32_e32 v8, v4
	s_and_saveexec_b64 s[2:3], vcc
	s_xor_b64 s[2:3], exec, s[2:3]
; %bb.758:
	v_bfi_b32 v5, s38, v5, v3
	v_mov_b64_e32 v[2:3], v[4:5]
	v_mov_b64_e32 v[8:9], v[0:1]
; %bb.759:
	s_andn2_saveexec_b64 s[2:3], s[2:3]
; %bb.760:
	v_bfi_b32 v1, s38, v1, v3
	v_mov_b64_e32 v[2:3], v[0:1]
; %bb.761:
	s_or_b64 exec, exec, s[2:3]
.LBB168_762:
	s_or_b64 exec, exec, s[0:1]
.LBB168_763:
	s_andn2_saveexec_b64 s[0:1], s[36:37]
	s_cbranch_execz .LBB168_765
; %bb.764:
	v_add_f64 v[2:3], v[2:3], -v[2:3]
	v_div_scale_f64 v[4:5], vcc, v[2:3], v[2:3], v[2:3]
	v_rcp_f64_e32 v[6:7], v[4:5]
	s_nop 0
	v_fma_f64 v[8:9], -v[4:5], v[6:7], 1.0
	v_fmac_f64_e32 v[6:7], v[6:7], v[8:9]
	v_fma_f64 v[8:9], -v[4:5], v[6:7], 1.0
	v_fmac_f64_e32 v[6:7], v[6:7], v[8:9]
	v_mul_f64 v[8:9], v[4:5], v[6:7]
	v_fma_f64 v[4:5], -v[4:5], v[8:9], v[4:5]
	v_div_fmas_f64 v[4:5], v[4:5], v[6:7], v[8:9]
	v_div_fixup_f64 v[2:3], v[4:5], v[2:3], v[2:3]
	v_mov_b64_e32 v[8:9], v[0:1]
.LBB168_765:
	s_or_b64 exec, exec, s[0:1]
.LBB168_766:
	s_or_b64 exec, exec, s[34:35]
.LBB168_767:
	s_or_b64 exec, exec, s[30:31]
	v_xor_b32_e32 v0, 0x80000000, v9
	v_cmp_gt_f64_e32 vcc, 0, v[8:9]
	v_mov_b32_e32 v10, v8
                                        ; implicit-def: $vgpr6_vgpr7
	s_nop 0
	v_cndmask_b32_e32 v11, v9, v0, vcc
	v_xor_b32_e32 v0, 0x80000000, v3
	v_cmp_gt_f64_e32 vcc, 0, v[2:3]
	s_nop 1
	v_cndmask_b32_e32 v1, v3, v0, vcc
	v_mov_b32_e32 v0, v2
	v_cmp_ge_f64_e32 vcc, v[10:11], v[0:1]
	s_and_saveexec_b64 s[0:1], vcc
	s_xor_b64 s[2:3], exec, s[0:1]
	s_cbranch_execz .LBB168_773
; %bb.768:
	v_cmp_neq_f64_e32 vcc, 0, v[8:9]
	v_cmp_neq_f64_e64 s[0:1], 0, v[2:3]
	s_or_b64 s[0:1], vcc, s[0:1]
                                        ; implicit-def: $vgpr6_vgpr7
	s_and_saveexec_b64 s[30:31], s[0:1]
	s_xor_b64 s[0:1], exec, s[30:31]
	s_cbranch_execz .LBB168_770
; %bb.769:
	v_div_scale_f64 v[0:1], s[30:31], v[8:9], v[8:9], v[2:3]
	v_rcp_f64_e32 v[4:5], v[0:1]
	v_div_scale_f64 v[6:7], vcc, v[2:3], v[8:9], v[2:3]
	v_fma_f64 v[10:11], -v[0:1], v[4:5], 1.0
	v_fmac_f64_e32 v[4:5], v[4:5], v[10:11]
	v_fma_f64 v[10:11], -v[0:1], v[4:5], 1.0
	v_fmac_f64_e32 v[4:5], v[4:5], v[10:11]
	v_mul_f64 v[10:11], v[6:7], v[4:5]
	v_fma_f64 v[0:1], -v[0:1], v[10:11], v[6:7]
	v_div_fmas_f64 v[0:1], v[0:1], v[4:5], v[10:11]
	v_div_fixup_f64 v[0:1], v[0:1], v[8:9], v[2:3]
	v_fmac_f64_e32 v[8:9], v[2:3], v[0:1]
	v_div_scale_f64 v[2:3], s[30:31], v[8:9], v[8:9], 1.0
	v_rcp_f64_e32 v[4:5], v[2:3]
	s_nop 0
	v_fma_f64 v[6:7], -v[2:3], v[4:5], 1.0
	v_fmac_f64_e32 v[4:5], v[4:5], v[6:7]
	v_fma_f64 v[6:7], -v[2:3], v[4:5], 1.0
	v_fmac_f64_e32 v[4:5], v[4:5], v[6:7]
	v_div_scale_f64 v[6:7], vcc, 1.0, v[8:9], 1.0
	v_mul_f64 v[10:11], v[6:7], v[4:5]
	v_fma_f64 v[2:3], -v[2:3], v[10:11], v[6:7]
	s_nop 1
	v_div_fmas_f64 v[2:3], v[2:3], v[4:5], v[10:11]
	v_div_fixup_f64 v[2:3], v[2:3], v[8:9], 1.0
	v_fma_f64 v[4:5], v[0:1], 0, 1.0
	v_add_f64 v[0:1], -v[0:1], 0
	v_mul_f64 v[4:5], v[4:5], v[2:3]
	v_mul_f64 v[6:7], v[0:1], v[2:3]
                                        ; implicit-def: $vgpr10_vgpr11
                                        ; implicit-def: $vgpr0_vgpr1
.LBB168_770:
	s_andn2_saveexec_b64 s[0:1], s[0:1]
	s_cbranch_execz .LBB168_772
; %bb.771:
	v_div_scale_f64 v[2:3], s[30:31], v[10:11], v[10:11], 1.0
	v_rcp_f64_e32 v[4:5], v[2:3]
	v_div_scale_f64 v[6:7], vcc, 1.0, v[10:11], 1.0
	v_fma_f64 v[8:9], -v[2:3], v[4:5], 1.0
	v_fmac_f64_e32 v[4:5], v[4:5], v[8:9]
	v_fma_f64 v[8:9], -v[2:3], v[4:5], 1.0
	v_fmac_f64_e32 v[4:5], v[4:5], v[8:9]
	v_mul_f64 v[8:9], v[6:7], v[4:5]
	v_fma_f64 v[2:3], -v[2:3], v[8:9], v[6:7]
	v_div_scale_f64 v[6:7], s[30:31], v[0:1], v[0:1], 0
	v_rcp_f64_e32 v[12:13], v[6:7]
	v_div_fmas_f64 v[2:3], v[2:3], v[4:5], v[8:9]
	v_div_fixup_f64 v[4:5], v[2:3], v[10:11], 1.0
	v_fma_f64 v[2:3], -v[6:7], v[12:13], 1.0
	v_fmac_f64_e32 v[12:13], v[12:13], v[2:3]
	v_fma_f64 v[2:3], -v[6:7], v[12:13], 1.0
	v_fmac_f64_e32 v[12:13], v[12:13], v[2:3]
	v_div_scale_f64 v[2:3], vcc, 0, v[0:1], 0
	v_mul_f64 v[8:9], v[2:3], v[12:13]
	v_fma_f64 v[2:3], -v[6:7], v[8:9], v[2:3]
	s_nop 1
	v_div_fmas_f64 v[2:3], v[2:3], v[12:13], v[8:9]
	v_div_fixup_f64 v[6:7], v[2:3], v[0:1], 0
.LBB168_772:
	s_or_b64 exec, exec, s[0:1]
                                        ; implicit-def: $vgpr2_vgpr3
                                        ; implicit-def: $vgpr8_vgpr9
.LBB168_773:
	s_andn2_saveexec_b64 s[0:1], s[2:3]
	s_cbranch_execz .LBB168_775
; %bb.774:
	v_div_scale_f64 v[0:1], s[2:3], v[2:3], v[2:3], v[8:9]
	v_rcp_f64_e32 v[4:5], v[0:1]
	v_div_scale_f64 v[6:7], vcc, v[8:9], v[2:3], v[8:9]
	v_fma_f64 v[10:11], -v[0:1], v[4:5], 1.0
	v_fmac_f64_e32 v[4:5], v[4:5], v[10:11]
	v_fma_f64 v[10:11], -v[0:1], v[4:5], 1.0
	v_fmac_f64_e32 v[4:5], v[4:5], v[10:11]
	v_mul_f64 v[10:11], v[6:7], v[4:5]
	v_fma_f64 v[0:1], -v[0:1], v[10:11], v[6:7]
	v_div_fmas_f64 v[0:1], v[0:1], v[4:5], v[10:11]
	v_div_fixup_f64 v[0:1], v[0:1], v[2:3], v[8:9]
	v_fmac_f64_e32 v[2:3], v[8:9], v[0:1]
	v_div_scale_f64 v[4:5], s[2:3], v[2:3], v[2:3], 1.0
	v_rcp_f64_e32 v[6:7], v[4:5]
	s_nop 0
	v_fma_f64 v[8:9], -v[4:5], v[6:7], 1.0
	v_fmac_f64_e32 v[6:7], v[6:7], v[8:9]
	v_fma_f64 v[8:9], -v[4:5], v[6:7], 1.0
	v_fmac_f64_e32 v[6:7], v[6:7], v[8:9]
	v_div_scale_f64 v[8:9], vcc, 1.0, v[2:3], 1.0
	v_mul_f64 v[10:11], v[8:9], v[6:7]
	v_fma_f64 v[4:5], -v[4:5], v[10:11], v[8:9]
	s_nop 1
	v_div_fmas_f64 v[4:5], v[4:5], v[6:7], v[10:11]
	v_div_fixup_f64 v[2:3], v[4:5], v[2:3], 1.0
	v_add_f64 v[4:5], v[0:1], 0
	v_fma_f64 v[0:1], v[0:1], 0, -1.0
	v_mul_f64 v[4:5], v[4:5], v[2:3]
	v_mul_f64 v[6:7], v[0:1], v[2:3]
.LBB168_775:
	s_or_b64 exec, exec, s[0:1]
	v_mul_lo_u32 v0, v24, s8
	v_ashrrev_i32_e32 v1, 31, v0
	s_and_b32 s36, s33, 0xff
	s_cmp_lt_i32 s36, 11
	v_lshl_add_u64 v[0:1], s[4:5], 0, v[0:1]
	s_cbranch_scc1 .LBB168_782
; %bb.776:
	s_and_b32 s37, 0xffff, s36
	s_cmp_gt_i32 s37, 25
	s_cbranch_scc0 .LBB168_783
; %bb.777:
	s_cmp_gt_i32 s37, 28
	s_cbranch_scc0 .LBB168_784
; %bb.778:
	;; [unrolled: 3-line block ×4, first 2 shown]
	s_mov_b64 s[30:31], 0
	s_mov_b64 s[2:3], -1
	s_cmp_eq_u32 s37, 46
	s_mov_b64 s[0:1], 0
	s_cbranch_scc0 .LBB168_787
; %bb.781:
	v_cvt_f32_f64_e32 v3, v[6:7]
	s_movk_i32 s0, 0x7fff
	v_bfe_u32 v9, v3, 16, 1
	v_cvt_f32_f64_e32 v2, v[4:5]
	v_add3_u32 v9, v3, v9, s0
	v_bfe_u32 v8, v2, 16, 1
	v_and_b32_e32 v9, 0xffff0000, v9
	v_mov_b32_e32 v10, 0x7fc00000
	v_cmp_o_f32_e32 vcc, v3, v3
	v_add3_u32 v8, v2, v8, s0
	s_mov_b64 s[0:1], -1
	v_cndmask_b32_e32 v3, v10, v9, vcc
	v_cmp_o_f32_e32 vcc, v2, v2
	v_mov_b32_e32 v2, 0x7fc0
	s_mov_b64 s[2:3], 0
	v_cndmask_b32_sdwa v2, v2, v8, vcc dst_sel:DWORD dst_unused:UNUSED_PAD src0_sel:DWORD src1_sel:WORD_1
	v_or_b32_e32 v2, v3, v2
	global_store_dword v[0:1], v2, off
	s_branch .LBB168_787
.LBB168_782:
	s_mov_b64 s[30:31], -1
	s_mov_b64 s[0:1], 0
	s_mov_b64 s[2:3], s[22:23]
	s_branch .LBB168_856
.LBB168_783:
	s_mov_b64 s[30:31], -1
	s_mov_b64 s[0:1], 0
	s_mov_b64 s[2:3], s[22:23]
	s_branch .LBB168_814
.LBB168_784:
	s_mov_b64 s[30:31], -1
	s_mov_b64 s[0:1], 0
	s_mov_b64 s[2:3], s[22:23]
	s_branch .LBB168_797
.LBB168_785:
	s_mov_b64 s[30:31], -1
	s_mov_b64 s[0:1], 0
	s_mov_b64 s[2:3], s[22:23]
	s_branch .LBB168_793
.LBB168_786:
	s_mov_b64 s[30:31], -1
	s_mov_b64 s[0:1], 0
	s_mov_b64 s[2:3], s[22:23]
.LBB168_787:
	s_and_b64 vcc, exec, s[30:31]
	s_cbranch_vccz .LBB168_792
; %bb.788:
	s_cmp_eq_u32 s37, 44
	s_mov_b64 s[2:3], -1
	s_cbranch_scc0 .LBB168_792
; %bb.789:
	v_cvt_f32_f64_e32 v2, v[4:5]
	v_bfe_u32 v3, v2, 23, 8
	s_movk_i32 s0, 0xff
	v_cmp_ne_u32_e32 vcc, s0, v3
	v_mov_b32_e32 v8, 0xff
	s_and_saveexec_b64 s[2:3], vcc
; %bb.790:
	s_mov_b32 s0, 0x3fffff
	v_lshrrev_b32_e32 v8, 23, v2
	v_and_b32_e32 v9, 0x400000, v2
	v_and_or_b32 v2, v2, s0, v3
	v_cmp_ne_u32_e32 vcc, 0, v9
	v_cmp_ne_u32_e64 s[0:1], 0, v2
	s_and_b64 s[0:1], vcc, s[0:1]
	s_nop 0
	v_cndmask_b32_e64 v2, 0, 1, s[0:1]
	v_add_u32_e32 v8, v8, v2
; %bb.791:
	s_or_b64 exec, exec, s[2:3]
	s_mov_b64 s[0:1], -1
	s_mov_b64 s[2:3], 0
	global_store_byte v[0:1], v8, off
.LBB168_792:
	s_mov_b64 s[30:31], 0
.LBB168_793:
	s_and_b64 vcc, exec, s[30:31]
	s_cbranch_vccz .LBB168_796
; %bb.794:
	s_cmp_eq_u32 s37, 29
	s_mov_b64 s[2:3], -1
	s_cbranch_scc0 .LBB168_796
; %bb.795:
	v_trunc_f64_e32 v[2:3], v[4:5]
	s_movk_i32 s0, 0xffe0
	v_ldexp_f64 v[8:9], v[2:3], s0
	v_floor_f64_e32 v[8:9], v[8:9]
	v_fmac_f64_e32 v[2:3], 0xc1f00000, v[8:9]
	v_cvt_u32_f64_e32 v11, v[8:9]
	v_cvt_u32_f64_e32 v10, v[2:3]
	global_store_dwordx2 v[0:1], v[10:11], off
	s_mov_b64 s[0:1], -1
	s_mov_b64 s[2:3], 0
.LBB168_796:
	s_mov_b64 s[30:31], 0
.LBB168_797:
	s_and_b64 vcc, exec, s[30:31]
	s_cbranch_vccz .LBB168_813
; %bb.798:
	s_cmp_lt_i32 s37, 27
	s_mov_b64 s[0:1], -1
	s_cbranch_scc1 .LBB168_804
; %bb.799:
	s_cmp_gt_i32 s37, 27
	v_cvt_u32_f64_e32 v2, v[4:5]
	s_cbranch_scc0 .LBB168_801
; %bb.800:
	s_mov_b64 s[0:1], 0
	global_store_dword v[0:1], v2, off
.LBB168_801:
	s_andn2_b64 vcc, exec, s[0:1]
	s_cbranch_vccnz .LBB168_803
; %bb.802:
	global_store_short v[0:1], v2, off
.LBB168_803:
	s_mov_b64 s[0:1], 0
.LBB168_804:
	s_andn2_b64 vcc, exec, s[0:1]
	s_cbranch_vccnz .LBB168_812
; %bb.805:
	v_cvt_f32_f64_e32 v2, v[4:5]
	v_and_b32_e32 v3, 0x7fffffff, v2
	s_mov_b32 s0, 0x43800000
	v_cmp_gt_u32_e32 vcc, s0, v3
	v_mov_b32_e32 v8, 0x80
	s_and_saveexec_b64 s[0:1], vcc
	s_cbranch_execz .LBB168_811
; %bb.806:
	s_mov_b32 s30, 0x3bffffff
	v_cmp_lt_u32_e32 vcc, s30, v3
	s_mov_b64 s[30:31], 0
                                        ; implicit-def: $vgpr3
	s_and_saveexec_b64 s[34:35], vcc
	s_xor_b64 s[34:35], exec, s[34:35]
	s_cbranch_execz .LBB168_912
; %bb.807:
	v_bfe_u32 v3, v2, 20, 1
	s_mov_b32 s38, 0x487ffff
	v_add3_u32 v3, v2, v3, s38
	s_mov_b64 s[30:31], exec
	v_lshrrev_b32_e32 v3, 20, v3
	s_andn2_saveexec_b64 s[34:35], s[34:35]
	s_cbranch_execnz .LBB168_913
.LBB168_808:
	s_or_b64 exec, exec, s[34:35]
	v_mov_b32_e32 v8, 0
	s_and_saveexec_b64 s[34:35], s[30:31]
.LBB168_809:
	v_lshrrev_b32_e32 v2, 24, v2
	s_movk_i32 s30, 0x80
	v_and_or_b32 v8, v2, s30, v3
.LBB168_810:
	s_or_b64 exec, exec, s[34:35]
.LBB168_811:
	s_or_b64 exec, exec, s[0:1]
	global_store_byte v[0:1], v8, off
.LBB168_812:
	s_mov_b64 s[0:1], -1
.LBB168_813:
	s_mov_b64 s[30:31], 0
.LBB168_814:
	s_and_b64 vcc, exec, s[30:31]
	s_cbranch_vccz .LBB168_855
; %bb.815:
	s_cmp_gt_i32 s37, 22
	s_mov_b64 s[30:31], -1
	s_cbranch_scc0 .LBB168_847
; %bb.816:
	s_cmp_lt_i32 s37, 24
	s_mov_b64 s[0:1], -1
	s_cbranch_scc1 .LBB168_836
; %bb.817:
	s_cmp_gt_i32 s37, 24
	s_cbranch_scc0 .LBB168_825
; %bb.818:
	v_cvt_f32_f64_e32 v2, v[4:5]
	v_and_b32_e32 v3, 0x7fffffff, v2
	s_mov_b32 s0, 0x47800000
	v_cmp_gt_u32_e32 vcc, s0, v3
	v_mov_b32_e32 v8, 0x80
	s_and_saveexec_b64 s[0:1], vcc
	s_cbranch_execz .LBB168_824
; %bb.819:
	s_mov_b32 s30, 0x37ffffff
	v_cmp_lt_u32_e32 vcc, s30, v3
	s_mov_b64 s[30:31], 0
                                        ; implicit-def: $vgpr3
	s_and_saveexec_b64 s[34:35], vcc
	s_xor_b64 s[34:35], exec, s[34:35]
	s_cbranch_execz .LBB168_915
; %bb.820:
	v_bfe_u32 v3, v2, 21, 1
	s_mov_b32 s38, 0x88fffff
	v_add3_u32 v3, v2, v3, s38
	s_mov_b64 s[30:31], exec
	v_lshrrev_b32_e32 v3, 21, v3
	s_andn2_saveexec_b64 s[34:35], s[34:35]
	s_cbranch_execnz .LBB168_916
.LBB168_821:
	s_or_b64 exec, exec, s[34:35]
	v_mov_b32_e32 v8, 0
	s_and_saveexec_b64 s[34:35], s[30:31]
.LBB168_822:
	v_lshrrev_b32_e32 v2, 24, v2
	s_movk_i32 s30, 0x80
	v_and_or_b32 v8, v2, s30, v3
.LBB168_823:
	s_or_b64 exec, exec, s[34:35]
.LBB168_824:
	s_or_b64 exec, exec, s[0:1]
	s_mov_b64 s[0:1], 0
	global_store_byte v[0:1], v8, off
.LBB168_825:
	s_and_b64 vcc, exec, s[0:1]
	s_cbranch_vccz .LBB168_835
; %bb.826:
	v_cvt_f32_f64_e32 v2, v[4:5]
	v_and_b32_e32 v8, 0x7fffffff, v2
	s_mov_b32 s0, 0x43f00000
	v_cmp_gt_u32_e32 vcc, s0, v8
                                        ; implicit-def: $vgpr3
	s_and_saveexec_b64 s[0:1], vcc
	s_xor_b64 s[0:1], exec, s[0:1]
	s_cbranch_execz .LBB168_832
; %bb.827:
	s_mov_b32 s30, 0x3c7fffff
	v_cmp_lt_u32_e32 vcc, s30, v8
                                        ; implicit-def: $vgpr3
	s_and_saveexec_b64 s[30:31], vcc
	s_xor_b64 s[30:31], exec, s[30:31]
; %bb.828:
	v_bfe_u32 v3, v2, 20, 1
	s_mov_b32 s34, 0x407ffff
	v_add3_u32 v3, v2, v3, s34
	v_lshrrev_b32_e32 v8, 20, v3
	v_and_b32_e32 v3, 0xff00000, v3
	s_mov_b32 s34, 0x7f00000
	v_mov_b32_e32 v9, 0x7e
	v_cmp_ne_u32_e32 vcc, s34, v3
	s_nop 1
	v_cndmask_b32_e32 v3, v9, v8, vcc
; %bb.829:
	s_andn2_saveexec_b64 s[30:31], s[30:31]
; %bb.830:
	s_mov_b32 s34, 0x46800000
	v_add_f32_e64 v3, |v2|, s34
; %bb.831:
	s_or_b64 exec, exec, s[30:31]
                                        ; implicit-def: $vgpr8
.LBB168_832:
	s_andn2_saveexec_b64 s[0:1], s[0:1]
; %bb.833:
	s_mov_b32 s30, 0x7f800000
	v_mov_b32_e32 v3, 0x7e
	v_mov_b32_e32 v9, 0x7f
	v_cmp_lt_u32_e32 vcc, s30, v8
	s_nop 1
	v_cndmask_b32_e32 v3, v3, v9, vcc
; %bb.834:
	s_or_b64 exec, exec, s[0:1]
	v_lshrrev_b32_e32 v2, 24, v2
	s_movk_i32 s0, 0x80
	v_and_or_b32 v2, v2, s0, v3
	global_store_byte v[0:1], v2, off
.LBB168_835:
	s_mov_b64 s[0:1], 0
.LBB168_836:
	s_andn2_b64 vcc, exec, s[0:1]
	s_cbranch_vccnz .LBB168_846
; %bb.837:
	v_cvt_f32_f64_e32 v2, v[4:5]
	v_and_b32_e32 v8, 0x7fffffff, v2
	s_mov_b32 s0, 0x47800000
	v_cmp_gt_u32_e32 vcc, s0, v8
                                        ; implicit-def: $vgpr3
	s_and_saveexec_b64 s[0:1], vcc
	s_xor_b64 s[0:1], exec, s[0:1]
	s_cbranch_execz .LBB168_843
; %bb.838:
	s_mov_b32 s30, 0x387fffff
	v_cmp_lt_u32_e32 vcc, s30, v8
                                        ; implicit-def: $vgpr3
	s_and_saveexec_b64 s[30:31], vcc
	s_xor_b64 s[30:31], exec, s[30:31]
; %bb.839:
	v_bfe_u32 v3, v2, 21, 1
	s_mov_b32 s34, 0x80fffff
	v_add3_u32 v3, v2, v3, s34
	v_lshrrev_b32_e32 v3, 21, v3
; %bb.840:
	s_andn2_saveexec_b64 s[30:31], s[30:31]
; %bb.841:
	s_mov_b32 s34, 0x43000000
	v_add_f32_e64 v3, |v2|, s34
; %bb.842:
	s_or_b64 exec, exec, s[30:31]
                                        ; implicit-def: $vgpr8
.LBB168_843:
	s_andn2_saveexec_b64 s[0:1], s[0:1]
; %bb.844:
	s_mov_b32 s30, 0x7f800000
	v_mov_b32_e32 v3, 0x7c
	v_mov_b32_e32 v9, 0x7f
	v_cmp_lt_u32_e32 vcc, s30, v8
	s_nop 1
	v_cndmask_b32_e32 v3, v3, v9, vcc
; %bb.845:
	s_or_b64 exec, exec, s[0:1]
	v_lshrrev_b32_e32 v2, 24, v2
	s_movk_i32 s0, 0x80
	v_and_or_b32 v2, v2, s0, v3
	global_store_byte v[0:1], v2, off
.LBB168_846:
	s_mov_b64 s[30:31], 0
	s_mov_b64 s[0:1], -1
.LBB168_847:
	s_andn2_b64 vcc, exec, s[30:31]
	s_cbranch_vccnz .LBB168_855
; %bb.848:
	s_cmp_gt_i32 s37, 14
	s_mov_b64 s[30:31], -1
	s_cbranch_scc0 .LBB168_852
; %bb.849:
	s_cmp_eq_u32 s37, 15
	s_mov_b64 s[2:3], -1
	s_cbranch_scc0 .LBB168_851
; %bb.850:
	v_cvt_f32_f64_e32 v2, v[4:5]
	v_bfe_u32 v3, v2, 16, 1
	s_movk_i32 s0, 0x7fff
	v_add3_u32 v3, v2, v3, s0
	v_cmp_o_f32_e32 vcc, v2, v2
	v_mov_b32_e32 v2, 0x7fc0
	s_mov_b64 s[0:1], -1
	v_cndmask_b32_sdwa v2, v2, v3, vcc dst_sel:DWORD dst_unused:UNUSED_PAD src0_sel:DWORD src1_sel:WORD_1
	global_store_short v[0:1], v2, off
	s_mov_b64 s[2:3], 0
.LBB168_851:
	s_mov_b64 s[30:31], 0
.LBB168_852:
	s_and_b64 vcc, exec, s[30:31]
	s_cbranch_vccz .LBB168_855
; %bb.853:
	s_cmp_eq_u32 s37, 11
	s_mov_b64 s[2:3], -1
	s_cbranch_scc0 .LBB168_855
; %bb.854:
	v_cmp_neq_f64_e32 vcc, 0, v[4:5]
	v_cmp_neq_f64_e64 s[0:1], 0, v[6:7]
	s_or_b64 s[0:1], vcc, s[0:1]
	s_mov_b64 s[2:3], 0
	v_cndmask_b32_e64 v2, 0, 1, s[0:1]
	s_mov_b64 s[0:1], -1
	global_store_byte v[0:1], v2, off
.LBB168_855:
	s_mov_b64 s[30:31], 0
.LBB168_856:
	s_and_b64 vcc, exec, s[30:31]
	s_cbranch_vccz .LBB168_895
; %bb.857:
	s_and_b32 s30, 0xffff, s36
	s_cmp_lt_i32 s30, 5
	s_mov_b64 s[0:1], -1
	s_cbranch_scc1 .LBB168_878
; %bb.858:
	s_cmp_lt_i32 s30, 8
	s_cbranch_scc1 .LBB168_868
; %bb.859:
	s_cmp_lt_i32 s30, 9
	s_cbranch_scc1 .LBB168_865
; %bb.860:
	s_cmp_gt_i32 s30, 9
	s_cbranch_scc0 .LBB168_862
; %bb.861:
	s_mov_b64 s[0:1], 0
	global_store_dwordx4 v[0:1], v[4:7], off
.LBB168_862:
	s_andn2_b64 vcc, exec, s[0:1]
	s_cbranch_vccnz .LBB168_864
; %bb.863:
	v_cvt_f32_f64_e32 v2, v[4:5]
	v_cvt_f32_f64_e32 v3, v[6:7]
	global_store_dwordx2 v[0:1], v[2:3], off
.LBB168_864:
	s_mov_b64 s[0:1], 0
.LBB168_865:
	s_andn2_b64 vcc, exec, s[0:1]
	s_cbranch_vccnz .LBB168_867
; %bb.866:
	s_movk_i32 s0, 0x1ff
	v_and_or_b32 v2, v5, s0, v4
	v_cmp_ne_u32_e32 vcc, 0, v2
	v_lshrrev_b32_e32 v3, 8, v5
	s_movk_i32 s1, 0xffe
	v_cndmask_b32_e64 v2, 0, 1, vcc
	v_bfe_u32 v8, v5, 20, 11
	v_and_or_b32 v2, v3, s1, v2
	v_sub_u32_e32 v9, 0x3f1, v8
	v_or_b32_e32 v3, 0x1000, v2
	v_med3_i32 v9, v9, 0, 13
	v_lshrrev_b32_e32 v10, v9, v3
	v_lshlrev_b32_e32 v9, v9, v10
	v_cmp_ne_u32_e32 vcc, v9, v3
	v_add_u32_e32 v8, 0xfffffc10, v8
	v_lshl_or_b32 v9, v8, 12, v2
	v_cndmask_b32_e64 v3, 0, 1, vcc
	v_or_b32_e32 v3, v10, v3
	v_cmp_gt_i32_e32 vcc, 1, v8
	s_movk_i32 s31, 0x40f
	v_and_or_b32 v6, v7, s0, v6
	v_cndmask_b32_e32 v3, v9, v3, vcc
	v_and_b32_e32 v9, 7, v3
	v_cmp_lt_i32_e32 vcc, 5, v9
	v_lshrrev_b32_e32 v3, 2, v3
	v_bfe_u32 v11, v7, 20, 11
	v_cndmask_b32_e64 v10, 0, 1, vcc
	v_cmp_eq_u32_e32 vcc, 3, v9
	v_sub_u32_e32 v12, 0x3f1, v11
	v_med3_i32 v12, v12, 0, 13
	v_cndmask_b32_e64 v9, 0, 1, vcc
	v_or_b32_e32 v9, v9, v10
	v_add_u32_e32 v3, v3, v9
	v_mov_b32_e32 v9, 0x7c00
	v_cmp_gt_i32_e32 vcc, 31, v8
	v_mov_b32_e32 v10, 0x7e00
	v_add_u32_e32 v11, 0xfffffc10, v11
	v_cndmask_b32_e32 v3, v9, v3, vcc
	v_cmp_ne_u32_e32 vcc, 0, v2
	s_mov_b32 s34, 0x8000
	s_mov_b32 s0, 0xffff
	v_cndmask_b32_e32 v2, v9, v10, vcc
	v_cmp_eq_u32_e32 vcc, s31, v8
	v_lshrrev_b32_e32 v8, 8, v7
	v_lshrrev_b32_e32 v7, 16, v7
	v_cndmask_b32_e32 v2, v3, v2, vcc
	v_cmp_ne_u32_e32 vcc, 0, v6
	v_and_b32_sdwa v3, v5, s34 dst_sel:DWORD dst_unused:UNUSED_PAD src0_sel:WORD_1 src1_sel:DWORD
	v_bitop3_b32 v2, v3, s0, v2 bitop3:0xc8
	v_cndmask_b32_e64 v6, 0, 1, vcc
	v_and_or_b32 v6, v8, s1, v6
	v_or_b32_e32 v8, 0x1000, v6
	v_lshrrev_b32_e32 v13, v12, v8
	v_lshlrev_b32_e32 v12, v12, v13
	v_cmp_ne_u32_e32 vcc, v12, v8
	v_lshl_or_b32 v12, v11, 12, v6
	s_nop 0
	v_cndmask_b32_e64 v8, 0, 1, vcc
	v_or_b32_e32 v8, v13, v8
	v_cmp_gt_i32_e32 vcc, 1, v11
	s_nop 1
	v_cndmask_b32_e32 v8, v12, v8, vcc
	v_and_b32_e32 v12, 7, v8
	v_cmp_lt_i32_e32 vcc, 5, v12
	v_lshrrev_b32_e32 v8, 2, v8
	s_nop 0
	v_cndmask_b32_e64 v13, 0, 1, vcc
	v_cmp_eq_u32_e32 vcc, 3, v12
	s_nop 1
	v_cndmask_b32_e64 v12, 0, 1, vcc
	v_or_b32_e32 v12, v12, v13
	v_add_u32_e32 v8, v8, v12
	v_cmp_gt_i32_e32 vcc, 31, v11
	s_nop 1
	v_cndmask_b32_e32 v8, v9, v8, vcc
	v_cmp_ne_u32_e32 vcc, 0, v6
	s_nop 1
	v_cndmask_b32_e32 v6, v9, v10, vcc
	v_cmp_eq_u32_e32 vcc, s31, v11
	s_nop 1
	v_cndmask_b32_e32 v6, v8, v6, vcc
	v_and_or_b32 v6, v7, s34, v6
	v_lshl_or_b32 v2, v6, 16, v2
	global_store_dword v[0:1], v2, off
.LBB168_867:
	s_mov_b64 s[0:1], 0
.LBB168_868:
	s_andn2_b64 vcc, exec, s[0:1]
	s_cbranch_vccnz .LBB168_877
; %bb.869:
	s_cmp_lt_i32 s30, 6
	s_mov_b64 s[0:1], -1
	s_cbranch_scc1 .LBB168_875
; %bb.870:
	s_cmp_gt_i32 s30, 6
	s_cbranch_scc0 .LBB168_872
; %bb.871:
	s_mov_b64 s[0:1], 0
	global_store_dwordx2 v[0:1], v[4:5], off
.LBB168_872:
	s_andn2_b64 vcc, exec, s[0:1]
	s_cbranch_vccnz .LBB168_874
; %bb.873:
	v_cvt_f32_f64_e32 v2, v[4:5]
	global_store_dword v[0:1], v2, off
.LBB168_874:
	s_mov_b64 s[0:1], 0
.LBB168_875:
	s_andn2_b64 vcc, exec, s[0:1]
	s_cbranch_vccnz .LBB168_877
; %bb.876:
	s_movk_i32 s0, 0x1ff
	v_and_or_b32 v2, v5, s0, v4
	v_cmp_ne_u32_e32 vcc, 0, v2
	v_lshrrev_b32_e32 v3, 8, v5
	s_movk_i32 s0, 0xffe
	v_cndmask_b32_e64 v2, 0, 1, vcc
	v_bfe_u32 v6, v5, 20, 11
	v_and_or_b32 v2, v3, s0, v2
	v_sub_u32_e32 v7, 0x3f1, v6
	v_or_b32_e32 v3, 0x1000, v2
	v_med3_i32 v7, v7, 0, 13
	v_lshrrev_b32_e32 v8, v7, v3
	v_lshlrev_b32_e32 v7, v7, v8
	v_cmp_ne_u32_e32 vcc, v7, v3
	v_add_u32_e32 v6, 0xfffffc10, v6
	v_lshl_or_b32 v7, v6, 12, v2
	v_cndmask_b32_e64 v3, 0, 1, vcc
	v_or_b32_e32 v3, v8, v3
	v_cmp_gt_i32_e32 vcc, 1, v6
	s_movk_i32 s0, 0x40f
	s_nop 0
	v_cndmask_b32_e32 v3, v7, v3, vcc
	v_and_b32_e32 v7, 7, v3
	v_cmp_lt_i32_e32 vcc, 5, v7
	v_lshrrev_b32_e32 v3, 2, v3
	s_nop 0
	v_cndmask_b32_e64 v8, 0, 1, vcc
	v_cmp_eq_u32_e32 vcc, 3, v7
	s_nop 1
	v_cndmask_b32_e64 v7, 0, 1, vcc
	v_or_b32_e32 v7, v7, v8
	v_add_u32_e32 v3, v3, v7
	v_mov_b32_e32 v7, 0x7c00
	v_cmp_gt_i32_e32 vcc, 31, v6
	v_mov_b32_e32 v8, 0x7e00
	s_nop 0
	v_cndmask_b32_e32 v3, v7, v3, vcc
	v_cmp_ne_u32_e32 vcc, 0, v2
	s_nop 1
	v_cndmask_b32_e32 v2, v7, v8, vcc
	v_cmp_eq_u32_e32 vcc, s0, v6
	s_mov_b32 s0, 0x8000
	s_nop 0
	v_cndmask_b32_e32 v2, v3, v2, vcc
	v_lshrrev_b32_e32 v3, 16, v5
	v_and_or_b32 v2, v3, s0, v2
	global_store_short v[0:1], v2, off
.LBB168_877:
	s_mov_b64 s[0:1], 0
.LBB168_878:
	s_andn2_b64 vcc, exec, s[0:1]
	s_cbranch_vccnz .LBB168_894
; %bb.879:
	s_cmp_lt_i32 s30, 2
	s_mov_b64 s[0:1], -1
	s_cbranch_scc1 .LBB168_889
; %bb.880:
	s_cmp_lt_i32 s30, 3
	s_cbranch_scc1 .LBB168_886
; %bb.881:
	s_cmp_gt_i32 s30, 3
	s_cbranch_scc0 .LBB168_883
; %bb.882:
	v_trunc_f64_e32 v[2:3], v[4:5]
	s_movk_i32 s0, 0xffe0
	v_ldexp_f64 v[6:7], v[2:3], s0
	v_floor_f64_e32 v[6:7], v[6:7]
	v_fmac_f64_e32 v[2:3], 0xc1f00000, v[6:7]
	v_cvt_i32_f64_e32 v9, v[6:7]
	v_cvt_u32_f64_e32 v8, v[2:3]
	s_mov_b64 s[0:1], 0
	global_store_dwordx2 v[0:1], v[8:9], off
.LBB168_883:
	s_andn2_b64 vcc, exec, s[0:1]
	s_cbranch_vccnz .LBB168_885
; %bb.884:
	v_cvt_i32_f64_e32 v2, v[4:5]
	global_store_dword v[0:1], v2, off
.LBB168_885:
	s_mov_b64 s[0:1], 0
.LBB168_886:
	s_andn2_b64 vcc, exec, s[0:1]
	s_cbranch_vccnz .LBB168_888
; %bb.887:
	v_cvt_i32_f64_e32 v2, v[4:5]
	global_store_short v[0:1], v2, off
.LBB168_888:
	s_mov_b64 s[0:1], 0
.LBB168_889:
	s_andn2_b64 vcc, exec, s[0:1]
	s_cbranch_vccnz .LBB168_894
; %bb.890:
	s_cmp_gt_i32 s30, 0
	s_mov_b64 s[0:1], -1
	s_cbranch_scc0 .LBB168_892
; %bb.891:
	v_cvt_i32_f64_e32 v2, v[4:5]
	s_mov_b64 s[0:1], 0
	global_store_byte v[0:1], v2, off
.LBB168_892:
	s_andn2_b64 vcc, exec, s[0:1]
	s_cbranch_vccnz .LBB168_894
; %bb.893:
	v_trunc_f64_e32 v[2:3], v[4:5]
	s_movk_i32 s0, 0xffe0
	v_ldexp_f64 v[4:5], v[2:3], s0
	v_floor_f64_e32 v[4:5], v[4:5]
	v_fmac_f64_e32 v[2:3], 0xc1f00000, v[4:5]
	v_cvt_u32_f64_e32 v2, v[2:3]
	global_store_byte v[0:1], v2, off
.LBB168_894:
	s_mov_b64 s[0:1], -1
.LBB168_895:
	s_andn2_b64 vcc, exec, s[0:1]
	s_cbranch_vccnz .LBB168_897
; %bb.896:
	v_add_u32_e32 v24, 0x80, v24
	s_mov_b64 s[30:31], -1
	s_branch .LBB168_898
.LBB168_897:
	s_mov_b64 s[30:31], 0
                                        ; implicit-def: $vgpr24
.LBB168_898:
	s_andn2_b64 s[0:1], s[22:23], exec
	s_and_b64 s[2:3], s[2:3], exec
	s_or_b64 s[2:3], s[0:1], s[2:3]
	s_andn2_b64 s[0:1], s[20:21], exec
	s_and_b64 s[28:29], s[28:29], exec
	s_or_b64 s[0:1], s[0:1], s[28:29]
	s_orn2_b64 s[34:35], s[30:31], exec
.LBB168_899:
	s_or_b64 exec, exec, s[26:27]
	s_mov_b64 s[30:31], 0
	s_mov_b64 s[36:37], 0
	;; [unrolled: 1-line block ×3, first 2 shown]
                                        ; implicit-def: $vgpr4_vgpr5
                                        ; implicit-def: $vgpr2_vgpr3
	s_and_saveexec_b64 s[26:27], s[34:35]
	s_cbranch_execz .LBB168_987
; %bb.900:
	v_cmp_gt_i32_e32 vcc, s45, v24
	s_mov_b64 s[34:35], 0
	s_mov_b64 s[38:39], s[0:1]
	;; [unrolled: 1-line block ×3, first 2 shown]
                                        ; implicit-def: $vgpr4_vgpr5
                                        ; implicit-def: $vgpr2_vgpr3
	s_and_saveexec_b64 s[28:29], vcc
	s_cbranch_execz .LBB168_986
; %bb.901:
	s_waitcnt vmcnt(0)
	v_mul_lo_u32 v0, v24, s9
	v_ashrrev_i32_e32 v1, 31, v0
	s_and_b32 s42, 0xffff, s44
	s_cmp_lt_i32 s42, 11
	v_lshl_add_u64 v[4:5], s[6:7], 0, v[0:1]
	s_cbranch_scc1 .LBB168_908
; %bb.902:
	s_cmp_gt_i32 s42, 25
	s_cbranch_scc0 .LBB168_909
; %bb.903:
	s_cmp_gt_i32 s42, 28
	s_cbranch_scc0 .LBB168_910
	;; [unrolled: 3-line block ×4, first 2 shown]
; %bb.906:
	s_cmp_eq_u32 s42, 46
	s_mov_b64 s[38:39], 0
	s_cbranch_scc0 .LBB168_917
; %bb.907:
	global_load_dword v0, v[4:5], off
	s_mov_b64 s[36:37], -1
	s_waitcnt vmcnt(0)
	v_and_b32_e32 v2, 0xffff0000, v0
	v_lshlrev_b32_e32 v0, 16, v0
	v_cvt_f64_f32_e32 v[0:1], v0
	v_cvt_f64_f32_e32 v[2:3], v2
	s_branch .LBB168_919
.LBB168_908:
	s_mov_b64 s[38:39], -1
                                        ; implicit-def: $vgpr2_vgpr3
	s_mov_b64 s[30:31], s[0:1]
	s_branch .LBB168_985
.LBB168_909:
	s_mov_b64 s[38:39], -1
	s_mov_b64 s[30:31], s[0:1]
                                        ; implicit-def: $vgpr2_vgpr3
	s_branch .LBB168_952
.LBB168_910:
	s_mov_b64 s[38:39], -1
	s_mov_b64 s[30:31], s[0:1]
                                        ; implicit-def: $vgpr2_vgpr3
	s_branch .LBB168_931
.LBB168_911:
	s_mov_b64 s[38:39], -1
	s_mov_b64 s[30:31], s[0:1]
                                        ; implicit-def: $vgpr2_vgpr3
	s_branch .LBB168_925
.LBB168_912:
	s_andn2_saveexec_b64 s[34:35], s[34:35]
	s_cbranch_execz .LBB168_808
.LBB168_913:
	s_mov_b32 s38, 0x46000000
	v_add_f32_e64 v3, |v2|, s38
	v_and_b32_e32 v3, 0xff, v3
	v_cmp_ne_u32_e32 vcc, 0, v3
	s_andn2_b64 s[30:31], s[30:31], exec
	s_and_b64 s[38:39], vcc, exec
	s_or_b64 s[30:31], s[30:31], s[38:39]
	s_or_b64 exec, exec, s[34:35]
	v_mov_b32_e32 v8, 0
	s_and_saveexec_b64 s[34:35], s[30:31]
	s_cbranch_execnz .LBB168_809
	s_branch .LBB168_810
.LBB168_914:
	s_mov_b64 s[38:39], -1
	s_mov_b64 s[30:31], s[0:1]
	s_branch .LBB168_918
.LBB168_915:
	s_andn2_saveexec_b64 s[34:35], s[34:35]
	s_cbranch_execz .LBB168_821
.LBB168_916:
	s_mov_b32 s38, 0x42800000
	v_add_f32_e64 v3, |v2|, s38
	v_and_b32_e32 v3, 0xff, v3
	v_cmp_ne_u32_e32 vcc, 0, v3
	s_andn2_b64 s[30:31], s[30:31], exec
	s_and_b64 s[38:39], vcc, exec
	s_or_b64 s[30:31], s[30:31], s[38:39]
	s_or_b64 exec, exec, s[34:35]
	v_mov_b32_e32 v8, 0
	s_and_saveexec_b64 s[34:35], s[30:31]
	s_cbranch_execnz .LBB168_822
	s_branch .LBB168_823
.LBB168_917:
	s_mov_b64 s[30:31], -1
.LBB168_918:
                                        ; implicit-def: $vgpr2_vgpr3
.LBB168_919:
	s_and_b64 vcc, exec, s[38:39]
	s_cbranch_vccz .LBB168_924
; %bb.920:
	s_cmp_eq_u32 s42, 44
	s_cbranch_scc0 .LBB168_922
; %bb.921:
	global_load_ubyte v2, v[4:5], off
	s_movk_i32 s36, 0xff
	v_bfrev_b32_e32 v3, 4
	v_mov_b32_e32 v6, 0x7ff80000
	v_bfrev_b32_e32 v7, 28
	s_mov_b64 s[30:31], 0
	s_waitcnt vmcnt(0)
	v_lshlrev_b32_e32 v0, 23, v2
	v_cvt_f64_f32_e32 v[0:1], v0
	v_cmp_ne_u32_e32 vcc, s36, v2
	s_mov_b64 s[36:37], -1
	s_nop 0
	v_cndmask_b32_e32 v0, v3, v0, vcc
	v_cndmask_b32_e32 v1, v6, v1, vcc
	v_cmp_ne_u32_e32 vcc, 0, v2
	s_nop 1
	v_cndmask_b32_e32 v1, v7, v1, vcc
	v_cndmask_b32_e32 v0, 0, v0, vcc
	s_branch .LBB168_923
.LBB168_922:
	s_mov_b64 s[30:31], -1
                                        ; implicit-def: $vgpr0_vgpr1
.LBB168_923:
	v_mov_b64_e32 v[2:3], 0
.LBB168_924:
	s_mov_b64 s[38:39], 0
.LBB168_925:
	s_and_b64 vcc, exec, s[38:39]
	s_cbranch_vccz .LBB168_930
; %bb.926:
	s_cmp_eq_u32 s42, 29
	s_cbranch_scc0 .LBB168_928
; %bb.927:
	global_load_dwordx2 v[0:1], v[4:5], off
	s_mov_b64 s[30:31], 0
	s_mov_b64 s[36:37], -1
	s_waitcnt vmcnt(0)
	v_cvt_f64_u32_e32 v[2:3], v1
	v_cvt_f64_u32_e32 v[0:1], v0
	v_ldexp_f64 v[2:3], v[2:3], 32
	v_add_f64 v[0:1], v[2:3], v[0:1]
	s_branch .LBB168_929
.LBB168_928:
	s_mov_b64 s[30:31], -1
                                        ; implicit-def: $vgpr0_vgpr1
.LBB168_929:
	v_mov_b64_e32 v[2:3], 0
.LBB168_930:
	s_mov_b64 s[38:39], 0
.LBB168_931:
	s_and_b64 vcc, exec, s[38:39]
	s_cbranch_vccz .LBB168_951
; %bb.932:
	s_cmp_lt_i32 s42, 27
	s_cbranch_scc1 .LBB168_935
; %bb.933:
	s_cmp_gt_i32 s42, 27
	s_cbranch_scc0 .LBB168_936
; %bb.934:
	global_load_dword v0, v[4:5], off
	s_mov_b64 s[36:37], 0
	s_waitcnt vmcnt(0)
	v_cvt_f64_u32_e32 v[0:1], v0
	s_branch .LBB168_937
.LBB168_935:
	s_mov_b64 s[36:37], -1
                                        ; implicit-def: $vgpr0_vgpr1
	s_branch .LBB168_940
.LBB168_936:
	s_mov_b64 s[36:37], -1
                                        ; implicit-def: $vgpr0_vgpr1
.LBB168_937:
	s_andn2_b64 vcc, exec, s[36:37]
	s_cbranch_vccnz .LBB168_939
; %bb.938:
	global_load_ushort v0, v[4:5], off
	s_waitcnt vmcnt(0)
	v_cvt_f64_u32_e32 v[0:1], v0
.LBB168_939:
	s_mov_b64 s[36:37], 0
.LBB168_940:
	s_andn2_b64 vcc, exec, s[36:37]
	s_cbranch_vccnz .LBB168_950
; %bb.941:
	global_load_ubyte v2, v[4:5], off
	s_movk_i32 s36, 0x7f
	s_waitcnt vmcnt(0)
	v_cmp_lt_i16_e32 vcc, s36, v2
	s_mov_b64 s[36:37], 0
	s_and_saveexec_b64 s[38:39], vcc
	s_xor_b64 s[38:39], exec, s[38:39]
	s_cbranch_execz .LBB168_945
; %bb.942:
	s_movk_i32 s36, 0x80
	v_cmp_eq_u16_e32 vcc, s36, v2
	s_mov_b64 s[36:37], -1
	s_and_saveexec_b64 s[40:41], vcc
; %bb.943:
	s_xor_b64 s[36:37], exec, -1
; %bb.944:
	s_or_b64 exec, exec, s[40:41]
	s_and_b64 s[36:37], s[36:37], exec
.LBB168_945:
	s_or_saveexec_b64 s[38:39], s[38:39]
	v_bfrev_b32_e32 v0, 4
	v_mov_b32_e32 v1, 0x7ff80000
	s_xor_b64 exec, exec, s[38:39]
; %bb.946:
	v_cmp_ne_u16_e32 vcc, 0, v2
	s_andn2_b64 s[36:37], s[36:37], exec
	s_and_b64 s[40:41], vcc, exec
	v_mov_b64_e32 v[0:1], 0
	s_or_b64 s[36:37], s[36:37], s[40:41]
; %bb.947:
	s_or_b64 exec, exec, s[38:39]
	s_and_saveexec_b64 s[38:39], s[36:37]
	s_cbranch_execz .LBB168_949
; %bb.948:
	v_and_b32_e32 v1, 0xffff, v2
	v_lshlrev_b32_e32 v0, 24, v2
	v_and_b32_e32 v2, 7, v1
	v_ffbh_u32_e32 v6, v2
	v_min_u32_e32 v6, 32, v6
	v_subrev_u32_e32 v7, 28, v6
	v_bfe_u32 v3, v1, 3, 4
	v_lshlrev_b32_e32 v1, v7, v1
	v_sub_u32_e32 v6, 29, v6
	v_and_b32_e32 v1, 7, v1
	v_cmp_eq_u32_e32 vcc, 0, v3
	v_and_b32_e32 v0, 0x80000000, v0
	s_nop 0
	v_cndmask_b32_e32 v3, v3, v6, vcc
	v_cndmask_b32_e32 v1, v2, v1, vcc
	v_mov_b32_e32 v2, 0x3b800000
	v_lshlrev_b32_e32 v1, 20, v1
	v_lshl_add_u32 v2, v3, 23, v2
	v_or3_b32 v0, v0, v2, v1
	v_cvt_f64_f32_e32 v[0:1], v0
.LBB168_949:
	s_or_b64 exec, exec, s[38:39]
.LBB168_950:
	s_mov_b64 s[36:37], -1
	v_mov_b64_e32 v[2:3], 0
.LBB168_951:
	s_mov_b64 s[38:39], 0
.LBB168_952:
	s_and_b64 vcc, exec, s[38:39]
	s_cbranch_vccz .LBB168_984
; %bb.953:
	s_cmp_gt_i32 s42, 22
	s_cbranch_scc0 .LBB168_965
; %bb.954:
	s_cmp_lt_i32 s42, 24
	s_cbranch_scc1 .LBB168_966
; %bb.955:
	s_cmp_gt_i32 s42, 24
	s_cbranch_scc0 .LBB168_967
; %bb.956:
	global_load_ubyte v2, v[4:5], off
	s_movk_i32 s34, 0x7f
	s_waitcnt vmcnt(0)
	v_cmp_lt_i16_e32 vcc, s34, v2
	s_mov_b64 s[34:35], 0
	s_and_saveexec_b64 s[36:37], vcc
	s_xor_b64 s[36:37], exec, s[36:37]
	s_cbranch_execz .LBB168_960
; %bb.957:
	s_movk_i32 s34, 0x80
	v_cmp_eq_u16_e32 vcc, s34, v2
	s_mov_b64 s[34:35], -1
	s_and_saveexec_b64 s[38:39], vcc
; %bb.958:
	s_xor_b64 s[34:35], exec, -1
; %bb.959:
	s_or_b64 exec, exec, s[38:39]
	s_and_b64 s[34:35], s[34:35], exec
.LBB168_960:
	s_or_saveexec_b64 s[36:37], s[36:37]
	v_bfrev_b32_e32 v0, 4
	v_mov_b32_e32 v1, 0x7ff80000
	s_xor_b64 exec, exec, s[36:37]
; %bb.961:
	v_cmp_ne_u16_e32 vcc, 0, v2
	s_andn2_b64 s[34:35], s[34:35], exec
	s_and_b64 s[38:39], vcc, exec
	v_mov_b64_e32 v[0:1], 0
	s_or_b64 s[34:35], s[34:35], s[38:39]
; %bb.962:
	s_or_b64 exec, exec, s[36:37]
	s_and_saveexec_b64 s[36:37], s[34:35]
	s_cbranch_execz .LBB168_964
; %bb.963:
	v_and_b32_e32 v1, 0xffff, v2
	v_lshlrev_b32_e32 v0, 24, v2
	v_and_b32_e32 v2, 3, v1
	v_ffbh_u32_e32 v6, v2
	v_min_u32_e32 v6, 32, v6
	v_subrev_u32_e32 v7, 29, v6
	v_bfe_u32 v3, v1, 2, 5
	v_lshlrev_b32_e32 v1, v7, v1
	v_sub_u32_e32 v6, 30, v6
	v_and_b32_e32 v1, 3, v1
	v_cmp_eq_u32_e32 vcc, 0, v3
	v_and_b32_e32 v0, 0x80000000, v0
	s_nop 0
	v_cndmask_b32_e32 v3, v3, v6, vcc
	v_cndmask_b32_e32 v1, v2, v1, vcc
	v_mov_b32_e32 v2, 0x37800000
	v_lshlrev_b32_e32 v1, 21, v1
	v_lshl_add_u32 v2, v3, 23, v2
	v_or3_b32 v0, v0, v2, v1
	v_cvt_f64_f32_e32 v[0:1], v0
.LBB168_964:
	s_or_b64 exec, exec, s[36:37]
	s_mov_b64 s[34:35], 0
	s_branch .LBB168_968
.LBB168_965:
	s_mov_b64 s[34:35], -1
                                        ; implicit-def: $vgpr0_vgpr1
	s_branch .LBB168_974
.LBB168_966:
	s_mov_b64 s[34:35], -1
                                        ; implicit-def: $vgpr0_vgpr1
	s_branch .LBB168_971
.LBB168_967:
	s_mov_b64 s[34:35], -1
                                        ; implicit-def: $vgpr0_vgpr1
.LBB168_968:
	s_and_b64 vcc, exec, s[34:35]
	s_cbranch_vccz .LBB168_970
; %bb.969:
	global_load_ubyte v0, v[4:5], off
	s_mov_b32 s34, 0x7f800000
	s_waitcnt vmcnt(0)
	v_lshlrev_b32_e32 v0, 24, v0
	v_and_b32_e32 v1, 0x7f000000, v0
	v_ffbh_u32_e32 v2, v1
	v_min_u32_e32 v2, 32, v2
	v_sub_u32_e64 v2, v2, 4 clamp
	v_lshlrev_b32_e32 v6, v2, v1
	v_lshlrev_b32_e32 v2, 23, v2
	v_lshrrev_b32_e32 v6, 4, v6
	v_add_u32_e32 v3, 0x1000000, v1
	v_sub_u32_e32 v2, v6, v2
	v_ashrrev_i32_e32 v3, 8, v3
	v_add_u32_e32 v2, 0x3c000000, v2
	v_and_or_b32 v2, v3, s34, v2
	v_cmp_ne_u32_e32 vcc, 0, v1
	s_brev_b32 s34, 1
	s_nop 0
	v_cndmask_b32_e32 v1, 0, v2, vcc
	v_and_or_b32 v0, v0, s34, v1
	v_cvt_f64_f32_e32 v[0:1], v0
.LBB168_970:
	s_mov_b64 s[34:35], 0
.LBB168_971:
	s_andn2_b64 vcc, exec, s[34:35]
	s_cbranch_vccnz .LBB168_973
; %bb.972:
	global_load_ubyte v0, v[4:5], off
	s_movk_i32 s34, 0x7f00
	s_brev_b32 s35, 16
	s_waitcnt vmcnt(0)
	v_lshlrev_b16_e32 v1, 8, v0
	v_lshlrev_b32_e32 v0, 25, v0
	v_lshrrev_b32_e32 v2, 4, v0
	v_and_or_b32 v3, v1, s34, 0.5
	v_or_b32_e32 v2, 0x70000000, v2
	v_add_f32_e32 v3, -0.5, v3
	v_mul_f32_e32 v2, 0x7800000, v2
	v_cmp_gt_u32_e32 vcc, s35, v0
	v_bfe_i32 v1, v1, 0, 16
	s_brev_b32 s34, 1
	v_cndmask_b32_e32 v0, v2, v3, vcc
	v_and_or_b32 v0, v1, s34, v0
	v_cvt_f64_f32_e32 v[0:1], v0
.LBB168_973:
	s_mov_b64 s[34:35], 0
	s_mov_b64 s[36:37], -1
.LBB168_974:
	s_andn2_b64 vcc, exec, s[34:35]
	s_mov_b64 s[34:35], 0
	s_cbranch_vccnz .LBB168_983
; %bb.975:
	s_cmp_gt_i32 s42, 14
	s_cbranch_scc0 .LBB168_978
; %bb.976:
	s_cmp_eq_u32 s42, 15
	s_cbranch_scc0 .LBB168_979
; %bb.977:
	global_load_ushort v0, v[4:5], off
	s_mov_b64 s[30:31], 0
	s_mov_b64 s[36:37], -1
	s_waitcnt vmcnt(0)
	v_lshlrev_b32_e32 v0, 16, v0
	v_cvt_f64_f32_e32 v[0:1], v0
	s_branch .LBB168_980
.LBB168_978:
	s_mov_b64 s[38:39], -1
                                        ; implicit-def: $vgpr0_vgpr1
	s_branch .LBB168_981
.LBB168_979:
	s_mov_b64 s[30:31], -1
                                        ; implicit-def: $vgpr0_vgpr1
.LBB168_980:
	s_mov_b64 s[38:39], 0
.LBB168_981:
	s_and_b64 vcc, exec, s[38:39]
	s_cbranch_vccz .LBB168_983
; %bb.982:
	s_cmp_lg_u32 s42, 11
	s_cselect_b64 s[38:39], -1, 0
	s_andn2_b64 s[30:31], s[30:31], exec
	s_and_b64 s[38:39], s[38:39], exec
	s_mov_b64 s[34:35], -1
	s_or_b64 s[30:31], s[30:31], s[38:39]
.LBB168_983:
	v_mov_b64_e32 v[2:3], 0
.LBB168_984:
	s_mov_b64 s[38:39], 0
.LBB168_985:
	s_and_b64 s[40:41], s[36:37], exec
	s_and_b64 s[36:37], s[38:39], exec
	s_andn2_b64 s[38:39], s[0:1], exec
	s_and_b64 s[30:31], s[30:31], exec
	s_and_b64 s[34:35], s[34:35], exec
	s_or_b64 s[38:39], s[38:39], s[30:31]
.LBB168_986:
	s_or_b64 exec, exec, s[28:29]
	s_and_b64 s[30:31], s[34:35], exec
	s_andn2_b64 s[0:1], s[0:1], exec
	s_and_b64 s[34:35], s[38:39], exec
	s_and_b64 s[28:29], s[40:41], exec
	;; [unrolled: 1-line block ×3, first 2 shown]
	s_or_b64 s[0:1], s[0:1], s[34:35]
.LBB168_987:
	s_or_b64 exec, exec, s[26:27]
	s_andn2_b64 s[22:23], s[22:23], exec
	s_and_b64 s[2:3], s[2:3], exec
	s_andn2_b64 s[20:21], s[20:21], exec
	s_and_b64 s[0:1], s[0:1], exec
	s_or_b64 s[22:23], s[22:23], s[2:3]
	s_and_b64 s[28:29], s[28:29], exec
	s_and_b64 s[26:27], s[36:37], exec
	;; [unrolled: 1-line block ×3, first 2 shown]
	s_or_b64 s[20:21], s[20:21], s[0:1]
.LBB168_988:
	s_or_b64 exec, exec, s[24:25]
	s_andn2_b64 s[0:1], s[14:15], exec
	s_and_b64 s[14:15], s[22:23], exec
	s_and_b64 s[22:23], s[2:3], exec
	s_andn2_b64 s[2:3], s[16:17], exec
	s_and_b64 s[16:17], s[20:21], exec
	s_or_b64 s[14:15], s[0:1], s[14:15]
	s_and_b64 s[0:1], s[28:29], exec
	s_and_b64 s[24:25], s[26:27], exec
	s_or_b64 s[16:17], s[2:3], s[16:17]
	s_or_b64 exec, exec, s[18:19]
	s_mov_b64 s[18:19], 0
	s_and_saveexec_b64 s[2:3], s[16:17]
	s_cbranch_execz .LBB168_303
.LBB168_989:
	s_mov_b64 s[18:19], exec
	s_andn2_b64 s[22:23], s[22:23], exec
	s_trap 2
	s_or_b64 exec, exec, s[2:3]
	s_and_saveexec_b64 s[2:3], s[22:23]
	s_xor_b64 s[2:3], exec, s[2:3]
	s_cbranch_execnz .LBB168_304
.LBB168_990:
	s_or_b64 exec, exec, s[2:3]
	s_and_saveexec_b64 s[2:3], s[24:25]
	s_cbranch_execz .LBB168_1038
.LBB168_991:
	s_sext_i32_i16 s16, s44
	s_cmp_lt_i32 s16, 5
	s_cbranch_scc1 .LBB168_996
; %bb.992:
	s_cmp_lt_i32 s16, 8
	s_cbranch_scc1 .LBB168_997
; %bb.993:
	s_cmp_lt_i32 s16, 9
	s_cbranch_scc1 .LBB168_998
; %bb.994:
	s_cmp_gt_i32 s16, 9
	s_cbranch_scc0 .LBB168_999
; %bb.995:
	global_load_dwordx4 v[0:3], v[4:5], off
	s_mov_b64 s[16:17], 0
	s_branch .LBB168_1000
.LBB168_996:
                                        ; implicit-def: $vgpr2_vgpr3
	s_branch .LBB168_1018
.LBB168_997:
                                        ; implicit-def: $vgpr2_vgpr3
	s_branch .LBB168_1006
.LBB168_998:
	s_mov_b64 s[16:17], -1
                                        ; implicit-def: $vgpr2_vgpr3
	s_branch .LBB168_1003
.LBB168_999:
	s_mov_b64 s[16:17], -1
                                        ; implicit-def: $vgpr2_vgpr3
.LBB168_1000:
	s_andn2_b64 vcc, exec, s[16:17]
	s_cbranch_vccnz .LBB168_1002
; %bb.1001:
	global_load_dwordx2 v[2:3], v[4:5], off
	s_waitcnt vmcnt(0)
	v_cvt_f64_f32_e32 v[0:1], v2
	v_cvt_f64_f32_e32 v[2:3], v3
.LBB168_1002:
	s_mov_b64 s[16:17], 0
.LBB168_1003:
	s_andn2_b64 vcc, exec, s[16:17]
	s_cbranch_vccnz .LBB168_1005
; %bb.1004:
	global_load_dword v0, v[4:5], off
	s_waitcnt vmcnt(0)
	v_cvt_f32_f16_e32 v1, v0
	v_cvt_f32_f16_sdwa v2, v0 dst_sel:DWORD dst_unused:UNUSED_PAD src0_sel:WORD_1
	v_cvt_f64_f32_e32 v[0:1], v1
	v_cvt_f64_f32_e32 v[2:3], v2
.LBB168_1005:
	s_cbranch_execnz .LBB168_1017
.LBB168_1006:
	s_sext_i32_i16 s16, s44
	s_cmp_lt_i32 s16, 6
	s_cbranch_scc1 .LBB168_1009
; %bb.1007:
	s_cmp_gt_i32 s16, 6
	s_cbranch_scc0 .LBB168_1010
; %bb.1008:
	global_load_dwordx2 v[0:1], v[4:5], off
	s_mov_b64 s[16:17], 0
	s_branch .LBB168_1011
.LBB168_1009:
	s_mov_b64 s[16:17], -1
                                        ; implicit-def: $vgpr0_vgpr1
	s_branch .LBB168_1014
.LBB168_1010:
	s_mov_b64 s[16:17], -1
                                        ; implicit-def: $vgpr0_vgpr1
.LBB168_1011:
	s_andn2_b64 vcc, exec, s[16:17]
	s_cbranch_vccnz .LBB168_1013
; %bb.1012:
	global_load_dword v0, v[4:5], off
	s_waitcnt vmcnt(0)
	v_cvt_f64_f32_e32 v[0:1], v0
.LBB168_1013:
	s_mov_b64 s[16:17], 0
.LBB168_1014:
	s_andn2_b64 vcc, exec, s[16:17]
	s_cbranch_vccnz .LBB168_1016
; %bb.1015:
	global_load_ushort v0, v[4:5], off
	s_waitcnt vmcnt(0)
	v_cvt_f32_f16_e32 v0, v0
	v_cvt_f64_f32_e32 v[0:1], v0
.LBB168_1016:
	s_waitcnt vmcnt(0)
	v_mov_b64_e32 v[2:3], 0
.LBB168_1017:
	s_cbranch_execnz .LBB168_1037
.LBB168_1018:
	s_sext_i32_i16 s16, s44
	s_cmp_lt_i32 s16, 2
	s_cbranch_scc1 .LBB168_1022
; %bb.1019:
	s_cmp_lt_i32 s16, 3
	s_cbranch_scc1 .LBB168_1023
; %bb.1020:
	s_cmp_gt_i32 s16, 3
	s_cbranch_scc0 .LBB168_1024
; %bb.1021:
	global_load_dwordx2 v[0:1], v[4:5], off
	s_mov_b64 s[16:17], 0
	s_waitcnt vmcnt(0)
	v_cvt_f64_i32_e32 v[2:3], v1
	v_cvt_f64_u32_e32 v[0:1], v0
	v_ldexp_f64 v[2:3], v[2:3], 32
	v_add_f64 v[0:1], v[2:3], v[0:1]
	s_branch .LBB168_1025
.LBB168_1022:
                                        ; implicit-def: $vgpr0_vgpr1
	s_branch .LBB168_1031
.LBB168_1023:
	s_mov_b64 s[16:17], -1
                                        ; implicit-def: $vgpr0_vgpr1
	s_branch .LBB168_1028
.LBB168_1024:
	s_mov_b64 s[16:17], -1
                                        ; implicit-def: $vgpr0_vgpr1
.LBB168_1025:
	s_andn2_b64 vcc, exec, s[16:17]
	s_cbranch_vccnz .LBB168_1027
; %bb.1026:
	global_load_dword v0, v[4:5], off
	s_waitcnt vmcnt(0)
	v_cvt_f64_i32_e32 v[0:1], v0
.LBB168_1027:
	s_mov_b64 s[16:17], 0
.LBB168_1028:
	s_andn2_b64 vcc, exec, s[16:17]
	s_cbranch_vccnz .LBB168_1030
; %bb.1029:
	global_load_sshort v0, v[4:5], off
	s_waitcnt vmcnt(0)
	v_cvt_f64_i32_e32 v[0:1], v0
.LBB168_1030:
	s_cbranch_execnz .LBB168_1036
.LBB168_1031:
	s_sext_i32_i16 s16, s44
	s_cmp_gt_i32 s16, 0
	s_cbranch_scc0 .LBB168_1033
; %bb.1032:
	global_load_sbyte v0, v[4:5], off
	s_mov_b64 s[16:17], 0
	s_waitcnt vmcnt(0)
	v_cvt_f64_i32_e32 v[0:1], v0
	s_branch .LBB168_1034
.LBB168_1033:
	s_mov_b64 s[16:17], -1
                                        ; implicit-def: $vgpr0_vgpr1
.LBB168_1034:
	s_andn2_b64 vcc, exec, s[16:17]
	s_cbranch_vccnz .LBB168_1036
; %bb.1035:
	global_load_ubyte v0, v[4:5], off
	s_waitcnt vmcnt(0)
	v_cvt_f64_u32_e32 v[0:1], v0
.LBB168_1036:
	s_waitcnt vmcnt(0)
	v_mov_b64_e32 v[2:3], 0
.LBB168_1037:
	s_or_b64 s[0:1], s[0:1], exec
.LBB168_1038:
	s_or_b64 exec, exec, s[2:3]
	s_mov_b64 s[20:21], 0
	s_mov_b64 s[2:3], 0
                                        ; implicit-def: $sgpr26
                                        ; implicit-def: $vgpr8_vgpr9
                                        ; implicit-def: $vgpr6_vgpr7
	s_and_saveexec_b64 s[16:17], s[0:1]
	s_cbranch_execz .LBB168_1051
; %bb.1039:
	s_waitcnt vmcnt(0)
	v_cmp_neq_f64_e32 vcc, 0, v[0:1]
	v_cmp_neq_f64_e64 s[0:1], 0, v[2:3]
	v_mov_b64_e32 v[8:9], 0
	s_or_b64 s[0:1], vcc, s[0:1]
	s_and_saveexec_b64 s[20:21], s[0:1]
	s_cbranch_execz .LBB168_1072
; %bb.1040:
	v_mov_b32_e32 v8, 0
	v_mov_b32_e32 v9, 0x7ff00000
	v_cmp_neq_f64_e64 s[0:1], |v[2:3]|, v[8:9]
	s_and_saveexec_b64 s[22:23], s[0:1]
	s_cbranch_execz .LBB168_1071
; %bb.1041:
	v_cmp_o_f64_e32 vcc, v[0:1], v[0:1]
                                        ; implicit-def: $vgpr8_vgpr9
	s_and_saveexec_b64 s[0:1], vcc
	s_xor_b64 s[24:25], exec, s[0:1]
	s_cbranch_execz .LBB168_1068
; %bb.1042:
	s_mov_b32 s0, 0
	s_mov_b32 s1, 0x7ff00000
	v_cmp_neq_f64_e64 s[0:1], |v[0:1]|, s[0:1]
                                        ; implicit-def: $vgpr8_vgpr9
	s_and_saveexec_b64 s[2:3], s[0:1]
	s_xor_b64 s[26:27], exec, s[2:3]
	s_cbranch_execz .LBB168_1061
; %bb.1043:
	v_max_f64 v[4:5], |v[2:3]|, |v[2:3]|
	v_max_f64 v[6:7], |v[0:1]|, |v[0:1]|
	s_mov_b32 s0, 0x99fcef32
	v_max_f64 v[4:5], v[6:7], v[4:5]
	s_mov_b32 s1, 0x7fda8279
	v_cmp_nle_f64_e64 s[0:1], s[0:1], v[4:5]
                                        ; implicit-def: $sgpr28_sgpr29
	s_and_saveexec_b64 s[2:3], s[0:1]
	s_xor_b64 s[2:3], exec, s[2:3]
	s_cbranch_execz .LBB168_1047
; %bb.1044:
	s_mov_b32 s28, 0
	s_mov_b32 s29, 0x200000
	v_cmp_le_f64_e64 s[30:31], |v[0:1]|, s[28:29]
	v_cmp_le_f64_e64 s[28:29], |v[2:3]|, s[28:29]
	s_and_b64 s[34:35], s[30:31], s[28:29]
	s_mov_b64 s[28:29], 0
	s_and_saveexec_b64 s[30:31], s[34:35]
; %bb.1045:
	s_mov_b64 s[28:29], exec
	v_mul_f64 v[2:3], v[2:3], 4.0
	v_mul_f64 v[0:1], v[0:1], 4.0
; %bb.1046:
	s_or_b64 exec, exec, s[30:31]
.LBB168_1047:
	s_andn2_saveexec_b64 s[2:3], s[2:3]
; %bb.1048:
	v_ldexp_f64 v[0:1], v[0:1], -2
	v_ldexp_f64 v[2:3], v[2:3], -2
	s_andn2_b64 s[28:29], s[28:29], exec
; %bb.1049:
	s_or_b64 exec, exec, s[2:3]
	v_max_f64 v[4:5], |v[2:3]|, |v[2:3]|
	v_max_f64 v[6:7], |v[0:1]|, |v[0:1]|
	v_max_f64 v[4:5], v[6:7], v[4:5]
	v_frexp_exp_i32_f64_e32 v12, v[4:5]
	v_sub_u32_e32 v6, 0, v12
	v_ldexp_f64 v[4:5], |v[0:1]|, v6
	v_ldexp_f64 v[6:7], |v[2:3]|, v6
	v_mul_f64 v[6:7], v[6:7], v[6:7]
	v_fmac_f64_e32 v[6:7], v[4:5], v[4:5]
	v_rsq_f64_e32 v[4:5], v[6:7]
	v_cmp_eq_f64_e64 s[2:3], 0, v[6:7]
	s_movk_i32 s30, 0x204
	v_cmp_le_f64_e32 vcc, 0, v[0:1]
	v_mul_f64 v[8:9], v[6:7], v[4:5]
	v_mul_f64 v[4:5], v[4:5], 0.5
	v_fma_f64 v[10:11], -v[4:5], v[8:9], 0.5
	v_fmac_f64_e32 v[8:9], v[8:9], v[10:11]
	v_fmac_f64_e32 v[4:5], v[4:5], v[10:11]
	v_fma_f64 v[10:11], -v[8:9], v[8:9], v[6:7]
	v_fmac_f64_e32 v[8:9], v[10:11], v[4:5]
	v_cndmask_b32_e64 v5, v9, v7, s[2:3]
	v_cndmask_b32_e64 v4, v8, v6, s[2:3]
	v_ldexp_f64 v[4:5], v[4:5], v12
	v_cmp_o_f64_e64 s[2:3], v[2:3], v[2:3]
	v_mov_b32_e32 v6, 0x7ff80000
	s_nop 0
	v_cndmask_b32_e64 v4, 0, v4, s[2:3]
	v_cndmask_b32_e64 v5, v6, v5, s[2:3]
	v_cmp_class_f64_e64 s[2:3], v[0:1], s30
	v_cmp_class_f64_e64 s[30:31], v[2:3], s30
	v_mov_b32_e32 v6, 0x7ff00000
	s_or_b64 s[2:3], s[30:31], s[2:3]
	v_cndmask_b32_e64 v9, v5, v6, s[2:3]
	v_cndmask_b32_e64 v8, v4, 0, s[2:3]
                                        ; implicit-def: $vgpr4_vgpr5
                                        ; implicit-def: $vgpr6_vgpr7
	s_and_saveexec_b64 s[2:3], vcc
	s_xor_b64 s[2:3], exec, s[2:3]
	s_cbranch_execz .LBB168_1054
; %bb.1050:
	v_add_f64 v[0:1], v[0:1], v[8:9]
	s_mov_b32 s30, 0
	v_mul_f64 v[0:1], v[0:1], 0.5
	s_brev_b32 s31, 8
	v_mov_b32_e32 v4, 0x100
	v_cmp_gt_f64_e32 vcc, s[30:31], v[0:1]
	s_nop 1
	v_cndmask_b32_e32 v4, 0, v4, vcc
	v_ldexp_f64 v[0:1], v[0:1], v4
	v_rsq_f64_e32 v[4:5], v[0:1]
	s_nop 0
	v_mul_f64 v[6:7], v[0:1], v[4:5]
	v_mul_f64 v[4:5], v[4:5], 0.5
	v_fma_f64 v[8:9], -v[4:5], v[6:7], 0.5
	v_fmac_f64_e32 v[6:7], v[6:7], v[8:9]
	v_fma_f64 v[10:11], -v[6:7], v[6:7], v[0:1]
	v_fmac_f64_e32 v[4:5], v[4:5], v[8:9]
	v_fmac_f64_e32 v[6:7], v[10:11], v[4:5]
	v_fma_f64 v[8:9], -v[6:7], v[6:7], v[0:1]
	v_fmac_f64_e32 v[6:7], v[8:9], v[4:5]
	v_mov_b32_e32 v4, 0xffffff80
	v_cndmask_b32_e32 v4, 0, v4, vcc
	v_ldexp_f64 v[4:5], v[6:7], v4
	v_mov_b32_e32 v6, 0x260
	v_cmp_class_f64_e32 vcc, v[0:1], v6
	s_nop 1
	v_cndmask_b32_e32 v7, v5, v1, vcc
	v_cndmask_b32_e32 v6, v4, v0, vcc
	v_add_f64 v[0:1], v[6:7], v[6:7]
	v_div_scale_f64 v[4:5], s[30:31], v[0:1], v[0:1], v[2:3]
	v_rcp_f64_e32 v[8:9], v[4:5]
	s_nop 0
	v_fma_f64 v[10:11], -v[4:5], v[8:9], 1.0
	v_fmac_f64_e32 v[8:9], v[8:9], v[10:11]
	v_fma_f64 v[10:11], -v[4:5], v[8:9], 1.0
	v_fmac_f64_e32 v[8:9], v[8:9], v[10:11]
	v_div_scale_f64 v[10:11], vcc, v[2:3], v[0:1], v[2:3]
	v_mul_f64 v[12:13], v[10:11], v[8:9]
	v_fma_f64 v[4:5], -v[4:5], v[12:13], v[10:11]
	s_nop 1
	v_div_fmas_f64 v[4:5], v[4:5], v[8:9], v[12:13]
	v_div_fixup_f64 v[4:5], v[4:5], v[0:1], v[2:3]
                                        ; implicit-def: $vgpr8_vgpr9
                                        ; implicit-def: $vgpr0_vgpr1
	s_andn2_saveexec_b64 s[2:3], s[2:3]
	s_cbranch_execz .LBB168_1056
	s_branch .LBB168_1055
.LBB168_1051:
	s_or_b64 exec, exec, s[16:17]
	s_and_saveexec_b64 s[0:1], s[14:15]
	s_cbranch_execnz .LBB168_1157
.LBB168_1052:
	s_or_b64 exec, exec, s[0:1]
	s_and_saveexec_b64 s[0:1], s[20:21]
	s_xor_b64 s[14:15], exec, s[0:1]
	s_cbranch_execz .LBB168_1158
.LBB168_1053:
	v_cmp_neq_f64_e32 vcc, 0, v[4:5]
	v_cmp_neq_f64_e64 s[0:1], 0, v[6:7]
	s_or_b64 s[0:1], vcc, s[0:1]
	s_waitcnt vmcnt(0)
	v_cndmask_b32_e64 v0, 0, 1, s[0:1]
	global_store_byte v[8:9], v0, off
	s_or_b64 exec, exec, s[14:15]
	s_and_saveexec_b64 s[0:1], s[2:3]
	s_xor_b64 s[0:1], exec, s[0:1]
	s_cbranch_execz .LBB168_1196
	s_branch .LBB168_1159
.LBB168_1054:
	s_andn2_saveexec_b64 s[2:3], s[2:3]
	s_cbranch_execz .LBB168_1056
.LBB168_1055:
	v_add_f64 v[0:1], v[8:9], -v[0:1]
	s_mov_b32 s30, 0
	v_mul_f64 v[0:1], v[0:1], 0.5
	s_brev_b32 s31, 8
	v_mov_b32_e32 v4, 0x100
	v_cmp_gt_f64_e32 vcc, s[30:31], v[0:1]
	s_nop 1
	v_cndmask_b32_e32 v4, 0, v4, vcc
	v_ldexp_f64 v[0:1], v[0:1], v4
	v_rsq_f64_e32 v[4:5], v[0:1]
	s_nop 0
	v_mul_f64 v[6:7], v[0:1], v[4:5]
	v_mul_f64 v[4:5], v[4:5], 0.5
	v_fma_f64 v[8:9], -v[4:5], v[6:7], 0.5
	v_fmac_f64_e32 v[6:7], v[6:7], v[8:9]
	v_fma_f64 v[10:11], -v[6:7], v[6:7], v[0:1]
	v_fmac_f64_e32 v[4:5], v[4:5], v[8:9]
	v_fmac_f64_e32 v[6:7], v[10:11], v[4:5]
	v_fma_f64 v[8:9], -v[6:7], v[6:7], v[0:1]
	v_fmac_f64_e32 v[6:7], v[8:9], v[4:5]
	v_mov_b32_e32 v4, 0xffffff80
	v_cndmask_b32_e32 v4, 0, v4, vcc
	v_ldexp_f64 v[4:5], v[6:7], v4
	v_mov_b32_e32 v6, 0x260
	v_cmp_class_f64_e32 vcc, v[0:1], v6
	v_and_b32_e32 v7, 0x7fffffff, v3
	v_mov_b32_e32 v6, v2
	v_cndmask_b32_e32 v5, v5, v1, vcc
	v_cndmask_b32_e32 v4, v4, v0, vcc
	v_add_f64 v[0:1], v[4:5], v[4:5]
	v_div_scale_f64 v[8:9], s[30:31], v[0:1], v[0:1], v[6:7]
	v_rcp_f64_e32 v[10:11], v[8:9]
	v_div_scale_f64 v[6:7], vcc, v[6:7], v[0:1], v[6:7]
	s_brev_b32 s30, -2
	v_fma_f64 v[12:13], -v[8:9], v[10:11], 1.0
	v_fmac_f64_e32 v[10:11], v[10:11], v[12:13]
	v_fma_f64 v[12:13], -v[8:9], v[10:11], 1.0
	v_fmac_f64_e32 v[10:11], v[10:11], v[12:13]
	v_mul_f64 v[12:13], v[6:7], v[10:11]
	v_fma_f64 v[6:7], -v[8:9], v[12:13], v[6:7]
	v_div_fmas_f64 v[6:7], v[6:7], v[10:11], v[12:13]
	v_div_fixup_f64 v[6:7], v[6:7], v[0:1], |v[2:3]|
	v_bfi_b32 v5, s30, v5, v3
.LBB168_1056:
	s_or_b64 exec, exec, s[2:3]
                                        ; implicit-def: $vgpr2_vgpr3
                                        ; implicit-def: $vgpr8_vgpr9
	s_and_saveexec_b64 s[2:3], s[0:1]
	s_xor_b64 s[0:1], exec, s[2:3]
	s_cbranch_execz .LBB168_1058
; %bb.1057:
	v_mul_f64 v[0:1], v[6:7], 0.5
	v_mul_f64 v[2:3], v[4:5], 0.5
	v_cndmask_b32_e64 v9, v7, v1, s[28:29]
	v_cndmask_b32_e64 v8, v6, v0, s[28:29]
	v_cndmask_b32_e64 v3, v5, v3, s[28:29]
	v_cndmask_b32_e64 v2, v4, v2, s[28:29]
                                        ; implicit-def: $vgpr6_vgpr7
                                        ; implicit-def: $vgpr4_vgpr5
	s_andn2_saveexec_b64 s[0:1], s[0:1]
	s_cbranch_execnz .LBB168_1059
	s_branch .LBB168_1060
.LBB168_1058:
	s_andn2_saveexec_b64 s[0:1], s[0:1]
.LBB168_1059:
	v_add_f64 v[8:9], v[6:7], v[6:7]
	v_add_f64 v[2:3], v[4:5], v[4:5]
.LBB168_1060:
	s_or_b64 exec, exec, s[0:1]
.LBB168_1061:
	s_andn2_saveexec_b64 s[0:1], s[26:27]
	s_cbranch_execz .LBB168_1067
; %bb.1062:
	v_add_f64 v[4:5], v[2:3], -v[2:3]
	v_cmp_lt_i64_e32 vcc, -1, v[0:1]
	s_brev_b32 s26, -2
	v_and_b32_e32 v9, 0x7fffffff, v5
	v_mov_b32_e32 v8, v4
	s_and_saveexec_b64 s[2:3], vcc
	s_xor_b64 s[2:3], exec, s[2:3]
; %bb.1063:
	v_bfi_b32 v5, s26, v5, v3
	v_mov_b64_e32 v[2:3], v[4:5]
	v_mov_b64_e32 v[8:9], v[0:1]
; %bb.1064:
	s_andn2_saveexec_b64 s[2:3], s[2:3]
; %bb.1065:
	v_bfi_b32 v1, s26, v1, v3
	v_mov_b64_e32 v[2:3], v[0:1]
; %bb.1066:
	s_or_b64 exec, exec, s[2:3]
.LBB168_1067:
	s_or_b64 exec, exec, s[0:1]
.LBB168_1068:
	s_andn2_saveexec_b64 s[0:1], s[24:25]
	s_cbranch_execz .LBB168_1070
; %bb.1069:
	v_add_f64 v[2:3], v[2:3], -v[2:3]
	v_div_scale_f64 v[4:5], vcc, v[2:3], v[2:3], v[2:3]
	v_rcp_f64_e32 v[6:7], v[4:5]
	s_nop 0
	v_fma_f64 v[8:9], -v[4:5], v[6:7], 1.0
	v_fmac_f64_e32 v[6:7], v[6:7], v[8:9]
	v_fma_f64 v[8:9], -v[4:5], v[6:7], 1.0
	v_fmac_f64_e32 v[6:7], v[6:7], v[8:9]
	v_mul_f64 v[8:9], v[4:5], v[6:7]
	v_fma_f64 v[4:5], -v[4:5], v[8:9], v[4:5]
	v_div_fmas_f64 v[4:5], v[4:5], v[6:7], v[8:9]
	v_div_fixup_f64 v[2:3], v[4:5], v[2:3], v[2:3]
	v_mov_b64_e32 v[8:9], v[0:1]
.LBB168_1070:
	s_or_b64 exec, exec, s[0:1]
.LBB168_1071:
	s_or_b64 exec, exec, s[22:23]
.LBB168_1072:
	s_or_b64 exec, exec, s[20:21]
	v_xor_b32_e32 v0, 0x80000000, v9
	v_cmp_gt_f64_e32 vcc, 0, v[8:9]
	v_mov_b32_e32 v10, v8
                                        ; implicit-def: $vgpr6_vgpr7
	s_nop 0
	v_cndmask_b32_e32 v11, v9, v0, vcc
	v_xor_b32_e32 v0, 0x80000000, v3
	v_cmp_gt_f64_e32 vcc, 0, v[2:3]
	s_nop 1
	v_cndmask_b32_e32 v1, v3, v0, vcc
	v_mov_b32_e32 v0, v2
	v_cmp_ge_f64_e32 vcc, v[10:11], v[0:1]
	s_and_saveexec_b64 s[0:1], vcc
	s_xor_b64 s[2:3], exec, s[0:1]
	s_cbranch_execz .LBB168_1078
; %bb.1073:
	v_cmp_neq_f64_e32 vcc, 0, v[8:9]
	v_cmp_neq_f64_e64 s[0:1], 0, v[2:3]
	s_or_b64 s[0:1], vcc, s[0:1]
                                        ; implicit-def: $vgpr6_vgpr7
	s_and_saveexec_b64 s[20:21], s[0:1]
	s_xor_b64 s[0:1], exec, s[20:21]
	s_cbranch_execz .LBB168_1075
; %bb.1074:
	v_div_scale_f64 v[0:1], s[20:21], v[8:9], v[8:9], v[2:3]
	v_rcp_f64_e32 v[4:5], v[0:1]
	v_div_scale_f64 v[6:7], vcc, v[2:3], v[8:9], v[2:3]
	v_fma_f64 v[10:11], -v[0:1], v[4:5], 1.0
	v_fmac_f64_e32 v[4:5], v[4:5], v[10:11]
	v_fma_f64 v[10:11], -v[0:1], v[4:5], 1.0
	v_fmac_f64_e32 v[4:5], v[4:5], v[10:11]
	v_mul_f64 v[10:11], v[6:7], v[4:5]
	v_fma_f64 v[0:1], -v[0:1], v[10:11], v[6:7]
	v_div_fmas_f64 v[0:1], v[0:1], v[4:5], v[10:11]
	v_div_fixup_f64 v[0:1], v[0:1], v[8:9], v[2:3]
	v_fmac_f64_e32 v[8:9], v[2:3], v[0:1]
	v_div_scale_f64 v[2:3], s[20:21], v[8:9], v[8:9], 1.0
	v_rcp_f64_e32 v[4:5], v[2:3]
	s_nop 0
	v_fma_f64 v[6:7], -v[2:3], v[4:5], 1.0
	v_fmac_f64_e32 v[4:5], v[4:5], v[6:7]
	v_fma_f64 v[6:7], -v[2:3], v[4:5], 1.0
	v_fmac_f64_e32 v[4:5], v[4:5], v[6:7]
	v_div_scale_f64 v[6:7], vcc, 1.0, v[8:9], 1.0
	v_mul_f64 v[10:11], v[6:7], v[4:5]
	v_fma_f64 v[2:3], -v[2:3], v[10:11], v[6:7]
	s_nop 1
	v_div_fmas_f64 v[2:3], v[2:3], v[4:5], v[10:11]
	v_div_fixup_f64 v[2:3], v[2:3], v[8:9], 1.0
	v_fma_f64 v[4:5], v[0:1], 0, 1.0
	v_add_f64 v[0:1], -v[0:1], 0
	v_mul_f64 v[4:5], v[4:5], v[2:3]
	v_mul_f64 v[6:7], v[0:1], v[2:3]
                                        ; implicit-def: $vgpr10_vgpr11
                                        ; implicit-def: $vgpr0_vgpr1
.LBB168_1075:
	s_andn2_saveexec_b64 s[0:1], s[0:1]
	s_cbranch_execz .LBB168_1077
; %bb.1076:
	v_div_scale_f64 v[2:3], s[20:21], v[10:11], v[10:11], 1.0
	v_rcp_f64_e32 v[4:5], v[2:3]
	v_div_scale_f64 v[6:7], vcc, 1.0, v[10:11], 1.0
	v_fma_f64 v[8:9], -v[2:3], v[4:5], 1.0
	v_fmac_f64_e32 v[4:5], v[4:5], v[8:9]
	v_fma_f64 v[8:9], -v[2:3], v[4:5], 1.0
	v_fmac_f64_e32 v[4:5], v[4:5], v[8:9]
	v_mul_f64 v[8:9], v[6:7], v[4:5]
	v_fma_f64 v[2:3], -v[2:3], v[8:9], v[6:7]
	v_div_scale_f64 v[6:7], s[20:21], v[0:1], v[0:1], 0
	v_rcp_f64_e32 v[12:13], v[6:7]
	v_div_fmas_f64 v[2:3], v[2:3], v[4:5], v[8:9]
	v_div_fixup_f64 v[4:5], v[2:3], v[10:11], 1.0
	v_fma_f64 v[2:3], -v[6:7], v[12:13], 1.0
	v_fmac_f64_e32 v[12:13], v[12:13], v[2:3]
	v_fma_f64 v[2:3], -v[6:7], v[12:13], 1.0
	v_fmac_f64_e32 v[12:13], v[12:13], v[2:3]
	v_div_scale_f64 v[2:3], vcc, 0, v[0:1], 0
	v_mul_f64 v[8:9], v[2:3], v[12:13]
	v_fma_f64 v[2:3], -v[6:7], v[8:9], v[2:3]
	s_nop 1
	v_div_fmas_f64 v[2:3], v[2:3], v[12:13], v[8:9]
	v_div_fixup_f64 v[6:7], v[2:3], v[0:1], 0
.LBB168_1077:
	s_or_b64 exec, exec, s[0:1]
                                        ; implicit-def: $vgpr2_vgpr3
                                        ; implicit-def: $vgpr8_vgpr9
.LBB168_1078:
	s_andn2_saveexec_b64 s[0:1], s[2:3]
	s_cbranch_execz .LBB168_1080
; %bb.1079:
	v_div_scale_f64 v[0:1], s[2:3], v[2:3], v[2:3], v[8:9]
	v_rcp_f64_e32 v[4:5], v[0:1]
	v_div_scale_f64 v[6:7], vcc, v[8:9], v[2:3], v[8:9]
	v_fma_f64 v[10:11], -v[0:1], v[4:5], 1.0
	v_fmac_f64_e32 v[4:5], v[4:5], v[10:11]
	v_fma_f64 v[10:11], -v[0:1], v[4:5], 1.0
	v_fmac_f64_e32 v[4:5], v[4:5], v[10:11]
	v_mul_f64 v[10:11], v[6:7], v[4:5]
	v_fma_f64 v[0:1], -v[0:1], v[10:11], v[6:7]
	v_div_fmas_f64 v[0:1], v[0:1], v[4:5], v[10:11]
	v_div_fixup_f64 v[0:1], v[0:1], v[2:3], v[8:9]
	v_fmac_f64_e32 v[2:3], v[8:9], v[0:1]
	v_div_scale_f64 v[4:5], s[2:3], v[2:3], v[2:3], 1.0
	v_rcp_f64_e32 v[6:7], v[4:5]
	s_nop 0
	v_fma_f64 v[8:9], -v[4:5], v[6:7], 1.0
	v_fmac_f64_e32 v[6:7], v[6:7], v[8:9]
	v_fma_f64 v[8:9], -v[4:5], v[6:7], 1.0
	v_fmac_f64_e32 v[6:7], v[6:7], v[8:9]
	v_div_scale_f64 v[8:9], vcc, 1.0, v[2:3], 1.0
	v_mul_f64 v[10:11], v[8:9], v[6:7]
	v_fma_f64 v[4:5], -v[4:5], v[10:11], v[8:9]
	s_nop 1
	v_div_fmas_f64 v[4:5], v[4:5], v[6:7], v[10:11]
	v_div_fixup_f64 v[2:3], v[4:5], v[2:3], 1.0
	v_add_f64 v[4:5], v[0:1], 0
	v_fma_f64 v[0:1], v[0:1], 0, -1.0
	v_mul_f64 v[4:5], v[4:5], v[2:3]
	v_mul_f64 v[6:7], v[0:1], v[2:3]
.LBB168_1080:
	s_or_b64 exec, exec, s[0:1]
	v_mul_lo_u32 v0, v24, s8
	v_ashrrev_i32_e32 v1, 31, v0
	s_and_b32 s26, s33, 0xff
	s_cmp_lt_i32 s26, 11
	v_lshl_add_u64 v[8:9], s[4:5], 0, v[0:1]
	s_cbranch_scc1 .LBB168_1087
; %bb.1081:
	s_and_b32 s27, 0xffff, s26
	s_mov_b64 s[20:21], -1
	s_cmp_gt_i32 s27, 25
	s_mov_b64 s[0:1], s[14:15]
	s_cbranch_scc0 .LBB168_1115
; %bb.1082:
	s_mov_b64 s[2:3], -1
	s_cmp_gt_i32 s27, 28
	s_mov_b64 s[0:1], s[14:15]
	s_cbranch_scc0 .LBB168_1099
; %bb.1083:
	s_cmp_gt_i32 s27, 43
	s_mov_b64 s[0:1], s[14:15]
	s_cbranch_scc0 .LBB168_1095
; %bb.1084:
	;; [unrolled: 4-line block ×3, first 2 shown]
	s_cmp_eq_u32 s27, 46
	s_mov_b64 s[0:1], -1
	s_cbranch_scc0 .LBB168_1088
; %bb.1086:
	v_cvt_f32_f64_e32 v1, v[6:7]
	s_movk_i32 s0, 0x7fff
	v_bfe_u32 v3, v1, 16, 1
	v_cvt_f32_f64_e32 v0, v[4:5]
	v_add3_u32 v3, v1, v3, s0
	v_bfe_u32 v2, v0, 16, 1
	v_and_b32_e32 v3, 0xffff0000, v3
	v_mov_b32_e32 v10, 0x7fc00000
	v_cmp_o_f32_e32 vcc, v1, v1
	v_add3_u32 v2, v0, v2, s0
	s_mov_b64 s[0:1], 0
	v_cndmask_b32_e32 v1, v10, v3, vcc
	v_cmp_o_f32_e32 vcc, v0, v0
	v_mov_b32_e32 v0, 0x7fc0
	s_mov_b64 s[2:3], 0
	v_cndmask_b32_sdwa v0, v0, v2, vcc dst_sel:DWORD dst_unused:UNUSED_PAD src0_sel:DWORD src1_sel:WORD_1
	v_or_b32_e32 v0, v1, v0
	global_store_dword v[8:9], v0, off
	s_branch .LBB168_1089
.LBB168_1087:
	s_mov_b64 s[20:21], 0
	s_mov_b64 s[2:3], -1
	s_mov_b64 s[0:1], s[14:15]
	s_branch .LBB168_1156
.LBB168_1088:
	s_mov_b64 s[2:3], 0
.LBB168_1089:
	s_and_b64 vcc, exec, s[2:3]
	s_cbranch_vccz .LBB168_1094
; %bb.1090:
	s_cmp_eq_u32 s27, 44
	s_mov_b64 s[0:1], -1
	s_cbranch_scc0 .LBB168_1094
; %bb.1091:
	v_cvt_f32_f64_e32 v0, v[4:5]
	v_bfe_u32 v1, v0, 23, 8
	s_movk_i32 s0, 0xff
	v_cmp_ne_u32_e32 vcc, s0, v1
	v_mov_b32_e32 v2, 0xff
	s_and_saveexec_b64 s[2:3], vcc
; %bb.1092:
	s_mov_b32 s0, 0x3fffff
	v_lshrrev_b32_e32 v2, 23, v0
	v_and_b32_e32 v3, 0x400000, v0
	v_and_or_b32 v0, v0, s0, v1
	v_cmp_ne_u32_e32 vcc, 0, v3
	v_cmp_ne_u32_e64 s[0:1], 0, v0
	s_and_b64 s[0:1], vcc, s[0:1]
	s_nop 0
	v_cndmask_b32_e64 v0, 0, 1, s[0:1]
	v_add_u32_e32 v2, v2, v0
; %bb.1093:
	s_or_b64 exec, exec, s[2:3]
	s_mov_b64 s[0:1], 0
	global_store_byte v[8:9], v2, off
.LBB168_1094:
	s_mov_b64 s[2:3], 0
.LBB168_1095:
	s_and_b64 vcc, exec, s[2:3]
	s_cbranch_vccz .LBB168_1098
; %bb.1096:
	s_cmp_eq_u32 s27, 29
	s_mov_b64 s[0:1], -1
	s_cbranch_scc0 .LBB168_1098
; %bb.1097:
	v_trunc_f64_e32 v[0:1], v[4:5]
	s_movk_i32 s0, 0xffe0
	v_ldexp_f64 v[2:3], v[0:1], s0
	v_floor_f64_e32 v[2:3], v[2:3]
	v_fmac_f64_e32 v[0:1], 0xc1f00000, v[2:3]
	v_cvt_u32_f64_e32 v11, v[2:3]
	v_cvt_u32_f64_e32 v10, v[0:1]
	global_store_dwordx2 v[8:9], v[10:11], off
	s_mov_b64 s[0:1], 0
.LBB168_1098:
	s_mov_b64 s[2:3], 0
.LBB168_1099:
	s_and_b64 vcc, exec, s[2:3]
	s_cbranch_vccz .LBB168_1114
; %bb.1100:
	s_cmp_lt_i32 s27, 27
	s_mov_b64 s[2:3], -1
	s_cbranch_scc1 .LBB168_1106
; %bb.1101:
	s_cmp_gt_i32 s27, 27
	v_cvt_u32_f64_e32 v0, v[4:5]
	s_cbranch_scc0 .LBB168_1103
; %bb.1102:
	s_mov_b64 s[2:3], 0
	global_store_dword v[8:9], v0, off
.LBB168_1103:
	s_andn2_b64 vcc, exec, s[2:3]
	s_cbranch_vccnz .LBB168_1105
; %bb.1104:
	global_store_short v[8:9], v0, off
.LBB168_1105:
	s_mov_b64 s[2:3], 0
.LBB168_1106:
	s_andn2_b64 vcc, exec, s[2:3]
	s_cbranch_vccnz .LBB168_1114
; %bb.1107:
	v_cvt_f32_f64_e32 v0, v[4:5]
	v_and_b32_e32 v1, 0x7fffffff, v0
	s_mov_b32 s2, 0x43800000
	v_cmp_gt_u32_e32 vcc, s2, v1
	v_mov_b32_e32 v2, 0x80
	s_and_saveexec_b64 s[2:3], vcc
	s_cbranch_execz .LBB168_1113
; %bb.1108:
	s_mov_b32 s20, 0x3bffffff
	v_cmp_lt_u32_e32 vcc, s20, v1
	s_mov_b64 s[20:21], 0
                                        ; implicit-def: $vgpr1
	s_and_saveexec_b64 s[22:23], vcc
	s_xor_b64 s[22:23], exec, s[22:23]
	s_cbranch_execz .LBB168_1211
; %bb.1109:
	v_bfe_u32 v1, v0, 20, 1
	s_mov_b32 s24, 0x487ffff
	v_add3_u32 v1, v0, v1, s24
	s_mov_b64 s[20:21], exec
	v_lshrrev_b32_e32 v1, 20, v1
	s_andn2_saveexec_b64 s[22:23], s[22:23]
	s_cbranch_execnz .LBB168_1212
.LBB168_1110:
	s_or_b64 exec, exec, s[22:23]
	v_mov_b32_e32 v2, 0
	s_and_saveexec_b64 s[22:23], s[20:21]
.LBB168_1111:
	v_lshrrev_b32_e32 v0, 24, v0
	s_movk_i32 s20, 0x80
	v_and_or_b32 v2, v0, s20, v1
.LBB168_1112:
	s_or_b64 exec, exec, s[22:23]
.LBB168_1113:
	s_or_b64 exec, exec, s[2:3]
	global_store_byte v[8:9], v2, off
.LBB168_1114:
	s_mov_b64 s[20:21], 0
.LBB168_1115:
	s_mov_b64 s[2:3], 0
	s_and_b64 vcc, exec, s[20:21]
	s_cbranch_vccz .LBB168_1155
; %bb.1116:
	s_cmp_gt_i32 s27, 22
	s_mov_b64 s[20:21], -1
	s_cbranch_scc0 .LBB168_1148
; %bb.1117:
	s_cmp_lt_i32 s27, 24
	s_cbranch_scc1 .LBB168_1137
; %bb.1118:
	s_cmp_gt_i32 s27, 24
	s_cbranch_scc0 .LBB168_1126
; %bb.1119:
	v_cvt_f32_f64_e32 v0, v[4:5]
	v_and_b32_e32 v1, 0x7fffffff, v0
	s_mov_b32 s20, 0x47800000
	v_cmp_gt_u32_e32 vcc, s20, v1
	v_mov_b32_e32 v2, 0x80
	s_and_saveexec_b64 s[20:21], vcc
	s_cbranch_execz .LBB168_1125
; %bb.1120:
	s_mov_b32 s22, 0x37ffffff
	v_cmp_lt_u32_e32 vcc, s22, v1
	s_mov_b64 s[22:23], 0
                                        ; implicit-def: $vgpr1
	s_and_saveexec_b64 s[24:25], vcc
	s_xor_b64 s[24:25], exec, s[24:25]
	s_cbranch_execz .LBB168_1380
; %bb.1121:
	v_bfe_u32 v1, v0, 21, 1
	s_mov_b32 s28, 0x88fffff
	v_add3_u32 v1, v0, v1, s28
	s_mov_b64 s[22:23], exec
	v_lshrrev_b32_e32 v1, 21, v1
	s_andn2_saveexec_b64 s[24:25], s[24:25]
	s_cbranch_execnz .LBB168_1381
.LBB168_1122:
	s_or_b64 exec, exec, s[24:25]
	v_mov_b32_e32 v2, 0
	s_and_saveexec_b64 s[24:25], s[22:23]
.LBB168_1123:
	v_lshrrev_b32_e32 v0, 24, v0
	s_movk_i32 s22, 0x80
	v_and_or_b32 v2, v0, s22, v1
.LBB168_1124:
	s_or_b64 exec, exec, s[24:25]
.LBB168_1125:
	s_or_b64 exec, exec, s[20:21]
	s_mov_b64 s[20:21], 0
	global_store_byte v[8:9], v2, off
.LBB168_1126:
	s_and_b64 vcc, exec, s[20:21]
	s_cbranch_vccz .LBB168_1136
; %bb.1127:
	v_cvt_f32_f64_e32 v0, v[4:5]
	v_and_b32_e32 v2, 0x7fffffff, v0
	s_mov_b32 s20, 0x43f00000
	v_cmp_gt_u32_e32 vcc, s20, v2
                                        ; implicit-def: $vgpr1
	s_and_saveexec_b64 s[20:21], vcc
	s_xor_b64 s[20:21], exec, s[20:21]
	s_cbranch_execz .LBB168_1133
; %bb.1128:
	s_mov_b32 s22, 0x3c7fffff
	v_cmp_lt_u32_e32 vcc, s22, v2
                                        ; implicit-def: $vgpr1
	s_and_saveexec_b64 s[22:23], vcc
	s_xor_b64 s[22:23], exec, s[22:23]
; %bb.1129:
	v_bfe_u32 v1, v0, 20, 1
	s_mov_b32 s24, 0x407ffff
	v_add3_u32 v1, v0, v1, s24
	v_lshrrev_b32_e32 v2, 20, v1
	v_and_b32_e32 v1, 0xff00000, v1
	s_mov_b32 s24, 0x7f00000
	v_mov_b32_e32 v3, 0x7e
	v_cmp_ne_u32_e32 vcc, s24, v1
	s_nop 1
	v_cndmask_b32_e32 v1, v3, v2, vcc
; %bb.1130:
	s_andn2_saveexec_b64 s[22:23], s[22:23]
; %bb.1131:
	s_mov_b32 s24, 0x46800000
	v_add_f32_e64 v1, |v0|, s24
; %bb.1132:
	s_or_b64 exec, exec, s[22:23]
                                        ; implicit-def: $vgpr2
.LBB168_1133:
	s_andn2_saveexec_b64 s[20:21], s[20:21]
; %bb.1134:
	s_mov_b32 s22, 0x7f800000
	v_mov_b32_e32 v1, 0x7e
	v_mov_b32_e32 v3, 0x7f
	v_cmp_lt_u32_e32 vcc, s22, v2
	s_nop 1
	v_cndmask_b32_e32 v1, v1, v3, vcc
; %bb.1135:
	s_or_b64 exec, exec, s[20:21]
	v_lshrrev_b32_e32 v0, 24, v0
	s_movk_i32 s20, 0x80
	v_and_or_b32 v0, v0, s20, v1
	global_store_byte v[8:9], v0, off
.LBB168_1136:
	s_mov_b64 s[20:21], 0
.LBB168_1137:
	s_andn2_b64 vcc, exec, s[20:21]
	s_cbranch_vccnz .LBB168_1147
; %bb.1138:
	v_cvt_f32_f64_e32 v0, v[4:5]
	v_and_b32_e32 v2, 0x7fffffff, v0
	s_mov_b32 s20, 0x47800000
	v_cmp_gt_u32_e32 vcc, s20, v2
                                        ; implicit-def: $vgpr1
	s_and_saveexec_b64 s[20:21], vcc
	s_xor_b64 s[20:21], exec, s[20:21]
	s_cbranch_execz .LBB168_1144
; %bb.1139:
	s_mov_b32 s22, 0x387fffff
	v_cmp_lt_u32_e32 vcc, s22, v2
                                        ; implicit-def: $vgpr1
	s_and_saveexec_b64 s[22:23], vcc
	s_xor_b64 s[22:23], exec, s[22:23]
; %bb.1140:
	v_bfe_u32 v1, v0, 21, 1
	s_mov_b32 s24, 0x80fffff
	v_add3_u32 v1, v0, v1, s24
	v_lshrrev_b32_e32 v1, 21, v1
; %bb.1141:
	s_andn2_saveexec_b64 s[22:23], s[22:23]
; %bb.1142:
	s_mov_b32 s24, 0x43000000
	v_add_f32_e64 v1, |v0|, s24
; %bb.1143:
	s_or_b64 exec, exec, s[22:23]
                                        ; implicit-def: $vgpr2
.LBB168_1144:
	s_andn2_saveexec_b64 s[20:21], s[20:21]
; %bb.1145:
	s_mov_b32 s22, 0x7f800000
	v_mov_b32_e32 v1, 0x7c
	v_mov_b32_e32 v3, 0x7f
	v_cmp_lt_u32_e32 vcc, s22, v2
	s_nop 1
	v_cndmask_b32_e32 v1, v1, v3, vcc
; %bb.1146:
	s_or_b64 exec, exec, s[20:21]
	v_lshrrev_b32_e32 v0, 24, v0
	s_movk_i32 s20, 0x80
	v_and_or_b32 v0, v0, s20, v1
	global_store_byte v[8:9], v0, off
.LBB168_1147:
	s_mov_b64 s[20:21], 0
.LBB168_1148:
	s_andn2_b64 vcc, exec, s[20:21]
	s_mov_b64 s[20:21], 0
	s_cbranch_vccnz .LBB168_1156
; %bb.1149:
	s_cmp_gt_i32 s27, 14
	s_mov_b64 s[22:23], -1
	s_cbranch_scc0 .LBB168_1153
; %bb.1150:
	s_cmp_eq_u32 s27, 15
	s_mov_b64 s[0:1], -1
	s_cbranch_scc0 .LBB168_1152
; %bb.1151:
	v_cvt_f32_f64_e32 v0, v[4:5]
	v_bfe_u32 v1, v0, 16, 1
	s_movk_i32 s0, 0x7fff
	v_add3_u32 v1, v0, v1, s0
	v_cmp_o_f32_e32 vcc, v0, v0
	v_mov_b32_e32 v0, 0x7fc0
	s_mov_b64 s[0:1], 0
	v_cndmask_b32_sdwa v0, v0, v1, vcc dst_sel:DWORD dst_unused:UNUSED_PAD src0_sel:DWORD src1_sel:WORD_1
	global_store_short v[8:9], v0, off
.LBB168_1152:
	s_mov_b64 s[22:23], 0
.LBB168_1153:
	s_and_b64 vcc, exec, s[22:23]
	s_cbranch_vccz .LBB168_1156
; %bb.1154:
	s_cmp_lg_u32 s27, 11
	s_cselect_b64 s[22:23], -1, 0
	s_andn2_b64 s[0:1], s[0:1], exec
	s_and_b64 s[22:23], s[22:23], exec
	s_mov_b64 s[20:21], -1
	s_or_b64 s[0:1], s[0:1], s[22:23]
	s_branch .LBB168_1156
.LBB168_1155:
	s_mov_b64 s[20:21], 0
.LBB168_1156:
	s_andn2_b64 s[14:15], s[14:15], exec
	s_and_b64 s[0:1], s[0:1], exec
	s_and_b64 s[2:3], s[2:3], exec
	;; [unrolled: 1-line block ×3, first 2 shown]
	s_or_b64 s[14:15], s[14:15], s[0:1]
	s_or_b64 exec, exec, s[16:17]
	s_and_saveexec_b64 s[0:1], s[14:15]
	s_cbranch_execz .LBB168_1052
.LBB168_1157:
	s_or_b64 s[18:19], s[18:19], exec
	s_andn2_b64 s[20:21], s[20:21], exec
	s_trap 2
	s_or_b64 exec, exec, s[0:1]
	s_and_saveexec_b64 s[0:1], s[20:21]
	s_xor_b64 s[14:15], exec, s[0:1]
	s_cbranch_execnz .LBB168_1053
.LBB168_1158:
	s_or_b64 exec, exec, s[14:15]
	s_and_saveexec_b64 s[0:1], s[2:3]
	s_xor_b64 s[0:1], exec, s[0:1]
	s_cbranch_execz .LBB168_1196
.LBB168_1159:
	s_sext_i32_i16 s14, s26
	s_cmp_lt_i32 s14, 5
	s_mov_b64 s[2:3], -1
	s_cbranch_scc1 .LBB168_1180
; %bb.1160:
	s_cmp_lt_i32 s14, 8
	s_cbranch_scc1 .LBB168_1170
; %bb.1161:
	s_cmp_lt_i32 s14, 9
	s_cbranch_scc1 .LBB168_1167
; %bb.1162:
	s_cmp_gt_i32 s14, 9
	s_cbranch_scc0 .LBB168_1164
; %bb.1163:
	s_mov_b64 s[2:3], 0
	global_store_dwordx4 v[8:9], v[4:7], off
.LBB168_1164:
	s_andn2_b64 vcc, exec, s[2:3]
	s_cbranch_vccnz .LBB168_1166
; %bb.1165:
	s_waitcnt vmcnt(0)
	v_cvt_f32_f64_e32 v0, v[4:5]
	v_cvt_f32_f64_e32 v1, v[6:7]
	global_store_dwordx2 v[8:9], v[0:1], off
.LBB168_1166:
	s_mov_b64 s[2:3], 0
.LBB168_1167:
	s_andn2_b64 vcc, exec, s[2:3]
	s_cbranch_vccnz .LBB168_1169
; %bb.1168:
	s_movk_i32 s2, 0x1ff
	s_waitcnt vmcnt(0)
	v_and_or_b32 v0, v5, s2, v4
	v_cmp_ne_u32_e32 vcc, 0, v0
	v_lshrrev_b32_e32 v1, 8, v5
	s_movk_i32 s3, 0xffe
	v_cndmask_b32_e64 v0, 0, 1, vcc
	v_bfe_u32 v2, v5, 20, 11
	v_and_or_b32 v0, v1, s3, v0
	v_sub_u32_e32 v3, 0x3f1, v2
	v_or_b32_e32 v1, 0x1000, v0
	v_med3_i32 v3, v3, 0, 13
	v_lshrrev_b32_e32 v10, v3, v1
	v_lshlrev_b32_e32 v3, v3, v10
	v_cmp_ne_u32_e32 vcc, v3, v1
	v_add_u32_e32 v2, 0xfffffc10, v2
	v_lshl_or_b32 v3, v2, 12, v0
	v_cndmask_b32_e64 v1, 0, 1, vcc
	v_or_b32_e32 v1, v10, v1
	v_cmp_gt_i32_e32 vcc, 1, v2
	s_movk_i32 s14, 0x40f
	v_bfe_u32 v11, v7, 20, 11
	v_cndmask_b32_e32 v1, v3, v1, vcc
	v_and_b32_e32 v3, 7, v1
	v_cmp_lt_i32_e32 vcc, 5, v3
	v_lshrrev_b32_e32 v1, 2, v1
	v_sub_u32_e32 v12, 0x3f1, v11
	v_cndmask_b32_e64 v10, 0, 1, vcc
	v_cmp_eq_u32_e32 vcc, 3, v3
	v_med3_i32 v12, v12, 0, 13
	v_add_u32_e32 v11, 0xfffffc10, v11
	v_cndmask_b32_e64 v3, 0, 1, vcc
	v_or_b32_e32 v3, v3, v10
	v_add_u32_e32 v1, v1, v3
	v_mov_b32_e32 v3, 0x7c00
	v_cmp_gt_i32_e32 vcc, 31, v2
	v_mov_b32_e32 v10, 0x7e00
	s_mov_b32 s15, 0x8000
	v_cndmask_b32_e32 v1, v3, v1, vcc
	v_cmp_ne_u32_e32 vcc, 0, v0
	s_nop 1
	v_cndmask_b32_e32 v0, v3, v10, vcc
	v_cmp_eq_u32_e32 vcc, s14, v2
	v_and_or_b32 v2, v7, s2, v6
	v_lshrrev_b32_e32 v6, 8, v7
	v_cndmask_b32_e32 v0, v1, v0, vcc
	v_cmp_ne_u32_e32 vcc, 0, v2
	v_and_b32_sdwa v1, v5, s15 dst_sel:DWORD dst_unused:UNUSED_PAD src0_sel:WORD_1 src1_sel:DWORD
	s_mov_b32 s2, 0xffff
	v_cndmask_b32_e64 v2, 0, 1, vcc
	v_and_or_b32 v2, v6, s3, v2
	v_or_b32_e32 v6, 0x1000, v2
	v_lshrrev_b32_e32 v13, v12, v6
	v_lshlrev_b32_e32 v12, v12, v13
	v_cmp_ne_u32_e32 vcc, v12, v6
	v_lshl_or_b32 v12, v11, 12, v2
	v_bitop3_b32 v0, v1, s2, v0 bitop3:0xc8
	v_cndmask_b32_e64 v6, 0, 1, vcc
	v_or_b32_e32 v6, v13, v6
	v_cmp_gt_i32_e32 vcc, 1, v11
	s_nop 1
	v_cndmask_b32_e32 v6, v12, v6, vcc
	v_and_b32_e32 v12, 7, v6
	v_cmp_lt_i32_e32 vcc, 5, v12
	v_lshrrev_b32_e32 v6, 2, v6
	s_nop 0
	v_cndmask_b32_e64 v13, 0, 1, vcc
	v_cmp_eq_u32_e32 vcc, 3, v12
	s_nop 1
	v_cndmask_b32_e64 v12, 0, 1, vcc
	v_or_b32_e32 v12, v12, v13
	v_add_u32_e32 v6, v6, v12
	v_cmp_gt_i32_e32 vcc, 31, v11
	s_nop 1
	v_cndmask_b32_e32 v6, v3, v6, vcc
	v_cmp_ne_u32_e32 vcc, 0, v2
	s_nop 1
	v_cndmask_b32_e32 v2, v3, v10, vcc
	v_cmp_eq_u32_e32 vcc, s14, v11
	v_lshrrev_b32_e32 v3, 16, v7
	s_nop 0
	v_cndmask_b32_e32 v2, v6, v2, vcc
	v_and_or_b32 v2, v3, s15, v2
	v_lshl_or_b32 v0, v2, 16, v0
	global_store_dword v[8:9], v0, off
.LBB168_1169:
	s_mov_b64 s[2:3], 0
.LBB168_1170:
	s_andn2_b64 vcc, exec, s[2:3]
	s_cbranch_vccnz .LBB168_1179
; %bb.1171:
	s_sext_i32_i16 s14, s26
	s_cmp_lt_i32 s14, 6
	s_mov_b64 s[2:3], -1
	s_cbranch_scc1 .LBB168_1177
; %bb.1172:
	s_cmp_gt_i32 s14, 6
	s_cbranch_scc0 .LBB168_1174
; %bb.1173:
	s_mov_b64 s[2:3], 0
	global_store_dwordx2 v[8:9], v[4:5], off
.LBB168_1174:
	s_andn2_b64 vcc, exec, s[2:3]
	s_cbranch_vccnz .LBB168_1176
; %bb.1175:
	s_waitcnt vmcnt(0)
	v_cvt_f32_f64_e32 v0, v[4:5]
	global_store_dword v[8:9], v0, off
.LBB168_1176:
	s_mov_b64 s[2:3], 0
.LBB168_1177:
	s_andn2_b64 vcc, exec, s[2:3]
	s_cbranch_vccnz .LBB168_1179
; %bb.1178:
	s_movk_i32 s2, 0x1ff
	s_waitcnt vmcnt(0)
	v_and_or_b32 v0, v5, s2, v4
	v_cmp_ne_u32_e32 vcc, 0, v0
	v_lshrrev_b32_e32 v1, 8, v5
	s_movk_i32 s2, 0xffe
	v_cndmask_b32_e64 v0, 0, 1, vcc
	v_bfe_u32 v2, v5, 20, 11
	v_and_or_b32 v0, v1, s2, v0
	v_sub_u32_e32 v3, 0x3f1, v2
	v_or_b32_e32 v1, 0x1000, v0
	v_med3_i32 v3, v3, 0, 13
	v_lshrrev_b32_e32 v6, v3, v1
	v_lshlrev_b32_e32 v3, v3, v6
	v_cmp_ne_u32_e32 vcc, v3, v1
	v_add_u32_e32 v2, 0xfffffc10, v2
	v_lshl_or_b32 v3, v2, 12, v0
	v_cndmask_b32_e64 v1, 0, 1, vcc
	v_or_b32_e32 v1, v6, v1
	v_cmp_gt_i32_e32 vcc, 1, v2
	s_movk_i32 s2, 0x40f
	s_nop 0
	v_cndmask_b32_e32 v1, v3, v1, vcc
	v_and_b32_e32 v3, 7, v1
	v_cmp_lt_i32_e32 vcc, 5, v3
	v_lshrrev_b32_e32 v1, 2, v1
	s_nop 0
	v_cndmask_b32_e64 v6, 0, 1, vcc
	v_cmp_eq_u32_e32 vcc, 3, v3
	s_nop 1
	v_cndmask_b32_e64 v3, 0, 1, vcc
	v_or_b32_e32 v3, v3, v6
	v_add_u32_e32 v1, v1, v3
	v_mov_b32_e32 v3, 0x7c00
	v_cmp_gt_i32_e32 vcc, 31, v2
	v_mov_b32_e32 v6, 0x7e00
	s_nop 0
	v_cndmask_b32_e32 v1, v3, v1, vcc
	v_cmp_ne_u32_e32 vcc, 0, v0
	s_nop 1
	v_cndmask_b32_e32 v0, v3, v6, vcc
	v_cmp_eq_u32_e32 vcc, s2, v2
	s_mov_b32 s2, 0x8000
	s_nop 0
	v_cndmask_b32_e32 v0, v1, v0, vcc
	v_lshrrev_b32_e32 v1, 16, v5
	v_and_or_b32 v0, v1, s2, v0
	global_store_short v[8:9], v0, off
.LBB168_1179:
	s_mov_b64 s[2:3], 0
.LBB168_1180:
	s_andn2_b64 vcc, exec, s[2:3]
	s_cbranch_vccnz .LBB168_1196
; %bb.1181:
	s_sext_i32_i16 s14, s26
	s_cmp_lt_i32 s14, 2
	s_mov_b64 s[2:3], -1
	s_cbranch_scc1 .LBB168_1191
; %bb.1182:
	s_cmp_lt_i32 s14, 3
	s_cbranch_scc1 .LBB168_1188
; %bb.1183:
	s_cmp_gt_i32 s14, 3
	s_cbranch_scc0 .LBB168_1185
; %bb.1184:
	s_waitcnt vmcnt(0)
	v_trunc_f64_e32 v[0:1], v[4:5]
	s_movk_i32 s2, 0xffe0
	v_ldexp_f64 v[2:3], v[0:1], s2
	v_floor_f64_e32 v[2:3], v[2:3]
	v_fmac_f64_e32 v[0:1], 0xc1f00000, v[2:3]
	v_cvt_i32_f64_e32 v7, v[2:3]
	v_cvt_u32_f64_e32 v6, v[0:1]
	s_mov_b64 s[2:3], 0
	global_store_dwordx2 v[8:9], v[6:7], off
.LBB168_1185:
	s_andn2_b64 vcc, exec, s[2:3]
	s_cbranch_vccnz .LBB168_1187
; %bb.1186:
	s_waitcnt vmcnt(0)
	v_cvt_i32_f64_e32 v0, v[4:5]
	global_store_dword v[8:9], v0, off
.LBB168_1187:
	s_mov_b64 s[2:3], 0
.LBB168_1188:
	s_andn2_b64 vcc, exec, s[2:3]
	s_cbranch_vccnz .LBB168_1190
; %bb.1189:
	s_waitcnt vmcnt(0)
	v_cvt_i32_f64_e32 v0, v[4:5]
	global_store_short v[8:9], v0, off
.LBB168_1190:
	s_mov_b64 s[2:3], 0
.LBB168_1191:
	s_andn2_b64 vcc, exec, s[2:3]
	s_cbranch_vccnz .LBB168_1196
; %bb.1192:
	s_sext_i32_i16 s2, s26
	s_cmp_gt_i32 s2, 0
	s_mov_b64 s[2:3], -1
	s_cbranch_scc0 .LBB168_1194
; %bb.1193:
	s_waitcnt vmcnt(0)
	v_cvt_i32_f64_e32 v0, v[4:5]
	s_mov_b64 s[2:3], 0
	global_store_byte v[8:9], v0, off
.LBB168_1194:
	s_andn2_b64 vcc, exec, s[2:3]
	s_cbranch_vccnz .LBB168_1196
; %bb.1195:
	s_waitcnt vmcnt(0)
	v_trunc_f64_e32 v[0:1], v[4:5]
	s_movk_i32 s2, 0xffe0
	v_ldexp_f64 v[2:3], v[0:1], s2
	v_floor_f64_e32 v[2:3], v[2:3]
	v_fmac_f64_e32 v[0:1], 0xc1f00000, v[2:3]
	v_cvt_u32_f64_e32 v0, v[0:1]
	global_store_byte v[8:9], v0, off
.LBB168_1196:
	s_or_b64 exec, exec, s[0:1]
	s_and_b64 s[14:15], s[18:19], exec
                                        ; implicit-def: $vgpr24
.LBB168_1197:
	s_or_saveexec_b64 s[12:13], s[12:13]
	s_mov_b64 s[18:19], 0
                                        ; implicit-def: $sgpr20
                                        ; implicit-def: $vgpr0_vgpr1
                                        ; implicit-def: $vgpr14_vgpr15
	s_xor_b64 exec, exec, s[12:13]
	s_cbranch_execz .LBB168_1860
; %bb.1198:
	v_mul_lo_u32 v6, s9, v24
	v_ashrrev_i32_e32 v7, 31, v6
	s_and_b32 s28, 0xffff, s44
	s_cmp_lt_i32 s28, 11
	s_waitcnt vmcnt(0)
	v_lshl_add_u64 v[0:1], s[6:7], 0, v[6:7]
	s_cbranch_scc1 .LBB168_1205
; %bb.1199:
	s_cmp_gt_i32 s28, 25
	s_mov_b64 s[2:3], 0
	s_cbranch_scc0 .LBB168_1207
; %bb.1200:
	s_cmp_gt_i32 s28, 28
	s_cbranch_scc0 .LBB168_1208
; %bb.1201:
	s_cmp_gt_i32 s28, 43
	;; [unrolled: 3-line block ×3, first 2 shown]
	s_cbranch_scc0 .LBB168_1210
; %bb.1203:
	s_cmp_eq_u32 s28, 46
	s_mov_b64 s[16:17], 0
	s_cbranch_scc0 .LBB168_1213
; %bb.1204:
	global_load_dword v2, v[0:1], off
	s_mov_b64 s[0:1], 0
	s_mov_b64 s[10:11], -1
	s_waitcnt vmcnt(0)
	v_and_b32_e32 v4, 0xffff0000, v2
	v_lshlrev_b32_e32 v2, 16, v2
	v_cvt_f64_f32_e32 v[2:3], v2
	v_cvt_f64_f32_e32 v[4:5], v4
	s_branch .LBB168_1215
.LBB168_1205:
                                        ; implicit-def: $vgpr4_vgpr5
	s_mov_b64 s[16:17], s[14:15]
	s_cbranch_execnz .LBB168_1281
.LBB168_1206:
	s_andn2_b64 vcc, exec, s[10:11]
	s_cbranch_vccz .LBB168_1328
	s_branch .LBB168_1857
.LBB168_1207:
	s_mov_b64 s[0:1], 0
                                        ; implicit-def: $vgpr4_vgpr5
	s_cbranch_execnz .LBB168_1247
	s_branch .LBB168_1277
.LBB168_1208:
	s_mov_b64 s[0:1], 0
                                        ; implicit-def: $vgpr4_vgpr5
	s_cbranch_execnz .LBB168_1227
	s_branch .LBB168_1246
.LBB168_1209:
	s_mov_b64 s[16:17], -1
	s_mov_b64 s[0:1], 0
                                        ; implicit-def: $vgpr4_vgpr5
	s_branch .LBB168_1221
.LBB168_1210:
	s_mov_b64 s[16:17], -1
	s_mov_b64 s[0:1], 0
	s_branch .LBB168_1214
.LBB168_1211:
	s_andn2_saveexec_b64 s[22:23], s[22:23]
	s_cbranch_execz .LBB168_1110
.LBB168_1212:
	s_mov_b32 s24, 0x46000000
	v_add_f32_e64 v1, |v0|, s24
	v_and_b32_e32 v1, 0xff, v1
	v_cmp_ne_u32_e32 vcc, 0, v1
	s_andn2_b64 s[20:21], s[20:21], exec
	s_and_b64 s[24:25], vcc, exec
	s_or_b64 s[20:21], s[20:21], s[24:25]
	s_or_b64 exec, exec, s[22:23]
	v_mov_b32_e32 v2, 0
	s_and_saveexec_b64 s[22:23], s[20:21]
	s_cbranch_execnz .LBB168_1111
	s_branch .LBB168_1112
.LBB168_1213:
	s_mov_b64 s[0:1], -1
.LBB168_1214:
                                        ; implicit-def: $vgpr4_vgpr5
.LBB168_1215:
	s_and_b64 vcc, exec, s[16:17]
	s_cbranch_vccz .LBB168_1220
; %bb.1216:
	s_cmp_eq_u32 s28, 44
	s_cbranch_scc0 .LBB168_1218
; %bb.1217:
	global_load_ubyte v4, v[0:1], off
	s_movk_i32 s10, 0xff
	v_bfrev_b32_e32 v5, 4
	v_mov_b32_e32 v7, 0x7ff80000
	v_bfrev_b32_e32 v8, 28
	s_mov_b64 s[0:1], 0
	s_waitcnt vmcnt(0)
	v_lshlrev_b32_e32 v2, 23, v4
	v_cvt_f64_f32_e32 v[2:3], v2
	v_cmp_ne_u32_e32 vcc, s10, v4
	s_mov_b64 s[10:11], -1
	s_nop 0
	v_cndmask_b32_e32 v2, v5, v2, vcc
	v_cndmask_b32_e32 v3, v7, v3, vcc
	v_cmp_ne_u32_e32 vcc, 0, v4
	s_nop 1
	v_cndmask_b32_e32 v3, v8, v3, vcc
	v_cndmask_b32_e32 v2, 0, v2, vcc
	s_branch .LBB168_1219
.LBB168_1218:
	s_mov_b64 s[0:1], -1
                                        ; implicit-def: $vgpr2_vgpr3
.LBB168_1219:
	v_mov_b64_e32 v[4:5], 0
.LBB168_1220:
	s_mov_b64 s[16:17], 0
.LBB168_1221:
	s_and_b64 vcc, exec, s[16:17]
	s_cbranch_vccz .LBB168_1226
; %bb.1222:
	s_cmp_eq_u32 s28, 29
	s_cbranch_scc0 .LBB168_1224
; %bb.1223:
	global_load_dwordx2 v[2:3], v[0:1], off
	s_mov_b64 s[0:1], 0
	s_mov_b64 s[10:11], -1
	s_waitcnt vmcnt(0)
	v_cvt_f64_u32_e32 v[4:5], v3
	v_cvt_f64_u32_e32 v[2:3], v2
	v_ldexp_f64 v[4:5], v[4:5], 32
	v_add_f64 v[2:3], v[4:5], v[2:3]
	s_branch .LBB168_1225
.LBB168_1224:
	s_mov_b64 s[0:1], -1
                                        ; implicit-def: $vgpr2_vgpr3
.LBB168_1225:
	v_mov_b64_e32 v[4:5], 0
.LBB168_1226:
	s_branch .LBB168_1246
.LBB168_1227:
	s_cmp_lt_i32 s28, 27
	s_cbranch_scc1 .LBB168_1230
; %bb.1228:
	s_cmp_gt_i32 s28, 27
	s_cbranch_scc0 .LBB168_1231
; %bb.1229:
	global_load_dword v2, v[0:1], off
	s_mov_b64 s[10:11], 0
	s_waitcnt vmcnt(0)
	v_cvt_f64_u32_e32 v[2:3], v2
	s_branch .LBB168_1232
.LBB168_1230:
	s_mov_b64 s[10:11], -1
                                        ; implicit-def: $vgpr2_vgpr3
	s_branch .LBB168_1235
.LBB168_1231:
	s_mov_b64 s[10:11], -1
                                        ; implicit-def: $vgpr2_vgpr3
.LBB168_1232:
	s_andn2_b64 vcc, exec, s[10:11]
	s_cbranch_vccnz .LBB168_1234
; %bb.1233:
	global_load_ushort v2, v[0:1], off
	s_waitcnt vmcnt(0)
	v_cvt_f64_u32_e32 v[2:3], v2
.LBB168_1234:
	s_mov_b64 s[10:11], 0
.LBB168_1235:
	s_andn2_b64 vcc, exec, s[10:11]
	s_cbranch_vccnz .LBB168_1245
; %bb.1236:
	global_load_ubyte v4, v[0:1], off
	s_movk_i32 s10, 0x7f
	s_waitcnt vmcnt(0)
	v_cmp_lt_i16_e32 vcc, s10, v4
	s_mov_b64 s[10:11], 0
	s_and_saveexec_b64 s[16:17], vcc
	s_xor_b64 s[16:17], exec, s[16:17]
	s_cbranch_execz .LBB168_1240
; %bb.1237:
	s_movk_i32 s10, 0x80
	v_cmp_eq_u16_e32 vcc, s10, v4
	s_mov_b64 s[10:11], -1
	s_and_saveexec_b64 s[18:19], vcc
; %bb.1238:
	s_xor_b64 s[10:11], exec, -1
; %bb.1239:
	s_or_b64 exec, exec, s[18:19]
	s_and_b64 s[10:11], s[10:11], exec
.LBB168_1240:
	s_or_saveexec_b64 s[16:17], s[16:17]
	v_bfrev_b32_e32 v2, 4
	v_mov_b32_e32 v3, 0x7ff80000
	s_xor_b64 exec, exec, s[16:17]
; %bb.1241:
	v_cmp_ne_u16_e32 vcc, 0, v4
	s_andn2_b64 s[10:11], s[10:11], exec
	s_and_b64 s[18:19], vcc, exec
	v_mov_b64_e32 v[2:3], 0
	s_or_b64 s[10:11], s[10:11], s[18:19]
; %bb.1242:
	s_or_b64 exec, exec, s[16:17]
	s_and_saveexec_b64 s[16:17], s[10:11]
	s_cbranch_execz .LBB168_1244
; %bb.1243:
	v_and_b32_e32 v3, 0xffff, v4
	v_lshlrev_b32_e32 v2, 24, v4
	v_and_b32_e32 v4, 7, v3
	v_ffbh_u32_e32 v7, v4
	v_min_u32_e32 v7, 32, v7
	v_subrev_u32_e32 v8, 28, v7
	v_bfe_u32 v5, v3, 3, 4
	v_lshlrev_b32_e32 v3, v8, v3
	v_sub_u32_e32 v7, 29, v7
	v_and_b32_e32 v3, 7, v3
	v_cmp_eq_u32_e32 vcc, 0, v5
	v_and_b32_e32 v2, 0x80000000, v2
	s_nop 0
	v_cndmask_b32_e32 v5, v5, v7, vcc
	v_cndmask_b32_e32 v3, v4, v3, vcc
	v_mov_b32_e32 v4, 0x3b800000
	v_lshlrev_b32_e32 v3, 20, v3
	v_lshl_add_u32 v4, v5, 23, v4
	v_or3_b32 v2, v2, v4, v3
	v_cvt_f64_f32_e32 v[2:3], v2
.LBB168_1244:
	s_or_b64 exec, exec, s[16:17]
.LBB168_1245:
	s_mov_b64 s[10:11], -1
	v_mov_b64_e32 v[4:5], 0
.LBB168_1246:
	s_branch .LBB168_1277
.LBB168_1247:
	s_cmp_gt_i32 s28, 22
	s_cbranch_scc0 .LBB168_1259
; %bb.1248:
	s_cmp_lt_i32 s28, 24
	s_cbranch_scc1 .LBB168_1260
; %bb.1249:
	s_cmp_gt_i32 s28, 24
	s_cbranch_scc0 .LBB168_1261
; %bb.1250:
	global_load_ubyte v4, v[0:1], off
	s_movk_i32 s2, 0x7f
	s_waitcnt vmcnt(0)
	v_cmp_lt_i16_e32 vcc, s2, v4
	s_mov_b64 s[2:3], 0
	s_and_saveexec_b64 s[10:11], vcc
	s_xor_b64 s[10:11], exec, s[10:11]
	s_cbranch_execz .LBB168_1254
; %bb.1251:
	s_movk_i32 s2, 0x80
	v_cmp_eq_u16_e32 vcc, s2, v4
	s_mov_b64 s[2:3], -1
	s_and_saveexec_b64 s[16:17], vcc
; %bb.1252:
	s_xor_b64 s[2:3], exec, -1
; %bb.1253:
	s_or_b64 exec, exec, s[16:17]
	s_and_b64 s[2:3], s[2:3], exec
.LBB168_1254:
	s_or_saveexec_b64 s[10:11], s[10:11]
	v_bfrev_b32_e32 v2, 4
	v_mov_b32_e32 v3, 0x7ff80000
	s_xor_b64 exec, exec, s[10:11]
; %bb.1255:
	v_cmp_ne_u16_e32 vcc, 0, v4
	s_andn2_b64 s[2:3], s[2:3], exec
	s_and_b64 s[16:17], vcc, exec
	v_mov_b64_e32 v[2:3], 0
	s_or_b64 s[2:3], s[2:3], s[16:17]
; %bb.1256:
	s_or_b64 exec, exec, s[10:11]
	s_and_saveexec_b64 s[10:11], s[2:3]
	s_cbranch_execz .LBB168_1258
; %bb.1257:
	v_and_b32_e32 v3, 0xffff, v4
	v_lshlrev_b32_e32 v2, 24, v4
	v_and_b32_e32 v4, 3, v3
	v_ffbh_u32_e32 v7, v4
	v_min_u32_e32 v7, 32, v7
	v_subrev_u32_e32 v8, 29, v7
	v_bfe_u32 v5, v3, 2, 5
	v_lshlrev_b32_e32 v3, v8, v3
	v_sub_u32_e32 v7, 30, v7
	v_and_b32_e32 v3, 3, v3
	v_cmp_eq_u32_e32 vcc, 0, v5
	v_and_b32_e32 v2, 0x80000000, v2
	s_nop 0
	v_cndmask_b32_e32 v5, v5, v7, vcc
	v_cndmask_b32_e32 v3, v4, v3, vcc
	v_mov_b32_e32 v4, 0x37800000
	v_lshlrev_b32_e32 v3, 21, v3
	v_lshl_add_u32 v4, v5, 23, v4
	v_or3_b32 v2, v2, v4, v3
	v_cvt_f64_f32_e32 v[2:3], v2
.LBB168_1258:
	s_or_b64 exec, exec, s[10:11]
	s_mov_b64 s[2:3], 0
	s_branch .LBB168_1262
.LBB168_1259:
                                        ; implicit-def: $vgpr2_vgpr3
	s_mov_b64 s[2:3], 0
	s_branch .LBB168_1268
.LBB168_1260:
	s_mov_b64 s[2:3], -1
                                        ; implicit-def: $vgpr2_vgpr3
	s_branch .LBB168_1265
.LBB168_1261:
	s_mov_b64 s[2:3], -1
                                        ; implicit-def: $vgpr2_vgpr3
.LBB168_1262:
	s_and_b64 vcc, exec, s[2:3]
	s_cbranch_vccz .LBB168_1264
; %bb.1263:
	global_load_ubyte v2, v[0:1], off
	s_mov_b32 s2, 0x7f800000
	s_waitcnt vmcnt(0)
	v_lshlrev_b32_e32 v2, 24, v2
	v_and_b32_e32 v3, 0x7f000000, v2
	v_ffbh_u32_e32 v4, v3
	v_min_u32_e32 v4, 32, v4
	v_sub_u32_e64 v4, v4, 4 clamp
	v_lshlrev_b32_e32 v7, v4, v3
	v_lshlrev_b32_e32 v4, 23, v4
	v_lshrrev_b32_e32 v7, 4, v7
	v_add_u32_e32 v5, 0x1000000, v3
	v_sub_u32_e32 v4, v7, v4
	v_ashrrev_i32_e32 v5, 8, v5
	v_add_u32_e32 v4, 0x3c000000, v4
	v_and_or_b32 v4, v5, s2, v4
	v_cmp_ne_u32_e32 vcc, 0, v3
	s_brev_b32 s2, 1
	s_nop 0
	v_cndmask_b32_e32 v3, 0, v4, vcc
	v_and_or_b32 v2, v2, s2, v3
	v_cvt_f64_f32_e32 v[2:3], v2
.LBB168_1264:
	s_mov_b64 s[2:3], 0
.LBB168_1265:
	s_andn2_b64 vcc, exec, s[2:3]
	s_cbranch_vccnz .LBB168_1267
; %bb.1266:
	global_load_ubyte v2, v[0:1], off
	s_movk_i32 s2, 0x7f00
	s_brev_b32 s3, 16
	s_waitcnt vmcnt(0)
	v_lshlrev_b16_e32 v3, 8, v2
	v_lshlrev_b32_e32 v2, 25, v2
	v_lshrrev_b32_e32 v4, 4, v2
	v_and_or_b32 v5, v3, s2, 0.5
	v_or_b32_e32 v4, 0x70000000, v4
	v_add_f32_e32 v5, -0.5, v5
	v_mul_f32_e32 v4, 0x7800000, v4
	v_cmp_gt_u32_e32 vcc, s3, v2
	v_bfe_i32 v3, v3, 0, 16
	s_brev_b32 s2, 1
	v_cndmask_b32_e32 v2, v4, v5, vcc
	v_and_or_b32 v2, v3, s2, v2
	v_cvt_f64_f32_e32 v[2:3], v2
.LBB168_1267:
	s_mov_b64 s[10:11], -1
	s_mov_b64 s[2:3], 0
	s_cbranch_execnz .LBB168_1276
.LBB168_1268:
	s_cmp_gt_i32 s28, 14
	s_cbranch_scc0 .LBB168_1271
; %bb.1269:
	s_cmp_eq_u32 s28, 15
	s_cbranch_scc0 .LBB168_1272
; %bb.1270:
	global_load_ushort v2, v[0:1], off
	s_mov_b64 s[0:1], 0
	s_mov_b64 s[10:11], -1
	s_waitcnt vmcnt(0)
	v_lshlrev_b32_e32 v2, 16, v2
	v_cvt_f64_f32_e32 v[2:3], v2
	s_branch .LBB168_1273
.LBB168_1271:
	s_mov_b64 s[16:17], -1
                                        ; implicit-def: $vgpr2_vgpr3
	s_branch .LBB168_1274
.LBB168_1272:
	s_mov_b64 s[0:1], -1
                                        ; implicit-def: $vgpr2_vgpr3
.LBB168_1273:
	s_mov_b64 s[16:17], 0
.LBB168_1274:
	s_and_b64 vcc, exec, s[16:17]
	s_cbranch_vccz .LBB168_1276
; %bb.1275:
	s_cmp_lg_u32 s28, 11
	s_mov_b64 s[2:3], -1
	s_cselect_b64 s[0:1], -1, 0
.LBB168_1276:
	v_mov_b64_e32 v[4:5], 0
.LBB168_1277:
	s_and_b64 vcc, exec, s[0:1]
	s_mov_b64 s[16:17], s[14:15]
	s_cbranch_vccnz .LBB168_1378
; %bb.1278:
	s_andn2_b64 vcc, exec, s[2:3]
	s_cbranch_vccnz .LBB168_1280
.LBB168_1279:
	global_load_ubyte v3, v[0:1], off
	v_mov_b32_e32 v4, 0x3ff00000
	v_mov_b32_e32 v2, 0
	s_mov_b64 s[10:11], -1
	s_waitcnt vmcnt(0)
	v_cmp_ne_u16_e32 vcc, 0, v3
	s_nop 1
	v_cndmask_b32_e32 v3, 0, v4, vcc
	v_mov_b64_e32 v[4:5], 0
.LBB168_1280:
	s_branch .LBB168_1206
.LBB168_1281:
	s_cmp_lt_i32 s28, 5
	s_cbranch_scc1 .LBB168_1286
; %bb.1282:
	s_cmp_lt_i32 s28, 8
	s_cbranch_scc1 .LBB168_1288
; %bb.1283:
	;; [unrolled: 3-line block ×3, first 2 shown]
	s_cmp_gt_i32 s28, 9
	s_cbranch_scc0 .LBB168_1290
; %bb.1285:
	global_load_dwordx4 v[2:5], v[0:1], off
	s_mov_b64 s[0:1], 0
	s_branch .LBB168_1291
.LBB168_1286:
                                        ; implicit-def: $vgpr4_vgpr5
	s_branch .LBB168_1309
.LBB168_1287:
	s_branch .LBB168_1328
.LBB168_1288:
                                        ; implicit-def: $vgpr4_vgpr5
	s_branch .LBB168_1297
.LBB168_1289:
	s_mov_b64 s[0:1], -1
                                        ; implicit-def: $vgpr4_vgpr5
	s_branch .LBB168_1294
.LBB168_1290:
	s_mov_b64 s[0:1], -1
                                        ; implicit-def: $vgpr4_vgpr5
.LBB168_1291:
	s_andn2_b64 vcc, exec, s[0:1]
	s_cbranch_vccnz .LBB168_1293
; %bb.1292:
	global_load_dwordx2 v[4:5], v[0:1], off
	s_waitcnt vmcnt(0)
	v_cvt_f64_f32_e32 v[2:3], v4
	v_cvt_f64_f32_e32 v[4:5], v5
.LBB168_1293:
	s_mov_b64 s[0:1], 0
.LBB168_1294:
	s_andn2_b64 vcc, exec, s[0:1]
	s_cbranch_vccnz .LBB168_1296
; %bb.1295:
	global_load_dword v2, v[0:1], off
	s_waitcnt vmcnt(0)
	v_cvt_f32_f16_e32 v3, v2
	v_cvt_f32_f16_sdwa v4, v2 dst_sel:DWORD dst_unused:UNUSED_PAD src0_sel:WORD_1
	v_cvt_f64_f32_e32 v[2:3], v3
	v_cvt_f64_f32_e32 v[4:5], v4
.LBB168_1296:
	s_cbranch_execnz .LBB168_1308
.LBB168_1297:
	s_cmp_lt_i32 s28, 6
	s_cbranch_scc1 .LBB168_1300
; %bb.1298:
	s_cmp_gt_i32 s28, 6
	s_cbranch_scc0 .LBB168_1301
; %bb.1299:
	global_load_dwordx2 v[2:3], v[0:1], off
	s_mov_b64 s[0:1], 0
	s_branch .LBB168_1302
.LBB168_1300:
	s_mov_b64 s[0:1], -1
                                        ; implicit-def: $vgpr2_vgpr3
	s_branch .LBB168_1305
.LBB168_1301:
	s_mov_b64 s[0:1], -1
                                        ; implicit-def: $vgpr2_vgpr3
.LBB168_1302:
	s_andn2_b64 vcc, exec, s[0:1]
	s_cbranch_vccnz .LBB168_1304
; %bb.1303:
	global_load_dword v2, v[0:1], off
	s_waitcnt vmcnt(0)
	v_cvt_f64_f32_e32 v[2:3], v2
.LBB168_1304:
	s_mov_b64 s[0:1], 0
.LBB168_1305:
	s_andn2_b64 vcc, exec, s[0:1]
	s_cbranch_vccnz .LBB168_1307
; %bb.1306:
	global_load_ushort v2, v[0:1], off
	s_waitcnt vmcnt(0)
	v_cvt_f32_f16_e32 v2, v2
	v_cvt_f64_f32_e32 v[2:3], v2
.LBB168_1307:
	s_waitcnt vmcnt(0)
	v_mov_b64_e32 v[4:5], 0
.LBB168_1308:
	s_cbranch_execnz .LBB168_1287
.LBB168_1309:
	s_cmp_lt_i32 s28, 2
	s_cbranch_scc1 .LBB168_1313
; %bb.1310:
	s_cmp_lt_i32 s28, 3
	s_cbranch_scc1 .LBB168_1314
; %bb.1311:
	s_cmp_gt_i32 s28, 3
	s_cbranch_scc0 .LBB168_1315
; %bb.1312:
	global_load_dwordx2 v[2:3], v[0:1], off
	s_mov_b64 s[0:1], 0
	s_waitcnt vmcnt(0)
	v_cvt_f64_i32_e32 v[4:5], v3
	v_cvt_f64_u32_e32 v[2:3], v2
	v_ldexp_f64 v[4:5], v[4:5], 32
	v_add_f64 v[2:3], v[4:5], v[2:3]
	s_branch .LBB168_1316
.LBB168_1313:
                                        ; implicit-def: $vgpr2_vgpr3
	s_branch .LBB168_1322
.LBB168_1314:
	s_mov_b64 s[0:1], -1
                                        ; implicit-def: $vgpr2_vgpr3
	s_branch .LBB168_1319
.LBB168_1315:
	s_mov_b64 s[0:1], -1
                                        ; implicit-def: $vgpr2_vgpr3
.LBB168_1316:
	s_andn2_b64 vcc, exec, s[0:1]
	s_cbranch_vccnz .LBB168_1318
; %bb.1317:
	global_load_dword v2, v[0:1], off
	s_waitcnt vmcnt(0)
	v_cvt_f64_i32_e32 v[2:3], v2
.LBB168_1318:
	s_mov_b64 s[0:1], 0
.LBB168_1319:
	s_andn2_b64 vcc, exec, s[0:1]
	s_cbranch_vccnz .LBB168_1321
; %bb.1320:
	global_load_sshort v2, v[0:1], off
	s_waitcnt vmcnt(0)
	v_cvt_f64_i32_e32 v[2:3], v2
.LBB168_1321:
	s_cbranch_execnz .LBB168_1327
.LBB168_1322:
	s_cmp_gt_i32 s28, 0
	s_cbranch_scc0 .LBB168_1324
; %bb.1323:
	global_load_sbyte v2, v[0:1], off
	s_mov_b64 s[0:1], 0
	s_waitcnt vmcnt(0)
	v_cvt_f64_i32_e32 v[2:3], v2
	s_branch .LBB168_1325
.LBB168_1324:
	s_mov_b64 s[0:1], -1
                                        ; implicit-def: $vgpr2_vgpr3
.LBB168_1325:
	s_andn2_b64 vcc, exec, s[0:1]
	s_cbranch_vccnz .LBB168_1327
; %bb.1326:
	global_load_ubyte v0, v[0:1], off
	s_waitcnt vmcnt(0)
	v_cvt_f64_u32_e32 v[2:3], v0
.LBB168_1327:
	s_waitcnt vmcnt(0)
	v_mov_b64_e32 v[4:5], 0
.LBB168_1328:
	s_waitcnt vmcnt(0)
	v_cmp_neq_f64_e32 vcc, 0, v[2:3]
	v_cmp_neq_f64_e64 s[0:1], 0, v[4:5]
	v_mov_b64_e32 v[8:9], 0
	s_or_b64 s[0:1], vcc, s[0:1]
	s_and_saveexec_b64 s[10:11], s[0:1]
	s_cbranch_execz .LBB168_1358
; %bb.1329:
	v_mov_b32_e32 v8, 0
	v_mov_b32_e32 v9, 0x7ff00000
	v_cmp_neq_f64_e64 s[0:1], |v[4:5]|, v[8:9]
	s_and_saveexec_b64 s[18:19], s[0:1]
	s_cbranch_execz .LBB168_1357
; %bb.1330:
	v_cmp_o_f64_e32 vcc, v[2:3], v[2:3]
                                        ; implicit-def: $vgpr8_vgpr9
	s_and_saveexec_b64 s[0:1], vcc
	s_xor_b64 s[20:21], exec, s[0:1]
	s_cbranch_execz .LBB168_1354
; %bb.1331:
	s_mov_b32 s0, 0
	s_mov_b32 s1, 0x7ff00000
	v_cmp_neq_f64_e64 s[0:1], |v[2:3]|, s[0:1]
                                        ; implicit-def: $vgpr8_vgpr9
	s_and_saveexec_b64 s[2:3], s[0:1]
	s_xor_b64 s[22:23], exec, s[2:3]
	s_cbranch_execz .LBB168_1347
; %bb.1332:
	v_max_f64 v[0:1], |v[4:5]|, |v[4:5]|
	v_max_f64 v[8:9], |v[2:3]|, |v[2:3]|
	s_mov_b32 s0, 0x99fcef32
	v_max_f64 v[0:1], v[8:9], v[0:1]
	s_mov_b32 s1, 0x7fda8279
	v_cmp_nle_f64_e64 s[0:1], s[0:1], v[0:1]
                                        ; implicit-def: $sgpr24_sgpr25
	s_and_saveexec_b64 s[2:3], s[0:1]
	s_xor_b64 s[2:3], exec, s[2:3]
	s_cbranch_execz .LBB168_1336
; %bb.1333:
	s_mov_b32 s24, 0
	s_mov_b32 s25, 0x200000
	v_cmp_le_f64_e64 s[26:27], |v[2:3]|, s[24:25]
	v_cmp_le_f64_e64 s[24:25], |v[4:5]|, s[24:25]
	s_and_b64 s[30:31], s[26:27], s[24:25]
	s_mov_b64 s[24:25], 0
	s_and_saveexec_b64 s[26:27], s[30:31]
; %bb.1334:
	s_mov_b64 s[24:25], exec
	v_mul_f64 v[4:5], v[4:5], 4.0
	v_mul_f64 v[2:3], v[2:3], 4.0
; %bb.1335:
	s_or_b64 exec, exec, s[26:27]
.LBB168_1336:
	s_andn2_saveexec_b64 s[2:3], s[2:3]
; %bb.1337:
	v_ldexp_f64 v[2:3], v[2:3], -2
	v_ldexp_f64 v[4:5], v[4:5], -2
	s_andn2_b64 s[24:25], s[24:25], exec
; %bb.1338:
	s_or_b64 exec, exec, s[2:3]
	v_max_f64 v[0:1], |v[4:5]|, |v[4:5]|
	v_max_f64 v[8:9], |v[2:3]|, |v[2:3]|
	v_max_f64 v[0:1], v[8:9], v[0:1]
	v_frexp_exp_i32_f64_e32 v7, v[0:1]
	v_sub_u32_e32 v8, 0, v7
	v_ldexp_f64 v[0:1], |v[2:3]|, v8
	v_ldexp_f64 v[8:9], |v[4:5]|, v8
	v_mul_f64 v[8:9], v[8:9], v[8:9]
	v_fmac_f64_e32 v[8:9], v[0:1], v[0:1]
	v_rsq_f64_e32 v[0:1], v[8:9]
	v_cmp_eq_f64_e64 s[2:3], 0, v[8:9]
	s_movk_i32 s26, 0x204
	v_cmp_le_f64_e32 vcc, 0, v[2:3]
	v_mul_f64 v[10:11], v[8:9], v[0:1]
	v_mul_f64 v[0:1], v[0:1], 0.5
	v_fma_f64 v[12:13], -v[0:1], v[10:11], 0.5
	v_fmac_f64_e32 v[10:11], v[10:11], v[12:13]
	v_fmac_f64_e32 v[0:1], v[0:1], v[12:13]
	v_fma_f64 v[12:13], -v[10:11], v[10:11], v[8:9]
	v_fmac_f64_e32 v[10:11], v[12:13], v[0:1]
	v_cndmask_b32_e64 v1, v11, v9, s[2:3]
	v_cndmask_b32_e64 v0, v10, v8, s[2:3]
	v_ldexp_f64 v[0:1], v[0:1], v7
	v_cmp_o_f64_e64 s[2:3], v[4:5], v[4:5]
	v_mov_b32_e32 v7, 0x7ff80000
                                        ; implicit-def: $vgpr10_vgpr11
	s_nop 0
	v_cndmask_b32_e64 v0, 0, v0, s[2:3]
	v_cndmask_b32_e64 v1, v7, v1, s[2:3]
	v_cmp_class_f64_e64 s[2:3], v[2:3], s26
	v_cmp_class_f64_e64 s[26:27], v[4:5], s26
	v_mov_b32_e32 v7, 0x7ff00000
	s_or_b64 s[2:3], s[26:27], s[2:3]
	v_cndmask_b32_e64 v9, v1, v7, s[2:3]
	v_cndmask_b32_e64 v8, v0, 0, s[2:3]
                                        ; implicit-def: $vgpr0_vgpr1
	s_and_saveexec_b64 s[2:3], vcc
	s_xor_b64 s[2:3], exec, s[2:3]
	s_cbranch_execz .LBB168_1340
; %bb.1339:
	v_add_f64 v[0:1], v[2:3], v[8:9]
	s_mov_b32 s26, 0
	v_mul_f64 v[0:1], v[0:1], 0.5
	s_brev_b32 s27, 8
	v_mov_b32_e32 v2, 0x100
	v_cmp_gt_f64_e32 vcc, s[26:27], v[0:1]
	v_mov_b32_e32 v7, 0x260
	s_nop 0
	v_cndmask_b32_e32 v2, 0, v2, vcc
	v_ldexp_f64 v[0:1], v[0:1], v2
	v_rsq_f64_e32 v[2:3], v[0:1]
	s_nop 0
	v_mul_f64 v[8:9], v[0:1], v[2:3]
	v_mul_f64 v[2:3], v[2:3], 0.5
	v_fma_f64 v[10:11], -v[2:3], v[8:9], 0.5
	v_fmac_f64_e32 v[8:9], v[8:9], v[10:11]
	v_fma_f64 v[12:13], -v[8:9], v[8:9], v[0:1]
	v_fmac_f64_e32 v[2:3], v[2:3], v[10:11]
	v_fmac_f64_e32 v[8:9], v[12:13], v[2:3]
	v_fma_f64 v[10:11], -v[8:9], v[8:9], v[0:1]
	v_fmac_f64_e32 v[8:9], v[10:11], v[2:3]
	v_mov_b32_e32 v2, 0xffffff80
	v_cndmask_b32_e32 v2, 0, v2, vcc
	v_ldexp_f64 v[2:3], v[8:9], v2
	v_cmp_class_f64_e32 vcc, v[0:1], v7
	s_nop 1
	v_cndmask_b32_e32 v11, v3, v1, vcc
	v_cndmask_b32_e32 v10, v2, v0, vcc
	v_add_f64 v[0:1], v[10:11], v[10:11]
	v_div_scale_f64 v[2:3], s[26:27], v[0:1], v[0:1], v[4:5]
	v_rcp_f64_e32 v[8:9], v[2:3]
	s_nop 0
	v_fma_f64 v[12:13], -v[2:3], v[8:9], 1.0
	v_fmac_f64_e32 v[8:9], v[8:9], v[12:13]
	v_fma_f64 v[12:13], -v[2:3], v[8:9], 1.0
	v_fmac_f64_e32 v[8:9], v[8:9], v[12:13]
	v_div_scale_f64 v[12:13], vcc, v[4:5], v[0:1], v[4:5]
	v_mul_f64 v[14:15], v[12:13], v[8:9]
	v_fma_f64 v[2:3], -v[2:3], v[14:15], v[12:13]
	s_nop 1
	v_div_fmas_f64 v[2:3], v[2:3], v[8:9], v[14:15]
	v_div_fixup_f64 v[0:1], v[2:3], v[0:1], v[4:5]
                                        ; implicit-def: $vgpr8_vgpr9
                                        ; implicit-def: $vgpr2_vgpr3
	s_andn2_saveexec_b64 s[2:3], s[2:3]
	s_cbranch_execz .LBB168_1342
	s_branch .LBB168_1341
.LBB168_1340:
	s_andn2_saveexec_b64 s[2:3], s[2:3]
	s_cbranch_execz .LBB168_1342
.LBB168_1341:
	v_add_f64 v[0:1], v[8:9], -v[2:3]
	s_mov_b32 s26, 0
	v_mul_f64 v[0:1], v[0:1], 0.5
	s_brev_b32 s27, 8
	v_mov_b32_e32 v2, 0x100
	v_cmp_gt_f64_e32 vcc, s[26:27], v[0:1]
	v_mov_b32_e32 v7, 0x260
	s_nop 0
	v_cndmask_b32_e32 v2, 0, v2, vcc
	v_ldexp_f64 v[0:1], v[0:1], v2
	v_rsq_f64_e32 v[2:3], v[0:1]
	s_nop 0
	v_mul_f64 v[8:9], v[0:1], v[2:3]
	v_mul_f64 v[2:3], v[2:3], 0.5
	v_fma_f64 v[10:11], -v[2:3], v[8:9], 0.5
	v_fmac_f64_e32 v[8:9], v[8:9], v[10:11]
	v_fma_f64 v[12:13], -v[8:9], v[8:9], v[0:1]
	v_fmac_f64_e32 v[2:3], v[2:3], v[10:11]
	v_fmac_f64_e32 v[8:9], v[12:13], v[2:3]
	v_fma_f64 v[10:11], -v[8:9], v[8:9], v[0:1]
	v_fmac_f64_e32 v[8:9], v[10:11], v[2:3]
	v_mov_b32_e32 v2, 0xffffff80
	v_cndmask_b32_e32 v2, 0, v2, vcc
	v_ldexp_f64 v[2:3], v[8:9], v2
	v_cmp_class_f64_e32 vcc, v[0:1], v7
	v_and_b32_e32 v9, 0x7fffffff, v5
	v_mov_b32_e32 v8, v4
	v_cndmask_b32_e32 v1, v3, v1, vcc
	v_cndmask_b32_e32 v0, v2, v0, vcc
	v_add_f64 v[2:3], v[0:1], v[0:1]
	v_div_scale_f64 v[10:11], s[26:27], v[2:3], v[2:3], v[8:9]
	v_rcp_f64_e32 v[12:13], v[10:11]
	v_div_scale_f64 v[8:9], vcc, v[8:9], v[2:3], v[8:9]
	s_brev_b32 s26, -2
	v_fma_f64 v[14:15], -v[10:11], v[12:13], 1.0
	v_fmac_f64_e32 v[12:13], v[12:13], v[14:15]
	v_fma_f64 v[14:15], -v[10:11], v[12:13], 1.0
	v_fmac_f64_e32 v[12:13], v[12:13], v[14:15]
	v_mul_f64 v[14:15], v[8:9], v[12:13]
	v_fma_f64 v[8:9], -v[10:11], v[14:15], v[8:9]
	v_div_fmas_f64 v[8:9], v[8:9], v[12:13], v[14:15]
	v_div_fixup_f64 v[10:11], v[8:9], v[2:3], |v[4:5]|
	v_bfi_b32 v1, s26, v1, v5
.LBB168_1342:
	s_or_b64 exec, exec, s[2:3]
                                        ; implicit-def: $vgpr4_vgpr5
                                        ; implicit-def: $vgpr8_vgpr9
	s_and_saveexec_b64 s[2:3], s[0:1]
	s_xor_b64 s[0:1], exec, s[2:3]
	s_cbranch_execz .LBB168_1344
; %bb.1343:
	v_mul_f64 v[2:3], v[10:11], 0.5
	v_mul_f64 v[4:5], v[0:1], 0.5
	v_cndmask_b32_e64 v9, v11, v3, s[24:25]
	v_cndmask_b32_e64 v8, v10, v2, s[24:25]
	;; [unrolled: 1-line block ×4, first 2 shown]
                                        ; implicit-def: $vgpr10_vgpr11
                                        ; implicit-def: $vgpr0_vgpr1
	s_andn2_saveexec_b64 s[0:1], s[0:1]
	s_cbranch_execnz .LBB168_1345
	s_branch .LBB168_1346
.LBB168_1344:
	s_andn2_saveexec_b64 s[0:1], s[0:1]
.LBB168_1345:
	v_add_f64 v[8:9], v[10:11], v[10:11]
	v_add_f64 v[4:5], v[0:1], v[0:1]
.LBB168_1346:
	s_or_b64 exec, exec, s[0:1]
.LBB168_1347:
	s_andn2_saveexec_b64 s[0:1], s[22:23]
	s_cbranch_execz .LBB168_1353
; %bb.1348:
	v_add_f64 v[0:1], v[4:5], -v[4:5]
	v_cmp_lt_i64_e32 vcc, -1, v[2:3]
	s_brev_b32 s22, -2
	v_and_b32_e32 v9, 0x7fffffff, v1
	v_mov_b32_e32 v8, v0
	s_and_saveexec_b64 s[2:3], vcc
	s_xor_b64 s[2:3], exec, s[2:3]
; %bb.1349:
	v_bfi_b32 v1, s22, v1, v5
	v_mov_b64_e32 v[4:5], v[0:1]
	v_mov_b64_e32 v[8:9], v[2:3]
; %bb.1350:
	s_andn2_saveexec_b64 s[2:3], s[2:3]
; %bb.1351:
	v_bfi_b32 v3, s22, v3, v5
	v_mov_b64_e32 v[4:5], v[2:3]
; %bb.1352:
	s_or_b64 exec, exec, s[2:3]
.LBB168_1353:
	s_or_b64 exec, exec, s[0:1]
.LBB168_1354:
	s_andn2_saveexec_b64 s[0:1], s[20:21]
	s_cbranch_execz .LBB168_1356
; %bb.1355:
	v_add_f64 v[0:1], v[4:5], -v[4:5]
	v_div_scale_f64 v[4:5], vcc, v[0:1], v[0:1], v[0:1]
	v_rcp_f64_e32 v[8:9], v[4:5]
	s_nop 0
	v_fma_f64 v[10:11], -v[4:5], v[8:9], 1.0
	v_fmac_f64_e32 v[8:9], v[8:9], v[10:11]
	v_fma_f64 v[10:11], -v[4:5], v[8:9], 1.0
	v_fmac_f64_e32 v[8:9], v[8:9], v[10:11]
	v_mul_f64 v[10:11], v[4:5], v[8:9]
	v_fma_f64 v[4:5], -v[4:5], v[10:11], v[4:5]
	v_div_fmas_f64 v[4:5], v[4:5], v[8:9], v[10:11]
	v_div_fixup_f64 v[4:5], v[4:5], v[0:1], v[0:1]
	v_mov_b64_e32 v[8:9], v[2:3]
.LBB168_1356:
	s_or_b64 exec, exec, s[0:1]
.LBB168_1357:
	s_or_b64 exec, exec, s[18:19]
.LBB168_1358:
	s_or_b64 exec, exec, s[10:11]
	v_xor_b32_e32 v0, 0x80000000, v9
	v_cmp_gt_f64_e32 vcc, 0, v[8:9]
	v_mov_b32_e32 v12, v8
	v_mov_b32_e32 v10, v4
	v_cndmask_b32_e32 v13, v9, v0, vcc
	v_xor_b32_e32 v0, 0x80000000, v5
	v_cmp_gt_f64_e32 vcc, 0, v[4:5]
	s_nop 1
	v_cndmask_b32_e32 v11, v5, v0, vcc
	v_cmp_ge_f64_e32 vcc, v[12:13], v[10:11]
                                        ; implicit-def: $vgpr2_vgpr3
	s_and_saveexec_b64 s[0:1], vcc
	s_xor_b64 s[2:3], exec, s[0:1]
	s_cbranch_execz .LBB168_1364
; %bb.1359:
	v_cmp_neq_f64_e32 vcc, 0, v[8:9]
	v_cmp_neq_f64_e64 s[0:1], 0, v[4:5]
	s_or_b64 s[0:1], vcc, s[0:1]
                                        ; implicit-def: $vgpr2_vgpr3
	s_and_saveexec_b64 s[10:11], s[0:1]
	s_xor_b64 s[0:1], exec, s[10:11]
	s_cbranch_execz .LBB168_1361
; %bb.1360:
	v_div_scale_f64 v[0:1], s[10:11], v[8:9], v[8:9], v[4:5]
	v_rcp_f64_e32 v[2:3], v[0:1]
	v_div_scale_f64 v[10:11], vcc, v[4:5], v[8:9], v[4:5]
	v_fma_f64 v[12:13], -v[0:1], v[2:3], 1.0
	v_fmac_f64_e32 v[2:3], v[2:3], v[12:13]
	v_fma_f64 v[12:13], -v[0:1], v[2:3], 1.0
	v_fmac_f64_e32 v[2:3], v[2:3], v[12:13]
	v_mul_f64 v[12:13], v[10:11], v[2:3]
	v_fma_f64 v[0:1], -v[0:1], v[12:13], v[10:11]
	v_div_fmas_f64 v[0:1], v[0:1], v[2:3], v[12:13]
	v_div_fixup_f64 v[2:3], v[0:1], v[8:9], v[4:5]
	v_fmac_f64_e32 v[8:9], v[4:5], v[2:3]
	v_div_scale_f64 v[0:1], s[10:11], v[8:9], v[8:9], 1.0
	v_rcp_f64_e32 v[4:5], v[0:1]
	s_nop 0
	v_fma_f64 v[10:11], -v[0:1], v[4:5], 1.0
	v_fmac_f64_e32 v[4:5], v[4:5], v[10:11]
	v_fma_f64 v[10:11], -v[0:1], v[4:5], 1.0
	v_fmac_f64_e32 v[4:5], v[4:5], v[10:11]
	v_div_scale_f64 v[10:11], vcc, 1.0, v[8:9], 1.0
	v_mul_f64 v[12:13], v[10:11], v[4:5]
	v_fma_f64 v[0:1], -v[0:1], v[12:13], v[10:11]
                                        ; implicit-def: $vgpr10_vgpr11
	s_nop 1
	v_div_fmas_f64 v[0:1], v[0:1], v[4:5], v[12:13]
	v_div_fixup_f64 v[4:5], v[0:1], v[8:9], 1.0
	v_fma_f64 v[0:1], v[2:3], 0, 1.0
	v_add_f64 v[2:3], -v[2:3], 0
	v_mul_f64 v[0:1], v[0:1], v[4:5]
	v_mul_f64 v[2:3], v[2:3], v[4:5]
                                        ; implicit-def: $vgpr12_vgpr13
.LBB168_1361:
	s_andn2_saveexec_b64 s[0:1], s[0:1]
	s_cbranch_execz .LBB168_1363
; %bb.1362:
	v_div_scale_f64 v[0:1], s[10:11], v[12:13], v[12:13], 1.0
	v_rcp_f64_e32 v[2:3], v[0:1]
	v_div_scale_f64 v[4:5], vcc, 1.0, v[12:13], 1.0
	v_fma_f64 v[8:9], -v[0:1], v[2:3], 1.0
	v_fmac_f64_e32 v[2:3], v[2:3], v[8:9]
	v_fma_f64 v[8:9], -v[0:1], v[2:3], 1.0
	v_fmac_f64_e32 v[2:3], v[2:3], v[8:9]
	v_mul_f64 v[8:9], v[4:5], v[2:3]
	v_fma_f64 v[0:1], -v[0:1], v[8:9], v[4:5]
	v_div_scale_f64 v[4:5], s[10:11], v[10:11], v[10:11], 0
	v_rcp_f64_e32 v[14:15], v[4:5]
	v_div_fmas_f64 v[0:1], v[0:1], v[2:3], v[8:9]
	v_div_fixup_f64 v[0:1], v[0:1], v[12:13], 1.0
	v_fma_f64 v[2:3], -v[4:5], v[14:15], 1.0
	v_fmac_f64_e32 v[14:15], v[14:15], v[2:3]
	v_fma_f64 v[2:3], -v[4:5], v[14:15], 1.0
	v_fmac_f64_e32 v[14:15], v[14:15], v[2:3]
	v_div_scale_f64 v[2:3], vcc, 0, v[10:11], 0
	v_mul_f64 v[8:9], v[2:3], v[14:15]
	v_fma_f64 v[2:3], -v[4:5], v[8:9], v[2:3]
	s_nop 1
	v_div_fmas_f64 v[2:3], v[2:3], v[14:15], v[8:9]
	v_div_fixup_f64 v[2:3], v[2:3], v[10:11], 0
.LBB168_1363:
	s_or_b64 exec, exec, s[0:1]
                                        ; implicit-def: $vgpr4_vgpr5
                                        ; implicit-def: $vgpr8_vgpr9
.LBB168_1364:
	s_andn2_saveexec_b64 s[0:1], s[2:3]
	s_cbranch_execz .LBB168_1366
; %bb.1365:
	v_div_scale_f64 v[0:1], s[2:3], v[4:5], v[4:5], v[8:9]
	v_rcp_f64_e32 v[2:3], v[0:1]
	v_div_scale_f64 v[10:11], vcc, v[8:9], v[4:5], v[8:9]
	v_fma_f64 v[12:13], -v[0:1], v[2:3], 1.0
	v_fmac_f64_e32 v[2:3], v[2:3], v[12:13]
	v_fma_f64 v[12:13], -v[0:1], v[2:3], 1.0
	v_fmac_f64_e32 v[2:3], v[2:3], v[12:13]
	v_mul_f64 v[12:13], v[10:11], v[2:3]
	v_fma_f64 v[0:1], -v[0:1], v[12:13], v[10:11]
	v_div_fmas_f64 v[0:1], v[0:1], v[2:3], v[12:13]
	v_div_fixup_f64 v[2:3], v[0:1], v[4:5], v[8:9]
	v_fmac_f64_e32 v[4:5], v[8:9], v[2:3]
	v_div_scale_f64 v[0:1], s[2:3], v[4:5], v[4:5], 1.0
	v_rcp_f64_e32 v[8:9], v[0:1]
	s_nop 0
	v_fma_f64 v[10:11], -v[0:1], v[8:9], 1.0
	v_fmac_f64_e32 v[8:9], v[8:9], v[10:11]
	v_fma_f64 v[10:11], -v[0:1], v[8:9], 1.0
	v_fmac_f64_e32 v[8:9], v[8:9], v[10:11]
	v_div_scale_f64 v[10:11], vcc, 1.0, v[4:5], 1.0
	v_mul_f64 v[12:13], v[10:11], v[8:9]
	v_fma_f64 v[0:1], -v[0:1], v[12:13], v[10:11]
	s_nop 1
	v_div_fmas_f64 v[0:1], v[0:1], v[8:9], v[12:13]
	v_div_fixup_f64 v[4:5], v[0:1], v[4:5], 1.0
	v_add_f64 v[0:1], v[2:3], 0
	v_fma_f64 v[2:3], v[2:3], 0, -1.0
	v_mul_f64 v[0:1], v[0:1], v[4:5]
	v_mul_f64 v[2:3], v[2:3], v[4:5]
.LBB168_1366:
	s_or_b64 exec, exec, s[0:1]
	s_lshl_b32 s9, s9, 7
	v_add_u32_e32 v10, s9, v6
	v_ashrrev_i32_e32 v11, 31, v10
	s_cmp_lt_i32 s28, 11
	v_lshl_add_u64 v[4:5], s[6:7], 0, v[10:11]
	s_cbranch_scc1 .LBB168_1373
; %bb.1367:
	s_cmp_gt_i32 s28, 25
	s_mov_b64 s[2:3], 0
	s_cbranch_scc0 .LBB168_1375
; %bb.1368:
	s_cmp_gt_i32 s28, 28
	s_cbranch_scc0 .LBB168_1376
; %bb.1369:
	s_cmp_gt_i32 s28, 43
	;; [unrolled: 3-line block ×3, first 2 shown]
	s_cbranch_scc0 .LBB168_1379
; %bb.1371:
	s_cmp_eq_u32 s28, 46
	s_mov_b64 s[18:19], 0
	s_cbranch_scc0 .LBB168_1382
; %bb.1372:
	global_load_dword v6, v[4:5], off
	s_mov_b64 s[0:1], 0
	s_mov_b64 s[10:11], -1
	s_waitcnt vmcnt(0)
	v_and_b32_e32 v8, 0xffff0000, v6
	v_lshlrev_b32_e32 v6, 16, v6
	v_cvt_f64_f32_e32 v[6:7], v6
	v_cvt_f64_f32_e32 v[8:9], v8
	s_branch .LBB168_1383
.LBB168_1373:
	s_mov_b64 s[10:11], 0
                                        ; implicit-def: $vgpr8_vgpr9
	s_cbranch_execnz .LBB168_1451
.LBB168_1374:
	s_andn2_b64 vcc, exec, s[10:11]
	s_cbranch_vccnz .LBB168_1857
	s_branch .LBB168_1500
.LBB168_1375:
	s_mov_b64 s[10:11], 0
	s_mov_b64 s[0:1], 0
                                        ; implicit-def: $vgpr8_vgpr9
	s_cbranch_execnz .LBB168_1416
	s_branch .LBB168_1447
.LBB168_1376:
	s_mov_b64 s[18:19], -1
	s_mov_b64 s[10:11], 0
	s_mov_b64 s[0:1], 0
                                        ; implicit-def: $vgpr8_vgpr9
	s_branch .LBB168_1395
.LBB168_1377:
	s_mov_b64 s[18:19], -1
	s_mov_b64 s[10:11], 0
	s_mov_b64 s[0:1], 0
                                        ; implicit-def: $vgpr8_vgpr9
	s_branch .LBB168_1389
.LBB168_1378:
	s_trap 2
	s_or_b64 s[16:17], s[14:15], exec
	s_cbranch_execz .LBB168_1279
	s_branch .LBB168_1280
.LBB168_1379:
	s_mov_b64 s[18:19], -1
	s_mov_b64 s[10:11], 0
	s_mov_b64 s[0:1], 0
                                        ; implicit-def: $vgpr8_vgpr9
	s_branch .LBB168_1383
.LBB168_1380:
	s_andn2_saveexec_b64 s[24:25], s[24:25]
	s_cbranch_execz .LBB168_1122
.LBB168_1381:
	s_mov_b32 s28, 0x42800000
	v_add_f32_e64 v1, |v0|, s28
	v_and_b32_e32 v1, 0xff, v1
	v_cmp_ne_u32_e32 vcc, 0, v1
	s_andn2_b64 s[22:23], s[22:23], exec
	s_and_b64 s[28:29], vcc, exec
	s_or_b64 s[22:23], s[22:23], s[28:29]
	s_or_b64 exec, exec, s[24:25]
	v_mov_b32_e32 v2, 0
	s_and_saveexec_b64 s[24:25], s[22:23]
	s_cbranch_execnz .LBB168_1123
	s_branch .LBB168_1124
.LBB168_1382:
	s_mov_b64 s[0:1], -1
                                        ; implicit-def: $vgpr8_vgpr9
	s_mov_b64 s[10:11], 0
.LBB168_1383:
	s_and_b64 vcc, exec, s[18:19]
	s_cbranch_vccz .LBB168_1388
; %bb.1384:
	s_cmp_eq_u32 s28, 44
	s_cbranch_scc0 .LBB168_1386
; %bb.1385:
	global_load_ubyte v8, v[4:5], off
	s_movk_i32 s10, 0xff
	v_bfrev_b32_e32 v9, 4
	v_mov_b32_e32 v11, 0x7ff80000
	v_bfrev_b32_e32 v12, 28
	s_mov_b64 s[0:1], 0
	s_waitcnt vmcnt(0)
	v_lshlrev_b32_e32 v6, 23, v8
	v_cvt_f64_f32_e32 v[6:7], v6
	v_cmp_ne_u32_e32 vcc, s10, v8
	s_mov_b64 s[10:11], -1
	s_nop 0
	v_cndmask_b32_e32 v6, v9, v6, vcc
	v_cndmask_b32_e32 v7, v11, v7, vcc
	v_cmp_ne_u32_e32 vcc, 0, v8
	s_nop 1
	v_cndmask_b32_e32 v7, v12, v7, vcc
	v_cndmask_b32_e32 v6, 0, v6, vcc
	s_branch .LBB168_1387
.LBB168_1386:
	s_mov_b64 s[0:1], -1
                                        ; implicit-def: $vgpr6_vgpr7
.LBB168_1387:
	v_mov_b64_e32 v[8:9], 0
.LBB168_1388:
	s_mov_b64 s[18:19], 0
.LBB168_1389:
	s_and_b64 vcc, exec, s[18:19]
	s_cbranch_vccz .LBB168_1394
; %bb.1390:
	s_cmp_eq_u32 s28, 29
	s_cbranch_scc0 .LBB168_1392
; %bb.1391:
	global_load_dwordx2 v[6:7], v[4:5], off
	s_mov_b64 s[0:1], 0
	s_mov_b64 s[10:11], -1
	s_waitcnt vmcnt(0)
	v_cvt_f64_u32_e32 v[8:9], v7
	v_cvt_f64_u32_e32 v[6:7], v6
	v_ldexp_f64 v[8:9], v[8:9], 32
	v_add_f64 v[6:7], v[8:9], v[6:7]
	s_branch .LBB168_1393
.LBB168_1392:
	s_mov_b64 s[0:1], -1
                                        ; implicit-def: $vgpr6_vgpr7
.LBB168_1393:
	v_mov_b64_e32 v[8:9], 0
.LBB168_1394:
	s_mov_b64 s[18:19], 0
.LBB168_1395:
	s_and_b64 vcc, exec, s[18:19]
	s_cbranch_vccz .LBB168_1415
; %bb.1396:
	s_cmp_lt_i32 s28, 27
	s_cbranch_scc1 .LBB168_1399
; %bb.1397:
	s_cmp_gt_i32 s28, 27
	s_cbranch_scc0 .LBB168_1400
; %bb.1398:
	global_load_dword v6, v[4:5], off
	s_mov_b64 s[10:11], 0
	s_waitcnt vmcnt(0)
	v_cvt_f64_u32_e32 v[6:7], v6
	s_branch .LBB168_1401
.LBB168_1399:
	s_mov_b64 s[10:11], -1
                                        ; implicit-def: $vgpr6_vgpr7
	s_branch .LBB168_1404
.LBB168_1400:
	s_mov_b64 s[10:11], -1
                                        ; implicit-def: $vgpr6_vgpr7
.LBB168_1401:
	s_andn2_b64 vcc, exec, s[10:11]
	s_cbranch_vccnz .LBB168_1403
; %bb.1402:
	global_load_ushort v6, v[4:5], off
	s_waitcnt vmcnt(0)
	v_cvt_f64_u32_e32 v[6:7], v6
.LBB168_1403:
	s_mov_b64 s[10:11], 0
.LBB168_1404:
	s_andn2_b64 vcc, exec, s[10:11]
	s_cbranch_vccnz .LBB168_1414
; %bb.1405:
	global_load_ubyte v8, v[4:5], off
	s_movk_i32 s10, 0x7f
	s_waitcnt vmcnt(0)
	v_cmp_lt_i16_e32 vcc, s10, v8
	s_mov_b64 s[10:11], 0
	s_and_saveexec_b64 s[18:19], vcc
	s_xor_b64 s[18:19], exec, s[18:19]
	s_cbranch_execz .LBB168_1409
; %bb.1406:
	s_movk_i32 s10, 0x80
	v_cmp_eq_u16_e32 vcc, s10, v8
	s_mov_b64 s[10:11], -1
	s_and_saveexec_b64 s[20:21], vcc
; %bb.1407:
	s_xor_b64 s[10:11], exec, -1
; %bb.1408:
	s_or_b64 exec, exec, s[20:21]
	s_and_b64 s[10:11], s[10:11], exec
.LBB168_1409:
	s_or_saveexec_b64 s[18:19], s[18:19]
	v_bfrev_b32_e32 v6, 4
	v_mov_b32_e32 v7, 0x7ff80000
	s_xor_b64 exec, exec, s[18:19]
; %bb.1410:
	v_cmp_ne_u16_e32 vcc, 0, v8
	s_andn2_b64 s[10:11], s[10:11], exec
	s_and_b64 s[20:21], vcc, exec
	v_mov_b64_e32 v[6:7], 0
	s_or_b64 s[10:11], s[10:11], s[20:21]
; %bb.1411:
	s_or_b64 exec, exec, s[18:19]
	s_and_saveexec_b64 s[18:19], s[10:11]
	s_cbranch_execz .LBB168_1413
; %bb.1412:
	v_and_b32_e32 v7, 0xffff, v8
	v_lshlrev_b32_e32 v6, 24, v8
	v_and_b32_e32 v8, 7, v7
	v_ffbh_u32_e32 v11, v8
	v_min_u32_e32 v11, 32, v11
	v_subrev_u32_e32 v12, 28, v11
	v_bfe_u32 v9, v7, 3, 4
	v_lshlrev_b32_e32 v7, v12, v7
	v_sub_u32_e32 v11, 29, v11
	v_and_b32_e32 v7, 7, v7
	v_cmp_eq_u32_e32 vcc, 0, v9
	v_and_b32_e32 v6, 0x80000000, v6
	s_nop 0
	v_cndmask_b32_e32 v9, v9, v11, vcc
	v_cndmask_b32_e32 v7, v8, v7, vcc
	v_mov_b32_e32 v8, 0x3b800000
	v_lshlrev_b32_e32 v7, 20, v7
	v_lshl_add_u32 v8, v9, 23, v8
	v_or3_b32 v6, v6, v8, v7
	v_cvt_f64_f32_e32 v[6:7], v6
.LBB168_1413:
	s_or_b64 exec, exec, s[18:19]
.LBB168_1414:
	s_mov_b64 s[10:11], -1
	v_mov_b64_e32 v[8:9], 0
.LBB168_1415:
	s_branch .LBB168_1447
.LBB168_1416:
	s_cmp_gt_i32 s28, 22
	s_cbranch_scc0 .LBB168_1428
; %bb.1417:
	s_cmp_lt_i32 s28, 24
	s_cbranch_scc1 .LBB168_1429
; %bb.1418:
	s_cmp_gt_i32 s28, 24
	s_cbranch_scc0 .LBB168_1430
; %bb.1419:
	global_load_ubyte v8, v[4:5], off
	s_movk_i32 s2, 0x7f
	s_waitcnt vmcnt(0)
	v_cmp_lt_i16_e32 vcc, s2, v8
	s_mov_b64 s[2:3], 0
	s_and_saveexec_b64 s[10:11], vcc
	s_xor_b64 s[10:11], exec, s[10:11]
	s_cbranch_execz .LBB168_1423
; %bb.1420:
	s_movk_i32 s2, 0x80
	v_cmp_eq_u16_e32 vcc, s2, v8
	s_mov_b64 s[2:3], -1
	s_and_saveexec_b64 s[18:19], vcc
; %bb.1421:
	s_xor_b64 s[2:3], exec, -1
; %bb.1422:
	s_or_b64 exec, exec, s[18:19]
	s_and_b64 s[2:3], s[2:3], exec
.LBB168_1423:
	s_or_saveexec_b64 s[10:11], s[10:11]
	v_bfrev_b32_e32 v6, 4
	v_mov_b32_e32 v7, 0x7ff80000
	s_xor_b64 exec, exec, s[10:11]
; %bb.1424:
	v_cmp_ne_u16_e32 vcc, 0, v8
	s_andn2_b64 s[2:3], s[2:3], exec
	s_and_b64 s[18:19], vcc, exec
	v_mov_b64_e32 v[6:7], 0
	s_or_b64 s[2:3], s[2:3], s[18:19]
; %bb.1425:
	s_or_b64 exec, exec, s[10:11]
	s_and_saveexec_b64 s[10:11], s[2:3]
	s_cbranch_execz .LBB168_1427
; %bb.1426:
	v_and_b32_e32 v7, 0xffff, v8
	v_lshlrev_b32_e32 v6, 24, v8
	v_and_b32_e32 v8, 3, v7
	v_ffbh_u32_e32 v11, v8
	v_min_u32_e32 v11, 32, v11
	v_subrev_u32_e32 v12, 29, v11
	v_bfe_u32 v9, v7, 2, 5
	v_lshlrev_b32_e32 v7, v12, v7
	v_sub_u32_e32 v11, 30, v11
	v_and_b32_e32 v7, 3, v7
	v_cmp_eq_u32_e32 vcc, 0, v9
	v_and_b32_e32 v6, 0x80000000, v6
	s_nop 0
	v_cndmask_b32_e32 v9, v9, v11, vcc
	v_cndmask_b32_e32 v7, v8, v7, vcc
	v_mov_b32_e32 v8, 0x37800000
	v_lshlrev_b32_e32 v7, 21, v7
	v_lshl_add_u32 v8, v9, 23, v8
	v_or3_b32 v6, v6, v8, v7
	v_cvt_f64_f32_e32 v[6:7], v6
.LBB168_1427:
	s_or_b64 exec, exec, s[10:11]
	s_mov_b64 s[2:3], 0
	s_branch .LBB168_1431
.LBB168_1428:
	s_mov_b64 s[2:3], -1
                                        ; implicit-def: $vgpr6_vgpr7
	s_branch .LBB168_1437
.LBB168_1429:
	s_mov_b64 s[2:3], -1
                                        ; implicit-def: $vgpr6_vgpr7
	s_branch .LBB168_1434
.LBB168_1430:
	s_mov_b64 s[2:3], -1
                                        ; implicit-def: $vgpr6_vgpr7
.LBB168_1431:
	s_and_b64 vcc, exec, s[2:3]
	s_cbranch_vccz .LBB168_1433
; %bb.1432:
	global_load_ubyte v6, v[4:5], off
	s_mov_b32 s2, 0x7f800000
	s_waitcnt vmcnt(0)
	v_lshlrev_b32_e32 v6, 24, v6
	v_and_b32_e32 v7, 0x7f000000, v6
	v_ffbh_u32_e32 v8, v7
	v_min_u32_e32 v8, 32, v8
	v_sub_u32_e64 v8, v8, 4 clamp
	v_lshlrev_b32_e32 v11, v8, v7
	v_lshlrev_b32_e32 v8, 23, v8
	v_lshrrev_b32_e32 v11, 4, v11
	v_add_u32_e32 v9, 0x1000000, v7
	v_sub_u32_e32 v8, v11, v8
	v_ashrrev_i32_e32 v9, 8, v9
	v_add_u32_e32 v8, 0x3c000000, v8
	v_and_or_b32 v8, v9, s2, v8
	v_cmp_ne_u32_e32 vcc, 0, v7
	s_brev_b32 s2, 1
	s_nop 0
	v_cndmask_b32_e32 v7, 0, v8, vcc
	v_and_or_b32 v6, v6, s2, v7
	v_cvt_f64_f32_e32 v[6:7], v6
.LBB168_1433:
	s_mov_b64 s[2:3], 0
.LBB168_1434:
	s_andn2_b64 vcc, exec, s[2:3]
	s_cbranch_vccnz .LBB168_1436
; %bb.1435:
	global_load_ubyte v6, v[4:5], off
	s_movk_i32 s2, 0x7f00
	s_brev_b32 s3, 16
	s_waitcnt vmcnt(0)
	v_lshlrev_b16_e32 v7, 8, v6
	v_lshlrev_b32_e32 v6, 25, v6
	v_lshrrev_b32_e32 v8, 4, v6
	v_and_or_b32 v9, v7, s2, 0.5
	v_or_b32_e32 v8, 0x70000000, v8
	v_add_f32_e32 v9, -0.5, v9
	v_mul_f32_e32 v8, 0x7800000, v8
	v_cmp_gt_u32_e32 vcc, s3, v6
	v_bfe_i32 v7, v7, 0, 16
	s_brev_b32 s2, 1
	v_cndmask_b32_e32 v6, v8, v9, vcc
	v_and_or_b32 v6, v7, s2, v6
	v_cvt_f64_f32_e32 v[6:7], v6
.LBB168_1436:
	s_mov_b64 s[2:3], 0
	s_mov_b64 s[10:11], -1
.LBB168_1437:
	s_andn2_b64 vcc, exec, s[2:3]
	s_mov_b64 s[2:3], 0
	s_cbranch_vccnz .LBB168_1446
; %bb.1438:
	s_cmp_gt_i32 s28, 14
	s_cbranch_scc0 .LBB168_1441
; %bb.1439:
	s_cmp_eq_u32 s28, 15
	s_cbranch_scc0 .LBB168_1442
; %bb.1440:
	global_load_ushort v6, v[4:5], off
	s_mov_b64 s[0:1], 0
	s_mov_b64 s[10:11], -1
	s_waitcnt vmcnt(0)
	v_lshlrev_b32_e32 v6, 16, v6
	v_cvt_f64_f32_e32 v[6:7], v6
	s_branch .LBB168_1443
.LBB168_1441:
	s_mov_b64 s[18:19], -1
                                        ; implicit-def: $vgpr6_vgpr7
	s_branch .LBB168_1444
.LBB168_1442:
	s_mov_b64 s[0:1], -1
                                        ; implicit-def: $vgpr6_vgpr7
.LBB168_1443:
	s_mov_b64 s[18:19], 0
.LBB168_1444:
	s_and_b64 vcc, exec, s[18:19]
	s_cbranch_vccz .LBB168_1446
; %bb.1445:
	s_cmp_lg_u32 s28, 11
	s_mov_b64 s[2:3], -1
	s_cselect_b64 s[0:1], -1, 0
.LBB168_1446:
	v_mov_b64_e32 v[8:9], 0
.LBB168_1447:
	s_and_b64 vcc, exec, s[0:1]
	s_cbranch_vccnz .LBB168_1562
; %bb.1448:
	s_andn2_b64 vcc, exec, s[2:3]
	s_cbranch_vccnz .LBB168_1450
.LBB168_1449:
	global_load_ubyte v7, v[4:5], off
	v_mov_b32_e32 v8, 0x3ff00000
	v_mov_b32_e32 v6, 0
	s_mov_b64 s[10:11], -1
	s_waitcnt vmcnt(0)
	v_cmp_ne_u16_e32 vcc, 0, v7
	s_nop 1
	v_cndmask_b32_e32 v7, 0, v8, vcc
	v_mov_b64_e32 v[8:9], 0
.LBB168_1450:
	s_branch .LBB168_1374
.LBB168_1451:
	s_cmp_lt_i32 s28, 5
	s_cbranch_scc1 .LBB168_1456
; %bb.1452:
	s_cmp_lt_i32 s28, 8
	s_cbranch_scc1 .LBB168_1458
; %bb.1453:
	;; [unrolled: 3-line block ×3, first 2 shown]
	s_cmp_gt_i32 s28, 9
	s_cbranch_scc0 .LBB168_1460
; %bb.1455:
	global_load_dwordx4 v[6:9], v[4:5], off
	s_mov_b64 s[0:1], 0
	s_branch .LBB168_1461
.LBB168_1456:
                                        ; implicit-def: $vgpr8_vgpr9
	s_branch .LBB168_1480
.LBB168_1457:
	s_branch .LBB168_1500
.LBB168_1458:
	s_mov_b64 s[0:1], -1
                                        ; implicit-def: $vgpr8_vgpr9
	s_branch .LBB168_1467
.LBB168_1459:
	s_mov_b64 s[0:1], -1
                                        ; implicit-def: $vgpr8_vgpr9
	s_branch .LBB168_1464
.LBB168_1460:
	s_mov_b64 s[0:1], -1
                                        ; implicit-def: $vgpr8_vgpr9
.LBB168_1461:
	s_andn2_b64 vcc, exec, s[0:1]
	s_cbranch_vccnz .LBB168_1463
; %bb.1462:
	global_load_dwordx2 v[8:9], v[4:5], off
	s_waitcnt vmcnt(0)
	v_cvt_f64_f32_e32 v[6:7], v8
	v_cvt_f64_f32_e32 v[8:9], v9
.LBB168_1463:
	s_mov_b64 s[0:1], 0
.LBB168_1464:
	s_andn2_b64 vcc, exec, s[0:1]
	s_cbranch_vccnz .LBB168_1466
; %bb.1465:
	global_load_dword v6, v[4:5], off
	s_waitcnt vmcnt(0)
	v_cvt_f32_f16_e32 v7, v6
	v_cvt_f32_f16_sdwa v8, v6 dst_sel:DWORD dst_unused:UNUSED_PAD src0_sel:WORD_1
	v_cvt_f64_f32_e32 v[6:7], v7
	v_cvt_f64_f32_e32 v[8:9], v8
.LBB168_1466:
	s_mov_b64 s[0:1], 0
.LBB168_1467:
	s_andn2_b64 vcc, exec, s[0:1]
	s_cbranch_vccnz .LBB168_1479
; %bb.1468:
	s_cmp_lt_i32 s28, 6
	s_cbranch_scc1 .LBB168_1471
; %bb.1469:
	s_cmp_gt_i32 s28, 6
	s_cbranch_scc0 .LBB168_1472
; %bb.1470:
	global_load_dwordx2 v[6:7], v[4:5], off
	s_mov_b64 s[0:1], 0
	s_branch .LBB168_1473
.LBB168_1471:
	s_mov_b64 s[0:1], -1
                                        ; implicit-def: $vgpr6_vgpr7
	s_branch .LBB168_1476
.LBB168_1472:
	s_mov_b64 s[0:1], -1
                                        ; implicit-def: $vgpr6_vgpr7
.LBB168_1473:
	s_andn2_b64 vcc, exec, s[0:1]
	s_cbranch_vccnz .LBB168_1475
; %bb.1474:
	global_load_dword v6, v[4:5], off
	s_waitcnt vmcnt(0)
	v_cvt_f64_f32_e32 v[6:7], v6
.LBB168_1475:
	s_mov_b64 s[0:1], 0
.LBB168_1476:
	s_andn2_b64 vcc, exec, s[0:1]
	s_cbranch_vccnz .LBB168_1478
; %bb.1477:
	global_load_ushort v6, v[4:5], off
	s_waitcnt vmcnt(0)
	v_cvt_f32_f16_e32 v6, v6
	v_cvt_f64_f32_e32 v[6:7], v6
.LBB168_1478:
	s_waitcnt vmcnt(0)
	v_mov_b64_e32 v[8:9], 0
.LBB168_1479:
	s_cbranch_execnz .LBB168_1457
.LBB168_1480:
	s_cmp_lt_i32 s28, 2
	s_cbranch_scc1 .LBB168_1484
; %bb.1481:
	s_cmp_lt_i32 s28, 3
	s_cbranch_scc1 .LBB168_1485
; %bb.1482:
	s_cmp_gt_i32 s28, 3
	s_cbranch_scc0 .LBB168_1486
; %bb.1483:
	global_load_dwordx2 v[6:7], v[4:5], off
	s_mov_b64 s[0:1], 0
	s_waitcnt vmcnt(0)
	v_cvt_f64_i32_e32 v[8:9], v7
	v_cvt_f64_u32_e32 v[6:7], v6
	v_ldexp_f64 v[8:9], v[8:9], 32
	v_add_f64 v[6:7], v[8:9], v[6:7]
	s_branch .LBB168_1487
.LBB168_1484:
	s_mov_b64 s[0:1], -1
                                        ; implicit-def: $vgpr6_vgpr7
	s_branch .LBB168_1493
.LBB168_1485:
	s_mov_b64 s[0:1], -1
                                        ; implicit-def: $vgpr6_vgpr7
	s_branch .LBB168_1490
.LBB168_1486:
	s_mov_b64 s[0:1], -1
                                        ; implicit-def: $vgpr6_vgpr7
.LBB168_1487:
	s_andn2_b64 vcc, exec, s[0:1]
	s_cbranch_vccnz .LBB168_1489
; %bb.1488:
	global_load_dword v6, v[4:5], off
	s_waitcnt vmcnt(0)
	v_cvt_f64_i32_e32 v[6:7], v6
.LBB168_1489:
	s_mov_b64 s[0:1], 0
.LBB168_1490:
	s_andn2_b64 vcc, exec, s[0:1]
	s_cbranch_vccnz .LBB168_1492
; %bb.1491:
	global_load_sshort v6, v[4:5], off
	s_waitcnt vmcnt(0)
	v_cvt_f64_i32_e32 v[6:7], v6
.LBB168_1492:
	s_mov_b64 s[0:1], 0
.LBB168_1493:
	s_andn2_b64 vcc, exec, s[0:1]
	s_cbranch_vccnz .LBB168_1499
; %bb.1494:
	s_cmp_gt_i32 s28, 0
	s_cbranch_scc0 .LBB168_1496
; %bb.1495:
	global_load_sbyte v6, v[4:5], off
	s_mov_b64 s[0:1], 0
	s_waitcnt vmcnt(0)
	v_cvt_f64_i32_e32 v[6:7], v6
	s_branch .LBB168_1497
.LBB168_1496:
	s_mov_b64 s[0:1], -1
                                        ; implicit-def: $vgpr6_vgpr7
.LBB168_1497:
	s_andn2_b64 vcc, exec, s[0:1]
	s_cbranch_vccnz .LBB168_1499
; %bb.1498:
	global_load_ubyte v4, v[4:5], off
	s_waitcnt vmcnt(0)
	v_cvt_f64_u32_e32 v[6:7], v4
.LBB168_1499:
	s_waitcnt vmcnt(0)
	v_mov_b64_e32 v[8:9], 0
.LBB168_1500:
	s_waitcnt vmcnt(0)
	v_cmp_neq_f64_e32 vcc, 0, v[6:7]
	v_cmp_neq_f64_e64 s[0:1], 0, v[8:9]
	v_mov_b64_e32 v[12:13], 0
	s_or_b64 s[0:1], vcc, s[0:1]
	s_and_saveexec_b64 s[10:11], s[0:1]
	s_cbranch_execz .LBB168_1530
; %bb.1501:
	v_mov_b32_e32 v12, 0
	v_mov_b32_e32 v13, 0x7ff00000
	v_cmp_neq_f64_e64 s[0:1], |v[8:9]|, v[12:13]
	s_and_saveexec_b64 s[18:19], s[0:1]
	s_cbranch_execz .LBB168_1529
; %bb.1502:
	v_cmp_o_f64_e32 vcc, v[6:7], v[6:7]
                                        ; implicit-def: $vgpr12_vgpr13
	s_and_saveexec_b64 s[0:1], vcc
	s_xor_b64 s[20:21], exec, s[0:1]
	s_cbranch_execz .LBB168_1526
; %bb.1503:
	s_mov_b32 s0, 0
	s_mov_b32 s1, 0x7ff00000
	v_cmp_neq_f64_e64 s[0:1], |v[6:7]|, s[0:1]
                                        ; implicit-def: $vgpr12_vgpr13
	s_and_saveexec_b64 s[2:3], s[0:1]
	s_xor_b64 s[22:23], exec, s[2:3]
	s_cbranch_execz .LBB168_1519
; %bb.1504:
	v_max_f64 v[4:5], |v[8:9]|, |v[8:9]|
	v_max_f64 v[12:13], |v[6:7]|, |v[6:7]|
	s_mov_b32 s0, 0x99fcef32
	v_max_f64 v[4:5], v[12:13], v[4:5]
	s_mov_b32 s1, 0x7fda8279
	v_cmp_nle_f64_e64 s[0:1], s[0:1], v[4:5]
                                        ; implicit-def: $sgpr24_sgpr25
	s_and_saveexec_b64 s[2:3], s[0:1]
	s_xor_b64 s[2:3], exec, s[2:3]
	s_cbranch_execz .LBB168_1508
; %bb.1505:
	s_mov_b32 s24, 0
	s_mov_b32 s25, 0x200000
	v_cmp_le_f64_e64 s[26:27], |v[6:7]|, s[24:25]
	v_cmp_le_f64_e64 s[24:25], |v[8:9]|, s[24:25]
	s_and_b64 s[30:31], s[26:27], s[24:25]
	s_mov_b64 s[24:25], 0
	s_and_saveexec_b64 s[26:27], s[30:31]
; %bb.1506:
	s_mov_b64 s[24:25], exec
	v_mul_f64 v[8:9], v[8:9], 4.0
	v_mul_f64 v[6:7], v[6:7], 4.0
; %bb.1507:
	s_or_b64 exec, exec, s[26:27]
.LBB168_1508:
	s_andn2_saveexec_b64 s[2:3], s[2:3]
; %bb.1509:
	v_ldexp_f64 v[6:7], v[6:7], -2
	v_ldexp_f64 v[8:9], v[8:9], -2
	s_andn2_b64 s[24:25], s[24:25], exec
; %bb.1510:
	s_or_b64 exec, exec, s[2:3]
	v_max_f64 v[4:5], |v[8:9]|, |v[8:9]|
	v_max_f64 v[12:13], |v[6:7]|, |v[6:7]|
	v_max_f64 v[4:5], v[12:13], v[4:5]
	v_frexp_exp_i32_f64_e32 v11, v[4:5]
	v_sub_u32_e32 v12, 0, v11
	v_ldexp_f64 v[4:5], |v[6:7]|, v12
	v_ldexp_f64 v[12:13], |v[8:9]|, v12
	v_mul_f64 v[12:13], v[12:13], v[12:13]
	v_fmac_f64_e32 v[12:13], v[4:5], v[4:5]
	v_rsq_f64_e32 v[4:5], v[12:13]
	v_cmp_eq_f64_e64 s[2:3], 0, v[12:13]
	s_movk_i32 s26, 0x204
	v_cmp_le_f64_e32 vcc, 0, v[6:7]
	v_mul_f64 v[14:15], v[12:13], v[4:5]
	v_mul_f64 v[4:5], v[4:5], 0.5
	v_fma_f64 v[16:17], -v[4:5], v[14:15], 0.5
	v_fmac_f64_e32 v[14:15], v[14:15], v[16:17]
	v_fmac_f64_e32 v[4:5], v[4:5], v[16:17]
	v_fma_f64 v[16:17], -v[14:15], v[14:15], v[12:13]
	v_fmac_f64_e32 v[14:15], v[16:17], v[4:5]
	v_cndmask_b32_e64 v5, v15, v13, s[2:3]
	v_cndmask_b32_e64 v4, v14, v12, s[2:3]
	v_ldexp_f64 v[4:5], v[4:5], v11
	v_cmp_o_f64_e64 s[2:3], v[8:9], v[8:9]
	v_mov_b32_e32 v11, 0x7ff80000
                                        ; implicit-def: $vgpr14_vgpr15
	s_nop 0
	v_cndmask_b32_e64 v4, 0, v4, s[2:3]
	v_cndmask_b32_e64 v5, v11, v5, s[2:3]
	v_cmp_class_f64_e64 s[2:3], v[6:7], s26
	v_cmp_class_f64_e64 s[26:27], v[8:9], s26
	v_mov_b32_e32 v11, 0x7ff00000
	s_or_b64 s[2:3], s[26:27], s[2:3]
	v_cndmask_b32_e64 v13, v5, v11, s[2:3]
	v_cndmask_b32_e64 v12, v4, 0, s[2:3]
                                        ; implicit-def: $vgpr4_vgpr5
	s_and_saveexec_b64 s[2:3], vcc
	s_xor_b64 s[2:3], exec, s[2:3]
	s_cbranch_execz .LBB168_1512
; %bb.1511:
	v_add_f64 v[4:5], v[6:7], v[12:13]
	s_mov_b32 s26, 0
	v_mul_f64 v[4:5], v[4:5], 0.5
	s_brev_b32 s27, 8
	v_mov_b32_e32 v6, 0x100
	v_cmp_gt_f64_e32 vcc, s[26:27], v[4:5]
	v_mov_b32_e32 v11, 0x260
	s_nop 0
	v_cndmask_b32_e32 v6, 0, v6, vcc
	v_ldexp_f64 v[4:5], v[4:5], v6
	v_rsq_f64_e32 v[6:7], v[4:5]
	s_nop 0
	v_mul_f64 v[12:13], v[4:5], v[6:7]
	v_mul_f64 v[6:7], v[6:7], 0.5
	v_fma_f64 v[14:15], -v[6:7], v[12:13], 0.5
	v_fmac_f64_e32 v[12:13], v[12:13], v[14:15]
	v_fma_f64 v[16:17], -v[12:13], v[12:13], v[4:5]
	v_fmac_f64_e32 v[6:7], v[6:7], v[14:15]
	v_fmac_f64_e32 v[12:13], v[16:17], v[6:7]
	v_fma_f64 v[14:15], -v[12:13], v[12:13], v[4:5]
	v_fmac_f64_e32 v[12:13], v[14:15], v[6:7]
	v_mov_b32_e32 v6, 0xffffff80
	v_cndmask_b32_e32 v6, 0, v6, vcc
	v_ldexp_f64 v[6:7], v[12:13], v6
	v_cmp_class_f64_e32 vcc, v[4:5], v11
	s_nop 1
	v_cndmask_b32_e32 v15, v7, v5, vcc
	v_cndmask_b32_e32 v14, v6, v4, vcc
	v_add_f64 v[4:5], v[14:15], v[14:15]
	v_div_scale_f64 v[6:7], s[26:27], v[4:5], v[4:5], v[8:9]
	v_rcp_f64_e32 v[12:13], v[6:7]
	s_nop 0
	v_fma_f64 v[16:17], -v[6:7], v[12:13], 1.0
	v_fmac_f64_e32 v[12:13], v[12:13], v[16:17]
	v_fma_f64 v[16:17], -v[6:7], v[12:13], 1.0
	v_fmac_f64_e32 v[12:13], v[12:13], v[16:17]
	v_div_scale_f64 v[16:17], vcc, v[8:9], v[4:5], v[8:9]
	v_mul_f64 v[18:19], v[16:17], v[12:13]
	v_fma_f64 v[6:7], -v[6:7], v[18:19], v[16:17]
	s_nop 1
	v_div_fmas_f64 v[6:7], v[6:7], v[12:13], v[18:19]
	v_div_fixup_f64 v[4:5], v[6:7], v[4:5], v[8:9]
                                        ; implicit-def: $vgpr12_vgpr13
                                        ; implicit-def: $vgpr6_vgpr7
	s_andn2_saveexec_b64 s[2:3], s[2:3]
	s_cbranch_execz .LBB168_1514
	s_branch .LBB168_1513
.LBB168_1512:
	s_andn2_saveexec_b64 s[2:3], s[2:3]
	s_cbranch_execz .LBB168_1514
.LBB168_1513:
	v_add_f64 v[4:5], v[12:13], -v[6:7]
	s_mov_b32 s26, 0
	v_mul_f64 v[4:5], v[4:5], 0.5
	s_brev_b32 s27, 8
	v_mov_b32_e32 v6, 0x100
	v_cmp_gt_f64_e32 vcc, s[26:27], v[4:5]
	v_mov_b32_e32 v11, 0x260
	s_nop 0
	v_cndmask_b32_e32 v6, 0, v6, vcc
	v_ldexp_f64 v[4:5], v[4:5], v6
	v_rsq_f64_e32 v[6:7], v[4:5]
	s_nop 0
	v_mul_f64 v[12:13], v[4:5], v[6:7]
	v_mul_f64 v[6:7], v[6:7], 0.5
	v_fma_f64 v[14:15], -v[6:7], v[12:13], 0.5
	v_fmac_f64_e32 v[12:13], v[12:13], v[14:15]
	v_fma_f64 v[16:17], -v[12:13], v[12:13], v[4:5]
	v_fmac_f64_e32 v[6:7], v[6:7], v[14:15]
	v_fmac_f64_e32 v[12:13], v[16:17], v[6:7]
	v_fma_f64 v[14:15], -v[12:13], v[12:13], v[4:5]
	v_fmac_f64_e32 v[12:13], v[14:15], v[6:7]
	v_mov_b32_e32 v6, 0xffffff80
	v_cndmask_b32_e32 v6, 0, v6, vcc
	v_ldexp_f64 v[6:7], v[12:13], v6
	v_cmp_class_f64_e32 vcc, v[4:5], v11
	v_and_b32_e32 v13, 0x7fffffff, v9
	v_mov_b32_e32 v12, v8
	v_cndmask_b32_e32 v5, v7, v5, vcc
	v_cndmask_b32_e32 v4, v6, v4, vcc
	v_add_f64 v[6:7], v[4:5], v[4:5]
	v_div_scale_f64 v[14:15], s[26:27], v[6:7], v[6:7], v[12:13]
	v_rcp_f64_e32 v[16:17], v[14:15]
	v_div_scale_f64 v[12:13], vcc, v[12:13], v[6:7], v[12:13]
	s_brev_b32 s26, -2
	v_fma_f64 v[18:19], -v[14:15], v[16:17], 1.0
	v_fmac_f64_e32 v[16:17], v[16:17], v[18:19]
	v_fma_f64 v[18:19], -v[14:15], v[16:17], 1.0
	v_fmac_f64_e32 v[16:17], v[16:17], v[18:19]
	v_mul_f64 v[18:19], v[12:13], v[16:17]
	v_fma_f64 v[12:13], -v[14:15], v[18:19], v[12:13]
	v_div_fmas_f64 v[12:13], v[12:13], v[16:17], v[18:19]
	v_div_fixup_f64 v[14:15], v[12:13], v[6:7], |v[8:9]|
	v_bfi_b32 v5, s26, v5, v9
.LBB168_1514:
	s_or_b64 exec, exec, s[2:3]
                                        ; implicit-def: $vgpr8_vgpr9
                                        ; implicit-def: $vgpr12_vgpr13
	s_and_saveexec_b64 s[2:3], s[0:1]
	s_xor_b64 s[0:1], exec, s[2:3]
	s_cbranch_execz .LBB168_1516
; %bb.1515:
	v_mul_f64 v[6:7], v[14:15], 0.5
	v_mul_f64 v[8:9], v[4:5], 0.5
	v_cndmask_b32_e64 v13, v15, v7, s[24:25]
	v_cndmask_b32_e64 v12, v14, v6, s[24:25]
	;; [unrolled: 1-line block ×4, first 2 shown]
                                        ; implicit-def: $vgpr14_vgpr15
                                        ; implicit-def: $vgpr4_vgpr5
	s_andn2_saveexec_b64 s[0:1], s[0:1]
	s_cbranch_execnz .LBB168_1517
	s_branch .LBB168_1518
.LBB168_1516:
	s_andn2_saveexec_b64 s[0:1], s[0:1]
.LBB168_1517:
	v_add_f64 v[12:13], v[14:15], v[14:15]
	v_add_f64 v[8:9], v[4:5], v[4:5]
.LBB168_1518:
	s_or_b64 exec, exec, s[0:1]
.LBB168_1519:
	s_andn2_saveexec_b64 s[0:1], s[22:23]
	s_cbranch_execz .LBB168_1525
; %bb.1520:
	v_add_f64 v[4:5], v[8:9], -v[8:9]
	v_cmp_lt_i64_e32 vcc, -1, v[6:7]
	s_brev_b32 s22, -2
	v_and_b32_e32 v13, 0x7fffffff, v5
	v_mov_b32_e32 v12, v4
	s_and_saveexec_b64 s[2:3], vcc
	s_xor_b64 s[2:3], exec, s[2:3]
; %bb.1521:
	v_bfi_b32 v5, s22, v5, v9
	v_mov_b64_e32 v[8:9], v[4:5]
	v_mov_b64_e32 v[12:13], v[6:7]
; %bb.1522:
	s_andn2_saveexec_b64 s[2:3], s[2:3]
; %bb.1523:
	v_bfi_b32 v7, s22, v7, v9
	v_mov_b64_e32 v[8:9], v[6:7]
; %bb.1524:
	s_or_b64 exec, exec, s[2:3]
.LBB168_1525:
	s_or_b64 exec, exec, s[0:1]
.LBB168_1526:
	s_andn2_saveexec_b64 s[0:1], s[20:21]
	s_cbranch_execz .LBB168_1528
; %bb.1527:
	v_add_f64 v[4:5], v[8:9], -v[8:9]
	v_div_scale_f64 v[8:9], vcc, v[4:5], v[4:5], v[4:5]
	v_rcp_f64_e32 v[12:13], v[8:9]
	s_nop 0
	v_fma_f64 v[14:15], -v[8:9], v[12:13], 1.0
	v_fmac_f64_e32 v[12:13], v[12:13], v[14:15]
	v_fma_f64 v[14:15], -v[8:9], v[12:13], 1.0
	v_fmac_f64_e32 v[12:13], v[12:13], v[14:15]
	v_mul_f64 v[14:15], v[8:9], v[12:13]
	v_fma_f64 v[8:9], -v[8:9], v[14:15], v[8:9]
	v_div_fmas_f64 v[8:9], v[8:9], v[12:13], v[14:15]
	v_div_fixup_f64 v[8:9], v[8:9], v[4:5], v[4:5]
	v_mov_b64_e32 v[12:13], v[6:7]
.LBB168_1528:
	s_or_b64 exec, exec, s[0:1]
.LBB168_1529:
	s_or_b64 exec, exec, s[18:19]
.LBB168_1530:
	s_or_b64 exec, exec, s[10:11]
	v_xor_b32_e32 v4, 0x80000000, v13
	v_cmp_gt_f64_e32 vcc, 0, v[12:13]
	v_mov_b32_e32 v16, v12
	v_mov_b32_e32 v14, v8
	v_cndmask_b32_e32 v17, v13, v4, vcc
	v_xor_b32_e32 v4, 0x80000000, v9
	v_cmp_gt_f64_e32 vcc, 0, v[8:9]
	s_nop 1
	v_cndmask_b32_e32 v15, v9, v4, vcc
	v_cmp_ge_f64_e32 vcc, v[16:17], v[14:15]
                                        ; implicit-def: $vgpr6_vgpr7
	s_and_saveexec_b64 s[0:1], vcc
	s_xor_b64 s[2:3], exec, s[0:1]
	s_cbranch_execz .LBB168_1536
; %bb.1531:
	v_cmp_neq_f64_e32 vcc, 0, v[12:13]
	v_cmp_neq_f64_e64 s[0:1], 0, v[8:9]
	s_or_b64 s[0:1], vcc, s[0:1]
                                        ; implicit-def: $vgpr6_vgpr7
	s_and_saveexec_b64 s[10:11], s[0:1]
	s_xor_b64 s[0:1], exec, s[10:11]
	s_cbranch_execz .LBB168_1533
; %bb.1532:
	v_div_scale_f64 v[4:5], s[10:11], v[12:13], v[12:13], v[8:9]
	v_rcp_f64_e32 v[6:7], v[4:5]
	v_div_scale_f64 v[14:15], vcc, v[8:9], v[12:13], v[8:9]
	v_fma_f64 v[16:17], -v[4:5], v[6:7], 1.0
	v_fmac_f64_e32 v[6:7], v[6:7], v[16:17]
	v_fma_f64 v[16:17], -v[4:5], v[6:7], 1.0
	v_fmac_f64_e32 v[6:7], v[6:7], v[16:17]
	v_mul_f64 v[16:17], v[14:15], v[6:7]
	v_fma_f64 v[4:5], -v[4:5], v[16:17], v[14:15]
	v_div_fmas_f64 v[4:5], v[4:5], v[6:7], v[16:17]
	v_div_fixup_f64 v[6:7], v[4:5], v[12:13], v[8:9]
	v_fmac_f64_e32 v[12:13], v[8:9], v[6:7]
	v_div_scale_f64 v[4:5], s[10:11], v[12:13], v[12:13], 1.0
	v_rcp_f64_e32 v[8:9], v[4:5]
	s_nop 0
	v_fma_f64 v[14:15], -v[4:5], v[8:9], 1.0
	v_fmac_f64_e32 v[8:9], v[8:9], v[14:15]
	v_fma_f64 v[14:15], -v[4:5], v[8:9], 1.0
	v_fmac_f64_e32 v[8:9], v[8:9], v[14:15]
	v_div_scale_f64 v[14:15], vcc, 1.0, v[12:13], 1.0
	v_mul_f64 v[16:17], v[14:15], v[8:9]
	v_fma_f64 v[4:5], -v[4:5], v[16:17], v[14:15]
                                        ; implicit-def: $vgpr14_vgpr15
	s_nop 1
	v_div_fmas_f64 v[4:5], v[4:5], v[8:9], v[16:17]
	v_div_fixup_f64 v[8:9], v[4:5], v[12:13], 1.0
	v_fma_f64 v[4:5], v[6:7], 0, 1.0
	v_add_f64 v[6:7], -v[6:7], 0
	v_mul_f64 v[4:5], v[4:5], v[8:9]
	v_mul_f64 v[6:7], v[6:7], v[8:9]
                                        ; implicit-def: $vgpr16_vgpr17
.LBB168_1533:
	s_andn2_saveexec_b64 s[0:1], s[0:1]
	s_cbranch_execz .LBB168_1535
; %bb.1534:
	v_div_scale_f64 v[4:5], s[10:11], v[16:17], v[16:17], 1.0
	v_rcp_f64_e32 v[6:7], v[4:5]
	v_div_scale_f64 v[8:9], vcc, 1.0, v[16:17], 1.0
	v_fma_f64 v[12:13], -v[4:5], v[6:7], 1.0
	v_fmac_f64_e32 v[6:7], v[6:7], v[12:13]
	v_fma_f64 v[12:13], -v[4:5], v[6:7], 1.0
	v_fmac_f64_e32 v[6:7], v[6:7], v[12:13]
	v_mul_f64 v[12:13], v[8:9], v[6:7]
	v_fma_f64 v[4:5], -v[4:5], v[12:13], v[8:9]
	v_div_scale_f64 v[8:9], s[10:11], v[14:15], v[14:15], 0
	v_rcp_f64_e32 v[18:19], v[8:9]
	v_div_fmas_f64 v[4:5], v[4:5], v[6:7], v[12:13]
	v_div_fixup_f64 v[4:5], v[4:5], v[16:17], 1.0
	v_fma_f64 v[6:7], -v[8:9], v[18:19], 1.0
	v_fmac_f64_e32 v[18:19], v[18:19], v[6:7]
	v_fma_f64 v[6:7], -v[8:9], v[18:19], 1.0
	v_fmac_f64_e32 v[18:19], v[18:19], v[6:7]
	v_div_scale_f64 v[6:7], vcc, 0, v[14:15], 0
	v_mul_f64 v[12:13], v[6:7], v[18:19]
	v_fma_f64 v[6:7], -v[8:9], v[12:13], v[6:7]
	s_nop 1
	v_div_fmas_f64 v[6:7], v[6:7], v[18:19], v[12:13]
	v_div_fixup_f64 v[6:7], v[6:7], v[14:15], 0
.LBB168_1535:
	s_or_b64 exec, exec, s[0:1]
                                        ; implicit-def: $vgpr8_vgpr9
                                        ; implicit-def: $vgpr12_vgpr13
.LBB168_1536:
	s_andn2_saveexec_b64 s[0:1], s[2:3]
	s_cbranch_execz .LBB168_1538
; %bb.1537:
	v_div_scale_f64 v[4:5], s[2:3], v[8:9], v[8:9], v[12:13]
	v_rcp_f64_e32 v[6:7], v[4:5]
	v_div_scale_f64 v[14:15], vcc, v[12:13], v[8:9], v[12:13]
	v_fma_f64 v[16:17], -v[4:5], v[6:7], 1.0
	v_fmac_f64_e32 v[6:7], v[6:7], v[16:17]
	v_fma_f64 v[16:17], -v[4:5], v[6:7], 1.0
	v_fmac_f64_e32 v[6:7], v[6:7], v[16:17]
	v_mul_f64 v[16:17], v[14:15], v[6:7]
	v_fma_f64 v[4:5], -v[4:5], v[16:17], v[14:15]
	v_div_fmas_f64 v[4:5], v[4:5], v[6:7], v[16:17]
	v_div_fixup_f64 v[6:7], v[4:5], v[8:9], v[12:13]
	v_fmac_f64_e32 v[8:9], v[12:13], v[6:7]
	v_div_scale_f64 v[4:5], s[2:3], v[8:9], v[8:9], 1.0
	v_rcp_f64_e32 v[12:13], v[4:5]
	s_nop 0
	v_fma_f64 v[14:15], -v[4:5], v[12:13], 1.0
	v_fmac_f64_e32 v[12:13], v[12:13], v[14:15]
	v_fma_f64 v[14:15], -v[4:5], v[12:13], 1.0
	v_fmac_f64_e32 v[12:13], v[12:13], v[14:15]
	v_div_scale_f64 v[14:15], vcc, 1.0, v[8:9], 1.0
	v_mul_f64 v[16:17], v[14:15], v[12:13]
	v_fma_f64 v[4:5], -v[4:5], v[16:17], v[14:15]
	s_nop 1
	v_div_fmas_f64 v[4:5], v[4:5], v[12:13], v[16:17]
	v_div_fixup_f64 v[8:9], v[4:5], v[8:9], 1.0
	v_add_f64 v[4:5], v[6:7], 0
	v_fma_f64 v[6:7], v[6:7], 0, -1.0
	v_mul_f64 v[4:5], v[4:5], v[8:9]
	v_mul_f64 v[6:7], v[6:7], v[8:9]
.LBB168_1538:
	s_or_b64 exec, exec, s[0:1]
	v_add_u32_e32 v14, s9, v10
	v_ashrrev_i32_e32 v15, 31, v14
	s_cmp_lt_i32 s28, 11
	v_lshl_add_u64 v[8:9], s[6:7], 0, v[14:15]
	s_cbranch_scc1 .LBB168_1545
; %bb.1539:
	s_cmp_gt_i32 s28, 25
	s_mov_b64 s[2:3], 0
	s_cbranch_scc0 .LBB168_1547
; %bb.1540:
	s_cmp_gt_i32 s28, 28
	s_cbranch_scc0 .LBB168_1558
; %bb.1541:
	s_cmp_gt_i32 s28, 43
	;; [unrolled: 3-line block ×3, first 2 shown]
	s_cbranch_scc0 .LBB168_1563
; %bb.1543:
	s_cmp_eq_u32 s28, 46
	s_mov_b64 s[18:19], 0
	s_cbranch_scc0 .LBB168_1655
; %bb.1544:
	global_load_dword v10, v[8:9], off
	s_mov_b64 s[0:1], 0
	s_mov_b64 s[10:11], -1
	s_waitcnt vmcnt(0)
	v_and_b32_e32 v12, 0xffff0000, v10
	v_lshlrev_b32_e32 v10, 16, v10
	v_cvt_f64_f32_e32 v[10:11], v10
	v_cvt_f64_f32_e32 v[12:13], v12
	s_branch .LBB168_1656
.LBB168_1545:
	s_mov_b64 s[10:11], 0
                                        ; implicit-def: $vgpr12_vgpr13
	s_cbranch_execnz .LBB168_1552
.LBB168_1546:
	s_andn2_b64 vcc, exec, s[10:11]
	s_cbranch_vccnz .LBB168_1857
	s_branch .LBB168_1606
.LBB168_1547:
	s_mov_b64 s[10:11], 0
	s_mov_b64 s[0:1], 0
                                        ; implicit-def: $vgpr12_vgpr13
	s_cbranch_execnz .LBB168_1690
.LBB168_1548:
	s_and_b64 vcc, exec, s[0:1]
	s_cbranch_vccnz .LBB168_1721
.LBB168_1549:
	s_andn2_b64 vcc, exec, s[2:3]
	s_cbranch_vccnz .LBB168_1551
.LBB168_1550:
	global_load_ubyte v11, v[8:9], off
	v_mov_b32_e32 v12, 0x3ff00000
	v_mov_b32_e32 v10, 0
	s_mov_b64 s[10:11], -1
	s_waitcnt vmcnt(0)
	v_cmp_ne_u16_e32 vcc, 0, v11
	s_nop 1
	v_cndmask_b32_e32 v11, 0, v12, vcc
	v_mov_b64_e32 v[12:13], 0
.LBB168_1551:
	s_branch .LBB168_1546
.LBB168_1552:
	s_cmp_lt_i32 s28, 5
	s_cbranch_scc1 .LBB168_1557
; %bb.1553:
	s_cmp_lt_i32 s28, 8
	s_cbranch_scc1 .LBB168_1559
; %bb.1554:
	;; [unrolled: 3-line block ×3, first 2 shown]
	s_cmp_gt_i32 s28, 9
	s_cbranch_scc0 .LBB168_1564
; %bb.1556:
	global_load_dwordx4 v[10:13], v[8:9], off
	s_mov_b64 s[0:1], 0
	s_branch .LBB168_1565
.LBB168_1557:
	s_mov_b64 s[0:1], -1
                                        ; implicit-def: $vgpr12_vgpr13
	s_branch .LBB168_1584
.LBB168_1558:
	s_mov_b64 s[18:19], -1
	s_mov_b64 s[10:11], 0
	s_mov_b64 s[0:1], 0
                                        ; implicit-def: $vgpr12_vgpr13
	s_branch .LBB168_1669
.LBB168_1559:
	s_mov_b64 s[0:1], -1
                                        ; implicit-def: $vgpr12_vgpr13
	s_branch .LBB168_1571
.LBB168_1560:
	s_mov_b64 s[18:19], -1
	s_mov_b64 s[10:11], 0
	s_mov_b64 s[0:1], 0
                                        ; implicit-def: $vgpr12_vgpr13
	s_branch .LBB168_1663
.LBB168_1561:
	s_mov_b64 s[0:1], -1
                                        ; implicit-def: $vgpr12_vgpr13
	s_branch .LBB168_1568
.LBB168_1562:
	s_trap 2
	s_or_b64 s[16:17], s[16:17], exec
	s_cbranch_execz .LBB168_1449
	s_branch .LBB168_1450
.LBB168_1563:
	s_mov_b64 s[18:19], -1
	s_mov_b64 s[10:11], 0
	s_mov_b64 s[0:1], 0
                                        ; implicit-def: $vgpr12_vgpr13
	s_branch .LBB168_1656
.LBB168_1564:
	s_mov_b64 s[0:1], -1
                                        ; implicit-def: $vgpr12_vgpr13
.LBB168_1565:
	s_andn2_b64 vcc, exec, s[0:1]
	s_cbranch_vccnz .LBB168_1567
; %bb.1566:
	global_load_dwordx2 v[12:13], v[8:9], off
	s_waitcnt vmcnt(0)
	v_cvt_f64_f32_e32 v[10:11], v12
	v_cvt_f64_f32_e32 v[12:13], v13
.LBB168_1567:
	s_mov_b64 s[0:1], 0
.LBB168_1568:
	s_andn2_b64 vcc, exec, s[0:1]
	s_cbranch_vccnz .LBB168_1570
; %bb.1569:
	global_load_dword v10, v[8:9], off
	s_waitcnt vmcnt(0)
	v_cvt_f32_f16_e32 v11, v10
	v_cvt_f32_f16_sdwa v12, v10 dst_sel:DWORD dst_unused:UNUSED_PAD src0_sel:WORD_1
	v_cvt_f64_f32_e32 v[10:11], v11
	v_cvt_f64_f32_e32 v[12:13], v12
.LBB168_1570:
	s_mov_b64 s[0:1], 0
.LBB168_1571:
	s_andn2_b64 vcc, exec, s[0:1]
	s_cbranch_vccnz .LBB168_1583
; %bb.1572:
	s_cmp_lt_i32 s28, 6
	s_cbranch_scc1 .LBB168_1575
; %bb.1573:
	s_cmp_gt_i32 s28, 6
	s_cbranch_scc0 .LBB168_1576
; %bb.1574:
	global_load_dwordx2 v[10:11], v[8:9], off
	s_mov_b64 s[0:1], 0
	s_branch .LBB168_1577
.LBB168_1575:
	s_mov_b64 s[0:1], -1
                                        ; implicit-def: $vgpr10_vgpr11
	s_branch .LBB168_1580
.LBB168_1576:
	s_mov_b64 s[0:1], -1
                                        ; implicit-def: $vgpr10_vgpr11
.LBB168_1577:
	s_andn2_b64 vcc, exec, s[0:1]
	s_cbranch_vccnz .LBB168_1579
; %bb.1578:
	global_load_dword v10, v[8:9], off
	s_waitcnt vmcnt(0)
	v_cvt_f64_f32_e32 v[10:11], v10
.LBB168_1579:
	s_mov_b64 s[0:1], 0
.LBB168_1580:
	s_andn2_b64 vcc, exec, s[0:1]
	s_cbranch_vccnz .LBB168_1582
; %bb.1581:
	global_load_ushort v10, v[8:9], off
	s_waitcnt vmcnt(0)
	v_cvt_f32_f16_e32 v10, v10
	v_cvt_f64_f32_e32 v[10:11], v10
.LBB168_1582:
	s_waitcnt vmcnt(0)
	v_mov_b64_e32 v[12:13], 0
.LBB168_1583:
	s_mov_b64 s[0:1], 0
.LBB168_1584:
	s_andn2_b64 vcc, exec, s[0:1]
	s_cbranch_vccnz .LBB168_1605
; %bb.1585:
	s_cmp_lt_i32 s28, 2
	s_cbranch_scc1 .LBB168_1589
; %bb.1586:
	s_cmp_lt_i32 s28, 3
	s_cbranch_scc1 .LBB168_1590
; %bb.1587:
	s_cmp_gt_i32 s28, 3
	s_cbranch_scc0 .LBB168_1591
; %bb.1588:
	global_load_dwordx2 v[10:11], v[8:9], off
	s_mov_b64 s[0:1], 0
	s_waitcnt vmcnt(0)
	v_cvt_f64_i32_e32 v[12:13], v11
	v_cvt_f64_u32_e32 v[10:11], v10
	v_ldexp_f64 v[12:13], v[12:13], 32
	v_add_f64 v[10:11], v[12:13], v[10:11]
	s_branch .LBB168_1592
.LBB168_1589:
	s_mov_b64 s[0:1], -1
                                        ; implicit-def: $vgpr10_vgpr11
	s_branch .LBB168_1598
.LBB168_1590:
	s_mov_b64 s[0:1], -1
                                        ; implicit-def: $vgpr10_vgpr11
	s_branch .LBB168_1595
.LBB168_1591:
	s_mov_b64 s[0:1], -1
                                        ; implicit-def: $vgpr10_vgpr11
.LBB168_1592:
	s_andn2_b64 vcc, exec, s[0:1]
	s_cbranch_vccnz .LBB168_1594
; %bb.1593:
	global_load_dword v10, v[8:9], off
	s_waitcnt vmcnt(0)
	v_cvt_f64_i32_e32 v[10:11], v10
.LBB168_1594:
	s_mov_b64 s[0:1], 0
.LBB168_1595:
	s_andn2_b64 vcc, exec, s[0:1]
	s_cbranch_vccnz .LBB168_1597
; %bb.1596:
	global_load_sshort v10, v[8:9], off
	s_waitcnt vmcnt(0)
	v_cvt_f64_i32_e32 v[10:11], v10
.LBB168_1597:
	s_mov_b64 s[0:1], 0
.LBB168_1598:
	s_andn2_b64 vcc, exec, s[0:1]
	s_cbranch_vccnz .LBB168_1604
; %bb.1599:
	s_cmp_gt_i32 s28, 0
	s_cbranch_scc0 .LBB168_1601
; %bb.1600:
	global_load_sbyte v10, v[8:9], off
	s_mov_b64 s[0:1], 0
	s_waitcnt vmcnt(0)
	v_cvt_f64_i32_e32 v[10:11], v10
	s_branch .LBB168_1602
.LBB168_1601:
	s_mov_b64 s[0:1], -1
                                        ; implicit-def: $vgpr10_vgpr11
.LBB168_1602:
	s_andn2_b64 vcc, exec, s[0:1]
	s_cbranch_vccnz .LBB168_1604
; %bb.1603:
	global_load_ubyte v8, v[8:9], off
	s_waitcnt vmcnt(0)
	v_cvt_f64_u32_e32 v[10:11], v8
.LBB168_1604:
	s_waitcnt vmcnt(0)
	v_mov_b64_e32 v[12:13], 0
.LBB168_1605:
.LBB168_1606:
	s_waitcnt vmcnt(0)
	v_cmp_neq_f64_e32 vcc, 0, v[10:11]
	v_cmp_neq_f64_e64 s[0:1], 0, v[12:13]
	v_mov_b64_e32 v[16:17], 0
	s_or_b64 s[0:1], vcc, s[0:1]
	s_and_saveexec_b64 s[10:11], s[0:1]
	s_cbranch_execz .LBB168_1636
; %bb.1607:
	v_mov_b32_e32 v16, 0
	v_mov_b32_e32 v17, 0x7ff00000
	v_cmp_neq_f64_e64 s[0:1], |v[12:13]|, v[16:17]
	s_and_saveexec_b64 s[18:19], s[0:1]
	s_cbranch_execz .LBB168_1635
; %bb.1608:
	v_cmp_o_f64_e32 vcc, v[10:11], v[10:11]
                                        ; implicit-def: $vgpr16_vgpr17
	s_and_saveexec_b64 s[0:1], vcc
	s_xor_b64 s[20:21], exec, s[0:1]
	s_cbranch_execz .LBB168_1632
; %bb.1609:
	s_mov_b32 s0, 0
	s_mov_b32 s1, 0x7ff00000
	v_cmp_neq_f64_e64 s[0:1], |v[10:11]|, s[0:1]
                                        ; implicit-def: $vgpr16_vgpr17
	s_and_saveexec_b64 s[2:3], s[0:1]
	s_xor_b64 s[22:23], exec, s[2:3]
	s_cbranch_execz .LBB168_1625
; %bb.1610:
	v_max_f64 v[8:9], |v[12:13]|, |v[12:13]|
	v_max_f64 v[16:17], |v[10:11]|, |v[10:11]|
	s_mov_b32 s0, 0x99fcef32
	v_max_f64 v[8:9], v[16:17], v[8:9]
	s_mov_b32 s1, 0x7fda8279
	v_cmp_nle_f64_e64 s[0:1], s[0:1], v[8:9]
                                        ; implicit-def: $sgpr24_sgpr25
	s_and_saveexec_b64 s[2:3], s[0:1]
	s_xor_b64 s[2:3], exec, s[2:3]
	s_cbranch_execz .LBB168_1614
; %bb.1611:
	s_mov_b32 s24, 0
	s_mov_b32 s25, 0x200000
	v_cmp_le_f64_e64 s[26:27], |v[10:11]|, s[24:25]
	v_cmp_le_f64_e64 s[24:25], |v[12:13]|, s[24:25]
	s_and_b64 s[30:31], s[26:27], s[24:25]
	s_mov_b64 s[24:25], 0
	s_and_saveexec_b64 s[26:27], s[30:31]
; %bb.1612:
	s_mov_b64 s[24:25], exec
	v_mul_f64 v[12:13], v[12:13], 4.0
	v_mul_f64 v[10:11], v[10:11], 4.0
; %bb.1613:
	s_or_b64 exec, exec, s[26:27]
.LBB168_1614:
	s_andn2_saveexec_b64 s[2:3], s[2:3]
; %bb.1615:
	v_ldexp_f64 v[10:11], v[10:11], -2
	v_ldexp_f64 v[12:13], v[12:13], -2
	s_andn2_b64 s[24:25], s[24:25], exec
; %bb.1616:
	s_or_b64 exec, exec, s[2:3]
	v_max_f64 v[8:9], |v[12:13]|, |v[12:13]|
	v_max_f64 v[16:17], |v[10:11]|, |v[10:11]|
	v_max_f64 v[8:9], v[16:17], v[8:9]
	v_frexp_exp_i32_f64_e32 v15, v[8:9]
	v_sub_u32_e32 v16, 0, v15
	v_ldexp_f64 v[8:9], |v[10:11]|, v16
	v_ldexp_f64 v[16:17], |v[12:13]|, v16
	v_mul_f64 v[16:17], v[16:17], v[16:17]
	v_fmac_f64_e32 v[16:17], v[8:9], v[8:9]
	v_rsq_f64_e32 v[8:9], v[16:17]
	v_cmp_eq_f64_e64 s[2:3], 0, v[16:17]
	s_movk_i32 s26, 0x204
	v_cmp_le_f64_e32 vcc, 0, v[10:11]
	v_mul_f64 v[18:19], v[16:17], v[8:9]
	v_mul_f64 v[8:9], v[8:9], 0.5
	v_fma_f64 v[20:21], -v[8:9], v[18:19], 0.5
	v_fmac_f64_e32 v[18:19], v[18:19], v[20:21]
	v_fmac_f64_e32 v[8:9], v[8:9], v[20:21]
	v_fma_f64 v[20:21], -v[18:19], v[18:19], v[16:17]
	v_fmac_f64_e32 v[18:19], v[20:21], v[8:9]
	v_cndmask_b32_e64 v9, v19, v17, s[2:3]
	v_cndmask_b32_e64 v8, v18, v16, s[2:3]
	v_ldexp_f64 v[8:9], v[8:9], v15
	v_cmp_o_f64_e64 s[2:3], v[12:13], v[12:13]
	v_mov_b32_e32 v15, 0x7ff80000
                                        ; implicit-def: $vgpr18_vgpr19
	s_nop 0
	v_cndmask_b32_e64 v8, 0, v8, s[2:3]
	v_cndmask_b32_e64 v9, v15, v9, s[2:3]
	v_cmp_class_f64_e64 s[2:3], v[10:11], s26
	v_cmp_class_f64_e64 s[26:27], v[12:13], s26
	v_mov_b32_e32 v15, 0x7ff00000
	s_or_b64 s[2:3], s[26:27], s[2:3]
	v_cndmask_b32_e64 v17, v9, v15, s[2:3]
	v_cndmask_b32_e64 v16, v8, 0, s[2:3]
                                        ; implicit-def: $vgpr8_vgpr9
	s_and_saveexec_b64 s[2:3], vcc
	s_xor_b64 s[2:3], exec, s[2:3]
	s_cbranch_execz .LBB168_1618
; %bb.1617:
	v_add_f64 v[8:9], v[10:11], v[16:17]
	s_mov_b32 s26, 0
	v_mul_f64 v[8:9], v[8:9], 0.5
	s_brev_b32 s27, 8
	v_mov_b32_e32 v10, 0x100
	v_cmp_gt_f64_e32 vcc, s[26:27], v[8:9]
	v_mov_b32_e32 v15, 0x260
	s_nop 0
	v_cndmask_b32_e32 v10, 0, v10, vcc
	v_ldexp_f64 v[8:9], v[8:9], v10
	v_rsq_f64_e32 v[10:11], v[8:9]
	s_nop 0
	v_mul_f64 v[16:17], v[8:9], v[10:11]
	v_mul_f64 v[10:11], v[10:11], 0.5
	v_fma_f64 v[18:19], -v[10:11], v[16:17], 0.5
	v_fmac_f64_e32 v[16:17], v[16:17], v[18:19]
	v_fma_f64 v[20:21], -v[16:17], v[16:17], v[8:9]
	v_fmac_f64_e32 v[10:11], v[10:11], v[18:19]
	v_fmac_f64_e32 v[16:17], v[20:21], v[10:11]
	v_fma_f64 v[18:19], -v[16:17], v[16:17], v[8:9]
	v_fmac_f64_e32 v[16:17], v[18:19], v[10:11]
	v_mov_b32_e32 v10, 0xffffff80
	v_cndmask_b32_e32 v10, 0, v10, vcc
	v_ldexp_f64 v[10:11], v[16:17], v10
	v_cmp_class_f64_e32 vcc, v[8:9], v15
	s_nop 1
	v_cndmask_b32_e32 v19, v11, v9, vcc
	v_cndmask_b32_e32 v18, v10, v8, vcc
	v_add_f64 v[8:9], v[18:19], v[18:19]
	v_div_scale_f64 v[10:11], s[26:27], v[8:9], v[8:9], v[12:13]
	v_rcp_f64_e32 v[16:17], v[10:11]
	s_nop 0
	v_fma_f64 v[20:21], -v[10:11], v[16:17], 1.0
	v_fmac_f64_e32 v[16:17], v[16:17], v[20:21]
	v_fma_f64 v[20:21], -v[10:11], v[16:17], 1.0
	v_fmac_f64_e32 v[16:17], v[16:17], v[20:21]
	v_div_scale_f64 v[20:21], vcc, v[12:13], v[8:9], v[12:13]
	v_mul_f64 v[22:23], v[20:21], v[16:17]
	v_fma_f64 v[10:11], -v[10:11], v[22:23], v[20:21]
	s_nop 1
	v_div_fmas_f64 v[10:11], v[10:11], v[16:17], v[22:23]
	v_div_fixup_f64 v[8:9], v[10:11], v[8:9], v[12:13]
                                        ; implicit-def: $vgpr16_vgpr17
                                        ; implicit-def: $vgpr10_vgpr11
	s_andn2_saveexec_b64 s[2:3], s[2:3]
	s_cbranch_execz .LBB168_1620
	s_branch .LBB168_1619
.LBB168_1618:
	s_andn2_saveexec_b64 s[2:3], s[2:3]
	s_cbranch_execz .LBB168_1620
.LBB168_1619:
	v_add_f64 v[8:9], v[16:17], -v[10:11]
	s_mov_b32 s26, 0
	v_mul_f64 v[8:9], v[8:9], 0.5
	s_brev_b32 s27, 8
	v_mov_b32_e32 v10, 0x100
	v_cmp_gt_f64_e32 vcc, s[26:27], v[8:9]
	v_mov_b32_e32 v15, 0x260
	s_nop 0
	v_cndmask_b32_e32 v10, 0, v10, vcc
	v_ldexp_f64 v[8:9], v[8:9], v10
	v_rsq_f64_e32 v[10:11], v[8:9]
	s_nop 0
	v_mul_f64 v[16:17], v[8:9], v[10:11]
	v_mul_f64 v[10:11], v[10:11], 0.5
	v_fma_f64 v[18:19], -v[10:11], v[16:17], 0.5
	v_fmac_f64_e32 v[16:17], v[16:17], v[18:19]
	v_fma_f64 v[20:21], -v[16:17], v[16:17], v[8:9]
	v_fmac_f64_e32 v[10:11], v[10:11], v[18:19]
	v_fmac_f64_e32 v[16:17], v[20:21], v[10:11]
	v_fma_f64 v[18:19], -v[16:17], v[16:17], v[8:9]
	v_fmac_f64_e32 v[16:17], v[18:19], v[10:11]
	v_mov_b32_e32 v10, 0xffffff80
	v_cndmask_b32_e32 v10, 0, v10, vcc
	v_ldexp_f64 v[10:11], v[16:17], v10
	v_cmp_class_f64_e32 vcc, v[8:9], v15
	v_and_b32_e32 v17, 0x7fffffff, v13
	v_mov_b32_e32 v16, v12
	v_cndmask_b32_e32 v9, v11, v9, vcc
	v_cndmask_b32_e32 v8, v10, v8, vcc
	v_add_f64 v[10:11], v[8:9], v[8:9]
	v_div_scale_f64 v[18:19], s[26:27], v[10:11], v[10:11], v[16:17]
	v_rcp_f64_e32 v[20:21], v[18:19]
	v_div_scale_f64 v[16:17], vcc, v[16:17], v[10:11], v[16:17]
	s_brev_b32 s26, -2
	v_fma_f64 v[22:23], -v[18:19], v[20:21], 1.0
	v_fmac_f64_e32 v[20:21], v[20:21], v[22:23]
	v_fma_f64 v[22:23], -v[18:19], v[20:21], 1.0
	v_fmac_f64_e32 v[20:21], v[20:21], v[22:23]
	v_mul_f64 v[22:23], v[16:17], v[20:21]
	v_fma_f64 v[16:17], -v[18:19], v[22:23], v[16:17]
	v_div_fmas_f64 v[16:17], v[16:17], v[20:21], v[22:23]
	v_div_fixup_f64 v[18:19], v[16:17], v[10:11], |v[12:13]|
	v_bfi_b32 v9, s26, v9, v13
.LBB168_1620:
	s_or_b64 exec, exec, s[2:3]
                                        ; implicit-def: $vgpr12_vgpr13
                                        ; implicit-def: $vgpr16_vgpr17
	s_and_saveexec_b64 s[2:3], s[0:1]
	s_xor_b64 s[0:1], exec, s[2:3]
	s_cbranch_execz .LBB168_1622
; %bb.1621:
	v_mul_f64 v[10:11], v[18:19], 0.5
	v_mul_f64 v[12:13], v[8:9], 0.5
	v_cndmask_b32_e64 v17, v19, v11, s[24:25]
	v_cndmask_b32_e64 v16, v18, v10, s[24:25]
	;; [unrolled: 1-line block ×4, first 2 shown]
                                        ; implicit-def: $vgpr18_vgpr19
                                        ; implicit-def: $vgpr8_vgpr9
	s_andn2_saveexec_b64 s[0:1], s[0:1]
	s_cbranch_execnz .LBB168_1623
	s_branch .LBB168_1624
.LBB168_1622:
	s_andn2_saveexec_b64 s[0:1], s[0:1]
.LBB168_1623:
	v_add_f64 v[16:17], v[18:19], v[18:19]
	v_add_f64 v[12:13], v[8:9], v[8:9]
.LBB168_1624:
	s_or_b64 exec, exec, s[0:1]
.LBB168_1625:
	s_andn2_saveexec_b64 s[0:1], s[22:23]
	s_cbranch_execz .LBB168_1631
; %bb.1626:
	v_add_f64 v[8:9], v[12:13], -v[12:13]
	v_cmp_lt_i64_e32 vcc, -1, v[10:11]
	s_brev_b32 s22, -2
	v_and_b32_e32 v17, 0x7fffffff, v9
	v_mov_b32_e32 v16, v8
	s_and_saveexec_b64 s[2:3], vcc
	s_xor_b64 s[2:3], exec, s[2:3]
; %bb.1627:
	v_bfi_b32 v9, s22, v9, v13
	v_mov_b64_e32 v[12:13], v[8:9]
	v_mov_b64_e32 v[16:17], v[10:11]
; %bb.1628:
	s_andn2_saveexec_b64 s[2:3], s[2:3]
; %bb.1629:
	v_bfi_b32 v11, s22, v11, v13
	v_mov_b64_e32 v[12:13], v[10:11]
; %bb.1630:
	s_or_b64 exec, exec, s[2:3]
.LBB168_1631:
	s_or_b64 exec, exec, s[0:1]
.LBB168_1632:
	s_andn2_saveexec_b64 s[0:1], s[20:21]
	s_cbranch_execz .LBB168_1634
; %bb.1633:
	v_add_f64 v[8:9], v[12:13], -v[12:13]
	v_div_scale_f64 v[12:13], vcc, v[8:9], v[8:9], v[8:9]
	v_rcp_f64_e32 v[16:17], v[12:13]
	s_nop 0
	v_fma_f64 v[18:19], -v[12:13], v[16:17], 1.0
	v_fmac_f64_e32 v[16:17], v[16:17], v[18:19]
	v_fma_f64 v[18:19], -v[12:13], v[16:17], 1.0
	v_fmac_f64_e32 v[16:17], v[16:17], v[18:19]
	v_mul_f64 v[18:19], v[12:13], v[16:17]
	v_fma_f64 v[12:13], -v[12:13], v[18:19], v[12:13]
	v_div_fmas_f64 v[12:13], v[12:13], v[16:17], v[18:19]
	v_div_fixup_f64 v[12:13], v[12:13], v[8:9], v[8:9]
	v_mov_b64_e32 v[16:17], v[10:11]
.LBB168_1634:
	s_or_b64 exec, exec, s[0:1]
.LBB168_1635:
	s_or_b64 exec, exec, s[18:19]
.LBB168_1636:
	s_or_b64 exec, exec, s[10:11]
	v_xor_b32_e32 v8, 0x80000000, v17
	v_cmp_gt_f64_e32 vcc, 0, v[16:17]
	v_mov_b32_e32 v20, v16
	v_mov_b32_e32 v18, v12
	v_cndmask_b32_e32 v21, v17, v8, vcc
	v_xor_b32_e32 v8, 0x80000000, v13
	v_cmp_gt_f64_e32 vcc, 0, v[12:13]
	s_nop 1
	v_cndmask_b32_e32 v19, v13, v8, vcc
	v_cmp_ge_f64_e32 vcc, v[20:21], v[18:19]
                                        ; implicit-def: $vgpr10_vgpr11
	s_and_saveexec_b64 s[0:1], vcc
	s_xor_b64 s[2:3], exec, s[0:1]
	s_cbranch_execz .LBB168_1642
; %bb.1637:
	v_cmp_neq_f64_e32 vcc, 0, v[16:17]
	v_cmp_neq_f64_e64 s[0:1], 0, v[12:13]
	s_or_b64 s[0:1], vcc, s[0:1]
                                        ; implicit-def: $vgpr10_vgpr11
	s_and_saveexec_b64 s[10:11], s[0:1]
	s_xor_b64 s[0:1], exec, s[10:11]
	s_cbranch_execz .LBB168_1639
; %bb.1638:
	v_div_scale_f64 v[8:9], s[10:11], v[16:17], v[16:17], v[12:13]
	v_rcp_f64_e32 v[10:11], v[8:9]
	v_div_scale_f64 v[18:19], vcc, v[12:13], v[16:17], v[12:13]
	v_fma_f64 v[20:21], -v[8:9], v[10:11], 1.0
	v_fmac_f64_e32 v[10:11], v[10:11], v[20:21]
	v_fma_f64 v[20:21], -v[8:9], v[10:11], 1.0
	v_fmac_f64_e32 v[10:11], v[10:11], v[20:21]
	v_mul_f64 v[20:21], v[18:19], v[10:11]
	v_fma_f64 v[8:9], -v[8:9], v[20:21], v[18:19]
	v_div_fmas_f64 v[8:9], v[8:9], v[10:11], v[20:21]
	v_div_fixup_f64 v[10:11], v[8:9], v[16:17], v[12:13]
	v_fmac_f64_e32 v[16:17], v[12:13], v[10:11]
	v_div_scale_f64 v[8:9], s[10:11], v[16:17], v[16:17], 1.0
	v_rcp_f64_e32 v[12:13], v[8:9]
	s_nop 0
	v_fma_f64 v[18:19], -v[8:9], v[12:13], 1.0
	v_fmac_f64_e32 v[12:13], v[12:13], v[18:19]
	v_fma_f64 v[18:19], -v[8:9], v[12:13], 1.0
	v_fmac_f64_e32 v[12:13], v[12:13], v[18:19]
	v_div_scale_f64 v[18:19], vcc, 1.0, v[16:17], 1.0
	v_mul_f64 v[20:21], v[18:19], v[12:13]
	v_fma_f64 v[8:9], -v[8:9], v[20:21], v[18:19]
                                        ; implicit-def: $vgpr18_vgpr19
	s_nop 1
	v_div_fmas_f64 v[8:9], v[8:9], v[12:13], v[20:21]
	v_div_fixup_f64 v[12:13], v[8:9], v[16:17], 1.0
	v_fma_f64 v[8:9], v[10:11], 0, 1.0
	v_add_f64 v[10:11], -v[10:11], 0
	v_mul_f64 v[8:9], v[8:9], v[12:13]
	v_mul_f64 v[10:11], v[10:11], v[12:13]
                                        ; implicit-def: $vgpr20_vgpr21
.LBB168_1639:
	s_andn2_saveexec_b64 s[0:1], s[0:1]
	s_cbranch_execz .LBB168_1641
; %bb.1640:
	v_div_scale_f64 v[8:9], s[10:11], v[20:21], v[20:21], 1.0
	v_rcp_f64_e32 v[10:11], v[8:9]
	v_div_scale_f64 v[12:13], vcc, 1.0, v[20:21], 1.0
	v_fma_f64 v[16:17], -v[8:9], v[10:11], 1.0
	v_fmac_f64_e32 v[10:11], v[10:11], v[16:17]
	v_fma_f64 v[16:17], -v[8:9], v[10:11], 1.0
	v_fmac_f64_e32 v[10:11], v[10:11], v[16:17]
	v_mul_f64 v[16:17], v[12:13], v[10:11]
	v_fma_f64 v[8:9], -v[8:9], v[16:17], v[12:13]
	v_div_scale_f64 v[12:13], s[10:11], v[18:19], v[18:19], 0
	v_rcp_f64_e32 v[22:23], v[12:13]
	v_div_fmas_f64 v[8:9], v[8:9], v[10:11], v[16:17]
	v_div_fixup_f64 v[8:9], v[8:9], v[20:21], 1.0
	v_fma_f64 v[10:11], -v[12:13], v[22:23], 1.0
	v_fmac_f64_e32 v[22:23], v[22:23], v[10:11]
	v_fma_f64 v[10:11], -v[12:13], v[22:23], 1.0
	v_fmac_f64_e32 v[22:23], v[22:23], v[10:11]
	v_div_scale_f64 v[10:11], vcc, 0, v[18:19], 0
	v_mul_f64 v[16:17], v[10:11], v[22:23]
	v_fma_f64 v[10:11], -v[12:13], v[16:17], v[10:11]
	s_nop 1
	v_div_fmas_f64 v[10:11], v[10:11], v[22:23], v[16:17]
	v_div_fixup_f64 v[10:11], v[10:11], v[18:19], 0
.LBB168_1641:
	s_or_b64 exec, exec, s[0:1]
                                        ; implicit-def: $vgpr12_vgpr13
                                        ; implicit-def: $vgpr16_vgpr17
.LBB168_1642:
	s_andn2_saveexec_b64 s[0:1], s[2:3]
	s_cbranch_execz .LBB168_1644
; %bb.1643:
	v_div_scale_f64 v[8:9], s[2:3], v[12:13], v[12:13], v[16:17]
	v_rcp_f64_e32 v[10:11], v[8:9]
	v_div_scale_f64 v[18:19], vcc, v[16:17], v[12:13], v[16:17]
	v_fma_f64 v[20:21], -v[8:9], v[10:11], 1.0
	v_fmac_f64_e32 v[10:11], v[10:11], v[20:21]
	v_fma_f64 v[20:21], -v[8:9], v[10:11], 1.0
	v_fmac_f64_e32 v[10:11], v[10:11], v[20:21]
	v_mul_f64 v[20:21], v[18:19], v[10:11]
	v_fma_f64 v[8:9], -v[8:9], v[20:21], v[18:19]
	v_div_fmas_f64 v[8:9], v[8:9], v[10:11], v[20:21]
	v_div_fixup_f64 v[10:11], v[8:9], v[12:13], v[16:17]
	v_fmac_f64_e32 v[12:13], v[16:17], v[10:11]
	v_div_scale_f64 v[8:9], s[2:3], v[12:13], v[12:13], 1.0
	v_rcp_f64_e32 v[16:17], v[8:9]
	s_nop 0
	v_fma_f64 v[18:19], -v[8:9], v[16:17], 1.0
	v_fmac_f64_e32 v[16:17], v[16:17], v[18:19]
	v_fma_f64 v[18:19], -v[8:9], v[16:17], 1.0
	v_fmac_f64_e32 v[16:17], v[16:17], v[18:19]
	v_div_scale_f64 v[18:19], vcc, 1.0, v[12:13], 1.0
	v_mul_f64 v[20:21], v[18:19], v[16:17]
	v_fma_f64 v[8:9], -v[8:9], v[20:21], v[18:19]
	s_nop 1
	v_div_fmas_f64 v[8:9], v[8:9], v[16:17], v[20:21]
	v_div_fixup_f64 v[12:13], v[8:9], v[12:13], 1.0
	v_add_f64 v[8:9], v[10:11], 0
	v_fma_f64 v[10:11], v[10:11], 0, -1.0
	v_mul_f64 v[8:9], v[8:9], v[12:13]
	v_mul_f64 v[10:11], v[10:11], v[12:13]
.LBB168_1644:
	s_or_b64 exec, exec, s[0:1]
	v_add_u32_e32 v12, s9, v14
	v_ashrrev_i32_e32 v13, 31, v12
	s_cmp_lt_i32 s28, 11
	v_lshl_add_u64 v[12:13], s[6:7], 0, v[12:13]
	s_cbranch_scc1 .LBB168_1651
; %bb.1645:
	s_cmp_gt_i32 s28, 25
	s_mov_b64 s[2:3], 0
	s_cbranch_scc0 .LBB168_1652
; %bb.1646:
	s_cmp_gt_i32 s28, 28
	s_cbranch_scc0 .LBB168_1653
; %bb.1647:
	s_cmp_gt_i32 s28, 43
	;; [unrolled: 3-line block ×3, first 2 shown]
	s_cbranch_scc0 .LBB168_1659
; %bb.1649:
	s_cmp_eq_u32 s28, 46
	s_mov_b64 s[10:11], 0
	s_cbranch_scc0 .LBB168_1722
; %bb.1650:
	global_load_dword v14, v[12:13], off
	s_mov_b64 s[0:1], 0
	s_mov_b64 s[6:7], -1
	s_waitcnt vmcnt(0)
	v_and_b32_e32 v16, 0xffff0000, v14
	v_lshlrev_b32_e32 v14, 16, v14
	v_cvt_f64_f32_e32 v[14:15], v14
	v_cvt_f64_f32_e32 v[16:17], v16
	s_branch .LBB168_1723
.LBB168_1651:
	s_mov_b64 s[0:1], -1
	s_mov_b64 s[6:7], 0
                                        ; implicit-def: $vgpr16_vgpr17
	s_branch .LBB168_1773
.LBB168_1652:
	s_mov_b64 s[10:11], -1
	s_mov_b64 s[6:7], 0
	s_mov_b64 s[0:1], 0
                                        ; implicit-def: $vgpr16_vgpr17
	s_branch .LBB168_1756
.LBB168_1653:
	s_mov_b64 s[10:11], -1
	s_mov_b64 s[6:7], 0
	s_mov_b64 s[0:1], 0
                                        ; implicit-def: $vgpr16_vgpr17
	s_branch .LBB168_1735
.LBB168_1654:
	s_mov_b64 s[10:11], -1
	s_mov_b64 s[6:7], 0
	s_mov_b64 s[0:1], 0
                                        ; implicit-def: $vgpr16_vgpr17
	s_branch .LBB168_1729
.LBB168_1655:
	s_mov_b64 s[0:1], -1
                                        ; implicit-def: $vgpr12_vgpr13
	s_mov_b64 s[10:11], 0
.LBB168_1656:
	s_and_b64 vcc, exec, s[18:19]
	s_cbranch_vccz .LBB168_1662
; %bb.1657:
	s_cmp_eq_u32 s28, 44
	s_cbranch_scc0 .LBB168_1660
; %bb.1658:
	global_load_ubyte v12, v[8:9], off
	s_movk_i32 s10, 0xff
	v_bfrev_b32_e32 v13, 4
	v_mov_b32_e32 v15, 0x7ff80000
	v_bfrev_b32_e32 v16, 28
	s_mov_b64 s[0:1], 0
	s_waitcnt vmcnt(0)
	v_lshlrev_b32_e32 v10, 23, v12
	v_cvt_f64_f32_e32 v[10:11], v10
	v_cmp_ne_u32_e32 vcc, s10, v12
	s_mov_b64 s[10:11], -1
	s_nop 0
	v_cndmask_b32_e32 v10, v13, v10, vcc
	v_cndmask_b32_e32 v11, v15, v11, vcc
	v_cmp_ne_u32_e32 vcc, 0, v12
	s_nop 1
	v_cndmask_b32_e32 v11, v16, v11, vcc
	v_cndmask_b32_e32 v10, 0, v10, vcc
	s_branch .LBB168_1661
.LBB168_1659:
	s_mov_b64 s[10:11], -1
	s_mov_b64 s[6:7], 0
	s_mov_b64 s[0:1], 0
                                        ; implicit-def: $vgpr16_vgpr17
	s_branch .LBB168_1723
.LBB168_1660:
	s_mov_b64 s[0:1], -1
                                        ; implicit-def: $vgpr10_vgpr11
.LBB168_1661:
	v_mov_b64_e32 v[12:13], 0
.LBB168_1662:
	s_mov_b64 s[18:19], 0
.LBB168_1663:
	s_and_b64 vcc, exec, s[18:19]
	s_cbranch_vccz .LBB168_1668
; %bb.1664:
	s_cmp_eq_u32 s28, 29
	s_cbranch_scc0 .LBB168_1666
; %bb.1665:
	global_load_dwordx2 v[10:11], v[8:9], off
	s_mov_b64 s[0:1], 0
	s_mov_b64 s[10:11], -1
	s_waitcnt vmcnt(0)
	v_cvt_f64_u32_e32 v[12:13], v11
	v_cvt_f64_u32_e32 v[10:11], v10
	v_ldexp_f64 v[12:13], v[12:13], 32
	v_add_f64 v[10:11], v[12:13], v[10:11]
	s_branch .LBB168_1667
.LBB168_1666:
	s_mov_b64 s[0:1], -1
                                        ; implicit-def: $vgpr10_vgpr11
.LBB168_1667:
	v_mov_b64_e32 v[12:13], 0
.LBB168_1668:
	s_mov_b64 s[18:19], 0
.LBB168_1669:
	s_and_b64 vcc, exec, s[18:19]
	s_cbranch_vccz .LBB168_1689
; %bb.1670:
	s_cmp_lt_i32 s28, 27
	s_cbranch_scc1 .LBB168_1673
; %bb.1671:
	s_cmp_gt_i32 s28, 27
	s_cbranch_scc0 .LBB168_1674
; %bb.1672:
	global_load_dword v10, v[8:9], off
	s_mov_b64 s[10:11], 0
	s_waitcnt vmcnt(0)
	v_cvt_f64_u32_e32 v[10:11], v10
	s_branch .LBB168_1675
.LBB168_1673:
	s_mov_b64 s[10:11], -1
                                        ; implicit-def: $vgpr10_vgpr11
	s_branch .LBB168_1678
.LBB168_1674:
	s_mov_b64 s[10:11], -1
                                        ; implicit-def: $vgpr10_vgpr11
.LBB168_1675:
	s_andn2_b64 vcc, exec, s[10:11]
	s_cbranch_vccnz .LBB168_1677
; %bb.1676:
	global_load_ushort v10, v[8:9], off
	s_waitcnt vmcnt(0)
	v_cvt_f64_u32_e32 v[10:11], v10
.LBB168_1677:
	s_mov_b64 s[10:11], 0
.LBB168_1678:
	s_andn2_b64 vcc, exec, s[10:11]
	s_cbranch_vccnz .LBB168_1688
; %bb.1679:
	global_load_ubyte v12, v[8:9], off
	s_movk_i32 s10, 0x7f
	s_waitcnt vmcnt(0)
	v_cmp_lt_i16_e32 vcc, s10, v12
	s_mov_b64 s[10:11], 0
	s_and_saveexec_b64 s[18:19], vcc
	s_xor_b64 s[18:19], exec, s[18:19]
	s_cbranch_execz .LBB168_1683
; %bb.1680:
	s_movk_i32 s10, 0x80
	v_cmp_eq_u16_e32 vcc, s10, v12
	s_mov_b64 s[10:11], -1
	s_and_saveexec_b64 s[20:21], vcc
; %bb.1681:
	s_xor_b64 s[10:11], exec, -1
; %bb.1682:
	s_or_b64 exec, exec, s[20:21]
	s_and_b64 s[10:11], s[10:11], exec
.LBB168_1683:
	s_or_saveexec_b64 s[18:19], s[18:19]
	v_bfrev_b32_e32 v10, 4
	v_mov_b32_e32 v11, 0x7ff80000
	s_xor_b64 exec, exec, s[18:19]
; %bb.1684:
	v_cmp_ne_u16_e32 vcc, 0, v12
	s_andn2_b64 s[10:11], s[10:11], exec
	s_and_b64 s[20:21], vcc, exec
	v_mov_b64_e32 v[10:11], 0
	s_or_b64 s[10:11], s[10:11], s[20:21]
; %bb.1685:
	s_or_b64 exec, exec, s[18:19]
	s_and_saveexec_b64 s[18:19], s[10:11]
	s_cbranch_execz .LBB168_1687
; %bb.1686:
	v_and_b32_e32 v11, 0xffff, v12
	v_lshlrev_b32_e32 v10, 24, v12
	v_and_b32_e32 v12, 7, v11
	v_ffbh_u32_e32 v15, v12
	v_min_u32_e32 v15, 32, v15
	v_subrev_u32_e32 v16, 28, v15
	v_bfe_u32 v13, v11, 3, 4
	v_lshlrev_b32_e32 v11, v16, v11
	v_sub_u32_e32 v15, 29, v15
	v_and_b32_e32 v11, 7, v11
	v_cmp_eq_u32_e32 vcc, 0, v13
	v_and_b32_e32 v10, 0x80000000, v10
	s_nop 0
	v_cndmask_b32_e32 v13, v13, v15, vcc
	v_cndmask_b32_e32 v11, v12, v11, vcc
	v_mov_b32_e32 v12, 0x3b800000
	v_lshlrev_b32_e32 v11, 20, v11
	v_lshl_add_u32 v12, v13, 23, v12
	v_or3_b32 v10, v10, v12, v11
	v_cvt_f64_f32_e32 v[10:11], v10
.LBB168_1687:
	s_or_b64 exec, exec, s[18:19]
.LBB168_1688:
	s_mov_b64 s[10:11], -1
	v_mov_b64_e32 v[12:13], 0
.LBB168_1689:
	s_branch .LBB168_1548
.LBB168_1690:
	s_cmp_gt_i32 s28, 22
	s_cbranch_scc0 .LBB168_1702
; %bb.1691:
	s_cmp_lt_i32 s28, 24
	s_cbranch_scc1 .LBB168_1703
; %bb.1692:
	s_cmp_gt_i32 s28, 24
	s_cbranch_scc0 .LBB168_1704
; %bb.1693:
	global_load_ubyte v12, v[8:9], off
	s_movk_i32 s2, 0x7f
	s_waitcnt vmcnt(0)
	v_cmp_lt_i16_e32 vcc, s2, v12
	s_mov_b64 s[2:3], 0
	s_and_saveexec_b64 s[10:11], vcc
	s_xor_b64 s[10:11], exec, s[10:11]
	s_cbranch_execz .LBB168_1697
; %bb.1694:
	s_movk_i32 s2, 0x80
	v_cmp_eq_u16_e32 vcc, s2, v12
	s_mov_b64 s[2:3], -1
	s_and_saveexec_b64 s[18:19], vcc
; %bb.1695:
	s_xor_b64 s[2:3], exec, -1
; %bb.1696:
	s_or_b64 exec, exec, s[18:19]
	s_and_b64 s[2:3], s[2:3], exec
.LBB168_1697:
	s_or_saveexec_b64 s[10:11], s[10:11]
	v_bfrev_b32_e32 v10, 4
	v_mov_b32_e32 v11, 0x7ff80000
	s_xor_b64 exec, exec, s[10:11]
; %bb.1698:
	v_cmp_ne_u16_e32 vcc, 0, v12
	s_andn2_b64 s[2:3], s[2:3], exec
	s_and_b64 s[18:19], vcc, exec
	v_mov_b64_e32 v[10:11], 0
	s_or_b64 s[2:3], s[2:3], s[18:19]
; %bb.1699:
	s_or_b64 exec, exec, s[10:11]
	s_and_saveexec_b64 s[10:11], s[2:3]
	s_cbranch_execz .LBB168_1701
; %bb.1700:
	v_and_b32_e32 v11, 0xffff, v12
	v_lshlrev_b32_e32 v10, 24, v12
	v_and_b32_e32 v12, 3, v11
	v_ffbh_u32_e32 v15, v12
	v_min_u32_e32 v15, 32, v15
	v_subrev_u32_e32 v16, 29, v15
	v_bfe_u32 v13, v11, 2, 5
	v_lshlrev_b32_e32 v11, v16, v11
	v_sub_u32_e32 v15, 30, v15
	v_and_b32_e32 v11, 3, v11
	v_cmp_eq_u32_e32 vcc, 0, v13
	v_and_b32_e32 v10, 0x80000000, v10
	s_nop 0
	v_cndmask_b32_e32 v13, v13, v15, vcc
	v_cndmask_b32_e32 v11, v12, v11, vcc
	v_mov_b32_e32 v12, 0x37800000
	v_lshlrev_b32_e32 v11, 21, v11
	v_lshl_add_u32 v12, v13, 23, v12
	v_or3_b32 v10, v10, v12, v11
	v_cvt_f64_f32_e32 v[10:11], v10
.LBB168_1701:
	s_or_b64 exec, exec, s[10:11]
	s_mov_b64 s[2:3], 0
	s_branch .LBB168_1705
.LBB168_1702:
	s_mov_b64 s[2:3], -1
                                        ; implicit-def: $vgpr10_vgpr11
	s_branch .LBB168_1711
.LBB168_1703:
	s_mov_b64 s[2:3], -1
                                        ; implicit-def: $vgpr10_vgpr11
	s_branch .LBB168_1708
.LBB168_1704:
	s_mov_b64 s[2:3], -1
                                        ; implicit-def: $vgpr10_vgpr11
.LBB168_1705:
	s_and_b64 vcc, exec, s[2:3]
	s_cbranch_vccz .LBB168_1707
; %bb.1706:
	global_load_ubyte v10, v[8:9], off
	s_mov_b32 s2, 0x7f800000
	s_waitcnt vmcnt(0)
	v_lshlrev_b32_e32 v10, 24, v10
	v_and_b32_e32 v11, 0x7f000000, v10
	v_ffbh_u32_e32 v12, v11
	v_min_u32_e32 v12, 32, v12
	v_sub_u32_e64 v12, v12, 4 clamp
	v_lshlrev_b32_e32 v15, v12, v11
	v_lshlrev_b32_e32 v12, 23, v12
	v_lshrrev_b32_e32 v15, 4, v15
	v_add_u32_e32 v13, 0x1000000, v11
	v_sub_u32_e32 v12, v15, v12
	v_ashrrev_i32_e32 v13, 8, v13
	v_add_u32_e32 v12, 0x3c000000, v12
	v_and_or_b32 v12, v13, s2, v12
	v_cmp_ne_u32_e32 vcc, 0, v11
	s_brev_b32 s2, 1
	s_nop 0
	v_cndmask_b32_e32 v11, 0, v12, vcc
	v_and_or_b32 v10, v10, s2, v11
	v_cvt_f64_f32_e32 v[10:11], v10
.LBB168_1707:
	s_mov_b64 s[2:3], 0
.LBB168_1708:
	s_andn2_b64 vcc, exec, s[2:3]
	s_cbranch_vccnz .LBB168_1710
; %bb.1709:
	global_load_ubyte v10, v[8:9], off
	s_movk_i32 s2, 0x7f00
	s_brev_b32 s3, 16
	s_waitcnt vmcnt(0)
	v_lshlrev_b16_e32 v11, 8, v10
	v_lshlrev_b32_e32 v10, 25, v10
	v_lshrrev_b32_e32 v12, 4, v10
	v_and_or_b32 v13, v11, s2, 0.5
	v_or_b32_e32 v12, 0x70000000, v12
	v_add_f32_e32 v13, -0.5, v13
	v_mul_f32_e32 v12, 0x7800000, v12
	v_cmp_gt_u32_e32 vcc, s3, v10
	v_bfe_i32 v11, v11, 0, 16
	s_brev_b32 s2, 1
	v_cndmask_b32_e32 v10, v12, v13, vcc
	v_and_or_b32 v10, v11, s2, v10
	v_cvt_f64_f32_e32 v[10:11], v10
.LBB168_1710:
	s_mov_b64 s[2:3], 0
	s_mov_b64 s[10:11], -1
.LBB168_1711:
	s_andn2_b64 vcc, exec, s[2:3]
	s_mov_b64 s[2:3], 0
	s_cbranch_vccnz .LBB168_1720
; %bb.1712:
	s_cmp_gt_i32 s28, 14
	s_cbranch_scc0 .LBB168_1715
; %bb.1713:
	s_cmp_eq_u32 s28, 15
	s_cbranch_scc0 .LBB168_1716
; %bb.1714:
	global_load_ushort v10, v[8:9], off
	s_mov_b64 s[0:1], 0
	s_mov_b64 s[10:11], -1
	s_waitcnt vmcnt(0)
	v_lshlrev_b32_e32 v10, 16, v10
	v_cvt_f64_f32_e32 v[10:11], v10
	s_branch .LBB168_1717
.LBB168_1715:
	s_mov_b64 s[18:19], -1
                                        ; implicit-def: $vgpr10_vgpr11
	s_branch .LBB168_1718
.LBB168_1716:
	s_mov_b64 s[0:1], -1
                                        ; implicit-def: $vgpr10_vgpr11
.LBB168_1717:
	s_mov_b64 s[18:19], 0
.LBB168_1718:
	s_and_b64 vcc, exec, s[18:19]
	s_cbranch_vccz .LBB168_1720
; %bb.1719:
	s_cmp_lg_u32 s28, 11
	s_mov_b64 s[2:3], -1
	s_cselect_b64 s[0:1], -1, 0
.LBB168_1720:
	v_mov_b64_e32 v[12:13], 0
	s_and_b64 vcc, exec, s[0:1]
	s_cbranch_vccz .LBB168_1549
.LBB168_1721:
	s_trap 2
	s_or_b64 s[16:17], s[16:17], exec
	s_cbranch_execz .LBB168_1550
	s_branch .LBB168_1551
.LBB168_1722:
	s_mov_b64 s[0:1], -1
                                        ; implicit-def: $vgpr16_vgpr17
	s_mov_b64 s[6:7], 0
.LBB168_1723:
	s_and_b64 vcc, exec, s[10:11]
	s_cbranch_vccz .LBB168_1728
; %bb.1724:
	s_cmp_eq_u32 s28, 44
	s_cbranch_scc0 .LBB168_1726
; %bb.1725:
	global_load_ubyte v16, v[12:13], off
	s_movk_i32 s6, 0xff
	v_bfrev_b32_e32 v17, 4
	v_mov_b32_e32 v18, 0x7ff80000
	v_bfrev_b32_e32 v19, 28
	s_mov_b64 s[0:1], 0
	s_waitcnt vmcnt(0)
	v_lshlrev_b32_e32 v14, 23, v16
	v_cvt_f64_f32_e32 v[14:15], v14
	v_cmp_ne_u32_e32 vcc, s6, v16
	s_mov_b64 s[6:7], -1
	s_nop 0
	v_cndmask_b32_e32 v14, v17, v14, vcc
	v_cndmask_b32_e32 v15, v18, v15, vcc
	v_cmp_ne_u32_e32 vcc, 0, v16
	s_nop 1
	v_cndmask_b32_e32 v15, v19, v15, vcc
	v_cndmask_b32_e32 v14, 0, v14, vcc
	s_branch .LBB168_1727
.LBB168_1726:
	s_mov_b64 s[0:1], -1
                                        ; implicit-def: $vgpr14_vgpr15
.LBB168_1727:
	v_mov_b64_e32 v[16:17], 0
.LBB168_1728:
	s_mov_b64 s[10:11], 0
.LBB168_1729:
	s_and_b64 vcc, exec, s[10:11]
	s_cbranch_vccz .LBB168_1734
; %bb.1730:
	s_cmp_eq_u32 s28, 29
	s_cbranch_scc0 .LBB168_1732
; %bb.1731:
	global_load_dwordx2 v[14:15], v[12:13], off
	s_mov_b64 s[0:1], 0
	s_mov_b64 s[6:7], -1
	s_waitcnt vmcnt(0)
	v_cvt_f64_u32_e32 v[16:17], v15
	v_cvt_f64_u32_e32 v[14:15], v14
	v_ldexp_f64 v[16:17], v[16:17], 32
	v_add_f64 v[14:15], v[16:17], v[14:15]
	s_branch .LBB168_1733
.LBB168_1732:
	s_mov_b64 s[0:1], -1
                                        ; implicit-def: $vgpr14_vgpr15
.LBB168_1733:
	v_mov_b64_e32 v[16:17], 0
.LBB168_1734:
	s_mov_b64 s[10:11], 0
.LBB168_1735:
	s_and_b64 vcc, exec, s[10:11]
	s_cbranch_vccz .LBB168_1755
; %bb.1736:
	s_cmp_lt_i32 s28, 27
	s_cbranch_scc1 .LBB168_1739
; %bb.1737:
	s_cmp_gt_i32 s28, 27
	s_cbranch_scc0 .LBB168_1740
; %bb.1738:
	global_load_dword v14, v[12:13], off
	s_mov_b64 s[6:7], 0
	s_waitcnt vmcnt(0)
	v_cvt_f64_u32_e32 v[14:15], v14
	s_branch .LBB168_1741
.LBB168_1739:
	s_mov_b64 s[6:7], -1
                                        ; implicit-def: $vgpr14_vgpr15
	s_branch .LBB168_1744
.LBB168_1740:
	s_mov_b64 s[6:7], -1
                                        ; implicit-def: $vgpr14_vgpr15
.LBB168_1741:
	s_andn2_b64 vcc, exec, s[6:7]
	s_cbranch_vccnz .LBB168_1743
; %bb.1742:
	global_load_ushort v14, v[12:13], off
	s_waitcnt vmcnt(0)
	v_cvt_f64_u32_e32 v[14:15], v14
.LBB168_1743:
	s_mov_b64 s[6:7], 0
.LBB168_1744:
	s_andn2_b64 vcc, exec, s[6:7]
	s_cbranch_vccnz .LBB168_1754
; %bb.1745:
	global_load_ubyte v16, v[12:13], off
	s_movk_i32 s6, 0x7f
	s_waitcnt vmcnt(0)
	v_cmp_lt_i16_e32 vcc, s6, v16
	s_mov_b64 s[6:7], 0
	s_and_saveexec_b64 s[10:11], vcc
	s_xor_b64 s[10:11], exec, s[10:11]
	s_cbranch_execz .LBB168_1749
; %bb.1746:
	s_movk_i32 s6, 0x80
	v_cmp_eq_u16_e32 vcc, s6, v16
	s_mov_b64 s[6:7], -1
	s_and_saveexec_b64 s[18:19], vcc
; %bb.1747:
	s_xor_b64 s[6:7], exec, -1
; %bb.1748:
	s_or_b64 exec, exec, s[18:19]
	s_and_b64 s[6:7], s[6:7], exec
.LBB168_1749:
	s_or_saveexec_b64 s[10:11], s[10:11]
	v_bfrev_b32_e32 v14, 4
	v_mov_b32_e32 v15, 0x7ff80000
	s_xor_b64 exec, exec, s[10:11]
; %bb.1750:
	v_cmp_ne_u16_e32 vcc, 0, v16
	s_andn2_b64 s[6:7], s[6:7], exec
	s_and_b64 s[18:19], vcc, exec
	v_mov_b64_e32 v[14:15], 0
	s_or_b64 s[6:7], s[6:7], s[18:19]
; %bb.1751:
	s_or_b64 exec, exec, s[10:11]
	s_and_saveexec_b64 s[10:11], s[6:7]
	s_cbranch_execz .LBB168_1753
; %bb.1752:
	v_and_b32_e32 v15, 0xffff, v16
	v_lshlrev_b32_e32 v14, 24, v16
	v_and_b32_e32 v16, 7, v15
	v_ffbh_u32_e32 v18, v16
	v_min_u32_e32 v18, 32, v18
	v_subrev_u32_e32 v19, 28, v18
	v_bfe_u32 v17, v15, 3, 4
	v_lshlrev_b32_e32 v15, v19, v15
	v_sub_u32_e32 v18, 29, v18
	v_and_b32_e32 v15, 7, v15
	v_cmp_eq_u32_e32 vcc, 0, v17
	v_and_b32_e32 v14, 0x80000000, v14
	s_nop 0
	v_cndmask_b32_e32 v17, v17, v18, vcc
	v_cndmask_b32_e32 v15, v16, v15, vcc
	v_mov_b32_e32 v16, 0x3b800000
	v_lshlrev_b32_e32 v15, 20, v15
	v_lshl_add_u32 v16, v17, 23, v16
	v_or3_b32 v14, v14, v16, v15
	v_cvt_f64_f32_e32 v[14:15], v14
.LBB168_1753:
	s_or_b64 exec, exec, s[10:11]
.LBB168_1754:
	s_mov_b64 s[6:7], -1
	v_mov_b64_e32 v[16:17], 0
.LBB168_1755:
	s_mov_b64 s[10:11], 0
.LBB168_1756:
	s_and_b64 vcc, exec, s[10:11]
	s_cbranch_vccz .LBB168_1769
; %bb.1757:
	s_cmp_gt_i32 s28, 22
	s_cbranch_scc0 .LBB168_1780
; %bb.1758:
	s_cmp_lt_i32 s28, 24
	s_cbranch_scc1 .LBB168_1782
; %bb.1759:
	s_cmp_gt_i32 s28, 24
	s_cbranch_scc0 .LBB168_1784
; %bb.1760:
	global_load_ubyte v16, v[12:13], off
	s_movk_i32 s2, 0x7f
	s_waitcnt vmcnt(0)
	v_cmp_lt_i16_e32 vcc, s2, v16
	s_mov_b64 s[2:3], 0
	s_and_saveexec_b64 s[6:7], vcc
	s_xor_b64 s[6:7], exec, s[6:7]
	s_cbranch_execz .LBB168_1764
; %bb.1761:
	s_movk_i32 s2, 0x80
	v_cmp_eq_u16_e32 vcc, s2, v16
	s_mov_b64 s[2:3], -1
	s_and_saveexec_b64 s[10:11], vcc
; %bb.1762:
	s_xor_b64 s[2:3], exec, -1
; %bb.1763:
	s_or_b64 exec, exec, s[10:11]
	s_and_b64 s[2:3], s[2:3], exec
.LBB168_1764:
	s_or_saveexec_b64 s[6:7], s[6:7]
	v_bfrev_b32_e32 v14, 4
	v_mov_b32_e32 v15, 0x7ff80000
	s_xor_b64 exec, exec, s[6:7]
; %bb.1765:
	v_cmp_ne_u16_e32 vcc, 0, v16
	s_andn2_b64 s[2:3], s[2:3], exec
	s_and_b64 s[10:11], vcc, exec
	v_mov_b64_e32 v[14:15], 0
	s_or_b64 s[2:3], s[2:3], s[10:11]
; %bb.1766:
	s_or_b64 exec, exec, s[6:7]
	s_and_saveexec_b64 s[6:7], s[2:3]
	s_cbranch_execz .LBB168_1768
; %bb.1767:
	v_and_b32_e32 v15, 0xffff, v16
	v_lshlrev_b32_e32 v14, 24, v16
	v_and_b32_e32 v16, 3, v15
	v_ffbh_u32_e32 v18, v16
	v_min_u32_e32 v18, 32, v18
	v_subrev_u32_e32 v19, 29, v18
	v_bfe_u32 v17, v15, 2, 5
	v_lshlrev_b32_e32 v15, v19, v15
	v_sub_u32_e32 v18, 30, v18
	v_and_b32_e32 v15, 3, v15
	v_cmp_eq_u32_e32 vcc, 0, v17
	v_and_b32_e32 v14, 0x80000000, v14
	s_nop 0
	v_cndmask_b32_e32 v17, v17, v18, vcc
	v_cndmask_b32_e32 v15, v16, v15, vcc
	v_mov_b32_e32 v16, 0x37800000
	v_lshlrev_b32_e32 v15, 21, v15
	v_lshl_add_u32 v16, v17, 23, v16
	v_or3_b32 v14, v14, v16, v15
	v_cvt_f64_f32_e32 v[14:15], v14
.LBB168_1768:
	s_or_b64 exec, exec, s[6:7]
	s_mov_b64 s[2:3], 0
	s_branch .LBB168_1785
.LBB168_1769:
	s_and_b64 vcc, exec, s[0:1]
	s_cbranch_vccnz .LBB168_1813
.LBB168_1770:
	s_andn2_b64 vcc, exec, s[2:3]
	s_cbranch_vccnz .LBB168_1772
.LBB168_1771:
	global_load_ubyte v15, v[12:13], off
	v_mov_b32_e32 v16, 0x3ff00000
	v_mov_b32_e32 v14, 0
	s_mov_b64 s[6:7], -1
	s_waitcnt vmcnt(0)
	v_cmp_ne_u16_e32 vcc, 0, v15
	s_nop 1
	v_cndmask_b32_e32 v15, 0, v16, vcc
	v_mov_b64_e32 v[16:17], 0
.LBB168_1772:
	s_mov_b64 s[0:1], 0
.LBB168_1773:
	s_and_b64 vcc, exec, s[0:1]
	s_cbranch_vccz .LBB168_1844
; %bb.1774:
	s_cmp_lt_i32 s28, 5
	s_cbranch_scc1 .LBB168_1779
; %bb.1775:
	s_cmp_lt_i32 s28, 8
	s_cbranch_scc1 .LBB168_1781
; %bb.1776:
	s_cmp_lt_i32 s28, 9
	s_cbranch_scc1 .LBB168_1783
; %bb.1777:
	s_cmp_gt_i32 s28, 9
	s_cbranch_scc0 .LBB168_1796
; %bb.1778:
	global_load_dwordx4 v[14:17], v[12:13], off
	s_mov_b64 s[0:1], 0
	s_branch .LBB168_1797
.LBB168_1779:
	s_mov_b64 s[0:1], -1
                                        ; implicit-def: $vgpr16_vgpr17
	s_branch .LBB168_1822
.LBB168_1780:
	s_mov_b64 s[2:3], -1
                                        ; implicit-def: $vgpr14_vgpr15
	s_branch .LBB168_1791
.LBB168_1781:
	s_mov_b64 s[0:1], -1
                                        ; implicit-def: $vgpr16_vgpr17
	s_branch .LBB168_1803
.LBB168_1782:
	s_mov_b64 s[2:3], -1
                                        ; implicit-def: $vgpr14_vgpr15
	s_branch .LBB168_1788
.LBB168_1783:
	s_mov_b64 s[0:1], -1
                                        ; implicit-def: $vgpr16_vgpr17
	s_branch .LBB168_1800
.LBB168_1784:
	s_mov_b64 s[2:3], -1
                                        ; implicit-def: $vgpr14_vgpr15
.LBB168_1785:
	s_and_b64 vcc, exec, s[2:3]
	s_cbranch_vccz .LBB168_1787
; %bb.1786:
	global_load_ubyte v14, v[12:13], off
	s_mov_b32 s2, 0x7f800000
	s_waitcnt vmcnt(0)
	v_lshlrev_b32_e32 v14, 24, v14
	v_and_b32_e32 v15, 0x7f000000, v14
	v_ffbh_u32_e32 v16, v15
	v_min_u32_e32 v16, 32, v16
	v_sub_u32_e64 v16, v16, 4 clamp
	v_lshlrev_b32_e32 v18, v16, v15
	v_lshlrev_b32_e32 v16, 23, v16
	v_lshrrev_b32_e32 v18, 4, v18
	v_add_u32_e32 v17, 0x1000000, v15
	v_sub_u32_e32 v16, v18, v16
	v_ashrrev_i32_e32 v17, 8, v17
	v_add_u32_e32 v16, 0x3c000000, v16
	v_and_or_b32 v16, v17, s2, v16
	v_cmp_ne_u32_e32 vcc, 0, v15
	s_brev_b32 s2, 1
	s_nop 0
	v_cndmask_b32_e32 v15, 0, v16, vcc
	v_and_or_b32 v14, v14, s2, v15
	v_cvt_f64_f32_e32 v[14:15], v14
.LBB168_1787:
	s_mov_b64 s[2:3], 0
.LBB168_1788:
	s_andn2_b64 vcc, exec, s[2:3]
	s_cbranch_vccnz .LBB168_1790
; %bb.1789:
	global_load_ubyte v14, v[12:13], off
	s_movk_i32 s2, 0x7f00
	s_brev_b32 s3, 16
	s_waitcnt vmcnt(0)
	v_lshlrev_b16_e32 v15, 8, v14
	v_lshlrev_b32_e32 v14, 25, v14
	v_lshrrev_b32_e32 v16, 4, v14
	v_and_or_b32 v17, v15, s2, 0.5
	v_or_b32_e32 v16, 0x70000000, v16
	v_add_f32_e32 v17, -0.5, v17
	v_mul_f32_e32 v16, 0x7800000, v16
	v_cmp_gt_u32_e32 vcc, s3, v14
	v_bfe_i32 v15, v15, 0, 16
	s_brev_b32 s2, 1
	v_cndmask_b32_e32 v14, v16, v17, vcc
	v_and_or_b32 v14, v15, s2, v14
	v_cvt_f64_f32_e32 v[14:15], v14
.LBB168_1790:
	s_mov_b64 s[2:3], 0
	s_mov_b64 s[6:7], -1
.LBB168_1791:
	s_andn2_b64 vcc, exec, s[2:3]
	s_mov_b64 s[2:3], 0
	s_cbranch_vccnz .LBB168_1812
; %bb.1792:
	s_cmp_gt_i32 s28, 14
	s_cbranch_scc0 .LBB168_1795
; %bb.1793:
	s_cmp_eq_u32 s28, 15
	s_cbranch_scc0 .LBB168_1808
; %bb.1794:
	global_load_ushort v14, v[12:13], off
	s_mov_b64 s[0:1], 0
	s_mov_b64 s[6:7], -1
	s_waitcnt vmcnt(0)
	v_lshlrev_b32_e32 v14, 16, v14
	v_cvt_f64_f32_e32 v[14:15], v14
	s_branch .LBB168_1809
.LBB168_1795:
	s_mov_b64 s[10:11], -1
                                        ; implicit-def: $vgpr14_vgpr15
	s_branch .LBB168_1810
.LBB168_1796:
	s_mov_b64 s[0:1], -1
                                        ; implicit-def: $vgpr16_vgpr17
.LBB168_1797:
	s_andn2_b64 vcc, exec, s[0:1]
	s_cbranch_vccnz .LBB168_1799
; %bb.1798:
	global_load_dwordx2 v[16:17], v[12:13], off
	s_waitcnt vmcnt(0)
	v_cvt_f64_f32_e32 v[14:15], v16
	v_cvt_f64_f32_e32 v[16:17], v17
.LBB168_1799:
	s_mov_b64 s[0:1], 0
.LBB168_1800:
	s_andn2_b64 vcc, exec, s[0:1]
	s_cbranch_vccnz .LBB168_1802
; %bb.1801:
	global_load_dword v14, v[12:13], off
	s_waitcnt vmcnt(0)
	v_cvt_f32_f16_e32 v15, v14
	v_cvt_f32_f16_sdwa v16, v14 dst_sel:DWORD dst_unused:UNUSED_PAD src0_sel:WORD_1
	v_cvt_f64_f32_e32 v[14:15], v15
	v_cvt_f64_f32_e32 v[16:17], v16
.LBB168_1802:
	s_mov_b64 s[0:1], 0
.LBB168_1803:
	s_andn2_b64 vcc, exec, s[0:1]
	s_cbranch_vccnz .LBB168_1821
; %bb.1804:
	s_cmp_lt_i32 s28, 6
	s_cbranch_scc1 .LBB168_1807
; %bb.1805:
	s_cmp_gt_i32 s28, 6
	s_cbranch_scc0 .LBB168_1814
; %bb.1806:
	global_load_dwordx2 v[14:15], v[12:13], off
	s_mov_b64 s[0:1], 0
	s_branch .LBB168_1815
.LBB168_1807:
	s_mov_b64 s[0:1], -1
                                        ; implicit-def: $vgpr14_vgpr15
	s_branch .LBB168_1818
.LBB168_1808:
	s_mov_b64 s[0:1], -1
                                        ; implicit-def: $vgpr14_vgpr15
.LBB168_1809:
	s_mov_b64 s[10:11], 0
.LBB168_1810:
	s_and_b64 vcc, exec, s[10:11]
	s_cbranch_vccz .LBB168_1812
; %bb.1811:
	s_cmp_lg_u32 s28, 11
	s_mov_b64 s[2:3], -1
	s_cselect_b64 s[0:1], -1, 0
.LBB168_1812:
	v_mov_b64_e32 v[16:17], 0
	s_and_b64 vcc, exec, s[0:1]
	s_cbranch_vccz .LBB168_1770
.LBB168_1813:
	s_trap 2
	s_or_b64 s[16:17], s[16:17], exec
	s_cbranch_execz .LBB168_1771
	s_branch .LBB168_1772
.LBB168_1814:
	s_mov_b64 s[0:1], -1
                                        ; implicit-def: $vgpr14_vgpr15
.LBB168_1815:
	s_andn2_b64 vcc, exec, s[0:1]
	s_cbranch_vccnz .LBB168_1817
; %bb.1816:
	global_load_dword v14, v[12:13], off
	s_waitcnt vmcnt(0)
	v_cvt_f64_f32_e32 v[14:15], v14
.LBB168_1817:
	s_mov_b64 s[0:1], 0
.LBB168_1818:
	s_andn2_b64 vcc, exec, s[0:1]
	s_cbranch_vccnz .LBB168_1820
; %bb.1819:
	global_load_ushort v14, v[12:13], off
	s_waitcnt vmcnt(0)
	v_cvt_f32_f16_e32 v14, v14
	v_cvt_f64_f32_e32 v[14:15], v14
.LBB168_1820:
	s_waitcnt vmcnt(0)
	v_mov_b64_e32 v[16:17], 0
.LBB168_1821:
	s_mov_b64 s[0:1], 0
.LBB168_1822:
	s_andn2_b64 vcc, exec, s[0:1]
	s_cbranch_vccnz .LBB168_1843
; %bb.1823:
	s_cmp_lt_i32 s28, 2
	s_cbranch_scc1 .LBB168_1827
; %bb.1824:
	s_cmp_lt_i32 s28, 3
	s_cbranch_scc1 .LBB168_1828
; %bb.1825:
	s_cmp_gt_i32 s28, 3
	s_cbranch_scc0 .LBB168_1829
; %bb.1826:
	global_load_dwordx2 v[14:15], v[12:13], off
	s_mov_b64 s[0:1], 0
	s_waitcnt vmcnt(0)
	v_cvt_f64_i32_e32 v[16:17], v15
	v_cvt_f64_u32_e32 v[14:15], v14
	v_ldexp_f64 v[16:17], v[16:17], 32
	v_add_f64 v[14:15], v[16:17], v[14:15]
	s_branch .LBB168_1830
.LBB168_1827:
	s_mov_b64 s[0:1], -1
                                        ; implicit-def: $vgpr14_vgpr15
	s_branch .LBB168_1836
.LBB168_1828:
	s_mov_b64 s[0:1], -1
                                        ; implicit-def: $vgpr14_vgpr15
	s_branch .LBB168_1833
.LBB168_1829:
	s_mov_b64 s[0:1], -1
                                        ; implicit-def: $vgpr14_vgpr15
.LBB168_1830:
	s_andn2_b64 vcc, exec, s[0:1]
	s_cbranch_vccnz .LBB168_1832
; %bb.1831:
	global_load_dword v14, v[12:13], off
	s_waitcnt vmcnt(0)
	v_cvt_f64_i32_e32 v[14:15], v14
.LBB168_1832:
	s_mov_b64 s[0:1], 0
.LBB168_1833:
	s_andn2_b64 vcc, exec, s[0:1]
	s_cbranch_vccnz .LBB168_1835
; %bb.1834:
	global_load_sshort v14, v[12:13], off
	s_waitcnt vmcnt(0)
	v_cvt_f64_i32_e32 v[14:15], v14
.LBB168_1835:
	s_mov_b64 s[0:1], 0
.LBB168_1836:
	s_andn2_b64 vcc, exec, s[0:1]
	s_cbranch_vccnz .LBB168_1842
; %bb.1837:
	s_cmp_gt_i32 s28, 0
	s_cbranch_scc0 .LBB168_1839
; %bb.1838:
	global_load_sbyte v14, v[12:13], off
	s_mov_b64 s[0:1], 0
	s_waitcnt vmcnt(0)
	v_cvt_f64_i32_e32 v[14:15], v14
	s_branch .LBB168_1840
.LBB168_1839:
	s_mov_b64 s[0:1], -1
                                        ; implicit-def: $vgpr14_vgpr15
.LBB168_1840:
	s_andn2_b64 vcc, exec, s[0:1]
	s_cbranch_vccnz .LBB168_1842
; %bb.1841:
	global_load_ubyte v12, v[12:13], off
	s_waitcnt vmcnt(0)
	v_cvt_f64_u32_e32 v[14:15], v12
.LBB168_1842:
	s_waitcnt vmcnt(0)
	v_mov_b64_e32 v[16:17], 0
.LBB168_1843:
	s_mov_b64 s[6:7], -1
.LBB168_1844:
	s_andn2_b64 vcc, exec, s[6:7]
	s_cbranch_vccnz .LBB168_1857
; %bb.1845:
	s_waitcnt vmcnt(0)
	v_cmp_neq_f64_e32 vcc, 0, v[14:15]
	v_cmp_neq_f64_e64 s[0:1], 0, v[16:17]
	v_mov_b64_e32 v[18:19], 0
	s_or_b64 s[0:1], vcc, s[0:1]
	s_and_saveexec_b64 s[6:7], s[0:1]
	s_cbranch_execz .LBB168_1921
; %bb.1846:
	v_mov_b32_e32 v18, 0
	v_mov_b32_e32 v19, 0x7ff00000
	v_cmp_neq_f64_e64 s[0:1], |v[16:17]|, v[18:19]
	s_and_saveexec_b64 s[10:11], s[0:1]
	s_cbranch_execz .LBB168_1920
; %bb.1847:
	v_cmp_o_f64_e32 vcc, v[14:15], v[14:15]
                                        ; implicit-def: $vgpr18_vgpr19
	s_and_saveexec_b64 s[0:1], vcc
	s_xor_b64 s[18:19], exec, s[0:1]
	s_cbranch_execz .LBB168_1917
; %bb.1848:
	s_mov_b32 s0, 0
	s_mov_b32 s1, 0x7ff00000
	v_cmp_neq_f64_e64 s[0:1], |v[14:15]|, s[0:1]
                                        ; implicit-def: $vgpr18_vgpr19
	s_and_saveexec_b64 s[2:3], s[0:1]
	s_xor_b64 s[20:21], exec, s[2:3]
	s_cbranch_execz .LBB168_1910
; %bb.1849:
	v_max_f64 v[12:13], |v[16:17]|, |v[16:17]|
	v_max_f64 v[18:19], |v[14:15]|, |v[14:15]|
	s_mov_b32 s0, 0x99fcef32
	v_max_f64 v[12:13], v[18:19], v[12:13]
	s_mov_b32 s1, 0x7fda8279
	v_cmp_nle_f64_e64 s[0:1], s[0:1], v[12:13]
                                        ; implicit-def: $sgpr22_sgpr23
	s_and_saveexec_b64 s[2:3], s[0:1]
	s_xor_b64 s[2:3], exec, s[2:3]
	s_cbranch_execz .LBB168_1853
; %bb.1850:
	s_mov_b32 s22, 0
	s_mov_b32 s23, 0x200000
	v_cmp_le_f64_e64 s[24:25], |v[14:15]|, s[22:23]
	v_cmp_le_f64_e64 s[22:23], |v[16:17]|, s[22:23]
	s_and_b64 s[26:27], s[24:25], s[22:23]
	s_mov_b64 s[22:23], 0
	s_and_saveexec_b64 s[24:25], s[26:27]
; %bb.1851:
	s_mov_b64 s[22:23], exec
	v_mul_f64 v[16:17], v[16:17], 4.0
	v_mul_f64 v[14:15], v[14:15], 4.0
; %bb.1852:
	s_or_b64 exec, exec, s[24:25]
.LBB168_1853:
	s_andn2_saveexec_b64 s[2:3], s[2:3]
; %bb.1854:
	v_ldexp_f64 v[14:15], v[14:15], -2
	v_ldexp_f64 v[16:17], v[16:17], -2
	s_andn2_b64 s[22:23], s[22:23], exec
; %bb.1855:
	s_or_b64 exec, exec, s[2:3]
	v_max_f64 v[12:13], |v[16:17]|, |v[16:17]|
	v_max_f64 v[18:19], |v[14:15]|, |v[14:15]|
	v_max_f64 v[12:13], v[18:19], v[12:13]
	v_frexp_exp_i32_f64_e32 v25, v[12:13]
	v_sub_u32_e32 v18, 0, v25
	v_ldexp_f64 v[12:13], |v[14:15]|, v18
	v_ldexp_f64 v[18:19], |v[16:17]|, v18
	v_mul_f64 v[18:19], v[18:19], v[18:19]
	v_fmac_f64_e32 v[18:19], v[12:13], v[12:13]
	v_rsq_f64_e32 v[12:13], v[18:19]
	v_cmp_eq_f64_e64 s[2:3], 0, v[18:19]
	s_movk_i32 s9, 0x204
	v_cmp_class_f64_e64 s[24:25], v[16:17], s9
	v_mul_f64 v[20:21], v[18:19], v[12:13]
	v_mul_f64 v[12:13], v[12:13], 0.5
	v_fma_f64 v[22:23], -v[12:13], v[20:21], 0.5
	v_fmac_f64_e32 v[20:21], v[20:21], v[22:23]
	v_fmac_f64_e32 v[12:13], v[12:13], v[22:23]
	v_fma_f64 v[22:23], -v[20:21], v[20:21], v[18:19]
	v_fmac_f64_e32 v[20:21], v[22:23], v[12:13]
	v_cndmask_b32_e64 v13, v21, v19, s[2:3]
	v_cndmask_b32_e64 v12, v20, v18, s[2:3]
	v_ldexp_f64 v[12:13], v[12:13], v25
	v_cmp_o_f64_e64 s[2:3], v[16:17], v[16:17]
	v_mov_b32_e32 v18, 0x7ff80000
	v_cmp_le_f64_e32 vcc, 0, v[14:15]
	v_cndmask_b32_e64 v12, 0, v12, s[2:3]
	v_cndmask_b32_e64 v13, v18, v13, s[2:3]
	v_cmp_class_f64_e64 s[2:3], v[14:15], s9
	v_mov_b32_e32 v18, 0x7ff00000
	s_or_b64 s[2:3], s[24:25], s[2:3]
	v_cndmask_b32_e64 v19, v13, v18, s[2:3]
	v_cndmask_b32_e64 v18, v12, 0, s[2:3]
                                        ; implicit-def: $vgpr12_vgpr13
                                        ; implicit-def: $vgpr20_vgpr21
	s_and_saveexec_b64 s[2:3], vcc
	s_xor_b64 s[2:3], exec, s[2:3]
	s_cbranch_execz .LBB168_1903
; %bb.1856:
	v_add_f64 v[12:13], v[14:15], v[18:19]
	s_mov_b32 s24, 0
	v_mul_f64 v[12:13], v[12:13], 0.5
	s_brev_b32 s25, 8
	v_mov_b32_e32 v14, 0x100
	v_cmp_gt_f64_e32 vcc, s[24:25], v[12:13]
	s_nop 1
	v_cndmask_b32_e32 v14, 0, v14, vcc
	v_ldexp_f64 v[12:13], v[12:13], v14
	v_rsq_f64_e32 v[14:15], v[12:13]
	s_nop 0
	v_mul_f64 v[18:19], v[12:13], v[14:15]
	v_mul_f64 v[14:15], v[14:15], 0.5
	v_fma_f64 v[20:21], -v[14:15], v[18:19], 0.5
	v_fmac_f64_e32 v[18:19], v[18:19], v[20:21]
	v_fma_f64 v[22:23], -v[18:19], v[18:19], v[12:13]
	v_fmac_f64_e32 v[14:15], v[14:15], v[20:21]
	v_fmac_f64_e32 v[18:19], v[22:23], v[14:15]
	v_fma_f64 v[20:21], -v[18:19], v[18:19], v[12:13]
	v_fmac_f64_e32 v[18:19], v[20:21], v[14:15]
	v_mov_b32_e32 v14, 0xffffff80
	v_cndmask_b32_e32 v14, 0, v14, vcc
	v_ldexp_f64 v[14:15], v[18:19], v14
	v_mov_b32_e32 v18, 0x260
	v_cmp_class_f64_e32 vcc, v[12:13], v18
	s_nop 1
	v_cndmask_b32_e32 v21, v15, v13, vcc
	v_cndmask_b32_e32 v20, v14, v12, vcc
	v_add_f64 v[12:13], v[20:21], v[20:21]
	v_div_scale_f64 v[14:15], s[24:25], v[12:13], v[12:13], v[16:17]
	v_rcp_f64_e32 v[18:19], v[14:15]
	s_nop 0
	v_fma_f64 v[22:23], -v[14:15], v[18:19], 1.0
	v_fmac_f64_e32 v[18:19], v[18:19], v[22:23]
	v_fma_f64 v[22:23], -v[14:15], v[18:19], 1.0
	v_fmac_f64_e32 v[18:19], v[18:19], v[22:23]
	v_div_scale_f64 v[22:23], vcc, v[16:17], v[12:13], v[16:17]
	v_mul_f64 v[26:27], v[22:23], v[18:19]
	v_fma_f64 v[14:15], -v[14:15], v[26:27], v[22:23]
	s_nop 1
	v_div_fmas_f64 v[14:15], v[14:15], v[18:19], v[26:27]
	v_div_fixup_f64 v[12:13], v[14:15], v[12:13], v[16:17]
                                        ; implicit-def: $vgpr18_vgpr19
                                        ; implicit-def: $vgpr14_vgpr15
	s_andn2_saveexec_b64 s[2:3], s[2:3]
	s_cbranch_execz .LBB168_1905
	s_branch .LBB168_1904
.LBB168_1857:
	s_mov_b64 s[0:1], 0
                                        ; implicit-def: $sgpr20
                                        ; implicit-def: $vgpr0_vgpr1
                                        ; implicit-def: $vgpr14_vgpr15
.LBB168_1858:
	s_mov_b64 s[2:3], 0
.LBB168_1859:
	s_and_b64 s[18:19], s[0:1], exec
	s_and_b64 s[10:11], s[2:3], exec
	s_andn2_b64 s[0:1], s[14:15], exec
	s_and_b64 s[2:3], s[16:17], exec
	s_or_b64 s[14:15], s[0:1], s[2:3]
.LBB168_1860:
	s_or_b64 exec, exec, s[12:13]
	s_and_saveexec_b64 s[0:1], s[14:15]
	s_cbranch_execz .LBB168_1863
; %bb.1861:
	; divergent unreachable
	s_or_b64 exec, exec, s[0:1]
	s_and_saveexec_b64 s[0:1], s[10:11]
	s_xor_b64 s[2:3], exec, s[0:1]
	s_cbranch_execnz .LBB168_1864
.LBB168_1862:
	s_or_b64 exec, exec, s[2:3]
	s_and_saveexec_b64 s[0:1], s[18:19]
	s_cbranch_execnz .LBB168_1865
	s_branch .LBB168_1902
.LBB168_1863:
	s_or_b64 exec, exec, s[0:1]
	s_and_saveexec_b64 s[0:1], s[10:11]
	s_xor_b64 s[2:3], exec, s[0:1]
	s_cbranch_execz .LBB168_1862
.LBB168_1864:
	s_waitcnt vmcnt(0)
	v_cmp_neq_f64_e32 vcc, 0, v[12:13]
	v_cmp_neq_f64_e64 s[0:1], 0, v[14:15]
	s_or_b64 s[0:1], vcc, s[0:1]
	s_nop 0
	v_cndmask_b32_e64 v2, 0, 1, s[0:1]
	global_store_byte v[0:1], v2, off
	s_or_b64 exec, exec, s[2:3]
	s_and_saveexec_b64 s[0:1], s[18:19]
	s_cbranch_execz .LBB168_1902
.LBB168_1865:
	s_sext_i32_i16 s2, s20
	s_cmp_lt_i32 s2, 5
	s_mov_b64 s[0:1], -1
	s_cbranch_scc1 .LBB168_1886
; %bb.1866:
	s_cmp_lt_i32 s2, 8
	s_cbranch_scc1 .LBB168_1876
; %bb.1867:
	s_cmp_lt_i32 s2, 9
	s_cbranch_scc1 .LBB168_1873
; %bb.1868:
	s_cmp_gt_i32 s2, 9
	s_cbranch_scc0 .LBB168_1870
; %bb.1869:
	s_waitcnt vmcnt(0)
	global_store_dwordx4 v[0:1], v[12:15], off
	s_mov_b64 s[0:1], 0
.LBB168_1870:
	s_andn2_b64 vcc, exec, s[0:1]
	s_cbranch_vccnz .LBB168_1872
; %bb.1871:
	s_waitcnt vmcnt(0)
	v_cvt_f32_f64_e32 v2, v[12:13]
	v_cvt_f32_f64_e32 v3, v[14:15]
	global_store_dwordx2 v[0:1], v[2:3], off
.LBB168_1872:
	s_mov_b64 s[0:1], 0
.LBB168_1873:
	s_andn2_b64 vcc, exec, s[0:1]
	s_cbranch_vccnz .LBB168_1875
; %bb.1874:
	s_movk_i32 s0, 0x1ff
	s_waitcnt vmcnt(0)
	v_and_or_b32 v2, v13, s0, v12
	v_cmp_ne_u32_e32 vcc, 0, v2
	v_lshrrev_b32_e32 v3, 8, v13
	s_movk_i32 s1, 0xffe
	v_cndmask_b32_e64 v2, 0, 1, vcc
	v_bfe_u32 v4, v13, 20, 11
	v_and_or_b32 v2, v3, s1, v2
	v_sub_u32_e32 v5, 0x3f1, v4
	v_or_b32_e32 v3, 0x1000, v2
	v_med3_i32 v5, v5, 0, 13
	v_lshrrev_b32_e32 v6, v5, v3
	v_lshlrev_b32_e32 v5, v5, v6
	v_cmp_ne_u32_e32 vcc, v5, v3
	v_add_u32_e32 v4, 0xfffffc10, v4
	v_lshl_or_b32 v5, v4, 12, v2
	v_cndmask_b32_e64 v3, 0, 1, vcc
	v_or_b32_e32 v3, v6, v3
	v_cmp_gt_i32_e32 vcc, 1, v4
	s_movk_i32 s2, 0x40f
	v_lshrrev_b32_e32 v7, 8, v15
	v_cndmask_b32_e32 v3, v5, v3, vcc
	v_and_b32_e32 v5, 7, v3
	v_cmp_lt_i32_e32 vcc, 5, v5
	v_lshrrev_b32_e32 v3, 2, v3
	v_bfe_u32 v8, v15, 20, 11
	v_cndmask_b32_e64 v6, 0, 1, vcc
	v_cmp_eq_u32_e32 vcc, 3, v5
	v_sub_u32_e32 v9, 0x3f1, v8
	v_med3_i32 v9, v9, 0, 13
	v_cndmask_b32_e64 v5, 0, 1, vcc
	v_or_b32_e32 v5, v5, v6
	v_add_u32_e32 v3, v3, v5
	v_mov_b32_e32 v5, 0x7c00
	v_cmp_gt_i32_e32 vcc, 31, v4
	v_mov_b32_e32 v6, 0x7e00
	v_add_u32_e32 v8, 0xfffffc10, v8
	v_cndmask_b32_e32 v3, v5, v3, vcc
	v_cmp_ne_u32_e32 vcc, 0, v2
	s_mov_b32 s3, 0x8000
	s_nop 0
	v_cndmask_b32_e32 v2, v5, v6, vcc
	v_cmp_eq_u32_e32 vcc, s2, v4
	v_and_or_b32 v4, v15, s0, v14
	s_mov_b32 s0, 0xffff
	v_cndmask_b32_e32 v2, v3, v2, vcc
	v_cmp_ne_u32_e32 vcc, 0, v4
	v_and_b32_sdwa v3, v13, s3 dst_sel:DWORD dst_unused:UNUSED_PAD src0_sel:WORD_1 src1_sel:DWORD
	v_bitop3_b32 v2, v3, s0, v2 bitop3:0xc8
	v_cndmask_b32_e64 v4, 0, 1, vcc
	v_and_or_b32 v4, v7, s1, v4
	v_or_b32_e32 v7, 0x1000, v4
	v_lshrrev_b32_e32 v10, v9, v7
	v_lshlrev_b32_e32 v9, v9, v10
	v_cmp_ne_u32_e32 vcc, v9, v7
	v_lshl_or_b32 v9, v8, 12, v4
	s_nop 0
	v_cndmask_b32_e64 v7, 0, 1, vcc
	v_or_b32_e32 v7, v10, v7
	v_cmp_gt_i32_e32 vcc, 1, v8
	s_nop 1
	v_cndmask_b32_e32 v7, v9, v7, vcc
	v_and_b32_e32 v9, 7, v7
	v_cmp_lt_i32_e32 vcc, 5, v9
	v_lshrrev_b32_e32 v7, 2, v7
	s_nop 0
	v_cndmask_b32_e64 v10, 0, 1, vcc
	v_cmp_eq_u32_e32 vcc, 3, v9
	s_nop 1
	v_cndmask_b32_e64 v9, 0, 1, vcc
	v_or_b32_e32 v9, v9, v10
	v_add_u32_e32 v7, v7, v9
	v_cmp_gt_i32_e32 vcc, 31, v8
	s_nop 1
	v_cndmask_b32_e32 v7, v5, v7, vcc
	v_cmp_ne_u32_e32 vcc, 0, v4
	s_nop 1
	v_cndmask_b32_e32 v4, v5, v6, vcc
	v_cmp_eq_u32_e32 vcc, s2, v8
	v_lshrrev_b32_e32 v5, 16, v15
	s_nop 0
	v_cndmask_b32_e32 v4, v7, v4, vcc
	v_and_or_b32 v4, v5, s3, v4
	v_lshl_or_b32 v2, v4, 16, v2
	global_store_dword v[0:1], v2, off
.LBB168_1875:
	s_mov_b64 s[0:1], 0
.LBB168_1876:
	s_andn2_b64 vcc, exec, s[0:1]
	s_cbranch_vccnz .LBB168_1885
; %bb.1877:
	s_sext_i32_i16 s2, s20
	s_cmp_lt_i32 s2, 6
	s_mov_b64 s[0:1], -1
	s_cbranch_scc1 .LBB168_1883
; %bb.1878:
	s_cmp_gt_i32 s2, 6
	s_cbranch_scc0 .LBB168_1880
; %bb.1879:
	s_waitcnt vmcnt(0)
	global_store_dwordx2 v[0:1], v[12:13], off
	s_mov_b64 s[0:1], 0
.LBB168_1880:
	s_andn2_b64 vcc, exec, s[0:1]
	s_cbranch_vccnz .LBB168_1882
; %bb.1881:
	s_waitcnt vmcnt(0)
	v_cvt_f32_f64_e32 v2, v[12:13]
	global_store_dword v[0:1], v2, off
.LBB168_1882:
	s_mov_b64 s[0:1], 0
.LBB168_1883:
	s_andn2_b64 vcc, exec, s[0:1]
	s_cbranch_vccnz .LBB168_1885
; %bb.1884:
	s_movk_i32 s0, 0x1ff
	s_waitcnt vmcnt(0)
	v_and_or_b32 v2, v13, s0, v12
	v_cmp_ne_u32_e32 vcc, 0, v2
	v_lshrrev_b32_e32 v3, 8, v13
	s_movk_i32 s0, 0xffe
	v_cndmask_b32_e64 v2, 0, 1, vcc
	v_bfe_u32 v4, v13, 20, 11
	v_and_or_b32 v2, v3, s0, v2
	v_sub_u32_e32 v5, 0x3f1, v4
	v_or_b32_e32 v3, 0x1000, v2
	v_med3_i32 v5, v5, 0, 13
	v_lshrrev_b32_e32 v6, v5, v3
	v_lshlrev_b32_e32 v5, v5, v6
	v_cmp_ne_u32_e32 vcc, v5, v3
	v_add_u32_e32 v4, 0xfffffc10, v4
	v_lshl_or_b32 v5, v4, 12, v2
	v_cndmask_b32_e64 v3, 0, 1, vcc
	v_or_b32_e32 v3, v6, v3
	v_cmp_gt_i32_e32 vcc, 1, v4
	s_movk_i32 s0, 0x40f
	s_nop 0
	v_cndmask_b32_e32 v3, v5, v3, vcc
	v_and_b32_e32 v5, 7, v3
	v_cmp_lt_i32_e32 vcc, 5, v5
	v_lshrrev_b32_e32 v3, 2, v3
	s_nop 0
	v_cndmask_b32_e64 v6, 0, 1, vcc
	v_cmp_eq_u32_e32 vcc, 3, v5
	s_nop 1
	v_cndmask_b32_e64 v5, 0, 1, vcc
	v_or_b32_e32 v5, v5, v6
	v_add_u32_e32 v3, v3, v5
	v_mov_b32_e32 v5, 0x7c00
	v_cmp_gt_i32_e32 vcc, 31, v4
	v_mov_b32_e32 v6, 0x7e00
	s_nop 0
	v_cndmask_b32_e32 v3, v5, v3, vcc
	v_cmp_ne_u32_e32 vcc, 0, v2
	s_nop 1
	v_cndmask_b32_e32 v2, v5, v6, vcc
	v_cmp_eq_u32_e32 vcc, s0, v4
	s_mov_b32 s0, 0x8000
	s_nop 0
	v_cndmask_b32_e32 v2, v3, v2, vcc
	v_lshrrev_b32_e32 v3, 16, v13
	v_and_or_b32 v2, v3, s0, v2
	global_store_short v[0:1], v2, off
.LBB168_1885:
	s_mov_b64 s[0:1], 0
.LBB168_1886:
	s_andn2_b64 vcc, exec, s[0:1]
	s_cbranch_vccnz .LBB168_1902
; %bb.1887:
	s_sext_i32_i16 s2, s20
	s_cmp_lt_i32 s2, 2
	s_mov_b64 s[0:1], -1
	s_cbranch_scc1 .LBB168_1897
; %bb.1888:
	s_cmp_lt_i32 s2, 3
	s_cbranch_scc1 .LBB168_1894
; %bb.1889:
	s_cmp_gt_i32 s2, 3
	s_cbranch_scc0 .LBB168_1891
; %bb.1890:
	s_waitcnt vmcnt(0)
	v_trunc_f64_e32 v[2:3], v[12:13]
	s_movk_i32 s0, 0xffe0
	v_ldexp_f64 v[4:5], v[2:3], s0
	v_floor_f64_e32 v[4:5], v[4:5]
	v_fmac_f64_e32 v[2:3], 0xc1f00000, v[4:5]
	v_cvt_i32_f64_e32 v7, v[4:5]
	v_cvt_u32_f64_e32 v6, v[2:3]
	global_store_dwordx2 v[0:1], v[6:7], off
	s_mov_b64 s[0:1], 0
.LBB168_1891:
	s_andn2_b64 vcc, exec, s[0:1]
	s_cbranch_vccnz .LBB168_1893
; %bb.1892:
	s_waitcnt vmcnt(0)
	v_cvt_i32_f64_e32 v2, v[12:13]
	global_store_dword v[0:1], v2, off
.LBB168_1893:
	s_mov_b64 s[0:1], 0
.LBB168_1894:
	s_andn2_b64 vcc, exec, s[0:1]
	s_cbranch_vccnz .LBB168_1896
; %bb.1895:
	s_waitcnt vmcnt(0)
	v_cvt_i32_f64_e32 v2, v[12:13]
	global_store_short v[0:1], v2, off
.LBB168_1896:
	s_mov_b64 s[0:1], 0
.LBB168_1897:
	s_andn2_b64 vcc, exec, s[0:1]
	s_cbranch_vccnz .LBB168_1902
; %bb.1898:
	s_sext_i32_i16 s0, s20
	s_cmp_gt_i32 s0, 0
	s_mov_b64 s[0:1], -1
	s_cbranch_scc0 .LBB168_1900
; %bb.1899:
	s_waitcnt vmcnt(0)
	v_cvt_i32_f64_e32 v2, v[12:13]
	global_store_byte v[0:1], v2, off
	s_mov_b64 s[0:1], 0
.LBB168_1900:
	s_andn2_b64 vcc, exec, s[0:1]
	s_cbranch_vccnz .LBB168_1902
; %bb.1901:
	s_waitcnt vmcnt(0)
	v_trunc_f64_e32 v[2:3], v[12:13]
	s_movk_i32 s0, 0xffe0
	v_ldexp_f64 v[4:5], v[2:3], s0
	v_floor_f64_e32 v[4:5], v[4:5]
	v_fmac_f64_e32 v[2:3], 0xc1f00000, v[4:5]
	v_cvt_u32_f64_e32 v2, v[2:3]
	global_store_byte v[0:1], v2, off
	s_endpgm
.LBB168_1902:
	s_endpgm
.LBB168_1903:
	s_andn2_saveexec_b64 s[2:3], s[2:3]
	s_cbranch_execz .LBB168_1905
.LBB168_1904:
	v_add_f64 v[12:13], v[18:19], -v[14:15]
	s_mov_b32 s24, 0
	v_mul_f64 v[12:13], v[12:13], 0.5
	s_brev_b32 s25, 8
	v_mov_b32_e32 v14, 0x100
	v_cmp_gt_f64_e32 vcc, s[24:25], v[12:13]
	s_brev_b32 s9, -2
	s_nop 0
	v_cndmask_b32_e32 v14, 0, v14, vcc
	v_ldexp_f64 v[12:13], v[12:13], v14
	v_rsq_f64_e32 v[14:15], v[12:13]
	s_nop 0
	v_mul_f64 v[18:19], v[12:13], v[14:15]
	v_mul_f64 v[14:15], v[14:15], 0.5
	v_fma_f64 v[20:21], -v[14:15], v[18:19], 0.5
	v_fmac_f64_e32 v[18:19], v[18:19], v[20:21]
	v_fma_f64 v[22:23], -v[18:19], v[18:19], v[12:13]
	v_fmac_f64_e32 v[14:15], v[14:15], v[20:21]
	v_fmac_f64_e32 v[18:19], v[22:23], v[14:15]
	v_fma_f64 v[20:21], -v[18:19], v[18:19], v[12:13]
	v_fmac_f64_e32 v[18:19], v[20:21], v[14:15]
	v_mov_b32_e32 v14, 0xffffff80
	v_cndmask_b32_e32 v14, 0, v14, vcc
	v_ldexp_f64 v[14:15], v[18:19], v14
	v_mov_b32_e32 v18, 0x260
	v_cmp_class_f64_e32 vcc, v[12:13], v18
	v_and_b32_e32 v19, 0x7fffffff, v17
	v_mov_b32_e32 v18, v16
	v_cndmask_b32_e32 v13, v15, v13, vcc
	v_cndmask_b32_e32 v12, v14, v12, vcc
	v_add_f64 v[14:15], v[12:13], v[12:13]
	v_div_scale_f64 v[20:21], s[24:25], v[14:15], v[14:15], v[18:19]
	v_rcp_f64_e32 v[22:23], v[20:21]
	v_div_scale_f64 v[18:19], vcc, v[18:19], v[14:15], v[18:19]
	v_bfi_b32 v13, s9, v13, v17
	v_fma_f64 v[26:27], -v[20:21], v[22:23], 1.0
	v_fmac_f64_e32 v[22:23], v[22:23], v[26:27]
	v_fma_f64 v[26:27], -v[20:21], v[22:23], 1.0
	v_fmac_f64_e32 v[22:23], v[22:23], v[26:27]
	v_mul_f64 v[26:27], v[18:19], v[22:23]
	v_fma_f64 v[18:19], -v[20:21], v[26:27], v[18:19]
	v_div_fmas_f64 v[18:19], v[18:19], v[22:23], v[26:27]
	v_div_fixup_f64 v[20:21], v[18:19], v[14:15], |v[16:17]|
.LBB168_1905:
	s_or_b64 exec, exec, s[2:3]
                                        ; implicit-def: $vgpr16_vgpr17
                                        ; implicit-def: $vgpr18_vgpr19
	s_and_saveexec_b64 s[2:3], s[0:1]
	s_xor_b64 s[0:1], exec, s[2:3]
	s_cbranch_execz .LBB168_1907
; %bb.1906:
	v_mul_f64 v[14:15], v[20:21], 0.5
	v_mul_f64 v[16:17], v[12:13], 0.5
	v_cndmask_b32_e64 v19, v21, v15, s[22:23]
	v_cndmask_b32_e64 v18, v20, v14, s[22:23]
	;; [unrolled: 1-line block ×4, first 2 shown]
                                        ; implicit-def: $vgpr20_vgpr21
                                        ; implicit-def: $vgpr12_vgpr13
	s_andn2_saveexec_b64 s[0:1], s[0:1]
	s_cbranch_execnz .LBB168_1908
	s_branch .LBB168_1909
.LBB168_1907:
	s_andn2_saveexec_b64 s[0:1], s[0:1]
.LBB168_1908:
	v_add_f64 v[18:19], v[20:21], v[20:21]
	v_add_f64 v[16:17], v[12:13], v[12:13]
.LBB168_1909:
	s_or_b64 exec, exec, s[0:1]
.LBB168_1910:
	s_andn2_saveexec_b64 s[0:1], s[20:21]
	s_cbranch_execz .LBB168_1916
; %bb.1911:
	v_add_f64 v[12:13], v[16:17], -v[16:17]
	v_cmp_lt_i64_e32 vcc, -1, v[14:15]
	s_brev_b32 s9, -2
	v_and_b32_e32 v19, 0x7fffffff, v13
	v_mov_b32_e32 v18, v12
	s_and_saveexec_b64 s[2:3], vcc
	s_xor_b64 s[2:3], exec, s[2:3]
; %bb.1912:
	v_bfi_b32 v13, s9, v13, v17
	v_mov_b64_e32 v[16:17], v[12:13]
	v_mov_b64_e32 v[18:19], v[14:15]
; %bb.1913:
	s_andn2_saveexec_b64 s[2:3], s[2:3]
; %bb.1914:
	v_bfi_b32 v15, s9, v15, v17
	v_mov_b64_e32 v[16:17], v[14:15]
; %bb.1915:
	s_or_b64 exec, exec, s[2:3]
.LBB168_1916:
	s_or_b64 exec, exec, s[0:1]
.LBB168_1917:
	s_andn2_saveexec_b64 s[0:1], s[18:19]
	s_cbranch_execz .LBB168_1919
; %bb.1918:
	v_add_f64 v[12:13], v[16:17], -v[16:17]
	v_div_scale_f64 v[16:17], vcc, v[12:13], v[12:13], v[12:13]
	v_rcp_f64_e32 v[18:19], v[16:17]
	s_nop 0
	v_fma_f64 v[20:21], -v[16:17], v[18:19], 1.0
	v_fmac_f64_e32 v[18:19], v[18:19], v[20:21]
	v_fma_f64 v[20:21], -v[16:17], v[18:19], 1.0
	v_fmac_f64_e32 v[18:19], v[18:19], v[20:21]
	v_mul_f64 v[20:21], v[16:17], v[18:19]
	v_fma_f64 v[16:17], -v[16:17], v[20:21], v[16:17]
	v_div_fmas_f64 v[16:17], v[16:17], v[18:19], v[20:21]
	v_div_fixup_f64 v[16:17], v[16:17], v[12:13], v[12:13]
	v_mov_b64_e32 v[18:19], v[14:15]
.LBB168_1919:
	s_or_b64 exec, exec, s[0:1]
.LBB168_1920:
	s_or_b64 exec, exec, s[10:11]
.LBB168_1921:
	s_or_b64 exec, exec, s[6:7]
	v_xor_b32_e32 v12, 0x80000000, v19
	v_cmp_gt_f64_e32 vcc, 0, v[18:19]
	v_mov_b32_e32 v22, v18
	v_mov_b32_e32 v20, v16
	v_cndmask_b32_e32 v23, v19, v12, vcc
	v_xor_b32_e32 v12, 0x80000000, v17
	v_cmp_gt_f64_e32 vcc, 0, v[16:17]
	s_nop 1
	v_cndmask_b32_e32 v21, v17, v12, vcc
	v_cmp_ge_f64_e32 vcc, v[22:23], v[20:21]
                                        ; implicit-def: $vgpr14_vgpr15
	s_and_saveexec_b64 s[0:1], vcc
	s_xor_b64 s[2:3], exec, s[0:1]
	s_cbranch_execz .LBB168_1927
; %bb.1922:
	v_cmp_neq_f64_e32 vcc, 0, v[18:19]
	v_cmp_neq_f64_e64 s[0:1], 0, v[16:17]
	s_or_b64 s[0:1], vcc, s[0:1]
                                        ; implicit-def: $vgpr14_vgpr15
	s_and_saveexec_b64 s[6:7], s[0:1]
	s_xor_b64 s[0:1], exec, s[6:7]
	s_cbranch_execz .LBB168_1924
; %bb.1923:
	v_div_scale_f64 v[12:13], s[6:7], v[18:19], v[18:19], v[16:17]
	v_rcp_f64_e32 v[14:15], v[12:13]
	v_div_scale_f64 v[20:21], vcc, v[16:17], v[18:19], v[16:17]
	v_fma_f64 v[22:23], -v[12:13], v[14:15], 1.0
	v_fmac_f64_e32 v[14:15], v[14:15], v[22:23]
	v_fma_f64 v[22:23], -v[12:13], v[14:15], 1.0
	v_fmac_f64_e32 v[14:15], v[14:15], v[22:23]
	v_mul_f64 v[22:23], v[20:21], v[14:15]
	v_fma_f64 v[12:13], -v[12:13], v[22:23], v[20:21]
	v_div_fmas_f64 v[12:13], v[12:13], v[14:15], v[22:23]
	v_div_fixup_f64 v[14:15], v[12:13], v[18:19], v[16:17]
	v_fmac_f64_e32 v[18:19], v[16:17], v[14:15]
	v_div_scale_f64 v[12:13], s[6:7], v[18:19], v[18:19], 1.0
	v_rcp_f64_e32 v[16:17], v[12:13]
	s_nop 0
	v_fma_f64 v[20:21], -v[12:13], v[16:17], 1.0
	v_fmac_f64_e32 v[16:17], v[16:17], v[20:21]
	v_fma_f64 v[20:21], -v[12:13], v[16:17], 1.0
	v_fmac_f64_e32 v[16:17], v[16:17], v[20:21]
	v_div_scale_f64 v[20:21], vcc, 1.0, v[18:19], 1.0
	v_mul_f64 v[22:23], v[20:21], v[16:17]
	v_fma_f64 v[12:13], -v[12:13], v[22:23], v[20:21]
                                        ; implicit-def: $vgpr20_vgpr21
	s_nop 1
	v_div_fmas_f64 v[12:13], v[12:13], v[16:17], v[22:23]
	v_div_fixup_f64 v[16:17], v[12:13], v[18:19], 1.0
	v_fma_f64 v[12:13], v[14:15], 0, 1.0
	v_add_f64 v[14:15], -v[14:15], 0
	v_mul_f64 v[12:13], v[12:13], v[16:17]
	v_mul_f64 v[14:15], v[14:15], v[16:17]
                                        ; implicit-def: $vgpr22_vgpr23
.LBB168_1924:
	s_andn2_saveexec_b64 s[0:1], s[0:1]
	s_cbranch_execz .LBB168_1926
; %bb.1925:
	v_div_scale_f64 v[12:13], s[6:7], v[22:23], v[22:23], 1.0
	v_rcp_f64_e32 v[14:15], v[12:13]
	v_div_scale_f64 v[16:17], vcc, 1.0, v[22:23], 1.0
	v_fma_f64 v[18:19], -v[12:13], v[14:15], 1.0
	v_fmac_f64_e32 v[14:15], v[14:15], v[18:19]
	v_fma_f64 v[18:19], -v[12:13], v[14:15], 1.0
	v_fmac_f64_e32 v[14:15], v[14:15], v[18:19]
	v_mul_f64 v[18:19], v[16:17], v[14:15]
	v_fma_f64 v[12:13], -v[12:13], v[18:19], v[16:17]
	v_div_scale_f64 v[16:17], s[6:7], v[20:21], v[20:21], 0
	v_rcp_f64_e32 v[26:27], v[16:17]
	v_div_fmas_f64 v[12:13], v[12:13], v[14:15], v[18:19]
	v_div_fixup_f64 v[12:13], v[12:13], v[22:23], 1.0
	v_fma_f64 v[14:15], -v[16:17], v[26:27], 1.0
	v_fmac_f64_e32 v[26:27], v[26:27], v[14:15]
	v_fma_f64 v[14:15], -v[16:17], v[26:27], 1.0
	v_fmac_f64_e32 v[26:27], v[26:27], v[14:15]
	v_div_scale_f64 v[14:15], vcc, 0, v[20:21], 0
	v_mul_f64 v[18:19], v[14:15], v[26:27]
	v_fma_f64 v[14:15], -v[16:17], v[18:19], v[14:15]
	s_nop 1
	v_div_fmas_f64 v[14:15], v[14:15], v[26:27], v[18:19]
	v_div_fixup_f64 v[14:15], v[14:15], v[20:21], 0
.LBB168_1926:
	s_or_b64 exec, exec, s[0:1]
                                        ; implicit-def: $vgpr16_vgpr17
                                        ; implicit-def: $vgpr18_vgpr19
.LBB168_1927:
	s_andn2_saveexec_b64 s[0:1], s[2:3]
	s_cbranch_execz .LBB168_1929
; %bb.1928:
	v_div_scale_f64 v[12:13], s[2:3], v[16:17], v[16:17], v[18:19]
	v_rcp_f64_e32 v[14:15], v[12:13]
	v_div_scale_f64 v[20:21], vcc, v[18:19], v[16:17], v[18:19]
	v_fma_f64 v[22:23], -v[12:13], v[14:15], 1.0
	v_fmac_f64_e32 v[14:15], v[14:15], v[22:23]
	v_fma_f64 v[22:23], -v[12:13], v[14:15], 1.0
	v_fmac_f64_e32 v[14:15], v[14:15], v[22:23]
	v_mul_f64 v[22:23], v[20:21], v[14:15]
	v_fma_f64 v[12:13], -v[12:13], v[22:23], v[20:21]
	v_div_fmas_f64 v[12:13], v[12:13], v[14:15], v[22:23]
	v_div_fixup_f64 v[14:15], v[12:13], v[16:17], v[18:19]
	v_fmac_f64_e32 v[16:17], v[18:19], v[14:15]
	v_div_scale_f64 v[12:13], s[2:3], v[16:17], v[16:17], 1.0
	v_rcp_f64_e32 v[18:19], v[12:13]
	s_nop 0
	v_fma_f64 v[20:21], -v[12:13], v[18:19], 1.0
	v_fmac_f64_e32 v[18:19], v[18:19], v[20:21]
	v_fma_f64 v[20:21], -v[12:13], v[18:19], 1.0
	v_fmac_f64_e32 v[18:19], v[18:19], v[20:21]
	v_div_scale_f64 v[20:21], vcc, 1.0, v[16:17], 1.0
	v_mul_f64 v[22:23], v[20:21], v[18:19]
	v_fma_f64 v[12:13], -v[12:13], v[22:23], v[20:21]
	s_nop 1
	v_div_fmas_f64 v[12:13], v[12:13], v[18:19], v[22:23]
	v_div_fixup_f64 v[16:17], v[12:13], v[16:17], 1.0
	v_add_f64 v[12:13], v[14:15], 0
	v_fma_f64 v[14:15], v[14:15], 0, -1.0
	v_mul_f64 v[12:13], v[12:13], v[16:17]
	v_mul_f64 v[14:15], v[14:15], v[16:17]
.LBB168_1929:
	s_or_b64 exec, exec, s[0:1]
	v_mul_lo_u32 v16, s8, v24
	v_ashrrev_i32_e32 v17, 31, v16
	s_and_b32 s20, s33, 0xff
	s_cmp_lt_i32 s20, 11
	v_lshl_add_u64 v[18:19], s[4:5], 0, v[16:17]
	s_cbranch_scc1 .LBB168_2007
; %bb.1930:
	s_and_b32 s9, 0xffff, s20
	s_mov_b64 s[10:11], -1
	s_mov_b64 s[2:3], 0
	s_cmp_gt_i32 s9, 25
	s_mov_b64 s[6:7], 0
	s_mov_b64 s[0:1], 0
	s_cbranch_scc0 .LBB168_1963
; %bb.1931:
	s_cmp_gt_i32 s9, 28
	s_cbranch_scc0 .LBB168_1946
; %bb.1932:
	s_cmp_gt_i32 s9, 43
	;; [unrolled: 3-line block ×3, first 2 shown]
	s_cbranch_scc0 .LBB168_1936
; %bb.1934:
	s_mov_b64 s[0:1], -1
	s_mov_b64 s[10:11], 0
	s_cmp_eq_u32 s9, 46
	s_cbranch_scc0 .LBB168_1936
; %bb.1935:
	v_cvt_f32_f64_e32 v20, v[2:3]
	s_movk_i32 s0, 0x7fff
	v_bfe_u32 v22, v20, 16, 1
	v_cvt_f32_f64_e32 v17, v[0:1]
	v_add3_u32 v22, v20, v22, s0
	v_bfe_u32 v21, v17, 16, 1
	v_and_b32_e32 v22, 0xffff0000, v22
	v_mov_b32_e32 v23, 0x7fc00000
	v_cmp_o_f32_e32 vcc, v20, v20
	v_add3_u32 v21, v17, v21, s0
	s_mov_b64 s[0:1], 0
	v_cndmask_b32_e32 v20, v23, v22, vcc
	v_cmp_o_f32_e32 vcc, v17, v17
	v_mov_b32_e32 v17, 0x7fc0
	s_mov_b64 s[6:7], -1
	v_cndmask_b32_sdwa v17, v17, v21, vcc dst_sel:DWORD dst_unused:UNUSED_PAD src0_sel:DWORD src1_sel:WORD_1
	v_or_b32_e32 v17, v20, v17
	global_store_dword v[18:19], v17, off
.LBB168_1936:
	s_and_b64 vcc, exec, s[10:11]
	s_cbranch_vccz .LBB168_1941
; %bb.1937:
	s_cmp_eq_u32 s9, 44
	s_mov_b64 s[0:1], -1
	s_cbranch_scc0 .LBB168_1941
; %bb.1938:
	v_cvt_f32_f64_e32 v17, v[0:1]
	v_bfe_u32 v20, v17, 23, 8
	s_movk_i32 s0, 0xff
	v_cmp_ne_u32_e32 vcc, s0, v20
	v_mov_b32_e32 v21, 0xff
	s_and_saveexec_b64 s[6:7], vcc
; %bb.1939:
	s_mov_b32 s0, 0x3fffff
	v_lshrrev_b32_e32 v21, 23, v17
	v_and_b32_e32 v22, 0x400000, v17
	v_and_or_b32 v17, v17, s0, v20
	v_cmp_ne_u32_e32 vcc, 0, v22
	v_cmp_ne_u32_e64 s[0:1], 0, v17
	s_and_b64 s[0:1], vcc, s[0:1]
	s_nop 0
	v_cndmask_b32_e64 v17, 0, 1, s[0:1]
	v_add_u32_e32 v21, v21, v17
; %bb.1940:
	s_or_b64 exec, exec, s[6:7]
	s_mov_b64 s[0:1], 0
	s_mov_b64 s[6:7], -1
	global_store_byte v[18:19], v21, off
.LBB168_1941:
	s_mov_b64 s[10:11], 0
.LBB168_1942:
	s_and_b64 vcc, exec, s[10:11]
	s_cbranch_vccz .LBB168_1945
; %bb.1943:
	s_cmp_eq_u32 s9, 29
	s_mov_b64 s[0:1], -1
	s_cbranch_scc0 .LBB168_1945
; %bb.1944:
	v_trunc_f64_e32 v[20:21], v[0:1]
	s_movk_i32 s0, 0xffe0
	v_ldexp_f64 v[22:23], v[20:21], s0
	v_floor_f64_e32 v[22:23], v[22:23]
	v_fmac_f64_e32 v[20:21], 0xc1f00000, v[22:23]
	v_cvt_u32_f64_e32 v25, v[22:23]
	v_cvt_u32_f64_e32 v24, v[20:21]
	global_store_dwordx2 v[18:19], v[24:25], off
	s_mov_b64 s[0:1], 0
	s_mov_b64 s[6:7], -1
.LBB168_1945:
	s_mov_b64 s[10:11], 0
.LBB168_1946:
	s_and_b64 vcc, exec, s[10:11]
	s_cbranch_vccz .LBB168_1962
; %bb.1947:
	s_cmp_lt_i32 s9, 27
	s_mov_b64 s[6:7], -1
	s_cbranch_scc1 .LBB168_1953
; %bb.1948:
	s_cmp_gt_i32 s9, 27
	v_cvt_u32_f64_e32 v17, v[0:1]
	s_cbranch_scc0 .LBB168_1950
; %bb.1949:
	s_mov_b64 s[6:7], 0
	global_store_dword v[18:19], v17, off
.LBB168_1950:
	s_andn2_b64 vcc, exec, s[6:7]
	s_cbranch_vccnz .LBB168_1952
; %bb.1951:
	global_store_short v[18:19], v17, off
.LBB168_1952:
	s_mov_b64 s[6:7], 0
.LBB168_1953:
	s_andn2_b64 vcc, exec, s[6:7]
	s_cbranch_vccnz .LBB168_1961
; %bb.1954:
	v_cvt_f32_f64_e32 v17, v[0:1]
	v_and_b32_e32 v20, 0x7fffffff, v17
	s_mov_b32 s6, 0x43800000
	v_cmp_gt_u32_e32 vcc, s6, v20
	v_mov_b32_e32 v21, 0x80
	s_and_saveexec_b64 s[6:7], vcc
	s_cbranch_execz .LBB168_1960
; %bb.1955:
	s_mov_b32 s10, 0x3bffffff
	v_cmp_lt_u32_e32 vcc, s10, v20
	s_mov_b64 s[10:11], 0
                                        ; implicit-def: $vgpr20
	s_and_saveexec_b64 s[18:19], vcc
	s_xor_b64 s[18:19], exec, s[18:19]
	s_cbranch_execz .LBB168_2364
; %bb.1956:
	v_bfe_u32 v20, v17, 20, 1
	s_mov_b32 s21, 0x487ffff
	v_add3_u32 v20, v17, v20, s21
	s_mov_b64 s[10:11], exec
	v_lshrrev_b32_e32 v20, 20, v20
	s_andn2_saveexec_b64 s[18:19], s[18:19]
	s_cbranch_execnz .LBB168_2365
.LBB168_1957:
	s_or_b64 exec, exec, s[18:19]
	v_mov_b32_e32 v21, 0
	s_and_saveexec_b64 s[18:19], s[10:11]
.LBB168_1958:
	v_lshrrev_b32_e32 v17, 24, v17
	s_movk_i32 s10, 0x80
	v_and_or_b32 v21, v17, s10, v20
.LBB168_1959:
	s_or_b64 exec, exec, s[18:19]
.LBB168_1960:
	s_or_b64 exec, exec, s[6:7]
	global_store_byte v[18:19], v21, off
.LBB168_1961:
	s_mov_b64 s[6:7], -1
.LBB168_1962:
	s_mov_b64 s[10:11], 0
.LBB168_1963:
	s_and_b64 vcc, exec, s[10:11]
	s_cbranch_vccz .LBB168_2003
; %bb.1964:
	s_cmp_gt_i32 s9, 22
	s_mov_b64 s[2:3], -1
	s_cbranch_scc0 .LBB168_1996
; %bb.1965:
	s_cmp_lt_i32 s9, 24
	s_cbranch_scc1 .LBB168_1985
; %bb.1966:
	s_cmp_gt_i32 s9, 24
	s_cbranch_scc0 .LBB168_1974
; %bb.1967:
	v_cvt_f32_f64_e32 v17, v[0:1]
	v_and_b32_e32 v20, 0x7fffffff, v17
	s_mov_b32 s2, 0x47800000
	v_cmp_gt_u32_e32 vcc, s2, v20
	v_mov_b32_e32 v21, 0x80
	s_and_saveexec_b64 s[2:3], vcc
	s_cbranch_execz .LBB168_1973
; %bb.1968:
	s_mov_b32 s6, 0x37ffffff
	v_cmp_lt_u32_e32 vcc, s6, v20
	s_mov_b64 s[6:7], 0
                                        ; implicit-def: $vgpr20
	s_and_saveexec_b64 s[10:11], vcc
	s_xor_b64 s[10:11], exec, s[10:11]
	s_cbranch_execz .LBB168_2367
; %bb.1969:
	v_bfe_u32 v20, v17, 21, 1
	s_mov_b32 s18, 0x88fffff
	v_add3_u32 v20, v17, v20, s18
	s_mov_b64 s[6:7], exec
	v_lshrrev_b32_e32 v20, 21, v20
	s_andn2_saveexec_b64 s[10:11], s[10:11]
	s_cbranch_execnz .LBB168_2368
.LBB168_1970:
	s_or_b64 exec, exec, s[10:11]
	v_mov_b32_e32 v21, 0
	s_and_saveexec_b64 s[10:11], s[6:7]
.LBB168_1971:
	v_lshrrev_b32_e32 v17, 24, v17
	s_movk_i32 s6, 0x80
	v_and_or_b32 v21, v17, s6, v20
.LBB168_1972:
	s_or_b64 exec, exec, s[10:11]
.LBB168_1973:
	s_or_b64 exec, exec, s[2:3]
	s_mov_b64 s[2:3], 0
	global_store_byte v[18:19], v21, off
.LBB168_1974:
	s_and_b64 vcc, exec, s[2:3]
	s_cbranch_vccz .LBB168_1984
; %bb.1975:
	v_cvt_f32_f64_e32 v17, v[0:1]
	v_and_b32_e32 v21, 0x7fffffff, v17
	s_mov_b32 s2, 0x43f00000
	v_cmp_gt_u32_e32 vcc, s2, v21
                                        ; implicit-def: $vgpr20
	s_and_saveexec_b64 s[2:3], vcc
	s_xor_b64 s[2:3], exec, s[2:3]
	s_cbranch_execz .LBB168_1981
; %bb.1976:
	s_mov_b32 s6, 0x3c7fffff
	v_cmp_lt_u32_e32 vcc, s6, v21
                                        ; implicit-def: $vgpr20
	s_and_saveexec_b64 s[6:7], vcc
	s_xor_b64 s[6:7], exec, s[6:7]
; %bb.1977:
	v_bfe_u32 v20, v17, 20, 1
	s_mov_b32 s10, 0x407ffff
	v_add3_u32 v20, v17, v20, s10
	v_lshrrev_b32_e32 v21, 20, v20
	v_and_b32_e32 v20, 0xff00000, v20
	s_mov_b32 s10, 0x7f00000
	v_mov_b32_e32 v22, 0x7e
	v_cmp_ne_u32_e32 vcc, s10, v20
	s_nop 1
	v_cndmask_b32_e32 v20, v22, v21, vcc
; %bb.1978:
	s_andn2_saveexec_b64 s[6:7], s[6:7]
; %bb.1979:
	s_mov_b32 s10, 0x46800000
	v_add_f32_e64 v20, |v17|, s10
; %bb.1980:
	s_or_b64 exec, exec, s[6:7]
                                        ; implicit-def: $vgpr21
.LBB168_1981:
	s_andn2_saveexec_b64 s[2:3], s[2:3]
; %bb.1982:
	s_mov_b32 s6, 0x7f800000
	v_mov_b32_e32 v20, 0x7e
	v_mov_b32_e32 v22, 0x7f
	v_cmp_lt_u32_e32 vcc, s6, v21
	s_nop 1
	v_cndmask_b32_e32 v20, v20, v22, vcc
; %bb.1983:
	s_or_b64 exec, exec, s[2:3]
	v_lshrrev_b32_e32 v17, 24, v17
	s_movk_i32 s2, 0x80
	v_and_or_b32 v17, v17, s2, v20
	global_store_byte v[18:19], v17, off
.LBB168_1984:
	s_mov_b64 s[2:3], 0
.LBB168_1985:
	s_andn2_b64 vcc, exec, s[2:3]
	s_cbranch_vccnz .LBB168_1995
; %bb.1986:
	v_cvt_f32_f64_e32 v17, v[0:1]
	v_and_b32_e32 v21, 0x7fffffff, v17
	s_mov_b32 s2, 0x47800000
	v_cmp_gt_u32_e32 vcc, s2, v21
                                        ; implicit-def: $vgpr20
	s_and_saveexec_b64 s[2:3], vcc
	s_xor_b64 s[2:3], exec, s[2:3]
	s_cbranch_execz .LBB168_1992
; %bb.1987:
	s_mov_b32 s6, 0x387fffff
	v_cmp_lt_u32_e32 vcc, s6, v21
                                        ; implicit-def: $vgpr20
	s_and_saveexec_b64 s[6:7], vcc
	s_xor_b64 s[6:7], exec, s[6:7]
; %bb.1988:
	v_bfe_u32 v20, v17, 21, 1
	s_mov_b32 s10, 0x80fffff
	v_add3_u32 v20, v17, v20, s10
	v_lshrrev_b32_e32 v20, 21, v20
; %bb.1989:
	s_andn2_saveexec_b64 s[6:7], s[6:7]
; %bb.1990:
	s_mov_b32 s10, 0x43000000
	v_add_f32_e64 v20, |v17|, s10
; %bb.1991:
	s_or_b64 exec, exec, s[6:7]
                                        ; implicit-def: $vgpr21
.LBB168_1992:
	s_andn2_saveexec_b64 s[2:3], s[2:3]
; %bb.1993:
	s_mov_b32 s6, 0x7f800000
	v_mov_b32_e32 v20, 0x7c
	v_mov_b32_e32 v22, 0x7f
	v_cmp_lt_u32_e32 vcc, s6, v21
	s_nop 1
	v_cndmask_b32_e32 v20, v20, v22, vcc
; %bb.1994:
	s_or_b64 exec, exec, s[2:3]
	v_lshrrev_b32_e32 v17, 24, v17
	s_movk_i32 s2, 0x80
	v_and_or_b32 v17, v17, s2, v20
	global_store_byte v[18:19], v17, off
.LBB168_1995:
	s_mov_b64 s[2:3], 0
	s_mov_b64 s[6:7], -1
.LBB168_1996:
	s_andn2_b64 vcc, exec, s[2:3]
	s_mov_b64 s[2:3], 0
	s_cbranch_vccnz .LBB168_2003
; %bb.1997:
	s_cmp_gt_i32 s9, 14
	s_mov_b64 s[10:11], -1
	s_cbranch_scc0 .LBB168_2001
; %bb.1998:
	s_cmp_eq_u32 s9, 15
	s_mov_b64 s[0:1], -1
	s_cbranch_scc0 .LBB168_2000
; %bb.1999:
	v_cvt_f32_f64_e32 v17, v[0:1]
	v_bfe_u32 v20, v17, 16, 1
	s_movk_i32 s0, 0x7fff
	v_add3_u32 v20, v17, v20, s0
	v_cmp_o_f32_e32 vcc, v17, v17
	v_mov_b32_e32 v17, 0x7fc0
	s_mov_b64 s[0:1], 0
	v_cndmask_b32_sdwa v17, v17, v20, vcc dst_sel:DWORD dst_unused:UNUSED_PAD src0_sel:DWORD src1_sel:WORD_1
	global_store_short v[18:19], v17, off
	s_mov_b64 s[6:7], -1
.LBB168_2000:
	s_mov_b64 s[10:11], 0
.LBB168_2001:
	s_and_b64 vcc, exec, s[10:11]
	s_cbranch_vccz .LBB168_2003
; %bb.2002:
	s_cmp_lg_u32 s9, 11
	s_mov_b64 s[2:3], -1
	s_cselect_b64 s[0:1], -1, 0
.LBB168_2003:
	s_and_b64 vcc, exec, s[0:1]
	s_cbranch_vccnz .LBB168_2366
; %bb.2004:
	s_andn2_b64 vcc, exec, s[2:3]
	s_cbranch_vccnz .LBB168_2006
.LBB168_2005:
	v_cmp_neq_f64_e32 vcc, 0, v[0:1]
	v_cmp_neq_f64_e64 s[0:1], 0, v[2:3]
	s_or_b64 s[0:1], vcc, s[0:1]
	s_mov_b64 s[6:7], -1
	v_cndmask_b32_e64 v17, 0, 1, s[0:1]
	global_store_byte v[18:19], v17, off
.LBB168_2006:
	s_mov_b64 s[0:1], 0
	s_branch .LBB168_2008
.LBB168_2007:
	s_mov_b64 s[0:1], -1
	s_mov_b64 s[6:7], 0
.LBB168_2008:
	s_and_b64 vcc, exec, s[0:1]
	s_cbranch_vccz .LBB168_2047
; %bb.2009:
	s_and_b32 s2, 0xffff, s20
	s_cmp_lt_i32 s2, 5
	s_mov_b64 s[0:1], -1
	s_cbranch_scc1 .LBB168_2030
; %bb.2010:
	s_cmp_lt_i32 s2, 8
	s_cbranch_scc1 .LBB168_2020
; %bb.2011:
	s_cmp_lt_i32 s2, 9
	s_cbranch_scc1 .LBB168_2017
; %bb.2012:
	s_cmp_gt_i32 s2, 9
	s_cbranch_scc0 .LBB168_2014
; %bb.2013:
	global_store_dwordx4 v[18:19], v[0:3], off
	s_mov_b64 s[0:1], 0
.LBB168_2014:
	s_andn2_b64 vcc, exec, s[0:1]
	s_cbranch_vccnz .LBB168_2016
; %bb.2015:
	v_cvt_f32_f64_e32 v20, v[0:1]
	v_cvt_f32_f64_e32 v21, v[2:3]
	global_store_dwordx2 v[18:19], v[20:21], off
.LBB168_2016:
	s_mov_b64 s[0:1], 0
.LBB168_2017:
	s_andn2_b64 vcc, exec, s[0:1]
	s_cbranch_vccnz .LBB168_2019
; %bb.2018:
	s_movk_i32 s0, 0x1ff
	v_and_or_b32 v17, v1, s0, v0
	v_cmp_ne_u32_e32 vcc, 0, v17
	v_lshrrev_b32_e32 v20, 8, v1
	s_movk_i32 s1, 0xffe
	v_cndmask_b32_e64 v17, 0, 1, vcc
	v_bfe_u32 v21, v1, 20, 11
	v_and_or_b32 v17, v20, s1, v17
	v_sub_u32_e32 v22, 0x3f1, v21
	v_or_b32_e32 v20, 0x1000, v17
	v_med3_i32 v22, v22, 0, 13
	v_lshrrev_b32_e32 v23, v22, v20
	v_lshlrev_b32_e32 v22, v22, v23
	v_cmp_ne_u32_e32 vcc, v22, v20
	v_add_u32_e32 v21, 0xfffffc10, v21
	v_lshl_or_b32 v22, v21, 12, v17
	v_cndmask_b32_e64 v20, 0, 1, vcc
	v_or_b32_e32 v20, v23, v20
	v_cmp_gt_i32_e32 vcc, 1, v21
	s_movk_i32 s3, 0x40f
	v_and_or_b32 v2, v3, s0, v2
	v_cndmask_b32_e32 v20, v22, v20, vcc
	v_and_b32_e32 v22, 7, v20
	v_cmp_lt_i32_e32 vcc, 5, v22
	v_lshrrev_b32_e32 v20, 2, v20
	v_bfe_u32 v24, v3, 20, 11
	v_cndmask_b32_e64 v23, 0, 1, vcc
	v_cmp_eq_u32_e32 vcc, 3, v22
	v_sub_u32_e32 v25, 0x3f1, v24
	v_med3_i32 v25, v25, 0, 13
	v_cndmask_b32_e64 v22, 0, 1, vcc
	v_or_b32_e32 v22, v22, v23
	v_add_u32_e32 v20, v20, v22
	v_mov_b32_e32 v22, 0x7c00
	v_cmp_gt_i32_e32 vcc, 31, v21
	v_mov_b32_e32 v23, 0x7e00
	v_add_u32_e32 v24, 0xfffffc10, v24
	v_cndmask_b32_e32 v20, v22, v20, vcc
	v_cmp_ne_u32_e32 vcc, 0, v17
	s_mov_b32 s6, 0x8000
	s_mov_b32 s0, 0xffff
	v_cndmask_b32_e32 v17, v22, v23, vcc
	v_cmp_eq_u32_e32 vcc, s3, v21
	v_lshrrev_b32_e32 v21, 8, v3
	v_lshrrev_b32_e32 v3, 16, v3
	v_cndmask_b32_e32 v17, v20, v17, vcc
	v_cmp_ne_u32_e32 vcc, 0, v2
	v_and_b32_sdwa v20, v1, s6 dst_sel:DWORD dst_unused:UNUSED_PAD src0_sel:WORD_1 src1_sel:DWORD
	s_nop 0
	v_cndmask_b32_e64 v2, 0, 1, vcc
	v_and_or_b32 v2, v21, s1, v2
	v_or_b32_e32 v21, 0x1000, v2
	v_lshrrev_b32_e32 v26, v25, v21
	v_lshlrev_b32_e32 v25, v25, v26
	v_cmp_ne_u32_e32 vcc, v25, v21
	v_lshl_or_b32 v25, v24, 12, v2
	s_nop 0
	v_cndmask_b32_e64 v21, 0, 1, vcc
	v_or_b32_e32 v21, v26, v21
	v_cmp_gt_i32_e32 vcc, 1, v24
	s_nop 1
	v_cndmask_b32_e32 v21, v25, v21, vcc
	v_and_b32_e32 v25, 7, v21
	v_cmp_lt_i32_e32 vcc, 5, v25
	v_lshrrev_b32_e32 v21, 2, v21
	s_nop 0
	v_cndmask_b32_e64 v26, 0, 1, vcc
	v_cmp_eq_u32_e32 vcc, 3, v25
	s_nop 1
	v_cndmask_b32_e64 v25, 0, 1, vcc
	v_or_b32_e32 v25, v25, v26
	v_add_u32_e32 v21, v21, v25
	v_cmp_gt_i32_e32 vcc, 31, v24
	s_nop 1
	v_cndmask_b32_e32 v21, v22, v21, vcc
	v_cmp_ne_u32_e32 vcc, 0, v2
	s_nop 1
	v_cndmask_b32_e32 v2, v22, v23, vcc
	v_cmp_eq_u32_e32 vcc, s3, v24
	s_nop 1
	v_cndmask_b32_e32 v2, v21, v2, vcc
	v_and_or_b32 v2, v3, s6, v2
	v_bitop3_b32 v3, v20, s0, v17 bitop3:0xc8
	v_lshl_or_b32 v2, v2, 16, v3
	global_store_dword v[18:19], v2, off
.LBB168_2019:
	s_mov_b64 s[0:1], 0
.LBB168_2020:
	s_andn2_b64 vcc, exec, s[0:1]
	s_cbranch_vccnz .LBB168_2029
; %bb.2021:
	s_cmp_lt_i32 s2, 6
	s_mov_b64 s[0:1], -1
	s_cbranch_scc1 .LBB168_2027
; %bb.2022:
	s_cmp_gt_i32 s2, 6
	s_cbranch_scc0 .LBB168_2024
; %bb.2023:
	global_store_dwordx2 v[18:19], v[0:1], off
	s_mov_b64 s[0:1], 0
.LBB168_2024:
	s_andn2_b64 vcc, exec, s[0:1]
	s_cbranch_vccnz .LBB168_2026
; %bb.2025:
	v_cvt_f32_f64_e32 v2, v[0:1]
	global_store_dword v[18:19], v2, off
.LBB168_2026:
	s_mov_b64 s[0:1], 0
.LBB168_2027:
	s_andn2_b64 vcc, exec, s[0:1]
	s_cbranch_vccnz .LBB168_2029
; %bb.2028:
	s_movk_i32 s0, 0x1ff
	v_and_or_b32 v2, v1, s0, v0
	v_cmp_ne_u32_e32 vcc, 0, v2
	v_lshrrev_b32_e32 v3, 8, v1
	s_movk_i32 s0, 0xffe
	v_cndmask_b32_e64 v2, 0, 1, vcc
	v_bfe_u32 v17, v1, 20, 11
	v_and_or_b32 v2, v3, s0, v2
	v_sub_u32_e32 v20, 0x3f1, v17
	v_or_b32_e32 v3, 0x1000, v2
	v_med3_i32 v20, v20, 0, 13
	v_lshrrev_b32_e32 v21, v20, v3
	v_lshlrev_b32_e32 v20, v20, v21
	v_cmp_ne_u32_e32 vcc, v20, v3
	v_add_u32_e32 v17, 0xfffffc10, v17
	v_lshl_or_b32 v20, v17, 12, v2
	v_cndmask_b32_e64 v3, 0, 1, vcc
	v_or_b32_e32 v3, v21, v3
	v_cmp_gt_i32_e32 vcc, 1, v17
	s_movk_i32 s0, 0x40f
	s_nop 0
	v_cndmask_b32_e32 v3, v20, v3, vcc
	v_and_b32_e32 v20, 7, v3
	v_cmp_lt_i32_e32 vcc, 5, v20
	v_lshrrev_b32_e32 v3, 2, v3
	s_nop 0
	v_cndmask_b32_e64 v21, 0, 1, vcc
	v_cmp_eq_u32_e32 vcc, 3, v20
	s_nop 1
	v_cndmask_b32_e64 v20, 0, 1, vcc
	v_or_b32_e32 v20, v20, v21
	v_add_u32_e32 v3, v3, v20
	v_mov_b32_e32 v20, 0x7c00
	v_cmp_gt_i32_e32 vcc, 31, v17
	v_mov_b32_e32 v21, 0x7e00
	s_nop 0
	v_cndmask_b32_e32 v3, v20, v3, vcc
	v_cmp_ne_u32_e32 vcc, 0, v2
	s_nop 1
	v_cndmask_b32_e32 v2, v20, v21, vcc
	v_cmp_eq_u32_e32 vcc, s0, v17
	s_mov_b32 s0, 0x8000
	s_nop 0
	v_cndmask_b32_e32 v2, v3, v2, vcc
	v_lshrrev_b32_e32 v3, 16, v1
	v_and_or_b32 v2, v3, s0, v2
	global_store_short v[18:19], v2, off
.LBB168_2029:
	s_mov_b64 s[0:1], 0
.LBB168_2030:
	s_andn2_b64 vcc, exec, s[0:1]
	s_cbranch_vccnz .LBB168_2046
; %bb.2031:
	s_cmp_lt_i32 s2, 2
	s_mov_b64 s[0:1], -1
	s_cbranch_scc1 .LBB168_2041
; %bb.2032:
	s_cmp_lt_i32 s2, 3
	s_cbranch_scc1 .LBB168_2038
; %bb.2033:
	s_cmp_gt_i32 s2, 3
	s_cbranch_scc0 .LBB168_2035
; %bb.2034:
	v_trunc_f64_e32 v[2:3], v[0:1]
	s_movk_i32 s0, 0xffe0
	v_ldexp_f64 v[20:21], v[2:3], s0
	v_floor_f64_e32 v[20:21], v[20:21]
	v_fmac_f64_e32 v[2:3], 0xc1f00000, v[20:21]
	v_cvt_i32_f64_e32 v23, v[20:21]
	v_cvt_u32_f64_e32 v22, v[2:3]
	global_store_dwordx2 v[18:19], v[22:23], off
	s_mov_b64 s[0:1], 0
.LBB168_2035:
	s_andn2_b64 vcc, exec, s[0:1]
	s_cbranch_vccnz .LBB168_2037
; %bb.2036:
	v_cvt_i32_f64_e32 v2, v[0:1]
	global_store_dword v[18:19], v2, off
.LBB168_2037:
	s_mov_b64 s[0:1], 0
.LBB168_2038:
	s_andn2_b64 vcc, exec, s[0:1]
	s_cbranch_vccnz .LBB168_2040
; %bb.2039:
	v_cvt_i32_f64_e32 v2, v[0:1]
	global_store_short v[18:19], v2, off
.LBB168_2040:
	s_mov_b64 s[0:1], 0
.LBB168_2041:
	s_andn2_b64 vcc, exec, s[0:1]
	s_cbranch_vccnz .LBB168_2046
; %bb.2042:
	s_cmp_gt_i32 s2, 0
	s_mov_b64 s[0:1], -1
	s_cbranch_scc0 .LBB168_2044
; %bb.2043:
	v_cvt_i32_f64_e32 v2, v[0:1]
	global_store_byte v[18:19], v2, off
	s_mov_b64 s[0:1], 0
.LBB168_2044:
	s_andn2_b64 vcc, exec, s[0:1]
	s_cbranch_vccnz .LBB168_2046
; %bb.2045:
	v_trunc_f64_e32 v[0:1], v[0:1]
	s_movk_i32 s0, 0xffe0
	v_ldexp_f64 v[2:3], v[0:1], s0
	v_floor_f64_e32 v[2:3], v[2:3]
	v_fmac_f64_e32 v[0:1], 0xc1f00000, v[2:3]
	v_cvt_u32_f64_e32 v0, v[0:1]
	global_store_byte v[18:19], v0, off
.LBB168_2046:
	s_mov_b64 s[6:7], -1
.LBB168_2047:
	s_andn2_b64 vcc, exec, s[6:7]
	s_cbranch_vccnz .LBB168_2362
; %bb.2048:
	s_lshl_b32 s18, s8, 7
	v_add_u32_e32 v0, s18, v16
	v_ashrrev_i32_e32 v1, 31, v0
	s_cmp_lt_i32 s20, 11
	v_lshl_add_u64 v[2:3], s[4:5], 0, v[0:1]
	s_cbranch_scc1 .LBB168_2126
; %bb.2049:
	s_and_b32 s19, 0xffff, s20
	s_mov_b64 s[8:9], -1
	s_mov_b64 s[2:3], 0
	s_cmp_gt_i32 s19, 25
	s_mov_b64 s[6:7], 0
	s_mov_b64 s[0:1], 0
	s_cbranch_scc0 .LBB168_2082
; %bb.2050:
	s_cmp_gt_i32 s19, 28
	s_cbranch_scc0 .LBB168_2065
; %bb.2051:
	s_cmp_gt_i32 s19, 43
	;; [unrolled: 3-line block ×3, first 2 shown]
	s_cbranch_scc0 .LBB168_2055
; %bb.2053:
	s_mov_b64 s[0:1], -1
	s_mov_b64 s[8:9], 0
	s_cmp_eq_u32 s19, 46
	s_cbranch_scc0 .LBB168_2055
; %bb.2054:
	v_cvt_f32_f64_e32 v16, v[6:7]
	s_movk_i32 s0, 0x7fff
	v_bfe_u32 v18, v16, 16, 1
	v_cvt_f32_f64_e32 v1, v[4:5]
	v_add3_u32 v18, v16, v18, s0
	v_bfe_u32 v17, v1, 16, 1
	v_and_b32_e32 v18, 0xffff0000, v18
	v_mov_b32_e32 v19, 0x7fc00000
	v_cmp_o_f32_e32 vcc, v16, v16
	v_add3_u32 v17, v1, v17, s0
	s_mov_b64 s[0:1], 0
	v_cndmask_b32_e32 v16, v19, v18, vcc
	v_cmp_o_f32_e32 vcc, v1, v1
	v_mov_b32_e32 v1, 0x7fc0
	s_mov_b64 s[6:7], -1
	v_cndmask_b32_sdwa v1, v1, v17, vcc dst_sel:DWORD dst_unused:UNUSED_PAD src0_sel:DWORD src1_sel:WORD_1
	v_or_b32_e32 v1, v16, v1
	global_store_dword v[2:3], v1, off
.LBB168_2055:
	s_and_b64 vcc, exec, s[8:9]
	s_cbranch_vccz .LBB168_2060
; %bb.2056:
	s_cmp_eq_u32 s19, 44
	s_mov_b64 s[0:1], -1
	s_cbranch_scc0 .LBB168_2060
; %bb.2057:
	v_cvt_f32_f64_e32 v1, v[4:5]
	v_bfe_u32 v16, v1, 23, 8
	s_movk_i32 s0, 0xff
	v_cmp_ne_u32_e32 vcc, s0, v16
	v_mov_b32_e32 v17, 0xff
	s_and_saveexec_b64 s[6:7], vcc
; %bb.2058:
	s_mov_b32 s0, 0x3fffff
	v_lshrrev_b32_e32 v17, 23, v1
	v_and_b32_e32 v18, 0x400000, v1
	v_and_or_b32 v1, v1, s0, v16
	v_cmp_ne_u32_e32 vcc, 0, v18
	v_cmp_ne_u32_e64 s[0:1], 0, v1
	s_and_b64 s[0:1], vcc, s[0:1]
	s_nop 0
	v_cndmask_b32_e64 v1, 0, 1, s[0:1]
	v_add_u32_e32 v17, v17, v1
; %bb.2059:
	s_or_b64 exec, exec, s[6:7]
	s_mov_b64 s[0:1], 0
	s_mov_b64 s[6:7], -1
	global_store_byte v[2:3], v17, off
.LBB168_2060:
	s_mov_b64 s[8:9], 0
.LBB168_2061:
	s_and_b64 vcc, exec, s[8:9]
	s_cbranch_vccz .LBB168_2064
; %bb.2062:
	s_cmp_eq_u32 s19, 29
	s_mov_b64 s[0:1], -1
	s_cbranch_scc0 .LBB168_2064
; %bb.2063:
	v_trunc_f64_e32 v[16:17], v[4:5]
	s_movk_i32 s0, 0xffe0
	v_ldexp_f64 v[18:19], v[16:17], s0
	v_floor_f64_e32 v[18:19], v[18:19]
	v_fmac_f64_e32 v[16:17], 0xc1f00000, v[18:19]
	v_cvt_u32_f64_e32 v21, v[18:19]
	v_cvt_u32_f64_e32 v20, v[16:17]
	global_store_dwordx2 v[2:3], v[20:21], off
	s_mov_b64 s[0:1], 0
	s_mov_b64 s[6:7], -1
.LBB168_2064:
	s_mov_b64 s[8:9], 0
.LBB168_2065:
	s_and_b64 vcc, exec, s[8:9]
	s_cbranch_vccz .LBB168_2081
; %bb.2066:
	s_cmp_lt_i32 s19, 27
	s_mov_b64 s[6:7], -1
	s_cbranch_scc1 .LBB168_2072
; %bb.2067:
	s_cmp_gt_i32 s19, 27
	v_cvt_u32_f64_e32 v1, v[4:5]
	s_cbranch_scc0 .LBB168_2069
; %bb.2068:
	s_mov_b64 s[6:7], 0
	global_store_dword v[2:3], v1, off
.LBB168_2069:
	s_andn2_b64 vcc, exec, s[6:7]
	s_cbranch_vccnz .LBB168_2071
; %bb.2070:
	global_store_short v[2:3], v1, off
.LBB168_2071:
	s_mov_b64 s[6:7], 0
.LBB168_2072:
	s_andn2_b64 vcc, exec, s[6:7]
	s_cbranch_vccnz .LBB168_2080
; %bb.2073:
	v_cvt_f32_f64_e32 v1, v[4:5]
	v_and_b32_e32 v16, 0x7fffffff, v1
	s_mov_b32 s6, 0x43800000
	v_cmp_gt_u32_e32 vcc, s6, v16
	v_mov_b32_e32 v17, 0x80
	s_and_saveexec_b64 s[6:7], vcc
	s_cbranch_execz .LBB168_2079
; %bb.2074:
	s_mov_b32 s8, 0x3bffffff
	v_cmp_lt_u32_e32 vcc, s8, v16
	s_mov_b64 s[8:9], 0
                                        ; implicit-def: $vgpr16
	s_and_saveexec_b64 s[10:11], vcc
	s_xor_b64 s[10:11], exec, s[10:11]
	s_cbranch_execz .LBB168_2369
; %bb.2075:
	v_bfe_u32 v16, v1, 20, 1
	s_mov_b32 s21, 0x487ffff
	v_add3_u32 v16, v1, v16, s21
	s_mov_b64 s[8:9], exec
	v_lshrrev_b32_e32 v16, 20, v16
	s_andn2_saveexec_b64 s[10:11], s[10:11]
	s_cbranch_execnz .LBB168_2370
.LBB168_2076:
	s_or_b64 exec, exec, s[10:11]
	v_mov_b32_e32 v17, 0
	s_and_saveexec_b64 s[10:11], s[8:9]
.LBB168_2077:
	v_lshrrev_b32_e32 v1, 24, v1
	s_movk_i32 s8, 0x80
	v_and_or_b32 v17, v1, s8, v16
.LBB168_2078:
	s_or_b64 exec, exec, s[10:11]
.LBB168_2079:
	s_or_b64 exec, exec, s[6:7]
	global_store_byte v[2:3], v17, off
.LBB168_2080:
	s_mov_b64 s[6:7], -1
.LBB168_2081:
	s_mov_b64 s[8:9], 0
.LBB168_2082:
	s_and_b64 vcc, exec, s[8:9]
	s_cbranch_vccz .LBB168_2122
; %bb.2083:
	s_cmp_gt_i32 s19, 22
	s_mov_b64 s[2:3], -1
	s_cbranch_scc0 .LBB168_2115
; %bb.2084:
	s_cmp_lt_i32 s19, 24
	s_cbranch_scc1 .LBB168_2104
; %bb.2085:
	s_cmp_gt_i32 s19, 24
	s_cbranch_scc0 .LBB168_2093
; %bb.2086:
	v_cvt_f32_f64_e32 v1, v[4:5]
	v_and_b32_e32 v16, 0x7fffffff, v1
	s_mov_b32 s2, 0x47800000
	v_cmp_gt_u32_e32 vcc, s2, v16
	v_mov_b32_e32 v17, 0x80
	s_and_saveexec_b64 s[2:3], vcc
	s_cbranch_execz .LBB168_2092
; %bb.2087:
	s_mov_b32 s6, 0x37ffffff
	v_cmp_lt_u32_e32 vcc, s6, v16
	s_mov_b64 s[6:7], 0
                                        ; implicit-def: $vgpr16
	s_and_saveexec_b64 s[8:9], vcc
	s_xor_b64 s[8:9], exec, s[8:9]
	s_cbranch_execz .LBB168_2372
; %bb.2088:
	v_bfe_u32 v16, v1, 21, 1
	s_mov_b32 s10, 0x88fffff
	v_add3_u32 v16, v1, v16, s10
	s_mov_b64 s[6:7], exec
	v_lshrrev_b32_e32 v16, 21, v16
	s_andn2_saveexec_b64 s[8:9], s[8:9]
	s_cbranch_execnz .LBB168_2373
.LBB168_2089:
	s_or_b64 exec, exec, s[8:9]
	v_mov_b32_e32 v17, 0
	s_and_saveexec_b64 s[8:9], s[6:7]
.LBB168_2090:
	v_lshrrev_b32_e32 v1, 24, v1
	s_movk_i32 s6, 0x80
	v_and_or_b32 v17, v1, s6, v16
.LBB168_2091:
	s_or_b64 exec, exec, s[8:9]
.LBB168_2092:
	s_or_b64 exec, exec, s[2:3]
	s_mov_b64 s[2:3], 0
	global_store_byte v[2:3], v17, off
.LBB168_2093:
	s_and_b64 vcc, exec, s[2:3]
	s_cbranch_vccz .LBB168_2103
; %bb.2094:
	v_cvt_f32_f64_e32 v1, v[4:5]
	v_and_b32_e32 v17, 0x7fffffff, v1
	s_mov_b32 s2, 0x43f00000
	v_cmp_gt_u32_e32 vcc, s2, v17
                                        ; implicit-def: $vgpr16
	s_and_saveexec_b64 s[2:3], vcc
	s_xor_b64 s[2:3], exec, s[2:3]
	s_cbranch_execz .LBB168_2100
; %bb.2095:
	s_mov_b32 s6, 0x3c7fffff
	v_cmp_lt_u32_e32 vcc, s6, v17
                                        ; implicit-def: $vgpr16
	s_and_saveexec_b64 s[6:7], vcc
	s_xor_b64 s[6:7], exec, s[6:7]
; %bb.2096:
	v_bfe_u32 v16, v1, 20, 1
	s_mov_b32 s8, 0x407ffff
	v_add3_u32 v16, v1, v16, s8
	v_lshrrev_b32_e32 v17, 20, v16
	v_and_b32_e32 v16, 0xff00000, v16
	s_mov_b32 s8, 0x7f00000
	v_mov_b32_e32 v18, 0x7e
	v_cmp_ne_u32_e32 vcc, s8, v16
	s_nop 1
	v_cndmask_b32_e32 v16, v18, v17, vcc
; %bb.2097:
	s_andn2_saveexec_b64 s[6:7], s[6:7]
; %bb.2098:
	s_mov_b32 s8, 0x46800000
	v_add_f32_e64 v16, |v1|, s8
; %bb.2099:
	s_or_b64 exec, exec, s[6:7]
                                        ; implicit-def: $vgpr17
.LBB168_2100:
	s_andn2_saveexec_b64 s[2:3], s[2:3]
; %bb.2101:
	s_mov_b32 s6, 0x7f800000
	v_mov_b32_e32 v16, 0x7e
	v_mov_b32_e32 v18, 0x7f
	v_cmp_lt_u32_e32 vcc, s6, v17
	s_nop 1
	v_cndmask_b32_e32 v16, v16, v18, vcc
; %bb.2102:
	s_or_b64 exec, exec, s[2:3]
	v_lshrrev_b32_e32 v1, 24, v1
	s_movk_i32 s2, 0x80
	v_and_or_b32 v1, v1, s2, v16
	global_store_byte v[2:3], v1, off
.LBB168_2103:
	s_mov_b64 s[2:3], 0
.LBB168_2104:
	s_andn2_b64 vcc, exec, s[2:3]
	s_cbranch_vccnz .LBB168_2114
; %bb.2105:
	v_cvt_f32_f64_e32 v1, v[4:5]
	v_and_b32_e32 v17, 0x7fffffff, v1
	s_mov_b32 s2, 0x47800000
	v_cmp_gt_u32_e32 vcc, s2, v17
                                        ; implicit-def: $vgpr16
	s_and_saveexec_b64 s[2:3], vcc
	s_xor_b64 s[2:3], exec, s[2:3]
	s_cbranch_execz .LBB168_2111
; %bb.2106:
	s_mov_b32 s6, 0x387fffff
	v_cmp_lt_u32_e32 vcc, s6, v17
                                        ; implicit-def: $vgpr16
	s_and_saveexec_b64 s[6:7], vcc
	s_xor_b64 s[6:7], exec, s[6:7]
; %bb.2107:
	v_bfe_u32 v16, v1, 21, 1
	s_mov_b32 s8, 0x80fffff
	v_add3_u32 v16, v1, v16, s8
	v_lshrrev_b32_e32 v16, 21, v16
; %bb.2108:
	s_andn2_saveexec_b64 s[6:7], s[6:7]
; %bb.2109:
	s_mov_b32 s8, 0x43000000
	v_add_f32_e64 v16, |v1|, s8
; %bb.2110:
	s_or_b64 exec, exec, s[6:7]
                                        ; implicit-def: $vgpr17
.LBB168_2111:
	s_andn2_saveexec_b64 s[2:3], s[2:3]
; %bb.2112:
	s_mov_b32 s6, 0x7f800000
	v_mov_b32_e32 v16, 0x7c
	v_mov_b32_e32 v18, 0x7f
	v_cmp_lt_u32_e32 vcc, s6, v17
	s_nop 1
	v_cndmask_b32_e32 v16, v16, v18, vcc
; %bb.2113:
	s_or_b64 exec, exec, s[2:3]
	v_lshrrev_b32_e32 v1, 24, v1
	s_movk_i32 s2, 0x80
	v_and_or_b32 v1, v1, s2, v16
	global_store_byte v[2:3], v1, off
.LBB168_2114:
	s_mov_b64 s[2:3], 0
	s_mov_b64 s[6:7], -1
.LBB168_2115:
	s_andn2_b64 vcc, exec, s[2:3]
	s_mov_b64 s[2:3], 0
	s_cbranch_vccnz .LBB168_2122
; %bb.2116:
	s_cmp_gt_i32 s19, 14
	s_mov_b64 s[8:9], -1
	s_cbranch_scc0 .LBB168_2120
; %bb.2117:
	s_cmp_eq_u32 s19, 15
	s_mov_b64 s[0:1], -1
	s_cbranch_scc0 .LBB168_2119
; %bb.2118:
	v_cvt_f32_f64_e32 v1, v[4:5]
	v_bfe_u32 v16, v1, 16, 1
	s_movk_i32 s0, 0x7fff
	v_add3_u32 v16, v1, v16, s0
	v_cmp_o_f32_e32 vcc, v1, v1
	v_mov_b32_e32 v1, 0x7fc0
	s_mov_b64 s[0:1], 0
	v_cndmask_b32_sdwa v1, v1, v16, vcc dst_sel:DWORD dst_unused:UNUSED_PAD src0_sel:DWORD src1_sel:WORD_1
	global_store_short v[2:3], v1, off
	s_mov_b64 s[6:7], -1
.LBB168_2119:
	s_mov_b64 s[8:9], 0
.LBB168_2120:
	s_and_b64 vcc, exec, s[8:9]
	s_cbranch_vccz .LBB168_2122
; %bb.2121:
	s_cmp_lg_u32 s19, 11
	s_mov_b64 s[2:3], -1
	s_cselect_b64 s[0:1], -1, 0
.LBB168_2122:
	s_and_b64 vcc, exec, s[0:1]
	s_cbranch_vccnz .LBB168_2371
; %bb.2123:
	s_andn2_b64 vcc, exec, s[2:3]
	s_cbranch_vccnz .LBB168_2125
.LBB168_2124:
	v_cmp_neq_f64_e32 vcc, 0, v[4:5]
	v_cmp_neq_f64_e64 s[0:1], 0, v[6:7]
	s_or_b64 s[0:1], vcc, s[0:1]
	s_mov_b64 s[6:7], -1
	v_cndmask_b32_e64 v1, 0, 1, s[0:1]
	global_store_byte v[2:3], v1, off
.LBB168_2125:
	s_mov_b64 s[0:1], 0
	s_branch .LBB168_2127
.LBB168_2126:
	s_mov_b64 s[0:1], -1
	s_mov_b64 s[6:7], 0
.LBB168_2127:
	s_and_b64 vcc, exec, s[0:1]
	s_cbranch_vccz .LBB168_2166
; %bb.2128:
	s_and_b32 s2, 0xffff, s20
	s_cmp_lt_i32 s2, 5
	s_mov_b64 s[0:1], -1
	s_cbranch_scc1 .LBB168_2149
; %bb.2129:
	s_cmp_lt_i32 s2, 8
	s_cbranch_scc1 .LBB168_2139
; %bb.2130:
	s_cmp_lt_i32 s2, 9
	s_cbranch_scc1 .LBB168_2136
; %bb.2131:
	s_cmp_gt_i32 s2, 9
	s_cbranch_scc0 .LBB168_2133
; %bb.2132:
	global_store_dwordx4 v[2:3], v[4:7], off
	s_mov_b64 s[0:1], 0
.LBB168_2133:
	s_andn2_b64 vcc, exec, s[0:1]
	s_cbranch_vccnz .LBB168_2135
; %bb.2134:
	v_cvt_f32_f64_e32 v16, v[4:5]
	v_cvt_f32_f64_e32 v17, v[6:7]
	global_store_dwordx2 v[2:3], v[16:17], off
.LBB168_2135:
	s_mov_b64 s[0:1], 0
.LBB168_2136:
	s_andn2_b64 vcc, exec, s[0:1]
	s_cbranch_vccnz .LBB168_2138
; %bb.2137:
	s_movk_i32 s0, 0x1ff
	v_and_or_b32 v1, v5, s0, v4
	v_cmp_ne_u32_e32 vcc, 0, v1
	v_lshrrev_b32_e32 v16, 8, v5
	s_movk_i32 s1, 0xffe
	v_cndmask_b32_e64 v1, 0, 1, vcc
	v_bfe_u32 v17, v5, 20, 11
	v_and_or_b32 v1, v16, s1, v1
	v_sub_u32_e32 v18, 0x3f1, v17
	v_or_b32_e32 v16, 0x1000, v1
	v_med3_i32 v18, v18, 0, 13
	v_lshrrev_b32_e32 v19, v18, v16
	v_lshlrev_b32_e32 v18, v18, v19
	v_cmp_ne_u32_e32 vcc, v18, v16
	v_add_u32_e32 v17, 0xfffffc10, v17
	v_lshl_or_b32 v18, v17, 12, v1
	v_cndmask_b32_e64 v16, 0, 1, vcc
	v_or_b32_e32 v16, v19, v16
	v_cmp_gt_i32_e32 vcc, 1, v17
	s_movk_i32 s3, 0x40f
	v_and_or_b32 v6, v7, s0, v6
	v_cndmask_b32_e32 v16, v18, v16, vcc
	v_and_b32_e32 v18, 7, v16
	v_cmp_lt_i32_e32 vcc, 5, v18
	v_lshrrev_b32_e32 v16, 2, v16
	v_bfe_u32 v20, v7, 20, 11
	v_cndmask_b32_e64 v19, 0, 1, vcc
	v_cmp_eq_u32_e32 vcc, 3, v18
	v_sub_u32_e32 v21, 0x3f1, v20
	v_med3_i32 v21, v21, 0, 13
	v_cndmask_b32_e64 v18, 0, 1, vcc
	v_or_b32_e32 v18, v18, v19
	v_add_u32_e32 v16, v16, v18
	v_mov_b32_e32 v18, 0x7c00
	v_cmp_gt_i32_e32 vcc, 31, v17
	v_mov_b32_e32 v19, 0x7e00
	v_add_u32_e32 v20, 0xfffffc10, v20
	v_cndmask_b32_e32 v16, v18, v16, vcc
	v_cmp_ne_u32_e32 vcc, 0, v1
	s_mov_b32 s6, 0x8000
	s_mov_b32 s0, 0xffff
	v_cndmask_b32_e32 v1, v18, v19, vcc
	v_cmp_eq_u32_e32 vcc, s3, v17
	v_lshrrev_b32_e32 v17, 8, v7
	v_lshrrev_b32_e32 v7, 16, v7
	v_cndmask_b32_e32 v1, v16, v1, vcc
	v_cmp_ne_u32_e32 vcc, 0, v6
	v_and_b32_sdwa v16, v5, s6 dst_sel:DWORD dst_unused:UNUSED_PAD src0_sel:WORD_1 src1_sel:DWORD
	v_bitop3_b32 v1, v16, s0, v1 bitop3:0xc8
	v_cndmask_b32_e64 v6, 0, 1, vcc
	v_and_or_b32 v6, v17, s1, v6
	v_or_b32_e32 v17, 0x1000, v6
	v_lshrrev_b32_e32 v22, v21, v17
	v_lshlrev_b32_e32 v21, v21, v22
	v_cmp_ne_u32_e32 vcc, v21, v17
	v_lshl_or_b32 v21, v20, 12, v6
	s_nop 0
	v_cndmask_b32_e64 v17, 0, 1, vcc
	v_or_b32_e32 v17, v22, v17
	v_cmp_gt_i32_e32 vcc, 1, v20
	s_nop 1
	v_cndmask_b32_e32 v17, v21, v17, vcc
	v_and_b32_e32 v21, 7, v17
	v_cmp_lt_i32_e32 vcc, 5, v21
	v_lshrrev_b32_e32 v17, 2, v17
	s_nop 0
	v_cndmask_b32_e64 v22, 0, 1, vcc
	v_cmp_eq_u32_e32 vcc, 3, v21
	s_nop 1
	v_cndmask_b32_e64 v21, 0, 1, vcc
	v_or_b32_e32 v21, v21, v22
	v_add_u32_e32 v17, v17, v21
	v_cmp_gt_i32_e32 vcc, 31, v20
	s_nop 1
	v_cndmask_b32_e32 v17, v18, v17, vcc
	v_cmp_ne_u32_e32 vcc, 0, v6
	s_nop 1
	v_cndmask_b32_e32 v6, v18, v19, vcc
	v_cmp_eq_u32_e32 vcc, s3, v20
	s_nop 1
	v_cndmask_b32_e32 v6, v17, v6, vcc
	v_and_or_b32 v6, v7, s6, v6
	v_lshl_or_b32 v1, v6, 16, v1
	global_store_dword v[2:3], v1, off
.LBB168_2138:
	s_mov_b64 s[0:1], 0
.LBB168_2139:
	s_andn2_b64 vcc, exec, s[0:1]
	s_cbranch_vccnz .LBB168_2148
; %bb.2140:
	s_cmp_lt_i32 s2, 6
	s_mov_b64 s[0:1], -1
	s_cbranch_scc1 .LBB168_2146
; %bb.2141:
	s_cmp_gt_i32 s2, 6
	s_cbranch_scc0 .LBB168_2143
; %bb.2142:
	global_store_dwordx2 v[2:3], v[4:5], off
	s_mov_b64 s[0:1], 0
.LBB168_2143:
	s_andn2_b64 vcc, exec, s[0:1]
	s_cbranch_vccnz .LBB168_2145
; %bb.2144:
	v_cvt_f32_f64_e32 v1, v[4:5]
	global_store_dword v[2:3], v1, off
.LBB168_2145:
	s_mov_b64 s[0:1], 0
.LBB168_2146:
	s_andn2_b64 vcc, exec, s[0:1]
	s_cbranch_vccnz .LBB168_2148
; %bb.2147:
	s_movk_i32 s0, 0x1ff
	v_and_or_b32 v1, v5, s0, v4
	v_cmp_ne_u32_e32 vcc, 0, v1
	v_lshrrev_b32_e32 v6, 8, v5
	s_movk_i32 s0, 0xffe
	v_cndmask_b32_e64 v1, 0, 1, vcc
	v_bfe_u32 v7, v5, 20, 11
	v_and_or_b32 v1, v6, s0, v1
	v_sub_u32_e32 v16, 0x3f1, v7
	v_or_b32_e32 v6, 0x1000, v1
	v_med3_i32 v16, v16, 0, 13
	v_lshrrev_b32_e32 v17, v16, v6
	v_lshlrev_b32_e32 v16, v16, v17
	v_cmp_ne_u32_e32 vcc, v16, v6
	v_add_u32_e32 v7, 0xfffffc10, v7
	v_lshl_or_b32 v16, v7, 12, v1
	v_cndmask_b32_e64 v6, 0, 1, vcc
	v_or_b32_e32 v6, v17, v6
	v_cmp_gt_i32_e32 vcc, 1, v7
	s_movk_i32 s0, 0x40f
	s_nop 0
	v_cndmask_b32_e32 v6, v16, v6, vcc
	v_and_b32_e32 v16, 7, v6
	v_cmp_lt_i32_e32 vcc, 5, v16
	v_lshrrev_b32_e32 v6, 2, v6
	s_nop 0
	v_cndmask_b32_e64 v17, 0, 1, vcc
	v_cmp_eq_u32_e32 vcc, 3, v16
	s_nop 1
	v_cndmask_b32_e64 v16, 0, 1, vcc
	v_or_b32_e32 v16, v16, v17
	v_add_u32_e32 v6, v6, v16
	v_mov_b32_e32 v16, 0x7c00
	v_cmp_gt_i32_e32 vcc, 31, v7
	v_mov_b32_e32 v17, 0x7e00
	s_nop 0
	v_cndmask_b32_e32 v6, v16, v6, vcc
	v_cmp_ne_u32_e32 vcc, 0, v1
	s_nop 1
	v_cndmask_b32_e32 v1, v16, v17, vcc
	v_cmp_eq_u32_e32 vcc, s0, v7
	s_mov_b32 s0, 0x8000
	s_nop 0
	v_cndmask_b32_e32 v1, v6, v1, vcc
	v_lshrrev_b32_e32 v6, 16, v5
	v_and_or_b32 v1, v6, s0, v1
	global_store_short v[2:3], v1, off
.LBB168_2148:
	s_mov_b64 s[0:1], 0
.LBB168_2149:
	s_andn2_b64 vcc, exec, s[0:1]
	s_cbranch_vccnz .LBB168_2165
; %bb.2150:
	s_cmp_lt_i32 s2, 2
	s_mov_b64 s[0:1], -1
	s_cbranch_scc1 .LBB168_2160
; %bb.2151:
	s_cmp_lt_i32 s2, 3
	s_cbranch_scc1 .LBB168_2157
; %bb.2152:
	s_cmp_gt_i32 s2, 3
	s_cbranch_scc0 .LBB168_2154
; %bb.2153:
	v_trunc_f64_e32 v[6:7], v[4:5]
	s_movk_i32 s0, 0xffe0
	v_ldexp_f64 v[16:17], v[6:7], s0
	v_floor_f64_e32 v[16:17], v[16:17]
	v_fmac_f64_e32 v[6:7], 0xc1f00000, v[16:17]
	v_cvt_i32_f64_e32 v19, v[16:17]
	v_cvt_u32_f64_e32 v18, v[6:7]
	global_store_dwordx2 v[2:3], v[18:19], off
	s_mov_b64 s[0:1], 0
.LBB168_2154:
	s_andn2_b64 vcc, exec, s[0:1]
	s_cbranch_vccnz .LBB168_2156
; %bb.2155:
	v_cvt_i32_f64_e32 v1, v[4:5]
	global_store_dword v[2:3], v1, off
.LBB168_2156:
	s_mov_b64 s[0:1], 0
.LBB168_2157:
	s_andn2_b64 vcc, exec, s[0:1]
	s_cbranch_vccnz .LBB168_2159
; %bb.2158:
	v_cvt_i32_f64_e32 v1, v[4:5]
	global_store_short v[2:3], v1, off
.LBB168_2159:
	s_mov_b64 s[0:1], 0
.LBB168_2160:
	s_andn2_b64 vcc, exec, s[0:1]
	s_cbranch_vccnz .LBB168_2165
; %bb.2161:
	s_cmp_gt_i32 s2, 0
	s_mov_b64 s[0:1], -1
	s_cbranch_scc0 .LBB168_2163
; %bb.2162:
	v_cvt_i32_f64_e32 v1, v[4:5]
	global_store_byte v[2:3], v1, off
	s_mov_b64 s[0:1], 0
.LBB168_2163:
	s_andn2_b64 vcc, exec, s[0:1]
	s_cbranch_vccnz .LBB168_2165
; %bb.2164:
	v_trunc_f64_e32 v[4:5], v[4:5]
	s_movk_i32 s0, 0xffe0
	v_ldexp_f64 v[6:7], v[4:5], s0
	v_floor_f64_e32 v[6:7], v[6:7]
	v_fmac_f64_e32 v[4:5], 0xc1f00000, v[6:7]
	v_cvt_u32_f64_e32 v1, v[4:5]
	global_store_byte v[2:3], v1, off
.LBB168_2165:
	s_mov_b64 s[6:7], -1
.LBB168_2166:
	s_andn2_b64 vcc, exec, s[6:7]
	s_cbranch_vccnz .LBB168_2362
; %bb.2167:
	v_add_u32_e32 v0, s18, v0
	v_ashrrev_i32_e32 v1, 31, v0
	s_cmp_lt_i32 s20, 11
	v_lshl_add_u64 v[2:3], s[4:5], 0, v[0:1]
	s_cbranch_scc1 .LBB168_2245
; %bb.2168:
	s_and_b32 s19, 0xffff, s20
	s_mov_b64 s[8:9], -1
	s_mov_b64 s[2:3], 0
	s_cmp_gt_i32 s19, 25
	s_mov_b64 s[6:7], 0
	s_mov_b64 s[0:1], 0
	s_cbranch_scc0 .LBB168_2201
; %bb.2169:
	s_cmp_gt_i32 s19, 28
	s_cbranch_scc0 .LBB168_2184
; %bb.2170:
	s_cmp_gt_i32 s19, 43
	;; [unrolled: 3-line block ×3, first 2 shown]
	s_cbranch_scc0 .LBB168_2174
; %bb.2172:
	s_mov_b64 s[0:1], -1
	s_mov_b64 s[8:9], 0
	s_cmp_eq_u32 s19, 46
	s_cbranch_scc0 .LBB168_2174
; %bb.2173:
	v_cvt_f32_f64_e32 v4, v[10:11]
	s_movk_i32 s0, 0x7fff
	v_bfe_u32 v6, v4, 16, 1
	v_cvt_f32_f64_e32 v1, v[8:9]
	v_add3_u32 v6, v4, v6, s0
	v_bfe_u32 v5, v1, 16, 1
	v_and_b32_e32 v6, 0xffff0000, v6
	v_mov_b32_e32 v7, 0x7fc00000
	v_cmp_o_f32_e32 vcc, v4, v4
	v_add3_u32 v5, v1, v5, s0
	s_mov_b64 s[0:1], 0
	v_cndmask_b32_e32 v4, v7, v6, vcc
	v_cmp_o_f32_e32 vcc, v1, v1
	v_mov_b32_e32 v1, 0x7fc0
	s_mov_b64 s[6:7], -1
	v_cndmask_b32_sdwa v1, v1, v5, vcc dst_sel:DWORD dst_unused:UNUSED_PAD src0_sel:DWORD src1_sel:WORD_1
	v_or_b32_e32 v1, v4, v1
	global_store_dword v[2:3], v1, off
.LBB168_2174:
	s_and_b64 vcc, exec, s[8:9]
	s_cbranch_vccz .LBB168_2179
; %bb.2175:
	s_cmp_eq_u32 s19, 44
	s_mov_b64 s[0:1], -1
	s_cbranch_scc0 .LBB168_2179
; %bb.2176:
	v_cvt_f32_f64_e32 v1, v[8:9]
	v_bfe_u32 v4, v1, 23, 8
	s_movk_i32 s0, 0xff
	v_cmp_ne_u32_e32 vcc, s0, v4
	v_mov_b32_e32 v5, 0xff
	s_and_saveexec_b64 s[6:7], vcc
; %bb.2177:
	s_mov_b32 s0, 0x3fffff
	v_lshrrev_b32_e32 v5, 23, v1
	v_and_b32_e32 v6, 0x400000, v1
	v_and_or_b32 v1, v1, s0, v4
	v_cmp_ne_u32_e32 vcc, 0, v6
	v_cmp_ne_u32_e64 s[0:1], 0, v1
	s_and_b64 s[0:1], vcc, s[0:1]
	s_nop 0
	v_cndmask_b32_e64 v1, 0, 1, s[0:1]
	v_add_u32_e32 v5, v5, v1
; %bb.2178:
	s_or_b64 exec, exec, s[6:7]
	s_mov_b64 s[0:1], 0
	s_mov_b64 s[6:7], -1
	global_store_byte v[2:3], v5, off
.LBB168_2179:
	s_mov_b64 s[8:9], 0
.LBB168_2180:
	s_and_b64 vcc, exec, s[8:9]
	s_cbranch_vccz .LBB168_2183
; %bb.2181:
	s_cmp_eq_u32 s19, 29
	s_mov_b64 s[0:1], -1
	s_cbranch_scc0 .LBB168_2183
; %bb.2182:
	v_trunc_f64_e32 v[4:5], v[8:9]
	s_movk_i32 s0, 0xffe0
	v_ldexp_f64 v[6:7], v[4:5], s0
	v_floor_f64_e32 v[6:7], v[6:7]
	v_fmac_f64_e32 v[4:5], 0xc1f00000, v[6:7]
	v_cvt_u32_f64_e32 v17, v[6:7]
	v_cvt_u32_f64_e32 v16, v[4:5]
	global_store_dwordx2 v[2:3], v[16:17], off
	s_mov_b64 s[0:1], 0
	s_mov_b64 s[6:7], -1
.LBB168_2183:
	s_mov_b64 s[8:9], 0
.LBB168_2184:
	s_and_b64 vcc, exec, s[8:9]
	s_cbranch_vccz .LBB168_2200
; %bb.2185:
	s_cmp_lt_i32 s19, 27
	s_mov_b64 s[6:7], -1
	s_cbranch_scc1 .LBB168_2191
; %bb.2186:
	s_cmp_gt_i32 s19, 27
	v_cvt_u32_f64_e32 v1, v[8:9]
	s_cbranch_scc0 .LBB168_2188
; %bb.2187:
	s_mov_b64 s[6:7], 0
	global_store_dword v[2:3], v1, off
.LBB168_2188:
	s_andn2_b64 vcc, exec, s[6:7]
	s_cbranch_vccnz .LBB168_2190
; %bb.2189:
	global_store_short v[2:3], v1, off
.LBB168_2190:
	s_mov_b64 s[6:7], 0
.LBB168_2191:
	s_andn2_b64 vcc, exec, s[6:7]
	s_cbranch_vccnz .LBB168_2199
; %bb.2192:
	v_cvt_f32_f64_e32 v1, v[8:9]
	v_and_b32_e32 v4, 0x7fffffff, v1
	s_mov_b32 s6, 0x43800000
	v_cmp_gt_u32_e32 vcc, s6, v4
	v_mov_b32_e32 v5, 0x80
	s_and_saveexec_b64 s[6:7], vcc
	s_cbranch_execz .LBB168_2198
; %bb.2193:
	s_mov_b32 s8, 0x3bffffff
	v_cmp_lt_u32_e32 vcc, s8, v4
	s_mov_b64 s[8:9], 0
                                        ; implicit-def: $vgpr4
	s_and_saveexec_b64 s[10:11], vcc
	s_xor_b64 s[10:11], exec, s[10:11]
	s_cbranch_execz .LBB168_2374
; %bb.2194:
	v_bfe_u32 v4, v1, 20, 1
	s_mov_b32 s21, 0x487ffff
	v_add3_u32 v4, v1, v4, s21
	s_mov_b64 s[8:9], exec
	v_lshrrev_b32_e32 v4, 20, v4
	s_andn2_saveexec_b64 s[10:11], s[10:11]
	s_cbranch_execnz .LBB168_2375
.LBB168_2195:
	s_or_b64 exec, exec, s[10:11]
	v_mov_b32_e32 v5, 0
	s_and_saveexec_b64 s[10:11], s[8:9]
.LBB168_2196:
	v_lshrrev_b32_e32 v1, 24, v1
	s_movk_i32 s8, 0x80
	v_and_or_b32 v5, v1, s8, v4
.LBB168_2197:
	s_or_b64 exec, exec, s[10:11]
.LBB168_2198:
	s_or_b64 exec, exec, s[6:7]
	global_store_byte v[2:3], v5, off
.LBB168_2199:
	s_mov_b64 s[6:7], -1
.LBB168_2200:
	s_mov_b64 s[8:9], 0
.LBB168_2201:
	s_and_b64 vcc, exec, s[8:9]
	s_cbranch_vccz .LBB168_2241
; %bb.2202:
	s_cmp_gt_i32 s19, 22
	s_mov_b64 s[2:3], -1
	s_cbranch_scc0 .LBB168_2234
; %bb.2203:
	s_cmp_lt_i32 s19, 24
	s_cbranch_scc1 .LBB168_2223
; %bb.2204:
	s_cmp_gt_i32 s19, 24
	s_cbranch_scc0 .LBB168_2212
; %bb.2205:
	v_cvt_f32_f64_e32 v1, v[8:9]
	v_and_b32_e32 v4, 0x7fffffff, v1
	s_mov_b32 s2, 0x47800000
	v_cmp_gt_u32_e32 vcc, s2, v4
	v_mov_b32_e32 v5, 0x80
	s_and_saveexec_b64 s[2:3], vcc
	s_cbranch_execz .LBB168_2211
; %bb.2206:
	s_mov_b32 s6, 0x37ffffff
	v_cmp_lt_u32_e32 vcc, s6, v4
	s_mov_b64 s[6:7], 0
                                        ; implicit-def: $vgpr4
	s_and_saveexec_b64 s[8:9], vcc
	s_xor_b64 s[8:9], exec, s[8:9]
	s_cbranch_execz .LBB168_2377
; %bb.2207:
	v_bfe_u32 v4, v1, 21, 1
	s_mov_b32 s10, 0x88fffff
	v_add3_u32 v4, v1, v4, s10
	s_mov_b64 s[6:7], exec
	v_lshrrev_b32_e32 v4, 21, v4
	s_andn2_saveexec_b64 s[8:9], s[8:9]
	s_cbranch_execnz .LBB168_2378
.LBB168_2208:
	s_or_b64 exec, exec, s[8:9]
	v_mov_b32_e32 v5, 0
	s_and_saveexec_b64 s[8:9], s[6:7]
.LBB168_2209:
	v_lshrrev_b32_e32 v1, 24, v1
	s_movk_i32 s6, 0x80
	v_and_or_b32 v5, v1, s6, v4
.LBB168_2210:
	s_or_b64 exec, exec, s[8:9]
.LBB168_2211:
	s_or_b64 exec, exec, s[2:3]
	s_mov_b64 s[2:3], 0
	global_store_byte v[2:3], v5, off
.LBB168_2212:
	s_and_b64 vcc, exec, s[2:3]
	s_cbranch_vccz .LBB168_2222
; %bb.2213:
	v_cvt_f32_f64_e32 v1, v[8:9]
	v_and_b32_e32 v5, 0x7fffffff, v1
	s_mov_b32 s2, 0x43f00000
	v_cmp_gt_u32_e32 vcc, s2, v5
                                        ; implicit-def: $vgpr4
	s_and_saveexec_b64 s[2:3], vcc
	s_xor_b64 s[2:3], exec, s[2:3]
	s_cbranch_execz .LBB168_2219
; %bb.2214:
	s_mov_b32 s6, 0x3c7fffff
	v_cmp_lt_u32_e32 vcc, s6, v5
                                        ; implicit-def: $vgpr4
	s_and_saveexec_b64 s[6:7], vcc
	s_xor_b64 s[6:7], exec, s[6:7]
; %bb.2215:
	v_bfe_u32 v4, v1, 20, 1
	s_mov_b32 s8, 0x407ffff
	v_add3_u32 v4, v1, v4, s8
	v_lshrrev_b32_e32 v5, 20, v4
	v_and_b32_e32 v4, 0xff00000, v4
	s_mov_b32 s8, 0x7f00000
	v_mov_b32_e32 v6, 0x7e
	v_cmp_ne_u32_e32 vcc, s8, v4
	s_nop 1
	v_cndmask_b32_e32 v4, v6, v5, vcc
; %bb.2216:
	s_andn2_saveexec_b64 s[6:7], s[6:7]
; %bb.2217:
	s_mov_b32 s8, 0x46800000
	v_add_f32_e64 v4, |v1|, s8
; %bb.2218:
	s_or_b64 exec, exec, s[6:7]
                                        ; implicit-def: $vgpr5
.LBB168_2219:
	s_andn2_saveexec_b64 s[2:3], s[2:3]
; %bb.2220:
	s_mov_b32 s6, 0x7f800000
	v_mov_b32_e32 v4, 0x7e
	v_mov_b32_e32 v6, 0x7f
	v_cmp_lt_u32_e32 vcc, s6, v5
	s_nop 1
	v_cndmask_b32_e32 v4, v4, v6, vcc
; %bb.2221:
	s_or_b64 exec, exec, s[2:3]
	v_lshrrev_b32_e32 v1, 24, v1
	s_movk_i32 s2, 0x80
	v_and_or_b32 v1, v1, s2, v4
	global_store_byte v[2:3], v1, off
.LBB168_2222:
	s_mov_b64 s[2:3], 0
.LBB168_2223:
	s_andn2_b64 vcc, exec, s[2:3]
	s_cbranch_vccnz .LBB168_2233
; %bb.2224:
	v_cvt_f32_f64_e32 v1, v[8:9]
	v_and_b32_e32 v5, 0x7fffffff, v1
	s_mov_b32 s2, 0x47800000
	v_cmp_gt_u32_e32 vcc, s2, v5
                                        ; implicit-def: $vgpr4
	s_and_saveexec_b64 s[2:3], vcc
	s_xor_b64 s[2:3], exec, s[2:3]
	s_cbranch_execz .LBB168_2230
; %bb.2225:
	s_mov_b32 s6, 0x387fffff
	v_cmp_lt_u32_e32 vcc, s6, v5
                                        ; implicit-def: $vgpr4
	s_and_saveexec_b64 s[6:7], vcc
	s_xor_b64 s[6:7], exec, s[6:7]
; %bb.2226:
	v_bfe_u32 v4, v1, 21, 1
	s_mov_b32 s8, 0x80fffff
	v_add3_u32 v4, v1, v4, s8
	v_lshrrev_b32_e32 v4, 21, v4
; %bb.2227:
	s_andn2_saveexec_b64 s[6:7], s[6:7]
; %bb.2228:
	s_mov_b32 s8, 0x43000000
	v_add_f32_e64 v4, |v1|, s8
; %bb.2229:
	s_or_b64 exec, exec, s[6:7]
                                        ; implicit-def: $vgpr5
.LBB168_2230:
	s_andn2_saveexec_b64 s[2:3], s[2:3]
; %bb.2231:
	s_mov_b32 s6, 0x7f800000
	v_mov_b32_e32 v4, 0x7c
	v_mov_b32_e32 v6, 0x7f
	v_cmp_lt_u32_e32 vcc, s6, v5
	s_nop 1
	v_cndmask_b32_e32 v4, v4, v6, vcc
; %bb.2232:
	s_or_b64 exec, exec, s[2:3]
	v_lshrrev_b32_e32 v1, 24, v1
	s_movk_i32 s2, 0x80
	v_and_or_b32 v1, v1, s2, v4
	global_store_byte v[2:3], v1, off
.LBB168_2233:
	s_mov_b64 s[2:3], 0
	s_mov_b64 s[6:7], -1
.LBB168_2234:
	s_andn2_b64 vcc, exec, s[2:3]
	s_mov_b64 s[2:3], 0
	s_cbranch_vccnz .LBB168_2241
; %bb.2235:
	s_cmp_gt_i32 s19, 14
	s_mov_b64 s[8:9], -1
	s_cbranch_scc0 .LBB168_2239
; %bb.2236:
	s_cmp_eq_u32 s19, 15
	s_mov_b64 s[0:1], -1
	s_cbranch_scc0 .LBB168_2238
; %bb.2237:
	v_cvt_f32_f64_e32 v1, v[8:9]
	v_bfe_u32 v4, v1, 16, 1
	s_movk_i32 s0, 0x7fff
	v_add3_u32 v4, v1, v4, s0
	v_cmp_o_f32_e32 vcc, v1, v1
	v_mov_b32_e32 v1, 0x7fc0
	s_mov_b64 s[0:1], 0
	v_cndmask_b32_sdwa v1, v1, v4, vcc dst_sel:DWORD dst_unused:UNUSED_PAD src0_sel:DWORD src1_sel:WORD_1
	global_store_short v[2:3], v1, off
	s_mov_b64 s[6:7], -1
.LBB168_2238:
	s_mov_b64 s[8:9], 0
.LBB168_2239:
	s_and_b64 vcc, exec, s[8:9]
	s_cbranch_vccz .LBB168_2241
; %bb.2240:
	s_cmp_lg_u32 s19, 11
	s_mov_b64 s[2:3], -1
	s_cselect_b64 s[0:1], -1, 0
.LBB168_2241:
	s_and_b64 vcc, exec, s[0:1]
	s_cbranch_vccnz .LBB168_2376
; %bb.2242:
	s_andn2_b64 vcc, exec, s[2:3]
	s_cbranch_vccnz .LBB168_2244
.LBB168_2243:
	v_cmp_neq_f64_e32 vcc, 0, v[8:9]
	v_cmp_neq_f64_e64 s[0:1], 0, v[10:11]
	s_or_b64 s[0:1], vcc, s[0:1]
	s_mov_b64 s[6:7], -1
	v_cndmask_b32_e64 v1, 0, 1, s[0:1]
	global_store_byte v[2:3], v1, off
.LBB168_2244:
	s_mov_b64 s[0:1], 0
	s_branch .LBB168_2246
.LBB168_2245:
	s_mov_b64 s[0:1], -1
	s_mov_b64 s[6:7], 0
.LBB168_2246:
	s_and_b64 vcc, exec, s[0:1]
	s_cbranch_vccz .LBB168_2285
; %bb.2247:
	s_and_b32 s2, 0xffff, s20
	s_cmp_lt_i32 s2, 5
	s_mov_b64 s[0:1], -1
	s_cbranch_scc1 .LBB168_2268
; %bb.2248:
	s_cmp_lt_i32 s2, 8
	s_cbranch_scc1 .LBB168_2258
; %bb.2249:
	s_cmp_lt_i32 s2, 9
	s_cbranch_scc1 .LBB168_2255
; %bb.2250:
	s_cmp_gt_i32 s2, 9
	s_cbranch_scc0 .LBB168_2252
; %bb.2251:
	global_store_dwordx4 v[2:3], v[8:11], off
	s_mov_b64 s[0:1], 0
.LBB168_2252:
	s_andn2_b64 vcc, exec, s[0:1]
	s_cbranch_vccnz .LBB168_2254
; %bb.2253:
	v_cvt_f32_f64_e32 v4, v[8:9]
	v_cvt_f32_f64_e32 v5, v[10:11]
	global_store_dwordx2 v[2:3], v[4:5], off
.LBB168_2254:
	s_mov_b64 s[0:1], 0
.LBB168_2255:
	s_andn2_b64 vcc, exec, s[0:1]
	s_cbranch_vccnz .LBB168_2257
; %bb.2256:
	s_movk_i32 s0, 0x1ff
	v_and_or_b32 v1, v9, s0, v8
	v_cmp_ne_u32_e32 vcc, 0, v1
	v_lshrrev_b32_e32 v4, 8, v9
	s_movk_i32 s1, 0xffe
	v_cndmask_b32_e64 v1, 0, 1, vcc
	v_bfe_u32 v5, v9, 20, 11
	v_and_or_b32 v1, v4, s1, v1
	v_sub_u32_e32 v6, 0x3f1, v5
	v_or_b32_e32 v4, 0x1000, v1
	v_med3_i32 v6, v6, 0, 13
	v_lshrrev_b32_e32 v7, v6, v4
	v_lshlrev_b32_e32 v6, v6, v7
	v_cmp_ne_u32_e32 vcc, v6, v4
	v_add_u32_e32 v5, 0xfffffc10, v5
	v_lshl_or_b32 v6, v5, 12, v1
	v_cndmask_b32_e64 v4, 0, 1, vcc
	v_or_b32_e32 v4, v7, v4
	v_cmp_gt_i32_e32 vcc, 1, v5
	s_movk_i32 s3, 0x40f
	v_bfe_u32 v16, v11, 20, 11
	v_cndmask_b32_e32 v4, v6, v4, vcc
	v_and_b32_e32 v6, 7, v4
	v_cmp_lt_i32_e32 vcc, 5, v6
	v_lshrrev_b32_e32 v4, 2, v4
	v_sub_u32_e32 v17, 0x3f1, v16
	v_cndmask_b32_e64 v7, 0, 1, vcc
	v_cmp_eq_u32_e32 vcc, 3, v6
	v_med3_i32 v17, v17, 0, 13
	v_add_u32_e32 v16, 0xfffffc10, v16
	v_cndmask_b32_e64 v6, 0, 1, vcc
	v_or_b32_e32 v6, v6, v7
	v_add_u32_e32 v4, v4, v6
	v_mov_b32_e32 v6, 0x7c00
	v_cmp_gt_i32_e32 vcc, 31, v5
	v_mov_b32_e32 v7, 0x7e00
	s_mov_b32 s6, 0x8000
	v_cndmask_b32_e32 v4, v6, v4, vcc
	v_cmp_ne_u32_e32 vcc, 0, v1
	s_nop 1
	v_cndmask_b32_e32 v1, v6, v7, vcc
	v_cmp_eq_u32_e32 vcc, s3, v5
	v_and_or_b32 v5, v11, s0, v10
	v_lshrrev_b32_e32 v10, 8, v11
	v_cndmask_b32_e32 v1, v4, v1, vcc
	v_cmp_ne_u32_e32 vcc, 0, v5
	v_and_b32_sdwa v4, v9, s6 dst_sel:DWORD dst_unused:UNUSED_PAD src0_sel:WORD_1 src1_sel:DWORD
	s_mov_b32 s0, 0xffff
	v_cndmask_b32_e64 v5, 0, 1, vcc
	v_and_or_b32 v5, v10, s1, v5
	v_or_b32_e32 v10, 0x1000, v5
	v_lshrrev_b32_e32 v18, v17, v10
	v_lshlrev_b32_e32 v17, v17, v18
	v_cmp_ne_u32_e32 vcc, v17, v10
	v_lshl_or_b32 v17, v16, 12, v5
	v_bitop3_b32 v1, v4, s0, v1 bitop3:0xc8
	v_cndmask_b32_e64 v10, 0, 1, vcc
	v_or_b32_e32 v10, v18, v10
	v_cmp_gt_i32_e32 vcc, 1, v16
	s_nop 1
	v_cndmask_b32_e32 v10, v17, v10, vcc
	v_and_b32_e32 v17, 7, v10
	v_cmp_lt_i32_e32 vcc, 5, v17
	v_lshrrev_b32_e32 v10, 2, v10
	s_nop 0
	v_cndmask_b32_e64 v18, 0, 1, vcc
	v_cmp_eq_u32_e32 vcc, 3, v17
	s_nop 1
	v_cndmask_b32_e64 v17, 0, 1, vcc
	v_or_b32_e32 v17, v17, v18
	v_add_u32_e32 v10, v10, v17
	v_cmp_gt_i32_e32 vcc, 31, v16
	s_nop 1
	v_cndmask_b32_e32 v10, v6, v10, vcc
	v_cmp_ne_u32_e32 vcc, 0, v5
	s_nop 1
	v_cndmask_b32_e32 v5, v6, v7, vcc
	v_cmp_eq_u32_e32 vcc, s3, v16
	v_lshrrev_b32_e32 v6, 16, v11
	s_nop 0
	v_cndmask_b32_e32 v5, v10, v5, vcc
	v_and_or_b32 v5, v6, s6, v5
	v_lshl_or_b32 v1, v5, 16, v1
	global_store_dword v[2:3], v1, off
.LBB168_2257:
	s_mov_b64 s[0:1], 0
.LBB168_2258:
	s_andn2_b64 vcc, exec, s[0:1]
	s_cbranch_vccnz .LBB168_2267
; %bb.2259:
	s_cmp_lt_i32 s2, 6
	s_mov_b64 s[0:1], -1
	s_cbranch_scc1 .LBB168_2265
; %bb.2260:
	s_cmp_gt_i32 s2, 6
	s_cbranch_scc0 .LBB168_2262
; %bb.2261:
	global_store_dwordx2 v[2:3], v[8:9], off
	s_mov_b64 s[0:1], 0
.LBB168_2262:
	s_andn2_b64 vcc, exec, s[0:1]
	s_cbranch_vccnz .LBB168_2264
; %bb.2263:
	v_cvt_f32_f64_e32 v1, v[8:9]
	global_store_dword v[2:3], v1, off
.LBB168_2264:
	s_mov_b64 s[0:1], 0
.LBB168_2265:
	s_andn2_b64 vcc, exec, s[0:1]
	s_cbranch_vccnz .LBB168_2267
; %bb.2266:
	s_movk_i32 s0, 0x1ff
	v_and_or_b32 v1, v9, s0, v8
	v_cmp_ne_u32_e32 vcc, 0, v1
	v_lshrrev_b32_e32 v4, 8, v9
	s_movk_i32 s0, 0xffe
	v_cndmask_b32_e64 v1, 0, 1, vcc
	v_bfe_u32 v5, v9, 20, 11
	v_and_or_b32 v1, v4, s0, v1
	v_sub_u32_e32 v6, 0x3f1, v5
	v_or_b32_e32 v4, 0x1000, v1
	v_med3_i32 v6, v6, 0, 13
	v_lshrrev_b32_e32 v7, v6, v4
	v_lshlrev_b32_e32 v6, v6, v7
	v_cmp_ne_u32_e32 vcc, v6, v4
	v_add_u32_e32 v5, 0xfffffc10, v5
	v_lshl_or_b32 v6, v5, 12, v1
	v_cndmask_b32_e64 v4, 0, 1, vcc
	v_or_b32_e32 v4, v7, v4
	v_cmp_gt_i32_e32 vcc, 1, v5
	s_movk_i32 s0, 0x40f
	s_nop 0
	v_cndmask_b32_e32 v4, v6, v4, vcc
	v_and_b32_e32 v6, 7, v4
	v_cmp_lt_i32_e32 vcc, 5, v6
	v_lshrrev_b32_e32 v4, 2, v4
	s_nop 0
	v_cndmask_b32_e64 v7, 0, 1, vcc
	v_cmp_eq_u32_e32 vcc, 3, v6
	s_nop 1
	v_cndmask_b32_e64 v6, 0, 1, vcc
	v_or_b32_e32 v6, v6, v7
	v_add_u32_e32 v4, v4, v6
	v_mov_b32_e32 v6, 0x7c00
	v_cmp_gt_i32_e32 vcc, 31, v5
	v_mov_b32_e32 v7, 0x7e00
	s_nop 0
	v_cndmask_b32_e32 v4, v6, v4, vcc
	v_cmp_ne_u32_e32 vcc, 0, v1
	s_nop 1
	v_cndmask_b32_e32 v1, v6, v7, vcc
	v_cmp_eq_u32_e32 vcc, s0, v5
	s_mov_b32 s0, 0x8000
	s_nop 0
	v_cndmask_b32_e32 v1, v4, v1, vcc
	v_lshrrev_b32_e32 v4, 16, v9
	v_and_or_b32 v1, v4, s0, v1
	global_store_short v[2:3], v1, off
.LBB168_2267:
	s_mov_b64 s[0:1], 0
.LBB168_2268:
	s_andn2_b64 vcc, exec, s[0:1]
	s_cbranch_vccnz .LBB168_2284
; %bb.2269:
	s_cmp_lt_i32 s2, 2
	s_mov_b64 s[0:1], -1
	s_cbranch_scc1 .LBB168_2279
; %bb.2270:
	s_cmp_lt_i32 s2, 3
	s_cbranch_scc1 .LBB168_2276
; %bb.2271:
	s_cmp_gt_i32 s2, 3
	s_cbranch_scc0 .LBB168_2273
; %bb.2272:
	v_trunc_f64_e32 v[4:5], v[8:9]
	s_movk_i32 s0, 0xffe0
	v_ldexp_f64 v[6:7], v[4:5], s0
	v_floor_f64_e32 v[6:7], v[6:7]
	v_fmac_f64_e32 v[4:5], 0xc1f00000, v[6:7]
	v_cvt_i32_f64_e32 v11, v[6:7]
	v_cvt_u32_f64_e32 v10, v[4:5]
	global_store_dwordx2 v[2:3], v[10:11], off
	s_mov_b64 s[0:1], 0
.LBB168_2273:
	s_andn2_b64 vcc, exec, s[0:1]
	s_cbranch_vccnz .LBB168_2275
; %bb.2274:
	v_cvt_i32_f64_e32 v1, v[8:9]
	global_store_dword v[2:3], v1, off
.LBB168_2275:
	s_mov_b64 s[0:1], 0
.LBB168_2276:
	s_andn2_b64 vcc, exec, s[0:1]
	s_cbranch_vccnz .LBB168_2278
; %bb.2277:
	v_cvt_i32_f64_e32 v1, v[8:9]
	global_store_short v[2:3], v1, off
.LBB168_2278:
	s_mov_b64 s[0:1], 0
.LBB168_2279:
	s_andn2_b64 vcc, exec, s[0:1]
	s_cbranch_vccnz .LBB168_2284
; %bb.2280:
	s_cmp_gt_i32 s2, 0
	s_mov_b64 s[0:1], -1
	s_cbranch_scc0 .LBB168_2282
; %bb.2281:
	v_cvt_i32_f64_e32 v1, v[8:9]
	global_store_byte v[2:3], v1, off
	s_mov_b64 s[0:1], 0
.LBB168_2282:
	s_andn2_b64 vcc, exec, s[0:1]
	s_cbranch_vccnz .LBB168_2284
; %bb.2283:
	v_trunc_f64_e32 v[4:5], v[8:9]
	s_movk_i32 s0, 0xffe0
	v_ldexp_f64 v[6:7], v[4:5], s0
	v_floor_f64_e32 v[6:7], v[6:7]
	v_fmac_f64_e32 v[4:5], 0xc1f00000, v[6:7]
	v_cvt_u32_f64_e32 v1, v[4:5]
	global_store_byte v[2:3], v1, off
.LBB168_2284:
	s_mov_b64 s[6:7], -1
.LBB168_2285:
	s_andn2_b64 vcc, exec, s[6:7]
	s_cbranch_vccnz .LBB168_2362
; %bb.2286:
	v_add_u32_e32 v0, s18, v0
	v_ashrrev_i32_e32 v1, 31, v0
	s_cmp_lt_i32 s20, 11
	v_lshl_add_u64 v[0:1], s[4:5], 0, v[0:1]
	s_cbranch_scc1 .LBB168_2363
; %bb.2287:
	s_and_b32 s10, 0xffff, s20
	s_mov_b64 s[4:5], -1
	s_mov_b64 s[2:3], 0
	s_cmp_gt_i32 s10, 25
	s_mov_b64 s[0:1], 0
	s_cbranch_scc0 .LBB168_2320
; %bb.2288:
	s_cmp_gt_i32 s10, 28
	s_cbranch_scc0 .LBB168_2304
; %bb.2289:
	s_cmp_gt_i32 s10, 43
	;; [unrolled: 3-line block ×3, first 2 shown]
	s_cbranch_scc0 .LBB168_2294
; %bb.2291:
	s_cmp_eq_u32 s10, 46
	s_mov_b64 s[0:1], -1
	s_cbranch_scc0 .LBB168_2293
; %bb.2292:
	v_cvt_f32_f64_e32 v3, v[14:15]
	s_movk_i32 s0, 0x7fff
	v_bfe_u32 v5, v3, 16, 1
	v_cvt_f32_f64_e32 v2, v[12:13]
	v_add3_u32 v5, v3, v5, s0
	v_bfe_u32 v4, v2, 16, 1
	v_and_b32_e32 v5, 0xffff0000, v5
	v_mov_b32_e32 v6, 0x7fc00000
	v_cmp_o_f32_e32 vcc, v3, v3
	v_add3_u32 v4, v2, v4, s0
	s_mov_b64 s[0:1], 0
	v_cndmask_b32_e32 v3, v6, v5, vcc
	v_cmp_o_f32_e32 vcc, v2, v2
	v_mov_b32_e32 v2, 0x7fc0
	s_nop 0
	v_cndmask_b32_sdwa v2, v2, v4, vcc dst_sel:DWORD dst_unused:UNUSED_PAD src0_sel:DWORD src1_sel:WORD_1
	v_or_b32_e32 v2, v3, v2
	global_store_dword v[0:1], v2, off
.LBB168_2293:
	s_mov_b64 s[4:5], 0
.LBB168_2294:
	s_and_b64 vcc, exec, s[4:5]
	s_cbranch_vccz .LBB168_2299
; %bb.2295:
	s_cmp_eq_u32 s10, 44
	s_mov_b64 s[0:1], -1
	s_cbranch_scc0 .LBB168_2299
; %bb.2296:
	v_cvt_f32_f64_e32 v2, v[12:13]
	v_bfe_u32 v3, v2, 23, 8
	s_movk_i32 s0, 0xff
	v_cmp_ne_u32_e32 vcc, s0, v3
	v_mov_b32_e32 v4, 0xff
	s_and_saveexec_b64 s[4:5], vcc
; %bb.2297:
	s_mov_b32 s0, 0x3fffff
	v_lshrrev_b32_e32 v4, 23, v2
	v_and_b32_e32 v5, 0x400000, v2
	v_and_or_b32 v2, v2, s0, v3
	v_cmp_ne_u32_e32 vcc, 0, v5
	v_cmp_ne_u32_e64 s[0:1], 0, v2
	s_and_b64 s[0:1], vcc, s[0:1]
	s_nop 0
	v_cndmask_b32_e64 v2, 0, 1, s[0:1]
	v_add_u32_e32 v4, v4, v2
; %bb.2298:
	s_or_b64 exec, exec, s[4:5]
	s_mov_b64 s[0:1], 0
	global_store_byte v[0:1], v4, off
.LBB168_2299:
	s_mov_b64 s[4:5], 0
.LBB168_2300:
	s_and_b64 vcc, exec, s[4:5]
	s_cbranch_vccz .LBB168_2303
; %bb.2301:
	s_cmp_eq_u32 s10, 29
	s_mov_b64 s[0:1], -1
	s_cbranch_scc0 .LBB168_2303
; %bb.2302:
	v_trunc_f64_e32 v[2:3], v[12:13]
	s_movk_i32 s0, 0xffe0
	v_ldexp_f64 v[4:5], v[2:3], s0
	v_floor_f64_e32 v[4:5], v[4:5]
	v_fmac_f64_e32 v[2:3], 0xc1f00000, v[4:5]
	v_cvt_u32_f64_e32 v7, v[4:5]
	v_cvt_u32_f64_e32 v6, v[2:3]
	global_store_dwordx2 v[0:1], v[6:7], off
	s_mov_b64 s[0:1], 0
.LBB168_2303:
	s_mov_b64 s[4:5], 0
.LBB168_2304:
	s_and_b64 vcc, exec, s[4:5]
	s_cbranch_vccz .LBB168_2319
; %bb.2305:
	s_cmp_lt_i32 s10, 27
	s_mov_b64 s[4:5], -1
	s_cbranch_scc1 .LBB168_2311
; %bb.2306:
	s_cmp_gt_i32 s10, 27
	v_cvt_u32_f64_e32 v2, v[12:13]
	s_cbranch_scc0 .LBB168_2308
; %bb.2307:
	global_store_dword v[0:1], v2, off
	s_mov_b64 s[4:5], 0
.LBB168_2308:
	s_andn2_b64 vcc, exec, s[4:5]
	s_cbranch_vccnz .LBB168_2310
; %bb.2309:
	global_store_short v[0:1], v2, off
.LBB168_2310:
	s_mov_b64 s[4:5], 0
.LBB168_2311:
	s_andn2_b64 vcc, exec, s[4:5]
	s_cbranch_vccnz .LBB168_2319
; %bb.2312:
	v_cvt_f32_f64_e32 v2, v[12:13]
	v_and_b32_e32 v3, 0x7fffffff, v2
	s_mov_b32 s4, 0x43800000
	v_cmp_gt_u32_e32 vcc, s4, v3
	v_mov_b32_e32 v4, 0x80
	s_and_saveexec_b64 s[4:5], vcc
	s_cbranch_execz .LBB168_2318
; %bb.2313:
	s_mov_b32 s6, 0x3bffffff
	v_cmp_lt_u32_e32 vcc, s6, v3
	s_mov_b64 s[6:7], 0
                                        ; implicit-def: $vgpr3
	s_and_saveexec_b64 s[8:9], vcc
	s_xor_b64 s[8:9], exec, s[8:9]
	s_cbranch_execz .LBB168_2379
; %bb.2314:
	v_bfe_u32 v3, v2, 20, 1
	s_mov_b32 s11, 0x487ffff
	v_add3_u32 v3, v2, v3, s11
	s_mov_b64 s[6:7], exec
	v_lshrrev_b32_e32 v3, 20, v3
	s_andn2_saveexec_b64 s[8:9], s[8:9]
	s_cbranch_execnz .LBB168_2380
.LBB168_2315:
	s_or_b64 exec, exec, s[8:9]
	v_mov_b32_e32 v4, 0
	s_and_saveexec_b64 s[8:9], s[6:7]
.LBB168_2316:
	v_lshrrev_b32_e32 v2, 24, v2
	s_movk_i32 s6, 0x80
	v_and_or_b32 v4, v2, s6, v3
.LBB168_2317:
	s_or_b64 exec, exec, s[8:9]
.LBB168_2318:
	s_or_b64 exec, exec, s[4:5]
	global_store_byte v[0:1], v4, off
.LBB168_2319:
	s_mov_b64 s[4:5], 0
.LBB168_2320:
	s_and_b64 vcc, exec, s[4:5]
	s_cbranch_vccz .LBB168_2360
; %bb.2321:
	s_cmp_gt_i32 s10, 22
	s_mov_b64 s[2:3], -1
	s_cbranch_scc0 .LBB168_2353
; %bb.2322:
	s_cmp_lt_i32 s10, 24
	s_cbranch_scc1 .LBB168_2342
; %bb.2323:
	s_cmp_gt_i32 s10, 24
	s_cbranch_scc0 .LBB168_2331
; %bb.2324:
	v_cvt_f32_f64_e32 v2, v[12:13]
	v_and_b32_e32 v3, 0x7fffffff, v2
	s_mov_b32 s2, 0x47800000
	v_cmp_gt_u32_e32 vcc, s2, v3
	v_mov_b32_e32 v4, 0x80
	s_and_saveexec_b64 s[2:3], vcc
	s_cbranch_execz .LBB168_2330
; %bb.2325:
	s_mov_b32 s4, 0x37ffffff
	v_cmp_lt_u32_e32 vcc, s4, v3
	s_mov_b64 s[4:5], 0
                                        ; implicit-def: $vgpr3
	s_and_saveexec_b64 s[6:7], vcc
	s_xor_b64 s[6:7], exec, s[6:7]
	s_cbranch_execz .LBB168_2382
; %bb.2326:
	v_bfe_u32 v3, v2, 21, 1
	s_mov_b32 s8, 0x88fffff
	v_add3_u32 v3, v2, v3, s8
	s_mov_b64 s[4:5], exec
	v_lshrrev_b32_e32 v3, 21, v3
	s_andn2_saveexec_b64 s[6:7], s[6:7]
	s_cbranch_execnz .LBB168_2383
.LBB168_2327:
	s_or_b64 exec, exec, s[6:7]
	v_mov_b32_e32 v4, 0
	s_and_saveexec_b64 s[6:7], s[4:5]
.LBB168_2328:
	v_lshrrev_b32_e32 v2, 24, v2
	s_movk_i32 s4, 0x80
	v_and_or_b32 v4, v2, s4, v3
.LBB168_2329:
	s_or_b64 exec, exec, s[6:7]
.LBB168_2330:
	s_or_b64 exec, exec, s[2:3]
	s_mov_b64 s[2:3], 0
	global_store_byte v[0:1], v4, off
.LBB168_2331:
	s_and_b64 vcc, exec, s[2:3]
	s_cbranch_vccz .LBB168_2341
; %bb.2332:
	v_cvt_f32_f64_e32 v2, v[12:13]
	v_and_b32_e32 v4, 0x7fffffff, v2
	s_mov_b32 s2, 0x43f00000
	v_cmp_gt_u32_e32 vcc, s2, v4
                                        ; implicit-def: $vgpr3
	s_and_saveexec_b64 s[2:3], vcc
	s_xor_b64 s[2:3], exec, s[2:3]
	s_cbranch_execz .LBB168_2338
; %bb.2333:
	s_mov_b32 s4, 0x3c7fffff
	v_cmp_lt_u32_e32 vcc, s4, v4
                                        ; implicit-def: $vgpr3
	s_and_saveexec_b64 s[4:5], vcc
	s_xor_b64 s[4:5], exec, s[4:5]
; %bb.2334:
	v_bfe_u32 v3, v2, 20, 1
	s_mov_b32 s6, 0x407ffff
	v_add3_u32 v3, v2, v3, s6
	v_lshrrev_b32_e32 v4, 20, v3
	v_and_b32_e32 v3, 0xff00000, v3
	s_mov_b32 s6, 0x7f00000
	v_mov_b32_e32 v5, 0x7e
	v_cmp_ne_u32_e32 vcc, s6, v3
	s_nop 1
	v_cndmask_b32_e32 v3, v5, v4, vcc
; %bb.2335:
	s_andn2_saveexec_b64 s[4:5], s[4:5]
; %bb.2336:
	s_mov_b32 s6, 0x46800000
	v_add_f32_e64 v3, |v2|, s6
; %bb.2337:
	s_or_b64 exec, exec, s[4:5]
                                        ; implicit-def: $vgpr4
.LBB168_2338:
	s_andn2_saveexec_b64 s[2:3], s[2:3]
; %bb.2339:
	s_mov_b32 s4, 0x7f800000
	v_mov_b32_e32 v3, 0x7e
	v_mov_b32_e32 v5, 0x7f
	v_cmp_lt_u32_e32 vcc, s4, v4
	s_nop 1
	v_cndmask_b32_e32 v3, v3, v5, vcc
; %bb.2340:
	s_or_b64 exec, exec, s[2:3]
	v_lshrrev_b32_e32 v2, 24, v2
	s_movk_i32 s2, 0x80
	v_and_or_b32 v2, v2, s2, v3
	global_store_byte v[0:1], v2, off
.LBB168_2341:
	s_mov_b64 s[2:3], 0
.LBB168_2342:
	s_andn2_b64 vcc, exec, s[2:3]
	s_cbranch_vccnz .LBB168_2352
; %bb.2343:
	v_cvt_f32_f64_e32 v2, v[12:13]
	v_and_b32_e32 v4, 0x7fffffff, v2
	s_mov_b32 s2, 0x47800000
	v_cmp_gt_u32_e32 vcc, s2, v4
                                        ; implicit-def: $vgpr3
	s_and_saveexec_b64 s[2:3], vcc
	s_xor_b64 s[2:3], exec, s[2:3]
	s_cbranch_execz .LBB168_2349
; %bb.2344:
	s_mov_b32 s4, 0x387fffff
	v_cmp_lt_u32_e32 vcc, s4, v4
                                        ; implicit-def: $vgpr3
	s_and_saveexec_b64 s[4:5], vcc
	s_xor_b64 s[4:5], exec, s[4:5]
; %bb.2345:
	v_bfe_u32 v3, v2, 21, 1
	s_mov_b32 s6, 0x80fffff
	v_add3_u32 v3, v2, v3, s6
	v_lshrrev_b32_e32 v3, 21, v3
; %bb.2346:
	s_andn2_saveexec_b64 s[4:5], s[4:5]
; %bb.2347:
	s_mov_b32 s6, 0x43000000
	v_add_f32_e64 v3, |v2|, s6
; %bb.2348:
	s_or_b64 exec, exec, s[4:5]
                                        ; implicit-def: $vgpr4
.LBB168_2349:
	s_andn2_saveexec_b64 s[2:3], s[2:3]
; %bb.2350:
	s_mov_b32 s4, 0x7f800000
	v_mov_b32_e32 v3, 0x7c
	v_mov_b32_e32 v5, 0x7f
	v_cmp_lt_u32_e32 vcc, s4, v4
	s_nop 1
	v_cndmask_b32_e32 v3, v3, v5, vcc
; %bb.2351:
	s_or_b64 exec, exec, s[2:3]
	v_lshrrev_b32_e32 v2, 24, v2
	s_movk_i32 s2, 0x80
	v_and_or_b32 v2, v2, s2, v3
	global_store_byte v[0:1], v2, off
.LBB168_2352:
	s_mov_b64 s[2:3], 0
.LBB168_2353:
	s_andn2_b64 vcc, exec, s[2:3]
	s_mov_b64 s[2:3], 0
	s_cbranch_vccnz .LBB168_2360
; %bb.2354:
	s_cmp_gt_i32 s10, 14
	s_mov_b64 s[4:5], -1
	s_cbranch_scc0 .LBB168_2358
; %bb.2355:
	s_cmp_eq_u32 s10, 15
	s_mov_b64 s[0:1], -1
	s_cbranch_scc0 .LBB168_2357
; %bb.2356:
	v_cvt_f32_f64_e32 v2, v[12:13]
	v_bfe_u32 v3, v2, 16, 1
	s_movk_i32 s0, 0x7fff
	v_add3_u32 v3, v2, v3, s0
	v_cmp_o_f32_e32 vcc, v2, v2
	v_mov_b32_e32 v2, 0x7fc0
	s_mov_b64 s[0:1], 0
	v_cndmask_b32_sdwa v2, v2, v3, vcc dst_sel:DWORD dst_unused:UNUSED_PAD src0_sel:DWORD src1_sel:WORD_1
	global_store_short v[0:1], v2, off
.LBB168_2357:
	s_mov_b64 s[4:5], 0
.LBB168_2358:
	s_and_b64 vcc, exec, s[4:5]
	s_cbranch_vccz .LBB168_2360
; %bb.2359:
	s_cmp_lg_u32 s10, 11
	s_mov_b64 s[2:3], -1
	s_cselect_b64 s[0:1], -1, 0
.LBB168_2360:
	s_and_b64 vcc, exec, s[0:1]
	s_cbranch_vccnz .LBB168_2381
.LBB168_2361:
	s_mov_b64 s[0:1], 0
	s_branch .LBB168_1859
.LBB168_2362:
	s_mov_b64 s[0:1], 0
                                        ; implicit-def: $sgpr20
                                        ; implicit-def: $vgpr0_vgpr1
	s_branch .LBB168_1858
.LBB168_2363:
	s_mov_b64 s[2:3], 0
	s_mov_b64 s[0:1], -1
	s_branch .LBB168_1859
.LBB168_2364:
	s_andn2_saveexec_b64 s[18:19], s[18:19]
	s_cbranch_execz .LBB168_1957
.LBB168_2365:
	s_mov_b32 s21, 0x46000000
	v_add_f32_e64 v20, |v17|, s21
	v_and_b32_e32 v20, 0xff, v20
	v_cmp_ne_u32_e32 vcc, 0, v20
	s_andn2_b64 s[10:11], s[10:11], exec
	s_and_b64 s[22:23], vcc, exec
	s_or_b64 s[10:11], s[10:11], s[22:23]
	s_or_b64 exec, exec, s[18:19]
	v_mov_b32_e32 v21, 0
	s_and_saveexec_b64 s[18:19], s[10:11]
	s_cbranch_execnz .LBB168_1958
	s_branch .LBB168_1959
.LBB168_2366:
	s_trap 2
	s_or_b64 s[16:17], s[16:17], exec
	s_cbranch_execz .LBB168_2005
	s_branch .LBB168_2006
.LBB168_2367:
	s_andn2_saveexec_b64 s[10:11], s[10:11]
	s_cbranch_execz .LBB168_1970
.LBB168_2368:
	s_mov_b32 s18, 0x42800000
	v_add_f32_e64 v20, |v17|, s18
	v_and_b32_e32 v20, 0xff, v20
	v_cmp_ne_u32_e32 vcc, 0, v20
	s_andn2_b64 s[6:7], s[6:7], exec
	s_and_b64 s[18:19], vcc, exec
	s_or_b64 s[6:7], s[6:7], s[18:19]
	s_or_b64 exec, exec, s[10:11]
	v_mov_b32_e32 v21, 0
	s_and_saveexec_b64 s[10:11], s[6:7]
	s_cbranch_execnz .LBB168_1971
	s_branch .LBB168_1972
.LBB168_2369:
	s_andn2_saveexec_b64 s[10:11], s[10:11]
	s_cbranch_execz .LBB168_2076
.LBB168_2370:
	s_mov_b32 s21, 0x46000000
	v_add_f32_e64 v16, |v1|, s21
	v_and_b32_e32 v16, 0xff, v16
	v_cmp_ne_u32_e32 vcc, 0, v16
	s_andn2_b64 s[8:9], s[8:9], exec
	s_and_b64 s[22:23], vcc, exec
	s_or_b64 s[8:9], s[8:9], s[22:23]
	s_or_b64 exec, exec, s[10:11]
	v_mov_b32_e32 v17, 0
	s_and_saveexec_b64 s[10:11], s[8:9]
	s_cbranch_execnz .LBB168_2077
	s_branch .LBB168_2078
.LBB168_2371:
	s_trap 2
	s_or_b64 s[16:17], s[16:17], exec
	s_cbranch_execz .LBB168_2124
	s_branch .LBB168_2125
.LBB168_2372:
	s_andn2_saveexec_b64 s[8:9], s[8:9]
	s_cbranch_execz .LBB168_2089
.LBB168_2373:
	s_mov_b32 s10, 0x42800000
	v_add_f32_e64 v16, |v1|, s10
	v_and_b32_e32 v16, 0xff, v16
	v_cmp_ne_u32_e32 vcc, 0, v16
	s_andn2_b64 s[6:7], s[6:7], exec
	s_and_b64 s[10:11], vcc, exec
	s_or_b64 s[6:7], s[6:7], s[10:11]
	s_or_b64 exec, exec, s[8:9]
	v_mov_b32_e32 v17, 0
	s_and_saveexec_b64 s[8:9], s[6:7]
	s_cbranch_execnz .LBB168_2090
	s_branch .LBB168_2091
.LBB168_2374:
	s_andn2_saveexec_b64 s[10:11], s[10:11]
	s_cbranch_execz .LBB168_2195
.LBB168_2375:
	s_mov_b32 s21, 0x46000000
	v_add_f32_e64 v4, |v1|, s21
	v_and_b32_e32 v4, 0xff, v4
	v_cmp_ne_u32_e32 vcc, 0, v4
	s_andn2_b64 s[8:9], s[8:9], exec
	s_and_b64 s[22:23], vcc, exec
	s_or_b64 s[8:9], s[8:9], s[22:23]
	s_or_b64 exec, exec, s[10:11]
	v_mov_b32_e32 v5, 0
	s_and_saveexec_b64 s[10:11], s[8:9]
	s_cbranch_execnz .LBB168_2196
	s_branch .LBB168_2197
.LBB168_2376:
	s_trap 2
	s_or_b64 s[16:17], s[16:17], exec
	s_cbranch_execz .LBB168_2243
	s_branch .LBB168_2244
.LBB168_2377:
	s_andn2_saveexec_b64 s[8:9], s[8:9]
	s_cbranch_execz .LBB168_2208
.LBB168_2378:
	s_mov_b32 s10, 0x42800000
	v_add_f32_e64 v4, |v1|, s10
	v_and_b32_e32 v4, 0xff, v4
	v_cmp_ne_u32_e32 vcc, 0, v4
	s_andn2_b64 s[6:7], s[6:7], exec
	s_and_b64 s[10:11], vcc, exec
	s_or_b64 s[6:7], s[6:7], s[10:11]
	s_or_b64 exec, exec, s[8:9]
	v_mov_b32_e32 v5, 0
	s_and_saveexec_b64 s[8:9], s[6:7]
	s_cbranch_execnz .LBB168_2209
	s_branch .LBB168_2210
.LBB168_2379:
	s_andn2_saveexec_b64 s[8:9], s[8:9]
	s_cbranch_execz .LBB168_2315
.LBB168_2380:
	s_mov_b32 s11, 0x46000000
	v_add_f32_e64 v3, |v2|, s11
	v_and_b32_e32 v3, 0xff, v3
	v_cmp_ne_u32_e32 vcc, 0, v3
	s_andn2_b64 s[6:7], s[6:7], exec
	s_and_b64 s[18:19], vcc, exec
	s_or_b64 s[6:7], s[6:7], s[18:19]
	s_or_b64 exec, exec, s[8:9]
	v_mov_b32_e32 v4, 0
	s_and_saveexec_b64 s[8:9], s[6:7]
	s_cbranch_execnz .LBB168_2316
	s_branch .LBB168_2317
.LBB168_2381:
	s_mov_b64 s[2:3], 0
	s_or_b64 s[16:17], s[16:17], exec
	s_trap 2
	s_branch .LBB168_2361
.LBB168_2382:
	s_andn2_saveexec_b64 s[6:7], s[6:7]
	s_cbranch_execz .LBB168_2327
.LBB168_2383:
	s_mov_b32 s8, 0x42800000
	v_add_f32_e64 v3, |v2|, s8
	v_and_b32_e32 v3, 0xff, v3
	v_cmp_ne_u32_e32 vcc, 0, v3
	s_andn2_b64 s[4:5], s[4:5], exec
	s_and_b64 s[8:9], vcc, exec
	s_or_b64 s[4:5], s[4:5], s[8:9]
	s_or_b64 exec, exec, s[6:7]
	v_mov_b32_e32 v4, 0
	s_and_saveexec_b64 s[6:7], s[4:5]
	s_cbranch_execnz .LBB168_2328
	s_branch .LBB168_2329
	.section	.rodata,"a",@progbits
	.p2align	6, 0x0
	.amdhsa_kernel _ZN2at6native32elementwise_kernel_manual_unrollILi128ELi4EZNS0_15gpu_kernel_implIZZZNS0_17rsqrt_kernel_cudaERNS_18TensorIteratorBaseEENKUlvE_clEvENKUlvE_clEvEUlN3c107complexIdEEE_EEvS4_RKT_EUlibE_EEviT1_
		.amdhsa_group_segment_fixed_size 0
		.amdhsa_private_segment_fixed_size 0
		.amdhsa_kernarg_size 40
		.amdhsa_user_sgpr_count 2
		.amdhsa_user_sgpr_dispatch_ptr 0
		.amdhsa_user_sgpr_queue_ptr 0
		.amdhsa_user_sgpr_kernarg_segment_ptr 1
		.amdhsa_user_sgpr_dispatch_id 0
		.amdhsa_user_sgpr_kernarg_preload_length 0
		.amdhsa_user_sgpr_kernarg_preload_offset 0
		.amdhsa_user_sgpr_private_segment_size 0
		.amdhsa_uses_dynamic_stack 0
		.amdhsa_enable_private_segment 0
		.amdhsa_system_sgpr_workgroup_id_x 1
		.amdhsa_system_sgpr_workgroup_id_y 0
		.amdhsa_system_sgpr_workgroup_id_z 0
		.amdhsa_system_sgpr_workgroup_info 0
		.amdhsa_system_vgpr_workitem_id 0
		.amdhsa_next_free_vgpr 28
		.amdhsa_next_free_sgpr 48
		.amdhsa_accum_offset 28
		.amdhsa_reserve_vcc 1
		.amdhsa_float_round_mode_32 0
		.amdhsa_float_round_mode_16_64 0
		.amdhsa_float_denorm_mode_32 3
		.amdhsa_float_denorm_mode_16_64 3
		.amdhsa_dx10_clamp 1
		.amdhsa_ieee_mode 1
		.amdhsa_fp16_overflow 0
		.amdhsa_tg_split 0
		.amdhsa_exception_fp_ieee_invalid_op 0
		.amdhsa_exception_fp_denorm_src 0
		.amdhsa_exception_fp_ieee_div_zero 0
		.amdhsa_exception_fp_ieee_overflow 0
		.amdhsa_exception_fp_ieee_underflow 0
		.amdhsa_exception_fp_ieee_inexact 0
		.amdhsa_exception_int_div_zero 0
	.end_amdhsa_kernel
	.section	.text._ZN2at6native32elementwise_kernel_manual_unrollILi128ELi4EZNS0_15gpu_kernel_implIZZZNS0_17rsqrt_kernel_cudaERNS_18TensorIteratorBaseEENKUlvE_clEvENKUlvE_clEvEUlN3c107complexIdEEE_EEvS4_RKT_EUlibE_EEviT1_,"axG",@progbits,_ZN2at6native32elementwise_kernel_manual_unrollILi128ELi4EZNS0_15gpu_kernel_implIZZZNS0_17rsqrt_kernel_cudaERNS_18TensorIteratorBaseEENKUlvE_clEvENKUlvE_clEvEUlN3c107complexIdEEE_EEvS4_RKT_EUlibE_EEviT1_,comdat
.Lfunc_end168:
	.size	_ZN2at6native32elementwise_kernel_manual_unrollILi128ELi4EZNS0_15gpu_kernel_implIZZZNS0_17rsqrt_kernel_cudaERNS_18TensorIteratorBaseEENKUlvE_clEvENKUlvE_clEvEUlN3c107complexIdEEE_EEvS4_RKT_EUlibE_EEviT1_, .Lfunc_end168-_ZN2at6native32elementwise_kernel_manual_unrollILi128ELi4EZNS0_15gpu_kernel_implIZZZNS0_17rsqrt_kernel_cudaERNS_18TensorIteratorBaseEENKUlvE_clEvENKUlvE_clEvEUlN3c107complexIdEEE_EEvS4_RKT_EUlibE_EEviT1_
                                        ; -- End function
	.set _ZN2at6native32elementwise_kernel_manual_unrollILi128ELi4EZNS0_15gpu_kernel_implIZZZNS0_17rsqrt_kernel_cudaERNS_18TensorIteratorBaseEENKUlvE_clEvENKUlvE_clEvEUlN3c107complexIdEEE_EEvS4_RKT_EUlibE_EEviT1_.num_vgpr, 28
	.set _ZN2at6native32elementwise_kernel_manual_unrollILi128ELi4EZNS0_15gpu_kernel_implIZZZNS0_17rsqrt_kernel_cudaERNS_18TensorIteratorBaseEENKUlvE_clEvENKUlvE_clEvEUlN3c107complexIdEEE_EEvS4_RKT_EUlibE_EEviT1_.num_agpr, 0
	.set _ZN2at6native32elementwise_kernel_manual_unrollILi128ELi4EZNS0_15gpu_kernel_implIZZZNS0_17rsqrt_kernel_cudaERNS_18TensorIteratorBaseEENKUlvE_clEvENKUlvE_clEvEUlN3c107complexIdEEE_EEvS4_RKT_EUlibE_EEviT1_.numbered_sgpr, 48
	.set _ZN2at6native32elementwise_kernel_manual_unrollILi128ELi4EZNS0_15gpu_kernel_implIZZZNS0_17rsqrt_kernel_cudaERNS_18TensorIteratorBaseEENKUlvE_clEvENKUlvE_clEvEUlN3c107complexIdEEE_EEvS4_RKT_EUlibE_EEviT1_.num_named_barrier, 0
	.set _ZN2at6native32elementwise_kernel_manual_unrollILi128ELi4EZNS0_15gpu_kernel_implIZZZNS0_17rsqrt_kernel_cudaERNS_18TensorIteratorBaseEENKUlvE_clEvENKUlvE_clEvEUlN3c107complexIdEEE_EEvS4_RKT_EUlibE_EEviT1_.private_seg_size, 0
	.set _ZN2at6native32elementwise_kernel_manual_unrollILi128ELi4EZNS0_15gpu_kernel_implIZZZNS0_17rsqrt_kernel_cudaERNS_18TensorIteratorBaseEENKUlvE_clEvENKUlvE_clEvEUlN3c107complexIdEEE_EEvS4_RKT_EUlibE_EEviT1_.uses_vcc, 1
	.set _ZN2at6native32elementwise_kernel_manual_unrollILi128ELi4EZNS0_15gpu_kernel_implIZZZNS0_17rsqrt_kernel_cudaERNS_18TensorIteratorBaseEENKUlvE_clEvENKUlvE_clEvEUlN3c107complexIdEEE_EEvS4_RKT_EUlibE_EEviT1_.uses_flat_scratch, 0
	.set _ZN2at6native32elementwise_kernel_manual_unrollILi128ELi4EZNS0_15gpu_kernel_implIZZZNS0_17rsqrt_kernel_cudaERNS_18TensorIteratorBaseEENKUlvE_clEvENKUlvE_clEvEUlN3c107complexIdEEE_EEvS4_RKT_EUlibE_EEviT1_.has_dyn_sized_stack, 0
	.set _ZN2at6native32elementwise_kernel_manual_unrollILi128ELi4EZNS0_15gpu_kernel_implIZZZNS0_17rsqrt_kernel_cudaERNS_18TensorIteratorBaseEENKUlvE_clEvENKUlvE_clEvEUlN3c107complexIdEEE_EEvS4_RKT_EUlibE_EEviT1_.has_recursion, 0
	.set _ZN2at6native32elementwise_kernel_manual_unrollILi128ELi4EZNS0_15gpu_kernel_implIZZZNS0_17rsqrt_kernel_cudaERNS_18TensorIteratorBaseEENKUlvE_clEvENKUlvE_clEvEUlN3c107complexIdEEE_EEvS4_RKT_EUlibE_EEviT1_.has_indirect_call, 0
	.section	.AMDGPU.csdata,"",@progbits
; Kernel info:
; codeLenInByte = 54052
; TotalNumSgprs: 54
; NumVgprs: 28
; NumAgprs: 0
; TotalNumVgprs: 28
; ScratchSize: 0
; MemoryBound: 1
; FloatMode: 240
; IeeeMode: 1
; LDSByteSize: 0 bytes/workgroup (compile time only)
; SGPRBlocks: 6
; VGPRBlocks: 3
; NumSGPRsForWavesPerEU: 54
; NumVGPRsForWavesPerEU: 28
; AccumOffset: 28
; Occupancy: 8
; WaveLimiterHint : 0
; COMPUTE_PGM_RSRC2:SCRATCH_EN: 0
; COMPUTE_PGM_RSRC2:USER_SGPR: 2
; COMPUTE_PGM_RSRC2:TRAP_HANDLER: 0
; COMPUTE_PGM_RSRC2:TGID_X_EN: 1
; COMPUTE_PGM_RSRC2:TGID_Y_EN: 0
; COMPUTE_PGM_RSRC2:TGID_Z_EN: 0
; COMPUTE_PGM_RSRC2:TIDIG_COMP_CNT: 0
; COMPUTE_PGM_RSRC3_GFX90A:ACCUM_OFFSET: 6
; COMPUTE_PGM_RSRC3_GFX90A:TG_SPLIT: 0
	.section	.text._ZN2at6native32elementwise_kernel_manual_unrollILi128ELi4EZNS0_15gpu_kernel_implIZZZNS0_17rsqrt_kernel_cudaERNS_18TensorIteratorBaseEENKUlvE_clEvENKUlvE_clEvEUlN3c107complexIdEEE_EEvS4_RKT_EUlibE0_EEviT1_,"axG",@progbits,_ZN2at6native32elementwise_kernel_manual_unrollILi128ELi4EZNS0_15gpu_kernel_implIZZZNS0_17rsqrt_kernel_cudaERNS_18TensorIteratorBaseEENKUlvE_clEvENKUlvE_clEvEUlN3c107complexIdEEE_EEvS4_RKT_EUlibE0_EEviT1_,comdat
	.globl	_ZN2at6native32elementwise_kernel_manual_unrollILi128ELi4EZNS0_15gpu_kernel_implIZZZNS0_17rsqrt_kernel_cudaERNS_18TensorIteratorBaseEENKUlvE_clEvENKUlvE_clEvEUlN3c107complexIdEEE_EEvS4_RKT_EUlibE0_EEviT1_ ; -- Begin function _ZN2at6native32elementwise_kernel_manual_unrollILi128ELi4EZNS0_15gpu_kernel_implIZZZNS0_17rsqrt_kernel_cudaERNS_18TensorIteratorBaseEENKUlvE_clEvENKUlvE_clEvEUlN3c107complexIdEEE_EEvS4_RKT_EUlibE0_EEviT1_
	.p2align	8
	.type	_ZN2at6native32elementwise_kernel_manual_unrollILi128ELi4EZNS0_15gpu_kernel_implIZZZNS0_17rsqrt_kernel_cudaERNS_18TensorIteratorBaseEENKUlvE_clEvENKUlvE_clEvEUlN3c107complexIdEEE_EEvS4_RKT_EUlibE0_EEviT1_,@function
_ZN2at6native32elementwise_kernel_manual_unrollILi128ELi4EZNS0_15gpu_kernel_implIZZZNS0_17rsqrt_kernel_cudaERNS_18TensorIteratorBaseEENKUlvE_clEvENKUlvE_clEvEUlN3c107complexIdEEE_EEvS4_RKT_EUlibE0_EEviT1_: ; @_ZN2at6native32elementwise_kernel_manual_unrollILi128ELi4EZNS0_15gpu_kernel_implIZZZNS0_17rsqrt_kernel_cudaERNS_18TensorIteratorBaseEENKUlvE_clEvENKUlvE_clEvEUlN3c107complexIdEEE_EEvS4_RKT_EUlibE0_EEviT1_
; %bb.0:
	s_load_dword s70, s[0:1], 0x0
	s_load_dword s33, s[0:1], 0x8
	s_add_u32 s34, s0, 8
	s_addc_u32 s35, s1, 0
	v_lshl_or_b32 v16, s2, 9, v0
	v_or_b32_e32 v2, 0x180, v16
	s_waitcnt lgkmcnt(0)
	s_add_i32 s72, s33, -1
	s_cmp_gt_u32 s72, 1
	v_cmp_le_i32_e32 vcc, s70, v2
	s_cselect_b64 s[42:43], -1, 0
	s_mov_b64 s[40:41], 0
	s_mov_b64 s[24:25], 0
	s_and_saveexec_b64 s[2:3], vcc
	s_xor_b64 s[44:45], exec, s[2:3]
	s_cbranch_execz .LBB169_1261
; %bb.1:
	v_mov_b32_e32 v0, 0
	global_load_ushort v0, v0, s[34:35] offset:345
	s_load_dwordx4 s[28:31], s[34:35], 0x4
	s_load_dwordx2 s[46:47], s[34:35], 0x14
	s_load_dwordx4 s[24:27], s[34:35], 0xc4
	s_load_dwordx4 s[20:23], s[34:35], 0x148
	s_cmp_lg_u32 s33, 0
	s_cselect_b64 s[52:53], -1, 0
	s_add_u32 s50, s34, 0xc4
	s_addc_u32 s51, s35, 0
	s_min_u32 s75, s72, 15
	s_cmp_gt_u32 s33, 1
	s_cselect_b64 s[48:49], -1, 0
	v_cmp_gt_i32_e32 vcc, s70, v16
	s_mov_b64 s[4:5], -1
	s_mov_b64 s[62:63], 0
	s_mov_b64 s[56:57], 0
	;; [unrolled: 1-line block ×3, first 2 shown]
	s_waitcnt vmcnt(0)
	v_readfirstlane_b32 s73, v0
	s_and_b32 s2, 0xffff, s73
	s_lshr_b32 s74, s2, 8
	s_and_saveexec_b64 s[58:59], vcc
	s_cbranch_execz .LBB169_309
; %bb.2:
	s_andn2_b64 vcc, exec, s[42:43]
	s_cbranch_vccnz .LBB169_8
; %bb.3:
	s_andn2_b64 vcc, exec, s[52:53]
	s_cbranch_vccnz .LBB169_9
; %bb.4:
	s_add_i32 s57, s75, 1
	s_cmp_eq_u32 s72, 2
	s_cbranch_scc1 .LBB169_10
; %bb.5:
	s_and_b32 s56, s57, 28
	s_mov_b32 s60, 0
	v_mov_b32_e32 v8, 0
	v_mov_b32_e32 v0, 0
	s_mov_b64 s[2:3], s[34:35]
	s_mov_b64 s[54:55], s[50:51]
	v_mov_b32_e32 v2, v16
.LBB169_6:                              ; =>This Inner Loop Header: Depth=1
	s_load_dwordx8 s[12:19], s[2:3], 0x4
	s_load_dwordx4 s[36:39], s[2:3], 0x24
	s_load_dwordx8 s[4:11], s[54:55], 0x0
	s_add_u32 s2, s2, 48
	s_addc_u32 s3, s3, 0
	s_waitcnt lgkmcnt(0)
	v_mul_hi_u32 v1, s13, v2
	v_add_u32_e32 v1, v2, v1
	v_lshrrev_b32_e32 v1, s14, v1
	v_mul_lo_u32 v3, v1, s12
	v_mul_hi_u32 v4, s16, v1
	v_sub_u32_e32 v2, v2, v3
	v_add_u32_e32 v3, v1, v4
	v_lshrrev_b32_e32 v3, s17, v3
	v_mul_lo_u32 v5, v3, s15
	v_mul_hi_u32 v6, s19, v3
	v_sub_u32_e32 v1, v1, v5
	v_add_u32_e32 v5, v3, v6
	v_mul_lo_u32 v4, v2, s5
	v_mul_lo_u32 v2, v2, s4
	;; [unrolled: 1-line block ×4, first 2 shown]
	v_lshrrev_b32_e32 v5, s36, v5
	v_add3_u32 v1, v2, v8, v1
	v_add3_u32 v0, v4, v0, v6
	v_mul_lo_u32 v2, v5, s18
	v_mul_hi_u32 v4, s38, v5
	v_sub_u32_e32 v2, v3, v2
	v_add_u32_e32 v3, v5, v4
	v_mul_lo_u32 v4, v2, s8
	v_mul_lo_u32 v6, v2, s9
	v_lshrrev_b32_e32 v2, s39, v3
	s_add_i32 s60, s60, 4
	v_mul_lo_u32 v3, v2, s37
	s_add_u32 s54, s54, 32
	v_sub_u32_e32 v3, v5, v3
	s_addc_u32 s55, s55, 0
	v_mul_lo_u32 v5, v3, s10
	v_mul_lo_u32 v3, v3, s11
	s_cmp_lg_u32 s56, s60
	v_add3_u32 v0, v6, v0, v3
	v_add3_u32 v8, v4, v1, v5
	s_cbranch_scc1 .LBB169_6
; %bb.7:
	v_mov_b32_e32 v1, v0
	s_branch .LBB169_11
.LBB169_8:
                                        ; implicit-def: $vgpr0
                                        ; implicit-def: $vgpr8
	s_branch .LBB169_15
.LBB169_9:
	v_mov_b32_e32 v0, 0
	v_mov_b32_e32 v8, 0
	s_branch .LBB169_14
.LBB169_10:
	v_mov_b32_e32 v8, 0
	s_mov_b32 s56, 0
	v_mov_b32_e32 v1, v8
                                        ; implicit-def: $vgpr0
	v_mov_b32_e32 v2, v16
.LBB169_11:
	s_and_b32 s6, s57, 3
	s_cmp_eq_u32 s6, 0
	s_cbranch_scc1 .LBB169_14
; %bb.12:
	s_lshl_b32 s2, s56, 3
	s_add_u32 s2, s34, s2
	s_addc_u32 s3, s35, 0
	s_add_u32 s2, s2, 0xc4
	s_addc_u32 s3, s3, 0
	s_mul_i32 s4, s56, 12
	s_add_u32 s4, s34, s4
	s_addc_u32 s5, s35, 0
.LBB169_13:                             ; =>This Inner Loop Header: Depth=1
	s_load_dwordx2 s[8:9], s[4:5], 0x4
	s_load_dword s7, s[4:5], 0xc
	s_load_dwordx2 s[10:11], s[2:3], 0x0
	v_mov_b32_e32 v0, v1
	s_add_u32 s4, s4, 12
	s_waitcnt lgkmcnt(0)
	v_mul_hi_u32 v1, s9, v2
	v_add_u32_e32 v1, v2, v1
	v_lshrrev_b32_e32 v1, s7, v1
	s_addc_u32 s5, s5, 0
	v_mul_lo_u32 v3, v1, s8
	s_add_u32 s2, s2, 8
	v_sub_u32_e32 v3, v2, v3
	s_addc_u32 s3, s3, 0
	s_add_i32 s6, s6, -1
	v_mov_b32_e32 v2, v1
	v_mad_u64_u32 v[0:1], s[8:9], v3, s11, v[0:1]
	s_cmp_lg_u32 s6, 0
	v_mad_u64_u32 v[8:9], s[8:9], v3, s10, v[8:9]
	v_mov_b32_e32 v1, v0
	s_cbranch_scc1 .LBB169_13
.LBB169_14:
	s_cbranch_execnz .LBB169_17
.LBB169_15:
	s_waitcnt lgkmcnt(0)
	v_mul_hi_u32 v0, s29, v16
	v_add_u32_e32 v0, v16, v0
	v_lshrrev_b32_e32 v1, s30, v0
	v_mul_lo_u32 v0, v1, s28
	v_sub_u32_e32 v2, v16, v0
	v_mul_lo_u32 v0, v2, s25
	s_andn2_b64 vcc, exec, s[48:49]
	v_mul_lo_u32 v8, v2, s24
	s_cbranch_vccnz .LBB169_17
; %bb.16:
	v_mul_hi_u32 v2, s46, v1
	v_add_u32_e32 v2, v1, v2
	v_lshrrev_b32_e32 v2, s47, v2
	v_mul_lo_u32 v2, v2, s31
	v_sub_u32_e32 v1, v1, v2
	v_mad_u64_u32 v[8:9], s[2:3], v1, s26, v[8:9]
	v_mad_u64_u32 v[0:1], s[2:3], v1, s27, v[0:1]
.LBB169_17:
	v_mov_b32_e32 v1, 0
	s_and_b32 s10, 0xffff, s74
	s_cmp_lt_i32 s10, 11
	s_waitcnt lgkmcnt(0)
	v_lshl_add_u64 v[4:5], s[22:23], 0, v[0:1]
	s_cbranch_scc1 .LBB169_24
; %bb.18:
	s_cmp_gt_i32 s10, 25
	s_cbranch_scc0 .LBB169_38
; %bb.19:
	s_cmp_gt_i32 s10, 28
	s_cbranch_scc0 .LBB169_39
	;; [unrolled: 3-line block ×4, first 2 shown]
; %bb.22:
	s_cmp_eq_u32 s10, 46
	s_mov_b64 s[4:5], 0
	s_cbranch_scc0 .LBB169_80
; %bb.23:
	global_load_dword v0, v[4:5], off
	s_mov_b64 s[2:3], -1
	s_mov_b64 s[6:7], 0
	s_waitcnt vmcnt(0)
	v_and_b32_e32 v2, 0xffff0000, v0
	v_lshlrev_b32_e32 v0, 16, v0
	v_cvt_f64_f32_e32 v[0:1], v0
	v_cvt_f64_f32_e32 v[2:3], v2
	s_branch .LBB169_82
.LBB169_24:
	s_mov_b64 s[6:7], 0
                                        ; implicit-def: $vgpr2_vgpr3
	s_mov_b64 s[2:3], 0
	s_cbranch_execnz .LBB169_257
.LBB169_25:
	s_andn2_b64 vcc, exec, s[2:3]
	s_cbranch_vccnz .LBB169_306
.LBB169_26:
	s_waitcnt vmcnt(0)
	v_cmp_neq_f64_e32 vcc, 0, v[0:1]
	v_cmp_neq_f64_e64 s[2:3], 0, v[2:3]
	v_mov_b64_e32 v[10:11], 0
	s_or_b64 s[2:3], vcc, s[2:3]
	s_and_saveexec_b64 s[8:9], s[2:3]
	s_cbranch_execz .LBB169_60
; %bb.27:
	v_mov_b32_e32 v10, 0
	v_mov_b32_e32 v11, 0x7ff00000
	v_cmp_neq_f64_e64 s[2:3], |v[2:3]|, v[10:11]
	s_and_saveexec_b64 s[10:11], s[2:3]
	s_cbranch_execz .LBB169_59
; %bb.28:
	v_cmp_o_f64_e32 vcc, v[0:1], v[0:1]
                                        ; implicit-def: $vgpr10_vgpr11
	s_and_saveexec_b64 s[2:3], vcc
	s_xor_b64 s[12:13], exec, s[2:3]
	s_cbranch_execz .LBB169_56
; %bb.29:
	s_mov_b32 s2, 0
	s_mov_b32 s3, 0x7ff00000
	v_cmp_neq_f64_e64 s[2:3], |v[0:1]|, s[2:3]
                                        ; implicit-def: $vgpr10_vgpr11
	s_and_saveexec_b64 s[4:5], s[2:3]
	s_xor_b64 s[14:15], exec, s[4:5]
	s_cbranch_execz .LBB169_49
; %bb.30:
	v_max_f64 v[4:5], |v[2:3]|, |v[2:3]|
	v_max_f64 v[6:7], |v[0:1]|, |v[0:1]|
	s_mov_b32 s2, 0x99fcef32
	v_max_f64 v[4:5], v[6:7], v[4:5]
	s_mov_b32 s3, 0x7fda8279
	v_cmp_nle_f64_e64 s[2:3], s[2:3], v[4:5]
                                        ; implicit-def: $sgpr16_sgpr17
	s_and_saveexec_b64 s[4:5], s[2:3]
	s_xor_b64 s[4:5], exec, s[4:5]
	s_cbranch_execz .LBB169_34
; %bb.31:
	s_mov_b32 s16, 0
	s_mov_b32 s17, 0x200000
	v_cmp_le_f64_e64 s[18:19], |v[0:1]|, s[16:17]
	v_cmp_le_f64_e64 s[16:17], |v[2:3]|, s[16:17]
	s_and_b64 s[36:37], s[18:19], s[16:17]
	s_mov_b64 s[16:17], 0
	s_and_saveexec_b64 s[18:19], s[36:37]
; %bb.32:
	s_mov_b64 s[16:17], exec
	v_mul_f64 v[2:3], v[2:3], 4.0
	v_mul_f64 v[0:1], v[0:1], 4.0
; %bb.33:
	s_or_b64 exec, exec, s[18:19]
.LBB169_34:
	s_andn2_saveexec_b64 s[4:5], s[4:5]
; %bb.35:
	v_ldexp_f64 v[0:1], v[0:1], -2
	v_ldexp_f64 v[2:3], v[2:3], -2
	s_andn2_b64 s[16:17], s[16:17], exec
; %bb.36:
	s_or_b64 exec, exec, s[4:5]
	v_max_f64 v[4:5], |v[2:3]|, |v[2:3]|
	v_max_f64 v[6:7], |v[0:1]|, |v[0:1]|
	v_max_f64 v[4:5], v[6:7], v[4:5]
	v_frexp_exp_i32_f64_e32 v9, v[4:5]
	v_sub_u32_e32 v6, 0, v9
	v_ldexp_f64 v[4:5], |v[0:1]|, v6
	v_ldexp_f64 v[6:7], |v[2:3]|, v6
	v_mul_f64 v[6:7], v[6:7], v[6:7]
	v_fmac_f64_e32 v[6:7], v[4:5], v[4:5]
	v_rsq_f64_e32 v[4:5], v[6:7]
	v_cmp_eq_f64_e64 s[4:5], 0, v[6:7]
	s_movk_i32 s18, 0x204
	v_cmp_le_f64_e32 vcc, 0, v[0:1]
	v_mul_f64 v[10:11], v[6:7], v[4:5]
	v_mul_f64 v[4:5], v[4:5], 0.5
	v_fma_f64 v[12:13], -v[4:5], v[10:11], 0.5
	v_fmac_f64_e32 v[10:11], v[10:11], v[12:13]
	v_fmac_f64_e32 v[4:5], v[4:5], v[12:13]
	v_fma_f64 v[12:13], -v[10:11], v[10:11], v[6:7]
	v_fmac_f64_e32 v[10:11], v[12:13], v[4:5]
	v_cndmask_b32_e64 v5, v11, v7, s[4:5]
	v_cndmask_b32_e64 v4, v10, v6, s[4:5]
	v_ldexp_f64 v[4:5], v[4:5], v9
	v_cmp_o_f64_e64 s[4:5], v[2:3], v[2:3]
	v_mov_b32_e32 v6, 0x7ff80000
	s_nop 0
	v_cndmask_b32_e64 v4, 0, v4, s[4:5]
	v_cndmask_b32_e64 v5, v6, v5, s[4:5]
	v_cmp_class_f64_e64 s[4:5], v[0:1], s18
	v_cmp_class_f64_e64 s[18:19], v[2:3], s18
	v_mov_b32_e32 v6, 0x7ff00000
	s_or_b64 s[4:5], s[18:19], s[4:5]
	v_cndmask_b32_e64 v11, v5, v6, s[4:5]
	v_cndmask_b32_e64 v10, v4, 0, s[4:5]
                                        ; implicit-def: $vgpr4_vgpr5
                                        ; implicit-def: $vgpr6_vgpr7
	s_and_saveexec_b64 s[4:5], vcc
	s_xor_b64 s[4:5], exec, s[4:5]
	s_cbranch_execz .LBB169_42
; %bb.37:
	v_add_f64 v[0:1], v[0:1], v[10:11]
	s_mov_b32 s18, 0
	v_mul_f64 v[0:1], v[0:1], 0.5
	s_brev_b32 s19, 8
	v_mov_b32_e32 v4, 0x100
	v_cmp_gt_f64_e32 vcc, s[18:19], v[0:1]
	s_nop 1
	v_cndmask_b32_e32 v4, 0, v4, vcc
	v_ldexp_f64 v[0:1], v[0:1], v4
	v_rsq_f64_e32 v[4:5], v[0:1]
	s_nop 0
	v_mul_f64 v[6:7], v[0:1], v[4:5]
	v_mul_f64 v[4:5], v[4:5], 0.5
	v_fma_f64 v[10:11], -v[4:5], v[6:7], 0.5
	v_fmac_f64_e32 v[6:7], v[6:7], v[10:11]
	v_fma_f64 v[12:13], -v[6:7], v[6:7], v[0:1]
	v_fmac_f64_e32 v[4:5], v[4:5], v[10:11]
	v_fmac_f64_e32 v[6:7], v[12:13], v[4:5]
	v_fma_f64 v[10:11], -v[6:7], v[6:7], v[0:1]
	v_fmac_f64_e32 v[6:7], v[10:11], v[4:5]
	v_mov_b32_e32 v4, 0xffffff80
	v_cndmask_b32_e32 v4, 0, v4, vcc
	v_ldexp_f64 v[4:5], v[6:7], v4
	v_mov_b32_e32 v6, 0x260
	v_cmp_class_f64_e32 vcc, v[0:1], v6
	s_nop 1
	v_cndmask_b32_e32 v7, v5, v1, vcc
	v_cndmask_b32_e32 v6, v4, v0, vcc
	v_add_f64 v[0:1], v[6:7], v[6:7]
	v_div_scale_f64 v[4:5], s[18:19], v[0:1], v[0:1], v[2:3]
	v_rcp_f64_e32 v[10:11], v[4:5]
	s_nop 0
	v_fma_f64 v[12:13], -v[4:5], v[10:11], 1.0
	v_fmac_f64_e32 v[10:11], v[10:11], v[12:13]
	v_fma_f64 v[12:13], -v[4:5], v[10:11], 1.0
	v_fmac_f64_e32 v[10:11], v[10:11], v[12:13]
	v_div_scale_f64 v[12:13], vcc, v[2:3], v[0:1], v[2:3]
	v_mul_f64 v[14:15], v[12:13], v[10:11]
	v_fma_f64 v[4:5], -v[4:5], v[14:15], v[12:13]
	s_nop 1
	v_div_fmas_f64 v[4:5], v[4:5], v[10:11], v[14:15]
	v_div_fixup_f64 v[4:5], v[4:5], v[0:1], v[2:3]
                                        ; implicit-def: $vgpr10_vgpr11
                                        ; implicit-def: $vgpr0_vgpr1
	s_andn2_saveexec_b64 s[4:5], s[4:5]
	s_cbranch_execz .LBB169_44
	s_branch .LBB169_43
.LBB169_38:
	s_mov_b64 s[6:7], 0
	s_mov_b64 s[2:3], 0
                                        ; implicit-def: $vgpr2_vgpr3
	s_cbranch_execnz .LBB169_224
	s_branch .LBB169_256
.LBB169_39:
	s_mov_b64 s[4:5], -1
	s_mov_b64 s[6:7], 0
	s_mov_b64 s[2:3], 0
                                        ; implicit-def: $vgpr2_vgpr3
	s_branch .LBB169_203
.LBB169_40:
	s_mov_b64 s[4:5], -1
	s_mov_b64 s[6:7], 0
	s_mov_b64 s[2:3], 0
                                        ; implicit-def: $vgpr2_vgpr3
	s_branch .LBB169_197
.LBB169_41:
	s_mov_b64 s[4:5], -1
	s_mov_b64 s[6:7], 0
	s_branch .LBB169_81
.LBB169_42:
	s_andn2_saveexec_b64 s[4:5], s[4:5]
	s_cbranch_execz .LBB169_44
.LBB169_43:
	v_add_f64 v[0:1], v[10:11], -v[0:1]
	s_mov_b32 s18, 0
	v_mul_f64 v[0:1], v[0:1], 0.5
	s_brev_b32 s19, 8
	v_mov_b32_e32 v4, 0x100
	v_cmp_gt_f64_e32 vcc, s[18:19], v[0:1]
	s_nop 1
	v_cndmask_b32_e32 v4, 0, v4, vcc
	v_ldexp_f64 v[0:1], v[0:1], v4
	v_rsq_f64_e32 v[4:5], v[0:1]
	s_nop 0
	v_mul_f64 v[6:7], v[0:1], v[4:5]
	v_mul_f64 v[4:5], v[4:5], 0.5
	v_fma_f64 v[10:11], -v[4:5], v[6:7], 0.5
	v_fmac_f64_e32 v[6:7], v[6:7], v[10:11]
	v_fma_f64 v[12:13], -v[6:7], v[6:7], v[0:1]
	v_fmac_f64_e32 v[4:5], v[4:5], v[10:11]
	v_fmac_f64_e32 v[6:7], v[12:13], v[4:5]
	v_fma_f64 v[10:11], -v[6:7], v[6:7], v[0:1]
	v_fmac_f64_e32 v[6:7], v[10:11], v[4:5]
	v_mov_b32_e32 v4, 0xffffff80
	v_cndmask_b32_e32 v4, 0, v4, vcc
	v_ldexp_f64 v[4:5], v[6:7], v4
	v_mov_b32_e32 v6, 0x260
	v_cmp_class_f64_e32 vcc, v[0:1], v6
	v_and_b32_e32 v7, 0x7fffffff, v3
	v_mov_b32_e32 v6, v2
	v_cndmask_b32_e32 v5, v5, v1, vcc
	v_cndmask_b32_e32 v4, v4, v0, vcc
	v_add_f64 v[0:1], v[4:5], v[4:5]
	v_div_scale_f64 v[10:11], s[18:19], v[0:1], v[0:1], v[6:7]
	v_rcp_f64_e32 v[12:13], v[10:11]
	v_div_scale_f64 v[6:7], vcc, v[6:7], v[0:1], v[6:7]
	s_brev_b32 s18, -2
	v_fma_f64 v[14:15], -v[10:11], v[12:13], 1.0
	v_fmac_f64_e32 v[12:13], v[12:13], v[14:15]
	v_fma_f64 v[14:15], -v[10:11], v[12:13], 1.0
	v_fmac_f64_e32 v[12:13], v[12:13], v[14:15]
	v_mul_f64 v[14:15], v[6:7], v[12:13]
	v_fma_f64 v[6:7], -v[10:11], v[14:15], v[6:7]
	v_div_fmas_f64 v[6:7], v[6:7], v[12:13], v[14:15]
	v_div_fixup_f64 v[6:7], v[6:7], v[0:1], |v[2:3]|
	v_bfi_b32 v5, s18, v5, v3
.LBB169_44:
	s_or_b64 exec, exec, s[4:5]
                                        ; implicit-def: $vgpr2_vgpr3
                                        ; implicit-def: $vgpr10_vgpr11
	s_and_saveexec_b64 s[4:5], s[2:3]
	s_xor_b64 s[2:3], exec, s[4:5]
	s_cbranch_execz .LBB169_46
; %bb.45:
	v_mul_f64 v[0:1], v[6:7], 0.5
	v_mul_f64 v[2:3], v[4:5], 0.5
	v_cndmask_b32_e64 v11, v7, v1, s[16:17]
	v_cndmask_b32_e64 v10, v6, v0, s[16:17]
	;; [unrolled: 1-line block ×4, first 2 shown]
                                        ; implicit-def: $vgpr6_vgpr7
                                        ; implicit-def: $vgpr4_vgpr5
	s_andn2_saveexec_b64 s[2:3], s[2:3]
	s_cbranch_execnz .LBB169_47
	s_branch .LBB169_48
.LBB169_46:
	s_andn2_saveexec_b64 s[2:3], s[2:3]
.LBB169_47:
	v_add_f64 v[10:11], v[6:7], v[6:7]
	v_add_f64 v[2:3], v[4:5], v[4:5]
.LBB169_48:
	s_or_b64 exec, exec, s[2:3]
.LBB169_49:
	s_andn2_saveexec_b64 s[2:3], s[14:15]
	s_cbranch_execz .LBB169_55
; %bb.50:
	v_add_f64 v[4:5], v[2:3], -v[2:3]
	v_cmp_lt_i64_e32 vcc, -1, v[0:1]
	s_brev_b32 s14, -2
	v_and_b32_e32 v11, 0x7fffffff, v5
	v_mov_b32_e32 v10, v4
	s_and_saveexec_b64 s[4:5], vcc
	s_xor_b64 s[4:5], exec, s[4:5]
; %bb.51:
	v_bfi_b32 v5, s14, v5, v3
	v_mov_b64_e32 v[2:3], v[4:5]
	v_mov_b64_e32 v[10:11], v[0:1]
; %bb.52:
	s_andn2_saveexec_b64 s[4:5], s[4:5]
; %bb.53:
	v_bfi_b32 v1, s14, v1, v3
	v_mov_b64_e32 v[2:3], v[0:1]
; %bb.54:
	s_or_b64 exec, exec, s[4:5]
.LBB169_55:
	s_or_b64 exec, exec, s[2:3]
.LBB169_56:
	s_andn2_saveexec_b64 s[2:3], s[12:13]
	s_cbranch_execz .LBB169_58
; %bb.57:
	v_add_f64 v[2:3], v[2:3], -v[2:3]
	v_div_scale_f64 v[4:5], vcc, v[2:3], v[2:3], v[2:3]
	v_rcp_f64_e32 v[6:7], v[4:5]
	s_nop 0
	v_fma_f64 v[10:11], -v[4:5], v[6:7], 1.0
	v_fmac_f64_e32 v[6:7], v[6:7], v[10:11]
	v_fma_f64 v[10:11], -v[4:5], v[6:7], 1.0
	v_fmac_f64_e32 v[6:7], v[6:7], v[10:11]
	v_mul_f64 v[10:11], v[4:5], v[6:7]
	v_fma_f64 v[4:5], -v[4:5], v[10:11], v[4:5]
	v_div_fmas_f64 v[4:5], v[4:5], v[6:7], v[10:11]
	v_div_fixup_f64 v[2:3], v[4:5], v[2:3], v[2:3]
	v_mov_b64_e32 v[10:11], v[0:1]
.LBB169_58:
	s_or_b64 exec, exec, s[2:3]
.LBB169_59:
	s_or_b64 exec, exec, s[10:11]
.LBB169_60:
	s_or_b64 exec, exec, s[8:9]
	v_xor_b32_e32 v0, 0x80000000, v11
	v_cmp_gt_f64_e32 vcc, 0, v[10:11]
	v_mov_b32_e32 v12, v10
                                        ; implicit-def: $vgpr6_vgpr7
	s_nop 0
	v_cndmask_b32_e32 v13, v11, v0, vcc
	v_xor_b32_e32 v0, 0x80000000, v3
	v_cmp_gt_f64_e32 vcc, 0, v[2:3]
	s_nop 1
	v_cndmask_b32_e32 v1, v3, v0, vcc
	v_mov_b32_e32 v0, v2
	v_cmp_ge_f64_e32 vcc, v[12:13], v[0:1]
	s_and_saveexec_b64 s[2:3], vcc
	s_xor_b64 s[4:5], exec, s[2:3]
	s_cbranch_execz .LBB169_66
; %bb.61:
	v_cmp_neq_f64_e32 vcc, 0, v[10:11]
	v_cmp_neq_f64_e64 s[2:3], 0, v[2:3]
	s_or_b64 s[2:3], vcc, s[2:3]
                                        ; implicit-def: $vgpr6_vgpr7
	s_and_saveexec_b64 s[8:9], s[2:3]
	s_xor_b64 s[2:3], exec, s[8:9]
	s_cbranch_execz .LBB169_63
; %bb.62:
	v_div_scale_f64 v[0:1], s[8:9], v[10:11], v[10:11], v[2:3]
	v_rcp_f64_e32 v[4:5], v[0:1]
	v_div_scale_f64 v[6:7], vcc, v[2:3], v[10:11], v[2:3]
	v_fma_f64 v[12:13], -v[0:1], v[4:5], 1.0
	v_fmac_f64_e32 v[4:5], v[4:5], v[12:13]
	v_fma_f64 v[12:13], -v[0:1], v[4:5], 1.0
	v_fmac_f64_e32 v[4:5], v[4:5], v[12:13]
	v_mul_f64 v[12:13], v[6:7], v[4:5]
	v_fma_f64 v[0:1], -v[0:1], v[12:13], v[6:7]
	v_div_fmas_f64 v[0:1], v[0:1], v[4:5], v[12:13]
	v_div_fixup_f64 v[0:1], v[0:1], v[10:11], v[2:3]
	v_fmac_f64_e32 v[10:11], v[2:3], v[0:1]
	v_div_scale_f64 v[2:3], s[8:9], v[10:11], v[10:11], 1.0
	v_rcp_f64_e32 v[4:5], v[2:3]
	s_nop 0
	v_fma_f64 v[6:7], -v[2:3], v[4:5], 1.0
	v_fmac_f64_e32 v[4:5], v[4:5], v[6:7]
	v_fma_f64 v[6:7], -v[2:3], v[4:5], 1.0
	v_fmac_f64_e32 v[4:5], v[4:5], v[6:7]
	v_div_scale_f64 v[6:7], vcc, 1.0, v[10:11], 1.0
	v_mul_f64 v[12:13], v[6:7], v[4:5]
	v_fma_f64 v[2:3], -v[2:3], v[12:13], v[6:7]
	s_nop 1
	v_div_fmas_f64 v[2:3], v[2:3], v[4:5], v[12:13]
	v_div_fixup_f64 v[2:3], v[2:3], v[10:11], 1.0
	v_fma_f64 v[4:5], v[0:1], 0, 1.0
	v_add_f64 v[0:1], -v[0:1], 0
	v_mul_f64 v[4:5], v[4:5], v[2:3]
	v_mul_f64 v[6:7], v[0:1], v[2:3]
                                        ; implicit-def: $vgpr12_vgpr13
                                        ; implicit-def: $vgpr0_vgpr1
.LBB169_63:
	s_andn2_saveexec_b64 s[2:3], s[2:3]
	s_cbranch_execz .LBB169_65
; %bb.64:
	v_div_scale_f64 v[2:3], s[8:9], v[12:13], v[12:13], 1.0
	v_rcp_f64_e32 v[4:5], v[2:3]
	v_div_scale_f64 v[6:7], vcc, 1.0, v[12:13], 1.0
	v_fma_f64 v[10:11], -v[2:3], v[4:5], 1.0
	v_fmac_f64_e32 v[4:5], v[4:5], v[10:11]
	v_fma_f64 v[10:11], -v[2:3], v[4:5], 1.0
	v_fmac_f64_e32 v[4:5], v[4:5], v[10:11]
	v_mul_f64 v[10:11], v[6:7], v[4:5]
	v_fma_f64 v[2:3], -v[2:3], v[10:11], v[6:7]
	v_div_scale_f64 v[6:7], s[8:9], v[0:1], v[0:1], 0
	v_rcp_f64_e32 v[14:15], v[6:7]
	v_div_fmas_f64 v[2:3], v[2:3], v[4:5], v[10:11]
	v_div_fixup_f64 v[4:5], v[2:3], v[12:13], 1.0
	v_fma_f64 v[2:3], -v[6:7], v[14:15], 1.0
	v_fmac_f64_e32 v[14:15], v[14:15], v[2:3]
	v_fma_f64 v[2:3], -v[6:7], v[14:15], 1.0
	v_fmac_f64_e32 v[14:15], v[14:15], v[2:3]
	v_div_scale_f64 v[2:3], vcc, 0, v[0:1], 0
	v_mul_f64 v[10:11], v[2:3], v[14:15]
	v_fma_f64 v[2:3], -v[6:7], v[10:11], v[2:3]
	s_nop 1
	v_div_fmas_f64 v[2:3], v[2:3], v[14:15], v[10:11]
	v_div_fixup_f64 v[6:7], v[2:3], v[0:1], 0
.LBB169_65:
	s_or_b64 exec, exec, s[2:3]
                                        ; implicit-def: $vgpr2_vgpr3
                                        ; implicit-def: $vgpr10_vgpr11
.LBB169_66:
	s_andn2_saveexec_b64 s[2:3], s[4:5]
	s_cbranch_execz .LBB169_68
; %bb.67:
	v_div_scale_f64 v[0:1], s[4:5], v[2:3], v[2:3], v[10:11]
	v_rcp_f64_e32 v[4:5], v[0:1]
	v_div_scale_f64 v[6:7], vcc, v[10:11], v[2:3], v[10:11]
	v_fma_f64 v[12:13], -v[0:1], v[4:5], 1.0
	v_fmac_f64_e32 v[4:5], v[4:5], v[12:13]
	v_fma_f64 v[12:13], -v[0:1], v[4:5], 1.0
	v_fmac_f64_e32 v[4:5], v[4:5], v[12:13]
	v_mul_f64 v[12:13], v[6:7], v[4:5]
	v_fma_f64 v[0:1], -v[0:1], v[12:13], v[6:7]
	v_div_fmas_f64 v[0:1], v[0:1], v[4:5], v[12:13]
	v_div_fixup_f64 v[0:1], v[0:1], v[2:3], v[10:11]
	v_fmac_f64_e32 v[2:3], v[10:11], v[0:1]
	v_div_scale_f64 v[4:5], s[4:5], v[2:3], v[2:3], 1.0
	v_rcp_f64_e32 v[6:7], v[4:5]
	s_nop 0
	v_fma_f64 v[10:11], -v[4:5], v[6:7], 1.0
	v_fmac_f64_e32 v[6:7], v[6:7], v[10:11]
	v_fma_f64 v[10:11], -v[4:5], v[6:7], 1.0
	v_fmac_f64_e32 v[6:7], v[6:7], v[10:11]
	v_div_scale_f64 v[10:11], vcc, 1.0, v[2:3], 1.0
	v_mul_f64 v[12:13], v[10:11], v[6:7]
	v_fma_f64 v[4:5], -v[4:5], v[12:13], v[10:11]
	s_nop 1
	v_div_fmas_f64 v[4:5], v[4:5], v[6:7], v[12:13]
	v_div_fixup_f64 v[2:3], v[4:5], v[2:3], 1.0
	v_add_f64 v[4:5], v[0:1], 0
	v_fma_f64 v[0:1], v[0:1], 0, -1.0
	v_mul_f64 v[4:5], v[4:5], v[2:3]
	v_mul_f64 v[6:7], v[0:1], v[2:3]
.LBB169_68:
	s_or_b64 exec, exec, s[2:3]
	v_mov_b32_e32 v9, 0
	s_and_b32 s12, s73, 0xff
	s_cmp_lt_i32 s12, 11
	v_lshl_add_u64 v[0:1], s[20:21], 0, v[8:9]
	s_cbranch_scc1 .LBB169_75
; %bb.69:
	s_and_b32 s13, 0xffff, s12
	s_cmp_gt_i32 s13, 25
	s_cbranch_scc0 .LBB169_77
; %bb.70:
	s_cmp_gt_i32 s13, 28
	s_cbranch_scc0 .LBB169_78
; %bb.71:
	;; [unrolled: 3-line block ×4, first 2 shown]
	s_mov_b64 s[8:9], 0
	s_mov_b64 s[4:5], -1
	s_cmp_eq_u32 s13, 46
	s_mov_b64 s[2:3], 0
	s_cbranch_scc0 .LBB169_86
; %bb.74:
	v_cvt_f32_f64_e32 v3, v[6:7]
	s_movk_i32 s2, 0x7fff
	v_bfe_u32 v9, v3, 16, 1
	v_cvt_f32_f64_e32 v2, v[4:5]
	v_add3_u32 v9, v3, v9, s2
	v_bfe_u32 v8, v2, 16, 1
	v_and_b32_e32 v9, 0xffff0000, v9
	v_mov_b32_e32 v10, 0x7fc00000
	v_cmp_o_f32_e32 vcc, v3, v3
	v_add3_u32 v8, v2, v8, s2
	s_mov_b64 s[2:3], -1
	v_cndmask_b32_e32 v3, v10, v9, vcc
	v_cmp_o_f32_e32 vcc, v2, v2
	v_mov_b32_e32 v2, 0x7fc0
	s_mov_b64 s[4:5], 0
	v_cndmask_b32_sdwa v2, v2, v8, vcc dst_sel:DWORD dst_unused:UNUSED_PAD src0_sel:DWORD src1_sel:WORD_1
	v_or_b32_e32 v2, v3, v2
	global_store_dword v[0:1], v2, off
	s_branch .LBB169_86
.LBB169_75:
	s_mov_b64 s[4:5], 0
	s_mov_b64 s[2:3], 0
	s_cbranch_execnz .LBB169_155
.LBB169_76:
	s_andn2_b64 vcc, exec, s[2:3]
	s_cbranch_vccnz .LBB169_307
	s_branch .LBB169_193
.LBB169_77:
	s_mov_b64 s[8:9], -1
	s_mov_b64 s[4:5], 0
	s_mov_b64 s[2:3], 0
	s_branch .LBB169_113
.LBB169_78:
	s_mov_b64 s[8:9], -1
	s_mov_b64 s[4:5], 0
	s_mov_b64 s[2:3], 0
	s_branch .LBB169_96
.LBB169_79:
	s_mov_b64 s[8:9], -1
	s_mov_b64 s[4:5], 0
	s_mov_b64 s[2:3], 0
	s_branch .LBB169_92
.LBB169_80:
	s_mov_b64 s[6:7], -1
.LBB169_81:
	s_mov_b64 s[2:3], 0
                                        ; implicit-def: $vgpr2_vgpr3
.LBB169_82:
	s_and_b64 vcc, exec, s[4:5]
	s_cbranch_vccz .LBB169_196
; %bb.83:
	s_cmp_eq_u32 s10, 44
	s_cbranch_scc0 .LBB169_194
; %bb.84:
	global_load_ubyte v2, v[4:5], off
	s_movk_i32 s4, 0xff
	v_bfrev_b32_e32 v3, 4
	v_mov_b32_e32 v6, 0x7ff80000
	v_bfrev_b32_e32 v7, 28
	s_mov_b64 s[2:3], -1
	s_mov_b64 s[6:7], 0
	s_waitcnt vmcnt(0)
	v_lshlrev_b32_e32 v0, 23, v2
	v_cvt_f64_f32_e32 v[0:1], v0
	v_cmp_ne_u32_e32 vcc, s4, v2
	s_nop 1
	v_cndmask_b32_e32 v0, v3, v0, vcc
	v_cndmask_b32_e32 v1, v6, v1, vcc
	v_cmp_ne_u32_e32 vcc, 0, v2
	s_nop 1
	v_cndmask_b32_e32 v1, v7, v1, vcc
	v_cndmask_b32_e32 v0, 0, v0, vcc
	s_branch .LBB169_195
.LBB169_85:
	s_mov_b64 s[8:9], -1
	s_mov_b64 s[4:5], 0
	s_mov_b64 s[2:3], 0
.LBB169_86:
	s_and_b64 vcc, exec, s[8:9]
	s_cbranch_vccz .LBB169_91
; %bb.87:
	s_cmp_eq_u32 s13, 44
	s_mov_b64 s[4:5], -1
	s_cbranch_scc0 .LBB169_91
; %bb.88:
	v_cvt_f32_f64_e32 v2, v[4:5]
	v_bfe_u32 v3, v2, 23, 8
	s_movk_i32 s2, 0xff
	v_cmp_ne_u32_e32 vcc, s2, v3
	v_mov_b32_e32 v8, 0xff
	s_and_saveexec_b64 s[4:5], vcc
; %bb.89:
	s_mov_b32 s2, 0x3fffff
	v_lshrrev_b32_e32 v8, 23, v2
	v_and_b32_e32 v9, 0x400000, v2
	v_and_or_b32 v2, v2, s2, v3
	v_cmp_ne_u32_e32 vcc, 0, v9
	v_cmp_ne_u32_e64 s[2:3], 0, v2
	s_and_b64 s[2:3], vcc, s[2:3]
	s_nop 0
	v_cndmask_b32_e64 v2, 0, 1, s[2:3]
	v_add_u32_e32 v8, v8, v2
; %bb.90:
	s_or_b64 exec, exec, s[4:5]
	s_mov_b64 s[2:3], -1
	s_mov_b64 s[4:5], 0
	global_store_byte v[0:1], v8, off
.LBB169_91:
	s_mov_b64 s[8:9], 0
.LBB169_92:
	s_and_b64 vcc, exec, s[8:9]
	s_cbranch_vccz .LBB169_95
; %bb.93:
	s_cmp_eq_u32 s13, 29
	s_mov_b64 s[4:5], -1
	s_cbranch_scc0 .LBB169_95
; %bb.94:
	v_trunc_f64_e32 v[2:3], v[4:5]
	s_movk_i32 s2, 0xffe0
	v_ldexp_f64 v[8:9], v[2:3], s2
	v_floor_f64_e32 v[8:9], v[8:9]
	v_fmac_f64_e32 v[2:3], 0xc1f00000, v[8:9]
	v_cvt_u32_f64_e32 v11, v[8:9]
	v_cvt_u32_f64_e32 v10, v[2:3]
	global_store_dwordx2 v[0:1], v[10:11], off
	s_mov_b64 s[2:3], -1
	s_mov_b64 s[4:5], 0
.LBB169_95:
	s_mov_b64 s[8:9], 0
.LBB169_96:
	s_and_b64 vcc, exec, s[8:9]
	s_cbranch_vccz .LBB169_112
; %bb.97:
	s_cmp_lt_i32 s13, 27
	s_mov_b64 s[2:3], -1
	s_cbranch_scc1 .LBB169_103
; %bb.98:
	s_cmp_gt_i32 s13, 27
	v_cvt_u32_f64_e32 v2, v[4:5]
	s_cbranch_scc0 .LBB169_100
; %bb.99:
	s_mov_b64 s[2:3], 0
	global_store_dword v[0:1], v2, off
.LBB169_100:
	s_andn2_b64 vcc, exec, s[2:3]
	s_cbranch_vccnz .LBB169_102
; %bb.101:
	global_store_short v[0:1], v2, off
.LBB169_102:
	s_mov_b64 s[2:3], 0
.LBB169_103:
	s_andn2_b64 vcc, exec, s[2:3]
	s_cbranch_vccnz .LBB169_111
; %bb.104:
	v_cvt_f32_f64_e32 v2, v[4:5]
	v_and_b32_e32 v3, 0x7fffffff, v2
	s_mov_b32 s2, 0x43800000
	v_cmp_gt_u32_e32 vcc, s2, v3
	v_mov_b32_e32 v8, 0x80
	s_and_saveexec_b64 s[2:3], vcc
	s_cbranch_execz .LBB169_110
; %bb.105:
	s_mov_b32 s8, 0x3bffffff
	v_cmp_lt_u32_e32 vcc, s8, v3
	s_mov_b64 s[8:9], 0
                                        ; implicit-def: $vgpr3
	s_and_saveexec_b64 s[10:11], vcc
	s_xor_b64 s[10:11], exec, s[10:11]
	s_cbranch_execz .LBB169_353
; %bb.106:
	v_bfe_u32 v3, v2, 20, 1
	s_mov_b32 s14, 0x487ffff
	v_add3_u32 v3, v2, v3, s14
	s_mov_b64 s[8:9], exec
	v_lshrrev_b32_e32 v3, 20, v3
	s_andn2_saveexec_b64 s[10:11], s[10:11]
	s_cbranch_execnz .LBB169_354
.LBB169_107:
	s_or_b64 exec, exec, s[10:11]
	v_mov_b32_e32 v8, 0
	s_and_saveexec_b64 s[10:11], s[8:9]
.LBB169_108:
	v_lshrrev_b32_e32 v2, 24, v2
	s_movk_i32 s8, 0x80
	v_and_or_b32 v8, v2, s8, v3
.LBB169_109:
	s_or_b64 exec, exec, s[10:11]
.LBB169_110:
	s_or_b64 exec, exec, s[2:3]
	global_store_byte v[0:1], v8, off
.LBB169_111:
	s_mov_b64 s[2:3], -1
.LBB169_112:
	s_mov_b64 s[8:9], 0
.LBB169_113:
	s_and_b64 vcc, exec, s[8:9]
	s_cbranch_vccz .LBB169_154
; %bb.114:
	s_cmp_gt_i32 s13, 22
	s_mov_b64 s[8:9], -1
	s_cbranch_scc0 .LBB169_146
; %bb.115:
	s_cmp_lt_i32 s13, 24
	s_mov_b64 s[2:3], -1
	s_cbranch_scc1 .LBB169_135
; %bb.116:
	s_cmp_gt_i32 s13, 24
	s_cbranch_scc0 .LBB169_124
; %bb.117:
	v_cvt_f32_f64_e32 v2, v[4:5]
	v_and_b32_e32 v3, 0x7fffffff, v2
	s_mov_b32 s2, 0x47800000
	v_cmp_gt_u32_e32 vcc, s2, v3
	v_mov_b32_e32 v8, 0x80
	s_and_saveexec_b64 s[2:3], vcc
	s_cbranch_execz .LBB169_123
; %bb.118:
	s_mov_b32 s8, 0x37ffffff
	v_cmp_lt_u32_e32 vcc, s8, v3
	s_mov_b64 s[8:9], 0
                                        ; implicit-def: $vgpr3
	s_and_saveexec_b64 s[10:11], vcc
	s_xor_b64 s[10:11], exec, s[10:11]
	s_cbranch_execz .LBB169_393
; %bb.119:
	v_bfe_u32 v3, v2, 21, 1
	s_mov_b32 s14, 0x88fffff
	v_add3_u32 v3, v2, v3, s14
	s_mov_b64 s[8:9], exec
	v_lshrrev_b32_e32 v3, 21, v3
	s_andn2_saveexec_b64 s[10:11], s[10:11]
	s_cbranch_execnz .LBB169_394
.LBB169_120:
	s_or_b64 exec, exec, s[10:11]
	v_mov_b32_e32 v8, 0
	s_and_saveexec_b64 s[10:11], s[8:9]
.LBB169_121:
	v_lshrrev_b32_e32 v2, 24, v2
	s_movk_i32 s8, 0x80
	v_and_or_b32 v8, v2, s8, v3
.LBB169_122:
	s_or_b64 exec, exec, s[10:11]
.LBB169_123:
	s_or_b64 exec, exec, s[2:3]
	s_mov_b64 s[2:3], 0
	global_store_byte v[0:1], v8, off
.LBB169_124:
	s_and_b64 vcc, exec, s[2:3]
	s_cbranch_vccz .LBB169_134
; %bb.125:
	v_cvt_f32_f64_e32 v2, v[4:5]
	v_and_b32_e32 v8, 0x7fffffff, v2
	s_mov_b32 s2, 0x43f00000
	v_cmp_gt_u32_e32 vcc, s2, v8
                                        ; implicit-def: $vgpr3
	s_and_saveexec_b64 s[2:3], vcc
	s_xor_b64 s[2:3], exec, s[2:3]
	s_cbranch_execz .LBB169_131
; %bb.126:
	s_mov_b32 s8, 0x3c7fffff
	v_cmp_lt_u32_e32 vcc, s8, v8
                                        ; implicit-def: $vgpr3
	s_and_saveexec_b64 s[8:9], vcc
	s_xor_b64 s[8:9], exec, s[8:9]
; %bb.127:
	v_bfe_u32 v3, v2, 20, 1
	s_mov_b32 s10, 0x407ffff
	v_add3_u32 v3, v2, v3, s10
	v_lshrrev_b32_e32 v8, 20, v3
	v_and_b32_e32 v3, 0xff00000, v3
	s_mov_b32 s10, 0x7f00000
	v_mov_b32_e32 v9, 0x7e
	v_cmp_ne_u32_e32 vcc, s10, v3
	s_nop 1
	v_cndmask_b32_e32 v3, v9, v8, vcc
; %bb.128:
	s_andn2_saveexec_b64 s[8:9], s[8:9]
; %bb.129:
	s_mov_b32 s10, 0x46800000
	v_add_f32_e64 v3, |v2|, s10
; %bb.130:
	s_or_b64 exec, exec, s[8:9]
                                        ; implicit-def: $vgpr8
.LBB169_131:
	s_andn2_saveexec_b64 s[2:3], s[2:3]
; %bb.132:
	s_mov_b32 s8, 0x7f800000
	v_mov_b32_e32 v3, 0x7e
	v_mov_b32_e32 v9, 0x7f
	v_cmp_lt_u32_e32 vcc, s8, v8
	s_nop 1
	v_cndmask_b32_e32 v3, v3, v9, vcc
; %bb.133:
	s_or_b64 exec, exec, s[2:3]
	v_lshrrev_b32_e32 v2, 24, v2
	s_movk_i32 s2, 0x80
	v_and_or_b32 v2, v2, s2, v3
	global_store_byte v[0:1], v2, off
.LBB169_134:
	s_mov_b64 s[2:3], 0
.LBB169_135:
	s_andn2_b64 vcc, exec, s[2:3]
	s_cbranch_vccnz .LBB169_145
; %bb.136:
	v_cvt_f32_f64_e32 v2, v[4:5]
	v_and_b32_e32 v8, 0x7fffffff, v2
	s_mov_b32 s2, 0x47800000
	v_cmp_gt_u32_e32 vcc, s2, v8
                                        ; implicit-def: $vgpr3
	s_and_saveexec_b64 s[2:3], vcc
	s_xor_b64 s[2:3], exec, s[2:3]
	s_cbranch_execz .LBB169_142
; %bb.137:
	s_mov_b32 s8, 0x387fffff
	v_cmp_lt_u32_e32 vcc, s8, v8
                                        ; implicit-def: $vgpr3
	s_and_saveexec_b64 s[8:9], vcc
	s_xor_b64 s[8:9], exec, s[8:9]
; %bb.138:
	v_bfe_u32 v3, v2, 21, 1
	s_mov_b32 s10, 0x80fffff
	v_add3_u32 v3, v2, v3, s10
	v_lshrrev_b32_e32 v3, 21, v3
; %bb.139:
	s_andn2_saveexec_b64 s[8:9], s[8:9]
; %bb.140:
	s_mov_b32 s10, 0x43000000
	v_add_f32_e64 v3, |v2|, s10
; %bb.141:
	s_or_b64 exec, exec, s[8:9]
                                        ; implicit-def: $vgpr8
.LBB169_142:
	s_andn2_saveexec_b64 s[2:3], s[2:3]
; %bb.143:
	s_mov_b32 s8, 0x7f800000
	v_mov_b32_e32 v3, 0x7c
	v_mov_b32_e32 v9, 0x7f
	v_cmp_lt_u32_e32 vcc, s8, v8
	s_nop 1
	v_cndmask_b32_e32 v3, v3, v9, vcc
; %bb.144:
	s_or_b64 exec, exec, s[2:3]
	v_lshrrev_b32_e32 v2, 24, v2
	s_movk_i32 s2, 0x80
	v_and_or_b32 v2, v2, s2, v3
	global_store_byte v[0:1], v2, off
.LBB169_145:
	s_mov_b64 s[8:9], 0
	s_mov_b64 s[2:3], -1
.LBB169_146:
	s_andn2_b64 vcc, exec, s[8:9]
	s_cbranch_vccnz .LBB169_154
; %bb.147:
	s_cmp_gt_i32 s13, 14
	s_mov_b64 s[8:9], -1
	s_cbranch_scc0 .LBB169_151
; %bb.148:
	s_cmp_eq_u32 s13, 15
	s_mov_b64 s[4:5], -1
	s_cbranch_scc0 .LBB169_150
; %bb.149:
	v_cvt_f32_f64_e32 v2, v[4:5]
	v_bfe_u32 v3, v2, 16, 1
	s_movk_i32 s2, 0x7fff
	v_add3_u32 v3, v2, v3, s2
	v_cmp_o_f32_e32 vcc, v2, v2
	v_mov_b32_e32 v2, 0x7fc0
	s_mov_b64 s[2:3], -1
	v_cndmask_b32_sdwa v2, v2, v3, vcc dst_sel:DWORD dst_unused:UNUSED_PAD src0_sel:DWORD src1_sel:WORD_1
	global_store_short v[0:1], v2, off
	s_mov_b64 s[4:5], 0
.LBB169_150:
	s_mov_b64 s[8:9], 0
.LBB169_151:
	s_and_b64 vcc, exec, s[8:9]
	s_cbranch_vccz .LBB169_154
; %bb.152:
	s_cmp_eq_u32 s13, 11
	s_mov_b64 s[4:5], -1
	s_cbranch_scc0 .LBB169_154
; %bb.153:
	v_cmp_neq_f64_e32 vcc, 0, v[4:5]
	v_cmp_neq_f64_e64 s[2:3], 0, v[6:7]
	s_or_b64 s[2:3], vcc, s[2:3]
	s_mov_b64 s[4:5], 0
	v_cndmask_b32_e64 v2, 0, 1, s[2:3]
	s_mov_b64 s[2:3], -1
	global_store_byte v[0:1], v2, off
.LBB169_154:
	s_branch .LBB169_76
.LBB169_155:
	s_and_b32 s8, 0xffff, s12
	s_cmp_lt_i32 s8, 5
	s_mov_b64 s[2:3], -1
	s_cbranch_scc1 .LBB169_176
; %bb.156:
	s_cmp_lt_i32 s8, 8
	s_cbranch_scc1 .LBB169_166
; %bb.157:
	s_cmp_lt_i32 s8, 9
	s_cbranch_scc1 .LBB169_163
; %bb.158:
	s_cmp_gt_i32 s8, 9
	s_cbranch_scc0 .LBB169_160
; %bb.159:
	global_store_dwordx4 v[0:1], v[4:7], off
	s_mov_b64 s[2:3], 0
.LBB169_160:
	s_andn2_b64 vcc, exec, s[2:3]
	s_cbranch_vccnz .LBB169_162
; %bb.161:
	v_cvt_f32_f64_e32 v2, v[4:5]
	v_cvt_f32_f64_e32 v3, v[6:7]
	global_store_dwordx2 v[0:1], v[2:3], off
.LBB169_162:
	s_mov_b64 s[2:3], 0
.LBB169_163:
	s_andn2_b64 vcc, exec, s[2:3]
	s_cbranch_vccnz .LBB169_165
; %bb.164:
	s_movk_i32 s2, 0x1ff
	v_and_or_b32 v2, v5, s2, v4
	v_cmp_ne_u32_e32 vcc, 0, v2
	v_lshrrev_b32_e32 v3, 8, v5
	s_movk_i32 s3, 0xffe
	v_cndmask_b32_e64 v2, 0, 1, vcc
	v_bfe_u32 v8, v5, 20, 11
	v_and_or_b32 v2, v3, s3, v2
	v_sub_u32_e32 v9, 0x3f1, v8
	v_or_b32_e32 v3, 0x1000, v2
	v_med3_i32 v9, v9, 0, 13
	v_lshrrev_b32_e32 v10, v9, v3
	v_lshlrev_b32_e32 v9, v9, v10
	v_cmp_ne_u32_e32 vcc, v9, v3
	v_add_u32_e32 v8, 0xfffffc10, v8
	v_lshl_or_b32 v9, v8, 12, v2
	v_cndmask_b32_e64 v3, 0, 1, vcc
	v_or_b32_e32 v3, v10, v3
	v_cmp_gt_i32_e32 vcc, 1, v8
	s_movk_i32 s9, 0x40f
	v_and_or_b32 v6, v7, s2, v6
	v_cndmask_b32_e32 v3, v9, v3, vcc
	v_and_b32_e32 v9, 7, v3
	v_cmp_lt_i32_e32 vcc, 5, v9
	v_lshrrev_b32_e32 v3, 2, v3
	v_bfe_u32 v11, v7, 20, 11
	v_cndmask_b32_e64 v10, 0, 1, vcc
	v_cmp_eq_u32_e32 vcc, 3, v9
	v_sub_u32_e32 v12, 0x3f1, v11
	v_med3_i32 v12, v12, 0, 13
	v_cndmask_b32_e64 v9, 0, 1, vcc
	v_or_b32_e32 v9, v9, v10
	v_add_u32_e32 v3, v3, v9
	v_mov_b32_e32 v9, 0x7c00
	v_cmp_gt_i32_e32 vcc, 31, v8
	v_mov_b32_e32 v10, 0x7e00
	v_add_u32_e32 v11, 0xfffffc10, v11
	v_cndmask_b32_e32 v3, v9, v3, vcc
	v_cmp_ne_u32_e32 vcc, 0, v2
	s_mov_b32 s10, 0x8000
	s_mov_b32 s2, 0xffff
	v_cndmask_b32_e32 v2, v9, v10, vcc
	v_cmp_eq_u32_e32 vcc, s9, v8
	v_lshrrev_b32_e32 v8, 8, v7
	v_lshrrev_b32_e32 v7, 16, v7
	v_cndmask_b32_e32 v2, v3, v2, vcc
	v_cmp_ne_u32_e32 vcc, 0, v6
	v_and_b32_sdwa v3, v5, s10 dst_sel:DWORD dst_unused:UNUSED_PAD src0_sel:WORD_1 src1_sel:DWORD
	v_bitop3_b32 v2, v3, s2, v2 bitop3:0xc8
	v_cndmask_b32_e64 v6, 0, 1, vcc
	v_and_or_b32 v6, v8, s3, v6
	v_or_b32_e32 v8, 0x1000, v6
	v_lshrrev_b32_e32 v13, v12, v8
	v_lshlrev_b32_e32 v12, v12, v13
	v_cmp_ne_u32_e32 vcc, v12, v8
	v_lshl_or_b32 v12, v11, 12, v6
	s_nop 0
	v_cndmask_b32_e64 v8, 0, 1, vcc
	v_or_b32_e32 v8, v13, v8
	v_cmp_gt_i32_e32 vcc, 1, v11
	s_nop 1
	v_cndmask_b32_e32 v8, v12, v8, vcc
	v_and_b32_e32 v12, 7, v8
	v_cmp_lt_i32_e32 vcc, 5, v12
	v_lshrrev_b32_e32 v8, 2, v8
	s_nop 0
	v_cndmask_b32_e64 v13, 0, 1, vcc
	v_cmp_eq_u32_e32 vcc, 3, v12
	s_nop 1
	v_cndmask_b32_e64 v12, 0, 1, vcc
	v_or_b32_e32 v12, v12, v13
	v_add_u32_e32 v8, v8, v12
	v_cmp_gt_i32_e32 vcc, 31, v11
	s_nop 1
	v_cndmask_b32_e32 v8, v9, v8, vcc
	v_cmp_ne_u32_e32 vcc, 0, v6
	s_nop 1
	v_cndmask_b32_e32 v6, v9, v10, vcc
	v_cmp_eq_u32_e32 vcc, s9, v11
	s_nop 1
	v_cndmask_b32_e32 v6, v8, v6, vcc
	v_and_or_b32 v6, v7, s10, v6
	v_lshl_or_b32 v2, v6, 16, v2
	global_store_dword v[0:1], v2, off
.LBB169_165:
	s_mov_b64 s[2:3], 0
.LBB169_166:
	s_andn2_b64 vcc, exec, s[2:3]
	s_cbranch_vccnz .LBB169_175
; %bb.167:
	s_cmp_lt_i32 s8, 6
	s_mov_b64 s[2:3], -1
	s_cbranch_scc1 .LBB169_173
; %bb.168:
	s_cmp_gt_i32 s8, 6
	s_cbranch_scc0 .LBB169_170
; %bb.169:
	global_store_dwordx2 v[0:1], v[4:5], off
	s_mov_b64 s[2:3], 0
.LBB169_170:
	s_andn2_b64 vcc, exec, s[2:3]
	s_cbranch_vccnz .LBB169_172
; %bb.171:
	v_cvt_f32_f64_e32 v2, v[4:5]
	global_store_dword v[0:1], v2, off
.LBB169_172:
	s_mov_b64 s[2:3], 0
.LBB169_173:
	s_andn2_b64 vcc, exec, s[2:3]
	s_cbranch_vccnz .LBB169_175
; %bb.174:
	s_movk_i32 s2, 0x1ff
	v_and_or_b32 v2, v5, s2, v4
	v_cmp_ne_u32_e32 vcc, 0, v2
	v_lshrrev_b32_e32 v3, 8, v5
	s_movk_i32 s2, 0xffe
	v_cndmask_b32_e64 v2, 0, 1, vcc
	v_bfe_u32 v6, v5, 20, 11
	v_and_or_b32 v2, v3, s2, v2
	v_sub_u32_e32 v7, 0x3f1, v6
	v_or_b32_e32 v3, 0x1000, v2
	v_med3_i32 v7, v7, 0, 13
	v_lshrrev_b32_e32 v8, v7, v3
	v_lshlrev_b32_e32 v7, v7, v8
	v_cmp_ne_u32_e32 vcc, v7, v3
	v_add_u32_e32 v6, 0xfffffc10, v6
	v_lshl_or_b32 v7, v6, 12, v2
	v_cndmask_b32_e64 v3, 0, 1, vcc
	v_or_b32_e32 v3, v8, v3
	v_cmp_gt_i32_e32 vcc, 1, v6
	s_movk_i32 s2, 0x40f
	s_nop 0
	v_cndmask_b32_e32 v3, v7, v3, vcc
	v_and_b32_e32 v7, 7, v3
	v_cmp_lt_i32_e32 vcc, 5, v7
	v_lshrrev_b32_e32 v3, 2, v3
	s_nop 0
	v_cndmask_b32_e64 v8, 0, 1, vcc
	v_cmp_eq_u32_e32 vcc, 3, v7
	s_nop 1
	v_cndmask_b32_e64 v7, 0, 1, vcc
	v_or_b32_e32 v7, v7, v8
	v_add_u32_e32 v3, v3, v7
	v_mov_b32_e32 v7, 0x7c00
	v_cmp_gt_i32_e32 vcc, 31, v6
	v_mov_b32_e32 v8, 0x7e00
	s_nop 0
	v_cndmask_b32_e32 v3, v7, v3, vcc
	v_cmp_ne_u32_e32 vcc, 0, v2
	s_nop 1
	v_cndmask_b32_e32 v2, v7, v8, vcc
	v_cmp_eq_u32_e32 vcc, s2, v6
	s_mov_b32 s2, 0x8000
	s_nop 0
	v_cndmask_b32_e32 v2, v3, v2, vcc
	v_lshrrev_b32_e32 v3, 16, v5
	v_and_or_b32 v2, v3, s2, v2
	global_store_short v[0:1], v2, off
.LBB169_175:
	s_mov_b64 s[2:3], 0
.LBB169_176:
	s_andn2_b64 vcc, exec, s[2:3]
	s_cbranch_vccnz .LBB169_192
; %bb.177:
	s_cmp_lt_i32 s8, 2
	s_mov_b64 s[2:3], -1
	s_cbranch_scc1 .LBB169_187
; %bb.178:
	s_cmp_lt_i32 s8, 3
	s_cbranch_scc1 .LBB169_184
; %bb.179:
	s_cmp_gt_i32 s8, 3
	s_cbranch_scc0 .LBB169_181
; %bb.180:
	v_trunc_f64_e32 v[2:3], v[4:5]
	s_movk_i32 s2, 0xffe0
	v_ldexp_f64 v[6:7], v[2:3], s2
	v_floor_f64_e32 v[6:7], v[6:7]
	v_fmac_f64_e32 v[2:3], 0xc1f00000, v[6:7]
	v_cvt_i32_f64_e32 v9, v[6:7]
	v_cvt_u32_f64_e32 v8, v[2:3]
	global_store_dwordx2 v[0:1], v[8:9], off
	s_mov_b64 s[2:3], 0
.LBB169_181:
	s_andn2_b64 vcc, exec, s[2:3]
	s_cbranch_vccnz .LBB169_183
; %bb.182:
	v_cvt_i32_f64_e32 v2, v[4:5]
	global_store_dword v[0:1], v2, off
.LBB169_183:
	s_mov_b64 s[2:3], 0
.LBB169_184:
	s_andn2_b64 vcc, exec, s[2:3]
	s_cbranch_vccnz .LBB169_186
; %bb.185:
	v_cvt_i32_f64_e32 v2, v[4:5]
	global_store_short v[0:1], v2, off
.LBB169_186:
	s_mov_b64 s[2:3], 0
.LBB169_187:
	s_andn2_b64 vcc, exec, s[2:3]
	s_cbranch_vccnz .LBB169_192
; %bb.188:
	s_cmp_gt_i32 s8, 0
	s_mov_b64 s[2:3], -1
	s_cbranch_scc0 .LBB169_190
; %bb.189:
	v_cvt_i32_f64_e32 v2, v[4:5]
	global_store_byte v[0:1], v2, off
	s_mov_b64 s[2:3], 0
.LBB169_190:
	s_andn2_b64 vcc, exec, s[2:3]
	s_cbranch_vccnz .LBB169_192
; %bb.191:
	v_trunc_f64_e32 v[2:3], v[4:5]
	s_movk_i32 s2, 0xffe0
	v_ldexp_f64 v[4:5], v[2:3], s2
	v_floor_f64_e32 v[4:5], v[4:5]
	v_fmac_f64_e32 v[2:3], 0xc1f00000, v[4:5]
	v_cvt_u32_f64_e32 v2, v[2:3]
	global_store_byte v[0:1], v2, off
.LBB169_192:
.LBB169_193:
	v_add_u32_e32 v16, 0x80, v16
	s_mov_b64 s[2:3], -1
	s_branch .LBB169_308
.LBB169_194:
	s_mov_b64 s[6:7], -1
                                        ; implicit-def: $vgpr0_vgpr1
.LBB169_195:
	v_mov_b64_e32 v[2:3], 0
.LBB169_196:
	s_mov_b64 s[4:5], 0
.LBB169_197:
	s_and_b64 vcc, exec, s[4:5]
	s_cbranch_vccz .LBB169_202
; %bb.198:
	s_cmp_eq_u32 s10, 29
	s_cbranch_scc0 .LBB169_200
; %bb.199:
	global_load_dwordx2 v[0:1], v[4:5], off
	s_mov_b64 s[2:3], -1
	s_mov_b64 s[6:7], 0
	s_waitcnt vmcnt(0)
	v_cvt_f64_u32_e32 v[2:3], v1
	v_cvt_f64_u32_e32 v[0:1], v0
	v_ldexp_f64 v[2:3], v[2:3], 32
	v_add_f64 v[0:1], v[2:3], v[0:1]
	s_branch .LBB169_201
.LBB169_200:
	s_mov_b64 s[6:7], -1
                                        ; implicit-def: $vgpr0_vgpr1
.LBB169_201:
	v_mov_b64_e32 v[2:3], 0
.LBB169_202:
	s_mov_b64 s[4:5], 0
.LBB169_203:
	s_and_b64 vcc, exec, s[4:5]
	s_cbranch_vccz .LBB169_223
; %bb.204:
	s_cmp_lt_i32 s10, 27
	s_cbranch_scc1 .LBB169_207
; %bb.205:
	s_cmp_gt_i32 s10, 27
	s_cbranch_scc0 .LBB169_208
; %bb.206:
	global_load_dword v0, v[4:5], off
	s_mov_b64 s[2:3], 0
	s_waitcnt vmcnt(0)
	v_cvt_f64_u32_e32 v[0:1], v0
	s_branch .LBB169_209
.LBB169_207:
	s_mov_b64 s[2:3], -1
                                        ; implicit-def: $vgpr0_vgpr1
	s_branch .LBB169_212
.LBB169_208:
	s_mov_b64 s[2:3], -1
                                        ; implicit-def: $vgpr0_vgpr1
.LBB169_209:
	s_andn2_b64 vcc, exec, s[2:3]
	s_cbranch_vccnz .LBB169_211
; %bb.210:
	global_load_ushort v0, v[4:5], off
	s_waitcnt vmcnt(0)
	v_cvt_f64_u32_e32 v[0:1], v0
.LBB169_211:
	s_mov_b64 s[2:3], 0
.LBB169_212:
	s_andn2_b64 vcc, exec, s[2:3]
	s_cbranch_vccnz .LBB169_222
; %bb.213:
	global_load_ubyte v2, v[4:5], off
	s_movk_i32 s2, 0x7f
	s_waitcnt vmcnt(0)
	v_cmp_lt_i16_e32 vcc, s2, v2
	s_mov_b64 s[2:3], 0
	s_and_saveexec_b64 s[4:5], vcc
	s_xor_b64 s[4:5], exec, s[4:5]
	s_cbranch_execz .LBB169_217
; %bb.214:
	s_movk_i32 s2, 0x80
	v_cmp_eq_u16_e32 vcc, s2, v2
	s_mov_b64 s[2:3], -1
	s_and_saveexec_b64 s[8:9], vcc
; %bb.215:
	s_xor_b64 s[2:3], exec, -1
; %bb.216:
	s_or_b64 exec, exec, s[8:9]
	s_and_b64 s[2:3], s[2:3], exec
.LBB169_217:
	s_or_saveexec_b64 s[4:5], s[4:5]
	v_bfrev_b32_e32 v0, 4
	v_mov_b32_e32 v1, 0x7ff80000
	s_xor_b64 exec, exec, s[4:5]
; %bb.218:
	v_cmp_ne_u16_e32 vcc, 0, v2
	s_andn2_b64 s[2:3], s[2:3], exec
	s_and_b64 s[8:9], vcc, exec
	v_mov_b64_e32 v[0:1], 0
	s_or_b64 s[2:3], s[2:3], s[8:9]
; %bb.219:
	s_or_b64 exec, exec, s[4:5]
	s_and_saveexec_b64 s[4:5], s[2:3]
	s_cbranch_execz .LBB169_221
; %bb.220:
	v_and_b32_e32 v1, 0xffff, v2
	v_lshlrev_b32_e32 v0, 24, v2
	v_and_b32_e32 v2, 7, v1
	v_ffbh_u32_e32 v6, v2
	v_min_u32_e32 v6, 32, v6
	v_subrev_u32_e32 v7, 28, v6
	v_bfe_u32 v3, v1, 3, 4
	v_lshlrev_b32_e32 v1, v7, v1
	v_sub_u32_e32 v6, 29, v6
	v_and_b32_e32 v1, 7, v1
	v_cmp_eq_u32_e32 vcc, 0, v3
	v_and_b32_e32 v0, 0x80000000, v0
	s_nop 0
	v_cndmask_b32_e32 v3, v3, v6, vcc
	v_cndmask_b32_e32 v1, v2, v1, vcc
	v_mov_b32_e32 v2, 0x3b800000
	v_lshlrev_b32_e32 v1, 20, v1
	v_lshl_add_u32 v2, v3, 23, v2
	v_or3_b32 v0, v0, v2, v1
	v_cvt_f64_f32_e32 v[0:1], v0
.LBB169_221:
	s_or_b64 exec, exec, s[4:5]
.LBB169_222:
	s_mov_b64 s[2:3], -1
	v_mov_b64_e32 v[2:3], 0
.LBB169_223:
	s_branch .LBB169_256
.LBB169_224:
	s_cmp_gt_i32 s10, 22
	s_cbranch_scc0 .LBB169_236
; %bb.225:
	s_cmp_lt_i32 s10, 24
	s_cbranch_scc1 .LBB169_237
; %bb.226:
	s_cmp_gt_i32 s10, 24
	s_cbranch_scc0 .LBB169_238
; %bb.227:
	global_load_ubyte v2, v[4:5], off
	s_movk_i32 s2, 0x7f
	s_waitcnt vmcnt(0)
	v_cmp_lt_i16_e32 vcc, s2, v2
	s_mov_b64 s[2:3], 0
	s_and_saveexec_b64 s[4:5], vcc
	s_xor_b64 s[4:5], exec, s[4:5]
	s_cbranch_execz .LBB169_231
; %bb.228:
	s_movk_i32 s2, 0x80
	v_cmp_eq_u16_e32 vcc, s2, v2
	s_mov_b64 s[2:3], -1
	s_and_saveexec_b64 s[8:9], vcc
; %bb.229:
	s_xor_b64 s[2:3], exec, -1
; %bb.230:
	s_or_b64 exec, exec, s[8:9]
	s_and_b64 s[2:3], s[2:3], exec
.LBB169_231:
	s_or_saveexec_b64 s[4:5], s[4:5]
	v_bfrev_b32_e32 v0, 4
	v_mov_b32_e32 v1, 0x7ff80000
	s_xor_b64 exec, exec, s[4:5]
; %bb.232:
	v_cmp_ne_u16_e32 vcc, 0, v2
	s_andn2_b64 s[2:3], s[2:3], exec
	s_and_b64 s[8:9], vcc, exec
	v_mov_b64_e32 v[0:1], 0
	s_or_b64 s[2:3], s[2:3], s[8:9]
; %bb.233:
	s_or_b64 exec, exec, s[4:5]
	s_and_saveexec_b64 s[4:5], s[2:3]
	s_cbranch_execz .LBB169_235
; %bb.234:
	v_and_b32_e32 v1, 0xffff, v2
	v_lshlrev_b32_e32 v0, 24, v2
	v_and_b32_e32 v2, 3, v1
	v_ffbh_u32_e32 v6, v2
	v_min_u32_e32 v6, 32, v6
	v_subrev_u32_e32 v7, 29, v6
	v_bfe_u32 v3, v1, 2, 5
	v_lshlrev_b32_e32 v1, v7, v1
	v_sub_u32_e32 v6, 30, v6
	v_and_b32_e32 v1, 3, v1
	v_cmp_eq_u32_e32 vcc, 0, v3
	v_and_b32_e32 v0, 0x80000000, v0
	s_nop 0
	v_cndmask_b32_e32 v3, v3, v6, vcc
	v_cndmask_b32_e32 v1, v2, v1, vcc
	v_mov_b32_e32 v2, 0x37800000
	v_lshlrev_b32_e32 v1, 21, v1
	v_lshl_add_u32 v2, v3, 23, v2
	v_or3_b32 v0, v0, v2, v1
	v_cvt_f64_f32_e32 v[0:1], v0
.LBB169_235:
	s_or_b64 exec, exec, s[4:5]
	s_mov_b64 s[2:3], 0
	s_branch .LBB169_239
.LBB169_236:
                                        ; implicit-def: $vgpr0_vgpr1
	s_branch .LBB169_245
.LBB169_237:
	s_mov_b64 s[2:3], -1
                                        ; implicit-def: $vgpr0_vgpr1
	s_branch .LBB169_242
.LBB169_238:
	s_mov_b64 s[2:3], -1
                                        ; implicit-def: $vgpr0_vgpr1
.LBB169_239:
	s_and_b64 vcc, exec, s[2:3]
	s_cbranch_vccz .LBB169_241
; %bb.240:
	global_load_ubyte v0, v[4:5], off
	s_mov_b32 s2, 0x7f800000
	s_waitcnt vmcnt(0)
	v_lshlrev_b32_e32 v0, 24, v0
	v_and_b32_e32 v1, 0x7f000000, v0
	v_ffbh_u32_e32 v2, v1
	v_min_u32_e32 v2, 32, v2
	v_sub_u32_e64 v2, v2, 4 clamp
	v_lshlrev_b32_e32 v6, v2, v1
	v_lshlrev_b32_e32 v2, 23, v2
	v_lshrrev_b32_e32 v6, 4, v6
	v_add_u32_e32 v3, 0x1000000, v1
	v_sub_u32_e32 v2, v6, v2
	v_ashrrev_i32_e32 v3, 8, v3
	v_add_u32_e32 v2, 0x3c000000, v2
	v_and_or_b32 v2, v3, s2, v2
	v_cmp_ne_u32_e32 vcc, 0, v1
	s_brev_b32 s2, 1
	s_nop 0
	v_cndmask_b32_e32 v1, 0, v2, vcc
	v_and_or_b32 v0, v0, s2, v1
	v_cvt_f64_f32_e32 v[0:1], v0
.LBB169_241:
	s_mov_b64 s[2:3], 0
.LBB169_242:
	s_andn2_b64 vcc, exec, s[2:3]
	s_cbranch_vccnz .LBB169_244
; %bb.243:
	global_load_ubyte v0, v[4:5], off
	s_movk_i32 s2, 0x7f00
	s_brev_b32 s3, 16
	s_waitcnt vmcnt(0)
	v_lshlrev_b16_e32 v1, 8, v0
	v_lshlrev_b32_e32 v0, 25, v0
	v_lshrrev_b32_e32 v2, 4, v0
	v_and_or_b32 v3, v1, s2, 0.5
	v_or_b32_e32 v2, 0x70000000, v2
	v_add_f32_e32 v3, -0.5, v3
	v_mul_f32_e32 v2, 0x7800000, v2
	v_cmp_gt_u32_e32 vcc, s3, v0
	v_bfe_i32 v1, v1, 0, 16
	s_brev_b32 s2, 1
	v_cndmask_b32_e32 v0, v2, v3, vcc
	v_and_or_b32 v0, v1, s2, v0
	v_cvt_f64_f32_e32 v[0:1], v0
.LBB169_244:
	s_mov_b64 s[2:3], -1
	s_cbranch_execnz .LBB169_255
.LBB169_245:
	s_cmp_gt_i32 s10, 14
	s_cbranch_scc0 .LBB169_248
; %bb.246:
	s_cmp_eq_u32 s10, 15
	s_cbranch_scc0 .LBB169_249
; %bb.247:
	global_load_ushort v0, v[4:5], off
	s_mov_b64 s[2:3], -1
	s_mov_b64 s[6:7], 0
	s_waitcnt vmcnt(0)
	v_lshlrev_b32_e32 v0, 16, v0
	v_cvt_f64_f32_e32 v[0:1], v0
	s_branch .LBB169_250
.LBB169_248:
	s_mov_b64 s[4:5], -1
                                        ; implicit-def: $vgpr0_vgpr1
	s_branch .LBB169_251
.LBB169_249:
	s_mov_b64 s[6:7], -1
                                        ; implicit-def: $vgpr0_vgpr1
.LBB169_250:
	s_mov_b64 s[4:5], 0
.LBB169_251:
	s_and_b64 vcc, exec, s[4:5]
	s_cbranch_vccz .LBB169_255
; %bb.252:
	s_cmp_eq_u32 s10, 11
	s_cbranch_scc0 .LBB169_254
; %bb.253:
	global_load_ubyte v1, v[4:5], off
	v_mov_b32_e32 v2, 0x3ff00000
	v_mov_b32_e32 v0, 0
	s_mov_b64 s[2:3], -1
	s_mov_b64 s[6:7], 0
	s_waitcnt vmcnt(0)
	v_cmp_ne_u16_e32 vcc, 0, v1
	s_nop 1
	v_cndmask_b32_e32 v1, 0, v2, vcc
	s_branch .LBB169_255
.LBB169_254:
	s_mov_b64 s[6:7], -1
                                        ; implicit-def: $vgpr0_vgpr1
.LBB169_255:
	v_mov_b64_e32 v[2:3], 0
.LBB169_256:
	s_branch .LBB169_25
.LBB169_257:
	s_cmp_lt_i32 s10, 5
	s_cbranch_scc1 .LBB169_262
; %bb.258:
	s_cmp_lt_i32 s10, 8
	s_cbranch_scc1 .LBB169_263
; %bb.259:
	;; [unrolled: 3-line block ×3, first 2 shown]
	s_cmp_gt_i32 s10, 9
	s_cbranch_scc0 .LBB169_265
; %bb.261:
	global_load_dwordx4 v[0:3], v[4:5], off
	s_mov_b64 s[2:3], 0
	s_branch .LBB169_266
.LBB169_262:
                                        ; implicit-def: $vgpr2_vgpr3
	s_branch .LBB169_285
.LBB169_263:
	s_mov_b64 s[2:3], -1
                                        ; implicit-def: $vgpr2_vgpr3
	s_branch .LBB169_272
.LBB169_264:
	s_mov_b64 s[2:3], -1
                                        ; implicit-def: $vgpr2_vgpr3
	s_branch .LBB169_269
.LBB169_265:
	s_mov_b64 s[2:3], -1
                                        ; implicit-def: $vgpr2_vgpr3
.LBB169_266:
	s_andn2_b64 vcc, exec, s[2:3]
	s_cbranch_vccnz .LBB169_268
; %bb.267:
	global_load_dwordx2 v[2:3], v[4:5], off
	s_waitcnt vmcnt(0)
	v_cvt_f64_f32_e32 v[0:1], v2
	v_cvt_f64_f32_e32 v[2:3], v3
.LBB169_268:
	s_mov_b64 s[2:3], 0
.LBB169_269:
	s_andn2_b64 vcc, exec, s[2:3]
	s_cbranch_vccnz .LBB169_271
; %bb.270:
	global_load_dword v0, v[4:5], off
	s_waitcnt vmcnt(0)
	v_cvt_f32_f16_e32 v1, v0
	v_cvt_f32_f16_sdwa v2, v0 dst_sel:DWORD dst_unused:UNUSED_PAD src0_sel:WORD_1
	v_cvt_f64_f32_e32 v[0:1], v1
	v_cvt_f64_f32_e32 v[2:3], v2
.LBB169_271:
	s_mov_b64 s[2:3], 0
.LBB169_272:
	s_andn2_b64 vcc, exec, s[2:3]
	s_cbranch_vccnz .LBB169_284
; %bb.273:
	s_cmp_lt_i32 s10, 6
	s_cbranch_scc1 .LBB169_276
; %bb.274:
	s_cmp_gt_i32 s10, 6
	s_cbranch_scc0 .LBB169_277
; %bb.275:
	global_load_dwordx2 v[0:1], v[4:5], off
	s_mov_b64 s[2:3], 0
	s_branch .LBB169_278
.LBB169_276:
	s_mov_b64 s[2:3], -1
                                        ; implicit-def: $vgpr0_vgpr1
	s_branch .LBB169_281
.LBB169_277:
	s_mov_b64 s[2:3], -1
                                        ; implicit-def: $vgpr0_vgpr1
.LBB169_278:
	s_andn2_b64 vcc, exec, s[2:3]
	s_cbranch_vccnz .LBB169_280
; %bb.279:
	global_load_dword v0, v[4:5], off
	s_waitcnt vmcnt(0)
	v_cvt_f64_f32_e32 v[0:1], v0
.LBB169_280:
	s_mov_b64 s[2:3], 0
.LBB169_281:
	s_andn2_b64 vcc, exec, s[2:3]
	s_cbranch_vccnz .LBB169_283
; %bb.282:
	global_load_ushort v0, v[4:5], off
	s_waitcnt vmcnt(0)
	v_cvt_f32_f16_e32 v0, v0
	v_cvt_f64_f32_e32 v[0:1], v0
.LBB169_283:
	s_waitcnt vmcnt(0)
	v_mov_b64_e32 v[2:3], 0
.LBB169_284:
	s_cbranch_execnz .LBB169_305
.LBB169_285:
	s_cmp_lt_i32 s10, 2
	s_cbranch_scc1 .LBB169_289
; %bb.286:
	s_cmp_lt_i32 s10, 3
	s_cbranch_scc1 .LBB169_290
; %bb.287:
	s_cmp_gt_i32 s10, 3
	s_cbranch_scc0 .LBB169_291
; %bb.288:
	global_load_dwordx2 v[0:1], v[4:5], off
	s_mov_b64 s[2:3], 0
	s_waitcnt vmcnt(0)
	v_cvt_f64_i32_e32 v[2:3], v1
	v_cvt_f64_u32_e32 v[0:1], v0
	v_ldexp_f64 v[2:3], v[2:3], 32
	v_add_f64 v[0:1], v[2:3], v[0:1]
	s_branch .LBB169_292
.LBB169_289:
	s_mov_b64 s[2:3], -1
                                        ; implicit-def: $vgpr0_vgpr1
	s_branch .LBB169_298
.LBB169_290:
	s_mov_b64 s[2:3], -1
                                        ; implicit-def: $vgpr0_vgpr1
	s_branch .LBB169_295
.LBB169_291:
	s_mov_b64 s[2:3], -1
                                        ; implicit-def: $vgpr0_vgpr1
.LBB169_292:
	s_andn2_b64 vcc, exec, s[2:3]
	s_cbranch_vccnz .LBB169_294
; %bb.293:
	global_load_dword v0, v[4:5], off
	s_waitcnt vmcnt(0)
	v_cvt_f64_i32_e32 v[0:1], v0
.LBB169_294:
	s_mov_b64 s[2:3], 0
.LBB169_295:
	s_andn2_b64 vcc, exec, s[2:3]
	s_cbranch_vccnz .LBB169_297
; %bb.296:
	global_load_sshort v0, v[4:5], off
	s_waitcnt vmcnt(0)
	v_cvt_f64_i32_e32 v[0:1], v0
.LBB169_297:
	s_mov_b64 s[2:3], 0
.LBB169_298:
	s_andn2_b64 vcc, exec, s[2:3]
	s_cbranch_vccnz .LBB169_304
; %bb.299:
	s_cmp_gt_i32 s10, 0
	s_cbranch_scc0 .LBB169_301
; %bb.300:
	global_load_sbyte v0, v[4:5], off
	s_mov_b64 s[2:3], 0
	s_waitcnt vmcnt(0)
	v_cvt_f64_i32_e32 v[0:1], v0
	s_branch .LBB169_302
.LBB169_301:
	s_mov_b64 s[2:3], -1
                                        ; implicit-def: $vgpr0_vgpr1
.LBB169_302:
	s_andn2_b64 vcc, exec, s[2:3]
	s_cbranch_vccnz .LBB169_304
; %bb.303:
	global_load_ubyte v0, v[4:5], off
	s_waitcnt vmcnt(0)
	v_cvt_f64_u32_e32 v[0:1], v0
.LBB169_304:
	s_waitcnt vmcnt(0)
	v_mov_b64_e32 v[2:3], 0
.LBB169_305:
	s_branch .LBB169_26
.LBB169_306:
	s_mov_b64 s[4:5], 0
.LBB169_307:
	s_mov_b64 s[2:3], 0
                                        ; implicit-def: $vgpr16
.LBB169_308:
	s_and_b64 s[54:55], s[4:5], exec
	s_and_b64 s[56:57], s[6:7], exec
	s_orn2_b64 s[4:5], s[2:3], exec
.LBB169_309:
	s_or_b64 exec, exec, s[58:59]
	s_mov_b64 s[8:9], 0
	s_mov_b64 s[2:3], 0
                                        ; implicit-def: $vgpr4_vgpr5
                                        ; implicit-def: $vgpr8
                                        ; implicit-def: $vgpr2_vgpr3
	s_and_saveexec_b64 s[58:59], s[4:5]
	s_cbranch_execz .LBB169_317
; %bb.310:
	v_cmp_gt_i32_e32 vcc, s70, v16
	s_mov_b64 s[2:3], -1
	s_mov_b64 s[60:61], s[56:57]
	s_mov_b64 s[62:63], s[54:55]
	s_and_saveexec_b64 s[64:65], vcc
	s_cbranch_execz .LBB169_629
; %bb.311:
	s_andn2_b64 vcc, exec, s[42:43]
	s_cbranch_vccnz .LBB169_320
; %bb.312:
	s_andn2_b64 vcc, exec, s[52:53]
	s_cbranch_vccnz .LBB169_321
; %bb.313:
	s_add_i32 s63, s75, 1
	s_cmp_eq_u32 s72, 2
	s_cbranch_scc1 .LBB169_322
; %bb.314:
	s_and_b32 s62, s63, 28
	s_mov_b32 s66, 0
	v_mov_b32_e32 v8, 0
	s_waitcnt vmcnt(0)
	v_mov_b32_e32 v0, 0
	s_mov_b64 s[2:3], s[34:35]
	s_mov_b64 s[60:61], s[50:51]
	v_mov_b32_e32 v2, v16
.LBB169_315:                            ; =>This Inner Loop Header: Depth=1
	s_load_dwordx8 s[12:19], s[2:3], 0x4
	s_load_dwordx4 s[36:39], s[2:3], 0x24
	s_load_dwordx8 s[4:11], s[60:61], 0x0
	s_add_u32 s2, s2, 48
	s_addc_u32 s3, s3, 0
	s_waitcnt lgkmcnt(0)
	v_mul_hi_u32 v1, s13, v2
	v_add_u32_e32 v1, v2, v1
	v_lshrrev_b32_e32 v1, s14, v1
	v_mul_lo_u32 v3, v1, s12
	v_mul_hi_u32 v4, s16, v1
	v_sub_u32_e32 v2, v2, v3
	v_add_u32_e32 v3, v1, v4
	v_lshrrev_b32_e32 v3, s17, v3
	v_mul_lo_u32 v5, v3, s15
	v_mul_hi_u32 v6, s19, v3
	v_sub_u32_e32 v1, v1, v5
	v_add_u32_e32 v5, v3, v6
	v_mul_lo_u32 v4, v2, s5
	v_mul_lo_u32 v2, v2, s4
	v_mul_lo_u32 v6, v1, s7
	v_mul_lo_u32 v1, v1, s6
	v_lshrrev_b32_e32 v5, s36, v5
	v_add3_u32 v1, v2, v8, v1
	v_add3_u32 v0, v4, v0, v6
	v_mul_lo_u32 v2, v5, s18
	v_mul_hi_u32 v4, s38, v5
	v_sub_u32_e32 v2, v3, v2
	v_add_u32_e32 v3, v5, v4
	v_mul_lo_u32 v4, v2, s8
	v_mul_lo_u32 v6, v2, s9
	v_lshrrev_b32_e32 v2, s39, v3
	s_add_i32 s66, s66, 4
	v_mul_lo_u32 v3, v2, s37
	s_add_u32 s60, s60, 32
	v_sub_u32_e32 v3, v5, v3
	s_addc_u32 s61, s61, 0
	v_mul_lo_u32 v5, v3, s10
	v_mul_lo_u32 v3, v3, s11
	s_cmp_eq_u32 s62, s66
	v_add3_u32 v0, v6, v0, v3
	v_add3_u32 v8, v4, v1, v5
	s_cbranch_scc0 .LBB169_315
; %bb.316:
	v_mov_b32_e32 v1, v0
	s_branch .LBB169_323
.LBB169_317:
	s_or_b64 exec, exec, s[58:59]
	s_mov_b64 s[6:7], 0
	s_and_saveexec_b64 s[4:5], s[56:57]
	s_cbranch_execnz .LBB169_1053
.LBB169_318:
	s_or_b64 exec, exec, s[4:5]
	s_and_saveexec_b64 s[4:5], s[62:63]
	s_xor_b64 s[4:5], exec, s[4:5]
	s_cbranch_execz .LBB169_1054
.LBB169_319:
	global_load_ubyte v1, v[4:5], off
	v_mov_b32_e32 v6, 0x3ff00000
	s_waitcnt vmcnt(1)
	v_mov_b32_e32 v0, 0
	v_mov_b64_e32 v[2:3], 0
	s_or_b64 s[2:3], s[2:3], exec
	s_waitcnt vmcnt(0)
	v_cmp_ne_u16_e32 vcc, 0, v1
	s_nop 1
	v_cndmask_b32_e32 v1, 0, v6, vcc
	s_or_b64 exec, exec, s[4:5]
	s_and_saveexec_b64 s[4:5], s[8:9]
	s_cbranch_execz .LBB169_1102
	s_branch .LBB169_1055
.LBB169_320:
                                        ; implicit-def: $vgpr0
                                        ; implicit-def: $vgpr8
	s_andn2_b64 vcc, exec, s[2:3]
	s_cbranch_vccz .LBB169_327
	s_branch .LBB169_329
.LBB169_321:
	s_waitcnt vmcnt(0)
	v_mov_b32_e32 v0, 0
	v_mov_b32_e32 v8, 0
	s_branch .LBB169_326
.LBB169_322:
	v_mov_b32_e32 v8, 0
	s_mov_b32 s62, 0
	s_waitcnt vmcnt(0)
	v_mov_b32_e32 v1, v8
                                        ; implicit-def: $vgpr0
	v_mov_b32_e32 v2, v16
.LBB169_323:
	s_and_b32 s6, s63, 3
	s_cmp_eq_u32 s6, 0
	s_cbranch_scc1 .LBB169_326
; %bb.324:
	s_lshl_b32 s2, s62, 3
	s_add_u32 s2, s34, s2
	s_addc_u32 s3, s35, 0
	s_add_u32 s2, s2, 0xc4
	s_addc_u32 s3, s3, 0
	s_mul_i32 s4, s62, 12
	s_add_u32 s4, s34, s4
	s_addc_u32 s5, s35, 0
.LBB169_325:                            ; =>This Inner Loop Header: Depth=1
	s_load_dwordx2 s[8:9], s[4:5], 0x4
	s_load_dword s7, s[4:5], 0xc
	s_load_dwordx2 s[10:11], s[2:3], 0x0
	v_mov_b32_e32 v0, v1
	s_add_u32 s4, s4, 12
	s_waitcnt lgkmcnt(0)
	v_mul_hi_u32 v1, s9, v2
	v_add_u32_e32 v1, v2, v1
	v_lshrrev_b32_e32 v1, s7, v1
	s_addc_u32 s5, s5, 0
	v_mul_lo_u32 v3, v1, s8
	s_add_u32 s2, s2, 8
	v_sub_u32_e32 v3, v2, v3
	s_addc_u32 s3, s3, 0
	s_add_i32 s6, s6, -1
	v_mov_b32_e32 v2, v1
	v_mad_u64_u32 v[0:1], s[8:9], v3, s11, v[0:1]
	s_cmp_lg_u32 s6, 0
	v_mad_u64_u32 v[8:9], s[8:9], v3, s10, v[8:9]
	v_mov_b32_e32 v1, v0
	s_cbranch_scc1 .LBB169_325
.LBB169_326:
	s_cbranch_execnz .LBB169_329
.LBB169_327:
	s_waitcnt vmcnt(0) lgkmcnt(0)
	v_mul_hi_u32 v0, s29, v16
	v_add_u32_e32 v0, v16, v0
	v_lshrrev_b32_e32 v1, s30, v0
	v_mul_lo_u32 v0, v1, s28
	v_sub_u32_e32 v2, v16, v0
	v_mul_lo_u32 v0, v2, s25
	s_andn2_b64 vcc, exec, s[48:49]
	v_mul_lo_u32 v8, v2, s24
	s_cbranch_vccnz .LBB169_329
; %bb.328:
	v_mul_hi_u32 v2, s46, v1
	v_add_u32_e32 v2, v1, v2
	v_lshrrev_b32_e32 v2, s47, v2
	v_mul_lo_u32 v2, v2, s31
	v_sub_u32_e32 v1, v1, v2
	v_mad_u64_u32 v[8:9], s[2:3], v1, s26, v[8:9]
	v_mad_u64_u32 v[0:1], s[2:3], v1, s27, v[0:1]
.LBB169_329:
	s_waitcnt vmcnt(0)
	v_mov_b32_e32 v1, 0
	s_and_b32 s10, 0xffff, s74
	s_cmp_lt_i32 s10, 11
	s_waitcnt lgkmcnt(0)
	v_lshl_add_u64 v[4:5], s[22:23], 0, v[0:1]
	s_cbranch_scc1 .LBB169_336
; %bb.330:
	s_cmp_gt_i32 s10, 25
	s_cbranch_scc0 .LBB169_350
; %bb.331:
	s_cmp_gt_i32 s10, 28
	s_cbranch_scc0 .LBB169_351
	;; [unrolled: 3-line block ×4, first 2 shown]
; %bb.334:
	s_cmp_eq_u32 s10, 46
	s_mov_b64 s[4:5], 0
	s_cbranch_scc0 .LBB169_395
; %bb.335:
	global_load_dword v0, v[4:5], off
	s_mov_b64 s[2:3], -1
	s_mov_b64 s[6:7], 0
	s_waitcnt vmcnt(0)
	v_and_b32_e32 v2, 0xffff0000, v0
	v_lshlrev_b32_e32 v0, 16, v0
	v_cvt_f64_f32_e32 v[0:1], v0
	v_cvt_f64_f32_e32 v[2:3], v2
	s_branch .LBB169_396
.LBB169_336:
	s_mov_b64 s[2:3], 0
                                        ; implicit-def: $vgpr2_vgpr3
	s_mov_b64 s[6:7], s[56:57]
	s_cbranch_execnz .LBB169_576
.LBB169_337:
	s_andn2_b64 vcc, exec, s[2:3]
	s_cbranch_vccnz .LBB169_626
.LBB169_338:
	s_waitcnt vmcnt(0)
	v_cmp_neq_f64_e32 vcc, 0, v[0:1]
	v_cmp_neq_f64_e64 s[2:3], 0, v[2:3]
	v_mov_b64_e32 v[10:11], 0
	s_or_b64 s[2:3], vcc, s[2:3]
	s_and_saveexec_b64 s[8:9], s[2:3]
	s_cbranch_execz .LBB169_374
; %bb.339:
	v_mov_b32_e32 v10, 0
	v_mov_b32_e32 v11, 0x7ff00000
	v_cmp_neq_f64_e64 s[2:3], |v[2:3]|, v[10:11]
	s_and_saveexec_b64 s[10:11], s[2:3]
	s_cbranch_execz .LBB169_373
; %bb.340:
	v_cmp_o_f64_e32 vcc, v[0:1], v[0:1]
                                        ; implicit-def: $vgpr10_vgpr11
	s_and_saveexec_b64 s[2:3], vcc
	s_xor_b64 s[12:13], exec, s[2:3]
	s_cbranch_execz .LBB169_370
; %bb.341:
	s_mov_b32 s2, 0
	s_mov_b32 s3, 0x7ff00000
	v_cmp_neq_f64_e64 s[2:3], |v[0:1]|, s[2:3]
                                        ; implicit-def: $vgpr10_vgpr11
	s_and_saveexec_b64 s[4:5], s[2:3]
	s_xor_b64 s[14:15], exec, s[4:5]
	s_cbranch_execz .LBB169_363
; %bb.342:
	v_max_f64 v[4:5], |v[2:3]|, |v[2:3]|
	v_max_f64 v[6:7], |v[0:1]|, |v[0:1]|
	s_mov_b32 s2, 0x99fcef32
	v_max_f64 v[4:5], v[6:7], v[4:5]
	s_mov_b32 s3, 0x7fda8279
	v_cmp_nle_f64_e64 s[2:3], s[2:3], v[4:5]
                                        ; implicit-def: $sgpr16_sgpr17
	s_and_saveexec_b64 s[4:5], s[2:3]
	s_xor_b64 s[4:5], exec, s[4:5]
	s_cbranch_execz .LBB169_346
; %bb.343:
	s_mov_b32 s16, 0
	s_mov_b32 s17, 0x200000
	v_cmp_le_f64_e64 s[18:19], |v[0:1]|, s[16:17]
	v_cmp_le_f64_e64 s[16:17], |v[2:3]|, s[16:17]
	s_and_b64 s[36:37], s[18:19], s[16:17]
	s_mov_b64 s[16:17], 0
	s_and_saveexec_b64 s[18:19], s[36:37]
; %bb.344:
	s_mov_b64 s[16:17], exec
	v_mul_f64 v[2:3], v[2:3], 4.0
	v_mul_f64 v[0:1], v[0:1], 4.0
; %bb.345:
	s_or_b64 exec, exec, s[18:19]
.LBB169_346:
	s_andn2_saveexec_b64 s[4:5], s[4:5]
; %bb.347:
	v_ldexp_f64 v[0:1], v[0:1], -2
	v_ldexp_f64 v[2:3], v[2:3], -2
	s_andn2_b64 s[16:17], s[16:17], exec
; %bb.348:
	s_or_b64 exec, exec, s[4:5]
	v_max_f64 v[4:5], |v[2:3]|, |v[2:3]|
	v_max_f64 v[6:7], |v[0:1]|, |v[0:1]|
	v_max_f64 v[4:5], v[6:7], v[4:5]
	v_frexp_exp_i32_f64_e32 v9, v[4:5]
	v_sub_u32_e32 v6, 0, v9
	v_ldexp_f64 v[4:5], |v[0:1]|, v6
	v_ldexp_f64 v[6:7], |v[2:3]|, v6
	v_mul_f64 v[6:7], v[6:7], v[6:7]
	v_fmac_f64_e32 v[6:7], v[4:5], v[4:5]
	v_rsq_f64_e32 v[4:5], v[6:7]
	v_cmp_eq_f64_e64 s[4:5], 0, v[6:7]
	s_movk_i32 s18, 0x204
	v_cmp_le_f64_e32 vcc, 0, v[0:1]
	v_mul_f64 v[10:11], v[6:7], v[4:5]
	v_mul_f64 v[4:5], v[4:5], 0.5
	v_fma_f64 v[12:13], -v[4:5], v[10:11], 0.5
	v_fmac_f64_e32 v[10:11], v[10:11], v[12:13]
	v_fmac_f64_e32 v[4:5], v[4:5], v[12:13]
	v_fma_f64 v[12:13], -v[10:11], v[10:11], v[6:7]
	v_fmac_f64_e32 v[10:11], v[12:13], v[4:5]
	v_cndmask_b32_e64 v5, v11, v7, s[4:5]
	v_cndmask_b32_e64 v4, v10, v6, s[4:5]
	v_ldexp_f64 v[4:5], v[4:5], v9
	v_cmp_o_f64_e64 s[4:5], v[2:3], v[2:3]
	v_mov_b32_e32 v6, 0x7ff80000
	s_nop 0
	v_cndmask_b32_e64 v4, 0, v4, s[4:5]
	v_cndmask_b32_e64 v5, v6, v5, s[4:5]
	v_cmp_class_f64_e64 s[4:5], v[0:1], s18
	v_cmp_class_f64_e64 s[18:19], v[2:3], s18
	v_mov_b32_e32 v6, 0x7ff00000
	s_or_b64 s[4:5], s[18:19], s[4:5]
	v_cndmask_b32_e64 v11, v5, v6, s[4:5]
	v_cndmask_b32_e64 v10, v4, 0, s[4:5]
                                        ; implicit-def: $vgpr4_vgpr5
                                        ; implicit-def: $vgpr6_vgpr7
	s_and_saveexec_b64 s[4:5], vcc
	s_xor_b64 s[4:5], exec, s[4:5]
	s_cbranch_execz .LBB169_356
; %bb.349:
	v_add_f64 v[0:1], v[0:1], v[10:11]
	s_mov_b32 s18, 0
	v_mul_f64 v[0:1], v[0:1], 0.5
	s_brev_b32 s19, 8
	v_mov_b32_e32 v4, 0x100
	v_cmp_gt_f64_e32 vcc, s[18:19], v[0:1]
	s_nop 1
	v_cndmask_b32_e32 v4, 0, v4, vcc
	v_ldexp_f64 v[0:1], v[0:1], v4
	v_rsq_f64_e32 v[4:5], v[0:1]
	s_nop 0
	v_mul_f64 v[6:7], v[0:1], v[4:5]
	v_mul_f64 v[4:5], v[4:5], 0.5
	v_fma_f64 v[10:11], -v[4:5], v[6:7], 0.5
	v_fmac_f64_e32 v[6:7], v[6:7], v[10:11]
	v_fma_f64 v[12:13], -v[6:7], v[6:7], v[0:1]
	v_fmac_f64_e32 v[4:5], v[4:5], v[10:11]
	v_fmac_f64_e32 v[6:7], v[12:13], v[4:5]
	v_fma_f64 v[10:11], -v[6:7], v[6:7], v[0:1]
	v_fmac_f64_e32 v[6:7], v[10:11], v[4:5]
	v_mov_b32_e32 v4, 0xffffff80
	v_cndmask_b32_e32 v4, 0, v4, vcc
	v_ldexp_f64 v[4:5], v[6:7], v4
	v_mov_b32_e32 v6, 0x260
	v_cmp_class_f64_e32 vcc, v[0:1], v6
	s_nop 1
	v_cndmask_b32_e32 v7, v5, v1, vcc
	v_cndmask_b32_e32 v6, v4, v0, vcc
	v_add_f64 v[0:1], v[6:7], v[6:7]
	v_div_scale_f64 v[4:5], s[18:19], v[0:1], v[0:1], v[2:3]
	v_rcp_f64_e32 v[10:11], v[4:5]
	s_nop 0
	v_fma_f64 v[12:13], -v[4:5], v[10:11], 1.0
	v_fmac_f64_e32 v[10:11], v[10:11], v[12:13]
	v_fma_f64 v[12:13], -v[4:5], v[10:11], 1.0
	v_fmac_f64_e32 v[10:11], v[10:11], v[12:13]
	v_div_scale_f64 v[12:13], vcc, v[2:3], v[0:1], v[2:3]
	v_mul_f64 v[14:15], v[12:13], v[10:11]
	v_fma_f64 v[4:5], -v[4:5], v[14:15], v[12:13]
	s_nop 1
	v_div_fmas_f64 v[4:5], v[4:5], v[10:11], v[14:15]
	v_div_fixup_f64 v[4:5], v[4:5], v[0:1], v[2:3]
                                        ; implicit-def: $vgpr10_vgpr11
                                        ; implicit-def: $vgpr0_vgpr1
	s_andn2_saveexec_b64 s[4:5], s[4:5]
	s_cbranch_execz .LBB169_358
	s_branch .LBB169_357
.LBB169_350:
	s_mov_b64 s[4:5], -1
	s_mov_b64 s[2:3], 0
	s_mov_b64 s[6:7], s[56:57]
                                        ; implicit-def: $vgpr2_vgpr3
	s_branch .LBB169_541
.LBB169_351:
	s_mov_b64 s[4:5], -1
	s_mov_b64 s[2:3], 0
	s_mov_b64 s[6:7], s[56:57]
                                        ; implicit-def: $vgpr2_vgpr3
	s_branch .LBB169_520
.LBB169_352:
	s_mov_b64 s[4:5], -1
	s_mov_b64 s[2:3], 0
	s_mov_b64 s[6:7], s[56:57]
                                        ; implicit-def: $vgpr2_vgpr3
	s_branch .LBB169_514
.LBB169_353:
	s_andn2_saveexec_b64 s[10:11], s[10:11]
	s_cbranch_execz .LBB169_107
.LBB169_354:
	s_mov_b32 s14, 0x46000000
	v_add_f32_e64 v3, |v2|, s14
	v_and_b32_e32 v3, 0xff, v3
	v_cmp_ne_u32_e32 vcc, 0, v3
	s_andn2_b64 s[8:9], s[8:9], exec
	s_and_b64 s[14:15], vcc, exec
	s_or_b64 s[8:9], s[8:9], s[14:15]
	s_or_b64 exec, exec, s[10:11]
	v_mov_b32_e32 v8, 0
	s_and_saveexec_b64 s[10:11], s[8:9]
	s_cbranch_execnz .LBB169_108
	s_branch .LBB169_109
.LBB169_355:
	s_mov_b64 s[4:5], -1
	s_mov_b64 s[2:3], 0
	s_mov_b64 s[6:7], s[56:57]
                                        ; implicit-def: $vgpr2_vgpr3
	s_branch .LBB169_396
.LBB169_356:
	s_andn2_saveexec_b64 s[4:5], s[4:5]
	s_cbranch_execz .LBB169_358
.LBB169_357:
	v_add_f64 v[0:1], v[10:11], -v[0:1]
	s_mov_b32 s18, 0
	v_mul_f64 v[0:1], v[0:1], 0.5
	s_brev_b32 s19, 8
	v_mov_b32_e32 v4, 0x100
	v_cmp_gt_f64_e32 vcc, s[18:19], v[0:1]
	s_nop 1
	v_cndmask_b32_e32 v4, 0, v4, vcc
	v_ldexp_f64 v[0:1], v[0:1], v4
	v_rsq_f64_e32 v[4:5], v[0:1]
	s_nop 0
	v_mul_f64 v[6:7], v[0:1], v[4:5]
	v_mul_f64 v[4:5], v[4:5], 0.5
	v_fma_f64 v[10:11], -v[4:5], v[6:7], 0.5
	v_fmac_f64_e32 v[6:7], v[6:7], v[10:11]
	v_fma_f64 v[12:13], -v[6:7], v[6:7], v[0:1]
	v_fmac_f64_e32 v[4:5], v[4:5], v[10:11]
	v_fmac_f64_e32 v[6:7], v[12:13], v[4:5]
	v_fma_f64 v[10:11], -v[6:7], v[6:7], v[0:1]
	v_fmac_f64_e32 v[6:7], v[10:11], v[4:5]
	v_mov_b32_e32 v4, 0xffffff80
	v_cndmask_b32_e32 v4, 0, v4, vcc
	v_ldexp_f64 v[4:5], v[6:7], v4
	v_mov_b32_e32 v6, 0x260
	v_cmp_class_f64_e32 vcc, v[0:1], v6
	v_and_b32_e32 v7, 0x7fffffff, v3
	v_mov_b32_e32 v6, v2
	v_cndmask_b32_e32 v5, v5, v1, vcc
	v_cndmask_b32_e32 v4, v4, v0, vcc
	v_add_f64 v[0:1], v[4:5], v[4:5]
	v_div_scale_f64 v[10:11], s[18:19], v[0:1], v[0:1], v[6:7]
	v_rcp_f64_e32 v[12:13], v[10:11]
	v_div_scale_f64 v[6:7], vcc, v[6:7], v[0:1], v[6:7]
	s_brev_b32 s18, -2
	v_fma_f64 v[14:15], -v[10:11], v[12:13], 1.0
	v_fmac_f64_e32 v[12:13], v[12:13], v[14:15]
	v_fma_f64 v[14:15], -v[10:11], v[12:13], 1.0
	v_fmac_f64_e32 v[12:13], v[12:13], v[14:15]
	v_mul_f64 v[14:15], v[6:7], v[12:13]
	v_fma_f64 v[6:7], -v[10:11], v[14:15], v[6:7]
	v_div_fmas_f64 v[6:7], v[6:7], v[12:13], v[14:15]
	v_div_fixup_f64 v[6:7], v[6:7], v[0:1], |v[2:3]|
	v_bfi_b32 v5, s18, v5, v3
.LBB169_358:
	s_or_b64 exec, exec, s[4:5]
                                        ; implicit-def: $vgpr2_vgpr3
                                        ; implicit-def: $vgpr10_vgpr11
	s_and_saveexec_b64 s[4:5], s[2:3]
	s_xor_b64 s[2:3], exec, s[4:5]
	s_cbranch_execz .LBB169_360
; %bb.359:
	v_mul_f64 v[0:1], v[6:7], 0.5
	v_mul_f64 v[2:3], v[4:5], 0.5
	v_cndmask_b32_e64 v11, v7, v1, s[16:17]
	v_cndmask_b32_e64 v10, v6, v0, s[16:17]
	;; [unrolled: 1-line block ×4, first 2 shown]
                                        ; implicit-def: $vgpr6_vgpr7
                                        ; implicit-def: $vgpr4_vgpr5
	s_andn2_saveexec_b64 s[2:3], s[2:3]
	s_cbranch_execnz .LBB169_361
	s_branch .LBB169_362
.LBB169_360:
	s_andn2_saveexec_b64 s[2:3], s[2:3]
.LBB169_361:
	v_add_f64 v[10:11], v[6:7], v[6:7]
	v_add_f64 v[2:3], v[4:5], v[4:5]
.LBB169_362:
	s_or_b64 exec, exec, s[2:3]
.LBB169_363:
	s_andn2_saveexec_b64 s[2:3], s[14:15]
	s_cbranch_execz .LBB169_369
; %bb.364:
	v_add_f64 v[4:5], v[2:3], -v[2:3]
	v_cmp_lt_i64_e32 vcc, -1, v[0:1]
	s_brev_b32 s14, -2
	v_and_b32_e32 v11, 0x7fffffff, v5
	v_mov_b32_e32 v10, v4
	s_and_saveexec_b64 s[4:5], vcc
	s_xor_b64 s[4:5], exec, s[4:5]
; %bb.365:
	v_bfi_b32 v5, s14, v5, v3
	v_mov_b64_e32 v[2:3], v[4:5]
	v_mov_b64_e32 v[10:11], v[0:1]
; %bb.366:
	s_andn2_saveexec_b64 s[4:5], s[4:5]
; %bb.367:
	v_bfi_b32 v1, s14, v1, v3
	v_mov_b64_e32 v[2:3], v[0:1]
; %bb.368:
	s_or_b64 exec, exec, s[4:5]
.LBB169_369:
	s_or_b64 exec, exec, s[2:3]
.LBB169_370:
	s_andn2_saveexec_b64 s[2:3], s[12:13]
	s_cbranch_execz .LBB169_372
; %bb.371:
	v_add_f64 v[2:3], v[2:3], -v[2:3]
	v_div_scale_f64 v[4:5], vcc, v[2:3], v[2:3], v[2:3]
	v_rcp_f64_e32 v[6:7], v[4:5]
	s_nop 0
	v_fma_f64 v[10:11], -v[4:5], v[6:7], 1.0
	v_fmac_f64_e32 v[6:7], v[6:7], v[10:11]
	v_fma_f64 v[10:11], -v[4:5], v[6:7], 1.0
	v_fmac_f64_e32 v[6:7], v[6:7], v[10:11]
	v_mul_f64 v[10:11], v[4:5], v[6:7]
	v_fma_f64 v[4:5], -v[4:5], v[10:11], v[4:5]
	v_div_fmas_f64 v[4:5], v[4:5], v[6:7], v[10:11]
	v_div_fixup_f64 v[2:3], v[4:5], v[2:3], v[2:3]
	v_mov_b64_e32 v[10:11], v[0:1]
.LBB169_372:
	s_or_b64 exec, exec, s[2:3]
.LBB169_373:
	s_or_b64 exec, exec, s[10:11]
.LBB169_374:
	s_or_b64 exec, exec, s[8:9]
	v_xor_b32_e32 v0, 0x80000000, v11
	v_cmp_gt_f64_e32 vcc, 0, v[10:11]
	v_mov_b32_e32 v12, v10
                                        ; implicit-def: $vgpr6_vgpr7
	s_nop 0
	v_cndmask_b32_e32 v13, v11, v0, vcc
	v_xor_b32_e32 v0, 0x80000000, v3
	v_cmp_gt_f64_e32 vcc, 0, v[2:3]
	s_nop 1
	v_cndmask_b32_e32 v1, v3, v0, vcc
	v_mov_b32_e32 v0, v2
	v_cmp_ge_f64_e32 vcc, v[12:13], v[0:1]
	s_and_saveexec_b64 s[2:3], vcc
	s_xor_b64 s[4:5], exec, s[2:3]
	s_cbranch_execz .LBB169_380
; %bb.375:
	v_cmp_neq_f64_e32 vcc, 0, v[10:11]
	v_cmp_neq_f64_e64 s[2:3], 0, v[2:3]
	s_or_b64 s[2:3], vcc, s[2:3]
                                        ; implicit-def: $vgpr6_vgpr7
	s_and_saveexec_b64 s[8:9], s[2:3]
	s_xor_b64 s[2:3], exec, s[8:9]
	s_cbranch_execz .LBB169_377
; %bb.376:
	v_div_scale_f64 v[0:1], s[8:9], v[10:11], v[10:11], v[2:3]
	v_rcp_f64_e32 v[4:5], v[0:1]
	v_div_scale_f64 v[6:7], vcc, v[2:3], v[10:11], v[2:3]
	v_fma_f64 v[12:13], -v[0:1], v[4:5], 1.0
	v_fmac_f64_e32 v[4:5], v[4:5], v[12:13]
	v_fma_f64 v[12:13], -v[0:1], v[4:5], 1.0
	v_fmac_f64_e32 v[4:5], v[4:5], v[12:13]
	v_mul_f64 v[12:13], v[6:7], v[4:5]
	v_fma_f64 v[0:1], -v[0:1], v[12:13], v[6:7]
	v_div_fmas_f64 v[0:1], v[0:1], v[4:5], v[12:13]
	v_div_fixup_f64 v[0:1], v[0:1], v[10:11], v[2:3]
	v_fmac_f64_e32 v[10:11], v[2:3], v[0:1]
	v_div_scale_f64 v[2:3], s[8:9], v[10:11], v[10:11], 1.0
	v_rcp_f64_e32 v[4:5], v[2:3]
	s_nop 0
	v_fma_f64 v[6:7], -v[2:3], v[4:5], 1.0
	v_fmac_f64_e32 v[4:5], v[4:5], v[6:7]
	v_fma_f64 v[6:7], -v[2:3], v[4:5], 1.0
	v_fmac_f64_e32 v[4:5], v[4:5], v[6:7]
	v_div_scale_f64 v[6:7], vcc, 1.0, v[10:11], 1.0
	v_mul_f64 v[12:13], v[6:7], v[4:5]
	v_fma_f64 v[2:3], -v[2:3], v[12:13], v[6:7]
	s_nop 1
	v_div_fmas_f64 v[2:3], v[2:3], v[4:5], v[12:13]
	v_div_fixup_f64 v[2:3], v[2:3], v[10:11], 1.0
	v_fma_f64 v[4:5], v[0:1], 0, 1.0
	v_add_f64 v[0:1], -v[0:1], 0
	v_mul_f64 v[4:5], v[4:5], v[2:3]
	v_mul_f64 v[6:7], v[0:1], v[2:3]
                                        ; implicit-def: $vgpr12_vgpr13
                                        ; implicit-def: $vgpr0_vgpr1
.LBB169_377:
	s_andn2_saveexec_b64 s[2:3], s[2:3]
	s_cbranch_execz .LBB169_379
; %bb.378:
	v_div_scale_f64 v[2:3], s[8:9], v[12:13], v[12:13], 1.0
	v_rcp_f64_e32 v[4:5], v[2:3]
	v_div_scale_f64 v[6:7], vcc, 1.0, v[12:13], 1.0
	v_fma_f64 v[10:11], -v[2:3], v[4:5], 1.0
	v_fmac_f64_e32 v[4:5], v[4:5], v[10:11]
	v_fma_f64 v[10:11], -v[2:3], v[4:5], 1.0
	v_fmac_f64_e32 v[4:5], v[4:5], v[10:11]
	v_mul_f64 v[10:11], v[6:7], v[4:5]
	v_fma_f64 v[2:3], -v[2:3], v[10:11], v[6:7]
	v_div_scale_f64 v[6:7], s[8:9], v[0:1], v[0:1], 0
	v_rcp_f64_e32 v[14:15], v[6:7]
	v_div_fmas_f64 v[2:3], v[2:3], v[4:5], v[10:11]
	v_div_fixup_f64 v[4:5], v[2:3], v[12:13], 1.0
	v_fma_f64 v[2:3], -v[6:7], v[14:15], 1.0
	v_fmac_f64_e32 v[14:15], v[14:15], v[2:3]
	v_fma_f64 v[2:3], -v[6:7], v[14:15], 1.0
	v_fmac_f64_e32 v[14:15], v[14:15], v[2:3]
	v_div_scale_f64 v[2:3], vcc, 0, v[0:1], 0
	v_mul_f64 v[10:11], v[2:3], v[14:15]
	v_fma_f64 v[2:3], -v[6:7], v[10:11], v[2:3]
	s_nop 1
	v_div_fmas_f64 v[2:3], v[2:3], v[14:15], v[10:11]
	v_div_fixup_f64 v[6:7], v[2:3], v[0:1], 0
.LBB169_379:
	s_or_b64 exec, exec, s[2:3]
                                        ; implicit-def: $vgpr2_vgpr3
                                        ; implicit-def: $vgpr10_vgpr11
.LBB169_380:
	s_andn2_saveexec_b64 s[2:3], s[4:5]
	s_cbranch_execz .LBB169_382
; %bb.381:
	v_div_scale_f64 v[0:1], s[4:5], v[2:3], v[2:3], v[10:11]
	v_rcp_f64_e32 v[4:5], v[0:1]
	v_div_scale_f64 v[6:7], vcc, v[10:11], v[2:3], v[10:11]
	v_fma_f64 v[12:13], -v[0:1], v[4:5], 1.0
	v_fmac_f64_e32 v[4:5], v[4:5], v[12:13]
	v_fma_f64 v[12:13], -v[0:1], v[4:5], 1.0
	v_fmac_f64_e32 v[4:5], v[4:5], v[12:13]
	v_mul_f64 v[12:13], v[6:7], v[4:5]
	v_fma_f64 v[0:1], -v[0:1], v[12:13], v[6:7]
	v_div_fmas_f64 v[0:1], v[0:1], v[4:5], v[12:13]
	v_div_fixup_f64 v[0:1], v[0:1], v[2:3], v[10:11]
	v_fmac_f64_e32 v[2:3], v[10:11], v[0:1]
	v_div_scale_f64 v[4:5], s[4:5], v[2:3], v[2:3], 1.0
	v_rcp_f64_e32 v[6:7], v[4:5]
	s_nop 0
	v_fma_f64 v[10:11], -v[4:5], v[6:7], 1.0
	v_fmac_f64_e32 v[6:7], v[6:7], v[10:11]
	v_fma_f64 v[10:11], -v[4:5], v[6:7], 1.0
	v_fmac_f64_e32 v[6:7], v[6:7], v[10:11]
	v_div_scale_f64 v[10:11], vcc, 1.0, v[2:3], 1.0
	v_mul_f64 v[12:13], v[10:11], v[6:7]
	v_fma_f64 v[4:5], -v[4:5], v[12:13], v[10:11]
	s_nop 1
	v_div_fmas_f64 v[4:5], v[4:5], v[6:7], v[12:13]
	v_div_fixup_f64 v[2:3], v[4:5], v[2:3], 1.0
	v_add_f64 v[4:5], v[0:1], 0
	v_fma_f64 v[0:1], v[0:1], 0, -1.0
	v_mul_f64 v[4:5], v[4:5], v[2:3]
	v_mul_f64 v[6:7], v[0:1], v[2:3]
.LBB169_382:
	s_or_b64 exec, exec, s[2:3]
	v_mov_b32_e32 v9, 0
	s_and_b32 s12, s73, 0xff
	s_cmp_lt_i32 s12, 11
	v_lshl_add_u64 v[0:1], s[20:21], 0, v[8:9]
	s_cbranch_scc1 .LBB169_389
; %bb.383:
	s_and_b32 s13, 0xffff, s12
	s_cmp_gt_i32 s13, 25
	s_cbranch_scc0 .LBB169_390
; %bb.384:
	s_cmp_gt_i32 s13, 28
	s_cbranch_scc0 .LBB169_391
; %bb.385:
	;; [unrolled: 3-line block ×4, first 2 shown]
	s_mov_b64 s[8:9], 0
	s_mov_b64 s[4:5], -1
	s_cmp_eq_u32 s13, 46
	s_mov_b64 s[2:3], 0
	s_cbranch_scc0 .LBB169_400
; %bb.388:
	v_cvt_f32_f64_e32 v3, v[6:7]
	s_movk_i32 s2, 0x7fff
	v_bfe_u32 v9, v3, 16, 1
	v_cvt_f32_f64_e32 v2, v[4:5]
	v_add3_u32 v9, v3, v9, s2
	v_bfe_u32 v8, v2, 16, 1
	v_and_b32_e32 v9, 0xffff0000, v9
	v_mov_b32_e32 v10, 0x7fc00000
	v_cmp_o_f32_e32 vcc, v3, v3
	v_add3_u32 v8, v2, v8, s2
	s_mov_b64 s[2:3], -1
	v_cndmask_b32_e32 v3, v10, v9, vcc
	v_cmp_o_f32_e32 vcc, v2, v2
	v_mov_b32_e32 v2, 0x7fc0
	s_mov_b64 s[4:5], 0
	v_cndmask_b32_sdwa v2, v2, v8, vcc dst_sel:DWORD dst_unused:UNUSED_PAD src0_sel:DWORD src1_sel:WORD_1
	v_or_b32_e32 v2, v3, v2
	global_store_dword v[0:1], v2, off
	s_branch .LBB169_400
.LBB169_389:
	s_mov_b64 s[8:9], -1
	s_mov_b64 s[2:3], 0
	s_mov_b64 s[4:5], s[54:55]
	s_branch .LBB169_469
.LBB169_390:
	s_mov_b64 s[8:9], -1
	s_mov_b64 s[2:3], 0
	s_mov_b64 s[4:5], s[54:55]
	s_branch .LBB169_427
.LBB169_391:
	s_mov_b64 s[8:9], -1
	s_mov_b64 s[2:3], 0
	s_mov_b64 s[4:5], s[54:55]
	s_branch .LBB169_410
.LBB169_392:
	s_mov_b64 s[8:9], -1
	s_mov_b64 s[2:3], 0
	s_mov_b64 s[4:5], s[54:55]
	s_branch .LBB169_406
.LBB169_393:
	s_andn2_saveexec_b64 s[10:11], s[10:11]
	s_cbranch_execz .LBB169_120
.LBB169_394:
	s_mov_b32 s14, 0x42800000
	v_add_f32_e64 v3, |v2|, s14
	v_and_b32_e32 v3, 0xff, v3
	v_cmp_ne_u32_e32 vcc, 0, v3
	s_andn2_b64 s[8:9], s[8:9], exec
	s_and_b64 s[14:15], vcc, exec
	s_or_b64 s[8:9], s[8:9], s[14:15]
	s_or_b64 exec, exec, s[10:11]
	v_mov_b32_e32 v8, 0
	s_and_saveexec_b64 s[10:11], s[8:9]
	s_cbranch_execnz .LBB169_121
	s_branch .LBB169_122
.LBB169_395:
	s_mov_b64 s[6:7], -1
                                        ; implicit-def: $vgpr2_vgpr3
	s_mov_b64 s[2:3], 0
.LBB169_396:
	s_and_b64 vcc, exec, s[4:5]
	s_cbranch_vccz .LBB169_513
; %bb.397:
	s_cmp_eq_u32 s10, 44
	s_cbranch_scc0 .LBB169_511
; %bb.398:
	global_load_ubyte v2, v[4:5], off
	s_movk_i32 s4, 0xff
	v_bfrev_b32_e32 v3, 4
	v_mov_b32_e32 v6, 0x7ff80000
	v_bfrev_b32_e32 v7, 28
	s_mov_b64 s[2:3], -1
	s_mov_b64 s[6:7], 0
	s_waitcnt vmcnt(0)
	v_lshlrev_b32_e32 v0, 23, v2
	v_cvt_f64_f32_e32 v[0:1], v0
	v_cmp_ne_u32_e32 vcc, s4, v2
	s_nop 1
	v_cndmask_b32_e32 v0, v3, v0, vcc
	v_cndmask_b32_e32 v1, v6, v1, vcc
	v_cmp_ne_u32_e32 vcc, 0, v2
	s_nop 1
	v_cndmask_b32_e32 v1, v7, v1, vcc
	v_cndmask_b32_e32 v0, 0, v0, vcc
	s_branch .LBB169_512
.LBB169_399:
	s_mov_b64 s[8:9], -1
	s_mov_b64 s[2:3], 0
	s_mov_b64 s[4:5], s[54:55]
.LBB169_400:
	s_and_b64 vcc, exec, s[8:9]
	s_cbranch_vccz .LBB169_405
; %bb.401:
	s_cmp_eq_u32 s13, 44
	s_mov_b64 s[4:5], -1
	s_cbranch_scc0 .LBB169_405
; %bb.402:
	v_cvt_f32_f64_e32 v2, v[4:5]
	v_bfe_u32 v3, v2, 23, 8
	s_movk_i32 s2, 0xff
	v_cmp_ne_u32_e32 vcc, s2, v3
	v_mov_b32_e32 v8, 0xff
	s_and_saveexec_b64 s[4:5], vcc
; %bb.403:
	s_mov_b32 s2, 0x3fffff
	v_lshrrev_b32_e32 v8, 23, v2
	v_and_b32_e32 v9, 0x400000, v2
	v_and_or_b32 v2, v2, s2, v3
	v_cmp_ne_u32_e32 vcc, 0, v9
	v_cmp_ne_u32_e64 s[2:3], 0, v2
	s_and_b64 s[2:3], vcc, s[2:3]
	s_nop 0
	v_cndmask_b32_e64 v2, 0, 1, s[2:3]
	v_add_u32_e32 v8, v8, v2
; %bb.404:
	s_or_b64 exec, exec, s[4:5]
	s_mov_b64 s[2:3], -1
	s_mov_b64 s[4:5], 0
	global_store_byte v[0:1], v8, off
.LBB169_405:
	s_mov_b64 s[8:9], 0
.LBB169_406:
	s_and_b64 vcc, exec, s[8:9]
	s_cbranch_vccz .LBB169_409
; %bb.407:
	s_cmp_eq_u32 s13, 29
	s_mov_b64 s[4:5], -1
	s_cbranch_scc0 .LBB169_409
; %bb.408:
	v_trunc_f64_e32 v[2:3], v[4:5]
	s_movk_i32 s2, 0xffe0
	v_ldexp_f64 v[8:9], v[2:3], s2
	v_floor_f64_e32 v[8:9], v[8:9]
	v_fmac_f64_e32 v[2:3], 0xc1f00000, v[8:9]
	v_cvt_u32_f64_e32 v11, v[8:9]
	v_cvt_u32_f64_e32 v10, v[2:3]
	global_store_dwordx2 v[0:1], v[10:11], off
	s_mov_b64 s[2:3], -1
	s_mov_b64 s[4:5], 0
.LBB169_409:
	s_mov_b64 s[8:9], 0
.LBB169_410:
	s_and_b64 vcc, exec, s[8:9]
	s_cbranch_vccz .LBB169_426
; %bb.411:
	s_cmp_lt_i32 s13, 27
	s_mov_b64 s[2:3], -1
	s_cbranch_scc1 .LBB169_417
; %bb.412:
	s_cmp_gt_i32 s13, 27
	v_cvt_u32_f64_e32 v2, v[4:5]
	s_cbranch_scc0 .LBB169_414
; %bb.413:
	s_mov_b64 s[2:3], 0
	global_store_dword v[0:1], v2, off
.LBB169_414:
	s_andn2_b64 vcc, exec, s[2:3]
	s_cbranch_vccnz .LBB169_416
; %bb.415:
	global_store_short v[0:1], v2, off
.LBB169_416:
	s_mov_b64 s[2:3], 0
.LBB169_417:
	s_andn2_b64 vcc, exec, s[2:3]
	s_cbranch_vccnz .LBB169_425
; %bb.418:
	v_cvt_f32_f64_e32 v2, v[4:5]
	v_and_b32_e32 v3, 0x7fffffff, v2
	s_mov_b32 s2, 0x43800000
	v_cmp_gt_u32_e32 vcc, s2, v3
	v_mov_b32_e32 v8, 0x80
	s_and_saveexec_b64 s[2:3], vcc
	s_cbranch_execz .LBB169_424
; %bb.419:
	s_mov_b32 s8, 0x3bffffff
	v_cmp_lt_u32_e32 vcc, s8, v3
	s_mov_b64 s[8:9], 0
                                        ; implicit-def: $vgpr3
	s_and_saveexec_b64 s[10:11], vcc
	s_xor_b64 s[10:11], exec, s[10:11]
	s_cbranch_execz .LBB169_658
; %bb.420:
	v_bfe_u32 v3, v2, 20, 1
	s_mov_b32 s14, 0x487ffff
	v_add3_u32 v3, v2, v3, s14
	s_mov_b64 s[8:9], exec
	v_lshrrev_b32_e32 v3, 20, v3
	s_andn2_saveexec_b64 s[10:11], s[10:11]
	s_cbranch_execnz .LBB169_659
.LBB169_421:
	s_or_b64 exec, exec, s[10:11]
	v_mov_b32_e32 v8, 0
	s_and_saveexec_b64 s[10:11], s[8:9]
.LBB169_422:
	v_lshrrev_b32_e32 v2, 24, v2
	s_movk_i32 s8, 0x80
	v_and_or_b32 v8, v2, s8, v3
.LBB169_423:
	s_or_b64 exec, exec, s[10:11]
.LBB169_424:
	s_or_b64 exec, exec, s[2:3]
	global_store_byte v[0:1], v8, off
.LBB169_425:
	s_mov_b64 s[2:3], -1
.LBB169_426:
	s_mov_b64 s[8:9], 0
.LBB169_427:
	s_and_b64 vcc, exec, s[8:9]
	s_cbranch_vccz .LBB169_468
; %bb.428:
	s_cmp_gt_i32 s13, 22
	s_mov_b64 s[8:9], -1
	s_cbranch_scc0 .LBB169_460
; %bb.429:
	s_cmp_lt_i32 s13, 24
	s_mov_b64 s[2:3], -1
	s_cbranch_scc1 .LBB169_449
; %bb.430:
	s_cmp_gt_i32 s13, 24
	s_cbranch_scc0 .LBB169_438
; %bb.431:
	v_cvt_f32_f64_e32 v2, v[4:5]
	v_and_b32_e32 v3, 0x7fffffff, v2
	s_mov_b32 s2, 0x47800000
	v_cmp_gt_u32_e32 vcc, s2, v3
	v_mov_b32_e32 v8, 0x80
	s_and_saveexec_b64 s[2:3], vcc
	s_cbranch_execz .LBB169_437
; %bb.432:
	s_mov_b32 s8, 0x37ffffff
	v_cmp_lt_u32_e32 vcc, s8, v3
	s_mov_b64 s[8:9], 0
                                        ; implicit-def: $vgpr3
	s_and_saveexec_b64 s[10:11], vcc
	s_xor_b64 s[10:11], exec, s[10:11]
	s_cbranch_execz .LBB169_661
; %bb.433:
	v_bfe_u32 v3, v2, 21, 1
	s_mov_b32 s14, 0x88fffff
	v_add3_u32 v3, v2, v3, s14
	s_mov_b64 s[8:9], exec
	v_lshrrev_b32_e32 v3, 21, v3
	s_andn2_saveexec_b64 s[10:11], s[10:11]
	s_cbranch_execnz .LBB169_662
.LBB169_434:
	s_or_b64 exec, exec, s[10:11]
	v_mov_b32_e32 v8, 0
	s_and_saveexec_b64 s[10:11], s[8:9]
.LBB169_435:
	v_lshrrev_b32_e32 v2, 24, v2
	s_movk_i32 s8, 0x80
	v_and_or_b32 v8, v2, s8, v3
.LBB169_436:
	s_or_b64 exec, exec, s[10:11]
.LBB169_437:
	s_or_b64 exec, exec, s[2:3]
	s_mov_b64 s[2:3], 0
	global_store_byte v[0:1], v8, off
.LBB169_438:
	s_and_b64 vcc, exec, s[2:3]
	s_cbranch_vccz .LBB169_448
; %bb.439:
	v_cvt_f32_f64_e32 v2, v[4:5]
	v_and_b32_e32 v8, 0x7fffffff, v2
	s_mov_b32 s2, 0x43f00000
	v_cmp_gt_u32_e32 vcc, s2, v8
                                        ; implicit-def: $vgpr3
	s_and_saveexec_b64 s[2:3], vcc
	s_xor_b64 s[2:3], exec, s[2:3]
	s_cbranch_execz .LBB169_445
; %bb.440:
	s_mov_b32 s8, 0x3c7fffff
	v_cmp_lt_u32_e32 vcc, s8, v8
                                        ; implicit-def: $vgpr3
	s_and_saveexec_b64 s[8:9], vcc
	s_xor_b64 s[8:9], exec, s[8:9]
; %bb.441:
	v_bfe_u32 v3, v2, 20, 1
	s_mov_b32 s10, 0x407ffff
	v_add3_u32 v3, v2, v3, s10
	v_lshrrev_b32_e32 v8, 20, v3
	v_and_b32_e32 v3, 0xff00000, v3
	s_mov_b32 s10, 0x7f00000
	v_mov_b32_e32 v9, 0x7e
	v_cmp_ne_u32_e32 vcc, s10, v3
	s_nop 1
	v_cndmask_b32_e32 v3, v9, v8, vcc
; %bb.442:
	s_andn2_saveexec_b64 s[8:9], s[8:9]
; %bb.443:
	s_mov_b32 s10, 0x46800000
	v_add_f32_e64 v3, |v2|, s10
; %bb.444:
	s_or_b64 exec, exec, s[8:9]
                                        ; implicit-def: $vgpr8
.LBB169_445:
	s_andn2_saveexec_b64 s[2:3], s[2:3]
; %bb.446:
	s_mov_b32 s8, 0x7f800000
	v_mov_b32_e32 v3, 0x7e
	v_mov_b32_e32 v9, 0x7f
	v_cmp_lt_u32_e32 vcc, s8, v8
	s_nop 1
	v_cndmask_b32_e32 v3, v3, v9, vcc
; %bb.447:
	s_or_b64 exec, exec, s[2:3]
	v_lshrrev_b32_e32 v2, 24, v2
	s_movk_i32 s2, 0x80
	v_and_or_b32 v2, v2, s2, v3
	global_store_byte v[0:1], v2, off
.LBB169_448:
	s_mov_b64 s[2:3], 0
.LBB169_449:
	s_andn2_b64 vcc, exec, s[2:3]
	s_cbranch_vccnz .LBB169_459
; %bb.450:
	v_cvt_f32_f64_e32 v2, v[4:5]
	v_and_b32_e32 v8, 0x7fffffff, v2
	s_mov_b32 s2, 0x47800000
	v_cmp_gt_u32_e32 vcc, s2, v8
                                        ; implicit-def: $vgpr3
	s_and_saveexec_b64 s[2:3], vcc
	s_xor_b64 s[2:3], exec, s[2:3]
	s_cbranch_execz .LBB169_456
; %bb.451:
	s_mov_b32 s8, 0x387fffff
	v_cmp_lt_u32_e32 vcc, s8, v8
                                        ; implicit-def: $vgpr3
	s_and_saveexec_b64 s[8:9], vcc
	s_xor_b64 s[8:9], exec, s[8:9]
; %bb.452:
	v_bfe_u32 v3, v2, 21, 1
	s_mov_b32 s10, 0x80fffff
	v_add3_u32 v3, v2, v3, s10
	v_lshrrev_b32_e32 v3, 21, v3
; %bb.453:
	s_andn2_saveexec_b64 s[8:9], s[8:9]
; %bb.454:
	s_mov_b32 s10, 0x43000000
	v_add_f32_e64 v3, |v2|, s10
; %bb.455:
	s_or_b64 exec, exec, s[8:9]
                                        ; implicit-def: $vgpr8
.LBB169_456:
	s_andn2_saveexec_b64 s[2:3], s[2:3]
; %bb.457:
	s_mov_b32 s8, 0x7f800000
	v_mov_b32_e32 v3, 0x7c
	v_mov_b32_e32 v9, 0x7f
	v_cmp_lt_u32_e32 vcc, s8, v8
	s_nop 1
	v_cndmask_b32_e32 v3, v3, v9, vcc
; %bb.458:
	s_or_b64 exec, exec, s[2:3]
	v_lshrrev_b32_e32 v2, 24, v2
	s_movk_i32 s2, 0x80
	v_and_or_b32 v2, v2, s2, v3
	global_store_byte v[0:1], v2, off
.LBB169_459:
	s_mov_b64 s[8:9], 0
	s_mov_b64 s[2:3], -1
.LBB169_460:
	s_andn2_b64 vcc, exec, s[8:9]
	s_cbranch_vccnz .LBB169_468
; %bb.461:
	s_cmp_gt_i32 s13, 14
	s_mov_b64 s[8:9], -1
	s_cbranch_scc0 .LBB169_465
; %bb.462:
	s_cmp_eq_u32 s13, 15
	s_mov_b64 s[4:5], -1
	s_cbranch_scc0 .LBB169_464
; %bb.463:
	v_cvt_f32_f64_e32 v2, v[4:5]
	v_bfe_u32 v3, v2, 16, 1
	s_movk_i32 s2, 0x7fff
	v_add3_u32 v3, v2, v3, s2
	v_cmp_o_f32_e32 vcc, v2, v2
	v_mov_b32_e32 v2, 0x7fc0
	s_mov_b64 s[2:3], -1
	v_cndmask_b32_sdwa v2, v2, v3, vcc dst_sel:DWORD dst_unused:UNUSED_PAD src0_sel:DWORD src1_sel:WORD_1
	global_store_short v[0:1], v2, off
	s_mov_b64 s[4:5], 0
.LBB169_464:
	s_mov_b64 s[8:9], 0
.LBB169_465:
	s_and_b64 vcc, exec, s[8:9]
	s_cbranch_vccz .LBB169_468
; %bb.466:
	s_cmp_eq_u32 s13, 11
	s_mov_b64 s[4:5], -1
	s_cbranch_scc0 .LBB169_468
; %bb.467:
	v_cmp_neq_f64_e32 vcc, 0, v[4:5]
	v_cmp_neq_f64_e64 s[2:3], 0, v[6:7]
	s_or_b64 s[2:3], vcc, s[2:3]
	s_mov_b64 s[4:5], 0
	v_cndmask_b32_e64 v2, 0, 1, s[2:3]
	s_mov_b64 s[2:3], -1
	global_store_byte v[0:1], v2, off
.LBB169_468:
	s_mov_b64 s[8:9], 0
.LBB169_469:
	s_and_b64 vcc, exec, s[8:9]
	s_cbranch_vccz .LBB169_508
; %bb.470:
	s_and_b32 s8, 0xffff, s12
	s_cmp_lt_i32 s8, 5
	s_mov_b64 s[2:3], -1
	s_cbranch_scc1 .LBB169_491
; %bb.471:
	s_cmp_lt_i32 s8, 8
	s_cbranch_scc1 .LBB169_481
; %bb.472:
	s_cmp_lt_i32 s8, 9
	s_cbranch_scc1 .LBB169_478
; %bb.473:
	s_cmp_gt_i32 s8, 9
	s_cbranch_scc0 .LBB169_475
; %bb.474:
	s_mov_b64 s[2:3], 0
	global_store_dwordx4 v[0:1], v[4:7], off
.LBB169_475:
	s_andn2_b64 vcc, exec, s[2:3]
	s_cbranch_vccnz .LBB169_477
; %bb.476:
	v_cvt_f32_f64_e32 v2, v[4:5]
	v_cvt_f32_f64_e32 v3, v[6:7]
	global_store_dwordx2 v[0:1], v[2:3], off
.LBB169_477:
	s_mov_b64 s[2:3], 0
.LBB169_478:
	s_andn2_b64 vcc, exec, s[2:3]
	s_cbranch_vccnz .LBB169_480
; %bb.479:
	s_movk_i32 s2, 0x1ff
	v_and_or_b32 v2, v5, s2, v4
	v_cmp_ne_u32_e32 vcc, 0, v2
	v_lshrrev_b32_e32 v3, 8, v5
	s_movk_i32 s3, 0xffe
	v_cndmask_b32_e64 v2, 0, 1, vcc
	v_bfe_u32 v8, v5, 20, 11
	v_and_or_b32 v2, v3, s3, v2
	v_sub_u32_e32 v9, 0x3f1, v8
	v_or_b32_e32 v3, 0x1000, v2
	v_med3_i32 v9, v9, 0, 13
	v_lshrrev_b32_e32 v10, v9, v3
	v_lshlrev_b32_e32 v9, v9, v10
	v_cmp_ne_u32_e32 vcc, v9, v3
	v_add_u32_e32 v8, 0xfffffc10, v8
	v_lshl_or_b32 v9, v8, 12, v2
	v_cndmask_b32_e64 v3, 0, 1, vcc
	v_or_b32_e32 v3, v10, v3
	v_cmp_gt_i32_e32 vcc, 1, v8
	s_movk_i32 s9, 0x40f
	v_and_or_b32 v6, v7, s2, v6
	v_cndmask_b32_e32 v3, v9, v3, vcc
	v_and_b32_e32 v9, 7, v3
	v_cmp_lt_i32_e32 vcc, 5, v9
	v_lshrrev_b32_e32 v3, 2, v3
	v_bfe_u32 v11, v7, 20, 11
	v_cndmask_b32_e64 v10, 0, 1, vcc
	v_cmp_eq_u32_e32 vcc, 3, v9
	v_sub_u32_e32 v12, 0x3f1, v11
	v_med3_i32 v12, v12, 0, 13
	v_cndmask_b32_e64 v9, 0, 1, vcc
	v_or_b32_e32 v9, v9, v10
	v_add_u32_e32 v3, v3, v9
	v_mov_b32_e32 v9, 0x7c00
	v_cmp_gt_i32_e32 vcc, 31, v8
	v_mov_b32_e32 v10, 0x7e00
	v_add_u32_e32 v11, 0xfffffc10, v11
	v_cndmask_b32_e32 v3, v9, v3, vcc
	v_cmp_ne_u32_e32 vcc, 0, v2
	s_mov_b32 s10, 0x8000
	s_mov_b32 s2, 0xffff
	v_cndmask_b32_e32 v2, v9, v10, vcc
	v_cmp_eq_u32_e32 vcc, s9, v8
	v_lshrrev_b32_e32 v8, 8, v7
	v_lshrrev_b32_e32 v7, 16, v7
	v_cndmask_b32_e32 v2, v3, v2, vcc
	v_cmp_ne_u32_e32 vcc, 0, v6
	v_and_b32_sdwa v3, v5, s10 dst_sel:DWORD dst_unused:UNUSED_PAD src0_sel:WORD_1 src1_sel:DWORD
	v_bitop3_b32 v2, v3, s2, v2 bitop3:0xc8
	v_cndmask_b32_e64 v6, 0, 1, vcc
	v_and_or_b32 v6, v8, s3, v6
	v_or_b32_e32 v8, 0x1000, v6
	v_lshrrev_b32_e32 v13, v12, v8
	v_lshlrev_b32_e32 v12, v12, v13
	v_cmp_ne_u32_e32 vcc, v12, v8
	v_lshl_or_b32 v12, v11, 12, v6
	s_nop 0
	v_cndmask_b32_e64 v8, 0, 1, vcc
	v_or_b32_e32 v8, v13, v8
	v_cmp_gt_i32_e32 vcc, 1, v11
	s_nop 1
	v_cndmask_b32_e32 v8, v12, v8, vcc
	v_and_b32_e32 v12, 7, v8
	v_cmp_lt_i32_e32 vcc, 5, v12
	v_lshrrev_b32_e32 v8, 2, v8
	s_nop 0
	v_cndmask_b32_e64 v13, 0, 1, vcc
	v_cmp_eq_u32_e32 vcc, 3, v12
	s_nop 1
	v_cndmask_b32_e64 v12, 0, 1, vcc
	v_or_b32_e32 v12, v12, v13
	v_add_u32_e32 v8, v8, v12
	v_cmp_gt_i32_e32 vcc, 31, v11
	s_nop 1
	v_cndmask_b32_e32 v8, v9, v8, vcc
	v_cmp_ne_u32_e32 vcc, 0, v6
	s_nop 1
	v_cndmask_b32_e32 v6, v9, v10, vcc
	v_cmp_eq_u32_e32 vcc, s9, v11
	s_nop 1
	v_cndmask_b32_e32 v6, v8, v6, vcc
	v_and_or_b32 v6, v7, s10, v6
	v_lshl_or_b32 v2, v6, 16, v2
	global_store_dword v[0:1], v2, off
.LBB169_480:
	s_mov_b64 s[2:3], 0
.LBB169_481:
	s_andn2_b64 vcc, exec, s[2:3]
	s_cbranch_vccnz .LBB169_490
; %bb.482:
	s_cmp_lt_i32 s8, 6
	s_mov_b64 s[2:3], -1
	s_cbranch_scc1 .LBB169_488
; %bb.483:
	s_cmp_gt_i32 s8, 6
	s_cbranch_scc0 .LBB169_485
; %bb.484:
	s_mov_b64 s[2:3], 0
	global_store_dwordx2 v[0:1], v[4:5], off
.LBB169_485:
	s_andn2_b64 vcc, exec, s[2:3]
	s_cbranch_vccnz .LBB169_487
; %bb.486:
	v_cvt_f32_f64_e32 v2, v[4:5]
	global_store_dword v[0:1], v2, off
.LBB169_487:
	s_mov_b64 s[2:3], 0
.LBB169_488:
	s_andn2_b64 vcc, exec, s[2:3]
	s_cbranch_vccnz .LBB169_490
; %bb.489:
	s_movk_i32 s2, 0x1ff
	v_and_or_b32 v2, v5, s2, v4
	v_cmp_ne_u32_e32 vcc, 0, v2
	v_lshrrev_b32_e32 v3, 8, v5
	s_movk_i32 s2, 0xffe
	v_cndmask_b32_e64 v2, 0, 1, vcc
	v_bfe_u32 v6, v5, 20, 11
	v_and_or_b32 v2, v3, s2, v2
	v_sub_u32_e32 v7, 0x3f1, v6
	v_or_b32_e32 v3, 0x1000, v2
	v_med3_i32 v7, v7, 0, 13
	v_lshrrev_b32_e32 v8, v7, v3
	v_lshlrev_b32_e32 v7, v7, v8
	v_cmp_ne_u32_e32 vcc, v7, v3
	v_add_u32_e32 v6, 0xfffffc10, v6
	v_lshl_or_b32 v7, v6, 12, v2
	v_cndmask_b32_e64 v3, 0, 1, vcc
	v_or_b32_e32 v3, v8, v3
	v_cmp_gt_i32_e32 vcc, 1, v6
	s_movk_i32 s2, 0x40f
	s_nop 0
	v_cndmask_b32_e32 v3, v7, v3, vcc
	v_and_b32_e32 v7, 7, v3
	v_cmp_lt_i32_e32 vcc, 5, v7
	v_lshrrev_b32_e32 v3, 2, v3
	s_nop 0
	v_cndmask_b32_e64 v8, 0, 1, vcc
	v_cmp_eq_u32_e32 vcc, 3, v7
	s_nop 1
	v_cndmask_b32_e64 v7, 0, 1, vcc
	v_or_b32_e32 v7, v7, v8
	v_add_u32_e32 v3, v3, v7
	v_mov_b32_e32 v7, 0x7c00
	v_cmp_gt_i32_e32 vcc, 31, v6
	v_mov_b32_e32 v8, 0x7e00
	s_nop 0
	v_cndmask_b32_e32 v3, v7, v3, vcc
	v_cmp_ne_u32_e32 vcc, 0, v2
	s_nop 1
	v_cndmask_b32_e32 v2, v7, v8, vcc
	v_cmp_eq_u32_e32 vcc, s2, v6
	s_mov_b32 s2, 0x8000
	s_nop 0
	v_cndmask_b32_e32 v2, v3, v2, vcc
	v_lshrrev_b32_e32 v3, 16, v5
	v_and_or_b32 v2, v3, s2, v2
	global_store_short v[0:1], v2, off
.LBB169_490:
	s_mov_b64 s[2:3], 0
.LBB169_491:
	s_andn2_b64 vcc, exec, s[2:3]
	s_cbranch_vccnz .LBB169_507
; %bb.492:
	s_cmp_lt_i32 s8, 2
	s_mov_b64 s[2:3], -1
	s_cbranch_scc1 .LBB169_502
; %bb.493:
	s_cmp_lt_i32 s8, 3
	s_cbranch_scc1 .LBB169_499
; %bb.494:
	s_cmp_gt_i32 s8, 3
	s_cbranch_scc0 .LBB169_496
; %bb.495:
	v_trunc_f64_e32 v[2:3], v[4:5]
	s_movk_i32 s2, 0xffe0
	v_ldexp_f64 v[6:7], v[2:3], s2
	v_floor_f64_e32 v[6:7], v[6:7]
	v_fmac_f64_e32 v[2:3], 0xc1f00000, v[6:7]
	v_cvt_i32_f64_e32 v9, v[6:7]
	v_cvt_u32_f64_e32 v8, v[2:3]
	s_mov_b64 s[2:3], 0
	global_store_dwordx2 v[0:1], v[8:9], off
.LBB169_496:
	s_andn2_b64 vcc, exec, s[2:3]
	s_cbranch_vccnz .LBB169_498
; %bb.497:
	v_cvt_i32_f64_e32 v2, v[4:5]
	global_store_dword v[0:1], v2, off
.LBB169_498:
	s_mov_b64 s[2:3], 0
.LBB169_499:
	s_andn2_b64 vcc, exec, s[2:3]
	s_cbranch_vccnz .LBB169_501
; %bb.500:
	v_cvt_i32_f64_e32 v2, v[4:5]
	global_store_short v[0:1], v2, off
.LBB169_501:
	s_mov_b64 s[2:3], 0
.LBB169_502:
	s_andn2_b64 vcc, exec, s[2:3]
	s_cbranch_vccnz .LBB169_507
; %bb.503:
	s_cmp_gt_i32 s8, 0
	s_mov_b64 s[2:3], -1
	s_cbranch_scc0 .LBB169_505
; %bb.504:
	v_cvt_i32_f64_e32 v2, v[4:5]
	s_mov_b64 s[2:3], 0
	global_store_byte v[0:1], v2, off
.LBB169_505:
	s_andn2_b64 vcc, exec, s[2:3]
	s_cbranch_vccnz .LBB169_507
; %bb.506:
	v_trunc_f64_e32 v[2:3], v[4:5]
	s_movk_i32 s2, 0xffe0
	v_ldexp_f64 v[4:5], v[2:3], s2
	v_floor_f64_e32 v[4:5], v[4:5]
	v_fmac_f64_e32 v[2:3], 0xc1f00000, v[4:5]
	v_cvt_u32_f64_e32 v2, v[2:3]
	global_store_byte v[0:1], v2, off
.LBB169_507:
	s_mov_b64 s[2:3], -1
.LBB169_508:
	s_andn2_b64 vcc, exec, s[2:3]
	s_cbranch_vccnz .LBB169_510
; %bb.509:
	v_add_u32_e32 v16, 0x80, v16
	s_mov_b64 s[2:3], -1
	s_branch .LBB169_628
.LBB169_510:
	s_mov_b64 s[2:3], 0
	s_branch .LBB169_627
.LBB169_511:
	s_mov_b64 s[6:7], -1
                                        ; implicit-def: $vgpr0_vgpr1
.LBB169_512:
	v_mov_b64_e32 v[2:3], 0
.LBB169_513:
	s_mov_b64 s[4:5], 0
.LBB169_514:
	s_and_b64 vcc, exec, s[4:5]
	s_cbranch_vccz .LBB169_519
; %bb.515:
	s_cmp_eq_u32 s10, 29
	s_cbranch_scc0 .LBB169_517
; %bb.516:
	global_load_dwordx2 v[0:1], v[4:5], off
	s_mov_b64 s[2:3], -1
	s_mov_b64 s[6:7], 0
	s_waitcnt vmcnt(0)
	v_cvt_f64_u32_e32 v[2:3], v1
	v_cvt_f64_u32_e32 v[0:1], v0
	v_ldexp_f64 v[2:3], v[2:3], 32
	v_add_f64 v[0:1], v[2:3], v[0:1]
	s_branch .LBB169_518
.LBB169_517:
	s_mov_b64 s[6:7], -1
                                        ; implicit-def: $vgpr0_vgpr1
.LBB169_518:
	v_mov_b64_e32 v[2:3], 0
.LBB169_519:
	s_mov_b64 s[4:5], 0
.LBB169_520:
	s_and_b64 vcc, exec, s[4:5]
	s_cbranch_vccz .LBB169_540
; %bb.521:
	s_cmp_lt_i32 s10, 27
	s_cbranch_scc1 .LBB169_524
; %bb.522:
	s_cmp_gt_i32 s10, 27
	s_cbranch_scc0 .LBB169_525
; %bb.523:
	global_load_dword v0, v[4:5], off
	s_mov_b64 s[2:3], 0
	s_waitcnt vmcnt(0)
	v_cvt_f64_u32_e32 v[0:1], v0
	s_branch .LBB169_526
.LBB169_524:
	s_mov_b64 s[2:3], -1
                                        ; implicit-def: $vgpr0_vgpr1
	s_branch .LBB169_529
.LBB169_525:
	s_mov_b64 s[2:3], -1
                                        ; implicit-def: $vgpr0_vgpr1
.LBB169_526:
	s_andn2_b64 vcc, exec, s[2:3]
	s_cbranch_vccnz .LBB169_528
; %bb.527:
	global_load_ushort v0, v[4:5], off
	s_waitcnt vmcnt(0)
	v_cvt_f64_u32_e32 v[0:1], v0
.LBB169_528:
	s_mov_b64 s[2:3], 0
.LBB169_529:
	s_andn2_b64 vcc, exec, s[2:3]
	s_cbranch_vccnz .LBB169_539
; %bb.530:
	global_load_ubyte v2, v[4:5], off
	s_movk_i32 s2, 0x7f
	s_waitcnt vmcnt(0)
	v_cmp_lt_i16_e32 vcc, s2, v2
	s_mov_b64 s[2:3], 0
	s_and_saveexec_b64 s[4:5], vcc
	s_xor_b64 s[4:5], exec, s[4:5]
	s_cbranch_execz .LBB169_534
; %bb.531:
	s_movk_i32 s2, 0x80
	v_cmp_eq_u16_e32 vcc, s2, v2
	s_mov_b64 s[2:3], -1
	s_and_saveexec_b64 s[8:9], vcc
; %bb.532:
	s_xor_b64 s[2:3], exec, -1
; %bb.533:
	s_or_b64 exec, exec, s[8:9]
	s_and_b64 s[2:3], s[2:3], exec
.LBB169_534:
	s_or_saveexec_b64 s[4:5], s[4:5]
	v_bfrev_b32_e32 v0, 4
	v_mov_b32_e32 v1, 0x7ff80000
	s_xor_b64 exec, exec, s[4:5]
; %bb.535:
	v_cmp_ne_u16_e32 vcc, 0, v2
	s_andn2_b64 s[2:3], s[2:3], exec
	s_and_b64 s[8:9], vcc, exec
	v_mov_b64_e32 v[0:1], 0
	s_or_b64 s[2:3], s[2:3], s[8:9]
; %bb.536:
	s_or_b64 exec, exec, s[4:5]
	s_and_saveexec_b64 s[4:5], s[2:3]
	s_cbranch_execz .LBB169_538
; %bb.537:
	v_and_b32_e32 v1, 0xffff, v2
	v_lshlrev_b32_e32 v0, 24, v2
	v_and_b32_e32 v2, 7, v1
	v_ffbh_u32_e32 v6, v2
	v_min_u32_e32 v6, 32, v6
	v_subrev_u32_e32 v7, 28, v6
	v_bfe_u32 v3, v1, 3, 4
	v_lshlrev_b32_e32 v1, v7, v1
	v_sub_u32_e32 v6, 29, v6
	v_and_b32_e32 v1, 7, v1
	v_cmp_eq_u32_e32 vcc, 0, v3
	v_and_b32_e32 v0, 0x80000000, v0
	s_nop 0
	v_cndmask_b32_e32 v3, v3, v6, vcc
	v_cndmask_b32_e32 v1, v2, v1, vcc
	v_mov_b32_e32 v2, 0x3b800000
	v_lshlrev_b32_e32 v1, 20, v1
	v_lshl_add_u32 v2, v3, 23, v2
	v_or3_b32 v0, v0, v2, v1
	v_cvt_f64_f32_e32 v[0:1], v0
.LBB169_538:
	s_or_b64 exec, exec, s[4:5]
.LBB169_539:
	s_mov_b64 s[2:3], -1
	v_mov_b64_e32 v[2:3], 0
.LBB169_540:
	s_mov_b64 s[4:5], 0
.LBB169_541:
	s_and_b64 vcc, exec, s[4:5]
	s_cbranch_vccz .LBB169_575
; %bb.542:
	s_cmp_gt_i32 s10, 22
	s_cbranch_scc0 .LBB169_554
; %bb.543:
	s_cmp_lt_i32 s10, 24
	s_cbranch_scc1 .LBB169_555
; %bb.544:
	s_cmp_gt_i32 s10, 24
	s_cbranch_scc0 .LBB169_556
; %bb.545:
	global_load_ubyte v2, v[4:5], off
	s_movk_i32 s2, 0x7f
	s_waitcnt vmcnt(0)
	v_cmp_lt_i16_e32 vcc, s2, v2
	s_mov_b64 s[2:3], 0
	s_and_saveexec_b64 s[4:5], vcc
	s_xor_b64 s[4:5], exec, s[4:5]
	s_cbranch_execz .LBB169_549
; %bb.546:
	s_movk_i32 s2, 0x80
	v_cmp_eq_u16_e32 vcc, s2, v2
	s_mov_b64 s[2:3], -1
	s_and_saveexec_b64 s[8:9], vcc
; %bb.547:
	s_xor_b64 s[2:3], exec, -1
; %bb.548:
	s_or_b64 exec, exec, s[8:9]
	s_and_b64 s[2:3], s[2:3], exec
.LBB169_549:
	s_or_saveexec_b64 s[4:5], s[4:5]
	v_bfrev_b32_e32 v0, 4
	v_mov_b32_e32 v1, 0x7ff80000
	s_xor_b64 exec, exec, s[4:5]
; %bb.550:
	v_cmp_ne_u16_e32 vcc, 0, v2
	s_andn2_b64 s[2:3], s[2:3], exec
	s_and_b64 s[8:9], vcc, exec
	v_mov_b64_e32 v[0:1], 0
	s_or_b64 s[2:3], s[2:3], s[8:9]
; %bb.551:
	s_or_b64 exec, exec, s[4:5]
	s_and_saveexec_b64 s[4:5], s[2:3]
	s_cbranch_execz .LBB169_553
; %bb.552:
	v_and_b32_e32 v1, 0xffff, v2
	v_lshlrev_b32_e32 v0, 24, v2
	v_and_b32_e32 v2, 3, v1
	v_ffbh_u32_e32 v6, v2
	v_min_u32_e32 v6, 32, v6
	v_subrev_u32_e32 v7, 29, v6
	v_bfe_u32 v3, v1, 2, 5
	v_lshlrev_b32_e32 v1, v7, v1
	v_sub_u32_e32 v6, 30, v6
	v_and_b32_e32 v1, 3, v1
	v_cmp_eq_u32_e32 vcc, 0, v3
	v_and_b32_e32 v0, 0x80000000, v0
	s_nop 0
	v_cndmask_b32_e32 v3, v3, v6, vcc
	v_cndmask_b32_e32 v1, v2, v1, vcc
	v_mov_b32_e32 v2, 0x37800000
	v_lshlrev_b32_e32 v1, 21, v1
	v_lshl_add_u32 v2, v3, 23, v2
	v_or3_b32 v0, v0, v2, v1
	v_cvt_f64_f32_e32 v[0:1], v0
.LBB169_553:
	s_or_b64 exec, exec, s[4:5]
	s_mov_b64 s[2:3], 0
	s_branch .LBB169_557
.LBB169_554:
	s_mov_b64 s[4:5], -1
                                        ; implicit-def: $vgpr0_vgpr1
	s_branch .LBB169_563
.LBB169_555:
	s_mov_b64 s[2:3], -1
                                        ; implicit-def: $vgpr0_vgpr1
	s_branch .LBB169_560
.LBB169_556:
	s_mov_b64 s[2:3], -1
                                        ; implicit-def: $vgpr0_vgpr1
.LBB169_557:
	s_and_b64 vcc, exec, s[2:3]
	s_cbranch_vccz .LBB169_559
; %bb.558:
	global_load_ubyte v0, v[4:5], off
	s_mov_b32 s2, 0x7f800000
	s_waitcnt vmcnt(0)
	v_lshlrev_b32_e32 v0, 24, v0
	v_and_b32_e32 v1, 0x7f000000, v0
	v_ffbh_u32_e32 v2, v1
	v_min_u32_e32 v2, 32, v2
	v_sub_u32_e64 v2, v2, 4 clamp
	v_lshlrev_b32_e32 v6, v2, v1
	v_lshlrev_b32_e32 v2, 23, v2
	v_lshrrev_b32_e32 v6, 4, v6
	v_add_u32_e32 v3, 0x1000000, v1
	v_sub_u32_e32 v2, v6, v2
	v_ashrrev_i32_e32 v3, 8, v3
	v_add_u32_e32 v2, 0x3c000000, v2
	v_and_or_b32 v2, v3, s2, v2
	v_cmp_ne_u32_e32 vcc, 0, v1
	s_brev_b32 s2, 1
	s_nop 0
	v_cndmask_b32_e32 v1, 0, v2, vcc
	v_and_or_b32 v0, v0, s2, v1
	v_cvt_f64_f32_e32 v[0:1], v0
.LBB169_559:
	s_mov_b64 s[2:3], 0
.LBB169_560:
	s_andn2_b64 vcc, exec, s[2:3]
	s_cbranch_vccnz .LBB169_562
; %bb.561:
	global_load_ubyte v0, v[4:5], off
	s_movk_i32 s2, 0x7f00
	s_brev_b32 s3, 16
	s_waitcnt vmcnt(0)
	v_lshlrev_b16_e32 v1, 8, v0
	v_lshlrev_b32_e32 v0, 25, v0
	v_lshrrev_b32_e32 v2, 4, v0
	v_and_or_b32 v3, v1, s2, 0.5
	v_or_b32_e32 v2, 0x70000000, v2
	v_add_f32_e32 v3, -0.5, v3
	v_mul_f32_e32 v2, 0x7800000, v2
	v_cmp_gt_u32_e32 vcc, s3, v0
	v_bfe_i32 v1, v1, 0, 16
	s_brev_b32 s2, 1
	v_cndmask_b32_e32 v0, v2, v3, vcc
	v_and_or_b32 v0, v1, s2, v0
	v_cvt_f64_f32_e32 v[0:1], v0
.LBB169_562:
	s_mov_b64 s[4:5], 0
	s_mov_b64 s[2:3], -1
.LBB169_563:
	s_andn2_b64 vcc, exec, s[4:5]
	s_cbranch_vccnz .LBB169_574
; %bb.564:
	s_cmp_gt_i32 s10, 14
	s_cbranch_scc0 .LBB169_567
; %bb.565:
	s_cmp_eq_u32 s10, 15
	s_cbranch_scc0 .LBB169_568
; %bb.566:
	global_load_ushort v0, v[4:5], off
	s_mov_b64 s[2:3], -1
	s_mov_b64 s[6:7], 0
	s_waitcnt vmcnt(0)
	v_lshlrev_b32_e32 v0, 16, v0
	v_cvt_f64_f32_e32 v[0:1], v0
	s_branch .LBB169_569
.LBB169_567:
	s_mov_b64 s[4:5], -1
                                        ; implicit-def: $vgpr0_vgpr1
	s_branch .LBB169_570
.LBB169_568:
	s_mov_b64 s[6:7], -1
                                        ; implicit-def: $vgpr0_vgpr1
.LBB169_569:
	s_mov_b64 s[4:5], 0
.LBB169_570:
	s_and_b64 vcc, exec, s[4:5]
	s_cbranch_vccz .LBB169_574
; %bb.571:
	s_cmp_eq_u32 s10, 11
	s_cbranch_scc0 .LBB169_573
; %bb.572:
	global_load_ubyte v1, v[4:5], off
	v_mov_b32_e32 v2, 0x3ff00000
	v_mov_b32_e32 v0, 0
	s_mov_b64 s[2:3], -1
	s_mov_b64 s[6:7], 0
	s_waitcnt vmcnt(0)
	v_cmp_ne_u16_e32 vcc, 0, v1
	s_nop 1
	v_cndmask_b32_e32 v1, 0, v2, vcc
	s_branch .LBB169_574
.LBB169_573:
	s_mov_b64 s[6:7], -1
                                        ; implicit-def: $vgpr0_vgpr1
.LBB169_574:
	v_mov_b64_e32 v[2:3], 0
.LBB169_575:
	s_branch .LBB169_337
.LBB169_576:
	s_cmp_lt_i32 s10, 5
	s_cbranch_scc1 .LBB169_581
; %bb.577:
	s_cmp_lt_i32 s10, 8
	s_cbranch_scc1 .LBB169_582
; %bb.578:
	;; [unrolled: 3-line block ×3, first 2 shown]
	s_cmp_gt_i32 s10, 9
	s_cbranch_scc0 .LBB169_584
; %bb.580:
	global_load_dwordx4 v[0:3], v[4:5], off
	s_mov_b64 s[2:3], 0
	s_branch .LBB169_585
.LBB169_581:
	s_mov_b64 s[2:3], -1
                                        ; implicit-def: $vgpr2_vgpr3
	s_branch .LBB169_604
.LBB169_582:
	s_mov_b64 s[2:3], -1
                                        ; implicit-def: $vgpr2_vgpr3
	s_branch .LBB169_591
.LBB169_583:
	s_mov_b64 s[2:3], -1
                                        ; implicit-def: $vgpr2_vgpr3
	s_branch .LBB169_588
.LBB169_584:
	s_mov_b64 s[2:3], -1
                                        ; implicit-def: $vgpr2_vgpr3
.LBB169_585:
	s_andn2_b64 vcc, exec, s[2:3]
	s_cbranch_vccnz .LBB169_587
; %bb.586:
	global_load_dwordx2 v[2:3], v[4:5], off
	s_waitcnt vmcnt(0)
	v_cvt_f64_f32_e32 v[0:1], v2
	v_cvt_f64_f32_e32 v[2:3], v3
.LBB169_587:
	s_mov_b64 s[2:3], 0
.LBB169_588:
	s_andn2_b64 vcc, exec, s[2:3]
	s_cbranch_vccnz .LBB169_590
; %bb.589:
	global_load_dword v0, v[4:5], off
	s_waitcnt vmcnt(0)
	v_cvt_f32_f16_e32 v1, v0
	v_cvt_f32_f16_sdwa v2, v0 dst_sel:DWORD dst_unused:UNUSED_PAD src0_sel:WORD_1
	v_cvt_f64_f32_e32 v[0:1], v1
	v_cvt_f64_f32_e32 v[2:3], v2
.LBB169_590:
	s_mov_b64 s[2:3], 0
.LBB169_591:
	s_andn2_b64 vcc, exec, s[2:3]
	s_cbranch_vccnz .LBB169_603
; %bb.592:
	s_cmp_lt_i32 s10, 6
	s_cbranch_scc1 .LBB169_595
; %bb.593:
	s_cmp_gt_i32 s10, 6
	s_cbranch_scc0 .LBB169_596
; %bb.594:
	global_load_dwordx2 v[0:1], v[4:5], off
	s_mov_b64 s[2:3], 0
	s_branch .LBB169_597
.LBB169_595:
	s_mov_b64 s[2:3], -1
                                        ; implicit-def: $vgpr0_vgpr1
	s_branch .LBB169_600
.LBB169_596:
	s_mov_b64 s[2:3], -1
                                        ; implicit-def: $vgpr0_vgpr1
.LBB169_597:
	s_andn2_b64 vcc, exec, s[2:3]
	s_cbranch_vccnz .LBB169_599
; %bb.598:
	global_load_dword v0, v[4:5], off
	s_waitcnt vmcnt(0)
	v_cvt_f64_f32_e32 v[0:1], v0
.LBB169_599:
	s_mov_b64 s[2:3], 0
.LBB169_600:
	s_andn2_b64 vcc, exec, s[2:3]
	s_cbranch_vccnz .LBB169_602
; %bb.601:
	global_load_ushort v0, v[4:5], off
	s_waitcnt vmcnt(0)
	v_cvt_f32_f16_e32 v0, v0
	v_cvt_f64_f32_e32 v[0:1], v0
.LBB169_602:
	s_waitcnt vmcnt(0)
	v_mov_b64_e32 v[2:3], 0
.LBB169_603:
	s_mov_b64 s[2:3], 0
.LBB169_604:
	s_andn2_b64 vcc, exec, s[2:3]
	s_cbranch_vccnz .LBB169_625
; %bb.605:
	s_cmp_lt_i32 s10, 2
	s_cbranch_scc1 .LBB169_609
; %bb.606:
	s_cmp_lt_i32 s10, 3
	s_cbranch_scc1 .LBB169_610
; %bb.607:
	s_cmp_gt_i32 s10, 3
	s_cbranch_scc0 .LBB169_611
; %bb.608:
	global_load_dwordx2 v[0:1], v[4:5], off
	s_mov_b64 s[2:3], 0
	s_waitcnt vmcnt(0)
	v_cvt_f64_i32_e32 v[2:3], v1
	v_cvt_f64_u32_e32 v[0:1], v0
	v_ldexp_f64 v[2:3], v[2:3], 32
	v_add_f64 v[0:1], v[2:3], v[0:1]
	s_branch .LBB169_612
.LBB169_609:
	s_mov_b64 s[2:3], -1
                                        ; implicit-def: $vgpr0_vgpr1
	s_branch .LBB169_618
.LBB169_610:
	s_mov_b64 s[2:3], -1
                                        ; implicit-def: $vgpr0_vgpr1
	s_branch .LBB169_615
.LBB169_611:
	s_mov_b64 s[2:3], -1
                                        ; implicit-def: $vgpr0_vgpr1
.LBB169_612:
	s_andn2_b64 vcc, exec, s[2:3]
	s_cbranch_vccnz .LBB169_614
; %bb.613:
	global_load_dword v0, v[4:5], off
	s_waitcnt vmcnt(0)
	v_cvt_f64_i32_e32 v[0:1], v0
.LBB169_614:
	s_mov_b64 s[2:3], 0
.LBB169_615:
	s_andn2_b64 vcc, exec, s[2:3]
	s_cbranch_vccnz .LBB169_617
; %bb.616:
	global_load_sshort v0, v[4:5], off
	s_waitcnt vmcnt(0)
	v_cvt_f64_i32_e32 v[0:1], v0
.LBB169_617:
	s_mov_b64 s[2:3], 0
.LBB169_618:
	s_andn2_b64 vcc, exec, s[2:3]
	s_cbranch_vccnz .LBB169_624
; %bb.619:
	s_cmp_gt_i32 s10, 0
	s_cbranch_scc0 .LBB169_621
; %bb.620:
	global_load_sbyte v0, v[4:5], off
	s_mov_b64 s[2:3], 0
	s_waitcnt vmcnt(0)
	v_cvt_f64_i32_e32 v[0:1], v0
	s_branch .LBB169_622
.LBB169_621:
	s_mov_b64 s[2:3], -1
                                        ; implicit-def: $vgpr0_vgpr1
.LBB169_622:
	s_andn2_b64 vcc, exec, s[2:3]
	s_cbranch_vccnz .LBB169_624
; %bb.623:
	global_load_ubyte v0, v[4:5], off
	s_waitcnt vmcnt(0)
	v_cvt_f64_u32_e32 v[0:1], v0
.LBB169_624:
	s_waitcnt vmcnt(0)
	v_mov_b64_e32 v[2:3], 0
.LBB169_625:
	s_branch .LBB169_338
.LBB169_626:
	s_mov_b64 s[2:3], 0
	s_mov_b64 s[4:5], s[54:55]
.LBB169_627:
                                        ; implicit-def: $vgpr16
.LBB169_628:
	s_andn2_b64 s[8:9], s[54:55], exec
	s_and_b64 s[4:5], s[4:5], exec
	s_or_b64 s[62:63], s[8:9], s[4:5]
	s_andn2_b64 s[4:5], s[56:57], exec
	s_and_b64 s[6:7], s[6:7], exec
	s_or_b64 s[60:61], s[4:5], s[6:7]
	s_orn2_b64 s[2:3], s[2:3], exec
.LBB169_629:
	s_or_b64 exec, exec, s[64:65]
	s_mov_b64 s[4:5], 0
	s_mov_b64 s[6:7], 0
	s_mov_b64 s[8:9], 0
                                        ; implicit-def: $vgpr4_vgpr5
                                        ; implicit-def: $vgpr8
                                        ; implicit-def: $vgpr2_vgpr3
	s_and_saveexec_b64 s[64:65], s[2:3]
	s_cbranch_execz .LBB169_1052
; %bb.630:
	v_cmp_gt_i32_e32 vcc, s70, v16
	s_mov_b64 s[6:7], -1
	s_mov_b64 s[2:3], s[60:61]
	s_mov_b64 s[68:69], s[62:63]
	s_and_saveexec_b64 s[66:67], vcc
	s_cbranch_execz .LBB169_948
; %bb.631:
	s_andn2_b64 vcc, exec, s[42:43]
	s_cbranch_vccnz .LBB169_637
; %bb.632:
	s_andn2_b64 vcc, exec, s[52:53]
	s_cbranch_vccnz .LBB169_638
; %bb.633:
	s_add_i32 s76, s75, 1
	s_cmp_eq_u32 s72, 2
	s_cbranch_scc1 .LBB169_639
; %bb.634:
	s_and_b32 s71, s76, 28
	s_mov_b32 s77, 0
	v_mov_b32_e32 v8, 0
	s_waitcnt vmcnt(0)
	v_mov_b32_e32 v0, 0
	s_mov_b64 s[2:3], s[34:35]
	s_mov_b64 s[68:69], s[50:51]
	v_mov_b32_e32 v2, v16
.LBB169_635:                            ; =>This Inner Loop Header: Depth=1
	s_load_dwordx8 s[12:19], s[2:3], 0x4
	s_load_dwordx4 s[36:39], s[2:3], 0x24
	s_load_dwordx8 s[4:11], s[68:69], 0x0
	s_add_u32 s2, s2, 48
	s_addc_u32 s3, s3, 0
	s_waitcnt lgkmcnt(0)
	v_mul_hi_u32 v1, s13, v2
	v_add_u32_e32 v1, v2, v1
	v_lshrrev_b32_e32 v1, s14, v1
	v_mul_lo_u32 v3, v1, s12
	v_mul_hi_u32 v4, s16, v1
	v_sub_u32_e32 v2, v2, v3
	v_add_u32_e32 v3, v1, v4
	v_lshrrev_b32_e32 v3, s17, v3
	v_mul_lo_u32 v5, v3, s15
	v_mul_hi_u32 v6, s19, v3
	v_sub_u32_e32 v1, v1, v5
	v_add_u32_e32 v5, v3, v6
	v_mul_lo_u32 v4, v2, s5
	v_mul_lo_u32 v2, v2, s4
	;; [unrolled: 1-line block ×4, first 2 shown]
	v_lshrrev_b32_e32 v5, s36, v5
	v_add3_u32 v1, v2, v8, v1
	v_add3_u32 v0, v4, v0, v6
	v_mul_lo_u32 v2, v5, s18
	v_mul_hi_u32 v4, s38, v5
	v_sub_u32_e32 v2, v3, v2
	v_add_u32_e32 v3, v5, v4
	v_mul_lo_u32 v4, v2, s8
	v_mul_lo_u32 v6, v2, s9
	v_lshrrev_b32_e32 v2, s39, v3
	s_add_i32 s77, s77, 4
	v_mul_lo_u32 v3, v2, s37
	s_add_u32 s68, s68, 32
	v_sub_u32_e32 v3, v5, v3
	s_addc_u32 s69, s69, 0
	v_mul_lo_u32 v5, v3, s10
	v_mul_lo_u32 v3, v3, s11
	s_cmp_eq_u32 s71, s77
	v_add3_u32 v0, v6, v0, v3
	v_add3_u32 v8, v4, v1, v5
	s_cbranch_scc0 .LBB169_635
; %bb.636:
	v_mov_b32_e32 v1, v0
	s_branch .LBB169_640
.LBB169_637:
	s_mov_b64 s[2:3], -1
                                        ; implicit-def: $vgpr0
                                        ; implicit-def: $vgpr8
	s_branch .LBB169_644
.LBB169_638:
	s_waitcnt vmcnt(0)
	v_mov_b32_e32 v0, 0
	v_mov_b32_e32 v8, 0
	s_branch .LBB169_643
.LBB169_639:
	v_mov_b32_e32 v8, 0
	s_mov_b32 s71, 0
	s_waitcnt vmcnt(0)
	v_mov_b32_e32 v1, v8
                                        ; implicit-def: $vgpr0
	v_mov_b32_e32 v2, v16
.LBB169_640:
	s_and_b32 s6, s76, 3
	s_cmp_eq_u32 s6, 0
	s_cbranch_scc1 .LBB169_643
; %bb.641:
	s_lshl_b32 s2, s71, 3
	s_add_u32 s2, s34, s2
	s_addc_u32 s3, s35, 0
	s_add_u32 s2, s2, 0xc4
	s_addc_u32 s3, s3, 0
	s_mul_i32 s4, s71, 12
	s_add_u32 s4, s34, s4
	s_addc_u32 s5, s35, 0
.LBB169_642:                            ; =>This Inner Loop Header: Depth=1
	s_load_dwordx2 s[8:9], s[4:5], 0x4
	s_load_dword s7, s[4:5], 0xc
	s_load_dwordx2 s[10:11], s[2:3], 0x0
	v_mov_b32_e32 v0, v1
	s_add_u32 s4, s4, 12
	s_waitcnt lgkmcnt(0)
	v_mul_hi_u32 v1, s9, v2
	v_add_u32_e32 v1, v2, v1
	v_lshrrev_b32_e32 v1, s7, v1
	s_addc_u32 s5, s5, 0
	v_mul_lo_u32 v3, v1, s8
	s_add_u32 s2, s2, 8
	v_sub_u32_e32 v3, v2, v3
	s_addc_u32 s3, s3, 0
	s_add_i32 s6, s6, -1
	v_mov_b32_e32 v2, v1
	v_mad_u64_u32 v[0:1], s[8:9], v3, s11, v[0:1]
	s_cmp_lg_u32 s6, 0
	v_mad_u64_u32 v[8:9], s[8:9], v3, s10, v[8:9]
	v_mov_b32_e32 v1, v0
	s_cbranch_scc1 .LBB169_642
.LBB169_643:
	s_mov_b64 s[2:3], 0
.LBB169_644:
	s_andn2_b64 vcc, exec, s[2:3]
	s_cbranch_vccnz .LBB169_647
; %bb.645:
	s_waitcnt vmcnt(0) lgkmcnt(0)
	v_mul_hi_u32 v0, s29, v16
	v_add_u32_e32 v0, v16, v0
	v_lshrrev_b32_e32 v1, s30, v0
	v_mul_lo_u32 v0, v1, s28
	v_sub_u32_e32 v2, v16, v0
	v_mul_lo_u32 v0, v2, s25
	s_andn2_b64 vcc, exec, s[48:49]
	v_mul_lo_u32 v8, v2, s24
	s_cbranch_vccnz .LBB169_647
; %bb.646:
	v_mul_hi_u32 v2, s46, v1
	v_add_u32_e32 v2, v1, v2
	v_lshrrev_b32_e32 v2, s47, v2
	v_mul_lo_u32 v2, v2, s31
	v_sub_u32_e32 v1, v1, v2
	v_mad_u64_u32 v[8:9], s[2:3], v1, s26, v[8:9]
	v_mad_u64_u32 v[0:1], s[2:3], v1, s27, v[0:1]
.LBB169_647:
	s_waitcnt vmcnt(0)
	v_mov_b32_e32 v1, 0
	s_and_b32 s10, 0xffff, s74
	s_cmp_lt_i32 s10, 11
	s_waitcnt lgkmcnt(0)
	v_lshl_add_u64 v[4:5], s[22:23], 0, v[0:1]
	s_cbranch_scc1 .LBB169_654
; %bb.648:
	s_cmp_gt_i32 s10, 25
	s_cbranch_scc0 .LBB169_655
; %bb.649:
	s_cmp_gt_i32 s10, 28
	s_cbranch_scc0 .LBB169_656
	;; [unrolled: 3-line block ×4, first 2 shown]
; %bb.652:
	s_cmp_eq_u32 s10, 46
	s_mov_b64 s[4:5], 0
	s_cbranch_scc0 .LBB169_663
; %bb.653:
	global_load_dword v0, v[4:5], off
	s_mov_b64 s[2:3], -1
	s_mov_b64 s[6:7], 0
	s_waitcnt vmcnt(0)
	v_and_b32_e32 v2, 0xffff0000, v0
	v_lshlrev_b32_e32 v0, 16, v0
	v_cvt_f64_f32_e32 v[0:1], v0
	v_cvt_f64_f32_e32 v[2:3], v2
	s_branch .LBB169_664
.LBB169_654:
	s_mov_b64 s[4:5], -1
	s_mov_b64 s[2:3], 0
                                        ; implicit-def: $vgpr2_vgpr3
	s_mov_b64 s[6:7], s[60:61]
	s_branch .LBB169_732
.LBB169_655:
	s_mov_b64 s[4:5], -1
	s_mov_b64 s[2:3], 0
	s_mov_b64 s[6:7], s[60:61]
                                        ; implicit-def: $vgpr2_vgpr3
	s_branch .LBB169_697
.LBB169_656:
	s_mov_b64 s[4:5], -1
	s_mov_b64 s[2:3], 0
	s_mov_b64 s[6:7], s[60:61]
                                        ; implicit-def: $vgpr2_vgpr3
	s_branch .LBB169_676
.LBB169_657:
	s_mov_b64 s[4:5], -1
	s_mov_b64 s[2:3], 0
	s_mov_b64 s[6:7], s[60:61]
                                        ; implicit-def: $vgpr2_vgpr3
	s_branch .LBB169_670
.LBB169_658:
	s_andn2_saveexec_b64 s[10:11], s[10:11]
	s_cbranch_execz .LBB169_421
.LBB169_659:
	s_mov_b32 s14, 0x46000000
	v_add_f32_e64 v3, |v2|, s14
	v_and_b32_e32 v3, 0xff, v3
	v_cmp_ne_u32_e32 vcc, 0, v3
	s_andn2_b64 s[8:9], s[8:9], exec
	s_and_b64 s[14:15], vcc, exec
	s_or_b64 s[8:9], s[8:9], s[14:15]
	s_or_b64 exec, exec, s[10:11]
	v_mov_b32_e32 v8, 0
	s_and_saveexec_b64 s[10:11], s[8:9]
	s_cbranch_execnz .LBB169_422
	s_branch .LBB169_423
.LBB169_660:
	s_mov_b64 s[4:5], -1
	s_mov_b64 s[2:3], 0
	s_mov_b64 s[6:7], s[60:61]
                                        ; implicit-def: $vgpr2_vgpr3
	s_branch .LBB169_664
.LBB169_661:
	s_andn2_saveexec_b64 s[10:11], s[10:11]
	s_cbranch_execz .LBB169_434
.LBB169_662:
	s_mov_b32 s14, 0x42800000
	v_add_f32_e64 v3, |v2|, s14
	v_and_b32_e32 v3, 0xff, v3
	v_cmp_ne_u32_e32 vcc, 0, v3
	s_andn2_b64 s[8:9], s[8:9], exec
	s_and_b64 s[14:15], vcc, exec
	s_or_b64 s[8:9], s[8:9], s[14:15]
	s_or_b64 exec, exec, s[10:11]
	v_mov_b32_e32 v8, 0
	s_and_saveexec_b64 s[10:11], s[8:9]
	s_cbranch_execnz .LBB169_435
	s_branch .LBB169_436
.LBB169_663:
	s_mov_b64 s[6:7], -1
                                        ; implicit-def: $vgpr2_vgpr3
	s_mov_b64 s[2:3], 0
.LBB169_664:
	s_and_b64 vcc, exec, s[4:5]
	s_cbranch_vccz .LBB169_669
; %bb.665:
	s_cmp_eq_u32 s10, 44
	s_cbranch_scc0 .LBB169_667
; %bb.666:
	global_load_ubyte v2, v[4:5], off
	s_movk_i32 s4, 0xff
	v_bfrev_b32_e32 v3, 4
	v_mov_b32_e32 v6, 0x7ff80000
	v_bfrev_b32_e32 v7, 28
	s_mov_b64 s[2:3], -1
	s_mov_b64 s[6:7], 0
	s_waitcnt vmcnt(0)
	v_lshlrev_b32_e32 v0, 23, v2
	v_cvt_f64_f32_e32 v[0:1], v0
	v_cmp_ne_u32_e32 vcc, s4, v2
	s_nop 1
	v_cndmask_b32_e32 v0, v3, v0, vcc
	v_cndmask_b32_e32 v1, v6, v1, vcc
	v_cmp_ne_u32_e32 vcc, 0, v2
	s_nop 1
	v_cndmask_b32_e32 v1, v7, v1, vcc
	v_cndmask_b32_e32 v0, 0, v0, vcc
	s_branch .LBB169_668
.LBB169_667:
	s_mov_b64 s[6:7], -1
                                        ; implicit-def: $vgpr0_vgpr1
.LBB169_668:
	v_mov_b64_e32 v[2:3], 0
.LBB169_669:
	s_mov_b64 s[4:5], 0
.LBB169_670:
	s_and_b64 vcc, exec, s[4:5]
	s_cbranch_vccz .LBB169_675
; %bb.671:
	s_cmp_eq_u32 s10, 29
	s_cbranch_scc0 .LBB169_673
; %bb.672:
	global_load_dwordx2 v[0:1], v[4:5], off
	s_mov_b64 s[2:3], -1
	s_mov_b64 s[6:7], 0
	s_waitcnt vmcnt(0)
	v_cvt_f64_u32_e32 v[2:3], v1
	v_cvt_f64_u32_e32 v[0:1], v0
	v_ldexp_f64 v[2:3], v[2:3], 32
	v_add_f64 v[0:1], v[2:3], v[0:1]
	s_branch .LBB169_674
.LBB169_673:
	s_mov_b64 s[6:7], -1
                                        ; implicit-def: $vgpr0_vgpr1
.LBB169_674:
	v_mov_b64_e32 v[2:3], 0
.LBB169_675:
	s_mov_b64 s[4:5], 0
.LBB169_676:
	s_and_b64 vcc, exec, s[4:5]
	s_cbranch_vccz .LBB169_696
; %bb.677:
	s_cmp_lt_i32 s10, 27
	s_cbranch_scc1 .LBB169_680
; %bb.678:
	s_cmp_gt_i32 s10, 27
	s_cbranch_scc0 .LBB169_681
; %bb.679:
	global_load_dword v0, v[4:5], off
	s_mov_b64 s[2:3], 0
	s_waitcnt vmcnt(0)
	v_cvt_f64_u32_e32 v[0:1], v0
	s_branch .LBB169_682
.LBB169_680:
	s_mov_b64 s[2:3], -1
                                        ; implicit-def: $vgpr0_vgpr1
	s_branch .LBB169_685
.LBB169_681:
	s_mov_b64 s[2:3], -1
                                        ; implicit-def: $vgpr0_vgpr1
.LBB169_682:
	s_andn2_b64 vcc, exec, s[2:3]
	s_cbranch_vccnz .LBB169_684
; %bb.683:
	global_load_ushort v0, v[4:5], off
	s_waitcnt vmcnt(0)
	v_cvt_f64_u32_e32 v[0:1], v0
.LBB169_684:
	s_mov_b64 s[2:3], 0
.LBB169_685:
	s_andn2_b64 vcc, exec, s[2:3]
	s_cbranch_vccnz .LBB169_695
; %bb.686:
	global_load_ubyte v2, v[4:5], off
	s_movk_i32 s2, 0x7f
	s_waitcnt vmcnt(0)
	v_cmp_lt_i16_e32 vcc, s2, v2
	s_mov_b64 s[2:3], 0
	s_and_saveexec_b64 s[4:5], vcc
	s_xor_b64 s[4:5], exec, s[4:5]
	s_cbranch_execz .LBB169_690
; %bb.687:
	s_movk_i32 s2, 0x80
	v_cmp_eq_u16_e32 vcc, s2, v2
	s_mov_b64 s[2:3], -1
	s_and_saveexec_b64 s[8:9], vcc
; %bb.688:
	s_xor_b64 s[2:3], exec, -1
; %bb.689:
	s_or_b64 exec, exec, s[8:9]
	s_and_b64 s[2:3], s[2:3], exec
.LBB169_690:
	s_or_saveexec_b64 s[4:5], s[4:5]
	v_bfrev_b32_e32 v0, 4
	v_mov_b32_e32 v1, 0x7ff80000
	s_xor_b64 exec, exec, s[4:5]
; %bb.691:
	v_cmp_ne_u16_e32 vcc, 0, v2
	s_andn2_b64 s[2:3], s[2:3], exec
	s_and_b64 s[8:9], vcc, exec
	v_mov_b64_e32 v[0:1], 0
	s_or_b64 s[2:3], s[2:3], s[8:9]
; %bb.692:
	s_or_b64 exec, exec, s[4:5]
	s_and_saveexec_b64 s[4:5], s[2:3]
	s_cbranch_execz .LBB169_694
; %bb.693:
	v_and_b32_e32 v1, 0xffff, v2
	v_lshlrev_b32_e32 v0, 24, v2
	v_and_b32_e32 v2, 7, v1
	v_ffbh_u32_e32 v6, v2
	v_min_u32_e32 v6, 32, v6
	v_subrev_u32_e32 v7, 28, v6
	v_bfe_u32 v3, v1, 3, 4
	v_lshlrev_b32_e32 v1, v7, v1
	v_sub_u32_e32 v6, 29, v6
	v_and_b32_e32 v1, 7, v1
	v_cmp_eq_u32_e32 vcc, 0, v3
	v_and_b32_e32 v0, 0x80000000, v0
	s_nop 0
	v_cndmask_b32_e32 v3, v3, v6, vcc
	v_cndmask_b32_e32 v1, v2, v1, vcc
	v_mov_b32_e32 v2, 0x3b800000
	v_lshlrev_b32_e32 v1, 20, v1
	v_lshl_add_u32 v2, v3, 23, v2
	v_or3_b32 v0, v0, v2, v1
	v_cvt_f64_f32_e32 v[0:1], v0
.LBB169_694:
	s_or_b64 exec, exec, s[4:5]
.LBB169_695:
	s_mov_b64 s[2:3], -1
	v_mov_b64_e32 v[2:3], 0
.LBB169_696:
	s_mov_b64 s[4:5], 0
.LBB169_697:
	s_and_b64 vcc, exec, s[4:5]
	s_cbranch_vccz .LBB169_731
; %bb.698:
	s_cmp_gt_i32 s10, 22
	s_cbranch_scc0 .LBB169_710
; %bb.699:
	s_cmp_lt_i32 s10, 24
	s_cbranch_scc1 .LBB169_711
; %bb.700:
	s_cmp_gt_i32 s10, 24
	s_cbranch_scc0 .LBB169_712
; %bb.701:
	global_load_ubyte v2, v[4:5], off
	s_movk_i32 s2, 0x7f
	s_waitcnt vmcnt(0)
	v_cmp_lt_i16_e32 vcc, s2, v2
	s_mov_b64 s[2:3], 0
	s_and_saveexec_b64 s[4:5], vcc
	s_xor_b64 s[4:5], exec, s[4:5]
	s_cbranch_execz .LBB169_705
; %bb.702:
	s_movk_i32 s2, 0x80
	v_cmp_eq_u16_e32 vcc, s2, v2
	s_mov_b64 s[2:3], -1
	s_and_saveexec_b64 s[8:9], vcc
; %bb.703:
	s_xor_b64 s[2:3], exec, -1
; %bb.704:
	s_or_b64 exec, exec, s[8:9]
	s_and_b64 s[2:3], s[2:3], exec
.LBB169_705:
	s_or_saveexec_b64 s[4:5], s[4:5]
	v_bfrev_b32_e32 v0, 4
	v_mov_b32_e32 v1, 0x7ff80000
	s_xor_b64 exec, exec, s[4:5]
; %bb.706:
	v_cmp_ne_u16_e32 vcc, 0, v2
	s_andn2_b64 s[2:3], s[2:3], exec
	s_and_b64 s[8:9], vcc, exec
	v_mov_b64_e32 v[0:1], 0
	s_or_b64 s[2:3], s[2:3], s[8:9]
; %bb.707:
	s_or_b64 exec, exec, s[4:5]
	s_and_saveexec_b64 s[4:5], s[2:3]
	s_cbranch_execz .LBB169_709
; %bb.708:
	v_and_b32_e32 v1, 0xffff, v2
	v_lshlrev_b32_e32 v0, 24, v2
	v_and_b32_e32 v2, 3, v1
	v_ffbh_u32_e32 v6, v2
	v_min_u32_e32 v6, 32, v6
	v_subrev_u32_e32 v7, 29, v6
	v_bfe_u32 v3, v1, 2, 5
	v_lshlrev_b32_e32 v1, v7, v1
	v_sub_u32_e32 v6, 30, v6
	v_and_b32_e32 v1, 3, v1
	v_cmp_eq_u32_e32 vcc, 0, v3
	v_and_b32_e32 v0, 0x80000000, v0
	s_nop 0
	v_cndmask_b32_e32 v3, v3, v6, vcc
	v_cndmask_b32_e32 v1, v2, v1, vcc
	v_mov_b32_e32 v2, 0x37800000
	v_lshlrev_b32_e32 v1, 21, v1
	v_lshl_add_u32 v2, v3, 23, v2
	v_or3_b32 v0, v0, v2, v1
	v_cvt_f64_f32_e32 v[0:1], v0
.LBB169_709:
	s_or_b64 exec, exec, s[4:5]
	s_mov_b64 s[2:3], 0
	s_branch .LBB169_713
.LBB169_710:
	s_mov_b64 s[4:5], -1
                                        ; implicit-def: $vgpr0_vgpr1
	s_branch .LBB169_719
.LBB169_711:
	s_mov_b64 s[2:3], -1
                                        ; implicit-def: $vgpr0_vgpr1
	s_branch .LBB169_716
.LBB169_712:
	s_mov_b64 s[2:3], -1
                                        ; implicit-def: $vgpr0_vgpr1
.LBB169_713:
	s_and_b64 vcc, exec, s[2:3]
	s_cbranch_vccz .LBB169_715
; %bb.714:
	global_load_ubyte v0, v[4:5], off
	s_mov_b32 s2, 0x7f800000
	s_waitcnt vmcnt(0)
	v_lshlrev_b32_e32 v0, 24, v0
	v_and_b32_e32 v1, 0x7f000000, v0
	v_ffbh_u32_e32 v2, v1
	v_min_u32_e32 v2, 32, v2
	v_sub_u32_e64 v2, v2, 4 clamp
	v_lshlrev_b32_e32 v6, v2, v1
	v_lshlrev_b32_e32 v2, 23, v2
	v_lshrrev_b32_e32 v6, 4, v6
	v_add_u32_e32 v3, 0x1000000, v1
	v_sub_u32_e32 v2, v6, v2
	v_ashrrev_i32_e32 v3, 8, v3
	v_add_u32_e32 v2, 0x3c000000, v2
	v_and_or_b32 v2, v3, s2, v2
	v_cmp_ne_u32_e32 vcc, 0, v1
	s_brev_b32 s2, 1
	s_nop 0
	v_cndmask_b32_e32 v1, 0, v2, vcc
	v_and_or_b32 v0, v0, s2, v1
	v_cvt_f64_f32_e32 v[0:1], v0
.LBB169_715:
	s_mov_b64 s[2:3], 0
.LBB169_716:
	s_andn2_b64 vcc, exec, s[2:3]
	s_cbranch_vccnz .LBB169_718
; %bb.717:
	global_load_ubyte v0, v[4:5], off
	s_movk_i32 s2, 0x7f00
	s_brev_b32 s3, 16
	s_waitcnt vmcnt(0)
	v_lshlrev_b16_e32 v1, 8, v0
	v_lshlrev_b32_e32 v0, 25, v0
	v_lshrrev_b32_e32 v2, 4, v0
	v_and_or_b32 v3, v1, s2, 0.5
	v_or_b32_e32 v2, 0x70000000, v2
	v_add_f32_e32 v3, -0.5, v3
	v_mul_f32_e32 v2, 0x7800000, v2
	v_cmp_gt_u32_e32 vcc, s3, v0
	v_bfe_i32 v1, v1, 0, 16
	s_brev_b32 s2, 1
	v_cndmask_b32_e32 v0, v2, v3, vcc
	v_and_or_b32 v0, v1, s2, v0
	v_cvt_f64_f32_e32 v[0:1], v0
.LBB169_718:
	s_mov_b64 s[4:5], 0
	s_mov_b64 s[2:3], -1
.LBB169_719:
	s_andn2_b64 vcc, exec, s[4:5]
	s_cbranch_vccnz .LBB169_730
; %bb.720:
	s_cmp_gt_i32 s10, 14
	s_cbranch_scc0 .LBB169_723
; %bb.721:
	s_cmp_eq_u32 s10, 15
	s_cbranch_scc0 .LBB169_724
; %bb.722:
	global_load_ushort v0, v[4:5], off
	s_mov_b64 s[2:3], -1
	s_mov_b64 s[6:7], 0
	s_waitcnt vmcnt(0)
	v_lshlrev_b32_e32 v0, 16, v0
	v_cvt_f64_f32_e32 v[0:1], v0
	s_branch .LBB169_725
.LBB169_723:
	s_mov_b64 s[4:5], -1
                                        ; implicit-def: $vgpr0_vgpr1
	s_branch .LBB169_726
.LBB169_724:
	s_mov_b64 s[6:7], -1
                                        ; implicit-def: $vgpr0_vgpr1
.LBB169_725:
	s_mov_b64 s[4:5], 0
.LBB169_726:
	s_and_b64 vcc, exec, s[4:5]
	s_cbranch_vccz .LBB169_730
; %bb.727:
	s_cmp_eq_u32 s10, 11
	s_cbranch_scc0 .LBB169_729
; %bb.728:
	global_load_ubyte v1, v[4:5], off
	v_mov_b32_e32 v2, 0x3ff00000
	v_mov_b32_e32 v0, 0
	s_mov_b64 s[2:3], -1
	s_mov_b64 s[6:7], 0
	s_waitcnt vmcnt(0)
	v_cmp_ne_u16_e32 vcc, 0, v1
	s_nop 1
	v_cndmask_b32_e32 v1, 0, v2, vcc
	s_branch .LBB169_730
.LBB169_729:
	s_mov_b64 s[6:7], -1
                                        ; implicit-def: $vgpr0_vgpr1
.LBB169_730:
	v_mov_b64_e32 v[2:3], 0
.LBB169_731:
	s_mov_b64 s[4:5], 0
.LBB169_732:
	s_and_b64 vcc, exec, s[4:5]
	s_cbranch_vccz .LBB169_783
; %bb.733:
	s_cmp_lt_i32 s10, 5
	s_cbranch_scc1 .LBB169_738
; %bb.734:
	s_cmp_lt_i32 s10, 8
	s_cbranch_scc1 .LBB169_739
; %bb.735:
	s_cmp_lt_i32 s10, 9
	s_cbranch_scc1 .LBB169_740
; %bb.736:
	s_cmp_gt_i32 s10, 9
	s_cbranch_scc0 .LBB169_741
; %bb.737:
	global_load_dwordx4 v[0:3], v[4:5], off
	s_mov_b64 s[2:3], 0
	s_branch .LBB169_742
.LBB169_738:
	s_mov_b64 s[2:3], -1
                                        ; implicit-def: $vgpr2_vgpr3
	s_branch .LBB169_761
.LBB169_739:
	s_mov_b64 s[2:3], -1
                                        ; implicit-def: $vgpr2_vgpr3
	s_branch .LBB169_748
.LBB169_740:
	s_mov_b64 s[2:3], -1
                                        ; implicit-def: $vgpr2_vgpr3
	s_branch .LBB169_745
.LBB169_741:
	s_mov_b64 s[2:3], -1
                                        ; implicit-def: $vgpr2_vgpr3
.LBB169_742:
	s_andn2_b64 vcc, exec, s[2:3]
	s_cbranch_vccnz .LBB169_744
; %bb.743:
	global_load_dwordx2 v[2:3], v[4:5], off
	s_waitcnt vmcnt(0)
	v_cvt_f64_f32_e32 v[0:1], v2
	v_cvt_f64_f32_e32 v[2:3], v3
.LBB169_744:
	s_mov_b64 s[2:3], 0
.LBB169_745:
	s_andn2_b64 vcc, exec, s[2:3]
	s_cbranch_vccnz .LBB169_747
; %bb.746:
	global_load_dword v0, v[4:5], off
	s_waitcnt vmcnt(0)
	v_cvt_f32_f16_e32 v1, v0
	v_cvt_f32_f16_sdwa v2, v0 dst_sel:DWORD dst_unused:UNUSED_PAD src0_sel:WORD_1
	v_cvt_f64_f32_e32 v[0:1], v1
	v_cvt_f64_f32_e32 v[2:3], v2
.LBB169_747:
	s_mov_b64 s[2:3], 0
.LBB169_748:
	s_andn2_b64 vcc, exec, s[2:3]
	s_cbranch_vccnz .LBB169_760
; %bb.749:
	s_cmp_lt_i32 s10, 6
	s_cbranch_scc1 .LBB169_752
; %bb.750:
	s_cmp_gt_i32 s10, 6
	s_cbranch_scc0 .LBB169_753
; %bb.751:
	global_load_dwordx2 v[0:1], v[4:5], off
	s_mov_b64 s[2:3], 0
	s_branch .LBB169_754
.LBB169_752:
	s_mov_b64 s[2:3], -1
                                        ; implicit-def: $vgpr0_vgpr1
	s_branch .LBB169_757
.LBB169_753:
	s_mov_b64 s[2:3], -1
                                        ; implicit-def: $vgpr0_vgpr1
.LBB169_754:
	s_andn2_b64 vcc, exec, s[2:3]
	s_cbranch_vccnz .LBB169_756
; %bb.755:
	global_load_dword v0, v[4:5], off
	s_waitcnt vmcnt(0)
	v_cvt_f64_f32_e32 v[0:1], v0
.LBB169_756:
	s_mov_b64 s[2:3], 0
.LBB169_757:
	s_andn2_b64 vcc, exec, s[2:3]
	s_cbranch_vccnz .LBB169_759
; %bb.758:
	global_load_ushort v0, v[4:5], off
	s_waitcnt vmcnt(0)
	v_cvt_f32_f16_e32 v0, v0
	v_cvt_f64_f32_e32 v[0:1], v0
.LBB169_759:
	s_waitcnt vmcnt(0)
	v_mov_b64_e32 v[2:3], 0
.LBB169_760:
	s_mov_b64 s[2:3], 0
.LBB169_761:
	s_andn2_b64 vcc, exec, s[2:3]
	s_cbranch_vccnz .LBB169_782
; %bb.762:
	s_cmp_lt_i32 s10, 2
	s_cbranch_scc1 .LBB169_766
; %bb.763:
	s_cmp_lt_i32 s10, 3
	s_cbranch_scc1 .LBB169_767
; %bb.764:
	s_cmp_gt_i32 s10, 3
	s_cbranch_scc0 .LBB169_768
; %bb.765:
	global_load_dwordx2 v[0:1], v[4:5], off
	s_mov_b64 s[2:3], 0
	s_waitcnt vmcnt(0)
	v_cvt_f64_i32_e32 v[2:3], v1
	v_cvt_f64_u32_e32 v[0:1], v0
	v_ldexp_f64 v[2:3], v[2:3], 32
	v_add_f64 v[0:1], v[2:3], v[0:1]
	s_branch .LBB169_769
.LBB169_766:
	s_mov_b64 s[2:3], -1
                                        ; implicit-def: $vgpr0_vgpr1
	s_branch .LBB169_775
.LBB169_767:
	s_mov_b64 s[2:3], -1
                                        ; implicit-def: $vgpr0_vgpr1
	s_branch .LBB169_772
.LBB169_768:
	s_mov_b64 s[2:3], -1
                                        ; implicit-def: $vgpr0_vgpr1
.LBB169_769:
	s_andn2_b64 vcc, exec, s[2:3]
	s_cbranch_vccnz .LBB169_771
; %bb.770:
	global_load_dword v0, v[4:5], off
	s_waitcnt vmcnt(0)
	v_cvt_f64_i32_e32 v[0:1], v0
.LBB169_771:
	s_mov_b64 s[2:3], 0
.LBB169_772:
	s_andn2_b64 vcc, exec, s[2:3]
	s_cbranch_vccnz .LBB169_774
; %bb.773:
	global_load_sshort v0, v[4:5], off
	s_waitcnt vmcnt(0)
	v_cvt_f64_i32_e32 v[0:1], v0
.LBB169_774:
	s_mov_b64 s[2:3], 0
.LBB169_775:
	s_andn2_b64 vcc, exec, s[2:3]
	s_cbranch_vccnz .LBB169_781
; %bb.776:
	s_cmp_gt_i32 s10, 0
	s_cbranch_scc0 .LBB169_778
; %bb.777:
	global_load_sbyte v0, v[4:5], off
	s_mov_b64 s[2:3], 0
	s_waitcnt vmcnt(0)
	v_cvt_f64_i32_e32 v[0:1], v0
	s_branch .LBB169_779
.LBB169_778:
	s_mov_b64 s[2:3], -1
                                        ; implicit-def: $vgpr0_vgpr1
.LBB169_779:
	s_andn2_b64 vcc, exec, s[2:3]
	s_cbranch_vccnz .LBB169_781
; %bb.780:
	global_load_ubyte v0, v[4:5], off
	s_waitcnt vmcnt(0)
	v_cvt_f64_u32_e32 v[0:1], v0
.LBB169_781:
	s_waitcnt vmcnt(0)
	v_mov_b64_e32 v[2:3], 0
.LBB169_782:
	s_mov_b64 s[2:3], -1
.LBB169_783:
	s_andn2_b64 vcc, exec, s[2:3]
	s_cbranch_vccnz .LBB169_796
; %bb.784:
	s_waitcnt vmcnt(0)
	v_cmp_neq_f64_e32 vcc, 0, v[0:1]
	v_cmp_neq_f64_e64 s[2:3], 0, v[2:3]
	v_mov_b64_e32 v[10:11], 0
	s_or_b64 s[2:3], vcc, s[2:3]
	s_and_saveexec_b64 s[8:9], s[2:3]
	s_cbranch_execz .LBB169_815
; %bb.785:
	v_mov_b32_e32 v10, 0
	v_mov_b32_e32 v11, 0x7ff00000
	v_cmp_neq_f64_e64 s[2:3], |v[2:3]|, v[10:11]
	s_and_saveexec_b64 s[10:11], s[2:3]
	s_cbranch_execz .LBB169_814
; %bb.786:
	v_cmp_o_f64_e32 vcc, v[0:1], v[0:1]
                                        ; implicit-def: $vgpr10_vgpr11
	s_and_saveexec_b64 s[2:3], vcc
	s_xor_b64 s[12:13], exec, s[2:3]
	s_cbranch_execz .LBB169_811
; %bb.787:
	s_mov_b32 s2, 0
	s_mov_b32 s3, 0x7ff00000
	v_cmp_neq_f64_e64 s[2:3], |v[0:1]|, s[2:3]
                                        ; implicit-def: $vgpr10_vgpr11
	s_and_saveexec_b64 s[4:5], s[2:3]
	s_xor_b64 s[14:15], exec, s[4:5]
	s_cbranch_execz .LBB169_804
; %bb.788:
	v_max_f64 v[4:5], |v[2:3]|, |v[2:3]|
	v_max_f64 v[6:7], |v[0:1]|, |v[0:1]|
	s_mov_b32 s2, 0x99fcef32
	v_max_f64 v[4:5], v[6:7], v[4:5]
	s_mov_b32 s3, 0x7fda8279
	v_cmp_nle_f64_e64 s[2:3], s[2:3], v[4:5]
                                        ; implicit-def: $sgpr16_sgpr17
	s_and_saveexec_b64 s[4:5], s[2:3]
	s_xor_b64 s[4:5], exec, s[4:5]
	s_cbranch_execz .LBB169_792
; %bb.789:
	s_mov_b32 s16, 0
	s_mov_b32 s17, 0x200000
	v_cmp_le_f64_e64 s[18:19], |v[0:1]|, s[16:17]
	v_cmp_le_f64_e64 s[16:17], |v[2:3]|, s[16:17]
	s_and_b64 s[36:37], s[18:19], s[16:17]
	s_mov_b64 s[16:17], 0
	s_and_saveexec_b64 s[18:19], s[36:37]
; %bb.790:
	s_mov_b64 s[16:17], exec
	v_mul_f64 v[2:3], v[2:3], 4.0
	v_mul_f64 v[0:1], v[0:1], 4.0
; %bb.791:
	s_or_b64 exec, exec, s[18:19]
.LBB169_792:
	s_andn2_saveexec_b64 s[4:5], s[4:5]
; %bb.793:
	v_ldexp_f64 v[0:1], v[0:1], -2
	v_ldexp_f64 v[2:3], v[2:3], -2
	s_andn2_b64 s[16:17], s[16:17], exec
; %bb.794:
	s_or_b64 exec, exec, s[4:5]
	v_max_f64 v[4:5], |v[2:3]|, |v[2:3]|
	v_max_f64 v[6:7], |v[0:1]|, |v[0:1]|
	v_max_f64 v[4:5], v[6:7], v[4:5]
	v_frexp_exp_i32_f64_e32 v9, v[4:5]
	v_sub_u32_e32 v6, 0, v9
	v_ldexp_f64 v[4:5], |v[0:1]|, v6
	v_ldexp_f64 v[6:7], |v[2:3]|, v6
	v_mul_f64 v[6:7], v[6:7], v[6:7]
	v_fmac_f64_e32 v[6:7], v[4:5], v[4:5]
	v_rsq_f64_e32 v[4:5], v[6:7]
	v_cmp_eq_f64_e64 s[4:5], 0, v[6:7]
	s_movk_i32 s18, 0x204
	v_cmp_le_f64_e32 vcc, 0, v[0:1]
	v_mul_f64 v[10:11], v[6:7], v[4:5]
	v_mul_f64 v[4:5], v[4:5], 0.5
	v_fma_f64 v[12:13], -v[4:5], v[10:11], 0.5
	v_fmac_f64_e32 v[10:11], v[10:11], v[12:13]
	v_fmac_f64_e32 v[4:5], v[4:5], v[12:13]
	v_fma_f64 v[12:13], -v[10:11], v[10:11], v[6:7]
	v_fmac_f64_e32 v[10:11], v[12:13], v[4:5]
	v_cndmask_b32_e64 v5, v11, v7, s[4:5]
	v_cndmask_b32_e64 v4, v10, v6, s[4:5]
	v_ldexp_f64 v[4:5], v[4:5], v9
	v_cmp_o_f64_e64 s[4:5], v[2:3], v[2:3]
	v_mov_b32_e32 v6, 0x7ff80000
	s_nop 0
	v_cndmask_b32_e64 v4, 0, v4, s[4:5]
	v_cndmask_b32_e64 v5, v6, v5, s[4:5]
	v_cmp_class_f64_e64 s[4:5], v[0:1], s18
	v_cmp_class_f64_e64 s[18:19], v[2:3], s18
	v_mov_b32_e32 v6, 0x7ff00000
	s_or_b64 s[4:5], s[18:19], s[4:5]
	v_cndmask_b32_e64 v11, v5, v6, s[4:5]
	v_cndmask_b32_e64 v10, v4, 0, s[4:5]
                                        ; implicit-def: $vgpr4_vgpr5
                                        ; implicit-def: $vgpr6_vgpr7
	s_and_saveexec_b64 s[4:5], vcc
	s_xor_b64 s[4:5], exec, s[4:5]
	s_cbranch_execz .LBB169_797
; %bb.795:
	v_add_f64 v[0:1], v[0:1], v[10:11]
	s_mov_b32 s18, 0
	v_mul_f64 v[0:1], v[0:1], 0.5
	s_brev_b32 s19, 8
	v_mov_b32_e32 v4, 0x100
	v_cmp_gt_f64_e32 vcc, s[18:19], v[0:1]
	s_nop 1
	v_cndmask_b32_e32 v4, 0, v4, vcc
	v_ldexp_f64 v[0:1], v[0:1], v4
	v_rsq_f64_e32 v[4:5], v[0:1]
	s_nop 0
	v_mul_f64 v[6:7], v[0:1], v[4:5]
	v_mul_f64 v[4:5], v[4:5], 0.5
	v_fma_f64 v[10:11], -v[4:5], v[6:7], 0.5
	v_fmac_f64_e32 v[6:7], v[6:7], v[10:11]
	v_fma_f64 v[12:13], -v[6:7], v[6:7], v[0:1]
	v_fmac_f64_e32 v[4:5], v[4:5], v[10:11]
	v_fmac_f64_e32 v[6:7], v[12:13], v[4:5]
	v_fma_f64 v[10:11], -v[6:7], v[6:7], v[0:1]
	v_fmac_f64_e32 v[6:7], v[10:11], v[4:5]
	v_mov_b32_e32 v4, 0xffffff80
	v_cndmask_b32_e32 v4, 0, v4, vcc
	v_ldexp_f64 v[4:5], v[6:7], v4
	v_mov_b32_e32 v6, 0x260
	v_cmp_class_f64_e32 vcc, v[0:1], v6
	s_nop 1
	v_cndmask_b32_e32 v7, v5, v1, vcc
	v_cndmask_b32_e32 v6, v4, v0, vcc
	v_add_f64 v[0:1], v[6:7], v[6:7]
	v_div_scale_f64 v[4:5], s[18:19], v[0:1], v[0:1], v[2:3]
	v_rcp_f64_e32 v[10:11], v[4:5]
	s_nop 0
	v_fma_f64 v[12:13], -v[4:5], v[10:11], 1.0
	v_fmac_f64_e32 v[10:11], v[10:11], v[12:13]
	v_fma_f64 v[12:13], -v[4:5], v[10:11], 1.0
	v_fmac_f64_e32 v[10:11], v[10:11], v[12:13]
	v_div_scale_f64 v[12:13], vcc, v[2:3], v[0:1], v[2:3]
	v_mul_f64 v[14:15], v[12:13], v[10:11]
	v_fma_f64 v[4:5], -v[4:5], v[14:15], v[12:13]
	s_nop 1
	v_div_fmas_f64 v[4:5], v[4:5], v[10:11], v[14:15]
	v_div_fixup_f64 v[4:5], v[4:5], v[0:1], v[2:3]
                                        ; implicit-def: $vgpr10_vgpr11
                                        ; implicit-def: $vgpr0_vgpr1
	s_andn2_saveexec_b64 s[4:5], s[4:5]
	s_cbranch_execz .LBB169_799
	s_branch .LBB169_798
.LBB169_796:
	s_mov_b64 s[8:9], 0
	s_mov_b64 s[4:5], s[62:63]
	s_branch .LBB169_946
.LBB169_797:
	s_andn2_saveexec_b64 s[4:5], s[4:5]
	s_cbranch_execz .LBB169_799
.LBB169_798:
	v_add_f64 v[0:1], v[10:11], -v[0:1]
	s_mov_b32 s18, 0
	v_mul_f64 v[0:1], v[0:1], 0.5
	s_brev_b32 s19, 8
	v_mov_b32_e32 v4, 0x100
	v_cmp_gt_f64_e32 vcc, s[18:19], v[0:1]
	s_nop 1
	v_cndmask_b32_e32 v4, 0, v4, vcc
	v_ldexp_f64 v[0:1], v[0:1], v4
	v_rsq_f64_e32 v[4:5], v[0:1]
	s_nop 0
	v_mul_f64 v[6:7], v[0:1], v[4:5]
	v_mul_f64 v[4:5], v[4:5], 0.5
	v_fma_f64 v[10:11], -v[4:5], v[6:7], 0.5
	v_fmac_f64_e32 v[6:7], v[6:7], v[10:11]
	v_fma_f64 v[12:13], -v[6:7], v[6:7], v[0:1]
	v_fmac_f64_e32 v[4:5], v[4:5], v[10:11]
	v_fmac_f64_e32 v[6:7], v[12:13], v[4:5]
	v_fma_f64 v[10:11], -v[6:7], v[6:7], v[0:1]
	v_fmac_f64_e32 v[6:7], v[10:11], v[4:5]
	v_mov_b32_e32 v4, 0xffffff80
	v_cndmask_b32_e32 v4, 0, v4, vcc
	v_ldexp_f64 v[4:5], v[6:7], v4
	v_mov_b32_e32 v6, 0x260
	v_cmp_class_f64_e32 vcc, v[0:1], v6
	v_and_b32_e32 v7, 0x7fffffff, v3
	v_mov_b32_e32 v6, v2
	v_cndmask_b32_e32 v5, v5, v1, vcc
	v_cndmask_b32_e32 v4, v4, v0, vcc
	v_add_f64 v[0:1], v[4:5], v[4:5]
	v_div_scale_f64 v[10:11], s[18:19], v[0:1], v[0:1], v[6:7]
	v_rcp_f64_e32 v[12:13], v[10:11]
	v_div_scale_f64 v[6:7], vcc, v[6:7], v[0:1], v[6:7]
	s_brev_b32 s18, -2
	v_fma_f64 v[14:15], -v[10:11], v[12:13], 1.0
	v_fmac_f64_e32 v[12:13], v[12:13], v[14:15]
	v_fma_f64 v[14:15], -v[10:11], v[12:13], 1.0
	v_fmac_f64_e32 v[12:13], v[12:13], v[14:15]
	v_mul_f64 v[14:15], v[6:7], v[12:13]
	v_fma_f64 v[6:7], -v[10:11], v[14:15], v[6:7]
	v_div_fmas_f64 v[6:7], v[6:7], v[12:13], v[14:15]
	v_div_fixup_f64 v[6:7], v[6:7], v[0:1], |v[2:3]|
	v_bfi_b32 v5, s18, v5, v3
.LBB169_799:
	s_or_b64 exec, exec, s[4:5]
                                        ; implicit-def: $vgpr2_vgpr3
                                        ; implicit-def: $vgpr10_vgpr11
	s_and_saveexec_b64 s[4:5], s[2:3]
	s_xor_b64 s[2:3], exec, s[4:5]
	s_cbranch_execz .LBB169_801
; %bb.800:
	v_mul_f64 v[0:1], v[6:7], 0.5
	v_mul_f64 v[2:3], v[4:5], 0.5
	v_cndmask_b32_e64 v11, v7, v1, s[16:17]
	v_cndmask_b32_e64 v10, v6, v0, s[16:17]
	;; [unrolled: 1-line block ×4, first 2 shown]
                                        ; implicit-def: $vgpr6_vgpr7
                                        ; implicit-def: $vgpr4_vgpr5
	s_andn2_saveexec_b64 s[2:3], s[2:3]
	s_cbranch_execnz .LBB169_802
	s_branch .LBB169_803
.LBB169_801:
	s_andn2_saveexec_b64 s[2:3], s[2:3]
.LBB169_802:
	v_add_f64 v[10:11], v[6:7], v[6:7]
	v_add_f64 v[2:3], v[4:5], v[4:5]
.LBB169_803:
	s_or_b64 exec, exec, s[2:3]
.LBB169_804:
	s_andn2_saveexec_b64 s[2:3], s[14:15]
	s_cbranch_execz .LBB169_810
; %bb.805:
	v_add_f64 v[4:5], v[2:3], -v[2:3]
	v_cmp_lt_i64_e32 vcc, -1, v[0:1]
	s_brev_b32 s14, -2
	v_and_b32_e32 v11, 0x7fffffff, v5
	v_mov_b32_e32 v10, v4
	s_and_saveexec_b64 s[4:5], vcc
	s_xor_b64 s[4:5], exec, s[4:5]
; %bb.806:
	v_bfi_b32 v5, s14, v5, v3
	v_mov_b64_e32 v[2:3], v[4:5]
	v_mov_b64_e32 v[10:11], v[0:1]
; %bb.807:
	s_andn2_saveexec_b64 s[4:5], s[4:5]
; %bb.808:
	v_bfi_b32 v1, s14, v1, v3
	v_mov_b64_e32 v[2:3], v[0:1]
; %bb.809:
	s_or_b64 exec, exec, s[4:5]
.LBB169_810:
	s_or_b64 exec, exec, s[2:3]
.LBB169_811:
	s_andn2_saveexec_b64 s[2:3], s[12:13]
	s_cbranch_execz .LBB169_813
; %bb.812:
	v_add_f64 v[2:3], v[2:3], -v[2:3]
	v_div_scale_f64 v[4:5], vcc, v[2:3], v[2:3], v[2:3]
	v_rcp_f64_e32 v[6:7], v[4:5]
	s_nop 0
	v_fma_f64 v[10:11], -v[4:5], v[6:7], 1.0
	v_fmac_f64_e32 v[6:7], v[6:7], v[10:11]
	v_fma_f64 v[10:11], -v[4:5], v[6:7], 1.0
	v_fmac_f64_e32 v[6:7], v[6:7], v[10:11]
	v_mul_f64 v[10:11], v[4:5], v[6:7]
	v_fma_f64 v[4:5], -v[4:5], v[10:11], v[4:5]
	v_div_fmas_f64 v[4:5], v[4:5], v[6:7], v[10:11]
	v_div_fixup_f64 v[2:3], v[4:5], v[2:3], v[2:3]
	v_mov_b64_e32 v[10:11], v[0:1]
.LBB169_813:
	s_or_b64 exec, exec, s[2:3]
.LBB169_814:
	s_or_b64 exec, exec, s[10:11]
.LBB169_815:
	s_or_b64 exec, exec, s[8:9]
	v_xor_b32_e32 v0, 0x80000000, v11
	v_cmp_gt_f64_e32 vcc, 0, v[10:11]
	v_mov_b32_e32 v12, v10
                                        ; implicit-def: $vgpr6_vgpr7
	s_nop 0
	v_cndmask_b32_e32 v13, v11, v0, vcc
	v_xor_b32_e32 v0, 0x80000000, v3
	v_cmp_gt_f64_e32 vcc, 0, v[2:3]
	s_nop 1
	v_cndmask_b32_e32 v1, v3, v0, vcc
	v_mov_b32_e32 v0, v2
	v_cmp_ge_f64_e32 vcc, v[12:13], v[0:1]
	s_and_saveexec_b64 s[2:3], vcc
	s_xor_b64 s[4:5], exec, s[2:3]
	s_cbranch_execz .LBB169_821
; %bb.816:
	v_cmp_neq_f64_e32 vcc, 0, v[10:11]
	v_cmp_neq_f64_e64 s[2:3], 0, v[2:3]
	s_or_b64 s[2:3], vcc, s[2:3]
                                        ; implicit-def: $vgpr6_vgpr7
	s_and_saveexec_b64 s[8:9], s[2:3]
	s_xor_b64 s[2:3], exec, s[8:9]
	s_cbranch_execz .LBB169_818
; %bb.817:
	v_div_scale_f64 v[0:1], s[8:9], v[10:11], v[10:11], v[2:3]
	v_rcp_f64_e32 v[4:5], v[0:1]
	v_div_scale_f64 v[6:7], vcc, v[2:3], v[10:11], v[2:3]
	v_fma_f64 v[12:13], -v[0:1], v[4:5], 1.0
	v_fmac_f64_e32 v[4:5], v[4:5], v[12:13]
	v_fma_f64 v[12:13], -v[0:1], v[4:5], 1.0
	v_fmac_f64_e32 v[4:5], v[4:5], v[12:13]
	v_mul_f64 v[12:13], v[6:7], v[4:5]
	v_fma_f64 v[0:1], -v[0:1], v[12:13], v[6:7]
	v_div_fmas_f64 v[0:1], v[0:1], v[4:5], v[12:13]
	v_div_fixup_f64 v[0:1], v[0:1], v[10:11], v[2:3]
	v_fmac_f64_e32 v[10:11], v[2:3], v[0:1]
	v_div_scale_f64 v[2:3], s[8:9], v[10:11], v[10:11], 1.0
	v_rcp_f64_e32 v[4:5], v[2:3]
	s_nop 0
	v_fma_f64 v[6:7], -v[2:3], v[4:5], 1.0
	v_fmac_f64_e32 v[4:5], v[4:5], v[6:7]
	v_fma_f64 v[6:7], -v[2:3], v[4:5], 1.0
	v_fmac_f64_e32 v[4:5], v[4:5], v[6:7]
	v_div_scale_f64 v[6:7], vcc, 1.0, v[10:11], 1.0
	v_mul_f64 v[12:13], v[6:7], v[4:5]
	v_fma_f64 v[2:3], -v[2:3], v[12:13], v[6:7]
	s_nop 1
	v_div_fmas_f64 v[2:3], v[2:3], v[4:5], v[12:13]
	v_div_fixup_f64 v[2:3], v[2:3], v[10:11], 1.0
	v_fma_f64 v[4:5], v[0:1], 0, 1.0
	v_add_f64 v[0:1], -v[0:1], 0
	v_mul_f64 v[4:5], v[4:5], v[2:3]
	v_mul_f64 v[6:7], v[0:1], v[2:3]
                                        ; implicit-def: $vgpr12_vgpr13
                                        ; implicit-def: $vgpr0_vgpr1
.LBB169_818:
	s_andn2_saveexec_b64 s[2:3], s[2:3]
	s_cbranch_execz .LBB169_820
; %bb.819:
	v_div_scale_f64 v[2:3], s[8:9], v[12:13], v[12:13], 1.0
	v_rcp_f64_e32 v[4:5], v[2:3]
	v_div_scale_f64 v[6:7], vcc, 1.0, v[12:13], 1.0
	v_fma_f64 v[10:11], -v[2:3], v[4:5], 1.0
	v_fmac_f64_e32 v[4:5], v[4:5], v[10:11]
	v_fma_f64 v[10:11], -v[2:3], v[4:5], 1.0
	v_fmac_f64_e32 v[4:5], v[4:5], v[10:11]
	v_mul_f64 v[10:11], v[6:7], v[4:5]
	v_fma_f64 v[2:3], -v[2:3], v[10:11], v[6:7]
	v_div_scale_f64 v[6:7], s[8:9], v[0:1], v[0:1], 0
	v_rcp_f64_e32 v[14:15], v[6:7]
	v_div_fmas_f64 v[2:3], v[2:3], v[4:5], v[10:11]
	v_div_fixup_f64 v[4:5], v[2:3], v[12:13], 1.0
	v_fma_f64 v[2:3], -v[6:7], v[14:15], 1.0
	v_fmac_f64_e32 v[14:15], v[14:15], v[2:3]
	v_fma_f64 v[2:3], -v[6:7], v[14:15], 1.0
	v_fmac_f64_e32 v[14:15], v[14:15], v[2:3]
	v_div_scale_f64 v[2:3], vcc, 0, v[0:1], 0
	v_mul_f64 v[10:11], v[2:3], v[14:15]
	v_fma_f64 v[2:3], -v[6:7], v[10:11], v[2:3]
	s_nop 1
	v_div_fmas_f64 v[2:3], v[2:3], v[14:15], v[10:11]
	v_div_fixup_f64 v[6:7], v[2:3], v[0:1], 0
.LBB169_820:
	s_or_b64 exec, exec, s[2:3]
                                        ; implicit-def: $vgpr2_vgpr3
                                        ; implicit-def: $vgpr10_vgpr11
.LBB169_821:
	s_andn2_saveexec_b64 s[2:3], s[4:5]
	s_cbranch_execz .LBB169_823
; %bb.822:
	v_div_scale_f64 v[0:1], s[4:5], v[2:3], v[2:3], v[10:11]
	v_rcp_f64_e32 v[4:5], v[0:1]
	v_div_scale_f64 v[6:7], vcc, v[10:11], v[2:3], v[10:11]
	v_fma_f64 v[12:13], -v[0:1], v[4:5], 1.0
	v_fmac_f64_e32 v[4:5], v[4:5], v[12:13]
	v_fma_f64 v[12:13], -v[0:1], v[4:5], 1.0
	v_fmac_f64_e32 v[4:5], v[4:5], v[12:13]
	v_mul_f64 v[12:13], v[6:7], v[4:5]
	v_fma_f64 v[0:1], -v[0:1], v[12:13], v[6:7]
	v_div_fmas_f64 v[0:1], v[0:1], v[4:5], v[12:13]
	v_div_fixup_f64 v[0:1], v[0:1], v[2:3], v[10:11]
	v_fmac_f64_e32 v[2:3], v[10:11], v[0:1]
	v_div_scale_f64 v[4:5], s[4:5], v[2:3], v[2:3], 1.0
	v_rcp_f64_e32 v[6:7], v[4:5]
	s_nop 0
	v_fma_f64 v[10:11], -v[4:5], v[6:7], 1.0
	v_fmac_f64_e32 v[6:7], v[6:7], v[10:11]
	v_fma_f64 v[10:11], -v[4:5], v[6:7], 1.0
	v_fmac_f64_e32 v[6:7], v[6:7], v[10:11]
	v_div_scale_f64 v[10:11], vcc, 1.0, v[2:3], 1.0
	v_mul_f64 v[12:13], v[10:11], v[6:7]
	v_fma_f64 v[4:5], -v[4:5], v[12:13], v[10:11]
	s_nop 1
	v_div_fmas_f64 v[4:5], v[4:5], v[6:7], v[12:13]
	v_div_fixup_f64 v[2:3], v[4:5], v[2:3], 1.0
	v_add_f64 v[4:5], v[0:1], 0
	v_fma_f64 v[0:1], v[0:1], 0, -1.0
	v_mul_f64 v[4:5], v[4:5], v[2:3]
	v_mul_f64 v[6:7], v[0:1], v[2:3]
.LBB169_823:
	s_or_b64 exec, exec, s[2:3]
	v_mov_b32_e32 v9, 0
	s_and_b32 s12, s73, 0xff
	s_cmp_lt_i32 s12, 11
	v_lshl_add_u64 v[0:1], s[20:21], 0, v[8:9]
	s_cbranch_scc1 .LBB169_830
; %bb.824:
	s_and_b32 s13, 0xffff, s12
	s_cmp_gt_i32 s13, 25
	s_cbranch_scc0 .LBB169_831
; %bb.825:
	s_cmp_gt_i32 s13, 28
	s_cbranch_scc0 .LBB169_832
; %bb.826:
	;; [unrolled: 3-line block ×4, first 2 shown]
	s_mov_b64 s[8:9], 0
	s_mov_b64 s[4:5], -1
	s_cmp_eq_u32 s13, 46
	s_mov_b64 s[2:3], 0
	s_cbranch_scc0 .LBB169_835
; %bb.829:
	v_cvt_f32_f64_e32 v3, v[6:7]
	s_movk_i32 s2, 0x7fff
	v_bfe_u32 v9, v3, 16, 1
	v_cvt_f32_f64_e32 v2, v[4:5]
	v_add3_u32 v9, v3, v9, s2
	v_bfe_u32 v8, v2, 16, 1
	v_and_b32_e32 v9, 0xffff0000, v9
	v_mov_b32_e32 v10, 0x7fc00000
	v_cmp_o_f32_e32 vcc, v3, v3
	v_add3_u32 v8, v2, v8, s2
	s_mov_b64 s[2:3], -1
	v_cndmask_b32_e32 v3, v10, v9, vcc
	v_cmp_o_f32_e32 vcc, v2, v2
	v_mov_b32_e32 v2, 0x7fc0
	s_mov_b64 s[4:5], 0
	v_cndmask_b32_sdwa v2, v2, v8, vcc dst_sel:DWORD dst_unused:UNUSED_PAD src0_sel:DWORD src1_sel:WORD_1
	v_or_b32_e32 v2, v3, v2
	global_store_dword v[0:1], v2, off
	s_branch .LBB169_835
.LBB169_830:
	s_mov_b64 s[8:9], -1
	s_mov_b64 s[2:3], 0
	s_mov_b64 s[4:5], s[62:63]
	s_branch .LBB169_904
.LBB169_831:
	s_mov_b64 s[8:9], -1
	s_mov_b64 s[2:3], 0
	s_mov_b64 s[4:5], s[62:63]
	s_branch .LBB169_862
.LBB169_832:
	s_mov_b64 s[8:9], -1
	s_mov_b64 s[2:3], 0
	s_mov_b64 s[4:5], s[62:63]
	s_branch .LBB169_845
.LBB169_833:
	s_mov_b64 s[8:9], -1
	s_mov_b64 s[2:3], 0
	s_mov_b64 s[4:5], s[62:63]
	s_branch .LBB169_841
.LBB169_834:
	s_mov_b64 s[8:9], -1
	s_mov_b64 s[2:3], 0
	s_mov_b64 s[4:5], s[62:63]
.LBB169_835:
	s_and_b64 vcc, exec, s[8:9]
	s_cbranch_vccz .LBB169_840
; %bb.836:
	s_cmp_eq_u32 s13, 44
	s_mov_b64 s[4:5], -1
	s_cbranch_scc0 .LBB169_840
; %bb.837:
	v_cvt_f32_f64_e32 v2, v[4:5]
	v_bfe_u32 v3, v2, 23, 8
	s_movk_i32 s2, 0xff
	v_cmp_ne_u32_e32 vcc, s2, v3
	v_mov_b32_e32 v8, 0xff
	s_and_saveexec_b64 s[4:5], vcc
; %bb.838:
	s_mov_b32 s2, 0x3fffff
	v_lshrrev_b32_e32 v8, 23, v2
	v_and_b32_e32 v9, 0x400000, v2
	v_and_or_b32 v2, v2, s2, v3
	v_cmp_ne_u32_e32 vcc, 0, v9
	v_cmp_ne_u32_e64 s[2:3], 0, v2
	s_and_b64 s[2:3], vcc, s[2:3]
	s_nop 0
	v_cndmask_b32_e64 v2, 0, 1, s[2:3]
	v_add_u32_e32 v8, v8, v2
; %bb.839:
	s_or_b64 exec, exec, s[4:5]
	s_mov_b64 s[2:3], -1
	s_mov_b64 s[4:5], 0
	global_store_byte v[0:1], v8, off
.LBB169_840:
	s_mov_b64 s[8:9], 0
.LBB169_841:
	s_and_b64 vcc, exec, s[8:9]
	s_cbranch_vccz .LBB169_844
; %bb.842:
	s_cmp_eq_u32 s13, 29
	s_mov_b64 s[4:5], -1
	s_cbranch_scc0 .LBB169_844
; %bb.843:
	v_trunc_f64_e32 v[2:3], v[4:5]
	s_movk_i32 s2, 0xffe0
	v_ldexp_f64 v[8:9], v[2:3], s2
	v_floor_f64_e32 v[8:9], v[8:9]
	v_fmac_f64_e32 v[2:3], 0xc1f00000, v[8:9]
	v_cvt_u32_f64_e32 v11, v[8:9]
	v_cvt_u32_f64_e32 v10, v[2:3]
	global_store_dwordx2 v[0:1], v[10:11], off
	s_mov_b64 s[2:3], -1
	s_mov_b64 s[4:5], 0
.LBB169_844:
	s_mov_b64 s[8:9], 0
.LBB169_845:
	s_and_b64 vcc, exec, s[8:9]
	s_cbranch_vccz .LBB169_861
; %bb.846:
	s_cmp_lt_i32 s13, 27
	s_mov_b64 s[2:3], -1
	s_cbranch_scc1 .LBB169_852
; %bb.847:
	s_cmp_gt_i32 s13, 27
	v_cvt_u32_f64_e32 v2, v[4:5]
	s_cbranch_scc0 .LBB169_849
; %bb.848:
	s_mov_b64 s[2:3], 0
	global_store_dword v[0:1], v2, off
.LBB169_849:
	s_andn2_b64 vcc, exec, s[2:3]
	s_cbranch_vccnz .LBB169_851
; %bb.850:
	global_store_short v[0:1], v2, off
.LBB169_851:
	s_mov_b64 s[2:3], 0
.LBB169_852:
	s_andn2_b64 vcc, exec, s[2:3]
	s_cbranch_vccnz .LBB169_860
; %bb.853:
	v_cvt_f32_f64_e32 v2, v[4:5]
	v_and_b32_e32 v3, 0x7fffffff, v2
	s_mov_b32 s2, 0x43800000
	v_cmp_gt_u32_e32 vcc, s2, v3
	v_mov_b32_e32 v8, 0x80
	s_and_saveexec_b64 s[2:3], vcc
	s_cbranch_execz .LBB169_859
; %bb.854:
	s_mov_b32 s8, 0x3bffffff
	v_cmp_lt_u32_e32 vcc, s8, v3
	s_mov_b64 s[8:9], 0
                                        ; implicit-def: $vgpr3
	s_and_saveexec_b64 s[10:11], vcc
	s_xor_b64 s[10:11], exec, s[10:11]
	s_cbranch_execz .LBB169_977
; %bb.855:
	v_bfe_u32 v3, v2, 20, 1
	s_mov_b32 s14, 0x487ffff
	v_add3_u32 v3, v2, v3, s14
	s_mov_b64 s[8:9], exec
	v_lshrrev_b32_e32 v3, 20, v3
	s_andn2_saveexec_b64 s[10:11], s[10:11]
	s_cbranch_execnz .LBB169_978
.LBB169_856:
	s_or_b64 exec, exec, s[10:11]
	v_mov_b32_e32 v8, 0
	s_and_saveexec_b64 s[10:11], s[8:9]
.LBB169_857:
	v_lshrrev_b32_e32 v2, 24, v2
	s_movk_i32 s8, 0x80
	v_and_or_b32 v8, v2, s8, v3
.LBB169_858:
	s_or_b64 exec, exec, s[10:11]
.LBB169_859:
	s_or_b64 exec, exec, s[2:3]
	global_store_byte v[0:1], v8, off
.LBB169_860:
	s_mov_b64 s[2:3], -1
.LBB169_861:
	s_mov_b64 s[8:9], 0
.LBB169_862:
	s_and_b64 vcc, exec, s[8:9]
	s_cbranch_vccz .LBB169_903
; %bb.863:
	s_cmp_gt_i32 s13, 22
	s_mov_b64 s[8:9], -1
	s_cbranch_scc0 .LBB169_895
; %bb.864:
	s_cmp_lt_i32 s13, 24
	s_mov_b64 s[2:3], -1
	s_cbranch_scc1 .LBB169_884
; %bb.865:
	s_cmp_gt_i32 s13, 24
	s_cbranch_scc0 .LBB169_873
; %bb.866:
	v_cvt_f32_f64_e32 v2, v[4:5]
	v_and_b32_e32 v3, 0x7fffffff, v2
	s_mov_b32 s2, 0x47800000
	v_cmp_gt_u32_e32 vcc, s2, v3
	v_mov_b32_e32 v8, 0x80
	s_and_saveexec_b64 s[2:3], vcc
	s_cbranch_execz .LBB169_872
; %bb.867:
	s_mov_b32 s8, 0x37ffffff
	v_cmp_lt_u32_e32 vcc, s8, v3
	s_mov_b64 s[8:9], 0
                                        ; implicit-def: $vgpr3
	s_and_saveexec_b64 s[10:11], vcc
	s_xor_b64 s[10:11], exec, s[10:11]
	s_cbranch_execz .LBB169_980
; %bb.868:
	v_bfe_u32 v3, v2, 21, 1
	s_mov_b32 s14, 0x88fffff
	v_add3_u32 v3, v2, v3, s14
	s_mov_b64 s[8:9], exec
	v_lshrrev_b32_e32 v3, 21, v3
	s_andn2_saveexec_b64 s[10:11], s[10:11]
	s_cbranch_execnz .LBB169_981
.LBB169_869:
	s_or_b64 exec, exec, s[10:11]
	v_mov_b32_e32 v8, 0
	s_and_saveexec_b64 s[10:11], s[8:9]
.LBB169_870:
	v_lshrrev_b32_e32 v2, 24, v2
	s_movk_i32 s8, 0x80
	v_and_or_b32 v8, v2, s8, v3
.LBB169_871:
	s_or_b64 exec, exec, s[10:11]
.LBB169_872:
	s_or_b64 exec, exec, s[2:3]
	s_mov_b64 s[2:3], 0
	global_store_byte v[0:1], v8, off
.LBB169_873:
	s_and_b64 vcc, exec, s[2:3]
	s_cbranch_vccz .LBB169_883
; %bb.874:
	v_cvt_f32_f64_e32 v2, v[4:5]
	v_and_b32_e32 v8, 0x7fffffff, v2
	s_mov_b32 s2, 0x43f00000
	v_cmp_gt_u32_e32 vcc, s2, v8
                                        ; implicit-def: $vgpr3
	s_and_saveexec_b64 s[2:3], vcc
	s_xor_b64 s[2:3], exec, s[2:3]
	s_cbranch_execz .LBB169_880
; %bb.875:
	s_mov_b32 s8, 0x3c7fffff
	v_cmp_lt_u32_e32 vcc, s8, v8
                                        ; implicit-def: $vgpr3
	s_and_saveexec_b64 s[8:9], vcc
	s_xor_b64 s[8:9], exec, s[8:9]
; %bb.876:
	v_bfe_u32 v3, v2, 20, 1
	s_mov_b32 s10, 0x407ffff
	v_add3_u32 v3, v2, v3, s10
	v_lshrrev_b32_e32 v8, 20, v3
	v_and_b32_e32 v3, 0xff00000, v3
	s_mov_b32 s10, 0x7f00000
	v_mov_b32_e32 v9, 0x7e
	v_cmp_ne_u32_e32 vcc, s10, v3
	s_nop 1
	v_cndmask_b32_e32 v3, v9, v8, vcc
; %bb.877:
	s_andn2_saveexec_b64 s[8:9], s[8:9]
; %bb.878:
	s_mov_b32 s10, 0x46800000
	v_add_f32_e64 v3, |v2|, s10
; %bb.879:
	s_or_b64 exec, exec, s[8:9]
                                        ; implicit-def: $vgpr8
.LBB169_880:
	s_andn2_saveexec_b64 s[2:3], s[2:3]
; %bb.881:
	s_mov_b32 s8, 0x7f800000
	v_mov_b32_e32 v3, 0x7e
	v_mov_b32_e32 v9, 0x7f
	v_cmp_lt_u32_e32 vcc, s8, v8
	s_nop 1
	v_cndmask_b32_e32 v3, v3, v9, vcc
; %bb.882:
	s_or_b64 exec, exec, s[2:3]
	v_lshrrev_b32_e32 v2, 24, v2
	s_movk_i32 s2, 0x80
	v_and_or_b32 v2, v2, s2, v3
	global_store_byte v[0:1], v2, off
.LBB169_883:
	s_mov_b64 s[2:3], 0
.LBB169_884:
	s_andn2_b64 vcc, exec, s[2:3]
	s_cbranch_vccnz .LBB169_894
; %bb.885:
	v_cvt_f32_f64_e32 v2, v[4:5]
	v_and_b32_e32 v8, 0x7fffffff, v2
	s_mov_b32 s2, 0x47800000
	v_cmp_gt_u32_e32 vcc, s2, v8
                                        ; implicit-def: $vgpr3
	s_and_saveexec_b64 s[2:3], vcc
	s_xor_b64 s[2:3], exec, s[2:3]
	s_cbranch_execz .LBB169_891
; %bb.886:
	s_mov_b32 s8, 0x387fffff
	v_cmp_lt_u32_e32 vcc, s8, v8
                                        ; implicit-def: $vgpr3
	s_and_saveexec_b64 s[8:9], vcc
	s_xor_b64 s[8:9], exec, s[8:9]
; %bb.887:
	v_bfe_u32 v3, v2, 21, 1
	s_mov_b32 s10, 0x80fffff
	v_add3_u32 v3, v2, v3, s10
	v_lshrrev_b32_e32 v3, 21, v3
; %bb.888:
	s_andn2_saveexec_b64 s[8:9], s[8:9]
; %bb.889:
	s_mov_b32 s10, 0x43000000
	v_add_f32_e64 v3, |v2|, s10
; %bb.890:
	s_or_b64 exec, exec, s[8:9]
                                        ; implicit-def: $vgpr8
.LBB169_891:
	s_andn2_saveexec_b64 s[2:3], s[2:3]
; %bb.892:
	s_mov_b32 s8, 0x7f800000
	v_mov_b32_e32 v3, 0x7c
	v_mov_b32_e32 v9, 0x7f
	v_cmp_lt_u32_e32 vcc, s8, v8
	s_nop 1
	v_cndmask_b32_e32 v3, v3, v9, vcc
; %bb.893:
	s_or_b64 exec, exec, s[2:3]
	v_lshrrev_b32_e32 v2, 24, v2
	s_movk_i32 s2, 0x80
	v_and_or_b32 v2, v2, s2, v3
	global_store_byte v[0:1], v2, off
.LBB169_894:
	s_mov_b64 s[8:9], 0
	s_mov_b64 s[2:3], -1
.LBB169_895:
	s_andn2_b64 vcc, exec, s[8:9]
	s_cbranch_vccnz .LBB169_903
; %bb.896:
	s_cmp_gt_i32 s13, 14
	s_mov_b64 s[8:9], -1
	s_cbranch_scc0 .LBB169_900
; %bb.897:
	s_cmp_eq_u32 s13, 15
	s_mov_b64 s[4:5], -1
	s_cbranch_scc0 .LBB169_899
; %bb.898:
	v_cvt_f32_f64_e32 v2, v[4:5]
	v_bfe_u32 v3, v2, 16, 1
	s_movk_i32 s2, 0x7fff
	v_add3_u32 v3, v2, v3, s2
	v_cmp_o_f32_e32 vcc, v2, v2
	v_mov_b32_e32 v2, 0x7fc0
	s_mov_b64 s[2:3], -1
	v_cndmask_b32_sdwa v2, v2, v3, vcc dst_sel:DWORD dst_unused:UNUSED_PAD src0_sel:DWORD src1_sel:WORD_1
	global_store_short v[0:1], v2, off
	s_mov_b64 s[4:5], 0
.LBB169_899:
	s_mov_b64 s[8:9], 0
.LBB169_900:
	s_and_b64 vcc, exec, s[8:9]
	s_cbranch_vccz .LBB169_903
; %bb.901:
	s_cmp_eq_u32 s13, 11
	s_mov_b64 s[4:5], -1
	s_cbranch_scc0 .LBB169_903
; %bb.902:
	v_cmp_neq_f64_e32 vcc, 0, v[4:5]
	v_cmp_neq_f64_e64 s[2:3], 0, v[6:7]
	s_or_b64 s[2:3], vcc, s[2:3]
	s_mov_b64 s[4:5], 0
	v_cndmask_b32_e64 v2, 0, 1, s[2:3]
	s_mov_b64 s[2:3], -1
	global_store_byte v[0:1], v2, off
.LBB169_903:
	s_mov_b64 s[8:9], 0
.LBB169_904:
	s_and_b64 vcc, exec, s[8:9]
	s_cbranch_vccz .LBB169_943
; %bb.905:
	s_and_b32 s8, 0xffff, s12
	s_cmp_lt_i32 s8, 5
	s_mov_b64 s[2:3], -1
	s_cbranch_scc1 .LBB169_926
; %bb.906:
	s_cmp_lt_i32 s8, 8
	s_cbranch_scc1 .LBB169_916
; %bb.907:
	s_cmp_lt_i32 s8, 9
	s_cbranch_scc1 .LBB169_913
; %bb.908:
	s_cmp_gt_i32 s8, 9
	s_cbranch_scc0 .LBB169_910
; %bb.909:
	s_mov_b64 s[2:3], 0
	global_store_dwordx4 v[0:1], v[4:7], off
.LBB169_910:
	s_andn2_b64 vcc, exec, s[2:3]
	s_cbranch_vccnz .LBB169_912
; %bb.911:
	v_cvt_f32_f64_e32 v2, v[4:5]
	v_cvt_f32_f64_e32 v3, v[6:7]
	global_store_dwordx2 v[0:1], v[2:3], off
.LBB169_912:
	s_mov_b64 s[2:3], 0
.LBB169_913:
	s_andn2_b64 vcc, exec, s[2:3]
	s_cbranch_vccnz .LBB169_915
; %bb.914:
	s_movk_i32 s2, 0x1ff
	v_and_or_b32 v2, v5, s2, v4
	v_cmp_ne_u32_e32 vcc, 0, v2
	v_lshrrev_b32_e32 v3, 8, v5
	s_movk_i32 s3, 0xffe
	v_cndmask_b32_e64 v2, 0, 1, vcc
	v_bfe_u32 v8, v5, 20, 11
	v_and_or_b32 v2, v3, s3, v2
	v_sub_u32_e32 v9, 0x3f1, v8
	v_or_b32_e32 v3, 0x1000, v2
	v_med3_i32 v9, v9, 0, 13
	v_lshrrev_b32_e32 v10, v9, v3
	v_lshlrev_b32_e32 v9, v9, v10
	v_cmp_ne_u32_e32 vcc, v9, v3
	v_add_u32_e32 v8, 0xfffffc10, v8
	v_lshl_or_b32 v9, v8, 12, v2
	v_cndmask_b32_e64 v3, 0, 1, vcc
	v_or_b32_e32 v3, v10, v3
	v_cmp_gt_i32_e32 vcc, 1, v8
	s_movk_i32 s9, 0x40f
	v_and_or_b32 v6, v7, s2, v6
	v_cndmask_b32_e32 v3, v9, v3, vcc
	v_and_b32_e32 v9, 7, v3
	v_cmp_lt_i32_e32 vcc, 5, v9
	v_lshrrev_b32_e32 v3, 2, v3
	v_bfe_u32 v11, v7, 20, 11
	v_cndmask_b32_e64 v10, 0, 1, vcc
	v_cmp_eq_u32_e32 vcc, 3, v9
	v_sub_u32_e32 v12, 0x3f1, v11
	v_med3_i32 v12, v12, 0, 13
	v_cndmask_b32_e64 v9, 0, 1, vcc
	v_or_b32_e32 v9, v9, v10
	v_add_u32_e32 v3, v3, v9
	v_mov_b32_e32 v9, 0x7c00
	v_cmp_gt_i32_e32 vcc, 31, v8
	v_mov_b32_e32 v10, 0x7e00
	v_add_u32_e32 v11, 0xfffffc10, v11
	v_cndmask_b32_e32 v3, v9, v3, vcc
	v_cmp_ne_u32_e32 vcc, 0, v2
	s_mov_b32 s10, 0x8000
	s_mov_b32 s2, 0xffff
	v_cndmask_b32_e32 v2, v9, v10, vcc
	v_cmp_eq_u32_e32 vcc, s9, v8
	v_lshrrev_b32_e32 v8, 8, v7
	v_lshrrev_b32_e32 v7, 16, v7
	v_cndmask_b32_e32 v2, v3, v2, vcc
	v_cmp_ne_u32_e32 vcc, 0, v6
	v_and_b32_sdwa v3, v5, s10 dst_sel:DWORD dst_unused:UNUSED_PAD src0_sel:WORD_1 src1_sel:DWORD
	v_bitop3_b32 v2, v3, s2, v2 bitop3:0xc8
	v_cndmask_b32_e64 v6, 0, 1, vcc
	v_and_or_b32 v6, v8, s3, v6
	v_or_b32_e32 v8, 0x1000, v6
	v_lshrrev_b32_e32 v13, v12, v8
	v_lshlrev_b32_e32 v12, v12, v13
	v_cmp_ne_u32_e32 vcc, v12, v8
	v_lshl_or_b32 v12, v11, 12, v6
	s_nop 0
	v_cndmask_b32_e64 v8, 0, 1, vcc
	v_or_b32_e32 v8, v13, v8
	v_cmp_gt_i32_e32 vcc, 1, v11
	s_nop 1
	v_cndmask_b32_e32 v8, v12, v8, vcc
	v_and_b32_e32 v12, 7, v8
	v_cmp_lt_i32_e32 vcc, 5, v12
	v_lshrrev_b32_e32 v8, 2, v8
	s_nop 0
	v_cndmask_b32_e64 v13, 0, 1, vcc
	v_cmp_eq_u32_e32 vcc, 3, v12
	s_nop 1
	v_cndmask_b32_e64 v12, 0, 1, vcc
	v_or_b32_e32 v12, v12, v13
	v_add_u32_e32 v8, v8, v12
	v_cmp_gt_i32_e32 vcc, 31, v11
	s_nop 1
	v_cndmask_b32_e32 v8, v9, v8, vcc
	v_cmp_ne_u32_e32 vcc, 0, v6
	s_nop 1
	v_cndmask_b32_e32 v6, v9, v10, vcc
	v_cmp_eq_u32_e32 vcc, s9, v11
	s_nop 1
	v_cndmask_b32_e32 v6, v8, v6, vcc
	v_and_or_b32 v6, v7, s10, v6
	v_lshl_or_b32 v2, v6, 16, v2
	global_store_dword v[0:1], v2, off
.LBB169_915:
	s_mov_b64 s[2:3], 0
.LBB169_916:
	s_andn2_b64 vcc, exec, s[2:3]
	s_cbranch_vccnz .LBB169_925
; %bb.917:
	s_cmp_lt_i32 s8, 6
	s_mov_b64 s[2:3], -1
	s_cbranch_scc1 .LBB169_923
; %bb.918:
	s_cmp_gt_i32 s8, 6
	s_cbranch_scc0 .LBB169_920
; %bb.919:
	s_mov_b64 s[2:3], 0
	global_store_dwordx2 v[0:1], v[4:5], off
.LBB169_920:
	s_andn2_b64 vcc, exec, s[2:3]
	s_cbranch_vccnz .LBB169_922
; %bb.921:
	v_cvt_f32_f64_e32 v2, v[4:5]
	global_store_dword v[0:1], v2, off
.LBB169_922:
	s_mov_b64 s[2:3], 0
.LBB169_923:
	s_andn2_b64 vcc, exec, s[2:3]
	s_cbranch_vccnz .LBB169_925
; %bb.924:
	s_movk_i32 s2, 0x1ff
	v_and_or_b32 v2, v5, s2, v4
	v_cmp_ne_u32_e32 vcc, 0, v2
	v_lshrrev_b32_e32 v3, 8, v5
	s_movk_i32 s2, 0xffe
	v_cndmask_b32_e64 v2, 0, 1, vcc
	v_bfe_u32 v6, v5, 20, 11
	v_and_or_b32 v2, v3, s2, v2
	v_sub_u32_e32 v7, 0x3f1, v6
	v_or_b32_e32 v3, 0x1000, v2
	v_med3_i32 v7, v7, 0, 13
	v_lshrrev_b32_e32 v8, v7, v3
	v_lshlrev_b32_e32 v7, v7, v8
	v_cmp_ne_u32_e32 vcc, v7, v3
	v_add_u32_e32 v6, 0xfffffc10, v6
	v_lshl_or_b32 v7, v6, 12, v2
	v_cndmask_b32_e64 v3, 0, 1, vcc
	v_or_b32_e32 v3, v8, v3
	v_cmp_gt_i32_e32 vcc, 1, v6
	s_movk_i32 s2, 0x40f
	s_nop 0
	v_cndmask_b32_e32 v3, v7, v3, vcc
	v_and_b32_e32 v7, 7, v3
	v_cmp_lt_i32_e32 vcc, 5, v7
	v_lshrrev_b32_e32 v3, 2, v3
	s_nop 0
	v_cndmask_b32_e64 v8, 0, 1, vcc
	v_cmp_eq_u32_e32 vcc, 3, v7
	s_nop 1
	v_cndmask_b32_e64 v7, 0, 1, vcc
	v_or_b32_e32 v7, v7, v8
	v_add_u32_e32 v3, v3, v7
	v_mov_b32_e32 v7, 0x7c00
	v_cmp_gt_i32_e32 vcc, 31, v6
	v_mov_b32_e32 v8, 0x7e00
	s_nop 0
	v_cndmask_b32_e32 v3, v7, v3, vcc
	v_cmp_ne_u32_e32 vcc, 0, v2
	s_nop 1
	v_cndmask_b32_e32 v2, v7, v8, vcc
	v_cmp_eq_u32_e32 vcc, s2, v6
	s_mov_b32 s2, 0x8000
	s_nop 0
	v_cndmask_b32_e32 v2, v3, v2, vcc
	v_lshrrev_b32_e32 v3, 16, v5
	v_and_or_b32 v2, v3, s2, v2
	global_store_short v[0:1], v2, off
.LBB169_925:
	s_mov_b64 s[2:3], 0
.LBB169_926:
	s_andn2_b64 vcc, exec, s[2:3]
	s_cbranch_vccnz .LBB169_942
; %bb.927:
	s_cmp_lt_i32 s8, 2
	s_mov_b64 s[2:3], -1
	s_cbranch_scc1 .LBB169_937
; %bb.928:
	s_cmp_lt_i32 s8, 3
	s_cbranch_scc1 .LBB169_934
; %bb.929:
	s_cmp_gt_i32 s8, 3
	s_cbranch_scc0 .LBB169_931
; %bb.930:
	v_trunc_f64_e32 v[2:3], v[4:5]
	s_movk_i32 s2, 0xffe0
	v_ldexp_f64 v[6:7], v[2:3], s2
	v_floor_f64_e32 v[6:7], v[6:7]
	v_fmac_f64_e32 v[2:3], 0xc1f00000, v[6:7]
	v_cvt_i32_f64_e32 v9, v[6:7]
	v_cvt_u32_f64_e32 v8, v[2:3]
	s_mov_b64 s[2:3], 0
	global_store_dwordx2 v[0:1], v[8:9], off
.LBB169_931:
	s_andn2_b64 vcc, exec, s[2:3]
	s_cbranch_vccnz .LBB169_933
; %bb.932:
	v_cvt_i32_f64_e32 v2, v[4:5]
	global_store_dword v[0:1], v2, off
.LBB169_933:
	s_mov_b64 s[2:3], 0
.LBB169_934:
	s_andn2_b64 vcc, exec, s[2:3]
	s_cbranch_vccnz .LBB169_936
; %bb.935:
	v_cvt_i32_f64_e32 v2, v[4:5]
	global_store_short v[0:1], v2, off
.LBB169_936:
	s_mov_b64 s[2:3], 0
.LBB169_937:
	s_andn2_b64 vcc, exec, s[2:3]
	s_cbranch_vccnz .LBB169_942
; %bb.938:
	s_cmp_gt_i32 s8, 0
	s_mov_b64 s[2:3], -1
	s_cbranch_scc0 .LBB169_940
; %bb.939:
	v_cvt_i32_f64_e32 v2, v[4:5]
	s_mov_b64 s[2:3], 0
	global_store_byte v[0:1], v2, off
.LBB169_940:
	s_andn2_b64 vcc, exec, s[2:3]
	s_cbranch_vccnz .LBB169_942
; %bb.941:
	v_trunc_f64_e32 v[2:3], v[4:5]
	s_movk_i32 s2, 0xffe0
	v_ldexp_f64 v[4:5], v[2:3], s2
	v_floor_f64_e32 v[4:5], v[4:5]
	v_fmac_f64_e32 v[2:3], 0xc1f00000, v[4:5]
	v_cvt_u32_f64_e32 v2, v[2:3]
	global_store_byte v[0:1], v2, off
.LBB169_942:
	s_mov_b64 s[2:3], -1
.LBB169_943:
	s_andn2_b64 vcc, exec, s[2:3]
	s_cbranch_vccnz .LBB169_945
; %bb.944:
	v_add_u32_e32 v16, 0x80, v16
	s_mov_b64 s[8:9], -1
	s_branch .LBB169_947
.LBB169_945:
	s_mov_b64 s[8:9], 0
.LBB169_946:
                                        ; implicit-def: $vgpr16
.LBB169_947:
	s_andn2_b64 s[2:3], s[62:63], exec
	s_and_b64 s[4:5], s[4:5], exec
	s_or_b64 s[68:69], s[2:3], s[4:5]
	s_andn2_b64 s[2:3], s[60:61], exec
	s_and_b64 s[4:5], s[6:7], exec
	s_or_b64 s[2:3], s[2:3], s[4:5]
	s_orn2_b64 s[6:7], s[8:9], exec
.LBB169_948:
	s_or_b64 exec, exec, s[66:67]
	s_mov_b64 s[4:5], 0
	s_mov_b64 s[10:11], 0
	;; [unrolled: 1-line block ×3, first 2 shown]
                                        ; implicit-def: $vgpr4_vgpr5
                                        ; implicit-def: $vgpr8
                                        ; implicit-def: $vgpr2_vgpr3
	s_and_saveexec_b64 s[66:67], s[6:7]
	s_cbranch_execz .LBB169_1051
; %bb.949:
	v_cmp_gt_i32_e32 vcc, s70, v16
	s_mov_b64 s[6:7], 0
	s_mov_b64 s[12:13], s[2:3]
                                        ; implicit-def: $vgpr4_vgpr5
                                        ; implicit-def: $vgpr8
                                        ; implicit-def: $vgpr2_vgpr3
	s_and_saveexec_b64 s[70:71], vcc
	s_cbranch_execz .LBB169_1050
; %bb.950:
	s_andn2_b64 vcc, exec, s[42:43]
	s_cbranch_vccnz .LBB169_956
; %bb.951:
	s_andn2_b64 vcc, exec, s[52:53]
	s_cbranch_vccnz .LBB169_957
; %bb.952:
	s_add_i32 s76, s75, 1
	s_cmp_eq_u32 s72, 2
	s_cbranch_scc1 .LBB169_958
; %bb.953:
	s_and_b32 s75, s76, 28
	s_mov_b32 s77, 0
	v_mov_b32_e32 v8, 0
	s_waitcnt vmcnt(0)
	v_mov_b32_e32 v0, 0
	s_mov_b64 s[52:53], s[34:35]
	v_mov_b32_e32 v2, v16
.LBB169_954:                            ; =>This Inner Loop Header: Depth=1
	s_load_dwordx8 s[12:19], s[52:53], 0x4
	s_load_dwordx4 s[36:39], s[52:53], 0x24
	s_load_dwordx8 s[4:11], s[50:51], 0x0
	s_add_u32 s52, s52, 48
	s_addc_u32 s53, s53, 0
	s_waitcnt lgkmcnt(0)
	v_mul_hi_u32 v1, s13, v2
	v_add_u32_e32 v1, v2, v1
	v_lshrrev_b32_e32 v1, s14, v1
	v_mul_lo_u32 v3, v1, s12
	v_mul_hi_u32 v4, s16, v1
	v_sub_u32_e32 v2, v2, v3
	v_add_u32_e32 v3, v1, v4
	v_lshrrev_b32_e32 v3, s17, v3
	v_mul_lo_u32 v5, v3, s15
	v_mul_hi_u32 v6, s19, v3
	v_sub_u32_e32 v1, v1, v5
	v_add_u32_e32 v5, v3, v6
	v_mul_lo_u32 v4, v2, s5
	v_mul_lo_u32 v2, v2, s4
	;; [unrolled: 1-line block ×4, first 2 shown]
	v_lshrrev_b32_e32 v5, s36, v5
	v_add3_u32 v1, v2, v8, v1
	v_add3_u32 v0, v4, v0, v6
	v_mul_lo_u32 v2, v5, s18
	v_mul_hi_u32 v4, s38, v5
	v_sub_u32_e32 v2, v3, v2
	v_add_u32_e32 v3, v5, v4
	v_mul_lo_u32 v4, v2, s8
	v_mul_lo_u32 v6, v2, s9
	v_lshrrev_b32_e32 v2, s39, v3
	s_add_i32 s77, s77, 4
	v_mul_lo_u32 v3, v2, s37
	s_add_u32 s50, s50, 32
	v_sub_u32_e32 v3, v5, v3
	s_addc_u32 s51, s51, 0
	v_mul_lo_u32 v5, v3, s10
	v_mul_lo_u32 v3, v3, s11
	s_cmp_eq_u32 s75, s77
	v_add3_u32 v0, v6, v0, v3
	v_add3_u32 v8, v4, v1, v5
	s_cbranch_scc0 .LBB169_954
; %bb.955:
	v_mov_b32_e32 v1, v0
	s_branch .LBB169_959
.LBB169_956:
	s_mov_b64 s[4:5], -1
                                        ; implicit-def: $vgpr0
                                        ; implicit-def: $vgpr8
	s_branch .LBB169_963
.LBB169_957:
	s_waitcnt vmcnt(0)
	v_mov_b32_e32 v0, 0
	v_mov_b32_e32 v8, 0
	s_branch .LBB169_962
.LBB169_958:
	v_mov_b32_e32 v8, 0
	s_mov_b32 s75, 0
	s_waitcnt vmcnt(0)
	v_mov_b32_e32 v1, v8
                                        ; implicit-def: $vgpr0
	v_mov_b32_e32 v2, v16
.LBB169_959:
	s_and_b32 s8, s76, 3
	s_cmp_eq_u32 s8, 0
	s_cbranch_scc1 .LBB169_962
; %bb.960:
	s_lshl_b32 s4, s75, 3
	s_add_u32 s4, s34, s4
	s_addc_u32 s5, s35, 0
	s_add_u32 s4, s4, 0xc4
	s_addc_u32 s5, s5, 0
	s_mul_i32 s6, s75, 12
	s_add_u32 s6, s34, s6
	s_addc_u32 s7, s35, 0
.LBB169_961:                            ; =>This Inner Loop Header: Depth=1
	s_load_dwordx2 s[10:11], s[6:7], 0x4
	s_load_dword s9, s[6:7], 0xc
	s_load_dwordx2 s[12:13], s[4:5], 0x0
	v_mov_b32_e32 v0, v1
	s_add_u32 s6, s6, 12
	s_waitcnt lgkmcnt(0)
	v_mul_hi_u32 v1, s11, v2
	v_add_u32_e32 v1, v2, v1
	v_lshrrev_b32_e32 v1, s9, v1
	s_addc_u32 s7, s7, 0
	v_mul_lo_u32 v3, v1, s10
	s_add_u32 s4, s4, 8
	v_sub_u32_e32 v3, v2, v3
	s_addc_u32 s5, s5, 0
	s_add_i32 s8, s8, -1
	v_mov_b32_e32 v2, v1
	v_mad_u64_u32 v[0:1], s[10:11], v3, s13, v[0:1]
	s_cmp_lg_u32 s8, 0
	v_mad_u64_u32 v[8:9], s[10:11], v3, s12, v[8:9]
	v_mov_b32_e32 v1, v0
	s_cbranch_scc1 .LBB169_961
.LBB169_962:
	s_mov_b64 s[4:5], 0
.LBB169_963:
	s_andn2_b64 vcc, exec, s[4:5]
	s_cbranch_vccnz .LBB169_966
; %bb.964:
	s_waitcnt vmcnt(0) lgkmcnt(0)
	v_mul_hi_u32 v0, s29, v16
	v_add_u32_e32 v0, v16, v0
	v_lshrrev_b32_e32 v1, s30, v0
	v_mul_lo_u32 v0, v1, s28
	v_sub_u32_e32 v2, v16, v0
	v_mul_lo_u32 v0, v2, s25
	s_andn2_b64 vcc, exec, s[48:49]
	v_mul_lo_u32 v8, v2, s24
	s_cbranch_vccnz .LBB169_966
; %bb.965:
	v_mul_hi_u32 v2, s46, v1
	v_add_u32_e32 v2, v1, v2
	v_lshrrev_b32_e32 v2, s47, v2
	v_mul_lo_u32 v2, v2, s31
	v_sub_u32_e32 v1, v1, v2
	v_mad_u64_u32 v[8:9], s[4:5], v1, s26, v[8:9]
	v_mad_u64_u32 v[0:1], s[4:5], v1, s27, v[0:1]
.LBB169_966:
	s_waitcnt vmcnt(0)
	v_mov_b32_e32 v1, 0
	s_and_b32 s14, 0xffff, s74
	s_cmp_lt_i32 s14, 11
	s_waitcnt lgkmcnt(0)
	v_lshl_add_u64 v[4:5], s[22:23], 0, v[0:1]
	s_cbranch_scc1 .LBB169_973
; %bb.967:
	s_cmp_gt_i32 s14, 25
	s_mov_b64 s[6:7], 0
	s_cbranch_scc0 .LBB169_974
; %bb.968:
	s_cmp_gt_i32 s14, 28
	s_cbranch_scc0 .LBB169_975
; %bb.969:
	s_cmp_gt_i32 s14, 43
	;; [unrolled: 3-line block ×3, first 2 shown]
	s_cbranch_scc0 .LBB169_979
; %bb.971:
	s_cmp_eq_u32 s14, 46
	s_mov_b64 s[10:11], 0
	s_cbranch_scc0 .LBB169_982
; %bb.972:
	global_load_dword v0, v[4:5], off
	s_mov_b64 s[4:5], 0
	s_mov_b64 s[8:9], -1
	s_waitcnt vmcnt(0)
	v_and_b32_e32 v2, 0xffff0000, v0
	v_lshlrev_b32_e32 v0, 16, v0
	v_cvt_f64_f32_e32 v[0:1], v0
	v_cvt_f64_f32_e32 v[2:3], v2
	s_branch .LBB169_983
.LBB169_973:
	s_mov_b64 s[10:11], -1
	s_mov_b64 s[8:9], 0
	s_mov_b64 s[6:7], 0
	;; [unrolled: 1-line block ×3, first 2 shown]
                                        ; implicit-def: $vgpr2_vgpr3
	s_branch .LBB169_1049
.LBB169_974:
	s_mov_b64 s[10:11], -1
	s_mov_b64 s[8:9], 0
	s_mov_b64 s[4:5], s[2:3]
                                        ; implicit-def: $vgpr2_vgpr3
	s_branch .LBB169_1016
.LBB169_975:
	s_mov_b64 s[10:11], -1
	s_mov_b64 s[8:9], 0
	s_mov_b64 s[4:5], s[2:3]
                                        ; implicit-def: $vgpr2_vgpr3
	s_branch .LBB169_995
.LBB169_976:
	s_mov_b64 s[10:11], -1
	s_mov_b64 s[8:9], 0
	s_mov_b64 s[4:5], s[2:3]
                                        ; implicit-def: $vgpr2_vgpr3
	s_branch .LBB169_989
.LBB169_977:
	s_andn2_saveexec_b64 s[10:11], s[10:11]
	s_cbranch_execz .LBB169_856
.LBB169_978:
	s_mov_b32 s14, 0x46000000
	v_add_f32_e64 v3, |v2|, s14
	v_and_b32_e32 v3, 0xff, v3
	v_cmp_ne_u32_e32 vcc, 0, v3
	s_andn2_b64 s[8:9], s[8:9], exec
	s_and_b64 s[14:15], vcc, exec
	s_or_b64 s[8:9], s[8:9], s[14:15]
	s_or_b64 exec, exec, s[10:11]
	v_mov_b32_e32 v8, 0
	s_and_saveexec_b64 s[10:11], s[8:9]
	s_cbranch_execnz .LBB169_857
	s_branch .LBB169_858
.LBB169_979:
	s_mov_b64 s[10:11], -1
	s_mov_b64 s[8:9], 0
	s_mov_b64 s[4:5], s[2:3]
                                        ; implicit-def: $vgpr2_vgpr3
	s_branch .LBB169_983
.LBB169_980:
	s_andn2_saveexec_b64 s[10:11], s[10:11]
	s_cbranch_execz .LBB169_869
.LBB169_981:
	s_mov_b32 s14, 0x42800000
	v_add_f32_e64 v3, |v2|, s14
	v_and_b32_e32 v3, 0xff, v3
	v_cmp_ne_u32_e32 vcc, 0, v3
	s_andn2_b64 s[8:9], s[8:9], exec
	s_and_b64 s[14:15], vcc, exec
	s_or_b64 s[8:9], s[8:9], s[14:15]
	s_or_b64 exec, exec, s[10:11]
	v_mov_b32_e32 v8, 0
	s_and_saveexec_b64 s[10:11], s[8:9]
	s_cbranch_execnz .LBB169_870
	s_branch .LBB169_871
.LBB169_982:
	s_mov_b64 s[4:5], -1
                                        ; implicit-def: $vgpr2_vgpr3
	s_mov_b64 s[8:9], 0
.LBB169_983:
	s_and_b64 vcc, exec, s[10:11]
	s_cbranch_vccz .LBB169_988
; %bb.984:
	s_cmp_eq_u32 s14, 44
	s_cbranch_scc0 .LBB169_986
; %bb.985:
	global_load_ubyte v2, v[4:5], off
	s_movk_i32 s8, 0xff
	v_bfrev_b32_e32 v3, 4
	v_mov_b32_e32 v6, 0x7ff80000
	v_bfrev_b32_e32 v7, 28
	s_mov_b64 s[4:5], 0
	s_waitcnt vmcnt(0)
	v_lshlrev_b32_e32 v0, 23, v2
	v_cvt_f64_f32_e32 v[0:1], v0
	v_cmp_ne_u32_e32 vcc, s8, v2
	s_mov_b64 s[8:9], -1
	s_nop 0
	v_cndmask_b32_e32 v0, v3, v0, vcc
	v_cndmask_b32_e32 v1, v6, v1, vcc
	v_cmp_ne_u32_e32 vcc, 0, v2
	s_nop 1
	v_cndmask_b32_e32 v1, v7, v1, vcc
	v_cndmask_b32_e32 v0, 0, v0, vcc
	s_branch .LBB169_987
.LBB169_986:
	s_mov_b64 s[4:5], -1
                                        ; implicit-def: $vgpr0_vgpr1
.LBB169_987:
	v_mov_b64_e32 v[2:3], 0
.LBB169_988:
	s_mov_b64 s[10:11], 0
.LBB169_989:
	s_and_b64 vcc, exec, s[10:11]
	s_cbranch_vccz .LBB169_994
; %bb.990:
	s_cmp_eq_u32 s14, 29
	s_cbranch_scc0 .LBB169_992
; %bb.991:
	global_load_dwordx2 v[0:1], v[4:5], off
	s_mov_b64 s[4:5], 0
	s_mov_b64 s[8:9], -1
	s_waitcnt vmcnt(0)
	v_cvt_f64_u32_e32 v[2:3], v1
	v_cvt_f64_u32_e32 v[0:1], v0
	v_ldexp_f64 v[2:3], v[2:3], 32
	v_add_f64 v[0:1], v[2:3], v[0:1]
	s_branch .LBB169_993
.LBB169_992:
	s_mov_b64 s[4:5], -1
                                        ; implicit-def: $vgpr0_vgpr1
.LBB169_993:
	v_mov_b64_e32 v[2:3], 0
.LBB169_994:
	s_mov_b64 s[10:11], 0
.LBB169_995:
	s_and_b64 vcc, exec, s[10:11]
	s_cbranch_vccz .LBB169_1015
; %bb.996:
	s_cmp_lt_i32 s14, 27
	s_cbranch_scc1 .LBB169_999
; %bb.997:
	s_cmp_gt_i32 s14, 27
	s_cbranch_scc0 .LBB169_1000
; %bb.998:
	global_load_dword v0, v[4:5], off
	s_mov_b64 s[8:9], 0
	s_waitcnt vmcnt(0)
	v_cvt_f64_u32_e32 v[0:1], v0
	s_branch .LBB169_1001
.LBB169_999:
	s_mov_b64 s[8:9], -1
                                        ; implicit-def: $vgpr0_vgpr1
	s_branch .LBB169_1004
.LBB169_1000:
	s_mov_b64 s[8:9], -1
                                        ; implicit-def: $vgpr0_vgpr1
.LBB169_1001:
	s_andn2_b64 vcc, exec, s[8:9]
	s_cbranch_vccnz .LBB169_1003
; %bb.1002:
	global_load_ushort v0, v[4:5], off
	s_waitcnt vmcnt(0)
	v_cvt_f64_u32_e32 v[0:1], v0
.LBB169_1003:
	s_mov_b64 s[8:9], 0
.LBB169_1004:
	s_andn2_b64 vcc, exec, s[8:9]
	s_cbranch_vccnz .LBB169_1014
; %bb.1005:
	global_load_ubyte v2, v[4:5], off
	s_movk_i32 s8, 0x7f
	s_waitcnt vmcnt(0)
	v_cmp_lt_i16_e32 vcc, s8, v2
	s_mov_b64 s[8:9], 0
	s_and_saveexec_b64 s[10:11], vcc
	s_xor_b64 s[10:11], exec, s[10:11]
	s_cbranch_execz .LBB169_1009
; %bb.1006:
	s_movk_i32 s8, 0x80
	v_cmp_eq_u16_e32 vcc, s8, v2
	s_mov_b64 s[8:9], -1
	s_and_saveexec_b64 s[12:13], vcc
; %bb.1007:
	s_xor_b64 s[8:9], exec, -1
; %bb.1008:
	s_or_b64 exec, exec, s[12:13]
	s_and_b64 s[8:9], s[8:9], exec
.LBB169_1009:
	s_or_saveexec_b64 s[10:11], s[10:11]
	v_bfrev_b32_e32 v0, 4
	v_mov_b32_e32 v1, 0x7ff80000
	s_xor_b64 exec, exec, s[10:11]
; %bb.1010:
	v_cmp_ne_u16_e32 vcc, 0, v2
	s_andn2_b64 s[8:9], s[8:9], exec
	s_and_b64 s[12:13], vcc, exec
	v_mov_b64_e32 v[0:1], 0
	s_or_b64 s[8:9], s[8:9], s[12:13]
; %bb.1011:
	s_or_b64 exec, exec, s[10:11]
	s_and_saveexec_b64 s[10:11], s[8:9]
	s_cbranch_execz .LBB169_1013
; %bb.1012:
	v_and_b32_e32 v1, 0xffff, v2
	v_lshlrev_b32_e32 v0, 24, v2
	v_and_b32_e32 v2, 7, v1
	v_ffbh_u32_e32 v6, v2
	v_min_u32_e32 v6, 32, v6
	v_subrev_u32_e32 v7, 28, v6
	v_bfe_u32 v3, v1, 3, 4
	v_lshlrev_b32_e32 v1, v7, v1
	v_sub_u32_e32 v6, 29, v6
	v_and_b32_e32 v1, 7, v1
	v_cmp_eq_u32_e32 vcc, 0, v3
	v_and_b32_e32 v0, 0x80000000, v0
	s_nop 0
	v_cndmask_b32_e32 v3, v3, v6, vcc
	v_cndmask_b32_e32 v1, v2, v1, vcc
	v_mov_b32_e32 v2, 0x3b800000
	v_lshlrev_b32_e32 v1, 20, v1
	v_lshl_add_u32 v2, v3, 23, v2
	v_or3_b32 v0, v0, v2, v1
	v_cvt_f64_f32_e32 v[0:1], v0
.LBB169_1013:
	s_or_b64 exec, exec, s[10:11]
.LBB169_1014:
	s_mov_b64 s[8:9], -1
	v_mov_b64_e32 v[2:3], 0
.LBB169_1015:
	s_mov_b64 s[10:11], 0
.LBB169_1016:
	s_and_b64 vcc, exec, s[10:11]
	s_cbranch_vccz .LBB169_1048
; %bb.1017:
	s_cmp_gt_i32 s14, 22
	s_cbranch_scc0 .LBB169_1029
; %bb.1018:
	s_cmp_lt_i32 s14, 24
	s_cbranch_scc1 .LBB169_1030
; %bb.1019:
	s_cmp_gt_i32 s14, 24
	s_cbranch_scc0 .LBB169_1031
; %bb.1020:
	global_load_ubyte v2, v[4:5], off
	s_movk_i32 s6, 0x7f
	s_waitcnt vmcnt(0)
	v_cmp_lt_i16_e32 vcc, s6, v2
	s_mov_b64 s[6:7], 0
	s_and_saveexec_b64 s[8:9], vcc
	s_xor_b64 s[8:9], exec, s[8:9]
	s_cbranch_execz .LBB169_1024
; %bb.1021:
	s_movk_i32 s6, 0x80
	v_cmp_eq_u16_e32 vcc, s6, v2
	s_mov_b64 s[6:7], -1
	s_and_saveexec_b64 s[10:11], vcc
; %bb.1022:
	s_xor_b64 s[6:7], exec, -1
; %bb.1023:
	s_or_b64 exec, exec, s[10:11]
	s_and_b64 s[6:7], s[6:7], exec
.LBB169_1024:
	s_or_saveexec_b64 s[8:9], s[8:9]
	v_bfrev_b32_e32 v0, 4
	v_mov_b32_e32 v1, 0x7ff80000
	s_xor_b64 exec, exec, s[8:9]
; %bb.1025:
	v_cmp_ne_u16_e32 vcc, 0, v2
	s_andn2_b64 s[6:7], s[6:7], exec
	s_and_b64 s[10:11], vcc, exec
	v_mov_b64_e32 v[0:1], 0
	s_or_b64 s[6:7], s[6:7], s[10:11]
; %bb.1026:
	s_or_b64 exec, exec, s[8:9]
	s_and_saveexec_b64 s[8:9], s[6:7]
	s_cbranch_execz .LBB169_1028
; %bb.1027:
	v_and_b32_e32 v1, 0xffff, v2
	v_lshlrev_b32_e32 v0, 24, v2
	v_and_b32_e32 v2, 3, v1
	v_ffbh_u32_e32 v6, v2
	v_min_u32_e32 v6, 32, v6
	v_subrev_u32_e32 v7, 29, v6
	v_bfe_u32 v3, v1, 2, 5
	v_lshlrev_b32_e32 v1, v7, v1
	v_sub_u32_e32 v6, 30, v6
	v_and_b32_e32 v1, 3, v1
	v_cmp_eq_u32_e32 vcc, 0, v3
	v_and_b32_e32 v0, 0x80000000, v0
	s_nop 0
	v_cndmask_b32_e32 v3, v3, v6, vcc
	v_cndmask_b32_e32 v1, v2, v1, vcc
	v_mov_b32_e32 v2, 0x37800000
	v_lshlrev_b32_e32 v1, 21, v1
	v_lshl_add_u32 v2, v3, 23, v2
	v_or3_b32 v0, v0, v2, v1
	v_cvt_f64_f32_e32 v[0:1], v0
.LBB169_1028:
	s_or_b64 exec, exec, s[8:9]
	s_mov_b64 s[6:7], 0
	s_branch .LBB169_1032
.LBB169_1029:
	s_mov_b64 s[6:7], -1
                                        ; implicit-def: $vgpr0_vgpr1
	s_branch .LBB169_1038
.LBB169_1030:
	s_mov_b64 s[6:7], -1
                                        ; implicit-def: $vgpr0_vgpr1
	s_branch .LBB169_1035
.LBB169_1031:
	s_mov_b64 s[6:7], -1
                                        ; implicit-def: $vgpr0_vgpr1
.LBB169_1032:
	s_and_b64 vcc, exec, s[6:7]
	s_cbranch_vccz .LBB169_1034
; %bb.1033:
	global_load_ubyte v0, v[4:5], off
	s_mov_b32 s6, 0x7f800000
	s_waitcnt vmcnt(0)
	v_lshlrev_b32_e32 v0, 24, v0
	v_and_b32_e32 v1, 0x7f000000, v0
	v_ffbh_u32_e32 v2, v1
	v_min_u32_e32 v2, 32, v2
	v_sub_u32_e64 v2, v2, 4 clamp
	v_lshlrev_b32_e32 v6, v2, v1
	v_lshlrev_b32_e32 v2, 23, v2
	v_lshrrev_b32_e32 v6, 4, v6
	v_add_u32_e32 v3, 0x1000000, v1
	v_sub_u32_e32 v2, v6, v2
	v_ashrrev_i32_e32 v3, 8, v3
	v_add_u32_e32 v2, 0x3c000000, v2
	v_and_or_b32 v2, v3, s6, v2
	v_cmp_ne_u32_e32 vcc, 0, v1
	s_brev_b32 s6, 1
	s_nop 0
	v_cndmask_b32_e32 v1, 0, v2, vcc
	v_and_or_b32 v0, v0, s6, v1
	v_cvt_f64_f32_e32 v[0:1], v0
.LBB169_1034:
	s_mov_b64 s[6:7], 0
.LBB169_1035:
	s_andn2_b64 vcc, exec, s[6:7]
	s_cbranch_vccnz .LBB169_1037
; %bb.1036:
	global_load_ubyte v0, v[4:5], off
	s_movk_i32 s6, 0x7f00
	s_brev_b32 s7, 16
	s_waitcnt vmcnt(0)
	v_lshlrev_b16_e32 v1, 8, v0
	v_lshlrev_b32_e32 v0, 25, v0
	v_lshrrev_b32_e32 v2, 4, v0
	v_and_or_b32 v3, v1, s6, 0.5
	v_or_b32_e32 v2, 0x70000000, v2
	v_add_f32_e32 v3, -0.5, v3
	v_mul_f32_e32 v2, 0x7800000, v2
	v_cmp_gt_u32_e32 vcc, s7, v0
	v_bfe_i32 v1, v1, 0, 16
	s_brev_b32 s6, 1
	v_cndmask_b32_e32 v0, v2, v3, vcc
	v_and_or_b32 v0, v1, s6, v0
	v_cvt_f64_f32_e32 v[0:1], v0
.LBB169_1037:
	s_mov_b64 s[6:7], 0
	s_mov_b64 s[8:9], -1
.LBB169_1038:
	s_andn2_b64 vcc, exec, s[6:7]
	s_mov_b64 s[6:7], 0
	s_cbranch_vccnz .LBB169_1047
; %bb.1039:
	s_cmp_gt_i32 s14, 14
	s_cbranch_scc0 .LBB169_1042
; %bb.1040:
	s_cmp_eq_u32 s14, 15
	s_cbranch_scc0 .LBB169_1043
; %bb.1041:
	global_load_ushort v0, v[4:5], off
	s_mov_b64 s[4:5], 0
	s_mov_b64 s[8:9], -1
	s_waitcnt vmcnt(0)
	v_lshlrev_b32_e32 v0, 16, v0
	v_cvt_f64_f32_e32 v[0:1], v0
	s_branch .LBB169_1044
.LBB169_1042:
	s_mov_b64 s[10:11], -1
                                        ; implicit-def: $vgpr0_vgpr1
	s_branch .LBB169_1045
.LBB169_1043:
	s_mov_b64 s[4:5], -1
                                        ; implicit-def: $vgpr0_vgpr1
.LBB169_1044:
	s_mov_b64 s[10:11], 0
.LBB169_1045:
	s_and_b64 vcc, exec, s[10:11]
	s_cbranch_vccz .LBB169_1047
; %bb.1046:
	s_cmp_lg_u32 s14, 11
	s_cselect_b64 s[10:11], -1, 0
	s_andn2_b64 s[4:5], s[4:5], exec
	s_and_b64 s[10:11], s[10:11], exec
	s_mov_b64 s[6:7], -1
	s_or_b64 s[4:5], s[4:5], s[10:11]
.LBB169_1047:
	v_mov_b64_e32 v[2:3], 0
.LBB169_1048:
	s_mov_b64 s[10:11], 0
.LBB169_1049:
	s_andn2_b64 s[12:13], s[2:3], exec
	s_and_b64 s[4:5], s[4:5], exec
	s_and_b64 s[8:9], s[8:9], exec
	s_and_b64 s[10:11], s[10:11], exec
	s_and_b64 s[6:7], s[6:7], exec
	s_or_b64 s[12:13], s[12:13], s[4:5]
.LBB169_1050:
	s_or_b64 exec, exec, s[70:71]
	s_and_b64 s[4:5], s[6:7], exec
	s_andn2_b64 s[2:3], s[2:3], exec
	s_and_b64 s[6:7], s[12:13], exec
	s_and_b64 s[8:9], s[8:9], exec
	;; [unrolled: 1-line block ×3, first 2 shown]
	s_or_b64 s[2:3], s[2:3], s[6:7]
.LBB169_1051:
	s_or_b64 exec, exec, s[66:67]
	s_andn2_b64 s[6:7], s[62:63], exec
	s_and_b64 s[12:13], s[68:69], exec
	s_or_b64 s[62:63], s[6:7], s[12:13]
	s_and_b64 s[6:7], s[10:11], exec
	s_andn2_b64 s[10:11], s[60:61], exec
	s_and_b64 s[2:3], s[2:3], exec
	s_and_b64 s[8:9], s[8:9], exec
	;; [unrolled: 1-line block ×3, first 2 shown]
	s_or_b64 s[60:61], s[10:11], s[2:3]
.LBB169_1052:
	s_or_b64 exec, exec, s[64:65]
	s_andn2_b64 s[2:3], s[54:55], exec
	s_and_b64 s[10:11], s[62:63], exec
	s_or_b64 s[54:55], s[2:3], s[10:11]
	s_and_b64 s[2:3], s[8:9], exec
	s_and_b64 s[8:9], s[6:7], exec
	;; [unrolled: 1-line block ×3, first 2 shown]
	s_andn2_b64 s[4:5], s[56:57], exec
	s_and_b64 s[6:7], s[60:61], exec
	s_or_b64 s[56:57], s[4:5], s[6:7]
	s_or_b64 exec, exec, s[58:59]
	s_mov_b64 s[6:7], 0
	s_and_saveexec_b64 s[4:5], s[56:57]
	s_cbranch_execz .LBB169_318
.LBB169_1053:
	s_mov_b64 s[6:7], exec
	s_andn2_b64 s[62:63], s[62:63], exec
	s_trap 2
	s_or_b64 exec, exec, s[4:5]
	s_and_saveexec_b64 s[4:5], s[62:63]
	s_xor_b64 s[4:5], exec, s[4:5]
	s_cbranch_execnz .LBB169_319
.LBB169_1054:
	s_or_b64 exec, exec, s[4:5]
	s_and_saveexec_b64 s[4:5], s[8:9]
	s_cbranch_execz .LBB169_1102
.LBB169_1055:
	s_sext_i32_i16 s8, s74
	s_cmp_lt_i32 s8, 5
	s_cbranch_scc1 .LBB169_1060
; %bb.1056:
	s_cmp_lt_i32 s8, 8
	s_cbranch_scc1 .LBB169_1061
; %bb.1057:
	;; [unrolled: 3-line block ×3, first 2 shown]
	s_cmp_gt_i32 s8, 9
	s_cbranch_scc0 .LBB169_1063
; %bb.1059:
	global_load_dwordx4 v[0:3], v[4:5], off
	s_mov_b64 s[8:9], 0
	s_branch .LBB169_1064
.LBB169_1060:
                                        ; implicit-def: $vgpr2_vgpr3
	s_branch .LBB169_1082
.LBB169_1061:
                                        ; implicit-def: $vgpr2_vgpr3
	s_branch .LBB169_1070
.LBB169_1062:
	s_mov_b64 s[8:9], -1
                                        ; implicit-def: $vgpr2_vgpr3
	s_branch .LBB169_1067
.LBB169_1063:
	s_mov_b64 s[8:9], -1
                                        ; implicit-def: $vgpr2_vgpr3
.LBB169_1064:
	s_andn2_b64 vcc, exec, s[8:9]
	s_cbranch_vccnz .LBB169_1066
; %bb.1065:
	global_load_dwordx2 v[2:3], v[4:5], off
	s_waitcnt vmcnt(0)
	v_cvt_f64_f32_e32 v[0:1], v2
	v_cvt_f64_f32_e32 v[2:3], v3
.LBB169_1066:
	s_mov_b64 s[8:9], 0
.LBB169_1067:
	s_andn2_b64 vcc, exec, s[8:9]
	s_cbranch_vccnz .LBB169_1069
; %bb.1068:
	global_load_dword v0, v[4:5], off
	s_waitcnt vmcnt(0)
	v_cvt_f32_f16_e32 v1, v0
	v_cvt_f32_f16_sdwa v2, v0 dst_sel:DWORD dst_unused:UNUSED_PAD src0_sel:WORD_1
	v_cvt_f64_f32_e32 v[0:1], v1
	v_cvt_f64_f32_e32 v[2:3], v2
.LBB169_1069:
	s_cbranch_execnz .LBB169_1081
.LBB169_1070:
	s_sext_i32_i16 s8, s74
	s_cmp_lt_i32 s8, 6
	s_cbranch_scc1 .LBB169_1073
; %bb.1071:
	s_cmp_gt_i32 s8, 6
	s_cbranch_scc0 .LBB169_1074
; %bb.1072:
	global_load_dwordx2 v[0:1], v[4:5], off
	s_mov_b64 s[8:9], 0
	s_branch .LBB169_1075
.LBB169_1073:
	s_mov_b64 s[8:9], -1
                                        ; implicit-def: $vgpr0_vgpr1
	s_branch .LBB169_1078
.LBB169_1074:
	s_mov_b64 s[8:9], -1
                                        ; implicit-def: $vgpr0_vgpr1
.LBB169_1075:
	s_andn2_b64 vcc, exec, s[8:9]
	s_cbranch_vccnz .LBB169_1077
; %bb.1076:
	global_load_dword v0, v[4:5], off
	s_waitcnt vmcnt(0)
	v_cvt_f64_f32_e32 v[0:1], v0
.LBB169_1077:
	s_mov_b64 s[8:9], 0
.LBB169_1078:
	s_andn2_b64 vcc, exec, s[8:9]
	s_cbranch_vccnz .LBB169_1080
; %bb.1079:
	global_load_ushort v0, v[4:5], off
	s_waitcnt vmcnt(0)
	v_cvt_f32_f16_e32 v0, v0
	v_cvt_f64_f32_e32 v[0:1], v0
.LBB169_1080:
	s_waitcnt vmcnt(0)
	v_mov_b64_e32 v[2:3], 0
.LBB169_1081:
	s_cbranch_execnz .LBB169_1101
.LBB169_1082:
	s_sext_i32_i16 s8, s74
	s_cmp_lt_i32 s8, 2
	s_cbranch_scc1 .LBB169_1086
; %bb.1083:
	s_cmp_lt_i32 s8, 3
	s_cbranch_scc1 .LBB169_1087
; %bb.1084:
	s_cmp_gt_i32 s8, 3
	s_cbranch_scc0 .LBB169_1088
; %bb.1085:
	global_load_dwordx2 v[0:1], v[4:5], off
	s_mov_b64 s[8:9], 0
	s_waitcnt vmcnt(0)
	v_cvt_f64_i32_e32 v[2:3], v1
	v_cvt_f64_u32_e32 v[0:1], v0
	v_ldexp_f64 v[2:3], v[2:3], 32
	v_add_f64 v[0:1], v[2:3], v[0:1]
	s_branch .LBB169_1089
.LBB169_1086:
                                        ; implicit-def: $vgpr0_vgpr1
	s_branch .LBB169_1095
.LBB169_1087:
	s_mov_b64 s[8:9], -1
                                        ; implicit-def: $vgpr0_vgpr1
	s_branch .LBB169_1092
.LBB169_1088:
	s_mov_b64 s[8:9], -1
                                        ; implicit-def: $vgpr0_vgpr1
.LBB169_1089:
	s_andn2_b64 vcc, exec, s[8:9]
	s_cbranch_vccnz .LBB169_1091
; %bb.1090:
	global_load_dword v0, v[4:5], off
	s_waitcnt vmcnt(0)
	v_cvt_f64_i32_e32 v[0:1], v0
.LBB169_1091:
	s_mov_b64 s[8:9], 0
.LBB169_1092:
	s_andn2_b64 vcc, exec, s[8:9]
	s_cbranch_vccnz .LBB169_1094
; %bb.1093:
	global_load_sshort v0, v[4:5], off
	s_waitcnt vmcnt(0)
	v_cvt_f64_i32_e32 v[0:1], v0
.LBB169_1094:
	s_cbranch_execnz .LBB169_1100
.LBB169_1095:
	s_sext_i32_i16 s8, s74
	s_cmp_gt_i32 s8, 0
	s_cbranch_scc0 .LBB169_1097
; %bb.1096:
	global_load_sbyte v0, v[4:5], off
	s_mov_b64 s[8:9], 0
	s_waitcnt vmcnt(0)
	v_cvt_f64_i32_e32 v[0:1], v0
	s_branch .LBB169_1098
.LBB169_1097:
	s_mov_b64 s[8:9], -1
                                        ; implicit-def: $vgpr0_vgpr1
.LBB169_1098:
	s_andn2_b64 vcc, exec, s[8:9]
	s_cbranch_vccnz .LBB169_1100
; %bb.1099:
	global_load_ubyte v0, v[4:5], off
	s_waitcnt vmcnt(0)
	v_cvt_f64_u32_e32 v[0:1], v0
.LBB169_1100:
	s_waitcnt vmcnt(0)
	v_mov_b64_e32 v[2:3], 0
.LBB169_1101:
	s_or_b64 s[2:3], s[2:3], exec
.LBB169_1102:
	s_or_b64 exec, exec, s[4:5]
	s_mov_b64 s[10:11], 0
	s_mov_b64 s[4:5], 0
                                        ; implicit-def: $sgpr16
                                        ; implicit-def: $vgpr10_vgpr11
                                        ; implicit-def: $vgpr6_vgpr7
	s_and_saveexec_b64 s[8:9], s[2:3]
	s_cbranch_execz .LBB169_1115
; %bb.1103:
	s_waitcnt vmcnt(0)
	v_cmp_neq_f64_e32 vcc, 0, v[0:1]
	v_cmp_neq_f64_e64 s[2:3], 0, v[2:3]
	v_mov_b64_e32 v[10:11], 0
	s_or_b64 s[2:3], vcc, s[2:3]
	s_and_saveexec_b64 s[10:11], s[2:3]
	s_cbranch_execz .LBB169_1136
; %bb.1104:
	v_mov_b32_e32 v10, 0
	v_mov_b32_e32 v11, 0x7ff00000
	v_cmp_neq_f64_e64 s[2:3], |v[2:3]|, v[10:11]
	s_and_saveexec_b64 s[12:13], s[2:3]
	s_cbranch_execz .LBB169_1135
; %bb.1105:
	v_cmp_o_f64_e32 vcc, v[0:1], v[0:1]
                                        ; implicit-def: $vgpr10_vgpr11
	s_and_saveexec_b64 s[2:3], vcc
	s_xor_b64 s[14:15], exec, s[2:3]
	s_cbranch_execz .LBB169_1132
; %bb.1106:
	s_mov_b32 s2, 0
	s_mov_b32 s3, 0x7ff00000
	v_cmp_neq_f64_e64 s[2:3], |v[0:1]|, s[2:3]
                                        ; implicit-def: $vgpr10_vgpr11
	s_and_saveexec_b64 s[4:5], s[2:3]
	s_xor_b64 s[16:17], exec, s[4:5]
	s_cbranch_execz .LBB169_1125
; %bb.1107:
	v_max_f64 v[4:5], |v[2:3]|, |v[2:3]|
	v_max_f64 v[6:7], |v[0:1]|, |v[0:1]|
	s_mov_b32 s2, 0x99fcef32
	v_max_f64 v[4:5], v[6:7], v[4:5]
	s_mov_b32 s3, 0x7fda8279
	v_cmp_nle_f64_e64 s[2:3], s[2:3], v[4:5]
                                        ; implicit-def: $sgpr18_sgpr19
	s_and_saveexec_b64 s[4:5], s[2:3]
	s_xor_b64 s[4:5], exec, s[4:5]
	s_cbranch_execz .LBB169_1111
; %bb.1108:
	s_mov_b32 s18, 0
	s_mov_b32 s19, 0x200000
	s_waitcnt lgkmcnt(0)
	v_cmp_le_f64_e64 s[22:23], |v[0:1]|, s[18:19]
	v_cmp_le_f64_e64 s[18:19], |v[2:3]|, s[18:19]
	s_and_b64 s[24:25], s[22:23], s[18:19]
	s_mov_b64 s[18:19], 0
	s_and_saveexec_b64 s[22:23], s[24:25]
; %bb.1109:
	s_mov_b64 s[18:19], exec
	v_mul_f64 v[2:3], v[2:3], 4.0
	v_mul_f64 v[0:1], v[0:1], 4.0
; %bb.1110:
	s_or_b64 exec, exec, s[22:23]
.LBB169_1111:
	s_andn2_saveexec_b64 s[4:5], s[4:5]
; %bb.1112:
	v_ldexp_f64 v[0:1], v[0:1], -2
	v_ldexp_f64 v[2:3], v[2:3], -2
	s_andn2_b64 s[18:19], s[18:19], exec
; %bb.1113:
	s_or_b64 exec, exec, s[4:5]
	v_max_f64 v[4:5], |v[2:3]|, |v[2:3]|
	v_max_f64 v[6:7], |v[0:1]|, |v[0:1]|
	v_max_f64 v[4:5], v[6:7], v[4:5]
	v_frexp_exp_i32_f64_e32 v9, v[4:5]
	v_sub_u32_e32 v6, 0, v9
	v_ldexp_f64 v[4:5], |v[0:1]|, v6
	v_ldexp_f64 v[6:7], |v[2:3]|, v6
	v_mul_f64 v[6:7], v[6:7], v[6:7]
	v_fmac_f64_e32 v[6:7], v[4:5], v[4:5]
	v_rsq_f64_e32 v[4:5], v[6:7]
	v_cmp_eq_f64_e64 s[4:5], 0, v[6:7]
	s_waitcnt lgkmcnt(0)
	s_movk_i32 s22, 0x204
	v_cmp_le_f64_e32 vcc, 0, v[0:1]
	v_mul_f64 v[10:11], v[6:7], v[4:5]
	v_mul_f64 v[4:5], v[4:5], 0.5
	v_fma_f64 v[12:13], -v[4:5], v[10:11], 0.5
	v_fmac_f64_e32 v[10:11], v[10:11], v[12:13]
	v_fmac_f64_e32 v[4:5], v[4:5], v[12:13]
	v_fma_f64 v[12:13], -v[10:11], v[10:11], v[6:7]
	v_fmac_f64_e32 v[10:11], v[12:13], v[4:5]
	v_cndmask_b32_e64 v5, v11, v7, s[4:5]
	v_cndmask_b32_e64 v4, v10, v6, s[4:5]
	v_ldexp_f64 v[4:5], v[4:5], v9
	v_cmp_o_f64_e64 s[4:5], v[2:3], v[2:3]
	v_mov_b32_e32 v6, 0x7ff80000
	s_nop 0
	v_cndmask_b32_e64 v4, 0, v4, s[4:5]
	v_cndmask_b32_e64 v5, v6, v5, s[4:5]
	v_cmp_class_f64_e64 s[4:5], v[0:1], s22
	v_cmp_class_f64_e64 s[22:23], v[2:3], s22
	v_mov_b32_e32 v6, 0x7ff00000
	s_or_b64 s[4:5], s[22:23], s[4:5]
	v_cndmask_b32_e64 v11, v5, v6, s[4:5]
	v_cndmask_b32_e64 v10, v4, 0, s[4:5]
                                        ; implicit-def: $vgpr4_vgpr5
                                        ; implicit-def: $vgpr6_vgpr7
	s_and_saveexec_b64 s[4:5], vcc
	s_xor_b64 s[4:5], exec, s[4:5]
	s_cbranch_execz .LBB169_1118
; %bb.1114:
	v_add_f64 v[0:1], v[0:1], v[10:11]
	s_mov_b32 s22, 0
	v_mul_f64 v[0:1], v[0:1], 0.5
	s_brev_b32 s23, 8
	v_mov_b32_e32 v4, 0x100
	v_cmp_gt_f64_e32 vcc, s[22:23], v[0:1]
	s_nop 1
	v_cndmask_b32_e32 v4, 0, v4, vcc
	v_ldexp_f64 v[0:1], v[0:1], v4
	v_rsq_f64_e32 v[4:5], v[0:1]
	s_nop 0
	v_mul_f64 v[6:7], v[0:1], v[4:5]
	v_mul_f64 v[4:5], v[4:5], 0.5
	v_fma_f64 v[10:11], -v[4:5], v[6:7], 0.5
	v_fmac_f64_e32 v[6:7], v[6:7], v[10:11]
	v_fma_f64 v[12:13], -v[6:7], v[6:7], v[0:1]
	v_fmac_f64_e32 v[4:5], v[4:5], v[10:11]
	v_fmac_f64_e32 v[6:7], v[12:13], v[4:5]
	v_fma_f64 v[10:11], -v[6:7], v[6:7], v[0:1]
	v_fmac_f64_e32 v[6:7], v[10:11], v[4:5]
	v_mov_b32_e32 v4, 0xffffff80
	v_cndmask_b32_e32 v4, 0, v4, vcc
	v_ldexp_f64 v[4:5], v[6:7], v4
	v_mov_b32_e32 v6, 0x260
	v_cmp_class_f64_e32 vcc, v[0:1], v6
	s_nop 1
	v_cndmask_b32_e32 v7, v5, v1, vcc
	v_cndmask_b32_e32 v6, v4, v0, vcc
	v_add_f64 v[0:1], v[6:7], v[6:7]
	v_div_scale_f64 v[4:5], s[22:23], v[0:1], v[0:1], v[2:3]
	v_rcp_f64_e32 v[10:11], v[4:5]
	s_nop 0
	v_fma_f64 v[12:13], -v[4:5], v[10:11], 1.0
	v_fmac_f64_e32 v[10:11], v[10:11], v[12:13]
	v_fma_f64 v[12:13], -v[4:5], v[10:11], 1.0
	v_fmac_f64_e32 v[10:11], v[10:11], v[12:13]
	v_div_scale_f64 v[12:13], vcc, v[2:3], v[0:1], v[2:3]
	v_mul_f64 v[14:15], v[12:13], v[10:11]
	v_fma_f64 v[4:5], -v[4:5], v[14:15], v[12:13]
	s_nop 1
	v_div_fmas_f64 v[4:5], v[4:5], v[10:11], v[14:15]
	v_div_fixup_f64 v[4:5], v[4:5], v[0:1], v[2:3]
                                        ; implicit-def: $vgpr10_vgpr11
                                        ; implicit-def: $vgpr0_vgpr1
	s_andn2_saveexec_b64 s[4:5], s[4:5]
	s_cbranch_execz .LBB169_1120
	s_branch .LBB169_1119
.LBB169_1115:
	s_or_b64 exec, exec, s[8:9]
	s_and_saveexec_b64 s[2:3], s[54:55]
	s_cbranch_execnz .LBB169_1221
.LBB169_1116:
	s_or_b64 exec, exec, s[2:3]
	s_and_saveexec_b64 s[2:3], s[10:11]
	s_xor_b64 s[8:9], exec, s[2:3]
	s_cbranch_execz .LBB169_1222
.LBB169_1117:
	v_cmp_neq_f64_e32 vcc, 0, v[4:5]
	v_cmp_neq_f64_e64 s[2:3], 0, v[6:7]
	s_or_b64 s[2:3], vcc, s[2:3]
	s_waitcnt vmcnt(0)
	v_cndmask_b32_e64 v0, 0, 1, s[2:3]
	global_store_byte v[10:11], v0, off
	s_or_b64 exec, exec, s[8:9]
	s_and_saveexec_b64 s[2:3], s[4:5]
	s_xor_b64 s[2:3], exec, s[2:3]
	s_cbranch_execz .LBB169_1260
	s_branch .LBB169_1223
.LBB169_1118:
	s_andn2_saveexec_b64 s[4:5], s[4:5]
	s_cbranch_execz .LBB169_1120
.LBB169_1119:
	v_add_f64 v[0:1], v[10:11], -v[0:1]
	s_mov_b32 s22, 0
	v_mul_f64 v[0:1], v[0:1], 0.5
	s_brev_b32 s23, 8
	v_mov_b32_e32 v4, 0x100
	v_cmp_gt_f64_e32 vcc, s[22:23], v[0:1]
	s_nop 1
	v_cndmask_b32_e32 v4, 0, v4, vcc
	v_ldexp_f64 v[0:1], v[0:1], v4
	v_rsq_f64_e32 v[4:5], v[0:1]
	s_nop 0
	v_mul_f64 v[6:7], v[0:1], v[4:5]
	v_mul_f64 v[4:5], v[4:5], 0.5
	v_fma_f64 v[10:11], -v[4:5], v[6:7], 0.5
	v_fmac_f64_e32 v[6:7], v[6:7], v[10:11]
	v_fma_f64 v[12:13], -v[6:7], v[6:7], v[0:1]
	v_fmac_f64_e32 v[4:5], v[4:5], v[10:11]
	v_fmac_f64_e32 v[6:7], v[12:13], v[4:5]
	v_fma_f64 v[10:11], -v[6:7], v[6:7], v[0:1]
	v_fmac_f64_e32 v[6:7], v[10:11], v[4:5]
	v_mov_b32_e32 v4, 0xffffff80
	v_cndmask_b32_e32 v4, 0, v4, vcc
	v_ldexp_f64 v[4:5], v[6:7], v4
	v_mov_b32_e32 v6, 0x260
	v_cmp_class_f64_e32 vcc, v[0:1], v6
	v_and_b32_e32 v7, 0x7fffffff, v3
	v_mov_b32_e32 v6, v2
	v_cndmask_b32_e32 v5, v5, v1, vcc
	v_cndmask_b32_e32 v4, v4, v0, vcc
	v_add_f64 v[0:1], v[4:5], v[4:5]
	v_div_scale_f64 v[10:11], s[22:23], v[0:1], v[0:1], v[6:7]
	v_rcp_f64_e32 v[12:13], v[10:11]
	v_div_scale_f64 v[6:7], vcc, v[6:7], v[0:1], v[6:7]
	s_brev_b32 s22, -2
	v_fma_f64 v[14:15], -v[10:11], v[12:13], 1.0
	v_fmac_f64_e32 v[12:13], v[12:13], v[14:15]
	v_fma_f64 v[14:15], -v[10:11], v[12:13], 1.0
	v_fmac_f64_e32 v[12:13], v[12:13], v[14:15]
	v_mul_f64 v[14:15], v[6:7], v[12:13]
	v_fma_f64 v[6:7], -v[10:11], v[14:15], v[6:7]
	v_div_fmas_f64 v[6:7], v[6:7], v[12:13], v[14:15]
	v_div_fixup_f64 v[6:7], v[6:7], v[0:1], |v[2:3]|
	v_bfi_b32 v5, s22, v5, v3
.LBB169_1120:
	s_or_b64 exec, exec, s[4:5]
                                        ; implicit-def: $vgpr2_vgpr3
                                        ; implicit-def: $vgpr10_vgpr11
	s_and_saveexec_b64 s[4:5], s[2:3]
	s_xor_b64 s[2:3], exec, s[4:5]
	s_cbranch_execz .LBB169_1122
; %bb.1121:
	v_mul_f64 v[0:1], v[6:7], 0.5
	v_mul_f64 v[2:3], v[4:5], 0.5
	v_cndmask_b32_e64 v11, v7, v1, s[18:19]
	v_cndmask_b32_e64 v10, v6, v0, s[18:19]
	;; [unrolled: 1-line block ×4, first 2 shown]
                                        ; implicit-def: $vgpr6_vgpr7
                                        ; implicit-def: $vgpr4_vgpr5
	s_andn2_saveexec_b64 s[2:3], s[2:3]
	s_cbranch_execnz .LBB169_1123
	s_branch .LBB169_1124
.LBB169_1122:
	s_andn2_saveexec_b64 s[2:3], s[2:3]
.LBB169_1123:
	v_add_f64 v[10:11], v[6:7], v[6:7]
	v_add_f64 v[2:3], v[4:5], v[4:5]
.LBB169_1124:
	s_or_b64 exec, exec, s[2:3]
.LBB169_1125:
	s_andn2_saveexec_b64 s[2:3], s[16:17]
	s_cbranch_execz .LBB169_1131
; %bb.1126:
	v_add_f64 v[4:5], v[2:3], -v[2:3]
	v_cmp_lt_i64_e32 vcc, -1, v[0:1]
	s_brev_b32 s16, -2
	v_and_b32_e32 v11, 0x7fffffff, v5
	v_mov_b32_e32 v10, v4
	s_and_saveexec_b64 s[4:5], vcc
	s_xor_b64 s[4:5], exec, s[4:5]
; %bb.1127:
	v_bfi_b32 v5, s16, v5, v3
	v_mov_b64_e32 v[2:3], v[4:5]
	v_mov_b64_e32 v[10:11], v[0:1]
; %bb.1128:
	s_andn2_saveexec_b64 s[4:5], s[4:5]
; %bb.1129:
	v_bfi_b32 v1, s16, v1, v3
	v_mov_b64_e32 v[2:3], v[0:1]
; %bb.1130:
	s_or_b64 exec, exec, s[4:5]
.LBB169_1131:
	s_or_b64 exec, exec, s[2:3]
.LBB169_1132:
	s_andn2_saveexec_b64 s[2:3], s[14:15]
	s_cbranch_execz .LBB169_1134
; %bb.1133:
	v_add_f64 v[2:3], v[2:3], -v[2:3]
	v_div_scale_f64 v[4:5], vcc, v[2:3], v[2:3], v[2:3]
	v_rcp_f64_e32 v[6:7], v[4:5]
	s_nop 0
	v_fma_f64 v[10:11], -v[4:5], v[6:7], 1.0
	v_fmac_f64_e32 v[6:7], v[6:7], v[10:11]
	v_fma_f64 v[10:11], -v[4:5], v[6:7], 1.0
	v_fmac_f64_e32 v[6:7], v[6:7], v[10:11]
	v_mul_f64 v[10:11], v[4:5], v[6:7]
	v_fma_f64 v[4:5], -v[4:5], v[10:11], v[4:5]
	v_div_fmas_f64 v[4:5], v[4:5], v[6:7], v[10:11]
	v_div_fixup_f64 v[2:3], v[4:5], v[2:3], v[2:3]
	v_mov_b64_e32 v[10:11], v[0:1]
.LBB169_1134:
	s_or_b64 exec, exec, s[2:3]
.LBB169_1135:
	s_or_b64 exec, exec, s[12:13]
.LBB169_1136:
	s_or_b64 exec, exec, s[10:11]
	v_xor_b32_e32 v0, 0x80000000, v11
	v_cmp_gt_f64_e32 vcc, 0, v[10:11]
	v_mov_b32_e32 v12, v10
                                        ; implicit-def: $vgpr6_vgpr7
	s_nop 0
	v_cndmask_b32_e32 v13, v11, v0, vcc
	v_xor_b32_e32 v0, 0x80000000, v3
	v_cmp_gt_f64_e32 vcc, 0, v[2:3]
	s_nop 1
	v_cndmask_b32_e32 v1, v3, v0, vcc
	v_mov_b32_e32 v0, v2
	v_cmp_ge_f64_e32 vcc, v[12:13], v[0:1]
	s_and_saveexec_b64 s[2:3], vcc
	s_xor_b64 s[4:5], exec, s[2:3]
	s_cbranch_execz .LBB169_1142
; %bb.1137:
	v_cmp_neq_f64_e32 vcc, 0, v[10:11]
	v_cmp_neq_f64_e64 s[2:3], 0, v[2:3]
	s_or_b64 s[2:3], vcc, s[2:3]
                                        ; implicit-def: $vgpr6_vgpr7
	s_and_saveexec_b64 s[10:11], s[2:3]
	s_xor_b64 s[2:3], exec, s[10:11]
	s_cbranch_execz .LBB169_1139
; %bb.1138:
	v_div_scale_f64 v[0:1], s[10:11], v[10:11], v[10:11], v[2:3]
	v_rcp_f64_e32 v[4:5], v[0:1]
	v_div_scale_f64 v[6:7], vcc, v[2:3], v[10:11], v[2:3]
	v_fma_f64 v[12:13], -v[0:1], v[4:5], 1.0
	v_fmac_f64_e32 v[4:5], v[4:5], v[12:13]
	v_fma_f64 v[12:13], -v[0:1], v[4:5], 1.0
	v_fmac_f64_e32 v[4:5], v[4:5], v[12:13]
	v_mul_f64 v[12:13], v[6:7], v[4:5]
	v_fma_f64 v[0:1], -v[0:1], v[12:13], v[6:7]
	v_div_fmas_f64 v[0:1], v[0:1], v[4:5], v[12:13]
	v_div_fixup_f64 v[0:1], v[0:1], v[10:11], v[2:3]
	v_fmac_f64_e32 v[10:11], v[2:3], v[0:1]
	v_div_scale_f64 v[2:3], s[10:11], v[10:11], v[10:11], 1.0
	v_rcp_f64_e32 v[4:5], v[2:3]
	s_nop 0
	v_fma_f64 v[6:7], -v[2:3], v[4:5], 1.0
	v_fmac_f64_e32 v[4:5], v[4:5], v[6:7]
	v_fma_f64 v[6:7], -v[2:3], v[4:5], 1.0
	v_fmac_f64_e32 v[4:5], v[4:5], v[6:7]
	v_div_scale_f64 v[6:7], vcc, 1.0, v[10:11], 1.0
	v_mul_f64 v[12:13], v[6:7], v[4:5]
	v_fma_f64 v[2:3], -v[2:3], v[12:13], v[6:7]
	s_nop 1
	v_div_fmas_f64 v[2:3], v[2:3], v[4:5], v[12:13]
	v_div_fixup_f64 v[2:3], v[2:3], v[10:11], 1.0
	v_fma_f64 v[4:5], v[0:1], 0, 1.0
	v_add_f64 v[0:1], -v[0:1], 0
	v_mul_f64 v[4:5], v[4:5], v[2:3]
	v_mul_f64 v[6:7], v[0:1], v[2:3]
                                        ; implicit-def: $vgpr12_vgpr13
                                        ; implicit-def: $vgpr0_vgpr1
.LBB169_1139:
	s_andn2_saveexec_b64 s[2:3], s[2:3]
	s_cbranch_execz .LBB169_1141
; %bb.1140:
	v_div_scale_f64 v[2:3], s[10:11], v[12:13], v[12:13], 1.0
	v_rcp_f64_e32 v[4:5], v[2:3]
	v_div_scale_f64 v[6:7], vcc, 1.0, v[12:13], 1.0
	v_fma_f64 v[10:11], -v[2:3], v[4:5], 1.0
	v_fmac_f64_e32 v[4:5], v[4:5], v[10:11]
	v_fma_f64 v[10:11], -v[2:3], v[4:5], 1.0
	v_fmac_f64_e32 v[4:5], v[4:5], v[10:11]
	v_mul_f64 v[10:11], v[6:7], v[4:5]
	v_fma_f64 v[2:3], -v[2:3], v[10:11], v[6:7]
	v_div_scale_f64 v[6:7], s[10:11], v[0:1], v[0:1], 0
	v_rcp_f64_e32 v[14:15], v[6:7]
	v_div_fmas_f64 v[2:3], v[2:3], v[4:5], v[10:11]
	v_div_fixup_f64 v[4:5], v[2:3], v[12:13], 1.0
	v_fma_f64 v[2:3], -v[6:7], v[14:15], 1.0
	v_fmac_f64_e32 v[14:15], v[14:15], v[2:3]
	v_fma_f64 v[2:3], -v[6:7], v[14:15], 1.0
	v_fmac_f64_e32 v[14:15], v[14:15], v[2:3]
	v_div_scale_f64 v[2:3], vcc, 0, v[0:1], 0
	v_mul_f64 v[10:11], v[2:3], v[14:15]
	v_fma_f64 v[2:3], -v[6:7], v[10:11], v[2:3]
	s_nop 1
	v_div_fmas_f64 v[2:3], v[2:3], v[14:15], v[10:11]
	v_div_fixup_f64 v[6:7], v[2:3], v[0:1], 0
.LBB169_1141:
	s_or_b64 exec, exec, s[2:3]
                                        ; implicit-def: $vgpr2_vgpr3
                                        ; implicit-def: $vgpr10_vgpr11
.LBB169_1142:
	s_andn2_saveexec_b64 s[2:3], s[4:5]
	s_cbranch_execz .LBB169_1144
; %bb.1143:
	v_div_scale_f64 v[0:1], s[4:5], v[2:3], v[2:3], v[10:11]
	v_rcp_f64_e32 v[4:5], v[0:1]
	v_div_scale_f64 v[6:7], vcc, v[10:11], v[2:3], v[10:11]
	v_fma_f64 v[12:13], -v[0:1], v[4:5], 1.0
	v_fmac_f64_e32 v[4:5], v[4:5], v[12:13]
	v_fma_f64 v[12:13], -v[0:1], v[4:5], 1.0
	v_fmac_f64_e32 v[4:5], v[4:5], v[12:13]
	v_mul_f64 v[12:13], v[6:7], v[4:5]
	v_fma_f64 v[0:1], -v[0:1], v[12:13], v[6:7]
	v_div_fmas_f64 v[0:1], v[0:1], v[4:5], v[12:13]
	v_div_fixup_f64 v[0:1], v[0:1], v[2:3], v[10:11]
	v_fmac_f64_e32 v[2:3], v[10:11], v[0:1]
	v_div_scale_f64 v[4:5], s[4:5], v[2:3], v[2:3], 1.0
	v_rcp_f64_e32 v[6:7], v[4:5]
	s_nop 0
	v_fma_f64 v[10:11], -v[4:5], v[6:7], 1.0
	v_fmac_f64_e32 v[6:7], v[6:7], v[10:11]
	v_fma_f64 v[10:11], -v[4:5], v[6:7], 1.0
	v_fmac_f64_e32 v[6:7], v[6:7], v[10:11]
	v_div_scale_f64 v[10:11], vcc, 1.0, v[2:3], 1.0
	v_mul_f64 v[12:13], v[10:11], v[6:7]
	v_fma_f64 v[4:5], -v[4:5], v[12:13], v[10:11]
	s_nop 1
	v_div_fmas_f64 v[4:5], v[4:5], v[6:7], v[12:13]
	v_div_fixup_f64 v[2:3], v[4:5], v[2:3], 1.0
	v_add_f64 v[4:5], v[0:1], 0
	v_fma_f64 v[0:1], v[0:1], 0, -1.0
	v_mul_f64 v[4:5], v[4:5], v[2:3]
	v_mul_f64 v[6:7], v[0:1], v[2:3]
.LBB169_1144:
	s_or_b64 exec, exec, s[2:3]
	v_mov_b32_e32 v9, 0
	s_and_b32 s16, s73, 0xff
	s_cmp_lt_i32 s16, 11
	s_waitcnt lgkmcnt(0)
	v_lshl_add_u64 v[10:11], s[20:21], 0, v[8:9]
	s_cbranch_scc1 .LBB169_1151
; %bb.1145:
	s_and_b32 s17, 0xffff, s16
	s_mov_b64 s[10:11], -1
	s_cmp_gt_i32 s17, 25
	s_mov_b64 s[2:3], s[54:55]
	s_cbranch_scc0 .LBB169_1179
; %bb.1146:
	s_mov_b64 s[4:5], -1
	s_cmp_gt_i32 s17, 28
	s_mov_b64 s[2:3], s[54:55]
	s_cbranch_scc0 .LBB169_1163
; %bb.1147:
	s_cmp_gt_i32 s17, 43
	s_mov_b64 s[2:3], s[54:55]
	s_cbranch_scc0 .LBB169_1159
; %bb.1148:
	;; [unrolled: 4-line block ×3, first 2 shown]
	s_cmp_eq_u32 s17, 46
	s_mov_b64 s[2:3], -1
	s_cbranch_scc0 .LBB169_1152
; %bb.1150:
	v_cvt_f32_f64_e32 v1, v[6:7]
	s_movk_i32 s2, 0x7fff
	v_bfe_u32 v3, v1, 16, 1
	v_cvt_f32_f64_e32 v0, v[4:5]
	v_add3_u32 v3, v1, v3, s2
	v_bfe_u32 v2, v0, 16, 1
	v_and_b32_e32 v3, 0xffff0000, v3
	v_mov_b32_e32 v8, 0x7fc00000
	v_cmp_o_f32_e32 vcc, v1, v1
	v_add3_u32 v2, v0, v2, s2
	s_mov_b64 s[2:3], 0
	v_cndmask_b32_e32 v1, v8, v3, vcc
	v_cmp_o_f32_e32 vcc, v0, v0
	v_mov_b32_e32 v0, 0x7fc0
	s_mov_b64 s[4:5], 0
	v_cndmask_b32_sdwa v0, v0, v2, vcc dst_sel:DWORD dst_unused:UNUSED_PAD src0_sel:DWORD src1_sel:WORD_1
	v_or_b32_e32 v0, v1, v0
	global_store_dword v[10:11], v0, off
	s_branch .LBB169_1153
.LBB169_1151:
	s_mov_b64 s[10:11], 0
	s_mov_b64 s[4:5], -1
	s_mov_b64 s[2:3], s[54:55]
	s_branch .LBB169_1220
.LBB169_1152:
	s_mov_b64 s[4:5], 0
.LBB169_1153:
	s_and_b64 vcc, exec, s[4:5]
	s_cbranch_vccz .LBB169_1158
; %bb.1154:
	s_cmp_eq_u32 s17, 44
	s_mov_b64 s[2:3], -1
	s_cbranch_scc0 .LBB169_1158
; %bb.1155:
	v_cvt_f32_f64_e32 v0, v[4:5]
	v_bfe_u32 v1, v0, 23, 8
	s_movk_i32 s2, 0xff
	v_cmp_ne_u32_e32 vcc, s2, v1
	v_mov_b32_e32 v2, 0xff
	s_and_saveexec_b64 s[4:5], vcc
; %bb.1156:
	s_mov_b32 s2, 0x3fffff
	v_lshrrev_b32_e32 v2, 23, v0
	v_and_b32_e32 v3, 0x400000, v0
	v_and_or_b32 v0, v0, s2, v1
	v_cmp_ne_u32_e32 vcc, 0, v3
	v_cmp_ne_u32_e64 s[2:3], 0, v0
	s_and_b64 s[2:3], vcc, s[2:3]
	s_nop 0
	v_cndmask_b32_e64 v0, 0, 1, s[2:3]
	v_add_u32_e32 v2, v2, v0
; %bb.1157:
	s_or_b64 exec, exec, s[4:5]
	s_mov_b64 s[2:3], 0
	global_store_byte v[10:11], v2, off
.LBB169_1158:
	s_mov_b64 s[4:5], 0
.LBB169_1159:
	s_and_b64 vcc, exec, s[4:5]
	s_cbranch_vccz .LBB169_1162
; %bb.1160:
	s_cmp_eq_u32 s17, 29
	s_mov_b64 s[2:3], -1
	s_cbranch_scc0 .LBB169_1162
; %bb.1161:
	v_trunc_f64_e32 v[0:1], v[4:5]
	s_movk_i32 s2, 0xffe0
	v_ldexp_f64 v[2:3], v[0:1], s2
	v_floor_f64_e32 v[2:3], v[2:3]
	v_fmac_f64_e32 v[0:1], 0xc1f00000, v[2:3]
	v_cvt_u32_f64_e32 v9, v[2:3]
	v_cvt_u32_f64_e32 v8, v[0:1]
	global_store_dwordx2 v[10:11], v[8:9], off
	s_mov_b64 s[2:3], 0
.LBB169_1162:
	s_mov_b64 s[4:5], 0
.LBB169_1163:
	s_and_b64 vcc, exec, s[4:5]
	s_cbranch_vccz .LBB169_1178
; %bb.1164:
	s_cmp_lt_i32 s17, 27
	s_mov_b64 s[4:5], -1
	s_cbranch_scc1 .LBB169_1170
; %bb.1165:
	s_cmp_gt_i32 s17, 27
	s_cbranch_scc0 .LBB169_1167
; %bb.1166:
	v_cvt_u32_f64_e32 v0, v[4:5]
	s_mov_b64 s[4:5], 0
	global_store_dword v[10:11], v0, off
.LBB169_1167:
	s_andn2_b64 vcc, exec, s[4:5]
	s_cbranch_vccnz .LBB169_1169
; %bb.1168:
	v_cvt_u32_f64_e32 v0, v[4:5]
	global_store_short v[10:11], v0, off
.LBB169_1169:
	s_mov_b64 s[4:5], 0
.LBB169_1170:
	s_andn2_b64 vcc, exec, s[4:5]
	s_cbranch_vccnz .LBB169_1178
; %bb.1171:
	v_cvt_f32_f64_e32 v0, v[4:5]
	v_and_b32_e32 v1, 0x7fffffff, v0
	s_mov_b32 s4, 0x43800000
	v_cmp_gt_u32_e32 vcc, s4, v1
	v_mov_b32_e32 v2, 0x80
	s_and_saveexec_b64 s[4:5], vcc
	s_cbranch_execz .LBB169_1177
; %bb.1172:
	s_mov_b32 s10, 0x3bffffff
	v_cmp_lt_u32_e32 vcc, s10, v1
	s_mov_b64 s[10:11], 0
                                        ; implicit-def: $vgpr1
	s_and_saveexec_b64 s[12:13], vcc
	s_xor_b64 s[12:13], exec, s[12:13]
	s_cbranch_execz .LBB169_1331
; %bb.1173:
	v_bfe_u32 v1, v0, 20, 1
	s_mov_b32 s14, 0x487ffff
	v_add3_u32 v1, v0, v1, s14
	s_mov_b64 s[10:11], exec
	v_lshrrev_b32_e32 v1, 20, v1
	s_andn2_saveexec_b64 s[12:13], s[12:13]
	s_cbranch_execnz .LBB169_1332
.LBB169_1174:
	s_or_b64 exec, exec, s[12:13]
	v_mov_b32_e32 v2, 0
	s_and_saveexec_b64 s[12:13], s[10:11]
.LBB169_1175:
	v_lshrrev_b32_e32 v0, 24, v0
	s_movk_i32 s10, 0x80
	v_and_or_b32 v2, v0, s10, v1
.LBB169_1176:
	s_or_b64 exec, exec, s[12:13]
.LBB169_1177:
	s_or_b64 exec, exec, s[4:5]
	global_store_byte v[10:11], v2, off
.LBB169_1178:
	s_mov_b64 s[10:11], 0
.LBB169_1179:
	s_mov_b64 s[4:5], 0
	s_and_b64 vcc, exec, s[10:11]
	s_cbranch_vccz .LBB169_1219
; %bb.1180:
	s_cmp_gt_i32 s17, 22
	s_mov_b64 s[10:11], -1
	s_cbranch_scc0 .LBB169_1212
; %bb.1181:
	s_cmp_lt_i32 s17, 24
	s_cbranch_scc1 .LBB169_1201
; %bb.1182:
	s_cmp_gt_i32 s17, 24
	s_cbranch_scc0 .LBB169_1190
; %bb.1183:
	v_cvt_f32_f64_e32 v0, v[4:5]
	v_and_b32_e32 v1, 0x7fffffff, v0
	s_mov_b32 s10, 0x47800000
	v_cmp_gt_u32_e32 vcc, s10, v1
	v_mov_b32_e32 v2, 0x80
	s_and_saveexec_b64 s[10:11], vcc
	s_cbranch_execz .LBB169_1189
; %bb.1184:
	s_mov_b32 s12, 0x37ffffff
	v_cmp_lt_u32_e32 vcc, s12, v1
	s_mov_b64 s[12:13], 0
                                        ; implicit-def: $vgpr1
	s_and_saveexec_b64 s[14:15], vcc
	s_xor_b64 s[14:15], exec, s[14:15]
	s_cbranch_execz .LBB169_1499
; %bb.1185:
	v_bfe_u32 v1, v0, 21, 1
	s_mov_b32 s18, 0x88fffff
	v_add3_u32 v1, v0, v1, s18
	s_mov_b64 s[12:13], exec
	v_lshrrev_b32_e32 v1, 21, v1
	s_andn2_saveexec_b64 s[14:15], s[14:15]
	s_cbranch_execnz .LBB169_1500
.LBB169_1186:
	s_or_b64 exec, exec, s[14:15]
	v_mov_b32_e32 v2, 0
	s_and_saveexec_b64 s[14:15], s[12:13]
.LBB169_1187:
	v_lshrrev_b32_e32 v0, 24, v0
	s_movk_i32 s12, 0x80
	v_and_or_b32 v2, v0, s12, v1
.LBB169_1188:
	s_or_b64 exec, exec, s[14:15]
.LBB169_1189:
	s_or_b64 exec, exec, s[10:11]
	s_mov_b64 s[10:11], 0
	global_store_byte v[10:11], v2, off
.LBB169_1190:
	s_and_b64 vcc, exec, s[10:11]
	s_cbranch_vccz .LBB169_1200
; %bb.1191:
	v_cvt_f32_f64_e32 v0, v[4:5]
	v_and_b32_e32 v2, 0x7fffffff, v0
	s_mov_b32 s10, 0x43f00000
	v_cmp_gt_u32_e32 vcc, s10, v2
                                        ; implicit-def: $vgpr1
	s_and_saveexec_b64 s[10:11], vcc
	s_xor_b64 s[10:11], exec, s[10:11]
	s_cbranch_execz .LBB169_1197
; %bb.1192:
	s_mov_b32 s12, 0x3c7fffff
	v_cmp_lt_u32_e32 vcc, s12, v2
                                        ; implicit-def: $vgpr1
	s_and_saveexec_b64 s[12:13], vcc
	s_xor_b64 s[12:13], exec, s[12:13]
; %bb.1193:
	v_bfe_u32 v1, v0, 20, 1
	s_mov_b32 s14, 0x407ffff
	v_add3_u32 v1, v0, v1, s14
	v_lshrrev_b32_e32 v2, 20, v1
	v_and_b32_e32 v1, 0xff00000, v1
	s_mov_b32 s14, 0x7f00000
	v_mov_b32_e32 v3, 0x7e
	v_cmp_ne_u32_e32 vcc, s14, v1
	s_nop 1
	v_cndmask_b32_e32 v1, v3, v2, vcc
; %bb.1194:
	s_andn2_saveexec_b64 s[12:13], s[12:13]
; %bb.1195:
	s_mov_b32 s14, 0x46800000
	v_add_f32_e64 v1, |v0|, s14
; %bb.1196:
	s_or_b64 exec, exec, s[12:13]
                                        ; implicit-def: $vgpr2
.LBB169_1197:
	s_andn2_saveexec_b64 s[10:11], s[10:11]
; %bb.1198:
	s_mov_b32 s12, 0x7f800000
	v_mov_b32_e32 v1, 0x7e
	v_mov_b32_e32 v3, 0x7f
	v_cmp_lt_u32_e32 vcc, s12, v2
	s_nop 1
	v_cndmask_b32_e32 v1, v1, v3, vcc
; %bb.1199:
	s_or_b64 exec, exec, s[10:11]
	v_lshrrev_b32_e32 v0, 24, v0
	s_movk_i32 s10, 0x80
	v_and_or_b32 v0, v0, s10, v1
	global_store_byte v[10:11], v0, off
.LBB169_1200:
	s_mov_b64 s[10:11], 0
.LBB169_1201:
	s_andn2_b64 vcc, exec, s[10:11]
	s_cbranch_vccnz .LBB169_1211
; %bb.1202:
	v_cvt_f32_f64_e32 v0, v[4:5]
	v_and_b32_e32 v2, 0x7fffffff, v0
	s_mov_b32 s10, 0x47800000
	v_cmp_gt_u32_e32 vcc, s10, v2
                                        ; implicit-def: $vgpr1
	s_and_saveexec_b64 s[10:11], vcc
	s_xor_b64 s[10:11], exec, s[10:11]
	s_cbranch_execz .LBB169_1208
; %bb.1203:
	s_mov_b32 s12, 0x387fffff
	v_cmp_lt_u32_e32 vcc, s12, v2
                                        ; implicit-def: $vgpr1
	s_and_saveexec_b64 s[12:13], vcc
	s_xor_b64 s[12:13], exec, s[12:13]
; %bb.1204:
	v_bfe_u32 v1, v0, 21, 1
	s_mov_b32 s14, 0x80fffff
	v_add3_u32 v1, v0, v1, s14
	v_lshrrev_b32_e32 v1, 21, v1
; %bb.1205:
	s_andn2_saveexec_b64 s[12:13], s[12:13]
; %bb.1206:
	s_mov_b32 s14, 0x43000000
	v_add_f32_e64 v1, |v0|, s14
; %bb.1207:
	s_or_b64 exec, exec, s[12:13]
                                        ; implicit-def: $vgpr2
.LBB169_1208:
	s_andn2_saveexec_b64 s[10:11], s[10:11]
; %bb.1209:
	s_mov_b32 s12, 0x7f800000
	v_mov_b32_e32 v1, 0x7c
	v_mov_b32_e32 v3, 0x7f
	v_cmp_lt_u32_e32 vcc, s12, v2
	s_nop 1
	v_cndmask_b32_e32 v1, v1, v3, vcc
; %bb.1210:
	s_or_b64 exec, exec, s[10:11]
	v_lshrrev_b32_e32 v0, 24, v0
	s_movk_i32 s10, 0x80
	v_and_or_b32 v0, v0, s10, v1
	global_store_byte v[10:11], v0, off
.LBB169_1211:
	s_mov_b64 s[10:11], 0
.LBB169_1212:
	s_andn2_b64 vcc, exec, s[10:11]
	s_mov_b64 s[10:11], 0
	s_cbranch_vccnz .LBB169_1220
; %bb.1213:
	s_cmp_gt_i32 s17, 14
	s_mov_b64 s[12:13], -1
	s_cbranch_scc0 .LBB169_1217
; %bb.1214:
	s_cmp_eq_u32 s17, 15
	s_mov_b64 s[2:3], -1
	s_cbranch_scc0 .LBB169_1216
; %bb.1215:
	v_cvt_f32_f64_e32 v0, v[4:5]
	v_bfe_u32 v1, v0, 16, 1
	s_movk_i32 s2, 0x7fff
	v_add3_u32 v1, v0, v1, s2
	v_cmp_o_f32_e32 vcc, v0, v0
	v_mov_b32_e32 v0, 0x7fc0
	s_mov_b64 s[2:3], 0
	v_cndmask_b32_sdwa v0, v0, v1, vcc dst_sel:DWORD dst_unused:UNUSED_PAD src0_sel:DWORD src1_sel:WORD_1
	global_store_short v[10:11], v0, off
.LBB169_1216:
	s_mov_b64 s[12:13], 0
.LBB169_1217:
	s_and_b64 vcc, exec, s[12:13]
	s_cbranch_vccz .LBB169_1220
; %bb.1218:
	s_cmp_lg_u32 s17, 11
	s_cselect_b64 s[12:13], -1, 0
	s_andn2_b64 s[2:3], s[2:3], exec
	s_and_b64 s[12:13], s[12:13], exec
	s_mov_b64 s[10:11], -1
	s_or_b64 s[2:3], s[2:3], s[12:13]
	s_branch .LBB169_1220
.LBB169_1219:
	s_mov_b64 s[10:11], 0
.LBB169_1220:
	s_andn2_b64 s[12:13], s[54:55], exec
	s_and_b64 s[2:3], s[2:3], exec
	s_and_b64 s[4:5], s[4:5], exec
	;; [unrolled: 1-line block ×3, first 2 shown]
	s_or_b64 s[54:55], s[12:13], s[2:3]
	s_or_b64 exec, exec, s[8:9]
	s_and_saveexec_b64 s[2:3], s[54:55]
	s_cbranch_execz .LBB169_1116
.LBB169_1221:
	s_or_b64 s[6:7], s[6:7], exec
	s_andn2_b64 s[10:11], s[10:11], exec
	s_trap 2
	s_or_b64 exec, exec, s[2:3]
	s_and_saveexec_b64 s[2:3], s[10:11]
	s_xor_b64 s[8:9], exec, s[2:3]
	s_cbranch_execnz .LBB169_1117
.LBB169_1222:
	s_or_b64 exec, exec, s[8:9]
	s_and_saveexec_b64 s[2:3], s[4:5]
	s_xor_b64 s[2:3], exec, s[2:3]
	s_cbranch_execz .LBB169_1260
.LBB169_1223:
	s_sext_i32_i16 s8, s16
	s_cmp_lt_i32 s8, 5
	s_mov_b64 s[4:5], -1
	s_cbranch_scc1 .LBB169_1244
; %bb.1224:
	s_cmp_lt_i32 s8, 8
	s_cbranch_scc1 .LBB169_1234
; %bb.1225:
	s_cmp_lt_i32 s8, 9
	s_cbranch_scc1 .LBB169_1231
; %bb.1226:
	s_cmp_gt_i32 s8, 9
	s_cbranch_scc0 .LBB169_1228
; %bb.1227:
	s_mov_b64 s[4:5], 0
	global_store_dwordx4 v[10:11], v[4:7], off
.LBB169_1228:
	s_andn2_b64 vcc, exec, s[4:5]
	s_cbranch_vccnz .LBB169_1230
; %bb.1229:
	s_waitcnt vmcnt(0)
	v_cvt_f32_f64_e32 v0, v[4:5]
	v_cvt_f32_f64_e32 v1, v[6:7]
	global_store_dwordx2 v[10:11], v[0:1], off
.LBB169_1230:
	s_mov_b64 s[4:5], 0
.LBB169_1231:
	s_andn2_b64 vcc, exec, s[4:5]
	s_cbranch_vccnz .LBB169_1233
; %bb.1232:
	s_movk_i32 s4, 0x1ff
	s_waitcnt vmcnt(0)
	v_and_or_b32 v0, v5, s4, v4
	v_cmp_ne_u32_e32 vcc, 0, v0
	v_lshrrev_b32_e32 v1, 8, v5
	s_movk_i32 s5, 0xffe
	v_cndmask_b32_e64 v0, 0, 1, vcc
	v_bfe_u32 v2, v5, 20, 11
	v_and_or_b32 v0, v1, s5, v0
	v_sub_u32_e32 v3, 0x3f1, v2
	v_or_b32_e32 v1, 0x1000, v0
	v_med3_i32 v3, v3, 0, 13
	v_lshrrev_b32_e32 v8, v3, v1
	v_lshlrev_b32_e32 v3, v3, v8
	v_cmp_ne_u32_e32 vcc, v3, v1
	v_add_u32_e32 v2, 0xfffffc10, v2
	v_lshl_or_b32 v3, v2, 12, v0
	v_cndmask_b32_e64 v1, 0, 1, vcc
	v_or_b32_e32 v1, v8, v1
	v_cmp_gt_i32_e32 vcc, 1, v2
	s_movk_i32 s8, 0x40f
	v_bfe_u32 v9, v7, 20, 11
	v_cndmask_b32_e32 v1, v3, v1, vcc
	v_and_b32_e32 v3, 7, v1
	v_cmp_lt_i32_e32 vcc, 5, v3
	v_lshrrev_b32_e32 v1, 2, v1
	v_sub_u32_e32 v12, 0x3f1, v9
	v_cndmask_b32_e64 v8, 0, 1, vcc
	v_cmp_eq_u32_e32 vcc, 3, v3
	v_med3_i32 v12, v12, 0, 13
	v_add_u32_e32 v9, 0xfffffc10, v9
	v_cndmask_b32_e64 v3, 0, 1, vcc
	v_or_b32_e32 v3, v3, v8
	v_add_u32_e32 v1, v1, v3
	v_mov_b32_e32 v3, 0x7c00
	v_cmp_gt_i32_e32 vcc, 31, v2
	v_mov_b32_e32 v8, 0x7e00
	s_mov_b32 s9, 0x8000
	v_cndmask_b32_e32 v1, v3, v1, vcc
	v_cmp_ne_u32_e32 vcc, 0, v0
	s_nop 1
	v_cndmask_b32_e32 v0, v3, v8, vcc
	v_cmp_eq_u32_e32 vcc, s8, v2
	v_and_or_b32 v2, v7, s4, v6
	v_lshrrev_b32_e32 v6, 8, v7
	v_cndmask_b32_e32 v0, v1, v0, vcc
	v_cmp_ne_u32_e32 vcc, 0, v2
	v_and_b32_sdwa v1, v5, s9 dst_sel:DWORD dst_unused:UNUSED_PAD src0_sel:WORD_1 src1_sel:DWORD
	s_mov_b32 s4, 0xffff
	v_cndmask_b32_e64 v2, 0, 1, vcc
	v_and_or_b32 v2, v6, s5, v2
	v_or_b32_e32 v6, 0x1000, v2
	v_lshrrev_b32_e32 v13, v12, v6
	v_lshlrev_b32_e32 v12, v12, v13
	v_cmp_ne_u32_e32 vcc, v12, v6
	v_lshl_or_b32 v12, v9, 12, v2
	v_bitop3_b32 v0, v1, s4, v0 bitop3:0xc8
	v_cndmask_b32_e64 v6, 0, 1, vcc
	v_or_b32_e32 v6, v13, v6
	v_cmp_gt_i32_e32 vcc, 1, v9
	s_nop 1
	v_cndmask_b32_e32 v6, v12, v6, vcc
	v_and_b32_e32 v12, 7, v6
	v_cmp_lt_i32_e32 vcc, 5, v12
	v_lshrrev_b32_e32 v6, 2, v6
	s_nop 0
	v_cndmask_b32_e64 v13, 0, 1, vcc
	v_cmp_eq_u32_e32 vcc, 3, v12
	s_nop 1
	v_cndmask_b32_e64 v12, 0, 1, vcc
	v_or_b32_e32 v12, v12, v13
	v_add_u32_e32 v6, v6, v12
	v_cmp_gt_i32_e32 vcc, 31, v9
	s_nop 1
	v_cndmask_b32_e32 v6, v3, v6, vcc
	v_cmp_ne_u32_e32 vcc, 0, v2
	s_nop 1
	v_cndmask_b32_e32 v2, v3, v8, vcc
	v_cmp_eq_u32_e32 vcc, s8, v9
	v_lshrrev_b32_e32 v3, 16, v7
	s_nop 0
	v_cndmask_b32_e32 v2, v6, v2, vcc
	v_and_or_b32 v2, v3, s9, v2
	v_lshl_or_b32 v0, v2, 16, v0
	global_store_dword v[10:11], v0, off
.LBB169_1233:
	s_mov_b64 s[4:5], 0
.LBB169_1234:
	s_andn2_b64 vcc, exec, s[4:5]
	s_cbranch_vccnz .LBB169_1243
; %bb.1235:
	s_sext_i32_i16 s8, s16
	s_cmp_lt_i32 s8, 6
	s_mov_b64 s[4:5], -1
	s_cbranch_scc1 .LBB169_1241
; %bb.1236:
	s_cmp_gt_i32 s8, 6
	s_cbranch_scc0 .LBB169_1238
; %bb.1237:
	s_mov_b64 s[4:5], 0
	global_store_dwordx2 v[10:11], v[4:5], off
.LBB169_1238:
	s_andn2_b64 vcc, exec, s[4:5]
	s_cbranch_vccnz .LBB169_1240
; %bb.1239:
	s_waitcnt vmcnt(0)
	v_cvt_f32_f64_e32 v0, v[4:5]
	global_store_dword v[10:11], v0, off
.LBB169_1240:
	s_mov_b64 s[4:5], 0
.LBB169_1241:
	s_andn2_b64 vcc, exec, s[4:5]
	s_cbranch_vccnz .LBB169_1243
; %bb.1242:
	s_movk_i32 s4, 0x1ff
	s_waitcnt vmcnt(0)
	v_and_or_b32 v0, v5, s4, v4
	v_cmp_ne_u32_e32 vcc, 0, v0
	v_lshrrev_b32_e32 v1, 8, v5
	s_movk_i32 s4, 0xffe
	v_cndmask_b32_e64 v0, 0, 1, vcc
	v_bfe_u32 v2, v5, 20, 11
	v_and_or_b32 v0, v1, s4, v0
	v_sub_u32_e32 v3, 0x3f1, v2
	v_or_b32_e32 v1, 0x1000, v0
	v_med3_i32 v3, v3, 0, 13
	v_lshrrev_b32_e32 v6, v3, v1
	v_lshlrev_b32_e32 v3, v3, v6
	v_cmp_ne_u32_e32 vcc, v3, v1
	v_add_u32_e32 v2, 0xfffffc10, v2
	v_lshl_or_b32 v3, v2, 12, v0
	v_cndmask_b32_e64 v1, 0, 1, vcc
	v_or_b32_e32 v1, v6, v1
	v_cmp_gt_i32_e32 vcc, 1, v2
	s_movk_i32 s4, 0x40f
	s_nop 0
	v_cndmask_b32_e32 v1, v3, v1, vcc
	v_and_b32_e32 v3, 7, v1
	v_cmp_lt_i32_e32 vcc, 5, v3
	v_lshrrev_b32_e32 v1, 2, v1
	s_nop 0
	v_cndmask_b32_e64 v6, 0, 1, vcc
	v_cmp_eq_u32_e32 vcc, 3, v3
	s_nop 1
	v_cndmask_b32_e64 v3, 0, 1, vcc
	v_or_b32_e32 v3, v3, v6
	v_add_u32_e32 v1, v1, v3
	v_mov_b32_e32 v3, 0x7c00
	v_cmp_gt_i32_e32 vcc, 31, v2
	v_mov_b32_e32 v6, 0x7e00
	s_nop 0
	v_cndmask_b32_e32 v1, v3, v1, vcc
	v_cmp_ne_u32_e32 vcc, 0, v0
	s_nop 1
	v_cndmask_b32_e32 v0, v3, v6, vcc
	v_cmp_eq_u32_e32 vcc, s4, v2
	s_mov_b32 s4, 0x8000
	s_nop 0
	v_cndmask_b32_e32 v0, v1, v0, vcc
	v_lshrrev_b32_e32 v1, 16, v5
	v_and_or_b32 v0, v1, s4, v0
	global_store_short v[10:11], v0, off
.LBB169_1243:
	s_mov_b64 s[4:5], 0
.LBB169_1244:
	s_andn2_b64 vcc, exec, s[4:5]
	s_cbranch_vccnz .LBB169_1260
; %bb.1245:
	s_sext_i32_i16 s8, s16
	s_cmp_lt_i32 s8, 2
	s_mov_b64 s[4:5], -1
	s_cbranch_scc1 .LBB169_1255
; %bb.1246:
	s_cmp_lt_i32 s8, 3
	s_cbranch_scc1 .LBB169_1252
; %bb.1247:
	s_cmp_gt_i32 s8, 3
	s_cbranch_scc0 .LBB169_1249
; %bb.1248:
	s_waitcnt vmcnt(0)
	v_trunc_f64_e32 v[0:1], v[4:5]
	s_movk_i32 s4, 0xffe0
	v_ldexp_f64 v[2:3], v[0:1], s4
	v_floor_f64_e32 v[2:3], v[2:3]
	v_fmac_f64_e32 v[0:1], 0xc1f00000, v[2:3]
	v_cvt_i32_f64_e32 v7, v[2:3]
	v_cvt_u32_f64_e32 v6, v[0:1]
	s_mov_b64 s[4:5], 0
	global_store_dwordx2 v[10:11], v[6:7], off
.LBB169_1249:
	s_andn2_b64 vcc, exec, s[4:5]
	s_cbranch_vccnz .LBB169_1251
; %bb.1250:
	s_waitcnt vmcnt(0)
	v_cvt_i32_f64_e32 v0, v[4:5]
	global_store_dword v[10:11], v0, off
.LBB169_1251:
	s_mov_b64 s[4:5], 0
.LBB169_1252:
	s_andn2_b64 vcc, exec, s[4:5]
	s_cbranch_vccnz .LBB169_1254
; %bb.1253:
	s_waitcnt vmcnt(0)
	v_cvt_i32_f64_e32 v0, v[4:5]
	global_store_short v[10:11], v0, off
.LBB169_1254:
	s_mov_b64 s[4:5], 0
.LBB169_1255:
	s_andn2_b64 vcc, exec, s[4:5]
	s_cbranch_vccnz .LBB169_1260
; %bb.1256:
	s_sext_i32_i16 s4, s16
	s_cmp_gt_i32 s4, 0
	s_mov_b64 s[4:5], -1
	s_cbranch_scc0 .LBB169_1258
; %bb.1257:
	s_waitcnt vmcnt(0)
	v_cvt_i32_f64_e32 v0, v[4:5]
	s_mov_b64 s[4:5], 0
	global_store_byte v[10:11], v0, off
.LBB169_1258:
	s_andn2_b64 vcc, exec, s[4:5]
	s_cbranch_vccnz .LBB169_1260
; %bb.1259:
	s_waitcnt vmcnt(0)
	v_trunc_f64_e32 v[0:1], v[4:5]
	s_movk_i32 s4, 0xffe0
	v_ldexp_f64 v[2:3], v[0:1], s4
	v_floor_f64_e32 v[2:3], v[2:3]
	v_fmac_f64_e32 v[0:1], 0xc1f00000, v[2:3]
	v_cvt_u32_f64_e32 v0, v[0:1]
	global_store_byte v[10:11], v0, off
.LBB169_1260:
	s_or_b64 exec, exec, s[2:3]
	s_waitcnt lgkmcnt(0)
	s_and_b64 s[24:25], s[6:7], exec
                                        ; implicit-def: $vgpr2
                                        ; implicit-def: $vgpr16
.LBB169_1261:
	s_or_saveexec_b64 s[26:27], s[44:45]
	s_mov_b64 s[4:5], 0
                                        ; implicit-def: $vgpr0_vgpr1
                                        ; implicit-def: $sgpr14
                                        ; implicit-def: $vgpr14_vgpr15
	s_xor_b64 exec, exec, s[26:27]
	s_cbranch_execz .LBB169_1979
; %bb.1262:
	s_waitcnt vmcnt(0)
	v_cndmask_b32_e64 v0, 0, 1, s[42:43]
	v_cmp_ne_u32_e64 s[2:3], 1, v0
	s_andn2_b64 vcc, exec, s[42:43]
	s_cbranch_vccnz .LBB169_1268
; %bb.1263:
	s_cmp_lg_u32 s33, 0
	s_mov_b32 s36, 0
	s_cbranch_scc0 .LBB169_1269
; %bb.1264:
	s_min_u32 s37, s72, 15
	s_add_i32 s37, s37, 1
	s_cmp_eq_u32 s72, 2
	s_cbranch_scc1 .LBB169_1270
; %bb.1265:
	s_and_b32 s36, s37, 28
	s_add_u32 s28, s34, 0xc4
	s_addc_u32 s29, s35, 0
	s_mov_b32 s38, 0
	v_mov_b32_e32 v24, 0
	v_mov_b32_e32 v0, 0
	s_mov_b64 s[30:31], s[34:35]
	v_mov_b32_e32 v3, v16
.LBB169_1266:                           ; =>This Inner Loop Header: Depth=1
	s_load_dwordx8 s[12:19], s[30:31], 0x4
	s_load_dwordx4 s[20:23], s[30:31], 0x24
	s_load_dwordx8 s[4:11], s[28:29], 0x0
	s_add_u32 s30, s30, 48
	s_addc_u32 s31, s31, 0
	s_waitcnt lgkmcnt(0)
	v_mul_hi_u32 v1, s13, v3
	v_add_u32_e32 v1, v3, v1
	v_lshrrev_b32_e32 v1, s14, v1
	v_mul_lo_u32 v4, v1, s12
	v_mul_hi_u32 v5, s16, v1
	v_sub_u32_e32 v3, v3, v4
	v_add_u32_e32 v4, v1, v5
	v_lshrrev_b32_e32 v4, s17, v4
	v_mul_lo_u32 v6, v4, s15
	v_mul_hi_u32 v7, s19, v4
	v_sub_u32_e32 v1, v1, v6
	v_add_u32_e32 v6, v4, v7
	v_mul_lo_u32 v5, v3, s5
	v_mul_lo_u32 v3, v3, s4
	;; [unrolled: 1-line block ×4, first 2 shown]
	v_lshrrev_b32_e32 v6, s20, v6
	v_add3_u32 v1, v3, v24, v1
	v_add3_u32 v0, v5, v0, v7
	v_mul_lo_u32 v3, v6, s18
	v_mul_hi_u32 v5, s22, v6
	v_sub_u32_e32 v3, v4, v3
	v_add_u32_e32 v4, v6, v5
	v_mul_lo_u32 v5, v3, s8
	v_mul_lo_u32 v7, v3, s9
	v_lshrrev_b32_e32 v3, s23, v4
	s_add_i32 s38, s38, 4
	v_mul_lo_u32 v4, v3, s21
	s_add_u32 s28, s28, 32
	v_sub_u32_e32 v4, v6, v4
	s_addc_u32 s29, s29, 0
	v_mul_lo_u32 v6, v4, s10
	v_mul_lo_u32 v4, v4, s11
	s_cmp_lg_u32 s36, s38
	v_add3_u32 v0, v7, v0, v4
	v_add3_u32 v24, v5, v1, v6
	s_cbranch_scc1 .LBB169_1266
; %bb.1267:
	v_mov_b32_e32 v1, v0
	s_and_b32 s8, s37, 3
	s_cmp_eq_u32 s8, 0
	s_cbranch_scc0 .LBB169_1271
	s_branch .LBB169_1273
.LBB169_1268:
                                        ; implicit-def: $vgpr0
                                        ; implicit-def: $vgpr24
	s_branch .LBB169_1274
.LBB169_1269:
	v_mov_b32_e32 v0, 0
	v_mov_b32_e32 v24, 0
	s_branch .LBB169_1273
.LBB169_1270:
	v_mov_b32_e32 v24, 0
                                        ; implicit-def: $vgpr0
	v_mov_b32_e32 v1, v24
	v_mov_b32_e32 v3, v16
	s_and_b32 s8, s37, 3
	s_cmp_eq_u32 s8, 0
	s_cbranch_scc1 .LBB169_1273
.LBB169_1271:
	s_lshl_b32 s4, s36, 3
	s_add_u32 s4, s34, s4
	s_addc_u32 s5, s35, 0
	s_add_u32 s4, s4, 0xc4
	s_addc_u32 s5, s5, 0
	s_mul_i32 s6, s36, 12
	s_add_u32 s6, s34, s6
	s_addc_u32 s7, s35, 0
.LBB169_1272:                           ; =>This Inner Loop Header: Depth=1
	s_load_dwordx2 s[10:11], s[6:7], 0x4
	s_load_dword s9, s[6:7], 0xc
	s_load_dwordx2 s[12:13], s[4:5], 0x0
	v_mov_b32_e32 v0, v1
	s_add_u32 s6, s6, 12
	s_waitcnt lgkmcnt(0)
	v_mul_hi_u32 v1, s11, v3
	v_add_u32_e32 v1, v3, v1
	v_lshrrev_b32_e32 v1, s9, v1
	s_addc_u32 s7, s7, 0
	v_mul_lo_u32 v4, v1, s10
	s_add_u32 s4, s4, 8
	v_sub_u32_e32 v4, v3, v4
	s_addc_u32 s5, s5, 0
	s_add_i32 s8, s8, -1
	v_mov_b32_e32 v3, v1
	v_mad_u64_u32 v[0:1], s[10:11], v4, s13, v[0:1]
	s_cmp_lg_u32 s8, 0
	v_mad_u64_u32 v[24:25], s[10:11], v4, s12, v[24:25]
	v_mov_b32_e32 v1, v0
	s_cbranch_scc1 .LBB169_1272
.LBB169_1273:
	s_cbranch_execnz .LBB169_1276
.LBB169_1274:
	s_load_dwordx4 s[4:7], s[34:35], 0x4
	s_load_dwordx2 s[8:9], s[34:35], 0xc4
	s_cmp_lt_u32 s33, 2
	s_waitcnt lgkmcnt(0)
	v_mul_hi_u32 v0, s5, v16
	v_add_u32_e32 v0, v16, v0
	v_lshrrev_b32_e32 v1, s6, v0
	v_mul_lo_u32 v0, v1, s4
	v_sub_u32_e32 v3, v16, v0
	v_mul_lo_u32 v0, v3, s9
	v_mul_lo_u32 v24, v3, s8
	s_cbranch_scc1 .LBB169_1276
; %bb.1275:
	s_load_dwordx4 s[4:7], s[34:35], 0x10
	s_load_dwordx2 s[8:9], s[34:35], 0xcc
	s_waitcnt lgkmcnt(0)
	v_mul_hi_u32 v3, s5, v1
	v_add_u32_e32 v3, v1, v3
	v_lshrrev_b32_e32 v3, s6, v3
	v_mul_lo_u32 v3, v3, s4
	v_sub_u32_e32 v1, v1, v3
	v_mad_u64_u32 v[24:25], s[4:5], v1, s8, v[24:25]
	v_mad_u64_u32 v[0:1], s[4:5], v1, s9, v[0:1]
.LBB169_1276:
	s_and_b64 vcc, exec, s[2:3]
	v_add_u32_e32 v3, 0x80, v16
	s_cbranch_vccnz .LBB169_1282
; %bb.1277:
	s_cmp_lg_u32 s33, 0
	s_mov_b32 s36, 0
	s_cbranch_scc0 .LBB169_1283
; %bb.1278:
	s_min_u32 s37, s72, 15
	s_add_i32 s37, s37, 1
	s_cmp_eq_u32 s72, 2
	s_cbranch_scc1 .LBB169_1284
; %bb.1279:
	s_and_b32 s36, s37, 28
	s_add_u32 s28, s34, 0xc4
	s_addc_u32 s29, s35, 0
	s_mov_b32 s38, 0
	v_mov_b32_e32 v22, 0
	v_mov_b32_e32 v6, 0
	s_mov_b64 s[30:31], s[34:35]
	v_mov_b32_e32 v4, v3
.LBB169_1280:                           ; =>This Inner Loop Header: Depth=1
	s_load_dwordx8 s[12:19], s[30:31], 0x4
	s_load_dwordx4 s[20:23], s[30:31], 0x24
	s_load_dwordx8 s[4:11], s[28:29], 0x0
	s_add_u32 s30, s30, 48
	s_addc_u32 s31, s31, 0
	s_waitcnt lgkmcnt(0)
	v_mul_hi_u32 v1, s13, v4
	v_add_u32_e32 v1, v4, v1
	v_lshrrev_b32_e32 v1, s14, v1
	v_mul_lo_u32 v5, v1, s12
	v_mul_hi_u32 v7, s16, v1
	v_sub_u32_e32 v4, v4, v5
	v_add_u32_e32 v5, v1, v7
	v_lshrrev_b32_e32 v5, s17, v5
	v_mul_lo_u32 v8, v5, s15
	v_mul_hi_u32 v9, s19, v5
	v_sub_u32_e32 v1, v1, v8
	v_add_u32_e32 v8, v5, v9
	v_mul_lo_u32 v7, v4, s5
	v_mul_lo_u32 v4, v4, s4
	;; [unrolled: 1-line block ×4, first 2 shown]
	v_lshrrev_b32_e32 v8, s20, v8
	v_add3_u32 v1, v4, v22, v1
	v_add3_u32 v6, v7, v6, v9
	v_mul_lo_u32 v4, v8, s18
	v_mul_hi_u32 v7, s22, v8
	v_sub_u32_e32 v4, v5, v4
	v_add_u32_e32 v5, v8, v7
	v_mul_lo_u32 v7, v4, s8
	v_mul_lo_u32 v9, v4, s9
	v_lshrrev_b32_e32 v4, s23, v5
	s_add_i32 s38, s38, 4
	v_mul_lo_u32 v5, v4, s21
	s_add_u32 s28, s28, 32
	v_sub_u32_e32 v5, v8, v5
	s_addc_u32 s29, s29, 0
	v_mul_lo_u32 v8, v5, s10
	v_mul_lo_u32 v5, v5, s11
	s_cmp_lg_u32 s36, s38
	v_add3_u32 v6, v9, v6, v5
	v_add3_u32 v22, v7, v1, v8
	s_cbranch_scc1 .LBB169_1280
; %bb.1281:
	v_mov_b32_e32 v1, v6
	s_and_b32 s8, s37, 3
	s_cmp_eq_u32 s8, 0
	s_cbranch_scc0 .LBB169_1285
	s_branch .LBB169_1287
.LBB169_1282:
                                        ; implicit-def: $vgpr6
                                        ; implicit-def: $vgpr22
	s_branch .LBB169_1288
.LBB169_1283:
	v_mov_b32_e32 v6, 0
	v_mov_b32_e32 v22, 0
	s_branch .LBB169_1287
.LBB169_1284:
	v_mov_b32_e32 v22, 0
                                        ; implicit-def: $vgpr6
	v_mov_b32_e32 v1, v22
	v_mov_b32_e32 v4, v3
	s_and_b32 s8, s37, 3
	s_cmp_eq_u32 s8, 0
	s_cbranch_scc1 .LBB169_1287
.LBB169_1285:
	s_lshl_b32 s4, s36, 3
	s_add_u32 s4, s34, s4
	s_addc_u32 s5, s35, 0
	s_add_u32 s4, s4, 0xc4
	s_addc_u32 s5, s5, 0
	s_mul_i32 s6, s36, 12
	s_add_u32 s6, s34, s6
	s_addc_u32 s7, s35, 0
.LBB169_1286:                           ; =>This Inner Loop Header: Depth=1
	s_load_dwordx2 s[10:11], s[6:7], 0x4
	s_load_dword s9, s[6:7], 0xc
	s_load_dwordx2 s[12:13], s[4:5], 0x0
	v_mov_b32_e32 v6, v1
	s_add_u32 s6, s6, 12
	s_waitcnt lgkmcnt(0)
	v_mul_hi_u32 v1, s11, v4
	v_add_u32_e32 v1, v4, v1
	v_lshrrev_b32_e32 v1, s9, v1
	s_addc_u32 s7, s7, 0
	v_mul_lo_u32 v5, v1, s10
	s_add_u32 s4, s4, 8
	v_sub_u32_e32 v5, v4, v5
	s_addc_u32 s5, s5, 0
	s_add_i32 s8, s8, -1
	v_mad_u64_u32 v[6:7], s[10:11], v5, s13, v[6:7]
	s_cmp_lg_u32 s8, 0
	v_mov_b32_e32 v4, v1
	v_mad_u64_u32 v[22:23], s[10:11], v5, s12, v[22:23]
	v_mov_b32_e32 v1, v6
	s_cbranch_scc1 .LBB169_1286
.LBB169_1287:
	s_cbranch_execnz .LBB169_1290
.LBB169_1288:
	s_load_dwordx4 s[4:7], s[34:35], 0x4
	s_load_dwordx2 s[8:9], s[34:35], 0xc4
	s_cmp_lt_u32 s33, 2
	s_waitcnt lgkmcnt(0)
	v_mul_hi_u32 v1, s5, v3
	v_add_u32_e32 v1, v3, v1
	v_lshrrev_b32_e32 v1, s6, v1
	v_mul_lo_u32 v4, v1, s4
	v_sub_u32_e32 v3, v3, v4
	v_mul_lo_u32 v6, v3, s9
	v_mul_lo_u32 v22, v3, s8
	s_cbranch_scc1 .LBB169_1290
; %bb.1289:
	s_load_dwordx4 s[4:7], s[34:35], 0x10
	s_load_dwordx2 s[8:9], s[34:35], 0xcc
	s_waitcnt lgkmcnt(0)
	v_mul_hi_u32 v3, s5, v1
	v_add_u32_e32 v3, v1, v3
	v_lshrrev_b32_e32 v3, s6, v3
	v_mul_lo_u32 v3, v3, s4
	v_sub_u32_e32 v1, v1, v3
	v_mad_u64_u32 v[22:23], s[4:5], v1, s8, v[22:23]
	v_mad_u64_u32 v[6:7], s[4:5], v1, s9, v[6:7]
.LBB169_1290:
	s_and_b64 vcc, exec, s[2:3]
	v_add_u32_e32 v3, 0x100, v16
	s_cbranch_vccnz .LBB169_1296
; %bb.1291:
	s_cmp_lg_u32 s33, 0
	s_mov_b32 s36, 0
	s_cbranch_scc0 .LBB169_1297
; %bb.1292:
	s_min_u32 s37, s72, 15
	s_add_i32 s37, s37, 1
	s_cmp_eq_u32 s72, 2
	s_cbranch_scc1 .LBB169_1298
; %bb.1293:
	s_and_b32 s36, s37, 28
	s_add_u32 s28, s34, 0xc4
	s_addc_u32 s29, s35, 0
	s_mov_b32 s38, 0
	v_mov_b32_e32 v20, 0
	v_mov_b32_e32 v10, 0
	s_mov_b64 s[30:31], s[34:35]
	v_mov_b32_e32 v4, v3
.LBB169_1294:                           ; =>This Inner Loop Header: Depth=1
	s_load_dwordx8 s[12:19], s[30:31], 0x4
	s_load_dwordx4 s[20:23], s[30:31], 0x24
	s_load_dwordx8 s[4:11], s[28:29], 0x0
	s_add_u32 s30, s30, 48
	s_addc_u32 s31, s31, 0
	s_waitcnt lgkmcnt(0)
	v_mul_hi_u32 v1, s13, v4
	v_add_u32_e32 v1, v4, v1
	v_lshrrev_b32_e32 v1, s14, v1
	v_mul_lo_u32 v5, v1, s12
	v_mul_hi_u32 v7, s16, v1
	v_sub_u32_e32 v4, v4, v5
	v_add_u32_e32 v5, v1, v7
	v_lshrrev_b32_e32 v5, s17, v5
	v_mul_lo_u32 v8, v5, s15
	v_mul_hi_u32 v9, s19, v5
	v_sub_u32_e32 v1, v1, v8
	v_add_u32_e32 v8, v5, v9
	v_mul_lo_u32 v7, v4, s5
	v_mul_lo_u32 v4, v4, s4
	;; [unrolled: 1-line block ×4, first 2 shown]
	v_lshrrev_b32_e32 v8, s20, v8
	v_add3_u32 v1, v4, v20, v1
	v_add3_u32 v7, v7, v10, v9
	v_mul_lo_u32 v4, v8, s18
	v_mul_hi_u32 v9, s22, v8
	v_sub_u32_e32 v4, v5, v4
	v_add_u32_e32 v5, v8, v9
	v_mul_lo_u32 v9, v4, s8
	v_mul_lo_u32 v10, v4, s9
	v_lshrrev_b32_e32 v4, s23, v5
	s_add_i32 s38, s38, 4
	v_mul_lo_u32 v5, v4, s21
	s_add_u32 s28, s28, 32
	v_sub_u32_e32 v5, v8, v5
	s_addc_u32 s29, s29, 0
	v_mul_lo_u32 v8, v5, s10
	v_mul_lo_u32 v5, v5, s11
	s_cmp_lg_u32 s36, s38
	v_add3_u32 v10, v10, v7, v5
	v_add3_u32 v20, v9, v1, v8
	s_cbranch_scc1 .LBB169_1294
; %bb.1295:
	v_mov_b32_e32 v1, v10
	s_and_b32 s8, s37, 3
	s_cmp_eq_u32 s8, 0
	s_cbranch_scc0 .LBB169_1299
	s_branch .LBB169_1301
.LBB169_1296:
                                        ; implicit-def: $vgpr10
                                        ; implicit-def: $vgpr20
	s_branch .LBB169_1302
.LBB169_1297:
	v_mov_b32_e32 v10, 0
	v_mov_b32_e32 v20, 0
	s_branch .LBB169_1301
.LBB169_1298:
	v_mov_b32_e32 v20, 0
                                        ; implicit-def: $vgpr10
	v_mov_b32_e32 v1, v20
	v_mov_b32_e32 v4, v3
	s_and_b32 s8, s37, 3
	s_cmp_eq_u32 s8, 0
	s_cbranch_scc1 .LBB169_1301
.LBB169_1299:
	s_lshl_b32 s4, s36, 3
	s_add_u32 s4, s34, s4
	s_addc_u32 s5, s35, 0
	s_add_u32 s4, s4, 0xc4
	s_addc_u32 s5, s5, 0
	s_mul_i32 s6, s36, 12
	s_add_u32 s6, s34, s6
	s_addc_u32 s7, s35, 0
.LBB169_1300:                           ; =>This Inner Loop Header: Depth=1
	s_load_dwordx2 s[10:11], s[6:7], 0x4
	s_load_dword s9, s[6:7], 0xc
	s_load_dwordx2 s[12:13], s[4:5], 0x0
	v_mov_b32_e32 v8, v1
	s_add_u32 s6, s6, 12
	s_waitcnt lgkmcnt(0)
	v_mul_hi_u32 v1, s11, v4
	v_add_u32_e32 v1, v4, v1
	v_lshrrev_b32_e32 v1, s9, v1
	s_addc_u32 s7, s7, 0
	v_mul_lo_u32 v5, v1, s10
	s_add_u32 s4, s4, 8
	v_sub_u32_e32 v5, v4, v5
	s_addc_u32 s5, s5, 0
	s_add_i32 s8, s8, -1
	v_mad_u64_u32 v[10:11], s[10:11], v5, s13, v[8:9]
	s_cmp_lg_u32 s8, 0
	v_mov_b32_e32 v4, v1
	v_mad_u64_u32 v[20:21], s[10:11], v5, s12, v[20:21]
	v_mov_b32_e32 v1, v10
	s_cbranch_scc1 .LBB169_1300
.LBB169_1301:
	s_cbranch_execnz .LBB169_1304
.LBB169_1302:
	s_load_dwordx4 s[4:7], s[34:35], 0x4
	s_load_dwordx2 s[8:9], s[34:35], 0xc4
	s_cmp_lt_u32 s33, 2
	s_waitcnt lgkmcnt(0)
	v_mul_hi_u32 v1, s5, v3
	v_add_u32_e32 v1, v3, v1
	v_lshrrev_b32_e32 v1, s6, v1
	v_mul_lo_u32 v4, v1, s4
	v_sub_u32_e32 v3, v3, v4
	v_mul_lo_u32 v10, v3, s9
	v_mul_lo_u32 v20, v3, s8
	s_cbranch_scc1 .LBB169_1304
; %bb.1303:
	s_load_dwordx4 s[4:7], s[34:35], 0x10
	s_load_dwordx2 s[8:9], s[34:35], 0xcc
	s_waitcnt lgkmcnt(0)
	v_mul_hi_u32 v3, s5, v1
	v_add_u32_e32 v3, v1, v3
	v_lshrrev_b32_e32 v3, s6, v3
	v_mul_lo_u32 v3, v3, s4
	v_sub_u32_e32 v1, v1, v3
	v_mad_u64_u32 v[20:21], s[4:5], v1, s8, v[20:21]
	v_mad_u64_u32 v[10:11], s[4:5], v1, s9, v[10:11]
.LBB169_1304:
	s_and_b64 vcc, exec, s[2:3]
	s_cbranch_vccnz .LBB169_1310
; %bb.1305:
	s_cmp_lg_u32 s33, 0
	s_mov_b32 s30, 0
	s_cbranch_scc0 .LBB169_1311
; %bb.1306:
	s_min_u32 s31, s72, 15
	s_add_i32 s31, s31, 1
	s_cmp_eq_u32 s72, 2
	s_cbranch_scc1 .LBB169_1312
; %bb.1307:
	s_and_b32 s30, s31, 28
	s_add_u32 s2, s34, 0xc4
	s_addc_u32 s3, s35, 0
	s_mov_b32 s36, 0
	v_mov_b32_e32 v18, 0
	v_mov_b32_e32 v14, 0
	s_mov_b64 s[28:29], s[34:35]
	v_mov_b32_e32 v3, v2
.LBB169_1308:                           ; =>This Inner Loop Header: Depth=1
	s_load_dwordx8 s[12:19], s[28:29], 0x4
	s_load_dwordx4 s[20:23], s[28:29], 0x24
	s_load_dwordx8 s[4:11], s[2:3], 0x0
	s_add_u32 s28, s28, 48
	s_addc_u32 s29, s29, 0
	s_waitcnt lgkmcnt(0)
	v_mul_hi_u32 v1, s13, v3
	v_add_u32_e32 v1, v3, v1
	v_lshrrev_b32_e32 v1, s14, v1
	v_mul_lo_u32 v4, v1, s12
	v_mul_hi_u32 v5, s16, v1
	v_sub_u32_e32 v3, v3, v4
	v_add_u32_e32 v4, v1, v5
	v_lshrrev_b32_e32 v4, s17, v4
	v_mul_lo_u32 v7, v4, s15
	v_mul_hi_u32 v8, s19, v4
	v_sub_u32_e32 v1, v1, v7
	v_add_u32_e32 v7, v4, v8
	v_mul_lo_u32 v5, v3, s5
	v_mul_lo_u32 v3, v3, s4
	;; [unrolled: 1-line block ×4, first 2 shown]
	v_lshrrev_b32_e32 v7, s20, v7
	v_add3_u32 v1, v3, v18, v1
	v_add3_u32 v5, v5, v14, v8
	v_mul_lo_u32 v3, v7, s18
	v_mul_hi_u32 v8, s22, v7
	v_sub_u32_e32 v3, v4, v3
	v_add_u32_e32 v4, v7, v8
	v_mul_lo_u32 v8, v3, s8
	v_mul_lo_u32 v9, v3, s9
	v_lshrrev_b32_e32 v3, s23, v4
	s_add_i32 s36, s36, 4
	v_mul_lo_u32 v4, v3, s21
	s_add_u32 s2, s2, 32
	v_sub_u32_e32 v4, v7, v4
	s_addc_u32 s3, s3, 0
	v_mul_lo_u32 v7, v4, s10
	v_mul_lo_u32 v4, v4, s11
	s_cmp_lg_u32 s30, s36
	v_add3_u32 v14, v9, v5, v4
	v_add3_u32 v18, v8, v1, v7
	s_cbranch_scc1 .LBB169_1308
; %bb.1309:
	v_mov_b32_e32 v1, v14
	s_and_b32 s6, s31, 3
	s_cmp_eq_u32 s6, 0
	s_cbranch_scc0 .LBB169_1313
	s_branch .LBB169_1315
.LBB169_1310:
                                        ; implicit-def: $vgpr14
                                        ; implicit-def: $vgpr18
	s_branch .LBB169_1316
.LBB169_1311:
	v_mov_b32_e32 v14, 0
	v_mov_b32_e32 v18, 0
	s_branch .LBB169_1315
.LBB169_1312:
	v_mov_b32_e32 v18, 0
                                        ; implicit-def: $vgpr14
	v_mov_b32_e32 v1, v18
	v_mov_b32_e32 v3, v2
	s_and_b32 s6, s31, 3
	s_cmp_eq_u32 s6, 0
	s_cbranch_scc1 .LBB169_1315
.LBB169_1313:
	s_lshl_b32 s2, s30, 3
	s_add_u32 s2, s34, s2
	s_addc_u32 s3, s35, 0
	s_add_u32 s2, s2, 0xc4
	s_addc_u32 s3, s3, 0
	s_mul_i32 s4, s30, 12
	s_add_u32 s4, s34, s4
	s_addc_u32 s5, s35, 0
.LBB169_1314:                           ; =>This Inner Loop Header: Depth=1
	s_load_dwordx2 s[8:9], s[4:5], 0x4
	s_load_dword s7, s[4:5], 0xc
	s_load_dwordx2 s[10:11], s[2:3], 0x0
	v_mov_b32_e32 v4, v1
	s_add_u32 s4, s4, 12
	s_waitcnt lgkmcnt(0)
	v_mul_hi_u32 v1, s9, v3
	v_add_u32_e32 v1, v3, v1
	v_lshrrev_b32_e32 v1, s7, v1
	s_addc_u32 s5, s5, 0
	v_mul_lo_u32 v5, v1, s8
	s_add_u32 s2, s2, 8
	v_sub_u32_e32 v5, v3, v5
	s_addc_u32 s3, s3, 0
	s_add_i32 s6, s6, -1
	v_mad_u64_u32 v[14:15], s[8:9], v5, s11, v[4:5]
	s_cmp_lg_u32 s6, 0
	v_mov_b32_e32 v3, v1
	v_mad_u64_u32 v[18:19], s[8:9], v5, s10, v[18:19]
	v_mov_b32_e32 v1, v14
	s_cbranch_scc1 .LBB169_1314
.LBB169_1315:
	s_cbranch_execnz .LBB169_1318
.LBB169_1316:
	s_load_dwordx4 s[4:7], s[34:35], 0x4
	s_load_dwordx2 s[2:3], s[34:35], 0xc4
	s_cmp_lt_u32 s33, 2
	s_waitcnt lgkmcnt(0)
	v_mul_hi_u32 v1, s5, v2
	v_add_u32_e32 v1, v2, v1
	v_lshrrev_b32_e32 v1, s6, v1
	v_mul_lo_u32 v3, v1, s4
	v_sub_u32_e32 v2, v2, v3
	v_mul_lo_u32 v14, v2, s3
	v_mul_lo_u32 v18, v2, s2
	s_cbranch_scc1 .LBB169_1318
; %bb.1317:
	s_load_dwordx4 s[4:7], s[34:35], 0x10
	s_load_dwordx2 s[2:3], s[34:35], 0xcc
	s_waitcnt lgkmcnt(0)
	v_mul_hi_u32 v2, s5, v1
	v_add_u32_e32 v2, v1, v2
	v_lshrrev_b32_e32 v2, s6, v2
	v_mul_lo_u32 v2, v2, s4
	v_sub_u32_e32 v1, v1, v2
	v_mad_u64_u32 v[18:19], s[4:5], v1, s2, v[18:19]
	v_mad_u64_u32 v[14:15], s[2:3], v1, s3, v[14:15]
.LBB169_1318:
	s_load_dword s22, s[0:1], 0x160
	s_load_dwordx4 s[4:7], s[34:35], 0x148
	v_mov_b32_e32 v1, 0
	s_waitcnt lgkmcnt(0)
	s_bfe_u32 s14, s22, 0x80010
	s_cmp_lt_i32 s14, 11
	v_lshl_add_u64 v[0:1], s[6:7], 0, v[0:1]
	s_cbranch_scc1 .LBB169_1325
; %bb.1319:
	s_and_b32 s15, 0xffff, s14
	s_cmp_gt_i32 s15, 25
	s_mov_b64 s[2:3], 0
	s_cbranch_scc0 .LBB169_1327
; %bb.1320:
	s_cmp_gt_i32 s15, 28
	s_cbranch_scc0 .LBB169_1328
; %bb.1321:
	s_cmp_gt_i32 s15, 43
	;; [unrolled: 3-line block ×3, first 2 shown]
	s_cbranch_scc0 .LBB169_1330
; %bb.1323:
	s_cmp_eq_u32 s15, 46
	s_mov_b64 s[8:9], 0
	s_cbranch_scc0 .LBB169_1333
; %bb.1324:
	global_load_dword v2, v[0:1], off
	s_mov_b64 s[0:1], 0
	s_mov_b64 s[10:11], -1
	s_waitcnt vmcnt(0)
	v_and_b32_e32 v4, 0xffff0000, v2
	v_lshlrev_b32_e32 v2, 16, v2
	v_cvt_f64_f32_e32 v[2:3], v2
	v_cvt_f64_f32_e32 v[4:5], v4
	s_branch .LBB169_1334
.LBB169_1325:
	s_mov_b64 s[10:11], 0
                                        ; implicit-def: $vgpr4_vgpr5
	s_mov_b64 s[8:9], s[24:25]
	s_cbranch_execnz .LBB169_1400
.LBB169_1326:
	s_andn2_b64 vcc, exec, s[10:11]
	s_cbranch_vccz .LBB169_1447
	s_branch .LBB169_1976
.LBB169_1327:
	s_mov_b64 s[10:11], 0
	s_mov_b64 s[0:1], 0
                                        ; implicit-def: $vgpr4_vgpr5
	s_cbranch_execnz .LBB169_1366
	s_branch .LBB169_1396
.LBB169_1328:
	s_mov_b64 s[10:11], 0
	s_mov_b64 s[0:1], 0
                                        ; implicit-def: $vgpr4_vgpr5
	s_cbranch_execnz .LBB169_1346
	s_branch .LBB169_1365
.LBB169_1329:
	s_mov_b64 s[8:9], -1
	s_mov_b64 s[10:11], 0
	s_mov_b64 s[0:1], 0
                                        ; implicit-def: $vgpr4_vgpr5
	s_branch .LBB169_1340
.LBB169_1330:
	s_mov_b64 s[8:9], -1
	s_mov_b64 s[10:11], 0
	s_mov_b64 s[0:1], 0
                                        ; implicit-def: $vgpr4_vgpr5
	s_branch .LBB169_1334
.LBB169_1331:
	s_andn2_saveexec_b64 s[12:13], s[12:13]
	s_cbranch_execz .LBB169_1174
.LBB169_1332:
	s_mov_b32 s14, 0x46000000
	v_add_f32_e64 v1, |v0|, s14
	v_and_b32_e32 v1, 0xff, v1
	v_cmp_ne_u32_e32 vcc, 0, v1
	s_andn2_b64 s[10:11], s[10:11], exec
	s_and_b64 s[14:15], vcc, exec
	s_or_b64 s[10:11], s[10:11], s[14:15]
	s_or_b64 exec, exec, s[12:13]
	v_mov_b32_e32 v2, 0
	s_and_saveexec_b64 s[12:13], s[10:11]
	s_cbranch_execnz .LBB169_1175
	s_branch .LBB169_1176
.LBB169_1333:
	s_mov_b64 s[0:1], -1
                                        ; implicit-def: $vgpr4_vgpr5
	s_mov_b64 s[10:11], 0
.LBB169_1334:
	s_and_b64 vcc, exec, s[8:9]
	s_cbranch_vccz .LBB169_1339
; %bb.1335:
	s_cmp_eq_u32 s15, 44
	s_cbranch_scc0 .LBB169_1337
; %bb.1336:
	global_load_ubyte v4, v[0:1], off
	s_movk_i32 s8, 0xff
	v_bfrev_b32_e32 v5, 4
	v_mov_b32_e32 v7, 0x7ff80000
	v_bfrev_b32_e32 v8, 28
	s_mov_b64 s[0:1], 0
	s_mov_b64 s[10:11], -1
	s_waitcnt vmcnt(0)
	v_lshlrev_b32_e32 v2, 23, v4
	v_cvt_f64_f32_e32 v[2:3], v2
	v_cmp_ne_u32_e32 vcc, s8, v4
	s_nop 1
	v_cndmask_b32_e32 v2, v5, v2, vcc
	v_cndmask_b32_e32 v3, v7, v3, vcc
	v_cmp_ne_u32_e32 vcc, 0, v4
	s_nop 1
	v_cndmask_b32_e32 v3, v8, v3, vcc
	v_cndmask_b32_e32 v2, 0, v2, vcc
	s_branch .LBB169_1338
.LBB169_1337:
	s_mov_b64 s[0:1], -1
                                        ; implicit-def: $vgpr2_vgpr3
.LBB169_1338:
	v_mov_b64_e32 v[4:5], 0
.LBB169_1339:
	s_mov_b64 s[8:9], 0
.LBB169_1340:
	s_and_b64 vcc, exec, s[8:9]
	s_cbranch_vccz .LBB169_1345
; %bb.1341:
	s_cmp_eq_u32 s15, 29
	s_cbranch_scc0 .LBB169_1343
; %bb.1342:
	global_load_dwordx2 v[2:3], v[0:1], off
	s_mov_b64 s[0:1], 0
	s_mov_b64 s[10:11], -1
	s_waitcnt vmcnt(0)
	v_cvt_f64_u32_e32 v[4:5], v3
	v_cvt_f64_u32_e32 v[2:3], v2
	v_ldexp_f64 v[4:5], v[4:5], 32
	v_add_f64 v[2:3], v[4:5], v[2:3]
	s_branch .LBB169_1344
.LBB169_1343:
	s_mov_b64 s[0:1], -1
                                        ; implicit-def: $vgpr2_vgpr3
.LBB169_1344:
	v_mov_b64_e32 v[4:5], 0
.LBB169_1345:
	s_branch .LBB169_1365
.LBB169_1346:
	s_cmp_lt_i32 s15, 27
	s_cbranch_scc1 .LBB169_1349
; %bb.1347:
	s_cmp_gt_i32 s15, 27
	s_cbranch_scc0 .LBB169_1350
; %bb.1348:
	global_load_dword v2, v[0:1], off
	s_mov_b64 s[8:9], 0
	s_waitcnt vmcnt(0)
	v_cvt_f64_u32_e32 v[2:3], v2
	s_branch .LBB169_1351
.LBB169_1349:
	s_mov_b64 s[8:9], -1
                                        ; implicit-def: $vgpr2_vgpr3
	s_branch .LBB169_1354
.LBB169_1350:
	s_mov_b64 s[8:9], -1
                                        ; implicit-def: $vgpr2_vgpr3
.LBB169_1351:
	s_andn2_b64 vcc, exec, s[8:9]
	s_cbranch_vccnz .LBB169_1353
; %bb.1352:
	global_load_ushort v2, v[0:1], off
	s_waitcnt vmcnt(0)
	v_cvt_f64_u32_e32 v[2:3], v2
.LBB169_1353:
	s_mov_b64 s[8:9], 0
.LBB169_1354:
	s_andn2_b64 vcc, exec, s[8:9]
	s_cbranch_vccnz .LBB169_1364
; %bb.1355:
	global_load_ubyte v4, v[0:1], off
	s_movk_i32 s8, 0x7f
	s_waitcnt vmcnt(0)
	v_cmp_lt_i16_e32 vcc, s8, v4
	s_mov_b64 s[8:9], 0
	s_and_saveexec_b64 s[10:11], vcc
	s_xor_b64 s[10:11], exec, s[10:11]
	s_cbranch_execz .LBB169_1359
; %bb.1356:
	s_movk_i32 s8, 0x80
	v_cmp_eq_u16_e32 vcc, s8, v4
	s_mov_b64 s[8:9], -1
	s_and_saveexec_b64 s[12:13], vcc
; %bb.1357:
	s_xor_b64 s[8:9], exec, -1
; %bb.1358:
	s_or_b64 exec, exec, s[12:13]
	s_and_b64 s[8:9], s[8:9], exec
.LBB169_1359:
	s_or_saveexec_b64 s[10:11], s[10:11]
	v_bfrev_b32_e32 v2, 4
	v_mov_b32_e32 v3, 0x7ff80000
	s_xor_b64 exec, exec, s[10:11]
; %bb.1360:
	v_cmp_ne_u16_e32 vcc, 0, v4
	s_andn2_b64 s[8:9], s[8:9], exec
	s_and_b64 s[12:13], vcc, exec
	v_mov_b64_e32 v[2:3], 0
	s_or_b64 s[8:9], s[8:9], s[12:13]
; %bb.1361:
	s_or_b64 exec, exec, s[10:11]
	s_and_saveexec_b64 s[10:11], s[8:9]
	s_cbranch_execz .LBB169_1363
; %bb.1362:
	v_and_b32_e32 v3, 0xffff, v4
	v_lshlrev_b32_e32 v2, 24, v4
	v_and_b32_e32 v4, 7, v3
	v_ffbh_u32_e32 v7, v4
	v_min_u32_e32 v7, 32, v7
	v_subrev_u32_e32 v8, 28, v7
	v_bfe_u32 v5, v3, 3, 4
	v_lshlrev_b32_e32 v3, v8, v3
	v_sub_u32_e32 v7, 29, v7
	v_and_b32_e32 v3, 7, v3
	v_cmp_eq_u32_e32 vcc, 0, v5
	v_and_b32_e32 v2, 0x80000000, v2
	s_nop 0
	v_cndmask_b32_e32 v5, v5, v7, vcc
	v_cndmask_b32_e32 v3, v4, v3, vcc
	v_mov_b32_e32 v4, 0x3b800000
	v_lshlrev_b32_e32 v3, 20, v3
	v_lshl_add_u32 v4, v5, 23, v4
	v_or3_b32 v2, v2, v4, v3
	v_cvt_f64_f32_e32 v[2:3], v2
.LBB169_1363:
	s_or_b64 exec, exec, s[10:11]
.LBB169_1364:
	s_mov_b64 s[10:11], -1
	v_mov_b64_e32 v[4:5], 0
.LBB169_1365:
	s_branch .LBB169_1396
.LBB169_1366:
	s_cmp_gt_i32 s15, 22
	s_cbranch_scc0 .LBB169_1378
; %bb.1367:
	s_cmp_lt_i32 s15, 24
	s_cbranch_scc1 .LBB169_1379
; %bb.1368:
	s_cmp_gt_i32 s15, 24
	s_cbranch_scc0 .LBB169_1380
; %bb.1369:
	global_load_ubyte v4, v[0:1], off
	s_movk_i32 s2, 0x7f
	s_waitcnt vmcnt(0)
	v_cmp_lt_i16_e32 vcc, s2, v4
	s_mov_b64 s[2:3], 0
	s_and_saveexec_b64 s[8:9], vcc
	s_xor_b64 s[8:9], exec, s[8:9]
	s_cbranch_execz .LBB169_1373
; %bb.1370:
	s_movk_i32 s2, 0x80
	v_cmp_eq_u16_e32 vcc, s2, v4
	s_mov_b64 s[2:3], -1
	s_and_saveexec_b64 s[10:11], vcc
; %bb.1371:
	s_xor_b64 s[2:3], exec, -1
; %bb.1372:
	s_or_b64 exec, exec, s[10:11]
	s_and_b64 s[2:3], s[2:3], exec
.LBB169_1373:
	s_or_saveexec_b64 s[8:9], s[8:9]
	v_bfrev_b32_e32 v2, 4
	v_mov_b32_e32 v3, 0x7ff80000
	s_xor_b64 exec, exec, s[8:9]
; %bb.1374:
	v_cmp_ne_u16_e32 vcc, 0, v4
	s_andn2_b64 s[2:3], s[2:3], exec
	s_and_b64 s[10:11], vcc, exec
	v_mov_b64_e32 v[2:3], 0
	s_or_b64 s[2:3], s[2:3], s[10:11]
; %bb.1375:
	s_or_b64 exec, exec, s[8:9]
	s_and_saveexec_b64 s[8:9], s[2:3]
	s_cbranch_execz .LBB169_1377
; %bb.1376:
	v_and_b32_e32 v3, 0xffff, v4
	v_lshlrev_b32_e32 v2, 24, v4
	v_and_b32_e32 v4, 3, v3
	v_ffbh_u32_e32 v7, v4
	v_min_u32_e32 v7, 32, v7
	v_subrev_u32_e32 v8, 29, v7
	v_bfe_u32 v5, v3, 2, 5
	v_lshlrev_b32_e32 v3, v8, v3
	v_sub_u32_e32 v7, 30, v7
	v_and_b32_e32 v3, 3, v3
	v_cmp_eq_u32_e32 vcc, 0, v5
	v_and_b32_e32 v2, 0x80000000, v2
	s_nop 0
	v_cndmask_b32_e32 v5, v5, v7, vcc
	v_cndmask_b32_e32 v3, v4, v3, vcc
	v_mov_b32_e32 v4, 0x37800000
	v_lshlrev_b32_e32 v3, 21, v3
	v_lshl_add_u32 v4, v5, 23, v4
	v_or3_b32 v2, v2, v4, v3
	v_cvt_f64_f32_e32 v[2:3], v2
.LBB169_1377:
	s_or_b64 exec, exec, s[8:9]
	s_mov_b64 s[2:3], 0
	s_branch .LBB169_1381
.LBB169_1378:
                                        ; implicit-def: $vgpr2_vgpr3
	s_mov_b64 s[2:3], 0
	s_branch .LBB169_1387
.LBB169_1379:
	s_mov_b64 s[2:3], -1
                                        ; implicit-def: $vgpr2_vgpr3
	s_branch .LBB169_1384
.LBB169_1380:
	s_mov_b64 s[2:3], -1
                                        ; implicit-def: $vgpr2_vgpr3
.LBB169_1381:
	s_and_b64 vcc, exec, s[2:3]
	s_cbranch_vccz .LBB169_1383
; %bb.1382:
	global_load_ubyte v2, v[0:1], off
	s_mov_b32 s2, 0x7f800000
	s_waitcnt vmcnt(0)
	v_lshlrev_b32_e32 v2, 24, v2
	v_and_b32_e32 v3, 0x7f000000, v2
	v_ffbh_u32_e32 v4, v3
	v_min_u32_e32 v4, 32, v4
	v_sub_u32_e64 v4, v4, 4 clamp
	v_lshlrev_b32_e32 v7, v4, v3
	v_lshlrev_b32_e32 v4, 23, v4
	v_lshrrev_b32_e32 v7, 4, v7
	v_add_u32_e32 v5, 0x1000000, v3
	v_sub_u32_e32 v4, v7, v4
	v_ashrrev_i32_e32 v5, 8, v5
	v_add_u32_e32 v4, 0x3c000000, v4
	v_and_or_b32 v4, v5, s2, v4
	v_cmp_ne_u32_e32 vcc, 0, v3
	s_brev_b32 s2, 1
	s_nop 0
	v_cndmask_b32_e32 v3, 0, v4, vcc
	v_and_or_b32 v2, v2, s2, v3
	v_cvt_f64_f32_e32 v[2:3], v2
.LBB169_1383:
	s_mov_b64 s[2:3], 0
.LBB169_1384:
	s_andn2_b64 vcc, exec, s[2:3]
	s_cbranch_vccnz .LBB169_1386
; %bb.1385:
	global_load_ubyte v2, v[0:1], off
	s_movk_i32 s2, 0x7f00
	s_brev_b32 s3, 16
	s_waitcnt vmcnt(0)
	v_lshlrev_b16_e32 v3, 8, v2
	v_lshlrev_b32_e32 v2, 25, v2
	v_lshrrev_b32_e32 v4, 4, v2
	v_and_or_b32 v5, v3, s2, 0.5
	v_or_b32_e32 v4, 0x70000000, v4
	v_add_f32_e32 v5, -0.5, v5
	v_mul_f32_e32 v4, 0x7800000, v4
	v_cmp_gt_u32_e32 vcc, s3, v2
	v_bfe_i32 v3, v3, 0, 16
	s_brev_b32 s2, 1
	v_cndmask_b32_e32 v2, v4, v5, vcc
	v_and_or_b32 v2, v3, s2, v2
	v_cvt_f64_f32_e32 v[2:3], v2
.LBB169_1386:
	s_mov_b64 s[10:11], -1
	s_mov_b64 s[2:3], 0
	s_cbranch_execnz .LBB169_1395
.LBB169_1387:
	s_cmp_gt_i32 s15, 14
	s_cbranch_scc0 .LBB169_1390
; %bb.1388:
	s_cmp_eq_u32 s15, 15
	s_cbranch_scc0 .LBB169_1391
; %bb.1389:
	global_load_ushort v2, v[0:1], off
	s_mov_b64 s[0:1], 0
	s_mov_b64 s[10:11], -1
	s_waitcnt vmcnt(0)
	v_lshlrev_b32_e32 v2, 16, v2
	v_cvt_f64_f32_e32 v[2:3], v2
	s_branch .LBB169_1392
.LBB169_1390:
	s_mov_b64 s[8:9], -1
                                        ; implicit-def: $vgpr2_vgpr3
	s_branch .LBB169_1393
.LBB169_1391:
	s_mov_b64 s[0:1], -1
                                        ; implicit-def: $vgpr2_vgpr3
.LBB169_1392:
	s_mov_b64 s[8:9], 0
.LBB169_1393:
	s_and_b64 vcc, exec, s[8:9]
	s_cbranch_vccz .LBB169_1395
; %bb.1394:
	s_cmp_lg_u32 s15, 11
	s_mov_b64 s[2:3], -1
	s_cselect_b64 s[0:1], -1, 0
.LBB169_1395:
	v_mov_b64_e32 v[4:5], 0
.LBB169_1396:
	s_and_b64 vcc, exec, s[0:1]
	s_mov_b64 s[8:9], s[24:25]
	s_cbranch_vccnz .LBB169_1497
; %bb.1397:
	s_andn2_b64 vcc, exec, s[2:3]
	s_cbranch_vccnz .LBB169_1399
.LBB169_1398:
	global_load_ubyte v3, v[0:1], off
	v_mov_b32_e32 v4, 0x3ff00000
	v_mov_b32_e32 v2, 0
	s_mov_b64 s[10:11], -1
	s_waitcnt vmcnt(0)
	v_cmp_ne_u16_e32 vcc, 0, v3
	s_nop 1
	v_cndmask_b32_e32 v3, 0, v4, vcc
	v_mov_b64_e32 v[4:5], 0
.LBB169_1399:
	s_branch .LBB169_1326
.LBB169_1400:
	s_and_b32 s2, 0xffff, s14
	s_cmp_lt_i32 s2, 5
	s_cbranch_scc1 .LBB169_1405
; %bb.1401:
	s_cmp_lt_i32 s2, 8
	s_cbranch_scc1 .LBB169_1407
; %bb.1402:
	;; [unrolled: 3-line block ×3, first 2 shown]
	s_cmp_gt_i32 s2, 9
	s_cbranch_scc0 .LBB169_1409
; %bb.1404:
	global_load_dwordx4 v[2:5], v[0:1], off
	s_mov_b64 s[0:1], 0
	s_branch .LBB169_1410
.LBB169_1405:
                                        ; implicit-def: $vgpr4_vgpr5
	s_branch .LBB169_1428
.LBB169_1406:
	s_branch .LBB169_1447
.LBB169_1407:
                                        ; implicit-def: $vgpr4_vgpr5
	s_branch .LBB169_1416
.LBB169_1408:
	s_mov_b64 s[0:1], -1
                                        ; implicit-def: $vgpr4_vgpr5
	s_branch .LBB169_1413
.LBB169_1409:
	s_mov_b64 s[0:1], -1
                                        ; implicit-def: $vgpr4_vgpr5
.LBB169_1410:
	s_andn2_b64 vcc, exec, s[0:1]
	s_cbranch_vccnz .LBB169_1412
; %bb.1411:
	global_load_dwordx2 v[4:5], v[0:1], off
	s_waitcnt vmcnt(0)
	v_cvt_f64_f32_e32 v[2:3], v4
	v_cvt_f64_f32_e32 v[4:5], v5
.LBB169_1412:
	s_mov_b64 s[0:1], 0
.LBB169_1413:
	s_andn2_b64 vcc, exec, s[0:1]
	s_cbranch_vccnz .LBB169_1415
; %bb.1414:
	global_load_dword v2, v[0:1], off
	s_waitcnt vmcnt(0)
	v_cvt_f32_f16_e32 v3, v2
	v_cvt_f32_f16_sdwa v4, v2 dst_sel:DWORD dst_unused:UNUSED_PAD src0_sel:WORD_1
	v_cvt_f64_f32_e32 v[2:3], v3
	v_cvt_f64_f32_e32 v[4:5], v4
.LBB169_1415:
	s_cbranch_execnz .LBB169_1427
.LBB169_1416:
	s_cmp_lt_i32 s2, 6
	s_cbranch_scc1 .LBB169_1419
; %bb.1417:
	s_cmp_gt_i32 s2, 6
	s_cbranch_scc0 .LBB169_1420
; %bb.1418:
	global_load_dwordx2 v[2:3], v[0:1], off
	s_mov_b64 s[0:1], 0
	s_branch .LBB169_1421
.LBB169_1419:
	s_mov_b64 s[0:1], -1
                                        ; implicit-def: $vgpr2_vgpr3
	s_branch .LBB169_1424
.LBB169_1420:
	s_mov_b64 s[0:1], -1
                                        ; implicit-def: $vgpr2_vgpr3
.LBB169_1421:
	s_andn2_b64 vcc, exec, s[0:1]
	s_cbranch_vccnz .LBB169_1423
; %bb.1422:
	global_load_dword v2, v[0:1], off
	s_waitcnt vmcnt(0)
	v_cvt_f64_f32_e32 v[2:3], v2
.LBB169_1423:
	s_mov_b64 s[0:1], 0
.LBB169_1424:
	s_andn2_b64 vcc, exec, s[0:1]
	s_cbranch_vccnz .LBB169_1426
; %bb.1425:
	global_load_ushort v2, v[0:1], off
	s_waitcnt vmcnt(0)
	v_cvt_f32_f16_e32 v2, v2
	v_cvt_f64_f32_e32 v[2:3], v2
.LBB169_1426:
	s_waitcnt vmcnt(0)
	v_mov_b64_e32 v[4:5], 0
.LBB169_1427:
	s_cbranch_execnz .LBB169_1406
.LBB169_1428:
	s_cmp_lt_i32 s2, 2
	s_cbranch_scc1 .LBB169_1432
; %bb.1429:
	s_cmp_lt_i32 s2, 3
	s_cbranch_scc1 .LBB169_1433
; %bb.1430:
	s_cmp_gt_i32 s2, 3
	s_cbranch_scc0 .LBB169_1434
; %bb.1431:
	global_load_dwordx2 v[2:3], v[0:1], off
	s_mov_b64 s[0:1], 0
	s_waitcnt vmcnt(0)
	v_cvt_f64_i32_e32 v[4:5], v3
	v_cvt_f64_u32_e32 v[2:3], v2
	v_ldexp_f64 v[4:5], v[4:5], 32
	v_add_f64 v[2:3], v[4:5], v[2:3]
	s_branch .LBB169_1435
.LBB169_1432:
                                        ; implicit-def: $vgpr2_vgpr3
	s_branch .LBB169_1441
.LBB169_1433:
	s_mov_b64 s[0:1], -1
                                        ; implicit-def: $vgpr2_vgpr3
	s_branch .LBB169_1438
.LBB169_1434:
	s_mov_b64 s[0:1], -1
                                        ; implicit-def: $vgpr2_vgpr3
.LBB169_1435:
	s_andn2_b64 vcc, exec, s[0:1]
	s_cbranch_vccnz .LBB169_1437
; %bb.1436:
	global_load_dword v2, v[0:1], off
	s_waitcnt vmcnt(0)
	v_cvt_f64_i32_e32 v[2:3], v2
.LBB169_1437:
	s_mov_b64 s[0:1], 0
.LBB169_1438:
	s_andn2_b64 vcc, exec, s[0:1]
	s_cbranch_vccnz .LBB169_1440
; %bb.1439:
	global_load_sshort v2, v[0:1], off
	s_waitcnt vmcnt(0)
	v_cvt_f64_i32_e32 v[2:3], v2
.LBB169_1440:
	s_cbranch_execnz .LBB169_1446
.LBB169_1441:
	s_cmp_gt_i32 s2, 0
	s_cbranch_scc0 .LBB169_1443
; %bb.1442:
	global_load_sbyte v2, v[0:1], off
	s_mov_b64 s[0:1], 0
	s_waitcnt vmcnt(0)
	v_cvt_f64_i32_e32 v[2:3], v2
	s_branch .LBB169_1444
.LBB169_1443:
	s_mov_b64 s[0:1], -1
                                        ; implicit-def: $vgpr2_vgpr3
.LBB169_1444:
	s_andn2_b64 vcc, exec, s[0:1]
	s_cbranch_vccnz .LBB169_1446
; %bb.1445:
	global_load_ubyte v0, v[0:1], off
	s_waitcnt vmcnt(0)
	v_cvt_f64_u32_e32 v[2:3], v0
.LBB169_1446:
	s_waitcnt vmcnt(0)
	v_mov_b64_e32 v[4:5], 0
.LBB169_1447:
	s_waitcnt vmcnt(0)
	v_cmp_neq_f64_e32 vcc, 0, v[2:3]
	v_cmp_neq_f64_e64 s[0:1], 0, v[4:5]
	v_mov_b64_e32 v[8:9], 0
	s_or_b64 s[0:1], vcc, s[0:1]
	s_and_saveexec_b64 s[10:11], s[0:1]
	s_cbranch_execz .LBB169_1477
; %bb.1448:
	v_mov_b32_e32 v8, 0
	v_mov_b32_e32 v9, 0x7ff00000
	v_cmp_neq_f64_e64 s[0:1], |v[4:5]|, v[8:9]
	s_and_saveexec_b64 s[12:13], s[0:1]
	s_cbranch_execz .LBB169_1476
; %bb.1449:
	v_cmp_o_f64_e32 vcc, v[2:3], v[2:3]
                                        ; implicit-def: $vgpr8_vgpr9
	s_and_saveexec_b64 s[0:1], vcc
	s_xor_b64 s[14:15], exec, s[0:1]
	s_cbranch_execz .LBB169_1473
; %bb.1450:
	s_mov_b32 s0, 0
	s_mov_b32 s1, 0x7ff00000
	v_cmp_neq_f64_e64 s[0:1], |v[2:3]|, s[0:1]
                                        ; implicit-def: $vgpr8_vgpr9
	s_and_saveexec_b64 s[2:3], s[0:1]
	s_xor_b64 s[16:17], exec, s[2:3]
	s_cbranch_execz .LBB169_1466
; %bb.1451:
	v_max_f64 v[0:1], |v[4:5]|, |v[4:5]|
	v_max_f64 v[8:9], |v[2:3]|, |v[2:3]|
	s_mov_b32 s0, 0x99fcef32
	v_max_f64 v[0:1], v[8:9], v[0:1]
	s_mov_b32 s1, 0x7fda8279
	v_cmp_nle_f64_e64 s[0:1], s[0:1], v[0:1]
                                        ; implicit-def: $sgpr18_sgpr19
	s_and_saveexec_b64 s[2:3], s[0:1]
	s_xor_b64 s[2:3], exec, s[2:3]
	s_cbranch_execz .LBB169_1455
; %bb.1452:
	s_mov_b32 s18, 0
	s_mov_b32 s19, 0x200000
	v_cmp_le_f64_e64 s[20:21], |v[2:3]|, s[18:19]
	v_cmp_le_f64_e64 s[18:19], |v[4:5]|, s[18:19]
	s_and_b64 s[28:29], s[20:21], s[18:19]
	s_mov_b64 s[18:19], 0
	s_and_saveexec_b64 s[20:21], s[28:29]
; %bb.1453:
	s_mov_b64 s[18:19], exec
	v_mul_f64 v[4:5], v[4:5], 4.0
	v_mul_f64 v[2:3], v[2:3], 4.0
; %bb.1454:
	s_or_b64 exec, exec, s[20:21]
.LBB169_1455:
	s_andn2_saveexec_b64 s[2:3], s[2:3]
; %bb.1456:
	v_ldexp_f64 v[2:3], v[2:3], -2
	v_ldexp_f64 v[4:5], v[4:5], -2
	s_andn2_b64 s[18:19], s[18:19], exec
; %bb.1457:
	s_or_b64 exec, exec, s[2:3]
	v_max_f64 v[0:1], |v[4:5]|, |v[4:5]|
	v_max_f64 v[8:9], |v[2:3]|, |v[2:3]|
	v_max_f64 v[0:1], v[8:9], v[0:1]
	v_frexp_exp_i32_f64_e32 v7, v[0:1]
	v_sub_u32_e32 v8, 0, v7
	v_ldexp_f64 v[0:1], |v[2:3]|, v8
	v_ldexp_f64 v[8:9], |v[4:5]|, v8
	v_mul_f64 v[8:9], v[8:9], v[8:9]
	v_fmac_f64_e32 v[8:9], v[0:1], v[0:1]
	v_rsq_f64_e32 v[0:1], v[8:9]
	v_cmp_eq_f64_e64 s[2:3], 0, v[8:9]
	s_movk_i32 s20, 0x204
	v_cmp_le_f64_e32 vcc, 0, v[2:3]
	v_mul_f64 v[12:13], v[8:9], v[0:1]
	v_mul_f64 v[0:1], v[0:1], 0.5
	v_fma_f64 v[16:17], -v[0:1], v[12:13], 0.5
	v_fmac_f64_e32 v[12:13], v[12:13], v[16:17]
	v_fmac_f64_e32 v[0:1], v[0:1], v[16:17]
	v_fma_f64 v[16:17], -v[12:13], v[12:13], v[8:9]
	v_fmac_f64_e32 v[12:13], v[16:17], v[0:1]
	v_cndmask_b32_e64 v1, v13, v9, s[2:3]
	v_cndmask_b32_e64 v0, v12, v8, s[2:3]
	v_ldexp_f64 v[0:1], v[0:1], v7
	v_cmp_o_f64_e64 s[2:3], v[4:5], v[4:5]
	v_mov_b32_e32 v7, 0x7ff80000
                                        ; implicit-def: $vgpr12_vgpr13
	s_nop 0
	v_cndmask_b32_e64 v0, 0, v0, s[2:3]
	v_cndmask_b32_e64 v1, v7, v1, s[2:3]
	v_cmp_class_f64_e64 s[2:3], v[2:3], s20
	v_cmp_class_f64_e64 s[20:21], v[4:5], s20
	v_mov_b32_e32 v7, 0x7ff00000
	s_or_b64 s[2:3], s[20:21], s[2:3]
	v_cndmask_b32_e64 v9, v1, v7, s[2:3]
	v_cndmask_b32_e64 v8, v0, 0, s[2:3]
                                        ; implicit-def: $vgpr0_vgpr1
	s_and_saveexec_b64 s[2:3], vcc
	s_xor_b64 s[2:3], exec, s[2:3]
	s_cbranch_execz .LBB169_1459
; %bb.1458:
	v_add_f64 v[0:1], v[2:3], v[8:9]
	s_mov_b32 s20, 0
	v_mul_f64 v[0:1], v[0:1], 0.5
	s_brev_b32 s21, 8
	v_mov_b32_e32 v2, 0x100
	v_cmp_gt_f64_e32 vcc, s[20:21], v[0:1]
	v_mov_b32_e32 v7, 0x260
	s_nop 0
	v_cndmask_b32_e32 v2, 0, v2, vcc
	v_ldexp_f64 v[0:1], v[0:1], v2
	v_rsq_f64_e32 v[2:3], v[0:1]
	s_nop 0
	v_mul_f64 v[8:9], v[0:1], v[2:3]
	v_mul_f64 v[2:3], v[2:3], 0.5
	v_fma_f64 v[12:13], -v[2:3], v[8:9], 0.5
	v_fmac_f64_e32 v[8:9], v[8:9], v[12:13]
	v_fma_f64 v[16:17], -v[8:9], v[8:9], v[0:1]
	v_fmac_f64_e32 v[2:3], v[2:3], v[12:13]
	v_fmac_f64_e32 v[8:9], v[16:17], v[2:3]
	v_fma_f64 v[12:13], -v[8:9], v[8:9], v[0:1]
	v_fmac_f64_e32 v[8:9], v[12:13], v[2:3]
	v_mov_b32_e32 v2, 0xffffff80
	v_cndmask_b32_e32 v2, 0, v2, vcc
	v_ldexp_f64 v[2:3], v[8:9], v2
	v_cmp_class_f64_e32 vcc, v[0:1], v7
	s_nop 1
	v_cndmask_b32_e32 v13, v3, v1, vcc
	v_cndmask_b32_e32 v12, v2, v0, vcc
	v_add_f64 v[0:1], v[12:13], v[12:13]
	v_div_scale_f64 v[2:3], s[20:21], v[0:1], v[0:1], v[4:5]
	v_rcp_f64_e32 v[8:9], v[2:3]
	s_nop 0
	v_fma_f64 v[16:17], -v[2:3], v[8:9], 1.0
	v_fmac_f64_e32 v[8:9], v[8:9], v[16:17]
	v_fma_f64 v[16:17], -v[2:3], v[8:9], 1.0
	v_fmac_f64_e32 v[8:9], v[8:9], v[16:17]
	v_div_scale_f64 v[16:17], vcc, v[4:5], v[0:1], v[4:5]
	v_mul_f64 v[26:27], v[16:17], v[8:9]
	v_fma_f64 v[2:3], -v[2:3], v[26:27], v[16:17]
	s_nop 1
	v_div_fmas_f64 v[2:3], v[2:3], v[8:9], v[26:27]
	v_div_fixup_f64 v[0:1], v[2:3], v[0:1], v[4:5]
                                        ; implicit-def: $vgpr8_vgpr9
                                        ; implicit-def: $vgpr2_vgpr3
	s_andn2_saveexec_b64 s[2:3], s[2:3]
	s_cbranch_execz .LBB169_1461
	s_branch .LBB169_1460
.LBB169_1459:
	s_andn2_saveexec_b64 s[2:3], s[2:3]
	s_cbranch_execz .LBB169_1461
.LBB169_1460:
	v_add_f64 v[0:1], v[8:9], -v[2:3]
	s_mov_b32 s20, 0
	v_mul_f64 v[0:1], v[0:1], 0.5
	s_brev_b32 s21, 8
	v_mov_b32_e32 v2, 0x100
	v_cmp_gt_f64_e32 vcc, s[20:21], v[0:1]
	v_mov_b32_e32 v7, 0x260
	s_nop 0
	v_cndmask_b32_e32 v2, 0, v2, vcc
	v_ldexp_f64 v[0:1], v[0:1], v2
	v_rsq_f64_e32 v[2:3], v[0:1]
	s_nop 0
	v_mul_f64 v[8:9], v[0:1], v[2:3]
	v_mul_f64 v[2:3], v[2:3], 0.5
	v_fma_f64 v[12:13], -v[2:3], v[8:9], 0.5
	v_fmac_f64_e32 v[8:9], v[8:9], v[12:13]
	v_fma_f64 v[16:17], -v[8:9], v[8:9], v[0:1]
	v_fmac_f64_e32 v[2:3], v[2:3], v[12:13]
	v_fmac_f64_e32 v[8:9], v[16:17], v[2:3]
	v_fma_f64 v[12:13], -v[8:9], v[8:9], v[0:1]
	v_fmac_f64_e32 v[8:9], v[12:13], v[2:3]
	v_mov_b32_e32 v2, 0xffffff80
	v_cndmask_b32_e32 v2, 0, v2, vcc
	v_ldexp_f64 v[2:3], v[8:9], v2
	v_cmp_class_f64_e32 vcc, v[0:1], v7
	v_and_b32_e32 v9, 0x7fffffff, v5
	v_mov_b32_e32 v8, v4
	v_cndmask_b32_e32 v1, v3, v1, vcc
	v_cndmask_b32_e32 v0, v2, v0, vcc
	v_add_f64 v[2:3], v[0:1], v[0:1]
	v_div_scale_f64 v[12:13], s[20:21], v[2:3], v[2:3], v[8:9]
	v_rcp_f64_e32 v[16:17], v[12:13]
	v_div_scale_f64 v[8:9], vcc, v[8:9], v[2:3], v[8:9]
	s_brev_b32 s20, -2
	v_fma_f64 v[26:27], -v[12:13], v[16:17], 1.0
	v_fmac_f64_e32 v[16:17], v[16:17], v[26:27]
	v_fma_f64 v[26:27], -v[12:13], v[16:17], 1.0
	v_fmac_f64_e32 v[16:17], v[16:17], v[26:27]
	v_mul_f64 v[26:27], v[8:9], v[16:17]
	v_fma_f64 v[8:9], -v[12:13], v[26:27], v[8:9]
	v_div_fmas_f64 v[8:9], v[8:9], v[16:17], v[26:27]
	v_div_fixup_f64 v[12:13], v[8:9], v[2:3], |v[4:5]|
	v_bfi_b32 v1, s20, v1, v5
.LBB169_1461:
	s_or_b64 exec, exec, s[2:3]
                                        ; implicit-def: $vgpr4_vgpr5
                                        ; implicit-def: $vgpr8_vgpr9
	s_and_saveexec_b64 s[2:3], s[0:1]
	s_xor_b64 s[0:1], exec, s[2:3]
	s_cbranch_execz .LBB169_1463
; %bb.1462:
	v_mul_f64 v[2:3], v[12:13], 0.5
	v_mul_f64 v[4:5], v[0:1], 0.5
	v_cndmask_b32_e64 v9, v13, v3, s[18:19]
	v_cndmask_b32_e64 v8, v12, v2, s[18:19]
	;; [unrolled: 1-line block ×4, first 2 shown]
                                        ; implicit-def: $vgpr12_vgpr13
                                        ; implicit-def: $vgpr0_vgpr1
	s_andn2_saveexec_b64 s[0:1], s[0:1]
	s_cbranch_execnz .LBB169_1464
	s_branch .LBB169_1465
.LBB169_1463:
	s_andn2_saveexec_b64 s[0:1], s[0:1]
.LBB169_1464:
	v_add_f64 v[8:9], v[12:13], v[12:13]
	v_add_f64 v[4:5], v[0:1], v[0:1]
.LBB169_1465:
	s_or_b64 exec, exec, s[0:1]
.LBB169_1466:
	s_andn2_saveexec_b64 s[0:1], s[16:17]
	s_cbranch_execz .LBB169_1472
; %bb.1467:
	v_add_f64 v[0:1], v[4:5], -v[4:5]
	v_cmp_lt_i64_e32 vcc, -1, v[2:3]
	s_brev_b32 s16, -2
	v_and_b32_e32 v9, 0x7fffffff, v1
	v_mov_b32_e32 v8, v0
	s_and_saveexec_b64 s[2:3], vcc
	s_xor_b64 s[2:3], exec, s[2:3]
; %bb.1468:
	v_bfi_b32 v1, s16, v1, v5
	v_mov_b64_e32 v[4:5], v[0:1]
	v_mov_b64_e32 v[8:9], v[2:3]
; %bb.1469:
	s_andn2_saveexec_b64 s[2:3], s[2:3]
; %bb.1470:
	v_bfi_b32 v3, s16, v3, v5
	v_mov_b64_e32 v[4:5], v[2:3]
; %bb.1471:
	s_or_b64 exec, exec, s[2:3]
.LBB169_1472:
	s_or_b64 exec, exec, s[0:1]
.LBB169_1473:
	s_andn2_saveexec_b64 s[0:1], s[14:15]
	s_cbranch_execz .LBB169_1475
; %bb.1474:
	v_add_f64 v[0:1], v[4:5], -v[4:5]
	v_div_scale_f64 v[4:5], vcc, v[0:1], v[0:1], v[0:1]
	v_rcp_f64_e32 v[8:9], v[4:5]
	s_nop 0
	v_fma_f64 v[12:13], -v[4:5], v[8:9], 1.0
	v_fmac_f64_e32 v[8:9], v[8:9], v[12:13]
	v_fma_f64 v[12:13], -v[4:5], v[8:9], 1.0
	v_fmac_f64_e32 v[8:9], v[8:9], v[12:13]
	v_mul_f64 v[12:13], v[4:5], v[8:9]
	v_fma_f64 v[4:5], -v[4:5], v[12:13], v[4:5]
	v_div_fmas_f64 v[4:5], v[4:5], v[8:9], v[12:13]
	v_div_fixup_f64 v[4:5], v[4:5], v[0:1], v[0:1]
	v_mov_b64_e32 v[8:9], v[2:3]
.LBB169_1475:
	s_or_b64 exec, exec, s[0:1]
.LBB169_1476:
	s_or_b64 exec, exec, s[12:13]
.LBB169_1477:
	s_or_b64 exec, exec, s[10:11]
	v_xor_b32_e32 v0, 0x80000000, v9
	v_cmp_gt_f64_e32 vcc, 0, v[8:9]
	v_mov_b32_e32 v16, v8
	v_mov_b32_e32 v12, v4
	v_cndmask_b32_e32 v17, v9, v0, vcc
	v_xor_b32_e32 v0, 0x80000000, v5
	v_cmp_gt_f64_e32 vcc, 0, v[4:5]
	s_nop 1
	v_cndmask_b32_e32 v13, v5, v0, vcc
	v_cmp_ge_f64_e32 vcc, v[16:17], v[12:13]
                                        ; implicit-def: $vgpr2_vgpr3
	s_and_saveexec_b64 s[0:1], vcc
	s_xor_b64 s[2:3], exec, s[0:1]
	s_cbranch_execz .LBB169_1483
; %bb.1478:
	v_cmp_neq_f64_e32 vcc, 0, v[8:9]
	v_cmp_neq_f64_e64 s[0:1], 0, v[4:5]
	s_or_b64 s[0:1], vcc, s[0:1]
                                        ; implicit-def: $vgpr2_vgpr3
	s_and_saveexec_b64 s[10:11], s[0:1]
	s_xor_b64 s[0:1], exec, s[10:11]
	s_cbranch_execz .LBB169_1480
; %bb.1479:
	v_div_scale_f64 v[0:1], s[10:11], v[8:9], v[8:9], v[4:5]
	v_rcp_f64_e32 v[2:3], v[0:1]
	v_div_scale_f64 v[12:13], vcc, v[4:5], v[8:9], v[4:5]
	v_fma_f64 v[16:17], -v[0:1], v[2:3], 1.0
	v_fmac_f64_e32 v[2:3], v[2:3], v[16:17]
	v_fma_f64 v[16:17], -v[0:1], v[2:3], 1.0
	v_fmac_f64_e32 v[2:3], v[2:3], v[16:17]
	v_mul_f64 v[16:17], v[12:13], v[2:3]
	v_fma_f64 v[0:1], -v[0:1], v[16:17], v[12:13]
	v_div_fmas_f64 v[0:1], v[0:1], v[2:3], v[16:17]
	v_div_fixup_f64 v[2:3], v[0:1], v[8:9], v[4:5]
	v_fmac_f64_e32 v[8:9], v[4:5], v[2:3]
	v_div_scale_f64 v[0:1], s[10:11], v[8:9], v[8:9], 1.0
	v_rcp_f64_e32 v[4:5], v[0:1]
	s_nop 0
	v_fma_f64 v[12:13], -v[0:1], v[4:5], 1.0
	v_fmac_f64_e32 v[4:5], v[4:5], v[12:13]
	v_fma_f64 v[12:13], -v[0:1], v[4:5], 1.0
	v_fmac_f64_e32 v[4:5], v[4:5], v[12:13]
	v_div_scale_f64 v[12:13], vcc, 1.0, v[8:9], 1.0
	v_mul_f64 v[16:17], v[12:13], v[4:5]
	v_fma_f64 v[0:1], -v[0:1], v[16:17], v[12:13]
                                        ; implicit-def: $vgpr12_vgpr13
	s_nop 1
	v_div_fmas_f64 v[0:1], v[0:1], v[4:5], v[16:17]
	v_div_fixup_f64 v[4:5], v[0:1], v[8:9], 1.0
	v_fma_f64 v[0:1], v[2:3], 0, 1.0
	v_add_f64 v[2:3], -v[2:3], 0
	v_mul_f64 v[0:1], v[0:1], v[4:5]
	v_mul_f64 v[2:3], v[2:3], v[4:5]
                                        ; implicit-def: $vgpr16_vgpr17
.LBB169_1480:
	s_andn2_saveexec_b64 s[0:1], s[0:1]
	s_cbranch_execz .LBB169_1482
; %bb.1481:
	v_div_scale_f64 v[0:1], s[10:11], v[16:17], v[16:17], 1.0
	v_rcp_f64_e32 v[2:3], v[0:1]
	v_div_scale_f64 v[4:5], vcc, 1.0, v[16:17], 1.0
	v_fma_f64 v[8:9], -v[0:1], v[2:3], 1.0
	v_fmac_f64_e32 v[2:3], v[2:3], v[8:9]
	v_fma_f64 v[8:9], -v[0:1], v[2:3], 1.0
	v_fmac_f64_e32 v[2:3], v[2:3], v[8:9]
	v_mul_f64 v[8:9], v[4:5], v[2:3]
	v_fma_f64 v[0:1], -v[0:1], v[8:9], v[4:5]
	v_div_scale_f64 v[4:5], s[10:11], v[12:13], v[12:13], 0
	v_rcp_f64_e32 v[26:27], v[4:5]
	v_div_fmas_f64 v[0:1], v[0:1], v[2:3], v[8:9]
	v_div_fixup_f64 v[0:1], v[0:1], v[16:17], 1.0
	v_fma_f64 v[2:3], -v[4:5], v[26:27], 1.0
	v_fmac_f64_e32 v[26:27], v[26:27], v[2:3]
	v_fma_f64 v[2:3], -v[4:5], v[26:27], 1.0
	v_fmac_f64_e32 v[26:27], v[26:27], v[2:3]
	v_div_scale_f64 v[2:3], vcc, 0, v[12:13], 0
	v_mul_f64 v[8:9], v[2:3], v[26:27]
	v_fma_f64 v[2:3], -v[4:5], v[8:9], v[2:3]
	s_nop 1
	v_div_fmas_f64 v[2:3], v[2:3], v[26:27], v[8:9]
	v_div_fixup_f64 v[2:3], v[2:3], v[12:13], 0
.LBB169_1482:
	s_or_b64 exec, exec, s[0:1]
                                        ; implicit-def: $vgpr4_vgpr5
                                        ; implicit-def: $vgpr8_vgpr9
.LBB169_1483:
	s_andn2_saveexec_b64 s[0:1], s[2:3]
	s_cbranch_execz .LBB169_1485
; %bb.1484:
	v_div_scale_f64 v[0:1], s[2:3], v[4:5], v[4:5], v[8:9]
	v_rcp_f64_e32 v[2:3], v[0:1]
	v_div_scale_f64 v[12:13], vcc, v[8:9], v[4:5], v[8:9]
	v_fma_f64 v[16:17], -v[0:1], v[2:3], 1.0
	v_fmac_f64_e32 v[2:3], v[2:3], v[16:17]
	v_fma_f64 v[16:17], -v[0:1], v[2:3], 1.0
	v_fmac_f64_e32 v[2:3], v[2:3], v[16:17]
	v_mul_f64 v[16:17], v[12:13], v[2:3]
	v_fma_f64 v[0:1], -v[0:1], v[16:17], v[12:13]
	v_div_fmas_f64 v[0:1], v[0:1], v[2:3], v[16:17]
	v_div_fixup_f64 v[2:3], v[0:1], v[4:5], v[8:9]
	v_fmac_f64_e32 v[4:5], v[8:9], v[2:3]
	v_div_scale_f64 v[0:1], s[2:3], v[4:5], v[4:5], 1.0
	v_rcp_f64_e32 v[8:9], v[0:1]
	s_nop 0
	v_fma_f64 v[12:13], -v[0:1], v[8:9], 1.0
	v_fmac_f64_e32 v[8:9], v[8:9], v[12:13]
	v_fma_f64 v[12:13], -v[0:1], v[8:9], 1.0
	v_fmac_f64_e32 v[8:9], v[8:9], v[12:13]
	v_div_scale_f64 v[12:13], vcc, 1.0, v[4:5], 1.0
	v_mul_f64 v[16:17], v[12:13], v[8:9]
	v_fma_f64 v[0:1], -v[0:1], v[16:17], v[12:13]
	s_nop 1
	v_div_fmas_f64 v[0:1], v[0:1], v[8:9], v[16:17]
	v_div_fixup_f64 v[4:5], v[0:1], v[4:5], 1.0
	v_add_f64 v[0:1], v[2:3], 0
	v_fma_f64 v[2:3], v[2:3], 0, -1.0
	v_mul_f64 v[0:1], v[0:1], v[4:5]
	v_mul_f64 v[2:3], v[2:3], v[4:5]
.LBB169_1485:
	s_or_b64 exec, exec, s[0:1]
	s_lshr_b32 s0, s22, 16
	v_mov_b32_e32 v7, 0
	s_and_b32 s23, s0, 0xff
	s_cmp_lt_i32 s23, 11
	v_lshl_add_u64 v[4:5], s[6:7], 0, v[6:7]
	s_cbranch_scc1 .LBB169_1492
; %bb.1486:
	s_and_b32 s16, 0xffff, s23
	s_cmp_gt_i32 s16, 25
	s_mov_b64 s[2:3], 0
	s_cbranch_scc0 .LBB169_1494
; %bb.1487:
	s_cmp_gt_i32 s16, 28
	s_cbranch_scc0 .LBB169_1495
; %bb.1488:
	s_cmp_gt_i32 s16, 43
	;; [unrolled: 3-line block ×3, first 2 shown]
	s_cbranch_scc0 .LBB169_1498
; %bb.1490:
	s_cmp_eq_u32 s16, 46
	s_mov_b64 s[12:13], 0
	s_cbranch_scc0 .LBB169_1501
; %bb.1491:
	global_load_dword v6, v[4:5], off
	s_mov_b64 s[0:1], 0
	s_mov_b64 s[10:11], -1
	s_waitcnt vmcnt(0)
	v_and_b32_e32 v8, 0xffff0000, v6
	v_lshlrev_b32_e32 v6, 16, v6
	v_cvt_f64_f32_e32 v[6:7], v6
	v_cvt_f64_f32_e32 v[8:9], v8
	s_branch .LBB169_1502
.LBB169_1492:
	s_mov_b64 s[10:11], 0
                                        ; implicit-def: $vgpr8_vgpr9
	s_cbranch_execnz .LBB169_1570
.LBB169_1493:
	s_andn2_b64 vcc, exec, s[10:11]
	s_cbranch_vccnz .LBB169_1976
	s_branch .LBB169_1619
.LBB169_1494:
	s_mov_b64 s[10:11], 0
	s_mov_b64 s[0:1], 0
                                        ; implicit-def: $vgpr8_vgpr9
	s_cbranch_execnz .LBB169_1535
	s_branch .LBB169_1566
.LBB169_1495:
	s_mov_b64 s[12:13], -1
	s_mov_b64 s[10:11], 0
	s_mov_b64 s[0:1], 0
                                        ; implicit-def: $vgpr8_vgpr9
	s_branch .LBB169_1514
.LBB169_1496:
	s_mov_b64 s[12:13], -1
	s_mov_b64 s[10:11], 0
	s_mov_b64 s[0:1], 0
                                        ; implicit-def: $vgpr8_vgpr9
	s_branch .LBB169_1508
.LBB169_1497:
	s_trap 2
	s_or_b64 s[8:9], s[24:25], exec
	s_cbranch_execz .LBB169_1398
	s_branch .LBB169_1399
.LBB169_1498:
	s_mov_b64 s[12:13], -1
	s_mov_b64 s[10:11], 0
	s_mov_b64 s[0:1], 0
                                        ; implicit-def: $vgpr8_vgpr9
	s_branch .LBB169_1502
.LBB169_1499:
	s_andn2_saveexec_b64 s[14:15], s[14:15]
	s_cbranch_execz .LBB169_1186
.LBB169_1500:
	s_mov_b32 s18, 0x42800000
	v_add_f32_e64 v1, |v0|, s18
	v_and_b32_e32 v1, 0xff, v1
	v_cmp_ne_u32_e32 vcc, 0, v1
	s_andn2_b64 s[12:13], s[12:13], exec
	s_and_b64 s[18:19], vcc, exec
	s_or_b64 s[12:13], s[12:13], s[18:19]
	s_or_b64 exec, exec, s[14:15]
	v_mov_b32_e32 v2, 0
	s_and_saveexec_b64 s[14:15], s[12:13]
	s_cbranch_execnz .LBB169_1187
	s_branch .LBB169_1188
.LBB169_1501:
	s_mov_b64 s[0:1], -1
                                        ; implicit-def: $vgpr8_vgpr9
	s_mov_b64 s[10:11], 0
.LBB169_1502:
	s_and_b64 vcc, exec, s[12:13]
	s_cbranch_vccz .LBB169_1507
; %bb.1503:
	s_cmp_eq_u32 s16, 44
	s_cbranch_scc0 .LBB169_1505
; %bb.1504:
	global_load_ubyte v8, v[4:5], off
	s_movk_i32 s10, 0xff
	v_bfrev_b32_e32 v9, 4
	v_mov_b32_e32 v11, 0x7ff80000
	v_bfrev_b32_e32 v12, 28
	s_mov_b64 s[0:1], 0
	s_waitcnt vmcnt(0)
	v_lshlrev_b32_e32 v6, 23, v8
	v_cvt_f64_f32_e32 v[6:7], v6
	v_cmp_ne_u32_e32 vcc, s10, v8
	s_mov_b64 s[10:11], -1
	s_nop 0
	v_cndmask_b32_e32 v6, v9, v6, vcc
	v_cndmask_b32_e32 v7, v11, v7, vcc
	v_cmp_ne_u32_e32 vcc, 0, v8
	s_nop 1
	v_cndmask_b32_e32 v7, v12, v7, vcc
	v_cndmask_b32_e32 v6, 0, v6, vcc
	s_branch .LBB169_1506
.LBB169_1505:
	s_mov_b64 s[0:1], -1
                                        ; implicit-def: $vgpr6_vgpr7
.LBB169_1506:
	v_mov_b64_e32 v[8:9], 0
.LBB169_1507:
	s_mov_b64 s[12:13], 0
.LBB169_1508:
	s_and_b64 vcc, exec, s[12:13]
	s_cbranch_vccz .LBB169_1513
; %bb.1509:
	s_cmp_eq_u32 s16, 29
	s_cbranch_scc0 .LBB169_1511
; %bb.1510:
	global_load_dwordx2 v[6:7], v[4:5], off
	s_mov_b64 s[0:1], 0
	s_mov_b64 s[10:11], -1
	s_waitcnt vmcnt(0)
	v_cvt_f64_u32_e32 v[8:9], v7
	v_cvt_f64_u32_e32 v[6:7], v6
	v_ldexp_f64 v[8:9], v[8:9], 32
	v_add_f64 v[6:7], v[8:9], v[6:7]
	s_branch .LBB169_1512
.LBB169_1511:
	s_mov_b64 s[0:1], -1
                                        ; implicit-def: $vgpr6_vgpr7
.LBB169_1512:
	v_mov_b64_e32 v[8:9], 0
.LBB169_1513:
	s_mov_b64 s[12:13], 0
.LBB169_1514:
	s_and_b64 vcc, exec, s[12:13]
	s_cbranch_vccz .LBB169_1534
; %bb.1515:
	s_cmp_lt_i32 s16, 27
	s_cbranch_scc1 .LBB169_1518
; %bb.1516:
	s_cmp_gt_i32 s16, 27
	s_cbranch_scc0 .LBB169_1519
; %bb.1517:
	global_load_dword v6, v[4:5], off
	s_mov_b64 s[10:11], 0
	s_waitcnt vmcnt(0)
	v_cvt_f64_u32_e32 v[6:7], v6
	s_branch .LBB169_1520
.LBB169_1518:
	s_mov_b64 s[10:11], -1
                                        ; implicit-def: $vgpr6_vgpr7
	s_branch .LBB169_1523
.LBB169_1519:
	s_mov_b64 s[10:11], -1
                                        ; implicit-def: $vgpr6_vgpr7
.LBB169_1520:
	s_andn2_b64 vcc, exec, s[10:11]
	s_cbranch_vccnz .LBB169_1522
; %bb.1521:
	global_load_ushort v6, v[4:5], off
	s_waitcnt vmcnt(0)
	v_cvt_f64_u32_e32 v[6:7], v6
.LBB169_1522:
	s_mov_b64 s[10:11], 0
.LBB169_1523:
	s_andn2_b64 vcc, exec, s[10:11]
	s_cbranch_vccnz .LBB169_1533
; %bb.1524:
	global_load_ubyte v8, v[4:5], off
	s_movk_i32 s10, 0x7f
	s_waitcnt vmcnt(0)
	v_cmp_lt_i16_e32 vcc, s10, v8
	s_mov_b64 s[10:11], 0
	s_and_saveexec_b64 s[12:13], vcc
	s_xor_b64 s[12:13], exec, s[12:13]
	s_cbranch_execz .LBB169_1528
; %bb.1525:
	s_movk_i32 s10, 0x80
	v_cmp_eq_u16_e32 vcc, s10, v8
	s_mov_b64 s[10:11], -1
	s_and_saveexec_b64 s[14:15], vcc
; %bb.1526:
	s_xor_b64 s[10:11], exec, -1
; %bb.1527:
	s_or_b64 exec, exec, s[14:15]
	s_and_b64 s[10:11], s[10:11], exec
.LBB169_1528:
	s_or_saveexec_b64 s[12:13], s[12:13]
	v_bfrev_b32_e32 v6, 4
	v_mov_b32_e32 v7, 0x7ff80000
	s_xor_b64 exec, exec, s[12:13]
; %bb.1529:
	v_cmp_ne_u16_e32 vcc, 0, v8
	s_andn2_b64 s[10:11], s[10:11], exec
	s_and_b64 s[14:15], vcc, exec
	v_mov_b64_e32 v[6:7], 0
	s_or_b64 s[10:11], s[10:11], s[14:15]
; %bb.1530:
	s_or_b64 exec, exec, s[12:13]
	s_and_saveexec_b64 s[12:13], s[10:11]
	s_cbranch_execz .LBB169_1532
; %bb.1531:
	v_and_b32_e32 v7, 0xffff, v8
	v_lshlrev_b32_e32 v6, 24, v8
	v_and_b32_e32 v8, 7, v7
	v_ffbh_u32_e32 v11, v8
	v_min_u32_e32 v11, 32, v11
	v_subrev_u32_e32 v12, 28, v11
	v_bfe_u32 v9, v7, 3, 4
	v_lshlrev_b32_e32 v7, v12, v7
	v_sub_u32_e32 v11, 29, v11
	v_and_b32_e32 v7, 7, v7
	v_cmp_eq_u32_e32 vcc, 0, v9
	v_and_b32_e32 v6, 0x80000000, v6
	s_nop 0
	v_cndmask_b32_e32 v9, v9, v11, vcc
	v_cndmask_b32_e32 v7, v8, v7, vcc
	v_mov_b32_e32 v8, 0x3b800000
	v_lshlrev_b32_e32 v7, 20, v7
	v_lshl_add_u32 v8, v9, 23, v8
	v_or3_b32 v6, v6, v8, v7
	v_cvt_f64_f32_e32 v[6:7], v6
.LBB169_1532:
	s_or_b64 exec, exec, s[12:13]
.LBB169_1533:
	s_mov_b64 s[10:11], -1
	v_mov_b64_e32 v[8:9], 0
.LBB169_1534:
	s_branch .LBB169_1566
.LBB169_1535:
	s_cmp_gt_i32 s16, 22
	s_cbranch_scc0 .LBB169_1547
; %bb.1536:
	s_cmp_lt_i32 s16, 24
	s_cbranch_scc1 .LBB169_1548
; %bb.1537:
	s_cmp_gt_i32 s16, 24
	s_cbranch_scc0 .LBB169_1549
; %bb.1538:
	global_load_ubyte v8, v[4:5], off
	s_movk_i32 s2, 0x7f
	s_waitcnt vmcnt(0)
	v_cmp_lt_i16_e32 vcc, s2, v8
	s_mov_b64 s[2:3], 0
	s_and_saveexec_b64 s[10:11], vcc
	s_xor_b64 s[10:11], exec, s[10:11]
	s_cbranch_execz .LBB169_1542
; %bb.1539:
	s_movk_i32 s2, 0x80
	v_cmp_eq_u16_e32 vcc, s2, v8
	s_mov_b64 s[2:3], -1
	s_and_saveexec_b64 s[12:13], vcc
; %bb.1540:
	s_xor_b64 s[2:3], exec, -1
; %bb.1541:
	s_or_b64 exec, exec, s[12:13]
	s_and_b64 s[2:3], s[2:3], exec
.LBB169_1542:
	s_or_saveexec_b64 s[10:11], s[10:11]
	v_bfrev_b32_e32 v6, 4
	v_mov_b32_e32 v7, 0x7ff80000
	s_xor_b64 exec, exec, s[10:11]
; %bb.1543:
	v_cmp_ne_u16_e32 vcc, 0, v8
	s_andn2_b64 s[2:3], s[2:3], exec
	s_and_b64 s[12:13], vcc, exec
	v_mov_b64_e32 v[6:7], 0
	s_or_b64 s[2:3], s[2:3], s[12:13]
; %bb.1544:
	s_or_b64 exec, exec, s[10:11]
	s_and_saveexec_b64 s[10:11], s[2:3]
	s_cbranch_execz .LBB169_1546
; %bb.1545:
	v_and_b32_e32 v7, 0xffff, v8
	v_lshlrev_b32_e32 v6, 24, v8
	v_and_b32_e32 v8, 3, v7
	v_ffbh_u32_e32 v11, v8
	v_min_u32_e32 v11, 32, v11
	v_subrev_u32_e32 v12, 29, v11
	v_bfe_u32 v9, v7, 2, 5
	v_lshlrev_b32_e32 v7, v12, v7
	v_sub_u32_e32 v11, 30, v11
	v_and_b32_e32 v7, 3, v7
	v_cmp_eq_u32_e32 vcc, 0, v9
	v_and_b32_e32 v6, 0x80000000, v6
	s_nop 0
	v_cndmask_b32_e32 v9, v9, v11, vcc
	v_cndmask_b32_e32 v7, v8, v7, vcc
	v_mov_b32_e32 v8, 0x37800000
	v_lshlrev_b32_e32 v7, 21, v7
	v_lshl_add_u32 v8, v9, 23, v8
	v_or3_b32 v6, v6, v8, v7
	v_cvt_f64_f32_e32 v[6:7], v6
.LBB169_1546:
	s_or_b64 exec, exec, s[10:11]
	s_mov_b64 s[2:3], 0
	s_branch .LBB169_1550
.LBB169_1547:
	s_mov_b64 s[2:3], -1
                                        ; implicit-def: $vgpr6_vgpr7
	s_branch .LBB169_1556
.LBB169_1548:
	s_mov_b64 s[2:3], -1
                                        ; implicit-def: $vgpr6_vgpr7
	s_branch .LBB169_1553
.LBB169_1549:
	s_mov_b64 s[2:3], -1
                                        ; implicit-def: $vgpr6_vgpr7
.LBB169_1550:
	s_and_b64 vcc, exec, s[2:3]
	s_cbranch_vccz .LBB169_1552
; %bb.1551:
	global_load_ubyte v6, v[4:5], off
	s_mov_b32 s2, 0x7f800000
	s_waitcnt vmcnt(0)
	v_lshlrev_b32_e32 v6, 24, v6
	v_and_b32_e32 v7, 0x7f000000, v6
	v_ffbh_u32_e32 v8, v7
	v_min_u32_e32 v8, 32, v8
	v_sub_u32_e64 v8, v8, 4 clamp
	v_lshlrev_b32_e32 v11, v8, v7
	v_lshlrev_b32_e32 v8, 23, v8
	v_lshrrev_b32_e32 v11, 4, v11
	v_add_u32_e32 v9, 0x1000000, v7
	v_sub_u32_e32 v8, v11, v8
	v_ashrrev_i32_e32 v9, 8, v9
	v_add_u32_e32 v8, 0x3c000000, v8
	v_and_or_b32 v8, v9, s2, v8
	v_cmp_ne_u32_e32 vcc, 0, v7
	s_brev_b32 s2, 1
	s_nop 0
	v_cndmask_b32_e32 v7, 0, v8, vcc
	v_and_or_b32 v6, v6, s2, v7
	v_cvt_f64_f32_e32 v[6:7], v6
.LBB169_1552:
	s_mov_b64 s[2:3], 0
.LBB169_1553:
	s_andn2_b64 vcc, exec, s[2:3]
	s_cbranch_vccnz .LBB169_1555
; %bb.1554:
	global_load_ubyte v6, v[4:5], off
	s_movk_i32 s2, 0x7f00
	s_brev_b32 s3, 16
	s_waitcnt vmcnt(0)
	v_lshlrev_b16_e32 v7, 8, v6
	v_lshlrev_b32_e32 v6, 25, v6
	v_lshrrev_b32_e32 v8, 4, v6
	v_and_or_b32 v9, v7, s2, 0.5
	v_or_b32_e32 v8, 0x70000000, v8
	v_add_f32_e32 v9, -0.5, v9
	v_mul_f32_e32 v8, 0x7800000, v8
	v_cmp_gt_u32_e32 vcc, s3, v6
	v_bfe_i32 v7, v7, 0, 16
	s_brev_b32 s2, 1
	v_cndmask_b32_e32 v6, v8, v9, vcc
	v_and_or_b32 v6, v7, s2, v6
	v_cvt_f64_f32_e32 v[6:7], v6
.LBB169_1555:
	s_mov_b64 s[2:3], 0
	s_mov_b64 s[10:11], -1
.LBB169_1556:
	s_andn2_b64 vcc, exec, s[2:3]
	s_mov_b64 s[2:3], 0
	s_cbranch_vccnz .LBB169_1565
; %bb.1557:
	s_cmp_gt_i32 s16, 14
	s_cbranch_scc0 .LBB169_1560
; %bb.1558:
	s_cmp_eq_u32 s16, 15
	s_cbranch_scc0 .LBB169_1561
; %bb.1559:
	global_load_ushort v6, v[4:5], off
	s_mov_b64 s[0:1], 0
	s_mov_b64 s[10:11], -1
	s_waitcnt vmcnt(0)
	v_lshlrev_b32_e32 v6, 16, v6
	v_cvt_f64_f32_e32 v[6:7], v6
	s_branch .LBB169_1562
.LBB169_1560:
	s_mov_b64 s[12:13], -1
                                        ; implicit-def: $vgpr6_vgpr7
	s_branch .LBB169_1563
.LBB169_1561:
	s_mov_b64 s[0:1], -1
                                        ; implicit-def: $vgpr6_vgpr7
.LBB169_1562:
	s_mov_b64 s[12:13], 0
.LBB169_1563:
	s_and_b64 vcc, exec, s[12:13]
	s_cbranch_vccz .LBB169_1565
; %bb.1564:
	s_cmp_lg_u32 s16, 11
	s_mov_b64 s[2:3], -1
	s_cselect_b64 s[0:1], -1, 0
.LBB169_1565:
	v_mov_b64_e32 v[8:9], 0
.LBB169_1566:
	s_and_b64 vcc, exec, s[0:1]
	s_cbranch_vccnz .LBB169_1681
; %bb.1567:
	s_andn2_b64 vcc, exec, s[2:3]
	s_cbranch_vccnz .LBB169_1569
.LBB169_1568:
	global_load_ubyte v7, v[4:5], off
	v_mov_b32_e32 v8, 0x3ff00000
	v_mov_b32_e32 v6, 0
	s_mov_b64 s[10:11], -1
	s_waitcnt vmcnt(0)
	v_cmp_ne_u16_e32 vcc, 0, v7
	s_nop 1
	v_cndmask_b32_e32 v7, 0, v8, vcc
	v_mov_b64_e32 v[8:9], 0
.LBB169_1569:
	s_branch .LBB169_1493
.LBB169_1570:
	s_and_b32 s2, 0xffff, s23
	s_cmp_lt_i32 s2, 5
	s_cbranch_scc1 .LBB169_1575
; %bb.1571:
	s_cmp_lt_i32 s2, 8
	s_cbranch_scc1 .LBB169_1577
; %bb.1572:
	s_cmp_lt_i32 s2, 9
	s_cbranch_scc1 .LBB169_1578
; %bb.1573:
	s_cmp_gt_i32 s2, 9
	s_cbranch_scc0 .LBB169_1579
; %bb.1574:
	global_load_dwordx4 v[6:9], v[4:5], off
	s_mov_b64 s[0:1], 0
	s_branch .LBB169_1580
.LBB169_1575:
                                        ; implicit-def: $vgpr8_vgpr9
	s_branch .LBB169_1599
.LBB169_1576:
	s_branch .LBB169_1619
.LBB169_1577:
	s_mov_b64 s[0:1], -1
                                        ; implicit-def: $vgpr8_vgpr9
	s_branch .LBB169_1586
.LBB169_1578:
	s_mov_b64 s[0:1], -1
                                        ; implicit-def: $vgpr8_vgpr9
	s_branch .LBB169_1583
.LBB169_1579:
	s_mov_b64 s[0:1], -1
                                        ; implicit-def: $vgpr8_vgpr9
.LBB169_1580:
	s_andn2_b64 vcc, exec, s[0:1]
	s_cbranch_vccnz .LBB169_1582
; %bb.1581:
	global_load_dwordx2 v[8:9], v[4:5], off
	s_waitcnt vmcnt(0)
	v_cvt_f64_f32_e32 v[6:7], v8
	v_cvt_f64_f32_e32 v[8:9], v9
.LBB169_1582:
	s_mov_b64 s[0:1], 0
.LBB169_1583:
	s_andn2_b64 vcc, exec, s[0:1]
	s_cbranch_vccnz .LBB169_1585
; %bb.1584:
	global_load_dword v6, v[4:5], off
	s_waitcnt vmcnt(0)
	v_cvt_f32_f16_e32 v7, v6
	v_cvt_f32_f16_sdwa v8, v6 dst_sel:DWORD dst_unused:UNUSED_PAD src0_sel:WORD_1
	v_cvt_f64_f32_e32 v[6:7], v7
	v_cvt_f64_f32_e32 v[8:9], v8
.LBB169_1585:
	s_mov_b64 s[0:1], 0
.LBB169_1586:
	s_andn2_b64 vcc, exec, s[0:1]
	s_cbranch_vccnz .LBB169_1598
; %bb.1587:
	s_cmp_lt_i32 s2, 6
	s_cbranch_scc1 .LBB169_1590
; %bb.1588:
	s_cmp_gt_i32 s2, 6
	s_cbranch_scc0 .LBB169_1591
; %bb.1589:
	global_load_dwordx2 v[6:7], v[4:5], off
	s_mov_b64 s[0:1], 0
	s_branch .LBB169_1592
.LBB169_1590:
	s_mov_b64 s[0:1], -1
                                        ; implicit-def: $vgpr6_vgpr7
	s_branch .LBB169_1595
.LBB169_1591:
	s_mov_b64 s[0:1], -1
                                        ; implicit-def: $vgpr6_vgpr7
.LBB169_1592:
	s_andn2_b64 vcc, exec, s[0:1]
	s_cbranch_vccnz .LBB169_1594
; %bb.1593:
	global_load_dword v6, v[4:5], off
	s_waitcnt vmcnt(0)
	v_cvt_f64_f32_e32 v[6:7], v6
.LBB169_1594:
	s_mov_b64 s[0:1], 0
.LBB169_1595:
	s_andn2_b64 vcc, exec, s[0:1]
	s_cbranch_vccnz .LBB169_1597
; %bb.1596:
	global_load_ushort v6, v[4:5], off
	s_waitcnt vmcnt(0)
	v_cvt_f32_f16_e32 v6, v6
	v_cvt_f64_f32_e32 v[6:7], v6
.LBB169_1597:
	s_waitcnt vmcnt(0)
	v_mov_b64_e32 v[8:9], 0
.LBB169_1598:
	s_cbranch_execnz .LBB169_1576
.LBB169_1599:
	s_cmp_lt_i32 s2, 2
	s_cbranch_scc1 .LBB169_1603
; %bb.1600:
	s_cmp_lt_i32 s2, 3
	s_cbranch_scc1 .LBB169_1604
; %bb.1601:
	s_cmp_gt_i32 s2, 3
	s_cbranch_scc0 .LBB169_1605
; %bb.1602:
	global_load_dwordx2 v[6:7], v[4:5], off
	s_mov_b64 s[0:1], 0
	s_waitcnt vmcnt(0)
	v_cvt_f64_i32_e32 v[8:9], v7
	v_cvt_f64_u32_e32 v[6:7], v6
	v_ldexp_f64 v[8:9], v[8:9], 32
	v_add_f64 v[6:7], v[8:9], v[6:7]
	s_branch .LBB169_1606
.LBB169_1603:
	s_mov_b64 s[0:1], -1
                                        ; implicit-def: $vgpr6_vgpr7
	s_branch .LBB169_1612
.LBB169_1604:
	s_mov_b64 s[0:1], -1
                                        ; implicit-def: $vgpr6_vgpr7
	s_branch .LBB169_1609
.LBB169_1605:
	s_mov_b64 s[0:1], -1
                                        ; implicit-def: $vgpr6_vgpr7
.LBB169_1606:
	s_andn2_b64 vcc, exec, s[0:1]
	s_cbranch_vccnz .LBB169_1608
; %bb.1607:
	global_load_dword v6, v[4:5], off
	s_waitcnt vmcnt(0)
	v_cvt_f64_i32_e32 v[6:7], v6
.LBB169_1608:
	s_mov_b64 s[0:1], 0
.LBB169_1609:
	s_andn2_b64 vcc, exec, s[0:1]
	s_cbranch_vccnz .LBB169_1611
; %bb.1610:
	global_load_sshort v6, v[4:5], off
	s_waitcnt vmcnt(0)
	v_cvt_f64_i32_e32 v[6:7], v6
.LBB169_1611:
	s_mov_b64 s[0:1], 0
.LBB169_1612:
	s_andn2_b64 vcc, exec, s[0:1]
	s_cbranch_vccnz .LBB169_1618
; %bb.1613:
	s_cmp_gt_i32 s2, 0
	s_cbranch_scc0 .LBB169_1615
; %bb.1614:
	global_load_sbyte v6, v[4:5], off
	s_mov_b64 s[0:1], 0
	s_waitcnt vmcnt(0)
	v_cvt_f64_i32_e32 v[6:7], v6
	s_branch .LBB169_1616
.LBB169_1615:
	s_mov_b64 s[0:1], -1
                                        ; implicit-def: $vgpr6_vgpr7
.LBB169_1616:
	s_andn2_b64 vcc, exec, s[0:1]
	s_cbranch_vccnz .LBB169_1618
; %bb.1617:
	global_load_ubyte v4, v[4:5], off
	s_waitcnt vmcnt(0)
	v_cvt_f64_u32_e32 v[6:7], v4
.LBB169_1618:
	s_waitcnt vmcnt(0)
	v_mov_b64_e32 v[8:9], 0
.LBB169_1619:
	s_waitcnt vmcnt(0)
	v_cmp_neq_f64_e32 vcc, 0, v[6:7]
	v_cmp_neq_f64_e64 s[0:1], 0, v[8:9]
	v_mov_b64_e32 v[12:13], 0
	s_or_b64 s[0:1], vcc, s[0:1]
	s_and_saveexec_b64 s[10:11], s[0:1]
	s_cbranch_execz .LBB169_1649
; %bb.1620:
	v_mov_b32_e32 v12, 0
	v_mov_b32_e32 v13, 0x7ff00000
	v_cmp_neq_f64_e64 s[0:1], |v[8:9]|, v[12:13]
	s_and_saveexec_b64 s[12:13], s[0:1]
	s_cbranch_execz .LBB169_1648
; %bb.1621:
	v_cmp_o_f64_e32 vcc, v[6:7], v[6:7]
                                        ; implicit-def: $vgpr12_vgpr13
	s_and_saveexec_b64 s[0:1], vcc
	s_xor_b64 s[14:15], exec, s[0:1]
	s_cbranch_execz .LBB169_1645
; %bb.1622:
	s_mov_b32 s0, 0
	s_mov_b32 s1, 0x7ff00000
	v_cmp_neq_f64_e64 s[0:1], |v[6:7]|, s[0:1]
                                        ; implicit-def: $vgpr12_vgpr13
	s_and_saveexec_b64 s[2:3], s[0:1]
	s_xor_b64 s[16:17], exec, s[2:3]
	s_cbranch_execz .LBB169_1638
; %bb.1623:
	v_max_f64 v[4:5], |v[8:9]|, |v[8:9]|
	v_max_f64 v[12:13], |v[6:7]|, |v[6:7]|
	s_mov_b32 s0, 0x99fcef32
	v_max_f64 v[4:5], v[12:13], v[4:5]
	s_mov_b32 s1, 0x7fda8279
	v_cmp_nle_f64_e64 s[0:1], s[0:1], v[4:5]
                                        ; implicit-def: $sgpr18_sgpr19
	s_and_saveexec_b64 s[2:3], s[0:1]
	s_xor_b64 s[2:3], exec, s[2:3]
	s_cbranch_execz .LBB169_1627
; %bb.1624:
	s_mov_b32 s18, 0
	s_mov_b32 s19, 0x200000
	v_cmp_le_f64_e64 s[20:21], |v[6:7]|, s[18:19]
	v_cmp_le_f64_e64 s[18:19], |v[8:9]|, s[18:19]
	s_and_b64 s[28:29], s[20:21], s[18:19]
	s_mov_b64 s[18:19], 0
	s_and_saveexec_b64 s[20:21], s[28:29]
; %bb.1625:
	s_mov_b64 s[18:19], exec
	v_mul_f64 v[8:9], v[8:9], 4.0
	v_mul_f64 v[6:7], v[6:7], 4.0
; %bb.1626:
	s_or_b64 exec, exec, s[20:21]
.LBB169_1627:
	s_andn2_saveexec_b64 s[2:3], s[2:3]
; %bb.1628:
	v_ldexp_f64 v[6:7], v[6:7], -2
	v_ldexp_f64 v[8:9], v[8:9], -2
	s_andn2_b64 s[18:19], s[18:19], exec
; %bb.1629:
	s_or_b64 exec, exec, s[2:3]
	v_max_f64 v[4:5], |v[8:9]|, |v[8:9]|
	v_max_f64 v[12:13], |v[6:7]|, |v[6:7]|
	v_max_f64 v[4:5], v[12:13], v[4:5]
	v_frexp_exp_i32_f64_e32 v11, v[4:5]
	v_sub_u32_e32 v12, 0, v11
	v_ldexp_f64 v[4:5], |v[6:7]|, v12
	v_ldexp_f64 v[12:13], |v[8:9]|, v12
	v_mul_f64 v[12:13], v[12:13], v[12:13]
	v_fmac_f64_e32 v[12:13], v[4:5], v[4:5]
	v_rsq_f64_e32 v[4:5], v[12:13]
	v_cmp_eq_f64_e64 s[2:3], 0, v[12:13]
	s_movk_i32 s20, 0x204
	v_cmp_le_f64_e32 vcc, 0, v[6:7]
	v_mul_f64 v[16:17], v[12:13], v[4:5]
	v_mul_f64 v[4:5], v[4:5], 0.5
	v_fma_f64 v[26:27], -v[4:5], v[16:17], 0.5
	v_fmac_f64_e32 v[16:17], v[16:17], v[26:27]
	v_fmac_f64_e32 v[4:5], v[4:5], v[26:27]
	v_fma_f64 v[26:27], -v[16:17], v[16:17], v[12:13]
	v_fmac_f64_e32 v[16:17], v[26:27], v[4:5]
	v_cndmask_b32_e64 v5, v17, v13, s[2:3]
	v_cndmask_b32_e64 v4, v16, v12, s[2:3]
	v_ldexp_f64 v[4:5], v[4:5], v11
	v_cmp_o_f64_e64 s[2:3], v[8:9], v[8:9]
	v_mov_b32_e32 v11, 0x7ff80000
                                        ; implicit-def: $vgpr16_vgpr17
	s_nop 0
	v_cndmask_b32_e64 v4, 0, v4, s[2:3]
	v_cndmask_b32_e64 v5, v11, v5, s[2:3]
	v_cmp_class_f64_e64 s[2:3], v[6:7], s20
	v_cmp_class_f64_e64 s[20:21], v[8:9], s20
	v_mov_b32_e32 v11, 0x7ff00000
	s_or_b64 s[2:3], s[20:21], s[2:3]
	v_cndmask_b32_e64 v13, v5, v11, s[2:3]
	v_cndmask_b32_e64 v12, v4, 0, s[2:3]
                                        ; implicit-def: $vgpr4_vgpr5
	s_and_saveexec_b64 s[2:3], vcc
	s_xor_b64 s[2:3], exec, s[2:3]
	s_cbranch_execz .LBB169_1631
; %bb.1630:
	v_add_f64 v[4:5], v[6:7], v[12:13]
	s_mov_b32 s20, 0
	v_mul_f64 v[4:5], v[4:5], 0.5
	s_brev_b32 s21, 8
	v_mov_b32_e32 v6, 0x100
	v_cmp_gt_f64_e32 vcc, s[20:21], v[4:5]
	v_mov_b32_e32 v11, 0x260
	s_nop 0
	v_cndmask_b32_e32 v6, 0, v6, vcc
	v_ldexp_f64 v[4:5], v[4:5], v6
	v_rsq_f64_e32 v[6:7], v[4:5]
	s_nop 0
	v_mul_f64 v[12:13], v[4:5], v[6:7]
	v_mul_f64 v[6:7], v[6:7], 0.5
	v_fma_f64 v[16:17], -v[6:7], v[12:13], 0.5
	v_fmac_f64_e32 v[12:13], v[12:13], v[16:17]
	v_fma_f64 v[26:27], -v[12:13], v[12:13], v[4:5]
	v_fmac_f64_e32 v[6:7], v[6:7], v[16:17]
	v_fmac_f64_e32 v[12:13], v[26:27], v[6:7]
	v_fma_f64 v[16:17], -v[12:13], v[12:13], v[4:5]
	v_fmac_f64_e32 v[12:13], v[16:17], v[6:7]
	v_mov_b32_e32 v6, 0xffffff80
	v_cndmask_b32_e32 v6, 0, v6, vcc
	v_ldexp_f64 v[6:7], v[12:13], v6
	v_cmp_class_f64_e32 vcc, v[4:5], v11
	s_nop 1
	v_cndmask_b32_e32 v17, v7, v5, vcc
	v_cndmask_b32_e32 v16, v6, v4, vcc
	v_add_f64 v[4:5], v[16:17], v[16:17]
	v_div_scale_f64 v[6:7], s[20:21], v[4:5], v[4:5], v[8:9]
	v_rcp_f64_e32 v[12:13], v[6:7]
	s_nop 0
	v_fma_f64 v[26:27], -v[6:7], v[12:13], 1.0
	v_fmac_f64_e32 v[12:13], v[12:13], v[26:27]
	v_fma_f64 v[26:27], -v[6:7], v[12:13], 1.0
	v_fmac_f64_e32 v[12:13], v[12:13], v[26:27]
	v_div_scale_f64 v[26:27], vcc, v[8:9], v[4:5], v[8:9]
	v_mul_f64 v[28:29], v[26:27], v[12:13]
	v_fma_f64 v[6:7], -v[6:7], v[28:29], v[26:27]
	s_nop 1
	v_div_fmas_f64 v[6:7], v[6:7], v[12:13], v[28:29]
	v_div_fixup_f64 v[4:5], v[6:7], v[4:5], v[8:9]
                                        ; implicit-def: $vgpr12_vgpr13
                                        ; implicit-def: $vgpr6_vgpr7
	s_andn2_saveexec_b64 s[2:3], s[2:3]
	s_cbranch_execz .LBB169_1633
	s_branch .LBB169_1632
.LBB169_1631:
	s_andn2_saveexec_b64 s[2:3], s[2:3]
	s_cbranch_execz .LBB169_1633
.LBB169_1632:
	v_add_f64 v[4:5], v[12:13], -v[6:7]
	s_mov_b32 s20, 0
	v_mul_f64 v[4:5], v[4:5], 0.5
	s_brev_b32 s21, 8
	v_mov_b32_e32 v6, 0x100
	v_cmp_gt_f64_e32 vcc, s[20:21], v[4:5]
	v_mov_b32_e32 v11, 0x260
	s_nop 0
	v_cndmask_b32_e32 v6, 0, v6, vcc
	v_ldexp_f64 v[4:5], v[4:5], v6
	v_rsq_f64_e32 v[6:7], v[4:5]
	s_nop 0
	v_mul_f64 v[12:13], v[4:5], v[6:7]
	v_mul_f64 v[6:7], v[6:7], 0.5
	v_fma_f64 v[16:17], -v[6:7], v[12:13], 0.5
	v_fmac_f64_e32 v[12:13], v[12:13], v[16:17]
	v_fma_f64 v[26:27], -v[12:13], v[12:13], v[4:5]
	v_fmac_f64_e32 v[6:7], v[6:7], v[16:17]
	v_fmac_f64_e32 v[12:13], v[26:27], v[6:7]
	v_fma_f64 v[16:17], -v[12:13], v[12:13], v[4:5]
	v_fmac_f64_e32 v[12:13], v[16:17], v[6:7]
	v_mov_b32_e32 v6, 0xffffff80
	v_cndmask_b32_e32 v6, 0, v6, vcc
	v_ldexp_f64 v[6:7], v[12:13], v6
	v_cmp_class_f64_e32 vcc, v[4:5], v11
	v_and_b32_e32 v13, 0x7fffffff, v9
	v_mov_b32_e32 v12, v8
	v_cndmask_b32_e32 v5, v7, v5, vcc
	v_cndmask_b32_e32 v4, v6, v4, vcc
	v_add_f64 v[6:7], v[4:5], v[4:5]
	v_div_scale_f64 v[16:17], s[20:21], v[6:7], v[6:7], v[12:13]
	v_rcp_f64_e32 v[26:27], v[16:17]
	v_div_scale_f64 v[12:13], vcc, v[12:13], v[6:7], v[12:13]
	s_brev_b32 s20, -2
	v_fma_f64 v[28:29], -v[16:17], v[26:27], 1.0
	v_fmac_f64_e32 v[26:27], v[26:27], v[28:29]
	v_fma_f64 v[28:29], -v[16:17], v[26:27], 1.0
	v_fmac_f64_e32 v[26:27], v[26:27], v[28:29]
	v_mul_f64 v[28:29], v[12:13], v[26:27]
	v_fma_f64 v[12:13], -v[16:17], v[28:29], v[12:13]
	v_div_fmas_f64 v[12:13], v[12:13], v[26:27], v[28:29]
	v_div_fixup_f64 v[16:17], v[12:13], v[6:7], |v[8:9]|
	v_bfi_b32 v5, s20, v5, v9
.LBB169_1633:
	s_or_b64 exec, exec, s[2:3]
                                        ; implicit-def: $vgpr8_vgpr9
                                        ; implicit-def: $vgpr12_vgpr13
	s_and_saveexec_b64 s[2:3], s[0:1]
	s_xor_b64 s[0:1], exec, s[2:3]
	s_cbranch_execz .LBB169_1635
; %bb.1634:
	v_mul_f64 v[6:7], v[16:17], 0.5
	v_mul_f64 v[8:9], v[4:5], 0.5
	v_cndmask_b32_e64 v13, v17, v7, s[18:19]
	v_cndmask_b32_e64 v12, v16, v6, s[18:19]
	;; [unrolled: 1-line block ×4, first 2 shown]
                                        ; implicit-def: $vgpr16_vgpr17
                                        ; implicit-def: $vgpr4_vgpr5
	s_andn2_saveexec_b64 s[0:1], s[0:1]
	s_cbranch_execnz .LBB169_1636
	s_branch .LBB169_1637
.LBB169_1635:
	s_andn2_saveexec_b64 s[0:1], s[0:1]
.LBB169_1636:
	v_add_f64 v[12:13], v[16:17], v[16:17]
	v_add_f64 v[8:9], v[4:5], v[4:5]
.LBB169_1637:
	s_or_b64 exec, exec, s[0:1]
.LBB169_1638:
	s_andn2_saveexec_b64 s[0:1], s[16:17]
	s_cbranch_execz .LBB169_1644
; %bb.1639:
	v_add_f64 v[4:5], v[8:9], -v[8:9]
	v_cmp_lt_i64_e32 vcc, -1, v[6:7]
	s_brev_b32 s16, -2
	v_and_b32_e32 v13, 0x7fffffff, v5
	v_mov_b32_e32 v12, v4
	s_and_saveexec_b64 s[2:3], vcc
	s_xor_b64 s[2:3], exec, s[2:3]
; %bb.1640:
	v_bfi_b32 v5, s16, v5, v9
	v_mov_b64_e32 v[8:9], v[4:5]
	v_mov_b64_e32 v[12:13], v[6:7]
; %bb.1641:
	s_andn2_saveexec_b64 s[2:3], s[2:3]
; %bb.1642:
	v_bfi_b32 v7, s16, v7, v9
	v_mov_b64_e32 v[8:9], v[6:7]
; %bb.1643:
	s_or_b64 exec, exec, s[2:3]
.LBB169_1644:
	s_or_b64 exec, exec, s[0:1]
.LBB169_1645:
	s_andn2_saveexec_b64 s[0:1], s[14:15]
	s_cbranch_execz .LBB169_1647
; %bb.1646:
	v_add_f64 v[4:5], v[8:9], -v[8:9]
	v_div_scale_f64 v[8:9], vcc, v[4:5], v[4:5], v[4:5]
	v_rcp_f64_e32 v[12:13], v[8:9]
	s_nop 0
	v_fma_f64 v[16:17], -v[8:9], v[12:13], 1.0
	v_fmac_f64_e32 v[12:13], v[12:13], v[16:17]
	v_fma_f64 v[16:17], -v[8:9], v[12:13], 1.0
	v_fmac_f64_e32 v[12:13], v[12:13], v[16:17]
	v_mul_f64 v[16:17], v[8:9], v[12:13]
	v_fma_f64 v[8:9], -v[8:9], v[16:17], v[8:9]
	v_div_fmas_f64 v[8:9], v[8:9], v[12:13], v[16:17]
	v_div_fixup_f64 v[8:9], v[8:9], v[4:5], v[4:5]
	v_mov_b64_e32 v[12:13], v[6:7]
.LBB169_1647:
	s_or_b64 exec, exec, s[0:1]
.LBB169_1648:
	s_or_b64 exec, exec, s[12:13]
.LBB169_1649:
	s_or_b64 exec, exec, s[10:11]
	v_xor_b32_e32 v4, 0x80000000, v13
	v_cmp_gt_f64_e32 vcc, 0, v[12:13]
	v_mov_b32_e32 v26, v12
	v_mov_b32_e32 v16, v8
	v_cndmask_b32_e32 v27, v13, v4, vcc
	v_xor_b32_e32 v4, 0x80000000, v9
	v_cmp_gt_f64_e32 vcc, 0, v[8:9]
	s_nop 1
	v_cndmask_b32_e32 v17, v9, v4, vcc
	v_cmp_ge_f64_e32 vcc, v[26:27], v[16:17]
                                        ; implicit-def: $vgpr6_vgpr7
	s_and_saveexec_b64 s[0:1], vcc
	s_xor_b64 s[2:3], exec, s[0:1]
	s_cbranch_execz .LBB169_1655
; %bb.1650:
	v_cmp_neq_f64_e32 vcc, 0, v[12:13]
	v_cmp_neq_f64_e64 s[0:1], 0, v[8:9]
	s_or_b64 s[0:1], vcc, s[0:1]
                                        ; implicit-def: $vgpr6_vgpr7
	s_and_saveexec_b64 s[10:11], s[0:1]
	s_xor_b64 s[0:1], exec, s[10:11]
	s_cbranch_execz .LBB169_1652
; %bb.1651:
	v_div_scale_f64 v[4:5], s[10:11], v[12:13], v[12:13], v[8:9]
	v_rcp_f64_e32 v[6:7], v[4:5]
	v_div_scale_f64 v[16:17], vcc, v[8:9], v[12:13], v[8:9]
	v_fma_f64 v[26:27], -v[4:5], v[6:7], 1.0
	v_fmac_f64_e32 v[6:7], v[6:7], v[26:27]
	v_fma_f64 v[26:27], -v[4:5], v[6:7], 1.0
	v_fmac_f64_e32 v[6:7], v[6:7], v[26:27]
	v_mul_f64 v[26:27], v[16:17], v[6:7]
	v_fma_f64 v[4:5], -v[4:5], v[26:27], v[16:17]
	v_div_fmas_f64 v[4:5], v[4:5], v[6:7], v[26:27]
	v_div_fixup_f64 v[6:7], v[4:5], v[12:13], v[8:9]
	v_fmac_f64_e32 v[12:13], v[8:9], v[6:7]
	v_div_scale_f64 v[4:5], s[10:11], v[12:13], v[12:13], 1.0
	v_rcp_f64_e32 v[8:9], v[4:5]
	s_nop 0
	v_fma_f64 v[16:17], -v[4:5], v[8:9], 1.0
	v_fmac_f64_e32 v[8:9], v[8:9], v[16:17]
	v_fma_f64 v[16:17], -v[4:5], v[8:9], 1.0
	v_fmac_f64_e32 v[8:9], v[8:9], v[16:17]
	v_div_scale_f64 v[16:17], vcc, 1.0, v[12:13], 1.0
	v_mul_f64 v[26:27], v[16:17], v[8:9]
	v_fma_f64 v[4:5], -v[4:5], v[26:27], v[16:17]
                                        ; implicit-def: $vgpr16_vgpr17
	s_nop 1
	v_div_fmas_f64 v[4:5], v[4:5], v[8:9], v[26:27]
	v_div_fixup_f64 v[8:9], v[4:5], v[12:13], 1.0
	v_fma_f64 v[4:5], v[6:7], 0, 1.0
	v_add_f64 v[6:7], -v[6:7], 0
	v_mul_f64 v[4:5], v[4:5], v[8:9]
	v_mul_f64 v[6:7], v[6:7], v[8:9]
                                        ; implicit-def: $vgpr26_vgpr27
.LBB169_1652:
	s_andn2_saveexec_b64 s[0:1], s[0:1]
	s_cbranch_execz .LBB169_1654
; %bb.1653:
	v_div_scale_f64 v[4:5], s[10:11], v[26:27], v[26:27], 1.0
	v_rcp_f64_e32 v[6:7], v[4:5]
	v_div_scale_f64 v[8:9], vcc, 1.0, v[26:27], 1.0
	v_fma_f64 v[12:13], -v[4:5], v[6:7], 1.0
	v_fmac_f64_e32 v[6:7], v[6:7], v[12:13]
	v_fma_f64 v[12:13], -v[4:5], v[6:7], 1.0
	v_fmac_f64_e32 v[6:7], v[6:7], v[12:13]
	v_mul_f64 v[12:13], v[8:9], v[6:7]
	v_fma_f64 v[4:5], -v[4:5], v[12:13], v[8:9]
	v_div_scale_f64 v[8:9], s[10:11], v[16:17], v[16:17], 0
	v_rcp_f64_e32 v[28:29], v[8:9]
	v_div_fmas_f64 v[4:5], v[4:5], v[6:7], v[12:13]
	v_div_fixup_f64 v[4:5], v[4:5], v[26:27], 1.0
	v_fma_f64 v[6:7], -v[8:9], v[28:29], 1.0
	v_fmac_f64_e32 v[28:29], v[28:29], v[6:7]
	v_fma_f64 v[6:7], -v[8:9], v[28:29], 1.0
	v_fmac_f64_e32 v[28:29], v[28:29], v[6:7]
	v_div_scale_f64 v[6:7], vcc, 0, v[16:17], 0
	v_mul_f64 v[12:13], v[6:7], v[28:29]
	v_fma_f64 v[6:7], -v[8:9], v[12:13], v[6:7]
	s_nop 1
	v_div_fmas_f64 v[6:7], v[6:7], v[28:29], v[12:13]
	v_div_fixup_f64 v[6:7], v[6:7], v[16:17], 0
.LBB169_1654:
	s_or_b64 exec, exec, s[0:1]
                                        ; implicit-def: $vgpr8_vgpr9
                                        ; implicit-def: $vgpr12_vgpr13
.LBB169_1655:
	s_andn2_saveexec_b64 s[0:1], s[2:3]
	s_cbranch_execz .LBB169_1657
; %bb.1656:
	v_div_scale_f64 v[4:5], s[2:3], v[8:9], v[8:9], v[12:13]
	v_rcp_f64_e32 v[6:7], v[4:5]
	v_div_scale_f64 v[16:17], vcc, v[12:13], v[8:9], v[12:13]
	v_fma_f64 v[26:27], -v[4:5], v[6:7], 1.0
	v_fmac_f64_e32 v[6:7], v[6:7], v[26:27]
	v_fma_f64 v[26:27], -v[4:5], v[6:7], 1.0
	v_fmac_f64_e32 v[6:7], v[6:7], v[26:27]
	v_mul_f64 v[26:27], v[16:17], v[6:7]
	v_fma_f64 v[4:5], -v[4:5], v[26:27], v[16:17]
	v_div_fmas_f64 v[4:5], v[4:5], v[6:7], v[26:27]
	v_div_fixup_f64 v[6:7], v[4:5], v[8:9], v[12:13]
	v_fmac_f64_e32 v[8:9], v[12:13], v[6:7]
	v_div_scale_f64 v[4:5], s[2:3], v[8:9], v[8:9], 1.0
	v_rcp_f64_e32 v[12:13], v[4:5]
	s_nop 0
	v_fma_f64 v[16:17], -v[4:5], v[12:13], 1.0
	v_fmac_f64_e32 v[12:13], v[12:13], v[16:17]
	v_fma_f64 v[16:17], -v[4:5], v[12:13], 1.0
	v_fmac_f64_e32 v[12:13], v[12:13], v[16:17]
	v_div_scale_f64 v[16:17], vcc, 1.0, v[8:9], 1.0
	v_mul_f64 v[26:27], v[16:17], v[12:13]
	v_fma_f64 v[4:5], -v[4:5], v[26:27], v[16:17]
	s_nop 1
	v_div_fmas_f64 v[4:5], v[4:5], v[12:13], v[26:27]
	v_div_fixup_f64 v[8:9], v[4:5], v[8:9], 1.0
	v_add_f64 v[4:5], v[6:7], 0
	v_fma_f64 v[6:7], v[6:7], 0, -1.0
	v_mul_f64 v[4:5], v[4:5], v[8:9]
	v_mul_f64 v[6:7], v[6:7], v[8:9]
.LBB169_1657:
	s_or_b64 exec, exec, s[0:1]
	v_mov_b32_e32 v11, 0
	s_cmp_lt_i32 s23, 11
	v_lshl_add_u64 v[8:9], s[6:7], 0, v[10:11]
	s_cbranch_scc1 .LBB169_1664
; %bb.1658:
	s_and_b32 s16, 0xffff, s23
	s_cmp_gt_i32 s16, 25
	s_mov_b64 s[2:3], 0
	s_cbranch_scc0 .LBB169_1666
; %bb.1659:
	s_cmp_gt_i32 s16, 28
	s_cbranch_scc0 .LBB169_1677
; %bb.1660:
	s_cmp_gt_i32 s16, 43
	s_cbranch_scc0 .LBB169_1679
; %bb.1661:
	s_cmp_gt_i32 s16, 45
	s_cbranch_scc0 .LBB169_1682
; %bb.1662:
	s_cmp_eq_u32 s16, 46
	s_mov_b64 s[12:13], 0
	s_cbranch_scc0 .LBB169_1774
; %bb.1663:
	global_load_dword v10, v[8:9], off
	s_mov_b64 s[0:1], 0
	s_mov_b64 s[10:11], -1
	s_waitcnt vmcnt(0)
	v_and_b32_e32 v12, 0xffff0000, v10
	v_lshlrev_b32_e32 v10, 16, v10
	v_cvt_f64_f32_e32 v[10:11], v10
	v_cvt_f64_f32_e32 v[12:13], v12
	s_branch .LBB169_1775
.LBB169_1664:
	s_mov_b64 s[10:11], 0
                                        ; implicit-def: $vgpr12_vgpr13
	s_cbranch_execnz .LBB169_1671
.LBB169_1665:
	s_andn2_b64 vcc, exec, s[10:11]
	s_cbranch_vccnz .LBB169_1976
	s_branch .LBB169_1725
.LBB169_1666:
	s_mov_b64 s[10:11], 0
	s_mov_b64 s[0:1], 0
                                        ; implicit-def: $vgpr12_vgpr13
	s_cbranch_execnz .LBB169_1809
.LBB169_1667:
	s_and_b64 vcc, exec, s[0:1]
	s_cbranch_vccnz .LBB169_1840
.LBB169_1668:
	s_andn2_b64 vcc, exec, s[2:3]
	s_cbranch_vccnz .LBB169_1670
.LBB169_1669:
	global_load_ubyte v11, v[8:9], off
	v_mov_b32_e32 v12, 0x3ff00000
	v_mov_b32_e32 v10, 0
	s_mov_b64 s[10:11], -1
	s_waitcnt vmcnt(0)
	v_cmp_ne_u16_e32 vcc, 0, v11
	s_nop 1
	v_cndmask_b32_e32 v11, 0, v12, vcc
	v_mov_b64_e32 v[12:13], 0
.LBB169_1670:
	s_branch .LBB169_1665
.LBB169_1671:
	s_and_b32 s2, 0xffff, s23
	s_cmp_lt_i32 s2, 5
	s_cbranch_scc1 .LBB169_1676
; %bb.1672:
	s_cmp_lt_i32 s2, 8
	s_cbranch_scc1 .LBB169_1678
; %bb.1673:
	;; [unrolled: 3-line block ×3, first 2 shown]
	s_cmp_gt_i32 s2, 9
	s_cbranch_scc0 .LBB169_1683
; %bb.1675:
	global_load_dwordx4 v[10:13], v[8:9], off
	s_mov_b64 s[0:1], 0
	s_branch .LBB169_1684
.LBB169_1676:
	s_mov_b64 s[0:1], -1
                                        ; implicit-def: $vgpr12_vgpr13
	s_branch .LBB169_1703
.LBB169_1677:
	s_mov_b64 s[12:13], -1
	s_mov_b64 s[10:11], 0
	s_mov_b64 s[0:1], 0
                                        ; implicit-def: $vgpr12_vgpr13
	s_branch .LBB169_1788
.LBB169_1678:
	s_mov_b64 s[0:1], -1
                                        ; implicit-def: $vgpr12_vgpr13
	s_branch .LBB169_1690
.LBB169_1679:
	s_mov_b64 s[12:13], -1
	s_mov_b64 s[10:11], 0
	s_mov_b64 s[0:1], 0
                                        ; implicit-def: $vgpr12_vgpr13
	s_branch .LBB169_1782
.LBB169_1680:
	s_mov_b64 s[0:1], -1
                                        ; implicit-def: $vgpr12_vgpr13
	s_branch .LBB169_1687
.LBB169_1681:
	s_trap 2
	s_or_b64 s[8:9], s[8:9], exec
	s_cbranch_execz .LBB169_1568
	s_branch .LBB169_1569
.LBB169_1682:
	s_mov_b64 s[12:13], -1
	s_mov_b64 s[10:11], 0
	s_mov_b64 s[0:1], 0
                                        ; implicit-def: $vgpr12_vgpr13
	s_branch .LBB169_1775
.LBB169_1683:
	s_mov_b64 s[0:1], -1
                                        ; implicit-def: $vgpr12_vgpr13
.LBB169_1684:
	s_andn2_b64 vcc, exec, s[0:1]
	s_cbranch_vccnz .LBB169_1686
; %bb.1685:
	global_load_dwordx2 v[12:13], v[8:9], off
	s_waitcnt vmcnt(0)
	v_cvt_f64_f32_e32 v[10:11], v12
	v_cvt_f64_f32_e32 v[12:13], v13
.LBB169_1686:
	s_mov_b64 s[0:1], 0
.LBB169_1687:
	s_andn2_b64 vcc, exec, s[0:1]
	s_cbranch_vccnz .LBB169_1689
; %bb.1688:
	global_load_dword v10, v[8:9], off
	s_waitcnt vmcnt(0)
	v_cvt_f32_f16_e32 v11, v10
	v_cvt_f32_f16_sdwa v12, v10 dst_sel:DWORD dst_unused:UNUSED_PAD src0_sel:WORD_1
	v_cvt_f64_f32_e32 v[10:11], v11
	v_cvt_f64_f32_e32 v[12:13], v12
.LBB169_1689:
	s_mov_b64 s[0:1], 0
.LBB169_1690:
	s_andn2_b64 vcc, exec, s[0:1]
	s_cbranch_vccnz .LBB169_1702
; %bb.1691:
	s_cmp_lt_i32 s2, 6
	s_cbranch_scc1 .LBB169_1694
; %bb.1692:
	s_cmp_gt_i32 s2, 6
	s_cbranch_scc0 .LBB169_1695
; %bb.1693:
	global_load_dwordx2 v[10:11], v[8:9], off
	s_mov_b64 s[0:1], 0
	s_branch .LBB169_1696
.LBB169_1694:
	s_mov_b64 s[0:1], -1
                                        ; implicit-def: $vgpr10_vgpr11
	s_branch .LBB169_1699
.LBB169_1695:
	s_mov_b64 s[0:1], -1
                                        ; implicit-def: $vgpr10_vgpr11
.LBB169_1696:
	s_andn2_b64 vcc, exec, s[0:1]
	s_cbranch_vccnz .LBB169_1698
; %bb.1697:
	global_load_dword v10, v[8:9], off
	s_waitcnt vmcnt(0)
	v_cvt_f64_f32_e32 v[10:11], v10
.LBB169_1698:
	s_mov_b64 s[0:1], 0
.LBB169_1699:
	s_andn2_b64 vcc, exec, s[0:1]
	s_cbranch_vccnz .LBB169_1701
; %bb.1700:
	global_load_ushort v10, v[8:9], off
	s_waitcnt vmcnt(0)
	v_cvt_f32_f16_e32 v10, v10
	v_cvt_f64_f32_e32 v[10:11], v10
.LBB169_1701:
	s_waitcnt vmcnt(0)
	v_mov_b64_e32 v[12:13], 0
.LBB169_1702:
	s_mov_b64 s[0:1], 0
.LBB169_1703:
	s_andn2_b64 vcc, exec, s[0:1]
	s_cbranch_vccnz .LBB169_1724
; %bb.1704:
	s_cmp_lt_i32 s2, 2
	s_cbranch_scc1 .LBB169_1708
; %bb.1705:
	s_cmp_lt_i32 s2, 3
	s_cbranch_scc1 .LBB169_1709
; %bb.1706:
	s_cmp_gt_i32 s2, 3
	s_cbranch_scc0 .LBB169_1710
; %bb.1707:
	global_load_dwordx2 v[10:11], v[8:9], off
	s_mov_b64 s[0:1], 0
	s_waitcnt vmcnt(0)
	v_cvt_f64_i32_e32 v[12:13], v11
	v_cvt_f64_u32_e32 v[10:11], v10
	v_ldexp_f64 v[12:13], v[12:13], 32
	v_add_f64 v[10:11], v[12:13], v[10:11]
	s_branch .LBB169_1711
.LBB169_1708:
	s_mov_b64 s[0:1], -1
                                        ; implicit-def: $vgpr10_vgpr11
	s_branch .LBB169_1717
.LBB169_1709:
	s_mov_b64 s[0:1], -1
                                        ; implicit-def: $vgpr10_vgpr11
	s_branch .LBB169_1714
.LBB169_1710:
	s_mov_b64 s[0:1], -1
                                        ; implicit-def: $vgpr10_vgpr11
.LBB169_1711:
	s_andn2_b64 vcc, exec, s[0:1]
	s_cbranch_vccnz .LBB169_1713
; %bb.1712:
	global_load_dword v10, v[8:9], off
	s_waitcnt vmcnt(0)
	v_cvt_f64_i32_e32 v[10:11], v10
.LBB169_1713:
	s_mov_b64 s[0:1], 0
.LBB169_1714:
	s_andn2_b64 vcc, exec, s[0:1]
	s_cbranch_vccnz .LBB169_1716
; %bb.1715:
	global_load_sshort v10, v[8:9], off
	s_waitcnt vmcnt(0)
	v_cvt_f64_i32_e32 v[10:11], v10
.LBB169_1716:
	s_mov_b64 s[0:1], 0
.LBB169_1717:
	s_andn2_b64 vcc, exec, s[0:1]
	s_cbranch_vccnz .LBB169_1723
; %bb.1718:
	s_cmp_gt_i32 s2, 0
	s_cbranch_scc0 .LBB169_1720
; %bb.1719:
	global_load_sbyte v10, v[8:9], off
	s_mov_b64 s[0:1], 0
	s_waitcnt vmcnt(0)
	v_cvt_f64_i32_e32 v[10:11], v10
	s_branch .LBB169_1721
.LBB169_1720:
	s_mov_b64 s[0:1], -1
                                        ; implicit-def: $vgpr10_vgpr11
.LBB169_1721:
	s_andn2_b64 vcc, exec, s[0:1]
	s_cbranch_vccnz .LBB169_1723
; %bb.1722:
	global_load_ubyte v8, v[8:9], off
	s_waitcnt vmcnt(0)
	v_cvt_f64_u32_e32 v[10:11], v8
.LBB169_1723:
	s_waitcnt vmcnt(0)
	v_mov_b64_e32 v[12:13], 0
.LBB169_1724:
.LBB169_1725:
	s_waitcnt vmcnt(0)
	v_cmp_neq_f64_e32 vcc, 0, v[10:11]
	v_cmp_neq_f64_e64 s[0:1], 0, v[12:13]
	v_mov_b64_e32 v[16:17], 0
	s_or_b64 s[0:1], vcc, s[0:1]
	s_and_saveexec_b64 s[10:11], s[0:1]
	s_cbranch_execz .LBB169_1755
; %bb.1726:
	v_mov_b32_e32 v16, 0
	v_mov_b32_e32 v17, 0x7ff00000
	v_cmp_neq_f64_e64 s[0:1], |v[12:13]|, v[16:17]
	s_and_saveexec_b64 s[12:13], s[0:1]
	s_cbranch_execz .LBB169_1754
; %bb.1727:
	v_cmp_o_f64_e32 vcc, v[10:11], v[10:11]
                                        ; implicit-def: $vgpr16_vgpr17
	s_and_saveexec_b64 s[0:1], vcc
	s_xor_b64 s[14:15], exec, s[0:1]
	s_cbranch_execz .LBB169_1751
; %bb.1728:
	s_mov_b32 s0, 0
	s_mov_b32 s1, 0x7ff00000
	v_cmp_neq_f64_e64 s[0:1], |v[10:11]|, s[0:1]
                                        ; implicit-def: $vgpr16_vgpr17
	s_and_saveexec_b64 s[2:3], s[0:1]
	s_xor_b64 s[16:17], exec, s[2:3]
	s_cbranch_execz .LBB169_1744
; %bb.1729:
	v_max_f64 v[8:9], |v[12:13]|, |v[12:13]|
	v_max_f64 v[16:17], |v[10:11]|, |v[10:11]|
	s_mov_b32 s0, 0x99fcef32
	v_max_f64 v[8:9], v[16:17], v[8:9]
	s_mov_b32 s1, 0x7fda8279
	v_cmp_nle_f64_e64 s[0:1], s[0:1], v[8:9]
                                        ; implicit-def: $sgpr18_sgpr19
	s_and_saveexec_b64 s[2:3], s[0:1]
	s_xor_b64 s[2:3], exec, s[2:3]
	s_cbranch_execz .LBB169_1733
; %bb.1730:
	s_mov_b32 s18, 0
	s_mov_b32 s19, 0x200000
	v_cmp_le_f64_e64 s[20:21], |v[10:11]|, s[18:19]
	v_cmp_le_f64_e64 s[18:19], |v[12:13]|, s[18:19]
	s_and_b64 s[28:29], s[20:21], s[18:19]
	s_mov_b64 s[18:19], 0
	s_and_saveexec_b64 s[20:21], s[28:29]
; %bb.1731:
	s_mov_b64 s[18:19], exec
	v_mul_f64 v[12:13], v[12:13], 4.0
	v_mul_f64 v[10:11], v[10:11], 4.0
; %bb.1732:
	s_or_b64 exec, exec, s[20:21]
.LBB169_1733:
	s_andn2_saveexec_b64 s[2:3], s[2:3]
; %bb.1734:
	v_ldexp_f64 v[10:11], v[10:11], -2
	v_ldexp_f64 v[12:13], v[12:13], -2
	s_andn2_b64 s[18:19], s[18:19], exec
; %bb.1735:
	s_or_b64 exec, exec, s[2:3]
	v_max_f64 v[8:9], |v[12:13]|, |v[12:13]|
	v_max_f64 v[16:17], |v[10:11]|, |v[10:11]|
	v_max_f64 v[8:9], v[16:17], v[8:9]
	v_frexp_exp_i32_f64_e32 v15, v[8:9]
	v_sub_u32_e32 v16, 0, v15
	v_ldexp_f64 v[8:9], |v[10:11]|, v16
	v_ldexp_f64 v[16:17], |v[12:13]|, v16
	v_mul_f64 v[16:17], v[16:17], v[16:17]
	v_fmac_f64_e32 v[16:17], v[8:9], v[8:9]
	v_rsq_f64_e32 v[8:9], v[16:17]
	v_cmp_eq_f64_e64 s[2:3], 0, v[16:17]
	s_movk_i32 s20, 0x204
	v_cmp_le_f64_e32 vcc, 0, v[10:11]
	v_mul_f64 v[26:27], v[16:17], v[8:9]
	v_mul_f64 v[8:9], v[8:9], 0.5
	v_fma_f64 v[28:29], -v[8:9], v[26:27], 0.5
	v_fmac_f64_e32 v[26:27], v[26:27], v[28:29]
	v_fmac_f64_e32 v[8:9], v[8:9], v[28:29]
	v_fma_f64 v[28:29], -v[26:27], v[26:27], v[16:17]
	v_fmac_f64_e32 v[26:27], v[28:29], v[8:9]
	v_cndmask_b32_e64 v9, v27, v17, s[2:3]
	v_cndmask_b32_e64 v8, v26, v16, s[2:3]
	v_ldexp_f64 v[8:9], v[8:9], v15
	v_cmp_o_f64_e64 s[2:3], v[12:13], v[12:13]
	v_mov_b32_e32 v15, 0x7ff80000
                                        ; implicit-def: $vgpr26_vgpr27
	s_nop 0
	v_cndmask_b32_e64 v8, 0, v8, s[2:3]
	v_cndmask_b32_e64 v9, v15, v9, s[2:3]
	v_cmp_class_f64_e64 s[2:3], v[10:11], s20
	v_cmp_class_f64_e64 s[20:21], v[12:13], s20
	v_mov_b32_e32 v15, 0x7ff00000
	s_or_b64 s[2:3], s[20:21], s[2:3]
	v_cndmask_b32_e64 v17, v9, v15, s[2:3]
	v_cndmask_b32_e64 v16, v8, 0, s[2:3]
                                        ; implicit-def: $vgpr8_vgpr9
	s_and_saveexec_b64 s[2:3], vcc
	s_xor_b64 s[2:3], exec, s[2:3]
	s_cbranch_execz .LBB169_1737
; %bb.1736:
	v_add_f64 v[8:9], v[10:11], v[16:17]
	s_mov_b32 s20, 0
	v_mul_f64 v[8:9], v[8:9], 0.5
	s_brev_b32 s21, 8
	v_mov_b32_e32 v10, 0x100
	v_cmp_gt_f64_e32 vcc, s[20:21], v[8:9]
	v_mov_b32_e32 v15, 0x260
	s_nop 0
	v_cndmask_b32_e32 v10, 0, v10, vcc
	v_ldexp_f64 v[8:9], v[8:9], v10
	v_rsq_f64_e32 v[10:11], v[8:9]
	s_nop 0
	v_mul_f64 v[16:17], v[8:9], v[10:11]
	v_mul_f64 v[10:11], v[10:11], 0.5
	v_fma_f64 v[26:27], -v[10:11], v[16:17], 0.5
	v_fmac_f64_e32 v[16:17], v[16:17], v[26:27]
	v_fma_f64 v[28:29], -v[16:17], v[16:17], v[8:9]
	v_fmac_f64_e32 v[10:11], v[10:11], v[26:27]
	v_fmac_f64_e32 v[16:17], v[28:29], v[10:11]
	v_fma_f64 v[26:27], -v[16:17], v[16:17], v[8:9]
	v_fmac_f64_e32 v[16:17], v[26:27], v[10:11]
	v_mov_b32_e32 v10, 0xffffff80
	v_cndmask_b32_e32 v10, 0, v10, vcc
	v_ldexp_f64 v[10:11], v[16:17], v10
	v_cmp_class_f64_e32 vcc, v[8:9], v15
	s_nop 1
	v_cndmask_b32_e32 v27, v11, v9, vcc
	v_cndmask_b32_e32 v26, v10, v8, vcc
	v_add_f64 v[8:9], v[26:27], v[26:27]
	v_div_scale_f64 v[10:11], s[20:21], v[8:9], v[8:9], v[12:13]
	v_rcp_f64_e32 v[16:17], v[10:11]
	s_nop 0
	v_fma_f64 v[28:29], -v[10:11], v[16:17], 1.0
	v_fmac_f64_e32 v[16:17], v[16:17], v[28:29]
	v_fma_f64 v[28:29], -v[10:11], v[16:17], 1.0
	v_fmac_f64_e32 v[16:17], v[16:17], v[28:29]
	v_div_scale_f64 v[28:29], vcc, v[12:13], v[8:9], v[12:13]
	v_mul_f64 v[30:31], v[28:29], v[16:17]
	v_fma_f64 v[10:11], -v[10:11], v[30:31], v[28:29]
	s_nop 1
	v_div_fmas_f64 v[10:11], v[10:11], v[16:17], v[30:31]
	v_div_fixup_f64 v[8:9], v[10:11], v[8:9], v[12:13]
                                        ; implicit-def: $vgpr16_vgpr17
                                        ; implicit-def: $vgpr10_vgpr11
	s_andn2_saveexec_b64 s[2:3], s[2:3]
	s_cbranch_execz .LBB169_1739
	s_branch .LBB169_1738
.LBB169_1737:
	s_andn2_saveexec_b64 s[2:3], s[2:3]
	s_cbranch_execz .LBB169_1739
.LBB169_1738:
	v_add_f64 v[8:9], v[16:17], -v[10:11]
	s_mov_b32 s20, 0
	v_mul_f64 v[8:9], v[8:9], 0.5
	s_brev_b32 s21, 8
	v_mov_b32_e32 v10, 0x100
	v_cmp_gt_f64_e32 vcc, s[20:21], v[8:9]
	v_mov_b32_e32 v15, 0x260
	s_nop 0
	v_cndmask_b32_e32 v10, 0, v10, vcc
	v_ldexp_f64 v[8:9], v[8:9], v10
	v_rsq_f64_e32 v[10:11], v[8:9]
	s_nop 0
	v_mul_f64 v[16:17], v[8:9], v[10:11]
	v_mul_f64 v[10:11], v[10:11], 0.5
	v_fma_f64 v[26:27], -v[10:11], v[16:17], 0.5
	v_fmac_f64_e32 v[16:17], v[16:17], v[26:27]
	v_fma_f64 v[28:29], -v[16:17], v[16:17], v[8:9]
	v_fmac_f64_e32 v[10:11], v[10:11], v[26:27]
	v_fmac_f64_e32 v[16:17], v[28:29], v[10:11]
	v_fma_f64 v[26:27], -v[16:17], v[16:17], v[8:9]
	v_fmac_f64_e32 v[16:17], v[26:27], v[10:11]
	v_mov_b32_e32 v10, 0xffffff80
	v_cndmask_b32_e32 v10, 0, v10, vcc
	v_ldexp_f64 v[10:11], v[16:17], v10
	v_cmp_class_f64_e32 vcc, v[8:9], v15
	v_and_b32_e32 v17, 0x7fffffff, v13
	v_mov_b32_e32 v16, v12
	v_cndmask_b32_e32 v9, v11, v9, vcc
	v_cndmask_b32_e32 v8, v10, v8, vcc
	v_add_f64 v[10:11], v[8:9], v[8:9]
	v_div_scale_f64 v[26:27], s[20:21], v[10:11], v[10:11], v[16:17]
	v_rcp_f64_e32 v[28:29], v[26:27]
	v_div_scale_f64 v[16:17], vcc, v[16:17], v[10:11], v[16:17]
	s_brev_b32 s20, -2
	v_fma_f64 v[30:31], -v[26:27], v[28:29], 1.0
	v_fmac_f64_e32 v[28:29], v[28:29], v[30:31]
	v_fma_f64 v[30:31], -v[26:27], v[28:29], 1.0
	v_fmac_f64_e32 v[28:29], v[28:29], v[30:31]
	v_mul_f64 v[30:31], v[16:17], v[28:29]
	v_fma_f64 v[16:17], -v[26:27], v[30:31], v[16:17]
	v_div_fmas_f64 v[16:17], v[16:17], v[28:29], v[30:31]
	v_div_fixup_f64 v[26:27], v[16:17], v[10:11], |v[12:13]|
	v_bfi_b32 v9, s20, v9, v13
.LBB169_1739:
	s_or_b64 exec, exec, s[2:3]
                                        ; implicit-def: $vgpr12_vgpr13
                                        ; implicit-def: $vgpr16_vgpr17
	s_and_saveexec_b64 s[2:3], s[0:1]
	s_xor_b64 s[0:1], exec, s[2:3]
	s_cbranch_execz .LBB169_1741
; %bb.1740:
	v_mul_f64 v[10:11], v[26:27], 0.5
	v_mul_f64 v[12:13], v[8:9], 0.5
	v_cndmask_b32_e64 v17, v27, v11, s[18:19]
	v_cndmask_b32_e64 v16, v26, v10, s[18:19]
	;; [unrolled: 1-line block ×4, first 2 shown]
                                        ; implicit-def: $vgpr26_vgpr27
                                        ; implicit-def: $vgpr8_vgpr9
	s_andn2_saveexec_b64 s[0:1], s[0:1]
	s_cbranch_execnz .LBB169_1742
	s_branch .LBB169_1743
.LBB169_1741:
	s_andn2_saveexec_b64 s[0:1], s[0:1]
.LBB169_1742:
	v_add_f64 v[16:17], v[26:27], v[26:27]
	v_add_f64 v[12:13], v[8:9], v[8:9]
.LBB169_1743:
	s_or_b64 exec, exec, s[0:1]
.LBB169_1744:
	s_andn2_saveexec_b64 s[0:1], s[16:17]
	s_cbranch_execz .LBB169_1750
; %bb.1745:
	v_add_f64 v[8:9], v[12:13], -v[12:13]
	v_cmp_lt_i64_e32 vcc, -1, v[10:11]
	s_brev_b32 s16, -2
	v_and_b32_e32 v17, 0x7fffffff, v9
	v_mov_b32_e32 v16, v8
	s_and_saveexec_b64 s[2:3], vcc
	s_xor_b64 s[2:3], exec, s[2:3]
; %bb.1746:
	v_bfi_b32 v9, s16, v9, v13
	v_mov_b64_e32 v[12:13], v[8:9]
	v_mov_b64_e32 v[16:17], v[10:11]
; %bb.1747:
	s_andn2_saveexec_b64 s[2:3], s[2:3]
; %bb.1748:
	v_bfi_b32 v11, s16, v11, v13
	v_mov_b64_e32 v[12:13], v[10:11]
; %bb.1749:
	s_or_b64 exec, exec, s[2:3]
.LBB169_1750:
	s_or_b64 exec, exec, s[0:1]
.LBB169_1751:
	s_andn2_saveexec_b64 s[0:1], s[14:15]
	s_cbranch_execz .LBB169_1753
; %bb.1752:
	v_add_f64 v[8:9], v[12:13], -v[12:13]
	v_div_scale_f64 v[12:13], vcc, v[8:9], v[8:9], v[8:9]
	v_rcp_f64_e32 v[16:17], v[12:13]
	s_nop 0
	v_fma_f64 v[26:27], -v[12:13], v[16:17], 1.0
	v_fmac_f64_e32 v[16:17], v[16:17], v[26:27]
	v_fma_f64 v[26:27], -v[12:13], v[16:17], 1.0
	v_fmac_f64_e32 v[16:17], v[16:17], v[26:27]
	v_mul_f64 v[26:27], v[12:13], v[16:17]
	v_fma_f64 v[12:13], -v[12:13], v[26:27], v[12:13]
	v_div_fmas_f64 v[12:13], v[12:13], v[16:17], v[26:27]
	v_div_fixup_f64 v[12:13], v[12:13], v[8:9], v[8:9]
	v_mov_b64_e32 v[16:17], v[10:11]
.LBB169_1753:
	s_or_b64 exec, exec, s[0:1]
.LBB169_1754:
	s_or_b64 exec, exec, s[12:13]
.LBB169_1755:
	s_or_b64 exec, exec, s[10:11]
	v_xor_b32_e32 v8, 0x80000000, v17
	v_cmp_gt_f64_e32 vcc, 0, v[16:17]
	v_mov_b32_e32 v28, v16
	v_mov_b32_e32 v26, v12
	v_cndmask_b32_e32 v29, v17, v8, vcc
	v_xor_b32_e32 v8, 0x80000000, v13
	v_cmp_gt_f64_e32 vcc, 0, v[12:13]
	s_nop 1
	v_cndmask_b32_e32 v27, v13, v8, vcc
	v_cmp_ge_f64_e32 vcc, v[28:29], v[26:27]
                                        ; implicit-def: $vgpr10_vgpr11
	s_and_saveexec_b64 s[0:1], vcc
	s_xor_b64 s[2:3], exec, s[0:1]
	s_cbranch_execz .LBB169_1761
; %bb.1756:
	v_cmp_neq_f64_e32 vcc, 0, v[16:17]
	v_cmp_neq_f64_e64 s[0:1], 0, v[12:13]
	s_or_b64 s[0:1], vcc, s[0:1]
                                        ; implicit-def: $vgpr10_vgpr11
	s_and_saveexec_b64 s[10:11], s[0:1]
	s_xor_b64 s[0:1], exec, s[10:11]
	s_cbranch_execz .LBB169_1758
; %bb.1757:
	v_div_scale_f64 v[8:9], s[10:11], v[16:17], v[16:17], v[12:13]
	v_rcp_f64_e32 v[10:11], v[8:9]
	v_div_scale_f64 v[26:27], vcc, v[12:13], v[16:17], v[12:13]
	v_fma_f64 v[28:29], -v[8:9], v[10:11], 1.0
	v_fmac_f64_e32 v[10:11], v[10:11], v[28:29]
	v_fma_f64 v[28:29], -v[8:9], v[10:11], 1.0
	v_fmac_f64_e32 v[10:11], v[10:11], v[28:29]
	v_mul_f64 v[28:29], v[26:27], v[10:11]
	v_fma_f64 v[8:9], -v[8:9], v[28:29], v[26:27]
	v_div_fmas_f64 v[8:9], v[8:9], v[10:11], v[28:29]
	v_div_fixup_f64 v[10:11], v[8:9], v[16:17], v[12:13]
	v_fmac_f64_e32 v[16:17], v[12:13], v[10:11]
	v_div_scale_f64 v[8:9], s[10:11], v[16:17], v[16:17], 1.0
	v_rcp_f64_e32 v[12:13], v[8:9]
	s_nop 0
	v_fma_f64 v[26:27], -v[8:9], v[12:13], 1.0
	v_fmac_f64_e32 v[12:13], v[12:13], v[26:27]
	v_fma_f64 v[26:27], -v[8:9], v[12:13], 1.0
	v_fmac_f64_e32 v[12:13], v[12:13], v[26:27]
	v_div_scale_f64 v[26:27], vcc, 1.0, v[16:17], 1.0
	v_mul_f64 v[28:29], v[26:27], v[12:13]
	v_fma_f64 v[8:9], -v[8:9], v[28:29], v[26:27]
                                        ; implicit-def: $vgpr26_vgpr27
	s_nop 1
	v_div_fmas_f64 v[8:9], v[8:9], v[12:13], v[28:29]
	v_div_fixup_f64 v[12:13], v[8:9], v[16:17], 1.0
	v_fma_f64 v[8:9], v[10:11], 0, 1.0
	v_add_f64 v[10:11], -v[10:11], 0
	v_mul_f64 v[8:9], v[8:9], v[12:13]
	v_mul_f64 v[10:11], v[10:11], v[12:13]
                                        ; implicit-def: $vgpr28_vgpr29
.LBB169_1758:
	s_andn2_saveexec_b64 s[0:1], s[0:1]
	s_cbranch_execz .LBB169_1760
; %bb.1759:
	v_div_scale_f64 v[8:9], s[10:11], v[28:29], v[28:29], 1.0
	v_rcp_f64_e32 v[10:11], v[8:9]
	v_div_scale_f64 v[12:13], vcc, 1.0, v[28:29], 1.0
	v_fma_f64 v[16:17], -v[8:9], v[10:11], 1.0
	v_fmac_f64_e32 v[10:11], v[10:11], v[16:17]
	v_fma_f64 v[16:17], -v[8:9], v[10:11], 1.0
	v_fmac_f64_e32 v[10:11], v[10:11], v[16:17]
	v_mul_f64 v[16:17], v[12:13], v[10:11]
	v_fma_f64 v[8:9], -v[8:9], v[16:17], v[12:13]
	v_div_scale_f64 v[12:13], s[10:11], v[26:27], v[26:27], 0
	v_rcp_f64_e32 v[30:31], v[12:13]
	v_div_fmas_f64 v[8:9], v[8:9], v[10:11], v[16:17]
	v_div_fixup_f64 v[8:9], v[8:9], v[28:29], 1.0
	v_fma_f64 v[10:11], -v[12:13], v[30:31], 1.0
	v_fmac_f64_e32 v[30:31], v[30:31], v[10:11]
	v_fma_f64 v[10:11], -v[12:13], v[30:31], 1.0
	v_fmac_f64_e32 v[30:31], v[30:31], v[10:11]
	v_div_scale_f64 v[10:11], vcc, 0, v[26:27], 0
	v_mul_f64 v[16:17], v[10:11], v[30:31]
	v_fma_f64 v[10:11], -v[12:13], v[16:17], v[10:11]
	s_nop 1
	v_div_fmas_f64 v[10:11], v[10:11], v[30:31], v[16:17]
	v_div_fixup_f64 v[10:11], v[10:11], v[26:27], 0
.LBB169_1760:
	s_or_b64 exec, exec, s[0:1]
                                        ; implicit-def: $vgpr12_vgpr13
                                        ; implicit-def: $vgpr16_vgpr17
.LBB169_1761:
	s_andn2_saveexec_b64 s[0:1], s[2:3]
	s_cbranch_execz .LBB169_1763
; %bb.1762:
	v_div_scale_f64 v[8:9], s[2:3], v[12:13], v[12:13], v[16:17]
	v_rcp_f64_e32 v[10:11], v[8:9]
	v_div_scale_f64 v[26:27], vcc, v[16:17], v[12:13], v[16:17]
	v_fma_f64 v[28:29], -v[8:9], v[10:11], 1.0
	v_fmac_f64_e32 v[10:11], v[10:11], v[28:29]
	v_fma_f64 v[28:29], -v[8:9], v[10:11], 1.0
	v_fmac_f64_e32 v[10:11], v[10:11], v[28:29]
	v_mul_f64 v[28:29], v[26:27], v[10:11]
	v_fma_f64 v[8:9], -v[8:9], v[28:29], v[26:27]
	v_div_fmas_f64 v[8:9], v[8:9], v[10:11], v[28:29]
	v_div_fixup_f64 v[10:11], v[8:9], v[12:13], v[16:17]
	v_fmac_f64_e32 v[12:13], v[16:17], v[10:11]
	v_div_scale_f64 v[8:9], s[2:3], v[12:13], v[12:13], 1.0
	v_rcp_f64_e32 v[16:17], v[8:9]
	s_nop 0
	v_fma_f64 v[26:27], -v[8:9], v[16:17], 1.0
	v_fmac_f64_e32 v[16:17], v[16:17], v[26:27]
	v_fma_f64 v[26:27], -v[8:9], v[16:17], 1.0
	v_fmac_f64_e32 v[16:17], v[16:17], v[26:27]
	v_div_scale_f64 v[26:27], vcc, 1.0, v[12:13], 1.0
	v_mul_f64 v[28:29], v[26:27], v[16:17]
	v_fma_f64 v[8:9], -v[8:9], v[28:29], v[26:27]
	s_nop 1
	v_div_fmas_f64 v[8:9], v[8:9], v[16:17], v[28:29]
	v_div_fixup_f64 v[12:13], v[8:9], v[12:13], 1.0
	v_add_f64 v[8:9], v[10:11], 0
	v_fma_f64 v[10:11], v[10:11], 0, -1.0
	v_mul_f64 v[8:9], v[8:9], v[12:13]
	v_mul_f64 v[10:11], v[10:11], v[12:13]
.LBB169_1763:
	s_or_b64 exec, exec, s[0:1]
	v_mov_b32_e32 v15, 0
	s_cmp_lt_i32 s23, 11
	v_lshl_add_u64 v[12:13], s[6:7], 0, v[14:15]
	s_cbranch_scc1 .LBB169_1770
; %bb.1764:
	s_and_b32 s14, 0xffff, s23
	s_cmp_gt_i32 s14, 25
	s_mov_b64 s[2:3], 0
	s_cbranch_scc0 .LBB169_1771
; %bb.1765:
	s_cmp_gt_i32 s14, 28
	s_cbranch_scc0 .LBB169_1772
; %bb.1766:
	s_cmp_gt_i32 s14, 43
	;; [unrolled: 3-line block ×3, first 2 shown]
	s_cbranch_scc0 .LBB169_1778
; %bb.1768:
	s_cmp_eq_u32 s14, 46
	s_mov_b64 s[10:11], 0
	s_cbranch_scc0 .LBB169_1841
; %bb.1769:
	global_load_dword v14, v[12:13], off
	s_mov_b64 s[0:1], 0
	s_mov_b64 s[6:7], -1
	s_waitcnt vmcnt(0)
	v_and_b32_e32 v16, 0xffff0000, v14
	v_lshlrev_b32_e32 v14, 16, v14
	v_cvt_f64_f32_e32 v[14:15], v14
	v_cvt_f64_f32_e32 v[16:17], v16
	s_branch .LBB169_1842
.LBB169_1770:
	s_mov_b64 s[0:1], -1
	s_mov_b64 s[6:7], 0
                                        ; implicit-def: $vgpr16_vgpr17
	s_branch .LBB169_1892
.LBB169_1771:
	s_mov_b64 s[10:11], -1
	s_mov_b64 s[6:7], 0
	s_mov_b64 s[0:1], 0
                                        ; implicit-def: $vgpr16_vgpr17
	s_branch .LBB169_1875
.LBB169_1772:
	s_mov_b64 s[10:11], -1
	s_mov_b64 s[6:7], 0
	s_mov_b64 s[0:1], 0
                                        ; implicit-def: $vgpr16_vgpr17
	s_branch .LBB169_1854
.LBB169_1773:
	s_mov_b64 s[10:11], -1
	s_mov_b64 s[6:7], 0
	s_mov_b64 s[0:1], 0
                                        ; implicit-def: $vgpr16_vgpr17
	s_branch .LBB169_1848
.LBB169_1774:
	s_mov_b64 s[0:1], -1
                                        ; implicit-def: $vgpr12_vgpr13
	s_mov_b64 s[10:11], 0
.LBB169_1775:
	s_and_b64 vcc, exec, s[12:13]
	s_cbranch_vccz .LBB169_1781
; %bb.1776:
	s_cmp_eq_u32 s16, 44
	s_cbranch_scc0 .LBB169_1779
; %bb.1777:
	global_load_ubyte v12, v[8:9], off
	s_movk_i32 s10, 0xff
	v_bfrev_b32_e32 v13, 4
	v_mov_b32_e32 v15, 0x7ff80000
	v_bfrev_b32_e32 v16, 28
	s_mov_b64 s[0:1], 0
	s_waitcnt vmcnt(0)
	v_lshlrev_b32_e32 v10, 23, v12
	v_cvt_f64_f32_e32 v[10:11], v10
	v_cmp_ne_u32_e32 vcc, s10, v12
	s_mov_b64 s[10:11], -1
	s_nop 0
	v_cndmask_b32_e32 v10, v13, v10, vcc
	v_cndmask_b32_e32 v11, v15, v11, vcc
	v_cmp_ne_u32_e32 vcc, 0, v12
	s_nop 1
	v_cndmask_b32_e32 v11, v16, v11, vcc
	v_cndmask_b32_e32 v10, 0, v10, vcc
	s_branch .LBB169_1780
.LBB169_1778:
	s_mov_b64 s[10:11], -1
	s_mov_b64 s[6:7], 0
	s_mov_b64 s[0:1], 0
                                        ; implicit-def: $vgpr16_vgpr17
	s_branch .LBB169_1842
.LBB169_1779:
	s_mov_b64 s[0:1], -1
                                        ; implicit-def: $vgpr10_vgpr11
.LBB169_1780:
	v_mov_b64_e32 v[12:13], 0
.LBB169_1781:
	s_mov_b64 s[12:13], 0
.LBB169_1782:
	s_and_b64 vcc, exec, s[12:13]
	s_cbranch_vccz .LBB169_1787
; %bb.1783:
	s_cmp_eq_u32 s16, 29
	s_cbranch_scc0 .LBB169_1785
; %bb.1784:
	global_load_dwordx2 v[10:11], v[8:9], off
	s_mov_b64 s[0:1], 0
	s_mov_b64 s[10:11], -1
	s_waitcnt vmcnt(0)
	v_cvt_f64_u32_e32 v[12:13], v11
	v_cvt_f64_u32_e32 v[10:11], v10
	v_ldexp_f64 v[12:13], v[12:13], 32
	v_add_f64 v[10:11], v[12:13], v[10:11]
	s_branch .LBB169_1786
.LBB169_1785:
	s_mov_b64 s[0:1], -1
                                        ; implicit-def: $vgpr10_vgpr11
.LBB169_1786:
	v_mov_b64_e32 v[12:13], 0
.LBB169_1787:
	s_mov_b64 s[12:13], 0
.LBB169_1788:
	s_and_b64 vcc, exec, s[12:13]
	s_cbranch_vccz .LBB169_1808
; %bb.1789:
	s_cmp_lt_i32 s16, 27
	s_cbranch_scc1 .LBB169_1792
; %bb.1790:
	s_cmp_gt_i32 s16, 27
	s_cbranch_scc0 .LBB169_1793
; %bb.1791:
	global_load_dword v10, v[8:9], off
	s_mov_b64 s[10:11], 0
	s_waitcnt vmcnt(0)
	v_cvt_f64_u32_e32 v[10:11], v10
	s_branch .LBB169_1794
.LBB169_1792:
	s_mov_b64 s[10:11], -1
                                        ; implicit-def: $vgpr10_vgpr11
	s_branch .LBB169_1797
.LBB169_1793:
	s_mov_b64 s[10:11], -1
                                        ; implicit-def: $vgpr10_vgpr11
.LBB169_1794:
	s_andn2_b64 vcc, exec, s[10:11]
	s_cbranch_vccnz .LBB169_1796
; %bb.1795:
	global_load_ushort v10, v[8:9], off
	s_waitcnt vmcnt(0)
	v_cvt_f64_u32_e32 v[10:11], v10
.LBB169_1796:
	s_mov_b64 s[10:11], 0
.LBB169_1797:
	s_andn2_b64 vcc, exec, s[10:11]
	s_cbranch_vccnz .LBB169_1807
; %bb.1798:
	global_load_ubyte v12, v[8:9], off
	s_movk_i32 s10, 0x7f
	s_waitcnt vmcnt(0)
	v_cmp_lt_i16_e32 vcc, s10, v12
	s_mov_b64 s[10:11], 0
	s_and_saveexec_b64 s[12:13], vcc
	s_xor_b64 s[12:13], exec, s[12:13]
	s_cbranch_execz .LBB169_1802
; %bb.1799:
	s_movk_i32 s10, 0x80
	v_cmp_eq_u16_e32 vcc, s10, v12
	s_mov_b64 s[10:11], -1
	s_and_saveexec_b64 s[14:15], vcc
; %bb.1800:
	s_xor_b64 s[10:11], exec, -1
; %bb.1801:
	s_or_b64 exec, exec, s[14:15]
	s_and_b64 s[10:11], s[10:11], exec
.LBB169_1802:
	s_or_saveexec_b64 s[12:13], s[12:13]
	v_bfrev_b32_e32 v10, 4
	v_mov_b32_e32 v11, 0x7ff80000
	s_xor_b64 exec, exec, s[12:13]
; %bb.1803:
	v_cmp_ne_u16_e32 vcc, 0, v12
	s_andn2_b64 s[10:11], s[10:11], exec
	s_and_b64 s[14:15], vcc, exec
	v_mov_b64_e32 v[10:11], 0
	s_or_b64 s[10:11], s[10:11], s[14:15]
; %bb.1804:
	s_or_b64 exec, exec, s[12:13]
	s_and_saveexec_b64 s[12:13], s[10:11]
	s_cbranch_execz .LBB169_1806
; %bb.1805:
	v_and_b32_e32 v11, 0xffff, v12
	v_lshlrev_b32_e32 v10, 24, v12
	v_and_b32_e32 v12, 7, v11
	v_ffbh_u32_e32 v15, v12
	v_min_u32_e32 v15, 32, v15
	v_subrev_u32_e32 v16, 28, v15
	v_bfe_u32 v13, v11, 3, 4
	v_lshlrev_b32_e32 v11, v16, v11
	v_sub_u32_e32 v15, 29, v15
	v_and_b32_e32 v11, 7, v11
	v_cmp_eq_u32_e32 vcc, 0, v13
	v_and_b32_e32 v10, 0x80000000, v10
	s_nop 0
	v_cndmask_b32_e32 v13, v13, v15, vcc
	v_cndmask_b32_e32 v11, v12, v11, vcc
	v_mov_b32_e32 v12, 0x3b800000
	v_lshlrev_b32_e32 v11, 20, v11
	v_lshl_add_u32 v12, v13, 23, v12
	v_or3_b32 v10, v10, v12, v11
	v_cvt_f64_f32_e32 v[10:11], v10
.LBB169_1806:
	s_or_b64 exec, exec, s[12:13]
.LBB169_1807:
	s_mov_b64 s[10:11], -1
	v_mov_b64_e32 v[12:13], 0
.LBB169_1808:
	s_branch .LBB169_1667
.LBB169_1809:
	s_cmp_gt_i32 s16, 22
	s_cbranch_scc0 .LBB169_1821
; %bb.1810:
	s_cmp_lt_i32 s16, 24
	s_cbranch_scc1 .LBB169_1822
; %bb.1811:
	s_cmp_gt_i32 s16, 24
	s_cbranch_scc0 .LBB169_1823
; %bb.1812:
	global_load_ubyte v12, v[8:9], off
	s_movk_i32 s2, 0x7f
	s_waitcnt vmcnt(0)
	v_cmp_lt_i16_e32 vcc, s2, v12
	s_mov_b64 s[2:3], 0
	s_and_saveexec_b64 s[10:11], vcc
	s_xor_b64 s[10:11], exec, s[10:11]
	s_cbranch_execz .LBB169_1816
; %bb.1813:
	s_movk_i32 s2, 0x80
	v_cmp_eq_u16_e32 vcc, s2, v12
	s_mov_b64 s[2:3], -1
	s_and_saveexec_b64 s[12:13], vcc
; %bb.1814:
	s_xor_b64 s[2:3], exec, -1
; %bb.1815:
	s_or_b64 exec, exec, s[12:13]
	s_and_b64 s[2:3], s[2:3], exec
.LBB169_1816:
	s_or_saveexec_b64 s[10:11], s[10:11]
	v_bfrev_b32_e32 v10, 4
	v_mov_b32_e32 v11, 0x7ff80000
	s_xor_b64 exec, exec, s[10:11]
; %bb.1817:
	v_cmp_ne_u16_e32 vcc, 0, v12
	s_andn2_b64 s[2:3], s[2:3], exec
	s_and_b64 s[12:13], vcc, exec
	v_mov_b64_e32 v[10:11], 0
	s_or_b64 s[2:3], s[2:3], s[12:13]
; %bb.1818:
	s_or_b64 exec, exec, s[10:11]
	s_and_saveexec_b64 s[10:11], s[2:3]
	s_cbranch_execz .LBB169_1820
; %bb.1819:
	v_and_b32_e32 v11, 0xffff, v12
	v_lshlrev_b32_e32 v10, 24, v12
	v_and_b32_e32 v12, 3, v11
	v_ffbh_u32_e32 v15, v12
	v_min_u32_e32 v15, 32, v15
	v_subrev_u32_e32 v16, 29, v15
	v_bfe_u32 v13, v11, 2, 5
	v_lshlrev_b32_e32 v11, v16, v11
	v_sub_u32_e32 v15, 30, v15
	v_and_b32_e32 v11, 3, v11
	v_cmp_eq_u32_e32 vcc, 0, v13
	v_and_b32_e32 v10, 0x80000000, v10
	s_nop 0
	v_cndmask_b32_e32 v13, v13, v15, vcc
	v_cndmask_b32_e32 v11, v12, v11, vcc
	v_mov_b32_e32 v12, 0x37800000
	v_lshlrev_b32_e32 v11, 21, v11
	v_lshl_add_u32 v12, v13, 23, v12
	v_or3_b32 v10, v10, v12, v11
	v_cvt_f64_f32_e32 v[10:11], v10
.LBB169_1820:
	s_or_b64 exec, exec, s[10:11]
	s_mov_b64 s[2:3], 0
	s_branch .LBB169_1824
.LBB169_1821:
	s_mov_b64 s[2:3], -1
                                        ; implicit-def: $vgpr10_vgpr11
	s_branch .LBB169_1830
.LBB169_1822:
	s_mov_b64 s[2:3], -1
                                        ; implicit-def: $vgpr10_vgpr11
	s_branch .LBB169_1827
.LBB169_1823:
	s_mov_b64 s[2:3], -1
                                        ; implicit-def: $vgpr10_vgpr11
.LBB169_1824:
	s_and_b64 vcc, exec, s[2:3]
	s_cbranch_vccz .LBB169_1826
; %bb.1825:
	global_load_ubyte v10, v[8:9], off
	s_mov_b32 s2, 0x7f800000
	s_waitcnt vmcnt(0)
	v_lshlrev_b32_e32 v10, 24, v10
	v_and_b32_e32 v11, 0x7f000000, v10
	v_ffbh_u32_e32 v12, v11
	v_min_u32_e32 v12, 32, v12
	v_sub_u32_e64 v12, v12, 4 clamp
	v_lshlrev_b32_e32 v15, v12, v11
	v_lshlrev_b32_e32 v12, 23, v12
	v_lshrrev_b32_e32 v15, 4, v15
	v_add_u32_e32 v13, 0x1000000, v11
	v_sub_u32_e32 v12, v15, v12
	v_ashrrev_i32_e32 v13, 8, v13
	v_add_u32_e32 v12, 0x3c000000, v12
	v_and_or_b32 v12, v13, s2, v12
	v_cmp_ne_u32_e32 vcc, 0, v11
	s_brev_b32 s2, 1
	s_nop 0
	v_cndmask_b32_e32 v11, 0, v12, vcc
	v_and_or_b32 v10, v10, s2, v11
	v_cvt_f64_f32_e32 v[10:11], v10
.LBB169_1826:
	s_mov_b64 s[2:3], 0
.LBB169_1827:
	s_andn2_b64 vcc, exec, s[2:3]
	s_cbranch_vccnz .LBB169_1829
; %bb.1828:
	global_load_ubyte v10, v[8:9], off
	s_movk_i32 s2, 0x7f00
	s_brev_b32 s3, 16
	s_waitcnt vmcnt(0)
	v_lshlrev_b16_e32 v11, 8, v10
	v_lshlrev_b32_e32 v10, 25, v10
	v_lshrrev_b32_e32 v12, 4, v10
	v_and_or_b32 v13, v11, s2, 0.5
	v_or_b32_e32 v12, 0x70000000, v12
	v_add_f32_e32 v13, -0.5, v13
	v_mul_f32_e32 v12, 0x7800000, v12
	v_cmp_gt_u32_e32 vcc, s3, v10
	v_bfe_i32 v11, v11, 0, 16
	s_brev_b32 s2, 1
	v_cndmask_b32_e32 v10, v12, v13, vcc
	v_and_or_b32 v10, v11, s2, v10
	v_cvt_f64_f32_e32 v[10:11], v10
.LBB169_1829:
	s_mov_b64 s[2:3], 0
	s_mov_b64 s[10:11], -1
.LBB169_1830:
	s_andn2_b64 vcc, exec, s[2:3]
	s_mov_b64 s[2:3], 0
	s_cbranch_vccnz .LBB169_1839
; %bb.1831:
	s_cmp_gt_i32 s16, 14
	s_cbranch_scc0 .LBB169_1834
; %bb.1832:
	s_cmp_eq_u32 s16, 15
	s_cbranch_scc0 .LBB169_1835
; %bb.1833:
	global_load_ushort v10, v[8:9], off
	s_mov_b64 s[0:1], 0
	s_mov_b64 s[10:11], -1
	s_waitcnt vmcnt(0)
	v_lshlrev_b32_e32 v10, 16, v10
	v_cvt_f64_f32_e32 v[10:11], v10
	s_branch .LBB169_1836
.LBB169_1834:
	s_mov_b64 s[12:13], -1
                                        ; implicit-def: $vgpr10_vgpr11
	s_branch .LBB169_1837
.LBB169_1835:
	s_mov_b64 s[0:1], -1
                                        ; implicit-def: $vgpr10_vgpr11
.LBB169_1836:
	s_mov_b64 s[12:13], 0
.LBB169_1837:
	s_and_b64 vcc, exec, s[12:13]
	s_cbranch_vccz .LBB169_1839
; %bb.1838:
	s_cmp_lg_u32 s16, 11
	s_mov_b64 s[2:3], -1
	s_cselect_b64 s[0:1], -1, 0
.LBB169_1839:
	v_mov_b64_e32 v[12:13], 0
	s_and_b64 vcc, exec, s[0:1]
	s_cbranch_vccz .LBB169_1668
.LBB169_1840:
	s_trap 2
	s_or_b64 s[8:9], s[8:9], exec
	s_cbranch_execz .LBB169_1669
	s_branch .LBB169_1670
.LBB169_1841:
	s_mov_b64 s[0:1], -1
                                        ; implicit-def: $vgpr16_vgpr17
	s_mov_b64 s[6:7], 0
.LBB169_1842:
	s_and_b64 vcc, exec, s[10:11]
	s_cbranch_vccz .LBB169_1847
; %bb.1843:
	s_cmp_eq_u32 s14, 44
	s_cbranch_scc0 .LBB169_1845
; %bb.1844:
	global_load_ubyte v16, v[12:13], off
	s_movk_i32 s6, 0xff
	v_bfrev_b32_e32 v17, 4
	v_mov_b32_e32 v19, 0x7ff80000
	v_bfrev_b32_e32 v21, 28
	s_mov_b64 s[0:1], 0
	s_waitcnt vmcnt(0)
	v_lshlrev_b32_e32 v14, 23, v16
	v_cvt_f64_f32_e32 v[14:15], v14
	v_cmp_ne_u32_e32 vcc, s6, v16
	s_mov_b64 s[6:7], -1
	s_nop 0
	v_cndmask_b32_e32 v14, v17, v14, vcc
	v_cndmask_b32_e32 v15, v19, v15, vcc
	v_cmp_ne_u32_e32 vcc, 0, v16
	s_nop 1
	v_cndmask_b32_e32 v15, v21, v15, vcc
	v_cndmask_b32_e32 v14, 0, v14, vcc
	s_branch .LBB169_1846
.LBB169_1845:
	s_mov_b64 s[0:1], -1
                                        ; implicit-def: $vgpr14_vgpr15
.LBB169_1846:
	v_mov_b64_e32 v[16:17], 0
.LBB169_1847:
	s_mov_b64 s[10:11], 0
.LBB169_1848:
	s_and_b64 vcc, exec, s[10:11]
	s_cbranch_vccz .LBB169_1853
; %bb.1849:
	s_cmp_eq_u32 s14, 29
	s_cbranch_scc0 .LBB169_1851
; %bb.1850:
	global_load_dwordx2 v[14:15], v[12:13], off
	s_mov_b64 s[0:1], 0
	s_mov_b64 s[6:7], -1
	s_waitcnt vmcnt(0)
	v_cvt_f64_u32_e32 v[16:17], v15
	v_cvt_f64_u32_e32 v[14:15], v14
	v_ldexp_f64 v[16:17], v[16:17], 32
	v_add_f64 v[14:15], v[16:17], v[14:15]
	s_branch .LBB169_1852
.LBB169_1851:
	s_mov_b64 s[0:1], -1
                                        ; implicit-def: $vgpr14_vgpr15
.LBB169_1852:
	v_mov_b64_e32 v[16:17], 0
.LBB169_1853:
	s_mov_b64 s[10:11], 0
.LBB169_1854:
	s_and_b64 vcc, exec, s[10:11]
	s_cbranch_vccz .LBB169_1874
; %bb.1855:
	s_cmp_lt_i32 s14, 27
	s_cbranch_scc1 .LBB169_1858
; %bb.1856:
	s_cmp_gt_i32 s14, 27
	s_cbranch_scc0 .LBB169_1859
; %bb.1857:
	global_load_dword v14, v[12:13], off
	s_mov_b64 s[6:7], 0
	s_waitcnt vmcnt(0)
	v_cvt_f64_u32_e32 v[14:15], v14
	s_branch .LBB169_1860
.LBB169_1858:
	s_mov_b64 s[6:7], -1
                                        ; implicit-def: $vgpr14_vgpr15
	s_branch .LBB169_1863
.LBB169_1859:
	s_mov_b64 s[6:7], -1
                                        ; implicit-def: $vgpr14_vgpr15
.LBB169_1860:
	s_andn2_b64 vcc, exec, s[6:7]
	s_cbranch_vccnz .LBB169_1862
; %bb.1861:
	global_load_ushort v14, v[12:13], off
	s_waitcnt vmcnt(0)
	v_cvt_f64_u32_e32 v[14:15], v14
.LBB169_1862:
	s_mov_b64 s[6:7], 0
.LBB169_1863:
	s_andn2_b64 vcc, exec, s[6:7]
	s_cbranch_vccnz .LBB169_1873
; %bb.1864:
	global_load_ubyte v16, v[12:13], off
	s_movk_i32 s6, 0x7f
	s_waitcnt vmcnt(0)
	v_cmp_lt_i16_e32 vcc, s6, v16
	s_mov_b64 s[6:7], 0
	s_and_saveexec_b64 s[10:11], vcc
	s_xor_b64 s[10:11], exec, s[10:11]
	s_cbranch_execz .LBB169_1868
; %bb.1865:
	s_movk_i32 s6, 0x80
	v_cmp_eq_u16_e32 vcc, s6, v16
	s_mov_b64 s[6:7], -1
	s_and_saveexec_b64 s[12:13], vcc
; %bb.1866:
	s_xor_b64 s[6:7], exec, -1
; %bb.1867:
	s_or_b64 exec, exec, s[12:13]
	s_and_b64 s[6:7], s[6:7], exec
.LBB169_1868:
	s_or_saveexec_b64 s[10:11], s[10:11]
	v_bfrev_b32_e32 v14, 4
	v_mov_b32_e32 v15, 0x7ff80000
	s_xor_b64 exec, exec, s[10:11]
; %bb.1869:
	v_cmp_ne_u16_e32 vcc, 0, v16
	s_andn2_b64 s[6:7], s[6:7], exec
	s_and_b64 s[12:13], vcc, exec
	v_mov_b64_e32 v[14:15], 0
	s_or_b64 s[6:7], s[6:7], s[12:13]
; %bb.1870:
	s_or_b64 exec, exec, s[10:11]
	s_and_saveexec_b64 s[10:11], s[6:7]
	s_cbranch_execz .LBB169_1872
; %bb.1871:
	v_and_b32_e32 v15, 0xffff, v16
	v_lshlrev_b32_e32 v14, 24, v16
	v_and_b32_e32 v16, 7, v15
	v_ffbh_u32_e32 v19, v16
	v_min_u32_e32 v19, 32, v19
	v_subrev_u32_e32 v21, 28, v19
	v_bfe_u32 v17, v15, 3, 4
	v_lshlrev_b32_e32 v15, v21, v15
	v_sub_u32_e32 v19, 29, v19
	v_and_b32_e32 v15, 7, v15
	v_cmp_eq_u32_e32 vcc, 0, v17
	v_and_b32_e32 v14, 0x80000000, v14
	s_nop 0
	v_cndmask_b32_e32 v17, v17, v19, vcc
	v_cndmask_b32_e32 v15, v16, v15, vcc
	v_mov_b32_e32 v16, 0x3b800000
	v_lshlrev_b32_e32 v15, 20, v15
	v_lshl_add_u32 v16, v17, 23, v16
	v_or3_b32 v14, v14, v16, v15
	v_cvt_f64_f32_e32 v[14:15], v14
.LBB169_1872:
	s_or_b64 exec, exec, s[10:11]
.LBB169_1873:
	s_mov_b64 s[6:7], -1
	v_mov_b64_e32 v[16:17], 0
.LBB169_1874:
	s_mov_b64 s[10:11], 0
.LBB169_1875:
	s_and_b64 vcc, exec, s[10:11]
	s_cbranch_vccz .LBB169_1888
; %bb.1876:
	s_cmp_gt_i32 s14, 22
	s_cbranch_scc0 .LBB169_1899
; %bb.1877:
	s_cmp_lt_i32 s14, 24
	s_cbranch_scc1 .LBB169_1901
; %bb.1878:
	s_cmp_gt_i32 s14, 24
	s_cbranch_scc0 .LBB169_1903
; %bb.1879:
	global_load_ubyte v16, v[12:13], off
	s_movk_i32 s2, 0x7f
	s_waitcnt vmcnt(0)
	v_cmp_lt_i16_e32 vcc, s2, v16
	s_mov_b64 s[2:3], 0
	s_and_saveexec_b64 s[6:7], vcc
	s_xor_b64 s[6:7], exec, s[6:7]
	s_cbranch_execz .LBB169_1883
; %bb.1880:
	s_movk_i32 s2, 0x80
	v_cmp_eq_u16_e32 vcc, s2, v16
	s_mov_b64 s[2:3], -1
	s_and_saveexec_b64 s[10:11], vcc
; %bb.1881:
	s_xor_b64 s[2:3], exec, -1
; %bb.1882:
	s_or_b64 exec, exec, s[10:11]
	s_and_b64 s[2:3], s[2:3], exec
.LBB169_1883:
	s_or_saveexec_b64 s[6:7], s[6:7]
	v_bfrev_b32_e32 v14, 4
	v_mov_b32_e32 v15, 0x7ff80000
	s_xor_b64 exec, exec, s[6:7]
; %bb.1884:
	v_cmp_ne_u16_e32 vcc, 0, v16
	s_andn2_b64 s[2:3], s[2:3], exec
	s_and_b64 s[10:11], vcc, exec
	v_mov_b64_e32 v[14:15], 0
	s_or_b64 s[2:3], s[2:3], s[10:11]
; %bb.1885:
	s_or_b64 exec, exec, s[6:7]
	s_and_saveexec_b64 s[6:7], s[2:3]
	s_cbranch_execz .LBB169_1887
; %bb.1886:
	v_and_b32_e32 v15, 0xffff, v16
	v_lshlrev_b32_e32 v14, 24, v16
	v_and_b32_e32 v16, 3, v15
	v_ffbh_u32_e32 v19, v16
	v_min_u32_e32 v19, 32, v19
	v_subrev_u32_e32 v21, 29, v19
	v_bfe_u32 v17, v15, 2, 5
	v_lshlrev_b32_e32 v15, v21, v15
	v_sub_u32_e32 v19, 30, v19
	v_and_b32_e32 v15, 3, v15
	v_cmp_eq_u32_e32 vcc, 0, v17
	v_and_b32_e32 v14, 0x80000000, v14
	s_nop 0
	v_cndmask_b32_e32 v17, v17, v19, vcc
	v_cndmask_b32_e32 v15, v16, v15, vcc
	v_mov_b32_e32 v16, 0x37800000
	v_lshlrev_b32_e32 v15, 21, v15
	v_lshl_add_u32 v16, v17, 23, v16
	v_or3_b32 v14, v14, v16, v15
	v_cvt_f64_f32_e32 v[14:15], v14
.LBB169_1887:
	s_or_b64 exec, exec, s[6:7]
	s_mov_b64 s[2:3], 0
	s_branch .LBB169_1904
.LBB169_1888:
	s_and_b64 vcc, exec, s[0:1]
	s_cbranch_vccnz .LBB169_1932
.LBB169_1889:
	s_andn2_b64 vcc, exec, s[2:3]
	s_cbranch_vccnz .LBB169_1891
.LBB169_1890:
	global_load_ubyte v15, v[12:13], off
	v_mov_b32_e32 v16, 0x3ff00000
	v_mov_b32_e32 v14, 0
	s_mov_b64 s[6:7], -1
	s_waitcnt vmcnt(0)
	v_cmp_ne_u16_e32 vcc, 0, v15
	s_nop 1
	v_cndmask_b32_e32 v15, 0, v16, vcc
	v_mov_b64_e32 v[16:17], 0
.LBB169_1891:
	s_mov_b64 s[0:1], 0
.LBB169_1892:
	s_and_b64 vcc, exec, s[0:1]
	s_cbranch_vccz .LBB169_1963
; %bb.1893:
	s_and_b32 s2, 0xffff, s23
	s_cmp_lt_i32 s2, 5
	s_cbranch_scc1 .LBB169_1898
; %bb.1894:
	s_cmp_lt_i32 s2, 8
	s_cbranch_scc1 .LBB169_1900
; %bb.1895:
	;; [unrolled: 3-line block ×3, first 2 shown]
	s_cmp_gt_i32 s2, 9
	s_cbranch_scc0 .LBB169_1915
; %bb.1897:
	global_load_dwordx4 v[14:17], v[12:13], off
	s_mov_b64 s[0:1], 0
	s_branch .LBB169_1916
.LBB169_1898:
	s_mov_b64 s[0:1], -1
                                        ; implicit-def: $vgpr16_vgpr17
	s_branch .LBB169_1941
.LBB169_1899:
	s_mov_b64 s[2:3], -1
                                        ; implicit-def: $vgpr14_vgpr15
	s_branch .LBB169_1910
.LBB169_1900:
	s_mov_b64 s[0:1], -1
                                        ; implicit-def: $vgpr16_vgpr17
	s_branch .LBB169_1922
.LBB169_1901:
	s_mov_b64 s[2:3], -1
                                        ; implicit-def: $vgpr14_vgpr15
	s_branch .LBB169_1907
.LBB169_1902:
	s_mov_b64 s[0:1], -1
                                        ; implicit-def: $vgpr16_vgpr17
	s_branch .LBB169_1919
.LBB169_1903:
	s_mov_b64 s[2:3], -1
                                        ; implicit-def: $vgpr14_vgpr15
.LBB169_1904:
	s_and_b64 vcc, exec, s[2:3]
	s_cbranch_vccz .LBB169_1906
; %bb.1905:
	global_load_ubyte v14, v[12:13], off
	s_mov_b32 s2, 0x7f800000
	s_waitcnt vmcnt(0)
	v_lshlrev_b32_e32 v14, 24, v14
	v_and_b32_e32 v15, 0x7f000000, v14
	v_ffbh_u32_e32 v16, v15
	v_min_u32_e32 v16, 32, v16
	v_sub_u32_e64 v16, v16, 4 clamp
	v_lshlrev_b32_e32 v19, v16, v15
	v_lshlrev_b32_e32 v16, 23, v16
	v_lshrrev_b32_e32 v19, 4, v19
	v_add_u32_e32 v17, 0x1000000, v15
	v_sub_u32_e32 v16, v19, v16
	v_ashrrev_i32_e32 v17, 8, v17
	v_add_u32_e32 v16, 0x3c000000, v16
	v_and_or_b32 v16, v17, s2, v16
	v_cmp_ne_u32_e32 vcc, 0, v15
	s_brev_b32 s2, 1
	s_nop 0
	v_cndmask_b32_e32 v15, 0, v16, vcc
	v_and_or_b32 v14, v14, s2, v15
	v_cvt_f64_f32_e32 v[14:15], v14
.LBB169_1906:
	s_mov_b64 s[2:3], 0
.LBB169_1907:
	s_andn2_b64 vcc, exec, s[2:3]
	s_cbranch_vccnz .LBB169_1909
; %bb.1908:
	global_load_ubyte v14, v[12:13], off
	s_movk_i32 s2, 0x7f00
	s_brev_b32 s3, 16
	s_waitcnt vmcnt(0)
	v_lshlrev_b16_e32 v15, 8, v14
	v_lshlrev_b32_e32 v14, 25, v14
	v_lshrrev_b32_e32 v16, 4, v14
	v_and_or_b32 v17, v15, s2, 0.5
	v_or_b32_e32 v16, 0x70000000, v16
	v_add_f32_e32 v17, -0.5, v17
	v_mul_f32_e32 v16, 0x7800000, v16
	v_cmp_gt_u32_e32 vcc, s3, v14
	v_bfe_i32 v15, v15, 0, 16
	s_brev_b32 s2, 1
	v_cndmask_b32_e32 v14, v16, v17, vcc
	v_and_or_b32 v14, v15, s2, v14
	v_cvt_f64_f32_e32 v[14:15], v14
.LBB169_1909:
	s_mov_b64 s[2:3], 0
	s_mov_b64 s[6:7], -1
.LBB169_1910:
	s_andn2_b64 vcc, exec, s[2:3]
	s_mov_b64 s[2:3], 0
	s_cbranch_vccnz .LBB169_1931
; %bb.1911:
	s_cmp_gt_i32 s14, 14
	s_cbranch_scc0 .LBB169_1914
; %bb.1912:
	s_cmp_eq_u32 s14, 15
	s_cbranch_scc0 .LBB169_1927
; %bb.1913:
	global_load_ushort v14, v[12:13], off
	s_mov_b64 s[0:1], 0
	s_mov_b64 s[6:7], -1
	s_waitcnt vmcnt(0)
	v_lshlrev_b32_e32 v14, 16, v14
	v_cvt_f64_f32_e32 v[14:15], v14
	s_branch .LBB169_1928
.LBB169_1914:
	s_mov_b64 s[10:11], -1
                                        ; implicit-def: $vgpr14_vgpr15
	s_branch .LBB169_1929
.LBB169_1915:
	s_mov_b64 s[0:1], -1
                                        ; implicit-def: $vgpr16_vgpr17
.LBB169_1916:
	s_andn2_b64 vcc, exec, s[0:1]
	s_cbranch_vccnz .LBB169_1918
; %bb.1917:
	global_load_dwordx2 v[16:17], v[12:13], off
	s_waitcnt vmcnt(0)
	v_cvt_f64_f32_e32 v[14:15], v16
	v_cvt_f64_f32_e32 v[16:17], v17
.LBB169_1918:
	s_mov_b64 s[0:1], 0
.LBB169_1919:
	s_andn2_b64 vcc, exec, s[0:1]
	s_cbranch_vccnz .LBB169_1921
; %bb.1920:
	global_load_dword v14, v[12:13], off
	s_waitcnt vmcnt(0)
	v_cvt_f32_f16_e32 v15, v14
	v_cvt_f32_f16_sdwa v16, v14 dst_sel:DWORD dst_unused:UNUSED_PAD src0_sel:WORD_1
	v_cvt_f64_f32_e32 v[14:15], v15
	v_cvt_f64_f32_e32 v[16:17], v16
.LBB169_1921:
	s_mov_b64 s[0:1], 0
.LBB169_1922:
	s_andn2_b64 vcc, exec, s[0:1]
	s_cbranch_vccnz .LBB169_1940
; %bb.1923:
	s_cmp_lt_i32 s2, 6
	s_cbranch_scc1 .LBB169_1926
; %bb.1924:
	s_cmp_gt_i32 s2, 6
	s_cbranch_scc0 .LBB169_1933
; %bb.1925:
	global_load_dwordx2 v[14:15], v[12:13], off
	s_mov_b64 s[0:1], 0
	s_branch .LBB169_1934
.LBB169_1926:
	s_mov_b64 s[0:1], -1
                                        ; implicit-def: $vgpr14_vgpr15
	s_branch .LBB169_1937
.LBB169_1927:
	s_mov_b64 s[0:1], -1
                                        ; implicit-def: $vgpr14_vgpr15
.LBB169_1928:
	s_mov_b64 s[10:11], 0
.LBB169_1929:
	s_and_b64 vcc, exec, s[10:11]
	s_cbranch_vccz .LBB169_1931
; %bb.1930:
	s_cmp_lg_u32 s14, 11
	s_mov_b64 s[2:3], -1
	s_cselect_b64 s[0:1], -1, 0
.LBB169_1931:
	v_mov_b64_e32 v[16:17], 0
	s_and_b64 vcc, exec, s[0:1]
	s_cbranch_vccz .LBB169_1889
.LBB169_1932:
	s_trap 2
	s_or_b64 s[8:9], s[8:9], exec
	s_cbranch_execz .LBB169_1890
	s_branch .LBB169_1891
.LBB169_1933:
	s_mov_b64 s[0:1], -1
                                        ; implicit-def: $vgpr14_vgpr15
.LBB169_1934:
	s_andn2_b64 vcc, exec, s[0:1]
	s_cbranch_vccnz .LBB169_1936
; %bb.1935:
	global_load_dword v14, v[12:13], off
	s_waitcnt vmcnt(0)
	v_cvt_f64_f32_e32 v[14:15], v14
.LBB169_1936:
	s_mov_b64 s[0:1], 0
.LBB169_1937:
	s_andn2_b64 vcc, exec, s[0:1]
	s_cbranch_vccnz .LBB169_1939
; %bb.1938:
	global_load_ushort v14, v[12:13], off
	s_waitcnt vmcnt(0)
	v_cvt_f32_f16_e32 v14, v14
	v_cvt_f64_f32_e32 v[14:15], v14
.LBB169_1939:
	s_waitcnt vmcnt(0)
	v_mov_b64_e32 v[16:17], 0
.LBB169_1940:
	s_mov_b64 s[0:1], 0
.LBB169_1941:
	s_andn2_b64 vcc, exec, s[0:1]
	s_cbranch_vccnz .LBB169_1962
; %bb.1942:
	s_cmp_lt_i32 s2, 2
	s_cbranch_scc1 .LBB169_1946
; %bb.1943:
	s_cmp_lt_i32 s2, 3
	s_cbranch_scc1 .LBB169_1947
; %bb.1944:
	s_cmp_gt_i32 s2, 3
	s_cbranch_scc0 .LBB169_1948
; %bb.1945:
	global_load_dwordx2 v[14:15], v[12:13], off
	s_mov_b64 s[0:1], 0
	s_waitcnt vmcnt(0)
	v_cvt_f64_i32_e32 v[16:17], v15
	v_cvt_f64_u32_e32 v[14:15], v14
	v_ldexp_f64 v[16:17], v[16:17], 32
	v_add_f64 v[14:15], v[16:17], v[14:15]
	s_branch .LBB169_1949
.LBB169_1946:
	s_mov_b64 s[0:1], -1
                                        ; implicit-def: $vgpr14_vgpr15
	s_branch .LBB169_1955
.LBB169_1947:
	s_mov_b64 s[0:1], -1
                                        ; implicit-def: $vgpr14_vgpr15
	s_branch .LBB169_1952
.LBB169_1948:
	s_mov_b64 s[0:1], -1
                                        ; implicit-def: $vgpr14_vgpr15
.LBB169_1949:
	s_andn2_b64 vcc, exec, s[0:1]
	s_cbranch_vccnz .LBB169_1951
; %bb.1950:
	global_load_dword v14, v[12:13], off
	s_waitcnt vmcnt(0)
	v_cvt_f64_i32_e32 v[14:15], v14
.LBB169_1951:
	s_mov_b64 s[0:1], 0
.LBB169_1952:
	s_andn2_b64 vcc, exec, s[0:1]
	s_cbranch_vccnz .LBB169_1954
; %bb.1953:
	global_load_sshort v14, v[12:13], off
	s_waitcnt vmcnt(0)
	v_cvt_f64_i32_e32 v[14:15], v14
.LBB169_1954:
	s_mov_b64 s[0:1], 0
.LBB169_1955:
	s_andn2_b64 vcc, exec, s[0:1]
	s_cbranch_vccnz .LBB169_1961
; %bb.1956:
	s_cmp_gt_i32 s2, 0
	s_cbranch_scc0 .LBB169_1958
; %bb.1957:
	global_load_sbyte v14, v[12:13], off
	s_mov_b64 s[0:1], 0
	s_waitcnt vmcnt(0)
	v_cvt_f64_i32_e32 v[14:15], v14
	s_branch .LBB169_1959
.LBB169_1958:
	s_mov_b64 s[0:1], -1
                                        ; implicit-def: $vgpr14_vgpr15
.LBB169_1959:
	s_andn2_b64 vcc, exec, s[0:1]
	s_cbranch_vccnz .LBB169_1961
; %bb.1960:
	global_load_ubyte v12, v[12:13], off
	s_waitcnt vmcnt(0)
	v_cvt_f64_u32_e32 v[14:15], v12
.LBB169_1961:
	s_waitcnt vmcnt(0)
	v_mov_b64_e32 v[16:17], 0
.LBB169_1962:
	s_mov_b64 s[6:7], -1
.LBB169_1963:
	s_andn2_b64 vcc, exec, s[6:7]
	s_cbranch_vccnz .LBB169_1976
; %bb.1964:
	s_waitcnt vmcnt(0)
	v_cmp_neq_f64_e32 vcc, 0, v[14:15]
	v_cmp_neq_f64_e64 s[0:1], 0, v[16:17]
	v_mov_b64_e32 v[26:27], 0
	s_or_b64 s[0:1], vcc, s[0:1]
	s_and_saveexec_b64 s[6:7], s[0:1]
	s_cbranch_execz .LBB169_2040
; %bb.1965:
	v_mov_b32_e32 v26, 0
	v_mov_b32_e32 v27, 0x7ff00000
	v_cmp_neq_f64_e64 s[0:1], |v[16:17]|, v[26:27]
	s_and_saveexec_b64 s[10:11], s[0:1]
	s_cbranch_execz .LBB169_2039
; %bb.1966:
	v_cmp_o_f64_e32 vcc, v[14:15], v[14:15]
                                        ; implicit-def: $vgpr26_vgpr27
	s_and_saveexec_b64 s[0:1], vcc
	s_xor_b64 s[12:13], exec, s[0:1]
	s_cbranch_execz .LBB169_2036
; %bb.1967:
	s_mov_b32 s0, 0
	s_mov_b32 s1, 0x7ff00000
	v_cmp_neq_f64_e64 s[0:1], |v[14:15]|, s[0:1]
                                        ; implicit-def: $vgpr26_vgpr27
	s_and_saveexec_b64 s[2:3], s[0:1]
	s_xor_b64 s[14:15], exec, s[2:3]
	s_cbranch_execz .LBB169_2029
; %bb.1968:
	v_max_f64 v[12:13], |v[16:17]|, |v[16:17]|
	v_max_f64 v[26:27], |v[14:15]|, |v[14:15]|
	s_mov_b32 s0, 0x99fcef32
	v_max_f64 v[12:13], v[26:27], v[12:13]
	s_mov_b32 s1, 0x7fda8279
	v_cmp_nle_f64_e64 s[0:1], s[0:1], v[12:13]
                                        ; implicit-def: $sgpr16_sgpr17
	s_and_saveexec_b64 s[2:3], s[0:1]
	s_xor_b64 s[2:3], exec, s[2:3]
	s_cbranch_execz .LBB169_1972
; %bb.1969:
	s_mov_b32 s16, 0
	s_mov_b32 s17, 0x200000
	v_cmp_le_f64_e64 s[18:19], |v[14:15]|, s[16:17]
	v_cmp_le_f64_e64 s[16:17], |v[16:17]|, s[16:17]
	s_and_b64 s[20:21], s[18:19], s[16:17]
	s_mov_b64 s[16:17], 0
	s_and_saveexec_b64 s[18:19], s[20:21]
; %bb.1970:
	s_mov_b64 s[16:17], exec
	v_mul_f64 v[16:17], v[16:17], 4.0
	v_mul_f64 v[14:15], v[14:15], 4.0
; %bb.1971:
	s_or_b64 exec, exec, s[18:19]
.LBB169_1972:
	s_andn2_saveexec_b64 s[2:3], s[2:3]
; %bb.1973:
	v_ldexp_f64 v[14:15], v[14:15], -2
	v_ldexp_f64 v[16:17], v[16:17], -2
	s_andn2_b64 s[16:17], s[16:17], exec
; %bb.1974:
	s_or_b64 exec, exec, s[2:3]
	v_max_f64 v[12:13], |v[16:17]|, |v[16:17]|
	v_max_f64 v[26:27], |v[14:15]|, |v[14:15]|
	v_max_f64 v[12:13], v[26:27], v[12:13]
	v_frexp_exp_i32_f64_e32 v19, v[12:13]
	v_sub_u32_e32 v21, 0, v19
	v_ldexp_f64 v[26:27], |v[16:17]|, v21
	v_ldexp_f64 v[12:13], |v[14:15]|, v21
	v_mul_f64 v[26:27], v[26:27], v[26:27]
	v_fmac_f64_e32 v[26:27], v[12:13], v[12:13]
	v_rsq_f64_e32 v[12:13], v[26:27]
	v_cmp_eq_f64_e64 s[2:3], 0, v[26:27]
	s_movk_i32 s18, 0x204
	v_cmp_le_f64_e32 vcc, 0, v[14:15]
	v_mul_f64 v[28:29], v[26:27], v[12:13]
	v_mul_f64 v[12:13], v[12:13], 0.5
	v_fma_f64 v[30:31], -v[12:13], v[28:29], 0.5
	v_fmac_f64_e32 v[28:29], v[28:29], v[30:31]
	v_fmac_f64_e32 v[12:13], v[12:13], v[30:31]
	v_fma_f64 v[30:31], -v[28:29], v[28:29], v[26:27]
	v_fmac_f64_e32 v[28:29], v[30:31], v[12:13]
	v_cndmask_b32_e64 v13, v29, v27, s[2:3]
	v_cndmask_b32_e64 v12, v28, v26, s[2:3]
	v_ldexp_f64 v[12:13], v[12:13], v19
	v_cmp_o_f64_e64 s[2:3], v[16:17], v[16:17]
	v_mov_b32_e32 v19, 0x7ff80000
                                        ; implicit-def: $vgpr28_vgpr29
	s_nop 0
	v_cndmask_b32_e64 v12, 0, v12, s[2:3]
	v_cndmask_b32_e64 v13, v19, v13, s[2:3]
	v_cmp_class_f64_e64 s[2:3], v[14:15], s18
	v_cmp_class_f64_e64 s[18:19], v[16:17], s18
	v_mov_b32_e32 v19, 0x7ff00000
	s_or_b64 s[2:3], s[18:19], s[2:3]
	v_cndmask_b32_e64 v27, v13, v19, s[2:3]
	v_cndmask_b32_e64 v26, v12, 0, s[2:3]
                                        ; implicit-def: $vgpr12_vgpr13
	s_and_saveexec_b64 s[2:3], vcc
	s_xor_b64 s[2:3], exec, s[2:3]
	s_cbranch_execz .LBB169_2022
; %bb.1975:
	v_add_f64 v[12:13], v[14:15], v[26:27]
	s_mov_b32 s18, 0
	v_mul_f64 v[12:13], v[12:13], 0.5
	s_brev_b32 s19, 8
	v_mov_b32_e32 v14, 0x100
	v_cmp_gt_f64_e32 vcc, s[18:19], v[12:13]
	v_mov_b32_e32 v19, 0x260
	s_nop 0
	v_cndmask_b32_e32 v14, 0, v14, vcc
	v_ldexp_f64 v[12:13], v[12:13], v14
	v_rsq_f64_e32 v[14:15], v[12:13]
	s_nop 0
	v_mul_f64 v[26:27], v[12:13], v[14:15]
	v_mul_f64 v[14:15], v[14:15], 0.5
	v_fma_f64 v[28:29], -v[14:15], v[26:27], 0.5
	v_fmac_f64_e32 v[26:27], v[26:27], v[28:29]
	v_fma_f64 v[30:31], -v[26:27], v[26:27], v[12:13]
	v_fmac_f64_e32 v[14:15], v[14:15], v[28:29]
	v_fmac_f64_e32 v[26:27], v[30:31], v[14:15]
	v_fma_f64 v[28:29], -v[26:27], v[26:27], v[12:13]
	v_fmac_f64_e32 v[26:27], v[28:29], v[14:15]
	v_mov_b32_e32 v14, 0xffffff80
	v_cndmask_b32_e32 v14, 0, v14, vcc
	v_ldexp_f64 v[14:15], v[26:27], v14
	v_cmp_class_f64_e32 vcc, v[12:13], v19
	s_nop 1
	v_cndmask_b32_e32 v29, v15, v13, vcc
	v_cndmask_b32_e32 v28, v14, v12, vcc
	v_add_f64 v[12:13], v[28:29], v[28:29]
	v_div_scale_f64 v[14:15], s[18:19], v[12:13], v[12:13], v[16:17]
	v_rcp_f64_e32 v[26:27], v[14:15]
	s_nop 0
	v_fma_f64 v[30:31], -v[14:15], v[26:27], 1.0
	v_fmac_f64_e32 v[26:27], v[26:27], v[30:31]
	v_fma_f64 v[30:31], -v[14:15], v[26:27], 1.0
	v_fmac_f64_e32 v[26:27], v[26:27], v[30:31]
	v_div_scale_f64 v[30:31], vcc, v[16:17], v[12:13], v[16:17]
	v_mul_f64 v[32:33], v[30:31], v[26:27]
	v_fma_f64 v[14:15], -v[14:15], v[32:33], v[30:31]
	s_nop 1
	v_div_fmas_f64 v[14:15], v[14:15], v[26:27], v[32:33]
	v_div_fixup_f64 v[12:13], v[14:15], v[12:13], v[16:17]
                                        ; implicit-def: $vgpr26_vgpr27
                                        ; implicit-def: $vgpr14_vgpr15
	s_andn2_saveexec_b64 s[2:3], s[2:3]
	s_cbranch_execz .LBB169_2024
	s_branch .LBB169_2023
.LBB169_1976:
	s_mov_b64 s[0:1], 0
                                        ; implicit-def: $vgpr0_vgpr1
                                        ; implicit-def: $sgpr14
                                        ; implicit-def: $vgpr14_vgpr15
.LBB169_1977:
	s_mov_b64 s[2:3], 0
.LBB169_1978:
	s_and_b64 s[4:5], s[0:1], exec
	s_and_b64 s[40:41], s[2:3], exec
	s_andn2_b64 s[0:1], s[24:25], exec
	s_and_b64 s[2:3], s[8:9], exec
	s_or_b64 s[24:25], s[0:1], s[2:3]
.LBB169_1979:
	s_or_b64 exec, exec, s[26:27]
	s_and_saveexec_b64 s[0:1], s[24:25]
	s_cbranch_execz .LBB169_1982
; %bb.1980:
	; divergent unreachable
	s_or_b64 exec, exec, s[0:1]
	s_and_saveexec_b64 s[0:1], s[40:41]
	s_xor_b64 s[2:3], exec, s[0:1]
	s_cbranch_execnz .LBB169_1983
.LBB169_1981:
	s_or_b64 exec, exec, s[2:3]
	s_and_saveexec_b64 s[0:1], s[4:5]
	s_cbranch_execnz .LBB169_1984
	s_branch .LBB169_2021
.LBB169_1982:
	s_or_b64 exec, exec, s[0:1]
	s_and_saveexec_b64 s[0:1], s[40:41]
	s_xor_b64 s[2:3], exec, s[0:1]
	s_cbranch_execz .LBB169_1981
.LBB169_1983:
	s_waitcnt vmcnt(0)
	v_cmp_neq_f64_e32 vcc, 0, v[12:13]
	v_cmp_neq_f64_e64 s[0:1], 0, v[14:15]
	s_or_b64 s[0:1], vcc, s[0:1]
	s_nop 0
	v_cndmask_b32_e64 v2, 0, 1, s[0:1]
	global_store_byte v[0:1], v2, off
	s_or_b64 exec, exec, s[2:3]
	s_and_saveexec_b64 s[0:1], s[4:5]
	s_cbranch_execz .LBB169_2021
.LBB169_1984:
	s_sext_i32_i16 s2, s14
	s_cmp_lt_i32 s2, 5
	s_mov_b64 s[0:1], -1
	s_cbranch_scc1 .LBB169_2005
; %bb.1985:
	s_cmp_lt_i32 s2, 8
	s_cbranch_scc1 .LBB169_1995
; %bb.1986:
	s_cmp_lt_i32 s2, 9
	s_cbranch_scc1 .LBB169_1992
; %bb.1987:
	s_cmp_gt_i32 s2, 9
	s_cbranch_scc0 .LBB169_1989
; %bb.1988:
	s_waitcnt vmcnt(0)
	global_store_dwordx4 v[0:1], v[12:15], off
	s_mov_b64 s[0:1], 0
.LBB169_1989:
	s_andn2_b64 vcc, exec, s[0:1]
	s_cbranch_vccnz .LBB169_1991
; %bb.1990:
	s_waitcnt vmcnt(0)
	v_cvt_f32_f64_e32 v2, v[12:13]
	v_cvt_f32_f64_e32 v3, v[14:15]
	global_store_dwordx2 v[0:1], v[2:3], off
.LBB169_1991:
	s_mov_b64 s[0:1], 0
.LBB169_1992:
	s_andn2_b64 vcc, exec, s[0:1]
	s_cbranch_vccnz .LBB169_1994
; %bb.1993:
	s_movk_i32 s0, 0x1ff
	s_waitcnt vmcnt(0)
	v_and_or_b32 v2, v13, s0, v12
	v_cmp_ne_u32_e32 vcc, 0, v2
	v_lshrrev_b32_e32 v3, 8, v13
	s_movk_i32 s1, 0xffe
	v_cndmask_b32_e64 v2, 0, 1, vcc
	v_bfe_u32 v4, v13, 20, 11
	v_and_or_b32 v2, v3, s1, v2
	v_sub_u32_e32 v5, 0x3f1, v4
	v_or_b32_e32 v3, 0x1000, v2
	v_med3_i32 v5, v5, 0, 13
	v_lshrrev_b32_e32 v6, v5, v3
	v_lshlrev_b32_e32 v5, v5, v6
	v_cmp_ne_u32_e32 vcc, v5, v3
	v_add_u32_e32 v4, 0xfffffc10, v4
	v_lshl_or_b32 v5, v4, 12, v2
	v_cndmask_b32_e64 v3, 0, 1, vcc
	v_or_b32_e32 v3, v6, v3
	v_cmp_gt_i32_e32 vcc, 1, v4
	s_movk_i32 s2, 0x40f
	v_lshrrev_b32_e32 v7, 8, v15
	v_cndmask_b32_e32 v3, v5, v3, vcc
	v_and_b32_e32 v5, 7, v3
	v_cmp_lt_i32_e32 vcc, 5, v5
	v_lshrrev_b32_e32 v3, 2, v3
	v_bfe_u32 v8, v15, 20, 11
	v_cndmask_b32_e64 v6, 0, 1, vcc
	v_cmp_eq_u32_e32 vcc, 3, v5
	v_sub_u32_e32 v9, 0x3f1, v8
	v_med3_i32 v9, v9, 0, 13
	v_cndmask_b32_e64 v5, 0, 1, vcc
	v_or_b32_e32 v5, v5, v6
	v_add_u32_e32 v3, v3, v5
	v_mov_b32_e32 v5, 0x7c00
	v_cmp_gt_i32_e32 vcc, 31, v4
	v_mov_b32_e32 v6, 0x7e00
	v_add_u32_e32 v8, 0xfffffc10, v8
	v_cndmask_b32_e32 v3, v5, v3, vcc
	v_cmp_ne_u32_e32 vcc, 0, v2
	s_mov_b32 s3, 0x8000
	s_nop 0
	v_cndmask_b32_e32 v2, v5, v6, vcc
	v_cmp_eq_u32_e32 vcc, s2, v4
	v_and_or_b32 v4, v15, s0, v14
	s_mov_b32 s0, 0xffff
	v_cndmask_b32_e32 v2, v3, v2, vcc
	v_cmp_ne_u32_e32 vcc, 0, v4
	v_and_b32_sdwa v3, v13, s3 dst_sel:DWORD dst_unused:UNUSED_PAD src0_sel:WORD_1 src1_sel:DWORD
	v_bitop3_b32 v2, v3, s0, v2 bitop3:0xc8
	v_cndmask_b32_e64 v4, 0, 1, vcc
	v_and_or_b32 v4, v7, s1, v4
	v_or_b32_e32 v7, 0x1000, v4
	v_lshrrev_b32_e32 v10, v9, v7
	v_lshlrev_b32_e32 v9, v9, v10
	v_cmp_ne_u32_e32 vcc, v9, v7
	v_lshl_or_b32 v9, v8, 12, v4
	s_nop 0
	v_cndmask_b32_e64 v7, 0, 1, vcc
	v_or_b32_e32 v7, v10, v7
	v_cmp_gt_i32_e32 vcc, 1, v8
	s_nop 1
	v_cndmask_b32_e32 v7, v9, v7, vcc
	v_and_b32_e32 v9, 7, v7
	v_cmp_lt_i32_e32 vcc, 5, v9
	v_lshrrev_b32_e32 v7, 2, v7
	s_nop 0
	v_cndmask_b32_e64 v10, 0, 1, vcc
	v_cmp_eq_u32_e32 vcc, 3, v9
	s_nop 1
	v_cndmask_b32_e64 v9, 0, 1, vcc
	v_or_b32_e32 v9, v9, v10
	v_add_u32_e32 v7, v7, v9
	v_cmp_gt_i32_e32 vcc, 31, v8
	s_nop 1
	v_cndmask_b32_e32 v7, v5, v7, vcc
	v_cmp_ne_u32_e32 vcc, 0, v4
	s_nop 1
	v_cndmask_b32_e32 v4, v5, v6, vcc
	v_cmp_eq_u32_e32 vcc, s2, v8
	v_lshrrev_b32_e32 v5, 16, v15
	s_nop 0
	v_cndmask_b32_e32 v4, v7, v4, vcc
	v_and_or_b32 v4, v5, s3, v4
	v_lshl_or_b32 v2, v4, 16, v2
	global_store_dword v[0:1], v2, off
.LBB169_1994:
	s_mov_b64 s[0:1], 0
.LBB169_1995:
	s_andn2_b64 vcc, exec, s[0:1]
	s_cbranch_vccnz .LBB169_2004
; %bb.1996:
	s_sext_i32_i16 s2, s14
	s_cmp_lt_i32 s2, 6
	s_mov_b64 s[0:1], -1
	s_cbranch_scc1 .LBB169_2002
; %bb.1997:
	s_cmp_gt_i32 s2, 6
	s_cbranch_scc0 .LBB169_1999
; %bb.1998:
	s_waitcnt vmcnt(0)
	global_store_dwordx2 v[0:1], v[12:13], off
	s_mov_b64 s[0:1], 0
.LBB169_1999:
	s_andn2_b64 vcc, exec, s[0:1]
	s_cbranch_vccnz .LBB169_2001
; %bb.2000:
	s_waitcnt vmcnt(0)
	v_cvt_f32_f64_e32 v2, v[12:13]
	global_store_dword v[0:1], v2, off
.LBB169_2001:
	s_mov_b64 s[0:1], 0
.LBB169_2002:
	s_andn2_b64 vcc, exec, s[0:1]
	s_cbranch_vccnz .LBB169_2004
; %bb.2003:
	s_movk_i32 s0, 0x1ff
	s_waitcnt vmcnt(0)
	v_and_or_b32 v2, v13, s0, v12
	v_cmp_ne_u32_e32 vcc, 0, v2
	v_lshrrev_b32_e32 v3, 8, v13
	s_movk_i32 s0, 0xffe
	v_cndmask_b32_e64 v2, 0, 1, vcc
	v_bfe_u32 v4, v13, 20, 11
	v_and_or_b32 v2, v3, s0, v2
	v_sub_u32_e32 v5, 0x3f1, v4
	v_or_b32_e32 v3, 0x1000, v2
	v_med3_i32 v5, v5, 0, 13
	v_lshrrev_b32_e32 v6, v5, v3
	v_lshlrev_b32_e32 v5, v5, v6
	v_cmp_ne_u32_e32 vcc, v5, v3
	v_add_u32_e32 v4, 0xfffffc10, v4
	v_lshl_or_b32 v5, v4, 12, v2
	v_cndmask_b32_e64 v3, 0, 1, vcc
	v_or_b32_e32 v3, v6, v3
	v_cmp_gt_i32_e32 vcc, 1, v4
	s_movk_i32 s0, 0x40f
	s_nop 0
	v_cndmask_b32_e32 v3, v5, v3, vcc
	v_and_b32_e32 v5, 7, v3
	v_cmp_lt_i32_e32 vcc, 5, v5
	v_lshrrev_b32_e32 v3, 2, v3
	s_nop 0
	v_cndmask_b32_e64 v6, 0, 1, vcc
	v_cmp_eq_u32_e32 vcc, 3, v5
	s_nop 1
	v_cndmask_b32_e64 v5, 0, 1, vcc
	v_or_b32_e32 v5, v5, v6
	v_add_u32_e32 v3, v3, v5
	v_mov_b32_e32 v5, 0x7c00
	v_cmp_gt_i32_e32 vcc, 31, v4
	v_mov_b32_e32 v6, 0x7e00
	s_nop 0
	v_cndmask_b32_e32 v3, v5, v3, vcc
	v_cmp_ne_u32_e32 vcc, 0, v2
	s_nop 1
	v_cndmask_b32_e32 v2, v5, v6, vcc
	v_cmp_eq_u32_e32 vcc, s0, v4
	s_mov_b32 s0, 0x8000
	s_nop 0
	v_cndmask_b32_e32 v2, v3, v2, vcc
	v_lshrrev_b32_e32 v3, 16, v13
	v_and_or_b32 v2, v3, s0, v2
	global_store_short v[0:1], v2, off
.LBB169_2004:
	s_mov_b64 s[0:1], 0
.LBB169_2005:
	s_andn2_b64 vcc, exec, s[0:1]
	s_cbranch_vccnz .LBB169_2021
; %bb.2006:
	s_sext_i32_i16 s2, s14
	s_cmp_lt_i32 s2, 2
	s_mov_b64 s[0:1], -1
	s_cbranch_scc1 .LBB169_2016
; %bb.2007:
	s_cmp_lt_i32 s2, 3
	s_cbranch_scc1 .LBB169_2013
; %bb.2008:
	s_cmp_gt_i32 s2, 3
	s_cbranch_scc0 .LBB169_2010
; %bb.2009:
	s_waitcnt vmcnt(0)
	v_trunc_f64_e32 v[2:3], v[12:13]
	s_movk_i32 s0, 0xffe0
	v_ldexp_f64 v[4:5], v[2:3], s0
	v_floor_f64_e32 v[4:5], v[4:5]
	v_fmac_f64_e32 v[2:3], 0xc1f00000, v[4:5]
	v_cvt_i32_f64_e32 v7, v[4:5]
	v_cvt_u32_f64_e32 v6, v[2:3]
	global_store_dwordx2 v[0:1], v[6:7], off
	s_mov_b64 s[0:1], 0
.LBB169_2010:
	s_andn2_b64 vcc, exec, s[0:1]
	s_cbranch_vccnz .LBB169_2012
; %bb.2011:
	s_waitcnt vmcnt(0)
	v_cvt_i32_f64_e32 v2, v[12:13]
	global_store_dword v[0:1], v2, off
.LBB169_2012:
	s_mov_b64 s[0:1], 0
.LBB169_2013:
	s_andn2_b64 vcc, exec, s[0:1]
	s_cbranch_vccnz .LBB169_2015
; %bb.2014:
	s_waitcnt vmcnt(0)
	v_cvt_i32_f64_e32 v2, v[12:13]
	global_store_short v[0:1], v2, off
.LBB169_2015:
	s_mov_b64 s[0:1], 0
.LBB169_2016:
	s_andn2_b64 vcc, exec, s[0:1]
	s_cbranch_vccnz .LBB169_2021
; %bb.2017:
	s_sext_i32_i16 s0, s14
	s_cmp_gt_i32 s0, 0
	s_mov_b64 s[0:1], -1
	s_cbranch_scc0 .LBB169_2019
; %bb.2018:
	s_waitcnt vmcnt(0)
	v_cvt_i32_f64_e32 v2, v[12:13]
	global_store_byte v[0:1], v2, off
	s_mov_b64 s[0:1], 0
.LBB169_2019:
	s_andn2_b64 vcc, exec, s[0:1]
	s_cbranch_vccnz .LBB169_2021
; %bb.2020:
	s_waitcnt vmcnt(0)
	v_trunc_f64_e32 v[2:3], v[12:13]
	s_movk_i32 s0, 0xffe0
	v_ldexp_f64 v[4:5], v[2:3], s0
	v_floor_f64_e32 v[4:5], v[4:5]
	v_fmac_f64_e32 v[2:3], 0xc1f00000, v[4:5]
	v_cvt_u32_f64_e32 v2, v[2:3]
	global_store_byte v[0:1], v2, off
	s_endpgm
.LBB169_2021:
	s_endpgm
.LBB169_2022:
	s_andn2_saveexec_b64 s[2:3], s[2:3]
	s_cbranch_execz .LBB169_2024
.LBB169_2023:
	v_add_f64 v[12:13], v[26:27], -v[14:15]
	s_mov_b32 s18, 0
	v_mul_f64 v[12:13], v[12:13], 0.5
	s_brev_b32 s19, 8
	v_mov_b32_e32 v14, 0x100
	v_cmp_gt_f64_e32 vcc, s[18:19], v[12:13]
	v_mov_b32_e32 v19, 0x260
	s_nop 0
	v_cndmask_b32_e32 v14, 0, v14, vcc
	v_ldexp_f64 v[12:13], v[12:13], v14
	v_rsq_f64_e32 v[14:15], v[12:13]
	s_nop 0
	v_mul_f64 v[26:27], v[12:13], v[14:15]
	v_mul_f64 v[14:15], v[14:15], 0.5
	v_fma_f64 v[28:29], -v[14:15], v[26:27], 0.5
	v_fmac_f64_e32 v[26:27], v[26:27], v[28:29]
	v_fma_f64 v[30:31], -v[26:27], v[26:27], v[12:13]
	v_fmac_f64_e32 v[14:15], v[14:15], v[28:29]
	v_fmac_f64_e32 v[26:27], v[30:31], v[14:15]
	v_fma_f64 v[28:29], -v[26:27], v[26:27], v[12:13]
	v_fmac_f64_e32 v[26:27], v[28:29], v[14:15]
	v_mov_b32_e32 v14, 0xffffff80
	v_cndmask_b32_e32 v14, 0, v14, vcc
	v_ldexp_f64 v[14:15], v[26:27], v14
	v_cmp_class_f64_e32 vcc, v[12:13], v19
	v_and_b32_e32 v27, 0x7fffffff, v17
	v_mov_b32_e32 v26, v16
	v_cndmask_b32_e32 v13, v15, v13, vcc
	v_cndmask_b32_e32 v12, v14, v12, vcc
	v_add_f64 v[14:15], v[12:13], v[12:13]
	v_div_scale_f64 v[28:29], s[18:19], v[14:15], v[14:15], v[26:27]
	v_rcp_f64_e32 v[30:31], v[28:29]
	v_div_scale_f64 v[26:27], vcc, v[26:27], v[14:15], v[26:27]
	s_brev_b32 s18, -2
	v_fma_f64 v[32:33], -v[28:29], v[30:31], 1.0
	v_fmac_f64_e32 v[30:31], v[30:31], v[32:33]
	v_fma_f64 v[32:33], -v[28:29], v[30:31], 1.0
	v_fmac_f64_e32 v[30:31], v[30:31], v[32:33]
	v_mul_f64 v[32:33], v[26:27], v[30:31]
	v_fma_f64 v[26:27], -v[28:29], v[32:33], v[26:27]
	v_div_fmas_f64 v[26:27], v[26:27], v[30:31], v[32:33]
	v_div_fixup_f64 v[28:29], v[26:27], v[14:15], |v[16:17]|
	v_bfi_b32 v13, s18, v13, v17
.LBB169_2024:
	s_or_b64 exec, exec, s[2:3]
                                        ; implicit-def: $vgpr16_vgpr17
                                        ; implicit-def: $vgpr26_vgpr27
	s_and_saveexec_b64 s[2:3], s[0:1]
	s_xor_b64 s[0:1], exec, s[2:3]
	s_cbranch_execz .LBB169_2026
; %bb.2025:
	v_mul_f64 v[14:15], v[28:29], 0.5
	v_mul_f64 v[16:17], v[12:13], 0.5
	v_cndmask_b32_e64 v27, v29, v15, s[16:17]
	v_cndmask_b32_e64 v26, v28, v14, s[16:17]
	;; [unrolled: 1-line block ×4, first 2 shown]
                                        ; implicit-def: $vgpr28_vgpr29
                                        ; implicit-def: $vgpr12_vgpr13
	s_andn2_saveexec_b64 s[0:1], s[0:1]
	s_cbranch_execnz .LBB169_2027
	s_branch .LBB169_2028
.LBB169_2026:
	s_andn2_saveexec_b64 s[0:1], s[0:1]
.LBB169_2027:
	v_add_f64 v[26:27], v[28:29], v[28:29]
	v_add_f64 v[16:17], v[12:13], v[12:13]
.LBB169_2028:
	s_or_b64 exec, exec, s[0:1]
.LBB169_2029:
	s_andn2_saveexec_b64 s[0:1], s[14:15]
	s_cbranch_execz .LBB169_2035
; %bb.2030:
	v_add_f64 v[12:13], v[16:17], -v[16:17]
	v_cmp_lt_i64_e32 vcc, -1, v[14:15]
	s_brev_b32 s14, -2
	v_and_b32_e32 v27, 0x7fffffff, v13
	v_mov_b32_e32 v26, v12
	s_and_saveexec_b64 s[2:3], vcc
	s_xor_b64 s[2:3], exec, s[2:3]
; %bb.2031:
	v_bfi_b32 v13, s14, v13, v17
	v_mov_b64_e32 v[16:17], v[12:13]
	v_mov_b64_e32 v[26:27], v[14:15]
; %bb.2032:
	s_andn2_saveexec_b64 s[2:3], s[2:3]
; %bb.2033:
	v_bfi_b32 v15, s14, v15, v17
	v_mov_b64_e32 v[16:17], v[14:15]
; %bb.2034:
	s_or_b64 exec, exec, s[2:3]
.LBB169_2035:
	s_or_b64 exec, exec, s[0:1]
.LBB169_2036:
	s_andn2_saveexec_b64 s[0:1], s[12:13]
	s_cbranch_execz .LBB169_2038
; %bb.2037:
	v_add_f64 v[12:13], v[16:17], -v[16:17]
	v_div_scale_f64 v[16:17], vcc, v[12:13], v[12:13], v[12:13]
	v_rcp_f64_e32 v[26:27], v[16:17]
	s_nop 0
	v_fma_f64 v[28:29], -v[16:17], v[26:27], 1.0
	v_fmac_f64_e32 v[26:27], v[26:27], v[28:29]
	v_fma_f64 v[28:29], -v[16:17], v[26:27], 1.0
	v_fmac_f64_e32 v[26:27], v[26:27], v[28:29]
	v_mul_f64 v[28:29], v[16:17], v[26:27]
	v_fma_f64 v[16:17], -v[16:17], v[28:29], v[16:17]
	v_div_fmas_f64 v[16:17], v[16:17], v[26:27], v[28:29]
	v_div_fixup_f64 v[16:17], v[16:17], v[12:13], v[12:13]
	v_mov_b64_e32 v[26:27], v[14:15]
.LBB169_2038:
	s_or_b64 exec, exec, s[0:1]
.LBB169_2039:
	s_or_b64 exec, exec, s[10:11]
.LBB169_2040:
	s_or_b64 exec, exec, s[6:7]
	v_xor_b32_e32 v12, 0x80000000, v27
	v_cmp_gt_f64_e32 vcc, 0, v[26:27]
	v_mov_b32_e32 v30, v26
	v_mov_b32_e32 v28, v16
	v_cndmask_b32_e32 v31, v27, v12, vcc
	v_xor_b32_e32 v12, 0x80000000, v17
	v_cmp_gt_f64_e32 vcc, 0, v[16:17]
	s_nop 1
	v_cndmask_b32_e32 v29, v17, v12, vcc
	v_cmp_ge_f64_e32 vcc, v[30:31], v[28:29]
                                        ; implicit-def: $vgpr14_vgpr15
	s_and_saveexec_b64 s[0:1], vcc
	s_xor_b64 s[2:3], exec, s[0:1]
	s_cbranch_execz .LBB169_2046
; %bb.2041:
	v_cmp_neq_f64_e32 vcc, 0, v[26:27]
	v_cmp_neq_f64_e64 s[0:1], 0, v[16:17]
	s_or_b64 s[0:1], vcc, s[0:1]
                                        ; implicit-def: $vgpr14_vgpr15
	s_and_saveexec_b64 s[6:7], s[0:1]
	s_xor_b64 s[0:1], exec, s[6:7]
	s_cbranch_execz .LBB169_2043
; %bb.2042:
	v_div_scale_f64 v[12:13], s[6:7], v[26:27], v[26:27], v[16:17]
	v_rcp_f64_e32 v[14:15], v[12:13]
	v_div_scale_f64 v[28:29], vcc, v[16:17], v[26:27], v[16:17]
	v_fma_f64 v[30:31], -v[12:13], v[14:15], 1.0
	v_fmac_f64_e32 v[14:15], v[14:15], v[30:31]
	v_fma_f64 v[30:31], -v[12:13], v[14:15], 1.0
	v_fmac_f64_e32 v[14:15], v[14:15], v[30:31]
	v_mul_f64 v[30:31], v[28:29], v[14:15]
	v_fma_f64 v[12:13], -v[12:13], v[30:31], v[28:29]
	v_div_fmas_f64 v[12:13], v[12:13], v[14:15], v[30:31]
	v_div_fixup_f64 v[14:15], v[12:13], v[26:27], v[16:17]
	v_fmac_f64_e32 v[26:27], v[16:17], v[14:15]
	v_div_scale_f64 v[12:13], s[6:7], v[26:27], v[26:27], 1.0
	v_rcp_f64_e32 v[16:17], v[12:13]
	s_nop 0
	v_fma_f64 v[28:29], -v[12:13], v[16:17], 1.0
	v_fmac_f64_e32 v[16:17], v[16:17], v[28:29]
	v_fma_f64 v[28:29], -v[12:13], v[16:17], 1.0
	v_fmac_f64_e32 v[16:17], v[16:17], v[28:29]
	v_div_scale_f64 v[28:29], vcc, 1.0, v[26:27], 1.0
	v_mul_f64 v[30:31], v[28:29], v[16:17]
	v_fma_f64 v[12:13], -v[12:13], v[30:31], v[28:29]
                                        ; implicit-def: $vgpr28_vgpr29
	s_nop 1
	v_div_fmas_f64 v[12:13], v[12:13], v[16:17], v[30:31]
	v_div_fixup_f64 v[16:17], v[12:13], v[26:27], 1.0
	v_fma_f64 v[12:13], v[14:15], 0, 1.0
	v_add_f64 v[14:15], -v[14:15], 0
	v_mul_f64 v[12:13], v[12:13], v[16:17]
	v_mul_f64 v[14:15], v[14:15], v[16:17]
                                        ; implicit-def: $vgpr30_vgpr31
.LBB169_2043:
	s_andn2_saveexec_b64 s[0:1], s[0:1]
	s_cbranch_execz .LBB169_2045
; %bb.2044:
	v_div_scale_f64 v[12:13], s[6:7], v[30:31], v[30:31], 1.0
	v_rcp_f64_e32 v[14:15], v[12:13]
	v_div_scale_f64 v[16:17], vcc, 1.0, v[30:31], 1.0
	v_fma_f64 v[26:27], -v[12:13], v[14:15], 1.0
	v_fmac_f64_e32 v[14:15], v[14:15], v[26:27]
	v_fma_f64 v[26:27], -v[12:13], v[14:15], 1.0
	v_fmac_f64_e32 v[14:15], v[14:15], v[26:27]
	v_mul_f64 v[26:27], v[16:17], v[14:15]
	v_fma_f64 v[12:13], -v[12:13], v[26:27], v[16:17]
	v_div_scale_f64 v[16:17], s[6:7], v[28:29], v[28:29], 0
	v_rcp_f64_e32 v[32:33], v[16:17]
	v_div_fmas_f64 v[12:13], v[12:13], v[14:15], v[26:27]
	v_div_fixup_f64 v[12:13], v[12:13], v[30:31], 1.0
	v_fma_f64 v[14:15], -v[16:17], v[32:33], 1.0
	v_fmac_f64_e32 v[32:33], v[32:33], v[14:15]
	v_fma_f64 v[14:15], -v[16:17], v[32:33], 1.0
	v_fmac_f64_e32 v[32:33], v[32:33], v[14:15]
	v_div_scale_f64 v[14:15], vcc, 0, v[28:29], 0
	v_mul_f64 v[26:27], v[14:15], v[32:33]
	v_fma_f64 v[14:15], -v[16:17], v[26:27], v[14:15]
	s_nop 1
	v_div_fmas_f64 v[14:15], v[14:15], v[32:33], v[26:27]
	v_div_fixup_f64 v[14:15], v[14:15], v[28:29], 0
.LBB169_2045:
	s_or_b64 exec, exec, s[0:1]
                                        ; implicit-def: $vgpr16_vgpr17
                                        ; implicit-def: $vgpr26_vgpr27
.LBB169_2046:
	s_andn2_saveexec_b64 s[0:1], s[2:3]
	s_cbranch_execz .LBB169_2048
; %bb.2047:
	v_div_scale_f64 v[12:13], s[2:3], v[16:17], v[16:17], v[26:27]
	v_rcp_f64_e32 v[14:15], v[12:13]
	v_div_scale_f64 v[28:29], vcc, v[26:27], v[16:17], v[26:27]
	v_fma_f64 v[30:31], -v[12:13], v[14:15], 1.0
	v_fmac_f64_e32 v[14:15], v[14:15], v[30:31]
	v_fma_f64 v[30:31], -v[12:13], v[14:15], 1.0
	v_fmac_f64_e32 v[14:15], v[14:15], v[30:31]
	v_mul_f64 v[30:31], v[28:29], v[14:15]
	v_fma_f64 v[12:13], -v[12:13], v[30:31], v[28:29]
	v_div_fmas_f64 v[12:13], v[12:13], v[14:15], v[30:31]
	v_div_fixup_f64 v[14:15], v[12:13], v[16:17], v[26:27]
	v_fmac_f64_e32 v[16:17], v[26:27], v[14:15]
	v_div_scale_f64 v[12:13], s[2:3], v[16:17], v[16:17], 1.0
	v_rcp_f64_e32 v[26:27], v[12:13]
	s_nop 0
	v_fma_f64 v[28:29], -v[12:13], v[26:27], 1.0
	v_fmac_f64_e32 v[26:27], v[26:27], v[28:29]
	v_fma_f64 v[28:29], -v[12:13], v[26:27], 1.0
	v_fmac_f64_e32 v[26:27], v[26:27], v[28:29]
	v_div_scale_f64 v[28:29], vcc, 1.0, v[16:17], 1.0
	v_mul_f64 v[30:31], v[28:29], v[26:27]
	v_fma_f64 v[12:13], -v[12:13], v[30:31], v[28:29]
	s_nop 1
	v_div_fmas_f64 v[12:13], v[12:13], v[26:27], v[30:31]
	v_div_fixup_f64 v[16:17], v[12:13], v[16:17], 1.0
	v_add_f64 v[12:13], v[14:15], 0
	v_fma_f64 v[14:15], v[14:15], 0, -1.0
	v_mul_f64 v[12:13], v[12:13], v[16:17]
	v_mul_f64 v[14:15], v[14:15], v[16:17]
.LBB169_2048:
	s_or_b64 exec, exec, s[0:1]
	s_bfe_u32 s14, s22, 0x80008
	v_mov_b32_e32 v25, 0
	s_cmp_lt_i32 s14, 11
	v_lshl_add_u64 v[16:17], s[4:5], 0, v[24:25]
	s_cbranch_scc1 .LBB169_2126
; %bb.2049:
	s_and_b32 s15, 0xffff, s14
	s_mov_b64 s[10:11], -1
	s_mov_b64 s[2:3], 0
	s_cmp_gt_i32 s15, 25
	s_mov_b64 s[6:7], 0
	s_mov_b64 s[0:1], 0
	s_cbranch_scc0 .LBB169_2082
; %bb.2050:
	s_cmp_gt_i32 s15, 28
	s_cbranch_scc0 .LBB169_2065
; %bb.2051:
	s_cmp_gt_i32 s15, 43
	;; [unrolled: 3-line block ×3, first 2 shown]
	s_cbranch_scc0 .LBB169_2055
; %bb.2053:
	s_mov_b64 s[0:1], -1
	s_mov_b64 s[10:11], 0
	s_cmp_eq_u32 s15, 46
	s_cbranch_scc0 .LBB169_2055
; %bb.2054:
	v_cvt_f32_f64_e32 v21, v[2:3]
	s_movk_i32 s0, 0x7fff
	v_bfe_u32 v24, v21, 16, 1
	v_cvt_f32_f64_e32 v19, v[0:1]
	v_add3_u32 v24, v21, v24, s0
	v_bfe_u32 v23, v19, 16, 1
	v_and_b32_e32 v24, 0xffff0000, v24
	v_mov_b32_e32 v25, 0x7fc00000
	v_cmp_o_f32_e32 vcc, v21, v21
	v_add3_u32 v23, v19, v23, s0
	s_mov_b64 s[0:1], 0
	v_cndmask_b32_e32 v21, v25, v24, vcc
	v_cmp_o_f32_e32 vcc, v19, v19
	v_mov_b32_e32 v19, 0x7fc0
	s_mov_b64 s[6:7], -1
	v_cndmask_b32_sdwa v19, v19, v23, vcc dst_sel:DWORD dst_unused:UNUSED_PAD src0_sel:DWORD src1_sel:WORD_1
	v_or_b32_e32 v19, v21, v19
	global_store_dword v[16:17], v19, off
.LBB169_2055:
	s_and_b64 vcc, exec, s[10:11]
	s_cbranch_vccz .LBB169_2060
; %bb.2056:
	s_cmp_eq_u32 s15, 44
	s_mov_b64 s[0:1], -1
	s_cbranch_scc0 .LBB169_2060
; %bb.2057:
	v_cvt_f32_f64_e32 v19, v[0:1]
	v_bfe_u32 v21, v19, 23, 8
	s_movk_i32 s0, 0xff
	v_cmp_ne_u32_e32 vcc, s0, v21
	v_mov_b32_e32 v23, 0xff
	s_and_saveexec_b64 s[6:7], vcc
; %bb.2058:
	s_mov_b32 s0, 0x3fffff
	v_lshrrev_b32_e32 v23, 23, v19
	v_and_b32_e32 v24, 0x400000, v19
	v_and_or_b32 v19, v19, s0, v21
	v_cmp_ne_u32_e32 vcc, 0, v24
	v_cmp_ne_u32_e64 s[0:1], 0, v19
	s_and_b64 s[0:1], vcc, s[0:1]
	s_nop 0
	v_cndmask_b32_e64 v19, 0, 1, s[0:1]
	v_add_u32_e32 v23, v23, v19
; %bb.2059:
	s_or_b64 exec, exec, s[6:7]
	s_mov_b64 s[0:1], 0
	s_mov_b64 s[6:7], -1
	global_store_byte v[16:17], v23, off
.LBB169_2060:
	s_mov_b64 s[10:11], 0
.LBB169_2061:
	s_and_b64 vcc, exec, s[10:11]
	s_cbranch_vccz .LBB169_2064
; %bb.2062:
	s_cmp_eq_u32 s15, 29
	s_mov_b64 s[0:1], -1
	s_cbranch_scc0 .LBB169_2064
; %bb.2063:
	v_trunc_f64_e32 v[24:25], v[0:1]
	s_movk_i32 s0, 0xffe0
	v_ldexp_f64 v[26:27], v[24:25], s0
	v_floor_f64_e32 v[26:27], v[26:27]
	v_fmac_f64_e32 v[24:25], 0xc1f00000, v[26:27]
	v_cvt_u32_f64_e32 v29, v[26:27]
	v_cvt_u32_f64_e32 v28, v[24:25]
	global_store_dwordx2 v[16:17], v[28:29], off
	s_mov_b64 s[0:1], 0
	s_mov_b64 s[6:7], -1
.LBB169_2064:
	s_mov_b64 s[10:11], 0
.LBB169_2065:
	s_and_b64 vcc, exec, s[10:11]
	s_cbranch_vccz .LBB169_2081
; %bb.2066:
	s_cmp_lt_i32 s15, 27
	s_mov_b64 s[6:7], -1
	s_cbranch_scc1 .LBB169_2072
; %bb.2067:
	s_cmp_gt_i32 s15, 27
	v_cvt_u32_f64_e32 v19, v[0:1]
	s_cbranch_scc0 .LBB169_2069
; %bb.2068:
	s_mov_b64 s[6:7], 0
	global_store_dword v[16:17], v19, off
.LBB169_2069:
	s_andn2_b64 vcc, exec, s[6:7]
	s_cbranch_vccnz .LBB169_2071
; %bb.2070:
	global_store_short v[16:17], v19, off
.LBB169_2071:
	s_mov_b64 s[6:7], 0
.LBB169_2072:
	s_andn2_b64 vcc, exec, s[6:7]
	s_cbranch_vccnz .LBB169_2080
; %bb.2073:
	v_cvt_f32_f64_e32 v19, v[0:1]
	v_and_b32_e32 v21, 0x7fffffff, v19
	s_mov_b32 s6, 0x43800000
	v_cmp_gt_u32_e32 vcc, s6, v21
	v_mov_b32_e32 v23, 0x80
	s_and_saveexec_b64 s[6:7], vcc
	s_cbranch_execz .LBB169_2079
; %bb.2074:
	s_mov_b32 s10, 0x3bffffff
	v_cmp_lt_u32_e32 vcc, s10, v21
	s_mov_b64 s[10:11], 0
                                        ; implicit-def: $vgpr21
	s_and_saveexec_b64 s[12:13], vcc
	s_xor_b64 s[12:13], exec, s[12:13]
	s_cbranch_execz .LBB169_2483
; %bb.2075:
	v_bfe_u32 v21, v19, 20, 1
	s_mov_b32 s16, 0x487ffff
	v_add3_u32 v21, v19, v21, s16
	s_mov_b64 s[10:11], exec
	v_lshrrev_b32_e32 v21, 20, v21
	s_andn2_saveexec_b64 s[12:13], s[12:13]
	s_cbranch_execnz .LBB169_2484
.LBB169_2076:
	s_or_b64 exec, exec, s[12:13]
	v_mov_b32_e32 v23, 0
	s_and_saveexec_b64 s[12:13], s[10:11]
.LBB169_2077:
	v_lshrrev_b32_e32 v19, 24, v19
	s_movk_i32 s10, 0x80
	v_and_or_b32 v23, v19, s10, v21
.LBB169_2078:
	s_or_b64 exec, exec, s[12:13]
.LBB169_2079:
	s_or_b64 exec, exec, s[6:7]
	global_store_byte v[16:17], v23, off
.LBB169_2080:
	s_mov_b64 s[6:7], -1
.LBB169_2081:
	s_mov_b64 s[10:11], 0
.LBB169_2082:
	s_and_b64 vcc, exec, s[10:11]
	s_cbranch_vccz .LBB169_2122
; %bb.2083:
	s_cmp_gt_i32 s15, 22
	s_mov_b64 s[2:3], -1
	s_cbranch_scc0 .LBB169_2115
; %bb.2084:
	s_cmp_lt_i32 s15, 24
	s_cbranch_scc1 .LBB169_2104
; %bb.2085:
	s_cmp_gt_i32 s15, 24
	s_cbranch_scc0 .LBB169_2093
; %bb.2086:
	v_cvt_f32_f64_e32 v19, v[0:1]
	v_and_b32_e32 v21, 0x7fffffff, v19
	s_mov_b32 s2, 0x47800000
	v_cmp_gt_u32_e32 vcc, s2, v21
	v_mov_b32_e32 v23, 0x80
	s_and_saveexec_b64 s[2:3], vcc
	s_cbranch_execz .LBB169_2092
; %bb.2087:
	s_mov_b32 s6, 0x37ffffff
	v_cmp_lt_u32_e32 vcc, s6, v21
	s_mov_b64 s[6:7], 0
                                        ; implicit-def: $vgpr21
	s_and_saveexec_b64 s[10:11], vcc
	s_xor_b64 s[10:11], exec, s[10:11]
	s_cbranch_execz .LBB169_2486
; %bb.2088:
	v_bfe_u32 v21, v19, 21, 1
	s_mov_b32 s12, 0x88fffff
	v_add3_u32 v21, v19, v21, s12
	s_mov_b64 s[6:7], exec
	v_lshrrev_b32_e32 v21, 21, v21
	s_andn2_saveexec_b64 s[10:11], s[10:11]
	s_cbranch_execnz .LBB169_2487
.LBB169_2089:
	s_or_b64 exec, exec, s[10:11]
	v_mov_b32_e32 v23, 0
	s_and_saveexec_b64 s[10:11], s[6:7]
.LBB169_2090:
	v_lshrrev_b32_e32 v19, 24, v19
	s_movk_i32 s6, 0x80
	v_and_or_b32 v23, v19, s6, v21
.LBB169_2091:
	s_or_b64 exec, exec, s[10:11]
.LBB169_2092:
	s_or_b64 exec, exec, s[2:3]
	s_mov_b64 s[2:3], 0
	global_store_byte v[16:17], v23, off
.LBB169_2093:
	s_and_b64 vcc, exec, s[2:3]
	s_cbranch_vccz .LBB169_2103
; %bb.2094:
	v_cvt_f32_f64_e32 v19, v[0:1]
	v_and_b32_e32 v23, 0x7fffffff, v19
	s_mov_b32 s2, 0x43f00000
	v_cmp_gt_u32_e32 vcc, s2, v23
                                        ; implicit-def: $vgpr21
	s_and_saveexec_b64 s[2:3], vcc
	s_xor_b64 s[2:3], exec, s[2:3]
	s_cbranch_execz .LBB169_2100
; %bb.2095:
	s_mov_b32 s6, 0x3c7fffff
	v_cmp_lt_u32_e32 vcc, s6, v23
                                        ; implicit-def: $vgpr21
	s_and_saveexec_b64 s[6:7], vcc
	s_xor_b64 s[6:7], exec, s[6:7]
; %bb.2096:
	v_bfe_u32 v21, v19, 20, 1
	s_mov_b32 s10, 0x407ffff
	v_add3_u32 v21, v19, v21, s10
	v_lshrrev_b32_e32 v23, 20, v21
	v_and_b32_e32 v21, 0xff00000, v21
	s_mov_b32 s10, 0x7f00000
	v_mov_b32_e32 v24, 0x7e
	v_cmp_ne_u32_e32 vcc, s10, v21
	s_nop 1
	v_cndmask_b32_e32 v21, v24, v23, vcc
; %bb.2097:
	s_andn2_saveexec_b64 s[6:7], s[6:7]
; %bb.2098:
	s_mov_b32 s10, 0x46800000
	v_add_f32_e64 v21, |v19|, s10
; %bb.2099:
	s_or_b64 exec, exec, s[6:7]
                                        ; implicit-def: $vgpr23
.LBB169_2100:
	s_andn2_saveexec_b64 s[2:3], s[2:3]
; %bb.2101:
	s_mov_b32 s6, 0x7f800000
	v_mov_b32_e32 v21, 0x7e
	v_mov_b32_e32 v24, 0x7f
	v_cmp_lt_u32_e32 vcc, s6, v23
	s_nop 1
	v_cndmask_b32_e32 v21, v21, v24, vcc
; %bb.2102:
	s_or_b64 exec, exec, s[2:3]
	v_lshrrev_b32_e32 v19, 24, v19
	s_movk_i32 s2, 0x80
	v_and_or_b32 v19, v19, s2, v21
	global_store_byte v[16:17], v19, off
.LBB169_2103:
	s_mov_b64 s[2:3], 0
.LBB169_2104:
	s_andn2_b64 vcc, exec, s[2:3]
	s_cbranch_vccnz .LBB169_2114
; %bb.2105:
	v_cvt_f32_f64_e32 v19, v[0:1]
	v_and_b32_e32 v23, 0x7fffffff, v19
	s_mov_b32 s2, 0x47800000
	v_cmp_gt_u32_e32 vcc, s2, v23
                                        ; implicit-def: $vgpr21
	s_and_saveexec_b64 s[2:3], vcc
	s_xor_b64 s[2:3], exec, s[2:3]
	s_cbranch_execz .LBB169_2111
; %bb.2106:
	s_mov_b32 s6, 0x387fffff
	v_cmp_lt_u32_e32 vcc, s6, v23
                                        ; implicit-def: $vgpr21
	s_and_saveexec_b64 s[6:7], vcc
	s_xor_b64 s[6:7], exec, s[6:7]
; %bb.2107:
	v_bfe_u32 v21, v19, 21, 1
	s_mov_b32 s10, 0x80fffff
	v_add3_u32 v21, v19, v21, s10
	v_lshrrev_b32_e32 v21, 21, v21
; %bb.2108:
	s_andn2_saveexec_b64 s[6:7], s[6:7]
; %bb.2109:
	s_mov_b32 s10, 0x43000000
	v_add_f32_e64 v21, |v19|, s10
; %bb.2110:
	s_or_b64 exec, exec, s[6:7]
                                        ; implicit-def: $vgpr23
.LBB169_2111:
	s_andn2_saveexec_b64 s[2:3], s[2:3]
; %bb.2112:
	s_mov_b32 s6, 0x7f800000
	v_mov_b32_e32 v21, 0x7c
	v_mov_b32_e32 v24, 0x7f
	v_cmp_lt_u32_e32 vcc, s6, v23
	s_nop 1
	v_cndmask_b32_e32 v21, v21, v24, vcc
; %bb.2113:
	s_or_b64 exec, exec, s[2:3]
	v_lshrrev_b32_e32 v19, 24, v19
	s_movk_i32 s2, 0x80
	v_and_or_b32 v19, v19, s2, v21
	global_store_byte v[16:17], v19, off
.LBB169_2114:
	s_mov_b64 s[2:3], 0
	s_mov_b64 s[6:7], -1
.LBB169_2115:
	s_andn2_b64 vcc, exec, s[2:3]
	s_mov_b64 s[2:3], 0
	s_cbranch_vccnz .LBB169_2122
; %bb.2116:
	s_cmp_gt_i32 s15, 14
	s_mov_b64 s[10:11], -1
	s_cbranch_scc0 .LBB169_2120
; %bb.2117:
	s_cmp_eq_u32 s15, 15
	s_mov_b64 s[0:1], -1
	s_cbranch_scc0 .LBB169_2119
; %bb.2118:
	v_cvt_f32_f64_e32 v19, v[0:1]
	v_bfe_u32 v21, v19, 16, 1
	s_movk_i32 s0, 0x7fff
	v_add3_u32 v21, v19, v21, s0
	v_cmp_o_f32_e32 vcc, v19, v19
	v_mov_b32_e32 v19, 0x7fc0
	s_mov_b64 s[0:1], 0
	v_cndmask_b32_sdwa v19, v19, v21, vcc dst_sel:DWORD dst_unused:UNUSED_PAD src0_sel:DWORD src1_sel:WORD_1
	global_store_short v[16:17], v19, off
	s_mov_b64 s[6:7], -1
.LBB169_2119:
	s_mov_b64 s[10:11], 0
.LBB169_2120:
	s_and_b64 vcc, exec, s[10:11]
	s_cbranch_vccz .LBB169_2122
; %bb.2121:
	s_cmp_lg_u32 s15, 11
	s_mov_b64 s[2:3], -1
	s_cselect_b64 s[0:1], -1, 0
.LBB169_2122:
	s_and_b64 vcc, exec, s[0:1]
	s_cbranch_vccnz .LBB169_2485
; %bb.2123:
	s_andn2_b64 vcc, exec, s[2:3]
	s_cbranch_vccnz .LBB169_2125
.LBB169_2124:
	v_cmp_neq_f64_e32 vcc, 0, v[0:1]
	v_cmp_neq_f64_e64 s[0:1], 0, v[2:3]
	s_or_b64 s[0:1], vcc, s[0:1]
	s_mov_b64 s[6:7], -1
	v_cndmask_b32_e64 v19, 0, 1, s[0:1]
	global_store_byte v[16:17], v19, off
.LBB169_2125:
	s_mov_b64 s[0:1], 0
	s_branch .LBB169_2127
.LBB169_2126:
	s_mov_b64 s[0:1], -1
	s_mov_b64 s[6:7], 0
.LBB169_2127:
	s_and_b64 vcc, exec, s[0:1]
	s_cbranch_vccz .LBB169_2166
; %bb.2128:
	s_and_b32 s2, 0xffff, s14
	s_cmp_lt_i32 s2, 5
	s_mov_b64 s[0:1], -1
	s_cbranch_scc1 .LBB169_2149
; %bb.2129:
	s_cmp_lt_i32 s2, 8
	s_cbranch_scc1 .LBB169_2139
; %bb.2130:
	s_cmp_lt_i32 s2, 9
	s_cbranch_scc1 .LBB169_2136
; %bb.2131:
	s_cmp_gt_i32 s2, 9
	s_cbranch_scc0 .LBB169_2133
; %bb.2132:
	global_store_dwordx4 v[16:17], v[0:3], off
	s_mov_b64 s[0:1], 0
.LBB169_2133:
	s_andn2_b64 vcc, exec, s[0:1]
	s_cbranch_vccnz .LBB169_2135
; %bb.2134:
	v_cvt_f32_f64_e32 v24, v[0:1]
	v_cvt_f32_f64_e32 v25, v[2:3]
	global_store_dwordx2 v[16:17], v[24:25], off
.LBB169_2135:
	s_mov_b64 s[0:1], 0
.LBB169_2136:
	s_andn2_b64 vcc, exec, s[0:1]
	s_cbranch_vccnz .LBB169_2138
; %bb.2137:
	s_movk_i32 s0, 0x1ff
	v_and_or_b32 v19, v1, s0, v0
	v_cmp_ne_u32_e32 vcc, 0, v19
	v_lshrrev_b32_e32 v21, 8, v1
	s_movk_i32 s1, 0xffe
	v_cndmask_b32_e64 v19, 0, 1, vcc
	v_bfe_u32 v23, v1, 20, 11
	v_and_or_b32 v19, v21, s1, v19
	v_sub_u32_e32 v24, 0x3f1, v23
	v_or_b32_e32 v21, 0x1000, v19
	v_med3_i32 v24, v24, 0, 13
	v_lshrrev_b32_e32 v25, v24, v21
	v_lshlrev_b32_e32 v24, v24, v25
	v_cmp_ne_u32_e32 vcc, v24, v21
	v_add_u32_e32 v23, 0xfffffc10, v23
	v_lshl_or_b32 v24, v23, 12, v19
	v_cndmask_b32_e64 v21, 0, 1, vcc
	v_or_b32_e32 v21, v25, v21
	v_cmp_gt_i32_e32 vcc, 1, v23
	s_movk_i32 s3, 0x40f
	v_and_or_b32 v2, v3, s0, v2
	v_cndmask_b32_e32 v21, v24, v21, vcc
	v_and_b32_e32 v24, 7, v21
	v_cmp_lt_i32_e32 vcc, 5, v24
	v_lshrrev_b32_e32 v21, 2, v21
	v_bfe_u32 v26, v3, 20, 11
	v_cndmask_b32_e64 v25, 0, 1, vcc
	v_cmp_eq_u32_e32 vcc, 3, v24
	v_sub_u32_e32 v27, 0x3f1, v26
	v_med3_i32 v27, v27, 0, 13
	v_cndmask_b32_e64 v24, 0, 1, vcc
	v_or_b32_e32 v24, v24, v25
	v_add_u32_e32 v21, v21, v24
	v_mov_b32_e32 v24, 0x7c00
	v_cmp_gt_i32_e32 vcc, 31, v23
	v_mov_b32_e32 v25, 0x7e00
	v_add_u32_e32 v26, 0xfffffc10, v26
	v_cndmask_b32_e32 v21, v24, v21, vcc
	v_cmp_ne_u32_e32 vcc, 0, v19
	s_mov_b32 s6, 0x8000
	s_mov_b32 s0, 0xffff
	v_cndmask_b32_e32 v19, v24, v25, vcc
	v_cmp_eq_u32_e32 vcc, s3, v23
	v_lshrrev_b32_e32 v23, 8, v3
	v_lshrrev_b32_e32 v3, 16, v3
	v_cndmask_b32_e32 v19, v21, v19, vcc
	v_cmp_ne_u32_e32 vcc, 0, v2
	v_and_b32_sdwa v21, v1, s6 dst_sel:DWORD dst_unused:UNUSED_PAD src0_sel:WORD_1 src1_sel:DWORD
	s_nop 0
	v_cndmask_b32_e64 v2, 0, 1, vcc
	v_and_or_b32 v2, v23, s1, v2
	v_or_b32_e32 v23, 0x1000, v2
	v_lshrrev_b32_e32 v28, v27, v23
	v_lshlrev_b32_e32 v27, v27, v28
	v_cmp_ne_u32_e32 vcc, v27, v23
	v_lshl_or_b32 v27, v26, 12, v2
	s_nop 0
	v_cndmask_b32_e64 v23, 0, 1, vcc
	v_or_b32_e32 v23, v28, v23
	v_cmp_gt_i32_e32 vcc, 1, v26
	s_nop 1
	v_cndmask_b32_e32 v23, v27, v23, vcc
	v_and_b32_e32 v27, 7, v23
	v_cmp_lt_i32_e32 vcc, 5, v27
	v_lshrrev_b32_e32 v23, 2, v23
	s_nop 0
	v_cndmask_b32_e64 v28, 0, 1, vcc
	v_cmp_eq_u32_e32 vcc, 3, v27
	s_nop 1
	v_cndmask_b32_e64 v27, 0, 1, vcc
	v_or_b32_e32 v27, v27, v28
	v_add_u32_e32 v23, v23, v27
	v_cmp_gt_i32_e32 vcc, 31, v26
	s_nop 1
	v_cndmask_b32_e32 v23, v24, v23, vcc
	v_cmp_ne_u32_e32 vcc, 0, v2
	s_nop 1
	v_cndmask_b32_e32 v2, v24, v25, vcc
	v_cmp_eq_u32_e32 vcc, s3, v26
	s_nop 1
	v_cndmask_b32_e32 v2, v23, v2, vcc
	v_and_or_b32 v2, v3, s6, v2
	v_bitop3_b32 v3, v21, s0, v19 bitop3:0xc8
	v_lshl_or_b32 v2, v2, 16, v3
	global_store_dword v[16:17], v2, off
.LBB169_2138:
	s_mov_b64 s[0:1], 0
.LBB169_2139:
	s_andn2_b64 vcc, exec, s[0:1]
	s_cbranch_vccnz .LBB169_2148
; %bb.2140:
	s_cmp_lt_i32 s2, 6
	s_mov_b64 s[0:1], -1
	s_cbranch_scc1 .LBB169_2146
; %bb.2141:
	s_cmp_gt_i32 s2, 6
	s_cbranch_scc0 .LBB169_2143
; %bb.2142:
	global_store_dwordx2 v[16:17], v[0:1], off
	s_mov_b64 s[0:1], 0
.LBB169_2143:
	s_andn2_b64 vcc, exec, s[0:1]
	s_cbranch_vccnz .LBB169_2145
; %bb.2144:
	v_cvt_f32_f64_e32 v2, v[0:1]
	global_store_dword v[16:17], v2, off
.LBB169_2145:
	s_mov_b64 s[0:1], 0
.LBB169_2146:
	s_andn2_b64 vcc, exec, s[0:1]
	s_cbranch_vccnz .LBB169_2148
; %bb.2147:
	s_movk_i32 s0, 0x1ff
	v_and_or_b32 v2, v1, s0, v0
	v_cmp_ne_u32_e32 vcc, 0, v2
	v_lshrrev_b32_e32 v3, 8, v1
	s_movk_i32 s0, 0xffe
	v_cndmask_b32_e64 v2, 0, 1, vcc
	v_bfe_u32 v19, v1, 20, 11
	v_and_or_b32 v2, v3, s0, v2
	v_sub_u32_e32 v21, 0x3f1, v19
	v_or_b32_e32 v3, 0x1000, v2
	v_med3_i32 v21, v21, 0, 13
	v_lshrrev_b32_e32 v23, v21, v3
	v_lshlrev_b32_e32 v21, v21, v23
	v_cmp_ne_u32_e32 vcc, v21, v3
	v_add_u32_e32 v19, 0xfffffc10, v19
	v_lshl_or_b32 v21, v19, 12, v2
	v_cndmask_b32_e64 v3, 0, 1, vcc
	v_or_b32_e32 v3, v23, v3
	v_cmp_gt_i32_e32 vcc, 1, v19
	s_movk_i32 s0, 0x40f
	s_nop 0
	v_cndmask_b32_e32 v3, v21, v3, vcc
	v_and_b32_e32 v21, 7, v3
	v_cmp_lt_i32_e32 vcc, 5, v21
	v_lshrrev_b32_e32 v3, 2, v3
	s_nop 0
	v_cndmask_b32_e64 v23, 0, 1, vcc
	v_cmp_eq_u32_e32 vcc, 3, v21
	s_nop 1
	v_cndmask_b32_e64 v21, 0, 1, vcc
	v_or_b32_e32 v21, v21, v23
	v_add_u32_e32 v3, v3, v21
	v_mov_b32_e32 v21, 0x7c00
	v_cmp_gt_i32_e32 vcc, 31, v19
	v_mov_b32_e32 v23, 0x7e00
	s_nop 0
	v_cndmask_b32_e32 v3, v21, v3, vcc
	v_cmp_ne_u32_e32 vcc, 0, v2
	s_nop 1
	v_cndmask_b32_e32 v2, v21, v23, vcc
	v_cmp_eq_u32_e32 vcc, s0, v19
	s_mov_b32 s0, 0x8000
	s_nop 0
	v_cndmask_b32_e32 v2, v3, v2, vcc
	v_lshrrev_b32_e32 v3, 16, v1
	v_and_or_b32 v2, v3, s0, v2
	global_store_short v[16:17], v2, off
.LBB169_2148:
	s_mov_b64 s[0:1], 0
.LBB169_2149:
	s_andn2_b64 vcc, exec, s[0:1]
	s_cbranch_vccnz .LBB169_2165
; %bb.2150:
	s_cmp_lt_i32 s2, 2
	s_mov_b64 s[0:1], -1
	s_cbranch_scc1 .LBB169_2160
; %bb.2151:
	s_cmp_lt_i32 s2, 3
	s_cbranch_scc1 .LBB169_2157
; %bb.2152:
	s_cmp_gt_i32 s2, 3
	s_cbranch_scc0 .LBB169_2154
; %bb.2153:
	v_trunc_f64_e32 v[2:3], v[0:1]
	s_movk_i32 s0, 0xffe0
	v_ldexp_f64 v[24:25], v[2:3], s0
	v_floor_f64_e32 v[24:25], v[24:25]
	v_fmac_f64_e32 v[2:3], 0xc1f00000, v[24:25]
	v_cvt_i32_f64_e32 v27, v[24:25]
	v_cvt_u32_f64_e32 v26, v[2:3]
	global_store_dwordx2 v[16:17], v[26:27], off
	s_mov_b64 s[0:1], 0
.LBB169_2154:
	s_andn2_b64 vcc, exec, s[0:1]
	s_cbranch_vccnz .LBB169_2156
; %bb.2155:
	v_cvt_i32_f64_e32 v2, v[0:1]
	global_store_dword v[16:17], v2, off
.LBB169_2156:
	s_mov_b64 s[0:1], 0
.LBB169_2157:
	s_andn2_b64 vcc, exec, s[0:1]
	s_cbranch_vccnz .LBB169_2159
; %bb.2158:
	v_cvt_i32_f64_e32 v2, v[0:1]
	global_store_short v[16:17], v2, off
.LBB169_2159:
	s_mov_b64 s[0:1], 0
.LBB169_2160:
	s_andn2_b64 vcc, exec, s[0:1]
	s_cbranch_vccnz .LBB169_2165
; %bb.2161:
	s_cmp_gt_i32 s2, 0
	s_mov_b64 s[0:1], -1
	s_cbranch_scc0 .LBB169_2163
; %bb.2162:
	v_cvt_i32_f64_e32 v2, v[0:1]
	global_store_byte v[16:17], v2, off
	s_mov_b64 s[0:1], 0
.LBB169_2163:
	s_andn2_b64 vcc, exec, s[0:1]
	s_cbranch_vccnz .LBB169_2165
; %bb.2164:
	v_trunc_f64_e32 v[0:1], v[0:1]
	s_movk_i32 s0, 0xffe0
	v_ldexp_f64 v[2:3], v[0:1], s0
	v_floor_f64_e32 v[2:3], v[2:3]
	v_fmac_f64_e32 v[0:1], 0xc1f00000, v[2:3]
	v_cvt_u32_f64_e32 v0, v[0:1]
	global_store_byte v[16:17], v0, off
.LBB169_2165:
	s_mov_b64 s[6:7], -1
.LBB169_2166:
	s_andn2_b64 vcc, exec, s[6:7]
	s_cbranch_vccnz .LBB169_2481
; %bb.2167:
	s_lshr_b32 s0, s22, 8
	s_and_b32 s14, s0, 0xff
	v_mov_b32_e32 v23, 0
	s_cmp_lt_i32 s14, 11
	v_lshl_add_u64 v[0:1], s[4:5], 0, v[22:23]
	s_cbranch_scc1 .LBB169_2245
; %bb.2168:
	s_and_b32 s15, 0xffff, s14
	s_mov_b64 s[10:11], -1
	s_mov_b64 s[2:3], 0
	s_cmp_gt_i32 s15, 25
	s_mov_b64 s[6:7], 0
	s_mov_b64 s[0:1], 0
	s_cbranch_scc0 .LBB169_2201
; %bb.2169:
	s_cmp_gt_i32 s15, 28
	s_cbranch_scc0 .LBB169_2184
; %bb.2170:
	s_cmp_gt_i32 s15, 43
	;; [unrolled: 3-line block ×3, first 2 shown]
	s_cbranch_scc0 .LBB169_2174
; %bb.2172:
	s_mov_b64 s[0:1], -1
	s_mov_b64 s[10:11], 0
	s_cmp_eq_u32 s15, 46
	s_cbranch_scc0 .LBB169_2174
; %bb.2173:
	v_cvt_f32_f64_e32 v3, v[6:7]
	s_movk_i32 s0, 0x7fff
	v_bfe_u32 v17, v3, 16, 1
	v_cvt_f32_f64_e32 v2, v[4:5]
	v_add3_u32 v17, v3, v17, s0
	v_bfe_u32 v16, v2, 16, 1
	v_and_b32_e32 v17, 0xffff0000, v17
	v_mov_b32_e32 v19, 0x7fc00000
	v_cmp_o_f32_e32 vcc, v3, v3
	v_add3_u32 v16, v2, v16, s0
	s_mov_b64 s[0:1], 0
	v_cndmask_b32_e32 v3, v19, v17, vcc
	v_cmp_o_f32_e32 vcc, v2, v2
	v_mov_b32_e32 v2, 0x7fc0
	s_mov_b64 s[6:7], -1
	v_cndmask_b32_sdwa v2, v2, v16, vcc dst_sel:DWORD dst_unused:UNUSED_PAD src0_sel:DWORD src1_sel:WORD_1
	v_or_b32_e32 v2, v3, v2
	global_store_dword v[0:1], v2, off
.LBB169_2174:
	s_and_b64 vcc, exec, s[10:11]
	s_cbranch_vccz .LBB169_2179
; %bb.2175:
	s_cmp_eq_u32 s15, 44
	s_mov_b64 s[0:1], -1
	s_cbranch_scc0 .LBB169_2179
; %bb.2176:
	v_cvt_f32_f64_e32 v2, v[4:5]
	v_bfe_u32 v3, v2, 23, 8
	s_movk_i32 s0, 0xff
	v_cmp_ne_u32_e32 vcc, s0, v3
	v_mov_b32_e32 v16, 0xff
	s_and_saveexec_b64 s[6:7], vcc
; %bb.2177:
	s_mov_b32 s0, 0x3fffff
	v_lshrrev_b32_e32 v16, 23, v2
	v_and_b32_e32 v17, 0x400000, v2
	v_and_or_b32 v2, v2, s0, v3
	v_cmp_ne_u32_e32 vcc, 0, v17
	v_cmp_ne_u32_e64 s[0:1], 0, v2
	s_and_b64 s[0:1], vcc, s[0:1]
	s_nop 0
	v_cndmask_b32_e64 v2, 0, 1, s[0:1]
	v_add_u32_e32 v16, v16, v2
; %bb.2178:
	s_or_b64 exec, exec, s[6:7]
	s_mov_b64 s[0:1], 0
	s_mov_b64 s[6:7], -1
	global_store_byte v[0:1], v16, off
.LBB169_2179:
	s_mov_b64 s[10:11], 0
.LBB169_2180:
	s_and_b64 vcc, exec, s[10:11]
	s_cbranch_vccz .LBB169_2183
; %bb.2181:
	s_cmp_eq_u32 s15, 29
	s_mov_b64 s[0:1], -1
	s_cbranch_scc0 .LBB169_2183
; %bb.2182:
	v_trunc_f64_e32 v[2:3], v[4:5]
	s_movk_i32 s0, 0xffe0
	v_ldexp_f64 v[16:17], v[2:3], s0
	v_floor_f64_e32 v[16:17], v[16:17]
	v_fmac_f64_e32 v[2:3], 0xc1f00000, v[16:17]
	v_cvt_u32_f64_e32 v23, v[16:17]
	v_cvt_u32_f64_e32 v22, v[2:3]
	global_store_dwordx2 v[0:1], v[22:23], off
	s_mov_b64 s[0:1], 0
	s_mov_b64 s[6:7], -1
.LBB169_2183:
	s_mov_b64 s[10:11], 0
.LBB169_2184:
	s_and_b64 vcc, exec, s[10:11]
	s_cbranch_vccz .LBB169_2200
; %bb.2185:
	s_cmp_lt_i32 s15, 27
	s_mov_b64 s[6:7], -1
	s_cbranch_scc1 .LBB169_2191
; %bb.2186:
	s_cmp_gt_i32 s15, 27
	s_cbranch_scc0 .LBB169_2188
; %bb.2187:
	v_cvt_u32_f64_e32 v2, v[4:5]
	s_mov_b64 s[6:7], 0
	global_store_dword v[0:1], v2, off
.LBB169_2188:
	s_andn2_b64 vcc, exec, s[6:7]
	s_cbranch_vccnz .LBB169_2190
; %bb.2189:
	v_cvt_u32_f64_e32 v2, v[4:5]
	global_store_short v[0:1], v2, off
.LBB169_2190:
	s_mov_b64 s[6:7], 0
.LBB169_2191:
	s_andn2_b64 vcc, exec, s[6:7]
	s_cbranch_vccnz .LBB169_2199
; %bb.2192:
	v_cvt_f32_f64_e32 v2, v[4:5]
	v_and_b32_e32 v3, 0x7fffffff, v2
	s_mov_b32 s6, 0x43800000
	v_cmp_gt_u32_e32 vcc, s6, v3
	v_mov_b32_e32 v16, 0x80
	s_and_saveexec_b64 s[6:7], vcc
	s_cbranch_execz .LBB169_2198
; %bb.2193:
	s_mov_b32 s10, 0x3bffffff
	v_cmp_lt_u32_e32 vcc, s10, v3
	s_mov_b64 s[10:11], 0
                                        ; implicit-def: $vgpr3
	s_and_saveexec_b64 s[12:13], vcc
	s_xor_b64 s[12:13], exec, s[12:13]
	s_cbranch_execz .LBB169_2488
; %bb.2194:
	v_bfe_u32 v3, v2, 20, 1
	s_mov_b32 s16, 0x487ffff
	v_add3_u32 v3, v2, v3, s16
	s_mov_b64 s[10:11], exec
	v_lshrrev_b32_e32 v3, 20, v3
	s_andn2_saveexec_b64 s[12:13], s[12:13]
	s_cbranch_execnz .LBB169_2489
.LBB169_2195:
	s_or_b64 exec, exec, s[12:13]
	v_mov_b32_e32 v16, 0
	s_and_saveexec_b64 s[12:13], s[10:11]
.LBB169_2196:
	v_lshrrev_b32_e32 v2, 24, v2
	s_movk_i32 s10, 0x80
	v_and_or_b32 v16, v2, s10, v3
.LBB169_2197:
	s_or_b64 exec, exec, s[12:13]
.LBB169_2198:
	s_or_b64 exec, exec, s[6:7]
	global_store_byte v[0:1], v16, off
.LBB169_2199:
	s_mov_b64 s[6:7], -1
.LBB169_2200:
	s_mov_b64 s[10:11], 0
.LBB169_2201:
	s_and_b64 vcc, exec, s[10:11]
	s_cbranch_vccz .LBB169_2241
; %bb.2202:
	s_cmp_gt_i32 s15, 22
	s_mov_b64 s[2:3], -1
	s_cbranch_scc0 .LBB169_2234
; %bb.2203:
	s_cmp_lt_i32 s15, 24
	s_cbranch_scc1 .LBB169_2223
; %bb.2204:
	s_cmp_gt_i32 s15, 24
	s_cbranch_scc0 .LBB169_2212
; %bb.2205:
	v_cvt_f32_f64_e32 v2, v[4:5]
	v_and_b32_e32 v3, 0x7fffffff, v2
	s_mov_b32 s2, 0x47800000
	v_cmp_gt_u32_e32 vcc, s2, v3
	v_mov_b32_e32 v16, 0x80
	s_and_saveexec_b64 s[2:3], vcc
	s_cbranch_execz .LBB169_2211
; %bb.2206:
	s_mov_b32 s6, 0x37ffffff
	v_cmp_lt_u32_e32 vcc, s6, v3
	s_mov_b64 s[6:7], 0
                                        ; implicit-def: $vgpr3
	s_and_saveexec_b64 s[10:11], vcc
	s_xor_b64 s[10:11], exec, s[10:11]
	s_cbranch_execz .LBB169_2491
; %bb.2207:
	v_bfe_u32 v3, v2, 21, 1
	s_mov_b32 s12, 0x88fffff
	v_add3_u32 v3, v2, v3, s12
	s_mov_b64 s[6:7], exec
	v_lshrrev_b32_e32 v3, 21, v3
	s_andn2_saveexec_b64 s[10:11], s[10:11]
	s_cbranch_execnz .LBB169_2492
.LBB169_2208:
	s_or_b64 exec, exec, s[10:11]
	v_mov_b32_e32 v16, 0
	s_and_saveexec_b64 s[10:11], s[6:7]
.LBB169_2209:
	v_lshrrev_b32_e32 v2, 24, v2
	s_movk_i32 s6, 0x80
	v_and_or_b32 v16, v2, s6, v3
.LBB169_2210:
	s_or_b64 exec, exec, s[10:11]
.LBB169_2211:
	s_or_b64 exec, exec, s[2:3]
	s_mov_b64 s[2:3], 0
	global_store_byte v[0:1], v16, off
.LBB169_2212:
	s_and_b64 vcc, exec, s[2:3]
	s_cbranch_vccz .LBB169_2222
; %bb.2213:
	v_cvt_f32_f64_e32 v2, v[4:5]
	v_and_b32_e32 v16, 0x7fffffff, v2
	s_mov_b32 s2, 0x43f00000
	v_cmp_gt_u32_e32 vcc, s2, v16
                                        ; implicit-def: $vgpr3
	s_and_saveexec_b64 s[2:3], vcc
	s_xor_b64 s[2:3], exec, s[2:3]
	s_cbranch_execz .LBB169_2219
; %bb.2214:
	s_mov_b32 s6, 0x3c7fffff
	v_cmp_lt_u32_e32 vcc, s6, v16
                                        ; implicit-def: $vgpr3
	s_and_saveexec_b64 s[6:7], vcc
	s_xor_b64 s[6:7], exec, s[6:7]
; %bb.2215:
	v_bfe_u32 v3, v2, 20, 1
	s_mov_b32 s10, 0x407ffff
	v_add3_u32 v3, v2, v3, s10
	v_lshrrev_b32_e32 v16, 20, v3
	v_and_b32_e32 v3, 0xff00000, v3
	s_mov_b32 s10, 0x7f00000
	v_mov_b32_e32 v17, 0x7e
	v_cmp_ne_u32_e32 vcc, s10, v3
	s_nop 1
	v_cndmask_b32_e32 v3, v17, v16, vcc
; %bb.2216:
	s_andn2_saveexec_b64 s[6:7], s[6:7]
; %bb.2217:
	s_mov_b32 s10, 0x46800000
	v_add_f32_e64 v3, |v2|, s10
; %bb.2218:
	s_or_b64 exec, exec, s[6:7]
                                        ; implicit-def: $vgpr16
.LBB169_2219:
	s_andn2_saveexec_b64 s[2:3], s[2:3]
; %bb.2220:
	s_mov_b32 s6, 0x7f800000
	v_mov_b32_e32 v3, 0x7e
	v_mov_b32_e32 v17, 0x7f
	v_cmp_lt_u32_e32 vcc, s6, v16
	s_nop 1
	v_cndmask_b32_e32 v3, v3, v17, vcc
; %bb.2221:
	s_or_b64 exec, exec, s[2:3]
	v_lshrrev_b32_e32 v2, 24, v2
	s_movk_i32 s2, 0x80
	v_and_or_b32 v2, v2, s2, v3
	global_store_byte v[0:1], v2, off
.LBB169_2222:
	s_mov_b64 s[2:3], 0
.LBB169_2223:
	s_andn2_b64 vcc, exec, s[2:3]
	s_cbranch_vccnz .LBB169_2233
; %bb.2224:
	v_cvt_f32_f64_e32 v2, v[4:5]
	v_and_b32_e32 v16, 0x7fffffff, v2
	s_mov_b32 s2, 0x47800000
	v_cmp_gt_u32_e32 vcc, s2, v16
                                        ; implicit-def: $vgpr3
	s_and_saveexec_b64 s[2:3], vcc
	s_xor_b64 s[2:3], exec, s[2:3]
	s_cbranch_execz .LBB169_2230
; %bb.2225:
	s_mov_b32 s6, 0x387fffff
	v_cmp_lt_u32_e32 vcc, s6, v16
                                        ; implicit-def: $vgpr3
	s_and_saveexec_b64 s[6:7], vcc
	s_xor_b64 s[6:7], exec, s[6:7]
; %bb.2226:
	v_bfe_u32 v3, v2, 21, 1
	s_mov_b32 s10, 0x80fffff
	v_add3_u32 v3, v2, v3, s10
	v_lshrrev_b32_e32 v3, 21, v3
; %bb.2227:
	s_andn2_saveexec_b64 s[6:7], s[6:7]
; %bb.2228:
	s_mov_b32 s10, 0x43000000
	v_add_f32_e64 v3, |v2|, s10
; %bb.2229:
	s_or_b64 exec, exec, s[6:7]
                                        ; implicit-def: $vgpr16
.LBB169_2230:
	s_andn2_saveexec_b64 s[2:3], s[2:3]
; %bb.2231:
	s_mov_b32 s6, 0x7f800000
	v_mov_b32_e32 v3, 0x7c
	v_mov_b32_e32 v17, 0x7f
	v_cmp_lt_u32_e32 vcc, s6, v16
	s_nop 1
	v_cndmask_b32_e32 v3, v3, v17, vcc
; %bb.2232:
	s_or_b64 exec, exec, s[2:3]
	v_lshrrev_b32_e32 v2, 24, v2
	s_movk_i32 s2, 0x80
	v_and_or_b32 v2, v2, s2, v3
	global_store_byte v[0:1], v2, off
.LBB169_2233:
	s_mov_b64 s[2:3], 0
	s_mov_b64 s[6:7], -1
.LBB169_2234:
	s_andn2_b64 vcc, exec, s[2:3]
	s_mov_b64 s[2:3], 0
	s_cbranch_vccnz .LBB169_2241
; %bb.2235:
	s_cmp_gt_i32 s15, 14
	s_mov_b64 s[10:11], -1
	s_cbranch_scc0 .LBB169_2239
; %bb.2236:
	s_cmp_eq_u32 s15, 15
	s_mov_b64 s[0:1], -1
	s_cbranch_scc0 .LBB169_2238
; %bb.2237:
	v_cvt_f32_f64_e32 v2, v[4:5]
	v_bfe_u32 v3, v2, 16, 1
	s_movk_i32 s0, 0x7fff
	v_add3_u32 v3, v2, v3, s0
	v_cmp_o_f32_e32 vcc, v2, v2
	v_mov_b32_e32 v2, 0x7fc0
	s_mov_b64 s[0:1], 0
	v_cndmask_b32_sdwa v2, v2, v3, vcc dst_sel:DWORD dst_unused:UNUSED_PAD src0_sel:DWORD src1_sel:WORD_1
	global_store_short v[0:1], v2, off
	s_mov_b64 s[6:7], -1
.LBB169_2238:
	s_mov_b64 s[10:11], 0
.LBB169_2239:
	s_and_b64 vcc, exec, s[10:11]
	s_cbranch_vccz .LBB169_2241
; %bb.2240:
	s_cmp_lg_u32 s15, 11
	s_mov_b64 s[2:3], -1
	s_cselect_b64 s[0:1], -1, 0
.LBB169_2241:
	s_and_b64 vcc, exec, s[0:1]
	s_cbranch_vccnz .LBB169_2490
; %bb.2242:
	s_andn2_b64 vcc, exec, s[2:3]
	s_cbranch_vccnz .LBB169_2244
.LBB169_2243:
	v_cmp_neq_f64_e32 vcc, 0, v[4:5]
	v_cmp_neq_f64_e64 s[0:1], 0, v[6:7]
	s_or_b64 s[0:1], vcc, s[0:1]
	s_mov_b64 s[6:7], -1
	v_cndmask_b32_e64 v2, 0, 1, s[0:1]
	global_store_byte v[0:1], v2, off
.LBB169_2244:
	s_mov_b64 s[0:1], 0
	s_branch .LBB169_2246
.LBB169_2245:
	s_mov_b64 s[0:1], -1
	s_mov_b64 s[6:7], 0
.LBB169_2246:
	s_and_b64 vcc, exec, s[0:1]
	s_cbranch_vccz .LBB169_2285
; %bb.2247:
	s_and_b32 s2, 0xffff, s14
	s_cmp_lt_i32 s2, 5
	s_mov_b64 s[0:1], -1
	s_cbranch_scc1 .LBB169_2268
; %bb.2248:
	s_cmp_lt_i32 s2, 8
	s_cbranch_scc1 .LBB169_2258
; %bb.2249:
	s_cmp_lt_i32 s2, 9
	s_cbranch_scc1 .LBB169_2255
; %bb.2250:
	s_cmp_gt_i32 s2, 9
	s_cbranch_scc0 .LBB169_2252
; %bb.2251:
	global_store_dwordx4 v[0:1], v[4:7], off
	s_mov_b64 s[0:1], 0
.LBB169_2252:
	s_andn2_b64 vcc, exec, s[0:1]
	s_cbranch_vccnz .LBB169_2254
; %bb.2253:
	v_cvt_f32_f64_e32 v2, v[4:5]
	v_cvt_f32_f64_e32 v3, v[6:7]
	global_store_dwordx2 v[0:1], v[2:3], off
.LBB169_2254:
	s_mov_b64 s[0:1], 0
.LBB169_2255:
	s_andn2_b64 vcc, exec, s[0:1]
	s_cbranch_vccnz .LBB169_2257
; %bb.2256:
	s_movk_i32 s0, 0x1ff
	v_and_or_b32 v2, v5, s0, v4
	v_cmp_ne_u32_e32 vcc, 0, v2
	v_lshrrev_b32_e32 v3, 8, v5
	s_movk_i32 s1, 0xffe
	v_cndmask_b32_e64 v2, 0, 1, vcc
	v_bfe_u32 v16, v5, 20, 11
	v_and_or_b32 v2, v3, s1, v2
	v_sub_u32_e32 v17, 0x3f1, v16
	v_or_b32_e32 v3, 0x1000, v2
	v_med3_i32 v17, v17, 0, 13
	v_lshrrev_b32_e32 v19, v17, v3
	v_lshlrev_b32_e32 v17, v17, v19
	v_cmp_ne_u32_e32 vcc, v17, v3
	v_add_u32_e32 v16, 0xfffffc10, v16
	v_lshl_or_b32 v17, v16, 12, v2
	v_cndmask_b32_e64 v3, 0, 1, vcc
	v_or_b32_e32 v3, v19, v3
	v_cmp_gt_i32_e32 vcc, 1, v16
	s_movk_i32 s3, 0x40f
	v_and_or_b32 v6, v7, s0, v6
	v_cndmask_b32_e32 v3, v17, v3, vcc
	v_and_b32_e32 v17, 7, v3
	v_cmp_lt_i32_e32 vcc, 5, v17
	v_lshrrev_b32_e32 v3, 2, v3
	v_bfe_u32 v21, v7, 20, 11
	v_cndmask_b32_e64 v19, 0, 1, vcc
	v_cmp_eq_u32_e32 vcc, 3, v17
	v_sub_u32_e32 v22, 0x3f1, v21
	v_med3_i32 v22, v22, 0, 13
	v_cndmask_b32_e64 v17, 0, 1, vcc
	v_or_b32_e32 v17, v17, v19
	v_add_u32_e32 v3, v3, v17
	v_mov_b32_e32 v17, 0x7c00
	v_cmp_gt_i32_e32 vcc, 31, v16
	v_mov_b32_e32 v19, 0x7e00
	v_add_u32_e32 v21, 0xfffffc10, v21
	v_cndmask_b32_e32 v3, v17, v3, vcc
	v_cmp_ne_u32_e32 vcc, 0, v2
	s_mov_b32 s6, 0x8000
	s_mov_b32 s0, 0xffff
	v_cndmask_b32_e32 v2, v17, v19, vcc
	v_cmp_eq_u32_e32 vcc, s3, v16
	v_lshrrev_b32_e32 v16, 8, v7
	v_lshrrev_b32_e32 v7, 16, v7
	v_cndmask_b32_e32 v2, v3, v2, vcc
	v_cmp_ne_u32_e32 vcc, 0, v6
	v_and_b32_sdwa v3, v5, s6 dst_sel:DWORD dst_unused:UNUSED_PAD src0_sel:WORD_1 src1_sel:DWORD
	v_bitop3_b32 v2, v3, s0, v2 bitop3:0xc8
	v_cndmask_b32_e64 v6, 0, 1, vcc
	v_and_or_b32 v6, v16, s1, v6
	v_or_b32_e32 v16, 0x1000, v6
	v_lshrrev_b32_e32 v23, v22, v16
	v_lshlrev_b32_e32 v22, v22, v23
	v_cmp_ne_u32_e32 vcc, v22, v16
	v_lshl_or_b32 v22, v21, 12, v6
	s_nop 0
	v_cndmask_b32_e64 v16, 0, 1, vcc
	v_or_b32_e32 v16, v23, v16
	v_cmp_gt_i32_e32 vcc, 1, v21
	s_nop 1
	v_cndmask_b32_e32 v16, v22, v16, vcc
	v_and_b32_e32 v22, 7, v16
	v_cmp_lt_i32_e32 vcc, 5, v22
	v_lshrrev_b32_e32 v16, 2, v16
	s_nop 0
	v_cndmask_b32_e64 v23, 0, 1, vcc
	v_cmp_eq_u32_e32 vcc, 3, v22
	s_nop 1
	v_cndmask_b32_e64 v22, 0, 1, vcc
	v_or_b32_e32 v22, v22, v23
	v_add_u32_e32 v16, v16, v22
	v_cmp_gt_i32_e32 vcc, 31, v21
	s_nop 1
	v_cndmask_b32_e32 v16, v17, v16, vcc
	v_cmp_ne_u32_e32 vcc, 0, v6
	s_nop 1
	v_cndmask_b32_e32 v6, v17, v19, vcc
	v_cmp_eq_u32_e32 vcc, s3, v21
	s_nop 1
	v_cndmask_b32_e32 v6, v16, v6, vcc
	v_and_or_b32 v6, v7, s6, v6
	v_lshl_or_b32 v2, v6, 16, v2
	global_store_dword v[0:1], v2, off
.LBB169_2257:
	s_mov_b64 s[0:1], 0
.LBB169_2258:
	s_andn2_b64 vcc, exec, s[0:1]
	s_cbranch_vccnz .LBB169_2267
; %bb.2259:
	s_cmp_lt_i32 s2, 6
	s_mov_b64 s[0:1], -1
	s_cbranch_scc1 .LBB169_2265
; %bb.2260:
	s_cmp_gt_i32 s2, 6
	s_cbranch_scc0 .LBB169_2262
; %bb.2261:
	global_store_dwordx2 v[0:1], v[4:5], off
	s_mov_b64 s[0:1], 0
.LBB169_2262:
	s_andn2_b64 vcc, exec, s[0:1]
	s_cbranch_vccnz .LBB169_2264
; %bb.2263:
	v_cvt_f32_f64_e32 v2, v[4:5]
	global_store_dword v[0:1], v2, off
.LBB169_2264:
	s_mov_b64 s[0:1], 0
.LBB169_2265:
	s_andn2_b64 vcc, exec, s[0:1]
	s_cbranch_vccnz .LBB169_2267
; %bb.2266:
	s_movk_i32 s0, 0x1ff
	v_and_or_b32 v2, v5, s0, v4
	v_cmp_ne_u32_e32 vcc, 0, v2
	v_lshrrev_b32_e32 v3, 8, v5
	s_movk_i32 s0, 0xffe
	v_cndmask_b32_e64 v2, 0, 1, vcc
	v_bfe_u32 v6, v5, 20, 11
	v_and_or_b32 v2, v3, s0, v2
	v_sub_u32_e32 v7, 0x3f1, v6
	v_or_b32_e32 v3, 0x1000, v2
	v_med3_i32 v7, v7, 0, 13
	v_lshrrev_b32_e32 v16, v7, v3
	v_lshlrev_b32_e32 v7, v7, v16
	v_cmp_ne_u32_e32 vcc, v7, v3
	v_add_u32_e32 v6, 0xfffffc10, v6
	v_lshl_or_b32 v7, v6, 12, v2
	v_cndmask_b32_e64 v3, 0, 1, vcc
	v_or_b32_e32 v3, v16, v3
	v_cmp_gt_i32_e32 vcc, 1, v6
	s_movk_i32 s0, 0x40f
	s_nop 0
	v_cndmask_b32_e32 v3, v7, v3, vcc
	v_and_b32_e32 v7, 7, v3
	v_cmp_lt_i32_e32 vcc, 5, v7
	v_lshrrev_b32_e32 v3, 2, v3
	s_nop 0
	v_cndmask_b32_e64 v16, 0, 1, vcc
	v_cmp_eq_u32_e32 vcc, 3, v7
	s_nop 1
	v_cndmask_b32_e64 v7, 0, 1, vcc
	v_or_b32_e32 v7, v7, v16
	v_add_u32_e32 v3, v3, v7
	v_mov_b32_e32 v7, 0x7c00
	v_cmp_gt_i32_e32 vcc, 31, v6
	v_mov_b32_e32 v16, 0x7e00
	s_nop 0
	v_cndmask_b32_e32 v3, v7, v3, vcc
	v_cmp_ne_u32_e32 vcc, 0, v2
	s_nop 1
	v_cndmask_b32_e32 v2, v7, v16, vcc
	v_cmp_eq_u32_e32 vcc, s0, v6
	s_mov_b32 s0, 0x8000
	s_nop 0
	v_cndmask_b32_e32 v2, v3, v2, vcc
	v_lshrrev_b32_e32 v3, 16, v5
	v_and_or_b32 v2, v3, s0, v2
	global_store_short v[0:1], v2, off
.LBB169_2267:
	s_mov_b64 s[0:1], 0
.LBB169_2268:
	s_andn2_b64 vcc, exec, s[0:1]
	s_cbranch_vccnz .LBB169_2284
; %bb.2269:
	s_cmp_lt_i32 s2, 2
	s_mov_b64 s[0:1], -1
	s_cbranch_scc1 .LBB169_2279
; %bb.2270:
	s_cmp_lt_i32 s2, 3
	s_cbranch_scc1 .LBB169_2276
; %bb.2271:
	s_cmp_gt_i32 s2, 3
	s_cbranch_scc0 .LBB169_2273
; %bb.2272:
	v_trunc_f64_e32 v[2:3], v[4:5]
	s_movk_i32 s0, 0xffe0
	v_ldexp_f64 v[6:7], v[2:3], s0
	v_floor_f64_e32 v[6:7], v[6:7]
	v_fmac_f64_e32 v[2:3], 0xc1f00000, v[6:7]
	v_cvt_i32_f64_e32 v17, v[6:7]
	v_cvt_u32_f64_e32 v16, v[2:3]
	global_store_dwordx2 v[0:1], v[16:17], off
	s_mov_b64 s[0:1], 0
.LBB169_2273:
	s_andn2_b64 vcc, exec, s[0:1]
	s_cbranch_vccnz .LBB169_2275
; %bb.2274:
	v_cvt_i32_f64_e32 v2, v[4:5]
	global_store_dword v[0:1], v2, off
.LBB169_2275:
	s_mov_b64 s[0:1], 0
.LBB169_2276:
	s_andn2_b64 vcc, exec, s[0:1]
	s_cbranch_vccnz .LBB169_2278
; %bb.2277:
	v_cvt_i32_f64_e32 v2, v[4:5]
	global_store_short v[0:1], v2, off
.LBB169_2278:
	s_mov_b64 s[0:1], 0
.LBB169_2279:
	s_andn2_b64 vcc, exec, s[0:1]
	s_cbranch_vccnz .LBB169_2284
; %bb.2280:
	s_cmp_gt_i32 s2, 0
	s_mov_b64 s[0:1], -1
	s_cbranch_scc0 .LBB169_2282
; %bb.2281:
	v_cvt_i32_f64_e32 v2, v[4:5]
	global_store_byte v[0:1], v2, off
	s_mov_b64 s[0:1], 0
.LBB169_2282:
	s_andn2_b64 vcc, exec, s[0:1]
	s_cbranch_vccnz .LBB169_2284
; %bb.2283:
	v_trunc_f64_e32 v[2:3], v[4:5]
	s_movk_i32 s0, 0xffe0
	v_ldexp_f64 v[4:5], v[2:3], s0
	v_floor_f64_e32 v[4:5], v[4:5]
	v_fmac_f64_e32 v[2:3], 0xc1f00000, v[4:5]
	v_cvt_u32_f64_e32 v2, v[2:3]
	global_store_byte v[0:1], v2, off
.LBB169_2284:
	s_mov_b64 s[6:7], -1
.LBB169_2285:
	s_andn2_b64 vcc, exec, s[6:7]
	s_cbranch_vccnz .LBB169_2481
; %bb.2286:
	v_mov_b32_e32 v21, 0
	s_cmp_lt_i32 s14, 11
	v_lshl_add_u64 v[0:1], s[4:5], 0, v[20:21]
	s_cbranch_scc1 .LBB169_2364
; %bb.2287:
	s_and_b32 s15, 0xffff, s14
	s_mov_b64 s[10:11], -1
	s_mov_b64 s[2:3], 0
	s_cmp_gt_i32 s15, 25
	s_mov_b64 s[6:7], 0
	s_mov_b64 s[0:1], 0
	s_cbranch_scc0 .LBB169_2320
; %bb.2288:
	s_cmp_gt_i32 s15, 28
	s_cbranch_scc0 .LBB169_2303
; %bb.2289:
	s_cmp_gt_i32 s15, 43
	;; [unrolled: 3-line block ×3, first 2 shown]
	s_cbranch_scc0 .LBB169_2293
; %bb.2291:
	s_mov_b64 s[0:1], -1
	s_mov_b64 s[10:11], 0
	s_cmp_eq_u32 s15, 46
	s_cbranch_scc0 .LBB169_2293
; %bb.2292:
	v_cvt_f32_f64_e32 v3, v[10:11]
	s_movk_i32 s0, 0x7fff
	v_bfe_u32 v5, v3, 16, 1
	v_cvt_f32_f64_e32 v2, v[8:9]
	v_add3_u32 v5, v3, v5, s0
	v_bfe_u32 v4, v2, 16, 1
	v_and_b32_e32 v5, 0xffff0000, v5
	v_mov_b32_e32 v6, 0x7fc00000
	v_cmp_o_f32_e32 vcc, v3, v3
	v_add3_u32 v4, v2, v4, s0
	s_mov_b64 s[0:1], 0
	v_cndmask_b32_e32 v3, v6, v5, vcc
	v_cmp_o_f32_e32 vcc, v2, v2
	v_mov_b32_e32 v2, 0x7fc0
	s_mov_b64 s[6:7], -1
	v_cndmask_b32_sdwa v2, v2, v4, vcc dst_sel:DWORD dst_unused:UNUSED_PAD src0_sel:DWORD src1_sel:WORD_1
	v_or_b32_e32 v2, v3, v2
	global_store_dword v[0:1], v2, off
.LBB169_2293:
	s_and_b64 vcc, exec, s[10:11]
	s_cbranch_vccz .LBB169_2298
; %bb.2294:
	s_cmp_eq_u32 s15, 44
	s_mov_b64 s[0:1], -1
	s_cbranch_scc0 .LBB169_2298
; %bb.2295:
	v_cvt_f32_f64_e32 v2, v[8:9]
	v_bfe_u32 v3, v2, 23, 8
	s_movk_i32 s0, 0xff
	v_cmp_ne_u32_e32 vcc, s0, v3
	v_mov_b32_e32 v4, 0xff
	s_and_saveexec_b64 s[6:7], vcc
; %bb.2296:
	s_mov_b32 s0, 0x3fffff
	v_lshrrev_b32_e32 v4, 23, v2
	v_and_b32_e32 v5, 0x400000, v2
	v_and_or_b32 v2, v2, s0, v3
	v_cmp_ne_u32_e32 vcc, 0, v5
	v_cmp_ne_u32_e64 s[0:1], 0, v2
	s_and_b64 s[0:1], vcc, s[0:1]
	s_nop 0
	v_cndmask_b32_e64 v2, 0, 1, s[0:1]
	v_add_u32_e32 v4, v4, v2
; %bb.2297:
	s_or_b64 exec, exec, s[6:7]
	s_mov_b64 s[0:1], 0
	s_mov_b64 s[6:7], -1
	global_store_byte v[0:1], v4, off
.LBB169_2298:
	s_mov_b64 s[10:11], 0
.LBB169_2299:
	s_and_b64 vcc, exec, s[10:11]
	s_cbranch_vccz .LBB169_2302
; %bb.2300:
	s_cmp_eq_u32 s15, 29
	s_mov_b64 s[0:1], -1
	s_cbranch_scc0 .LBB169_2302
; %bb.2301:
	v_trunc_f64_e32 v[2:3], v[8:9]
	s_movk_i32 s0, 0xffe0
	v_ldexp_f64 v[4:5], v[2:3], s0
	v_floor_f64_e32 v[4:5], v[4:5]
	v_fmac_f64_e32 v[2:3], 0xc1f00000, v[4:5]
	v_cvt_u32_f64_e32 v7, v[4:5]
	v_cvt_u32_f64_e32 v6, v[2:3]
	global_store_dwordx2 v[0:1], v[6:7], off
	s_mov_b64 s[0:1], 0
	s_mov_b64 s[6:7], -1
.LBB169_2302:
	s_mov_b64 s[10:11], 0
.LBB169_2303:
	s_and_b64 vcc, exec, s[10:11]
	s_cbranch_vccz .LBB169_2319
; %bb.2304:
	s_cmp_lt_i32 s15, 27
	s_mov_b64 s[6:7], -1
	s_cbranch_scc1 .LBB169_2310
; %bb.2305:
	s_cmp_gt_i32 s15, 27
	v_cvt_u32_f64_e32 v2, v[8:9]
	s_cbranch_scc0 .LBB169_2307
; %bb.2306:
	s_mov_b64 s[6:7], 0
	global_store_dword v[0:1], v2, off
.LBB169_2307:
	s_andn2_b64 vcc, exec, s[6:7]
	s_cbranch_vccnz .LBB169_2309
; %bb.2308:
	global_store_short v[0:1], v2, off
.LBB169_2309:
	s_mov_b64 s[6:7], 0
.LBB169_2310:
	s_andn2_b64 vcc, exec, s[6:7]
	s_cbranch_vccnz .LBB169_2318
; %bb.2311:
	v_cvt_f32_f64_e32 v2, v[8:9]
	v_and_b32_e32 v3, 0x7fffffff, v2
	s_mov_b32 s6, 0x43800000
	v_cmp_gt_u32_e32 vcc, s6, v3
	v_mov_b32_e32 v4, 0x80
	s_and_saveexec_b64 s[6:7], vcc
	s_cbranch_execz .LBB169_2317
; %bb.2312:
	s_mov_b32 s10, 0x3bffffff
	v_cmp_lt_u32_e32 vcc, s10, v3
	s_mov_b64 s[10:11], 0
                                        ; implicit-def: $vgpr3
	s_and_saveexec_b64 s[12:13], vcc
	s_xor_b64 s[12:13], exec, s[12:13]
	s_cbranch_execz .LBB169_2493
; %bb.2313:
	v_bfe_u32 v3, v2, 20, 1
	s_mov_b32 s16, 0x487ffff
	v_add3_u32 v3, v2, v3, s16
	s_mov_b64 s[10:11], exec
	v_lshrrev_b32_e32 v3, 20, v3
	s_andn2_saveexec_b64 s[12:13], s[12:13]
	s_cbranch_execnz .LBB169_2494
.LBB169_2314:
	s_or_b64 exec, exec, s[12:13]
	v_mov_b32_e32 v4, 0
	s_and_saveexec_b64 s[12:13], s[10:11]
.LBB169_2315:
	v_lshrrev_b32_e32 v2, 24, v2
	s_movk_i32 s10, 0x80
	v_and_or_b32 v4, v2, s10, v3
.LBB169_2316:
	s_or_b64 exec, exec, s[12:13]
.LBB169_2317:
	s_or_b64 exec, exec, s[6:7]
	global_store_byte v[0:1], v4, off
.LBB169_2318:
	s_mov_b64 s[6:7], -1
.LBB169_2319:
	s_mov_b64 s[10:11], 0
.LBB169_2320:
	s_and_b64 vcc, exec, s[10:11]
	s_cbranch_vccz .LBB169_2360
; %bb.2321:
	s_cmp_gt_i32 s15, 22
	s_mov_b64 s[2:3], -1
	s_cbranch_scc0 .LBB169_2353
; %bb.2322:
	s_cmp_lt_i32 s15, 24
	s_cbranch_scc1 .LBB169_2342
; %bb.2323:
	s_cmp_gt_i32 s15, 24
	s_cbranch_scc0 .LBB169_2331
; %bb.2324:
	v_cvt_f32_f64_e32 v2, v[8:9]
	v_and_b32_e32 v3, 0x7fffffff, v2
	s_mov_b32 s2, 0x47800000
	v_cmp_gt_u32_e32 vcc, s2, v3
	v_mov_b32_e32 v4, 0x80
	s_and_saveexec_b64 s[2:3], vcc
	s_cbranch_execz .LBB169_2330
; %bb.2325:
	s_mov_b32 s6, 0x37ffffff
	v_cmp_lt_u32_e32 vcc, s6, v3
	s_mov_b64 s[6:7], 0
                                        ; implicit-def: $vgpr3
	s_and_saveexec_b64 s[10:11], vcc
	s_xor_b64 s[10:11], exec, s[10:11]
	s_cbranch_execz .LBB169_2496
; %bb.2326:
	v_bfe_u32 v3, v2, 21, 1
	s_mov_b32 s12, 0x88fffff
	v_add3_u32 v3, v2, v3, s12
	s_mov_b64 s[6:7], exec
	v_lshrrev_b32_e32 v3, 21, v3
	s_andn2_saveexec_b64 s[10:11], s[10:11]
	s_cbranch_execnz .LBB169_2497
.LBB169_2327:
	s_or_b64 exec, exec, s[10:11]
	v_mov_b32_e32 v4, 0
	s_and_saveexec_b64 s[10:11], s[6:7]
.LBB169_2328:
	v_lshrrev_b32_e32 v2, 24, v2
	s_movk_i32 s6, 0x80
	v_and_or_b32 v4, v2, s6, v3
.LBB169_2329:
	s_or_b64 exec, exec, s[10:11]
.LBB169_2330:
	s_or_b64 exec, exec, s[2:3]
	s_mov_b64 s[2:3], 0
	global_store_byte v[0:1], v4, off
.LBB169_2331:
	s_and_b64 vcc, exec, s[2:3]
	s_cbranch_vccz .LBB169_2341
; %bb.2332:
	v_cvt_f32_f64_e32 v2, v[8:9]
	v_and_b32_e32 v4, 0x7fffffff, v2
	s_mov_b32 s2, 0x43f00000
	v_cmp_gt_u32_e32 vcc, s2, v4
                                        ; implicit-def: $vgpr3
	s_and_saveexec_b64 s[2:3], vcc
	s_xor_b64 s[2:3], exec, s[2:3]
	s_cbranch_execz .LBB169_2338
; %bb.2333:
	s_mov_b32 s6, 0x3c7fffff
	v_cmp_lt_u32_e32 vcc, s6, v4
                                        ; implicit-def: $vgpr3
	s_and_saveexec_b64 s[6:7], vcc
	s_xor_b64 s[6:7], exec, s[6:7]
; %bb.2334:
	v_bfe_u32 v3, v2, 20, 1
	s_mov_b32 s10, 0x407ffff
	v_add3_u32 v3, v2, v3, s10
	v_lshrrev_b32_e32 v4, 20, v3
	v_and_b32_e32 v3, 0xff00000, v3
	s_mov_b32 s10, 0x7f00000
	v_mov_b32_e32 v5, 0x7e
	v_cmp_ne_u32_e32 vcc, s10, v3
	s_nop 1
	v_cndmask_b32_e32 v3, v5, v4, vcc
; %bb.2335:
	s_andn2_saveexec_b64 s[6:7], s[6:7]
; %bb.2336:
	s_mov_b32 s10, 0x46800000
	v_add_f32_e64 v3, |v2|, s10
; %bb.2337:
	s_or_b64 exec, exec, s[6:7]
                                        ; implicit-def: $vgpr4
.LBB169_2338:
	s_andn2_saveexec_b64 s[2:3], s[2:3]
; %bb.2339:
	s_mov_b32 s6, 0x7f800000
	v_mov_b32_e32 v3, 0x7e
	v_mov_b32_e32 v5, 0x7f
	v_cmp_lt_u32_e32 vcc, s6, v4
	s_nop 1
	v_cndmask_b32_e32 v3, v3, v5, vcc
; %bb.2340:
	s_or_b64 exec, exec, s[2:3]
	v_lshrrev_b32_e32 v2, 24, v2
	s_movk_i32 s2, 0x80
	v_and_or_b32 v2, v2, s2, v3
	global_store_byte v[0:1], v2, off
.LBB169_2341:
	s_mov_b64 s[2:3], 0
.LBB169_2342:
	s_andn2_b64 vcc, exec, s[2:3]
	s_cbranch_vccnz .LBB169_2352
; %bb.2343:
	v_cvt_f32_f64_e32 v2, v[8:9]
	v_and_b32_e32 v4, 0x7fffffff, v2
	s_mov_b32 s2, 0x47800000
	v_cmp_gt_u32_e32 vcc, s2, v4
                                        ; implicit-def: $vgpr3
	s_and_saveexec_b64 s[2:3], vcc
	s_xor_b64 s[2:3], exec, s[2:3]
	s_cbranch_execz .LBB169_2349
; %bb.2344:
	s_mov_b32 s6, 0x387fffff
	v_cmp_lt_u32_e32 vcc, s6, v4
                                        ; implicit-def: $vgpr3
	s_and_saveexec_b64 s[6:7], vcc
	s_xor_b64 s[6:7], exec, s[6:7]
; %bb.2345:
	v_bfe_u32 v3, v2, 21, 1
	s_mov_b32 s10, 0x80fffff
	v_add3_u32 v3, v2, v3, s10
	v_lshrrev_b32_e32 v3, 21, v3
; %bb.2346:
	s_andn2_saveexec_b64 s[6:7], s[6:7]
; %bb.2347:
	s_mov_b32 s10, 0x43000000
	v_add_f32_e64 v3, |v2|, s10
; %bb.2348:
	s_or_b64 exec, exec, s[6:7]
                                        ; implicit-def: $vgpr4
.LBB169_2349:
	s_andn2_saveexec_b64 s[2:3], s[2:3]
; %bb.2350:
	s_mov_b32 s6, 0x7f800000
	v_mov_b32_e32 v3, 0x7c
	v_mov_b32_e32 v5, 0x7f
	v_cmp_lt_u32_e32 vcc, s6, v4
	s_nop 1
	v_cndmask_b32_e32 v3, v3, v5, vcc
; %bb.2351:
	s_or_b64 exec, exec, s[2:3]
	v_lshrrev_b32_e32 v2, 24, v2
	s_movk_i32 s2, 0x80
	v_and_or_b32 v2, v2, s2, v3
	global_store_byte v[0:1], v2, off
.LBB169_2352:
	s_mov_b64 s[2:3], 0
	s_mov_b64 s[6:7], -1
.LBB169_2353:
	s_andn2_b64 vcc, exec, s[2:3]
	s_mov_b64 s[2:3], 0
	s_cbranch_vccnz .LBB169_2360
; %bb.2354:
	s_cmp_gt_i32 s15, 14
	s_mov_b64 s[10:11], -1
	s_cbranch_scc0 .LBB169_2358
; %bb.2355:
	s_cmp_eq_u32 s15, 15
	s_mov_b64 s[0:1], -1
	s_cbranch_scc0 .LBB169_2357
; %bb.2356:
	v_cvt_f32_f64_e32 v2, v[8:9]
	v_bfe_u32 v3, v2, 16, 1
	s_movk_i32 s0, 0x7fff
	v_add3_u32 v3, v2, v3, s0
	v_cmp_o_f32_e32 vcc, v2, v2
	v_mov_b32_e32 v2, 0x7fc0
	s_mov_b64 s[0:1], 0
	v_cndmask_b32_sdwa v2, v2, v3, vcc dst_sel:DWORD dst_unused:UNUSED_PAD src0_sel:DWORD src1_sel:WORD_1
	global_store_short v[0:1], v2, off
	s_mov_b64 s[6:7], -1
.LBB169_2357:
	s_mov_b64 s[10:11], 0
.LBB169_2358:
	s_and_b64 vcc, exec, s[10:11]
	s_cbranch_vccz .LBB169_2360
; %bb.2359:
	s_cmp_lg_u32 s15, 11
	s_mov_b64 s[2:3], -1
	s_cselect_b64 s[0:1], -1, 0
.LBB169_2360:
	s_and_b64 vcc, exec, s[0:1]
	s_cbranch_vccnz .LBB169_2495
; %bb.2361:
	s_andn2_b64 vcc, exec, s[2:3]
	s_cbranch_vccnz .LBB169_2363
.LBB169_2362:
	v_cmp_neq_f64_e32 vcc, 0, v[8:9]
	v_cmp_neq_f64_e64 s[0:1], 0, v[10:11]
	s_or_b64 s[0:1], vcc, s[0:1]
	s_mov_b64 s[6:7], -1
	v_cndmask_b32_e64 v2, 0, 1, s[0:1]
	global_store_byte v[0:1], v2, off
.LBB169_2363:
	s_mov_b64 s[0:1], 0
	s_branch .LBB169_2365
.LBB169_2364:
	s_mov_b64 s[0:1], -1
	s_mov_b64 s[6:7], 0
.LBB169_2365:
	s_and_b64 vcc, exec, s[0:1]
	s_cbranch_vccz .LBB169_2404
; %bb.2366:
	s_and_b32 s2, 0xffff, s14
	s_cmp_lt_i32 s2, 5
	s_mov_b64 s[0:1], -1
	s_cbranch_scc1 .LBB169_2387
; %bb.2367:
	s_cmp_lt_i32 s2, 8
	s_cbranch_scc1 .LBB169_2377
; %bb.2368:
	s_cmp_lt_i32 s2, 9
	s_cbranch_scc1 .LBB169_2374
; %bb.2369:
	s_cmp_gt_i32 s2, 9
	s_cbranch_scc0 .LBB169_2371
; %bb.2370:
	global_store_dwordx4 v[0:1], v[8:11], off
	s_mov_b64 s[0:1], 0
.LBB169_2371:
	s_andn2_b64 vcc, exec, s[0:1]
	s_cbranch_vccnz .LBB169_2373
; %bb.2372:
	v_cvt_f32_f64_e32 v2, v[8:9]
	v_cvt_f32_f64_e32 v3, v[10:11]
	global_store_dwordx2 v[0:1], v[2:3], off
.LBB169_2373:
	s_mov_b64 s[0:1], 0
.LBB169_2374:
	s_andn2_b64 vcc, exec, s[0:1]
	s_cbranch_vccnz .LBB169_2376
; %bb.2375:
	s_movk_i32 s0, 0x1ff
	v_and_or_b32 v2, v9, s0, v8
	v_cmp_ne_u32_e32 vcc, 0, v2
	v_lshrrev_b32_e32 v3, 8, v9
	s_movk_i32 s1, 0xffe
	v_cndmask_b32_e64 v2, 0, 1, vcc
	v_bfe_u32 v4, v9, 20, 11
	v_and_or_b32 v2, v3, s1, v2
	v_sub_u32_e32 v5, 0x3f1, v4
	v_or_b32_e32 v3, 0x1000, v2
	v_med3_i32 v5, v5, 0, 13
	v_lshrrev_b32_e32 v6, v5, v3
	v_lshlrev_b32_e32 v5, v5, v6
	v_cmp_ne_u32_e32 vcc, v5, v3
	v_add_u32_e32 v4, 0xfffffc10, v4
	v_lshl_or_b32 v5, v4, 12, v2
	v_cndmask_b32_e64 v3, 0, 1, vcc
	v_or_b32_e32 v3, v6, v3
	v_cmp_gt_i32_e32 vcc, 1, v4
	s_movk_i32 s3, 0x40f
	v_lshrrev_b32_e32 v7, 8, v11
	v_cndmask_b32_e32 v3, v5, v3, vcc
	v_and_b32_e32 v5, 7, v3
	v_cmp_lt_i32_e32 vcc, 5, v5
	v_lshrrev_b32_e32 v3, 2, v3
	s_mov_b32 s6, 0x8000
	v_cndmask_b32_e64 v6, 0, 1, vcc
	v_cmp_eq_u32_e32 vcc, 3, v5
	s_nop 1
	v_cndmask_b32_e64 v5, 0, 1, vcc
	v_or_b32_e32 v5, v5, v6
	v_add_u32_e32 v3, v3, v5
	v_mov_b32_e32 v5, 0x7c00
	v_cmp_gt_i32_e32 vcc, 31, v4
	v_mov_b32_e32 v6, 0x7e00
	s_nop 0
	v_cndmask_b32_e32 v3, v5, v3, vcc
	v_cmp_ne_u32_e32 vcc, 0, v2
	s_nop 1
	v_cndmask_b32_e32 v2, v5, v6, vcc
	v_cmp_eq_u32_e32 vcc, s3, v4
	v_and_or_b32 v4, v11, s0, v10
	v_bfe_u32 v10, v11, 20, 11
	v_cndmask_b32_e32 v2, v3, v2, vcc
	v_cmp_ne_u32_e32 vcc, 0, v4
	v_sub_u32_e32 v16, 0x3f1, v10
	v_med3_i32 v16, v16, 0, 13
	v_cndmask_b32_e64 v4, 0, 1, vcc
	v_and_or_b32 v4, v7, s1, v4
	v_or_b32_e32 v7, 0x1000, v4
	v_lshrrev_b32_e32 v17, v16, v7
	v_lshlrev_b32_e32 v16, v16, v17
	v_cmp_ne_u32_e32 vcc, v16, v7
	v_add_u32_e32 v10, 0xfffffc10, v10
	v_lshl_or_b32 v16, v10, 12, v4
	v_cndmask_b32_e64 v7, 0, 1, vcc
	v_or_b32_e32 v7, v17, v7
	v_cmp_gt_i32_e32 vcc, 1, v10
	v_and_b32_sdwa v3, v9, s6 dst_sel:DWORD dst_unused:UNUSED_PAD src0_sel:WORD_1 src1_sel:DWORD
	s_mov_b32 s0, 0xffff
	v_cndmask_b32_e32 v7, v16, v7, vcc
	v_and_b32_e32 v16, 7, v7
	v_cmp_lt_i32_e32 vcc, 5, v16
	v_lshrrev_b32_e32 v7, 2, v7
	v_bitop3_b32 v2, v3, s0, v2 bitop3:0xc8
	v_cndmask_b32_e64 v17, 0, 1, vcc
	v_cmp_eq_u32_e32 vcc, 3, v16
	s_nop 1
	v_cndmask_b32_e64 v16, 0, 1, vcc
	v_or_b32_e32 v16, v16, v17
	v_add_u32_e32 v7, v7, v16
	v_cmp_gt_i32_e32 vcc, 31, v10
	s_nop 1
	v_cndmask_b32_e32 v7, v5, v7, vcc
	v_cmp_ne_u32_e32 vcc, 0, v4
	s_nop 1
	v_cndmask_b32_e32 v4, v5, v6, vcc
	v_cmp_eq_u32_e32 vcc, s3, v10
	v_lshrrev_b32_e32 v5, 16, v11
	s_nop 0
	v_cndmask_b32_e32 v4, v7, v4, vcc
	v_and_or_b32 v4, v5, s6, v4
	v_lshl_or_b32 v2, v4, 16, v2
	global_store_dword v[0:1], v2, off
.LBB169_2376:
	s_mov_b64 s[0:1], 0
.LBB169_2377:
	s_andn2_b64 vcc, exec, s[0:1]
	s_cbranch_vccnz .LBB169_2386
; %bb.2378:
	s_cmp_lt_i32 s2, 6
	s_mov_b64 s[0:1], -1
	s_cbranch_scc1 .LBB169_2384
; %bb.2379:
	s_cmp_gt_i32 s2, 6
	s_cbranch_scc0 .LBB169_2381
; %bb.2380:
	global_store_dwordx2 v[0:1], v[8:9], off
	s_mov_b64 s[0:1], 0
.LBB169_2381:
	s_andn2_b64 vcc, exec, s[0:1]
	s_cbranch_vccnz .LBB169_2383
; %bb.2382:
	v_cvt_f32_f64_e32 v2, v[8:9]
	global_store_dword v[0:1], v2, off
.LBB169_2383:
	s_mov_b64 s[0:1], 0
.LBB169_2384:
	s_andn2_b64 vcc, exec, s[0:1]
	s_cbranch_vccnz .LBB169_2386
; %bb.2385:
	s_movk_i32 s0, 0x1ff
	v_and_or_b32 v2, v9, s0, v8
	v_cmp_ne_u32_e32 vcc, 0, v2
	v_lshrrev_b32_e32 v3, 8, v9
	s_movk_i32 s0, 0xffe
	v_cndmask_b32_e64 v2, 0, 1, vcc
	v_bfe_u32 v4, v9, 20, 11
	v_and_or_b32 v2, v3, s0, v2
	v_sub_u32_e32 v5, 0x3f1, v4
	v_or_b32_e32 v3, 0x1000, v2
	v_med3_i32 v5, v5, 0, 13
	v_lshrrev_b32_e32 v6, v5, v3
	v_lshlrev_b32_e32 v5, v5, v6
	v_cmp_ne_u32_e32 vcc, v5, v3
	v_add_u32_e32 v4, 0xfffffc10, v4
	v_lshl_or_b32 v5, v4, 12, v2
	v_cndmask_b32_e64 v3, 0, 1, vcc
	v_or_b32_e32 v3, v6, v3
	v_cmp_gt_i32_e32 vcc, 1, v4
	s_movk_i32 s0, 0x40f
	s_nop 0
	v_cndmask_b32_e32 v3, v5, v3, vcc
	v_and_b32_e32 v5, 7, v3
	v_cmp_lt_i32_e32 vcc, 5, v5
	v_lshrrev_b32_e32 v3, 2, v3
	s_nop 0
	v_cndmask_b32_e64 v6, 0, 1, vcc
	v_cmp_eq_u32_e32 vcc, 3, v5
	s_nop 1
	v_cndmask_b32_e64 v5, 0, 1, vcc
	v_or_b32_e32 v5, v5, v6
	v_add_u32_e32 v3, v3, v5
	v_mov_b32_e32 v5, 0x7c00
	v_cmp_gt_i32_e32 vcc, 31, v4
	v_mov_b32_e32 v6, 0x7e00
	s_nop 0
	v_cndmask_b32_e32 v3, v5, v3, vcc
	v_cmp_ne_u32_e32 vcc, 0, v2
	s_nop 1
	v_cndmask_b32_e32 v2, v5, v6, vcc
	v_cmp_eq_u32_e32 vcc, s0, v4
	s_mov_b32 s0, 0x8000
	s_nop 0
	v_cndmask_b32_e32 v2, v3, v2, vcc
	v_lshrrev_b32_e32 v3, 16, v9
	v_and_or_b32 v2, v3, s0, v2
	global_store_short v[0:1], v2, off
.LBB169_2386:
	s_mov_b64 s[0:1], 0
.LBB169_2387:
	s_andn2_b64 vcc, exec, s[0:1]
	s_cbranch_vccnz .LBB169_2403
; %bb.2388:
	s_cmp_lt_i32 s2, 2
	s_mov_b64 s[0:1], -1
	s_cbranch_scc1 .LBB169_2398
; %bb.2389:
	s_cmp_lt_i32 s2, 3
	s_cbranch_scc1 .LBB169_2395
; %bb.2390:
	s_cmp_gt_i32 s2, 3
	s_cbranch_scc0 .LBB169_2392
; %bb.2391:
	v_trunc_f64_e32 v[2:3], v[8:9]
	s_movk_i32 s0, 0xffe0
	v_ldexp_f64 v[4:5], v[2:3], s0
	v_floor_f64_e32 v[4:5], v[4:5]
	v_fmac_f64_e32 v[2:3], 0xc1f00000, v[4:5]
	v_cvt_i32_f64_e32 v7, v[4:5]
	v_cvt_u32_f64_e32 v6, v[2:3]
	global_store_dwordx2 v[0:1], v[6:7], off
	s_mov_b64 s[0:1], 0
.LBB169_2392:
	s_andn2_b64 vcc, exec, s[0:1]
	s_cbranch_vccnz .LBB169_2394
; %bb.2393:
	v_cvt_i32_f64_e32 v2, v[8:9]
	global_store_dword v[0:1], v2, off
.LBB169_2394:
	s_mov_b64 s[0:1], 0
.LBB169_2395:
	s_andn2_b64 vcc, exec, s[0:1]
	s_cbranch_vccnz .LBB169_2397
; %bb.2396:
	v_cvt_i32_f64_e32 v2, v[8:9]
	global_store_short v[0:1], v2, off
.LBB169_2397:
	s_mov_b64 s[0:1], 0
.LBB169_2398:
	s_andn2_b64 vcc, exec, s[0:1]
	s_cbranch_vccnz .LBB169_2403
; %bb.2399:
	s_cmp_gt_i32 s2, 0
	s_mov_b64 s[0:1], -1
	s_cbranch_scc0 .LBB169_2401
; %bb.2400:
	v_cvt_i32_f64_e32 v2, v[8:9]
	global_store_byte v[0:1], v2, off
	s_mov_b64 s[0:1], 0
.LBB169_2401:
	s_andn2_b64 vcc, exec, s[0:1]
	s_cbranch_vccnz .LBB169_2403
; %bb.2402:
	v_trunc_f64_e32 v[2:3], v[8:9]
	s_movk_i32 s0, 0xffe0
	v_ldexp_f64 v[4:5], v[2:3], s0
	v_floor_f64_e32 v[4:5], v[4:5]
	v_fmac_f64_e32 v[2:3], 0xc1f00000, v[4:5]
	v_cvt_u32_f64_e32 v2, v[2:3]
	global_store_byte v[0:1], v2, off
.LBB169_2403:
	s_mov_b64 s[6:7], -1
.LBB169_2404:
	s_andn2_b64 vcc, exec, s[6:7]
	s_cbranch_vccnz .LBB169_2481
; %bb.2405:
	v_mov_b32_e32 v19, 0
	s_cmp_lt_i32 s14, 11
	v_lshl_add_u64 v[0:1], s[4:5], 0, v[18:19]
	s_cbranch_scc1 .LBB169_2482
; %bb.2406:
	s_and_b32 s12, 0xffff, s14
	s_mov_b64 s[4:5], -1
	s_mov_b64 s[2:3], 0
	s_cmp_gt_i32 s12, 25
	s_mov_b64 s[0:1], 0
	s_cbranch_scc0 .LBB169_2439
; %bb.2407:
	s_cmp_gt_i32 s12, 28
	s_cbranch_scc0 .LBB169_2423
; %bb.2408:
	s_cmp_gt_i32 s12, 43
	;; [unrolled: 3-line block ×3, first 2 shown]
	s_cbranch_scc0 .LBB169_2413
; %bb.2410:
	s_cmp_eq_u32 s12, 46
	s_mov_b64 s[0:1], -1
	s_cbranch_scc0 .LBB169_2412
; %bb.2411:
	v_cvt_f32_f64_e32 v3, v[14:15]
	s_movk_i32 s0, 0x7fff
	v_bfe_u32 v5, v3, 16, 1
	v_cvt_f32_f64_e32 v2, v[12:13]
	v_add3_u32 v5, v3, v5, s0
	v_bfe_u32 v4, v2, 16, 1
	v_and_b32_e32 v5, 0xffff0000, v5
	v_mov_b32_e32 v6, 0x7fc00000
	v_cmp_o_f32_e32 vcc, v3, v3
	v_add3_u32 v4, v2, v4, s0
	s_mov_b64 s[0:1], 0
	v_cndmask_b32_e32 v3, v6, v5, vcc
	v_cmp_o_f32_e32 vcc, v2, v2
	v_mov_b32_e32 v2, 0x7fc0
	s_nop 0
	v_cndmask_b32_sdwa v2, v2, v4, vcc dst_sel:DWORD dst_unused:UNUSED_PAD src0_sel:DWORD src1_sel:WORD_1
	v_or_b32_e32 v2, v3, v2
	global_store_dword v[0:1], v2, off
.LBB169_2412:
	s_mov_b64 s[4:5], 0
.LBB169_2413:
	s_and_b64 vcc, exec, s[4:5]
	s_cbranch_vccz .LBB169_2418
; %bb.2414:
	s_cmp_eq_u32 s12, 44
	s_mov_b64 s[0:1], -1
	s_cbranch_scc0 .LBB169_2418
; %bb.2415:
	v_cvt_f32_f64_e32 v2, v[12:13]
	v_bfe_u32 v3, v2, 23, 8
	s_movk_i32 s0, 0xff
	v_cmp_ne_u32_e32 vcc, s0, v3
	v_mov_b32_e32 v4, 0xff
	s_and_saveexec_b64 s[4:5], vcc
; %bb.2416:
	s_mov_b32 s0, 0x3fffff
	v_lshrrev_b32_e32 v4, 23, v2
	v_and_b32_e32 v5, 0x400000, v2
	v_and_or_b32 v2, v2, s0, v3
	v_cmp_ne_u32_e32 vcc, 0, v5
	v_cmp_ne_u32_e64 s[0:1], 0, v2
	s_and_b64 s[0:1], vcc, s[0:1]
	s_nop 0
	v_cndmask_b32_e64 v2, 0, 1, s[0:1]
	v_add_u32_e32 v4, v4, v2
; %bb.2417:
	s_or_b64 exec, exec, s[4:5]
	s_mov_b64 s[0:1], 0
	global_store_byte v[0:1], v4, off
.LBB169_2418:
	s_mov_b64 s[4:5], 0
.LBB169_2419:
	s_and_b64 vcc, exec, s[4:5]
	s_cbranch_vccz .LBB169_2422
; %bb.2420:
	s_cmp_eq_u32 s12, 29
	s_mov_b64 s[0:1], -1
	s_cbranch_scc0 .LBB169_2422
; %bb.2421:
	v_trunc_f64_e32 v[2:3], v[12:13]
	s_movk_i32 s0, 0xffe0
	v_ldexp_f64 v[4:5], v[2:3], s0
	v_floor_f64_e32 v[4:5], v[4:5]
	v_fmac_f64_e32 v[2:3], 0xc1f00000, v[4:5]
	v_cvt_u32_f64_e32 v7, v[4:5]
	v_cvt_u32_f64_e32 v6, v[2:3]
	global_store_dwordx2 v[0:1], v[6:7], off
	s_mov_b64 s[0:1], 0
.LBB169_2422:
	s_mov_b64 s[4:5], 0
.LBB169_2423:
	s_and_b64 vcc, exec, s[4:5]
	s_cbranch_vccz .LBB169_2438
; %bb.2424:
	s_cmp_lt_i32 s12, 27
	s_mov_b64 s[4:5], -1
	s_cbranch_scc1 .LBB169_2430
; %bb.2425:
	s_cmp_gt_i32 s12, 27
	s_cbranch_scc0 .LBB169_2427
; %bb.2426:
	v_cvt_u32_f64_e32 v2, v[12:13]
	global_store_dword v[0:1], v2, off
	s_mov_b64 s[4:5], 0
.LBB169_2427:
	s_andn2_b64 vcc, exec, s[4:5]
	s_cbranch_vccnz .LBB169_2429
; %bb.2428:
	v_cvt_u32_f64_e32 v2, v[12:13]
	global_store_short v[0:1], v2, off
.LBB169_2429:
	s_mov_b64 s[4:5], 0
.LBB169_2430:
	s_andn2_b64 vcc, exec, s[4:5]
	s_cbranch_vccnz .LBB169_2438
; %bb.2431:
	v_cvt_f32_f64_e32 v2, v[12:13]
	v_and_b32_e32 v3, 0x7fffffff, v2
	s_mov_b32 s4, 0x43800000
	v_cmp_gt_u32_e32 vcc, s4, v3
	v_mov_b32_e32 v4, 0x80
	s_and_saveexec_b64 s[4:5], vcc
	s_cbranch_execz .LBB169_2437
; %bb.2432:
	s_mov_b32 s6, 0x3bffffff
	v_cmp_lt_u32_e32 vcc, s6, v3
	s_mov_b64 s[6:7], 0
                                        ; implicit-def: $vgpr3
	s_and_saveexec_b64 s[10:11], vcc
	s_xor_b64 s[10:11], exec, s[10:11]
	s_cbranch_execz .LBB169_2498
; %bb.2433:
	v_bfe_u32 v3, v2, 20, 1
	s_mov_b32 s13, 0x487ffff
	v_add3_u32 v3, v2, v3, s13
	s_mov_b64 s[6:7], exec
	v_lshrrev_b32_e32 v3, 20, v3
	s_andn2_saveexec_b64 s[10:11], s[10:11]
	s_cbranch_execnz .LBB169_2499
.LBB169_2434:
	s_or_b64 exec, exec, s[10:11]
	v_mov_b32_e32 v4, 0
	s_and_saveexec_b64 s[10:11], s[6:7]
.LBB169_2435:
	v_lshrrev_b32_e32 v2, 24, v2
	s_movk_i32 s6, 0x80
	v_and_or_b32 v4, v2, s6, v3
.LBB169_2436:
	s_or_b64 exec, exec, s[10:11]
.LBB169_2437:
	s_or_b64 exec, exec, s[4:5]
	global_store_byte v[0:1], v4, off
.LBB169_2438:
	s_mov_b64 s[4:5], 0
.LBB169_2439:
	s_and_b64 vcc, exec, s[4:5]
	s_cbranch_vccz .LBB169_2479
; %bb.2440:
	s_cmp_gt_i32 s12, 22
	s_mov_b64 s[2:3], -1
	s_cbranch_scc0 .LBB169_2472
; %bb.2441:
	s_cmp_lt_i32 s12, 24
	s_cbranch_scc1 .LBB169_2461
; %bb.2442:
	s_cmp_gt_i32 s12, 24
	s_cbranch_scc0 .LBB169_2450
; %bb.2443:
	v_cvt_f32_f64_e32 v2, v[12:13]
	v_and_b32_e32 v3, 0x7fffffff, v2
	s_mov_b32 s2, 0x47800000
	v_cmp_gt_u32_e32 vcc, s2, v3
	v_mov_b32_e32 v4, 0x80
	s_and_saveexec_b64 s[2:3], vcc
	s_cbranch_execz .LBB169_2449
; %bb.2444:
	s_mov_b32 s4, 0x37ffffff
	v_cmp_lt_u32_e32 vcc, s4, v3
	s_mov_b64 s[4:5], 0
                                        ; implicit-def: $vgpr3
	s_and_saveexec_b64 s[6:7], vcc
	s_xor_b64 s[6:7], exec, s[6:7]
	s_cbranch_execz .LBB169_2501
; %bb.2445:
	v_bfe_u32 v3, v2, 21, 1
	s_mov_b32 s10, 0x88fffff
	v_add3_u32 v3, v2, v3, s10
	s_mov_b64 s[4:5], exec
	v_lshrrev_b32_e32 v3, 21, v3
	s_andn2_saveexec_b64 s[6:7], s[6:7]
	s_cbranch_execnz .LBB169_2502
.LBB169_2446:
	s_or_b64 exec, exec, s[6:7]
	v_mov_b32_e32 v4, 0
	s_and_saveexec_b64 s[6:7], s[4:5]
.LBB169_2447:
	v_lshrrev_b32_e32 v2, 24, v2
	s_movk_i32 s4, 0x80
	v_and_or_b32 v4, v2, s4, v3
.LBB169_2448:
	s_or_b64 exec, exec, s[6:7]
.LBB169_2449:
	s_or_b64 exec, exec, s[2:3]
	s_mov_b64 s[2:3], 0
	global_store_byte v[0:1], v4, off
.LBB169_2450:
	s_and_b64 vcc, exec, s[2:3]
	s_cbranch_vccz .LBB169_2460
; %bb.2451:
	v_cvt_f32_f64_e32 v2, v[12:13]
	v_and_b32_e32 v4, 0x7fffffff, v2
	s_mov_b32 s2, 0x43f00000
	v_cmp_gt_u32_e32 vcc, s2, v4
                                        ; implicit-def: $vgpr3
	s_and_saveexec_b64 s[2:3], vcc
	s_xor_b64 s[2:3], exec, s[2:3]
	s_cbranch_execz .LBB169_2457
; %bb.2452:
	s_mov_b32 s4, 0x3c7fffff
	v_cmp_lt_u32_e32 vcc, s4, v4
                                        ; implicit-def: $vgpr3
	s_and_saveexec_b64 s[4:5], vcc
	s_xor_b64 s[4:5], exec, s[4:5]
; %bb.2453:
	v_bfe_u32 v3, v2, 20, 1
	s_mov_b32 s6, 0x407ffff
	v_add3_u32 v3, v2, v3, s6
	v_lshrrev_b32_e32 v4, 20, v3
	v_and_b32_e32 v3, 0xff00000, v3
	s_mov_b32 s6, 0x7f00000
	v_mov_b32_e32 v5, 0x7e
	v_cmp_ne_u32_e32 vcc, s6, v3
	s_nop 1
	v_cndmask_b32_e32 v3, v5, v4, vcc
; %bb.2454:
	s_andn2_saveexec_b64 s[4:5], s[4:5]
; %bb.2455:
	s_mov_b32 s6, 0x46800000
	v_add_f32_e64 v3, |v2|, s6
; %bb.2456:
	s_or_b64 exec, exec, s[4:5]
                                        ; implicit-def: $vgpr4
.LBB169_2457:
	s_andn2_saveexec_b64 s[2:3], s[2:3]
; %bb.2458:
	s_mov_b32 s4, 0x7f800000
	v_mov_b32_e32 v3, 0x7e
	v_mov_b32_e32 v5, 0x7f
	v_cmp_lt_u32_e32 vcc, s4, v4
	s_nop 1
	v_cndmask_b32_e32 v3, v3, v5, vcc
; %bb.2459:
	s_or_b64 exec, exec, s[2:3]
	v_lshrrev_b32_e32 v2, 24, v2
	s_movk_i32 s2, 0x80
	v_and_or_b32 v2, v2, s2, v3
	global_store_byte v[0:1], v2, off
.LBB169_2460:
	s_mov_b64 s[2:3], 0
.LBB169_2461:
	s_andn2_b64 vcc, exec, s[2:3]
	s_cbranch_vccnz .LBB169_2471
; %bb.2462:
	v_cvt_f32_f64_e32 v2, v[12:13]
	v_and_b32_e32 v4, 0x7fffffff, v2
	s_mov_b32 s2, 0x47800000
	v_cmp_gt_u32_e32 vcc, s2, v4
                                        ; implicit-def: $vgpr3
	s_and_saveexec_b64 s[2:3], vcc
	s_xor_b64 s[2:3], exec, s[2:3]
	s_cbranch_execz .LBB169_2468
; %bb.2463:
	s_mov_b32 s4, 0x387fffff
	v_cmp_lt_u32_e32 vcc, s4, v4
                                        ; implicit-def: $vgpr3
	s_and_saveexec_b64 s[4:5], vcc
	s_xor_b64 s[4:5], exec, s[4:5]
; %bb.2464:
	v_bfe_u32 v3, v2, 21, 1
	s_mov_b32 s6, 0x80fffff
	v_add3_u32 v3, v2, v3, s6
	v_lshrrev_b32_e32 v3, 21, v3
; %bb.2465:
	s_andn2_saveexec_b64 s[4:5], s[4:5]
; %bb.2466:
	s_mov_b32 s6, 0x43000000
	v_add_f32_e64 v3, |v2|, s6
; %bb.2467:
	s_or_b64 exec, exec, s[4:5]
                                        ; implicit-def: $vgpr4
.LBB169_2468:
	s_andn2_saveexec_b64 s[2:3], s[2:3]
; %bb.2469:
	s_mov_b32 s4, 0x7f800000
	v_mov_b32_e32 v3, 0x7c
	v_mov_b32_e32 v5, 0x7f
	v_cmp_lt_u32_e32 vcc, s4, v4
	s_nop 1
	v_cndmask_b32_e32 v3, v3, v5, vcc
; %bb.2470:
	s_or_b64 exec, exec, s[2:3]
	v_lshrrev_b32_e32 v2, 24, v2
	s_movk_i32 s2, 0x80
	v_and_or_b32 v2, v2, s2, v3
	global_store_byte v[0:1], v2, off
.LBB169_2471:
	s_mov_b64 s[2:3], 0
.LBB169_2472:
	s_andn2_b64 vcc, exec, s[2:3]
	s_mov_b64 s[2:3], 0
	s_cbranch_vccnz .LBB169_2479
; %bb.2473:
	s_cmp_gt_i32 s12, 14
	s_mov_b64 s[4:5], -1
	s_cbranch_scc0 .LBB169_2477
; %bb.2474:
	s_cmp_eq_u32 s12, 15
	s_mov_b64 s[0:1], -1
	s_cbranch_scc0 .LBB169_2476
; %bb.2475:
	v_cvt_f32_f64_e32 v2, v[12:13]
	v_bfe_u32 v3, v2, 16, 1
	s_movk_i32 s0, 0x7fff
	v_add3_u32 v3, v2, v3, s0
	v_cmp_o_f32_e32 vcc, v2, v2
	v_mov_b32_e32 v2, 0x7fc0
	s_mov_b64 s[0:1], 0
	v_cndmask_b32_sdwa v2, v2, v3, vcc dst_sel:DWORD dst_unused:UNUSED_PAD src0_sel:DWORD src1_sel:WORD_1
	global_store_short v[0:1], v2, off
.LBB169_2476:
	s_mov_b64 s[4:5], 0
.LBB169_2477:
	s_and_b64 vcc, exec, s[4:5]
	s_cbranch_vccz .LBB169_2479
; %bb.2478:
	s_cmp_lg_u32 s12, 11
	s_mov_b64 s[2:3], -1
	s_cselect_b64 s[0:1], -1, 0
.LBB169_2479:
	s_and_b64 vcc, exec, s[0:1]
	s_cbranch_vccnz .LBB169_2500
.LBB169_2480:
	s_mov_b64 s[0:1], 0
	s_branch .LBB169_1978
.LBB169_2481:
	s_mov_b64 s[0:1], 0
                                        ; implicit-def: $vgpr0_vgpr1
                                        ; implicit-def: $sgpr14
	s_branch .LBB169_1977
.LBB169_2482:
	s_mov_b64 s[2:3], 0
	s_mov_b64 s[0:1], -1
	s_branch .LBB169_1978
.LBB169_2483:
	s_andn2_saveexec_b64 s[12:13], s[12:13]
	s_cbranch_execz .LBB169_2076
.LBB169_2484:
	s_mov_b32 s16, 0x46000000
	v_add_f32_e64 v21, |v19|, s16
	v_and_b32_e32 v21, 0xff, v21
	v_cmp_ne_u32_e32 vcc, 0, v21
	s_andn2_b64 s[10:11], s[10:11], exec
	s_and_b64 s[16:17], vcc, exec
	s_or_b64 s[10:11], s[10:11], s[16:17]
	s_or_b64 exec, exec, s[12:13]
	v_mov_b32_e32 v23, 0
	s_and_saveexec_b64 s[12:13], s[10:11]
	s_cbranch_execnz .LBB169_2077
	s_branch .LBB169_2078
.LBB169_2485:
	s_trap 2
	s_or_b64 s[8:9], s[8:9], exec
	s_cbranch_execz .LBB169_2124
	s_branch .LBB169_2125
.LBB169_2486:
	s_andn2_saveexec_b64 s[10:11], s[10:11]
	s_cbranch_execz .LBB169_2089
.LBB169_2487:
	s_mov_b32 s12, 0x42800000
	v_add_f32_e64 v21, |v19|, s12
	v_and_b32_e32 v21, 0xff, v21
	v_cmp_ne_u32_e32 vcc, 0, v21
	s_andn2_b64 s[6:7], s[6:7], exec
	s_and_b64 s[12:13], vcc, exec
	s_or_b64 s[6:7], s[6:7], s[12:13]
	s_or_b64 exec, exec, s[10:11]
	v_mov_b32_e32 v23, 0
	s_and_saveexec_b64 s[10:11], s[6:7]
	s_cbranch_execnz .LBB169_2090
	s_branch .LBB169_2091
.LBB169_2488:
	s_andn2_saveexec_b64 s[12:13], s[12:13]
	s_cbranch_execz .LBB169_2195
.LBB169_2489:
	s_mov_b32 s16, 0x46000000
	v_add_f32_e64 v3, |v2|, s16
	v_and_b32_e32 v3, 0xff, v3
	v_cmp_ne_u32_e32 vcc, 0, v3
	s_andn2_b64 s[10:11], s[10:11], exec
	s_and_b64 s[16:17], vcc, exec
	s_or_b64 s[10:11], s[10:11], s[16:17]
	s_or_b64 exec, exec, s[12:13]
	v_mov_b32_e32 v16, 0
	s_and_saveexec_b64 s[12:13], s[10:11]
	s_cbranch_execnz .LBB169_2196
	s_branch .LBB169_2197
.LBB169_2490:
	s_trap 2
	s_or_b64 s[8:9], s[8:9], exec
	s_cbranch_execz .LBB169_2243
	s_branch .LBB169_2244
.LBB169_2491:
	s_andn2_saveexec_b64 s[10:11], s[10:11]
	s_cbranch_execz .LBB169_2208
.LBB169_2492:
	s_mov_b32 s12, 0x42800000
	v_add_f32_e64 v3, |v2|, s12
	v_and_b32_e32 v3, 0xff, v3
	v_cmp_ne_u32_e32 vcc, 0, v3
	s_andn2_b64 s[6:7], s[6:7], exec
	s_and_b64 s[12:13], vcc, exec
	s_or_b64 s[6:7], s[6:7], s[12:13]
	s_or_b64 exec, exec, s[10:11]
	v_mov_b32_e32 v16, 0
	s_and_saveexec_b64 s[10:11], s[6:7]
	s_cbranch_execnz .LBB169_2209
	s_branch .LBB169_2210
.LBB169_2493:
	s_andn2_saveexec_b64 s[12:13], s[12:13]
	s_cbranch_execz .LBB169_2314
.LBB169_2494:
	s_mov_b32 s16, 0x46000000
	v_add_f32_e64 v3, |v2|, s16
	v_and_b32_e32 v3, 0xff, v3
	v_cmp_ne_u32_e32 vcc, 0, v3
	s_andn2_b64 s[10:11], s[10:11], exec
	s_and_b64 s[16:17], vcc, exec
	s_or_b64 s[10:11], s[10:11], s[16:17]
	s_or_b64 exec, exec, s[12:13]
	v_mov_b32_e32 v4, 0
	s_and_saveexec_b64 s[12:13], s[10:11]
	s_cbranch_execnz .LBB169_2315
	s_branch .LBB169_2316
.LBB169_2495:
	s_trap 2
	s_or_b64 s[8:9], s[8:9], exec
	s_cbranch_execz .LBB169_2362
	s_branch .LBB169_2363
.LBB169_2496:
	s_andn2_saveexec_b64 s[10:11], s[10:11]
	s_cbranch_execz .LBB169_2327
.LBB169_2497:
	s_mov_b32 s12, 0x42800000
	v_add_f32_e64 v3, |v2|, s12
	v_and_b32_e32 v3, 0xff, v3
	v_cmp_ne_u32_e32 vcc, 0, v3
	s_andn2_b64 s[6:7], s[6:7], exec
	s_and_b64 s[12:13], vcc, exec
	s_or_b64 s[6:7], s[6:7], s[12:13]
	s_or_b64 exec, exec, s[10:11]
	v_mov_b32_e32 v4, 0
	s_and_saveexec_b64 s[10:11], s[6:7]
	s_cbranch_execnz .LBB169_2328
	s_branch .LBB169_2329
.LBB169_2498:
	s_andn2_saveexec_b64 s[10:11], s[10:11]
	s_cbranch_execz .LBB169_2434
.LBB169_2499:
	s_mov_b32 s13, 0x46000000
	v_add_f32_e64 v3, |v2|, s13
	v_and_b32_e32 v3, 0xff, v3
	v_cmp_ne_u32_e32 vcc, 0, v3
	s_andn2_b64 s[6:7], s[6:7], exec
	s_and_b64 s[16:17], vcc, exec
	s_or_b64 s[6:7], s[6:7], s[16:17]
	s_or_b64 exec, exec, s[10:11]
	v_mov_b32_e32 v4, 0
	s_and_saveexec_b64 s[10:11], s[6:7]
	s_cbranch_execnz .LBB169_2435
	s_branch .LBB169_2436
.LBB169_2500:
	s_mov_b64 s[2:3], 0
	s_or_b64 s[8:9], s[8:9], exec
	s_trap 2
	s_branch .LBB169_2480
.LBB169_2501:
	s_andn2_saveexec_b64 s[6:7], s[6:7]
	s_cbranch_execz .LBB169_2446
.LBB169_2502:
	s_mov_b32 s10, 0x42800000
	v_add_f32_e64 v3, |v2|, s10
	v_and_b32_e32 v3, 0xff, v3
	v_cmp_ne_u32_e32 vcc, 0, v3
	s_andn2_b64 s[4:5], s[4:5], exec
	s_and_b64 s[10:11], vcc, exec
	s_or_b64 s[4:5], s[4:5], s[10:11]
	s_or_b64 exec, exec, s[6:7]
	v_mov_b32_e32 v4, 0
	s_and_saveexec_b64 s[6:7], s[4:5]
	s_cbranch_execnz .LBB169_2447
	s_branch .LBB169_2448
	.section	.rodata,"a",@progbits
	.p2align	6, 0x0
	.amdhsa_kernel _ZN2at6native32elementwise_kernel_manual_unrollILi128ELi4EZNS0_15gpu_kernel_implIZZZNS0_17rsqrt_kernel_cudaERNS_18TensorIteratorBaseEENKUlvE_clEvENKUlvE_clEvEUlN3c107complexIdEEE_EEvS4_RKT_EUlibE0_EEviT1_
		.amdhsa_group_segment_fixed_size 0
		.amdhsa_private_segment_fixed_size 0
		.amdhsa_kernarg_size 360
		.amdhsa_user_sgpr_count 2
		.amdhsa_user_sgpr_dispatch_ptr 0
		.amdhsa_user_sgpr_queue_ptr 0
		.amdhsa_user_sgpr_kernarg_segment_ptr 1
		.amdhsa_user_sgpr_dispatch_id 0
		.amdhsa_user_sgpr_kernarg_preload_length 0
		.amdhsa_user_sgpr_kernarg_preload_offset 0
		.amdhsa_user_sgpr_private_segment_size 0
		.amdhsa_uses_dynamic_stack 0
		.amdhsa_enable_private_segment 0
		.amdhsa_system_sgpr_workgroup_id_x 1
		.amdhsa_system_sgpr_workgroup_id_y 0
		.amdhsa_system_sgpr_workgroup_id_z 0
		.amdhsa_system_sgpr_workgroup_info 0
		.amdhsa_system_vgpr_workitem_id 0
		.amdhsa_next_free_vgpr 34
		.amdhsa_next_free_sgpr 78
		.amdhsa_accum_offset 36
		.amdhsa_reserve_vcc 1
		.amdhsa_float_round_mode_32 0
		.amdhsa_float_round_mode_16_64 0
		.amdhsa_float_denorm_mode_32 3
		.amdhsa_float_denorm_mode_16_64 3
		.amdhsa_dx10_clamp 1
		.amdhsa_ieee_mode 1
		.amdhsa_fp16_overflow 0
		.amdhsa_tg_split 0
		.amdhsa_exception_fp_ieee_invalid_op 0
		.amdhsa_exception_fp_denorm_src 0
		.amdhsa_exception_fp_ieee_div_zero 0
		.amdhsa_exception_fp_ieee_overflow 0
		.amdhsa_exception_fp_ieee_underflow 0
		.amdhsa_exception_fp_ieee_inexact 0
		.amdhsa_exception_int_div_zero 0
	.end_amdhsa_kernel
	.section	.text._ZN2at6native32elementwise_kernel_manual_unrollILi128ELi4EZNS0_15gpu_kernel_implIZZZNS0_17rsqrt_kernel_cudaERNS_18TensorIteratorBaseEENKUlvE_clEvENKUlvE_clEvEUlN3c107complexIdEEE_EEvS4_RKT_EUlibE0_EEviT1_,"axG",@progbits,_ZN2at6native32elementwise_kernel_manual_unrollILi128ELi4EZNS0_15gpu_kernel_implIZZZNS0_17rsqrt_kernel_cudaERNS_18TensorIteratorBaseEENKUlvE_clEvENKUlvE_clEvEUlN3c107complexIdEEE_EEvS4_RKT_EUlibE0_EEviT1_,comdat
.Lfunc_end169:
	.size	_ZN2at6native32elementwise_kernel_manual_unrollILi128ELi4EZNS0_15gpu_kernel_implIZZZNS0_17rsqrt_kernel_cudaERNS_18TensorIteratorBaseEENKUlvE_clEvENKUlvE_clEvEUlN3c107complexIdEEE_EEvS4_RKT_EUlibE0_EEviT1_, .Lfunc_end169-_ZN2at6native32elementwise_kernel_manual_unrollILi128ELi4EZNS0_15gpu_kernel_implIZZZNS0_17rsqrt_kernel_cudaERNS_18TensorIteratorBaseEENKUlvE_clEvENKUlvE_clEvEUlN3c107complexIdEEE_EEvS4_RKT_EUlibE0_EEviT1_
                                        ; -- End function
	.set _ZN2at6native32elementwise_kernel_manual_unrollILi128ELi4EZNS0_15gpu_kernel_implIZZZNS0_17rsqrt_kernel_cudaERNS_18TensorIteratorBaseEENKUlvE_clEvENKUlvE_clEvEUlN3c107complexIdEEE_EEvS4_RKT_EUlibE0_EEviT1_.num_vgpr, 34
	.set _ZN2at6native32elementwise_kernel_manual_unrollILi128ELi4EZNS0_15gpu_kernel_implIZZZNS0_17rsqrt_kernel_cudaERNS_18TensorIteratorBaseEENKUlvE_clEvENKUlvE_clEvEUlN3c107complexIdEEE_EEvS4_RKT_EUlibE0_EEviT1_.num_agpr, 0
	.set _ZN2at6native32elementwise_kernel_manual_unrollILi128ELi4EZNS0_15gpu_kernel_implIZZZNS0_17rsqrt_kernel_cudaERNS_18TensorIteratorBaseEENKUlvE_clEvENKUlvE_clEvEUlN3c107complexIdEEE_EEvS4_RKT_EUlibE0_EEviT1_.numbered_sgpr, 78
	.set _ZN2at6native32elementwise_kernel_manual_unrollILi128ELi4EZNS0_15gpu_kernel_implIZZZNS0_17rsqrt_kernel_cudaERNS_18TensorIteratorBaseEENKUlvE_clEvENKUlvE_clEvEUlN3c107complexIdEEE_EEvS4_RKT_EUlibE0_EEviT1_.num_named_barrier, 0
	.set _ZN2at6native32elementwise_kernel_manual_unrollILi128ELi4EZNS0_15gpu_kernel_implIZZZNS0_17rsqrt_kernel_cudaERNS_18TensorIteratorBaseEENKUlvE_clEvENKUlvE_clEvEUlN3c107complexIdEEE_EEvS4_RKT_EUlibE0_EEviT1_.private_seg_size, 0
	.set _ZN2at6native32elementwise_kernel_manual_unrollILi128ELi4EZNS0_15gpu_kernel_implIZZZNS0_17rsqrt_kernel_cudaERNS_18TensorIteratorBaseEENKUlvE_clEvENKUlvE_clEvEUlN3c107complexIdEEE_EEvS4_RKT_EUlibE0_EEviT1_.uses_vcc, 1
	.set _ZN2at6native32elementwise_kernel_manual_unrollILi128ELi4EZNS0_15gpu_kernel_implIZZZNS0_17rsqrt_kernel_cudaERNS_18TensorIteratorBaseEENKUlvE_clEvENKUlvE_clEvEUlN3c107complexIdEEE_EEvS4_RKT_EUlibE0_EEviT1_.uses_flat_scratch, 0
	.set _ZN2at6native32elementwise_kernel_manual_unrollILi128ELi4EZNS0_15gpu_kernel_implIZZZNS0_17rsqrt_kernel_cudaERNS_18TensorIteratorBaseEENKUlvE_clEvENKUlvE_clEvEUlN3c107complexIdEEE_EEvS4_RKT_EUlibE0_EEviT1_.has_dyn_sized_stack, 0
	.set _ZN2at6native32elementwise_kernel_manual_unrollILi128ELi4EZNS0_15gpu_kernel_implIZZZNS0_17rsqrt_kernel_cudaERNS_18TensorIteratorBaseEENKUlvE_clEvENKUlvE_clEvEUlN3c107complexIdEEE_EEvS4_RKT_EUlibE0_EEviT1_.has_recursion, 0
	.set _ZN2at6native32elementwise_kernel_manual_unrollILi128ELi4EZNS0_15gpu_kernel_implIZZZNS0_17rsqrt_kernel_cudaERNS_18TensorIteratorBaseEENKUlvE_clEvENKUlvE_clEvEUlN3c107complexIdEEE_EEvS4_RKT_EUlibE0_EEviT1_.has_indirect_call, 0
	.section	.AMDGPU.csdata,"",@progbits
; Kernel info:
; codeLenInByte = 59592
; TotalNumSgprs: 84
; NumVgprs: 34
; NumAgprs: 0
; TotalNumVgprs: 34
; ScratchSize: 0
; MemoryBound: 1
; FloatMode: 240
; IeeeMode: 1
; LDSByteSize: 0 bytes/workgroup (compile time only)
; SGPRBlocks: 10
; VGPRBlocks: 4
; NumSGPRsForWavesPerEU: 84
; NumVGPRsForWavesPerEU: 34
; AccumOffset: 36
; Occupancy: 8
; WaveLimiterHint : 1
; COMPUTE_PGM_RSRC2:SCRATCH_EN: 0
; COMPUTE_PGM_RSRC2:USER_SGPR: 2
; COMPUTE_PGM_RSRC2:TRAP_HANDLER: 0
; COMPUTE_PGM_RSRC2:TGID_X_EN: 1
; COMPUTE_PGM_RSRC2:TGID_Y_EN: 0
; COMPUTE_PGM_RSRC2:TGID_Z_EN: 0
; COMPUTE_PGM_RSRC2:TIDIG_COMP_CNT: 0
; COMPUTE_PGM_RSRC3_GFX90A:ACCUM_OFFSET: 8
; COMPUTE_PGM_RSRC3_GFX90A:TG_SPLIT: 0
	.section	.text._ZN2at6native29vectorized_elementwise_kernelILi16EZZZNS0_17rsqrt_kernel_cudaERNS_18TensorIteratorBaseEENKUlvE_clEvENKUlvE0_clEvEUlN3c107complexIfEEE_St5arrayIPcLm2EEEEviT0_T1_,"axG",@progbits,_ZN2at6native29vectorized_elementwise_kernelILi16EZZZNS0_17rsqrt_kernel_cudaERNS_18TensorIteratorBaseEENKUlvE_clEvENKUlvE0_clEvEUlN3c107complexIfEEE_St5arrayIPcLm2EEEEviT0_T1_,comdat
	.globl	_ZN2at6native29vectorized_elementwise_kernelILi16EZZZNS0_17rsqrt_kernel_cudaERNS_18TensorIteratorBaseEENKUlvE_clEvENKUlvE0_clEvEUlN3c107complexIfEEE_St5arrayIPcLm2EEEEviT0_T1_ ; -- Begin function _ZN2at6native29vectorized_elementwise_kernelILi16EZZZNS0_17rsqrt_kernel_cudaERNS_18TensorIteratorBaseEENKUlvE_clEvENKUlvE0_clEvEUlN3c107complexIfEEE_St5arrayIPcLm2EEEEviT0_T1_
	.p2align	8
	.type	_ZN2at6native29vectorized_elementwise_kernelILi16EZZZNS0_17rsqrt_kernel_cudaERNS_18TensorIteratorBaseEENKUlvE_clEvENKUlvE0_clEvEUlN3c107complexIfEEE_St5arrayIPcLm2EEEEviT0_T1_,@function
_ZN2at6native29vectorized_elementwise_kernelILi16EZZZNS0_17rsqrt_kernel_cudaERNS_18TensorIteratorBaseEENKUlvE_clEvENKUlvE0_clEvEUlN3c107complexIfEEE_St5arrayIPcLm2EEEEviT0_T1_: ; @_ZN2at6native29vectorized_elementwise_kernelILi16EZZZNS0_17rsqrt_kernel_cudaERNS_18TensorIteratorBaseEENKUlvE_clEvENKUlvE0_clEvEUlN3c107complexIfEEE_St5arrayIPcLm2EEEEviT0_T1_
; %bb.0:
	s_load_dword s3, s[0:1], 0x0
	s_load_dwordx4 s[8:11], s[0:1], 0x8
	s_lshl_b32 s6, s2, 10
	s_mov_b64 s[0:1], -1
	s_waitcnt lgkmcnt(0)
	s_sub_i32 s24, s3, s6
	s_cmpk_gt_i32 s24, 0x3ff
	s_cbranch_scc0 .LBB170_154
; %bb.1:
	s_ashr_i32 s7, s6, 31
	s_lshl_b64 s[4:5], s[6:7], 3
	s_add_u32 s0, s10, s4
	s_addc_u32 s1, s11, s5
	v_lshlrev_b32_e32 v1, 5, v0
	global_load_dwordx4 v[8:11], v1, s[0:1]
	global_load_dwordx4 v[2:5], v1, s[0:1] offset:16
	v_mov_b32_e32 v12, 0
	s_waitcnt vmcnt(1)
	v_cmp_neq_f32_e32 vcc, 0, v8
	v_cmp_neq_f32_e64 s[0:1], 0, v9
	s_or_b64 s[0:1], vcc, s[0:1]
	v_mov_b32_e32 v13, v9
	s_and_saveexec_b64 s[12:13], s[0:1]
	s_cbranch_execz .LBB170_31
; %bb.2:
	v_mov_b32_e32 v12, 0x7f800000
	v_cmp_neq_f32_e64 s[0:1], |v9|, v12
	v_mov_b32_e32 v13, v9
	s_and_saveexec_b64 s[14:15], s[0:1]
	s_cbranch_execz .LBB170_30
; %bb.3:
	v_cmp_o_f32_e32 vcc, v8, v8
                                        ; implicit-def: $vgpr13
	s_and_saveexec_b64 s[0:1], vcc
	s_xor_b64 s[16:17], exec, s[0:1]
	s_cbranch_execz .LBB170_27
; %bb.4:
	s_mov_b32 s0, 0x7f800000
	v_cmp_neq_f32_e64 s[0:1], |v8|, s0
                                        ; implicit-def: $vgpr13
	s_and_saveexec_b64 s[2:3], s[0:1]
	s_xor_b64 s[18:19], exec, s[2:3]
	s_cbranch_execz .LBB170_20
; %bb.5:
	v_max_f32_e64 v6, |v9|, |v9|
	v_max_f32_e64 v7, |v8|, |v8|
	v_max_f32_e32 v6, v7, v6
	s_mov_b32 s0, 0x7ed413cb
	v_cmp_nle_f32_e64 s[0:1], s0, v6
                                        ; implicit-def: $sgpr20_sgpr21
                                        ; implicit-def: $vgpr7
	s_and_saveexec_b64 s[2:3], s[0:1]
	s_xor_b64 s[2:3], exec, s[2:3]
	s_cbranch_execz .LBB170_9
; %bb.6:
	s_mov_b32 s7, 0x1000000
	v_cmp_le_f32_e64 s[20:21], |v8|, s7
	v_cmp_le_f32_e64 s[22:23], |v9|, s7
	s_and_b64 s[26:27], s[20:21], s[22:23]
	s_mov_b64 s[20:21], 0
	v_mov_b32_e32 v7, v8
	v_mov_b32_e32 v6, v9
	s_and_saveexec_b64 s[22:23], s[26:27]
; %bb.7:
	v_mov_b32_e32 v6, v9
	v_mov_b32_e32 v7, v8
	s_mov_b64 s[20:21], exec
	v_pk_mul_f32 v[6:7], v[6:7], 4.0 op_sel_hi:[1,0]
; %bb.8:
	s_or_b64 exec, exec, s[22:23]
.LBB170_9:
	s_andn2_saveexec_b64 s[2:3], s[2:3]
; %bb.10:
	v_mov_b32_e32 v6, v9
	v_mov_b32_e32 v7, v8
	s_mov_b32 s22, 0x3e800000
	v_pk_mul_f32 v[6:7], v[6:7], s[22:23] op_sel_hi:[1,0]
	s_andn2_b64 s[20:21], s[20:21], exec
; %bb.11:
	s_or_b64 exec, exec, s[2:3]
	v_max_f32_e64 v12, |v6|, |v6|
	v_max_f32_e64 v13, |v7|, |v7|
	v_max_f32_e32 v14, v13, v12
	v_cvt_f64_f32_e32 v[12:13], v14
	v_frexp_exp_i32_f64_e32 v12, v[12:13]
	v_sub_u32_e32 v13, 0, v12
	v_ldexp_f32 v15, |v7|, v13
	v_ldexp_f32 v13, |v6|, v13
	v_mul_f32_e32 v13, v13, v13
	v_fmac_f32_e32 v13, v15, v15
	v_sqrt_f32_e32 v13, v13
	s_mov_b32 s2, 0x7f800000
	v_cmp_neq_f32_e64 s[2:3], s2, v14
	v_cmp_le_f32_e32 vcc, 0, v7
	v_ldexp_f32 v12, v13, v12
	v_mov_b32_e32 v13, 0x7f800000
	v_cndmask_b32_e64 v12, v13, v12, s[2:3]
                                        ; implicit-def: $vgpr14_vgpr15
	s_and_saveexec_b64 s[2:3], vcc
	s_xor_b64 s[22:23], exec, s[2:3]
	s_cbranch_execz .LBB170_13
; %bb.12:
	v_add_f32_e32 v7, v7, v12
	v_mul_f32_e32 v7, 0.5, v7
	s_mov_b32 s2, 0xf800000
	v_mul_f32_e32 v12, 0x4f800000, v7
	v_cmp_gt_f32_e32 vcc, s2, v7
	s_nop 1
	v_cndmask_b32_e32 v7, v7, v12, vcc
	v_sqrt_f32_e32 v12, v7
	s_nop 0
	v_add_u32_e32 v13, -1, v12
	v_fma_f32 v14, -v13, v12, v7
	v_cmp_ge_f32_e64 s[2:3], 0, v14
	v_add_u32_e32 v14, 1, v12
	s_nop 0
	v_cndmask_b32_e64 v13, v12, v13, s[2:3]
	v_fma_f32 v12, -v14, v12, v7
	v_cmp_lt_f32_e64 s[2:3], 0, v12
	s_nop 1
	v_cndmask_b32_e64 v12, v13, v14, s[2:3]
	v_mul_f32_e32 v13, 0x37800000, v12
	v_cndmask_b32_e32 v12, v12, v13, vcc
	v_mov_b32_e32 v13, 0x260
	v_cmp_class_f32_e32 vcc, v7, v13
	s_nop 1
	v_cndmask_b32_e32 v14, v12, v7, vcc
	v_add_f32_e32 v7, v14, v14
	v_div_scale_f32 v12, s[2:3], v7, v7, v6
	v_rcp_f32_e32 v13, v12
	s_nop 0
	v_fma_f32 v15, -v12, v13, 1.0
	v_fmac_f32_e32 v13, v15, v13
	v_div_scale_f32 v15, vcc, v6, v7, v6
	v_mul_f32_e32 v16, v15, v13
	v_fma_f32 v17, -v12, v16, v15
	v_fmac_f32_e32 v16, v17, v13
	v_fma_f32 v12, -v12, v16, v15
	v_div_fmas_f32 v12, v12, v13, v16
	v_div_fixup_f32 v15, v12, v7, v6
                                        ; implicit-def: $vgpr12
                                        ; implicit-def: $vgpr7
	s_andn2_saveexec_b64 s[22:23], s[22:23]
	s_cbranch_execz .LBB170_15
	s_branch .LBB170_14
.LBB170_13:
	s_andn2_saveexec_b64 s[22:23], s[22:23]
	s_cbranch_execz .LBB170_15
.LBB170_14:
	v_sub_f32_e32 v7, v12, v7
	v_mul_f32_e32 v7, 0.5, v7
	s_mov_b32 s2, 0xf800000
	v_mul_f32_e32 v12, 0x4f800000, v7
	v_cmp_gt_f32_e32 vcc, s2, v7
	s_nop 1
	v_cndmask_b32_e32 v7, v7, v12, vcc
	v_sqrt_f32_e32 v12, v7
	s_nop 0
	v_add_u32_e32 v13, -1, v12
	v_fma_f32 v14, -v13, v12, v7
	v_cmp_ge_f32_e64 s[2:3], 0, v14
	v_add_u32_e32 v14, 1, v12
	s_nop 0
	v_cndmask_b32_e64 v13, v12, v13, s[2:3]
	v_fma_f32 v12, -v14, v12, v7
	v_cmp_lt_f32_e64 s[2:3], 0, v12
	s_nop 1
	v_cndmask_b32_e64 v12, v13, v14, s[2:3]
	v_mul_f32_e32 v13, 0x37800000, v12
	v_cndmask_b32_e32 v12, v12, v13, vcc
	v_mov_b32_e32 v13, 0x260
	v_cmp_class_f32_e32 vcc, v7, v13
	v_and_b32_e32 v13, 0x7fffffff, v6
	s_nop 0
	v_cndmask_b32_e32 v7, v12, v7, vcc
	v_add_f32_e32 v12, v7, v7
	v_div_scale_f32 v14, s[2:3], v12, v12, v13
	v_rcp_f32_e32 v15, v14
	v_div_scale_f32 v13, vcc, v13, v12, v13
	s_brev_b32 s2, -2
	v_fma_f32 v16, -v14, v15, 1.0
	v_fmac_f32_e32 v15, v16, v15
	v_mul_f32_e32 v16, v13, v15
	v_fma_f32 v17, -v14, v16, v13
	v_fmac_f32_e32 v16, v17, v15
	v_fma_f32 v13, -v14, v16, v13
	v_div_fmas_f32 v13, v13, v15, v16
	v_div_fixup_f32 v14, v13, v12, |v6|
	v_bfi_b32 v15, s2, v7, v6
.LBB170_15:
	s_or_b64 exec, exec, s[22:23]
                                        ; implicit-def: $vgpr13
	s_and_saveexec_b64 s[2:3], s[0:1]
	s_xor_b64 s[0:1], exec, s[2:3]
	s_cbranch_execz .LBB170_17
; %bb.16:
	v_pk_mul_f32 v[6:7], v[14:15], 0.5 op_sel_hi:[1,0]
	s_nop 0
	v_cndmask_b32_e64 v12, v14, v6, s[20:21]
	v_cndmask_b32_e64 v13, v15, v7, s[20:21]
                                        ; implicit-def: $vgpr14_vgpr15
	s_andn2_saveexec_b64 s[0:1], s[0:1]
	s_cbranch_execnz .LBB170_18
	s_branch .LBB170_19
.LBB170_17:
	s_andn2_saveexec_b64 s[0:1], s[0:1]
.LBB170_18:
	v_pk_add_f32 v[12:13], v[14:15], v[14:15]
.LBB170_19:
	s_or_b64 exec, exec, s[0:1]
.LBB170_20:
	s_andn2_saveexec_b64 s[0:1], s[18:19]
	s_cbranch_execz .LBB170_26
; %bb.21:
	v_sub_f32_e32 v6, v9, v9
	v_cmp_lt_i32_e32 vcc, -1, v8
	s_brev_b32 s7, -2
	v_and_b32_e32 v12, 0x7fffffff, v6
	s_and_saveexec_b64 s[2:3], vcc
	s_xor_b64 s[2:3], exec, s[2:3]
; %bb.22:
	v_bfi_b32 v13, s7, v6, v9
	v_mov_b32_e32 v12, v8
; %bb.23:
	s_andn2_saveexec_b64 s[2:3], s[2:3]
; %bb.24:
	v_bfi_b32 v13, s7, v8, v9
; %bb.25:
	s_or_b64 exec, exec, s[2:3]
.LBB170_26:
	s_or_b64 exec, exec, s[0:1]
.LBB170_27:
	s_andn2_saveexec_b64 s[0:1], s[16:17]
	s_cbranch_execz .LBB170_29
; %bb.28:
	v_sub_f32_e32 v6, v9, v9
	v_div_scale_f32 v7, vcc, v6, v6, v6
	v_rcp_f32_e32 v9, v7
	s_nop 0
	v_fma_f32 v12, -v7, v9, 1.0
	v_fmac_f32_e32 v9, v12, v9
	v_mul_f32_e32 v12, v7, v9
	v_fma_f32 v13, -v7, v12, v7
	v_fmac_f32_e32 v12, v13, v9
	v_fma_f32 v7, -v7, v12, v7
	v_div_fmas_f32 v7, v7, v9, v12
	v_div_fixup_f32 v13, v7, v6, v6
	v_mov_b32_e32 v12, v8
.LBB170_29:
	s_or_b64 exec, exec, s[0:1]
.LBB170_30:
	s_or_b64 exec, exec, s[14:15]
.LBB170_31:
	s_or_b64 exec, exec, s[12:13]
	v_cmp_gt_f32_e32 vcc, 0, v13
                                        ; implicit-def: $vgpr6_vgpr7
	s_nop 1
	v_cndmask_b32_e64 v9, v13, -v13, vcc
	v_cmp_gt_f32_e32 vcc, 0, v12
	s_nop 1
	v_cndmask_b32_e64 v8, v12, -v12, vcc
	v_cmp_ge_f32_e32 vcc, v8, v9
	s_and_saveexec_b64 s[0:1], vcc
	s_xor_b64 s[2:3], exec, s[0:1]
	s_cbranch_execz .LBB170_37
; %bb.32:
	v_cmp_neq_f32_e32 vcc, 0, v12
	v_cmp_neq_f32_e64 s[0:1], 0, v13
	s_or_b64 s[0:1], vcc, s[0:1]
                                        ; implicit-def: $vgpr6_vgpr7
	s_and_saveexec_b64 s[12:13], s[0:1]
	s_xor_b64 s[0:1], exec, s[12:13]
	s_cbranch_execz .LBB170_34
; %bb.33:
	v_div_scale_f32 v6, s[12:13], v12, v12, v13
	v_rcp_f32_e32 v7, v6
	v_div_scale_f32 v8, vcc, v13, v12, v13
	v_fma_f32 v9, -v6, v7, 1.0
	v_fmac_f32_e32 v7, v9, v7
	v_mul_f32_e32 v9, v8, v7
	v_fma_f32 v14, -v6, v9, v8
	v_fmac_f32_e32 v9, v14, v7
	v_fma_f32 v6, -v6, v9, v8
	v_div_fmas_f32 v6, v6, v7, v9
	v_div_fixup_f32 v7, v6, v12, v13
	v_fmac_f32_e32 v12, v13, v7
	v_div_scale_f32 v6, s[12:13], v12, v12, 1.0
	v_rcp_f32_e32 v8, v6
	s_nop 0
	v_fma_f32 v9, -v6, v8, 1.0
	v_fmac_f32_e32 v8, v9, v8
	v_div_scale_f32 v9, vcc, 1.0, v12, 1.0
	v_mul_f32_e32 v13, v9, v8
	v_fma_f32 v14, -v6, v13, v9
	v_fmac_f32_e32 v13, v14, v8
	v_fma_f32 v6, -v6, v13, v9
	v_div_fmas_f32 v6, v6, v8, v13
	v_mul_f32_e32 v8, 0, v7
	v_div_fixup_f32 v6, v6, v12, 1.0
	v_add_f32_e32 v8, 1.0, v8
	v_sub_f32_e32 v9, 0, v7
	v_pk_mul_f32 v[6:7], v[8:9], v[6:7] op_sel_hi:[1,0]
                                        ; implicit-def: $vgpr9
                                        ; implicit-def: $vgpr8
.LBB170_34:
	s_andn2_saveexec_b64 s[0:1], s[0:1]
	s_cbranch_execz .LBB170_36
; %bb.35:
	v_div_scale_f32 v6, s[12:13], v9, v9, 0
	v_rcp_f32_e32 v7, v6
	v_div_scale_f32 v12, vcc, 0, v9, 0
	v_fma_f32 v13, -v6, v7, 1.0
	v_fmac_f32_e32 v7, v13, v7
	v_mul_f32_e32 v13, v12, v7
	v_fma_f32 v14, -v6, v13, v12
	v_fmac_f32_e32 v13, v14, v7
	v_fma_f32 v6, -v6, v13, v12
	v_div_scale_f32 v12, s[12:13], v8, v8, 1.0
	v_rcp_f32_e32 v14, v12
	v_div_fmas_f32 v6, v6, v7, v13
	v_div_fixup_f32 v7, v6, v9, 0
	v_fma_f32 v6, -v12, v14, 1.0
	v_fmac_f32_e32 v14, v6, v14
	v_div_scale_f32 v6, vcc, 1.0, v8, 1.0
	v_mul_f32_e32 v9, v6, v14
	v_fma_f32 v13, -v12, v9, v6
	v_fmac_f32_e32 v9, v13, v14
	v_fma_f32 v6, -v12, v9, v6
	v_div_fmas_f32 v6, v6, v14, v9
	v_div_fixup_f32 v6, v6, v8, 1.0
.LBB170_36:
	s_or_b64 exec, exec, s[0:1]
                                        ; implicit-def: $vgpr13
.LBB170_37:
	s_andn2_saveexec_b64 s[0:1], s[2:3]
	s_cbranch_execz .LBB170_39
; %bb.38:
	v_div_scale_f32 v6, s[2:3], v13, v13, v12
	v_rcp_f32_e32 v7, v6
	v_div_scale_f32 v8, vcc, v12, v13, v12
	v_fma_f32 v9, -v6, v7, 1.0
	v_fmac_f32_e32 v7, v9, v7
	v_mul_f32_e32 v9, v8, v7
	v_fma_f32 v14, -v6, v9, v8
	v_fmac_f32_e32 v9, v14, v7
	v_fma_f32 v6, -v6, v9, v8
	v_div_fmas_f32 v6, v6, v7, v9
	v_div_fixup_f32 v6, v6, v13, v12
	v_fmac_f32_e32 v13, v12, v6
	v_div_scale_f32 v7, s[2:3], v13, v13, 1.0
	v_rcp_f32_e32 v8, v7
	s_mov_b32 s2, 0
	s_mov_b32 s3, -1.0
	v_fma_f32 v9, -v7, v8, 1.0
	v_fmac_f32_e32 v8, v9, v8
	v_div_scale_f32 v9, vcc, 1.0, v13, 1.0
	v_mul_f32_e32 v12, v9, v8
	v_fma_f32 v14, -v7, v12, v9
	v_fmac_f32_e32 v12, v14, v8
	v_fma_f32 v7, -v7, v12, v9
	v_div_fmas_f32 v7, v7, v8, v12
	v_div_fixup_f32 v8, v7, v13, 1.0
	v_mul_f32_e32 v7, 0, v6
	v_pk_add_f32 v[6:7], v[6:7], s[2:3]
	s_nop 0
	v_pk_mul_f32 v[6:7], v[6:7], v[8:9] op_sel_hi:[1,0]
.LBB170_39:
	s_or_b64 exec, exec, s[0:1]
	v_cmp_neq_f32_e32 vcc, 0, v10
	v_cmp_neq_f32_e64 s[0:1], 0, v11
	v_mov_b32_e32 v12, 0
	s_or_b64 s[0:1], vcc, s[0:1]
	s_and_saveexec_b64 s[12:13], s[0:1]
	s_cbranch_execz .LBB170_69
; %bb.40:
	v_mov_b32_e32 v12, 0x7f800000
	v_cmp_neq_f32_e64 s[0:1], |v11|, v12
	s_and_saveexec_b64 s[14:15], s[0:1]
	s_cbranch_execz .LBB170_68
; %bb.41:
	v_cmp_o_f32_e32 vcc, v10, v10
                                        ; implicit-def: $vgpr12
	s_and_saveexec_b64 s[0:1], vcc
	s_xor_b64 s[16:17], exec, s[0:1]
	s_cbranch_execz .LBB170_65
; %bb.42:
	s_mov_b32 s0, 0x7f800000
	v_cmp_neq_f32_e64 s[0:1], |v10|, s0
                                        ; implicit-def: $vgpr12
	s_and_saveexec_b64 s[2:3], s[0:1]
	s_xor_b64 s[18:19], exec, s[2:3]
	s_cbranch_execz .LBB170_58
; %bb.43:
	v_max_f32_e64 v8, |v11|, |v11|
	v_max_f32_e64 v9, |v10|, |v10|
	v_max_f32_e32 v8, v9, v8
	s_mov_b32 s0, 0x7ed413cb
	v_cmp_nle_f32_e64 s[0:1], s0, v8
                                        ; implicit-def: $sgpr20_sgpr21
	s_and_saveexec_b64 s[2:3], s[0:1]
	s_xor_b64 s[2:3], exec, s[2:3]
	s_cbranch_execz .LBB170_47
; %bb.44:
	s_mov_b32 s7, 0x1000000
	v_cmp_le_f32_e64 s[20:21], |v10|, s7
	v_cmp_le_f32_e64 s[22:23], |v11|, s7
	s_and_b64 s[26:27], s[20:21], s[22:23]
	s_mov_b64 s[20:21], 0
	s_and_saveexec_b64 s[22:23], s[26:27]
; %bb.45:
	v_mov_b32_e32 v8, v11
	v_mov_b32_e32 v9, v10
	v_pk_mul_f32 v[8:9], v[8:9], 4.0 op_sel_hi:[1,0]
	s_mov_b64 s[20:21], exec
	v_mov_b32_e32 v10, v9
	v_mov_b32_e32 v11, v8
; %bb.46:
	s_or_b64 exec, exec, s[22:23]
.LBB170_47:
	s_andn2_saveexec_b64 s[2:3], s[2:3]
; %bb.48:
	v_mov_b32_e32 v8, v11
	v_mov_b32_e32 v9, v10
	s_mov_b32 s22, 0x3e800000
	v_pk_mul_f32 v[8:9], v[8:9], s[22:23] op_sel_hi:[1,0]
	s_andn2_b64 s[20:21], s[20:21], exec
	v_mov_b32_e32 v11, v8
	v_mov_b32_e32 v10, v9
; %bb.49:
	s_or_b64 exec, exec, s[2:3]
	v_max_f32_e64 v8, |v11|, |v11|
	v_max_f32_e64 v9, |v10|, |v10|
	v_max_f32_e32 v12, v9, v8
	v_cvt_f64_f32_e32 v[8:9], v12
	v_frexp_exp_i32_f64_e32 v8, v[8:9]
	v_sub_u32_e32 v9, 0, v8
	v_ldexp_f32 v13, |v10|, v9
	v_ldexp_f32 v9, |v11|, v9
	v_mul_f32_e32 v9, v9, v9
	v_fmac_f32_e32 v9, v13, v13
	v_sqrt_f32_e32 v9, v9
	s_mov_b32 s2, 0x7f800000
	v_cmp_neq_f32_e64 s[2:3], s2, v12
	v_cmp_le_f32_e32 vcc, 0, v10
	v_ldexp_f32 v8, v9, v8
	v_mov_b32_e32 v9, 0x7f800000
	v_cndmask_b32_e64 v12, v9, v8, s[2:3]
                                        ; implicit-def: $vgpr8_vgpr9
	s_and_saveexec_b64 s[2:3], vcc
	s_xor_b64 s[22:23], exec, s[2:3]
	s_cbranch_execz .LBB170_51
; %bb.50:
	v_add_f32_e32 v8, v10, v12
	v_mul_f32_e32 v8, 0.5, v8
	s_mov_b32 s2, 0xf800000
	v_mul_f32_e32 v9, 0x4f800000, v8
	v_cmp_gt_f32_e32 vcc, s2, v8
	s_nop 1
	v_cndmask_b32_e32 v8, v8, v9, vcc
	v_sqrt_f32_e32 v9, v8
	s_nop 0
	v_add_u32_e32 v10, -1, v9
	v_fma_f32 v12, -v10, v9, v8
	v_cmp_ge_f32_e64 s[2:3], 0, v12
	v_add_u32_e32 v12, 1, v9
	s_nop 0
	v_cndmask_b32_e64 v10, v9, v10, s[2:3]
	v_fma_f32 v9, -v12, v9, v8
	v_cmp_lt_f32_e64 s[2:3], 0, v9
	s_nop 1
	v_cndmask_b32_e64 v9, v10, v12, s[2:3]
	v_mul_f32_e32 v10, 0x37800000, v9
	v_cndmask_b32_e32 v9, v9, v10, vcc
	v_mov_b32_e32 v10, 0x260
	v_cmp_class_f32_e32 vcc, v8, v10
	s_nop 1
	v_cndmask_b32_e32 v8, v9, v8, vcc
	v_add_f32_e32 v9, v8, v8
	v_div_scale_f32 v10, s[2:3], v9, v9, v11
	v_rcp_f32_e32 v12, v10
	s_nop 0
	v_fma_f32 v13, -v10, v12, 1.0
	v_fmac_f32_e32 v12, v13, v12
	v_div_scale_f32 v13, vcc, v11, v9, v11
	v_mul_f32_e32 v14, v13, v12
	v_fma_f32 v15, -v10, v14, v13
	v_fmac_f32_e32 v14, v15, v12
	v_fma_f32 v10, -v10, v14, v13
	v_div_fmas_f32 v10, v10, v12, v14
	v_div_fixup_f32 v9, v10, v9, v11
                                        ; implicit-def: $vgpr12
                                        ; implicit-def: $vgpr10
	s_andn2_saveexec_b64 s[22:23], s[22:23]
	s_cbranch_execz .LBB170_53
	s_branch .LBB170_52
.LBB170_51:
	s_andn2_saveexec_b64 s[22:23], s[22:23]
	s_cbranch_execz .LBB170_53
.LBB170_52:
	v_sub_f32_e32 v8, v12, v10
	v_mul_f32_e32 v8, 0.5, v8
	s_mov_b32 s2, 0xf800000
	v_mul_f32_e32 v9, 0x4f800000, v8
	v_cmp_gt_f32_e32 vcc, s2, v8
	s_nop 1
	v_cndmask_b32_e32 v8, v8, v9, vcc
	v_sqrt_f32_e32 v9, v8
	s_nop 0
	v_add_u32_e32 v10, -1, v9
	v_fma_f32 v12, -v10, v9, v8
	v_cmp_ge_f32_e64 s[2:3], 0, v12
	v_add_u32_e32 v12, 1, v9
	s_nop 0
	v_cndmask_b32_e64 v10, v9, v10, s[2:3]
	v_fma_f32 v9, -v12, v9, v8
	v_cmp_lt_f32_e64 s[2:3], 0, v9
	s_nop 1
	v_cndmask_b32_e64 v9, v10, v12, s[2:3]
	v_mul_f32_e32 v10, 0x37800000, v9
	v_cndmask_b32_e32 v9, v9, v10, vcc
	v_mov_b32_e32 v10, 0x260
	v_cmp_class_f32_e32 vcc, v8, v10
	v_and_b32_e32 v10, 0x7fffffff, v11
	s_nop 0
	v_cndmask_b32_e32 v9, v9, v8, vcc
	v_add_f32_e32 v8, v9, v9
	v_div_scale_f32 v12, s[2:3], v8, v8, v10
	v_rcp_f32_e32 v13, v12
	v_div_scale_f32 v10, vcc, v10, v8, v10
	s_brev_b32 s2, -2
	v_fma_f32 v14, -v12, v13, 1.0
	v_fmac_f32_e32 v13, v14, v13
	v_mul_f32_e32 v14, v10, v13
	v_fma_f32 v15, -v12, v14, v10
	v_fmac_f32_e32 v14, v15, v13
	v_fma_f32 v10, -v12, v14, v10
	v_div_fmas_f32 v10, v10, v13, v14
	v_div_fixup_f32 v8, v10, v8, |v11|
	v_bfi_b32 v9, s2, v9, v11
.LBB170_53:
	s_or_b64 exec, exec, s[22:23]
                                        ; implicit-def: $vgpr11
                                        ; implicit-def: $vgpr12
	s_and_saveexec_b64 s[2:3], s[0:1]
	s_xor_b64 s[0:1], exec, s[2:3]
	s_cbranch_execz .LBB170_55
; %bb.54:
	v_pk_mul_f32 v[10:11], v[8:9], 0.5 op_sel_hi:[1,0]
	s_nop 0
	v_cndmask_b32_e64 v12, v8, v10, s[20:21]
	v_cndmask_b32_e64 v11, v9, v11, s[20:21]
                                        ; implicit-def: $vgpr8_vgpr9
	s_andn2_saveexec_b64 s[0:1], s[0:1]
	s_cbranch_execnz .LBB170_56
	s_branch .LBB170_57
.LBB170_55:
	s_andn2_saveexec_b64 s[0:1], s[0:1]
.LBB170_56:
	v_pk_add_f32 v[10:11], v[8:9], v[8:9]
	s_nop 0
	v_mov_b32_e32 v12, v10
.LBB170_57:
	s_or_b64 exec, exec, s[0:1]
.LBB170_58:
	s_andn2_saveexec_b64 s[0:1], s[18:19]
	s_cbranch_execz .LBB170_64
; %bb.59:
	v_sub_f32_e32 v8, v11, v11
	v_cmp_lt_i32_e32 vcc, -1, v10
	s_brev_b32 s7, -2
	v_and_b32_e32 v12, 0x7fffffff, v8
	s_and_saveexec_b64 s[2:3], vcc
	s_xor_b64 s[2:3], exec, s[2:3]
; %bb.60:
	v_bfi_b32 v11, s7, v8, v11
	v_mov_b32_e32 v12, v10
; %bb.61:
	s_andn2_saveexec_b64 s[2:3], s[2:3]
; %bb.62:
	v_bfi_b32 v11, s7, v10, v11
; %bb.63:
	s_or_b64 exec, exec, s[2:3]
.LBB170_64:
	s_or_b64 exec, exec, s[0:1]
.LBB170_65:
	s_andn2_saveexec_b64 s[0:1], s[16:17]
	s_cbranch_execz .LBB170_67
; %bb.66:
	v_sub_f32_e32 v8, v11, v11
	v_div_scale_f32 v9, vcc, v8, v8, v8
	v_rcp_f32_e32 v11, v9
	s_nop 0
	v_fma_f32 v12, -v9, v11, 1.0
	v_fmac_f32_e32 v11, v12, v11
	v_mul_f32_e32 v12, v9, v11
	v_fma_f32 v13, -v9, v12, v9
	v_fmac_f32_e32 v12, v13, v11
	v_fma_f32 v9, -v9, v12, v9
	v_div_fmas_f32 v9, v9, v11, v12
	v_div_fixup_f32 v11, v9, v8, v8
	v_mov_b32_e32 v12, v10
.LBB170_67:
	s_or_b64 exec, exec, s[0:1]
.LBB170_68:
	s_or_b64 exec, exec, s[14:15]
.LBB170_69:
	s_or_b64 exec, exec, s[12:13]
	v_cmp_gt_f32_e32 vcc, 0, v11
	s_nop 1
	v_cndmask_b32_e64 v13, v11, -v11, vcc
	v_cmp_gt_f32_e32 vcc, 0, v12
	s_nop 1
	v_cndmask_b32_e64 v10, v12, -v12, vcc
	v_cmp_ge_f32_e32 vcc, v10, v13
	s_and_saveexec_b64 s[0:1], vcc
	s_xor_b64 s[2:3], exec, s[0:1]
	s_cbranch_execz .LBB170_75
; %bb.70:
	v_cmp_neq_f32_e32 vcc, 0, v12
	v_cmp_neq_f32_e64 s[0:1], 0, v11
	s_or_b64 s[0:1], vcc, s[0:1]
	s_and_saveexec_b64 s[12:13], s[0:1]
	s_xor_b64 s[0:1], exec, s[12:13]
	s_cbranch_execz .LBB170_72
; %bb.71:
	v_div_scale_f32 v8, s[12:13], v12, v12, v11
	v_rcp_f32_e32 v9, v8
	v_div_scale_f32 v10, vcc, v11, v12, v11
	v_fma_f32 v13, -v8, v9, 1.0
	v_fmac_f32_e32 v9, v13, v9
	v_mul_f32_e32 v13, v10, v9
	v_fma_f32 v14, -v8, v13, v10
	v_fmac_f32_e32 v13, v14, v9
	v_fma_f32 v8, -v8, v13, v10
	v_div_fmas_f32 v8, v8, v9, v13
	v_div_fixup_f32 v9, v8, v12, v11
	v_fmac_f32_e32 v12, v11, v9
	v_div_scale_f32 v8, s[12:13], v12, v12, 1.0
	v_rcp_f32_e32 v10, v8
	s_nop 0
	v_fma_f32 v11, -v8, v10, 1.0
	v_fmac_f32_e32 v10, v11, v10
	v_div_scale_f32 v11, vcc, 1.0, v12, 1.0
	v_mul_f32_e32 v13, v11, v10
	v_fma_f32 v14, -v8, v13, v11
	v_fmac_f32_e32 v13, v14, v10
	v_fma_f32 v8, -v8, v13, v11
	v_div_fmas_f32 v8, v8, v10, v13
	v_mul_f32_e32 v10, 0, v9
	v_div_fixup_f32 v8, v8, v12, 1.0
	v_add_f32_e32 v10, 1.0, v10
	v_sub_f32_e32 v11, 0, v9
	v_pk_mul_f32 v[8:9], v[10:11], v[8:9] op_sel_hi:[1,0]
                                        ; implicit-def: $vgpr13
                                        ; implicit-def: $vgpr10
.LBB170_72:
	s_andn2_saveexec_b64 s[0:1], s[0:1]
	s_cbranch_execz .LBB170_74
; %bb.73:
	v_div_scale_f32 v8, s[12:13], v13, v13, 0
	v_rcp_f32_e32 v9, v8
	v_div_scale_f32 v11, vcc, 0, v13, 0
	v_fma_f32 v12, -v8, v9, 1.0
	v_fmac_f32_e32 v9, v12, v9
	v_mul_f32_e32 v12, v11, v9
	v_fma_f32 v14, -v8, v12, v11
	v_fmac_f32_e32 v12, v14, v9
	v_fma_f32 v8, -v8, v12, v11
	v_div_scale_f32 v11, s[12:13], v10, v10, 1.0
	v_rcp_f32_e32 v14, v11
	v_div_fmas_f32 v8, v8, v9, v12
	v_div_fixup_f32 v9, v8, v13, 0
	v_fma_f32 v8, -v11, v14, 1.0
	v_fmac_f32_e32 v14, v8, v14
	v_div_scale_f32 v8, vcc, 1.0, v10, 1.0
	v_mul_f32_e32 v12, v8, v14
	v_fma_f32 v13, -v11, v12, v8
	v_fmac_f32_e32 v12, v13, v14
	v_fma_f32 v8, -v11, v12, v8
	v_div_fmas_f32 v8, v8, v14, v12
	v_div_fixup_f32 v8, v8, v10, 1.0
.LBB170_74:
	s_or_b64 exec, exec, s[0:1]
                                        ; implicit-def: $vgpr11
                                        ; implicit-def: $vgpr12
.LBB170_75:
	s_andn2_saveexec_b64 s[0:1], s[2:3]
	s_cbranch_execz .LBB170_77
; %bb.76:
	v_div_scale_f32 v8, s[2:3], v11, v11, v12
	v_rcp_f32_e32 v9, v8
	v_div_scale_f32 v10, vcc, v12, v11, v12
	v_fma_f32 v13, -v8, v9, 1.0
	v_fmac_f32_e32 v9, v13, v9
	v_mul_f32_e32 v13, v10, v9
	v_fma_f32 v14, -v8, v13, v10
	v_fmac_f32_e32 v13, v14, v9
	v_fma_f32 v8, -v8, v13, v10
	v_div_fmas_f32 v8, v8, v9, v13
	v_div_fixup_f32 v8, v8, v11, v12
	v_fmac_f32_e32 v11, v12, v8
	v_div_scale_f32 v9, s[2:3], v11, v11, 1.0
	v_rcp_f32_e32 v10, v9
	s_mov_b32 s2, 0
	s_mov_b32 s3, -1.0
	v_fma_f32 v12, -v9, v10, 1.0
	v_fmac_f32_e32 v10, v12, v10
	v_div_scale_f32 v12, vcc, 1.0, v11, 1.0
	v_mul_f32_e32 v13, v12, v10
	v_fma_f32 v14, -v9, v13, v12
	v_fmac_f32_e32 v13, v14, v10
	v_fma_f32 v9, -v9, v13, v12
	v_div_fmas_f32 v9, v9, v10, v13
	v_div_fixup_f32 v10, v9, v11, 1.0
	v_mul_f32_e32 v9, 0, v8
	v_pk_add_f32 v[8:9], v[8:9], s[2:3]
	s_nop 0
	v_pk_mul_f32 v[8:9], v[8:9], v[10:11] op_sel_hi:[1,0]
.LBB170_77:
	s_or_b64 exec, exec, s[0:1]
	s_waitcnt vmcnt(0)
	v_cmp_neq_f32_e32 vcc, 0, v2
	v_cmp_neq_f32_e64 s[0:1], 0, v3
	v_mov_b32_e32 v12, 0
	s_or_b64 s[0:1], vcc, s[0:1]
	v_mov_b32_e32 v13, v3
	s_and_saveexec_b64 s[12:13], s[0:1]
	s_cbranch_execz .LBB170_107
; %bb.78:
	v_mov_b32_e32 v12, 0x7f800000
	v_cmp_neq_f32_e64 s[0:1], |v3|, v12
	v_mov_b32_e32 v13, v3
	s_and_saveexec_b64 s[14:15], s[0:1]
	s_cbranch_execz .LBB170_106
; %bb.79:
	v_cmp_o_f32_e32 vcc, v2, v2
                                        ; implicit-def: $vgpr13
	s_and_saveexec_b64 s[0:1], vcc
	s_xor_b64 s[16:17], exec, s[0:1]
	s_cbranch_execz .LBB170_103
; %bb.80:
	s_mov_b32 s0, 0x7f800000
	v_cmp_neq_f32_e64 s[0:1], |v2|, s0
                                        ; implicit-def: $vgpr13
	s_and_saveexec_b64 s[2:3], s[0:1]
	s_xor_b64 s[18:19], exec, s[2:3]
	s_cbranch_execz .LBB170_96
; %bb.81:
	v_max_f32_e64 v10, |v3|, |v3|
	v_max_f32_e64 v11, |v2|, |v2|
	v_max_f32_e32 v10, v11, v10
	s_mov_b32 s0, 0x7ed413cb
	v_cmp_nle_f32_e64 s[0:1], s0, v10
                                        ; implicit-def: $sgpr20_sgpr21
                                        ; implicit-def: $vgpr11
	s_and_saveexec_b64 s[2:3], s[0:1]
	s_xor_b64 s[2:3], exec, s[2:3]
	s_cbranch_execz .LBB170_85
; %bb.82:
	s_mov_b32 s7, 0x1000000
	v_cmp_le_f32_e64 s[20:21], |v2|, s7
	v_cmp_le_f32_e64 s[22:23], |v3|, s7
	s_and_b64 s[26:27], s[20:21], s[22:23]
	s_mov_b64 s[20:21], 0
	v_mov_b32_e32 v11, v2
	v_mov_b32_e32 v10, v3
	s_and_saveexec_b64 s[22:23], s[26:27]
; %bb.83:
	v_mov_b32_e32 v10, v3
	v_mov_b32_e32 v11, v2
	s_mov_b64 s[20:21], exec
	v_pk_mul_f32 v[10:11], v[10:11], 4.0 op_sel_hi:[1,0]
; %bb.84:
	s_or_b64 exec, exec, s[22:23]
.LBB170_85:
	s_andn2_saveexec_b64 s[2:3], s[2:3]
; %bb.86:
	v_mov_b32_e32 v10, v3
	v_mov_b32_e32 v11, v2
	s_mov_b32 s22, 0x3e800000
	v_pk_mul_f32 v[10:11], v[10:11], s[22:23] op_sel_hi:[1,0]
	s_andn2_b64 s[20:21], s[20:21], exec
; %bb.87:
	s_or_b64 exec, exec, s[2:3]
	v_max_f32_e64 v12, |v10|, |v10|
	v_max_f32_e64 v13, |v11|, |v11|
	v_max_f32_e32 v14, v13, v12
	v_cvt_f64_f32_e32 v[12:13], v14
	v_frexp_exp_i32_f64_e32 v12, v[12:13]
	v_sub_u32_e32 v13, 0, v12
	v_ldexp_f32 v15, |v11|, v13
	v_ldexp_f32 v13, |v10|, v13
	v_mul_f32_e32 v13, v13, v13
	v_fmac_f32_e32 v13, v15, v15
	v_sqrt_f32_e32 v13, v13
	s_mov_b32 s2, 0x7f800000
	v_cmp_neq_f32_e64 s[2:3], s2, v14
	v_cmp_le_f32_e32 vcc, 0, v11
	v_ldexp_f32 v12, v13, v12
	v_mov_b32_e32 v13, 0x7f800000
	v_cndmask_b32_e64 v12, v13, v12, s[2:3]
                                        ; implicit-def: $vgpr14_vgpr15
	s_and_saveexec_b64 s[2:3], vcc
	s_xor_b64 s[22:23], exec, s[2:3]
	s_cbranch_execz .LBB170_89
; %bb.88:
	v_add_f32_e32 v11, v11, v12
	v_mul_f32_e32 v11, 0.5, v11
	s_mov_b32 s2, 0xf800000
	v_mul_f32_e32 v12, 0x4f800000, v11
	v_cmp_gt_f32_e32 vcc, s2, v11
	s_nop 1
	v_cndmask_b32_e32 v11, v11, v12, vcc
	v_sqrt_f32_e32 v12, v11
	s_nop 0
	v_add_u32_e32 v13, -1, v12
	v_fma_f32 v14, -v13, v12, v11
	v_cmp_ge_f32_e64 s[2:3], 0, v14
	v_add_u32_e32 v14, 1, v12
	s_nop 0
	v_cndmask_b32_e64 v13, v12, v13, s[2:3]
	v_fma_f32 v12, -v14, v12, v11
	v_cmp_lt_f32_e64 s[2:3], 0, v12
	s_nop 1
	v_cndmask_b32_e64 v12, v13, v14, s[2:3]
	v_mul_f32_e32 v13, 0x37800000, v12
	v_cndmask_b32_e32 v12, v12, v13, vcc
	v_mov_b32_e32 v13, 0x260
	v_cmp_class_f32_e32 vcc, v11, v13
	s_nop 1
	v_cndmask_b32_e32 v14, v12, v11, vcc
	v_add_f32_e32 v11, v14, v14
	v_div_scale_f32 v12, s[2:3], v11, v11, v10
	v_rcp_f32_e32 v13, v12
	s_nop 0
	v_fma_f32 v15, -v12, v13, 1.0
	v_fmac_f32_e32 v13, v15, v13
	v_div_scale_f32 v15, vcc, v10, v11, v10
	v_mul_f32_e32 v16, v15, v13
	v_fma_f32 v17, -v12, v16, v15
	v_fmac_f32_e32 v16, v17, v13
	v_fma_f32 v12, -v12, v16, v15
	v_div_fmas_f32 v12, v12, v13, v16
	v_div_fixup_f32 v15, v12, v11, v10
                                        ; implicit-def: $vgpr12
                                        ; implicit-def: $vgpr11
	s_andn2_saveexec_b64 s[22:23], s[22:23]
	s_cbranch_execz .LBB170_91
	s_branch .LBB170_90
.LBB170_89:
	s_andn2_saveexec_b64 s[22:23], s[22:23]
	s_cbranch_execz .LBB170_91
.LBB170_90:
	v_sub_f32_e32 v11, v12, v11
	v_mul_f32_e32 v11, 0.5, v11
	s_mov_b32 s2, 0xf800000
	v_mul_f32_e32 v12, 0x4f800000, v11
	v_cmp_gt_f32_e32 vcc, s2, v11
	s_nop 1
	v_cndmask_b32_e32 v11, v11, v12, vcc
	v_sqrt_f32_e32 v12, v11
	s_nop 0
	v_add_u32_e32 v13, -1, v12
	v_fma_f32 v14, -v13, v12, v11
	v_cmp_ge_f32_e64 s[2:3], 0, v14
	v_add_u32_e32 v14, 1, v12
	s_nop 0
	v_cndmask_b32_e64 v13, v12, v13, s[2:3]
	v_fma_f32 v12, -v14, v12, v11
	v_cmp_lt_f32_e64 s[2:3], 0, v12
	s_nop 1
	v_cndmask_b32_e64 v12, v13, v14, s[2:3]
	v_mul_f32_e32 v13, 0x37800000, v12
	v_cndmask_b32_e32 v12, v12, v13, vcc
	v_mov_b32_e32 v13, 0x260
	v_cmp_class_f32_e32 vcc, v11, v13
	v_and_b32_e32 v13, 0x7fffffff, v10
	s_nop 0
	v_cndmask_b32_e32 v11, v12, v11, vcc
	v_add_f32_e32 v12, v11, v11
	v_div_scale_f32 v14, s[2:3], v12, v12, v13
	v_rcp_f32_e32 v15, v14
	v_div_scale_f32 v13, vcc, v13, v12, v13
	s_brev_b32 s2, -2
	v_fma_f32 v16, -v14, v15, 1.0
	v_fmac_f32_e32 v15, v16, v15
	v_mul_f32_e32 v16, v13, v15
	v_fma_f32 v17, -v14, v16, v13
	v_fmac_f32_e32 v16, v17, v15
	v_fma_f32 v13, -v14, v16, v13
	v_div_fmas_f32 v13, v13, v15, v16
	v_div_fixup_f32 v14, v13, v12, |v10|
	v_bfi_b32 v15, s2, v11, v10
.LBB170_91:
	s_or_b64 exec, exec, s[22:23]
                                        ; implicit-def: $vgpr13
	s_and_saveexec_b64 s[2:3], s[0:1]
	s_xor_b64 s[0:1], exec, s[2:3]
	s_cbranch_execz .LBB170_93
; %bb.92:
	v_pk_mul_f32 v[10:11], v[14:15], 0.5 op_sel_hi:[1,0]
	s_nop 0
	v_cndmask_b32_e64 v12, v14, v10, s[20:21]
	v_cndmask_b32_e64 v13, v15, v11, s[20:21]
                                        ; implicit-def: $vgpr14_vgpr15
	s_andn2_saveexec_b64 s[0:1], s[0:1]
	s_cbranch_execnz .LBB170_94
	s_branch .LBB170_95
.LBB170_93:
	s_andn2_saveexec_b64 s[0:1], s[0:1]
.LBB170_94:
	v_pk_add_f32 v[12:13], v[14:15], v[14:15]
.LBB170_95:
	s_or_b64 exec, exec, s[0:1]
.LBB170_96:
	s_andn2_saveexec_b64 s[0:1], s[18:19]
	s_cbranch_execz .LBB170_102
; %bb.97:
	v_sub_f32_e32 v10, v3, v3
	v_cmp_lt_i32_e32 vcc, -1, v2
	s_brev_b32 s7, -2
	v_and_b32_e32 v12, 0x7fffffff, v10
	s_and_saveexec_b64 s[2:3], vcc
	s_xor_b64 s[2:3], exec, s[2:3]
; %bb.98:
	v_bfi_b32 v13, s7, v10, v3
	v_mov_b32_e32 v12, v2
; %bb.99:
	s_andn2_saveexec_b64 s[2:3], s[2:3]
; %bb.100:
	v_bfi_b32 v13, s7, v2, v3
; %bb.101:
	s_or_b64 exec, exec, s[2:3]
.LBB170_102:
	s_or_b64 exec, exec, s[0:1]
.LBB170_103:
	s_andn2_saveexec_b64 s[0:1], s[16:17]
	s_cbranch_execz .LBB170_105
; %bb.104:
	v_sub_f32_e32 v3, v3, v3
	v_div_scale_f32 v10, vcc, v3, v3, v3
	v_rcp_f32_e32 v11, v10
	s_nop 0
	v_fma_f32 v12, -v10, v11, 1.0
	v_fmac_f32_e32 v11, v12, v11
	v_mul_f32_e32 v12, v10, v11
	v_fma_f32 v13, -v10, v12, v10
	v_fmac_f32_e32 v12, v13, v11
	v_fma_f32 v10, -v10, v12, v10
	v_div_fmas_f32 v10, v10, v11, v12
	v_div_fixup_f32 v13, v10, v3, v3
	v_mov_b32_e32 v12, v2
.LBB170_105:
	s_or_b64 exec, exec, s[0:1]
.LBB170_106:
	s_or_b64 exec, exec, s[14:15]
.LBB170_107:
	s_or_b64 exec, exec, s[12:13]
	v_cmp_gt_f32_e32 vcc, 0, v13
                                        ; implicit-def: $vgpr10_vgpr11
	s_nop 1
	v_cndmask_b32_e64 v3, v13, -v13, vcc
	v_cmp_gt_f32_e32 vcc, 0, v12
	s_nop 1
	v_cndmask_b32_e64 v2, v12, -v12, vcc
	v_cmp_ge_f32_e32 vcc, v2, v3
	s_and_saveexec_b64 s[0:1], vcc
	s_xor_b64 s[2:3], exec, s[0:1]
	s_cbranch_execz .LBB170_113
; %bb.108:
	v_cmp_neq_f32_e32 vcc, 0, v12
	v_cmp_neq_f32_e64 s[0:1], 0, v13
	s_or_b64 s[0:1], vcc, s[0:1]
                                        ; implicit-def: $vgpr10_vgpr11
	s_and_saveexec_b64 s[12:13], s[0:1]
	s_xor_b64 s[0:1], exec, s[12:13]
	s_cbranch_execz .LBB170_110
; %bb.109:
	v_div_scale_f32 v2, s[12:13], v12, v12, v13
	v_rcp_f32_e32 v3, v2
	v_div_scale_f32 v10, vcc, v13, v12, v13
	v_fma_f32 v11, -v2, v3, 1.0
	v_fmac_f32_e32 v3, v11, v3
	v_mul_f32_e32 v11, v10, v3
	v_fma_f32 v14, -v2, v11, v10
	v_fmac_f32_e32 v11, v14, v3
	v_fma_f32 v2, -v2, v11, v10
	v_div_fmas_f32 v2, v2, v3, v11
	v_div_fixup_f32 v3, v2, v12, v13
	v_fmac_f32_e32 v12, v13, v3
	v_div_scale_f32 v2, s[12:13], v12, v12, 1.0
	v_rcp_f32_e32 v10, v2
	s_nop 0
	v_fma_f32 v11, -v2, v10, 1.0
	v_fmac_f32_e32 v10, v11, v10
	v_div_scale_f32 v11, vcc, 1.0, v12, 1.0
	v_mul_f32_e32 v13, v11, v10
	v_fma_f32 v14, -v2, v13, v11
	v_fmac_f32_e32 v13, v14, v10
	v_fma_f32 v2, -v2, v13, v11
	v_div_fmas_f32 v2, v2, v10, v13
	v_mul_f32_e32 v10, 0, v3
	v_div_fixup_f32 v2, v2, v12, 1.0
	v_add_f32_e32 v10, 1.0, v10
	v_sub_f32_e32 v11, 0, v3
	v_pk_mul_f32 v[10:11], v[10:11], v[2:3] op_sel_hi:[1,0]
                                        ; implicit-def: $vgpr3
                                        ; implicit-def: $vgpr2
.LBB170_110:
	s_andn2_saveexec_b64 s[0:1], s[0:1]
	s_cbranch_execz .LBB170_112
; %bb.111:
	v_div_scale_f32 v10, s[12:13], v3, v3, 0
	v_rcp_f32_e32 v11, v10
	v_div_scale_f32 v12, vcc, 0, v3, 0
	v_fma_f32 v13, -v10, v11, 1.0
	v_fmac_f32_e32 v11, v13, v11
	v_mul_f32_e32 v13, v12, v11
	v_fma_f32 v14, -v10, v13, v12
	v_fmac_f32_e32 v13, v14, v11
	v_fma_f32 v10, -v10, v13, v12
	v_div_scale_f32 v12, s[12:13], v2, v2, 1.0
	v_rcp_f32_e32 v14, v12
	v_div_fmas_f32 v10, v10, v11, v13
	v_div_fixup_f32 v11, v10, v3, 0
	v_fma_f32 v3, -v12, v14, 1.0
	v_fmac_f32_e32 v14, v3, v14
	v_div_scale_f32 v3, vcc, 1.0, v2, 1.0
	v_mul_f32_e32 v10, v3, v14
	v_fma_f32 v13, -v12, v10, v3
	v_fmac_f32_e32 v10, v13, v14
	v_fma_f32 v3, -v12, v10, v3
	v_div_fmas_f32 v3, v3, v14, v10
	v_div_fixup_f32 v10, v3, v2, 1.0
.LBB170_112:
	s_or_b64 exec, exec, s[0:1]
                                        ; implicit-def: $vgpr13
.LBB170_113:
	s_andn2_saveexec_b64 s[0:1], s[2:3]
	s_cbranch_execz .LBB170_115
; %bb.114:
	v_div_scale_f32 v2, s[2:3], v13, v13, v12
	v_rcp_f32_e32 v3, v2
	v_div_scale_f32 v10, vcc, v12, v13, v12
	v_fma_f32 v11, -v2, v3, 1.0
	v_fmac_f32_e32 v3, v11, v3
	v_mul_f32_e32 v11, v10, v3
	v_fma_f32 v14, -v2, v11, v10
	v_fmac_f32_e32 v11, v14, v3
	v_fma_f32 v2, -v2, v11, v10
	v_div_fmas_f32 v2, v2, v3, v11
	v_div_fixup_f32 v2, v2, v13, v12
	v_fmac_f32_e32 v13, v12, v2
	v_div_scale_f32 v3, s[2:3], v13, v13, 1.0
	v_rcp_f32_e32 v10, v3
	s_mov_b32 s2, 0
	s_mov_b32 s3, -1.0
	v_fma_f32 v11, -v3, v10, 1.0
	v_fmac_f32_e32 v10, v11, v10
	v_div_scale_f32 v11, vcc, 1.0, v13, 1.0
	v_mul_f32_e32 v12, v11, v10
	v_fma_f32 v14, -v3, v12, v11
	v_fmac_f32_e32 v12, v14, v10
	v_fma_f32 v3, -v3, v12, v11
	v_div_fmas_f32 v3, v3, v10, v12
	v_div_fixup_f32 v10, v3, v13, 1.0
	v_mul_f32_e32 v3, 0, v2
	v_pk_add_f32 v[2:3], v[2:3], s[2:3]
	s_nop 0
	v_pk_mul_f32 v[10:11], v[2:3], v[10:11] op_sel_hi:[1,0]
.LBB170_115:
	s_or_b64 exec, exec, s[0:1]
	v_cmp_neq_f32_e32 vcc, 0, v4
	v_cmp_neq_f32_e64 s[0:1], 0, v5
	v_mov_b32_e32 v14, 0
	s_or_b64 s[0:1], vcc, s[0:1]
	s_and_saveexec_b64 s[12:13], s[0:1]
	s_cbranch_execz .LBB170_145
; %bb.116:
	v_mov_b32_e32 v14, 0x7f800000
	v_cmp_neq_f32_e64 s[0:1], |v5|, v14
	s_and_saveexec_b64 s[14:15], s[0:1]
	s_cbranch_execz .LBB170_144
; %bb.117:
	v_cmp_o_f32_e32 vcc, v4, v4
                                        ; implicit-def: $vgpr14
	s_and_saveexec_b64 s[0:1], vcc
	s_xor_b64 s[16:17], exec, s[0:1]
	s_cbranch_execz .LBB170_141
; %bb.118:
	s_mov_b32 s0, 0x7f800000
	v_cmp_neq_f32_e64 s[0:1], |v4|, s0
                                        ; implicit-def: $vgpr14
	s_and_saveexec_b64 s[2:3], s[0:1]
	s_xor_b64 s[18:19], exec, s[2:3]
	s_cbranch_execz .LBB170_134
; %bb.119:
	v_max_f32_e64 v2, |v5|, |v5|
	v_max_f32_e64 v3, |v4|, |v4|
	v_max_f32_e32 v2, v3, v2
	s_mov_b32 s0, 0x7ed413cb
	v_cmp_nle_f32_e64 s[0:1], s0, v2
                                        ; implicit-def: $sgpr20_sgpr21
	s_and_saveexec_b64 s[2:3], s[0:1]
	s_xor_b64 s[2:3], exec, s[2:3]
	s_cbranch_execz .LBB170_123
; %bb.120:
	s_mov_b32 s7, 0x1000000
	v_cmp_le_f32_e64 s[20:21], |v4|, s7
	v_cmp_le_f32_e64 s[22:23], |v5|, s7
	s_and_b64 s[26:27], s[20:21], s[22:23]
	s_mov_b64 s[20:21], 0
	s_and_saveexec_b64 s[22:23], s[26:27]
; %bb.121:
	v_mov_b32_e32 v2, v5
	v_mov_b32_e32 v3, v4
	v_pk_mul_f32 v[2:3], v[2:3], 4.0 op_sel_hi:[1,0]
	s_mov_b64 s[20:21], exec
	v_mov_b32_e32 v4, v3
	v_mov_b32_e32 v5, v2
; %bb.122:
	s_or_b64 exec, exec, s[22:23]
.LBB170_123:
	s_andn2_saveexec_b64 s[2:3], s[2:3]
; %bb.124:
	v_mov_b32_e32 v2, v5
	v_mov_b32_e32 v3, v4
	s_mov_b32 s22, 0x3e800000
	v_pk_mul_f32 v[2:3], v[2:3], s[22:23] op_sel_hi:[1,0]
	s_andn2_b64 s[20:21], s[20:21], exec
	v_mov_b32_e32 v5, v2
	v_mov_b32_e32 v4, v3
; %bb.125:
	s_or_b64 exec, exec, s[2:3]
	v_max_f32_e64 v2, |v5|, |v5|
	v_max_f32_e64 v3, |v4|, |v4|
	v_max_f32_e32 v12, v3, v2
	v_cvt_f64_f32_e32 v[2:3], v12
	v_frexp_exp_i32_f64_e32 v2, v[2:3]
	v_sub_u32_e32 v3, 0, v2
	v_ldexp_f32 v13, |v4|, v3
	v_ldexp_f32 v3, |v5|, v3
	v_mul_f32_e32 v3, v3, v3
	v_fmac_f32_e32 v3, v13, v13
	v_sqrt_f32_e32 v3, v3
	s_mov_b32 s2, 0x7f800000
	v_cmp_neq_f32_e64 s[2:3], s2, v12
	v_cmp_le_f32_e32 vcc, 0, v4
	v_ldexp_f32 v2, v3, v2
	v_mov_b32_e32 v3, 0x7f800000
	v_cndmask_b32_e64 v12, v3, v2, s[2:3]
                                        ; implicit-def: $vgpr2_vgpr3
	s_and_saveexec_b64 s[2:3], vcc
	s_xor_b64 s[22:23], exec, s[2:3]
	s_cbranch_execz .LBB170_127
; %bb.126:
	v_add_f32_e32 v2, v4, v12
	v_mul_f32_e32 v2, 0.5, v2
	s_mov_b32 s2, 0xf800000
	v_mul_f32_e32 v3, 0x4f800000, v2
	v_cmp_gt_f32_e32 vcc, s2, v2
	s_nop 1
	v_cndmask_b32_e32 v2, v2, v3, vcc
	v_sqrt_f32_e32 v3, v2
	s_nop 0
	v_add_u32_e32 v4, -1, v3
	v_fma_f32 v12, -v4, v3, v2
	v_cmp_ge_f32_e64 s[2:3], 0, v12
	v_add_u32_e32 v12, 1, v3
	s_nop 0
	v_cndmask_b32_e64 v4, v3, v4, s[2:3]
	v_fma_f32 v3, -v12, v3, v2
	v_cmp_lt_f32_e64 s[2:3], 0, v3
	s_nop 1
	v_cndmask_b32_e64 v3, v4, v12, s[2:3]
	v_mul_f32_e32 v4, 0x37800000, v3
	v_cndmask_b32_e32 v3, v3, v4, vcc
	v_mov_b32_e32 v4, 0x260
	v_cmp_class_f32_e32 vcc, v2, v4
	s_nop 1
	v_cndmask_b32_e32 v2, v3, v2, vcc
	v_add_f32_e32 v3, v2, v2
	v_div_scale_f32 v4, s[2:3], v3, v3, v5
	v_rcp_f32_e32 v12, v4
	s_nop 0
	v_fma_f32 v13, -v4, v12, 1.0
	v_fmac_f32_e32 v12, v13, v12
	v_div_scale_f32 v13, vcc, v5, v3, v5
	v_mul_f32_e32 v14, v13, v12
	v_fma_f32 v15, -v4, v14, v13
	v_fmac_f32_e32 v14, v15, v12
	v_fma_f32 v4, -v4, v14, v13
	v_div_fmas_f32 v4, v4, v12, v14
	v_div_fixup_f32 v3, v4, v3, v5
                                        ; implicit-def: $vgpr12
                                        ; implicit-def: $vgpr4
	s_andn2_saveexec_b64 s[22:23], s[22:23]
	s_cbranch_execz .LBB170_129
	s_branch .LBB170_128
.LBB170_127:
	s_andn2_saveexec_b64 s[22:23], s[22:23]
	s_cbranch_execz .LBB170_129
.LBB170_128:
	v_sub_f32_e32 v2, v12, v4
	v_mul_f32_e32 v2, 0.5, v2
	s_mov_b32 s2, 0xf800000
	v_mul_f32_e32 v3, 0x4f800000, v2
	v_cmp_gt_f32_e32 vcc, s2, v2
	s_nop 1
	v_cndmask_b32_e32 v2, v2, v3, vcc
	v_sqrt_f32_e32 v3, v2
	s_nop 0
	v_add_u32_e32 v4, -1, v3
	v_fma_f32 v12, -v4, v3, v2
	v_cmp_ge_f32_e64 s[2:3], 0, v12
	v_add_u32_e32 v12, 1, v3
	s_nop 0
	v_cndmask_b32_e64 v4, v3, v4, s[2:3]
	v_fma_f32 v3, -v12, v3, v2
	v_cmp_lt_f32_e64 s[2:3], 0, v3
	s_nop 1
	v_cndmask_b32_e64 v3, v4, v12, s[2:3]
	v_mul_f32_e32 v4, 0x37800000, v3
	v_cndmask_b32_e32 v3, v3, v4, vcc
	v_mov_b32_e32 v4, 0x260
	v_cmp_class_f32_e32 vcc, v2, v4
	v_and_b32_e32 v4, 0x7fffffff, v5
	s_nop 0
	v_cndmask_b32_e32 v3, v3, v2, vcc
	v_add_f32_e32 v2, v3, v3
	v_div_scale_f32 v12, s[2:3], v2, v2, v4
	v_rcp_f32_e32 v13, v12
	v_div_scale_f32 v4, vcc, v4, v2, v4
	s_brev_b32 s2, -2
	v_fma_f32 v14, -v12, v13, 1.0
	v_fmac_f32_e32 v13, v14, v13
	v_mul_f32_e32 v14, v4, v13
	v_fma_f32 v15, -v12, v14, v4
	v_fmac_f32_e32 v14, v15, v13
	v_fma_f32 v4, -v12, v14, v4
	v_div_fmas_f32 v4, v4, v13, v14
	v_div_fixup_f32 v2, v4, v2, |v5|
	v_bfi_b32 v3, s2, v3, v5
.LBB170_129:
	s_or_b64 exec, exec, s[22:23]
                                        ; implicit-def: $vgpr5
                                        ; implicit-def: $vgpr14
	s_and_saveexec_b64 s[2:3], s[0:1]
	s_xor_b64 s[0:1], exec, s[2:3]
	s_cbranch_execz .LBB170_131
; %bb.130:
	v_pk_mul_f32 v[4:5], v[2:3], 0.5 op_sel_hi:[1,0]
	s_nop 0
	v_cndmask_b32_e64 v14, v2, v4, s[20:21]
	v_cndmask_b32_e64 v5, v3, v5, s[20:21]
                                        ; implicit-def: $vgpr2_vgpr3
	s_andn2_saveexec_b64 s[0:1], s[0:1]
	s_cbranch_execnz .LBB170_132
	s_branch .LBB170_133
.LBB170_131:
	s_andn2_saveexec_b64 s[0:1], s[0:1]
.LBB170_132:
	v_pk_add_f32 v[4:5], v[2:3], v[2:3]
	s_nop 0
	v_mov_b32_e32 v14, v4
.LBB170_133:
	s_or_b64 exec, exec, s[0:1]
.LBB170_134:
	s_andn2_saveexec_b64 s[0:1], s[18:19]
	s_cbranch_execz .LBB170_140
; %bb.135:
	v_sub_f32_e32 v2, v5, v5
	v_cmp_lt_i32_e32 vcc, -1, v4
	s_brev_b32 s7, -2
	v_and_b32_e32 v14, 0x7fffffff, v2
	s_and_saveexec_b64 s[2:3], vcc
	s_xor_b64 s[2:3], exec, s[2:3]
; %bb.136:
	v_bfi_b32 v5, s7, v2, v5
	v_mov_b32_e32 v14, v4
; %bb.137:
	s_andn2_saveexec_b64 s[2:3], s[2:3]
; %bb.138:
	v_bfi_b32 v5, s7, v4, v5
; %bb.139:
	s_or_b64 exec, exec, s[2:3]
.LBB170_140:
	s_or_b64 exec, exec, s[0:1]
.LBB170_141:
	s_andn2_saveexec_b64 s[0:1], s[16:17]
	s_cbranch_execz .LBB170_143
; %bb.142:
	v_sub_f32_e32 v2, v5, v5
	v_div_scale_f32 v3, vcc, v2, v2, v2
	v_rcp_f32_e32 v5, v3
	v_mov_b32_e32 v14, v4
	v_fma_f32 v12, -v3, v5, 1.0
	v_fmac_f32_e32 v5, v12, v5
	v_mul_f32_e32 v12, v3, v5
	v_fma_f32 v13, -v3, v12, v3
	v_fmac_f32_e32 v12, v13, v5
	v_fma_f32 v3, -v3, v12, v3
	v_div_fmas_f32 v3, v3, v5, v12
	v_div_fixup_f32 v5, v3, v2, v2
.LBB170_143:
	s_or_b64 exec, exec, s[0:1]
.LBB170_144:
	s_or_b64 exec, exec, s[14:15]
.LBB170_145:
	s_or_b64 exec, exec, s[12:13]
	v_cmp_gt_f32_e32 vcc, 0, v5
	s_nop 1
	v_cndmask_b32_e64 v3, v5, -v5, vcc
	v_cmp_gt_f32_e32 vcc, 0, v14
	s_nop 1
	v_cndmask_b32_e64 v2, v14, -v14, vcc
	v_cmp_ge_f32_e32 vcc, v2, v3
	s_and_saveexec_b64 s[0:1], vcc
	s_xor_b64 s[2:3], exec, s[0:1]
	s_cbranch_execz .LBB170_151
; %bb.146:
	v_cmp_neq_f32_e32 vcc, 0, v14
	v_cmp_neq_f32_e64 s[0:1], 0, v5
	s_or_b64 s[0:1], vcc, s[0:1]
	s_and_saveexec_b64 s[12:13], s[0:1]
	s_xor_b64 s[0:1], exec, s[12:13]
	s_cbranch_execz .LBB170_148
; %bb.147:
	v_div_scale_f32 v2, s[12:13], v14, v14, v5
	v_rcp_f32_e32 v3, v2
	v_div_scale_f32 v4, vcc, v5, v14, v5
	v_fma_f32 v12, -v2, v3, 1.0
	v_fmac_f32_e32 v3, v12, v3
	v_mul_f32_e32 v12, v4, v3
	v_fma_f32 v13, -v2, v12, v4
	v_fmac_f32_e32 v12, v13, v3
	v_fma_f32 v2, -v2, v12, v4
	v_div_fmas_f32 v2, v2, v3, v12
	v_div_fixup_f32 v3, v2, v14, v5
	v_fmac_f32_e32 v14, v5, v3
	v_div_scale_f32 v2, s[12:13], v14, v14, 1.0
	v_rcp_f32_e32 v4, v2
	s_nop 0
	v_fma_f32 v5, -v2, v4, 1.0
	v_fmac_f32_e32 v4, v5, v4
	v_div_scale_f32 v5, vcc, 1.0, v14, 1.0
	v_mul_f32_e32 v12, v5, v4
	v_fma_f32 v13, -v2, v12, v5
	v_fmac_f32_e32 v12, v13, v4
	v_fma_f32 v2, -v2, v12, v5
	v_div_fmas_f32 v2, v2, v4, v12
	v_mul_f32_e32 v4, 0, v3
	v_div_fixup_f32 v2, v2, v14, 1.0
	v_add_f32_e32 v4, 1.0, v4
	v_sub_f32_e32 v5, 0, v3
	v_pk_mul_f32 v[12:13], v[4:5], v[2:3] op_sel_hi:[1,0]
                                        ; implicit-def: $vgpr3
                                        ; implicit-def: $vgpr2
.LBB170_148:
	s_andn2_saveexec_b64 s[0:1], s[0:1]
	s_cbranch_execz .LBB170_150
; %bb.149:
	v_div_scale_f32 v4, s[12:13], v3, v3, 0
	v_rcp_f32_e32 v5, v4
	v_div_scale_f32 v12, vcc, 0, v3, 0
	v_fma_f32 v13, -v4, v5, 1.0
	v_fmac_f32_e32 v5, v13, v5
	v_mul_f32_e32 v13, v12, v5
	v_fma_f32 v14, -v4, v13, v12
	v_fmac_f32_e32 v13, v14, v5
	v_fma_f32 v4, -v4, v13, v12
	v_div_scale_f32 v12, s[12:13], v2, v2, 1.0
	v_rcp_f32_e32 v14, v12
	v_div_fmas_f32 v4, v4, v5, v13
	v_div_fixup_f32 v13, v4, v3, 0
	v_fma_f32 v3, -v12, v14, 1.0
	v_fmac_f32_e32 v14, v3, v14
	v_div_scale_f32 v3, vcc, 1.0, v2, 1.0
	v_mul_f32_e32 v4, v3, v14
	v_fma_f32 v5, -v12, v4, v3
	v_fmac_f32_e32 v4, v5, v14
	v_fma_f32 v3, -v12, v4, v3
	v_div_fmas_f32 v3, v3, v14, v4
	v_div_fixup_f32 v12, v3, v2, 1.0
.LBB170_150:
	s_or_b64 exec, exec, s[0:1]
                                        ; implicit-def: $vgpr5
                                        ; implicit-def: $vgpr14
.LBB170_151:
	s_andn2_saveexec_b64 s[0:1], s[2:3]
	s_cbranch_execz .LBB170_153
; %bb.152:
	v_div_scale_f32 v2, s[2:3], v5, v5, v14
	v_rcp_f32_e32 v3, v2
	v_div_scale_f32 v4, vcc, v14, v5, v14
	v_fma_f32 v12, -v2, v3, 1.0
	v_fmac_f32_e32 v3, v12, v3
	v_mul_f32_e32 v12, v4, v3
	v_fma_f32 v13, -v2, v12, v4
	v_fmac_f32_e32 v12, v13, v3
	v_fma_f32 v2, -v2, v12, v4
	v_div_fmas_f32 v2, v2, v3, v12
	v_div_fixup_f32 v2, v2, v5, v14
	v_fmac_f32_e32 v5, v14, v2
	v_div_scale_f32 v3, s[2:3], v5, v5, 1.0
	v_rcp_f32_e32 v4, v3
	s_mov_b32 s2, 0
	s_mov_b32 s3, -1.0
	v_fma_f32 v12, -v3, v4, 1.0
	v_fmac_f32_e32 v4, v12, v4
	v_div_scale_f32 v12, vcc, 1.0, v5, 1.0
	v_mul_f32_e32 v13, v12, v4
	v_fma_f32 v14, -v3, v13, v12
	v_fmac_f32_e32 v13, v14, v4
	v_fma_f32 v3, -v3, v13, v12
	v_div_fmas_f32 v3, v3, v4, v13
	v_div_fixup_f32 v4, v3, v5, 1.0
	v_mul_f32_e32 v3, 0, v2
	v_pk_add_f32 v[2:3], v[2:3], s[2:3]
	s_nop 0
	v_pk_mul_f32 v[12:13], v[2:3], v[4:5] op_sel_hi:[1,0]
.LBB170_153:
	s_or_b64 exec, exec, s[0:1]
	s_add_u32 s0, s8, s4
	s_addc_u32 s1, s9, s5
	global_store_dwordx4 v1, v[6:9], s[0:1]
	global_store_dwordx4 v1, v[10:13], s[0:1] offset:16
	s_mov_b64 s[0:1], 0
.LBB170_154:
	s_and_b64 vcc, exec, s[0:1]
	s_cbranch_vccz .LBB170_331
; %bb.155:
	v_mov_b32_e32 v12, 0
	v_mov_b32_e32 v13, v12
	v_cmp_gt_i32_e64 s[0:1], s24, v0
	v_or_b32_e32 v2, s6, v0
	v_mov_b32_e32 v1, v0
	v_mov_b64_e32 v[10:11], v[12:13]
	s_and_saveexec_b64 s[2:3], s[0:1]
	s_cbranch_execz .LBB170_157
; %bb.156:
	v_mov_b32_e32 v3, v12
	v_lshl_add_u64 v[4:5], v[2:3], 3, s[10:11]
	global_load_dwordx2 v[10:11], v[4:5], off
	v_or_b32_e32 v1, 0x100, v0
.LBB170_157:
	s_or_b64 exec, exec, s[2:3]
	v_cmp_gt_i32_e32 vcc, s24, v1
	s_and_saveexec_b64 s[2:3], vcc
	s_cbranch_execz .LBB170_159
; %bb.158:
	v_add_u32_e32 v4, s6, v1
	v_mov_b32_e32 v5, 0
	v_lshl_add_u64 v[4:5], v[4:5], 3, s[10:11]
	global_load_dwordx2 v[12:13], v[4:5], off
	v_add_u32_e32 v1, 0x100, v1
.LBB170_159:
	s_or_b64 exec, exec, s[2:3]
	v_mov_b32_e32 v4, 0
	v_mov_b32_e32 v5, v4
	v_cmp_gt_i32_e32 vcc, s24, v1
	v_mov_b64_e32 v[8:9], v[4:5]
	s_and_saveexec_b64 s[2:3], vcc
	s_cbranch_execz .LBB170_161
; %bb.160:
	v_add_u32_e32 v6, s6, v1
	v_mov_b32_e32 v7, v4
	v_lshl_add_u64 v[6:7], v[6:7], 3, s[10:11]
	global_load_dwordx2 v[8:9], v[6:7], off
	v_add_u32_e32 v1, 0x100, v1
.LBB170_161:
	s_or_b64 exec, exec, s[2:3]
	v_cmp_gt_i32_e32 vcc, s24, v1
	s_and_saveexec_b64 s[2:3], vcc
	s_cbranch_execz .LBB170_163
; %bb.162:
	v_add_u32_e32 v4, s6, v1
	v_mov_b32_e32 v5, 0
	v_lshl_add_u64 v[4:5], v[4:5], 3, s[10:11]
	global_load_dwordx2 v[4:5], v[4:5], off
.LBB170_163:
	s_or_b64 exec, exec, s[2:3]
	v_mov_b32_e32 v7, 0
	v_mov_b32_e32 v6, 0
	s_and_saveexec_b64 s[10:11], s[0:1]
	s_cbranch_execz .LBB170_203
; %bb.164:
	s_waitcnt vmcnt(0)
	v_cmp_neq_f32_e32 vcc, 0, v10
	v_cmp_neq_f32_e64 s[2:3], 0, v11
	v_mov_b32_e32 v1, 0
	s_or_b64 s[2:3], vcc, s[2:3]
	s_and_saveexec_b64 s[12:13], s[2:3]
	s_cbranch_execz .LBB170_194
; %bb.165:
	v_mov_b32_e32 v1, 0x7f800000
	v_cmp_neq_f32_e64 s[2:3], |v11|, v1
	s_and_saveexec_b64 s[14:15], s[2:3]
	s_cbranch_execz .LBB170_193
; %bb.166:
	v_cmp_o_f32_e32 vcc, v10, v10
                                        ; implicit-def: $vgpr1
	s_and_saveexec_b64 s[2:3], vcc
	s_xor_b64 s[16:17], exec, s[2:3]
	s_cbranch_execz .LBB170_190
; %bb.167:
	s_mov_b32 s2, 0x7f800000
	v_cmp_neq_f32_e64 s[2:3], |v10|, s2
                                        ; implicit-def: $vgpr1
	s_and_saveexec_b64 s[4:5], s[2:3]
	s_xor_b64 s[18:19], exec, s[4:5]
	s_cbranch_execz .LBB170_183
; %bb.168:
	v_max_f32_e64 v1, |v10|, |v10|
	v_max_f32_e64 v3, |v11|, |v11|
	v_max_f32_e32 v1, v3, v1
	s_mov_b32 s2, 0x7ed413cb
	v_cmp_nle_f32_e64 s[2:3], s2, v1
                                        ; implicit-def: $sgpr20_sgpr21
	s_and_saveexec_b64 s[4:5], s[2:3]
	s_xor_b64 s[4:5], exec, s[4:5]
	s_cbranch_execz .LBB170_172
; %bb.169:
	s_mov_b32 s7, 0x1000000
	v_cmp_le_f32_e64 s[20:21], |v10|, s7
	v_cmp_le_f32_e64 s[22:23], |v11|, s7
	s_and_b64 s[26:27], s[22:23], s[20:21]
	s_mov_b64 s[20:21], 0
	s_and_saveexec_b64 s[22:23], s[26:27]
; %bb.170:
	s_mov_b64 s[20:21], exec
	v_pk_mul_f32 v[10:11], v[10:11], 4.0 op_sel_hi:[1,0]
; %bb.171:
	s_or_b64 exec, exec, s[22:23]
.LBB170_172:
	s_andn2_saveexec_b64 s[4:5], s[4:5]
; %bb.173:
	s_mov_b32 s22, 0x3e800000
	v_pk_mul_f32 v[10:11], v[10:11], s[22:23] op_sel_hi:[1,0]
	s_andn2_b64 s[20:21], s[20:21], exec
; %bb.174:
	s_or_b64 exec, exec, s[4:5]
	v_max_f32_e64 v1, |v11|, |v11|
	v_max_f32_e64 v3, |v10|, |v10|
	v_max_f32_e32 v1, v3, v1
	v_cvt_f64_f32_e32 v[6:7], v1
	v_frexp_exp_i32_f64_e32 v3, v[6:7]
	v_sub_u32_e32 v6, 0, v3
	v_ldexp_f32 v7, |v10|, v6
	v_ldexp_f32 v6, |v11|, v6
	v_mul_f32_e32 v6, v6, v6
	v_fmac_f32_e32 v6, v7, v7
	v_sqrt_f32_e32 v6, v6
	s_mov_b32 s4, 0x7f800000
	v_cmp_neq_f32_e64 s[4:5], s4, v1
	v_cmp_le_f32_e32 vcc, 0, v10
	v_ldexp_f32 v3, v6, v3
	v_mov_b32_e32 v6, 0x7f800000
	v_cndmask_b32_e64 v1, v6, v3, s[4:5]
                                        ; implicit-def: $vgpr6_vgpr7
	s_and_saveexec_b64 s[4:5], vcc
	s_xor_b64 s[22:23], exec, s[4:5]
	s_cbranch_execz .LBB170_176
; %bb.175:
	v_add_f32_e32 v1, v10, v1
	v_mul_f32_e32 v1, 0.5, v1
	s_mov_b32 s4, 0xf800000
	v_mul_f32_e32 v3, 0x4f800000, v1
	v_cmp_gt_f32_e32 vcc, s4, v1
	s_nop 1
	v_cndmask_b32_e32 v1, v1, v3, vcc
	v_sqrt_f32_e32 v3, v1
	s_nop 0
	v_add_u32_e32 v6, -1, v3
	v_fma_f32 v7, -v6, v3, v1
	v_cmp_ge_f32_e64 s[4:5], 0, v7
	v_add_u32_e32 v7, 1, v3
	s_nop 0
	v_cndmask_b32_e64 v6, v3, v6, s[4:5]
	v_fma_f32 v3, -v7, v3, v1
	v_cmp_lt_f32_e64 s[4:5], 0, v3
	s_nop 1
	v_cndmask_b32_e64 v3, v6, v7, s[4:5]
	v_mul_f32_e32 v6, 0x37800000, v3
	v_cndmask_b32_e32 v3, v3, v6, vcc
	v_mov_b32_e32 v6, 0x260
	v_cmp_class_f32_e32 vcc, v1, v6
	s_nop 1
	v_cndmask_b32_e32 v6, v3, v1, vcc
	v_add_f32_e32 v1, v6, v6
	v_div_scale_f32 v3, s[4:5], v1, v1, v11
	v_rcp_f32_e32 v7, v3
	s_nop 0
	v_fma_f32 v10, -v3, v7, 1.0
	v_fmac_f32_e32 v7, v10, v7
	v_div_scale_f32 v10, vcc, v11, v1, v11
	v_mul_f32_e32 v14, v10, v7
	v_fma_f32 v15, -v3, v14, v10
	v_fmac_f32_e32 v14, v15, v7
	v_fma_f32 v3, -v3, v14, v10
	v_div_fmas_f32 v3, v3, v7, v14
	v_div_fixup_f32 v7, v3, v1, v11
                                        ; implicit-def: $vgpr1
                                        ; implicit-def: $vgpr10_vgpr11
	s_andn2_saveexec_b64 s[22:23], s[22:23]
	s_cbranch_execz .LBB170_178
	s_branch .LBB170_177
.LBB170_176:
	s_andn2_saveexec_b64 s[22:23], s[22:23]
	s_cbranch_execz .LBB170_178
.LBB170_177:
	v_sub_f32_e32 v1, v1, v10
	v_mul_f32_e32 v1, 0.5, v1
	s_mov_b32 s4, 0xf800000
	v_mul_f32_e32 v3, 0x4f800000, v1
	v_cmp_gt_f32_e32 vcc, s4, v1
	s_nop 1
	v_cndmask_b32_e32 v1, v1, v3, vcc
	v_sqrt_f32_e32 v3, v1
	s_nop 0
	v_add_u32_e32 v6, -1, v3
	v_fma_f32 v7, -v6, v3, v1
	v_cmp_ge_f32_e64 s[4:5], 0, v7
	v_add_u32_e32 v7, 1, v3
	s_nop 0
	v_cndmask_b32_e64 v6, v3, v6, s[4:5]
	v_fma_f32 v3, -v7, v3, v1
	v_cmp_lt_f32_e64 s[4:5], 0, v3
	s_nop 1
	v_cndmask_b32_e64 v3, v6, v7, s[4:5]
	v_mul_f32_e32 v6, 0x37800000, v3
	v_cndmask_b32_e32 v3, v3, v6, vcc
	v_mov_b32_e32 v6, 0x260
	v_cmp_class_f32_e32 vcc, v1, v6
	v_and_b32_e32 v6, 0x7fffffff, v11
	s_nop 0
	v_cndmask_b32_e32 v1, v3, v1, vcc
	v_add_f32_e32 v3, v1, v1
	v_div_scale_f32 v7, s[4:5], v3, v3, v6
	v_rcp_f32_e32 v10, v7
	v_div_scale_f32 v6, vcc, v6, v3, v6
	s_brev_b32 s4, -2
	v_fma_f32 v14, -v7, v10, 1.0
	v_fmac_f32_e32 v10, v14, v10
	v_mul_f32_e32 v14, v6, v10
	v_fma_f32 v15, -v7, v14, v6
	v_fmac_f32_e32 v14, v15, v10
	v_fma_f32 v6, -v7, v14, v6
	v_div_fmas_f32 v6, v6, v10, v14
	v_div_fixup_f32 v6, v6, v3, |v11|
	v_bfi_b32 v7, s4, v1, v11
.LBB170_178:
	s_or_b64 exec, exec, s[22:23]
                                        ; implicit-def: $vgpr11
                                        ; implicit-def: $vgpr1
	s_and_saveexec_b64 s[4:5], s[2:3]
	s_xor_b64 s[2:3], exec, s[4:5]
	s_cbranch_execz .LBB170_180
; %bb.179:
	v_pk_mul_f32 v[10:11], v[6:7], 0.5 op_sel_hi:[1,0]
	s_nop 0
	v_cndmask_b32_e64 v1, v6, v10, s[20:21]
	v_cndmask_b32_e64 v11, v7, v11, s[20:21]
                                        ; implicit-def: $vgpr6_vgpr7
	s_andn2_saveexec_b64 s[2:3], s[2:3]
	s_cbranch_execnz .LBB170_181
	s_branch .LBB170_182
.LBB170_180:
	s_andn2_saveexec_b64 s[2:3], s[2:3]
.LBB170_181:
	v_pk_add_f32 v[10:11], v[6:7], v[6:7]
	s_nop 0
	v_mov_b32_e32 v1, v10
.LBB170_182:
	s_or_b64 exec, exec, s[2:3]
.LBB170_183:
	s_andn2_saveexec_b64 s[2:3], s[18:19]
	s_cbranch_execz .LBB170_189
; %bb.184:
	v_sub_f32_e32 v3, v11, v11
	v_cmp_lt_i32_e32 vcc, -1, v10
	s_brev_b32 s7, -2
	v_and_b32_e32 v1, 0x7fffffff, v3
	s_and_saveexec_b64 s[4:5], vcc
	s_xor_b64 s[4:5], exec, s[4:5]
; %bb.185:
	v_bfi_b32 v11, s7, v3, v11
	v_mov_b32_e32 v1, v10
; %bb.186:
	s_andn2_saveexec_b64 s[4:5], s[4:5]
; %bb.187:
	v_bfi_b32 v11, s7, v10, v11
; %bb.188:
	s_or_b64 exec, exec, s[4:5]
.LBB170_189:
	s_or_b64 exec, exec, s[2:3]
.LBB170_190:
	s_andn2_saveexec_b64 s[2:3], s[16:17]
	s_cbranch_execz .LBB170_192
; %bb.191:
	v_sub_f32_e32 v1, v11, v11
	v_div_scale_f32 v3, vcc, v1, v1, v1
	v_rcp_f32_e32 v6, v3
	s_nop 0
	v_fma_f32 v7, -v3, v6, 1.0
	v_fmac_f32_e32 v6, v7, v6
	v_mul_f32_e32 v7, v3, v6
	v_fma_f32 v11, -v3, v7, v3
	v_fmac_f32_e32 v7, v11, v6
	v_fma_f32 v3, -v3, v7, v3
	v_div_fmas_f32 v3, v3, v6, v7
	v_div_fixup_f32 v11, v3, v1, v1
	v_mov_b32_e32 v1, v10
.LBB170_192:
	s_or_b64 exec, exec, s[2:3]
.LBB170_193:
	s_or_b64 exec, exec, s[14:15]
.LBB170_194:
	s_or_b64 exec, exec, s[12:13]
	v_cmp_gt_f32_e32 vcc, 0, v11
                                        ; implicit-def: $vgpr6_vgpr7
	s_nop 1
	v_cndmask_b32_e64 v10, v11, -v11, vcc
	v_cmp_gt_f32_e32 vcc, 0, v1
	s_nop 1
	v_cndmask_b32_e64 v3, v1, -v1, vcc
	v_cmp_ge_f32_e32 vcc, v3, v10
	s_and_saveexec_b64 s[2:3], vcc
	s_xor_b64 s[4:5], exec, s[2:3]
	s_cbranch_execz .LBB170_200
; %bb.195:
	v_cmp_neq_f32_e32 vcc, 0, v1
	v_cmp_neq_f32_e64 s[2:3], 0, v11
	s_or_b64 s[2:3], vcc, s[2:3]
                                        ; implicit-def: $vgpr6_vgpr7
	s_and_saveexec_b64 s[12:13], s[2:3]
	s_xor_b64 s[2:3], exec, s[12:13]
	s_cbranch_execz .LBB170_197
; %bb.196:
	v_div_scale_f32 v3, s[12:13], v1, v1, v11
	v_rcp_f32_e32 v6, v3
	v_div_scale_f32 v7, vcc, v11, v1, v11
	v_fma_f32 v10, -v3, v6, 1.0
	v_fmac_f32_e32 v6, v10, v6
	v_mul_f32_e32 v10, v7, v6
	v_fma_f32 v14, -v3, v10, v7
	v_fmac_f32_e32 v10, v14, v6
	v_fma_f32 v3, -v3, v10, v7
	v_div_fmas_f32 v3, v3, v6, v10
	v_div_fixup_f32 v3, v3, v1, v11
	v_fmac_f32_e32 v1, v11, v3
	v_div_scale_f32 v6, s[12:13], v1, v1, 1.0
	v_rcp_f32_e32 v7, v6
	s_nop 0
	v_fma_f32 v10, -v6, v7, 1.0
	v_fmac_f32_e32 v7, v10, v7
	v_div_scale_f32 v10, vcc, 1.0, v1, 1.0
	v_mul_f32_e32 v11, v10, v7
	v_fma_f32 v14, -v6, v11, v10
	v_fmac_f32_e32 v11, v14, v7
	v_fma_f32 v6, -v6, v11, v10
	v_div_fmas_f32 v6, v6, v7, v11
	v_div_fixup_f32 v6, v6, v1, 1.0
	v_mul_f32_e32 v1, 0, v3
	v_add_f32_e32 v10, 1.0, v1
	v_sub_f32_e32 v11, 0, v3
	v_pk_mul_f32 v[6:7], v[10:11], v[6:7] op_sel_hi:[1,0]
                                        ; implicit-def: $vgpr10
                                        ; implicit-def: $vgpr3
.LBB170_197:
	s_andn2_saveexec_b64 s[2:3], s[2:3]
	s_cbranch_execz .LBB170_199
; %bb.198:
	v_div_scale_f32 v1, s[12:13], v10, v10, 0
	v_rcp_f32_e32 v6, v1
	v_div_scale_f32 v7, vcc, 0, v10, 0
	v_fma_f32 v11, -v1, v6, 1.0
	v_fmac_f32_e32 v6, v11, v6
	v_mul_f32_e32 v11, v7, v6
	v_fma_f32 v14, -v1, v11, v7
	v_fmac_f32_e32 v11, v14, v6
	v_div_scale_f32 v14, s[12:13], v3, v3, 1.0
	v_rcp_f32_e32 v15, v14
	v_fma_f32 v1, -v1, v11, v7
	v_div_fmas_f32 v1, v1, v6, v11
	v_div_fixup_f32 v7, v1, v10, 0
	v_fma_f32 v1, -v14, v15, 1.0
	v_fmac_f32_e32 v15, v1, v15
	v_div_scale_f32 v1, vcc, 1.0, v3, 1.0
	v_mul_f32_e32 v6, v1, v15
	v_fma_f32 v10, -v14, v6, v1
	v_fmac_f32_e32 v6, v10, v15
	v_fma_f32 v1, -v14, v6, v1
	v_div_fmas_f32 v1, v1, v15, v6
	v_div_fixup_f32 v6, v1, v3, 1.0
.LBB170_199:
	s_or_b64 exec, exec, s[2:3]
                                        ; implicit-def: $vgpr11
                                        ; implicit-def: $vgpr1
.LBB170_200:
	s_andn2_saveexec_b64 s[2:3], s[4:5]
	s_cbranch_execz .LBB170_202
; %bb.201:
	v_div_scale_f32 v3, s[4:5], v11, v11, v1
	v_rcp_f32_e32 v6, v3
	v_div_scale_f32 v7, vcc, v1, v11, v1
	v_fma_f32 v10, -v3, v6, 1.0
	v_fmac_f32_e32 v6, v10, v6
	v_mul_f32_e32 v10, v7, v6
	v_fma_f32 v14, -v3, v10, v7
	v_fmac_f32_e32 v10, v14, v6
	v_fma_f32 v3, -v3, v10, v7
	v_div_fmas_f32 v3, v3, v6, v10
	v_div_fixup_f32 v6, v3, v11, v1
	v_fmac_f32_e32 v11, v1, v6
	v_div_scale_f32 v1, s[4:5], v11, v11, 1.0
	v_rcp_f32_e32 v3, v1
	s_mov_b32 s4, 0
	s_mov_b32 s5, -1.0
	v_fma_f32 v7, -v1, v3, 1.0
	v_fmac_f32_e32 v3, v7, v3
	v_div_scale_f32 v7, vcc, 1.0, v11, 1.0
	v_mul_f32_e32 v10, v7, v3
	v_fma_f32 v14, -v1, v10, v7
	v_fmac_f32_e32 v10, v14, v3
	v_fma_f32 v1, -v1, v10, v7
	v_div_fmas_f32 v1, v1, v3, v10
	v_mul_f32_e32 v7, 0, v6
	v_div_fixup_f32 v10, v1, v11, 1.0
	v_pk_add_f32 v[6:7], v[6:7], s[4:5]
	s_nop 0
	v_pk_mul_f32 v[6:7], v[6:7], v[10:11] op_sel_hi:[1,0]
.LBB170_202:
	s_or_b64 exec, exec, s[2:3]
.LBB170_203:
	s_or_b64 exec, exec, s[10:11]
	v_or_b32_e32 v1, 0x100, v0
	v_cmp_gt_i32_e32 vcc, s24, v1
	s_waitcnt vmcnt(0)
	v_mov_b32_e32 v11, 0
	v_mov_b32_e32 v10, 0
	s_and_saveexec_b64 s[10:11], vcc
	s_cbranch_execz .LBB170_243
; %bb.204:
	v_cmp_neq_f32_e32 vcc, 0, v12
	v_cmp_neq_f32_e64 s[2:3], 0, v13
	v_mov_b32_e32 v3, 0
	s_or_b64 s[2:3], vcc, s[2:3]
	s_and_saveexec_b64 s[12:13], s[2:3]
	s_cbranch_execz .LBB170_234
; %bb.205:
	v_mov_b32_e32 v3, 0x7f800000
	v_cmp_neq_f32_e64 s[2:3], |v13|, v3
	s_and_saveexec_b64 s[14:15], s[2:3]
	s_cbranch_execz .LBB170_233
; %bb.206:
	v_cmp_o_f32_e32 vcc, v12, v12
                                        ; implicit-def: $vgpr3
	s_and_saveexec_b64 s[2:3], vcc
	s_xor_b64 s[16:17], exec, s[2:3]
	s_cbranch_execz .LBB170_230
; %bb.207:
	s_mov_b32 s2, 0x7f800000
	v_cmp_neq_f32_e64 s[2:3], |v12|, s2
                                        ; implicit-def: $vgpr3
	s_and_saveexec_b64 s[4:5], s[2:3]
	s_xor_b64 s[18:19], exec, s[4:5]
	s_cbranch_execz .LBB170_223
; %bb.208:
	v_max_f32_e64 v3, |v12|, |v12|
	v_max_f32_e64 v10, |v13|, |v13|
	v_max_f32_e32 v3, v10, v3
	s_mov_b32 s2, 0x7ed413cb
	v_cmp_nle_f32_e64 s[2:3], s2, v3
                                        ; implicit-def: $sgpr20_sgpr21
	s_and_saveexec_b64 s[4:5], s[2:3]
	s_xor_b64 s[4:5], exec, s[4:5]
	s_cbranch_execz .LBB170_212
; %bb.209:
	s_mov_b32 s7, 0x1000000
	v_cmp_le_f32_e64 s[20:21], |v12|, s7
	v_cmp_le_f32_e64 s[22:23], |v13|, s7
	s_and_b64 s[26:27], s[22:23], s[20:21]
	s_mov_b64 s[20:21], 0
	s_and_saveexec_b64 s[22:23], s[26:27]
; %bb.210:
	s_mov_b64 s[20:21], exec
	v_pk_mul_f32 v[12:13], v[12:13], 4.0 op_sel_hi:[1,0]
; %bb.211:
	s_or_b64 exec, exec, s[22:23]
.LBB170_212:
	s_andn2_saveexec_b64 s[4:5], s[4:5]
; %bb.213:
	s_mov_b32 s22, 0x3e800000
	v_pk_mul_f32 v[12:13], v[12:13], s[22:23] op_sel_hi:[1,0]
	s_andn2_b64 s[20:21], s[20:21], exec
; %bb.214:
	s_or_b64 exec, exec, s[4:5]
	v_max_f32_e64 v3, |v13|, |v13|
	v_max_f32_e64 v10, |v12|, |v12|
	v_max_f32_e32 v3, v10, v3
	v_cvt_f64_f32_e32 v[10:11], v3
	v_frexp_exp_i32_f64_e32 v10, v[10:11]
	v_sub_u32_e32 v11, 0, v10
	v_ldexp_f32 v14, |v12|, v11
	v_ldexp_f32 v11, |v13|, v11
	v_mul_f32_e32 v11, v11, v11
	v_fmac_f32_e32 v11, v14, v14
	v_sqrt_f32_e32 v11, v11
	s_mov_b32 s4, 0x7f800000
	v_cmp_neq_f32_e64 s[4:5], s4, v3
	v_cmp_le_f32_e32 vcc, 0, v12
	v_ldexp_f32 v10, v11, v10
	v_mov_b32_e32 v11, 0x7f800000
	v_cndmask_b32_e64 v3, v11, v10, s[4:5]
                                        ; implicit-def: $vgpr10_vgpr11
	s_and_saveexec_b64 s[4:5], vcc
	s_xor_b64 s[22:23], exec, s[4:5]
	s_cbranch_execz .LBB170_216
; %bb.215:
	v_add_f32_e32 v3, v12, v3
	v_mul_f32_e32 v3, 0.5, v3
	s_mov_b32 s4, 0xf800000
	v_mul_f32_e32 v10, 0x4f800000, v3
	v_cmp_gt_f32_e32 vcc, s4, v3
	s_nop 1
	v_cndmask_b32_e32 v3, v3, v10, vcc
	v_sqrt_f32_e32 v10, v3
	s_nop 0
	v_add_u32_e32 v11, -1, v10
	v_fma_f32 v12, -v11, v10, v3
	v_cmp_ge_f32_e64 s[4:5], 0, v12
	v_add_u32_e32 v12, 1, v10
	s_nop 0
	v_cndmask_b32_e64 v11, v10, v11, s[4:5]
	v_fma_f32 v10, -v12, v10, v3
	v_cmp_lt_f32_e64 s[4:5], 0, v10
	s_nop 1
	v_cndmask_b32_e64 v10, v11, v12, s[4:5]
	v_mul_f32_e32 v11, 0x37800000, v10
	v_cndmask_b32_e32 v10, v10, v11, vcc
	v_mov_b32_e32 v11, 0x260
	v_cmp_class_f32_e32 vcc, v3, v11
	s_nop 1
	v_cndmask_b32_e32 v10, v10, v3, vcc
	v_add_f32_e32 v3, v10, v10
	v_div_scale_f32 v11, s[4:5], v3, v3, v13
	v_rcp_f32_e32 v12, v11
	s_nop 0
	v_fma_f32 v14, -v11, v12, 1.0
	v_fmac_f32_e32 v12, v14, v12
	v_div_scale_f32 v14, vcc, v13, v3, v13
	v_mul_f32_e32 v15, v14, v12
	v_fma_f32 v16, -v11, v15, v14
	v_fmac_f32_e32 v15, v16, v12
	v_fma_f32 v11, -v11, v15, v14
	v_div_fmas_f32 v11, v11, v12, v15
	v_div_fixup_f32 v11, v11, v3, v13
                                        ; implicit-def: $vgpr3
                                        ; implicit-def: $vgpr12_vgpr13
	s_andn2_saveexec_b64 s[22:23], s[22:23]
	s_cbranch_execz .LBB170_218
	s_branch .LBB170_217
.LBB170_216:
	s_andn2_saveexec_b64 s[22:23], s[22:23]
	s_cbranch_execz .LBB170_218
.LBB170_217:
	v_sub_f32_e32 v3, v3, v12
	v_mul_f32_e32 v3, 0.5, v3
	s_mov_b32 s4, 0xf800000
	v_mul_f32_e32 v10, 0x4f800000, v3
	v_cmp_gt_f32_e32 vcc, s4, v3
	s_nop 1
	v_cndmask_b32_e32 v3, v3, v10, vcc
	v_sqrt_f32_e32 v10, v3
	s_nop 0
	v_add_u32_e32 v11, -1, v10
	v_fma_f32 v12, -v11, v10, v3
	v_cmp_ge_f32_e64 s[4:5], 0, v12
	v_add_u32_e32 v12, 1, v10
	s_nop 0
	v_cndmask_b32_e64 v11, v10, v11, s[4:5]
	v_fma_f32 v10, -v12, v10, v3
	v_cmp_lt_f32_e64 s[4:5], 0, v10
	s_nop 1
	v_cndmask_b32_e64 v10, v11, v12, s[4:5]
	v_mul_f32_e32 v11, 0x37800000, v10
	v_cndmask_b32_e32 v10, v10, v11, vcc
	v_mov_b32_e32 v11, 0x260
	v_cmp_class_f32_e32 vcc, v3, v11
	v_and_b32_e32 v11, 0x7fffffff, v13
	s_nop 0
	v_cndmask_b32_e32 v3, v10, v3, vcc
	v_add_f32_e32 v10, v3, v3
	v_div_scale_f32 v12, s[4:5], v10, v10, v11
	v_rcp_f32_e32 v14, v12
	v_div_scale_f32 v11, vcc, v11, v10, v11
	s_brev_b32 s4, -2
	v_fma_f32 v15, -v12, v14, 1.0
	v_fmac_f32_e32 v14, v15, v14
	v_mul_f32_e32 v15, v11, v14
	v_fma_f32 v16, -v12, v15, v11
	v_fmac_f32_e32 v15, v16, v14
	v_fma_f32 v11, -v12, v15, v11
	v_div_fmas_f32 v11, v11, v14, v15
	v_div_fixup_f32 v10, v11, v10, |v13|
	v_bfi_b32 v11, s4, v3, v13
.LBB170_218:
	s_or_b64 exec, exec, s[22:23]
                                        ; implicit-def: $vgpr13
                                        ; implicit-def: $vgpr3
	s_and_saveexec_b64 s[4:5], s[2:3]
	s_xor_b64 s[2:3], exec, s[4:5]
	s_cbranch_execz .LBB170_220
; %bb.219:
	v_pk_mul_f32 v[12:13], v[10:11], 0.5 op_sel_hi:[1,0]
	s_nop 0
	v_cndmask_b32_e64 v3, v10, v12, s[20:21]
	v_cndmask_b32_e64 v13, v11, v13, s[20:21]
                                        ; implicit-def: $vgpr10_vgpr11
	s_andn2_saveexec_b64 s[2:3], s[2:3]
	s_cbranch_execnz .LBB170_221
	s_branch .LBB170_222
.LBB170_220:
	s_andn2_saveexec_b64 s[2:3], s[2:3]
.LBB170_221:
	v_pk_add_f32 v[12:13], v[10:11], v[10:11]
	s_nop 0
	v_mov_b32_e32 v3, v12
.LBB170_222:
	s_or_b64 exec, exec, s[2:3]
.LBB170_223:
	s_andn2_saveexec_b64 s[2:3], s[18:19]
	s_cbranch_execz .LBB170_229
; %bb.224:
	v_sub_f32_e32 v10, v13, v13
	v_cmp_lt_i32_e32 vcc, -1, v12
	s_brev_b32 s7, -2
	v_and_b32_e32 v3, 0x7fffffff, v10
	s_and_saveexec_b64 s[4:5], vcc
	s_xor_b64 s[4:5], exec, s[4:5]
; %bb.225:
	v_bfi_b32 v13, s7, v10, v13
	v_mov_b32_e32 v3, v12
; %bb.226:
	s_andn2_saveexec_b64 s[4:5], s[4:5]
; %bb.227:
	v_bfi_b32 v13, s7, v12, v13
; %bb.228:
	s_or_b64 exec, exec, s[4:5]
.LBB170_229:
	s_or_b64 exec, exec, s[2:3]
.LBB170_230:
	s_andn2_saveexec_b64 s[2:3], s[16:17]
	s_cbranch_execz .LBB170_232
; %bb.231:
	v_sub_f32_e32 v3, v13, v13
	v_div_scale_f32 v10, vcc, v3, v3, v3
	v_rcp_f32_e32 v11, v10
	s_nop 0
	v_fma_f32 v13, -v10, v11, 1.0
	v_fmac_f32_e32 v11, v13, v11
	v_mul_f32_e32 v13, v10, v11
	v_fma_f32 v14, -v10, v13, v10
	v_fmac_f32_e32 v13, v14, v11
	v_fma_f32 v10, -v10, v13, v10
	v_div_fmas_f32 v10, v10, v11, v13
	v_div_fixup_f32 v13, v10, v3, v3
	v_mov_b32_e32 v3, v12
.LBB170_232:
	s_or_b64 exec, exec, s[2:3]
.LBB170_233:
	s_or_b64 exec, exec, s[14:15]
.LBB170_234:
	s_or_b64 exec, exec, s[12:13]
	v_cmp_gt_f32_e32 vcc, 0, v13
                                        ; implicit-def: $vgpr10_vgpr11
	s_nop 1
	v_cndmask_b32_e64 v14, v13, -v13, vcc
	v_cmp_gt_f32_e32 vcc, 0, v3
	s_nop 1
	v_cndmask_b32_e64 v12, v3, -v3, vcc
	v_cmp_ge_f32_e32 vcc, v12, v14
	s_and_saveexec_b64 s[2:3], vcc
	s_xor_b64 s[4:5], exec, s[2:3]
	s_cbranch_execz .LBB170_240
; %bb.235:
	v_cmp_neq_f32_e32 vcc, 0, v3
	v_cmp_neq_f32_e64 s[2:3], 0, v13
	s_or_b64 s[2:3], vcc, s[2:3]
                                        ; implicit-def: $vgpr10_vgpr11
	s_and_saveexec_b64 s[12:13], s[2:3]
	s_xor_b64 s[2:3], exec, s[12:13]
	s_cbranch_execz .LBB170_237
; %bb.236:
	v_div_scale_f32 v10, s[12:13], v3, v3, v13
	v_rcp_f32_e32 v11, v10
	v_div_scale_f32 v12, vcc, v13, v3, v13
	v_fma_f32 v14, -v10, v11, 1.0
	v_fmac_f32_e32 v11, v14, v11
	v_mul_f32_e32 v14, v12, v11
	v_fma_f32 v15, -v10, v14, v12
	v_fmac_f32_e32 v14, v15, v11
	v_fma_f32 v10, -v10, v14, v12
	v_div_fmas_f32 v10, v10, v11, v14
	v_div_fixup_f32 v11, v10, v3, v13
	v_fmac_f32_e32 v3, v13, v11
	v_div_scale_f32 v10, s[12:13], v3, v3, 1.0
	v_rcp_f32_e32 v12, v10
	s_nop 0
	v_fma_f32 v13, -v10, v12, 1.0
	v_fmac_f32_e32 v12, v13, v12
	v_div_scale_f32 v13, vcc, 1.0, v3, 1.0
	v_mul_f32_e32 v14, v13, v12
	v_fma_f32 v15, -v10, v14, v13
	v_fmac_f32_e32 v14, v15, v12
	v_fma_f32 v10, -v10, v14, v13
	v_div_fmas_f32 v10, v10, v12, v14
	v_div_fixup_f32 v10, v10, v3, 1.0
	v_mul_f32_e32 v3, 0, v11
	v_add_f32_e32 v12, 1.0, v3
	v_sub_f32_e32 v13, 0, v11
	v_pk_mul_f32 v[10:11], v[12:13], v[10:11] op_sel_hi:[1,0]
                                        ; implicit-def: $vgpr14
                                        ; implicit-def: $vgpr12
.LBB170_237:
	s_andn2_saveexec_b64 s[2:3], s[2:3]
	s_cbranch_execz .LBB170_239
; %bb.238:
	v_div_scale_f32 v3, s[12:13], v14, v14, 0
	v_rcp_f32_e32 v10, v3
	v_div_scale_f32 v11, vcc, 0, v14, 0
	v_fma_f32 v13, -v3, v10, 1.0
	v_fmac_f32_e32 v10, v13, v10
	v_mul_f32_e32 v13, v11, v10
	v_fma_f32 v15, -v3, v13, v11
	v_fmac_f32_e32 v13, v15, v10
	v_div_scale_f32 v15, s[12:13], v12, v12, 1.0
	v_rcp_f32_e32 v16, v15
	v_fma_f32 v3, -v3, v13, v11
	v_div_fmas_f32 v3, v3, v10, v13
	v_div_fixup_f32 v11, v3, v14, 0
	v_fma_f32 v3, -v15, v16, 1.0
	v_fmac_f32_e32 v16, v3, v16
	v_div_scale_f32 v3, vcc, 1.0, v12, 1.0
	v_mul_f32_e32 v10, v3, v16
	v_fma_f32 v13, -v15, v10, v3
	v_fmac_f32_e32 v10, v13, v16
	v_fma_f32 v3, -v15, v10, v3
	v_div_fmas_f32 v3, v3, v16, v10
	v_div_fixup_f32 v10, v3, v12, 1.0
.LBB170_239:
	s_or_b64 exec, exec, s[2:3]
                                        ; implicit-def: $vgpr13
                                        ; implicit-def: $vgpr3
.LBB170_240:
	s_andn2_saveexec_b64 s[2:3], s[4:5]
	s_cbranch_execz .LBB170_242
; %bb.241:
	v_div_scale_f32 v10, s[4:5], v13, v13, v3
	v_rcp_f32_e32 v11, v10
	v_div_scale_f32 v12, vcc, v3, v13, v3
	v_fma_f32 v14, -v10, v11, 1.0
	v_fmac_f32_e32 v11, v14, v11
	v_mul_f32_e32 v14, v12, v11
	v_fma_f32 v15, -v10, v14, v12
	v_fmac_f32_e32 v14, v15, v11
	v_fma_f32 v10, -v10, v14, v12
	v_div_fmas_f32 v10, v10, v11, v14
	v_div_fixup_f32 v10, v10, v13, v3
	v_fmac_f32_e32 v13, v3, v10
	v_div_scale_f32 v3, s[4:5], v13, v13, 1.0
	v_rcp_f32_e32 v11, v3
	s_mov_b32 s4, 0
	s_mov_b32 s5, -1.0
	v_fma_f32 v12, -v3, v11, 1.0
	v_fmac_f32_e32 v11, v12, v11
	v_div_scale_f32 v12, vcc, 1.0, v13, 1.0
	v_mul_f32_e32 v14, v12, v11
	v_fma_f32 v15, -v3, v14, v12
	v_fmac_f32_e32 v14, v15, v11
	v_fma_f32 v3, -v3, v14, v12
	v_div_fmas_f32 v3, v3, v11, v14
	v_mul_f32_e32 v11, 0, v10
	v_div_fixup_f32 v12, v3, v13, 1.0
	v_pk_add_f32 v[10:11], v[10:11], s[4:5]
	s_nop 0
	v_pk_mul_f32 v[10:11], v[10:11], v[12:13] op_sel_hi:[1,0]
.LBB170_242:
	s_or_b64 exec, exec, s[2:3]
.LBB170_243:
	s_or_b64 exec, exec, s[10:11]
	v_or_b32_e32 v3, 0x200, v0
	v_cmp_gt_i32_e32 vcc, s24, v3
	v_mov_b32_e32 v13, 0
	v_mov_b32_e32 v12, 0
	s_and_saveexec_b64 s[10:11], vcc
	s_cbranch_execz .LBB170_283
; %bb.244:
	v_cmp_neq_f32_e32 vcc, 0, v8
	v_cmp_neq_f32_e64 s[2:3], 0, v9
	v_mov_b32_e32 v3, 0
	s_or_b64 s[2:3], vcc, s[2:3]
	s_and_saveexec_b64 s[12:13], s[2:3]
	s_cbranch_execz .LBB170_274
; %bb.245:
	v_mov_b32_e32 v3, 0x7f800000
	v_cmp_neq_f32_e64 s[2:3], |v9|, v3
	s_and_saveexec_b64 s[14:15], s[2:3]
	s_cbranch_execz .LBB170_273
; %bb.246:
	v_cmp_o_f32_e32 vcc, v8, v8
                                        ; implicit-def: $vgpr3
	s_and_saveexec_b64 s[2:3], vcc
	s_xor_b64 s[16:17], exec, s[2:3]
	s_cbranch_execz .LBB170_270
; %bb.247:
	s_mov_b32 s2, 0x7f800000
	v_cmp_neq_f32_e64 s[2:3], |v8|, s2
                                        ; implicit-def: $vgpr3
	s_and_saveexec_b64 s[4:5], s[2:3]
	s_xor_b64 s[18:19], exec, s[4:5]
	s_cbranch_execz .LBB170_263
; %bb.248:
	v_max_f32_e64 v3, |v8|, |v8|
	v_max_f32_e64 v12, |v9|, |v9|
	v_max_f32_e32 v3, v12, v3
	s_mov_b32 s2, 0x7ed413cb
	v_cmp_nle_f32_e64 s[2:3], s2, v3
                                        ; implicit-def: $sgpr20_sgpr21
	s_and_saveexec_b64 s[4:5], s[2:3]
	s_xor_b64 s[4:5], exec, s[4:5]
	s_cbranch_execz .LBB170_252
; %bb.249:
	s_mov_b32 s7, 0x1000000
	v_cmp_le_f32_e64 s[20:21], |v8|, s7
	v_cmp_le_f32_e64 s[22:23], |v9|, s7
	s_and_b64 s[26:27], s[22:23], s[20:21]
	s_mov_b64 s[20:21], 0
	s_and_saveexec_b64 s[22:23], s[26:27]
; %bb.250:
	s_mov_b64 s[20:21], exec
	v_pk_mul_f32 v[8:9], v[8:9], 4.0 op_sel_hi:[1,0]
; %bb.251:
	s_or_b64 exec, exec, s[22:23]
.LBB170_252:
	s_andn2_saveexec_b64 s[4:5], s[4:5]
; %bb.253:
	s_mov_b32 s22, 0x3e800000
	v_pk_mul_f32 v[8:9], v[8:9], s[22:23] op_sel_hi:[1,0]
	s_andn2_b64 s[20:21], s[20:21], exec
; %bb.254:
	s_or_b64 exec, exec, s[4:5]
	v_max_f32_e64 v3, |v9|, |v9|
	v_max_f32_e64 v12, |v8|, |v8|
	v_max_f32_e32 v3, v12, v3
	v_cvt_f64_f32_e32 v[12:13], v3
	v_frexp_exp_i32_f64_e32 v12, v[12:13]
	v_sub_u32_e32 v13, 0, v12
	v_ldexp_f32 v14, |v8|, v13
	v_ldexp_f32 v13, |v9|, v13
	v_mul_f32_e32 v13, v13, v13
	v_fmac_f32_e32 v13, v14, v14
	v_sqrt_f32_e32 v13, v13
	s_mov_b32 s4, 0x7f800000
	v_cmp_neq_f32_e64 s[4:5], s4, v3
	v_cmp_le_f32_e32 vcc, 0, v8
	v_ldexp_f32 v12, v13, v12
	v_mov_b32_e32 v13, 0x7f800000
	v_cndmask_b32_e64 v3, v13, v12, s[4:5]
                                        ; implicit-def: $vgpr12_vgpr13
	s_and_saveexec_b64 s[4:5], vcc
	s_xor_b64 s[22:23], exec, s[4:5]
	s_cbranch_execz .LBB170_256
; %bb.255:
	v_add_f32_e32 v3, v8, v3
	v_mul_f32_e32 v3, 0.5, v3
	s_mov_b32 s4, 0xf800000
	v_mul_f32_e32 v8, 0x4f800000, v3
	v_cmp_gt_f32_e32 vcc, s4, v3
	s_nop 1
	v_cndmask_b32_e32 v3, v3, v8, vcc
	v_sqrt_f32_e32 v8, v3
	s_nop 0
	v_add_u32_e32 v12, -1, v8
	v_fma_f32 v13, -v12, v8, v3
	v_cmp_ge_f32_e64 s[4:5], 0, v13
	v_add_u32_e32 v13, 1, v8
	s_nop 0
	v_cndmask_b32_e64 v12, v8, v12, s[4:5]
	v_fma_f32 v8, -v13, v8, v3
	v_cmp_lt_f32_e64 s[4:5], 0, v8
	s_nop 1
	v_cndmask_b32_e64 v8, v12, v13, s[4:5]
	v_mul_f32_e32 v12, 0x37800000, v8
	v_cndmask_b32_e32 v8, v8, v12, vcc
	v_mov_b32_e32 v12, 0x260
	v_cmp_class_f32_e32 vcc, v3, v12
	s_nop 1
	v_cndmask_b32_e32 v12, v8, v3, vcc
	v_add_f32_e32 v3, v12, v12
	v_div_scale_f32 v8, s[4:5], v3, v3, v9
	v_rcp_f32_e32 v13, v8
	s_nop 0
	v_fma_f32 v14, -v8, v13, 1.0
	v_fmac_f32_e32 v13, v14, v13
	v_div_scale_f32 v14, vcc, v9, v3, v9
	v_mul_f32_e32 v15, v14, v13
	v_fma_f32 v16, -v8, v15, v14
	v_fmac_f32_e32 v15, v16, v13
	v_fma_f32 v8, -v8, v15, v14
	v_div_fmas_f32 v8, v8, v13, v15
	v_div_fixup_f32 v13, v8, v3, v9
                                        ; implicit-def: $vgpr3
                                        ; implicit-def: $vgpr8_vgpr9
	s_andn2_saveexec_b64 s[22:23], s[22:23]
	s_cbranch_execz .LBB170_258
	s_branch .LBB170_257
.LBB170_256:
	s_andn2_saveexec_b64 s[22:23], s[22:23]
	s_cbranch_execz .LBB170_258
.LBB170_257:
	v_sub_f32_e32 v3, v3, v8
	v_mul_f32_e32 v3, 0.5, v3
	s_mov_b32 s4, 0xf800000
	v_mul_f32_e32 v8, 0x4f800000, v3
	v_cmp_gt_f32_e32 vcc, s4, v3
	s_nop 1
	v_cndmask_b32_e32 v3, v3, v8, vcc
	v_sqrt_f32_e32 v8, v3
	s_nop 0
	v_add_u32_e32 v12, -1, v8
	v_fma_f32 v13, -v12, v8, v3
	v_cmp_ge_f32_e64 s[4:5], 0, v13
	v_add_u32_e32 v13, 1, v8
	s_nop 0
	v_cndmask_b32_e64 v12, v8, v12, s[4:5]
	v_fma_f32 v8, -v13, v8, v3
	v_cmp_lt_f32_e64 s[4:5], 0, v8
	s_nop 1
	v_cndmask_b32_e64 v8, v12, v13, s[4:5]
	v_mul_f32_e32 v12, 0x37800000, v8
	v_cndmask_b32_e32 v8, v8, v12, vcc
	v_mov_b32_e32 v12, 0x260
	v_cmp_class_f32_e32 vcc, v3, v12
	v_and_b32_e32 v12, 0x7fffffff, v9
	s_nop 0
	v_cndmask_b32_e32 v3, v8, v3, vcc
	v_add_f32_e32 v8, v3, v3
	v_div_scale_f32 v13, s[4:5], v8, v8, v12
	v_rcp_f32_e32 v14, v13
	v_div_scale_f32 v12, vcc, v12, v8, v12
	s_brev_b32 s4, -2
	v_fma_f32 v15, -v13, v14, 1.0
	v_fmac_f32_e32 v14, v15, v14
	v_mul_f32_e32 v15, v12, v14
	v_fma_f32 v16, -v13, v15, v12
	v_fmac_f32_e32 v15, v16, v14
	v_fma_f32 v12, -v13, v15, v12
	v_div_fmas_f32 v12, v12, v14, v15
	v_div_fixup_f32 v12, v12, v8, |v9|
	v_bfi_b32 v13, s4, v3, v9
.LBB170_258:
	s_or_b64 exec, exec, s[22:23]
                                        ; implicit-def: $vgpr9
                                        ; implicit-def: $vgpr3
	s_and_saveexec_b64 s[4:5], s[2:3]
	s_xor_b64 s[2:3], exec, s[4:5]
	s_cbranch_execz .LBB170_260
; %bb.259:
	v_pk_mul_f32 v[8:9], v[12:13], 0.5 op_sel_hi:[1,0]
	s_nop 0
	v_cndmask_b32_e64 v3, v12, v8, s[20:21]
	v_cndmask_b32_e64 v9, v13, v9, s[20:21]
                                        ; implicit-def: $vgpr12_vgpr13
	s_andn2_saveexec_b64 s[2:3], s[2:3]
	s_cbranch_execnz .LBB170_261
	s_branch .LBB170_262
.LBB170_260:
	s_andn2_saveexec_b64 s[2:3], s[2:3]
.LBB170_261:
	v_pk_add_f32 v[8:9], v[12:13], v[12:13]
	s_nop 0
	v_mov_b32_e32 v3, v8
.LBB170_262:
	s_or_b64 exec, exec, s[2:3]
.LBB170_263:
	s_andn2_saveexec_b64 s[2:3], s[18:19]
	s_cbranch_execz .LBB170_269
; %bb.264:
	v_sub_f32_e32 v12, v9, v9
	v_cmp_lt_i32_e32 vcc, -1, v8
	s_brev_b32 s7, -2
	v_and_b32_e32 v3, 0x7fffffff, v12
	s_and_saveexec_b64 s[4:5], vcc
	s_xor_b64 s[4:5], exec, s[4:5]
; %bb.265:
	v_bfi_b32 v9, s7, v12, v9
	v_mov_b32_e32 v3, v8
; %bb.266:
	s_andn2_saveexec_b64 s[4:5], s[4:5]
; %bb.267:
	v_bfi_b32 v9, s7, v8, v9
; %bb.268:
	s_or_b64 exec, exec, s[4:5]
.LBB170_269:
	s_or_b64 exec, exec, s[2:3]
.LBB170_270:
	s_andn2_saveexec_b64 s[2:3], s[16:17]
	s_cbranch_execz .LBB170_272
; %bb.271:
	v_sub_f32_e32 v3, v9, v9
	v_div_scale_f32 v9, vcc, v3, v3, v3
	v_rcp_f32_e32 v12, v9
	s_nop 0
	v_fma_f32 v13, -v9, v12, 1.0
	v_fmac_f32_e32 v12, v13, v12
	v_mul_f32_e32 v13, v9, v12
	v_fma_f32 v14, -v9, v13, v9
	v_fmac_f32_e32 v13, v14, v12
	v_fma_f32 v9, -v9, v13, v9
	v_div_fmas_f32 v9, v9, v12, v13
	v_div_fixup_f32 v9, v9, v3, v3
	v_mov_b32_e32 v3, v8
.LBB170_272:
	s_or_b64 exec, exec, s[2:3]
.LBB170_273:
	s_or_b64 exec, exec, s[14:15]
.LBB170_274:
	s_or_b64 exec, exec, s[12:13]
	v_cmp_gt_f32_e32 vcc, 0, v9
                                        ; implicit-def: $vgpr12_vgpr13
	s_nop 1
	v_cndmask_b32_e64 v14, v9, -v9, vcc
	v_cmp_gt_f32_e32 vcc, 0, v3
	s_nop 1
	v_cndmask_b32_e64 v8, v3, -v3, vcc
	v_cmp_ge_f32_e32 vcc, v8, v14
	s_and_saveexec_b64 s[2:3], vcc
	s_xor_b64 s[4:5], exec, s[2:3]
	s_cbranch_execz .LBB170_280
; %bb.275:
	v_cmp_neq_f32_e32 vcc, 0, v3
	v_cmp_neq_f32_e64 s[2:3], 0, v9
	s_or_b64 s[2:3], vcc, s[2:3]
                                        ; implicit-def: $vgpr12_vgpr13
	s_and_saveexec_b64 s[12:13], s[2:3]
	s_xor_b64 s[2:3], exec, s[12:13]
	s_cbranch_execz .LBB170_277
; %bb.276:
	v_div_scale_f32 v8, s[12:13], v3, v3, v9
	v_rcp_f32_e32 v12, v8
	v_div_scale_f32 v13, vcc, v9, v3, v9
	v_fma_f32 v14, -v8, v12, 1.0
	v_fmac_f32_e32 v12, v14, v12
	v_mul_f32_e32 v14, v13, v12
	v_fma_f32 v15, -v8, v14, v13
	v_fmac_f32_e32 v14, v15, v12
	v_fma_f32 v8, -v8, v14, v13
	v_div_fmas_f32 v8, v8, v12, v14
	v_div_fixup_f32 v13, v8, v3, v9
	v_fmac_f32_e32 v3, v9, v13
	v_div_scale_f32 v8, s[12:13], v3, v3, 1.0
	v_rcp_f32_e32 v9, v8
	s_nop 0
	v_fma_f32 v12, -v8, v9, 1.0
	v_fmac_f32_e32 v9, v12, v9
	v_div_scale_f32 v12, vcc, 1.0, v3, 1.0
	v_mul_f32_e32 v14, v12, v9
	v_fma_f32 v15, -v8, v14, v12
	v_fmac_f32_e32 v14, v15, v9
	v_fma_f32 v8, -v8, v14, v12
	v_div_fmas_f32 v8, v8, v9, v14
	v_div_fixup_f32 v8, v8, v3, 1.0
	v_mul_f32_e32 v3, 0, v13
	v_add_f32_e32 v12, 1.0, v3
	v_sub_f32_e32 v13, 0, v13
	v_pk_mul_f32 v[12:13], v[12:13], v[8:9] op_sel_hi:[1,0]
                                        ; implicit-def: $vgpr14
                                        ; implicit-def: $vgpr8
.LBB170_277:
	s_andn2_saveexec_b64 s[2:3], s[2:3]
	s_cbranch_execz .LBB170_279
; %bb.278:
	v_div_scale_f32 v3, s[12:13], v14, v14, 0
	v_rcp_f32_e32 v9, v3
	v_div_scale_f32 v12, vcc, 0, v14, 0
	v_fma_f32 v13, -v3, v9, 1.0
	v_fmac_f32_e32 v9, v13, v9
	v_mul_f32_e32 v13, v12, v9
	v_fma_f32 v15, -v3, v13, v12
	v_fmac_f32_e32 v13, v15, v9
	v_fma_f32 v3, -v3, v13, v12
	v_div_scale_f32 v12, s[12:13], v8, v8, 1.0
	v_rcp_f32_e32 v15, v12
	v_div_fmas_f32 v3, v3, v9, v13
	v_div_fixup_f32 v13, v3, v14, 0
	v_fma_f32 v3, -v12, v15, 1.0
	v_fmac_f32_e32 v15, v3, v15
	v_div_scale_f32 v3, vcc, 1.0, v8, 1.0
	v_mul_f32_e32 v9, v3, v15
	v_fma_f32 v14, -v12, v9, v3
	v_fmac_f32_e32 v9, v14, v15
	v_fma_f32 v3, -v12, v9, v3
	v_div_fmas_f32 v3, v3, v15, v9
	v_div_fixup_f32 v12, v3, v8, 1.0
.LBB170_279:
	s_or_b64 exec, exec, s[2:3]
                                        ; implicit-def: $vgpr9
                                        ; implicit-def: $vgpr3
.LBB170_280:
	s_andn2_saveexec_b64 s[2:3], s[4:5]
	s_cbranch_execz .LBB170_282
; %bb.281:
	v_div_scale_f32 v8, s[4:5], v9, v9, v3
	v_rcp_f32_e32 v12, v8
	v_div_scale_f32 v13, vcc, v3, v9, v3
	v_fma_f32 v14, -v8, v12, 1.0
	v_fmac_f32_e32 v12, v14, v12
	v_mul_f32_e32 v14, v13, v12
	v_fma_f32 v15, -v8, v14, v13
	v_fmac_f32_e32 v14, v15, v12
	v_fma_f32 v8, -v8, v14, v13
	v_div_fmas_f32 v8, v8, v12, v14
	v_div_fixup_f32 v8, v8, v9, v3
	v_fmac_f32_e32 v9, v3, v8
	v_div_scale_f32 v3, s[4:5], v9, v9, 1.0
	v_rcp_f32_e32 v12, v3
	s_mov_b32 s4, 0
	s_mov_b32 s5, -1.0
	v_fma_f32 v13, -v3, v12, 1.0
	v_fmac_f32_e32 v12, v13, v12
	v_div_scale_f32 v13, vcc, 1.0, v9, 1.0
	v_mul_f32_e32 v14, v13, v12
	v_fma_f32 v15, -v3, v14, v13
	v_fmac_f32_e32 v14, v15, v12
	v_fma_f32 v3, -v3, v14, v13
	v_div_fmas_f32 v3, v3, v12, v14
	v_div_fixup_f32 v12, v3, v9, 1.0
	v_mul_f32_e32 v9, 0, v8
	v_pk_add_f32 v[8:9], v[8:9], s[4:5]
	s_nop 0
	v_pk_mul_f32 v[12:13], v[8:9], v[12:13] op_sel_hi:[1,0]
.LBB170_282:
	s_or_b64 exec, exec, s[2:3]
.LBB170_283:
	s_or_b64 exec, exec, s[10:11]
	v_or_b32_e32 v3, 0x300, v0
	v_cmp_gt_i32_e32 vcc, s24, v3
	v_mov_b32_e32 v9, 0
	v_mov_b32_e32 v8, 0
	s_and_saveexec_b64 s[10:11], vcc
	s_cbranch_execz .LBB170_296
; %bb.284:
	v_cmp_neq_f32_e32 vcc, 0, v4
	v_cmp_neq_f32_e64 s[2:3], 0, v5
	v_mov_b32_e32 v3, 0
	s_or_b64 s[2:3], vcc, s[2:3]
	s_and_saveexec_b64 s[12:13], s[2:3]
	s_cbranch_execz .LBB170_318
; %bb.285:
	v_mov_b32_e32 v3, 0x7f800000
	v_cmp_neq_f32_e64 s[2:3], |v5|, v3
	s_and_saveexec_b64 s[14:15], s[2:3]
	s_cbranch_execz .LBB170_317
; %bb.286:
	v_cmp_o_f32_e32 vcc, v4, v4
                                        ; implicit-def: $vgpr3
	s_and_saveexec_b64 s[2:3], vcc
	s_xor_b64 s[16:17], exec, s[2:3]
	s_cbranch_execz .LBB170_314
; %bb.287:
	s_mov_b32 s2, 0x7f800000
	v_cmp_neq_f32_e64 s[2:3], |v4|, s2
                                        ; implicit-def: $vgpr3
	s_and_saveexec_b64 s[4:5], s[2:3]
	s_xor_b64 s[18:19], exec, s[4:5]
	s_cbranch_execz .LBB170_307
; %bb.288:
	v_max_f32_e64 v3, |v4|, |v4|
	v_max_f32_e64 v8, |v5|, |v5|
	v_max_f32_e32 v3, v8, v3
	s_mov_b32 s2, 0x7ed413cb
	v_cmp_nle_f32_e64 s[2:3], s2, v3
                                        ; implicit-def: $sgpr20_sgpr21
	s_and_saveexec_b64 s[4:5], s[2:3]
	s_xor_b64 s[4:5], exec, s[4:5]
	s_cbranch_execz .LBB170_292
; %bb.289:
	s_mov_b32 s7, 0x1000000
	v_cmp_le_f32_e64 s[20:21], |v4|, s7
	v_cmp_le_f32_e64 s[22:23], |v5|, s7
	s_and_b64 s[26:27], s[22:23], s[20:21]
	s_mov_b64 s[20:21], 0
	s_and_saveexec_b64 s[22:23], s[26:27]
; %bb.290:
	s_mov_b64 s[20:21], exec
	v_pk_mul_f32 v[4:5], v[4:5], 4.0 op_sel_hi:[1,0]
; %bb.291:
	s_or_b64 exec, exec, s[22:23]
.LBB170_292:
	s_andn2_saveexec_b64 s[4:5], s[4:5]
; %bb.293:
	s_mov_b32 s22, 0x3e800000
	v_pk_mul_f32 v[4:5], v[4:5], s[22:23] op_sel_hi:[1,0]
	s_andn2_b64 s[20:21], s[20:21], exec
; %bb.294:
	s_or_b64 exec, exec, s[4:5]
	v_max_f32_e64 v3, |v5|, |v5|
	v_max_f32_e64 v8, |v4|, |v4|
	v_max_f32_e32 v3, v8, v3
	v_cvt_f64_f32_e32 v[8:9], v3
	v_frexp_exp_i32_f64_e32 v8, v[8:9]
	v_sub_u32_e32 v9, 0, v8
	v_ldexp_f32 v14, |v4|, v9
	v_ldexp_f32 v9, |v5|, v9
	v_mul_f32_e32 v9, v9, v9
	v_fmac_f32_e32 v9, v14, v14
	v_sqrt_f32_e32 v9, v9
	s_mov_b32 s4, 0x7f800000
	v_cmp_neq_f32_e64 s[4:5], s4, v3
	v_cmp_le_f32_e32 vcc, 0, v4
	v_ldexp_f32 v8, v9, v8
	v_mov_b32_e32 v9, 0x7f800000
	v_cndmask_b32_e64 v3, v9, v8, s[4:5]
                                        ; implicit-def: $vgpr8_vgpr9
	s_and_saveexec_b64 s[4:5], vcc
	s_xor_b64 s[22:23], exec, s[4:5]
	s_cbranch_execz .LBB170_300
; %bb.295:
	v_add_f32_e32 v3, v4, v3
	v_mul_f32_e32 v3, 0.5, v3
	s_mov_b32 s4, 0xf800000
	v_mul_f32_e32 v4, 0x4f800000, v3
	v_cmp_gt_f32_e32 vcc, s4, v3
	s_nop 1
	v_cndmask_b32_e32 v3, v3, v4, vcc
	v_sqrt_f32_e32 v4, v3
	s_nop 0
	v_add_u32_e32 v8, -1, v4
	v_fma_f32 v9, -v8, v4, v3
	v_cmp_ge_f32_e64 s[4:5], 0, v9
	v_add_u32_e32 v9, 1, v4
	s_nop 0
	v_cndmask_b32_e64 v8, v4, v8, s[4:5]
	v_fma_f32 v4, -v9, v4, v3
	v_cmp_lt_f32_e64 s[4:5], 0, v4
	s_nop 1
	v_cndmask_b32_e64 v4, v8, v9, s[4:5]
	v_mul_f32_e32 v8, 0x37800000, v4
	v_cndmask_b32_e32 v4, v4, v8, vcc
	v_mov_b32_e32 v8, 0x260
	v_cmp_class_f32_e32 vcc, v3, v8
	s_nop 1
	v_cndmask_b32_e32 v8, v4, v3, vcc
	v_add_f32_e32 v3, v8, v8
	v_div_scale_f32 v4, s[4:5], v3, v3, v5
	v_rcp_f32_e32 v9, v4
	s_nop 0
	v_fma_f32 v14, -v4, v9, 1.0
	v_fmac_f32_e32 v9, v14, v9
	v_div_scale_f32 v14, vcc, v5, v3, v5
	v_mul_f32_e32 v15, v14, v9
	v_fma_f32 v16, -v4, v15, v14
	v_fmac_f32_e32 v15, v16, v9
	v_fma_f32 v4, -v4, v15, v14
	v_div_fmas_f32 v4, v4, v9, v15
	v_div_fixup_f32 v9, v4, v3, v5
                                        ; implicit-def: $vgpr3
                                        ; implicit-def: $vgpr4_vgpr5
	s_andn2_saveexec_b64 s[22:23], s[22:23]
	s_cbranch_execz .LBB170_302
	s_branch .LBB170_301
.LBB170_296:
	s_or_b64 exec, exec, s[10:11]
	s_and_saveexec_b64 s[2:3], s[0:1]
	s_xor_b64 s[0:1], exec, s[2:3]
	s_cbranch_execz .LBB170_327
.LBB170_297:
	v_mov_b32_e32 v3, 0
	v_lshl_add_u64 v[2:3], v[2:3], 3, s[8:9]
	v_mov_b32_e32 v0, v1
	global_store_dwordx2 v[2:3], v[6:7], off
	s_or_b64 exec, exec, s[0:1]
	v_cmp_gt_i32_e32 vcc, s24, v0
	s_and_saveexec_b64 s[0:1], vcc
	s_cbranch_execnz .LBB170_328
.LBB170_298:
	s_or_b64 exec, exec, s[0:1]
	v_cmp_gt_i32_e32 vcc, s24, v0
	s_and_saveexec_b64 s[0:1], vcc
	s_cbranch_execz .LBB170_329
.LBB170_299:
	v_add_u32_e32 v2, 0x100, v0
	v_add_u32_e32 v0, s6, v0
	v_mov_b32_e32 v1, 0
	v_lshl_add_u64 v[0:1], v[0:1], 3, s[8:9]
	global_store_dwordx2 v[0:1], v[12:13], off
	v_mov_b32_e32 v0, v2
	s_or_b64 exec, exec, s[0:1]
	v_cmp_gt_i32_e32 vcc, s24, v0
	s_and_saveexec_b64 s[0:1], vcc
	s_cbranch_execnz .LBB170_330
	s_branch .LBB170_331
.LBB170_300:
	s_andn2_saveexec_b64 s[22:23], s[22:23]
	s_cbranch_execz .LBB170_302
.LBB170_301:
	v_sub_f32_e32 v3, v3, v4
	v_mul_f32_e32 v3, 0.5, v3
	s_mov_b32 s4, 0xf800000
	v_mul_f32_e32 v4, 0x4f800000, v3
	v_cmp_gt_f32_e32 vcc, s4, v3
	s_nop 1
	v_cndmask_b32_e32 v3, v3, v4, vcc
	v_sqrt_f32_e32 v4, v3
	s_nop 0
	v_add_u32_e32 v8, -1, v4
	v_fma_f32 v9, -v8, v4, v3
	v_cmp_ge_f32_e64 s[4:5], 0, v9
	v_add_u32_e32 v9, 1, v4
	s_nop 0
	v_cndmask_b32_e64 v8, v4, v8, s[4:5]
	v_fma_f32 v4, -v9, v4, v3
	v_cmp_lt_f32_e64 s[4:5], 0, v4
	s_nop 1
	v_cndmask_b32_e64 v4, v8, v9, s[4:5]
	v_mul_f32_e32 v8, 0x37800000, v4
	v_cndmask_b32_e32 v4, v4, v8, vcc
	v_mov_b32_e32 v8, 0x260
	v_cmp_class_f32_e32 vcc, v3, v8
	v_and_b32_e32 v8, 0x7fffffff, v5
	s_nop 0
	v_cndmask_b32_e32 v3, v4, v3, vcc
	v_add_f32_e32 v4, v3, v3
	v_div_scale_f32 v9, s[4:5], v4, v4, v8
	v_rcp_f32_e32 v14, v9
	v_div_scale_f32 v8, vcc, v8, v4, v8
	s_brev_b32 s4, -2
	v_fma_f32 v15, -v9, v14, 1.0
	v_fmac_f32_e32 v14, v15, v14
	v_mul_f32_e32 v15, v8, v14
	v_fma_f32 v16, -v9, v15, v8
	v_fmac_f32_e32 v15, v16, v14
	v_fma_f32 v8, -v9, v15, v8
	v_div_fmas_f32 v8, v8, v14, v15
	v_div_fixup_f32 v8, v8, v4, |v5|
	v_bfi_b32 v9, s4, v3, v5
.LBB170_302:
	s_or_b64 exec, exec, s[22:23]
                                        ; implicit-def: $vgpr5
                                        ; implicit-def: $vgpr3
	s_and_saveexec_b64 s[4:5], s[2:3]
	s_xor_b64 s[2:3], exec, s[4:5]
	s_cbranch_execz .LBB170_304
; %bb.303:
	v_pk_mul_f32 v[4:5], v[8:9], 0.5 op_sel_hi:[1,0]
	s_nop 0
	v_cndmask_b32_e64 v3, v8, v4, s[20:21]
	v_cndmask_b32_e64 v5, v9, v5, s[20:21]
                                        ; implicit-def: $vgpr8_vgpr9
	s_andn2_saveexec_b64 s[2:3], s[2:3]
	s_cbranch_execnz .LBB170_305
	s_branch .LBB170_306
.LBB170_304:
	s_andn2_saveexec_b64 s[2:3], s[2:3]
.LBB170_305:
	v_pk_add_f32 v[4:5], v[8:9], v[8:9]
	s_nop 0
	v_mov_b32_e32 v3, v4
.LBB170_306:
	s_or_b64 exec, exec, s[2:3]
.LBB170_307:
	s_andn2_saveexec_b64 s[2:3], s[18:19]
	s_cbranch_execz .LBB170_313
; %bb.308:
	v_sub_f32_e32 v8, v5, v5
	v_cmp_lt_i32_e32 vcc, -1, v4
	s_brev_b32 s7, -2
	v_and_b32_e32 v3, 0x7fffffff, v8
	s_and_saveexec_b64 s[4:5], vcc
	s_xor_b64 s[4:5], exec, s[4:5]
; %bb.309:
	v_bfi_b32 v5, s7, v8, v5
	v_mov_b32_e32 v3, v4
; %bb.310:
	s_andn2_saveexec_b64 s[4:5], s[4:5]
; %bb.311:
	v_bfi_b32 v5, s7, v4, v5
; %bb.312:
	s_or_b64 exec, exec, s[4:5]
.LBB170_313:
	s_or_b64 exec, exec, s[2:3]
.LBB170_314:
	s_andn2_saveexec_b64 s[2:3], s[16:17]
	s_cbranch_execz .LBB170_316
; %bb.315:
	v_sub_f32_e32 v3, v5, v5
	v_div_scale_f32 v5, vcc, v3, v3, v3
	v_rcp_f32_e32 v8, v5
	s_nop 0
	v_fma_f32 v9, -v5, v8, 1.0
	v_fmac_f32_e32 v8, v9, v8
	v_mul_f32_e32 v9, v5, v8
	v_fma_f32 v14, -v5, v9, v5
	v_fmac_f32_e32 v9, v14, v8
	v_fma_f32 v5, -v5, v9, v5
	v_div_fmas_f32 v5, v5, v8, v9
	v_div_fixup_f32 v5, v5, v3, v3
	v_mov_b32_e32 v3, v4
.LBB170_316:
	s_or_b64 exec, exec, s[2:3]
.LBB170_317:
	s_or_b64 exec, exec, s[14:15]
.LBB170_318:
	s_or_b64 exec, exec, s[12:13]
	v_cmp_gt_f32_e32 vcc, 0, v5
                                        ; implicit-def: $vgpr8_vgpr9
	s_nop 1
	v_cndmask_b32_e64 v14, v5, -v5, vcc
	v_cmp_gt_f32_e32 vcc, 0, v3
	s_nop 1
	v_cndmask_b32_e64 v4, v3, -v3, vcc
	v_cmp_ge_f32_e32 vcc, v4, v14
	s_and_saveexec_b64 s[2:3], vcc
	s_xor_b64 s[4:5], exec, s[2:3]
	s_cbranch_execz .LBB170_324
; %bb.319:
	v_cmp_neq_f32_e32 vcc, 0, v3
	v_cmp_neq_f32_e64 s[2:3], 0, v5
	s_or_b64 s[2:3], vcc, s[2:3]
                                        ; implicit-def: $vgpr8_vgpr9
	s_and_saveexec_b64 s[12:13], s[2:3]
	s_xor_b64 s[2:3], exec, s[12:13]
	s_cbranch_execz .LBB170_321
; %bb.320:
	v_div_scale_f32 v4, s[12:13], v3, v3, v5
	v_rcp_f32_e32 v8, v4
	v_div_scale_f32 v9, vcc, v5, v3, v5
	v_fma_f32 v14, -v4, v8, 1.0
	v_fmac_f32_e32 v8, v14, v8
	v_mul_f32_e32 v14, v9, v8
	v_fma_f32 v15, -v4, v14, v9
	v_fmac_f32_e32 v14, v15, v8
	v_fma_f32 v4, -v4, v14, v9
	v_div_fmas_f32 v4, v4, v8, v14
	v_div_fixup_f32 v9, v4, v3, v5
	v_fmac_f32_e32 v3, v5, v9
	v_div_scale_f32 v4, s[12:13], v3, v3, 1.0
	v_rcp_f32_e32 v5, v4
	s_nop 0
	v_fma_f32 v8, -v4, v5, 1.0
	v_fmac_f32_e32 v5, v8, v5
	v_div_scale_f32 v8, vcc, 1.0, v3, 1.0
	v_mul_f32_e32 v14, v8, v5
	v_fma_f32 v15, -v4, v14, v8
	v_fmac_f32_e32 v14, v15, v5
	v_fma_f32 v4, -v4, v14, v8
	v_div_fmas_f32 v4, v4, v5, v14
	v_div_fixup_f32 v4, v4, v3, 1.0
	v_mul_f32_e32 v3, 0, v9
	v_add_f32_e32 v8, 1.0, v3
	v_sub_f32_e32 v9, 0, v9
	v_pk_mul_f32 v[8:9], v[8:9], v[4:5] op_sel_hi:[1,0]
                                        ; implicit-def: $vgpr14
                                        ; implicit-def: $vgpr4
.LBB170_321:
	s_andn2_saveexec_b64 s[2:3], s[2:3]
	s_cbranch_execz .LBB170_323
; %bb.322:
	v_div_scale_f32 v3, s[12:13], v14, v14, 0
	v_rcp_f32_e32 v5, v3
	v_div_scale_f32 v8, vcc, 0, v14, 0
	v_fma_f32 v9, -v3, v5, 1.0
	v_fmac_f32_e32 v5, v9, v5
	v_mul_f32_e32 v9, v8, v5
	v_fma_f32 v15, -v3, v9, v8
	v_fmac_f32_e32 v9, v15, v5
	v_fma_f32 v3, -v3, v9, v8
	v_div_scale_f32 v8, s[12:13], v4, v4, 1.0
	v_rcp_f32_e32 v15, v8
	v_div_fmas_f32 v3, v3, v5, v9
	v_div_fixup_f32 v9, v3, v14, 0
	v_fma_f32 v3, -v8, v15, 1.0
	v_fmac_f32_e32 v15, v3, v15
	v_div_scale_f32 v3, vcc, 1.0, v4, 1.0
	v_mul_f32_e32 v5, v3, v15
	v_fma_f32 v14, -v8, v5, v3
	v_fmac_f32_e32 v5, v14, v15
	v_fma_f32 v3, -v8, v5, v3
	v_div_fmas_f32 v3, v3, v15, v5
	v_div_fixup_f32 v8, v3, v4, 1.0
.LBB170_323:
	s_or_b64 exec, exec, s[2:3]
                                        ; implicit-def: $vgpr5
                                        ; implicit-def: $vgpr3
.LBB170_324:
	s_andn2_saveexec_b64 s[2:3], s[4:5]
	s_cbranch_execz .LBB170_326
; %bb.325:
	v_div_scale_f32 v4, s[4:5], v5, v5, v3
	v_rcp_f32_e32 v8, v4
	v_div_scale_f32 v9, vcc, v3, v5, v3
	v_fma_f32 v14, -v4, v8, 1.0
	v_fmac_f32_e32 v8, v14, v8
	v_mul_f32_e32 v14, v9, v8
	v_fma_f32 v15, -v4, v14, v9
	v_fmac_f32_e32 v14, v15, v8
	v_fma_f32 v4, -v4, v14, v9
	v_div_fmas_f32 v4, v4, v8, v14
	v_div_fixup_f32 v4, v4, v5, v3
	v_fmac_f32_e32 v5, v3, v4
	v_div_scale_f32 v3, s[4:5], v5, v5, 1.0
	v_rcp_f32_e32 v8, v3
	s_mov_b32 s4, 0
	s_mov_b32 s5, -1.0
	v_fma_f32 v9, -v3, v8, 1.0
	v_fmac_f32_e32 v8, v9, v8
	v_div_scale_f32 v9, vcc, 1.0, v5, 1.0
	v_mul_f32_e32 v14, v9, v8
	v_fma_f32 v15, -v3, v14, v9
	v_fmac_f32_e32 v14, v15, v8
	v_fma_f32 v3, -v3, v14, v9
	v_div_fmas_f32 v3, v3, v8, v14
	v_div_fixup_f32 v8, v3, v5, 1.0
	v_mul_f32_e32 v5, 0, v4
	v_pk_add_f32 v[4:5], v[4:5], s[4:5]
	s_nop 0
	v_pk_mul_f32 v[8:9], v[4:5], v[8:9] op_sel_hi:[1,0]
.LBB170_326:
	s_or_b64 exec, exec, s[2:3]
	s_or_b64 exec, exec, s[10:11]
	s_and_saveexec_b64 s[2:3], s[0:1]
	s_xor_b64 s[0:1], exec, s[2:3]
	s_cbranch_execnz .LBB170_297
.LBB170_327:
	s_or_b64 exec, exec, s[0:1]
	v_cmp_gt_i32_e32 vcc, s24, v0
	s_and_saveexec_b64 s[0:1], vcc
	s_cbranch_execz .LBB170_298
.LBB170_328:
	v_add_u32_e32 v2, 0x100, v0
	v_add_u32_e32 v0, s6, v0
	v_mov_b32_e32 v1, 0
	v_lshl_add_u64 v[0:1], v[0:1], 3, s[8:9]
	global_store_dwordx2 v[0:1], v[10:11], off
	v_mov_b32_e32 v0, v2
	s_or_b64 exec, exec, s[0:1]
	v_cmp_gt_i32_e32 vcc, s24, v0
	s_and_saveexec_b64 s[0:1], vcc
	s_cbranch_execnz .LBB170_299
.LBB170_329:
	s_or_b64 exec, exec, s[0:1]
	v_cmp_gt_i32_e32 vcc, s24, v0
	s_and_saveexec_b64 s[0:1], vcc
	s_cbranch_execz .LBB170_331
.LBB170_330:
	v_add_u32_e32 v0, s6, v0
	v_mov_b32_e32 v1, 0
	v_lshl_add_u64 v[0:1], v[0:1], 3, s[8:9]
	global_store_dwordx2 v[0:1], v[8:9], off
.LBB170_331:
	s_endpgm
	.section	.rodata,"a",@progbits
	.p2align	6, 0x0
	.amdhsa_kernel _ZN2at6native29vectorized_elementwise_kernelILi16EZZZNS0_17rsqrt_kernel_cudaERNS_18TensorIteratorBaseEENKUlvE_clEvENKUlvE0_clEvEUlN3c107complexIfEEE_St5arrayIPcLm2EEEEviT0_T1_
		.amdhsa_group_segment_fixed_size 0
		.amdhsa_private_segment_fixed_size 0
		.amdhsa_kernarg_size 24
		.amdhsa_user_sgpr_count 2
		.amdhsa_user_sgpr_dispatch_ptr 0
		.amdhsa_user_sgpr_queue_ptr 0
		.amdhsa_user_sgpr_kernarg_segment_ptr 1
		.amdhsa_user_sgpr_dispatch_id 0
		.amdhsa_user_sgpr_kernarg_preload_length 0
		.amdhsa_user_sgpr_kernarg_preload_offset 0
		.amdhsa_user_sgpr_private_segment_size 0
		.amdhsa_uses_dynamic_stack 0
		.amdhsa_enable_private_segment 0
		.amdhsa_system_sgpr_workgroup_id_x 1
		.amdhsa_system_sgpr_workgroup_id_y 0
		.amdhsa_system_sgpr_workgroup_id_z 0
		.amdhsa_system_sgpr_workgroup_info 0
		.amdhsa_system_vgpr_workitem_id 0
		.amdhsa_next_free_vgpr 18
		.amdhsa_next_free_sgpr 28
		.amdhsa_accum_offset 20
		.amdhsa_reserve_vcc 1
		.amdhsa_float_round_mode_32 0
		.amdhsa_float_round_mode_16_64 0
		.amdhsa_float_denorm_mode_32 3
		.amdhsa_float_denorm_mode_16_64 3
		.amdhsa_dx10_clamp 1
		.amdhsa_ieee_mode 1
		.amdhsa_fp16_overflow 0
		.amdhsa_tg_split 0
		.amdhsa_exception_fp_ieee_invalid_op 0
		.amdhsa_exception_fp_denorm_src 0
		.amdhsa_exception_fp_ieee_div_zero 0
		.amdhsa_exception_fp_ieee_overflow 0
		.amdhsa_exception_fp_ieee_underflow 0
		.amdhsa_exception_fp_ieee_inexact 0
		.amdhsa_exception_int_div_zero 0
	.end_amdhsa_kernel
	.section	.text._ZN2at6native29vectorized_elementwise_kernelILi16EZZZNS0_17rsqrt_kernel_cudaERNS_18TensorIteratorBaseEENKUlvE_clEvENKUlvE0_clEvEUlN3c107complexIfEEE_St5arrayIPcLm2EEEEviT0_T1_,"axG",@progbits,_ZN2at6native29vectorized_elementwise_kernelILi16EZZZNS0_17rsqrt_kernel_cudaERNS_18TensorIteratorBaseEENKUlvE_clEvENKUlvE0_clEvEUlN3c107complexIfEEE_St5arrayIPcLm2EEEEviT0_T1_,comdat
.Lfunc_end170:
	.size	_ZN2at6native29vectorized_elementwise_kernelILi16EZZZNS0_17rsqrt_kernel_cudaERNS_18TensorIteratorBaseEENKUlvE_clEvENKUlvE0_clEvEUlN3c107complexIfEEE_St5arrayIPcLm2EEEEviT0_T1_, .Lfunc_end170-_ZN2at6native29vectorized_elementwise_kernelILi16EZZZNS0_17rsqrt_kernel_cudaERNS_18TensorIteratorBaseEENKUlvE_clEvENKUlvE0_clEvEUlN3c107complexIfEEE_St5arrayIPcLm2EEEEviT0_T1_
                                        ; -- End function
	.set _ZN2at6native29vectorized_elementwise_kernelILi16EZZZNS0_17rsqrt_kernel_cudaERNS_18TensorIteratorBaseEENKUlvE_clEvENKUlvE0_clEvEUlN3c107complexIfEEE_St5arrayIPcLm2EEEEviT0_T1_.num_vgpr, 18
	.set _ZN2at6native29vectorized_elementwise_kernelILi16EZZZNS0_17rsqrt_kernel_cudaERNS_18TensorIteratorBaseEENKUlvE_clEvENKUlvE0_clEvEUlN3c107complexIfEEE_St5arrayIPcLm2EEEEviT0_T1_.num_agpr, 0
	.set _ZN2at6native29vectorized_elementwise_kernelILi16EZZZNS0_17rsqrt_kernel_cudaERNS_18TensorIteratorBaseEENKUlvE_clEvENKUlvE0_clEvEUlN3c107complexIfEEE_St5arrayIPcLm2EEEEviT0_T1_.numbered_sgpr, 28
	.set _ZN2at6native29vectorized_elementwise_kernelILi16EZZZNS0_17rsqrt_kernel_cudaERNS_18TensorIteratorBaseEENKUlvE_clEvENKUlvE0_clEvEUlN3c107complexIfEEE_St5arrayIPcLm2EEEEviT0_T1_.num_named_barrier, 0
	.set _ZN2at6native29vectorized_elementwise_kernelILi16EZZZNS0_17rsqrt_kernel_cudaERNS_18TensorIteratorBaseEENKUlvE_clEvENKUlvE0_clEvEUlN3c107complexIfEEE_St5arrayIPcLm2EEEEviT0_T1_.private_seg_size, 0
	.set _ZN2at6native29vectorized_elementwise_kernelILi16EZZZNS0_17rsqrt_kernel_cudaERNS_18TensorIteratorBaseEENKUlvE_clEvENKUlvE0_clEvEUlN3c107complexIfEEE_St5arrayIPcLm2EEEEviT0_T1_.uses_vcc, 1
	.set _ZN2at6native29vectorized_elementwise_kernelILi16EZZZNS0_17rsqrt_kernel_cudaERNS_18TensorIteratorBaseEENKUlvE_clEvENKUlvE0_clEvEUlN3c107complexIfEEE_St5arrayIPcLm2EEEEviT0_T1_.uses_flat_scratch, 0
	.set _ZN2at6native29vectorized_elementwise_kernelILi16EZZZNS0_17rsqrt_kernel_cudaERNS_18TensorIteratorBaseEENKUlvE_clEvENKUlvE0_clEvEUlN3c107complexIfEEE_St5arrayIPcLm2EEEEviT0_T1_.has_dyn_sized_stack, 0
	.set _ZN2at6native29vectorized_elementwise_kernelILi16EZZZNS0_17rsqrt_kernel_cudaERNS_18TensorIteratorBaseEENKUlvE_clEvENKUlvE0_clEvEUlN3c107complexIfEEE_St5arrayIPcLm2EEEEviT0_T1_.has_recursion, 0
	.set _ZN2at6native29vectorized_elementwise_kernelILi16EZZZNS0_17rsqrt_kernel_cudaERNS_18TensorIteratorBaseEENKUlvE_clEvENKUlvE0_clEvEUlN3c107complexIfEEE_St5arrayIPcLm2EEEEviT0_T1_.has_indirect_call, 0
	.section	.AMDGPU.csdata,"",@progbits
; Kernel info:
; codeLenInByte = 14068
; TotalNumSgprs: 34
; NumVgprs: 18
; NumAgprs: 0
; TotalNumVgprs: 18
; ScratchSize: 0
; MemoryBound: 0
; FloatMode: 240
; IeeeMode: 1
; LDSByteSize: 0 bytes/workgroup (compile time only)
; SGPRBlocks: 4
; VGPRBlocks: 2
; NumSGPRsForWavesPerEU: 34
; NumVGPRsForWavesPerEU: 18
; AccumOffset: 20
; Occupancy: 8
; WaveLimiterHint : 0
; COMPUTE_PGM_RSRC2:SCRATCH_EN: 0
; COMPUTE_PGM_RSRC2:USER_SGPR: 2
; COMPUTE_PGM_RSRC2:TRAP_HANDLER: 0
; COMPUTE_PGM_RSRC2:TGID_X_EN: 1
; COMPUTE_PGM_RSRC2:TGID_Y_EN: 0
; COMPUTE_PGM_RSRC2:TGID_Z_EN: 0
; COMPUTE_PGM_RSRC2:TIDIG_COMP_CNT: 0
; COMPUTE_PGM_RSRC3_GFX90A:ACCUM_OFFSET: 4
; COMPUTE_PGM_RSRC3_GFX90A:TG_SPLIT: 0
	.section	.text._ZN2at6native29vectorized_elementwise_kernelILi8EZZZNS0_17rsqrt_kernel_cudaERNS_18TensorIteratorBaseEENKUlvE_clEvENKUlvE0_clEvEUlN3c107complexIfEEE_St5arrayIPcLm2EEEEviT0_T1_,"axG",@progbits,_ZN2at6native29vectorized_elementwise_kernelILi8EZZZNS0_17rsqrt_kernel_cudaERNS_18TensorIteratorBaseEENKUlvE_clEvENKUlvE0_clEvEUlN3c107complexIfEEE_St5arrayIPcLm2EEEEviT0_T1_,comdat
	.globl	_ZN2at6native29vectorized_elementwise_kernelILi8EZZZNS0_17rsqrt_kernel_cudaERNS_18TensorIteratorBaseEENKUlvE_clEvENKUlvE0_clEvEUlN3c107complexIfEEE_St5arrayIPcLm2EEEEviT0_T1_ ; -- Begin function _ZN2at6native29vectorized_elementwise_kernelILi8EZZZNS0_17rsqrt_kernel_cudaERNS_18TensorIteratorBaseEENKUlvE_clEvENKUlvE0_clEvEUlN3c107complexIfEEE_St5arrayIPcLm2EEEEviT0_T1_
	.p2align	8
	.type	_ZN2at6native29vectorized_elementwise_kernelILi8EZZZNS0_17rsqrt_kernel_cudaERNS_18TensorIteratorBaseEENKUlvE_clEvENKUlvE0_clEvEUlN3c107complexIfEEE_St5arrayIPcLm2EEEEviT0_T1_,@function
_ZN2at6native29vectorized_elementwise_kernelILi8EZZZNS0_17rsqrt_kernel_cudaERNS_18TensorIteratorBaseEENKUlvE_clEvENKUlvE0_clEvEUlN3c107complexIfEEE_St5arrayIPcLm2EEEEviT0_T1_: ; @_ZN2at6native29vectorized_elementwise_kernelILi8EZZZNS0_17rsqrt_kernel_cudaERNS_18TensorIteratorBaseEENKUlvE_clEvENKUlvE0_clEvEUlN3c107complexIfEEE_St5arrayIPcLm2EEEEviT0_T1_
; %bb.0:
	s_load_dword s3, s[0:1], 0x0
	s_load_dwordx4 s[8:11], s[0:1], 0x8
	s_lshl_b32 s6, s2, 10
	s_mov_b64 s[0:1], -1
	s_waitcnt lgkmcnt(0)
	s_sub_i32 s24, s3, s6
	s_cmpk_gt_i32 s24, 0x3ff
	s_cbranch_scc0 .LBB171_154
; %bb.1:
	s_ashr_i32 s7, s6, 31
	s_lshl_b64 s[4:5], s[6:7], 3
	s_add_u32 s0, s10, s4
	s_addc_u32 s1, s11, s5
	v_lshlrev_b32_e32 v1, 5, v0
	global_load_dwordx4 v[8:11], v1, s[0:1]
	global_load_dwordx4 v[2:5], v1, s[0:1] offset:16
	v_mov_b32_e32 v12, 0
	s_waitcnt vmcnt(1)
	v_cmp_neq_f32_e32 vcc, 0, v8
	v_cmp_neq_f32_e64 s[0:1], 0, v9
	s_or_b64 s[0:1], vcc, s[0:1]
	v_mov_b32_e32 v13, v9
	s_and_saveexec_b64 s[12:13], s[0:1]
	s_cbranch_execz .LBB171_31
; %bb.2:
	v_mov_b32_e32 v12, 0x7f800000
	v_cmp_neq_f32_e64 s[0:1], |v9|, v12
	v_mov_b32_e32 v13, v9
	s_and_saveexec_b64 s[14:15], s[0:1]
	s_cbranch_execz .LBB171_30
; %bb.3:
	v_cmp_o_f32_e32 vcc, v8, v8
                                        ; implicit-def: $vgpr13
	s_and_saveexec_b64 s[0:1], vcc
	s_xor_b64 s[16:17], exec, s[0:1]
	s_cbranch_execz .LBB171_27
; %bb.4:
	s_mov_b32 s0, 0x7f800000
	v_cmp_neq_f32_e64 s[0:1], |v8|, s0
                                        ; implicit-def: $vgpr13
	s_and_saveexec_b64 s[2:3], s[0:1]
	s_xor_b64 s[18:19], exec, s[2:3]
	s_cbranch_execz .LBB171_20
; %bb.5:
	v_max_f32_e64 v6, |v9|, |v9|
	v_max_f32_e64 v7, |v8|, |v8|
	v_max_f32_e32 v6, v7, v6
	s_mov_b32 s0, 0x7ed413cb
	v_cmp_nle_f32_e64 s[0:1], s0, v6
                                        ; implicit-def: $sgpr20_sgpr21
                                        ; implicit-def: $vgpr7
	s_and_saveexec_b64 s[2:3], s[0:1]
	s_xor_b64 s[2:3], exec, s[2:3]
	s_cbranch_execz .LBB171_9
; %bb.6:
	s_mov_b32 s7, 0x1000000
	v_cmp_le_f32_e64 s[20:21], |v8|, s7
	v_cmp_le_f32_e64 s[22:23], |v9|, s7
	s_and_b64 s[26:27], s[20:21], s[22:23]
	s_mov_b64 s[20:21], 0
	v_mov_b32_e32 v7, v8
	v_mov_b32_e32 v6, v9
	s_and_saveexec_b64 s[22:23], s[26:27]
; %bb.7:
	v_mov_b32_e32 v6, v9
	v_mov_b32_e32 v7, v8
	s_mov_b64 s[20:21], exec
	v_pk_mul_f32 v[6:7], v[6:7], 4.0 op_sel_hi:[1,0]
; %bb.8:
	s_or_b64 exec, exec, s[22:23]
.LBB171_9:
	s_andn2_saveexec_b64 s[2:3], s[2:3]
; %bb.10:
	v_mov_b32_e32 v6, v9
	v_mov_b32_e32 v7, v8
	s_mov_b32 s22, 0x3e800000
	v_pk_mul_f32 v[6:7], v[6:7], s[22:23] op_sel_hi:[1,0]
	s_andn2_b64 s[20:21], s[20:21], exec
; %bb.11:
	s_or_b64 exec, exec, s[2:3]
	v_max_f32_e64 v12, |v6|, |v6|
	v_max_f32_e64 v13, |v7|, |v7|
	v_max_f32_e32 v14, v13, v12
	v_cvt_f64_f32_e32 v[12:13], v14
	v_frexp_exp_i32_f64_e32 v12, v[12:13]
	v_sub_u32_e32 v13, 0, v12
	v_ldexp_f32 v15, |v7|, v13
	v_ldexp_f32 v13, |v6|, v13
	v_mul_f32_e32 v13, v13, v13
	v_fmac_f32_e32 v13, v15, v15
	v_sqrt_f32_e32 v13, v13
	s_mov_b32 s2, 0x7f800000
	v_cmp_neq_f32_e64 s[2:3], s2, v14
	v_cmp_le_f32_e32 vcc, 0, v7
	v_ldexp_f32 v12, v13, v12
	v_mov_b32_e32 v13, 0x7f800000
	v_cndmask_b32_e64 v12, v13, v12, s[2:3]
                                        ; implicit-def: $vgpr14_vgpr15
	s_and_saveexec_b64 s[2:3], vcc
	s_xor_b64 s[22:23], exec, s[2:3]
	s_cbranch_execz .LBB171_13
; %bb.12:
	v_add_f32_e32 v7, v7, v12
	v_mul_f32_e32 v7, 0.5, v7
	s_mov_b32 s2, 0xf800000
	v_mul_f32_e32 v12, 0x4f800000, v7
	v_cmp_gt_f32_e32 vcc, s2, v7
	s_nop 1
	v_cndmask_b32_e32 v7, v7, v12, vcc
	v_sqrt_f32_e32 v12, v7
	s_nop 0
	v_add_u32_e32 v13, -1, v12
	v_fma_f32 v14, -v13, v12, v7
	v_cmp_ge_f32_e64 s[2:3], 0, v14
	v_add_u32_e32 v14, 1, v12
	s_nop 0
	v_cndmask_b32_e64 v13, v12, v13, s[2:3]
	v_fma_f32 v12, -v14, v12, v7
	v_cmp_lt_f32_e64 s[2:3], 0, v12
	s_nop 1
	v_cndmask_b32_e64 v12, v13, v14, s[2:3]
	v_mul_f32_e32 v13, 0x37800000, v12
	v_cndmask_b32_e32 v12, v12, v13, vcc
	v_mov_b32_e32 v13, 0x260
	v_cmp_class_f32_e32 vcc, v7, v13
	s_nop 1
	v_cndmask_b32_e32 v14, v12, v7, vcc
	v_add_f32_e32 v7, v14, v14
	v_div_scale_f32 v12, s[2:3], v7, v7, v6
	v_rcp_f32_e32 v13, v12
	s_nop 0
	v_fma_f32 v15, -v12, v13, 1.0
	v_fmac_f32_e32 v13, v15, v13
	v_div_scale_f32 v15, vcc, v6, v7, v6
	v_mul_f32_e32 v16, v15, v13
	v_fma_f32 v17, -v12, v16, v15
	v_fmac_f32_e32 v16, v17, v13
	v_fma_f32 v12, -v12, v16, v15
	v_div_fmas_f32 v12, v12, v13, v16
	v_div_fixup_f32 v15, v12, v7, v6
                                        ; implicit-def: $vgpr12
                                        ; implicit-def: $vgpr7
	s_andn2_saveexec_b64 s[22:23], s[22:23]
	s_cbranch_execz .LBB171_15
	s_branch .LBB171_14
.LBB171_13:
	s_andn2_saveexec_b64 s[22:23], s[22:23]
	s_cbranch_execz .LBB171_15
.LBB171_14:
	v_sub_f32_e32 v7, v12, v7
	v_mul_f32_e32 v7, 0.5, v7
	s_mov_b32 s2, 0xf800000
	v_mul_f32_e32 v12, 0x4f800000, v7
	v_cmp_gt_f32_e32 vcc, s2, v7
	s_nop 1
	v_cndmask_b32_e32 v7, v7, v12, vcc
	v_sqrt_f32_e32 v12, v7
	s_nop 0
	v_add_u32_e32 v13, -1, v12
	v_fma_f32 v14, -v13, v12, v7
	v_cmp_ge_f32_e64 s[2:3], 0, v14
	v_add_u32_e32 v14, 1, v12
	s_nop 0
	v_cndmask_b32_e64 v13, v12, v13, s[2:3]
	v_fma_f32 v12, -v14, v12, v7
	v_cmp_lt_f32_e64 s[2:3], 0, v12
	s_nop 1
	v_cndmask_b32_e64 v12, v13, v14, s[2:3]
	v_mul_f32_e32 v13, 0x37800000, v12
	v_cndmask_b32_e32 v12, v12, v13, vcc
	v_mov_b32_e32 v13, 0x260
	v_cmp_class_f32_e32 vcc, v7, v13
	v_and_b32_e32 v13, 0x7fffffff, v6
	s_nop 0
	v_cndmask_b32_e32 v7, v12, v7, vcc
	v_add_f32_e32 v12, v7, v7
	v_div_scale_f32 v14, s[2:3], v12, v12, v13
	v_rcp_f32_e32 v15, v14
	v_div_scale_f32 v13, vcc, v13, v12, v13
	s_brev_b32 s2, -2
	v_fma_f32 v16, -v14, v15, 1.0
	v_fmac_f32_e32 v15, v16, v15
	v_mul_f32_e32 v16, v13, v15
	v_fma_f32 v17, -v14, v16, v13
	v_fmac_f32_e32 v16, v17, v15
	v_fma_f32 v13, -v14, v16, v13
	v_div_fmas_f32 v13, v13, v15, v16
	v_div_fixup_f32 v14, v13, v12, |v6|
	v_bfi_b32 v15, s2, v7, v6
.LBB171_15:
	s_or_b64 exec, exec, s[22:23]
                                        ; implicit-def: $vgpr13
	s_and_saveexec_b64 s[2:3], s[0:1]
	s_xor_b64 s[0:1], exec, s[2:3]
	s_cbranch_execz .LBB171_17
; %bb.16:
	v_pk_mul_f32 v[6:7], v[14:15], 0.5 op_sel_hi:[1,0]
	s_nop 0
	v_cndmask_b32_e64 v12, v14, v6, s[20:21]
	v_cndmask_b32_e64 v13, v15, v7, s[20:21]
                                        ; implicit-def: $vgpr14_vgpr15
	s_andn2_saveexec_b64 s[0:1], s[0:1]
	s_cbranch_execnz .LBB171_18
	s_branch .LBB171_19
.LBB171_17:
	s_andn2_saveexec_b64 s[0:1], s[0:1]
.LBB171_18:
	v_pk_add_f32 v[12:13], v[14:15], v[14:15]
.LBB171_19:
	s_or_b64 exec, exec, s[0:1]
.LBB171_20:
	s_andn2_saveexec_b64 s[0:1], s[18:19]
	s_cbranch_execz .LBB171_26
; %bb.21:
	v_sub_f32_e32 v6, v9, v9
	v_cmp_lt_i32_e32 vcc, -1, v8
	s_brev_b32 s7, -2
	v_and_b32_e32 v12, 0x7fffffff, v6
	s_and_saveexec_b64 s[2:3], vcc
	s_xor_b64 s[2:3], exec, s[2:3]
; %bb.22:
	v_bfi_b32 v13, s7, v6, v9
	v_mov_b32_e32 v12, v8
; %bb.23:
	s_andn2_saveexec_b64 s[2:3], s[2:3]
; %bb.24:
	v_bfi_b32 v13, s7, v8, v9
; %bb.25:
	s_or_b64 exec, exec, s[2:3]
.LBB171_26:
	s_or_b64 exec, exec, s[0:1]
.LBB171_27:
	s_andn2_saveexec_b64 s[0:1], s[16:17]
	s_cbranch_execz .LBB171_29
; %bb.28:
	v_sub_f32_e32 v6, v9, v9
	v_div_scale_f32 v7, vcc, v6, v6, v6
	v_rcp_f32_e32 v9, v7
	s_nop 0
	v_fma_f32 v12, -v7, v9, 1.0
	v_fmac_f32_e32 v9, v12, v9
	v_mul_f32_e32 v12, v7, v9
	v_fma_f32 v13, -v7, v12, v7
	v_fmac_f32_e32 v12, v13, v9
	v_fma_f32 v7, -v7, v12, v7
	v_div_fmas_f32 v7, v7, v9, v12
	v_div_fixup_f32 v13, v7, v6, v6
	v_mov_b32_e32 v12, v8
.LBB171_29:
	s_or_b64 exec, exec, s[0:1]
.LBB171_30:
	s_or_b64 exec, exec, s[14:15]
.LBB171_31:
	s_or_b64 exec, exec, s[12:13]
	v_cmp_gt_f32_e32 vcc, 0, v13
                                        ; implicit-def: $vgpr6_vgpr7
	s_nop 1
	v_cndmask_b32_e64 v9, v13, -v13, vcc
	v_cmp_gt_f32_e32 vcc, 0, v12
	s_nop 1
	v_cndmask_b32_e64 v8, v12, -v12, vcc
	v_cmp_ge_f32_e32 vcc, v8, v9
	s_and_saveexec_b64 s[0:1], vcc
	s_xor_b64 s[2:3], exec, s[0:1]
	s_cbranch_execz .LBB171_37
; %bb.32:
	v_cmp_neq_f32_e32 vcc, 0, v12
	v_cmp_neq_f32_e64 s[0:1], 0, v13
	s_or_b64 s[0:1], vcc, s[0:1]
                                        ; implicit-def: $vgpr6_vgpr7
	s_and_saveexec_b64 s[12:13], s[0:1]
	s_xor_b64 s[0:1], exec, s[12:13]
	s_cbranch_execz .LBB171_34
; %bb.33:
	v_div_scale_f32 v6, s[12:13], v12, v12, v13
	v_rcp_f32_e32 v7, v6
	v_div_scale_f32 v8, vcc, v13, v12, v13
	v_fma_f32 v9, -v6, v7, 1.0
	v_fmac_f32_e32 v7, v9, v7
	v_mul_f32_e32 v9, v8, v7
	v_fma_f32 v14, -v6, v9, v8
	v_fmac_f32_e32 v9, v14, v7
	v_fma_f32 v6, -v6, v9, v8
	v_div_fmas_f32 v6, v6, v7, v9
	v_div_fixup_f32 v7, v6, v12, v13
	v_fmac_f32_e32 v12, v13, v7
	v_div_scale_f32 v6, s[12:13], v12, v12, 1.0
	v_rcp_f32_e32 v8, v6
	s_nop 0
	v_fma_f32 v9, -v6, v8, 1.0
	v_fmac_f32_e32 v8, v9, v8
	v_div_scale_f32 v9, vcc, 1.0, v12, 1.0
	v_mul_f32_e32 v13, v9, v8
	v_fma_f32 v14, -v6, v13, v9
	v_fmac_f32_e32 v13, v14, v8
	v_fma_f32 v6, -v6, v13, v9
	v_div_fmas_f32 v6, v6, v8, v13
	v_mul_f32_e32 v8, 0, v7
	v_div_fixup_f32 v6, v6, v12, 1.0
	v_add_f32_e32 v8, 1.0, v8
	v_sub_f32_e32 v9, 0, v7
	v_pk_mul_f32 v[6:7], v[8:9], v[6:7] op_sel_hi:[1,0]
                                        ; implicit-def: $vgpr9
                                        ; implicit-def: $vgpr8
.LBB171_34:
	s_andn2_saveexec_b64 s[0:1], s[0:1]
	s_cbranch_execz .LBB171_36
; %bb.35:
	v_div_scale_f32 v6, s[12:13], v9, v9, 0
	v_rcp_f32_e32 v7, v6
	v_div_scale_f32 v12, vcc, 0, v9, 0
	v_fma_f32 v13, -v6, v7, 1.0
	v_fmac_f32_e32 v7, v13, v7
	v_mul_f32_e32 v13, v12, v7
	v_fma_f32 v14, -v6, v13, v12
	v_fmac_f32_e32 v13, v14, v7
	v_fma_f32 v6, -v6, v13, v12
	v_div_scale_f32 v12, s[12:13], v8, v8, 1.0
	v_rcp_f32_e32 v14, v12
	v_div_fmas_f32 v6, v6, v7, v13
	v_div_fixup_f32 v7, v6, v9, 0
	v_fma_f32 v6, -v12, v14, 1.0
	v_fmac_f32_e32 v14, v6, v14
	v_div_scale_f32 v6, vcc, 1.0, v8, 1.0
	v_mul_f32_e32 v9, v6, v14
	v_fma_f32 v13, -v12, v9, v6
	v_fmac_f32_e32 v9, v13, v14
	v_fma_f32 v6, -v12, v9, v6
	v_div_fmas_f32 v6, v6, v14, v9
	v_div_fixup_f32 v6, v6, v8, 1.0
.LBB171_36:
	s_or_b64 exec, exec, s[0:1]
                                        ; implicit-def: $vgpr13
.LBB171_37:
	s_andn2_saveexec_b64 s[0:1], s[2:3]
	s_cbranch_execz .LBB171_39
; %bb.38:
	v_div_scale_f32 v6, s[2:3], v13, v13, v12
	v_rcp_f32_e32 v7, v6
	v_div_scale_f32 v8, vcc, v12, v13, v12
	v_fma_f32 v9, -v6, v7, 1.0
	v_fmac_f32_e32 v7, v9, v7
	v_mul_f32_e32 v9, v8, v7
	v_fma_f32 v14, -v6, v9, v8
	v_fmac_f32_e32 v9, v14, v7
	v_fma_f32 v6, -v6, v9, v8
	v_div_fmas_f32 v6, v6, v7, v9
	v_div_fixup_f32 v6, v6, v13, v12
	v_fmac_f32_e32 v13, v12, v6
	v_div_scale_f32 v7, s[2:3], v13, v13, 1.0
	v_rcp_f32_e32 v8, v7
	s_mov_b32 s2, 0
	s_mov_b32 s3, -1.0
	v_fma_f32 v9, -v7, v8, 1.0
	v_fmac_f32_e32 v8, v9, v8
	v_div_scale_f32 v9, vcc, 1.0, v13, 1.0
	v_mul_f32_e32 v12, v9, v8
	v_fma_f32 v14, -v7, v12, v9
	v_fmac_f32_e32 v12, v14, v8
	v_fma_f32 v7, -v7, v12, v9
	v_div_fmas_f32 v7, v7, v8, v12
	v_div_fixup_f32 v8, v7, v13, 1.0
	v_mul_f32_e32 v7, 0, v6
	v_pk_add_f32 v[6:7], v[6:7], s[2:3]
	s_nop 0
	v_pk_mul_f32 v[6:7], v[6:7], v[8:9] op_sel_hi:[1,0]
.LBB171_39:
	s_or_b64 exec, exec, s[0:1]
	v_cmp_neq_f32_e32 vcc, 0, v10
	v_cmp_neq_f32_e64 s[0:1], 0, v11
	v_mov_b32_e32 v12, 0
	s_or_b64 s[0:1], vcc, s[0:1]
	s_and_saveexec_b64 s[12:13], s[0:1]
	s_cbranch_execz .LBB171_69
; %bb.40:
	v_mov_b32_e32 v12, 0x7f800000
	v_cmp_neq_f32_e64 s[0:1], |v11|, v12
	s_and_saveexec_b64 s[14:15], s[0:1]
	s_cbranch_execz .LBB171_68
; %bb.41:
	v_cmp_o_f32_e32 vcc, v10, v10
                                        ; implicit-def: $vgpr12
	s_and_saveexec_b64 s[0:1], vcc
	s_xor_b64 s[16:17], exec, s[0:1]
	s_cbranch_execz .LBB171_65
; %bb.42:
	s_mov_b32 s0, 0x7f800000
	v_cmp_neq_f32_e64 s[0:1], |v10|, s0
                                        ; implicit-def: $vgpr12
	s_and_saveexec_b64 s[2:3], s[0:1]
	s_xor_b64 s[18:19], exec, s[2:3]
	s_cbranch_execz .LBB171_58
; %bb.43:
	v_max_f32_e64 v8, |v11|, |v11|
	v_max_f32_e64 v9, |v10|, |v10|
	v_max_f32_e32 v8, v9, v8
	s_mov_b32 s0, 0x7ed413cb
	v_cmp_nle_f32_e64 s[0:1], s0, v8
                                        ; implicit-def: $sgpr20_sgpr21
	s_and_saveexec_b64 s[2:3], s[0:1]
	s_xor_b64 s[2:3], exec, s[2:3]
	s_cbranch_execz .LBB171_47
; %bb.44:
	s_mov_b32 s7, 0x1000000
	v_cmp_le_f32_e64 s[20:21], |v10|, s7
	v_cmp_le_f32_e64 s[22:23], |v11|, s7
	s_and_b64 s[26:27], s[20:21], s[22:23]
	s_mov_b64 s[20:21], 0
	s_and_saveexec_b64 s[22:23], s[26:27]
; %bb.45:
	v_mov_b32_e32 v8, v11
	v_mov_b32_e32 v9, v10
	v_pk_mul_f32 v[8:9], v[8:9], 4.0 op_sel_hi:[1,0]
	s_mov_b64 s[20:21], exec
	v_mov_b32_e32 v10, v9
	v_mov_b32_e32 v11, v8
; %bb.46:
	s_or_b64 exec, exec, s[22:23]
.LBB171_47:
	s_andn2_saveexec_b64 s[2:3], s[2:3]
; %bb.48:
	v_mov_b32_e32 v8, v11
	v_mov_b32_e32 v9, v10
	s_mov_b32 s22, 0x3e800000
	v_pk_mul_f32 v[8:9], v[8:9], s[22:23] op_sel_hi:[1,0]
	s_andn2_b64 s[20:21], s[20:21], exec
	v_mov_b32_e32 v11, v8
	v_mov_b32_e32 v10, v9
; %bb.49:
	s_or_b64 exec, exec, s[2:3]
	v_max_f32_e64 v8, |v11|, |v11|
	v_max_f32_e64 v9, |v10|, |v10|
	v_max_f32_e32 v12, v9, v8
	v_cvt_f64_f32_e32 v[8:9], v12
	v_frexp_exp_i32_f64_e32 v8, v[8:9]
	v_sub_u32_e32 v9, 0, v8
	v_ldexp_f32 v13, |v10|, v9
	v_ldexp_f32 v9, |v11|, v9
	v_mul_f32_e32 v9, v9, v9
	v_fmac_f32_e32 v9, v13, v13
	v_sqrt_f32_e32 v9, v9
	s_mov_b32 s2, 0x7f800000
	v_cmp_neq_f32_e64 s[2:3], s2, v12
	v_cmp_le_f32_e32 vcc, 0, v10
	v_ldexp_f32 v8, v9, v8
	v_mov_b32_e32 v9, 0x7f800000
	v_cndmask_b32_e64 v12, v9, v8, s[2:3]
                                        ; implicit-def: $vgpr8_vgpr9
	s_and_saveexec_b64 s[2:3], vcc
	s_xor_b64 s[22:23], exec, s[2:3]
	s_cbranch_execz .LBB171_51
; %bb.50:
	v_add_f32_e32 v8, v10, v12
	v_mul_f32_e32 v8, 0.5, v8
	s_mov_b32 s2, 0xf800000
	v_mul_f32_e32 v9, 0x4f800000, v8
	v_cmp_gt_f32_e32 vcc, s2, v8
	s_nop 1
	v_cndmask_b32_e32 v8, v8, v9, vcc
	v_sqrt_f32_e32 v9, v8
	s_nop 0
	v_add_u32_e32 v10, -1, v9
	v_fma_f32 v12, -v10, v9, v8
	v_cmp_ge_f32_e64 s[2:3], 0, v12
	v_add_u32_e32 v12, 1, v9
	s_nop 0
	v_cndmask_b32_e64 v10, v9, v10, s[2:3]
	v_fma_f32 v9, -v12, v9, v8
	v_cmp_lt_f32_e64 s[2:3], 0, v9
	s_nop 1
	v_cndmask_b32_e64 v9, v10, v12, s[2:3]
	v_mul_f32_e32 v10, 0x37800000, v9
	v_cndmask_b32_e32 v9, v9, v10, vcc
	v_mov_b32_e32 v10, 0x260
	v_cmp_class_f32_e32 vcc, v8, v10
	s_nop 1
	v_cndmask_b32_e32 v8, v9, v8, vcc
	v_add_f32_e32 v9, v8, v8
	v_div_scale_f32 v10, s[2:3], v9, v9, v11
	v_rcp_f32_e32 v12, v10
	s_nop 0
	v_fma_f32 v13, -v10, v12, 1.0
	v_fmac_f32_e32 v12, v13, v12
	v_div_scale_f32 v13, vcc, v11, v9, v11
	v_mul_f32_e32 v14, v13, v12
	v_fma_f32 v15, -v10, v14, v13
	v_fmac_f32_e32 v14, v15, v12
	v_fma_f32 v10, -v10, v14, v13
	v_div_fmas_f32 v10, v10, v12, v14
	v_div_fixup_f32 v9, v10, v9, v11
                                        ; implicit-def: $vgpr12
                                        ; implicit-def: $vgpr10
	s_andn2_saveexec_b64 s[22:23], s[22:23]
	s_cbranch_execz .LBB171_53
	s_branch .LBB171_52
.LBB171_51:
	s_andn2_saveexec_b64 s[22:23], s[22:23]
	s_cbranch_execz .LBB171_53
.LBB171_52:
	v_sub_f32_e32 v8, v12, v10
	v_mul_f32_e32 v8, 0.5, v8
	s_mov_b32 s2, 0xf800000
	v_mul_f32_e32 v9, 0x4f800000, v8
	v_cmp_gt_f32_e32 vcc, s2, v8
	s_nop 1
	v_cndmask_b32_e32 v8, v8, v9, vcc
	v_sqrt_f32_e32 v9, v8
	s_nop 0
	v_add_u32_e32 v10, -1, v9
	v_fma_f32 v12, -v10, v9, v8
	v_cmp_ge_f32_e64 s[2:3], 0, v12
	v_add_u32_e32 v12, 1, v9
	s_nop 0
	v_cndmask_b32_e64 v10, v9, v10, s[2:3]
	v_fma_f32 v9, -v12, v9, v8
	v_cmp_lt_f32_e64 s[2:3], 0, v9
	s_nop 1
	v_cndmask_b32_e64 v9, v10, v12, s[2:3]
	v_mul_f32_e32 v10, 0x37800000, v9
	v_cndmask_b32_e32 v9, v9, v10, vcc
	v_mov_b32_e32 v10, 0x260
	v_cmp_class_f32_e32 vcc, v8, v10
	v_and_b32_e32 v10, 0x7fffffff, v11
	s_nop 0
	v_cndmask_b32_e32 v9, v9, v8, vcc
	v_add_f32_e32 v8, v9, v9
	v_div_scale_f32 v12, s[2:3], v8, v8, v10
	v_rcp_f32_e32 v13, v12
	v_div_scale_f32 v10, vcc, v10, v8, v10
	s_brev_b32 s2, -2
	v_fma_f32 v14, -v12, v13, 1.0
	v_fmac_f32_e32 v13, v14, v13
	v_mul_f32_e32 v14, v10, v13
	v_fma_f32 v15, -v12, v14, v10
	v_fmac_f32_e32 v14, v15, v13
	v_fma_f32 v10, -v12, v14, v10
	v_div_fmas_f32 v10, v10, v13, v14
	v_div_fixup_f32 v8, v10, v8, |v11|
	v_bfi_b32 v9, s2, v9, v11
.LBB171_53:
	s_or_b64 exec, exec, s[22:23]
                                        ; implicit-def: $vgpr11
                                        ; implicit-def: $vgpr12
	s_and_saveexec_b64 s[2:3], s[0:1]
	s_xor_b64 s[0:1], exec, s[2:3]
	s_cbranch_execz .LBB171_55
; %bb.54:
	v_pk_mul_f32 v[10:11], v[8:9], 0.5 op_sel_hi:[1,0]
	s_nop 0
	v_cndmask_b32_e64 v12, v8, v10, s[20:21]
	v_cndmask_b32_e64 v11, v9, v11, s[20:21]
                                        ; implicit-def: $vgpr8_vgpr9
	s_andn2_saveexec_b64 s[0:1], s[0:1]
	s_cbranch_execnz .LBB171_56
	s_branch .LBB171_57
.LBB171_55:
	s_andn2_saveexec_b64 s[0:1], s[0:1]
.LBB171_56:
	v_pk_add_f32 v[10:11], v[8:9], v[8:9]
	s_nop 0
	v_mov_b32_e32 v12, v10
.LBB171_57:
	s_or_b64 exec, exec, s[0:1]
.LBB171_58:
	s_andn2_saveexec_b64 s[0:1], s[18:19]
	s_cbranch_execz .LBB171_64
; %bb.59:
	v_sub_f32_e32 v8, v11, v11
	v_cmp_lt_i32_e32 vcc, -1, v10
	s_brev_b32 s7, -2
	v_and_b32_e32 v12, 0x7fffffff, v8
	s_and_saveexec_b64 s[2:3], vcc
	s_xor_b64 s[2:3], exec, s[2:3]
; %bb.60:
	v_bfi_b32 v11, s7, v8, v11
	v_mov_b32_e32 v12, v10
; %bb.61:
	s_andn2_saveexec_b64 s[2:3], s[2:3]
; %bb.62:
	v_bfi_b32 v11, s7, v10, v11
; %bb.63:
	s_or_b64 exec, exec, s[2:3]
.LBB171_64:
	s_or_b64 exec, exec, s[0:1]
.LBB171_65:
	s_andn2_saveexec_b64 s[0:1], s[16:17]
	s_cbranch_execz .LBB171_67
; %bb.66:
	v_sub_f32_e32 v8, v11, v11
	v_div_scale_f32 v9, vcc, v8, v8, v8
	v_rcp_f32_e32 v11, v9
	s_nop 0
	v_fma_f32 v12, -v9, v11, 1.0
	v_fmac_f32_e32 v11, v12, v11
	v_mul_f32_e32 v12, v9, v11
	v_fma_f32 v13, -v9, v12, v9
	v_fmac_f32_e32 v12, v13, v11
	v_fma_f32 v9, -v9, v12, v9
	v_div_fmas_f32 v9, v9, v11, v12
	v_div_fixup_f32 v11, v9, v8, v8
	v_mov_b32_e32 v12, v10
.LBB171_67:
	s_or_b64 exec, exec, s[0:1]
.LBB171_68:
	s_or_b64 exec, exec, s[14:15]
.LBB171_69:
	s_or_b64 exec, exec, s[12:13]
	v_cmp_gt_f32_e32 vcc, 0, v11
	s_nop 1
	v_cndmask_b32_e64 v13, v11, -v11, vcc
	v_cmp_gt_f32_e32 vcc, 0, v12
	s_nop 1
	v_cndmask_b32_e64 v10, v12, -v12, vcc
	v_cmp_ge_f32_e32 vcc, v10, v13
	s_and_saveexec_b64 s[0:1], vcc
	s_xor_b64 s[2:3], exec, s[0:1]
	s_cbranch_execz .LBB171_75
; %bb.70:
	v_cmp_neq_f32_e32 vcc, 0, v12
	v_cmp_neq_f32_e64 s[0:1], 0, v11
	s_or_b64 s[0:1], vcc, s[0:1]
	s_and_saveexec_b64 s[12:13], s[0:1]
	s_xor_b64 s[0:1], exec, s[12:13]
	s_cbranch_execz .LBB171_72
; %bb.71:
	v_div_scale_f32 v8, s[12:13], v12, v12, v11
	v_rcp_f32_e32 v9, v8
	v_div_scale_f32 v10, vcc, v11, v12, v11
	v_fma_f32 v13, -v8, v9, 1.0
	v_fmac_f32_e32 v9, v13, v9
	v_mul_f32_e32 v13, v10, v9
	v_fma_f32 v14, -v8, v13, v10
	v_fmac_f32_e32 v13, v14, v9
	v_fma_f32 v8, -v8, v13, v10
	v_div_fmas_f32 v8, v8, v9, v13
	v_div_fixup_f32 v9, v8, v12, v11
	v_fmac_f32_e32 v12, v11, v9
	v_div_scale_f32 v8, s[12:13], v12, v12, 1.0
	v_rcp_f32_e32 v10, v8
	s_nop 0
	v_fma_f32 v11, -v8, v10, 1.0
	v_fmac_f32_e32 v10, v11, v10
	v_div_scale_f32 v11, vcc, 1.0, v12, 1.0
	v_mul_f32_e32 v13, v11, v10
	v_fma_f32 v14, -v8, v13, v11
	v_fmac_f32_e32 v13, v14, v10
	v_fma_f32 v8, -v8, v13, v11
	v_div_fmas_f32 v8, v8, v10, v13
	v_mul_f32_e32 v10, 0, v9
	v_div_fixup_f32 v8, v8, v12, 1.0
	v_add_f32_e32 v10, 1.0, v10
	v_sub_f32_e32 v11, 0, v9
	v_pk_mul_f32 v[8:9], v[10:11], v[8:9] op_sel_hi:[1,0]
                                        ; implicit-def: $vgpr13
                                        ; implicit-def: $vgpr10
.LBB171_72:
	s_andn2_saveexec_b64 s[0:1], s[0:1]
	s_cbranch_execz .LBB171_74
; %bb.73:
	v_div_scale_f32 v8, s[12:13], v13, v13, 0
	v_rcp_f32_e32 v9, v8
	v_div_scale_f32 v11, vcc, 0, v13, 0
	v_fma_f32 v12, -v8, v9, 1.0
	v_fmac_f32_e32 v9, v12, v9
	v_mul_f32_e32 v12, v11, v9
	v_fma_f32 v14, -v8, v12, v11
	v_fmac_f32_e32 v12, v14, v9
	v_fma_f32 v8, -v8, v12, v11
	v_div_scale_f32 v11, s[12:13], v10, v10, 1.0
	v_rcp_f32_e32 v14, v11
	v_div_fmas_f32 v8, v8, v9, v12
	v_div_fixup_f32 v9, v8, v13, 0
	v_fma_f32 v8, -v11, v14, 1.0
	v_fmac_f32_e32 v14, v8, v14
	v_div_scale_f32 v8, vcc, 1.0, v10, 1.0
	v_mul_f32_e32 v12, v8, v14
	v_fma_f32 v13, -v11, v12, v8
	v_fmac_f32_e32 v12, v13, v14
	v_fma_f32 v8, -v11, v12, v8
	v_div_fmas_f32 v8, v8, v14, v12
	v_div_fixup_f32 v8, v8, v10, 1.0
.LBB171_74:
	s_or_b64 exec, exec, s[0:1]
                                        ; implicit-def: $vgpr11
                                        ; implicit-def: $vgpr12
.LBB171_75:
	s_andn2_saveexec_b64 s[0:1], s[2:3]
	s_cbranch_execz .LBB171_77
; %bb.76:
	v_div_scale_f32 v8, s[2:3], v11, v11, v12
	v_rcp_f32_e32 v9, v8
	v_div_scale_f32 v10, vcc, v12, v11, v12
	v_fma_f32 v13, -v8, v9, 1.0
	v_fmac_f32_e32 v9, v13, v9
	v_mul_f32_e32 v13, v10, v9
	v_fma_f32 v14, -v8, v13, v10
	v_fmac_f32_e32 v13, v14, v9
	v_fma_f32 v8, -v8, v13, v10
	v_div_fmas_f32 v8, v8, v9, v13
	v_div_fixup_f32 v8, v8, v11, v12
	v_fmac_f32_e32 v11, v12, v8
	v_div_scale_f32 v9, s[2:3], v11, v11, 1.0
	v_rcp_f32_e32 v10, v9
	s_mov_b32 s2, 0
	s_mov_b32 s3, -1.0
	v_fma_f32 v12, -v9, v10, 1.0
	v_fmac_f32_e32 v10, v12, v10
	v_div_scale_f32 v12, vcc, 1.0, v11, 1.0
	v_mul_f32_e32 v13, v12, v10
	v_fma_f32 v14, -v9, v13, v12
	v_fmac_f32_e32 v13, v14, v10
	v_fma_f32 v9, -v9, v13, v12
	v_div_fmas_f32 v9, v9, v10, v13
	v_div_fixup_f32 v10, v9, v11, 1.0
	v_mul_f32_e32 v9, 0, v8
	v_pk_add_f32 v[8:9], v[8:9], s[2:3]
	s_nop 0
	v_pk_mul_f32 v[8:9], v[8:9], v[10:11] op_sel_hi:[1,0]
.LBB171_77:
	s_or_b64 exec, exec, s[0:1]
	s_waitcnt vmcnt(0)
	v_cmp_neq_f32_e32 vcc, 0, v2
	v_cmp_neq_f32_e64 s[0:1], 0, v3
	v_mov_b32_e32 v12, 0
	s_or_b64 s[0:1], vcc, s[0:1]
	v_mov_b32_e32 v13, v3
	s_and_saveexec_b64 s[12:13], s[0:1]
	s_cbranch_execz .LBB171_107
; %bb.78:
	v_mov_b32_e32 v12, 0x7f800000
	v_cmp_neq_f32_e64 s[0:1], |v3|, v12
	v_mov_b32_e32 v13, v3
	s_and_saveexec_b64 s[14:15], s[0:1]
	s_cbranch_execz .LBB171_106
; %bb.79:
	v_cmp_o_f32_e32 vcc, v2, v2
                                        ; implicit-def: $vgpr13
	s_and_saveexec_b64 s[0:1], vcc
	s_xor_b64 s[16:17], exec, s[0:1]
	s_cbranch_execz .LBB171_103
; %bb.80:
	s_mov_b32 s0, 0x7f800000
	v_cmp_neq_f32_e64 s[0:1], |v2|, s0
                                        ; implicit-def: $vgpr13
	s_and_saveexec_b64 s[2:3], s[0:1]
	s_xor_b64 s[18:19], exec, s[2:3]
	s_cbranch_execz .LBB171_96
; %bb.81:
	v_max_f32_e64 v10, |v3|, |v3|
	v_max_f32_e64 v11, |v2|, |v2|
	v_max_f32_e32 v10, v11, v10
	s_mov_b32 s0, 0x7ed413cb
	v_cmp_nle_f32_e64 s[0:1], s0, v10
                                        ; implicit-def: $sgpr20_sgpr21
                                        ; implicit-def: $vgpr11
	s_and_saveexec_b64 s[2:3], s[0:1]
	s_xor_b64 s[2:3], exec, s[2:3]
	s_cbranch_execz .LBB171_85
; %bb.82:
	s_mov_b32 s7, 0x1000000
	v_cmp_le_f32_e64 s[20:21], |v2|, s7
	v_cmp_le_f32_e64 s[22:23], |v3|, s7
	s_and_b64 s[26:27], s[20:21], s[22:23]
	s_mov_b64 s[20:21], 0
	v_mov_b32_e32 v11, v2
	v_mov_b32_e32 v10, v3
	s_and_saveexec_b64 s[22:23], s[26:27]
; %bb.83:
	v_mov_b32_e32 v10, v3
	v_mov_b32_e32 v11, v2
	s_mov_b64 s[20:21], exec
	v_pk_mul_f32 v[10:11], v[10:11], 4.0 op_sel_hi:[1,0]
; %bb.84:
	s_or_b64 exec, exec, s[22:23]
.LBB171_85:
	s_andn2_saveexec_b64 s[2:3], s[2:3]
; %bb.86:
	v_mov_b32_e32 v10, v3
	v_mov_b32_e32 v11, v2
	s_mov_b32 s22, 0x3e800000
	v_pk_mul_f32 v[10:11], v[10:11], s[22:23] op_sel_hi:[1,0]
	s_andn2_b64 s[20:21], s[20:21], exec
; %bb.87:
	s_or_b64 exec, exec, s[2:3]
	v_max_f32_e64 v12, |v10|, |v10|
	v_max_f32_e64 v13, |v11|, |v11|
	v_max_f32_e32 v14, v13, v12
	v_cvt_f64_f32_e32 v[12:13], v14
	v_frexp_exp_i32_f64_e32 v12, v[12:13]
	v_sub_u32_e32 v13, 0, v12
	v_ldexp_f32 v15, |v11|, v13
	v_ldexp_f32 v13, |v10|, v13
	v_mul_f32_e32 v13, v13, v13
	v_fmac_f32_e32 v13, v15, v15
	v_sqrt_f32_e32 v13, v13
	s_mov_b32 s2, 0x7f800000
	v_cmp_neq_f32_e64 s[2:3], s2, v14
	v_cmp_le_f32_e32 vcc, 0, v11
	v_ldexp_f32 v12, v13, v12
	v_mov_b32_e32 v13, 0x7f800000
	v_cndmask_b32_e64 v12, v13, v12, s[2:3]
                                        ; implicit-def: $vgpr14_vgpr15
	s_and_saveexec_b64 s[2:3], vcc
	s_xor_b64 s[22:23], exec, s[2:3]
	s_cbranch_execz .LBB171_89
; %bb.88:
	v_add_f32_e32 v11, v11, v12
	v_mul_f32_e32 v11, 0.5, v11
	s_mov_b32 s2, 0xf800000
	v_mul_f32_e32 v12, 0x4f800000, v11
	v_cmp_gt_f32_e32 vcc, s2, v11
	s_nop 1
	v_cndmask_b32_e32 v11, v11, v12, vcc
	v_sqrt_f32_e32 v12, v11
	s_nop 0
	v_add_u32_e32 v13, -1, v12
	v_fma_f32 v14, -v13, v12, v11
	v_cmp_ge_f32_e64 s[2:3], 0, v14
	v_add_u32_e32 v14, 1, v12
	s_nop 0
	v_cndmask_b32_e64 v13, v12, v13, s[2:3]
	v_fma_f32 v12, -v14, v12, v11
	v_cmp_lt_f32_e64 s[2:3], 0, v12
	s_nop 1
	v_cndmask_b32_e64 v12, v13, v14, s[2:3]
	v_mul_f32_e32 v13, 0x37800000, v12
	v_cndmask_b32_e32 v12, v12, v13, vcc
	v_mov_b32_e32 v13, 0x260
	v_cmp_class_f32_e32 vcc, v11, v13
	s_nop 1
	v_cndmask_b32_e32 v14, v12, v11, vcc
	v_add_f32_e32 v11, v14, v14
	v_div_scale_f32 v12, s[2:3], v11, v11, v10
	v_rcp_f32_e32 v13, v12
	s_nop 0
	v_fma_f32 v15, -v12, v13, 1.0
	v_fmac_f32_e32 v13, v15, v13
	v_div_scale_f32 v15, vcc, v10, v11, v10
	v_mul_f32_e32 v16, v15, v13
	v_fma_f32 v17, -v12, v16, v15
	v_fmac_f32_e32 v16, v17, v13
	v_fma_f32 v12, -v12, v16, v15
	v_div_fmas_f32 v12, v12, v13, v16
	v_div_fixup_f32 v15, v12, v11, v10
                                        ; implicit-def: $vgpr12
                                        ; implicit-def: $vgpr11
	s_andn2_saveexec_b64 s[22:23], s[22:23]
	s_cbranch_execz .LBB171_91
	s_branch .LBB171_90
.LBB171_89:
	s_andn2_saveexec_b64 s[22:23], s[22:23]
	s_cbranch_execz .LBB171_91
.LBB171_90:
	v_sub_f32_e32 v11, v12, v11
	v_mul_f32_e32 v11, 0.5, v11
	s_mov_b32 s2, 0xf800000
	v_mul_f32_e32 v12, 0x4f800000, v11
	v_cmp_gt_f32_e32 vcc, s2, v11
	s_nop 1
	v_cndmask_b32_e32 v11, v11, v12, vcc
	v_sqrt_f32_e32 v12, v11
	s_nop 0
	v_add_u32_e32 v13, -1, v12
	v_fma_f32 v14, -v13, v12, v11
	v_cmp_ge_f32_e64 s[2:3], 0, v14
	v_add_u32_e32 v14, 1, v12
	s_nop 0
	v_cndmask_b32_e64 v13, v12, v13, s[2:3]
	v_fma_f32 v12, -v14, v12, v11
	v_cmp_lt_f32_e64 s[2:3], 0, v12
	s_nop 1
	v_cndmask_b32_e64 v12, v13, v14, s[2:3]
	v_mul_f32_e32 v13, 0x37800000, v12
	v_cndmask_b32_e32 v12, v12, v13, vcc
	v_mov_b32_e32 v13, 0x260
	v_cmp_class_f32_e32 vcc, v11, v13
	v_and_b32_e32 v13, 0x7fffffff, v10
	s_nop 0
	v_cndmask_b32_e32 v11, v12, v11, vcc
	v_add_f32_e32 v12, v11, v11
	v_div_scale_f32 v14, s[2:3], v12, v12, v13
	v_rcp_f32_e32 v15, v14
	v_div_scale_f32 v13, vcc, v13, v12, v13
	s_brev_b32 s2, -2
	v_fma_f32 v16, -v14, v15, 1.0
	v_fmac_f32_e32 v15, v16, v15
	v_mul_f32_e32 v16, v13, v15
	v_fma_f32 v17, -v14, v16, v13
	v_fmac_f32_e32 v16, v17, v15
	v_fma_f32 v13, -v14, v16, v13
	v_div_fmas_f32 v13, v13, v15, v16
	v_div_fixup_f32 v14, v13, v12, |v10|
	v_bfi_b32 v15, s2, v11, v10
.LBB171_91:
	s_or_b64 exec, exec, s[22:23]
                                        ; implicit-def: $vgpr13
	s_and_saveexec_b64 s[2:3], s[0:1]
	s_xor_b64 s[0:1], exec, s[2:3]
	s_cbranch_execz .LBB171_93
; %bb.92:
	v_pk_mul_f32 v[10:11], v[14:15], 0.5 op_sel_hi:[1,0]
	s_nop 0
	v_cndmask_b32_e64 v12, v14, v10, s[20:21]
	v_cndmask_b32_e64 v13, v15, v11, s[20:21]
                                        ; implicit-def: $vgpr14_vgpr15
	s_andn2_saveexec_b64 s[0:1], s[0:1]
	s_cbranch_execnz .LBB171_94
	s_branch .LBB171_95
.LBB171_93:
	s_andn2_saveexec_b64 s[0:1], s[0:1]
.LBB171_94:
	v_pk_add_f32 v[12:13], v[14:15], v[14:15]
.LBB171_95:
	s_or_b64 exec, exec, s[0:1]
.LBB171_96:
	s_andn2_saveexec_b64 s[0:1], s[18:19]
	s_cbranch_execz .LBB171_102
; %bb.97:
	v_sub_f32_e32 v10, v3, v3
	v_cmp_lt_i32_e32 vcc, -1, v2
	s_brev_b32 s7, -2
	v_and_b32_e32 v12, 0x7fffffff, v10
	s_and_saveexec_b64 s[2:3], vcc
	s_xor_b64 s[2:3], exec, s[2:3]
; %bb.98:
	v_bfi_b32 v13, s7, v10, v3
	v_mov_b32_e32 v12, v2
; %bb.99:
	s_andn2_saveexec_b64 s[2:3], s[2:3]
; %bb.100:
	v_bfi_b32 v13, s7, v2, v3
; %bb.101:
	s_or_b64 exec, exec, s[2:3]
.LBB171_102:
	s_or_b64 exec, exec, s[0:1]
.LBB171_103:
	s_andn2_saveexec_b64 s[0:1], s[16:17]
	s_cbranch_execz .LBB171_105
; %bb.104:
	v_sub_f32_e32 v3, v3, v3
	v_div_scale_f32 v10, vcc, v3, v3, v3
	v_rcp_f32_e32 v11, v10
	s_nop 0
	v_fma_f32 v12, -v10, v11, 1.0
	v_fmac_f32_e32 v11, v12, v11
	v_mul_f32_e32 v12, v10, v11
	v_fma_f32 v13, -v10, v12, v10
	v_fmac_f32_e32 v12, v13, v11
	v_fma_f32 v10, -v10, v12, v10
	v_div_fmas_f32 v10, v10, v11, v12
	v_div_fixup_f32 v13, v10, v3, v3
	v_mov_b32_e32 v12, v2
.LBB171_105:
	s_or_b64 exec, exec, s[0:1]
.LBB171_106:
	s_or_b64 exec, exec, s[14:15]
.LBB171_107:
	s_or_b64 exec, exec, s[12:13]
	v_cmp_gt_f32_e32 vcc, 0, v13
                                        ; implicit-def: $vgpr10_vgpr11
	s_nop 1
	v_cndmask_b32_e64 v3, v13, -v13, vcc
	v_cmp_gt_f32_e32 vcc, 0, v12
	s_nop 1
	v_cndmask_b32_e64 v2, v12, -v12, vcc
	v_cmp_ge_f32_e32 vcc, v2, v3
	s_and_saveexec_b64 s[0:1], vcc
	s_xor_b64 s[2:3], exec, s[0:1]
	s_cbranch_execz .LBB171_113
; %bb.108:
	v_cmp_neq_f32_e32 vcc, 0, v12
	v_cmp_neq_f32_e64 s[0:1], 0, v13
	s_or_b64 s[0:1], vcc, s[0:1]
                                        ; implicit-def: $vgpr10_vgpr11
	s_and_saveexec_b64 s[12:13], s[0:1]
	s_xor_b64 s[0:1], exec, s[12:13]
	s_cbranch_execz .LBB171_110
; %bb.109:
	v_div_scale_f32 v2, s[12:13], v12, v12, v13
	v_rcp_f32_e32 v3, v2
	v_div_scale_f32 v10, vcc, v13, v12, v13
	v_fma_f32 v11, -v2, v3, 1.0
	v_fmac_f32_e32 v3, v11, v3
	v_mul_f32_e32 v11, v10, v3
	v_fma_f32 v14, -v2, v11, v10
	v_fmac_f32_e32 v11, v14, v3
	v_fma_f32 v2, -v2, v11, v10
	v_div_fmas_f32 v2, v2, v3, v11
	v_div_fixup_f32 v3, v2, v12, v13
	v_fmac_f32_e32 v12, v13, v3
	v_div_scale_f32 v2, s[12:13], v12, v12, 1.0
	v_rcp_f32_e32 v10, v2
	s_nop 0
	v_fma_f32 v11, -v2, v10, 1.0
	v_fmac_f32_e32 v10, v11, v10
	v_div_scale_f32 v11, vcc, 1.0, v12, 1.0
	v_mul_f32_e32 v13, v11, v10
	v_fma_f32 v14, -v2, v13, v11
	v_fmac_f32_e32 v13, v14, v10
	v_fma_f32 v2, -v2, v13, v11
	v_div_fmas_f32 v2, v2, v10, v13
	v_mul_f32_e32 v10, 0, v3
	v_div_fixup_f32 v2, v2, v12, 1.0
	v_add_f32_e32 v10, 1.0, v10
	v_sub_f32_e32 v11, 0, v3
	v_pk_mul_f32 v[10:11], v[10:11], v[2:3] op_sel_hi:[1,0]
                                        ; implicit-def: $vgpr3
                                        ; implicit-def: $vgpr2
.LBB171_110:
	s_andn2_saveexec_b64 s[0:1], s[0:1]
	s_cbranch_execz .LBB171_112
; %bb.111:
	v_div_scale_f32 v10, s[12:13], v3, v3, 0
	v_rcp_f32_e32 v11, v10
	v_div_scale_f32 v12, vcc, 0, v3, 0
	v_fma_f32 v13, -v10, v11, 1.0
	v_fmac_f32_e32 v11, v13, v11
	v_mul_f32_e32 v13, v12, v11
	v_fma_f32 v14, -v10, v13, v12
	v_fmac_f32_e32 v13, v14, v11
	v_fma_f32 v10, -v10, v13, v12
	v_div_scale_f32 v12, s[12:13], v2, v2, 1.0
	v_rcp_f32_e32 v14, v12
	v_div_fmas_f32 v10, v10, v11, v13
	v_div_fixup_f32 v11, v10, v3, 0
	v_fma_f32 v3, -v12, v14, 1.0
	v_fmac_f32_e32 v14, v3, v14
	v_div_scale_f32 v3, vcc, 1.0, v2, 1.0
	v_mul_f32_e32 v10, v3, v14
	v_fma_f32 v13, -v12, v10, v3
	v_fmac_f32_e32 v10, v13, v14
	v_fma_f32 v3, -v12, v10, v3
	v_div_fmas_f32 v3, v3, v14, v10
	v_div_fixup_f32 v10, v3, v2, 1.0
.LBB171_112:
	s_or_b64 exec, exec, s[0:1]
                                        ; implicit-def: $vgpr13
.LBB171_113:
	s_andn2_saveexec_b64 s[0:1], s[2:3]
	s_cbranch_execz .LBB171_115
; %bb.114:
	v_div_scale_f32 v2, s[2:3], v13, v13, v12
	v_rcp_f32_e32 v3, v2
	v_div_scale_f32 v10, vcc, v12, v13, v12
	v_fma_f32 v11, -v2, v3, 1.0
	v_fmac_f32_e32 v3, v11, v3
	v_mul_f32_e32 v11, v10, v3
	v_fma_f32 v14, -v2, v11, v10
	v_fmac_f32_e32 v11, v14, v3
	v_fma_f32 v2, -v2, v11, v10
	v_div_fmas_f32 v2, v2, v3, v11
	v_div_fixup_f32 v2, v2, v13, v12
	v_fmac_f32_e32 v13, v12, v2
	v_div_scale_f32 v3, s[2:3], v13, v13, 1.0
	v_rcp_f32_e32 v10, v3
	s_mov_b32 s2, 0
	s_mov_b32 s3, -1.0
	v_fma_f32 v11, -v3, v10, 1.0
	v_fmac_f32_e32 v10, v11, v10
	v_div_scale_f32 v11, vcc, 1.0, v13, 1.0
	v_mul_f32_e32 v12, v11, v10
	v_fma_f32 v14, -v3, v12, v11
	v_fmac_f32_e32 v12, v14, v10
	v_fma_f32 v3, -v3, v12, v11
	v_div_fmas_f32 v3, v3, v10, v12
	v_div_fixup_f32 v10, v3, v13, 1.0
	v_mul_f32_e32 v3, 0, v2
	v_pk_add_f32 v[2:3], v[2:3], s[2:3]
	s_nop 0
	v_pk_mul_f32 v[10:11], v[2:3], v[10:11] op_sel_hi:[1,0]
.LBB171_115:
	s_or_b64 exec, exec, s[0:1]
	v_cmp_neq_f32_e32 vcc, 0, v4
	v_cmp_neq_f32_e64 s[0:1], 0, v5
	v_mov_b32_e32 v14, 0
	s_or_b64 s[0:1], vcc, s[0:1]
	s_and_saveexec_b64 s[12:13], s[0:1]
	s_cbranch_execz .LBB171_145
; %bb.116:
	v_mov_b32_e32 v14, 0x7f800000
	v_cmp_neq_f32_e64 s[0:1], |v5|, v14
	s_and_saveexec_b64 s[14:15], s[0:1]
	s_cbranch_execz .LBB171_144
; %bb.117:
	v_cmp_o_f32_e32 vcc, v4, v4
                                        ; implicit-def: $vgpr14
	s_and_saveexec_b64 s[0:1], vcc
	s_xor_b64 s[16:17], exec, s[0:1]
	s_cbranch_execz .LBB171_141
; %bb.118:
	s_mov_b32 s0, 0x7f800000
	v_cmp_neq_f32_e64 s[0:1], |v4|, s0
                                        ; implicit-def: $vgpr14
	s_and_saveexec_b64 s[2:3], s[0:1]
	s_xor_b64 s[18:19], exec, s[2:3]
	s_cbranch_execz .LBB171_134
; %bb.119:
	v_max_f32_e64 v2, |v5|, |v5|
	v_max_f32_e64 v3, |v4|, |v4|
	v_max_f32_e32 v2, v3, v2
	s_mov_b32 s0, 0x7ed413cb
	v_cmp_nle_f32_e64 s[0:1], s0, v2
                                        ; implicit-def: $sgpr20_sgpr21
	s_and_saveexec_b64 s[2:3], s[0:1]
	s_xor_b64 s[2:3], exec, s[2:3]
	s_cbranch_execz .LBB171_123
; %bb.120:
	s_mov_b32 s7, 0x1000000
	v_cmp_le_f32_e64 s[20:21], |v4|, s7
	v_cmp_le_f32_e64 s[22:23], |v5|, s7
	s_and_b64 s[26:27], s[20:21], s[22:23]
	s_mov_b64 s[20:21], 0
	s_and_saveexec_b64 s[22:23], s[26:27]
; %bb.121:
	v_mov_b32_e32 v2, v5
	v_mov_b32_e32 v3, v4
	v_pk_mul_f32 v[2:3], v[2:3], 4.0 op_sel_hi:[1,0]
	s_mov_b64 s[20:21], exec
	v_mov_b32_e32 v4, v3
	v_mov_b32_e32 v5, v2
; %bb.122:
	s_or_b64 exec, exec, s[22:23]
.LBB171_123:
	s_andn2_saveexec_b64 s[2:3], s[2:3]
; %bb.124:
	v_mov_b32_e32 v2, v5
	v_mov_b32_e32 v3, v4
	s_mov_b32 s22, 0x3e800000
	v_pk_mul_f32 v[2:3], v[2:3], s[22:23] op_sel_hi:[1,0]
	s_andn2_b64 s[20:21], s[20:21], exec
	v_mov_b32_e32 v5, v2
	v_mov_b32_e32 v4, v3
; %bb.125:
	s_or_b64 exec, exec, s[2:3]
	v_max_f32_e64 v2, |v5|, |v5|
	v_max_f32_e64 v3, |v4|, |v4|
	v_max_f32_e32 v12, v3, v2
	v_cvt_f64_f32_e32 v[2:3], v12
	v_frexp_exp_i32_f64_e32 v2, v[2:3]
	v_sub_u32_e32 v3, 0, v2
	v_ldexp_f32 v13, |v4|, v3
	v_ldexp_f32 v3, |v5|, v3
	v_mul_f32_e32 v3, v3, v3
	v_fmac_f32_e32 v3, v13, v13
	v_sqrt_f32_e32 v3, v3
	s_mov_b32 s2, 0x7f800000
	v_cmp_neq_f32_e64 s[2:3], s2, v12
	v_cmp_le_f32_e32 vcc, 0, v4
	v_ldexp_f32 v2, v3, v2
	v_mov_b32_e32 v3, 0x7f800000
	v_cndmask_b32_e64 v12, v3, v2, s[2:3]
                                        ; implicit-def: $vgpr2_vgpr3
	s_and_saveexec_b64 s[2:3], vcc
	s_xor_b64 s[22:23], exec, s[2:3]
	s_cbranch_execz .LBB171_127
; %bb.126:
	v_add_f32_e32 v2, v4, v12
	v_mul_f32_e32 v2, 0.5, v2
	s_mov_b32 s2, 0xf800000
	v_mul_f32_e32 v3, 0x4f800000, v2
	v_cmp_gt_f32_e32 vcc, s2, v2
	s_nop 1
	v_cndmask_b32_e32 v2, v2, v3, vcc
	v_sqrt_f32_e32 v3, v2
	s_nop 0
	v_add_u32_e32 v4, -1, v3
	v_fma_f32 v12, -v4, v3, v2
	v_cmp_ge_f32_e64 s[2:3], 0, v12
	v_add_u32_e32 v12, 1, v3
	s_nop 0
	v_cndmask_b32_e64 v4, v3, v4, s[2:3]
	v_fma_f32 v3, -v12, v3, v2
	v_cmp_lt_f32_e64 s[2:3], 0, v3
	s_nop 1
	v_cndmask_b32_e64 v3, v4, v12, s[2:3]
	v_mul_f32_e32 v4, 0x37800000, v3
	v_cndmask_b32_e32 v3, v3, v4, vcc
	v_mov_b32_e32 v4, 0x260
	v_cmp_class_f32_e32 vcc, v2, v4
	s_nop 1
	v_cndmask_b32_e32 v2, v3, v2, vcc
	v_add_f32_e32 v3, v2, v2
	v_div_scale_f32 v4, s[2:3], v3, v3, v5
	v_rcp_f32_e32 v12, v4
	s_nop 0
	v_fma_f32 v13, -v4, v12, 1.0
	v_fmac_f32_e32 v12, v13, v12
	v_div_scale_f32 v13, vcc, v5, v3, v5
	v_mul_f32_e32 v14, v13, v12
	v_fma_f32 v15, -v4, v14, v13
	v_fmac_f32_e32 v14, v15, v12
	v_fma_f32 v4, -v4, v14, v13
	v_div_fmas_f32 v4, v4, v12, v14
	v_div_fixup_f32 v3, v4, v3, v5
                                        ; implicit-def: $vgpr12
                                        ; implicit-def: $vgpr4
	s_andn2_saveexec_b64 s[22:23], s[22:23]
	s_cbranch_execz .LBB171_129
	s_branch .LBB171_128
.LBB171_127:
	s_andn2_saveexec_b64 s[22:23], s[22:23]
	s_cbranch_execz .LBB171_129
.LBB171_128:
	v_sub_f32_e32 v2, v12, v4
	v_mul_f32_e32 v2, 0.5, v2
	s_mov_b32 s2, 0xf800000
	v_mul_f32_e32 v3, 0x4f800000, v2
	v_cmp_gt_f32_e32 vcc, s2, v2
	s_nop 1
	v_cndmask_b32_e32 v2, v2, v3, vcc
	v_sqrt_f32_e32 v3, v2
	s_nop 0
	v_add_u32_e32 v4, -1, v3
	v_fma_f32 v12, -v4, v3, v2
	v_cmp_ge_f32_e64 s[2:3], 0, v12
	v_add_u32_e32 v12, 1, v3
	s_nop 0
	v_cndmask_b32_e64 v4, v3, v4, s[2:3]
	v_fma_f32 v3, -v12, v3, v2
	v_cmp_lt_f32_e64 s[2:3], 0, v3
	s_nop 1
	v_cndmask_b32_e64 v3, v4, v12, s[2:3]
	v_mul_f32_e32 v4, 0x37800000, v3
	v_cndmask_b32_e32 v3, v3, v4, vcc
	v_mov_b32_e32 v4, 0x260
	v_cmp_class_f32_e32 vcc, v2, v4
	v_and_b32_e32 v4, 0x7fffffff, v5
	s_nop 0
	v_cndmask_b32_e32 v3, v3, v2, vcc
	v_add_f32_e32 v2, v3, v3
	v_div_scale_f32 v12, s[2:3], v2, v2, v4
	v_rcp_f32_e32 v13, v12
	v_div_scale_f32 v4, vcc, v4, v2, v4
	s_brev_b32 s2, -2
	v_fma_f32 v14, -v12, v13, 1.0
	v_fmac_f32_e32 v13, v14, v13
	v_mul_f32_e32 v14, v4, v13
	v_fma_f32 v15, -v12, v14, v4
	v_fmac_f32_e32 v14, v15, v13
	v_fma_f32 v4, -v12, v14, v4
	v_div_fmas_f32 v4, v4, v13, v14
	v_div_fixup_f32 v2, v4, v2, |v5|
	v_bfi_b32 v3, s2, v3, v5
.LBB171_129:
	s_or_b64 exec, exec, s[22:23]
                                        ; implicit-def: $vgpr5
                                        ; implicit-def: $vgpr14
	s_and_saveexec_b64 s[2:3], s[0:1]
	s_xor_b64 s[0:1], exec, s[2:3]
	s_cbranch_execz .LBB171_131
; %bb.130:
	v_pk_mul_f32 v[4:5], v[2:3], 0.5 op_sel_hi:[1,0]
	s_nop 0
	v_cndmask_b32_e64 v14, v2, v4, s[20:21]
	v_cndmask_b32_e64 v5, v3, v5, s[20:21]
                                        ; implicit-def: $vgpr2_vgpr3
	s_andn2_saveexec_b64 s[0:1], s[0:1]
	s_cbranch_execnz .LBB171_132
	s_branch .LBB171_133
.LBB171_131:
	s_andn2_saveexec_b64 s[0:1], s[0:1]
.LBB171_132:
	v_pk_add_f32 v[4:5], v[2:3], v[2:3]
	s_nop 0
	v_mov_b32_e32 v14, v4
.LBB171_133:
	s_or_b64 exec, exec, s[0:1]
.LBB171_134:
	s_andn2_saveexec_b64 s[0:1], s[18:19]
	s_cbranch_execz .LBB171_140
; %bb.135:
	v_sub_f32_e32 v2, v5, v5
	v_cmp_lt_i32_e32 vcc, -1, v4
	s_brev_b32 s7, -2
	v_and_b32_e32 v14, 0x7fffffff, v2
	s_and_saveexec_b64 s[2:3], vcc
	s_xor_b64 s[2:3], exec, s[2:3]
; %bb.136:
	v_bfi_b32 v5, s7, v2, v5
	v_mov_b32_e32 v14, v4
; %bb.137:
	s_andn2_saveexec_b64 s[2:3], s[2:3]
; %bb.138:
	v_bfi_b32 v5, s7, v4, v5
; %bb.139:
	s_or_b64 exec, exec, s[2:3]
.LBB171_140:
	s_or_b64 exec, exec, s[0:1]
.LBB171_141:
	s_andn2_saveexec_b64 s[0:1], s[16:17]
	s_cbranch_execz .LBB171_143
; %bb.142:
	v_sub_f32_e32 v2, v5, v5
	v_div_scale_f32 v3, vcc, v2, v2, v2
	v_rcp_f32_e32 v5, v3
	v_mov_b32_e32 v14, v4
	v_fma_f32 v12, -v3, v5, 1.0
	v_fmac_f32_e32 v5, v12, v5
	v_mul_f32_e32 v12, v3, v5
	v_fma_f32 v13, -v3, v12, v3
	v_fmac_f32_e32 v12, v13, v5
	v_fma_f32 v3, -v3, v12, v3
	v_div_fmas_f32 v3, v3, v5, v12
	v_div_fixup_f32 v5, v3, v2, v2
.LBB171_143:
	s_or_b64 exec, exec, s[0:1]
.LBB171_144:
	s_or_b64 exec, exec, s[14:15]
.LBB171_145:
	s_or_b64 exec, exec, s[12:13]
	v_cmp_gt_f32_e32 vcc, 0, v5
	s_nop 1
	v_cndmask_b32_e64 v3, v5, -v5, vcc
	v_cmp_gt_f32_e32 vcc, 0, v14
	s_nop 1
	v_cndmask_b32_e64 v2, v14, -v14, vcc
	v_cmp_ge_f32_e32 vcc, v2, v3
	s_and_saveexec_b64 s[0:1], vcc
	s_xor_b64 s[2:3], exec, s[0:1]
	s_cbranch_execz .LBB171_151
; %bb.146:
	v_cmp_neq_f32_e32 vcc, 0, v14
	v_cmp_neq_f32_e64 s[0:1], 0, v5
	s_or_b64 s[0:1], vcc, s[0:1]
	s_and_saveexec_b64 s[12:13], s[0:1]
	s_xor_b64 s[0:1], exec, s[12:13]
	s_cbranch_execz .LBB171_148
; %bb.147:
	v_div_scale_f32 v2, s[12:13], v14, v14, v5
	v_rcp_f32_e32 v3, v2
	v_div_scale_f32 v4, vcc, v5, v14, v5
	v_fma_f32 v12, -v2, v3, 1.0
	v_fmac_f32_e32 v3, v12, v3
	v_mul_f32_e32 v12, v4, v3
	v_fma_f32 v13, -v2, v12, v4
	v_fmac_f32_e32 v12, v13, v3
	v_fma_f32 v2, -v2, v12, v4
	v_div_fmas_f32 v2, v2, v3, v12
	v_div_fixup_f32 v3, v2, v14, v5
	v_fmac_f32_e32 v14, v5, v3
	v_div_scale_f32 v2, s[12:13], v14, v14, 1.0
	v_rcp_f32_e32 v4, v2
	s_nop 0
	v_fma_f32 v5, -v2, v4, 1.0
	v_fmac_f32_e32 v4, v5, v4
	v_div_scale_f32 v5, vcc, 1.0, v14, 1.0
	v_mul_f32_e32 v12, v5, v4
	v_fma_f32 v13, -v2, v12, v5
	v_fmac_f32_e32 v12, v13, v4
	v_fma_f32 v2, -v2, v12, v5
	v_div_fmas_f32 v2, v2, v4, v12
	v_mul_f32_e32 v4, 0, v3
	v_div_fixup_f32 v2, v2, v14, 1.0
	v_add_f32_e32 v4, 1.0, v4
	v_sub_f32_e32 v5, 0, v3
	v_pk_mul_f32 v[12:13], v[4:5], v[2:3] op_sel_hi:[1,0]
                                        ; implicit-def: $vgpr3
                                        ; implicit-def: $vgpr2
.LBB171_148:
	s_andn2_saveexec_b64 s[0:1], s[0:1]
	s_cbranch_execz .LBB171_150
; %bb.149:
	v_div_scale_f32 v4, s[12:13], v3, v3, 0
	v_rcp_f32_e32 v5, v4
	v_div_scale_f32 v12, vcc, 0, v3, 0
	v_fma_f32 v13, -v4, v5, 1.0
	v_fmac_f32_e32 v5, v13, v5
	v_mul_f32_e32 v13, v12, v5
	v_fma_f32 v14, -v4, v13, v12
	v_fmac_f32_e32 v13, v14, v5
	v_fma_f32 v4, -v4, v13, v12
	v_div_scale_f32 v12, s[12:13], v2, v2, 1.0
	v_rcp_f32_e32 v14, v12
	v_div_fmas_f32 v4, v4, v5, v13
	v_div_fixup_f32 v13, v4, v3, 0
	v_fma_f32 v3, -v12, v14, 1.0
	v_fmac_f32_e32 v14, v3, v14
	v_div_scale_f32 v3, vcc, 1.0, v2, 1.0
	v_mul_f32_e32 v4, v3, v14
	v_fma_f32 v5, -v12, v4, v3
	v_fmac_f32_e32 v4, v5, v14
	v_fma_f32 v3, -v12, v4, v3
	v_div_fmas_f32 v3, v3, v14, v4
	v_div_fixup_f32 v12, v3, v2, 1.0
.LBB171_150:
	s_or_b64 exec, exec, s[0:1]
                                        ; implicit-def: $vgpr5
                                        ; implicit-def: $vgpr14
.LBB171_151:
	s_andn2_saveexec_b64 s[0:1], s[2:3]
	s_cbranch_execz .LBB171_153
; %bb.152:
	v_div_scale_f32 v2, s[2:3], v5, v5, v14
	v_rcp_f32_e32 v3, v2
	v_div_scale_f32 v4, vcc, v14, v5, v14
	v_fma_f32 v12, -v2, v3, 1.0
	v_fmac_f32_e32 v3, v12, v3
	v_mul_f32_e32 v12, v4, v3
	v_fma_f32 v13, -v2, v12, v4
	v_fmac_f32_e32 v12, v13, v3
	v_fma_f32 v2, -v2, v12, v4
	v_div_fmas_f32 v2, v2, v3, v12
	v_div_fixup_f32 v2, v2, v5, v14
	v_fmac_f32_e32 v5, v14, v2
	v_div_scale_f32 v3, s[2:3], v5, v5, 1.0
	v_rcp_f32_e32 v4, v3
	s_mov_b32 s2, 0
	s_mov_b32 s3, -1.0
	v_fma_f32 v12, -v3, v4, 1.0
	v_fmac_f32_e32 v4, v12, v4
	v_div_scale_f32 v12, vcc, 1.0, v5, 1.0
	v_mul_f32_e32 v13, v12, v4
	v_fma_f32 v14, -v3, v13, v12
	v_fmac_f32_e32 v13, v14, v4
	v_fma_f32 v3, -v3, v13, v12
	v_div_fmas_f32 v3, v3, v4, v13
	v_div_fixup_f32 v4, v3, v5, 1.0
	v_mul_f32_e32 v3, 0, v2
	v_pk_add_f32 v[2:3], v[2:3], s[2:3]
	s_nop 0
	v_pk_mul_f32 v[12:13], v[2:3], v[4:5] op_sel_hi:[1,0]
.LBB171_153:
	s_or_b64 exec, exec, s[0:1]
	s_add_u32 s0, s8, s4
	s_addc_u32 s1, s9, s5
	global_store_dwordx4 v1, v[6:9], s[0:1]
	global_store_dwordx4 v1, v[10:13], s[0:1] offset:16
	s_mov_b64 s[0:1], 0
.LBB171_154:
	s_and_b64 vcc, exec, s[0:1]
	s_cbranch_vccz .LBB171_331
; %bb.155:
	v_mov_b32_e32 v12, 0
	v_mov_b32_e32 v13, v12
	v_cmp_gt_i32_e64 s[0:1], s24, v0
	v_or_b32_e32 v2, s6, v0
	v_mov_b32_e32 v1, v0
	v_mov_b64_e32 v[10:11], v[12:13]
	s_and_saveexec_b64 s[2:3], s[0:1]
	s_cbranch_execz .LBB171_157
; %bb.156:
	v_mov_b32_e32 v3, v12
	v_lshl_add_u64 v[4:5], v[2:3], 3, s[10:11]
	global_load_dwordx2 v[10:11], v[4:5], off
	v_or_b32_e32 v1, 0x100, v0
.LBB171_157:
	s_or_b64 exec, exec, s[2:3]
	v_cmp_gt_i32_e32 vcc, s24, v1
	s_and_saveexec_b64 s[2:3], vcc
	s_cbranch_execz .LBB171_159
; %bb.158:
	v_add_u32_e32 v4, s6, v1
	v_mov_b32_e32 v5, 0
	v_lshl_add_u64 v[4:5], v[4:5], 3, s[10:11]
	global_load_dwordx2 v[12:13], v[4:5], off
	v_add_u32_e32 v1, 0x100, v1
.LBB171_159:
	s_or_b64 exec, exec, s[2:3]
	v_mov_b32_e32 v4, 0
	v_mov_b32_e32 v5, v4
	v_cmp_gt_i32_e32 vcc, s24, v1
	v_mov_b64_e32 v[8:9], v[4:5]
	s_and_saveexec_b64 s[2:3], vcc
	s_cbranch_execz .LBB171_161
; %bb.160:
	v_add_u32_e32 v6, s6, v1
	v_mov_b32_e32 v7, v4
	v_lshl_add_u64 v[6:7], v[6:7], 3, s[10:11]
	global_load_dwordx2 v[8:9], v[6:7], off
	v_add_u32_e32 v1, 0x100, v1
.LBB171_161:
	s_or_b64 exec, exec, s[2:3]
	v_cmp_gt_i32_e32 vcc, s24, v1
	s_and_saveexec_b64 s[2:3], vcc
	s_cbranch_execz .LBB171_163
; %bb.162:
	v_add_u32_e32 v4, s6, v1
	v_mov_b32_e32 v5, 0
	v_lshl_add_u64 v[4:5], v[4:5], 3, s[10:11]
	global_load_dwordx2 v[4:5], v[4:5], off
.LBB171_163:
	s_or_b64 exec, exec, s[2:3]
	v_mov_b32_e32 v7, 0
	v_mov_b32_e32 v6, 0
	s_and_saveexec_b64 s[10:11], s[0:1]
	s_cbranch_execz .LBB171_203
; %bb.164:
	s_waitcnt vmcnt(0)
	v_cmp_neq_f32_e32 vcc, 0, v10
	v_cmp_neq_f32_e64 s[2:3], 0, v11
	v_mov_b32_e32 v1, 0
	s_or_b64 s[2:3], vcc, s[2:3]
	s_and_saveexec_b64 s[12:13], s[2:3]
	s_cbranch_execz .LBB171_194
; %bb.165:
	v_mov_b32_e32 v1, 0x7f800000
	v_cmp_neq_f32_e64 s[2:3], |v11|, v1
	s_and_saveexec_b64 s[14:15], s[2:3]
	s_cbranch_execz .LBB171_193
; %bb.166:
	v_cmp_o_f32_e32 vcc, v10, v10
                                        ; implicit-def: $vgpr1
	s_and_saveexec_b64 s[2:3], vcc
	s_xor_b64 s[16:17], exec, s[2:3]
	s_cbranch_execz .LBB171_190
; %bb.167:
	s_mov_b32 s2, 0x7f800000
	v_cmp_neq_f32_e64 s[2:3], |v10|, s2
                                        ; implicit-def: $vgpr1
	s_and_saveexec_b64 s[4:5], s[2:3]
	s_xor_b64 s[18:19], exec, s[4:5]
	s_cbranch_execz .LBB171_183
; %bb.168:
	v_max_f32_e64 v1, |v10|, |v10|
	v_max_f32_e64 v3, |v11|, |v11|
	v_max_f32_e32 v1, v3, v1
	s_mov_b32 s2, 0x7ed413cb
	v_cmp_nle_f32_e64 s[2:3], s2, v1
                                        ; implicit-def: $sgpr20_sgpr21
	s_and_saveexec_b64 s[4:5], s[2:3]
	s_xor_b64 s[4:5], exec, s[4:5]
	s_cbranch_execz .LBB171_172
; %bb.169:
	s_mov_b32 s7, 0x1000000
	v_cmp_le_f32_e64 s[20:21], |v10|, s7
	v_cmp_le_f32_e64 s[22:23], |v11|, s7
	s_and_b64 s[26:27], s[22:23], s[20:21]
	s_mov_b64 s[20:21], 0
	s_and_saveexec_b64 s[22:23], s[26:27]
; %bb.170:
	s_mov_b64 s[20:21], exec
	v_pk_mul_f32 v[10:11], v[10:11], 4.0 op_sel_hi:[1,0]
; %bb.171:
	s_or_b64 exec, exec, s[22:23]
.LBB171_172:
	s_andn2_saveexec_b64 s[4:5], s[4:5]
; %bb.173:
	s_mov_b32 s22, 0x3e800000
	v_pk_mul_f32 v[10:11], v[10:11], s[22:23] op_sel_hi:[1,0]
	s_andn2_b64 s[20:21], s[20:21], exec
; %bb.174:
	s_or_b64 exec, exec, s[4:5]
	v_max_f32_e64 v1, |v11|, |v11|
	v_max_f32_e64 v3, |v10|, |v10|
	v_max_f32_e32 v1, v3, v1
	v_cvt_f64_f32_e32 v[6:7], v1
	v_frexp_exp_i32_f64_e32 v3, v[6:7]
	v_sub_u32_e32 v6, 0, v3
	v_ldexp_f32 v7, |v10|, v6
	v_ldexp_f32 v6, |v11|, v6
	v_mul_f32_e32 v6, v6, v6
	v_fmac_f32_e32 v6, v7, v7
	v_sqrt_f32_e32 v6, v6
	s_mov_b32 s4, 0x7f800000
	v_cmp_neq_f32_e64 s[4:5], s4, v1
	v_cmp_le_f32_e32 vcc, 0, v10
	v_ldexp_f32 v3, v6, v3
	v_mov_b32_e32 v6, 0x7f800000
	v_cndmask_b32_e64 v1, v6, v3, s[4:5]
                                        ; implicit-def: $vgpr6_vgpr7
	s_and_saveexec_b64 s[4:5], vcc
	s_xor_b64 s[22:23], exec, s[4:5]
	s_cbranch_execz .LBB171_176
; %bb.175:
	v_add_f32_e32 v1, v10, v1
	v_mul_f32_e32 v1, 0.5, v1
	s_mov_b32 s4, 0xf800000
	v_mul_f32_e32 v3, 0x4f800000, v1
	v_cmp_gt_f32_e32 vcc, s4, v1
	s_nop 1
	v_cndmask_b32_e32 v1, v1, v3, vcc
	v_sqrt_f32_e32 v3, v1
	s_nop 0
	v_add_u32_e32 v6, -1, v3
	v_fma_f32 v7, -v6, v3, v1
	v_cmp_ge_f32_e64 s[4:5], 0, v7
	v_add_u32_e32 v7, 1, v3
	s_nop 0
	v_cndmask_b32_e64 v6, v3, v6, s[4:5]
	v_fma_f32 v3, -v7, v3, v1
	v_cmp_lt_f32_e64 s[4:5], 0, v3
	s_nop 1
	v_cndmask_b32_e64 v3, v6, v7, s[4:5]
	v_mul_f32_e32 v6, 0x37800000, v3
	v_cndmask_b32_e32 v3, v3, v6, vcc
	v_mov_b32_e32 v6, 0x260
	v_cmp_class_f32_e32 vcc, v1, v6
	s_nop 1
	v_cndmask_b32_e32 v6, v3, v1, vcc
	v_add_f32_e32 v1, v6, v6
	v_div_scale_f32 v3, s[4:5], v1, v1, v11
	v_rcp_f32_e32 v7, v3
	s_nop 0
	v_fma_f32 v10, -v3, v7, 1.0
	v_fmac_f32_e32 v7, v10, v7
	v_div_scale_f32 v10, vcc, v11, v1, v11
	v_mul_f32_e32 v14, v10, v7
	v_fma_f32 v15, -v3, v14, v10
	v_fmac_f32_e32 v14, v15, v7
	v_fma_f32 v3, -v3, v14, v10
	v_div_fmas_f32 v3, v3, v7, v14
	v_div_fixup_f32 v7, v3, v1, v11
                                        ; implicit-def: $vgpr1
                                        ; implicit-def: $vgpr10_vgpr11
	s_andn2_saveexec_b64 s[22:23], s[22:23]
	s_cbranch_execz .LBB171_178
	s_branch .LBB171_177
.LBB171_176:
	s_andn2_saveexec_b64 s[22:23], s[22:23]
	s_cbranch_execz .LBB171_178
.LBB171_177:
	v_sub_f32_e32 v1, v1, v10
	v_mul_f32_e32 v1, 0.5, v1
	s_mov_b32 s4, 0xf800000
	v_mul_f32_e32 v3, 0x4f800000, v1
	v_cmp_gt_f32_e32 vcc, s4, v1
	s_nop 1
	v_cndmask_b32_e32 v1, v1, v3, vcc
	v_sqrt_f32_e32 v3, v1
	s_nop 0
	v_add_u32_e32 v6, -1, v3
	v_fma_f32 v7, -v6, v3, v1
	v_cmp_ge_f32_e64 s[4:5], 0, v7
	v_add_u32_e32 v7, 1, v3
	s_nop 0
	v_cndmask_b32_e64 v6, v3, v6, s[4:5]
	v_fma_f32 v3, -v7, v3, v1
	v_cmp_lt_f32_e64 s[4:5], 0, v3
	s_nop 1
	v_cndmask_b32_e64 v3, v6, v7, s[4:5]
	v_mul_f32_e32 v6, 0x37800000, v3
	v_cndmask_b32_e32 v3, v3, v6, vcc
	v_mov_b32_e32 v6, 0x260
	v_cmp_class_f32_e32 vcc, v1, v6
	v_and_b32_e32 v6, 0x7fffffff, v11
	s_nop 0
	v_cndmask_b32_e32 v1, v3, v1, vcc
	v_add_f32_e32 v3, v1, v1
	v_div_scale_f32 v7, s[4:5], v3, v3, v6
	v_rcp_f32_e32 v10, v7
	v_div_scale_f32 v6, vcc, v6, v3, v6
	s_brev_b32 s4, -2
	v_fma_f32 v14, -v7, v10, 1.0
	v_fmac_f32_e32 v10, v14, v10
	v_mul_f32_e32 v14, v6, v10
	v_fma_f32 v15, -v7, v14, v6
	v_fmac_f32_e32 v14, v15, v10
	v_fma_f32 v6, -v7, v14, v6
	v_div_fmas_f32 v6, v6, v10, v14
	v_div_fixup_f32 v6, v6, v3, |v11|
	v_bfi_b32 v7, s4, v1, v11
.LBB171_178:
	s_or_b64 exec, exec, s[22:23]
                                        ; implicit-def: $vgpr11
                                        ; implicit-def: $vgpr1
	s_and_saveexec_b64 s[4:5], s[2:3]
	s_xor_b64 s[2:3], exec, s[4:5]
	s_cbranch_execz .LBB171_180
; %bb.179:
	v_pk_mul_f32 v[10:11], v[6:7], 0.5 op_sel_hi:[1,0]
	s_nop 0
	v_cndmask_b32_e64 v1, v6, v10, s[20:21]
	v_cndmask_b32_e64 v11, v7, v11, s[20:21]
                                        ; implicit-def: $vgpr6_vgpr7
	s_andn2_saveexec_b64 s[2:3], s[2:3]
	s_cbranch_execnz .LBB171_181
	s_branch .LBB171_182
.LBB171_180:
	s_andn2_saveexec_b64 s[2:3], s[2:3]
.LBB171_181:
	v_pk_add_f32 v[10:11], v[6:7], v[6:7]
	s_nop 0
	v_mov_b32_e32 v1, v10
.LBB171_182:
	s_or_b64 exec, exec, s[2:3]
.LBB171_183:
	s_andn2_saveexec_b64 s[2:3], s[18:19]
	s_cbranch_execz .LBB171_189
; %bb.184:
	v_sub_f32_e32 v3, v11, v11
	v_cmp_lt_i32_e32 vcc, -1, v10
	s_brev_b32 s7, -2
	v_and_b32_e32 v1, 0x7fffffff, v3
	s_and_saveexec_b64 s[4:5], vcc
	s_xor_b64 s[4:5], exec, s[4:5]
; %bb.185:
	v_bfi_b32 v11, s7, v3, v11
	v_mov_b32_e32 v1, v10
; %bb.186:
	s_andn2_saveexec_b64 s[4:5], s[4:5]
; %bb.187:
	v_bfi_b32 v11, s7, v10, v11
; %bb.188:
	s_or_b64 exec, exec, s[4:5]
.LBB171_189:
	s_or_b64 exec, exec, s[2:3]
.LBB171_190:
	s_andn2_saveexec_b64 s[2:3], s[16:17]
	s_cbranch_execz .LBB171_192
; %bb.191:
	v_sub_f32_e32 v1, v11, v11
	v_div_scale_f32 v3, vcc, v1, v1, v1
	v_rcp_f32_e32 v6, v3
	s_nop 0
	v_fma_f32 v7, -v3, v6, 1.0
	v_fmac_f32_e32 v6, v7, v6
	v_mul_f32_e32 v7, v3, v6
	v_fma_f32 v11, -v3, v7, v3
	v_fmac_f32_e32 v7, v11, v6
	v_fma_f32 v3, -v3, v7, v3
	v_div_fmas_f32 v3, v3, v6, v7
	v_div_fixup_f32 v11, v3, v1, v1
	v_mov_b32_e32 v1, v10
.LBB171_192:
	s_or_b64 exec, exec, s[2:3]
.LBB171_193:
	s_or_b64 exec, exec, s[14:15]
.LBB171_194:
	s_or_b64 exec, exec, s[12:13]
	v_cmp_gt_f32_e32 vcc, 0, v11
                                        ; implicit-def: $vgpr6_vgpr7
	s_nop 1
	v_cndmask_b32_e64 v10, v11, -v11, vcc
	v_cmp_gt_f32_e32 vcc, 0, v1
	s_nop 1
	v_cndmask_b32_e64 v3, v1, -v1, vcc
	v_cmp_ge_f32_e32 vcc, v3, v10
	s_and_saveexec_b64 s[2:3], vcc
	s_xor_b64 s[4:5], exec, s[2:3]
	s_cbranch_execz .LBB171_200
; %bb.195:
	v_cmp_neq_f32_e32 vcc, 0, v1
	v_cmp_neq_f32_e64 s[2:3], 0, v11
	s_or_b64 s[2:3], vcc, s[2:3]
                                        ; implicit-def: $vgpr6_vgpr7
	s_and_saveexec_b64 s[12:13], s[2:3]
	s_xor_b64 s[2:3], exec, s[12:13]
	s_cbranch_execz .LBB171_197
; %bb.196:
	v_div_scale_f32 v3, s[12:13], v1, v1, v11
	v_rcp_f32_e32 v6, v3
	v_div_scale_f32 v7, vcc, v11, v1, v11
	v_fma_f32 v10, -v3, v6, 1.0
	v_fmac_f32_e32 v6, v10, v6
	v_mul_f32_e32 v10, v7, v6
	v_fma_f32 v14, -v3, v10, v7
	v_fmac_f32_e32 v10, v14, v6
	v_fma_f32 v3, -v3, v10, v7
	v_div_fmas_f32 v3, v3, v6, v10
	v_div_fixup_f32 v3, v3, v1, v11
	v_fmac_f32_e32 v1, v11, v3
	v_div_scale_f32 v6, s[12:13], v1, v1, 1.0
	v_rcp_f32_e32 v7, v6
	s_nop 0
	v_fma_f32 v10, -v6, v7, 1.0
	v_fmac_f32_e32 v7, v10, v7
	v_div_scale_f32 v10, vcc, 1.0, v1, 1.0
	v_mul_f32_e32 v11, v10, v7
	v_fma_f32 v14, -v6, v11, v10
	v_fmac_f32_e32 v11, v14, v7
	v_fma_f32 v6, -v6, v11, v10
	v_div_fmas_f32 v6, v6, v7, v11
	v_div_fixup_f32 v6, v6, v1, 1.0
	v_mul_f32_e32 v1, 0, v3
	v_add_f32_e32 v10, 1.0, v1
	v_sub_f32_e32 v11, 0, v3
	v_pk_mul_f32 v[6:7], v[10:11], v[6:7] op_sel_hi:[1,0]
                                        ; implicit-def: $vgpr10
                                        ; implicit-def: $vgpr3
.LBB171_197:
	s_andn2_saveexec_b64 s[2:3], s[2:3]
	s_cbranch_execz .LBB171_199
; %bb.198:
	v_div_scale_f32 v1, s[12:13], v10, v10, 0
	v_rcp_f32_e32 v6, v1
	v_div_scale_f32 v7, vcc, 0, v10, 0
	v_fma_f32 v11, -v1, v6, 1.0
	v_fmac_f32_e32 v6, v11, v6
	v_mul_f32_e32 v11, v7, v6
	v_fma_f32 v14, -v1, v11, v7
	v_fmac_f32_e32 v11, v14, v6
	v_div_scale_f32 v14, s[12:13], v3, v3, 1.0
	v_rcp_f32_e32 v15, v14
	v_fma_f32 v1, -v1, v11, v7
	v_div_fmas_f32 v1, v1, v6, v11
	v_div_fixup_f32 v7, v1, v10, 0
	v_fma_f32 v1, -v14, v15, 1.0
	v_fmac_f32_e32 v15, v1, v15
	v_div_scale_f32 v1, vcc, 1.0, v3, 1.0
	v_mul_f32_e32 v6, v1, v15
	v_fma_f32 v10, -v14, v6, v1
	v_fmac_f32_e32 v6, v10, v15
	v_fma_f32 v1, -v14, v6, v1
	v_div_fmas_f32 v1, v1, v15, v6
	v_div_fixup_f32 v6, v1, v3, 1.0
.LBB171_199:
	s_or_b64 exec, exec, s[2:3]
                                        ; implicit-def: $vgpr11
                                        ; implicit-def: $vgpr1
.LBB171_200:
	s_andn2_saveexec_b64 s[2:3], s[4:5]
	s_cbranch_execz .LBB171_202
; %bb.201:
	v_div_scale_f32 v3, s[4:5], v11, v11, v1
	v_rcp_f32_e32 v6, v3
	v_div_scale_f32 v7, vcc, v1, v11, v1
	v_fma_f32 v10, -v3, v6, 1.0
	v_fmac_f32_e32 v6, v10, v6
	v_mul_f32_e32 v10, v7, v6
	v_fma_f32 v14, -v3, v10, v7
	v_fmac_f32_e32 v10, v14, v6
	v_fma_f32 v3, -v3, v10, v7
	v_div_fmas_f32 v3, v3, v6, v10
	v_div_fixup_f32 v6, v3, v11, v1
	v_fmac_f32_e32 v11, v1, v6
	v_div_scale_f32 v1, s[4:5], v11, v11, 1.0
	v_rcp_f32_e32 v3, v1
	s_mov_b32 s4, 0
	s_mov_b32 s5, -1.0
	v_fma_f32 v7, -v1, v3, 1.0
	v_fmac_f32_e32 v3, v7, v3
	v_div_scale_f32 v7, vcc, 1.0, v11, 1.0
	v_mul_f32_e32 v10, v7, v3
	v_fma_f32 v14, -v1, v10, v7
	v_fmac_f32_e32 v10, v14, v3
	v_fma_f32 v1, -v1, v10, v7
	v_div_fmas_f32 v1, v1, v3, v10
	v_mul_f32_e32 v7, 0, v6
	v_div_fixup_f32 v10, v1, v11, 1.0
	v_pk_add_f32 v[6:7], v[6:7], s[4:5]
	s_nop 0
	v_pk_mul_f32 v[6:7], v[6:7], v[10:11] op_sel_hi:[1,0]
.LBB171_202:
	s_or_b64 exec, exec, s[2:3]
.LBB171_203:
	s_or_b64 exec, exec, s[10:11]
	v_or_b32_e32 v1, 0x100, v0
	v_cmp_gt_i32_e32 vcc, s24, v1
	s_waitcnt vmcnt(0)
	v_mov_b32_e32 v11, 0
	v_mov_b32_e32 v10, 0
	s_and_saveexec_b64 s[10:11], vcc
	s_cbranch_execz .LBB171_243
; %bb.204:
	v_cmp_neq_f32_e32 vcc, 0, v12
	v_cmp_neq_f32_e64 s[2:3], 0, v13
	v_mov_b32_e32 v3, 0
	s_or_b64 s[2:3], vcc, s[2:3]
	s_and_saveexec_b64 s[12:13], s[2:3]
	s_cbranch_execz .LBB171_234
; %bb.205:
	v_mov_b32_e32 v3, 0x7f800000
	v_cmp_neq_f32_e64 s[2:3], |v13|, v3
	s_and_saveexec_b64 s[14:15], s[2:3]
	s_cbranch_execz .LBB171_233
; %bb.206:
	v_cmp_o_f32_e32 vcc, v12, v12
                                        ; implicit-def: $vgpr3
	s_and_saveexec_b64 s[2:3], vcc
	s_xor_b64 s[16:17], exec, s[2:3]
	s_cbranch_execz .LBB171_230
; %bb.207:
	s_mov_b32 s2, 0x7f800000
	v_cmp_neq_f32_e64 s[2:3], |v12|, s2
                                        ; implicit-def: $vgpr3
	s_and_saveexec_b64 s[4:5], s[2:3]
	s_xor_b64 s[18:19], exec, s[4:5]
	s_cbranch_execz .LBB171_223
; %bb.208:
	v_max_f32_e64 v3, |v12|, |v12|
	v_max_f32_e64 v10, |v13|, |v13|
	v_max_f32_e32 v3, v10, v3
	s_mov_b32 s2, 0x7ed413cb
	v_cmp_nle_f32_e64 s[2:3], s2, v3
                                        ; implicit-def: $sgpr20_sgpr21
	s_and_saveexec_b64 s[4:5], s[2:3]
	s_xor_b64 s[4:5], exec, s[4:5]
	s_cbranch_execz .LBB171_212
; %bb.209:
	s_mov_b32 s7, 0x1000000
	v_cmp_le_f32_e64 s[20:21], |v12|, s7
	v_cmp_le_f32_e64 s[22:23], |v13|, s7
	s_and_b64 s[26:27], s[22:23], s[20:21]
	s_mov_b64 s[20:21], 0
	s_and_saveexec_b64 s[22:23], s[26:27]
; %bb.210:
	s_mov_b64 s[20:21], exec
	v_pk_mul_f32 v[12:13], v[12:13], 4.0 op_sel_hi:[1,0]
; %bb.211:
	s_or_b64 exec, exec, s[22:23]
.LBB171_212:
	s_andn2_saveexec_b64 s[4:5], s[4:5]
; %bb.213:
	s_mov_b32 s22, 0x3e800000
	v_pk_mul_f32 v[12:13], v[12:13], s[22:23] op_sel_hi:[1,0]
	s_andn2_b64 s[20:21], s[20:21], exec
; %bb.214:
	s_or_b64 exec, exec, s[4:5]
	v_max_f32_e64 v3, |v13|, |v13|
	v_max_f32_e64 v10, |v12|, |v12|
	v_max_f32_e32 v3, v10, v3
	v_cvt_f64_f32_e32 v[10:11], v3
	v_frexp_exp_i32_f64_e32 v10, v[10:11]
	v_sub_u32_e32 v11, 0, v10
	v_ldexp_f32 v14, |v12|, v11
	v_ldexp_f32 v11, |v13|, v11
	v_mul_f32_e32 v11, v11, v11
	v_fmac_f32_e32 v11, v14, v14
	v_sqrt_f32_e32 v11, v11
	s_mov_b32 s4, 0x7f800000
	v_cmp_neq_f32_e64 s[4:5], s4, v3
	v_cmp_le_f32_e32 vcc, 0, v12
	v_ldexp_f32 v10, v11, v10
	v_mov_b32_e32 v11, 0x7f800000
	v_cndmask_b32_e64 v3, v11, v10, s[4:5]
                                        ; implicit-def: $vgpr10_vgpr11
	s_and_saveexec_b64 s[4:5], vcc
	s_xor_b64 s[22:23], exec, s[4:5]
	s_cbranch_execz .LBB171_216
; %bb.215:
	v_add_f32_e32 v3, v12, v3
	v_mul_f32_e32 v3, 0.5, v3
	s_mov_b32 s4, 0xf800000
	v_mul_f32_e32 v10, 0x4f800000, v3
	v_cmp_gt_f32_e32 vcc, s4, v3
	s_nop 1
	v_cndmask_b32_e32 v3, v3, v10, vcc
	v_sqrt_f32_e32 v10, v3
	s_nop 0
	v_add_u32_e32 v11, -1, v10
	v_fma_f32 v12, -v11, v10, v3
	v_cmp_ge_f32_e64 s[4:5], 0, v12
	v_add_u32_e32 v12, 1, v10
	s_nop 0
	v_cndmask_b32_e64 v11, v10, v11, s[4:5]
	v_fma_f32 v10, -v12, v10, v3
	v_cmp_lt_f32_e64 s[4:5], 0, v10
	s_nop 1
	v_cndmask_b32_e64 v10, v11, v12, s[4:5]
	v_mul_f32_e32 v11, 0x37800000, v10
	v_cndmask_b32_e32 v10, v10, v11, vcc
	v_mov_b32_e32 v11, 0x260
	v_cmp_class_f32_e32 vcc, v3, v11
	s_nop 1
	v_cndmask_b32_e32 v10, v10, v3, vcc
	v_add_f32_e32 v3, v10, v10
	v_div_scale_f32 v11, s[4:5], v3, v3, v13
	v_rcp_f32_e32 v12, v11
	s_nop 0
	v_fma_f32 v14, -v11, v12, 1.0
	v_fmac_f32_e32 v12, v14, v12
	v_div_scale_f32 v14, vcc, v13, v3, v13
	v_mul_f32_e32 v15, v14, v12
	v_fma_f32 v16, -v11, v15, v14
	v_fmac_f32_e32 v15, v16, v12
	v_fma_f32 v11, -v11, v15, v14
	v_div_fmas_f32 v11, v11, v12, v15
	v_div_fixup_f32 v11, v11, v3, v13
                                        ; implicit-def: $vgpr3
                                        ; implicit-def: $vgpr12_vgpr13
	s_andn2_saveexec_b64 s[22:23], s[22:23]
	s_cbranch_execz .LBB171_218
	s_branch .LBB171_217
.LBB171_216:
	s_andn2_saveexec_b64 s[22:23], s[22:23]
	s_cbranch_execz .LBB171_218
.LBB171_217:
	v_sub_f32_e32 v3, v3, v12
	v_mul_f32_e32 v3, 0.5, v3
	s_mov_b32 s4, 0xf800000
	v_mul_f32_e32 v10, 0x4f800000, v3
	v_cmp_gt_f32_e32 vcc, s4, v3
	s_nop 1
	v_cndmask_b32_e32 v3, v3, v10, vcc
	v_sqrt_f32_e32 v10, v3
	s_nop 0
	v_add_u32_e32 v11, -1, v10
	v_fma_f32 v12, -v11, v10, v3
	v_cmp_ge_f32_e64 s[4:5], 0, v12
	v_add_u32_e32 v12, 1, v10
	s_nop 0
	v_cndmask_b32_e64 v11, v10, v11, s[4:5]
	v_fma_f32 v10, -v12, v10, v3
	v_cmp_lt_f32_e64 s[4:5], 0, v10
	s_nop 1
	v_cndmask_b32_e64 v10, v11, v12, s[4:5]
	v_mul_f32_e32 v11, 0x37800000, v10
	v_cndmask_b32_e32 v10, v10, v11, vcc
	v_mov_b32_e32 v11, 0x260
	v_cmp_class_f32_e32 vcc, v3, v11
	v_and_b32_e32 v11, 0x7fffffff, v13
	s_nop 0
	v_cndmask_b32_e32 v3, v10, v3, vcc
	v_add_f32_e32 v10, v3, v3
	v_div_scale_f32 v12, s[4:5], v10, v10, v11
	v_rcp_f32_e32 v14, v12
	v_div_scale_f32 v11, vcc, v11, v10, v11
	s_brev_b32 s4, -2
	v_fma_f32 v15, -v12, v14, 1.0
	v_fmac_f32_e32 v14, v15, v14
	v_mul_f32_e32 v15, v11, v14
	v_fma_f32 v16, -v12, v15, v11
	v_fmac_f32_e32 v15, v16, v14
	v_fma_f32 v11, -v12, v15, v11
	v_div_fmas_f32 v11, v11, v14, v15
	v_div_fixup_f32 v10, v11, v10, |v13|
	v_bfi_b32 v11, s4, v3, v13
.LBB171_218:
	s_or_b64 exec, exec, s[22:23]
                                        ; implicit-def: $vgpr13
                                        ; implicit-def: $vgpr3
	s_and_saveexec_b64 s[4:5], s[2:3]
	s_xor_b64 s[2:3], exec, s[4:5]
	s_cbranch_execz .LBB171_220
; %bb.219:
	v_pk_mul_f32 v[12:13], v[10:11], 0.5 op_sel_hi:[1,0]
	s_nop 0
	v_cndmask_b32_e64 v3, v10, v12, s[20:21]
	v_cndmask_b32_e64 v13, v11, v13, s[20:21]
                                        ; implicit-def: $vgpr10_vgpr11
	s_andn2_saveexec_b64 s[2:3], s[2:3]
	s_cbranch_execnz .LBB171_221
	s_branch .LBB171_222
.LBB171_220:
	s_andn2_saveexec_b64 s[2:3], s[2:3]
.LBB171_221:
	v_pk_add_f32 v[12:13], v[10:11], v[10:11]
	s_nop 0
	v_mov_b32_e32 v3, v12
.LBB171_222:
	s_or_b64 exec, exec, s[2:3]
.LBB171_223:
	s_andn2_saveexec_b64 s[2:3], s[18:19]
	s_cbranch_execz .LBB171_229
; %bb.224:
	v_sub_f32_e32 v10, v13, v13
	v_cmp_lt_i32_e32 vcc, -1, v12
	s_brev_b32 s7, -2
	v_and_b32_e32 v3, 0x7fffffff, v10
	s_and_saveexec_b64 s[4:5], vcc
	s_xor_b64 s[4:5], exec, s[4:5]
; %bb.225:
	v_bfi_b32 v13, s7, v10, v13
	v_mov_b32_e32 v3, v12
; %bb.226:
	s_andn2_saveexec_b64 s[4:5], s[4:5]
; %bb.227:
	v_bfi_b32 v13, s7, v12, v13
; %bb.228:
	s_or_b64 exec, exec, s[4:5]
.LBB171_229:
	s_or_b64 exec, exec, s[2:3]
.LBB171_230:
	s_andn2_saveexec_b64 s[2:3], s[16:17]
	s_cbranch_execz .LBB171_232
; %bb.231:
	v_sub_f32_e32 v3, v13, v13
	v_div_scale_f32 v10, vcc, v3, v3, v3
	v_rcp_f32_e32 v11, v10
	s_nop 0
	v_fma_f32 v13, -v10, v11, 1.0
	v_fmac_f32_e32 v11, v13, v11
	v_mul_f32_e32 v13, v10, v11
	v_fma_f32 v14, -v10, v13, v10
	v_fmac_f32_e32 v13, v14, v11
	v_fma_f32 v10, -v10, v13, v10
	v_div_fmas_f32 v10, v10, v11, v13
	v_div_fixup_f32 v13, v10, v3, v3
	v_mov_b32_e32 v3, v12
.LBB171_232:
	s_or_b64 exec, exec, s[2:3]
.LBB171_233:
	s_or_b64 exec, exec, s[14:15]
.LBB171_234:
	s_or_b64 exec, exec, s[12:13]
	v_cmp_gt_f32_e32 vcc, 0, v13
                                        ; implicit-def: $vgpr10_vgpr11
	s_nop 1
	v_cndmask_b32_e64 v14, v13, -v13, vcc
	v_cmp_gt_f32_e32 vcc, 0, v3
	s_nop 1
	v_cndmask_b32_e64 v12, v3, -v3, vcc
	v_cmp_ge_f32_e32 vcc, v12, v14
	s_and_saveexec_b64 s[2:3], vcc
	s_xor_b64 s[4:5], exec, s[2:3]
	s_cbranch_execz .LBB171_240
; %bb.235:
	v_cmp_neq_f32_e32 vcc, 0, v3
	v_cmp_neq_f32_e64 s[2:3], 0, v13
	s_or_b64 s[2:3], vcc, s[2:3]
                                        ; implicit-def: $vgpr10_vgpr11
	s_and_saveexec_b64 s[12:13], s[2:3]
	s_xor_b64 s[2:3], exec, s[12:13]
	s_cbranch_execz .LBB171_237
; %bb.236:
	v_div_scale_f32 v10, s[12:13], v3, v3, v13
	v_rcp_f32_e32 v11, v10
	v_div_scale_f32 v12, vcc, v13, v3, v13
	v_fma_f32 v14, -v10, v11, 1.0
	v_fmac_f32_e32 v11, v14, v11
	v_mul_f32_e32 v14, v12, v11
	v_fma_f32 v15, -v10, v14, v12
	v_fmac_f32_e32 v14, v15, v11
	v_fma_f32 v10, -v10, v14, v12
	v_div_fmas_f32 v10, v10, v11, v14
	v_div_fixup_f32 v11, v10, v3, v13
	v_fmac_f32_e32 v3, v13, v11
	v_div_scale_f32 v10, s[12:13], v3, v3, 1.0
	v_rcp_f32_e32 v12, v10
	s_nop 0
	v_fma_f32 v13, -v10, v12, 1.0
	v_fmac_f32_e32 v12, v13, v12
	v_div_scale_f32 v13, vcc, 1.0, v3, 1.0
	v_mul_f32_e32 v14, v13, v12
	v_fma_f32 v15, -v10, v14, v13
	v_fmac_f32_e32 v14, v15, v12
	v_fma_f32 v10, -v10, v14, v13
	v_div_fmas_f32 v10, v10, v12, v14
	v_div_fixup_f32 v10, v10, v3, 1.0
	v_mul_f32_e32 v3, 0, v11
	v_add_f32_e32 v12, 1.0, v3
	v_sub_f32_e32 v13, 0, v11
	v_pk_mul_f32 v[10:11], v[12:13], v[10:11] op_sel_hi:[1,0]
                                        ; implicit-def: $vgpr14
                                        ; implicit-def: $vgpr12
.LBB171_237:
	s_andn2_saveexec_b64 s[2:3], s[2:3]
	s_cbranch_execz .LBB171_239
; %bb.238:
	v_div_scale_f32 v3, s[12:13], v14, v14, 0
	v_rcp_f32_e32 v10, v3
	v_div_scale_f32 v11, vcc, 0, v14, 0
	v_fma_f32 v13, -v3, v10, 1.0
	v_fmac_f32_e32 v10, v13, v10
	v_mul_f32_e32 v13, v11, v10
	v_fma_f32 v15, -v3, v13, v11
	v_fmac_f32_e32 v13, v15, v10
	v_div_scale_f32 v15, s[12:13], v12, v12, 1.0
	v_rcp_f32_e32 v16, v15
	v_fma_f32 v3, -v3, v13, v11
	v_div_fmas_f32 v3, v3, v10, v13
	v_div_fixup_f32 v11, v3, v14, 0
	v_fma_f32 v3, -v15, v16, 1.0
	v_fmac_f32_e32 v16, v3, v16
	v_div_scale_f32 v3, vcc, 1.0, v12, 1.0
	v_mul_f32_e32 v10, v3, v16
	v_fma_f32 v13, -v15, v10, v3
	v_fmac_f32_e32 v10, v13, v16
	v_fma_f32 v3, -v15, v10, v3
	v_div_fmas_f32 v3, v3, v16, v10
	v_div_fixup_f32 v10, v3, v12, 1.0
.LBB171_239:
	s_or_b64 exec, exec, s[2:3]
                                        ; implicit-def: $vgpr13
                                        ; implicit-def: $vgpr3
.LBB171_240:
	s_andn2_saveexec_b64 s[2:3], s[4:5]
	s_cbranch_execz .LBB171_242
; %bb.241:
	v_div_scale_f32 v10, s[4:5], v13, v13, v3
	v_rcp_f32_e32 v11, v10
	v_div_scale_f32 v12, vcc, v3, v13, v3
	v_fma_f32 v14, -v10, v11, 1.0
	v_fmac_f32_e32 v11, v14, v11
	v_mul_f32_e32 v14, v12, v11
	v_fma_f32 v15, -v10, v14, v12
	v_fmac_f32_e32 v14, v15, v11
	v_fma_f32 v10, -v10, v14, v12
	v_div_fmas_f32 v10, v10, v11, v14
	v_div_fixup_f32 v10, v10, v13, v3
	v_fmac_f32_e32 v13, v3, v10
	v_div_scale_f32 v3, s[4:5], v13, v13, 1.0
	v_rcp_f32_e32 v11, v3
	s_mov_b32 s4, 0
	s_mov_b32 s5, -1.0
	v_fma_f32 v12, -v3, v11, 1.0
	v_fmac_f32_e32 v11, v12, v11
	v_div_scale_f32 v12, vcc, 1.0, v13, 1.0
	v_mul_f32_e32 v14, v12, v11
	v_fma_f32 v15, -v3, v14, v12
	v_fmac_f32_e32 v14, v15, v11
	v_fma_f32 v3, -v3, v14, v12
	v_div_fmas_f32 v3, v3, v11, v14
	v_mul_f32_e32 v11, 0, v10
	v_div_fixup_f32 v12, v3, v13, 1.0
	v_pk_add_f32 v[10:11], v[10:11], s[4:5]
	s_nop 0
	v_pk_mul_f32 v[10:11], v[10:11], v[12:13] op_sel_hi:[1,0]
.LBB171_242:
	s_or_b64 exec, exec, s[2:3]
.LBB171_243:
	s_or_b64 exec, exec, s[10:11]
	v_or_b32_e32 v3, 0x200, v0
	v_cmp_gt_i32_e32 vcc, s24, v3
	v_mov_b32_e32 v13, 0
	v_mov_b32_e32 v12, 0
	s_and_saveexec_b64 s[10:11], vcc
	s_cbranch_execz .LBB171_283
; %bb.244:
	v_cmp_neq_f32_e32 vcc, 0, v8
	v_cmp_neq_f32_e64 s[2:3], 0, v9
	v_mov_b32_e32 v3, 0
	s_or_b64 s[2:3], vcc, s[2:3]
	s_and_saveexec_b64 s[12:13], s[2:3]
	s_cbranch_execz .LBB171_274
; %bb.245:
	v_mov_b32_e32 v3, 0x7f800000
	v_cmp_neq_f32_e64 s[2:3], |v9|, v3
	s_and_saveexec_b64 s[14:15], s[2:3]
	s_cbranch_execz .LBB171_273
; %bb.246:
	v_cmp_o_f32_e32 vcc, v8, v8
                                        ; implicit-def: $vgpr3
	s_and_saveexec_b64 s[2:3], vcc
	s_xor_b64 s[16:17], exec, s[2:3]
	s_cbranch_execz .LBB171_270
; %bb.247:
	s_mov_b32 s2, 0x7f800000
	v_cmp_neq_f32_e64 s[2:3], |v8|, s2
                                        ; implicit-def: $vgpr3
	s_and_saveexec_b64 s[4:5], s[2:3]
	s_xor_b64 s[18:19], exec, s[4:5]
	s_cbranch_execz .LBB171_263
; %bb.248:
	v_max_f32_e64 v3, |v8|, |v8|
	v_max_f32_e64 v12, |v9|, |v9|
	v_max_f32_e32 v3, v12, v3
	s_mov_b32 s2, 0x7ed413cb
	v_cmp_nle_f32_e64 s[2:3], s2, v3
                                        ; implicit-def: $sgpr20_sgpr21
	s_and_saveexec_b64 s[4:5], s[2:3]
	s_xor_b64 s[4:5], exec, s[4:5]
	s_cbranch_execz .LBB171_252
; %bb.249:
	s_mov_b32 s7, 0x1000000
	v_cmp_le_f32_e64 s[20:21], |v8|, s7
	v_cmp_le_f32_e64 s[22:23], |v9|, s7
	s_and_b64 s[26:27], s[22:23], s[20:21]
	s_mov_b64 s[20:21], 0
	s_and_saveexec_b64 s[22:23], s[26:27]
; %bb.250:
	s_mov_b64 s[20:21], exec
	v_pk_mul_f32 v[8:9], v[8:9], 4.0 op_sel_hi:[1,0]
; %bb.251:
	s_or_b64 exec, exec, s[22:23]
.LBB171_252:
	s_andn2_saveexec_b64 s[4:5], s[4:5]
; %bb.253:
	s_mov_b32 s22, 0x3e800000
	v_pk_mul_f32 v[8:9], v[8:9], s[22:23] op_sel_hi:[1,0]
	s_andn2_b64 s[20:21], s[20:21], exec
; %bb.254:
	s_or_b64 exec, exec, s[4:5]
	v_max_f32_e64 v3, |v9|, |v9|
	v_max_f32_e64 v12, |v8|, |v8|
	v_max_f32_e32 v3, v12, v3
	v_cvt_f64_f32_e32 v[12:13], v3
	v_frexp_exp_i32_f64_e32 v12, v[12:13]
	v_sub_u32_e32 v13, 0, v12
	v_ldexp_f32 v14, |v8|, v13
	v_ldexp_f32 v13, |v9|, v13
	v_mul_f32_e32 v13, v13, v13
	v_fmac_f32_e32 v13, v14, v14
	v_sqrt_f32_e32 v13, v13
	s_mov_b32 s4, 0x7f800000
	v_cmp_neq_f32_e64 s[4:5], s4, v3
	v_cmp_le_f32_e32 vcc, 0, v8
	v_ldexp_f32 v12, v13, v12
	v_mov_b32_e32 v13, 0x7f800000
	v_cndmask_b32_e64 v3, v13, v12, s[4:5]
                                        ; implicit-def: $vgpr12_vgpr13
	s_and_saveexec_b64 s[4:5], vcc
	s_xor_b64 s[22:23], exec, s[4:5]
	s_cbranch_execz .LBB171_256
; %bb.255:
	v_add_f32_e32 v3, v8, v3
	v_mul_f32_e32 v3, 0.5, v3
	s_mov_b32 s4, 0xf800000
	v_mul_f32_e32 v8, 0x4f800000, v3
	v_cmp_gt_f32_e32 vcc, s4, v3
	s_nop 1
	v_cndmask_b32_e32 v3, v3, v8, vcc
	v_sqrt_f32_e32 v8, v3
	s_nop 0
	v_add_u32_e32 v12, -1, v8
	v_fma_f32 v13, -v12, v8, v3
	v_cmp_ge_f32_e64 s[4:5], 0, v13
	v_add_u32_e32 v13, 1, v8
	s_nop 0
	v_cndmask_b32_e64 v12, v8, v12, s[4:5]
	v_fma_f32 v8, -v13, v8, v3
	v_cmp_lt_f32_e64 s[4:5], 0, v8
	s_nop 1
	v_cndmask_b32_e64 v8, v12, v13, s[4:5]
	v_mul_f32_e32 v12, 0x37800000, v8
	v_cndmask_b32_e32 v8, v8, v12, vcc
	v_mov_b32_e32 v12, 0x260
	v_cmp_class_f32_e32 vcc, v3, v12
	s_nop 1
	v_cndmask_b32_e32 v12, v8, v3, vcc
	v_add_f32_e32 v3, v12, v12
	v_div_scale_f32 v8, s[4:5], v3, v3, v9
	v_rcp_f32_e32 v13, v8
	s_nop 0
	v_fma_f32 v14, -v8, v13, 1.0
	v_fmac_f32_e32 v13, v14, v13
	v_div_scale_f32 v14, vcc, v9, v3, v9
	v_mul_f32_e32 v15, v14, v13
	v_fma_f32 v16, -v8, v15, v14
	v_fmac_f32_e32 v15, v16, v13
	v_fma_f32 v8, -v8, v15, v14
	v_div_fmas_f32 v8, v8, v13, v15
	v_div_fixup_f32 v13, v8, v3, v9
                                        ; implicit-def: $vgpr3
                                        ; implicit-def: $vgpr8_vgpr9
	s_andn2_saveexec_b64 s[22:23], s[22:23]
	s_cbranch_execz .LBB171_258
	s_branch .LBB171_257
.LBB171_256:
	s_andn2_saveexec_b64 s[22:23], s[22:23]
	s_cbranch_execz .LBB171_258
.LBB171_257:
	v_sub_f32_e32 v3, v3, v8
	v_mul_f32_e32 v3, 0.5, v3
	s_mov_b32 s4, 0xf800000
	v_mul_f32_e32 v8, 0x4f800000, v3
	v_cmp_gt_f32_e32 vcc, s4, v3
	s_nop 1
	v_cndmask_b32_e32 v3, v3, v8, vcc
	v_sqrt_f32_e32 v8, v3
	s_nop 0
	v_add_u32_e32 v12, -1, v8
	v_fma_f32 v13, -v12, v8, v3
	v_cmp_ge_f32_e64 s[4:5], 0, v13
	v_add_u32_e32 v13, 1, v8
	s_nop 0
	v_cndmask_b32_e64 v12, v8, v12, s[4:5]
	v_fma_f32 v8, -v13, v8, v3
	v_cmp_lt_f32_e64 s[4:5], 0, v8
	s_nop 1
	v_cndmask_b32_e64 v8, v12, v13, s[4:5]
	v_mul_f32_e32 v12, 0x37800000, v8
	v_cndmask_b32_e32 v8, v8, v12, vcc
	v_mov_b32_e32 v12, 0x260
	v_cmp_class_f32_e32 vcc, v3, v12
	v_and_b32_e32 v12, 0x7fffffff, v9
	s_nop 0
	v_cndmask_b32_e32 v3, v8, v3, vcc
	v_add_f32_e32 v8, v3, v3
	v_div_scale_f32 v13, s[4:5], v8, v8, v12
	v_rcp_f32_e32 v14, v13
	v_div_scale_f32 v12, vcc, v12, v8, v12
	s_brev_b32 s4, -2
	v_fma_f32 v15, -v13, v14, 1.0
	v_fmac_f32_e32 v14, v15, v14
	v_mul_f32_e32 v15, v12, v14
	v_fma_f32 v16, -v13, v15, v12
	v_fmac_f32_e32 v15, v16, v14
	v_fma_f32 v12, -v13, v15, v12
	v_div_fmas_f32 v12, v12, v14, v15
	v_div_fixup_f32 v12, v12, v8, |v9|
	v_bfi_b32 v13, s4, v3, v9
.LBB171_258:
	s_or_b64 exec, exec, s[22:23]
                                        ; implicit-def: $vgpr9
                                        ; implicit-def: $vgpr3
	s_and_saveexec_b64 s[4:5], s[2:3]
	s_xor_b64 s[2:3], exec, s[4:5]
	s_cbranch_execz .LBB171_260
; %bb.259:
	v_pk_mul_f32 v[8:9], v[12:13], 0.5 op_sel_hi:[1,0]
	s_nop 0
	v_cndmask_b32_e64 v3, v12, v8, s[20:21]
	v_cndmask_b32_e64 v9, v13, v9, s[20:21]
                                        ; implicit-def: $vgpr12_vgpr13
	s_andn2_saveexec_b64 s[2:3], s[2:3]
	s_cbranch_execnz .LBB171_261
	s_branch .LBB171_262
.LBB171_260:
	s_andn2_saveexec_b64 s[2:3], s[2:3]
.LBB171_261:
	v_pk_add_f32 v[8:9], v[12:13], v[12:13]
	s_nop 0
	v_mov_b32_e32 v3, v8
.LBB171_262:
	s_or_b64 exec, exec, s[2:3]
.LBB171_263:
	s_andn2_saveexec_b64 s[2:3], s[18:19]
	s_cbranch_execz .LBB171_269
; %bb.264:
	v_sub_f32_e32 v12, v9, v9
	v_cmp_lt_i32_e32 vcc, -1, v8
	s_brev_b32 s7, -2
	v_and_b32_e32 v3, 0x7fffffff, v12
	s_and_saveexec_b64 s[4:5], vcc
	s_xor_b64 s[4:5], exec, s[4:5]
; %bb.265:
	v_bfi_b32 v9, s7, v12, v9
	v_mov_b32_e32 v3, v8
; %bb.266:
	s_andn2_saveexec_b64 s[4:5], s[4:5]
; %bb.267:
	v_bfi_b32 v9, s7, v8, v9
; %bb.268:
	s_or_b64 exec, exec, s[4:5]
.LBB171_269:
	s_or_b64 exec, exec, s[2:3]
.LBB171_270:
	s_andn2_saveexec_b64 s[2:3], s[16:17]
	s_cbranch_execz .LBB171_272
; %bb.271:
	v_sub_f32_e32 v3, v9, v9
	v_div_scale_f32 v9, vcc, v3, v3, v3
	v_rcp_f32_e32 v12, v9
	s_nop 0
	v_fma_f32 v13, -v9, v12, 1.0
	v_fmac_f32_e32 v12, v13, v12
	v_mul_f32_e32 v13, v9, v12
	v_fma_f32 v14, -v9, v13, v9
	v_fmac_f32_e32 v13, v14, v12
	v_fma_f32 v9, -v9, v13, v9
	v_div_fmas_f32 v9, v9, v12, v13
	v_div_fixup_f32 v9, v9, v3, v3
	v_mov_b32_e32 v3, v8
.LBB171_272:
	s_or_b64 exec, exec, s[2:3]
.LBB171_273:
	s_or_b64 exec, exec, s[14:15]
.LBB171_274:
	s_or_b64 exec, exec, s[12:13]
	v_cmp_gt_f32_e32 vcc, 0, v9
                                        ; implicit-def: $vgpr12_vgpr13
	s_nop 1
	v_cndmask_b32_e64 v14, v9, -v9, vcc
	v_cmp_gt_f32_e32 vcc, 0, v3
	s_nop 1
	v_cndmask_b32_e64 v8, v3, -v3, vcc
	v_cmp_ge_f32_e32 vcc, v8, v14
	s_and_saveexec_b64 s[2:3], vcc
	s_xor_b64 s[4:5], exec, s[2:3]
	s_cbranch_execz .LBB171_280
; %bb.275:
	v_cmp_neq_f32_e32 vcc, 0, v3
	v_cmp_neq_f32_e64 s[2:3], 0, v9
	s_or_b64 s[2:3], vcc, s[2:3]
                                        ; implicit-def: $vgpr12_vgpr13
	s_and_saveexec_b64 s[12:13], s[2:3]
	s_xor_b64 s[2:3], exec, s[12:13]
	s_cbranch_execz .LBB171_277
; %bb.276:
	v_div_scale_f32 v8, s[12:13], v3, v3, v9
	v_rcp_f32_e32 v12, v8
	v_div_scale_f32 v13, vcc, v9, v3, v9
	v_fma_f32 v14, -v8, v12, 1.0
	v_fmac_f32_e32 v12, v14, v12
	v_mul_f32_e32 v14, v13, v12
	v_fma_f32 v15, -v8, v14, v13
	v_fmac_f32_e32 v14, v15, v12
	v_fma_f32 v8, -v8, v14, v13
	v_div_fmas_f32 v8, v8, v12, v14
	v_div_fixup_f32 v13, v8, v3, v9
	v_fmac_f32_e32 v3, v9, v13
	v_div_scale_f32 v8, s[12:13], v3, v3, 1.0
	v_rcp_f32_e32 v9, v8
	s_nop 0
	v_fma_f32 v12, -v8, v9, 1.0
	v_fmac_f32_e32 v9, v12, v9
	v_div_scale_f32 v12, vcc, 1.0, v3, 1.0
	v_mul_f32_e32 v14, v12, v9
	v_fma_f32 v15, -v8, v14, v12
	v_fmac_f32_e32 v14, v15, v9
	v_fma_f32 v8, -v8, v14, v12
	v_div_fmas_f32 v8, v8, v9, v14
	v_div_fixup_f32 v8, v8, v3, 1.0
	v_mul_f32_e32 v3, 0, v13
	v_add_f32_e32 v12, 1.0, v3
	v_sub_f32_e32 v13, 0, v13
	v_pk_mul_f32 v[12:13], v[12:13], v[8:9] op_sel_hi:[1,0]
                                        ; implicit-def: $vgpr14
                                        ; implicit-def: $vgpr8
.LBB171_277:
	s_andn2_saveexec_b64 s[2:3], s[2:3]
	s_cbranch_execz .LBB171_279
; %bb.278:
	v_div_scale_f32 v3, s[12:13], v14, v14, 0
	v_rcp_f32_e32 v9, v3
	v_div_scale_f32 v12, vcc, 0, v14, 0
	v_fma_f32 v13, -v3, v9, 1.0
	v_fmac_f32_e32 v9, v13, v9
	v_mul_f32_e32 v13, v12, v9
	v_fma_f32 v15, -v3, v13, v12
	v_fmac_f32_e32 v13, v15, v9
	v_fma_f32 v3, -v3, v13, v12
	v_div_scale_f32 v12, s[12:13], v8, v8, 1.0
	v_rcp_f32_e32 v15, v12
	v_div_fmas_f32 v3, v3, v9, v13
	v_div_fixup_f32 v13, v3, v14, 0
	v_fma_f32 v3, -v12, v15, 1.0
	v_fmac_f32_e32 v15, v3, v15
	v_div_scale_f32 v3, vcc, 1.0, v8, 1.0
	v_mul_f32_e32 v9, v3, v15
	v_fma_f32 v14, -v12, v9, v3
	v_fmac_f32_e32 v9, v14, v15
	v_fma_f32 v3, -v12, v9, v3
	v_div_fmas_f32 v3, v3, v15, v9
	v_div_fixup_f32 v12, v3, v8, 1.0
.LBB171_279:
	s_or_b64 exec, exec, s[2:3]
                                        ; implicit-def: $vgpr9
                                        ; implicit-def: $vgpr3
.LBB171_280:
	s_andn2_saveexec_b64 s[2:3], s[4:5]
	s_cbranch_execz .LBB171_282
; %bb.281:
	v_div_scale_f32 v8, s[4:5], v9, v9, v3
	v_rcp_f32_e32 v12, v8
	v_div_scale_f32 v13, vcc, v3, v9, v3
	v_fma_f32 v14, -v8, v12, 1.0
	v_fmac_f32_e32 v12, v14, v12
	v_mul_f32_e32 v14, v13, v12
	v_fma_f32 v15, -v8, v14, v13
	v_fmac_f32_e32 v14, v15, v12
	v_fma_f32 v8, -v8, v14, v13
	v_div_fmas_f32 v8, v8, v12, v14
	v_div_fixup_f32 v8, v8, v9, v3
	v_fmac_f32_e32 v9, v3, v8
	v_div_scale_f32 v3, s[4:5], v9, v9, 1.0
	v_rcp_f32_e32 v12, v3
	s_mov_b32 s4, 0
	s_mov_b32 s5, -1.0
	v_fma_f32 v13, -v3, v12, 1.0
	v_fmac_f32_e32 v12, v13, v12
	v_div_scale_f32 v13, vcc, 1.0, v9, 1.0
	v_mul_f32_e32 v14, v13, v12
	v_fma_f32 v15, -v3, v14, v13
	v_fmac_f32_e32 v14, v15, v12
	v_fma_f32 v3, -v3, v14, v13
	v_div_fmas_f32 v3, v3, v12, v14
	v_div_fixup_f32 v12, v3, v9, 1.0
	v_mul_f32_e32 v9, 0, v8
	v_pk_add_f32 v[8:9], v[8:9], s[4:5]
	s_nop 0
	v_pk_mul_f32 v[12:13], v[8:9], v[12:13] op_sel_hi:[1,0]
.LBB171_282:
	s_or_b64 exec, exec, s[2:3]
.LBB171_283:
	s_or_b64 exec, exec, s[10:11]
	v_or_b32_e32 v3, 0x300, v0
	v_cmp_gt_i32_e32 vcc, s24, v3
	v_mov_b32_e32 v9, 0
	v_mov_b32_e32 v8, 0
	s_and_saveexec_b64 s[10:11], vcc
	s_cbranch_execz .LBB171_296
; %bb.284:
	v_cmp_neq_f32_e32 vcc, 0, v4
	v_cmp_neq_f32_e64 s[2:3], 0, v5
	v_mov_b32_e32 v3, 0
	s_or_b64 s[2:3], vcc, s[2:3]
	s_and_saveexec_b64 s[12:13], s[2:3]
	s_cbranch_execz .LBB171_318
; %bb.285:
	v_mov_b32_e32 v3, 0x7f800000
	v_cmp_neq_f32_e64 s[2:3], |v5|, v3
	s_and_saveexec_b64 s[14:15], s[2:3]
	s_cbranch_execz .LBB171_317
; %bb.286:
	v_cmp_o_f32_e32 vcc, v4, v4
                                        ; implicit-def: $vgpr3
	s_and_saveexec_b64 s[2:3], vcc
	s_xor_b64 s[16:17], exec, s[2:3]
	s_cbranch_execz .LBB171_314
; %bb.287:
	s_mov_b32 s2, 0x7f800000
	v_cmp_neq_f32_e64 s[2:3], |v4|, s2
                                        ; implicit-def: $vgpr3
	s_and_saveexec_b64 s[4:5], s[2:3]
	s_xor_b64 s[18:19], exec, s[4:5]
	s_cbranch_execz .LBB171_307
; %bb.288:
	v_max_f32_e64 v3, |v4|, |v4|
	v_max_f32_e64 v8, |v5|, |v5|
	v_max_f32_e32 v3, v8, v3
	s_mov_b32 s2, 0x7ed413cb
	v_cmp_nle_f32_e64 s[2:3], s2, v3
                                        ; implicit-def: $sgpr20_sgpr21
	s_and_saveexec_b64 s[4:5], s[2:3]
	s_xor_b64 s[4:5], exec, s[4:5]
	s_cbranch_execz .LBB171_292
; %bb.289:
	s_mov_b32 s7, 0x1000000
	v_cmp_le_f32_e64 s[20:21], |v4|, s7
	v_cmp_le_f32_e64 s[22:23], |v5|, s7
	s_and_b64 s[26:27], s[22:23], s[20:21]
	s_mov_b64 s[20:21], 0
	s_and_saveexec_b64 s[22:23], s[26:27]
; %bb.290:
	s_mov_b64 s[20:21], exec
	v_pk_mul_f32 v[4:5], v[4:5], 4.0 op_sel_hi:[1,0]
; %bb.291:
	s_or_b64 exec, exec, s[22:23]
.LBB171_292:
	s_andn2_saveexec_b64 s[4:5], s[4:5]
; %bb.293:
	s_mov_b32 s22, 0x3e800000
	v_pk_mul_f32 v[4:5], v[4:5], s[22:23] op_sel_hi:[1,0]
	s_andn2_b64 s[20:21], s[20:21], exec
; %bb.294:
	s_or_b64 exec, exec, s[4:5]
	v_max_f32_e64 v3, |v5|, |v5|
	v_max_f32_e64 v8, |v4|, |v4|
	v_max_f32_e32 v3, v8, v3
	v_cvt_f64_f32_e32 v[8:9], v3
	v_frexp_exp_i32_f64_e32 v8, v[8:9]
	v_sub_u32_e32 v9, 0, v8
	v_ldexp_f32 v14, |v4|, v9
	v_ldexp_f32 v9, |v5|, v9
	v_mul_f32_e32 v9, v9, v9
	v_fmac_f32_e32 v9, v14, v14
	v_sqrt_f32_e32 v9, v9
	s_mov_b32 s4, 0x7f800000
	v_cmp_neq_f32_e64 s[4:5], s4, v3
	v_cmp_le_f32_e32 vcc, 0, v4
	v_ldexp_f32 v8, v9, v8
	v_mov_b32_e32 v9, 0x7f800000
	v_cndmask_b32_e64 v3, v9, v8, s[4:5]
                                        ; implicit-def: $vgpr8_vgpr9
	s_and_saveexec_b64 s[4:5], vcc
	s_xor_b64 s[22:23], exec, s[4:5]
	s_cbranch_execz .LBB171_300
; %bb.295:
	v_add_f32_e32 v3, v4, v3
	v_mul_f32_e32 v3, 0.5, v3
	s_mov_b32 s4, 0xf800000
	v_mul_f32_e32 v4, 0x4f800000, v3
	v_cmp_gt_f32_e32 vcc, s4, v3
	s_nop 1
	v_cndmask_b32_e32 v3, v3, v4, vcc
	v_sqrt_f32_e32 v4, v3
	s_nop 0
	v_add_u32_e32 v8, -1, v4
	v_fma_f32 v9, -v8, v4, v3
	v_cmp_ge_f32_e64 s[4:5], 0, v9
	v_add_u32_e32 v9, 1, v4
	s_nop 0
	v_cndmask_b32_e64 v8, v4, v8, s[4:5]
	v_fma_f32 v4, -v9, v4, v3
	v_cmp_lt_f32_e64 s[4:5], 0, v4
	s_nop 1
	v_cndmask_b32_e64 v4, v8, v9, s[4:5]
	v_mul_f32_e32 v8, 0x37800000, v4
	v_cndmask_b32_e32 v4, v4, v8, vcc
	v_mov_b32_e32 v8, 0x260
	v_cmp_class_f32_e32 vcc, v3, v8
	s_nop 1
	v_cndmask_b32_e32 v8, v4, v3, vcc
	v_add_f32_e32 v3, v8, v8
	v_div_scale_f32 v4, s[4:5], v3, v3, v5
	v_rcp_f32_e32 v9, v4
	s_nop 0
	v_fma_f32 v14, -v4, v9, 1.0
	v_fmac_f32_e32 v9, v14, v9
	v_div_scale_f32 v14, vcc, v5, v3, v5
	v_mul_f32_e32 v15, v14, v9
	v_fma_f32 v16, -v4, v15, v14
	v_fmac_f32_e32 v15, v16, v9
	v_fma_f32 v4, -v4, v15, v14
	v_div_fmas_f32 v4, v4, v9, v15
	v_div_fixup_f32 v9, v4, v3, v5
                                        ; implicit-def: $vgpr3
                                        ; implicit-def: $vgpr4_vgpr5
	s_andn2_saveexec_b64 s[22:23], s[22:23]
	s_cbranch_execz .LBB171_302
	s_branch .LBB171_301
.LBB171_296:
	s_or_b64 exec, exec, s[10:11]
	s_and_saveexec_b64 s[2:3], s[0:1]
	s_xor_b64 s[0:1], exec, s[2:3]
	s_cbranch_execz .LBB171_327
.LBB171_297:
	v_mov_b32_e32 v3, 0
	v_lshl_add_u64 v[2:3], v[2:3], 3, s[8:9]
	v_mov_b32_e32 v0, v1
	global_store_dwordx2 v[2:3], v[6:7], off
	s_or_b64 exec, exec, s[0:1]
	v_cmp_gt_i32_e32 vcc, s24, v0
	s_and_saveexec_b64 s[0:1], vcc
	s_cbranch_execnz .LBB171_328
.LBB171_298:
	s_or_b64 exec, exec, s[0:1]
	v_cmp_gt_i32_e32 vcc, s24, v0
	s_and_saveexec_b64 s[0:1], vcc
	s_cbranch_execz .LBB171_329
.LBB171_299:
	v_add_u32_e32 v2, 0x100, v0
	v_add_u32_e32 v0, s6, v0
	v_mov_b32_e32 v1, 0
	v_lshl_add_u64 v[0:1], v[0:1], 3, s[8:9]
	global_store_dwordx2 v[0:1], v[12:13], off
	v_mov_b32_e32 v0, v2
	s_or_b64 exec, exec, s[0:1]
	v_cmp_gt_i32_e32 vcc, s24, v0
	s_and_saveexec_b64 s[0:1], vcc
	s_cbranch_execnz .LBB171_330
	s_branch .LBB171_331
.LBB171_300:
	s_andn2_saveexec_b64 s[22:23], s[22:23]
	s_cbranch_execz .LBB171_302
.LBB171_301:
	v_sub_f32_e32 v3, v3, v4
	v_mul_f32_e32 v3, 0.5, v3
	s_mov_b32 s4, 0xf800000
	v_mul_f32_e32 v4, 0x4f800000, v3
	v_cmp_gt_f32_e32 vcc, s4, v3
	s_nop 1
	v_cndmask_b32_e32 v3, v3, v4, vcc
	v_sqrt_f32_e32 v4, v3
	s_nop 0
	v_add_u32_e32 v8, -1, v4
	v_fma_f32 v9, -v8, v4, v3
	v_cmp_ge_f32_e64 s[4:5], 0, v9
	v_add_u32_e32 v9, 1, v4
	s_nop 0
	v_cndmask_b32_e64 v8, v4, v8, s[4:5]
	v_fma_f32 v4, -v9, v4, v3
	v_cmp_lt_f32_e64 s[4:5], 0, v4
	s_nop 1
	v_cndmask_b32_e64 v4, v8, v9, s[4:5]
	v_mul_f32_e32 v8, 0x37800000, v4
	v_cndmask_b32_e32 v4, v4, v8, vcc
	v_mov_b32_e32 v8, 0x260
	v_cmp_class_f32_e32 vcc, v3, v8
	v_and_b32_e32 v8, 0x7fffffff, v5
	s_nop 0
	v_cndmask_b32_e32 v3, v4, v3, vcc
	v_add_f32_e32 v4, v3, v3
	v_div_scale_f32 v9, s[4:5], v4, v4, v8
	v_rcp_f32_e32 v14, v9
	v_div_scale_f32 v8, vcc, v8, v4, v8
	s_brev_b32 s4, -2
	v_fma_f32 v15, -v9, v14, 1.0
	v_fmac_f32_e32 v14, v15, v14
	v_mul_f32_e32 v15, v8, v14
	v_fma_f32 v16, -v9, v15, v8
	v_fmac_f32_e32 v15, v16, v14
	v_fma_f32 v8, -v9, v15, v8
	v_div_fmas_f32 v8, v8, v14, v15
	v_div_fixup_f32 v8, v8, v4, |v5|
	v_bfi_b32 v9, s4, v3, v5
.LBB171_302:
	s_or_b64 exec, exec, s[22:23]
                                        ; implicit-def: $vgpr5
                                        ; implicit-def: $vgpr3
	s_and_saveexec_b64 s[4:5], s[2:3]
	s_xor_b64 s[2:3], exec, s[4:5]
	s_cbranch_execz .LBB171_304
; %bb.303:
	v_pk_mul_f32 v[4:5], v[8:9], 0.5 op_sel_hi:[1,0]
	s_nop 0
	v_cndmask_b32_e64 v3, v8, v4, s[20:21]
	v_cndmask_b32_e64 v5, v9, v5, s[20:21]
                                        ; implicit-def: $vgpr8_vgpr9
	s_andn2_saveexec_b64 s[2:3], s[2:3]
	s_cbranch_execnz .LBB171_305
	s_branch .LBB171_306
.LBB171_304:
	s_andn2_saveexec_b64 s[2:3], s[2:3]
.LBB171_305:
	v_pk_add_f32 v[4:5], v[8:9], v[8:9]
	s_nop 0
	v_mov_b32_e32 v3, v4
.LBB171_306:
	s_or_b64 exec, exec, s[2:3]
.LBB171_307:
	s_andn2_saveexec_b64 s[2:3], s[18:19]
	s_cbranch_execz .LBB171_313
; %bb.308:
	v_sub_f32_e32 v8, v5, v5
	v_cmp_lt_i32_e32 vcc, -1, v4
	s_brev_b32 s7, -2
	v_and_b32_e32 v3, 0x7fffffff, v8
	s_and_saveexec_b64 s[4:5], vcc
	s_xor_b64 s[4:5], exec, s[4:5]
; %bb.309:
	v_bfi_b32 v5, s7, v8, v5
	v_mov_b32_e32 v3, v4
; %bb.310:
	s_andn2_saveexec_b64 s[4:5], s[4:5]
; %bb.311:
	v_bfi_b32 v5, s7, v4, v5
; %bb.312:
	s_or_b64 exec, exec, s[4:5]
.LBB171_313:
	s_or_b64 exec, exec, s[2:3]
.LBB171_314:
	s_andn2_saveexec_b64 s[2:3], s[16:17]
	s_cbranch_execz .LBB171_316
; %bb.315:
	v_sub_f32_e32 v3, v5, v5
	v_div_scale_f32 v5, vcc, v3, v3, v3
	v_rcp_f32_e32 v8, v5
	s_nop 0
	v_fma_f32 v9, -v5, v8, 1.0
	v_fmac_f32_e32 v8, v9, v8
	v_mul_f32_e32 v9, v5, v8
	v_fma_f32 v14, -v5, v9, v5
	v_fmac_f32_e32 v9, v14, v8
	v_fma_f32 v5, -v5, v9, v5
	v_div_fmas_f32 v5, v5, v8, v9
	v_div_fixup_f32 v5, v5, v3, v3
	v_mov_b32_e32 v3, v4
.LBB171_316:
	s_or_b64 exec, exec, s[2:3]
.LBB171_317:
	s_or_b64 exec, exec, s[14:15]
.LBB171_318:
	s_or_b64 exec, exec, s[12:13]
	v_cmp_gt_f32_e32 vcc, 0, v5
                                        ; implicit-def: $vgpr8_vgpr9
	s_nop 1
	v_cndmask_b32_e64 v14, v5, -v5, vcc
	v_cmp_gt_f32_e32 vcc, 0, v3
	s_nop 1
	v_cndmask_b32_e64 v4, v3, -v3, vcc
	v_cmp_ge_f32_e32 vcc, v4, v14
	s_and_saveexec_b64 s[2:3], vcc
	s_xor_b64 s[4:5], exec, s[2:3]
	s_cbranch_execz .LBB171_324
; %bb.319:
	v_cmp_neq_f32_e32 vcc, 0, v3
	v_cmp_neq_f32_e64 s[2:3], 0, v5
	s_or_b64 s[2:3], vcc, s[2:3]
                                        ; implicit-def: $vgpr8_vgpr9
	s_and_saveexec_b64 s[12:13], s[2:3]
	s_xor_b64 s[2:3], exec, s[12:13]
	s_cbranch_execz .LBB171_321
; %bb.320:
	v_div_scale_f32 v4, s[12:13], v3, v3, v5
	v_rcp_f32_e32 v8, v4
	v_div_scale_f32 v9, vcc, v5, v3, v5
	v_fma_f32 v14, -v4, v8, 1.0
	v_fmac_f32_e32 v8, v14, v8
	v_mul_f32_e32 v14, v9, v8
	v_fma_f32 v15, -v4, v14, v9
	v_fmac_f32_e32 v14, v15, v8
	v_fma_f32 v4, -v4, v14, v9
	v_div_fmas_f32 v4, v4, v8, v14
	v_div_fixup_f32 v9, v4, v3, v5
	v_fmac_f32_e32 v3, v5, v9
	v_div_scale_f32 v4, s[12:13], v3, v3, 1.0
	v_rcp_f32_e32 v5, v4
	s_nop 0
	v_fma_f32 v8, -v4, v5, 1.0
	v_fmac_f32_e32 v5, v8, v5
	v_div_scale_f32 v8, vcc, 1.0, v3, 1.0
	v_mul_f32_e32 v14, v8, v5
	v_fma_f32 v15, -v4, v14, v8
	v_fmac_f32_e32 v14, v15, v5
	v_fma_f32 v4, -v4, v14, v8
	v_div_fmas_f32 v4, v4, v5, v14
	v_div_fixup_f32 v4, v4, v3, 1.0
	v_mul_f32_e32 v3, 0, v9
	v_add_f32_e32 v8, 1.0, v3
	v_sub_f32_e32 v9, 0, v9
	v_pk_mul_f32 v[8:9], v[8:9], v[4:5] op_sel_hi:[1,0]
                                        ; implicit-def: $vgpr14
                                        ; implicit-def: $vgpr4
.LBB171_321:
	s_andn2_saveexec_b64 s[2:3], s[2:3]
	s_cbranch_execz .LBB171_323
; %bb.322:
	v_div_scale_f32 v3, s[12:13], v14, v14, 0
	v_rcp_f32_e32 v5, v3
	v_div_scale_f32 v8, vcc, 0, v14, 0
	v_fma_f32 v9, -v3, v5, 1.0
	v_fmac_f32_e32 v5, v9, v5
	v_mul_f32_e32 v9, v8, v5
	v_fma_f32 v15, -v3, v9, v8
	v_fmac_f32_e32 v9, v15, v5
	v_fma_f32 v3, -v3, v9, v8
	v_div_scale_f32 v8, s[12:13], v4, v4, 1.0
	v_rcp_f32_e32 v15, v8
	v_div_fmas_f32 v3, v3, v5, v9
	v_div_fixup_f32 v9, v3, v14, 0
	v_fma_f32 v3, -v8, v15, 1.0
	v_fmac_f32_e32 v15, v3, v15
	v_div_scale_f32 v3, vcc, 1.0, v4, 1.0
	v_mul_f32_e32 v5, v3, v15
	v_fma_f32 v14, -v8, v5, v3
	v_fmac_f32_e32 v5, v14, v15
	v_fma_f32 v3, -v8, v5, v3
	v_div_fmas_f32 v3, v3, v15, v5
	v_div_fixup_f32 v8, v3, v4, 1.0
.LBB171_323:
	s_or_b64 exec, exec, s[2:3]
                                        ; implicit-def: $vgpr5
                                        ; implicit-def: $vgpr3
.LBB171_324:
	s_andn2_saveexec_b64 s[2:3], s[4:5]
	s_cbranch_execz .LBB171_326
; %bb.325:
	v_div_scale_f32 v4, s[4:5], v5, v5, v3
	v_rcp_f32_e32 v8, v4
	v_div_scale_f32 v9, vcc, v3, v5, v3
	v_fma_f32 v14, -v4, v8, 1.0
	v_fmac_f32_e32 v8, v14, v8
	v_mul_f32_e32 v14, v9, v8
	v_fma_f32 v15, -v4, v14, v9
	v_fmac_f32_e32 v14, v15, v8
	v_fma_f32 v4, -v4, v14, v9
	v_div_fmas_f32 v4, v4, v8, v14
	v_div_fixup_f32 v4, v4, v5, v3
	v_fmac_f32_e32 v5, v3, v4
	v_div_scale_f32 v3, s[4:5], v5, v5, 1.0
	v_rcp_f32_e32 v8, v3
	s_mov_b32 s4, 0
	s_mov_b32 s5, -1.0
	v_fma_f32 v9, -v3, v8, 1.0
	v_fmac_f32_e32 v8, v9, v8
	v_div_scale_f32 v9, vcc, 1.0, v5, 1.0
	v_mul_f32_e32 v14, v9, v8
	v_fma_f32 v15, -v3, v14, v9
	v_fmac_f32_e32 v14, v15, v8
	v_fma_f32 v3, -v3, v14, v9
	v_div_fmas_f32 v3, v3, v8, v14
	v_div_fixup_f32 v8, v3, v5, 1.0
	v_mul_f32_e32 v5, 0, v4
	v_pk_add_f32 v[4:5], v[4:5], s[4:5]
	s_nop 0
	v_pk_mul_f32 v[8:9], v[4:5], v[8:9] op_sel_hi:[1,0]
.LBB171_326:
	s_or_b64 exec, exec, s[2:3]
	s_or_b64 exec, exec, s[10:11]
	s_and_saveexec_b64 s[2:3], s[0:1]
	s_xor_b64 s[0:1], exec, s[2:3]
	s_cbranch_execnz .LBB171_297
.LBB171_327:
	s_or_b64 exec, exec, s[0:1]
	v_cmp_gt_i32_e32 vcc, s24, v0
	s_and_saveexec_b64 s[0:1], vcc
	s_cbranch_execz .LBB171_298
.LBB171_328:
	v_add_u32_e32 v2, 0x100, v0
	v_add_u32_e32 v0, s6, v0
	v_mov_b32_e32 v1, 0
	v_lshl_add_u64 v[0:1], v[0:1], 3, s[8:9]
	global_store_dwordx2 v[0:1], v[10:11], off
	v_mov_b32_e32 v0, v2
	s_or_b64 exec, exec, s[0:1]
	v_cmp_gt_i32_e32 vcc, s24, v0
	s_and_saveexec_b64 s[0:1], vcc
	s_cbranch_execnz .LBB171_299
.LBB171_329:
	s_or_b64 exec, exec, s[0:1]
	v_cmp_gt_i32_e32 vcc, s24, v0
	s_and_saveexec_b64 s[0:1], vcc
	s_cbranch_execz .LBB171_331
.LBB171_330:
	v_add_u32_e32 v0, s6, v0
	v_mov_b32_e32 v1, 0
	v_lshl_add_u64 v[0:1], v[0:1], 3, s[8:9]
	global_store_dwordx2 v[0:1], v[8:9], off
.LBB171_331:
	s_endpgm
	.section	.rodata,"a",@progbits
	.p2align	6, 0x0
	.amdhsa_kernel _ZN2at6native29vectorized_elementwise_kernelILi8EZZZNS0_17rsqrt_kernel_cudaERNS_18TensorIteratorBaseEENKUlvE_clEvENKUlvE0_clEvEUlN3c107complexIfEEE_St5arrayIPcLm2EEEEviT0_T1_
		.amdhsa_group_segment_fixed_size 0
		.amdhsa_private_segment_fixed_size 0
		.amdhsa_kernarg_size 24
		.amdhsa_user_sgpr_count 2
		.amdhsa_user_sgpr_dispatch_ptr 0
		.amdhsa_user_sgpr_queue_ptr 0
		.amdhsa_user_sgpr_kernarg_segment_ptr 1
		.amdhsa_user_sgpr_dispatch_id 0
		.amdhsa_user_sgpr_kernarg_preload_length 0
		.amdhsa_user_sgpr_kernarg_preload_offset 0
		.amdhsa_user_sgpr_private_segment_size 0
		.amdhsa_uses_dynamic_stack 0
		.amdhsa_enable_private_segment 0
		.amdhsa_system_sgpr_workgroup_id_x 1
		.amdhsa_system_sgpr_workgroup_id_y 0
		.amdhsa_system_sgpr_workgroup_id_z 0
		.amdhsa_system_sgpr_workgroup_info 0
		.amdhsa_system_vgpr_workitem_id 0
		.amdhsa_next_free_vgpr 18
		.amdhsa_next_free_sgpr 28
		.amdhsa_accum_offset 20
		.amdhsa_reserve_vcc 1
		.amdhsa_float_round_mode_32 0
		.amdhsa_float_round_mode_16_64 0
		.amdhsa_float_denorm_mode_32 3
		.amdhsa_float_denorm_mode_16_64 3
		.amdhsa_dx10_clamp 1
		.amdhsa_ieee_mode 1
		.amdhsa_fp16_overflow 0
		.amdhsa_tg_split 0
		.amdhsa_exception_fp_ieee_invalid_op 0
		.amdhsa_exception_fp_denorm_src 0
		.amdhsa_exception_fp_ieee_div_zero 0
		.amdhsa_exception_fp_ieee_overflow 0
		.amdhsa_exception_fp_ieee_underflow 0
		.amdhsa_exception_fp_ieee_inexact 0
		.amdhsa_exception_int_div_zero 0
	.end_amdhsa_kernel
	.section	.text._ZN2at6native29vectorized_elementwise_kernelILi8EZZZNS0_17rsqrt_kernel_cudaERNS_18TensorIteratorBaseEENKUlvE_clEvENKUlvE0_clEvEUlN3c107complexIfEEE_St5arrayIPcLm2EEEEviT0_T1_,"axG",@progbits,_ZN2at6native29vectorized_elementwise_kernelILi8EZZZNS0_17rsqrt_kernel_cudaERNS_18TensorIteratorBaseEENKUlvE_clEvENKUlvE0_clEvEUlN3c107complexIfEEE_St5arrayIPcLm2EEEEviT0_T1_,comdat
.Lfunc_end171:
	.size	_ZN2at6native29vectorized_elementwise_kernelILi8EZZZNS0_17rsqrt_kernel_cudaERNS_18TensorIteratorBaseEENKUlvE_clEvENKUlvE0_clEvEUlN3c107complexIfEEE_St5arrayIPcLm2EEEEviT0_T1_, .Lfunc_end171-_ZN2at6native29vectorized_elementwise_kernelILi8EZZZNS0_17rsqrt_kernel_cudaERNS_18TensorIteratorBaseEENKUlvE_clEvENKUlvE0_clEvEUlN3c107complexIfEEE_St5arrayIPcLm2EEEEviT0_T1_
                                        ; -- End function
	.set _ZN2at6native29vectorized_elementwise_kernelILi8EZZZNS0_17rsqrt_kernel_cudaERNS_18TensorIteratorBaseEENKUlvE_clEvENKUlvE0_clEvEUlN3c107complexIfEEE_St5arrayIPcLm2EEEEviT0_T1_.num_vgpr, 18
	.set _ZN2at6native29vectorized_elementwise_kernelILi8EZZZNS0_17rsqrt_kernel_cudaERNS_18TensorIteratorBaseEENKUlvE_clEvENKUlvE0_clEvEUlN3c107complexIfEEE_St5arrayIPcLm2EEEEviT0_T1_.num_agpr, 0
	.set _ZN2at6native29vectorized_elementwise_kernelILi8EZZZNS0_17rsqrt_kernel_cudaERNS_18TensorIteratorBaseEENKUlvE_clEvENKUlvE0_clEvEUlN3c107complexIfEEE_St5arrayIPcLm2EEEEviT0_T1_.numbered_sgpr, 28
	.set _ZN2at6native29vectorized_elementwise_kernelILi8EZZZNS0_17rsqrt_kernel_cudaERNS_18TensorIteratorBaseEENKUlvE_clEvENKUlvE0_clEvEUlN3c107complexIfEEE_St5arrayIPcLm2EEEEviT0_T1_.num_named_barrier, 0
	.set _ZN2at6native29vectorized_elementwise_kernelILi8EZZZNS0_17rsqrt_kernel_cudaERNS_18TensorIteratorBaseEENKUlvE_clEvENKUlvE0_clEvEUlN3c107complexIfEEE_St5arrayIPcLm2EEEEviT0_T1_.private_seg_size, 0
	.set _ZN2at6native29vectorized_elementwise_kernelILi8EZZZNS0_17rsqrt_kernel_cudaERNS_18TensorIteratorBaseEENKUlvE_clEvENKUlvE0_clEvEUlN3c107complexIfEEE_St5arrayIPcLm2EEEEviT0_T1_.uses_vcc, 1
	.set _ZN2at6native29vectorized_elementwise_kernelILi8EZZZNS0_17rsqrt_kernel_cudaERNS_18TensorIteratorBaseEENKUlvE_clEvENKUlvE0_clEvEUlN3c107complexIfEEE_St5arrayIPcLm2EEEEviT0_T1_.uses_flat_scratch, 0
	.set _ZN2at6native29vectorized_elementwise_kernelILi8EZZZNS0_17rsqrt_kernel_cudaERNS_18TensorIteratorBaseEENKUlvE_clEvENKUlvE0_clEvEUlN3c107complexIfEEE_St5arrayIPcLm2EEEEviT0_T1_.has_dyn_sized_stack, 0
	.set _ZN2at6native29vectorized_elementwise_kernelILi8EZZZNS0_17rsqrt_kernel_cudaERNS_18TensorIteratorBaseEENKUlvE_clEvENKUlvE0_clEvEUlN3c107complexIfEEE_St5arrayIPcLm2EEEEviT0_T1_.has_recursion, 0
	.set _ZN2at6native29vectorized_elementwise_kernelILi8EZZZNS0_17rsqrt_kernel_cudaERNS_18TensorIteratorBaseEENKUlvE_clEvENKUlvE0_clEvEUlN3c107complexIfEEE_St5arrayIPcLm2EEEEviT0_T1_.has_indirect_call, 0
	.section	.AMDGPU.csdata,"",@progbits
; Kernel info:
; codeLenInByte = 14068
; TotalNumSgprs: 34
; NumVgprs: 18
; NumAgprs: 0
; TotalNumVgprs: 18
; ScratchSize: 0
; MemoryBound: 0
; FloatMode: 240
; IeeeMode: 1
; LDSByteSize: 0 bytes/workgroup (compile time only)
; SGPRBlocks: 4
; VGPRBlocks: 2
; NumSGPRsForWavesPerEU: 34
; NumVGPRsForWavesPerEU: 18
; AccumOffset: 20
; Occupancy: 8
; WaveLimiterHint : 0
; COMPUTE_PGM_RSRC2:SCRATCH_EN: 0
; COMPUTE_PGM_RSRC2:USER_SGPR: 2
; COMPUTE_PGM_RSRC2:TRAP_HANDLER: 0
; COMPUTE_PGM_RSRC2:TGID_X_EN: 1
; COMPUTE_PGM_RSRC2:TGID_Y_EN: 0
; COMPUTE_PGM_RSRC2:TGID_Z_EN: 0
; COMPUTE_PGM_RSRC2:TIDIG_COMP_CNT: 0
; COMPUTE_PGM_RSRC3_GFX90A:ACCUM_OFFSET: 4
; COMPUTE_PGM_RSRC3_GFX90A:TG_SPLIT: 0
	.section	.text._ZN2at6native29vectorized_elementwise_kernelILi4EZZZNS0_17rsqrt_kernel_cudaERNS_18TensorIteratorBaseEENKUlvE_clEvENKUlvE0_clEvEUlN3c107complexIfEEE_St5arrayIPcLm2EEEEviT0_T1_,"axG",@progbits,_ZN2at6native29vectorized_elementwise_kernelILi4EZZZNS0_17rsqrt_kernel_cudaERNS_18TensorIteratorBaseEENKUlvE_clEvENKUlvE0_clEvEUlN3c107complexIfEEE_St5arrayIPcLm2EEEEviT0_T1_,comdat
	.globl	_ZN2at6native29vectorized_elementwise_kernelILi4EZZZNS0_17rsqrt_kernel_cudaERNS_18TensorIteratorBaseEENKUlvE_clEvENKUlvE0_clEvEUlN3c107complexIfEEE_St5arrayIPcLm2EEEEviT0_T1_ ; -- Begin function _ZN2at6native29vectorized_elementwise_kernelILi4EZZZNS0_17rsqrt_kernel_cudaERNS_18TensorIteratorBaseEENKUlvE_clEvENKUlvE0_clEvEUlN3c107complexIfEEE_St5arrayIPcLm2EEEEviT0_T1_
	.p2align	8
	.type	_ZN2at6native29vectorized_elementwise_kernelILi4EZZZNS0_17rsqrt_kernel_cudaERNS_18TensorIteratorBaseEENKUlvE_clEvENKUlvE0_clEvEUlN3c107complexIfEEE_St5arrayIPcLm2EEEEviT0_T1_,@function
_ZN2at6native29vectorized_elementwise_kernelILi4EZZZNS0_17rsqrt_kernel_cudaERNS_18TensorIteratorBaseEENKUlvE_clEvENKUlvE0_clEvEUlN3c107complexIfEEE_St5arrayIPcLm2EEEEviT0_T1_: ; @_ZN2at6native29vectorized_elementwise_kernelILi4EZZZNS0_17rsqrt_kernel_cudaERNS_18TensorIteratorBaseEENKUlvE_clEvENKUlvE0_clEvEUlN3c107complexIfEEE_St5arrayIPcLm2EEEEviT0_T1_
; %bb.0:
	s_load_dword s3, s[0:1], 0x0
	s_load_dwordx4 s[8:11], s[0:1], 0x8
	s_lshl_b32 s6, s2, 10
	s_mov_b64 s[0:1], -1
	s_waitcnt lgkmcnt(0)
	s_sub_i32 s24, s3, s6
	s_cmpk_gt_i32 s24, 0x3ff
	s_cbranch_scc0 .LBB172_154
; %bb.1:
	s_ashr_i32 s7, s6, 31
	s_lshl_b64 s[4:5], s[6:7], 3
	s_add_u32 s0, s10, s4
	s_addc_u32 s1, s11, s5
	v_lshlrev_b32_e32 v1, 5, v0
	global_load_dwordx4 v[8:11], v1, s[0:1]
	global_load_dwordx4 v[2:5], v1, s[0:1] offset:16
	v_mov_b32_e32 v12, 0
	s_waitcnt vmcnt(1)
	v_cmp_neq_f32_e32 vcc, 0, v8
	v_cmp_neq_f32_e64 s[0:1], 0, v9
	s_or_b64 s[0:1], vcc, s[0:1]
	v_mov_b32_e32 v13, v9
	s_and_saveexec_b64 s[12:13], s[0:1]
	s_cbranch_execz .LBB172_31
; %bb.2:
	v_mov_b32_e32 v12, 0x7f800000
	v_cmp_neq_f32_e64 s[0:1], |v9|, v12
	v_mov_b32_e32 v13, v9
	s_and_saveexec_b64 s[14:15], s[0:1]
	s_cbranch_execz .LBB172_30
; %bb.3:
	v_cmp_o_f32_e32 vcc, v8, v8
                                        ; implicit-def: $vgpr13
	s_and_saveexec_b64 s[0:1], vcc
	s_xor_b64 s[16:17], exec, s[0:1]
	s_cbranch_execz .LBB172_27
; %bb.4:
	s_mov_b32 s0, 0x7f800000
	v_cmp_neq_f32_e64 s[0:1], |v8|, s0
                                        ; implicit-def: $vgpr13
	s_and_saveexec_b64 s[2:3], s[0:1]
	s_xor_b64 s[18:19], exec, s[2:3]
	s_cbranch_execz .LBB172_20
; %bb.5:
	v_max_f32_e64 v6, |v9|, |v9|
	v_max_f32_e64 v7, |v8|, |v8|
	v_max_f32_e32 v6, v7, v6
	s_mov_b32 s0, 0x7ed413cb
	v_cmp_nle_f32_e64 s[0:1], s0, v6
                                        ; implicit-def: $sgpr20_sgpr21
                                        ; implicit-def: $vgpr7
	s_and_saveexec_b64 s[2:3], s[0:1]
	s_xor_b64 s[2:3], exec, s[2:3]
	s_cbranch_execz .LBB172_9
; %bb.6:
	s_mov_b32 s7, 0x1000000
	v_cmp_le_f32_e64 s[20:21], |v8|, s7
	v_cmp_le_f32_e64 s[22:23], |v9|, s7
	s_and_b64 s[26:27], s[20:21], s[22:23]
	s_mov_b64 s[20:21], 0
	v_mov_b32_e32 v7, v8
	v_mov_b32_e32 v6, v9
	s_and_saveexec_b64 s[22:23], s[26:27]
; %bb.7:
	v_mov_b32_e32 v6, v9
	v_mov_b32_e32 v7, v8
	s_mov_b64 s[20:21], exec
	v_pk_mul_f32 v[6:7], v[6:7], 4.0 op_sel_hi:[1,0]
; %bb.8:
	s_or_b64 exec, exec, s[22:23]
.LBB172_9:
	s_andn2_saveexec_b64 s[2:3], s[2:3]
; %bb.10:
	v_mov_b32_e32 v6, v9
	v_mov_b32_e32 v7, v8
	s_mov_b32 s22, 0x3e800000
	v_pk_mul_f32 v[6:7], v[6:7], s[22:23] op_sel_hi:[1,0]
	s_andn2_b64 s[20:21], s[20:21], exec
; %bb.11:
	s_or_b64 exec, exec, s[2:3]
	v_max_f32_e64 v12, |v6|, |v6|
	v_max_f32_e64 v13, |v7|, |v7|
	v_max_f32_e32 v14, v13, v12
	v_cvt_f64_f32_e32 v[12:13], v14
	v_frexp_exp_i32_f64_e32 v12, v[12:13]
	v_sub_u32_e32 v13, 0, v12
	v_ldexp_f32 v15, |v7|, v13
	v_ldexp_f32 v13, |v6|, v13
	v_mul_f32_e32 v13, v13, v13
	v_fmac_f32_e32 v13, v15, v15
	v_sqrt_f32_e32 v13, v13
	s_mov_b32 s2, 0x7f800000
	v_cmp_neq_f32_e64 s[2:3], s2, v14
	v_cmp_le_f32_e32 vcc, 0, v7
	v_ldexp_f32 v12, v13, v12
	v_mov_b32_e32 v13, 0x7f800000
	v_cndmask_b32_e64 v12, v13, v12, s[2:3]
                                        ; implicit-def: $vgpr14_vgpr15
	s_and_saveexec_b64 s[2:3], vcc
	s_xor_b64 s[22:23], exec, s[2:3]
	s_cbranch_execz .LBB172_13
; %bb.12:
	v_add_f32_e32 v7, v7, v12
	v_mul_f32_e32 v7, 0.5, v7
	s_mov_b32 s2, 0xf800000
	v_mul_f32_e32 v12, 0x4f800000, v7
	v_cmp_gt_f32_e32 vcc, s2, v7
	s_nop 1
	v_cndmask_b32_e32 v7, v7, v12, vcc
	v_sqrt_f32_e32 v12, v7
	s_nop 0
	v_add_u32_e32 v13, -1, v12
	v_fma_f32 v14, -v13, v12, v7
	v_cmp_ge_f32_e64 s[2:3], 0, v14
	v_add_u32_e32 v14, 1, v12
	s_nop 0
	v_cndmask_b32_e64 v13, v12, v13, s[2:3]
	v_fma_f32 v12, -v14, v12, v7
	v_cmp_lt_f32_e64 s[2:3], 0, v12
	s_nop 1
	v_cndmask_b32_e64 v12, v13, v14, s[2:3]
	v_mul_f32_e32 v13, 0x37800000, v12
	v_cndmask_b32_e32 v12, v12, v13, vcc
	v_mov_b32_e32 v13, 0x260
	v_cmp_class_f32_e32 vcc, v7, v13
	s_nop 1
	v_cndmask_b32_e32 v14, v12, v7, vcc
	v_add_f32_e32 v7, v14, v14
	v_div_scale_f32 v12, s[2:3], v7, v7, v6
	v_rcp_f32_e32 v13, v12
	s_nop 0
	v_fma_f32 v15, -v12, v13, 1.0
	v_fmac_f32_e32 v13, v15, v13
	v_div_scale_f32 v15, vcc, v6, v7, v6
	v_mul_f32_e32 v16, v15, v13
	v_fma_f32 v17, -v12, v16, v15
	v_fmac_f32_e32 v16, v17, v13
	v_fma_f32 v12, -v12, v16, v15
	v_div_fmas_f32 v12, v12, v13, v16
	v_div_fixup_f32 v15, v12, v7, v6
                                        ; implicit-def: $vgpr12
                                        ; implicit-def: $vgpr7
	s_andn2_saveexec_b64 s[22:23], s[22:23]
	s_cbranch_execz .LBB172_15
	s_branch .LBB172_14
.LBB172_13:
	s_andn2_saveexec_b64 s[22:23], s[22:23]
	s_cbranch_execz .LBB172_15
.LBB172_14:
	v_sub_f32_e32 v7, v12, v7
	v_mul_f32_e32 v7, 0.5, v7
	s_mov_b32 s2, 0xf800000
	v_mul_f32_e32 v12, 0x4f800000, v7
	v_cmp_gt_f32_e32 vcc, s2, v7
	s_nop 1
	v_cndmask_b32_e32 v7, v7, v12, vcc
	v_sqrt_f32_e32 v12, v7
	s_nop 0
	v_add_u32_e32 v13, -1, v12
	v_fma_f32 v14, -v13, v12, v7
	v_cmp_ge_f32_e64 s[2:3], 0, v14
	v_add_u32_e32 v14, 1, v12
	s_nop 0
	v_cndmask_b32_e64 v13, v12, v13, s[2:3]
	v_fma_f32 v12, -v14, v12, v7
	v_cmp_lt_f32_e64 s[2:3], 0, v12
	s_nop 1
	v_cndmask_b32_e64 v12, v13, v14, s[2:3]
	v_mul_f32_e32 v13, 0x37800000, v12
	v_cndmask_b32_e32 v12, v12, v13, vcc
	v_mov_b32_e32 v13, 0x260
	v_cmp_class_f32_e32 vcc, v7, v13
	v_and_b32_e32 v13, 0x7fffffff, v6
	s_nop 0
	v_cndmask_b32_e32 v7, v12, v7, vcc
	v_add_f32_e32 v12, v7, v7
	v_div_scale_f32 v14, s[2:3], v12, v12, v13
	v_rcp_f32_e32 v15, v14
	v_div_scale_f32 v13, vcc, v13, v12, v13
	s_brev_b32 s2, -2
	v_fma_f32 v16, -v14, v15, 1.0
	v_fmac_f32_e32 v15, v16, v15
	v_mul_f32_e32 v16, v13, v15
	v_fma_f32 v17, -v14, v16, v13
	v_fmac_f32_e32 v16, v17, v15
	v_fma_f32 v13, -v14, v16, v13
	v_div_fmas_f32 v13, v13, v15, v16
	v_div_fixup_f32 v14, v13, v12, |v6|
	v_bfi_b32 v15, s2, v7, v6
.LBB172_15:
	s_or_b64 exec, exec, s[22:23]
                                        ; implicit-def: $vgpr13
	s_and_saveexec_b64 s[2:3], s[0:1]
	s_xor_b64 s[0:1], exec, s[2:3]
	s_cbranch_execz .LBB172_17
; %bb.16:
	v_pk_mul_f32 v[6:7], v[14:15], 0.5 op_sel_hi:[1,0]
	s_nop 0
	v_cndmask_b32_e64 v12, v14, v6, s[20:21]
	v_cndmask_b32_e64 v13, v15, v7, s[20:21]
                                        ; implicit-def: $vgpr14_vgpr15
	s_andn2_saveexec_b64 s[0:1], s[0:1]
	s_cbranch_execnz .LBB172_18
	s_branch .LBB172_19
.LBB172_17:
	s_andn2_saveexec_b64 s[0:1], s[0:1]
.LBB172_18:
	v_pk_add_f32 v[12:13], v[14:15], v[14:15]
.LBB172_19:
	s_or_b64 exec, exec, s[0:1]
.LBB172_20:
	s_andn2_saveexec_b64 s[0:1], s[18:19]
	s_cbranch_execz .LBB172_26
; %bb.21:
	v_sub_f32_e32 v6, v9, v9
	v_cmp_lt_i32_e32 vcc, -1, v8
	s_brev_b32 s7, -2
	v_and_b32_e32 v12, 0x7fffffff, v6
	s_and_saveexec_b64 s[2:3], vcc
	s_xor_b64 s[2:3], exec, s[2:3]
; %bb.22:
	v_bfi_b32 v13, s7, v6, v9
	v_mov_b32_e32 v12, v8
; %bb.23:
	s_andn2_saveexec_b64 s[2:3], s[2:3]
; %bb.24:
	v_bfi_b32 v13, s7, v8, v9
; %bb.25:
	s_or_b64 exec, exec, s[2:3]
.LBB172_26:
	s_or_b64 exec, exec, s[0:1]
.LBB172_27:
	s_andn2_saveexec_b64 s[0:1], s[16:17]
	s_cbranch_execz .LBB172_29
; %bb.28:
	v_sub_f32_e32 v6, v9, v9
	v_div_scale_f32 v7, vcc, v6, v6, v6
	v_rcp_f32_e32 v9, v7
	s_nop 0
	v_fma_f32 v12, -v7, v9, 1.0
	v_fmac_f32_e32 v9, v12, v9
	v_mul_f32_e32 v12, v7, v9
	v_fma_f32 v13, -v7, v12, v7
	v_fmac_f32_e32 v12, v13, v9
	v_fma_f32 v7, -v7, v12, v7
	v_div_fmas_f32 v7, v7, v9, v12
	v_div_fixup_f32 v13, v7, v6, v6
	v_mov_b32_e32 v12, v8
.LBB172_29:
	s_or_b64 exec, exec, s[0:1]
.LBB172_30:
	s_or_b64 exec, exec, s[14:15]
.LBB172_31:
	s_or_b64 exec, exec, s[12:13]
	v_cmp_gt_f32_e32 vcc, 0, v13
                                        ; implicit-def: $vgpr6_vgpr7
	s_nop 1
	v_cndmask_b32_e64 v9, v13, -v13, vcc
	v_cmp_gt_f32_e32 vcc, 0, v12
	s_nop 1
	v_cndmask_b32_e64 v8, v12, -v12, vcc
	v_cmp_ge_f32_e32 vcc, v8, v9
	s_and_saveexec_b64 s[0:1], vcc
	s_xor_b64 s[2:3], exec, s[0:1]
	s_cbranch_execz .LBB172_37
; %bb.32:
	v_cmp_neq_f32_e32 vcc, 0, v12
	v_cmp_neq_f32_e64 s[0:1], 0, v13
	s_or_b64 s[0:1], vcc, s[0:1]
                                        ; implicit-def: $vgpr6_vgpr7
	s_and_saveexec_b64 s[12:13], s[0:1]
	s_xor_b64 s[0:1], exec, s[12:13]
	s_cbranch_execz .LBB172_34
; %bb.33:
	v_div_scale_f32 v6, s[12:13], v12, v12, v13
	v_rcp_f32_e32 v7, v6
	v_div_scale_f32 v8, vcc, v13, v12, v13
	v_fma_f32 v9, -v6, v7, 1.0
	v_fmac_f32_e32 v7, v9, v7
	v_mul_f32_e32 v9, v8, v7
	v_fma_f32 v14, -v6, v9, v8
	v_fmac_f32_e32 v9, v14, v7
	v_fma_f32 v6, -v6, v9, v8
	v_div_fmas_f32 v6, v6, v7, v9
	v_div_fixup_f32 v7, v6, v12, v13
	v_fmac_f32_e32 v12, v13, v7
	v_div_scale_f32 v6, s[12:13], v12, v12, 1.0
	v_rcp_f32_e32 v8, v6
	s_nop 0
	v_fma_f32 v9, -v6, v8, 1.0
	v_fmac_f32_e32 v8, v9, v8
	v_div_scale_f32 v9, vcc, 1.0, v12, 1.0
	v_mul_f32_e32 v13, v9, v8
	v_fma_f32 v14, -v6, v13, v9
	v_fmac_f32_e32 v13, v14, v8
	v_fma_f32 v6, -v6, v13, v9
	v_div_fmas_f32 v6, v6, v8, v13
	v_mul_f32_e32 v8, 0, v7
	v_div_fixup_f32 v6, v6, v12, 1.0
	v_add_f32_e32 v8, 1.0, v8
	v_sub_f32_e32 v9, 0, v7
	v_pk_mul_f32 v[6:7], v[8:9], v[6:7] op_sel_hi:[1,0]
                                        ; implicit-def: $vgpr9
                                        ; implicit-def: $vgpr8
.LBB172_34:
	s_andn2_saveexec_b64 s[0:1], s[0:1]
	s_cbranch_execz .LBB172_36
; %bb.35:
	v_div_scale_f32 v6, s[12:13], v9, v9, 0
	v_rcp_f32_e32 v7, v6
	v_div_scale_f32 v12, vcc, 0, v9, 0
	v_fma_f32 v13, -v6, v7, 1.0
	v_fmac_f32_e32 v7, v13, v7
	v_mul_f32_e32 v13, v12, v7
	v_fma_f32 v14, -v6, v13, v12
	v_fmac_f32_e32 v13, v14, v7
	v_fma_f32 v6, -v6, v13, v12
	v_div_scale_f32 v12, s[12:13], v8, v8, 1.0
	v_rcp_f32_e32 v14, v12
	v_div_fmas_f32 v6, v6, v7, v13
	v_div_fixup_f32 v7, v6, v9, 0
	v_fma_f32 v6, -v12, v14, 1.0
	v_fmac_f32_e32 v14, v6, v14
	v_div_scale_f32 v6, vcc, 1.0, v8, 1.0
	v_mul_f32_e32 v9, v6, v14
	v_fma_f32 v13, -v12, v9, v6
	v_fmac_f32_e32 v9, v13, v14
	v_fma_f32 v6, -v12, v9, v6
	v_div_fmas_f32 v6, v6, v14, v9
	v_div_fixup_f32 v6, v6, v8, 1.0
.LBB172_36:
	s_or_b64 exec, exec, s[0:1]
                                        ; implicit-def: $vgpr13
.LBB172_37:
	s_andn2_saveexec_b64 s[0:1], s[2:3]
	s_cbranch_execz .LBB172_39
; %bb.38:
	v_div_scale_f32 v6, s[2:3], v13, v13, v12
	v_rcp_f32_e32 v7, v6
	v_div_scale_f32 v8, vcc, v12, v13, v12
	v_fma_f32 v9, -v6, v7, 1.0
	v_fmac_f32_e32 v7, v9, v7
	v_mul_f32_e32 v9, v8, v7
	v_fma_f32 v14, -v6, v9, v8
	v_fmac_f32_e32 v9, v14, v7
	v_fma_f32 v6, -v6, v9, v8
	v_div_fmas_f32 v6, v6, v7, v9
	v_div_fixup_f32 v6, v6, v13, v12
	v_fmac_f32_e32 v13, v12, v6
	v_div_scale_f32 v7, s[2:3], v13, v13, 1.0
	v_rcp_f32_e32 v8, v7
	s_mov_b32 s2, 0
	s_mov_b32 s3, -1.0
	v_fma_f32 v9, -v7, v8, 1.0
	v_fmac_f32_e32 v8, v9, v8
	v_div_scale_f32 v9, vcc, 1.0, v13, 1.0
	v_mul_f32_e32 v12, v9, v8
	v_fma_f32 v14, -v7, v12, v9
	v_fmac_f32_e32 v12, v14, v8
	v_fma_f32 v7, -v7, v12, v9
	v_div_fmas_f32 v7, v7, v8, v12
	v_div_fixup_f32 v8, v7, v13, 1.0
	v_mul_f32_e32 v7, 0, v6
	v_pk_add_f32 v[6:7], v[6:7], s[2:3]
	s_nop 0
	v_pk_mul_f32 v[6:7], v[6:7], v[8:9] op_sel_hi:[1,0]
.LBB172_39:
	s_or_b64 exec, exec, s[0:1]
	v_cmp_neq_f32_e32 vcc, 0, v10
	v_cmp_neq_f32_e64 s[0:1], 0, v11
	v_mov_b32_e32 v12, 0
	s_or_b64 s[0:1], vcc, s[0:1]
	s_and_saveexec_b64 s[12:13], s[0:1]
	s_cbranch_execz .LBB172_69
; %bb.40:
	v_mov_b32_e32 v12, 0x7f800000
	v_cmp_neq_f32_e64 s[0:1], |v11|, v12
	s_and_saveexec_b64 s[14:15], s[0:1]
	s_cbranch_execz .LBB172_68
; %bb.41:
	v_cmp_o_f32_e32 vcc, v10, v10
                                        ; implicit-def: $vgpr12
	s_and_saveexec_b64 s[0:1], vcc
	s_xor_b64 s[16:17], exec, s[0:1]
	s_cbranch_execz .LBB172_65
; %bb.42:
	s_mov_b32 s0, 0x7f800000
	v_cmp_neq_f32_e64 s[0:1], |v10|, s0
                                        ; implicit-def: $vgpr12
	s_and_saveexec_b64 s[2:3], s[0:1]
	s_xor_b64 s[18:19], exec, s[2:3]
	s_cbranch_execz .LBB172_58
; %bb.43:
	v_max_f32_e64 v8, |v11|, |v11|
	v_max_f32_e64 v9, |v10|, |v10|
	v_max_f32_e32 v8, v9, v8
	s_mov_b32 s0, 0x7ed413cb
	v_cmp_nle_f32_e64 s[0:1], s0, v8
                                        ; implicit-def: $sgpr20_sgpr21
	s_and_saveexec_b64 s[2:3], s[0:1]
	s_xor_b64 s[2:3], exec, s[2:3]
	s_cbranch_execz .LBB172_47
; %bb.44:
	s_mov_b32 s7, 0x1000000
	v_cmp_le_f32_e64 s[20:21], |v10|, s7
	v_cmp_le_f32_e64 s[22:23], |v11|, s7
	s_and_b64 s[26:27], s[20:21], s[22:23]
	s_mov_b64 s[20:21], 0
	s_and_saveexec_b64 s[22:23], s[26:27]
; %bb.45:
	v_mov_b32_e32 v8, v11
	v_mov_b32_e32 v9, v10
	v_pk_mul_f32 v[8:9], v[8:9], 4.0 op_sel_hi:[1,0]
	s_mov_b64 s[20:21], exec
	v_mov_b32_e32 v10, v9
	v_mov_b32_e32 v11, v8
; %bb.46:
	s_or_b64 exec, exec, s[22:23]
.LBB172_47:
	s_andn2_saveexec_b64 s[2:3], s[2:3]
; %bb.48:
	v_mov_b32_e32 v8, v11
	v_mov_b32_e32 v9, v10
	s_mov_b32 s22, 0x3e800000
	v_pk_mul_f32 v[8:9], v[8:9], s[22:23] op_sel_hi:[1,0]
	s_andn2_b64 s[20:21], s[20:21], exec
	v_mov_b32_e32 v11, v8
	v_mov_b32_e32 v10, v9
; %bb.49:
	s_or_b64 exec, exec, s[2:3]
	v_max_f32_e64 v8, |v11|, |v11|
	v_max_f32_e64 v9, |v10|, |v10|
	v_max_f32_e32 v12, v9, v8
	v_cvt_f64_f32_e32 v[8:9], v12
	v_frexp_exp_i32_f64_e32 v8, v[8:9]
	v_sub_u32_e32 v9, 0, v8
	v_ldexp_f32 v13, |v10|, v9
	v_ldexp_f32 v9, |v11|, v9
	v_mul_f32_e32 v9, v9, v9
	v_fmac_f32_e32 v9, v13, v13
	v_sqrt_f32_e32 v9, v9
	s_mov_b32 s2, 0x7f800000
	v_cmp_neq_f32_e64 s[2:3], s2, v12
	v_cmp_le_f32_e32 vcc, 0, v10
	v_ldexp_f32 v8, v9, v8
	v_mov_b32_e32 v9, 0x7f800000
	v_cndmask_b32_e64 v12, v9, v8, s[2:3]
                                        ; implicit-def: $vgpr8_vgpr9
	s_and_saveexec_b64 s[2:3], vcc
	s_xor_b64 s[22:23], exec, s[2:3]
	s_cbranch_execz .LBB172_51
; %bb.50:
	v_add_f32_e32 v8, v10, v12
	v_mul_f32_e32 v8, 0.5, v8
	s_mov_b32 s2, 0xf800000
	v_mul_f32_e32 v9, 0x4f800000, v8
	v_cmp_gt_f32_e32 vcc, s2, v8
	s_nop 1
	v_cndmask_b32_e32 v8, v8, v9, vcc
	v_sqrt_f32_e32 v9, v8
	s_nop 0
	v_add_u32_e32 v10, -1, v9
	v_fma_f32 v12, -v10, v9, v8
	v_cmp_ge_f32_e64 s[2:3], 0, v12
	v_add_u32_e32 v12, 1, v9
	s_nop 0
	v_cndmask_b32_e64 v10, v9, v10, s[2:3]
	v_fma_f32 v9, -v12, v9, v8
	v_cmp_lt_f32_e64 s[2:3], 0, v9
	s_nop 1
	v_cndmask_b32_e64 v9, v10, v12, s[2:3]
	v_mul_f32_e32 v10, 0x37800000, v9
	v_cndmask_b32_e32 v9, v9, v10, vcc
	v_mov_b32_e32 v10, 0x260
	v_cmp_class_f32_e32 vcc, v8, v10
	s_nop 1
	v_cndmask_b32_e32 v8, v9, v8, vcc
	v_add_f32_e32 v9, v8, v8
	v_div_scale_f32 v10, s[2:3], v9, v9, v11
	v_rcp_f32_e32 v12, v10
	s_nop 0
	v_fma_f32 v13, -v10, v12, 1.0
	v_fmac_f32_e32 v12, v13, v12
	v_div_scale_f32 v13, vcc, v11, v9, v11
	v_mul_f32_e32 v14, v13, v12
	v_fma_f32 v15, -v10, v14, v13
	v_fmac_f32_e32 v14, v15, v12
	v_fma_f32 v10, -v10, v14, v13
	v_div_fmas_f32 v10, v10, v12, v14
	v_div_fixup_f32 v9, v10, v9, v11
                                        ; implicit-def: $vgpr12
                                        ; implicit-def: $vgpr10
	s_andn2_saveexec_b64 s[22:23], s[22:23]
	s_cbranch_execz .LBB172_53
	s_branch .LBB172_52
.LBB172_51:
	s_andn2_saveexec_b64 s[22:23], s[22:23]
	s_cbranch_execz .LBB172_53
.LBB172_52:
	v_sub_f32_e32 v8, v12, v10
	v_mul_f32_e32 v8, 0.5, v8
	s_mov_b32 s2, 0xf800000
	v_mul_f32_e32 v9, 0x4f800000, v8
	v_cmp_gt_f32_e32 vcc, s2, v8
	s_nop 1
	v_cndmask_b32_e32 v8, v8, v9, vcc
	v_sqrt_f32_e32 v9, v8
	s_nop 0
	v_add_u32_e32 v10, -1, v9
	v_fma_f32 v12, -v10, v9, v8
	v_cmp_ge_f32_e64 s[2:3], 0, v12
	v_add_u32_e32 v12, 1, v9
	s_nop 0
	v_cndmask_b32_e64 v10, v9, v10, s[2:3]
	v_fma_f32 v9, -v12, v9, v8
	v_cmp_lt_f32_e64 s[2:3], 0, v9
	s_nop 1
	v_cndmask_b32_e64 v9, v10, v12, s[2:3]
	v_mul_f32_e32 v10, 0x37800000, v9
	v_cndmask_b32_e32 v9, v9, v10, vcc
	v_mov_b32_e32 v10, 0x260
	v_cmp_class_f32_e32 vcc, v8, v10
	v_and_b32_e32 v10, 0x7fffffff, v11
	s_nop 0
	v_cndmask_b32_e32 v9, v9, v8, vcc
	v_add_f32_e32 v8, v9, v9
	v_div_scale_f32 v12, s[2:3], v8, v8, v10
	v_rcp_f32_e32 v13, v12
	v_div_scale_f32 v10, vcc, v10, v8, v10
	s_brev_b32 s2, -2
	v_fma_f32 v14, -v12, v13, 1.0
	v_fmac_f32_e32 v13, v14, v13
	v_mul_f32_e32 v14, v10, v13
	v_fma_f32 v15, -v12, v14, v10
	v_fmac_f32_e32 v14, v15, v13
	v_fma_f32 v10, -v12, v14, v10
	v_div_fmas_f32 v10, v10, v13, v14
	v_div_fixup_f32 v8, v10, v8, |v11|
	v_bfi_b32 v9, s2, v9, v11
.LBB172_53:
	s_or_b64 exec, exec, s[22:23]
                                        ; implicit-def: $vgpr11
                                        ; implicit-def: $vgpr12
	s_and_saveexec_b64 s[2:3], s[0:1]
	s_xor_b64 s[0:1], exec, s[2:3]
	s_cbranch_execz .LBB172_55
; %bb.54:
	v_pk_mul_f32 v[10:11], v[8:9], 0.5 op_sel_hi:[1,0]
	s_nop 0
	v_cndmask_b32_e64 v12, v8, v10, s[20:21]
	v_cndmask_b32_e64 v11, v9, v11, s[20:21]
                                        ; implicit-def: $vgpr8_vgpr9
	s_andn2_saveexec_b64 s[0:1], s[0:1]
	s_cbranch_execnz .LBB172_56
	s_branch .LBB172_57
.LBB172_55:
	s_andn2_saveexec_b64 s[0:1], s[0:1]
.LBB172_56:
	v_pk_add_f32 v[10:11], v[8:9], v[8:9]
	s_nop 0
	v_mov_b32_e32 v12, v10
.LBB172_57:
	s_or_b64 exec, exec, s[0:1]
.LBB172_58:
	s_andn2_saveexec_b64 s[0:1], s[18:19]
	s_cbranch_execz .LBB172_64
; %bb.59:
	v_sub_f32_e32 v8, v11, v11
	v_cmp_lt_i32_e32 vcc, -1, v10
	s_brev_b32 s7, -2
	v_and_b32_e32 v12, 0x7fffffff, v8
	s_and_saveexec_b64 s[2:3], vcc
	s_xor_b64 s[2:3], exec, s[2:3]
; %bb.60:
	v_bfi_b32 v11, s7, v8, v11
	v_mov_b32_e32 v12, v10
; %bb.61:
	s_andn2_saveexec_b64 s[2:3], s[2:3]
; %bb.62:
	v_bfi_b32 v11, s7, v10, v11
; %bb.63:
	s_or_b64 exec, exec, s[2:3]
.LBB172_64:
	s_or_b64 exec, exec, s[0:1]
.LBB172_65:
	s_andn2_saveexec_b64 s[0:1], s[16:17]
	s_cbranch_execz .LBB172_67
; %bb.66:
	v_sub_f32_e32 v8, v11, v11
	v_div_scale_f32 v9, vcc, v8, v8, v8
	v_rcp_f32_e32 v11, v9
	s_nop 0
	v_fma_f32 v12, -v9, v11, 1.0
	v_fmac_f32_e32 v11, v12, v11
	v_mul_f32_e32 v12, v9, v11
	v_fma_f32 v13, -v9, v12, v9
	v_fmac_f32_e32 v12, v13, v11
	v_fma_f32 v9, -v9, v12, v9
	v_div_fmas_f32 v9, v9, v11, v12
	v_div_fixup_f32 v11, v9, v8, v8
	v_mov_b32_e32 v12, v10
.LBB172_67:
	s_or_b64 exec, exec, s[0:1]
.LBB172_68:
	s_or_b64 exec, exec, s[14:15]
.LBB172_69:
	s_or_b64 exec, exec, s[12:13]
	v_cmp_gt_f32_e32 vcc, 0, v11
	s_nop 1
	v_cndmask_b32_e64 v13, v11, -v11, vcc
	v_cmp_gt_f32_e32 vcc, 0, v12
	s_nop 1
	v_cndmask_b32_e64 v10, v12, -v12, vcc
	v_cmp_ge_f32_e32 vcc, v10, v13
	s_and_saveexec_b64 s[0:1], vcc
	s_xor_b64 s[2:3], exec, s[0:1]
	s_cbranch_execz .LBB172_75
; %bb.70:
	v_cmp_neq_f32_e32 vcc, 0, v12
	v_cmp_neq_f32_e64 s[0:1], 0, v11
	s_or_b64 s[0:1], vcc, s[0:1]
	s_and_saveexec_b64 s[12:13], s[0:1]
	s_xor_b64 s[0:1], exec, s[12:13]
	s_cbranch_execz .LBB172_72
; %bb.71:
	v_div_scale_f32 v8, s[12:13], v12, v12, v11
	v_rcp_f32_e32 v9, v8
	v_div_scale_f32 v10, vcc, v11, v12, v11
	v_fma_f32 v13, -v8, v9, 1.0
	v_fmac_f32_e32 v9, v13, v9
	v_mul_f32_e32 v13, v10, v9
	v_fma_f32 v14, -v8, v13, v10
	v_fmac_f32_e32 v13, v14, v9
	v_fma_f32 v8, -v8, v13, v10
	v_div_fmas_f32 v8, v8, v9, v13
	v_div_fixup_f32 v9, v8, v12, v11
	v_fmac_f32_e32 v12, v11, v9
	v_div_scale_f32 v8, s[12:13], v12, v12, 1.0
	v_rcp_f32_e32 v10, v8
	s_nop 0
	v_fma_f32 v11, -v8, v10, 1.0
	v_fmac_f32_e32 v10, v11, v10
	v_div_scale_f32 v11, vcc, 1.0, v12, 1.0
	v_mul_f32_e32 v13, v11, v10
	v_fma_f32 v14, -v8, v13, v11
	v_fmac_f32_e32 v13, v14, v10
	v_fma_f32 v8, -v8, v13, v11
	v_div_fmas_f32 v8, v8, v10, v13
	v_mul_f32_e32 v10, 0, v9
	v_div_fixup_f32 v8, v8, v12, 1.0
	v_add_f32_e32 v10, 1.0, v10
	v_sub_f32_e32 v11, 0, v9
	v_pk_mul_f32 v[8:9], v[10:11], v[8:9] op_sel_hi:[1,0]
                                        ; implicit-def: $vgpr13
                                        ; implicit-def: $vgpr10
.LBB172_72:
	s_andn2_saveexec_b64 s[0:1], s[0:1]
	s_cbranch_execz .LBB172_74
; %bb.73:
	v_div_scale_f32 v8, s[12:13], v13, v13, 0
	v_rcp_f32_e32 v9, v8
	v_div_scale_f32 v11, vcc, 0, v13, 0
	v_fma_f32 v12, -v8, v9, 1.0
	v_fmac_f32_e32 v9, v12, v9
	v_mul_f32_e32 v12, v11, v9
	v_fma_f32 v14, -v8, v12, v11
	v_fmac_f32_e32 v12, v14, v9
	v_fma_f32 v8, -v8, v12, v11
	v_div_scale_f32 v11, s[12:13], v10, v10, 1.0
	v_rcp_f32_e32 v14, v11
	v_div_fmas_f32 v8, v8, v9, v12
	v_div_fixup_f32 v9, v8, v13, 0
	v_fma_f32 v8, -v11, v14, 1.0
	v_fmac_f32_e32 v14, v8, v14
	v_div_scale_f32 v8, vcc, 1.0, v10, 1.0
	v_mul_f32_e32 v12, v8, v14
	v_fma_f32 v13, -v11, v12, v8
	v_fmac_f32_e32 v12, v13, v14
	v_fma_f32 v8, -v11, v12, v8
	v_div_fmas_f32 v8, v8, v14, v12
	v_div_fixup_f32 v8, v8, v10, 1.0
.LBB172_74:
	s_or_b64 exec, exec, s[0:1]
                                        ; implicit-def: $vgpr11
                                        ; implicit-def: $vgpr12
.LBB172_75:
	s_andn2_saveexec_b64 s[0:1], s[2:3]
	s_cbranch_execz .LBB172_77
; %bb.76:
	v_div_scale_f32 v8, s[2:3], v11, v11, v12
	v_rcp_f32_e32 v9, v8
	v_div_scale_f32 v10, vcc, v12, v11, v12
	v_fma_f32 v13, -v8, v9, 1.0
	v_fmac_f32_e32 v9, v13, v9
	v_mul_f32_e32 v13, v10, v9
	v_fma_f32 v14, -v8, v13, v10
	v_fmac_f32_e32 v13, v14, v9
	v_fma_f32 v8, -v8, v13, v10
	v_div_fmas_f32 v8, v8, v9, v13
	v_div_fixup_f32 v8, v8, v11, v12
	v_fmac_f32_e32 v11, v12, v8
	v_div_scale_f32 v9, s[2:3], v11, v11, 1.0
	v_rcp_f32_e32 v10, v9
	s_mov_b32 s2, 0
	s_mov_b32 s3, -1.0
	v_fma_f32 v12, -v9, v10, 1.0
	v_fmac_f32_e32 v10, v12, v10
	v_div_scale_f32 v12, vcc, 1.0, v11, 1.0
	v_mul_f32_e32 v13, v12, v10
	v_fma_f32 v14, -v9, v13, v12
	v_fmac_f32_e32 v13, v14, v10
	v_fma_f32 v9, -v9, v13, v12
	v_div_fmas_f32 v9, v9, v10, v13
	v_div_fixup_f32 v10, v9, v11, 1.0
	v_mul_f32_e32 v9, 0, v8
	v_pk_add_f32 v[8:9], v[8:9], s[2:3]
	s_nop 0
	v_pk_mul_f32 v[8:9], v[8:9], v[10:11] op_sel_hi:[1,0]
.LBB172_77:
	s_or_b64 exec, exec, s[0:1]
	s_waitcnt vmcnt(0)
	v_cmp_neq_f32_e32 vcc, 0, v2
	v_cmp_neq_f32_e64 s[0:1], 0, v3
	v_mov_b32_e32 v12, 0
	s_or_b64 s[0:1], vcc, s[0:1]
	v_mov_b32_e32 v13, v3
	s_and_saveexec_b64 s[12:13], s[0:1]
	s_cbranch_execz .LBB172_107
; %bb.78:
	v_mov_b32_e32 v12, 0x7f800000
	v_cmp_neq_f32_e64 s[0:1], |v3|, v12
	v_mov_b32_e32 v13, v3
	s_and_saveexec_b64 s[14:15], s[0:1]
	s_cbranch_execz .LBB172_106
; %bb.79:
	v_cmp_o_f32_e32 vcc, v2, v2
                                        ; implicit-def: $vgpr13
	s_and_saveexec_b64 s[0:1], vcc
	s_xor_b64 s[16:17], exec, s[0:1]
	s_cbranch_execz .LBB172_103
; %bb.80:
	s_mov_b32 s0, 0x7f800000
	v_cmp_neq_f32_e64 s[0:1], |v2|, s0
                                        ; implicit-def: $vgpr13
	s_and_saveexec_b64 s[2:3], s[0:1]
	s_xor_b64 s[18:19], exec, s[2:3]
	s_cbranch_execz .LBB172_96
; %bb.81:
	v_max_f32_e64 v10, |v3|, |v3|
	v_max_f32_e64 v11, |v2|, |v2|
	v_max_f32_e32 v10, v11, v10
	s_mov_b32 s0, 0x7ed413cb
	v_cmp_nle_f32_e64 s[0:1], s0, v10
                                        ; implicit-def: $sgpr20_sgpr21
                                        ; implicit-def: $vgpr11
	s_and_saveexec_b64 s[2:3], s[0:1]
	s_xor_b64 s[2:3], exec, s[2:3]
	s_cbranch_execz .LBB172_85
; %bb.82:
	s_mov_b32 s7, 0x1000000
	v_cmp_le_f32_e64 s[20:21], |v2|, s7
	v_cmp_le_f32_e64 s[22:23], |v3|, s7
	s_and_b64 s[26:27], s[20:21], s[22:23]
	s_mov_b64 s[20:21], 0
	v_mov_b32_e32 v11, v2
	v_mov_b32_e32 v10, v3
	s_and_saveexec_b64 s[22:23], s[26:27]
; %bb.83:
	v_mov_b32_e32 v10, v3
	v_mov_b32_e32 v11, v2
	s_mov_b64 s[20:21], exec
	v_pk_mul_f32 v[10:11], v[10:11], 4.0 op_sel_hi:[1,0]
; %bb.84:
	s_or_b64 exec, exec, s[22:23]
.LBB172_85:
	s_andn2_saveexec_b64 s[2:3], s[2:3]
; %bb.86:
	v_mov_b32_e32 v10, v3
	v_mov_b32_e32 v11, v2
	s_mov_b32 s22, 0x3e800000
	v_pk_mul_f32 v[10:11], v[10:11], s[22:23] op_sel_hi:[1,0]
	s_andn2_b64 s[20:21], s[20:21], exec
; %bb.87:
	s_or_b64 exec, exec, s[2:3]
	v_max_f32_e64 v12, |v10|, |v10|
	v_max_f32_e64 v13, |v11|, |v11|
	v_max_f32_e32 v14, v13, v12
	v_cvt_f64_f32_e32 v[12:13], v14
	v_frexp_exp_i32_f64_e32 v12, v[12:13]
	v_sub_u32_e32 v13, 0, v12
	v_ldexp_f32 v15, |v11|, v13
	v_ldexp_f32 v13, |v10|, v13
	v_mul_f32_e32 v13, v13, v13
	v_fmac_f32_e32 v13, v15, v15
	v_sqrt_f32_e32 v13, v13
	s_mov_b32 s2, 0x7f800000
	v_cmp_neq_f32_e64 s[2:3], s2, v14
	v_cmp_le_f32_e32 vcc, 0, v11
	v_ldexp_f32 v12, v13, v12
	v_mov_b32_e32 v13, 0x7f800000
	v_cndmask_b32_e64 v12, v13, v12, s[2:3]
                                        ; implicit-def: $vgpr14_vgpr15
	s_and_saveexec_b64 s[2:3], vcc
	s_xor_b64 s[22:23], exec, s[2:3]
	s_cbranch_execz .LBB172_89
; %bb.88:
	v_add_f32_e32 v11, v11, v12
	v_mul_f32_e32 v11, 0.5, v11
	s_mov_b32 s2, 0xf800000
	v_mul_f32_e32 v12, 0x4f800000, v11
	v_cmp_gt_f32_e32 vcc, s2, v11
	s_nop 1
	v_cndmask_b32_e32 v11, v11, v12, vcc
	v_sqrt_f32_e32 v12, v11
	s_nop 0
	v_add_u32_e32 v13, -1, v12
	v_fma_f32 v14, -v13, v12, v11
	v_cmp_ge_f32_e64 s[2:3], 0, v14
	v_add_u32_e32 v14, 1, v12
	s_nop 0
	v_cndmask_b32_e64 v13, v12, v13, s[2:3]
	v_fma_f32 v12, -v14, v12, v11
	v_cmp_lt_f32_e64 s[2:3], 0, v12
	s_nop 1
	v_cndmask_b32_e64 v12, v13, v14, s[2:3]
	v_mul_f32_e32 v13, 0x37800000, v12
	v_cndmask_b32_e32 v12, v12, v13, vcc
	v_mov_b32_e32 v13, 0x260
	v_cmp_class_f32_e32 vcc, v11, v13
	s_nop 1
	v_cndmask_b32_e32 v14, v12, v11, vcc
	v_add_f32_e32 v11, v14, v14
	v_div_scale_f32 v12, s[2:3], v11, v11, v10
	v_rcp_f32_e32 v13, v12
	s_nop 0
	v_fma_f32 v15, -v12, v13, 1.0
	v_fmac_f32_e32 v13, v15, v13
	v_div_scale_f32 v15, vcc, v10, v11, v10
	v_mul_f32_e32 v16, v15, v13
	v_fma_f32 v17, -v12, v16, v15
	v_fmac_f32_e32 v16, v17, v13
	v_fma_f32 v12, -v12, v16, v15
	v_div_fmas_f32 v12, v12, v13, v16
	v_div_fixup_f32 v15, v12, v11, v10
                                        ; implicit-def: $vgpr12
                                        ; implicit-def: $vgpr11
	s_andn2_saveexec_b64 s[22:23], s[22:23]
	s_cbranch_execz .LBB172_91
	s_branch .LBB172_90
.LBB172_89:
	s_andn2_saveexec_b64 s[22:23], s[22:23]
	s_cbranch_execz .LBB172_91
.LBB172_90:
	v_sub_f32_e32 v11, v12, v11
	v_mul_f32_e32 v11, 0.5, v11
	s_mov_b32 s2, 0xf800000
	v_mul_f32_e32 v12, 0x4f800000, v11
	v_cmp_gt_f32_e32 vcc, s2, v11
	s_nop 1
	v_cndmask_b32_e32 v11, v11, v12, vcc
	v_sqrt_f32_e32 v12, v11
	s_nop 0
	v_add_u32_e32 v13, -1, v12
	v_fma_f32 v14, -v13, v12, v11
	v_cmp_ge_f32_e64 s[2:3], 0, v14
	v_add_u32_e32 v14, 1, v12
	s_nop 0
	v_cndmask_b32_e64 v13, v12, v13, s[2:3]
	v_fma_f32 v12, -v14, v12, v11
	v_cmp_lt_f32_e64 s[2:3], 0, v12
	s_nop 1
	v_cndmask_b32_e64 v12, v13, v14, s[2:3]
	v_mul_f32_e32 v13, 0x37800000, v12
	v_cndmask_b32_e32 v12, v12, v13, vcc
	v_mov_b32_e32 v13, 0x260
	v_cmp_class_f32_e32 vcc, v11, v13
	v_and_b32_e32 v13, 0x7fffffff, v10
	s_nop 0
	v_cndmask_b32_e32 v11, v12, v11, vcc
	v_add_f32_e32 v12, v11, v11
	v_div_scale_f32 v14, s[2:3], v12, v12, v13
	v_rcp_f32_e32 v15, v14
	v_div_scale_f32 v13, vcc, v13, v12, v13
	s_brev_b32 s2, -2
	v_fma_f32 v16, -v14, v15, 1.0
	v_fmac_f32_e32 v15, v16, v15
	v_mul_f32_e32 v16, v13, v15
	v_fma_f32 v17, -v14, v16, v13
	v_fmac_f32_e32 v16, v17, v15
	v_fma_f32 v13, -v14, v16, v13
	v_div_fmas_f32 v13, v13, v15, v16
	v_div_fixup_f32 v14, v13, v12, |v10|
	v_bfi_b32 v15, s2, v11, v10
.LBB172_91:
	s_or_b64 exec, exec, s[22:23]
                                        ; implicit-def: $vgpr13
	s_and_saveexec_b64 s[2:3], s[0:1]
	s_xor_b64 s[0:1], exec, s[2:3]
	s_cbranch_execz .LBB172_93
; %bb.92:
	v_pk_mul_f32 v[10:11], v[14:15], 0.5 op_sel_hi:[1,0]
	s_nop 0
	v_cndmask_b32_e64 v12, v14, v10, s[20:21]
	v_cndmask_b32_e64 v13, v15, v11, s[20:21]
                                        ; implicit-def: $vgpr14_vgpr15
	s_andn2_saveexec_b64 s[0:1], s[0:1]
	s_cbranch_execnz .LBB172_94
	s_branch .LBB172_95
.LBB172_93:
	s_andn2_saveexec_b64 s[0:1], s[0:1]
.LBB172_94:
	v_pk_add_f32 v[12:13], v[14:15], v[14:15]
.LBB172_95:
	s_or_b64 exec, exec, s[0:1]
.LBB172_96:
	s_andn2_saveexec_b64 s[0:1], s[18:19]
	s_cbranch_execz .LBB172_102
; %bb.97:
	v_sub_f32_e32 v10, v3, v3
	v_cmp_lt_i32_e32 vcc, -1, v2
	s_brev_b32 s7, -2
	v_and_b32_e32 v12, 0x7fffffff, v10
	s_and_saveexec_b64 s[2:3], vcc
	s_xor_b64 s[2:3], exec, s[2:3]
; %bb.98:
	v_bfi_b32 v13, s7, v10, v3
	v_mov_b32_e32 v12, v2
; %bb.99:
	s_andn2_saveexec_b64 s[2:3], s[2:3]
; %bb.100:
	v_bfi_b32 v13, s7, v2, v3
; %bb.101:
	s_or_b64 exec, exec, s[2:3]
.LBB172_102:
	s_or_b64 exec, exec, s[0:1]
.LBB172_103:
	s_andn2_saveexec_b64 s[0:1], s[16:17]
	s_cbranch_execz .LBB172_105
; %bb.104:
	v_sub_f32_e32 v3, v3, v3
	v_div_scale_f32 v10, vcc, v3, v3, v3
	v_rcp_f32_e32 v11, v10
	s_nop 0
	v_fma_f32 v12, -v10, v11, 1.0
	v_fmac_f32_e32 v11, v12, v11
	v_mul_f32_e32 v12, v10, v11
	v_fma_f32 v13, -v10, v12, v10
	v_fmac_f32_e32 v12, v13, v11
	v_fma_f32 v10, -v10, v12, v10
	v_div_fmas_f32 v10, v10, v11, v12
	v_div_fixup_f32 v13, v10, v3, v3
	v_mov_b32_e32 v12, v2
.LBB172_105:
	s_or_b64 exec, exec, s[0:1]
.LBB172_106:
	s_or_b64 exec, exec, s[14:15]
.LBB172_107:
	s_or_b64 exec, exec, s[12:13]
	v_cmp_gt_f32_e32 vcc, 0, v13
                                        ; implicit-def: $vgpr10_vgpr11
	s_nop 1
	v_cndmask_b32_e64 v3, v13, -v13, vcc
	v_cmp_gt_f32_e32 vcc, 0, v12
	s_nop 1
	v_cndmask_b32_e64 v2, v12, -v12, vcc
	v_cmp_ge_f32_e32 vcc, v2, v3
	s_and_saveexec_b64 s[0:1], vcc
	s_xor_b64 s[2:3], exec, s[0:1]
	s_cbranch_execz .LBB172_113
; %bb.108:
	v_cmp_neq_f32_e32 vcc, 0, v12
	v_cmp_neq_f32_e64 s[0:1], 0, v13
	s_or_b64 s[0:1], vcc, s[0:1]
                                        ; implicit-def: $vgpr10_vgpr11
	s_and_saveexec_b64 s[12:13], s[0:1]
	s_xor_b64 s[0:1], exec, s[12:13]
	s_cbranch_execz .LBB172_110
; %bb.109:
	v_div_scale_f32 v2, s[12:13], v12, v12, v13
	v_rcp_f32_e32 v3, v2
	v_div_scale_f32 v10, vcc, v13, v12, v13
	v_fma_f32 v11, -v2, v3, 1.0
	v_fmac_f32_e32 v3, v11, v3
	v_mul_f32_e32 v11, v10, v3
	v_fma_f32 v14, -v2, v11, v10
	v_fmac_f32_e32 v11, v14, v3
	v_fma_f32 v2, -v2, v11, v10
	v_div_fmas_f32 v2, v2, v3, v11
	v_div_fixup_f32 v3, v2, v12, v13
	v_fmac_f32_e32 v12, v13, v3
	v_div_scale_f32 v2, s[12:13], v12, v12, 1.0
	v_rcp_f32_e32 v10, v2
	s_nop 0
	v_fma_f32 v11, -v2, v10, 1.0
	v_fmac_f32_e32 v10, v11, v10
	v_div_scale_f32 v11, vcc, 1.0, v12, 1.0
	v_mul_f32_e32 v13, v11, v10
	v_fma_f32 v14, -v2, v13, v11
	v_fmac_f32_e32 v13, v14, v10
	v_fma_f32 v2, -v2, v13, v11
	v_div_fmas_f32 v2, v2, v10, v13
	v_mul_f32_e32 v10, 0, v3
	v_div_fixup_f32 v2, v2, v12, 1.0
	v_add_f32_e32 v10, 1.0, v10
	v_sub_f32_e32 v11, 0, v3
	v_pk_mul_f32 v[10:11], v[10:11], v[2:3] op_sel_hi:[1,0]
                                        ; implicit-def: $vgpr3
                                        ; implicit-def: $vgpr2
.LBB172_110:
	s_andn2_saveexec_b64 s[0:1], s[0:1]
	s_cbranch_execz .LBB172_112
; %bb.111:
	v_div_scale_f32 v10, s[12:13], v3, v3, 0
	v_rcp_f32_e32 v11, v10
	v_div_scale_f32 v12, vcc, 0, v3, 0
	v_fma_f32 v13, -v10, v11, 1.0
	v_fmac_f32_e32 v11, v13, v11
	v_mul_f32_e32 v13, v12, v11
	v_fma_f32 v14, -v10, v13, v12
	v_fmac_f32_e32 v13, v14, v11
	v_fma_f32 v10, -v10, v13, v12
	v_div_scale_f32 v12, s[12:13], v2, v2, 1.0
	v_rcp_f32_e32 v14, v12
	v_div_fmas_f32 v10, v10, v11, v13
	v_div_fixup_f32 v11, v10, v3, 0
	v_fma_f32 v3, -v12, v14, 1.0
	v_fmac_f32_e32 v14, v3, v14
	v_div_scale_f32 v3, vcc, 1.0, v2, 1.0
	v_mul_f32_e32 v10, v3, v14
	v_fma_f32 v13, -v12, v10, v3
	v_fmac_f32_e32 v10, v13, v14
	v_fma_f32 v3, -v12, v10, v3
	v_div_fmas_f32 v3, v3, v14, v10
	v_div_fixup_f32 v10, v3, v2, 1.0
.LBB172_112:
	s_or_b64 exec, exec, s[0:1]
                                        ; implicit-def: $vgpr13
.LBB172_113:
	s_andn2_saveexec_b64 s[0:1], s[2:3]
	s_cbranch_execz .LBB172_115
; %bb.114:
	v_div_scale_f32 v2, s[2:3], v13, v13, v12
	v_rcp_f32_e32 v3, v2
	v_div_scale_f32 v10, vcc, v12, v13, v12
	v_fma_f32 v11, -v2, v3, 1.0
	v_fmac_f32_e32 v3, v11, v3
	v_mul_f32_e32 v11, v10, v3
	v_fma_f32 v14, -v2, v11, v10
	v_fmac_f32_e32 v11, v14, v3
	v_fma_f32 v2, -v2, v11, v10
	v_div_fmas_f32 v2, v2, v3, v11
	v_div_fixup_f32 v2, v2, v13, v12
	v_fmac_f32_e32 v13, v12, v2
	v_div_scale_f32 v3, s[2:3], v13, v13, 1.0
	v_rcp_f32_e32 v10, v3
	s_mov_b32 s2, 0
	s_mov_b32 s3, -1.0
	v_fma_f32 v11, -v3, v10, 1.0
	v_fmac_f32_e32 v10, v11, v10
	v_div_scale_f32 v11, vcc, 1.0, v13, 1.0
	v_mul_f32_e32 v12, v11, v10
	v_fma_f32 v14, -v3, v12, v11
	v_fmac_f32_e32 v12, v14, v10
	v_fma_f32 v3, -v3, v12, v11
	v_div_fmas_f32 v3, v3, v10, v12
	v_div_fixup_f32 v10, v3, v13, 1.0
	v_mul_f32_e32 v3, 0, v2
	v_pk_add_f32 v[2:3], v[2:3], s[2:3]
	s_nop 0
	v_pk_mul_f32 v[10:11], v[2:3], v[10:11] op_sel_hi:[1,0]
.LBB172_115:
	s_or_b64 exec, exec, s[0:1]
	v_cmp_neq_f32_e32 vcc, 0, v4
	v_cmp_neq_f32_e64 s[0:1], 0, v5
	v_mov_b32_e32 v14, 0
	s_or_b64 s[0:1], vcc, s[0:1]
	s_and_saveexec_b64 s[12:13], s[0:1]
	s_cbranch_execz .LBB172_145
; %bb.116:
	v_mov_b32_e32 v14, 0x7f800000
	v_cmp_neq_f32_e64 s[0:1], |v5|, v14
	s_and_saveexec_b64 s[14:15], s[0:1]
	s_cbranch_execz .LBB172_144
; %bb.117:
	v_cmp_o_f32_e32 vcc, v4, v4
                                        ; implicit-def: $vgpr14
	s_and_saveexec_b64 s[0:1], vcc
	s_xor_b64 s[16:17], exec, s[0:1]
	s_cbranch_execz .LBB172_141
; %bb.118:
	s_mov_b32 s0, 0x7f800000
	v_cmp_neq_f32_e64 s[0:1], |v4|, s0
                                        ; implicit-def: $vgpr14
	s_and_saveexec_b64 s[2:3], s[0:1]
	s_xor_b64 s[18:19], exec, s[2:3]
	s_cbranch_execz .LBB172_134
; %bb.119:
	v_max_f32_e64 v2, |v5|, |v5|
	v_max_f32_e64 v3, |v4|, |v4|
	v_max_f32_e32 v2, v3, v2
	s_mov_b32 s0, 0x7ed413cb
	v_cmp_nle_f32_e64 s[0:1], s0, v2
                                        ; implicit-def: $sgpr20_sgpr21
	s_and_saveexec_b64 s[2:3], s[0:1]
	s_xor_b64 s[2:3], exec, s[2:3]
	s_cbranch_execz .LBB172_123
; %bb.120:
	s_mov_b32 s7, 0x1000000
	v_cmp_le_f32_e64 s[20:21], |v4|, s7
	v_cmp_le_f32_e64 s[22:23], |v5|, s7
	s_and_b64 s[26:27], s[20:21], s[22:23]
	s_mov_b64 s[20:21], 0
	s_and_saveexec_b64 s[22:23], s[26:27]
; %bb.121:
	v_mov_b32_e32 v2, v5
	v_mov_b32_e32 v3, v4
	v_pk_mul_f32 v[2:3], v[2:3], 4.0 op_sel_hi:[1,0]
	s_mov_b64 s[20:21], exec
	v_mov_b32_e32 v4, v3
	v_mov_b32_e32 v5, v2
; %bb.122:
	s_or_b64 exec, exec, s[22:23]
.LBB172_123:
	s_andn2_saveexec_b64 s[2:3], s[2:3]
; %bb.124:
	v_mov_b32_e32 v2, v5
	v_mov_b32_e32 v3, v4
	s_mov_b32 s22, 0x3e800000
	v_pk_mul_f32 v[2:3], v[2:3], s[22:23] op_sel_hi:[1,0]
	s_andn2_b64 s[20:21], s[20:21], exec
	v_mov_b32_e32 v5, v2
	v_mov_b32_e32 v4, v3
; %bb.125:
	s_or_b64 exec, exec, s[2:3]
	v_max_f32_e64 v2, |v5|, |v5|
	v_max_f32_e64 v3, |v4|, |v4|
	v_max_f32_e32 v12, v3, v2
	v_cvt_f64_f32_e32 v[2:3], v12
	v_frexp_exp_i32_f64_e32 v2, v[2:3]
	v_sub_u32_e32 v3, 0, v2
	v_ldexp_f32 v13, |v4|, v3
	v_ldexp_f32 v3, |v5|, v3
	v_mul_f32_e32 v3, v3, v3
	v_fmac_f32_e32 v3, v13, v13
	v_sqrt_f32_e32 v3, v3
	s_mov_b32 s2, 0x7f800000
	v_cmp_neq_f32_e64 s[2:3], s2, v12
	v_cmp_le_f32_e32 vcc, 0, v4
	v_ldexp_f32 v2, v3, v2
	v_mov_b32_e32 v3, 0x7f800000
	v_cndmask_b32_e64 v12, v3, v2, s[2:3]
                                        ; implicit-def: $vgpr2_vgpr3
	s_and_saveexec_b64 s[2:3], vcc
	s_xor_b64 s[22:23], exec, s[2:3]
	s_cbranch_execz .LBB172_127
; %bb.126:
	v_add_f32_e32 v2, v4, v12
	v_mul_f32_e32 v2, 0.5, v2
	s_mov_b32 s2, 0xf800000
	v_mul_f32_e32 v3, 0x4f800000, v2
	v_cmp_gt_f32_e32 vcc, s2, v2
	s_nop 1
	v_cndmask_b32_e32 v2, v2, v3, vcc
	v_sqrt_f32_e32 v3, v2
	s_nop 0
	v_add_u32_e32 v4, -1, v3
	v_fma_f32 v12, -v4, v3, v2
	v_cmp_ge_f32_e64 s[2:3], 0, v12
	v_add_u32_e32 v12, 1, v3
	s_nop 0
	v_cndmask_b32_e64 v4, v3, v4, s[2:3]
	v_fma_f32 v3, -v12, v3, v2
	v_cmp_lt_f32_e64 s[2:3], 0, v3
	s_nop 1
	v_cndmask_b32_e64 v3, v4, v12, s[2:3]
	v_mul_f32_e32 v4, 0x37800000, v3
	v_cndmask_b32_e32 v3, v3, v4, vcc
	v_mov_b32_e32 v4, 0x260
	v_cmp_class_f32_e32 vcc, v2, v4
	s_nop 1
	v_cndmask_b32_e32 v2, v3, v2, vcc
	v_add_f32_e32 v3, v2, v2
	v_div_scale_f32 v4, s[2:3], v3, v3, v5
	v_rcp_f32_e32 v12, v4
	s_nop 0
	v_fma_f32 v13, -v4, v12, 1.0
	v_fmac_f32_e32 v12, v13, v12
	v_div_scale_f32 v13, vcc, v5, v3, v5
	v_mul_f32_e32 v14, v13, v12
	v_fma_f32 v15, -v4, v14, v13
	v_fmac_f32_e32 v14, v15, v12
	v_fma_f32 v4, -v4, v14, v13
	v_div_fmas_f32 v4, v4, v12, v14
	v_div_fixup_f32 v3, v4, v3, v5
                                        ; implicit-def: $vgpr12
                                        ; implicit-def: $vgpr4
	s_andn2_saveexec_b64 s[22:23], s[22:23]
	s_cbranch_execz .LBB172_129
	s_branch .LBB172_128
.LBB172_127:
	s_andn2_saveexec_b64 s[22:23], s[22:23]
	s_cbranch_execz .LBB172_129
.LBB172_128:
	v_sub_f32_e32 v2, v12, v4
	v_mul_f32_e32 v2, 0.5, v2
	s_mov_b32 s2, 0xf800000
	v_mul_f32_e32 v3, 0x4f800000, v2
	v_cmp_gt_f32_e32 vcc, s2, v2
	s_nop 1
	v_cndmask_b32_e32 v2, v2, v3, vcc
	v_sqrt_f32_e32 v3, v2
	s_nop 0
	v_add_u32_e32 v4, -1, v3
	v_fma_f32 v12, -v4, v3, v2
	v_cmp_ge_f32_e64 s[2:3], 0, v12
	v_add_u32_e32 v12, 1, v3
	s_nop 0
	v_cndmask_b32_e64 v4, v3, v4, s[2:3]
	v_fma_f32 v3, -v12, v3, v2
	v_cmp_lt_f32_e64 s[2:3], 0, v3
	s_nop 1
	v_cndmask_b32_e64 v3, v4, v12, s[2:3]
	v_mul_f32_e32 v4, 0x37800000, v3
	v_cndmask_b32_e32 v3, v3, v4, vcc
	v_mov_b32_e32 v4, 0x260
	v_cmp_class_f32_e32 vcc, v2, v4
	v_and_b32_e32 v4, 0x7fffffff, v5
	s_nop 0
	v_cndmask_b32_e32 v3, v3, v2, vcc
	v_add_f32_e32 v2, v3, v3
	v_div_scale_f32 v12, s[2:3], v2, v2, v4
	v_rcp_f32_e32 v13, v12
	v_div_scale_f32 v4, vcc, v4, v2, v4
	s_brev_b32 s2, -2
	v_fma_f32 v14, -v12, v13, 1.0
	v_fmac_f32_e32 v13, v14, v13
	v_mul_f32_e32 v14, v4, v13
	v_fma_f32 v15, -v12, v14, v4
	v_fmac_f32_e32 v14, v15, v13
	v_fma_f32 v4, -v12, v14, v4
	v_div_fmas_f32 v4, v4, v13, v14
	v_div_fixup_f32 v2, v4, v2, |v5|
	v_bfi_b32 v3, s2, v3, v5
.LBB172_129:
	s_or_b64 exec, exec, s[22:23]
                                        ; implicit-def: $vgpr5
                                        ; implicit-def: $vgpr14
	s_and_saveexec_b64 s[2:3], s[0:1]
	s_xor_b64 s[0:1], exec, s[2:3]
	s_cbranch_execz .LBB172_131
; %bb.130:
	v_pk_mul_f32 v[4:5], v[2:3], 0.5 op_sel_hi:[1,0]
	s_nop 0
	v_cndmask_b32_e64 v14, v2, v4, s[20:21]
	v_cndmask_b32_e64 v5, v3, v5, s[20:21]
                                        ; implicit-def: $vgpr2_vgpr3
	s_andn2_saveexec_b64 s[0:1], s[0:1]
	s_cbranch_execnz .LBB172_132
	s_branch .LBB172_133
.LBB172_131:
	s_andn2_saveexec_b64 s[0:1], s[0:1]
.LBB172_132:
	v_pk_add_f32 v[4:5], v[2:3], v[2:3]
	s_nop 0
	v_mov_b32_e32 v14, v4
.LBB172_133:
	s_or_b64 exec, exec, s[0:1]
.LBB172_134:
	s_andn2_saveexec_b64 s[0:1], s[18:19]
	s_cbranch_execz .LBB172_140
; %bb.135:
	v_sub_f32_e32 v2, v5, v5
	v_cmp_lt_i32_e32 vcc, -1, v4
	s_brev_b32 s7, -2
	v_and_b32_e32 v14, 0x7fffffff, v2
	s_and_saveexec_b64 s[2:3], vcc
	s_xor_b64 s[2:3], exec, s[2:3]
; %bb.136:
	v_bfi_b32 v5, s7, v2, v5
	v_mov_b32_e32 v14, v4
; %bb.137:
	s_andn2_saveexec_b64 s[2:3], s[2:3]
; %bb.138:
	v_bfi_b32 v5, s7, v4, v5
; %bb.139:
	s_or_b64 exec, exec, s[2:3]
.LBB172_140:
	s_or_b64 exec, exec, s[0:1]
.LBB172_141:
	s_andn2_saveexec_b64 s[0:1], s[16:17]
	s_cbranch_execz .LBB172_143
; %bb.142:
	v_sub_f32_e32 v2, v5, v5
	v_div_scale_f32 v3, vcc, v2, v2, v2
	v_rcp_f32_e32 v5, v3
	v_mov_b32_e32 v14, v4
	v_fma_f32 v12, -v3, v5, 1.0
	v_fmac_f32_e32 v5, v12, v5
	v_mul_f32_e32 v12, v3, v5
	v_fma_f32 v13, -v3, v12, v3
	v_fmac_f32_e32 v12, v13, v5
	v_fma_f32 v3, -v3, v12, v3
	v_div_fmas_f32 v3, v3, v5, v12
	v_div_fixup_f32 v5, v3, v2, v2
.LBB172_143:
	s_or_b64 exec, exec, s[0:1]
.LBB172_144:
	s_or_b64 exec, exec, s[14:15]
.LBB172_145:
	s_or_b64 exec, exec, s[12:13]
	v_cmp_gt_f32_e32 vcc, 0, v5
	s_nop 1
	v_cndmask_b32_e64 v3, v5, -v5, vcc
	v_cmp_gt_f32_e32 vcc, 0, v14
	s_nop 1
	v_cndmask_b32_e64 v2, v14, -v14, vcc
	v_cmp_ge_f32_e32 vcc, v2, v3
	s_and_saveexec_b64 s[0:1], vcc
	s_xor_b64 s[2:3], exec, s[0:1]
	s_cbranch_execz .LBB172_151
; %bb.146:
	v_cmp_neq_f32_e32 vcc, 0, v14
	v_cmp_neq_f32_e64 s[0:1], 0, v5
	s_or_b64 s[0:1], vcc, s[0:1]
	s_and_saveexec_b64 s[12:13], s[0:1]
	s_xor_b64 s[0:1], exec, s[12:13]
	s_cbranch_execz .LBB172_148
; %bb.147:
	v_div_scale_f32 v2, s[12:13], v14, v14, v5
	v_rcp_f32_e32 v3, v2
	v_div_scale_f32 v4, vcc, v5, v14, v5
	v_fma_f32 v12, -v2, v3, 1.0
	v_fmac_f32_e32 v3, v12, v3
	v_mul_f32_e32 v12, v4, v3
	v_fma_f32 v13, -v2, v12, v4
	v_fmac_f32_e32 v12, v13, v3
	v_fma_f32 v2, -v2, v12, v4
	v_div_fmas_f32 v2, v2, v3, v12
	v_div_fixup_f32 v3, v2, v14, v5
	v_fmac_f32_e32 v14, v5, v3
	v_div_scale_f32 v2, s[12:13], v14, v14, 1.0
	v_rcp_f32_e32 v4, v2
	s_nop 0
	v_fma_f32 v5, -v2, v4, 1.0
	v_fmac_f32_e32 v4, v5, v4
	v_div_scale_f32 v5, vcc, 1.0, v14, 1.0
	v_mul_f32_e32 v12, v5, v4
	v_fma_f32 v13, -v2, v12, v5
	v_fmac_f32_e32 v12, v13, v4
	v_fma_f32 v2, -v2, v12, v5
	v_div_fmas_f32 v2, v2, v4, v12
	v_mul_f32_e32 v4, 0, v3
	v_div_fixup_f32 v2, v2, v14, 1.0
	v_add_f32_e32 v4, 1.0, v4
	v_sub_f32_e32 v5, 0, v3
	v_pk_mul_f32 v[12:13], v[4:5], v[2:3] op_sel_hi:[1,0]
                                        ; implicit-def: $vgpr3
                                        ; implicit-def: $vgpr2
.LBB172_148:
	s_andn2_saveexec_b64 s[0:1], s[0:1]
	s_cbranch_execz .LBB172_150
; %bb.149:
	v_div_scale_f32 v4, s[12:13], v3, v3, 0
	v_rcp_f32_e32 v5, v4
	v_div_scale_f32 v12, vcc, 0, v3, 0
	v_fma_f32 v13, -v4, v5, 1.0
	v_fmac_f32_e32 v5, v13, v5
	v_mul_f32_e32 v13, v12, v5
	v_fma_f32 v14, -v4, v13, v12
	v_fmac_f32_e32 v13, v14, v5
	v_fma_f32 v4, -v4, v13, v12
	v_div_scale_f32 v12, s[12:13], v2, v2, 1.0
	v_rcp_f32_e32 v14, v12
	v_div_fmas_f32 v4, v4, v5, v13
	v_div_fixup_f32 v13, v4, v3, 0
	v_fma_f32 v3, -v12, v14, 1.0
	v_fmac_f32_e32 v14, v3, v14
	v_div_scale_f32 v3, vcc, 1.0, v2, 1.0
	v_mul_f32_e32 v4, v3, v14
	v_fma_f32 v5, -v12, v4, v3
	v_fmac_f32_e32 v4, v5, v14
	v_fma_f32 v3, -v12, v4, v3
	v_div_fmas_f32 v3, v3, v14, v4
	v_div_fixup_f32 v12, v3, v2, 1.0
.LBB172_150:
	s_or_b64 exec, exec, s[0:1]
                                        ; implicit-def: $vgpr5
                                        ; implicit-def: $vgpr14
.LBB172_151:
	s_andn2_saveexec_b64 s[0:1], s[2:3]
	s_cbranch_execz .LBB172_153
; %bb.152:
	v_div_scale_f32 v2, s[2:3], v5, v5, v14
	v_rcp_f32_e32 v3, v2
	v_div_scale_f32 v4, vcc, v14, v5, v14
	v_fma_f32 v12, -v2, v3, 1.0
	v_fmac_f32_e32 v3, v12, v3
	v_mul_f32_e32 v12, v4, v3
	v_fma_f32 v13, -v2, v12, v4
	v_fmac_f32_e32 v12, v13, v3
	v_fma_f32 v2, -v2, v12, v4
	v_div_fmas_f32 v2, v2, v3, v12
	v_div_fixup_f32 v2, v2, v5, v14
	v_fmac_f32_e32 v5, v14, v2
	v_div_scale_f32 v3, s[2:3], v5, v5, 1.0
	v_rcp_f32_e32 v4, v3
	s_mov_b32 s2, 0
	s_mov_b32 s3, -1.0
	v_fma_f32 v12, -v3, v4, 1.0
	v_fmac_f32_e32 v4, v12, v4
	v_div_scale_f32 v12, vcc, 1.0, v5, 1.0
	v_mul_f32_e32 v13, v12, v4
	v_fma_f32 v14, -v3, v13, v12
	v_fmac_f32_e32 v13, v14, v4
	v_fma_f32 v3, -v3, v13, v12
	v_div_fmas_f32 v3, v3, v4, v13
	v_div_fixup_f32 v4, v3, v5, 1.0
	v_mul_f32_e32 v3, 0, v2
	v_pk_add_f32 v[2:3], v[2:3], s[2:3]
	s_nop 0
	v_pk_mul_f32 v[12:13], v[2:3], v[4:5] op_sel_hi:[1,0]
.LBB172_153:
	s_or_b64 exec, exec, s[0:1]
	s_add_u32 s0, s8, s4
	s_addc_u32 s1, s9, s5
	global_store_dwordx4 v1, v[6:9], s[0:1]
	global_store_dwordx4 v1, v[10:13], s[0:1] offset:16
	s_mov_b64 s[0:1], 0
.LBB172_154:
	s_and_b64 vcc, exec, s[0:1]
	s_cbranch_vccz .LBB172_331
; %bb.155:
	v_mov_b32_e32 v12, 0
	v_mov_b32_e32 v13, v12
	v_cmp_gt_i32_e64 s[0:1], s24, v0
	v_or_b32_e32 v2, s6, v0
	v_mov_b32_e32 v1, v0
	v_mov_b64_e32 v[10:11], v[12:13]
	s_and_saveexec_b64 s[2:3], s[0:1]
	s_cbranch_execz .LBB172_157
; %bb.156:
	v_mov_b32_e32 v3, v12
	v_lshl_add_u64 v[4:5], v[2:3], 3, s[10:11]
	global_load_dwordx2 v[10:11], v[4:5], off
	v_or_b32_e32 v1, 0x100, v0
.LBB172_157:
	s_or_b64 exec, exec, s[2:3]
	v_cmp_gt_i32_e32 vcc, s24, v1
	s_and_saveexec_b64 s[2:3], vcc
	s_cbranch_execz .LBB172_159
; %bb.158:
	v_add_u32_e32 v4, s6, v1
	v_mov_b32_e32 v5, 0
	v_lshl_add_u64 v[4:5], v[4:5], 3, s[10:11]
	global_load_dwordx2 v[12:13], v[4:5], off
	v_add_u32_e32 v1, 0x100, v1
.LBB172_159:
	s_or_b64 exec, exec, s[2:3]
	v_mov_b32_e32 v4, 0
	v_mov_b32_e32 v5, v4
	v_cmp_gt_i32_e32 vcc, s24, v1
	v_mov_b64_e32 v[8:9], v[4:5]
	s_and_saveexec_b64 s[2:3], vcc
	s_cbranch_execz .LBB172_161
; %bb.160:
	v_add_u32_e32 v6, s6, v1
	v_mov_b32_e32 v7, v4
	v_lshl_add_u64 v[6:7], v[6:7], 3, s[10:11]
	global_load_dwordx2 v[8:9], v[6:7], off
	v_add_u32_e32 v1, 0x100, v1
.LBB172_161:
	s_or_b64 exec, exec, s[2:3]
	v_cmp_gt_i32_e32 vcc, s24, v1
	s_and_saveexec_b64 s[2:3], vcc
	s_cbranch_execz .LBB172_163
; %bb.162:
	v_add_u32_e32 v4, s6, v1
	v_mov_b32_e32 v5, 0
	v_lshl_add_u64 v[4:5], v[4:5], 3, s[10:11]
	global_load_dwordx2 v[4:5], v[4:5], off
.LBB172_163:
	s_or_b64 exec, exec, s[2:3]
	v_mov_b32_e32 v7, 0
	v_mov_b32_e32 v6, 0
	s_and_saveexec_b64 s[10:11], s[0:1]
	s_cbranch_execz .LBB172_203
; %bb.164:
	s_waitcnt vmcnt(0)
	v_cmp_neq_f32_e32 vcc, 0, v10
	v_cmp_neq_f32_e64 s[2:3], 0, v11
	v_mov_b32_e32 v1, 0
	s_or_b64 s[2:3], vcc, s[2:3]
	s_and_saveexec_b64 s[12:13], s[2:3]
	s_cbranch_execz .LBB172_194
; %bb.165:
	v_mov_b32_e32 v1, 0x7f800000
	v_cmp_neq_f32_e64 s[2:3], |v11|, v1
	s_and_saveexec_b64 s[14:15], s[2:3]
	s_cbranch_execz .LBB172_193
; %bb.166:
	v_cmp_o_f32_e32 vcc, v10, v10
                                        ; implicit-def: $vgpr1
	s_and_saveexec_b64 s[2:3], vcc
	s_xor_b64 s[16:17], exec, s[2:3]
	s_cbranch_execz .LBB172_190
; %bb.167:
	s_mov_b32 s2, 0x7f800000
	v_cmp_neq_f32_e64 s[2:3], |v10|, s2
                                        ; implicit-def: $vgpr1
	s_and_saveexec_b64 s[4:5], s[2:3]
	s_xor_b64 s[18:19], exec, s[4:5]
	s_cbranch_execz .LBB172_183
; %bb.168:
	v_max_f32_e64 v1, |v10|, |v10|
	v_max_f32_e64 v3, |v11|, |v11|
	v_max_f32_e32 v1, v3, v1
	s_mov_b32 s2, 0x7ed413cb
	v_cmp_nle_f32_e64 s[2:3], s2, v1
                                        ; implicit-def: $sgpr20_sgpr21
	s_and_saveexec_b64 s[4:5], s[2:3]
	s_xor_b64 s[4:5], exec, s[4:5]
	s_cbranch_execz .LBB172_172
; %bb.169:
	s_mov_b32 s7, 0x1000000
	v_cmp_le_f32_e64 s[20:21], |v10|, s7
	v_cmp_le_f32_e64 s[22:23], |v11|, s7
	s_and_b64 s[26:27], s[22:23], s[20:21]
	s_mov_b64 s[20:21], 0
	s_and_saveexec_b64 s[22:23], s[26:27]
; %bb.170:
	s_mov_b64 s[20:21], exec
	v_pk_mul_f32 v[10:11], v[10:11], 4.0 op_sel_hi:[1,0]
; %bb.171:
	s_or_b64 exec, exec, s[22:23]
.LBB172_172:
	s_andn2_saveexec_b64 s[4:5], s[4:5]
; %bb.173:
	s_mov_b32 s22, 0x3e800000
	v_pk_mul_f32 v[10:11], v[10:11], s[22:23] op_sel_hi:[1,0]
	s_andn2_b64 s[20:21], s[20:21], exec
; %bb.174:
	s_or_b64 exec, exec, s[4:5]
	v_max_f32_e64 v1, |v11|, |v11|
	v_max_f32_e64 v3, |v10|, |v10|
	v_max_f32_e32 v1, v3, v1
	v_cvt_f64_f32_e32 v[6:7], v1
	v_frexp_exp_i32_f64_e32 v3, v[6:7]
	v_sub_u32_e32 v6, 0, v3
	v_ldexp_f32 v7, |v10|, v6
	v_ldexp_f32 v6, |v11|, v6
	v_mul_f32_e32 v6, v6, v6
	v_fmac_f32_e32 v6, v7, v7
	v_sqrt_f32_e32 v6, v6
	s_mov_b32 s4, 0x7f800000
	v_cmp_neq_f32_e64 s[4:5], s4, v1
	v_cmp_le_f32_e32 vcc, 0, v10
	v_ldexp_f32 v3, v6, v3
	v_mov_b32_e32 v6, 0x7f800000
	v_cndmask_b32_e64 v1, v6, v3, s[4:5]
                                        ; implicit-def: $vgpr6_vgpr7
	s_and_saveexec_b64 s[4:5], vcc
	s_xor_b64 s[22:23], exec, s[4:5]
	s_cbranch_execz .LBB172_176
; %bb.175:
	v_add_f32_e32 v1, v10, v1
	v_mul_f32_e32 v1, 0.5, v1
	s_mov_b32 s4, 0xf800000
	v_mul_f32_e32 v3, 0x4f800000, v1
	v_cmp_gt_f32_e32 vcc, s4, v1
	s_nop 1
	v_cndmask_b32_e32 v1, v1, v3, vcc
	v_sqrt_f32_e32 v3, v1
	s_nop 0
	v_add_u32_e32 v6, -1, v3
	v_fma_f32 v7, -v6, v3, v1
	v_cmp_ge_f32_e64 s[4:5], 0, v7
	v_add_u32_e32 v7, 1, v3
	s_nop 0
	v_cndmask_b32_e64 v6, v3, v6, s[4:5]
	v_fma_f32 v3, -v7, v3, v1
	v_cmp_lt_f32_e64 s[4:5], 0, v3
	s_nop 1
	v_cndmask_b32_e64 v3, v6, v7, s[4:5]
	v_mul_f32_e32 v6, 0x37800000, v3
	v_cndmask_b32_e32 v3, v3, v6, vcc
	v_mov_b32_e32 v6, 0x260
	v_cmp_class_f32_e32 vcc, v1, v6
	s_nop 1
	v_cndmask_b32_e32 v6, v3, v1, vcc
	v_add_f32_e32 v1, v6, v6
	v_div_scale_f32 v3, s[4:5], v1, v1, v11
	v_rcp_f32_e32 v7, v3
	s_nop 0
	v_fma_f32 v10, -v3, v7, 1.0
	v_fmac_f32_e32 v7, v10, v7
	v_div_scale_f32 v10, vcc, v11, v1, v11
	v_mul_f32_e32 v14, v10, v7
	v_fma_f32 v15, -v3, v14, v10
	v_fmac_f32_e32 v14, v15, v7
	v_fma_f32 v3, -v3, v14, v10
	v_div_fmas_f32 v3, v3, v7, v14
	v_div_fixup_f32 v7, v3, v1, v11
                                        ; implicit-def: $vgpr1
                                        ; implicit-def: $vgpr10_vgpr11
	s_andn2_saveexec_b64 s[22:23], s[22:23]
	s_cbranch_execz .LBB172_178
	s_branch .LBB172_177
.LBB172_176:
	s_andn2_saveexec_b64 s[22:23], s[22:23]
	s_cbranch_execz .LBB172_178
.LBB172_177:
	v_sub_f32_e32 v1, v1, v10
	v_mul_f32_e32 v1, 0.5, v1
	s_mov_b32 s4, 0xf800000
	v_mul_f32_e32 v3, 0x4f800000, v1
	v_cmp_gt_f32_e32 vcc, s4, v1
	s_nop 1
	v_cndmask_b32_e32 v1, v1, v3, vcc
	v_sqrt_f32_e32 v3, v1
	s_nop 0
	v_add_u32_e32 v6, -1, v3
	v_fma_f32 v7, -v6, v3, v1
	v_cmp_ge_f32_e64 s[4:5], 0, v7
	v_add_u32_e32 v7, 1, v3
	s_nop 0
	v_cndmask_b32_e64 v6, v3, v6, s[4:5]
	v_fma_f32 v3, -v7, v3, v1
	v_cmp_lt_f32_e64 s[4:5], 0, v3
	s_nop 1
	v_cndmask_b32_e64 v3, v6, v7, s[4:5]
	v_mul_f32_e32 v6, 0x37800000, v3
	v_cndmask_b32_e32 v3, v3, v6, vcc
	v_mov_b32_e32 v6, 0x260
	v_cmp_class_f32_e32 vcc, v1, v6
	v_and_b32_e32 v6, 0x7fffffff, v11
	s_nop 0
	v_cndmask_b32_e32 v1, v3, v1, vcc
	v_add_f32_e32 v3, v1, v1
	v_div_scale_f32 v7, s[4:5], v3, v3, v6
	v_rcp_f32_e32 v10, v7
	v_div_scale_f32 v6, vcc, v6, v3, v6
	s_brev_b32 s4, -2
	v_fma_f32 v14, -v7, v10, 1.0
	v_fmac_f32_e32 v10, v14, v10
	v_mul_f32_e32 v14, v6, v10
	v_fma_f32 v15, -v7, v14, v6
	v_fmac_f32_e32 v14, v15, v10
	v_fma_f32 v6, -v7, v14, v6
	v_div_fmas_f32 v6, v6, v10, v14
	v_div_fixup_f32 v6, v6, v3, |v11|
	v_bfi_b32 v7, s4, v1, v11
.LBB172_178:
	s_or_b64 exec, exec, s[22:23]
                                        ; implicit-def: $vgpr11
                                        ; implicit-def: $vgpr1
	s_and_saveexec_b64 s[4:5], s[2:3]
	s_xor_b64 s[2:3], exec, s[4:5]
	s_cbranch_execz .LBB172_180
; %bb.179:
	v_pk_mul_f32 v[10:11], v[6:7], 0.5 op_sel_hi:[1,0]
	s_nop 0
	v_cndmask_b32_e64 v1, v6, v10, s[20:21]
	v_cndmask_b32_e64 v11, v7, v11, s[20:21]
                                        ; implicit-def: $vgpr6_vgpr7
	s_andn2_saveexec_b64 s[2:3], s[2:3]
	s_cbranch_execnz .LBB172_181
	s_branch .LBB172_182
.LBB172_180:
	s_andn2_saveexec_b64 s[2:3], s[2:3]
.LBB172_181:
	v_pk_add_f32 v[10:11], v[6:7], v[6:7]
	s_nop 0
	v_mov_b32_e32 v1, v10
.LBB172_182:
	s_or_b64 exec, exec, s[2:3]
.LBB172_183:
	s_andn2_saveexec_b64 s[2:3], s[18:19]
	s_cbranch_execz .LBB172_189
; %bb.184:
	v_sub_f32_e32 v3, v11, v11
	v_cmp_lt_i32_e32 vcc, -1, v10
	s_brev_b32 s7, -2
	v_and_b32_e32 v1, 0x7fffffff, v3
	s_and_saveexec_b64 s[4:5], vcc
	s_xor_b64 s[4:5], exec, s[4:5]
; %bb.185:
	v_bfi_b32 v11, s7, v3, v11
	v_mov_b32_e32 v1, v10
; %bb.186:
	s_andn2_saveexec_b64 s[4:5], s[4:5]
; %bb.187:
	v_bfi_b32 v11, s7, v10, v11
; %bb.188:
	s_or_b64 exec, exec, s[4:5]
.LBB172_189:
	s_or_b64 exec, exec, s[2:3]
.LBB172_190:
	s_andn2_saveexec_b64 s[2:3], s[16:17]
	s_cbranch_execz .LBB172_192
; %bb.191:
	v_sub_f32_e32 v1, v11, v11
	v_div_scale_f32 v3, vcc, v1, v1, v1
	v_rcp_f32_e32 v6, v3
	s_nop 0
	v_fma_f32 v7, -v3, v6, 1.0
	v_fmac_f32_e32 v6, v7, v6
	v_mul_f32_e32 v7, v3, v6
	v_fma_f32 v11, -v3, v7, v3
	v_fmac_f32_e32 v7, v11, v6
	v_fma_f32 v3, -v3, v7, v3
	v_div_fmas_f32 v3, v3, v6, v7
	v_div_fixup_f32 v11, v3, v1, v1
	v_mov_b32_e32 v1, v10
.LBB172_192:
	s_or_b64 exec, exec, s[2:3]
.LBB172_193:
	s_or_b64 exec, exec, s[14:15]
.LBB172_194:
	s_or_b64 exec, exec, s[12:13]
	v_cmp_gt_f32_e32 vcc, 0, v11
                                        ; implicit-def: $vgpr6_vgpr7
	s_nop 1
	v_cndmask_b32_e64 v10, v11, -v11, vcc
	v_cmp_gt_f32_e32 vcc, 0, v1
	s_nop 1
	v_cndmask_b32_e64 v3, v1, -v1, vcc
	v_cmp_ge_f32_e32 vcc, v3, v10
	s_and_saveexec_b64 s[2:3], vcc
	s_xor_b64 s[4:5], exec, s[2:3]
	s_cbranch_execz .LBB172_200
; %bb.195:
	v_cmp_neq_f32_e32 vcc, 0, v1
	v_cmp_neq_f32_e64 s[2:3], 0, v11
	s_or_b64 s[2:3], vcc, s[2:3]
                                        ; implicit-def: $vgpr6_vgpr7
	s_and_saveexec_b64 s[12:13], s[2:3]
	s_xor_b64 s[2:3], exec, s[12:13]
	s_cbranch_execz .LBB172_197
; %bb.196:
	v_div_scale_f32 v3, s[12:13], v1, v1, v11
	v_rcp_f32_e32 v6, v3
	v_div_scale_f32 v7, vcc, v11, v1, v11
	v_fma_f32 v10, -v3, v6, 1.0
	v_fmac_f32_e32 v6, v10, v6
	v_mul_f32_e32 v10, v7, v6
	v_fma_f32 v14, -v3, v10, v7
	v_fmac_f32_e32 v10, v14, v6
	v_fma_f32 v3, -v3, v10, v7
	v_div_fmas_f32 v3, v3, v6, v10
	v_div_fixup_f32 v3, v3, v1, v11
	v_fmac_f32_e32 v1, v11, v3
	v_div_scale_f32 v6, s[12:13], v1, v1, 1.0
	v_rcp_f32_e32 v7, v6
	s_nop 0
	v_fma_f32 v10, -v6, v7, 1.0
	v_fmac_f32_e32 v7, v10, v7
	v_div_scale_f32 v10, vcc, 1.0, v1, 1.0
	v_mul_f32_e32 v11, v10, v7
	v_fma_f32 v14, -v6, v11, v10
	v_fmac_f32_e32 v11, v14, v7
	v_fma_f32 v6, -v6, v11, v10
	v_div_fmas_f32 v6, v6, v7, v11
	v_div_fixup_f32 v6, v6, v1, 1.0
	v_mul_f32_e32 v1, 0, v3
	v_add_f32_e32 v10, 1.0, v1
	v_sub_f32_e32 v11, 0, v3
	v_pk_mul_f32 v[6:7], v[10:11], v[6:7] op_sel_hi:[1,0]
                                        ; implicit-def: $vgpr10
                                        ; implicit-def: $vgpr3
.LBB172_197:
	s_andn2_saveexec_b64 s[2:3], s[2:3]
	s_cbranch_execz .LBB172_199
; %bb.198:
	v_div_scale_f32 v1, s[12:13], v10, v10, 0
	v_rcp_f32_e32 v6, v1
	v_div_scale_f32 v7, vcc, 0, v10, 0
	v_fma_f32 v11, -v1, v6, 1.0
	v_fmac_f32_e32 v6, v11, v6
	v_mul_f32_e32 v11, v7, v6
	v_fma_f32 v14, -v1, v11, v7
	v_fmac_f32_e32 v11, v14, v6
	v_div_scale_f32 v14, s[12:13], v3, v3, 1.0
	v_rcp_f32_e32 v15, v14
	v_fma_f32 v1, -v1, v11, v7
	v_div_fmas_f32 v1, v1, v6, v11
	v_div_fixup_f32 v7, v1, v10, 0
	v_fma_f32 v1, -v14, v15, 1.0
	v_fmac_f32_e32 v15, v1, v15
	v_div_scale_f32 v1, vcc, 1.0, v3, 1.0
	v_mul_f32_e32 v6, v1, v15
	v_fma_f32 v10, -v14, v6, v1
	v_fmac_f32_e32 v6, v10, v15
	v_fma_f32 v1, -v14, v6, v1
	v_div_fmas_f32 v1, v1, v15, v6
	v_div_fixup_f32 v6, v1, v3, 1.0
.LBB172_199:
	s_or_b64 exec, exec, s[2:3]
                                        ; implicit-def: $vgpr11
                                        ; implicit-def: $vgpr1
.LBB172_200:
	s_andn2_saveexec_b64 s[2:3], s[4:5]
	s_cbranch_execz .LBB172_202
; %bb.201:
	v_div_scale_f32 v3, s[4:5], v11, v11, v1
	v_rcp_f32_e32 v6, v3
	v_div_scale_f32 v7, vcc, v1, v11, v1
	v_fma_f32 v10, -v3, v6, 1.0
	v_fmac_f32_e32 v6, v10, v6
	v_mul_f32_e32 v10, v7, v6
	v_fma_f32 v14, -v3, v10, v7
	v_fmac_f32_e32 v10, v14, v6
	v_fma_f32 v3, -v3, v10, v7
	v_div_fmas_f32 v3, v3, v6, v10
	v_div_fixup_f32 v6, v3, v11, v1
	v_fmac_f32_e32 v11, v1, v6
	v_div_scale_f32 v1, s[4:5], v11, v11, 1.0
	v_rcp_f32_e32 v3, v1
	s_mov_b32 s4, 0
	s_mov_b32 s5, -1.0
	v_fma_f32 v7, -v1, v3, 1.0
	v_fmac_f32_e32 v3, v7, v3
	v_div_scale_f32 v7, vcc, 1.0, v11, 1.0
	v_mul_f32_e32 v10, v7, v3
	v_fma_f32 v14, -v1, v10, v7
	v_fmac_f32_e32 v10, v14, v3
	v_fma_f32 v1, -v1, v10, v7
	v_div_fmas_f32 v1, v1, v3, v10
	v_mul_f32_e32 v7, 0, v6
	v_div_fixup_f32 v10, v1, v11, 1.0
	v_pk_add_f32 v[6:7], v[6:7], s[4:5]
	s_nop 0
	v_pk_mul_f32 v[6:7], v[6:7], v[10:11] op_sel_hi:[1,0]
.LBB172_202:
	s_or_b64 exec, exec, s[2:3]
.LBB172_203:
	s_or_b64 exec, exec, s[10:11]
	v_or_b32_e32 v1, 0x100, v0
	v_cmp_gt_i32_e32 vcc, s24, v1
	s_waitcnt vmcnt(0)
	v_mov_b32_e32 v11, 0
	v_mov_b32_e32 v10, 0
	s_and_saveexec_b64 s[10:11], vcc
	s_cbranch_execz .LBB172_243
; %bb.204:
	v_cmp_neq_f32_e32 vcc, 0, v12
	v_cmp_neq_f32_e64 s[2:3], 0, v13
	v_mov_b32_e32 v3, 0
	s_or_b64 s[2:3], vcc, s[2:3]
	s_and_saveexec_b64 s[12:13], s[2:3]
	s_cbranch_execz .LBB172_234
; %bb.205:
	v_mov_b32_e32 v3, 0x7f800000
	v_cmp_neq_f32_e64 s[2:3], |v13|, v3
	s_and_saveexec_b64 s[14:15], s[2:3]
	s_cbranch_execz .LBB172_233
; %bb.206:
	v_cmp_o_f32_e32 vcc, v12, v12
                                        ; implicit-def: $vgpr3
	s_and_saveexec_b64 s[2:3], vcc
	s_xor_b64 s[16:17], exec, s[2:3]
	s_cbranch_execz .LBB172_230
; %bb.207:
	s_mov_b32 s2, 0x7f800000
	v_cmp_neq_f32_e64 s[2:3], |v12|, s2
                                        ; implicit-def: $vgpr3
	s_and_saveexec_b64 s[4:5], s[2:3]
	s_xor_b64 s[18:19], exec, s[4:5]
	s_cbranch_execz .LBB172_223
; %bb.208:
	v_max_f32_e64 v3, |v12|, |v12|
	v_max_f32_e64 v10, |v13|, |v13|
	v_max_f32_e32 v3, v10, v3
	s_mov_b32 s2, 0x7ed413cb
	v_cmp_nle_f32_e64 s[2:3], s2, v3
                                        ; implicit-def: $sgpr20_sgpr21
	s_and_saveexec_b64 s[4:5], s[2:3]
	s_xor_b64 s[4:5], exec, s[4:5]
	s_cbranch_execz .LBB172_212
; %bb.209:
	s_mov_b32 s7, 0x1000000
	v_cmp_le_f32_e64 s[20:21], |v12|, s7
	v_cmp_le_f32_e64 s[22:23], |v13|, s7
	s_and_b64 s[26:27], s[22:23], s[20:21]
	s_mov_b64 s[20:21], 0
	s_and_saveexec_b64 s[22:23], s[26:27]
; %bb.210:
	s_mov_b64 s[20:21], exec
	v_pk_mul_f32 v[12:13], v[12:13], 4.0 op_sel_hi:[1,0]
; %bb.211:
	s_or_b64 exec, exec, s[22:23]
.LBB172_212:
	s_andn2_saveexec_b64 s[4:5], s[4:5]
; %bb.213:
	s_mov_b32 s22, 0x3e800000
	v_pk_mul_f32 v[12:13], v[12:13], s[22:23] op_sel_hi:[1,0]
	s_andn2_b64 s[20:21], s[20:21], exec
; %bb.214:
	s_or_b64 exec, exec, s[4:5]
	v_max_f32_e64 v3, |v13|, |v13|
	v_max_f32_e64 v10, |v12|, |v12|
	v_max_f32_e32 v3, v10, v3
	v_cvt_f64_f32_e32 v[10:11], v3
	v_frexp_exp_i32_f64_e32 v10, v[10:11]
	v_sub_u32_e32 v11, 0, v10
	v_ldexp_f32 v14, |v12|, v11
	v_ldexp_f32 v11, |v13|, v11
	v_mul_f32_e32 v11, v11, v11
	v_fmac_f32_e32 v11, v14, v14
	v_sqrt_f32_e32 v11, v11
	s_mov_b32 s4, 0x7f800000
	v_cmp_neq_f32_e64 s[4:5], s4, v3
	v_cmp_le_f32_e32 vcc, 0, v12
	v_ldexp_f32 v10, v11, v10
	v_mov_b32_e32 v11, 0x7f800000
	v_cndmask_b32_e64 v3, v11, v10, s[4:5]
                                        ; implicit-def: $vgpr10_vgpr11
	s_and_saveexec_b64 s[4:5], vcc
	s_xor_b64 s[22:23], exec, s[4:5]
	s_cbranch_execz .LBB172_216
; %bb.215:
	v_add_f32_e32 v3, v12, v3
	v_mul_f32_e32 v3, 0.5, v3
	s_mov_b32 s4, 0xf800000
	v_mul_f32_e32 v10, 0x4f800000, v3
	v_cmp_gt_f32_e32 vcc, s4, v3
	s_nop 1
	v_cndmask_b32_e32 v3, v3, v10, vcc
	v_sqrt_f32_e32 v10, v3
	s_nop 0
	v_add_u32_e32 v11, -1, v10
	v_fma_f32 v12, -v11, v10, v3
	v_cmp_ge_f32_e64 s[4:5], 0, v12
	v_add_u32_e32 v12, 1, v10
	s_nop 0
	v_cndmask_b32_e64 v11, v10, v11, s[4:5]
	v_fma_f32 v10, -v12, v10, v3
	v_cmp_lt_f32_e64 s[4:5], 0, v10
	s_nop 1
	v_cndmask_b32_e64 v10, v11, v12, s[4:5]
	v_mul_f32_e32 v11, 0x37800000, v10
	v_cndmask_b32_e32 v10, v10, v11, vcc
	v_mov_b32_e32 v11, 0x260
	v_cmp_class_f32_e32 vcc, v3, v11
	s_nop 1
	v_cndmask_b32_e32 v10, v10, v3, vcc
	v_add_f32_e32 v3, v10, v10
	v_div_scale_f32 v11, s[4:5], v3, v3, v13
	v_rcp_f32_e32 v12, v11
	s_nop 0
	v_fma_f32 v14, -v11, v12, 1.0
	v_fmac_f32_e32 v12, v14, v12
	v_div_scale_f32 v14, vcc, v13, v3, v13
	v_mul_f32_e32 v15, v14, v12
	v_fma_f32 v16, -v11, v15, v14
	v_fmac_f32_e32 v15, v16, v12
	v_fma_f32 v11, -v11, v15, v14
	v_div_fmas_f32 v11, v11, v12, v15
	v_div_fixup_f32 v11, v11, v3, v13
                                        ; implicit-def: $vgpr3
                                        ; implicit-def: $vgpr12_vgpr13
	s_andn2_saveexec_b64 s[22:23], s[22:23]
	s_cbranch_execz .LBB172_218
	s_branch .LBB172_217
.LBB172_216:
	s_andn2_saveexec_b64 s[22:23], s[22:23]
	s_cbranch_execz .LBB172_218
.LBB172_217:
	v_sub_f32_e32 v3, v3, v12
	v_mul_f32_e32 v3, 0.5, v3
	s_mov_b32 s4, 0xf800000
	v_mul_f32_e32 v10, 0x4f800000, v3
	v_cmp_gt_f32_e32 vcc, s4, v3
	s_nop 1
	v_cndmask_b32_e32 v3, v3, v10, vcc
	v_sqrt_f32_e32 v10, v3
	s_nop 0
	v_add_u32_e32 v11, -1, v10
	v_fma_f32 v12, -v11, v10, v3
	v_cmp_ge_f32_e64 s[4:5], 0, v12
	v_add_u32_e32 v12, 1, v10
	s_nop 0
	v_cndmask_b32_e64 v11, v10, v11, s[4:5]
	v_fma_f32 v10, -v12, v10, v3
	v_cmp_lt_f32_e64 s[4:5], 0, v10
	s_nop 1
	v_cndmask_b32_e64 v10, v11, v12, s[4:5]
	v_mul_f32_e32 v11, 0x37800000, v10
	v_cndmask_b32_e32 v10, v10, v11, vcc
	v_mov_b32_e32 v11, 0x260
	v_cmp_class_f32_e32 vcc, v3, v11
	v_and_b32_e32 v11, 0x7fffffff, v13
	s_nop 0
	v_cndmask_b32_e32 v3, v10, v3, vcc
	v_add_f32_e32 v10, v3, v3
	v_div_scale_f32 v12, s[4:5], v10, v10, v11
	v_rcp_f32_e32 v14, v12
	v_div_scale_f32 v11, vcc, v11, v10, v11
	s_brev_b32 s4, -2
	v_fma_f32 v15, -v12, v14, 1.0
	v_fmac_f32_e32 v14, v15, v14
	v_mul_f32_e32 v15, v11, v14
	v_fma_f32 v16, -v12, v15, v11
	v_fmac_f32_e32 v15, v16, v14
	v_fma_f32 v11, -v12, v15, v11
	v_div_fmas_f32 v11, v11, v14, v15
	v_div_fixup_f32 v10, v11, v10, |v13|
	v_bfi_b32 v11, s4, v3, v13
.LBB172_218:
	s_or_b64 exec, exec, s[22:23]
                                        ; implicit-def: $vgpr13
                                        ; implicit-def: $vgpr3
	s_and_saveexec_b64 s[4:5], s[2:3]
	s_xor_b64 s[2:3], exec, s[4:5]
	s_cbranch_execz .LBB172_220
; %bb.219:
	v_pk_mul_f32 v[12:13], v[10:11], 0.5 op_sel_hi:[1,0]
	s_nop 0
	v_cndmask_b32_e64 v3, v10, v12, s[20:21]
	v_cndmask_b32_e64 v13, v11, v13, s[20:21]
                                        ; implicit-def: $vgpr10_vgpr11
	s_andn2_saveexec_b64 s[2:3], s[2:3]
	s_cbranch_execnz .LBB172_221
	s_branch .LBB172_222
.LBB172_220:
	s_andn2_saveexec_b64 s[2:3], s[2:3]
.LBB172_221:
	v_pk_add_f32 v[12:13], v[10:11], v[10:11]
	s_nop 0
	v_mov_b32_e32 v3, v12
.LBB172_222:
	s_or_b64 exec, exec, s[2:3]
.LBB172_223:
	s_andn2_saveexec_b64 s[2:3], s[18:19]
	s_cbranch_execz .LBB172_229
; %bb.224:
	v_sub_f32_e32 v10, v13, v13
	v_cmp_lt_i32_e32 vcc, -1, v12
	s_brev_b32 s7, -2
	v_and_b32_e32 v3, 0x7fffffff, v10
	s_and_saveexec_b64 s[4:5], vcc
	s_xor_b64 s[4:5], exec, s[4:5]
; %bb.225:
	v_bfi_b32 v13, s7, v10, v13
	v_mov_b32_e32 v3, v12
; %bb.226:
	s_andn2_saveexec_b64 s[4:5], s[4:5]
; %bb.227:
	v_bfi_b32 v13, s7, v12, v13
; %bb.228:
	s_or_b64 exec, exec, s[4:5]
.LBB172_229:
	s_or_b64 exec, exec, s[2:3]
.LBB172_230:
	s_andn2_saveexec_b64 s[2:3], s[16:17]
	s_cbranch_execz .LBB172_232
; %bb.231:
	v_sub_f32_e32 v3, v13, v13
	v_div_scale_f32 v10, vcc, v3, v3, v3
	v_rcp_f32_e32 v11, v10
	s_nop 0
	v_fma_f32 v13, -v10, v11, 1.0
	v_fmac_f32_e32 v11, v13, v11
	v_mul_f32_e32 v13, v10, v11
	v_fma_f32 v14, -v10, v13, v10
	v_fmac_f32_e32 v13, v14, v11
	v_fma_f32 v10, -v10, v13, v10
	v_div_fmas_f32 v10, v10, v11, v13
	v_div_fixup_f32 v13, v10, v3, v3
	v_mov_b32_e32 v3, v12
.LBB172_232:
	s_or_b64 exec, exec, s[2:3]
.LBB172_233:
	s_or_b64 exec, exec, s[14:15]
.LBB172_234:
	s_or_b64 exec, exec, s[12:13]
	v_cmp_gt_f32_e32 vcc, 0, v13
                                        ; implicit-def: $vgpr10_vgpr11
	s_nop 1
	v_cndmask_b32_e64 v14, v13, -v13, vcc
	v_cmp_gt_f32_e32 vcc, 0, v3
	s_nop 1
	v_cndmask_b32_e64 v12, v3, -v3, vcc
	v_cmp_ge_f32_e32 vcc, v12, v14
	s_and_saveexec_b64 s[2:3], vcc
	s_xor_b64 s[4:5], exec, s[2:3]
	s_cbranch_execz .LBB172_240
; %bb.235:
	v_cmp_neq_f32_e32 vcc, 0, v3
	v_cmp_neq_f32_e64 s[2:3], 0, v13
	s_or_b64 s[2:3], vcc, s[2:3]
                                        ; implicit-def: $vgpr10_vgpr11
	s_and_saveexec_b64 s[12:13], s[2:3]
	s_xor_b64 s[2:3], exec, s[12:13]
	s_cbranch_execz .LBB172_237
; %bb.236:
	v_div_scale_f32 v10, s[12:13], v3, v3, v13
	v_rcp_f32_e32 v11, v10
	v_div_scale_f32 v12, vcc, v13, v3, v13
	v_fma_f32 v14, -v10, v11, 1.0
	v_fmac_f32_e32 v11, v14, v11
	v_mul_f32_e32 v14, v12, v11
	v_fma_f32 v15, -v10, v14, v12
	v_fmac_f32_e32 v14, v15, v11
	v_fma_f32 v10, -v10, v14, v12
	v_div_fmas_f32 v10, v10, v11, v14
	v_div_fixup_f32 v11, v10, v3, v13
	v_fmac_f32_e32 v3, v13, v11
	v_div_scale_f32 v10, s[12:13], v3, v3, 1.0
	v_rcp_f32_e32 v12, v10
	s_nop 0
	v_fma_f32 v13, -v10, v12, 1.0
	v_fmac_f32_e32 v12, v13, v12
	v_div_scale_f32 v13, vcc, 1.0, v3, 1.0
	v_mul_f32_e32 v14, v13, v12
	v_fma_f32 v15, -v10, v14, v13
	v_fmac_f32_e32 v14, v15, v12
	v_fma_f32 v10, -v10, v14, v13
	v_div_fmas_f32 v10, v10, v12, v14
	v_div_fixup_f32 v10, v10, v3, 1.0
	v_mul_f32_e32 v3, 0, v11
	v_add_f32_e32 v12, 1.0, v3
	v_sub_f32_e32 v13, 0, v11
	v_pk_mul_f32 v[10:11], v[12:13], v[10:11] op_sel_hi:[1,0]
                                        ; implicit-def: $vgpr14
                                        ; implicit-def: $vgpr12
.LBB172_237:
	s_andn2_saveexec_b64 s[2:3], s[2:3]
	s_cbranch_execz .LBB172_239
; %bb.238:
	v_div_scale_f32 v3, s[12:13], v14, v14, 0
	v_rcp_f32_e32 v10, v3
	v_div_scale_f32 v11, vcc, 0, v14, 0
	v_fma_f32 v13, -v3, v10, 1.0
	v_fmac_f32_e32 v10, v13, v10
	v_mul_f32_e32 v13, v11, v10
	v_fma_f32 v15, -v3, v13, v11
	v_fmac_f32_e32 v13, v15, v10
	v_div_scale_f32 v15, s[12:13], v12, v12, 1.0
	v_rcp_f32_e32 v16, v15
	v_fma_f32 v3, -v3, v13, v11
	v_div_fmas_f32 v3, v3, v10, v13
	v_div_fixup_f32 v11, v3, v14, 0
	v_fma_f32 v3, -v15, v16, 1.0
	v_fmac_f32_e32 v16, v3, v16
	v_div_scale_f32 v3, vcc, 1.0, v12, 1.0
	v_mul_f32_e32 v10, v3, v16
	v_fma_f32 v13, -v15, v10, v3
	v_fmac_f32_e32 v10, v13, v16
	v_fma_f32 v3, -v15, v10, v3
	v_div_fmas_f32 v3, v3, v16, v10
	v_div_fixup_f32 v10, v3, v12, 1.0
.LBB172_239:
	s_or_b64 exec, exec, s[2:3]
                                        ; implicit-def: $vgpr13
                                        ; implicit-def: $vgpr3
.LBB172_240:
	s_andn2_saveexec_b64 s[2:3], s[4:5]
	s_cbranch_execz .LBB172_242
; %bb.241:
	v_div_scale_f32 v10, s[4:5], v13, v13, v3
	v_rcp_f32_e32 v11, v10
	v_div_scale_f32 v12, vcc, v3, v13, v3
	v_fma_f32 v14, -v10, v11, 1.0
	v_fmac_f32_e32 v11, v14, v11
	v_mul_f32_e32 v14, v12, v11
	v_fma_f32 v15, -v10, v14, v12
	v_fmac_f32_e32 v14, v15, v11
	v_fma_f32 v10, -v10, v14, v12
	v_div_fmas_f32 v10, v10, v11, v14
	v_div_fixup_f32 v10, v10, v13, v3
	v_fmac_f32_e32 v13, v3, v10
	v_div_scale_f32 v3, s[4:5], v13, v13, 1.0
	v_rcp_f32_e32 v11, v3
	s_mov_b32 s4, 0
	s_mov_b32 s5, -1.0
	v_fma_f32 v12, -v3, v11, 1.0
	v_fmac_f32_e32 v11, v12, v11
	v_div_scale_f32 v12, vcc, 1.0, v13, 1.0
	v_mul_f32_e32 v14, v12, v11
	v_fma_f32 v15, -v3, v14, v12
	v_fmac_f32_e32 v14, v15, v11
	v_fma_f32 v3, -v3, v14, v12
	v_div_fmas_f32 v3, v3, v11, v14
	v_mul_f32_e32 v11, 0, v10
	v_div_fixup_f32 v12, v3, v13, 1.0
	v_pk_add_f32 v[10:11], v[10:11], s[4:5]
	s_nop 0
	v_pk_mul_f32 v[10:11], v[10:11], v[12:13] op_sel_hi:[1,0]
.LBB172_242:
	s_or_b64 exec, exec, s[2:3]
.LBB172_243:
	s_or_b64 exec, exec, s[10:11]
	v_or_b32_e32 v3, 0x200, v0
	v_cmp_gt_i32_e32 vcc, s24, v3
	v_mov_b32_e32 v13, 0
	v_mov_b32_e32 v12, 0
	s_and_saveexec_b64 s[10:11], vcc
	s_cbranch_execz .LBB172_283
; %bb.244:
	v_cmp_neq_f32_e32 vcc, 0, v8
	v_cmp_neq_f32_e64 s[2:3], 0, v9
	v_mov_b32_e32 v3, 0
	s_or_b64 s[2:3], vcc, s[2:3]
	s_and_saveexec_b64 s[12:13], s[2:3]
	s_cbranch_execz .LBB172_274
; %bb.245:
	v_mov_b32_e32 v3, 0x7f800000
	v_cmp_neq_f32_e64 s[2:3], |v9|, v3
	s_and_saveexec_b64 s[14:15], s[2:3]
	s_cbranch_execz .LBB172_273
; %bb.246:
	v_cmp_o_f32_e32 vcc, v8, v8
                                        ; implicit-def: $vgpr3
	s_and_saveexec_b64 s[2:3], vcc
	s_xor_b64 s[16:17], exec, s[2:3]
	s_cbranch_execz .LBB172_270
; %bb.247:
	s_mov_b32 s2, 0x7f800000
	v_cmp_neq_f32_e64 s[2:3], |v8|, s2
                                        ; implicit-def: $vgpr3
	s_and_saveexec_b64 s[4:5], s[2:3]
	s_xor_b64 s[18:19], exec, s[4:5]
	s_cbranch_execz .LBB172_263
; %bb.248:
	v_max_f32_e64 v3, |v8|, |v8|
	v_max_f32_e64 v12, |v9|, |v9|
	v_max_f32_e32 v3, v12, v3
	s_mov_b32 s2, 0x7ed413cb
	v_cmp_nle_f32_e64 s[2:3], s2, v3
                                        ; implicit-def: $sgpr20_sgpr21
	s_and_saveexec_b64 s[4:5], s[2:3]
	s_xor_b64 s[4:5], exec, s[4:5]
	s_cbranch_execz .LBB172_252
; %bb.249:
	s_mov_b32 s7, 0x1000000
	v_cmp_le_f32_e64 s[20:21], |v8|, s7
	v_cmp_le_f32_e64 s[22:23], |v9|, s7
	s_and_b64 s[26:27], s[22:23], s[20:21]
	s_mov_b64 s[20:21], 0
	s_and_saveexec_b64 s[22:23], s[26:27]
; %bb.250:
	s_mov_b64 s[20:21], exec
	v_pk_mul_f32 v[8:9], v[8:9], 4.0 op_sel_hi:[1,0]
; %bb.251:
	s_or_b64 exec, exec, s[22:23]
.LBB172_252:
	s_andn2_saveexec_b64 s[4:5], s[4:5]
; %bb.253:
	s_mov_b32 s22, 0x3e800000
	v_pk_mul_f32 v[8:9], v[8:9], s[22:23] op_sel_hi:[1,0]
	s_andn2_b64 s[20:21], s[20:21], exec
; %bb.254:
	s_or_b64 exec, exec, s[4:5]
	v_max_f32_e64 v3, |v9|, |v9|
	v_max_f32_e64 v12, |v8|, |v8|
	v_max_f32_e32 v3, v12, v3
	v_cvt_f64_f32_e32 v[12:13], v3
	v_frexp_exp_i32_f64_e32 v12, v[12:13]
	v_sub_u32_e32 v13, 0, v12
	v_ldexp_f32 v14, |v8|, v13
	v_ldexp_f32 v13, |v9|, v13
	v_mul_f32_e32 v13, v13, v13
	v_fmac_f32_e32 v13, v14, v14
	v_sqrt_f32_e32 v13, v13
	s_mov_b32 s4, 0x7f800000
	v_cmp_neq_f32_e64 s[4:5], s4, v3
	v_cmp_le_f32_e32 vcc, 0, v8
	v_ldexp_f32 v12, v13, v12
	v_mov_b32_e32 v13, 0x7f800000
	v_cndmask_b32_e64 v3, v13, v12, s[4:5]
                                        ; implicit-def: $vgpr12_vgpr13
	s_and_saveexec_b64 s[4:5], vcc
	s_xor_b64 s[22:23], exec, s[4:5]
	s_cbranch_execz .LBB172_256
; %bb.255:
	v_add_f32_e32 v3, v8, v3
	v_mul_f32_e32 v3, 0.5, v3
	s_mov_b32 s4, 0xf800000
	v_mul_f32_e32 v8, 0x4f800000, v3
	v_cmp_gt_f32_e32 vcc, s4, v3
	s_nop 1
	v_cndmask_b32_e32 v3, v3, v8, vcc
	v_sqrt_f32_e32 v8, v3
	s_nop 0
	v_add_u32_e32 v12, -1, v8
	v_fma_f32 v13, -v12, v8, v3
	v_cmp_ge_f32_e64 s[4:5], 0, v13
	v_add_u32_e32 v13, 1, v8
	s_nop 0
	v_cndmask_b32_e64 v12, v8, v12, s[4:5]
	v_fma_f32 v8, -v13, v8, v3
	v_cmp_lt_f32_e64 s[4:5], 0, v8
	s_nop 1
	v_cndmask_b32_e64 v8, v12, v13, s[4:5]
	v_mul_f32_e32 v12, 0x37800000, v8
	v_cndmask_b32_e32 v8, v8, v12, vcc
	v_mov_b32_e32 v12, 0x260
	v_cmp_class_f32_e32 vcc, v3, v12
	s_nop 1
	v_cndmask_b32_e32 v12, v8, v3, vcc
	v_add_f32_e32 v3, v12, v12
	v_div_scale_f32 v8, s[4:5], v3, v3, v9
	v_rcp_f32_e32 v13, v8
	s_nop 0
	v_fma_f32 v14, -v8, v13, 1.0
	v_fmac_f32_e32 v13, v14, v13
	v_div_scale_f32 v14, vcc, v9, v3, v9
	v_mul_f32_e32 v15, v14, v13
	v_fma_f32 v16, -v8, v15, v14
	v_fmac_f32_e32 v15, v16, v13
	v_fma_f32 v8, -v8, v15, v14
	v_div_fmas_f32 v8, v8, v13, v15
	v_div_fixup_f32 v13, v8, v3, v9
                                        ; implicit-def: $vgpr3
                                        ; implicit-def: $vgpr8_vgpr9
	s_andn2_saveexec_b64 s[22:23], s[22:23]
	s_cbranch_execz .LBB172_258
	s_branch .LBB172_257
.LBB172_256:
	s_andn2_saveexec_b64 s[22:23], s[22:23]
	s_cbranch_execz .LBB172_258
.LBB172_257:
	v_sub_f32_e32 v3, v3, v8
	v_mul_f32_e32 v3, 0.5, v3
	s_mov_b32 s4, 0xf800000
	v_mul_f32_e32 v8, 0x4f800000, v3
	v_cmp_gt_f32_e32 vcc, s4, v3
	s_nop 1
	v_cndmask_b32_e32 v3, v3, v8, vcc
	v_sqrt_f32_e32 v8, v3
	s_nop 0
	v_add_u32_e32 v12, -1, v8
	v_fma_f32 v13, -v12, v8, v3
	v_cmp_ge_f32_e64 s[4:5], 0, v13
	v_add_u32_e32 v13, 1, v8
	s_nop 0
	v_cndmask_b32_e64 v12, v8, v12, s[4:5]
	v_fma_f32 v8, -v13, v8, v3
	v_cmp_lt_f32_e64 s[4:5], 0, v8
	s_nop 1
	v_cndmask_b32_e64 v8, v12, v13, s[4:5]
	v_mul_f32_e32 v12, 0x37800000, v8
	v_cndmask_b32_e32 v8, v8, v12, vcc
	v_mov_b32_e32 v12, 0x260
	v_cmp_class_f32_e32 vcc, v3, v12
	v_and_b32_e32 v12, 0x7fffffff, v9
	s_nop 0
	v_cndmask_b32_e32 v3, v8, v3, vcc
	v_add_f32_e32 v8, v3, v3
	v_div_scale_f32 v13, s[4:5], v8, v8, v12
	v_rcp_f32_e32 v14, v13
	v_div_scale_f32 v12, vcc, v12, v8, v12
	s_brev_b32 s4, -2
	v_fma_f32 v15, -v13, v14, 1.0
	v_fmac_f32_e32 v14, v15, v14
	v_mul_f32_e32 v15, v12, v14
	v_fma_f32 v16, -v13, v15, v12
	v_fmac_f32_e32 v15, v16, v14
	v_fma_f32 v12, -v13, v15, v12
	v_div_fmas_f32 v12, v12, v14, v15
	v_div_fixup_f32 v12, v12, v8, |v9|
	v_bfi_b32 v13, s4, v3, v9
.LBB172_258:
	s_or_b64 exec, exec, s[22:23]
                                        ; implicit-def: $vgpr9
                                        ; implicit-def: $vgpr3
	s_and_saveexec_b64 s[4:5], s[2:3]
	s_xor_b64 s[2:3], exec, s[4:5]
	s_cbranch_execz .LBB172_260
; %bb.259:
	v_pk_mul_f32 v[8:9], v[12:13], 0.5 op_sel_hi:[1,0]
	s_nop 0
	v_cndmask_b32_e64 v3, v12, v8, s[20:21]
	v_cndmask_b32_e64 v9, v13, v9, s[20:21]
                                        ; implicit-def: $vgpr12_vgpr13
	s_andn2_saveexec_b64 s[2:3], s[2:3]
	s_cbranch_execnz .LBB172_261
	s_branch .LBB172_262
.LBB172_260:
	s_andn2_saveexec_b64 s[2:3], s[2:3]
.LBB172_261:
	v_pk_add_f32 v[8:9], v[12:13], v[12:13]
	s_nop 0
	v_mov_b32_e32 v3, v8
.LBB172_262:
	s_or_b64 exec, exec, s[2:3]
.LBB172_263:
	s_andn2_saveexec_b64 s[2:3], s[18:19]
	s_cbranch_execz .LBB172_269
; %bb.264:
	v_sub_f32_e32 v12, v9, v9
	v_cmp_lt_i32_e32 vcc, -1, v8
	s_brev_b32 s7, -2
	v_and_b32_e32 v3, 0x7fffffff, v12
	s_and_saveexec_b64 s[4:5], vcc
	s_xor_b64 s[4:5], exec, s[4:5]
; %bb.265:
	v_bfi_b32 v9, s7, v12, v9
	v_mov_b32_e32 v3, v8
; %bb.266:
	s_andn2_saveexec_b64 s[4:5], s[4:5]
; %bb.267:
	v_bfi_b32 v9, s7, v8, v9
; %bb.268:
	s_or_b64 exec, exec, s[4:5]
.LBB172_269:
	s_or_b64 exec, exec, s[2:3]
.LBB172_270:
	s_andn2_saveexec_b64 s[2:3], s[16:17]
	s_cbranch_execz .LBB172_272
; %bb.271:
	v_sub_f32_e32 v3, v9, v9
	v_div_scale_f32 v9, vcc, v3, v3, v3
	v_rcp_f32_e32 v12, v9
	s_nop 0
	v_fma_f32 v13, -v9, v12, 1.0
	v_fmac_f32_e32 v12, v13, v12
	v_mul_f32_e32 v13, v9, v12
	v_fma_f32 v14, -v9, v13, v9
	v_fmac_f32_e32 v13, v14, v12
	v_fma_f32 v9, -v9, v13, v9
	v_div_fmas_f32 v9, v9, v12, v13
	v_div_fixup_f32 v9, v9, v3, v3
	v_mov_b32_e32 v3, v8
.LBB172_272:
	s_or_b64 exec, exec, s[2:3]
.LBB172_273:
	s_or_b64 exec, exec, s[14:15]
.LBB172_274:
	s_or_b64 exec, exec, s[12:13]
	v_cmp_gt_f32_e32 vcc, 0, v9
                                        ; implicit-def: $vgpr12_vgpr13
	s_nop 1
	v_cndmask_b32_e64 v14, v9, -v9, vcc
	v_cmp_gt_f32_e32 vcc, 0, v3
	s_nop 1
	v_cndmask_b32_e64 v8, v3, -v3, vcc
	v_cmp_ge_f32_e32 vcc, v8, v14
	s_and_saveexec_b64 s[2:3], vcc
	s_xor_b64 s[4:5], exec, s[2:3]
	s_cbranch_execz .LBB172_280
; %bb.275:
	v_cmp_neq_f32_e32 vcc, 0, v3
	v_cmp_neq_f32_e64 s[2:3], 0, v9
	s_or_b64 s[2:3], vcc, s[2:3]
                                        ; implicit-def: $vgpr12_vgpr13
	s_and_saveexec_b64 s[12:13], s[2:3]
	s_xor_b64 s[2:3], exec, s[12:13]
	s_cbranch_execz .LBB172_277
; %bb.276:
	v_div_scale_f32 v8, s[12:13], v3, v3, v9
	v_rcp_f32_e32 v12, v8
	v_div_scale_f32 v13, vcc, v9, v3, v9
	v_fma_f32 v14, -v8, v12, 1.0
	v_fmac_f32_e32 v12, v14, v12
	v_mul_f32_e32 v14, v13, v12
	v_fma_f32 v15, -v8, v14, v13
	v_fmac_f32_e32 v14, v15, v12
	v_fma_f32 v8, -v8, v14, v13
	v_div_fmas_f32 v8, v8, v12, v14
	v_div_fixup_f32 v13, v8, v3, v9
	v_fmac_f32_e32 v3, v9, v13
	v_div_scale_f32 v8, s[12:13], v3, v3, 1.0
	v_rcp_f32_e32 v9, v8
	s_nop 0
	v_fma_f32 v12, -v8, v9, 1.0
	v_fmac_f32_e32 v9, v12, v9
	v_div_scale_f32 v12, vcc, 1.0, v3, 1.0
	v_mul_f32_e32 v14, v12, v9
	v_fma_f32 v15, -v8, v14, v12
	v_fmac_f32_e32 v14, v15, v9
	v_fma_f32 v8, -v8, v14, v12
	v_div_fmas_f32 v8, v8, v9, v14
	v_div_fixup_f32 v8, v8, v3, 1.0
	v_mul_f32_e32 v3, 0, v13
	v_add_f32_e32 v12, 1.0, v3
	v_sub_f32_e32 v13, 0, v13
	v_pk_mul_f32 v[12:13], v[12:13], v[8:9] op_sel_hi:[1,0]
                                        ; implicit-def: $vgpr14
                                        ; implicit-def: $vgpr8
.LBB172_277:
	s_andn2_saveexec_b64 s[2:3], s[2:3]
	s_cbranch_execz .LBB172_279
; %bb.278:
	v_div_scale_f32 v3, s[12:13], v14, v14, 0
	v_rcp_f32_e32 v9, v3
	v_div_scale_f32 v12, vcc, 0, v14, 0
	v_fma_f32 v13, -v3, v9, 1.0
	v_fmac_f32_e32 v9, v13, v9
	v_mul_f32_e32 v13, v12, v9
	v_fma_f32 v15, -v3, v13, v12
	v_fmac_f32_e32 v13, v15, v9
	v_fma_f32 v3, -v3, v13, v12
	v_div_scale_f32 v12, s[12:13], v8, v8, 1.0
	v_rcp_f32_e32 v15, v12
	v_div_fmas_f32 v3, v3, v9, v13
	v_div_fixup_f32 v13, v3, v14, 0
	v_fma_f32 v3, -v12, v15, 1.0
	v_fmac_f32_e32 v15, v3, v15
	v_div_scale_f32 v3, vcc, 1.0, v8, 1.0
	v_mul_f32_e32 v9, v3, v15
	v_fma_f32 v14, -v12, v9, v3
	v_fmac_f32_e32 v9, v14, v15
	v_fma_f32 v3, -v12, v9, v3
	v_div_fmas_f32 v3, v3, v15, v9
	v_div_fixup_f32 v12, v3, v8, 1.0
.LBB172_279:
	s_or_b64 exec, exec, s[2:3]
                                        ; implicit-def: $vgpr9
                                        ; implicit-def: $vgpr3
.LBB172_280:
	s_andn2_saveexec_b64 s[2:3], s[4:5]
	s_cbranch_execz .LBB172_282
; %bb.281:
	v_div_scale_f32 v8, s[4:5], v9, v9, v3
	v_rcp_f32_e32 v12, v8
	v_div_scale_f32 v13, vcc, v3, v9, v3
	v_fma_f32 v14, -v8, v12, 1.0
	v_fmac_f32_e32 v12, v14, v12
	v_mul_f32_e32 v14, v13, v12
	v_fma_f32 v15, -v8, v14, v13
	v_fmac_f32_e32 v14, v15, v12
	v_fma_f32 v8, -v8, v14, v13
	v_div_fmas_f32 v8, v8, v12, v14
	v_div_fixup_f32 v8, v8, v9, v3
	v_fmac_f32_e32 v9, v3, v8
	v_div_scale_f32 v3, s[4:5], v9, v9, 1.0
	v_rcp_f32_e32 v12, v3
	s_mov_b32 s4, 0
	s_mov_b32 s5, -1.0
	v_fma_f32 v13, -v3, v12, 1.0
	v_fmac_f32_e32 v12, v13, v12
	v_div_scale_f32 v13, vcc, 1.0, v9, 1.0
	v_mul_f32_e32 v14, v13, v12
	v_fma_f32 v15, -v3, v14, v13
	v_fmac_f32_e32 v14, v15, v12
	v_fma_f32 v3, -v3, v14, v13
	v_div_fmas_f32 v3, v3, v12, v14
	v_div_fixup_f32 v12, v3, v9, 1.0
	v_mul_f32_e32 v9, 0, v8
	v_pk_add_f32 v[8:9], v[8:9], s[4:5]
	s_nop 0
	v_pk_mul_f32 v[12:13], v[8:9], v[12:13] op_sel_hi:[1,0]
.LBB172_282:
	s_or_b64 exec, exec, s[2:3]
.LBB172_283:
	s_or_b64 exec, exec, s[10:11]
	v_or_b32_e32 v3, 0x300, v0
	v_cmp_gt_i32_e32 vcc, s24, v3
	v_mov_b32_e32 v9, 0
	v_mov_b32_e32 v8, 0
	s_and_saveexec_b64 s[10:11], vcc
	s_cbranch_execz .LBB172_296
; %bb.284:
	v_cmp_neq_f32_e32 vcc, 0, v4
	v_cmp_neq_f32_e64 s[2:3], 0, v5
	v_mov_b32_e32 v3, 0
	s_or_b64 s[2:3], vcc, s[2:3]
	s_and_saveexec_b64 s[12:13], s[2:3]
	s_cbranch_execz .LBB172_318
; %bb.285:
	v_mov_b32_e32 v3, 0x7f800000
	v_cmp_neq_f32_e64 s[2:3], |v5|, v3
	s_and_saveexec_b64 s[14:15], s[2:3]
	s_cbranch_execz .LBB172_317
; %bb.286:
	v_cmp_o_f32_e32 vcc, v4, v4
                                        ; implicit-def: $vgpr3
	s_and_saveexec_b64 s[2:3], vcc
	s_xor_b64 s[16:17], exec, s[2:3]
	s_cbranch_execz .LBB172_314
; %bb.287:
	s_mov_b32 s2, 0x7f800000
	v_cmp_neq_f32_e64 s[2:3], |v4|, s2
                                        ; implicit-def: $vgpr3
	s_and_saveexec_b64 s[4:5], s[2:3]
	s_xor_b64 s[18:19], exec, s[4:5]
	s_cbranch_execz .LBB172_307
; %bb.288:
	v_max_f32_e64 v3, |v4|, |v4|
	v_max_f32_e64 v8, |v5|, |v5|
	v_max_f32_e32 v3, v8, v3
	s_mov_b32 s2, 0x7ed413cb
	v_cmp_nle_f32_e64 s[2:3], s2, v3
                                        ; implicit-def: $sgpr20_sgpr21
	s_and_saveexec_b64 s[4:5], s[2:3]
	s_xor_b64 s[4:5], exec, s[4:5]
	s_cbranch_execz .LBB172_292
; %bb.289:
	s_mov_b32 s7, 0x1000000
	v_cmp_le_f32_e64 s[20:21], |v4|, s7
	v_cmp_le_f32_e64 s[22:23], |v5|, s7
	s_and_b64 s[26:27], s[22:23], s[20:21]
	s_mov_b64 s[20:21], 0
	s_and_saveexec_b64 s[22:23], s[26:27]
; %bb.290:
	s_mov_b64 s[20:21], exec
	v_pk_mul_f32 v[4:5], v[4:5], 4.0 op_sel_hi:[1,0]
; %bb.291:
	s_or_b64 exec, exec, s[22:23]
.LBB172_292:
	s_andn2_saveexec_b64 s[4:5], s[4:5]
; %bb.293:
	s_mov_b32 s22, 0x3e800000
	v_pk_mul_f32 v[4:5], v[4:5], s[22:23] op_sel_hi:[1,0]
	s_andn2_b64 s[20:21], s[20:21], exec
; %bb.294:
	s_or_b64 exec, exec, s[4:5]
	v_max_f32_e64 v3, |v5|, |v5|
	v_max_f32_e64 v8, |v4|, |v4|
	v_max_f32_e32 v3, v8, v3
	v_cvt_f64_f32_e32 v[8:9], v3
	v_frexp_exp_i32_f64_e32 v8, v[8:9]
	v_sub_u32_e32 v9, 0, v8
	v_ldexp_f32 v14, |v4|, v9
	v_ldexp_f32 v9, |v5|, v9
	v_mul_f32_e32 v9, v9, v9
	v_fmac_f32_e32 v9, v14, v14
	v_sqrt_f32_e32 v9, v9
	s_mov_b32 s4, 0x7f800000
	v_cmp_neq_f32_e64 s[4:5], s4, v3
	v_cmp_le_f32_e32 vcc, 0, v4
	v_ldexp_f32 v8, v9, v8
	v_mov_b32_e32 v9, 0x7f800000
	v_cndmask_b32_e64 v3, v9, v8, s[4:5]
                                        ; implicit-def: $vgpr8_vgpr9
	s_and_saveexec_b64 s[4:5], vcc
	s_xor_b64 s[22:23], exec, s[4:5]
	s_cbranch_execz .LBB172_300
; %bb.295:
	v_add_f32_e32 v3, v4, v3
	v_mul_f32_e32 v3, 0.5, v3
	s_mov_b32 s4, 0xf800000
	v_mul_f32_e32 v4, 0x4f800000, v3
	v_cmp_gt_f32_e32 vcc, s4, v3
	s_nop 1
	v_cndmask_b32_e32 v3, v3, v4, vcc
	v_sqrt_f32_e32 v4, v3
	s_nop 0
	v_add_u32_e32 v8, -1, v4
	v_fma_f32 v9, -v8, v4, v3
	v_cmp_ge_f32_e64 s[4:5], 0, v9
	v_add_u32_e32 v9, 1, v4
	s_nop 0
	v_cndmask_b32_e64 v8, v4, v8, s[4:5]
	v_fma_f32 v4, -v9, v4, v3
	v_cmp_lt_f32_e64 s[4:5], 0, v4
	s_nop 1
	v_cndmask_b32_e64 v4, v8, v9, s[4:5]
	v_mul_f32_e32 v8, 0x37800000, v4
	v_cndmask_b32_e32 v4, v4, v8, vcc
	v_mov_b32_e32 v8, 0x260
	v_cmp_class_f32_e32 vcc, v3, v8
	s_nop 1
	v_cndmask_b32_e32 v8, v4, v3, vcc
	v_add_f32_e32 v3, v8, v8
	v_div_scale_f32 v4, s[4:5], v3, v3, v5
	v_rcp_f32_e32 v9, v4
	s_nop 0
	v_fma_f32 v14, -v4, v9, 1.0
	v_fmac_f32_e32 v9, v14, v9
	v_div_scale_f32 v14, vcc, v5, v3, v5
	v_mul_f32_e32 v15, v14, v9
	v_fma_f32 v16, -v4, v15, v14
	v_fmac_f32_e32 v15, v16, v9
	v_fma_f32 v4, -v4, v15, v14
	v_div_fmas_f32 v4, v4, v9, v15
	v_div_fixup_f32 v9, v4, v3, v5
                                        ; implicit-def: $vgpr3
                                        ; implicit-def: $vgpr4_vgpr5
	s_andn2_saveexec_b64 s[22:23], s[22:23]
	s_cbranch_execz .LBB172_302
	s_branch .LBB172_301
.LBB172_296:
	s_or_b64 exec, exec, s[10:11]
	s_and_saveexec_b64 s[2:3], s[0:1]
	s_xor_b64 s[0:1], exec, s[2:3]
	s_cbranch_execz .LBB172_327
.LBB172_297:
	v_mov_b32_e32 v3, 0
	v_lshl_add_u64 v[2:3], v[2:3], 3, s[8:9]
	v_mov_b32_e32 v0, v1
	global_store_dwordx2 v[2:3], v[6:7], off
	s_or_b64 exec, exec, s[0:1]
	v_cmp_gt_i32_e32 vcc, s24, v0
	s_and_saveexec_b64 s[0:1], vcc
	s_cbranch_execnz .LBB172_328
.LBB172_298:
	s_or_b64 exec, exec, s[0:1]
	v_cmp_gt_i32_e32 vcc, s24, v0
	s_and_saveexec_b64 s[0:1], vcc
	s_cbranch_execz .LBB172_329
.LBB172_299:
	v_add_u32_e32 v2, 0x100, v0
	v_add_u32_e32 v0, s6, v0
	v_mov_b32_e32 v1, 0
	v_lshl_add_u64 v[0:1], v[0:1], 3, s[8:9]
	global_store_dwordx2 v[0:1], v[12:13], off
	v_mov_b32_e32 v0, v2
	s_or_b64 exec, exec, s[0:1]
	v_cmp_gt_i32_e32 vcc, s24, v0
	s_and_saveexec_b64 s[0:1], vcc
	s_cbranch_execnz .LBB172_330
	s_branch .LBB172_331
.LBB172_300:
	s_andn2_saveexec_b64 s[22:23], s[22:23]
	s_cbranch_execz .LBB172_302
.LBB172_301:
	v_sub_f32_e32 v3, v3, v4
	v_mul_f32_e32 v3, 0.5, v3
	s_mov_b32 s4, 0xf800000
	v_mul_f32_e32 v4, 0x4f800000, v3
	v_cmp_gt_f32_e32 vcc, s4, v3
	s_nop 1
	v_cndmask_b32_e32 v3, v3, v4, vcc
	v_sqrt_f32_e32 v4, v3
	s_nop 0
	v_add_u32_e32 v8, -1, v4
	v_fma_f32 v9, -v8, v4, v3
	v_cmp_ge_f32_e64 s[4:5], 0, v9
	v_add_u32_e32 v9, 1, v4
	s_nop 0
	v_cndmask_b32_e64 v8, v4, v8, s[4:5]
	v_fma_f32 v4, -v9, v4, v3
	v_cmp_lt_f32_e64 s[4:5], 0, v4
	s_nop 1
	v_cndmask_b32_e64 v4, v8, v9, s[4:5]
	v_mul_f32_e32 v8, 0x37800000, v4
	v_cndmask_b32_e32 v4, v4, v8, vcc
	v_mov_b32_e32 v8, 0x260
	v_cmp_class_f32_e32 vcc, v3, v8
	v_and_b32_e32 v8, 0x7fffffff, v5
	s_nop 0
	v_cndmask_b32_e32 v3, v4, v3, vcc
	v_add_f32_e32 v4, v3, v3
	v_div_scale_f32 v9, s[4:5], v4, v4, v8
	v_rcp_f32_e32 v14, v9
	v_div_scale_f32 v8, vcc, v8, v4, v8
	s_brev_b32 s4, -2
	v_fma_f32 v15, -v9, v14, 1.0
	v_fmac_f32_e32 v14, v15, v14
	v_mul_f32_e32 v15, v8, v14
	v_fma_f32 v16, -v9, v15, v8
	v_fmac_f32_e32 v15, v16, v14
	v_fma_f32 v8, -v9, v15, v8
	v_div_fmas_f32 v8, v8, v14, v15
	v_div_fixup_f32 v8, v8, v4, |v5|
	v_bfi_b32 v9, s4, v3, v5
.LBB172_302:
	s_or_b64 exec, exec, s[22:23]
                                        ; implicit-def: $vgpr5
                                        ; implicit-def: $vgpr3
	s_and_saveexec_b64 s[4:5], s[2:3]
	s_xor_b64 s[2:3], exec, s[4:5]
	s_cbranch_execz .LBB172_304
; %bb.303:
	v_pk_mul_f32 v[4:5], v[8:9], 0.5 op_sel_hi:[1,0]
	s_nop 0
	v_cndmask_b32_e64 v3, v8, v4, s[20:21]
	v_cndmask_b32_e64 v5, v9, v5, s[20:21]
                                        ; implicit-def: $vgpr8_vgpr9
	s_andn2_saveexec_b64 s[2:3], s[2:3]
	s_cbranch_execnz .LBB172_305
	s_branch .LBB172_306
.LBB172_304:
	s_andn2_saveexec_b64 s[2:3], s[2:3]
.LBB172_305:
	v_pk_add_f32 v[4:5], v[8:9], v[8:9]
	s_nop 0
	v_mov_b32_e32 v3, v4
.LBB172_306:
	s_or_b64 exec, exec, s[2:3]
.LBB172_307:
	s_andn2_saveexec_b64 s[2:3], s[18:19]
	s_cbranch_execz .LBB172_313
; %bb.308:
	v_sub_f32_e32 v8, v5, v5
	v_cmp_lt_i32_e32 vcc, -1, v4
	s_brev_b32 s7, -2
	v_and_b32_e32 v3, 0x7fffffff, v8
	s_and_saveexec_b64 s[4:5], vcc
	s_xor_b64 s[4:5], exec, s[4:5]
; %bb.309:
	v_bfi_b32 v5, s7, v8, v5
	v_mov_b32_e32 v3, v4
; %bb.310:
	s_andn2_saveexec_b64 s[4:5], s[4:5]
; %bb.311:
	v_bfi_b32 v5, s7, v4, v5
; %bb.312:
	s_or_b64 exec, exec, s[4:5]
.LBB172_313:
	s_or_b64 exec, exec, s[2:3]
.LBB172_314:
	s_andn2_saveexec_b64 s[2:3], s[16:17]
	s_cbranch_execz .LBB172_316
; %bb.315:
	v_sub_f32_e32 v3, v5, v5
	v_div_scale_f32 v5, vcc, v3, v3, v3
	v_rcp_f32_e32 v8, v5
	s_nop 0
	v_fma_f32 v9, -v5, v8, 1.0
	v_fmac_f32_e32 v8, v9, v8
	v_mul_f32_e32 v9, v5, v8
	v_fma_f32 v14, -v5, v9, v5
	v_fmac_f32_e32 v9, v14, v8
	v_fma_f32 v5, -v5, v9, v5
	v_div_fmas_f32 v5, v5, v8, v9
	v_div_fixup_f32 v5, v5, v3, v3
	v_mov_b32_e32 v3, v4
.LBB172_316:
	s_or_b64 exec, exec, s[2:3]
.LBB172_317:
	s_or_b64 exec, exec, s[14:15]
.LBB172_318:
	s_or_b64 exec, exec, s[12:13]
	v_cmp_gt_f32_e32 vcc, 0, v5
                                        ; implicit-def: $vgpr8_vgpr9
	s_nop 1
	v_cndmask_b32_e64 v14, v5, -v5, vcc
	v_cmp_gt_f32_e32 vcc, 0, v3
	s_nop 1
	v_cndmask_b32_e64 v4, v3, -v3, vcc
	v_cmp_ge_f32_e32 vcc, v4, v14
	s_and_saveexec_b64 s[2:3], vcc
	s_xor_b64 s[4:5], exec, s[2:3]
	s_cbranch_execz .LBB172_324
; %bb.319:
	v_cmp_neq_f32_e32 vcc, 0, v3
	v_cmp_neq_f32_e64 s[2:3], 0, v5
	s_or_b64 s[2:3], vcc, s[2:3]
                                        ; implicit-def: $vgpr8_vgpr9
	s_and_saveexec_b64 s[12:13], s[2:3]
	s_xor_b64 s[2:3], exec, s[12:13]
	s_cbranch_execz .LBB172_321
; %bb.320:
	v_div_scale_f32 v4, s[12:13], v3, v3, v5
	v_rcp_f32_e32 v8, v4
	v_div_scale_f32 v9, vcc, v5, v3, v5
	v_fma_f32 v14, -v4, v8, 1.0
	v_fmac_f32_e32 v8, v14, v8
	v_mul_f32_e32 v14, v9, v8
	v_fma_f32 v15, -v4, v14, v9
	v_fmac_f32_e32 v14, v15, v8
	v_fma_f32 v4, -v4, v14, v9
	v_div_fmas_f32 v4, v4, v8, v14
	v_div_fixup_f32 v9, v4, v3, v5
	v_fmac_f32_e32 v3, v5, v9
	v_div_scale_f32 v4, s[12:13], v3, v3, 1.0
	v_rcp_f32_e32 v5, v4
	s_nop 0
	v_fma_f32 v8, -v4, v5, 1.0
	v_fmac_f32_e32 v5, v8, v5
	v_div_scale_f32 v8, vcc, 1.0, v3, 1.0
	v_mul_f32_e32 v14, v8, v5
	v_fma_f32 v15, -v4, v14, v8
	v_fmac_f32_e32 v14, v15, v5
	v_fma_f32 v4, -v4, v14, v8
	v_div_fmas_f32 v4, v4, v5, v14
	v_div_fixup_f32 v4, v4, v3, 1.0
	v_mul_f32_e32 v3, 0, v9
	v_add_f32_e32 v8, 1.0, v3
	v_sub_f32_e32 v9, 0, v9
	v_pk_mul_f32 v[8:9], v[8:9], v[4:5] op_sel_hi:[1,0]
                                        ; implicit-def: $vgpr14
                                        ; implicit-def: $vgpr4
.LBB172_321:
	s_andn2_saveexec_b64 s[2:3], s[2:3]
	s_cbranch_execz .LBB172_323
; %bb.322:
	v_div_scale_f32 v3, s[12:13], v14, v14, 0
	v_rcp_f32_e32 v5, v3
	v_div_scale_f32 v8, vcc, 0, v14, 0
	v_fma_f32 v9, -v3, v5, 1.0
	v_fmac_f32_e32 v5, v9, v5
	v_mul_f32_e32 v9, v8, v5
	v_fma_f32 v15, -v3, v9, v8
	v_fmac_f32_e32 v9, v15, v5
	v_fma_f32 v3, -v3, v9, v8
	v_div_scale_f32 v8, s[12:13], v4, v4, 1.0
	v_rcp_f32_e32 v15, v8
	v_div_fmas_f32 v3, v3, v5, v9
	v_div_fixup_f32 v9, v3, v14, 0
	v_fma_f32 v3, -v8, v15, 1.0
	v_fmac_f32_e32 v15, v3, v15
	v_div_scale_f32 v3, vcc, 1.0, v4, 1.0
	v_mul_f32_e32 v5, v3, v15
	v_fma_f32 v14, -v8, v5, v3
	v_fmac_f32_e32 v5, v14, v15
	v_fma_f32 v3, -v8, v5, v3
	v_div_fmas_f32 v3, v3, v15, v5
	v_div_fixup_f32 v8, v3, v4, 1.0
.LBB172_323:
	s_or_b64 exec, exec, s[2:3]
                                        ; implicit-def: $vgpr5
                                        ; implicit-def: $vgpr3
.LBB172_324:
	s_andn2_saveexec_b64 s[2:3], s[4:5]
	s_cbranch_execz .LBB172_326
; %bb.325:
	v_div_scale_f32 v4, s[4:5], v5, v5, v3
	v_rcp_f32_e32 v8, v4
	v_div_scale_f32 v9, vcc, v3, v5, v3
	v_fma_f32 v14, -v4, v8, 1.0
	v_fmac_f32_e32 v8, v14, v8
	v_mul_f32_e32 v14, v9, v8
	v_fma_f32 v15, -v4, v14, v9
	v_fmac_f32_e32 v14, v15, v8
	v_fma_f32 v4, -v4, v14, v9
	v_div_fmas_f32 v4, v4, v8, v14
	v_div_fixup_f32 v4, v4, v5, v3
	v_fmac_f32_e32 v5, v3, v4
	v_div_scale_f32 v3, s[4:5], v5, v5, 1.0
	v_rcp_f32_e32 v8, v3
	s_mov_b32 s4, 0
	s_mov_b32 s5, -1.0
	v_fma_f32 v9, -v3, v8, 1.0
	v_fmac_f32_e32 v8, v9, v8
	v_div_scale_f32 v9, vcc, 1.0, v5, 1.0
	v_mul_f32_e32 v14, v9, v8
	v_fma_f32 v15, -v3, v14, v9
	v_fmac_f32_e32 v14, v15, v8
	v_fma_f32 v3, -v3, v14, v9
	v_div_fmas_f32 v3, v3, v8, v14
	v_div_fixup_f32 v8, v3, v5, 1.0
	v_mul_f32_e32 v5, 0, v4
	v_pk_add_f32 v[4:5], v[4:5], s[4:5]
	s_nop 0
	v_pk_mul_f32 v[8:9], v[4:5], v[8:9] op_sel_hi:[1,0]
.LBB172_326:
	s_or_b64 exec, exec, s[2:3]
	s_or_b64 exec, exec, s[10:11]
	s_and_saveexec_b64 s[2:3], s[0:1]
	s_xor_b64 s[0:1], exec, s[2:3]
	s_cbranch_execnz .LBB172_297
.LBB172_327:
	s_or_b64 exec, exec, s[0:1]
	v_cmp_gt_i32_e32 vcc, s24, v0
	s_and_saveexec_b64 s[0:1], vcc
	s_cbranch_execz .LBB172_298
.LBB172_328:
	v_add_u32_e32 v2, 0x100, v0
	v_add_u32_e32 v0, s6, v0
	v_mov_b32_e32 v1, 0
	v_lshl_add_u64 v[0:1], v[0:1], 3, s[8:9]
	global_store_dwordx2 v[0:1], v[10:11], off
	v_mov_b32_e32 v0, v2
	s_or_b64 exec, exec, s[0:1]
	v_cmp_gt_i32_e32 vcc, s24, v0
	s_and_saveexec_b64 s[0:1], vcc
	s_cbranch_execnz .LBB172_299
.LBB172_329:
	s_or_b64 exec, exec, s[0:1]
	v_cmp_gt_i32_e32 vcc, s24, v0
	s_and_saveexec_b64 s[0:1], vcc
	s_cbranch_execz .LBB172_331
.LBB172_330:
	v_add_u32_e32 v0, s6, v0
	v_mov_b32_e32 v1, 0
	v_lshl_add_u64 v[0:1], v[0:1], 3, s[8:9]
	global_store_dwordx2 v[0:1], v[8:9], off
.LBB172_331:
	s_endpgm
	.section	.rodata,"a",@progbits
	.p2align	6, 0x0
	.amdhsa_kernel _ZN2at6native29vectorized_elementwise_kernelILi4EZZZNS0_17rsqrt_kernel_cudaERNS_18TensorIteratorBaseEENKUlvE_clEvENKUlvE0_clEvEUlN3c107complexIfEEE_St5arrayIPcLm2EEEEviT0_T1_
		.amdhsa_group_segment_fixed_size 0
		.amdhsa_private_segment_fixed_size 0
		.amdhsa_kernarg_size 24
		.amdhsa_user_sgpr_count 2
		.amdhsa_user_sgpr_dispatch_ptr 0
		.amdhsa_user_sgpr_queue_ptr 0
		.amdhsa_user_sgpr_kernarg_segment_ptr 1
		.amdhsa_user_sgpr_dispatch_id 0
		.amdhsa_user_sgpr_kernarg_preload_length 0
		.amdhsa_user_sgpr_kernarg_preload_offset 0
		.amdhsa_user_sgpr_private_segment_size 0
		.amdhsa_uses_dynamic_stack 0
		.amdhsa_enable_private_segment 0
		.amdhsa_system_sgpr_workgroup_id_x 1
		.amdhsa_system_sgpr_workgroup_id_y 0
		.amdhsa_system_sgpr_workgroup_id_z 0
		.amdhsa_system_sgpr_workgroup_info 0
		.amdhsa_system_vgpr_workitem_id 0
		.amdhsa_next_free_vgpr 18
		.amdhsa_next_free_sgpr 28
		.amdhsa_accum_offset 20
		.amdhsa_reserve_vcc 1
		.amdhsa_float_round_mode_32 0
		.amdhsa_float_round_mode_16_64 0
		.amdhsa_float_denorm_mode_32 3
		.amdhsa_float_denorm_mode_16_64 3
		.amdhsa_dx10_clamp 1
		.amdhsa_ieee_mode 1
		.amdhsa_fp16_overflow 0
		.amdhsa_tg_split 0
		.amdhsa_exception_fp_ieee_invalid_op 0
		.amdhsa_exception_fp_denorm_src 0
		.amdhsa_exception_fp_ieee_div_zero 0
		.amdhsa_exception_fp_ieee_overflow 0
		.amdhsa_exception_fp_ieee_underflow 0
		.amdhsa_exception_fp_ieee_inexact 0
		.amdhsa_exception_int_div_zero 0
	.end_amdhsa_kernel
	.section	.text._ZN2at6native29vectorized_elementwise_kernelILi4EZZZNS0_17rsqrt_kernel_cudaERNS_18TensorIteratorBaseEENKUlvE_clEvENKUlvE0_clEvEUlN3c107complexIfEEE_St5arrayIPcLm2EEEEviT0_T1_,"axG",@progbits,_ZN2at6native29vectorized_elementwise_kernelILi4EZZZNS0_17rsqrt_kernel_cudaERNS_18TensorIteratorBaseEENKUlvE_clEvENKUlvE0_clEvEUlN3c107complexIfEEE_St5arrayIPcLm2EEEEviT0_T1_,comdat
.Lfunc_end172:
	.size	_ZN2at6native29vectorized_elementwise_kernelILi4EZZZNS0_17rsqrt_kernel_cudaERNS_18TensorIteratorBaseEENKUlvE_clEvENKUlvE0_clEvEUlN3c107complexIfEEE_St5arrayIPcLm2EEEEviT0_T1_, .Lfunc_end172-_ZN2at6native29vectorized_elementwise_kernelILi4EZZZNS0_17rsqrt_kernel_cudaERNS_18TensorIteratorBaseEENKUlvE_clEvENKUlvE0_clEvEUlN3c107complexIfEEE_St5arrayIPcLm2EEEEviT0_T1_
                                        ; -- End function
	.set _ZN2at6native29vectorized_elementwise_kernelILi4EZZZNS0_17rsqrt_kernel_cudaERNS_18TensorIteratorBaseEENKUlvE_clEvENKUlvE0_clEvEUlN3c107complexIfEEE_St5arrayIPcLm2EEEEviT0_T1_.num_vgpr, 18
	.set _ZN2at6native29vectorized_elementwise_kernelILi4EZZZNS0_17rsqrt_kernel_cudaERNS_18TensorIteratorBaseEENKUlvE_clEvENKUlvE0_clEvEUlN3c107complexIfEEE_St5arrayIPcLm2EEEEviT0_T1_.num_agpr, 0
	.set _ZN2at6native29vectorized_elementwise_kernelILi4EZZZNS0_17rsqrt_kernel_cudaERNS_18TensorIteratorBaseEENKUlvE_clEvENKUlvE0_clEvEUlN3c107complexIfEEE_St5arrayIPcLm2EEEEviT0_T1_.numbered_sgpr, 28
	.set _ZN2at6native29vectorized_elementwise_kernelILi4EZZZNS0_17rsqrt_kernel_cudaERNS_18TensorIteratorBaseEENKUlvE_clEvENKUlvE0_clEvEUlN3c107complexIfEEE_St5arrayIPcLm2EEEEviT0_T1_.num_named_barrier, 0
	.set _ZN2at6native29vectorized_elementwise_kernelILi4EZZZNS0_17rsqrt_kernel_cudaERNS_18TensorIteratorBaseEENKUlvE_clEvENKUlvE0_clEvEUlN3c107complexIfEEE_St5arrayIPcLm2EEEEviT0_T1_.private_seg_size, 0
	.set _ZN2at6native29vectorized_elementwise_kernelILi4EZZZNS0_17rsqrt_kernel_cudaERNS_18TensorIteratorBaseEENKUlvE_clEvENKUlvE0_clEvEUlN3c107complexIfEEE_St5arrayIPcLm2EEEEviT0_T1_.uses_vcc, 1
	.set _ZN2at6native29vectorized_elementwise_kernelILi4EZZZNS0_17rsqrt_kernel_cudaERNS_18TensorIteratorBaseEENKUlvE_clEvENKUlvE0_clEvEUlN3c107complexIfEEE_St5arrayIPcLm2EEEEviT0_T1_.uses_flat_scratch, 0
	.set _ZN2at6native29vectorized_elementwise_kernelILi4EZZZNS0_17rsqrt_kernel_cudaERNS_18TensorIteratorBaseEENKUlvE_clEvENKUlvE0_clEvEUlN3c107complexIfEEE_St5arrayIPcLm2EEEEviT0_T1_.has_dyn_sized_stack, 0
	.set _ZN2at6native29vectorized_elementwise_kernelILi4EZZZNS0_17rsqrt_kernel_cudaERNS_18TensorIteratorBaseEENKUlvE_clEvENKUlvE0_clEvEUlN3c107complexIfEEE_St5arrayIPcLm2EEEEviT0_T1_.has_recursion, 0
	.set _ZN2at6native29vectorized_elementwise_kernelILi4EZZZNS0_17rsqrt_kernel_cudaERNS_18TensorIteratorBaseEENKUlvE_clEvENKUlvE0_clEvEUlN3c107complexIfEEE_St5arrayIPcLm2EEEEviT0_T1_.has_indirect_call, 0
	.section	.AMDGPU.csdata,"",@progbits
; Kernel info:
; codeLenInByte = 14068
; TotalNumSgprs: 34
; NumVgprs: 18
; NumAgprs: 0
; TotalNumVgprs: 18
; ScratchSize: 0
; MemoryBound: 0
; FloatMode: 240
; IeeeMode: 1
; LDSByteSize: 0 bytes/workgroup (compile time only)
; SGPRBlocks: 4
; VGPRBlocks: 2
; NumSGPRsForWavesPerEU: 34
; NumVGPRsForWavesPerEU: 18
; AccumOffset: 20
; Occupancy: 8
; WaveLimiterHint : 0
; COMPUTE_PGM_RSRC2:SCRATCH_EN: 0
; COMPUTE_PGM_RSRC2:USER_SGPR: 2
; COMPUTE_PGM_RSRC2:TRAP_HANDLER: 0
; COMPUTE_PGM_RSRC2:TGID_X_EN: 1
; COMPUTE_PGM_RSRC2:TGID_Y_EN: 0
; COMPUTE_PGM_RSRC2:TGID_Z_EN: 0
; COMPUTE_PGM_RSRC2:TIDIG_COMP_CNT: 0
; COMPUTE_PGM_RSRC3_GFX90A:ACCUM_OFFSET: 4
; COMPUTE_PGM_RSRC3_GFX90A:TG_SPLIT: 0
	.section	.text._ZN2at6native29vectorized_elementwise_kernelILi2EZZZNS0_17rsqrt_kernel_cudaERNS_18TensorIteratorBaseEENKUlvE_clEvENKUlvE0_clEvEUlN3c107complexIfEEE_St5arrayIPcLm2EEEEviT0_T1_,"axG",@progbits,_ZN2at6native29vectorized_elementwise_kernelILi2EZZZNS0_17rsqrt_kernel_cudaERNS_18TensorIteratorBaseEENKUlvE_clEvENKUlvE0_clEvEUlN3c107complexIfEEE_St5arrayIPcLm2EEEEviT0_T1_,comdat
	.globl	_ZN2at6native29vectorized_elementwise_kernelILi2EZZZNS0_17rsqrt_kernel_cudaERNS_18TensorIteratorBaseEENKUlvE_clEvENKUlvE0_clEvEUlN3c107complexIfEEE_St5arrayIPcLm2EEEEviT0_T1_ ; -- Begin function _ZN2at6native29vectorized_elementwise_kernelILi2EZZZNS0_17rsqrt_kernel_cudaERNS_18TensorIteratorBaseEENKUlvE_clEvENKUlvE0_clEvEUlN3c107complexIfEEE_St5arrayIPcLm2EEEEviT0_T1_
	.p2align	8
	.type	_ZN2at6native29vectorized_elementwise_kernelILi2EZZZNS0_17rsqrt_kernel_cudaERNS_18TensorIteratorBaseEENKUlvE_clEvENKUlvE0_clEvEUlN3c107complexIfEEE_St5arrayIPcLm2EEEEviT0_T1_,@function
_ZN2at6native29vectorized_elementwise_kernelILi2EZZZNS0_17rsqrt_kernel_cudaERNS_18TensorIteratorBaseEENKUlvE_clEvENKUlvE0_clEvEUlN3c107complexIfEEE_St5arrayIPcLm2EEEEviT0_T1_: ; @_ZN2at6native29vectorized_elementwise_kernelILi2EZZZNS0_17rsqrt_kernel_cudaERNS_18TensorIteratorBaseEENKUlvE_clEvENKUlvE0_clEvEUlN3c107complexIfEEE_St5arrayIPcLm2EEEEviT0_T1_
; %bb.0:
	s_load_dword s3, s[0:1], 0x0
	s_load_dwordx4 s[8:11], s[0:1], 0x8
	s_lshl_b32 s6, s2, 10
	s_mov_b64 s[0:1], -1
	s_waitcnt lgkmcnt(0)
	s_sub_i32 s24, s3, s6
	s_cmpk_gt_i32 s24, 0x3ff
	s_cbranch_scc0 .LBB173_154
; %bb.1:
	s_ashr_i32 s7, s6, 31
	s_lshl_b64 s[4:5], s[6:7], 3
	s_add_u32 s0, s10, s4
	s_addc_u32 s1, s11, s5
	v_mov_b32_e32 v15, 0
	v_lshlrev_b32_e32 v14, 4, v0
	v_lshl_add_u64 v[2:3], s[0:1], 0, v[14:15]
	global_load_dwordx4 v[8:11], v14, s[0:1]
	v_add_co_u32_e32 v2, vcc, 0x1000, v2
	s_nop 1
	v_addc_co_u32_e32 v3, vcc, 0, v3, vcc
	global_load_dwordx4 v[2:5], v[2:3], off
	s_waitcnt vmcnt(1)
	v_cmp_neq_f32_e32 vcc, 0, v8
	v_cmp_neq_f32_e64 s[0:1], 0, v9
	s_or_b64 s[0:1], vcc, s[0:1]
	v_mov_b32_e32 v13, v9
	s_and_saveexec_b64 s[12:13], s[0:1]
	s_cbranch_execz .LBB173_31
; %bb.2:
	v_mov_b32_e32 v15, 0x7f800000
	v_cmp_neq_f32_e64 s[0:1], |v9|, v15
	v_mov_b32_e32 v13, v9
	s_and_saveexec_b64 s[14:15], s[0:1]
	s_cbranch_execz .LBB173_30
; %bb.3:
	v_cmp_o_f32_e32 vcc, v8, v8
                                        ; implicit-def: $vgpr13
	s_and_saveexec_b64 s[0:1], vcc
	s_xor_b64 s[16:17], exec, s[0:1]
	s_cbranch_execz .LBB173_27
; %bb.4:
	s_mov_b32 s0, 0x7f800000
	v_cmp_neq_f32_e64 s[0:1], |v8|, s0
                                        ; implicit-def: $vgpr13
	s_and_saveexec_b64 s[2:3], s[0:1]
	s_xor_b64 s[18:19], exec, s[2:3]
	s_cbranch_execz .LBB173_20
; %bb.5:
	v_max_f32_e64 v1, |v9|, |v9|
	v_max_f32_e64 v6, |v8|, |v8|
	v_max_f32_e32 v1, v6, v1
	s_mov_b32 s0, 0x7ed413cb
	v_cmp_nle_f32_e64 s[0:1], s0, v1
                                        ; implicit-def: $sgpr20_sgpr21
                                        ; implicit-def: $vgpr7
	s_and_saveexec_b64 s[2:3], s[0:1]
	s_xor_b64 s[2:3], exec, s[2:3]
	s_cbranch_execz .LBB173_9
; %bb.6:
	s_mov_b32 s7, 0x1000000
	v_cmp_le_f32_e64 s[20:21], |v8|, s7
	v_cmp_le_f32_e64 s[22:23], |v9|, s7
	s_and_b64 s[26:27], s[20:21], s[22:23]
	s_mov_b64 s[20:21], 0
	v_mov_b32_e32 v7, v8
	v_mov_b32_e32 v6, v9
	s_and_saveexec_b64 s[22:23], s[26:27]
; %bb.7:
	v_mov_b32_e32 v6, v9
	v_mov_b32_e32 v7, v8
	s_mov_b64 s[20:21], exec
	v_pk_mul_f32 v[6:7], v[6:7], 4.0 op_sel_hi:[1,0]
; %bb.8:
	s_or_b64 exec, exec, s[22:23]
.LBB173_9:
	s_andn2_saveexec_b64 s[2:3], s[2:3]
; %bb.10:
	v_mov_b32_e32 v6, v9
	v_mov_b32_e32 v7, v8
	s_mov_b32 s22, 0x3e800000
	v_pk_mul_f32 v[6:7], v[6:7], s[22:23] op_sel_hi:[1,0]
	s_andn2_b64 s[20:21], s[20:21], exec
; %bb.11:
	s_or_b64 exec, exec, s[2:3]
	v_max_f32_e64 v1, |v6|, |v6|
	v_max_f32_e64 v12, |v7|, |v7|
	v_max_f32_e32 v1, v12, v1
	v_cvt_f64_f32_e32 v[12:13], v1
	v_frexp_exp_i32_f64_e32 v12, v[12:13]
	v_sub_u32_e32 v13, 0, v12
	v_ldexp_f32 v15, |v7|, v13
	v_ldexp_f32 v13, |v6|, v13
	v_mul_f32_e32 v13, v13, v13
	v_fmac_f32_e32 v13, v15, v15
	v_sqrt_f32_e32 v13, v13
	s_mov_b32 s2, 0x7f800000
	v_cmp_neq_f32_e64 s[2:3], s2, v1
	v_cmp_le_f32_e32 vcc, 0, v7
	v_ldexp_f32 v12, v13, v12
	v_mov_b32_e32 v13, 0x7f800000
	v_cndmask_b32_e64 v1, v13, v12, s[2:3]
                                        ; implicit-def: $vgpr16_vgpr17
	s_and_saveexec_b64 s[2:3], vcc
	s_xor_b64 s[22:23], exec, s[2:3]
	s_cbranch_execz .LBB173_13
; %bb.12:
	v_add_f32_e32 v1, v7, v1
	v_mul_f32_e32 v1, 0.5, v1
	s_mov_b32 s2, 0xf800000
	v_mul_f32_e32 v7, 0x4f800000, v1
	v_cmp_gt_f32_e32 vcc, s2, v1
	s_nop 1
	v_cndmask_b32_e32 v1, v1, v7, vcc
	v_sqrt_f32_e32 v7, v1
	s_nop 0
	v_add_u32_e32 v12, -1, v7
	v_fma_f32 v13, -v12, v7, v1
	v_cmp_ge_f32_e64 s[2:3], 0, v13
	v_add_u32_e32 v13, 1, v7
	s_nop 0
	v_cndmask_b32_e64 v12, v7, v12, s[2:3]
	v_fma_f32 v7, -v13, v7, v1
	v_cmp_lt_f32_e64 s[2:3], 0, v7
	s_nop 1
	v_cndmask_b32_e64 v7, v12, v13, s[2:3]
	v_mul_f32_e32 v12, 0x37800000, v7
	v_cndmask_b32_e32 v7, v7, v12, vcc
	v_mov_b32_e32 v12, 0x260
	v_cmp_class_f32_e32 vcc, v1, v12
	s_nop 1
	v_cndmask_b32_e32 v16, v7, v1, vcc
	v_add_f32_e32 v1, v16, v16
	v_div_scale_f32 v7, s[2:3], v1, v1, v6
	v_rcp_f32_e32 v12, v7
	s_nop 0
	v_fma_f32 v13, -v7, v12, 1.0
	v_fmac_f32_e32 v12, v13, v12
	v_div_scale_f32 v13, vcc, v6, v1, v6
	v_mul_f32_e32 v15, v13, v12
	v_fma_f32 v17, -v7, v15, v13
	v_fmac_f32_e32 v15, v17, v12
	v_fma_f32 v7, -v7, v15, v13
	v_div_fmas_f32 v7, v7, v12, v15
	v_div_fixup_f32 v17, v7, v1, v6
                                        ; implicit-def: $vgpr1
                                        ; implicit-def: $vgpr7
	s_andn2_saveexec_b64 s[22:23], s[22:23]
                                        ; implicit-def: $vgpr15
	s_cbranch_execz .LBB173_15
	s_branch .LBB173_14
.LBB173_13:
	s_andn2_saveexec_b64 s[22:23], s[22:23]
                                        ; implicit-def: $vgpr15
	s_cbranch_execz .LBB173_15
.LBB173_14:
	v_sub_f32_e32 v1, v1, v7
	v_mul_f32_e32 v1, 0.5, v1
	s_mov_b32 s2, 0xf800000
	v_mul_f32_e32 v7, 0x4f800000, v1
	v_cmp_gt_f32_e32 vcc, s2, v1
	s_nop 1
	v_cndmask_b32_e32 v1, v1, v7, vcc
	v_sqrt_f32_e32 v7, v1
	s_nop 0
	v_add_u32_e32 v12, -1, v7
	v_fma_f32 v13, -v12, v7, v1
	v_cmp_ge_f32_e64 s[2:3], 0, v13
	v_add_u32_e32 v13, 1, v7
	s_nop 0
	v_cndmask_b32_e64 v12, v7, v12, s[2:3]
	v_fma_f32 v7, -v13, v7, v1
	v_cmp_lt_f32_e64 s[2:3], 0, v7
	s_nop 1
	v_cndmask_b32_e64 v7, v12, v13, s[2:3]
	v_mul_f32_e32 v12, 0x37800000, v7
	v_cndmask_b32_e32 v7, v7, v12, vcc
	v_mov_b32_e32 v12, 0x260
	v_cmp_class_f32_e32 vcc, v1, v12
	v_and_b32_e32 v12, 0x7fffffff, v6
	s_nop 0
	v_cndmask_b32_e32 v1, v7, v1, vcc
	v_add_f32_e32 v7, v1, v1
	v_div_scale_f32 v13, s[2:3], v7, v7, v12
	v_rcp_f32_e32 v15, v13
	v_div_scale_f32 v12, vcc, v12, v7, v12
	s_brev_b32 s2, -2
	v_fma_f32 v16, -v13, v15, 1.0
	v_fmac_f32_e32 v15, v16, v15
	v_mul_f32_e32 v16, v12, v15
	v_fma_f32 v17, -v13, v16, v12
	v_fmac_f32_e32 v16, v17, v15
	v_fma_f32 v12, -v13, v16, v12
	v_div_fmas_f32 v12, v12, v15, v16
	v_div_fixup_f32 v16, v12, v7, |v6|
	v_bfi_b32 v17, s2, v1, v6
.LBB173_15:
	s_or_b64 exec, exec, s[22:23]
                                        ; implicit-def: $vgpr13
	s_and_saveexec_b64 s[2:3], s[0:1]
	s_xor_b64 s[0:1], exec, s[2:3]
	s_cbranch_execz .LBB173_17
; %bb.16:
	v_pk_mul_f32 v[6:7], v[16:17], 0.5 op_sel_hi:[1,0]
	s_nop 0
	v_cndmask_b32_e64 v15, v16, v6, s[20:21]
	v_cndmask_b32_e64 v13, v17, v7, s[20:21]
                                        ; implicit-def: $vgpr16_vgpr17
	s_andn2_saveexec_b64 s[0:1], s[0:1]
	s_cbranch_execnz .LBB173_18
	s_branch .LBB173_19
.LBB173_17:
	s_andn2_saveexec_b64 s[0:1], s[0:1]
.LBB173_18:
	v_pk_add_f32 v[12:13], v[16:17], v[16:17]
	s_nop 0
	v_mov_b32_e32 v15, v12
.LBB173_19:
	s_or_b64 exec, exec, s[0:1]
.LBB173_20:
	s_andn2_saveexec_b64 s[0:1], s[18:19]
	s_cbranch_execz .LBB173_26
; %bb.21:
	v_sub_f32_e32 v1, v9, v9
	v_cmp_lt_i32_e32 vcc, -1, v8
	s_brev_b32 s7, -2
	v_and_b32_e32 v15, 0x7fffffff, v1
                                        ; implicit-def: $vgpr13
	s_and_saveexec_b64 s[2:3], vcc
	s_xor_b64 s[2:3], exec, s[2:3]
; %bb.22:
	v_bfi_b32 v13, s7, v1, v9
	v_mov_b32_e32 v15, v8
; %bb.23:
	s_andn2_saveexec_b64 s[2:3], s[2:3]
; %bb.24:
	v_bfi_b32 v13, s7, v8, v9
; %bb.25:
	s_or_b64 exec, exec, s[2:3]
.LBB173_26:
	s_or_b64 exec, exec, s[0:1]
.LBB173_27:
	s_andn2_saveexec_b64 s[0:1], s[16:17]
	s_cbranch_execz .LBB173_29
; %bb.28:
	v_sub_f32_e32 v1, v9, v9
	v_div_scale_f32 v6, vcc, v1, v1, v1
	v_rcp_f32_e32 v7, v6
	v_mov_b32_e32 v15, v8
	v_fma_f32 v9, -v6, v7, 1.0
	v_fmac_f32_e32 v7, v9, v7
	v_mul_f32_e32 v9, v6, v7
	v_fma_f32 v12, -v6, v9, v6
	v_fmac_f32_e32 v9, v12, v7
	v_fma_f32 v6, -v6, v9, v6
	v_div_fmas_f32 v6, v6, v7, v9
	v_div_fixup_f32 v13, v6, v1, v1
.LBB173_29:
	s_or_b64 exec, exec, s[0:1]
.LBB173_30:
	s_or_b64 exec, exec, s[14:15]
.LBB173_31:
	s_or_b64 exec, exec, s[12:13]
	v_cmp_gt_f32_e32 vcc, 0, v13
                                        ; implicit-def: $vgpr6_vgpr7
	s_nop 1
	v_cndmask_b32_e64 v8, v13, -v13, vcc
	v_cmp_gt_f32_e32 vcc, 0, v15
	s_nop 1
	v_cndmask_b32_e64 v1, v15, -v15, vcc
	v_cmp_ge_f32_e32 vcc, v1, v8
	s_and_saveexec_b64 s[0:1], vcc
	s_xor_b64 s[2:3], exec, s[0:1]
	s_cbranch_execz .LBB173_37
; %bb.32:
	v_cmp_neq_f32_e32 vcc, 0, v15
	v_cmp_neq_f32_e64 s[0:1], 0, v13
	s_or_b64 s[0:1], vcc, s[0:1]
                                        ; implicit-def: $vgpr6_vgpr7
	s_and_saveexec_b64 s[12:13], s[0:1]
	s_xor_b64 s[0:1], exec, s[12:13]
	s_cbranch_execz .LBB173_34
; %bb.33:
	v_div_scale_f32 v1, s[12:13], v15, v15, v13
	v_rcp_f32_e32 v6, v1
	v_div_scale_f32 v7, vcc, v13, v15, v13
	v_fma_f32 v8, -v1, v6, 1.0
	v_fmac_f32_e32 v6, v8, v6
	v_mul_f32_e32 v8, v7, v6
	v_fma_f32 v9, -v1, v8, v7
	v_fmac_f32_e32 v8, v9, v6
	v_fma_f32 v1, -v1, v8, v7
	v_div_fmas_f32 v1, v1, v6, v8
	v_div_fixup_f32 v1, v1, v15, v13
	v_fmac_f32_e32 v15, v13, v1
	v_div_scale_f32 v6, s[12:13], v15, v15, 1.0
	v_rcp_f32_e32 v7, v6
	s_nop 0
	v_fma_f32 v8, -v6, v7, 1.0
	v_fmac_f32_e32 v7, v8, v7
	v_div_scale_f32 v8, vcc, 1.0, v15, 1.0
	v_mul_f32_e32 v9, v8, v7
	v_fma_f32 v12, -v6, v9, v8
	v_fmac_f32_e32 v9, v12, v7
	v_fma_f32 v6, -v6, v9, v8
	v_div_fmas_f32 v6, v6, v7, v9
	v_mul_f32_e32 v7, 0, v1
	v_div_fixup_f32 v6, v6, v15, 1.0
	v_add_f32_e32 v8, 1.0, v7
	v_sub_f32_e32 v9, 0, v1
	v_pk_mul_f32 v[6:7], v[8:9], v[6:7] op_sel_hi:[1,0]
                                        ; implicit-def: $vgpr8
                                        ; implicit-def: $vgpr1
.LBB173_34:
	s_andn2_saveexec_b64 s[0:1], s[0:1]
	s_cbranch_execz .LBB173_36
; %bb.35:
	v_div_scale_f32 v6, s[12:13], v8, v8, 0
	v_rcp_f32_e32 v7, v6
	v_div_scale_f32 v9, vcc, 0, v8, 0
	v_fma_f32 v12, -v6, v7, 1.0
	v_fmac_f32_e32 v7, v12, v7
	v_mul_f32_e32 v12, v9, v7
	v_fma_f32 v13, -v6, v12, v9
	v_fmac_f32_e32 v12, v13, v7
	v_fma_f32 v6, -v6, v12, v9
	v_div_scale_f32 v9, s[12:13], v1, v1, 1.0
	v_rcp_f32_e32 v13, v9
	v_div_fmas_f32 v6, v6, v7, v12
	v_div_fixup_f32 v7, v6, v8, 0
	v_fma_f32 v6, -v9, v13, 1.0
	v_fmac_f32_e32 v13, v6, v13
	v_div_scale_f32 v6, vcc, 1.0, v1, 1.0
	v_mul_f32_e32 v8, v6, v13
	v_fma_f32 v12, -v9, v8, v6
	v_fmac_f32_e32 v8, v12, v13
	v_fma_f32 v6, -v9, v8, v6
	v_div_fmas_f32 v6, v6, v13, v8
	v_div_fixup_f32 v6, v6, v1, 1.0
.LBB173_36:
	s_or_b64 exec, exec, s[0:1]
                                        ; implicit-def: $vgpr13
.LBB173_37:
	s_andn2_saveexec_b64 s[0:1], s[2:3]
	s_cbranch_execz .LBB173_39
; %bb.38:
	v_div_scale_f32 v1, s[2:3], v13, v13, v15
	v_rcp_f32_e32 v6, v1
	v_div_scale_f32 v7, vcc, v15, v13, v15
	v_fma_f32 v8, -v1, v6, 1.0
	v_fmac_f32_e32 v6, v8, v6
	v_mul_f32_e32 v8, v7, v6
	v_fma_f32 v9, -v1, v8, v7
	v_fmac_f32_e32 v8, v9, v6
	v_fma_f32 v1, -v1, v8, v7
	v_div_fmas_f32 v1, v1, v6, v8
	v_div_fixup_f32 v6, v1, v13, v15
	v_fmac_f32_e32 v13, v15, v6
	v_div_scale_f32 v1, s[2:3], v13, v13, 1.0
	v_rcp_f32_e32 v7, v1
	s_mov_b32 s2, 0
	s_mov_b32 s3, -1.0
	v_fma_f32 v8, -v1, v7, 1.0
	v_fmac_f32_e32 v7, v8, v7
	v_div_scale_f32 v8, vcc, 1.0, v13, 1.0
	v_mul_f32_e32 v9, v8, v7
	v_fma_f32 v12, -v1, v9, v8
	v_fmac_f32_e32 v9, v12, v7
	v_fma_f32 v1, -v1, v9, v8
	v_div_fmas_f32 v1, v1, v7, v9
	v_mul_f32_e32 v7, 0, v6
	v_div_fixup_f32 v8, v1, v13, 1.0
	v_pk_add_f32 v[6:7], v[6:7], s[2:3]
	s_nop 0
	v_pk_mul_f32 v[6:7], v[6:7], v[8:9] op_sel_hi:[1,0]
.LBB173_39:
	s_or_b64 exec, exec, s[0:1]
	v_cmp_neq_f32_e32 vcc, 0, v10
	v_cmp_neq_f32_e64 s[0:1], 0, v11
	v_mov_b32_e32 v1, 0
	s_or_b64 s[0:1], vcc, s[0:1]
	s_and_saveexec_b64 s[12:13], s[0:1]
	s_cbranch_execz .LBB173_69
; %bb.40:
	v_mov_b32_e32 v1, 0x7f800000
	v_cmp_neq_f32_e64 s[0:1], |v11|, v1
	s_and_saveexec_b64 s[14:15], s[0:1]
	s_cbranch_execz .LBB173_68
; %bb.41:
	v_cmp_o_f32_e32 vcc, v10, v10
                                        ; implicit-def: $vgpr1
	s_and_saveexec_b64 s[0:1], vcc
	s_xor_b64 s[16:17], exec, s[0:1]
	s_cbranch_execz .LBB173_65
; %bb.42:
	s_mov_b32 s0, 0x7f800000
	v_cmp_neq_f32_e64 s[0:1], |v10|, s0
                                        ; implicit-def: $vgpr1
	s_and_saveexec_b64 s[2:3], s[0:1]
	s_xor_b64 s[18:19], exec, s[2:3]
	s_cbranch_execz .LBB173_58
; %bb.43:
	v_max_f32_e64 v1, |v11|, |v11|
	v_max_f32_e64 v8, |v10|, |v10|
	v_max_f32_e32 v1, v8, v1
	s_mov_b32 s0, 0x7ed413cb
	v_cmp_nle_f32_e64 s[0:1], s0, v1
                                        ; implicit-def: $sgpr20_sgpr21
	s_and_saveexec_b64 s[2:3], s[0:1]
	s_xor_b64 s[2:3], exec, s[2:3]
	s_cbranch_execz .LBB173_47
; %bb.44:
	s_mov_b32 s7, 0x1000000
	v_cmp_le_f32_e64 s[20:21], |v10|, s7
	v_cmp_le_f32_e64 s[22:23], |v11|, s7
	s_and_b64 s[26:27], s[20:21], s[22:23]
	s_mov_b64 s[20:21], 0
	s_and_saveexec_b64 s[22:23], s[26:27]
; %bb.45:
	v_mov_b32_e32 v8, v11
	v_mov_b32_e32 v9, v10
	v_pk_mul_f32 v[8:9], v[8:9], 4.0 op_sel_hi:[1,0]
	s_mov_b64 s[20:21], exec
	v_mov_b32_e32 v10, v9
	v_mov_b32_e32 v11, v8
; %bb.46:
	s_or_b64 exec, exec, s[22:23]
.LBB173_47:
	s_andn2_saveexec_b64 s[2:3], s[2:3]
; %bb.48:
	v_mov_b32_e32 v8, v11
	v_mov_b32_e32 v9, v10
	s_mov_b32 s22, 0x3e800000
	v_pk_mul_f32 v[8:9], v[8:9], s[22:23] op_sel_hi:[1,0]
	s_andn2_b64 s[20:21], s[20:21], exec
	v_mov_b32_e32 v11, v8
	v_mov_b32_e32 v10, v9
; %bb.49:
	s_or_b64 exec, exec, s[2:3]
	v_max_f32_e64 v1, |v11|, |v11|
	v_max_f32_e64 v8, |v10|, |v10|
	v_max_f32_e32 v1, v8, v1
	v_cvt_f64_f32_e32 v[8:9], v1
	v_frexp_exp_i32_f64_e32 v8, v[8:9]
	v_sub_u32_e32 v9, 0, v8
	v_ldexp_f32 v12, |v10|, v9
	v_ldexp_f32 v9, |v11|, v9
	v_mul_f32_e32 v9, v9, v9
	v_fmac_f32_e32 v9, v12, v12
	v_sqrt_f32_e32 v9, v9
	s_mov_b32 s2, 0x7f800000
	v_cmp_neq_f32_e64 s[2:3], s2, v1
	v_cmp_le_f32_e32 vcc, 0, v10
	v_ldexp_f32 v8, v9, v8
	v_mov_b32_e32 v9, 0x7f800000
	v_cndmask_b32_e64 v1, v9, v8, s[2:3]
                                        ; implicit-def: $vgpr8_vgpr9
	s_and_saveexec_b64 s[2:3], vcc
	s_xor_b64 s[22:23], exec, s[2:3]
	s_cbranch_execz .LBB173_51
; %bb.50:
	v_add_f32_e32 v1, v10, v1
	v_mul_f32_e32 v1, 0.5, v1
	s_mov_b32 s2, 0xf800000
	v_mul_f32_e32 v8, 0x4f800000, v1
	v_cmp_gt_f32_e32 vcc, s2, v1
	s_nop 1
	v_cndmask_b32_e32 v1, v1, v8, vcc
	v_sqrt_f32_e32 v8, v1
	s_nop 0
	v_add_u32_e32 v9, -1, v8
	v_fma_f32 v10, -v9, v8, v1
	v_cmp_ge_f32_e64 s[2:3], 0, v10
	v_add_u32_e32 v10, 1, v8
	s_nop 0
	v_cndmask_b32_e64 v9, v8, v9, s[2:3]
	v_fma_f32 v8, -v10, v8, v1
	v_cmp_lt_f32_e64 s[2:3], 0, v8
	s_nop 1
	v_cndmask_b32_e64 v8, v9, v10, s[2:3]
	v_mul_f32_e32 v9, 0x37800000, v8
	v_cndmask_b32_e32 v8, v8, v9, vcc
	v_mov_b32_e32 v9, 0x260
	v_cmp_class_f32_e32 vcc, v1, v9
	s_nop 1
	v_cndmask_b32_e32 v8, v8, v1, vcc
	v_add_f32_e32 v1, v8, v8
	v_div_scale_f32 v9, s[2:3], v1, v1, v11
	v_rcp_f32_e32 v10, v9
	s_nop 0
	v_fma_f32 v12, -v9, v10, 1.0
	v_fmac_f32_e32 v10, v12, v10
	v_div_scale_f32 v12, vcc, v11, v1, v11
	v_mul_f32_e32 v13, v12, v10
	v_fma_f32 v15, -v9, v13, v12
	v_fmac_f32_e32 v13, v15, v10
	v_fma_f32 v9, -v9, v13, v12
	v_div_fmas_f32 v9, v9, v10, v13
	v_div_fixup_f32 v9, v9, v1, v11
                                        ; implicit-def: $vgpr1
                                        ; implicit-def: $vgpr10
	s_andn2_saveexec_b64 s[22:23], s[22:23]
	s_cbranch_execz .LBB173_53
	s_branch .LBB173_52
.LBB173_51:
	s_andn2_saveexec_b64 s[22:23], s[22:23]
	s_cbranch_execz .LBB173_53
.LBB173_52:
	v_sub_f32_e32 v1, v1, v10
	v_mul_f32_e32 v1, 0.5, v1
	s_mov_b32 s2, 0xf800000
	v_mul_f32_e32 v8, 0x4f800000, v1
	v_cmp_gt_f32_e32 vcc, s2, v1
	s_nop 1
	v_cndmask_b32_e32 v1, v1, v8, vcc
	v_sqrt_f32_e32 v8, v1
	s_nop 0
	v_add_u32_e32 v9, -1, v8
	v_fma_f32 v10, -v9, v8, v1
	v_cmp_ge_f32_e64 s[2:3], 0, v10
	v_add_u32_e32 v10, 1, v8
	s_nop 0
	v_cndmask_b32_e64 v9, v8, v9, s[2:3]
	v_fma_f32 v8, -v10, v8, v1
	v_cmp_lt_f32_e64 s[2:3], 0, v8
	s_nop 1
	v_cndmask_b32_e64 v8, v9, v10, s[2:3]
	v_mul_f32_e32 v9, 0x37800000, v8
	v_cndmask_b32_e32 v8, v8, v9, vcc
	v_mov_b32_e32 v9, 0x260
	v_cmp_class_f32_e32 vcc, v1, v9
	v_and_b32_e32 v9, 0x7fffffff, v11
	s_nop 0
	v_cndmask_b32_e32 v1, v8, v1, vcc
	v_add_f32_e32 v8, v1, v1
	v_div_scale_f32 v10, s[2:3], v8, v8, v9
	v_rcp_f32_e32 v12, v10
	v_div_scale_f32 v9, vcc, v9, v8, v9
	s_brev_b32 s2, -2
	v_fma_f32 v13, -v10, v12, 1.0
	v_fmac_f32_e32 v12, v13, v12
	v_mul_f32_e32 v13, v9, v12
	v_fma_f32 v15, -v10, v13, v9
	v_fmac_f32_e32 v13, v15, v12
	v_fma_f32 v9, -v10, v13, v9
	v_div_fmas_f32 v9, v9, v12, v13
	v_div_fixup_f32 v8, v9, v8, |v11|
	v_bfi_b32 v9, s2, v1, v11
.LBB173_53:
	s_or_b64 exec, exec, s[22:23]
                                        ; implicit-def: $vgpr11
                                        ; implicit-def: $vgpr1
	s_and_saveexec_b64 s[2:3], s[0:1]
	s_xor_b64 s[0:1], exec, s[2:3]
	s_cbranch_execz .LBB173_55
; %bb.54:
	v_pk_mul_f32 v[10:11], v[8:9], 0.5 op_sel_hi:[1,0]
	s_nop 0
	v_cndmask_b32_e64 v1, v8, v10, s[20:21]
	v_cndmask_b32_e64 v11, v9, v11, s[20:21]
                                        ; implicit-def: $vgpr8_vgpr9
	s_andn2_saveexec_b64 s[0:1], s[0:1]
	s_cbranch_execnz .LBB173_56
	s_branch .LBB173_57
.LBB173_55:
	s_andn2_saveexec_b64 s[0:1], s[0:1]
.LBB173_56:
	v_pk_add_f32 v[10:11], v[8:9], v[8:9]
	s_nop 0
	v_mov_b32_e32 v1, v10
.LBB173_57:
	s_or_b64 exec, exec, s[0:1]
.LBB173_58:
	s_andn2_saveexec_b64 s[0:1], s[18:19]
	s_cbranch_execz .LBB173_64
; %bb.59:
	v_sub_f32_e32 v8, v11, v11
	v_cmp_lt_i32_e32 vcc, -1, v10
	s_brev_b32 s7, -2
	v_and_b32_e32 v1, 0x7fffffff, v8
	s_and_saveexec_b64 s[2:3], vcc
	s_xor_b64 s[2:3], exec, s[2:3]
; %bb.60:
	v_bfi_b32 v11, s7, v8, v11
	v_mov_b32_e32 v1, v10
; %bb.61:
	s_andn2_saveexec_b64 s[2:3], s[2:3]
; %bb.62:
	v_bfi_b32 v11, s7, v10, v11
; %bb.63:
	s_or_b64 exec, exec, s[2:3]
.LBB173_64:
	s_or_b64 exec, exec, s[0:1]
.LBB173_65:
	s_andn2_saveexec_b64 s[0:1], s[16:17]
	s_cbranch_execz .LBB173_67
; %bb.66:
	v_sub_f32_e32 v1, v11, v11
	v_div_scale_f32 v8, vcc, v1, v1, v1
	v_rcp_f32_e32 v9, v8
	s_nop 0
	v_fma_f32 v11, -v8, v9, 1.0
	v_fmac_f32_e32 v9, v11, v9
	v_mul_f32_e32 v11, v8, v9
	v_fma_f32 v12, -v8, v11, v8
	v_fmac_f32_e32 v11, v12, v9
	v_fma_f32 v8, -v8, v11, v8
	v_div_fmas_f32 v8, v8, v9, v11
	v_div_fixup_f32 v11, v8, v1, v1
	v_mov_b32_e32 v1, v10
.LBB173_67:
	s_or_b64 exec, exec, s[0:1]
.LBB173_68:
	s_or_b64 exec, exec, s[14:15]
.LBB173_69:
	s_or_b64 exec, exec, s[12:13]
	v_cmp_gt_f32_e32 vcc, 0, v11
	s_nop 1
	v_cndmask_b32_e64 v12, v11, -v11, vcc
	v_cmp_gt_f32_e32 vcc, 0, v1
	s_nop 1
	v_cndmask_b32_e64 v10, v1, -v1, vcc
	v_cmp_ge_f32_e32 vcc, v10, v12
	s_and_saveexec_b64 s[0:1], vcc
	s_xor_b64 s[2:3], exec, s[0:1]
	s_cbranch_execz .LBB173_75
; %bb.70:
	v_cmp_neq_f32_e32 vcc, 0, v1
	v_cmp_neq_f32_e64 s[0:1], 0, v11
	s_or_b64 s[0:1], vcc, s[0:1]
	s_and_saveexec_b64 s[12:13], s[0:1]
	s_xor_b64 s[0:1], exec, s[12:13]
	s_cbranch_execz .LBB173_72
; %bb.71:
	v_div_scale_f32 v8, s[12:13], v1, v1, v11
	v_rcp_f32_e32 v9, v8
	v_div_scale_f32 v10, vcc, v11, v1, v11
	v_fma_f32 v12, -v8, v9, 1.0
	v_fmac_f32_e32 v9, v12, v9
	v_mul_f32_e32 v12, v10, v9
	v_fma_f32 v13, -v8, v12, v10
	v_fmac_f32_e32 v12, v13, v9
	v_fma_f32 v8, -v8, v12, v10
	v_div_fmas_f32 v8, v8, v9, v12
	v_div_fixup_f32 v9, v8, v1, v11
	v_fmac_f32_e32 v1, v11, v9
	v_div_scale_f32 v8, s[12:13], v1, v1, 1.0
	v_rcp_f32_e32 v10, v8
	s_nop 0
	v_fma_f32 v11, -v8, v10, 1.0
	v_fmac_f32_e32 v10, v11, v10
	v_div_scale_f32 v11, vcc, 1.0, v1, 1.0
	v_mul_f32_e32 v12, v11, v10
	v_fma_f32 v13, -v8, v12, v11
	v_fmac_f32_e32 v12, v13, v10
	v_fma_f32 v8, -v8, v12, v11
	v_div_fmas_f32 v8, v8, v10, v12
	v_div_fixup_f32 v8, v8, v1, 1.0
	v_mul_f32_e32 v1, 0, v9
	v_add_f32_e32 v10, 1.0, v1
	v_sub_f32_e32 v11, 0, v9
	v_pk_mul_f32 v[8:9], v[10:11], v[8:9] op_sel_hi:[1,0]
                                        ; implicit-def: $vgpr12
                                        ; implicit-def: $vgpr10
.LBB173_72:
	s_andn2_saveexec_b64 s[0:1], s[0:1]
	s_cbranch_execz .LBB173_74
; %bb.73:
	v_div_scale_f32 v1, s[12:13], v12, v12, 0
	v_rcp_f32_e32 v8, v1
	v_div_scale_f32 v9, vcc, 0, v12, 0
	v_fma_f32 v11, -v1, v8, 1.0
	v_fmac_f32_e32 v8, v11, v8
	v_mul_f32_e32 v11, v9, v8
	v_fma_f32 v13, -v1, v11, v9
	v_fmac_f32_e32 v11, v13, v8
	v_div_scale_f32 v13, s[12:13], v10, v10, 1.0
	v_rcp_f32_e32 v15, v13
	v_fma_f32 v1, -v1, v11, v9
	v_div_fmas_f32 v1, v1, v8, v11
	v_div_fixup_f32 v9, v1, v12, 0
	v_fma_f32 v1, -v13, v15, 1.0
	v_fmac_f32_e32 v15, v1, v15
	v_div_scale_f32 v1, vcc, 1.0, v10, 1.0
	v_mul_f32_e32 v8, v1, v15
	v_fma_f32 v11, -v13, v8, v1
	v_fmac_f32_e32 v8, v11, v15
	v_fma_f32 v1, -v13, v8, v1
	v_div_fmas_f32 v1, v1, v15, v8
	v_div_fixup_f32 v8, v1, v10, 1.0
.LBB173_74:
	s_or_b64 exec, exec, s[0:1]
                                        ; implicit-def: $vgpr11
                                        ; implicit-def: $vgpr1
.LBB173_75:
	s_andn2_saveexec_b64 s[0:1], s[2:3]
	s_cbranch_execz .LBB173_77
; %bb.76:
	v_div_scale_f32 v8, s[2:3], v11, v11, v1
	v_rcp_f32_e32 v9, v8
	v_div_scale_f32 v10, vcc, v1, v11, v1
	v_fma_f32 v12, -v8, v9, 1.0
	v_fmac_f32_e32 v9, v12, v9
	v_mul_f32_e32 v12, v10, v9
	v_fma_f32 v13, -v8, v12, v10
	v_fmac_f32_e32 v12, v13, v9
	v_fma_f32 v8, -v8, v12, v10
	v_div_fmas_f32 v8, v8, v9, v12
	v_div_fixup_f32 v8, v8, v11, v1
	v_fmac_f32_e32 v11, v1, v8
	v_div_scale_f32 v1, s[2:3], v11, v11, 1.0
	v_rcp_f32_e32 v9, v1
	s_mov_b32 s2, 0
	s_mov_b32 s3, -1.0
	v_fma_f32 v10, -v1, v9, 1.0
	v_fmac_f32_e32 v9, v10, v9
	v_div_scale_f32 v10, vcc, 1.0, v11, 1.0
	v_mul_f32_e32 v12, v10, v9
	v_fma_f32 v13, -v1, v12, v10
	v_fmac_f32_e32 v12, v13, v9
	v_fma_f32 v1, -v1, v12, v10
	v_div_fmas_f32 v1, v1, v9, v12
	v_mul_f32_e32 v9, 0, v8
	v_div_fixup_f32 v10, v1, v11, 1.0
	v_pk_add_f32 v[8:9], v[8:9], s[2:3]
	s_nop 0
	v_pk_mul_f32 v[8:9], v[8:9], v[10:11] op_sel_hi:[1,0]
.LBB173_77:
	s_or_b64 exec, exec, s[0:1]
	s_waitcnt vmcnt(0)
	v_cmp_neq_f32_e32 vcc, 0, v2
	v_cmp_neq_f32_e64 s[0:1], 0, v3
	v_mov_b32_e32 v12, 0
	s_or_b64 s[0:1], vcc, s[0:1]
	v_mov_b32_e32 v13, v3
	s_and_saveexec_b64 s[12:13], s[0:1]
	s_cbranch_execz .LBB173_107
; %bb.78:
	v_mov_b32_e32 v12, 0x7f800000
	v_cmp_neq_f32_e64 s[0:1], |v3|, v12
	v_mov_b32_e32 v13, v3
	s_and_saveexec_b64 s[14:15], s[0:1]
	s_cbranch_execz .LBB173_106
; %bb.79:
	v_cmp_o_f32_e32 vcc, v2, v2
                                        ; implicit-def: $vgpr13
	s_and_saveexec_b64 s[0:1], vcc
	s_xor_b64 s[16:17], exec, s[0:1]
	s_cbranch_execz .LBB173_103
; %bb.80:
	s_mov_b32 s0, 0x7f800000
	v_cmp_neq_f32_e64 s[0:1], |v2|, s0
                                        ; implicit-def: $vgpr13
	s_and_saveexec_b64 s[2:3], s[0:1]
	s_xor_b64 s[18:19], exec, s[2:3]
	s_cbranch_execz .LBB173_96
; %bb.81:
	v_max_f32_e64 v1, |v3|, |v3|
	v_max_f32_e64 v10, |v2|, |v2|
	v_max_f32_e32 v1, v10, v1
	s_mov_b32 s0, 0x7ed413cb
	v_cmp_nle_f32_e64 s[0:1], s0, v1
                                        ; implicit-def: $sgpr20_sgpr21
                                        ; implicit-def: $vgpr11
	s_and_saveexec_b64 s[2:3], s[0:1]
	s_xor_b64 s[2:3], exec, s[2:3]
	s_cbranch_execz .LBB173_85
; %bb.82:
	s_mov_b32 s7, 0x1000000
	v_cmp_le_f32_e64 s[20:21], |v2|, s7
	v_cmp_le_f32_e64 s[22:23], |v3|, s7
	s_and_b64 s[26:27], s[20:21], s[22:23]
	s_mov_b64 s[20:21], 0
	v_mov_b32_e32 v11, v2
	v_mov_b32_e32 v10, v3
	s_and_saveexec_b64 s[22:23], s[26:27]
; %bb.83:
	v_mov_b32_e32 v10, v3
	v_mov_b32_e32 v11, v2
	s_mov_b64 s[20:21], exec
	v_pk_mul_f32 v[10:11], v[10:11], 4.0 op_sel_hi:[1,0]
; %bb.84:
	s_or_b64 exec, exec, s[22:23]
.LBB173_85:
	s_andn2_saveexec_b64 s[2:3], s[2:3]
; %bb.86:
	v_mov_b32_e32 v10, v3
	v_mov_b32_e32 v11, v2
	s_mov_b32 s22, 0x3e800000
	v_pk_mul_f32 v[10:11], v[10:11], s[22:23] op_sel_hi:[1,0]
	s_andn2_b64 s[20:21], s[20:21], exec
; %bb.87:
	s_or_b64 exec, exec, s[2:3]
	v_max_f32_e64 v1, |v10|, |v10|
	v_max_f32_e64 v12, |v11|, |v11|
	v_max_f32_e32 v1, v12, v1
	v_cvt_f64_f32_e32 v[12:13], v1
	v_frexp_exp_i32_f64_e32 v12, v[12:13]
	v_sub_u32_e32 v13, 0, v12
	v_ldexp_f32 v15, |v11|, v13
	v_ldexp_f32 v13, |v10|, v13
	v_mul_f32_e32 v13, v13, v13
	v_fmac_f32_e32 v13, v15, v15
	v_sqrt_f32_e32 v13, v13
	s_mov_b32 s2, 0x7f800000
	v_cmp_neq_f32_e64 s[2:3], s2, v1
	v_cmp_le_f32_e32 vcc, 0, v11
	v_ldexp_f32 v12, v13, v12
	v_mov_b32_e32 v13, 0x7f800000
	v_cndmask_b32_e64 v1, v13, v12, s[2:3]
                                        ; implicit-def: $vgpr16_vgpr17
	s_and_saveexec_b64 s[2:3], vcc
	s_xor_b64 s[22:23], exec, s[2:3]
	s_cbranch_execz .LBB173_89
; %bb.88:
	v_add_f32_e32 v1, v11, v1
	v_mul_f32_e32 v1, 0.5, v1
	s_mov_b32 s2, 0xf800000
	v_mul_f32_e32 v11, 0x4f800000, v1
	v_cmp_gt_f32_e32 vcc, s2, v1
	s_nop 1
	v_cndmask_b32_e32 v1, v1, v11, vcc
	v_sqrt_f32_e32 v11, v1
	s_nop 0
	v_add_u32_e32 v12, -1, v11
	v_fma_f32 v13, -v12, v11, v1
	v_cmp_ge_f32_e64 s[2:3], 0, v13
	v_add_u32_e32 v13, 1, v11
	s_nop 0
	v_cndmask_b32_e64 v12, v11, v12, s[2:3]
	v_fma_f32 v11, -v13, v11, v1
	v_cmp_lt_f32_e64 s[2:3], 0, v11
	s_nop 1
	v_cndmask_b32_e64 v11, v12, v13, s[2:3]
	v_mul_f32_e32 v12, 0x37800000, v11
	v_cndmask_b32_e32 v11, v11, v12, vcc
	v_mov_b32_e32 v12, 0x260
	v_cmp_class_f32_e32 vcc, v1, v12
	s_nop 1
	v_cndmask_b32_e32 v16, v11, v1, vcc
	v_add_f32_e32 v1, v16, v16
	v_div_scale_f32 v11, s[2:3], v1, v1, v10
	v_rcp_f32_e32 v12, v11
	s_nop 0
	v_fma_f32 v13, -v11, v12, 1.0
	v_fmac_f32_e32 v12, v13, v12
	v_div_scale_f32 v13, vcc, v10, v1, v10
	v_mul_f32_e32 v15, v13, v12
	v_fma_f32 v17, -v11, v15, v13
	v_fmac_f32_e32 v15, v17, v12
	v_fma_f32 v11, -v11, v15, v13
	v_div_fmas_f32 v11, v11, v12, v15
	v_div_fixup_f32 v17, v11, v1, v10
                                        ; implicit-def: $vgpr1
                                        ; implicit-def: $vgpr11
	s_andn2_saveexec_b64 s[22:23], s[22:23]
	s_cbranch_execz .LBB173_91
	s_branch .LBB173_90
.LBB173_89:
	s_andn2_saveexec_b64 s[22:23], s[22:23]
	s_cbranch_execz .LBB173_91
.LBB173_90:
	v_sub_f32_e32 v1, v1, v11
	v_mul_f32_e32 v1, 0.5, v1
	s_mov_b32 s2, 0xf800000
	v_mul_f32_e32 v11, 0x4f800000, v1
	v_cmp_gt_f32_e32 vcc, s2, v1
	s_nop 1
	v_cndmask_b32_e32 v1, v1, v11, vcc
	v_sqrt_f32_e32 v11, v1
	s_nop 0
	v_add_u32_e32 v12, -1, v11
	v_fma_f32 v13, -v12, v11, v1
	v_cmp_ge_f32_e64 s[2:3], 0, v13
	v_add_u32_e32 v13, 1, v11
	s_nop 0
	v_cndmask_b32_e64 v12, v11, v12, s[2:3]
	v_fma_f32 v11, -v13, v11, v1
	v_cmp_lt_f32_e64 s[2:3], 0, v11
	s_nop 1
	v_cndmask_b32_e64 v11, v12, v13, s[2:3]
	v_mul_f32_e32 v12, 0x37800000, v11
	v_cndmask_b32_e32 v11, v11, v12, vcc
	v_mov_b32_e32 v12, 0x260
	v_cmp_class_f32_e32 vcc, v1, v12
	v_and_b32_e32 v12, 0x7fffffff, v10
	s_nop 0
	v_cndmask_b32_e32 v1, v11, v1, vcc
	v_add_f32_e32 v11, v1, v1
	v_div_scale_f32 v13, s[2:3], v11, v11, v12
	v_rcp_f32_e32 v15, v13
	v_div_scale_f32 v12, vcc, v12, v11, v12
	s_brev_b32 s2, -2
	v_fma_f32 v16, -v13, v15, 1.0
	v_fmac_f32_e32 v15, v16, v15
	v_mul_f32_e32 v16, v12, v15
	v_fma_f32 v17, -v13, v16, v12
	v_fmac_f32_e32 v16, v17, v15
	v_fma_f32 v12, -v13, v16, v12
	v_div_fmas_f32 v12, v12, v15, v16
	v_div_fixup_f32 v16, v12, v11, |v10|
	v_bfi_b32 v17, s2, v1, v10
.LBB173_91:
	s_or_b64 exec, exec, s[22:23]
                                        ; implicit-def: $vgpr13
	s_and_saveexec_b64 s[2:3], s[0:1]
	s_xor_b64 s[0:1], exec, s[2:3]
	s_cbranch_execz .LBB173_93
; %bb.92:
	v_pk_mul_f32 v[10:11], v[16:17], 0.5 op_sel_hi:[1,0]
	s_nop 0
	v_cndmask_b32_e64 v12, v16, v10, s[20:21]
	v_cndmask_b32_e64 v13, v17, v11, s[20:21]
                                        ; implicit-def: $vgpr16_vgpr17
	s_andn2_saveexec_b64 s[0:1], s[0:1]
	s_cbranch_execnz .LBB173_94
	s_branch .LBB173_95
.LBB173_93:
	s_andn2_saveexec_b64 s[0:1], s[0:1]
.LBB173_94:
	v_pk_add_f32 v[12:13], v[16:17], v[16:17]
.LBB173_95:
	s_or_b64 exec, exec, s[0:1]
.LBB173_96:
	s_andn2_saveexec_b64 s[0:1], s[18:19]
	s_cbranch_execz .LBB173_102
; %bb.97:
	v_sub_f32_e32 v1, v3, v3
	v_cmp_lt_i32_e32 vcc, -1, v2
	s_brev_b32 s7, -2
	v_and_b32_e32 v12, 0x7fffffff, v1
	s_and_saveexec_b64 s[2:3], vcc
	s_xor_b64 s[2:3], exec, s[2:3]
; %bb.98:
	v_bfi_b32 v13, s7, v1, v3
	v_mov_b32_e32 v12, v2
; %bb.99:
	s_andn2_saveexec_b64 s[2:3], s[2:3]
; %bb.100:
	v_bfi_b32 v13, s7, v2, v3
; %bb.101:
	s_or_b64 exec, exec, s[2:3]
.LBB173_102:
	s_or_b64 exec, exec, s[0:1]
.LBB173_103:
	s_andn2_saveexec_b64 s[0:1], s[16:17]
	s_cbranch_execz .LBB173_105
; %bb.104:
	v_sub_f32_e32 v1, v3, v3
	v_div_scale_f32 v3, vcc, v1, v1, v1
	v_rcp_f32_e32 v10, v3
	s_nop 0
	v_fma_f32 v11, -v3, v10, 1.0
	v_fmac_f32_e32 v10, v11, v10
	v_mul_f32_e32 v11, v3, v10
	v_fma_f32 v12, -v3, v11, v3
	v_fmac_f32_e32 v11, v12, v10
	v_fma_f32 v3, -v3, v11, v3
	v_div_fmas_f32 v3, v3, v10, v11
	v_div_fixup_f32 v13, v3, v1, v1
	v_mov_b32_e32 v12, v2
.LBB173_105:
	s_or_b64 exec, exec, s[0:1]
.LBB173_106:
	s_or_b64 exec, exec, s[14:15]
.LBB173_107:
	s_or_b64 exec, exec, s[12:13]
	v_cmp_gt_f32_e32 vcc, 0, v13
                                        ; implicit-def: $vgpr10_vgpr11
	s_nop 1
	v_cndmask_b32_e64 v2, v13, -v13, vcc
	v_cmp_gt_f32_e32 vcc, 0, v12
	s_nop 1
	v_cndmask_b32_e64 v1, v12, -v12, vcc
	v_cmp_ge_f32_e32 vcc, v1, v2
	s_and_saveexec_b64 s[0:1], vcc
	s_xor_b64 s[2:3], exec, s[0:1]
	s_cbranch_execz .LBB173_113
; %bb.108:
	v_cmp_neq_f32_e32 vcc, 0, v12
	v_cmp_neq_f32_e64 s[0:1], 0, v13
	s_or_b64 s[0:1], vcc, s[0:1]
                                        ; implicit-def: $vgpr10_vgpr11
	s_and_saveexec_b64 s[12:13], s[0:1]
	s_xor_b64 s[0:1], exec, s[12:13]
	s_cbranch_execz .LBB173_110
; %bb.109:
	v_div_scale_f32 v1, s[12:13], v12, v12, v13
	v_rcp_f32_e32 v2, v1
	v_div_scale_f32 v3, vcc, v13, v12, v13
	v_fma_f32 v10, -v1, v2, 1.0
	v_fmac_f32_e32 v2, v10, v2
	v_mul_f32_e32 v10, v3, v2
	v_fma_f32 v11, -v1, v10, v3
	v_fmac_f32_e32 v10, v11, v2
	v_fma_f32 v1, -v1, v10, v3
	v_div_fmas_f32 v1, v1, v2, v10
	v_div_fixup_f32 v1, v1, v12, v13
	v_fmac_f32_e32 v12, v13, v1
	v_div_scale_f32 v2, s[12:13], v12, v12, 1.0
	v_rcp_f32_e32 v3, v2
	s_nop 0
	v_fma_f32 v10, -v2, v3, 1.0
	v_fmac_f32_e32 v3, v10, v3
	v_div_scale_f32 v10, vcc, 1.0, v12, 1.0
	v_mul_f32_e32 v11, v10, v3
	v_fma_f32 v13, -v2, v11, v10
	v_fmac_f32_e32 v11, v13, v3
	v_fma_f32 v2, -v2, v11, v10
	v_div_fmas_f32 v2, v2, v3, v11
	v_mul_f32_e32 v3, 0, v1
	v_div_fixup_f32 v2, v2, v12, 1.0
	v_add_f32_e32 v10, 1.0, v3
	v_sub_f32_e32 v11, 0, v1
	v_pk_mul_f32 v[10:11], v[10:11], v[2:3] op_sel_hi:[1,0]
                                        ; implicit-def: $vgpr2
                                        ; implicit-def: $vgpr1
.LBB173_110:
	s_andn2_saveexec_b64 s[0:1], s[0:1]
	s_cbranch_execz .LBB173_112
; %bb.111:
	v_div_scale_f32 v3, s[12:13], v2, v2, 0
	v_rcp_f32_e32 v10, v3
	v_div_scale_f32 v11, vcc, 0, v2, 0
	v_fma_f32 v12, -v3, v10, 1.0
	v_fmac_f32_e32 v10, v12, v10
	v_mul_f32_e32 v12, v11, v10
	v_fma_f32 v13, -v3, v12, v11
	v_fmac_f32_e32 v12, v13, v10
	v_div_scale_f32 v13, s[12:13], v1, v1, 1.0
	v_rcp_f32_e32 v15, v13
	v_fma_f32 v3, -v3, v12, v11
	v_div_fmas_f32 v3, v3, v10, v12
	v_div_fixup_f32 v11, v3, v2, 0
	v_fma_f32 v2, -v13, v15, 1.0
	v_fmac_f32_e32 v15, v2, v15
	v_div_scale_f32 v2, vcc, 1.0, v1, 1.0
	v_mul_f32_e32 v3, v2, v15
	v_fma_f32 v10, -v13, v3, v2
	v_fmac_f32_e32 v3, v10, v15
	v_fma_f32 v2, -v13, v3, v2
	v_div_fmas_f32 v2, v2, v15, v3
	v_div_fixup_f32 v10, v2, v1, 1.0
.LBB173_112:
	s_or_b64 exec, exec, s[0:1]
                                        ; implicit-def: $vgpr13
.LBB173_113:
	s_andn2_saveexec_b64 s[0:1], s[2:3]
	s_cbranch_execz .LBB173_115
; %bb.114:
	v_div_scale_f32 v1, s[2:3], v13, v13, v12
	v_rcp_f32_e32 v2, v1
	v_div_scale_f32 v3, vcc, v12, v13, v12
	v_fma_f32 v10, -v1, v2, 1.0
	v_fmac_f32_e32 v2, v10, v2
	v_mul_f32_e32 v10, v3, v2
	v_fma_f32 v11, -v1, v10, v3
	v_fmac_f32_e32 v10, v11, v2
	v_fma_f32 v1, -v1, v10, v3
	v_div_fmas_f32 v1, v1, v2, v10
	v_div_fixup_f32 v2, v1, v13, v12
	v_fmac_f32_e32 v13, v12, v2
	v_div_scale_f32 v1, s[2:3], v13, v13, 1.0
	v_rcp_f32_e32 v3, v1
	s_mov_b32 s2, 0
	s_mov_b32 s3, -1.0
	v_fma_f32 v10, -v1, v3, 1.0
	v_fmac_f32_e32 v3, v10, v3
	v_div_scale_f32 v10, vcc, 1.0, v13, 1.0
	v_mul_f32_e32 v11, v10, v3
	v_fma_f32 v12, -v1, v11, v10
	v_fmac_f32_e32 v11, v12, v3
	v_fma_f32 v1, -v1, v11, v10
	v_div_fmas_f32 v1, v1, v3, v11
	v_mul_f32_e32 v3, 0, v2
	v_div_fixup_f32 v10, v1, v13, 1.0
	v_pk_add_f32 v[2:3], v[2:3], s[2:3]
	s_nop 0
	v_pk_mul_f32 v[10:11], v[2:3], v[10:11] op_sel_hi:[1,0]
.LBB173_115:
	s_or_b64 exec, exec, s[0:1]
	v_cmp_neq_f32_e32 vcc, 0, v4
	v_cmp_neq_f32_e64 s[0:1], 0, v5
	v_mov_b32_e32 v1, 0
	s_or_b64 s[0:1], vcc, s[0:1]
	s_and_saveexec_b64 s[12:13], s[0:1]
	s_cbranch_execz .LBB173_145
; %bb.116:
	v_mov_b32_e32 v1, 0x7f800000
	v_cmp_neq_f32_e64 s[0:1], |v5|, v1
	s_and_saveexec_b64 s[14:15], s[0:1]
	s_cbranch_execz .LBB173_144
; %bb.117:
	v_cmp_o_f32_e32 vcc, v4, v4
                                        ; implicit-def: $vgpr1
	s_and_saveexec_b64 s[0:1], vcc
	s_xor_b64 s[16:17], exec, s[0:1]
	s_cbranch_execz .LBB173_141
; %bb.118:
	s_mov_b32 s0, 0x7f800000
	v_cmp_neq_f32_e64 s[0:1], |v4|, s0
                                        ; implicit-def: $vgpr1
	s_and_saveexec_b64 s[2:3], s[0:1]
	s_xor_b64 s[18:19], exec, s[2:3]
	s_cbranch_execz .LBB173_134
; %bb.119:
	v_max_f32_e64 v1, |v5|, |v5|
	v_max_f32_e64 v2, |v4|, |v4|
	v_max_f32_e32 v1, v2, v1
	s_mov_b32 s0, 0x7ed413cb
	v_cmp_nle_f32_e64 s[0:1], s0, v1
                                        ; implicit-def: $sgpr20_sgpr21
	s_and_saveexec_b64 s[2:3], s[0:1]
	s_xor_b64 s[2:3], exec, s[2:3]
	s_cbranch_execz .LBB173_123
; %bb.120:
	s_mov_b32 s7, 0x1000000
	v_cmp_le_f32_e64 s[20:21], |v4|, s7
	v_cmp_le_f32_e64 s[22:23], |v5|, s7
	s_and_b64 s[26:27], s[20:21], s[22:23]
	s_mov_b64 s[20:21], 0
	s_and_saveexec_b64 s[22:23], s[26:27]
; %bb.121:
	v_mov_b32_e32 v2, v5
	v_mov_b32_e32 v3, v4
	v_pk_mul_f32 v[2:3], v[2:3], 4.0 op_sel_hi:[1,0]
	s_mov_b64 s[20:21], exec
	v_mov_b32_e32 v4, v3
	v_mov_b32_e32 v5, v2
; %bb.122:
	s_or_b64 exec, exec, s[22:23]
.LBB173_123:
	s_andn2_saveexec_b64 s[2:3], s[2:3]
; %bb.124:
	v_mov_b32_e32 v2, v5
	v_mov_b32_e32 v3, v4
	s_mov_b32 s22, 0x3e800000
	v_pk_mul_f32 v[2:3], v[2:3], s[22:23] op_sel_hi:[1,0]
	s_andn2_b64 s[20:21], s[20:21], exec
	v_mov_b32_e32 v5, v2
	v_mov_b32_e32 v4, v3
; %bb.125:
	s_or_b64 exec, exec, s[2:3]
	v_max_f32_e64 v1, |v5|, |v5|
	v_max_f32_e64 v2, |v4|, |v4|
	v_max_f32_e32 v1, v2, v1
	v_cvt_f64_f32_e32 v[2:3], v1
	v_frexp_exp_i32_f64_e32 v2, v[2:3]
	v_sub_u32_e32 v3, 0, v2
	v_ldexp_f32 v12, |v4|, v3
	v_ldexp_f32 v3, |v5|, v3
	v_mul_f32_e32 v3, v3, v3
	v_fmac_f32_e32 v3, v12, v12
	v_sqrt_f32_e32 v3, v3
	s_mov_b32 s2, 0x7f800000
	v_cmp_neq_f32_e64 s[2:3], s2, v1
	v_cmp_le_f32_e32 vcc, 0, v4
	v_ldexp_f32 v2, v3, v2
	v_mov_b32_e32 v3, 0x7f800000
	v_cndmask_b32_e64 v1, v3, v2, s[2:3]
                                        ; implicit-def: $vgpr2_vgpr3
	s_and_saveexec_b64 s[2:3], vcc
	s_xor_b64 s[22:23], exec, s[2:3]
	s_cbranch_execz .LBB173_127
; %bb.126:
	v_add_f32_e32 v1, v4, v1
	v_mul_f32_e32 v1, 0.5, v1
	s_mov_b32 s2, 0xf800000
	v_mul_f32_e32 v2, 0x4f800000, v1
	v_cmp_gt_f32_e32 vcc, s2, v1
	s_nop 1
	v_cndmask_b32_e32 v1, v1, v2, vcc
	v_sqrt_f32_e32 v2, v1
	s_nop 0
	v_add_u32_e32 v3, -1, v2
	v_fma_f32 v4, -v3, v2, v1
	v_cmp_ge_f32_e64 s[2:3], 0, v4
	v_add_u32_e32 v4, 1, v2
	s_nop 0
	v_cndmask_b32_e64 v3, v2, v3, s[2:3]
	v_fma_f32 v2, -v4, v2, v1
	v_cmp_lt_f32_e64 s[2:3], 0, v2
	s_nop 1
	v_cndmask_b32_e64 v2, v3, v4, s[2:3]
	v_mul_f32_e32 v3, 0x37800000, v2
	v_cndmask_b32_e32 v2, v2, v3, vcc
	v_mov_b32_e32 v3, 0x260
	v_cmp_class_f32_e32 vcc, v1, v3
	s_nop 1
	v_cndmask_b32_e32 v2, v2, v1, vcc
	v_add_f32_e32 v1, v2, v2
	v_div_scale_f32 v3, s[2:3], v1, v1, v5
	v_rcp_f32_e32 v4, v3
	s_nop 0
	v_fma_f32 v12, -v3, v4, 1.0
	v_fmac_f32_e32 v4, v12, v4
	v_div_scale_f32 v12, vcc, v5, v1, v5
	v_mul_f32_e32 v13, v12, v4
	v_fma_f32 v15, -v3, v13, v12
	v_fmac_f32_e32 v13, v15, v4
	v_fma_f32 v3, -v3, v13, v12
	v_div_fmas_f32 v3, v3, v4, v13
	v_div_fixup_f32 v3, v3, v1, v5
                                        ; implicit-def: $vgpr1
                                        ; implicit-def: $vgpr4
	s_andn2_saveexec_b64 s[22:23], s[22:23]
	s_cbranch_execz .LBB173_129
	s_branch .LBB173_128
.LBB173_127:
	s_andn2_saveexec_b64 s[22:23], s[22:23]
	s_cbranch_execz .LBB173_129
.LBB173_128:
	v_sub_f32_e32 v1, v1, v4
	v_mul_f32_e32 v1, 0.5, v1
	s_mov_b32 s2, 0xf800000
	v_mul_f32_e32 v2, 0x4f800000, v1
	v_cmp_gt_f32_e32 vcc, s2, v1
	s_nop 1
	v_cndmask_b32_e32 v1, v1, v2, vcc
	v_sqrt_f32_e32 v2, v1
	s_nop 0
	v_add_u32_e32 v3, -1, v2
	v_fma_f32 v4, -v3, v2, v1
	v_cmp_ge_f32_e64 s[2:3], 0, v4
	v_add_u32_e32 v4, 1, v2
	s_nop 0
	v_cndmask_b32_e64 v3, v2, v3, s[2:3]
	v_fma_f32 v2, -v4, v2, v1
	v_cmp_lt_f32_e64 s[2:3], 0, v2
	s_nop 1
	v_cndmask_b32_e64 v2, v3, v4, s[2:3]
	v_mul_f32_e32 v3, 0x37800000, v2
	v_cndmask_b32_e32 v2, v2, v3, vcc
	v_mov_b32_e32 v3, 0x260
	v_cmp_class_f32_e32 vcc, v1, v3
	v_and_b32_e32 v3, 0x7fffffff, v5
	s_nop 0
	v_cndmask_b32_e32 v1, v2, v1, vcc
	v_add_f32_e32 v2, v1, v1
	v_div_scale_f32 v4, s[2:3], v2, v2, v3
	v_rcp_f32_e32 v12, v4
	v_div_scale_f32 v3, vcc, v3, v2, v3
	s_brev_b32 s2, -2
	v_fma_f32 v13, -v4, v12, 1.0
	v_fmac_f32_e32 v12, v13, v12
	v_mul_f32_e32 v13, v3, v12
	v_fma_f32 v15, -v4, v13, v3
	v_fmac_f32_e32 v13, v15, v12
	v_fma_f32 v3, -v4, v13, v3
	v_div_fmas_f32 v3, v3, v12, v13
	v_div_fixup_f32 v2, v3, v2, |v5|
	v_bfi_b32 v3, s2, v1, v5
.LBB173_129:
	s_or_b64 exec, exec, s[22:23]
                                        ; implicit-def: $vgpr5
                                        ; implicit-def: $vgpr1
	s_and_saveexec_b64 s[2:3], s[0:1]
	s_xor_b64 s[0:1], exec, s[2:3]
	s_cbranch_execz .LBB173_131
; %bb.130:
	v_pk_mul_f32 v[4:5], v[2:3], 0.5 op_sel_hi:[1,0]
	s_nop 0
	v_cndmask_b32_e64 v1, v2, v4, s[20:21]
	v_cndmask_b32_e64 v5, v3, v5, s[20:21]
                                        ; implicit-def: $vgpr2_vgpr3
	s_andn2_saveexec_b64 s[0:1], s[0:1]
	s_cbranch_execnz .LBB173_132
	s_branch .LBB173_133
.LBB173_131:
	s_andn2_saveexec_b64 s[0:1], s[0:1]
.LBB173_132:
	v_pk_add_f32 v[4:5], v[2:3], v[2:3]
	s_nop 0
	v_mov_b32_e32 v1, v4
.LBB173_133:
	s_or_b64 exec, exec, s[0:1]
.LBB173_134:
	s_andn2_saveexec_b64 s[0:1], s[18:19]
	s_cbranch_execz .LBB173_140
; %bb.135:
	v_sub_f32_e32 v2, v5, v5
	v_cmp_lt_i32_e32 vcc, -1, v4
	s_brev_b32 s7, -2
	v_and_b32_e32 v1, 0x7fffffff, v2
	s_and_saveexec_b64 s[2:3], vcc
	s_xor_b64 s[2:3], exec, s[2:3]
; %bb.136:
	v_bfi_b32 v5, s7, v2, v5
	v_mov_b32_e32 v1, v4
; %bb.137:
	s_andn2_saveexec_b64 s[2:3], s[2:3]
; %bb.138:
	v_bfi_b32 v5, s7, v4, v5
; %bb.139:
	s_or_b64 exec, exec, s[2:3]
.LBB173_140:
	s_or_b64 exec, exec, s[0:1]
.LBB173_141:
	s_andn2_saveexec_b64 s[0:1], s[16:17]
	s_cbranch_execz .LBB173_143
; %bb.142:
	v_sub_f32_e32 v1, v5, v5
	v_div_scale_f32 v2, vcc, v1, v1, v1
	v_rcp_f32_e32 v3, v2
	s_nop 0
	v_fma_f32 v5, -v2, v3, 1.0
	v_fmac_f32_e32 v3, v5, v3
	v_mul_f32_e32 v5, v2, v3
	v_fma_f32 v12, -v2, v5, v2
	v_fmac_f32_e32 v5, v12, v3
	v_fma_f32 v2, -v2, v5, v2
	v_div_fmas_f32 v2, v2, v3, v5
	v_div_fixup_f32 v5, v2, v1, v1
	v_mov_b32_e32 v1, v4
.LBB173_143:
	s_or_b64 exec, exec, s[0:1]
.LBB173_144:
	s_or_b64 exec, exec, s[14:15]
.LBB173_145:
	s_or_b64 exec, exec, s[12:13]
	v_cmp_gt_f32_e32 vcc, 0, v5
	s_nop 1
	v_cndmask_b32_e64 v3, v5, -v5, vcc
	v_cmp_gt_f32_e32 vcc, 0, v1
	s_nop 1
	v_cndmask_b32_e64 v2, v1, -v1, vcc
	v_cmp_ge_f32_e32 vcc, v2, v3
	s_and_saveexec_b64 s[0:1], vcc
	s_xor_b64 s[2:3], exec, s[0:1]
	s_cbranch_execz .LBB173_151
; %bb.146:
	v_cmp_neq_f32_e32 vcc, 0, v1
	v_cmp_neq_f32_e64 s[0:1], 0, v5
	s_or_b64 s[0:1], vcc, s[0:1]
	s_and_saveexec_b64 s[12:13], s[0:1]
	s_xor_b64 s[0:1], exec, s[12:13]
	s_cbranch_execz .LBB173_148
; %bb.147:
	v_div_scale_f32 v2, s[12:13], v1, v1, v5
	v_rcp_f32_e32 v3, v2
	v_div_scale_f32 v4, vcc, v5, v1, v5
	v_fma_f32 v12, -v2, v3, 1.0
	v_fmac_f32_e32 v3, v12, v3
	v_mul_f32_e32 v12, v4, v3
	v_fma_f32 v13, -v2, v12, v4
	v_fmac_f32_e32 v12, v13, v3
	v_fma_f32 v2, -v2, v12, v4
	v_div_fmas_f32 v2, v2, v3, v12
	v_div_fixup_f32 v3, v2, v1, v5
	v_fmac_f32_e32 v1, v5, v3
	v_div_scale_f32 v2, s[12:13], v1, v1, 1.0
	v_rcp_f32_e32 v4, v2
	s_nop 0
	v_fma_f32 v5, -v2, v4, 1.0
	v_fmac_f32_e32 v4, v5, v4
	v_div_scale_f32 v5, vcc, 1.0, v1, 1.0
	v_mul_f32_e32 v12, v5, v4
	v_fma_f32 v13, -v2, v12, v5
	v_fmac_f32_e32 v12, v13, v4
	v_fma_f32 v2, -v2, v12, v5
	v_div_fmas_f32 v2, v2, v4, v12
	v_div_fixup_f32 v2, v2, v1, 1.0
	v_mul_f32_e32 v1, 0, v3
	v_add_f32_e32 v4, 1.0, v1
	v_sub_f32_e32 v5, 0, v3
	v_pk_mul_f32 v[12:13], v[4:5], v[2:3] op_sel_hi:[1,0]
                                        ; implicit-def: $vgpr3
                                        ; implicit-def: $vgpr2
.LBB173_148:
	s_andn2_saveexec_b64 s[0:1], s[0:1]
	s_cbranch_execz .LBB173_150
; %bb.149:
	v_div_scale_f32 v1, s[12:13], v3, v3, 0
	v_rcp_f32_e32 v4, v1
	v_div_scale_f32 v5, vcc, 0, v3, 0
	v_fma_f32 v12, -v1, v4, 1.0
	v_fmac_f32_e32 v4, v12, v4
	v_mul_f32_e32 v12, v5, v4
	v_fma_f32 v13, -v1, v12, v5
	v_fmac_f32_e32 v12, v13, v4
	v_fma_f32 v1, -v1, v12, v5
	v_div_scale_f32 v5, s[12:13], v2, v2, 1.0
	v_rcp_f32_e32 v15, v5
	v_div_fmas_f32 v1, v1, v4, v12
	v_div_fixup_f32 v13, v1, v3, 0
	v_fma_f32 v1, -v5, v15, 1.0
	v_fmac_f32_e32 v15, v1, v15
	v_div_scale_f32 v1, vcc, 1.0, v2, 1.0
	v_mul_f32_e32 v3, v1, v15
	v_fma_f32 v4, -v5, v3, v1
	v_fmac_f32_e32 v3, v4, v15
	v_fma_f32 v1, -v5, v3, v1
	v_div_fmas_f32 v1, v1, v15, v3
	v_div_fixup_f32 v12, v1, v2, 1.0
.LBB173_150:
	s_or_b64 exec, exec, s[0:1]
                                        ; implicit-def: $vgpr5
                                        ; implicit-def: $vgpr1
.LBB173_151:
	s_andn2_saveexec_b64 s[0:1], s[2:3]
	s_cbranch_execz .LBB173_153
; %bb.152:
	v_div_scale_f32 v2, s[2:3], v5, v5, v1
	v_rcp_f32_e32 v3, v2
	v_div_scale_f32 v4, vcc, v1, v5, v1
	v_fma_f32 v12, -v2, v3, 1.0
	v_fmac_f32_e32 v3, v12, v3
	v_mul_f32_e32 v12, v4, v3
	v_fma_f32 v13, -v2, v12, v4
	v_fmac_f32_e32 v12, v13, v3
	v_fma_f32 v2, -v2, v12, v4
	v_div_fmas_f32 v2, v2, v3, v12
	v_div_fixup_f32 v2, v2, v5, v1
	v_fmac_f32_e32 v5, v1, v2
	v_div_scale_f32 v1, s[2:3], v5, v5, 1.0
	v_rcp_f32_e32 v3, v1
	s_mov_b32 s2, 0
	s_mov_b32 s3, -1.0
	v_fma_f32 v4, -v1, v3, 1.0
	v_fmac_f32_e32 v3, v4, v3
	v_div_scale_f32 v4, vcc, 1.0, v5, 1.0
	v_mul_f32_e32 v12, v4, v3
	v_fma_f32 v13, -v1, v12, v4
	v_fmac_f32_e32 v12, v13, v3
	v_fma_f32 v1, -v1, v12, v4
	v_div_fmas_f32 v1, v1, v3, v12
	v_mul_f32_e32 v3, 0, v2
	v_div_fixup_f32 v4, v1, v5, 1.0
	v_pk_add_f32 v[2:3], v[2:3], s[2:3]
	s_nop 0
	v_pk_mul_f32 v[12:13], v[2:3], v[4:5] op_sel_hi:[1,0]
.LBB173_153:
	s_or_b64 exec, exec, s[0:1]
	s_add_u32 s0, s8, s4
	s_addc_u32 s1, s9, s5
	v_mov_b32_e32 v15, 0
	v_lshl_add_u64 v[2:3], s[0:1], 0, v[14:15]
	v_add_co_u32_e32 v2, vcc, 0x1000, v2
	global_store_dwordx4 v14, v[6:9], s[0:1]
	s_nop 0
	v_addc_co_u32_e32 v3, vcc, 0, v3, vcc
	s_mov_b64 s[0:1], 0
	global_store_dwordx4 v[2:3], v[10:13], off
.LBB173_154:
	s_and_b64 vcc, exec, s[0:1]
	s_cbranch_vccz .LBB173_331
; %bb.155:
	v_mov_b32_e32 v12, 0
	v_mov_b32_e32 v13, v12
	v_cmp_gt_i32_e64 s[0:1], s24, v0
	v_or_b32_e32 v2, s6, v0
	v_mov_b32_e32 v1, v0
	v_mov_b64_e32 v[10:11], v[12:13]
	s_and_saveexec_b64 s[2:3], s[0:1]
	s_cbranch_execz .LBB173_157
; %bb.156:
	v_mov_b32_e32 v3, v12
	v_lshl_add_u64 v[4:5], v[2:3], 3, s[10:11]
	global_load_dwordx2 v[10:11], v[4:5], off
	v_or_b32_e32 v1, 0x100, v0
.LBB173_157:
	s_or_b64 exec, exec, s[2:3]
	v_cmp_gt_i32_e32 vcc, s24, v1
	s_and_saveexec_b64 s[2:3], vcc
	s_cbranch_execz .LBB173_159
; %bb.158:
	v_add_u32_e32 v4, s6, v1
	v_mov_b32_e32 v5, 0
	v_lshl_add_u64 v[4:5], v[4:5], 3, s[10:11]
	global_load_dwordx2 v[12:13], v[4:5], off
	v_add_u32_e32 v1, 0x100, v1
.LBB173_159:
	s_or_b64 exec, exec, s[2:3]
	v_mov_b32_e32 v4, 0
	v_mov_b32_e32 v5, v4
	v_cmp_gt_i32_e32 vcc, s24, v1
	v_mov_b64_e32 v[8:9], v[4:5]
	s_and_saveexec_b64 s[2:3], vcc
	s_cbranch_execz .LBB173_161
; %bb.160:
	v_add_u32_e32 v6, s6, v1
	v_mov_b32_e32 v7, v4
	v_lshl_add_u64 v[6:7], v[6:7], 3, s[10:11]
	global_load_dwordx2 v[8:9], v[6:7], off
	v_add_u32_e32 v1, 0x100, v1
.LBB173_161:
	s_or_b64 exec, exec, s[2:3]
	v_cmp_gt_i32_e32 vcc, s24, v1
	s_and_saveexec_b64 s[2:3], vcc
	s_cbranch_execz .LBB173_163
; %bb.162:
	v_add_u32_e32 v4, s6, v1
	v_mov_b32_e32 v5, 0
	v_lshl_add_u64 v[4:5], v[4:5], 3, s[10:11]
	global_load_dwordx2 v[4:5], v[4:5], off
.LBB173_163:
	s_or_b64 exec, exec, s[2:3]
	v_mov_b32_e32 v7, 0
	v_mov_b32_e32 v6, 0
	s_and_saveexec_b64 s[10:11], s[0:1]
	s_cbranch_execz .LBB173_203
; %bb.164:
	s_waitcnt vmcnt(0)
	v_cmp_neq_f32_e32 vcc, 0, v10
	v_cmp_neq_f32_e64 s[2:3], 0, v11
	v_mov_b32_e32 v1, 0
	s_or_b64 s[2:3], vcc, s[2:3]
	s_and_saveexec_b64 s[12:13], s[2:3]
	s_cbranch_execz .LBB173_194
; %bb.165:
	v_mov_b32_e32 v1, 0x7f800000
	v_cmp_neq_f32_e64 s[2:3], |v11|, v1
	s_and_saveexec_b64 s[14:15], s[2:3]
	s_cbranch_execz .LBB173_193
; %bb.166:
	v_cmp_o_f32_e32 vcc, v10, v10
                                        ; implicit-def: $vgpr1
	s_and_saveexec_b64 s[2:3], vcc
	s_xor_b64 s[16:17], exec, s[2:3]
	s_cbranch_execz .LBB173_190
; %bb.167:
	s_mov_b32 s2, 0x7f800000
	v_cmp_neq_f32_e64 s[2:3], |v10|, s2
                                        ; implicit-def: $vgpr1
	s_and_saveexec_b64 s[4:5], s[2:3]
	s_xor_b64 s[18:19], exec, s[4:5]
	s_cbranch_execz .LBB173_183
; %bb.168:
	v_max_f32_e64 v1, |v10|, |v10|
	v_max_f32_e64 v3, |v11|, |v11|
	v_max_f32_e32 v1, v3, v1
	s_mov_b32 s2, 0x7ed413cb
	v_cmp_nle_f32_e64 s[2:3], s2, v1
                                        ; implicit-def: $sgpr20_sgpr21
	s_and_saveexec_b64 s[4:5], s[2:3]
	s_xor_b64 s[4:5], exec, s[4:5]
	s_cbranch_execz .LBB173_172
; %bb.169:
	s_mov_b32 s7, 0x1000000
	v_cmp_le_f32_e64 s[20:21], |v10|, s7
	v_cmp_le_f32_e64 s[22:23], |v11|, s7
	s_and_b64 s[26:27], s[22:23], s[20:21]
	s_mov_b64 s[20:21], 0
	s_and_saveexec_b64 s[22:23], s[26:27]
; %bb.170:
	s_mov_b64 s[20:21], exec
	v_pk_mul_f32 v[10:11], v[10:11], 4.0 op_sel_hi:[1,0]
; %bb.171:
	s_or_b64 exec, exec, s[22:23]
.LBB173_172:
	s_andn2_saveexec_b64 s[4:5], s[4:5]
; %bb.173:
	s_mov_b32 s22, 0x3e800000
	v_pk_mul_f32 v[10:11], v[10:11], s[22:23] op_sel_hi:[1,0]
	s_andn2_b64 s[20:21], s[20:21], exec
; %bb.174:
	s_or_b64 exec, exec, s[4:5]
	v_max_f32_e64 v1, |v11|, |v11|
	v_max_f32_e64 v3, |v10|, |v10|
	v_max_f32_e32 v1, v3, v1
	v_cvt_f64_f32_e32 v[6:7], v1
	v_frexp_exp_i32_f64_e32 v3, v[6:7]
	v_sub_u32_e32 v6, 0, v3
	v_ldexp_f32 v7, |v10|, v6
	v_ldexp_f32 v6, |v11|, v6
	v_mul_f32_e32 v6, v6, v6
	v_fmac_f32_e32 v6, v7, v7
	v_sqrt_f32_e32 v6, v6
	s_mov_b32 s4, 0x7f800000
	v_cmp_neq_f32_e64 s[4:5], s4, v1
	v_cmp_le_f32_e32 vcc, 0, v10
	v_ldexp_f32 v3, v6, v3
	v_mov_b32_e32 v6, 0x7f800000
	v_cndmask_b32_e64 v1, v6, v3, s[4:5]
                                        ; implicit-def: $vgpr6_vgpr7
	s_and_saveexec_b64 s[4:5], vcc
	s_xor_b64 s[22:23], exec, s[4:5]
	s_cbranch_execz .LBB173_176
; %bb.175:
	v_add_f32_e32 v1, v10, v1
	v_mul_f32_e32 v1, 0.5, v1
	s_mov_b32 s4, 0xf800000
	v_mul_f32_e32 v3, 0x4f800000, v1
	v_cmp_gt_f32_e32 vcc, s4, v1
	s_nop 1
	v_cndmask_b32_e32 v1, v1, v3, vcc
	v_sqrt_f32_e32 v3, v1
	s_nop 0
	v_add_u32_e32 v6, -1, v3
	v_fma_f32 v7, -v6, v3, v1
	v_cmp_ge_f32_e64 s[4:5], 0, v7
	v_add_u32_e32 v7, 1, v3
	s_nop 0
	v_cndmask_b32_e64 v6, v3, v6, s[4:5]
	v_fma_f32 v3, -v7, v3, v1
	v_cmp_lt_f32_e64 s[4:5], 0, v3
	s_nop 1
	v_cndmask_b32_e64 v3, v6, v7, s[4:5]
	v_mul_f32_e32 v6, 0x37800000, v3
	v_cndmask_b32_e32 v3, v3, v6, vcc
	v_mov_b32_e32 v6, 0x260
	v_cmp_class_f32_e32 vcc, v1, v6
	s_nop 1
	v_cndmask_b32_e32 v6, v3, v1, vcc
	v_add_f32_e32 v1, v6, v6
	v_div_scale_f32 v3, s[4:5], v1, v1, v11
	v_rcp_f32_e32 v7, v3
	s_nop 0
	v_fma_f32 v10, -v3, v7, 1.0
	v_fmac_f32_e32 v7, v10, v7
	v_div_scale_f32 v10, vcc, v11, v1, v11
	v_mul_f32_e32 v14, v10, v7
	v_fma_f32 v15, -v3, v14, v10
	v_fmac_f32_e32 v14, v15, v7
	v_fma_f32 v3, -v3, v14, v10
	v_div_fmas_f32 v3, v3, v7, v14
	v_div_fixup_f32 v7, v3, v1, v11
                                        ; implicit-def: $vgpr1
                                        ; implicit-def: $vgpr10_vgpr11
	s_andn2_saveexec_b64 s[22:23], s[22:23]
	s_cbranch_execz .LBB173_178
	s_branch .LBB173_177
.LBB173_176:
	s_andn2_saveexec_b64 s[22:23], s[22:23]
	s_cbranch_execz .LBB173_178
.LBB173_177:
	v_sub_f32_e32 v1, v1, v10
	v_mul_f32_e32 v1, 0.5, v1
	s_mov_b32 s4, 0xf800000
	v_mul_f32_e32 v3, 0x4f800000, v1
	v_cmp_gt_f32_e32 vcc, s4, v1
	s_nop 1
	v_cndmask_b32_e32 v1, v1, v3, vcc
	v_sqrt_f32_e32 v3, v1
	s_nop 0
	v_add_u32_e32 v6, -1, v3
	v_fma_f32 v7, -v6, v3, v1
	v_cmp_ge_f32_e64 s[4:5], 0, v7
	v_add_u32_e32 v7, 1, v3
	s_nop 0
	v_cndmask_b32_e64 v6, v3, v6, s[4:5]
	v_fma_f32 v3, -v7, v3, v1
	v_cmp_lt_f32_e64 s[4:5], 0, v3
	s_nop 1
	v_cndmask_b32_e64 v3, v6, v7, s[4:5]
	v_mul_f32_e32 v6, 0x37800000, v3
	v_cndmask_b32_e32 v3, v3, v6, vcc
	v_mov_b32_e32 v6, 0x260
	v_cmp_class_f32_e32 vcc, v1, v6
	v_and_b32_e32 v6, 0x7fffffff, v11
	s_nop 0
	v_cndmask_b32_e32 v1, v3, v1, vcc
	v_add_f32_e32 v3, v1, v1
	v_div_scale_f32 v7, s[4:5], v3, v3, v6
	v_rcp_f32_e32 v10, v7
	v_div_scale_f32 v6, vcc, v6, v3, v6
	s_brev_b32 s4, -2
	v_fma_f32 v14, -v7, v10, 1.0
	v_fmac_f32_e32 v10, v14, v10
	v_mul_f32_e32 v14, v6, v10
	v_fma_f32 v15, -v7, v14, v6
	v_fmac_f32_e32 v14, v15, v10
	v_fma_f32 v6, -v7, v14, v6
	v_div_fmas_f32 v6, v6, v10, v14
	v_div_fixup_f32 v6, v6, v3, |v11|
	v_bfi_b32 v7, s4, v1, v11
.LBB173_178:
	s_or_b64 exec, exec, s[22:23]
                                        ; implicit-def: $vgpr11
                                        ; implicit-def: $vgpr1
	s_and_saveexec_b64 s[4:5], s[2:3]
	s_xor_b64 s[2:3], exec, s[4:5]
	s_cbranch_execz .LBB173_180
; %bb.179:
	v_pk_mul_f32 v[10:11], v[6:7], 0.5 op_sel_hi:[1,0]
	s_nop 0
	v_cndmask_b32_e64 v1, v6, v10, s[20:21]
	v_cndmask_b32_e64 v11, v7, v11, s[20:21]
                                        ; implicit-def: $vgpr6_vgpr7
	s_andn2_saveexec_b64 s[2:3], s[2:3]
	s_cbranch_execnz .LBB173_181
	s_branch .LBB173_182
.LBB173_180:
	s_andn2_saveexec_b64 s[2:3], s[2:3]
.LBB173_181:
	v_pk_add_f32 v[10:11], v[6:7], v[6:7]
	s_nop 0
	v_mov_b32_e32 v1, v10
.LBB173_182:
	s_or_b64 exec, exec, s[2:3]
.LBB173_183:
	s_andn2_saveexec_b64 s[2:3], s[18:19]
	s_cbranch_execz .LBB173_189
; %bb.184:
	v_sub_f32_e32 v3, v11, v11
	v_cmp_lt_i32_e32 vcc, -1, v10
	s_brev_b32 s7, -2
	v_and_b32_e32 v1, 0x7fffffff, v3
	s_and_saveexec_b64 s[4:5], vcc
	s_xor_b64 s[4:5], exec, s[4:5]
; %bb.185:
	v_bfi_b32 v11, s7, v3, v11
	v_mov_b32_e32 v1, v10
; %bb.186:
	s_andn2_saveexec_b64 s[4:5], s[4:5]
; %bb.187:
	v_bfi_b32 v11, s7, v10, v11
; %bb.188:
	s_or_b64 exec, exec, s[4:5]
.LBB173_189:
	s_or_b64 exec, exec, s[2:3]
.LBB173_190:
	s_andn2_saveexec_b64 s[2:3], s[16:17]
	s_cbranch_execz .LBB173_192
; %bb.191:
	v_sub_f32_e32 v1, v11, v11
	v_div_scale_f32 v3, vcc, v1, v1, v1
	v_rcp_f32_e32 v6, v3
	s_nop 0
	v_fma_f32 v7, -v3, v6, 1.0
	v_fmac_f32_e32 v6, v7, v6
	v_mul_f32_e32 v7, v3, v6
	v_fma_f32 v11, -v3, v7, v3
	v_fmac_f32_e32 v7, v11, v6
	v_fma_f32 v3, -v3, v7, v3
	v_div_fmas_f32 v3, v3, v6, v7
	v_div_fixup_f32 v11, v3, v1, v1
	v_mov_b32_e32 v1, v10
.LBB173_192:
	s_or_b64 exec, exec, s[2:3]
.LBB173_193:
	s_or_b64 exec, exec, s[14:15]
.LBB173_194:
	s_or_b64 exec, exec, s[12:13]
	v_cmp_gt_f32_e32 vcc, 0, v11
                                        ; implicit-def: $vgpr6_vgpr7
	s_nop 1
	v_cndmask_b32_e64 v10, v11, -v11, vcc
	v_cmp_gt_f32_e32 vcc, 0, v1
	s_nop 1
	v_cndmask_b32_e64 v3, v1, -v1, vcc
	v_cmp_ge_f32_e32 vcc, v3, v10
	s_and_saveexec_b64 s[2:3], vcc
	s_xor_b64 s[4:5], exec, s[2:3]
	s_cbranch_execz .LBB173_200
; %bb.195:
	v_cmp_neq_f32_e32 vcc, 0, v1
	v_cmp_neq_f32_e64 s[2:3], 0, v11
	s_or_b64 s[2:3], vcc, s[2:3]
                                        ; implicit-def: $vgpr6_vgpr7
	s_and_saveexec_b64 s[12:13], s[2:3]
	s_xor_b64 s[2:3], exec, s[12:13]
	s_cbranch_execz .LBB173_197
; %bb.196:
	v_div_scale_f32 v3, s[12:13], v1, v1, v11
	v_rcp_f32_e32 v6, v3
	v_div_scale_f32 v7, vcc, v11, v1, v11
	v_fma_f32 v10, -v3, v6, 1.0
	v_fmac_f32_e32 v6, v10, v6
	v_mul_f32_e32 v10, v7, v6
	v_fma_f32 v14, -v3, v10, v7
	v_fmac_f32_e32 v10, v14, v6
	v_fma_f32 v3, -v3, v10, v7
	v_div_fmas_f32 v3, v3, v6, v10
	v_div_fixup_f32 v3, v3, v1, v11
	v_fmac_f32_e32 v1, v11, v3
	v_div_scale_f32 v6, s[12:13], v1, v1, 1.0
	v_rcp_f32_e32 v7, v6
	s_nop 0
	v_fma_f32 v10, -v6, v7, 1.0
	v_fmac_f32_e32 v7, v10, v7
	v_div_scale_f32 v10, vcc, 1.0, v1, 1.0
	v_mul_f32_e32 v11, v10, v7
	v_fma_f32 v14, -v6, v11, v10
	v_fmac_f32_e32 v11, v14, v7
	v_fma_f32 v6, -v6, v11, v10
	v_div_fmas_f32 v6, v6, v7, v11
	v_div_fixup_f32 v6, v6, v1, 1.0
	v_mul_f32_e32 v1, 0, v3
	v_add_f32_e32 v10, 1.0, v1
	v_sub_f32_e32 v11, 0, v3
	v_pk_mul_f32 v[6:7], v[10:11], v[6:7] op_sel_hi:[1,0]
                                        ; implicit-def: $vgpr10
                                        ; implicit-def: $vgpr3
.LBB173_197:
	s_andn2_saveexec_b64 s[2:3], s[2:3]
	s_cbranch_execz .LBB173_199
; %bb.198:
	v_div_scale_f32 v1, s[12:13], v10, v10, 0
	v_rcp_f32_e32 v6, v1
	v_div_scale_f32 v7, vcc, 0, v10, 0
	v_fma_f32 v11, -v1, v6, 1.0
	v_fmac_f32_e32 v6, v11, v6
	v_mul_f32_e32 v11, v7, v6
	v_fma_f32 v14, -v1, v11, v7
	v_fmac_f32_e32 v11, v14, v6
	v_div_scale_f32 v14, s[12:13], v3, v3, 1.0
	v_rcp_f32_e32 v15, v14
	v_fma_f32 v1, -v1, v11, v7
	v_div_fmas_f32 v1, v1, v6, v11
	v_div_fixup_f32 v7, v1, v10, 0
	v_fma_f32 v1, -v14, v15, 1.0
	v_fmac_f32_e32 v15, v1, v15
	v_div_scale_f32 v1, vcc, 1.0, v3, 1.0
	v_mul_f32_e32 v6, v1, v15
	v_fma_f32 v10, -v14, v6, v1
	v_fmac_f32_e32 v6, v10, v15
	v_fma_f32 v1, -v14, v6, v1
	v_div_fmas_f32 v1, v1, v15, v6
	v_div_fixup_f32 v6, v1, v3, 1.0
.LBB173_199:
	s_or_b64 exec, exec, s[2:3]
                                        ; implicit-def: $vgpr11
                                        ; implicit-def: $vgpr1
.LBB173_200:
	s_andn2_saveexec_b64 s[2:3], s[4:5]
	s_cbranch_execz .LBB173_202
; %bb.201:
	v_div_scale_f32 v3, s[4:5], v11, v11, v1
	v_rcp_f32_e32 v6, v3
	v_div_scale_f32 v7, vcc, v1, v11, v1
	v_fma_f32 v10, -v3, v6, 1.0
	v_fmac_f32_e32 v6, v10, v6
	v_mul_f32_e32 v10, v7, v6
	v_fma_f32 v14, -v3, v10, v7
	v_fmac_f32_e32 v10, v14, v6
	v_fma_f32 v3, -v3, v10, v7
	v_div_fmas_f32 v3, v3, v6, v10
	v_div_fixup_f32 v6, v3, v11, v1
	v_fmac_f32_e32 v11, v1, v6
	v_div_scale_f32 v1, s[4:5], v11, v11, 1.0
	v_rcp_f32_e32 v3, v1
	s_mov_b32 s4, 0
	s_mov_b32 s5, -1.0
	v_fma_f32 v7, -v1, v3, 1.0
	v_fmac_f32_e32 v3, v7, v3
	v_div_scale_f32 v7, vcc, 1.0, v11, 1.0
	v_mul_f32_e32 v10, v7, v3
	v_fma_f32 v14, -v1, v10, v7
	v_fmac_f32_e32 v10, v14, v3
	v_fma_f32 v1, -v1, v10, v7
	v_div_fmas_f32 v1, v1, v3, v10
	v_mul_f32_e32 v7, 0, v6
	v_div_fixup_f32 v10, v1, v11, 1.0
	v_pk_add_f32 v[6:7], v[6:7], s[4:5]
	s_nop 0
	v_pk_mul_f32 v[6:7], v[6:7], v[10:11] op_sel_hi:[1,0]
.LBB173_202:
	s_or_b64 exec, exec, s[2:3]
.LBB173_203:
	s_or_b64 exec, exec, s[10:11]
	v_or_b32_e32 v1, 0x100, v0
	v_cmp_gt_i32_e32 vcc, s24, v1
	s_waitcnt vmcnt(0)
	v_mov_b32_e32 v11, 0
	v_mov_b32_e32 v10, 0
	s_and_saveexec_b64 s[10:11], vcc
	s_cbranch_execz .LBB173_243
; %bb.204:
	v_cmp_neq_f32_e32 vcc, 0, v12
	v_cmp_neq_f32_e64 s[2:3], 0, v13
	v_mov_b32_e32 v3, 0
	s_or_b64 s[2:3], vcc, s[2:3]
	s_and_saveexec_b64 s[12:13], s[2:3]
	s_cbranch_execz .LBB173_234
; %bb.205:
	v_mov_b32_e32 v3, 0x7f800000
	v_cmp_neq_f32_e64 s[2:3], |v13|, v3
	s_and_saveexec_b64 s[14:15], s[2:3]
	s_cbranch_execz .LBB173_233
; %bb.206:
	v_cmp_o_f32_e32 vcc, v12, v12
                                        ; implicit-def: $vgpr3
	s_and_saveexec_b64 s[2:3], vcc
	s_xor_b64 s[16:17], exec, s[2:3]
	s_cbranch_execz .LBB173_230
; %bb.207:
	s_mov_b32 s2, 0x7f800000
	v_cmp_neq_f32_e64 s[2:3], |v12|, s2
                                        ; implicit-def: $vgpr3
	s_and_saveexec_b64 s[4:5], s[2:3]
	s_xor_b64 s[18:19], exec, s[4:5]
	s_cbranch_execz .LBB173_223
; %bb.208:
	v_max_f32_e64 v3, |v12|, |v12|
	v_max_f32_e64 v10, |v13|, |v13|
	v_max_f32_e32 v3, v10, v3
	s_mov_b32 s2, 0x7ed413cb
	v_cmp_nle_f32_e64 s[2:3], s2, v3
                                        ; implicit-def: $sgpr20_sgpr21
	s_and_saveexec_b64 s[4:5], s[2:3]
	s_xor_b64 s[4:5], exec, s[4:5]
	s_cbranch_execz .LBB173_212
; %bb.209:
	s_mov_b32 s7, 0x1000000
	v_cmp_le_f32_e64 s[20:21], |v12|, s7
	v_cmp_le_f32_e64 s[22:23], |v13|, s7
	s_and_b64 s[26:27], s[22:23], s[20:21]
	s_mov_b64 s[20:21], 0
	s_and_saveexec_b64 s[22:23], s[26:27]
; %bb.210:
	s_mov_b64 s[20:21], exec
	v_pk_mul_f32 v[12:13], v[12:13], 4.0 op_sel_hi:[1,0]
; %bb.211:
	s_or_b64 exec, exec, s[22:23]
.LBB173_212:
	s_andn2_saveexec_b64 s[4:5], s[4:5]
; %bb.213:
	s_mov_b32 s22, 0x3e800000
	v_pk_mul_f32 v[12:13], v[12:13], s[22:23] op_sel_hi:[1,0]
	s_andn2_b64 s[20:21], s[20:21], exec
; %bb.214:
	s_or_b64 exec, exec, s[4:5]
	v_max_f32_e64 v3, |v13|, |v13|
	v_max_f32_e64 v10, |v12|, |v12|
	v_max_f32_e32 v3, v10, v3
	v_cvt_f64_f32_e32 v[10:11], v3
	v_frexp_exp_i32_f64_e32 v10, v[10:11]
	v_sub_u32_e32 v11, 0, v10
	v_ldexp_f32 v14, |v12|, v11
	v_ldexp_f32 v11, |v13|, v11
	v_mul_f32_e32 v11, v11, v11
	v_fmac_f32_e32 v11, v14, v14
	v_sqrt_f32_e32 v11, v11
	s_mov_b32 s4, 0x7f800000
	v_cmp_neq_f32_e64 s[4:5], s4, v3
	v_cmp_le_f32_e32 vcc, 0, v12
	v_ldexp_f32 v10, v11, v10
	v_mov_b32_e32 v11, 0x7f800000
	v_cndmask_b32_e64 v3, v11, v10, s[4:5]
                                        ; implicit-def: $vgpr10_vgpr11
	s_and_saveexec_b64 s[4:5], vcc
	s_xor_b64 s[22:23], exec, s[4:5]
	s_cbranch_execz .LBB173_216
; %bb.215:
	v_add_f32_e32 v3, v12, v3
	v_mul_f32_e32 v3, 0.5, v3
	s_mov_b32 s4, 0xf800000
	v_mul_f32_e32 v10, 0x4f800000, v3
	v_cmp_gt_f32_e32 vcc, s4, v3
	s_nop 1
	v_cndmask_b32_e32 v3, v3, v10, vcc
	v_sqrt_f32_e32 v10, v3
	s_nop 0
	v_add_u32_e32 v11, -1, v10
	v_fma_f32 v12, -v11, v10, v3
	v_cmp_ge_f32_e64 s[4:5], 0, v12
	v_add_u32_e32 v12, 1, v10
	s_nop 0
	v_cndmask_b32_e64 v11, v10, v11, s[4:5]
	v_fma_f32 v10, -v12, v10, v3
	v_cmp_lt_f32_e64 s[4:5], 0, v10
	s_nop 1
	v_cndmask_b32_e64 v10, v11, v12, s[4:5]
	v_mul_f32_e32 v11, 0x37800000, v10
	v_cndmask_b32_e32 v10, v10, v11, vcc
	v_mov_b32_e32 v11, 0x260
	v_cmp_class_f32_e32 vcc, v3, v11
	s_nop 1
	v_cndmask_b32_e32 v10, v10, v3, vcc
	v_add_f32_e32 v3, v10, v10
	v_div_scale_f32 v11, s[4:5], v3, v3, v13
	v_rcp_f32_e32 v12, v11
	s_nop 0
	v_fma_f32 v14, -v11, v12, 1.0
	v_fmac_f32_e32 v12, v14, v12
	v_div_scale_f32 v14, vcc, v13, v3, v13
	v_mul_f32_e32 v15, v14, v12
	v_fma_f32 v16, -v11, v15, v14
	v_fmac_f32_e32 v15, v16, v12
	v_fma_f32 v11, -v11, v15, v14
	v_div_fmas_f32 v11, v11, v12, v15
	v_div_fixup_f32 v11, v11, v3, v13
                                        ; implicit-def: $vgpr3
                                        ; implicit-def: $vgpr12_vgpr13
	s_andn2_saveexec_b64 s[22:23], s[22:23]
	s_cbranch_execz .LBB173_218
	s_branch .LBB173_217
.LBB173_216:
	s_andn2_saveexec_b64 s[22:23], s[22:23]
	s_cbranch_execz .LBB173_218
.LBB173_217:
	v_sub_f32_e32 v3, v3, v12
	v_mul_f32_e32 v3, 0.5, v3
	s_mov_b32 s4, 0xf800000
	v_mul_f32_e32 v10, 0x4f800000, v3
	v_cmp_gt_f32_e32 vcc, s4, v3
	s_nop 1
	v_cndmask_b32_e32 v3, v3, v10, vcc
	v_sqrt_f32_e32 v10, v3
	s_nop 0
	v_add_u32_e32 v11, -1, v10
	v_fma_f32 v12, -v11, v10, v3
	v_cmp_ge_f32_e64 s[4:5], 0, v12
	v_add_u32_e32 v12, 1, v10
	s_nop 0
	v_cndmask_b32_e64 v11, v10, v11, s[4:5]
	v_fma_f32 v10, -v12, v10, v3
	v_cmp_lt_f32_e64 s[4:5], 0, v10
	s_nop 1
	v_cndmask_b32_e64 v10, v11, v12, s[4:5]
	v_mul_f32_e32 v11, 0x37800000, v10
	v_cndmask_b32_e32 v10, v10, v11, vcc
	v_mov_b32_e32 v11, 0x260
	v_cmp_class_f32_e32 vcc, v3, v11
	v_and_b32_e32 v11, 0x7fffffff, v13
	s_nop 0
	v_cndmask_b32_e32 v3, v10, v3, vcc
	v_add_f32_e32 v10, v3, v3
	v_div_scale_f32 v12, s[4:5], v10, v10, v11
	v_rcp_f32_e32 v14, v12
	v_div_scale_f32 v11, vcc, v11, v10, v11
	s_brev_b32 s4, -2
	v_fma_f32 v15, -v12, v14, 1.0
	v_fmac_f32_e32 v14, v15, v14
	v_mul_f32_e32 v15, v11, v14
	v_fma_f32 v16, -v12, v15, v11
	v_fmac_f32_e32 v15, v16, v14
	v_fma_f32 v11, -v12, v15, v11
	v_div_fmas_f32 v11, v11, v14, v15
	v_div_fixup_f32 v10, v11, v10, |v13|
	v_bfi_b32 v11, s4, v3, v13
.LBB173_218:
	s_or_b64 exec, exec, s[22:23]
                                        ; implicit-def: $vgpr13
                                        ; implicit-def: $vgpr3
	s_and_saveexec_b64 s[4:5], s[2:3]
	s_xor_b64 s[2:3], exec, s[4:5]
	s_cbranch_execz .LBB173_220
; %bb.219:
	v_pk_mul_f32 v[12:13], v[10:11], 0.5 op_sel_hi:[1,0]
	s_nop 0
	v_cndmask_b32_e64 v3, v10, v12, s[20:21]
	v_cndmask_b32_e64 v13, v11, v13, s[20:21]
                                        ; implicit-def: $vgpr10_vgpr11
	s_andn2_saveexec_b64 s[2:3], s[2:3]
	s_cbranch_execnz .LBB173_221
	s_branch .LBB173_222
.LBB173_220:
	s_andn2_saveexec_b64 s[2:3], s[2:3]
.LBB173_221:
	v_pk_add_f32 v[12:13], v[10:11], v[10:11]
	s_nop 0
	v_mov_b32_e32 v3, v12
.LBB173_222:
	s_or_b64 exec, exec, s[2:3]
.LBB173_223:
	s_andn2_saveexec_b64 s[2:3], s[18:19]
	s_cbranch_execz .LBB173_229
; %bb.224:
	v_sub_f32_e32 v10, v13, v13
	v_cmp_lt_i32_e32 vcc, -1, v12
	s_brev_b32 s7, -2
	v_and_b32_e32 v3, 0x7fffffff, v10
	s_and_saveexec_b64 s[4:5], vcc
	s_xor_b64 s[4:5], exec, s[4:5]
; %bb.225:
	v_bfi_b32 v13, s7, v10, v13
	v_mov_b32_e32 v3, v12
; %bb.226:
	s_andn2_saveexec_b64 s[4:5], s[4:5]
; %bb.227:
	v_bfi_b32 v13, s7, v12, v13
; %bb.228:
	s_or_b64 exec, exec, s[4:5]
.LBB173_229:
	s_or_b64 exec, exec, s[2:3]
.LBB173_230:
	s_andn2_saveexec_b64 s[2:3], s[16:17]
	s_cbranch_execz .LBB173_232
; %bb.231:
	v_sub_f32_e32 v3, v13, v13
	v_div_scale_f32 v10, vcc, v3, v3, v3
	v_rcp_f32_e32 v11, v10
	s_nop 0
	v_fma_f32 v13, -v10, v11, 1.0
	v_fmac_f32_e32 v11, v13, v11
	v_mul_f32_e32 v13, v10, v11
	v_fma_f32 v14, -v10, v13, v10
	v_fmac_f32_e32 v13, v14, v11
	v_fma_f32 v10, -v10, v13, v10
	v_div_fmas_f32 v10, v10, v11, v13
	v_div_fixup_f32 v13, v10, v3, v3
	v_mov_b32_e32 v3, v12
.LBB173_232:
	s_or_b64 exec, exec, s[2:3]
.LBB173_233:
	s_or_b64 exec, exec, s[14:15]
.LBB173_234:
	s_or_b64 exec, exec, s[12:13]
	v_cmp_gt_f32_e32 vcc, 0, v13
                                        ; implicit-def: $vgpr10_vgpr11
	s_nop 1
	v_cndmask_b32_e64 v14, v13, -v13, vcc
	v_cmp_gt_f32_e32 vcc, 0, v3
	s_nop 1
	v_cndmask_b32_e64 v12, v3, -v3, vcc
	v_cmp_ge_f32_e32 vcc, v12, v14
	s_and_saveexec_b64 s[2:3], vcc
	s_xor_b64 s[4:5], exec, s[2:3]
	s_cbranch_execz .LBB173_240
; %bb.235:
	v_cmp_neq_f32_e32 vcc, 0, v3
	v_cmp_neq_f32_e64 s[2:3], 0, v13
	s_or_b64 s[2:3], vcc, s[2:3]
                                        ; implicit-def: $vgpr10_vgpr11
	s_and_saveexec_b64 s[12:13], s[2:3]
	s_xor_b64 s[2:3], exec, s[12:13]
	s_cbranch_execz .LBB173_237
; %bb.236:
	v_div_scale_f32 v10, s[12:13], v3, v3, v13
	v_rcp_f32_e32 v11, v10
	v_div_scale_f32 v12, vcc, v13, v3, v13
	v_fma_f32 v14, -v10, v11, 1.0
	v_fmac_f32_e32 v11, v14, v11
	v_mul_f32_e32 v14, v12, v11
	v_fma_f32 v15, -v10, v14, v12
	v_fmac_f32_e32 v14, v15, v11
	v_fma_f32 v10, -v10, v14, v12
	v_div_fmas_f32 v10, v10, v11, v14
	v_div_fixup_f32 v11, v10, v3, v13
	v_fmac_f32_e32 v3, v13, v11
	v_div_scale_f32 v10, s[12:13], v3, v3, 1.0
	v_rcp_f32_e32 v12, v10
	s_nop 0
	v_fma_f32 v13, -v10, v12, 1.0
	v_fmac_f32_e32 v12, v13, v12
	v_div_scale_f32 v13, vcc, 1.0, v3, 1.0
	v_mul_f32_e32 v14, v13, v12
	v_fma_f32 v15, -v10, v14, v13
	v_fmac_f32_e32 v14, v15, v12
	v_fma_f32 v10, -v10, v14, v13
	v_div_fmas_f32 v10, v10, v12, v14
	v_div_fixup_f32 v10, v10, v3, 1.0
	v_mul_f32_e32 v3, 0, v11
	v_add_f32_e32 v12, 1.0, v3
	v_sub_f32_e32 v13, 0, v11
	v_pk_mul_f32 v[10:11], v[12:13], v[10:11] op_sel_hi:[1,0]
                                        ; implicit-def: $vgpr14
                                        ; implicit-def: $vgpr12
.LBB173_237:
	s_andn2_saveexec_b64 s[2:3], s[2:3]
	s_cbranch_execz .LBB173_239
; %bb.238:
	v_div_scale_f32 v3, s[12:13], v14, v14, 0
	v_rcp_f32_e32 v10, v3
	v_div_scale_f32 v11, vcc, 0, v14, 0
	v_fma_f32 v13, -v3, v10, 1.0
	v_fmac_f32_e32 v10, v13, v10
	v_mul_f32_e32 v13, v11, v10
	v_fma_f32 v15, -v3, v13, v11
	v_fmac_f32_e32 v13, v15, v10
	v_div_scale_f32 v15, s[12:13], v12, v12, 1.0
	v_rcp_f32_e32 v16, v15
	v_fma_f32 v3, -v3, v13, v11
	v_div_fmas_f32 v3, v3, v10, v13
	v_div_fixup_f32 v11, v3, v14, 0
	v_fma_f32 v3, -v15, v16, 1.0
	v_fmac_f32_e32 v16, v3, v16
	v_div_scale_f32 v3, vcc, 1.0, v12, 1.0
	v_mul_f32_e32 v10, v3, v16
	v_fma_f32 v13, -v15, v10, v3
	v_fmac_f32_e32 v10, v13, v16
	v_fma_f32 v3, -v15, v10, v3
	v_div_fmas_f32 v3, v3, v16, v10
	v_div_fixup_f32 v10, v3, v12, 1.0
.LBB173_239:
	s_or_b64 exec, exec, s[2:3]
                                        ; implicit-def: $vgpr13
                                        ; implicit-def: $vgpr3
.LBB173_240:
	s_andn2_saveexec_b64 s[2:3], s[4:5]
	s_cbranch_execz .LBB173_242
; %bb.241:
	v_div_scale_f32 v10, s[4:5], v13, v13, v3
	v_rcp_f32_e32 v11, v10
	v_div_scale_f32 v12, vcc, v3, v13, v3
	v_fma_f32 v14, -v10, v11, 1.0
	v_fmac_f32_e32 v11, v14, v11
	v_mul_f32_e32 v14, v12, v11
	v_fma_f32 v15, -v10, v14, v12
	v_fmac_f32_e32 v14, v15, v11
	v_fma_f32 v10, -v10, v14, v12
	v_div_fmas_f32 v10, v10, v11, v14
	v_div_fixup_f32 v10, v10, v13, v3
	v_fmac_f32_e32 v13, v3, v10
	v_div_scale_f32 v3, s[4:5], v13, v13, 1.0
	v_rcp_f32_e32 v11, v3
	s_mov_b32 s4, 0
	s_mov_b32 s5, -1.0
	v_fma_f32 v12, -v3, v11, 1.0
	v_fmac_f32_e32 v11, v12, v11
	v_div_scale_f32 v12, vcc, 1.0, v13, 1.0
	v_mul_f32_e32 v14, v12, v11
	v_fma_f32 v15, -v3, v14, v12
	v_fmac_f32_e32 v14, v15, v11
	v_fma_f32 v3, -v3, v14, v12
	v_div_fmas_f32 v3, v3, v11, v14
	v_mul_f32_e32 v11, 0, v10
	v_div_fixup_f32 v12, v3, v13, 1.0
	v_pk_add_f32 v[10:11], v[10:11], s[4:5]
	s_nop 0
	v_pk_mul_f32 v[10:11], v[10:11], v[12:13] op_sel_hi:[1,0]
.LBB173_242:
	s_or_b64 exec, exec, s[2:3]
.LBB173_243:
	s_or_b64 exec, exec, s[10:11]
	v_or_b32_e32 v3, 0x200, v0
	v_cmp_gt_i32_e32 vcc, s24, v3
	v_mov_b32_e32 v13, 0
	v_mov_b32_e32 v12, 0
	s_and_saveexec_b64 s[10:11], vcc
	s_cbranch_execz .LBB173_283
; %bb.244:
	v_cmp_neq_f32_e32 vcc, 0, v8
	v_cmp_neq_f32_e64 s[2:3], 0, v9
	v_mov_b32_e32 v3, 0
	s_or_b64 s[2:3], vcc, s[2:3]
	s_and_saveexec_b64 s[12:13], s[2:3]
	s_cbranch_execz .LBB173_274
; %bb.245:
	v_mov_b32_e32 v3, 0x7f800000
	v_cmp_neq_f32_e64 s[2:3], |v9|, v3
	s_and_saveexec_b64 s[14:15], s[2:3]
	s_cbranch_execz .LBB173_273
; %bb.246:
	v_cmp_o_f32_e32 vcc, v8, v8
                                        ; implicit-def: $vgpr3
	s_and_saveexec_b64 s[2:3], vcc
	s_xor_b64 s[16:17], exec, s[2:3]
	s_cbranch_execz .LBB173_270
; %bb.247:
	s_mov_b32 s2, 0x7f800000
	v_cmp_neq_f32_e64 s[2:3], |v8|, s2
                                        ; implicit-def: $vgpr3
	s_and_saveexec_b64 s[4:5], s[2:3]
	s_xor_b64 s[18:19], exec, s[4:5]
	s_cbranch_execz .LBB173_263
; %bb.248:
	v_max_f32_e64 v3, |v8|, |v8|
	v_max_f32_e64 v12, |v9|, |v9|
	v_max_f32_e32 v3, v12, v3
	s_mov_b32 s2, 0x7ed413cb
	v_cmp_nle_f32_e64 s[2:3], s2, v3
                                        ; implicit-def: $sgpr20_sgpr21
	s_and_saveexec_b64 s[4:5], s[2:3]
	s_xor_b64 s[4:5], exec, s[4:5]
	s_cbranch_execz .LBB173_252
; %bb.249:
	s_mov_b32 s7, 0x1000000
	v_cmp_le_f32_e64 s[20:21], |v8|, s7
	v_cmp_le_f32_e64 s[22:23], |v9|, s7
	s_and_b64 s[26:27], s[22:23], s[20:21]
	s_mov_b64 s[20:21], 0
	s_and_saveexec_b64 s[22:23], s[26:27]
; %bb.250:
	s_mov_b64 s[20:21], exec
	v_pk_mul_f32 v[8:9], v[8:9], 4.0 op_sel_hi:[1,0]
; %bb.251:
	s_or_b64 exec, exec, s[22:23]
.LBB173_252:
	s_andn2_saveexec_b64 s[4:5], s[4:5]
; %bb.253:
	s_mov_b32 s22, 0x3e800000
	v_pk_mul_f32 v[8:9], v[8:9], s[22:23] op_sel_hi:[1,0]
	s_andn2_b64 s[20:21], s[20:21], exec
; %bb.254:
	s_or_b64 exec, exec, s[4:5]
	v_max_f32_e64 v3, |v9|, |v9|
	v_max_f32_e64 v12, |v8|, |v8|
	v_max_f32_e32 v3, v12, v3
	v_cvt_f64_f32_e32 v[12:13], v3
	v_frexp_exp_i32_f64_e32 v12, v[12:13]
	v_sub_u32_e32 v13, 0, v12
	v_ldexp_f32 v14, |v8|, v13
	v_ldexp_f32 v13, |v9|, v13
	v_mul_f32_e32 v13, v13, v13
	v_fmac_f32_e32 v13, v14, v14
	v_sqrt_f32_e32 v13, v13
	s_mov_b32 s4, 0x7f800000
	v_cmp_neq_f32_e64 s[4:5], s4, v3
	v_cmp_le_f32_e32 vcc, 0, v8
	v_ldexp_f32 v12, v13, v12
	v_mov_b32_e32 v13, 0x7f800000
	v_cndmask_b32_e64 v3, v13, v12, s[4:5]
                                        ; implicit-def: $vgpr12_vgpr13
	s_and_saveexec_b64 s[4:5], vcc
	s_xor_b64 s[22:23], exec, s[4:5]
	s_cbranch_execz .LBB173_256
; %bb.255:
	v_add_f32_e32 v3, v8, v3
	v_mul_f32_e32 v3, 0.5, v3
	s_mov_b32 s4, 0xf800000
	v_mul_f32_e32 v8, 0x4f800000, v3
	v_cmp_gt_f32_e32 vcc, s4, v3
	s_nop 1
	v_cndmask_b32_e32 v3, v3, v8, vcc
	v_sqrt_f32_e32 v8, v3
	s_nop 0
	v_add_u32_e32 v12, -1, v8
	v_fma_f32 v13, -v12, v8, v3
	v_cmp_ge_f32_e64 s[4:5], 0, v13
	v_add_u32_e32 v13, 1, v8
	s_nop 0
	v_cndmask_b32_e64 v12, v8, v12, s[4:5]
	v_fma_f32 v8, -v13, v8, v3
	v_cmp_lt_f32_e64 s[4:5], 0, v8
	s_nop 1
	v_cndmask_b32_e64 v8, v12, v13, s[4:5]
	v_mul_f32_e32 v12, 0x37800000, v8
	v_cndmask_b32_e32 v8, v8, v12, vcc
	v_mov_b32_e32 v12, 0x260
	v_cmp_class_f32_e32 vcc, v3, v12
	s_nop 1
	v_cndmask_b32_e32 v12, v8, v3, vcc
	v_add_f32_e32 v3, v12, v12
	v_div_scale_f32 v8, s[4:5], v3, v3, v9
	v_rcp_f32_e32 v13, v8
	s_nop 0
	v_fma_f32 v14, -v8, v13, 1.0
	v_fmac_f32_e32 v13, v14, v13
	v_div_scale_f32 v14, vcc, v9, v3, v9
	v_mul_f32_e32 v15, v14, v13
	v_fma_f32 v16, -v8, v15, v14
	v_fmac_f32_e32 v15, v16, v13
	v_fma_f32 v8, -v8, v15, v14
	v_div_fmas_f32 v8, v8, v13, v15
	v_div_fixup_f32 v13, v8, v3, v9
                                        ; implicit-def: $vgpr3
                                        ; implicit-def: $vgpr8_vgpr9
	s_andn2_saveexec_b64 s[22:23], s[22:23]
	s_cbranch_execz .LBB173_258
	s_branch .LBB173_257
.LBB173_256:
	s_andn2_saveexec_b64 s[22:23], s[22:23]
	s_cbranch_execz .LBB173_258
.LBB173_257:
	v_sub_f32_e32 v3, v3, v8
	v_mul_f32_e32 v3, 0.5, v3
	s_mov_b32 s4, 0xf800000
	v_mul_f32_e32 v8, 0x4f800000, v3
	v_cmp_gt_f32_e32 vcc, s4, v3
	s_nop 1
	v_cndmask_b32_e32 v3, v3, v8, vcc
	v_sqrt_f32_e32 v8, v3
	s_nop 0
	v_add_u32_e32 v12, -1, v8
	v_fma_f32 v13, -v12, v8, v3
	v_cmp_ge_f32_e64 s[4:5], 0, v13
	v_add_u32_e32 v13, 1, v8
	s_nop 0
	v_cndmask_b32_e64 v12, v8, v12, s[4:5]
	v_fma_f32 v8, -v13, v8, v3
	v_cmp_lt_f32_e64 s[4:5], 0, v8
	s_nop 1
	v_cndmask_b32_e64 v8, v12, v13, s[4:5]
	v_mul_f32_e32 v12, 0x37800000, v8
	v_cndmask_b32_e32 v8, v8, v12, vcc
	v_mov_b32_e32 v12, 0x260
	v_cmp_class_f32_e32 vcc, v3, v12
	v_and_b32_e32 v12, 0x7fffffff, v9
	s_nop 0
	v_cndmask_b32_e32 v3, v8, v3, vcc
	v_add_f32_e32 v8, v3, v3
	v_div_scale_f32 v13, s[4:5], v8, v8, v12
	v_rcp_f32_e32 v14, v13
	v_div_scale_f32 v12, vcc, v12, v8, v12
	s_brev_b32 s4, -2
	v_fma_f32 v15, -v13, v14, 1.0
	v_fmac_f32_e32 v14, v15, v14
	v_mul_f32_e32 v15, v12, v14
	v_fma_f32 v16, -v13, v15, v12
	v_fmac_f32_e32 v15, v16, v14
	v_fma_f32 v12, -v13, v15, v12
	v_div_fmas_f32 v12, v12, v14, v15
	v_div_fixup_f32 v12, v12, v8, |v9|
	v_bfi_b32 v13, s4, v3, v9
.LBB173_258:
	s_or_b64 exec, exec, s[22:23]
                                        ; implicit-def: $vgpr9
                                        ; implicit-def: $vgpr3
	s_and_saveexec_b64 s[4:5], s[2:3]
	s_xor_b64 s[2:3], exec, s[4:5]
	s_cbranch_execz .LBB173_260
; %bb.259:
	v_pk_mul_f32 v[8:9], v[12:13], 0.5 op_sel_hi:[1,0]
	s_nop 0
	v_cndmask_b32_e64 v3, v12, v8, s[20:21]
	v_cndmask_b32_e64 v9, v13, v9, s[20:21]
                                        ; implicit-def: $vgpr12_vgpr13
	s_andn2_saveexec_b64 s[2:3], s[2:3]
	s_cbranch_execnz .LBB173_261
	s_branch .LBB173_262
.LBB173_260:
	s_andn2_saveexec_b64 s[2:3], s[2:3]
.LBB173_261:
	v_pk_add_f32 v[8:9], v[12:13], v[12:13]
	s_nop 0
	v_mov_b32_e32 v3, v8
.LBB173_262:
	s_or_b64 exec, exec, s[2:3]
.LBB173_263:
	s_andn2_saveexec_b64 s[2:3], s[18:19]
	s_cbranch_execz .LBB173_269
; %bb.264:
	v_sub_f32_e32 v12, v9, v9
	v_cmp_lt_i32_e32 vcc, -1, v8
	s_brev_b32 s7, -2
	v_and_b32_e32 v3, 0x7fffffff, v12
	s_and_saveexec_b64 s[4:5], vcc
	s_xor_b64 s[4:5], exec, s[4:5]
; %bb.265:
	v_bfi_b32 v9, s7, v12, v9
	v_mov_b32_e32 v3, v8
; %bb.266:
	s_andn2_saveexec_b64 s[4:5], s[4:5]
; %bb.267:
	v_bfi_b32 v9, s7, v8, v9
; %bb.268:
	s_or_b64 exec, exec, s[4:5]
.LBB173_269:
	s_or_b64 exec, exec, s[2:3]
.LBB173_270:
	s_andn2_saveexec_b64 s[2:3], s[16:17]
	s_cbranch_execz .LBB173_272
; %bb.271:
	v_sub_f32_e32 v3, v9, v9
	v_div_scale_f32 v9, vcc, v3, v3, v3
	v_rcp_f32_e32 v12, v9
	s_nop 0
	v_fma_f32 v13, -v9, v12, 1.0
	v_fmac_f32_e32 v12, v13, v12
	v_mul_f32_e32 v13, v9, v12
	v_fma_f32 v14, -v9, v13, v9
	v_fmac_f32_e32 v13, v14, v12
	v_fma_f32 v9, -v9, v13, v9
	v_div_fmas_f32 v9, v9, v12, v13
	v_div_fixup_f32 v9, v9, v3, v3
	v_mov_b32_e32 v3, v8
.LBB173_272:
	s_or_b64 exec, exec, s[2:3]
.LBB173_273:
	s_or_b64 exec, exec, s[14:15]
.LBB173_274:
	s_or_b64 exec, exec, s[12:13]
	v_cmp_gt_f32_e32 vcc, 0, v9
                                        ; implicit-def: $vgpr12_vgpr13
	s_nop 1
	v_cndmask_b32_e64 v14, v9, -v9, vcc
	v_cmp_gt_f32_e32 vcc, 0, v3
	s_nop 1
	v_cndmask_b32_e64 v8, v3, -v3, vcc
	v_cmp_ge_f32_e32 vcc, v8, v14
	s_and_saveexec_b64 s[2:3], vcc
	s_xor_b64 s[4:5], exec, s[2:3]
	s_cbranch_execz .LBB173_280
; %bb.275:
	v_cmp_neq_f32_e32 vcc, 0, v3
	v_cmp_neq_f32_e64 s[2:3], 0, v9
	s_or_b64 s[2:3], vcc, s[2:3]
                                        ; implicit-def: $vgpr12_vgpr13
	s_and_saveexec_b64 s[12:13], s[2:3]
	s_xor_b64 s[2:3], exec, s[12:13]
	s_cbranch_execz .LBB173_277
; %bb.276:
	v_div_scale_f32 v8, s[12:13], v3, v3, v9
	v_rcp_f32_e32 v12, v8
	v_div_scale_f32 v13, vcc, v9, v3, v9
	v_fma_f32 v14, -v8, v12, 1.0
	v_fmac_f32_e32 v12, v14, v12
	v_mul_f32_e32 v14, v13, v12
	v_fma_f32 v15, -v8, v14, v13
	v_fmac_f32_e32 v14, v15, v12
	v_fma_f32 v8, -v8, v14, v13
	v_div_fmas_f32 v8, v8, v12, v14
	v_div_fixup_f32 v13, v8, v3, v9
	v_fmac_f32_e32 v3, v9, v13
	v_div_scale_f32 v8, s[12:13], v3, v3, 1.0
	v_rcp_f32_e32 v9, v8
	s_nop 0
	v_fma_f32 v12, -v8, v9, 1.0
	v_fmac_f32_e32 v9, v12, v9
	v_div_scale_f32 v12, vcc, 1.0, v3, 1.0
	v_mul_f32_e32 v14, v12, v9
	v_fma_f32 v15, -v8, v14, v12
	v_fmac_f32_e32 v14, v15, v9
	v_fma_f32 v8, -v8, v14, v12
	v_div_fmas_f32 v8, v8, v9, v14
	v_div_fixup_f32 v8, v8, v3, 1.0
	v_mul_f32_e32 v3, 0, v13
	v_add_f32_e32 v12, 1.0, v3
	v_sub_f32_e32 v13, 0, v13
	v_pk_mul_f32 v[12:13], v[12:13], v[8:9] op_sel_hi:[1,0]
                                        ; implicit-def: $vgpr14
                                        ; implicit-def: $vgpr8
.LBB173_277:
	s_andn2_saveexec_b64 s[2:3], s[2:3]
	s_cbranch_execz .LBB173_279
; %bb.278:
	v_div_scale_f32 v3, s[12:13], v14, v14, 0
	v_rcp_f32_e32 v9, v3
	v_div_scale_f32 v12, vcc, 0, v14, 0
	v_fma_f32 v13, -v3, v9, 1.0
	v_fmac_f32_e32 v9, v13, v9
	v_mul_f32_e32 v13, v12, v9
	v_fma_f32 v15, -v3, v13, v12
	v_fmac_f32_e32 v13, v15, v9
	v_fma_f32 v3, -v3, v13, v12
	v_div_scale_f32 v12, s[12:13], v8, v8, 1.0
	v_rcp_f32_e32 v15, v12
	v_div_fmas_f32 v3, v3, v9, v13
	v_div_fixup_f32 v13, v3, v14, 0
	v_fma_f32 v3, -v12, v15, 1.0
	v_fmac_f32_e32 v15, v3, v15
	v_div_scale_f32 v3, vcc, 1.0, v8, 1.0
	v_mul_f32_e32 v9, v3, v15
	v_fma_f32 v14, -v12, v9, v3
	v_fmac_f32_e32 v9, v14, v15
	v_fma_f32 v3, -v12, v9, v3
	v_div_fmas_f32 v3, v3, v15, v9
	v_div_fixup_f32 v12, v3, v8, 1.0
.LBB173_279:
	s_or_b64 exec, exec, s[2:3]
                                        ; implicit-def: $vgpr9
                                        ; implicit-def: $vgpr3
.LBB173_280:
	s_andn2_saveexec_b64 s[2:3], s[4:5]
	s_cbranch_execz .LBB173_282
; %bb.281:
	v_div_scale_f32 v8, s[4:5], v9, v9, v3
	v_rcp_f32_e32 v12, v8
	v_div_scale_f32 v13, vcc, v3, v9, v3
	v_fma_f32 v14, -v8, v12, 1.0
	v_fmac_f32_e32 v12, v14, v12
	v_mul_f32_e32 v14, v13, v12
	v_fma_f32 v15, -v8, v14, v13
	v_fmac_f32_e32 v14, v15, v12
	v_fma_f32 v8, -v8, v14, v13
	v_div_fmas_f32 v8, v8, v12, v14
	v_div_fixup_f32 v8, v8, v9, v3
	v_fmac_f32_e32 v9, v3, v8
	v_div_scale_f32 v3, s[4:5], v9, v9, 1.0
	v_rcp_f32_e32 v12, v3
	s_mov_b32 s4, 0
	s_mov_b32 s5, -1.0
	v_fma_f32 v13, -v3, v12, 1.0
	v_fmac_f32_e32 v12, v13, v12
	v_div_scale_f32 v13, vcc, 1.0, v9, 1.0
	v_mul_f32_e32 v14, v13, v12
	v_fma_f32 v15, -v3, v14, v13
	v_fmac_f32_e32 v14, v15, v12
	v_fma_f32 v3, -v3, v14, v13
	v_div_fmas_f32 v3, v3, v12, v14
	v_div_fixup_f32 v12, v3, v9, 1.0
	v_mul_f32_e32 v9, 0, v8
	v_pk_add_f32 v[8:9], v[8:9], s[4:5]
	s_nop 0
	v_pk_mul_f32 v[12:13], v[8:9], v[12:13] op_sel_hi:[1,0]
.LBB173_282:
	s_or_b64 exec, exec, s[2:3]
.LBB173_283:
	s_or_b64 exec, exec, s[10:11]
	v_or_b32_e32 v3, 0x300, v0
	v_cmp_gt_i32_e32 vcc, s24, v3
	v_mov_b32_e32 v9, 0
	v_mov_b32_e32 v8, 0
	s_and_saveexec_b64 s[10:11], vcc
	s_cbranch_execz .LBB173_296
; %bb.284:
	v_cmp_neq_f32_e32 vcc, 0, v4
	v_cmp_neq_f32_e64 s[2:3], 0, v5
	v_mov_b32_e32 v3, 0
	s_or_b64 s[2:3], vcc, s[2:3]
	s_and_saveexec_b64 s[12:13], s[2:3]
	s_cbranch_execz .LBB173_318
; %bb.285:
	v_mov_b32_e32 v3, 0x7f800000
	v_cmp_neq_f32_e64 s[2:3], |v5|, v3
	s_and_saveexec_b64 s[14:15], s[2:3]
	s_cbranch_execz .LBB173_317
; %bb.286:
	v_cmp_o_f32_e32 vcc, v4, v4
                                        ; implicit-def: $vgpr3
	s_and_saveexec_b64 s[2:3], vcc
	s_xor_b64 s[16:17], exec, s[2:3]
	s_cbranch_execz .LBB173_314
; %bb.287:
	s_mov_b32 s2, 0x7f800000
	v_cmp_neq_f32_e64 s[2:3], |v4|, s2
                                        ; implicit-def: $vgpr3
	s_and_saveexec_b64 s[4:5], s[2:3]
	s_xor_b64 s[18:19], exec, s[4:5]
	s_cbranch_execz .LBB173_307
; %bb.288:
	v_max_f32_e64 v3, |v4|, |v4|
	v_max_f32_e64 v8, |v5|, |v5|
	v_max_f32_e32 v3, v8, v3
	s_mov_b32 s2, 0x7ed413cb
	v_cmp_nle_f32_e64 s[2:3], s2, v3
                                        ; implicit-def: $sgpr20_sgpr21
	s_and_saveexec_b64 s[4:5], s[2:3]
	s_xor_b64 s[4:5], exec, s[4:5]
	s_cbranch_execz .LBB173_292
; %bb.289:
	s_mov_b32 s7, 0x1000000
	v_cmp_le_f32_e64 s[20:21], |v4|, s7
	v_cmp_le_f32_e64 s[22:23], |v5|, s7
	s_and_b64 s[26:27], s[22:23], s[20:21]
	s_mov_b64 s[20:21], 0
	s_and_saveexec_b64 s[22:23], s[26:27]
; %bb.290:
	s_mov_b64 s[20:21], exec
	v_pk_mul_f32 v[4:5], v[4:5], 4.0 op_sel_hi:[1,0]
; %bb.291:
	s_or_b64 exec, exec, s[22:23]
.LBB173_292:
	s_andn2_saveexec_b64 s[4:5], s[4:5]
; %bb.293:
	s_mov_b32 s22, 0x3e800000
	v_pk_mul_f32 v[4:5], v[4:5], s[22:23] op_sel_hi:[1,0]
	s_andn2_b64 s[20:21], s[20:21], exec
; %bb.294:
	s_or_b64 exec, exec, s[4:5]
	v_max_f32_e64 v3, |v5|, |v5|
	v_max_f32_e64 v8, |v4|, |v4|
	v_max_f32_e32 v3, v8, v3
	v_cvt_f64_f32_e32 v[8:9], v3
	v_frexp_exp_i32_f64_e32 v8, v[8:9]
	v_sub_u32_e32 v9, 0, v8
	v_ldexp_f32 v14, |v4|, v9
	v_ldexp_f32 v9, |v5|, v9
	v_mul_f32_e32 v9, v9, v9
	v_fmac_f32_e32 v9, v14, v14
	v_sqrt_f32_e32 v9, v9
	s_mov_b32 s4, 0x7f800000
	v_cmp_neq_f32_e64 s[4:5], s4, v3
	v_cmp_le_f32_e32 vcc, 0, v4
	v_ldexp_f32 v8, v9, v8
	v_mov_b32_e32 v9, 0x7f800000
	v_cndmask_b32_e64 v3, v9, v8, s[4:5]
                                        ; implicit-def: $vgpr8_vgpr9
	s_and_saveexec_b64 s[4:5], vcc
	s_xor_b64 s[22:23], exec, s[4:5]
	s_cbranch_execz .LBB173_300
; %bb.295:
	v_add_f32_e32 v3, v4, v3
	v_mul_f32_e32 v3, 0.5, v3
	s_mov_b32 s4, 0xf800000
	v_mul_f32_e32 v4, 0x4f800000, v3
	v_cmp_gt_f32_e32 vcc, s4, v3
	s_nop 1
	v_cndmask_b32_e32 v3, v3, v4, vcc
	v_sqrt_f32_e32 v4, v3
	s_nop 0
	v_add_u32_e32 v8, -1, v4
	v_fma_f32 v9, -v8, v4, v3
	v_cmp_ge_f32_e64 s[4:5], 0, v9
	v_add_u32_e32 v9, 1, v4
	s_nop 0
	v_cndmask_b32_e64 v8, v4, v8, s[4:5]
	v_fma_f32 v4, -v9, v4, v3
	v_cmp_lt_f32_e64 s[4:5], 0, v4
	s_nop 1
	v_cndmask_b32_e64 v4, v8, v9, s[4:5]
	v_mul_f32_e32 v8, 0x37800000, v4
	v_cndmask_b32_e32 v4, v4, v8, vcc
	v_mov_b32_e32 v8, 0x260
	v_cmp_class_f32_e32 vcc, v3, v8
	s_nop 1
	v_cndmask_b32_e32 v8, v4, v3, vcc
	v_add_f32_e32 v3, v8, v8
	v_div_scale_f32 v4, s[4:5], v3, v3, v5
	v_rcp_f32_e32 v9, v4
	s_nop 0
	v_fma_f32 v14, -v4, v9, 1.0
	v_fmac_f32_e32 v9, v14, v9
	v_div_scale_f32 v14, vcc, v5, v3, v5
	v_mul_f32_e32 v15, v14, v9
	v_fma_f32 v16, -v4, v15, v14
	v_fmac_f32_e32 v15, v16, v9
	v_fma_f32 v4, -v4, v15, v14
	v_div_fmas_f32 v4, v4, v9, v15
	v_div_fixup_f32 v9, v4, v3, v5
                                        ; implicit-def: $vgpr3
                                        ; implicit-def: $vgpr4_vgpr5
	s_andn2_saveexec_b64 s[22:23], s[22:23]
	s_cbranch_execz .LBB173_302
	s_branch .LBB173_301
.LBB173_296:
	s_or_b64 exec, exec, s[10:11]
	s_and_saveexec_b64 s[2:3], s[0:1]
	s_xor_b64 s[0:1], exec, s[2:3]
	s_cbranch_execz .LBB173_327
.LBB173_297:
	v_mov_b32_e32 v3, 0
	v_lshl_add_u64 v[2:3], v[2:3], 3, s[8:9]
	v_mov_b32_e32 v0, v1
	global_store_dwordx2 v[2:3], v[6:7], off
	s_or_b64 exec, exec, s[0:1]
	v_cmp_gt_i32_e32 vcc, s24, v0
	s_and_saveexec_b64 s[0:1], vcc
	s_cbranch_execnz .LBB173_328
.LBB173_298:
	s_or_b64 exec, exec, s[0:1]
	v_cmp_gt_i32_e32 vcc, s24, v0
	s_and_saveexec_b64 s[0:1], vcc
	s_cbranch_execz .LBB173_329
.LBB173_299:
	v_add_u32_e32 v2, 0x100, v0
	v_add_u32_e32 v0, s6, v0
	v_mov_b32_e32 v1, 0
	v_lshl_add_u64 v[0:1], v[0:1], 3, s[8:9]
	global_store_dwordx2 v[0:1], v[12:13], off
	v_mov_b32_e32 v0, v2
	s_or_b64 exec, exec, s[0:1]
	v_cmp_gt_i32_e32 vcc, s24, v0
	s_and_saveexec_b64 s[0:1], vcc
	s_cbranch_execnz .LBB173_330
	s_branch .LBB173_331
.LBB173_300:
	s_andn2_saveexec_b64 s[22:23], s[22:23]
	s_cbranch_execz .LBB173_302
.LBB173_301:
	v_sub_f32_e32 v3, v3, v4
	v_mul_f32_e32 v3, 0.5, v3
	s_mov_b32 s4, 0xf800000
	v_mul_f32_e32 v4, 0x4f800000, v3
	v_cmp_gt_f32_e32 vcc, s4, v3
	s_nop 1
	v_cndmask_b32_e32 v3, v3, v4, vcc
	v_sqrt_f32_e32 v4, v3
	s_nop 0
	v_add_u32_e32 v8, -1, v4
	v_fma_f32 v9, -v8, v4, v3
	v_cmp_ge_f32_e64 s[4:5], 0, v9
	v_add_u32_e32 v9, 1, v4
	s_nop 0
	v_cndmask_b32_e64 v8, v4, v8, s[4:5]
	v_fma_f32 v4, -v9, v4, v3
	v_cmp_lt_f32_e64 s[4:5], 0, v4
	s_nop 1
	v_cndmask_b32_e64 v4, v8, v9, s[4:5]
	v_mul_f32_e32 v8, 0x37800000, v4
	v_cndmask_b32_e32 v4, v4, v8, vcc
	v_mov_b32_e32 v8, 0x260
	v_cmp_class_f32_e32 vcc, v3, v8
	v_and_b32_e32 v8, 0x7fffffff, v5
	s_nop 0
	v_cndmask_b32_e32 v3, v4, v3, vcc
	v_add_f32_e32 v4, v3, v3
	v_div_scale_f32 v9, s[4:5], v4, v4, v8
	v_rcp_f32_e32 v14, v9
	v_div_scale_f32 v8, vcc, v8, v4, v8
	s_brev_b32 s4, -2
	v_fma_f32 v15, -v9, v14, 1.0
	v_fmac_f32_e32 v14, v15, v14
	v_mul_f32_e32 v15, v8, v14
	v_fma_f32 v16, -v9, v15, v8
	v_fmac_f32_e32 v15, v16, v14
	v_fma_f32 v8, -v9, v15, v8
	v_div_fmas_f32 v8, v8, v14, v15
	v_div_fixup_f32 v8, v8, v4, |v5|
	v_bfi_b32 v9, s4, v3, v5
.LBB173_302:
	s_or_b64 exec, exec, s[22:23]
                                        ; implicit-def: $vgpr5
                                        ; implicit-def: $vgpr3
	s_and_saveexec_b64 s[4:5], s[2:3]
	s_xor_b64 s[2:3], exec, s[4:5]
	s_cbranch_execz .LBB173_304
; %bb.303:
	v_pk_mul_f32 v[4:5], v[8:9], 0.5 op_sel_hi:[1,0]
	s_nop 0
	v_cndmask_b32_e64 v3, v8, v4, s[20:21]
	v_cndmask_b32_e64 v5, v9, v5, s[20:21]
                                        ; implicit-def: $vgpr8_vgpr9
	s_andn2_saveexec_b64 s[2:3], s[2:3]
	s_cbranch_execnz .LBB173_305
	s_branch .LBB173_306
.LBB173_304:
	s_andn2_saveexec_b64 s[2:3], s[2:3]
.LBB173_305:
	v_pk_add_f32 v[4:5], v[8:9], v[8:9]
	s_nop 0
	v_mov_b32_e32 v3, v4
.LBB173_306:
	s_or_b64 exec, exec, s[2:3]
.LBB173_307:
	s_andn2_saveexec_b64 s[2:3], s[18:19]
	s_cbranch_execz .LBB173_313
; %bb.308:
	v_sub_f32_e32 v8, v5, v5
	v_cmp_lt_i32_e32 vcc, -1, v4
	s_brev_b32 s7, -2
	v_and_b32_e32 v3, 0x7fffffff, v8
	s_and_saveexec_b64 s[4:5], vcc
	s_xor_b64 s[4:5], exec, s[4:5]
; %bb.309:
	v_bfi_b32 v5, s7, v8, v5
	v_mov_b32_e32 v3, v4
; %bb.310:
	s_andn2_saveexec_b64 s[4:5], s[4:5]
; %bb.311:
	v_bfi_b32 v5, s7, v4, v5
; %bb.312:
	s_or_b64 exec, exec, s[4:5]
.LBB173_313:
	s_or_b64 exec, exec, s[2:3]
.LBB173_314:
	s_andn2_saveexec_b64 s[2:3], s[16:17]
	s_cbranch_execz .LBB173_316
; %bb.315:
	v_sub_f32_e32 v3, v5, v5
	v_div_scale_f32 v5, vcc, v3, v3, v3
	v_rcp_f32_e32 v8, v5
	s_nop 0
	v_fma_f32 v9, -v5, v8, 1.0
	v_fmac_f32_e32 v8, v9, v8
	v_mul_f32_e32 v9, v5, v8
	v_fma_f32 v14, -v5, v9, v5
	v_fmac_f32_e32 v9, v14, v8
	v_fma_f32 v5, -v5, v9, v5
	v_div_fmas_f32 v5, v5, v8, v9
	v_div_fixup_f32 v5, v5, v3, v3
	v_mov_b32_e32 v3, v4
.LBB173_316:
	s_or_b64 exec, exec, s[2:3]
.LBB173_317:
	s_or_b64 exec, exec, s[14:15]
.LBB173_318:
	s_or_b64 exec, exec, s[12:13]
	v_cmp_gt_f32_e32 vcc, 0, v5
                                        ; implicit-def: $vgpr8_vgpr9
	s_nop 1
	v_cndmask_b32_e64 v14, v5, -v5, vcc
	v_cmp_gt_f32_e32 vcc, 0, v3
	s_nop 1
	v_cndmask_b32_e64 v4, v3, -v3, vcc
	v_cmp_ge_f32_e32 vcc, v4, v14
	s_and_saveexec_b64 s[2:3], vcc
	s_xor_b64 s[4:5], exec, s[2:3]
	s_cbranch_execz .LBB173_324
; %bb.319:
	v_cmp_neq_f32_e32 vcc, 0, v3
	v_cmp_neq_f32_e64 s[2:3], 0, v5
	s_or_b64 s[2:3], vcc, s[2:3]
                                        ; implicit-def: $vgpr8_vgpr9
	s_and_saveexec_b64 s[12:13], s[2:3]
	s_xor_b64 s[2:3], exec, s[12:13]
	s_cbranch_execz .LBB173_321
; %bb.320:
	v_div_scale_f32 v4, s[12:13], v3, v3, v5
	v_rcp_f32_e32 v8, v4
	v_div_scale_f32 v9, vcc, v5, v3, v5
	v_fma_f32 v14, -v4, v8, 1.0
	v_fmac_f32_e32 v8, v14, v8
	v_mul_f32_e32 v14, v9, v8
	v_fma_f32 v15, -v4, v14, v9
	v_fmac_f32_e32 v14, v15, v8
	v_fma_f32 v4, -v4, v14, v9
	v_div_fmas_f32 v4, v4, v8, v14
	v_div_fixup_f32 v9, v4, v3, v5
	v_fmac_f32_e32 v3, v5, v9
	v_div_scale_f32 v4, s[12:13], v3, v3, 1.0
	v_rcp_f32_e32 v5, v4
	s_nop 0
	v_fma_f32 v8, -v4, v5, 1.0
	v_fmac_f32_e32 v5, v8, v5
	v_div_scale_f32 v8, vcc, 1.0, v3, 1.0
	v_mul_f32_e32 v14, v8, v5
	v_fma_f32 v15, -v4, v14, v8
	v_fmac_f32_e32 v14, v15, v5
	v_fma_f32 v4, -v4, v14, v8
	v_div_fmas_f32 v4, v4, v5, v14
	v_div_fixup_f32 v4, v4, v3, 1.0
	v_mul_f32_e32 v3, 0, v9
	v_add_f32_e32 v8, 1.0, v3
	v_sub_f32_e32 v9, 0, v9
	v_pk_mul_f32 v[8:9], v[8:9], v[4:5] op_sel_hi:[1,0]
                                        ; implicit-def: $vgpr14
                                        ; implicit-def: $vgpr4
.LBB173_321:
	s_andn2_saveexec_b64 s[2:3], s[2:3]
	s_cbranch_execz .LBB173_323
; %bb.322:
	v_div_scale_f32 v3, s[12:13], v14, v14, 0
	v_rcp_f32_e32 v5, v3
	v_div_scale_f32 v8, vcc, 0, v14, 0
	v_fma_f32 v9, -v3, v5, 1.0
	v_fmac_f32_e32 v5, v9, v5
	v_mul_f32_e32 v9, v8, v5
	v_fma_f32 v15, -v3, v9, v8
	v_fmac_f32_e32 v9, v15, v5
	v_fma_f32 v3, -v3, v9, v8
	v_div_scale_f32 v8, s[12:13], v4, v4, 1.0
	v_rcp_f32_e32 v15, v8
	v_div_fmas_f32 v3, v3, v5, v9
	v_div_fixup_f32 v9, v3, v14, 0
	v_fma_f32 v3, -v8, v15, 1.0
	v_fmac_f32_e32 v15, v3, v15
	v_div_scale_f32 v3, vcc, 1.0, v4, 1.0
	v_mul_f32_e32 v5, v3, v15
	v_fma_f32 v14, -v8, v5, v3
	v_fmac_f32_e32 v5, v14, v15
	v_fma_f32 v3, -v8, v5, v3
	v_div_fmas_f32 v3, v3, v15, v5
	v_div_fixup_f32 v8, v3, v4, 1.0
.LBB173_323:
	s_or_b64 exec, exec, s[2:3]
                                        ; implicit-def: $vgpr5
                                        ; implicit-def: $vgpr3
.LBB173_324:
	s_andn2_saveexec_b64 s[2:3], s[4:5]
	s_cbranch_execz .LBB173_326
; %bb.325:
	v_div_scale_f32 v4, s[4:5], v5, v5, v3
	v_rcp_f32_e32 v8, v4
	v_div_scale_f32 v9, vcc, v3, v5, v3
	v_fma_f32 v14, -v4, v8, 1.0
	v_fmac_f32_e32 v8, v14, v8
	v_mul_f32_e32 v14, v9, v8
	v_fma_f32 v15, -v4, v14, v9
	v_fmac_f32_e32 v14, v15, v8
	v_fma_f32 v4, -v4, v14, v9
	v_div_fmas_f32 v4, v4, v8, v14
	v_div_fixup_f32 v4, v4, v5, v3
	v_fmac_f32_e32 v5, v3, v4
	v_div_scale_f32 v3, s[4:5], v5, v5, 1.0
	v_rcp_f32_e32 v8, v3
	s_mov_b32 s4, 0
	s_mov_b32 s5, -1.0
	v_fma_f32 v9, -v3, v8, 1.0
	v_fmac_f32_e32 v8, v9, v8
	v_div_scale_f32 v9, vcc, 1.0, v5, 1.0
	v_mul_f32_e32 v14, v9, v8
	v_fma_f32 v15, -v3, v14, v9
	v_fmac_f32_e32 v14, v15, v8
	v_fma_f32 v3, -v3, v14, v9
	v_div_fmas_f32 v3, v3, v8, v14
	v_div_fixup_f32 v8, v3, v5, 1.0
	v_mul_f32_e32 v5, 0, v4
	v_pk_add_f32 v[4:5], v[4:5], s[4:5]
	s_nop 0
	v_pk_mul_f32 v[8:9], v[4:5], v[8:9] op_sel_hi:[1,0]
.LBB173_326:
	s_or_b64 exec, exec, s[2:3]
	s_or_b64 exec, exec, s[10:11]
	s_and_saveexec_b64 s[2:3], s[0:1]
	s_xor_b64 s[0:1], exec, s[2:3]
	s_cbranch_execnz .LBB173_297
.LBB173_327:
	s_or_b64 exec, exec, s[0:1]
	v_cmp_gt_i32_e32 vcc, s24, v0
	s_and_saveexec_b64 s[0:1], vcc
	s_cbranch_execz .LBB173_298
.LBB173_328:
	v_add_u32_e32 v2, 0x100, v0
	v_add_u32_e32 v0, s6, v0
	v_mov_b32_e32 v1, 0
	v_lshl_add_u64 v[0:1], v[0:1], 3, s[8:9]
	global_store_dwordx2 v[0:1], v[10:11], off
	v_mov_b32_e32 v0, v2
	s_or_b64 exec, exec, s[0:1]
	v_cmp_gt_i32_e32 vcc, s24, v0
	s_and_saveexec_b64 s[0:1], vcc
	s_cbranch_execnz .LBB173_299
.LBB173_329:
	s_or_b64 exec, exec, s[0:1]
	v_cmp_gt_i32_e32 vcc, s24, v0
	s_and_saveexec_b64 s[0:1], vcc
	s_cbranch_execz .LBB173_331
.LBB173_330:
	v_add_u32_e32 v0, s6, v0
	v_mov_b32_e32 v1, 0
	v_lshl_add_u64 v[0:1], v[0:1], 3, s[8:9]
	global_store_dwordx2 v[0:1], v[8:9], off
.LBB173_331:
	s_endpgm
	.section	.rodata,"a",@progbits
	.p2align	6, 0x0
	.amdhsa_kernel _ZN2at6native29vectorized_elementwise_kernelILi2EZZZNS0_17rsqrt_kernel_cudaERNS_18TensorIteratorBaseEENKUlvE_clEvENKUlvE0_clEvEUlN3c107complexIfEEE_St5arrayIPcLm2EEEEviT0_T1_
		.amdhsa_group_segment_fixed_size 0
		.amdhsa_private_segment_fixed_size 0
		.amdhsa_kernarg_size 24
		.amdhsa_user_sgpr_count 2
		.amdhsa_user_sgpr_dispatch_ptr 0
		.amdhsa_user_sgpr_queue_ptr 0
		.amdhsa_user_sgpr_kernarg_segment_ptr 1
		.amdhsa_user_sgpr_dispatch_id 0
		.amdhsa_user_sgpr_kernarg_preload_length 0
		.amdhsa_user_sgpr_kernarg_preload_offset 0
		.amdhsa_user_sgpr_private_segment_size 0
		.amdhsa_uses_dynamic_stack 0
		.amdhsa_enable_private_segment 0
		.amdhsa_system_sgpr_workgroup_id_x 1
		.amdhsa_system_sgpr_workgroup_id_y 0
		.amdhsa_system_sgpr_workgroup_id_z 0
		.amdhsa_system_sgpr_workgroup_info 0
		.amdhsa_system_vgpr_workitem_id 0
		.amdhsa_next_free_vgpr 18
		.amdhsa_next_free_sgpr 28
		.amdhsa_accum_offset 20
		.amdhsa_reserve_vcc 1
		.amdhsa_float_round_mode_32 0
		.amdhsa_float_round_mode_16_64 0
		.amdhsa_float_denorm_mode_32 3
		.amdhsa_float_denorm_mode_16_64 3
		.amdhsa_dx10_clamp 1
		.amdhsa_ieee_mode 1
		.amdhsa_fp16_overflow 0
		.amdhsa_tg_split 0
		.amdhsa_exception_fp_ieee_invalid_op 0
		.amdhsa_exception_fp_denorm_src 0
		.amdhsa_exception_fp_ieee_div_zero 0
		.amdhsa_exception_fp_ieee_overflow 0
		.amdhsa_exception_fp_ieee_underflow 0
		.amdhsa_exception_fp_ieee_inexact 0
		.amdhsa_exception_int_div_zero 0
	.end_amdhsa_kernel
	.section	.text._ZN2at6native29vectorized_elementwise_kernelILi2EZZZNS0_17rsqrt_kernel_cudaERNS_18TensorIteratorBaseEENKUlvE_clEvENKUlvE0_clEvEUlN3c107complexIfEEE_St5arrayIPcLm2EEEEviT0_T1_,"axG",@progbits,_ZN2at6native29vectorized_elementwise_kernelILi2EZZZNS0_17rsqrt_kernel_cudaERNS_18TensorIteratorBaseEENKUlvE_clEvENKUlvE0_clEvEUlN3c107complexIfEEE_St5arrayIPcLm2EEEEviT0_T1_,comdat
.Lfunc_end173:
	.size	_ZN2at6native29vectorized_elementwise_kernelILi2EZZZNS0_17rsqrt_kernel_cudaERNS_18TensorIteratorBaseEENKUlvE_clEvENKUlvE0_clEvEUlN3c107complexIfEEE_St5arrayIPcLm2EEEEviT0_T1_, .Lfunc_end173-_ZN2at6native29vectorized_elementwise_kernelILi2EZZZNS0_17rsqrt_kernel_cudaERNS_18TensorIteratorBaseEENKUlvE_clEvENKUlvE0_clEvEUlN3c107complexIfEEE_St5arrayIPcLm2EEEEviT0_T1_
                                        ; -- End function
	.set _ZN2at6native29vectorized_elementwise_kernelILi2EZZZNS0_17rsqrt_kernel_cudaERNS_18TensorIteratorBaseEENKUlvE_clEvENKUlvE0_clEvEUlN3c107complexIfEEE_St5arrayIPcLm2EEEEviT0_T1_.num_vgpr, 18
	.set _ZN2at6native29vectorized_elementwise_kernelILi2EZZZNS0_17rsqrt_kernel_cudaERNS_18TensorIteratorBaseEENKUlvE_clEvENKUlvE0_clEvEUlN3c107complexIfEEE_St5arrayIPcLm2EEEEviT0_T1_.num_agpr, 0
	.set _ZN2at6native29vectorized_elementwise_kernelILi2EZZZNS0_17rsqrt_kernel_cudaERNS_18TensorIteratorBaseEENKUlvE_clEvENKUlvE0_clEvEUlN3c107complexIfEEE_St5arrayIPcLm2EEEEviT0_T1_.numbered_sgpr, 28
	.set _ZN2at6native29vectorized_elementwise_kernelILi2EZZZNS0_17rsqrt_kernel_cudaERNS_18TensorIteratorBaseEENKUlvE_clEvENKUlvE0_clEvEUlN3c107complexIfEEE_St5arrayIPcLm2EEEEviT0_T1_.num_named_barrier, 0
	.set _ZN2at6native29vectorized_elementwise_kernelILi2EZZZNS0_17rsqrt_kernel_cudaERNS_18TensorIteratorBaseEENKUlvE_clEvENKUlvE0_clEvEUlN3c107complexIfEEE_St5arrayIPcLm2EEEEviT0_T1_.private_seg_size, 0
	.set _ZN2at6native29vectorized_elementwise_kernelILi2EZZZNS0_17rsqrt_kernel_cudaERNS_18TensorIteratorBaseEENKUlvE_clEvENKUlvE0_clEvEUlN3c107complexIfEEE_St5arrayIPcLm2EEEEviT0_T1_.uses_vcc, 1
	.set _ZN2at6native29vectorized_elementwise_kernelILi2EZZZNS0_17rsqrt_kernel_cudaERNS_18TensorIteratorBaseEENKUlvE_clEvENKUlvE0_clEvEUlN3c107complexIfEEE_St5arrayIPcLm2EEEEviT0_T1_.uses_flat_scratch, 0
	.set _ZN2at6native29vectorized_elementwise_kernelILi2EZZZNS0_17rsqrt_kernel_cudaERNS_18TensorIteratorBaseEENKUlvE_clEvENKUlvE0_clEvEUlN3c107complexIfEEE_St5arrayIPcLm2EEEEviT0_T1_.has_dyn_sized_stack, 0
	.set _ZN2at6native29vectorized_elementwise_kernelILi2EZZZNS0_17rsqrt_kernel_cudaERNS_18TensorIteratorBaseEENKUlvE_clEvENKUlvE0_clEvEUlN3c107complexIfEEE_St5arrayIPcLm2EEEEviT0_T1_.has_recursion, 0
	.set _ZN2at6native29vectorized_elementwise_kernelILi2EZZZNS0_17rsqrt_kernel_cudaERNS_18TensorIteratorBaseEENKUlvE_clEvENKUlvE0_clEvEUlN3c107complexIfEEE_St5arrayIPcLm2EEEEviT0_T1_.has_indirect_call, 0
	.section	.AMDGPU.csdata,"",@progbits
; Kernel info:
; codeLenInByte = 14128
; TotalNumSgprs: 34
; NumVgprs: 18
; NumAgprs: 0
; TotalNumVgprs: 18
; ScratchSize: 0
; MemoryBound: 0
; FloatMode: 240
; IeeeMode: 1
; LDSByteSize: 0 bytes/workgroup (compile time only)
; SGPRBlocks: 4
; VGPRBlocks: 2
; NumSGPRsForWavesPerEU: 34
; NumVGPRsForWavesPerEU: 18
; AccumOffset: 20
; Occupancy: 8
; WaveLimiterHint : 1
; COMPUTE_PGM_RSRC2:SCRATCH_EN: 0
; COMPUTE_PGM_RSRC2:USER_SGPR: 2
; COMPUTE_PGM_RSRC2:TRAP_HANDLER: 0
; COMPUTE_PGM_RSRC2:TGID_X_EN: 1
; COMPUTE_PGM_RSRC2:TGID_Y_EN: 0
; COMPUTE_PGM_RSRC2:TGID_Z_EN: 0
; COMPUTE_PGM_RSRC2:TIDIG_COMP_CNT: 0
; COMPUTE_PGM_RSRC3_GFX90A:ACCUM_OFFSET: 4
; COMPUTE_PGM_RSRC3_GFX90A:TG_SPLIT: 0
	.section	.text._ZN2at6native27unrolled_elementwise_kernelIZZZNS0_17rsqrt_kernel_cudaERNS_18TensorIteratorBaseEENKUlvE_clEvENKUlvE0_clEvEUlN3c107complexIfEEE_St5arrayIPcLm2EELi4E23TrivialOffsetCalculatorILi1EjESE_NS0_6memory15LoadWithoutCastENSF_16StoreWithoutCastEEEviT_T0_T2_T3_T4_T5_,"axG",@progbits,_ZN2at6native27unrolled_elementwise_kernelIZZZNS0_17rsqrt_kernel_cudaERNS_18TensorIteratorBaseEENKUlvE_clEvENKUlvE0_clEvEUlN3c107complexIfEEE_St5arrayIPcLm2EELi4E23TrivialOffsetCalculatorILi1EjESE_NS0_6memory15LoadWithoutCastENSF_16StoreWithoutCastEEEviT_T0_T2_T3_T4_T5_,comdat
	.globl	_ZN2at6native27unrolled_elementwise_kernelIZZZNS0_17rsqrt_kernel_cudaERNS_18TensorIteratorBaseEENKUlvE_clEvENKUlvE0_clEvEUlN3c107complexIfEEE_St5arrayIPcLm2EELi4E23TrivialOffsetCalculatorILi1EjESE_NS0_6memory15LoadWithoutCastENSF_16StoreWithoutCastEEEviT_T0_T2_T3_T4_T5_ ; -- Begin function _ZN2at6native27unrolled_elementwise_kernelIZZZNS0_17rsqrt_kernel_cudaERNS_18TensorIteratorBaseEENKUlvE_clEvENKUlvE0_clEvEUlN3c107complexIfEEE_St5arrayIPcLm2EELi4E23TrivialOffsetCalculatorILi1EjESE_NS0_6memory15LoadWithoutCastENSF_16StoreWithoutCastEEEviT_T0_T2_T3_T4_T5_
	.p2align	8
	.type	_ZN2at6native27unrolled_elementwise_kernelIZZZNS0_17rsqrt_kernel_cudaERNS_18TensorIteratorBaseEENKUlvE_clEvENKUlvE0_clEvEUlN3c107complexIfEEE_St5arrayIPcLm2EELi4E23TrivialOffsetCalculatorILi1EjESE_NS0_6memory15LoadWithoutCastENSF_16StoreWithoutCastEEEviT_T0_T2_T3_T4_T5_,@function
_ZN2at6native27unrolled_elementwise_kernelIZZZNS0_17rsqrt_kernel_cudaERNS_18TensorIteratorBaseEENKUlvE_clEvENKUlvE0_clEvEUlN3c107complexIfEEE_St5arrayIPcLm2EELi4E23TrivialOffsetCalculatorILi1EjESE_NS0_6memory15LoadWithoutCastENSF_16StoreWithoutCastEEEviT_T0_T2_T3_T4_T5_: ; @_ZN2at6native27unrolled_elementwise_kernelIZZZNS0_17rsqrt_kernel_cudaERNS_18TensorIteratorBaseEENKUlvE_clEvENKUlvE0_clEvEUlN3c107complexIfEEE_St5arrayIPcLm2EELi4E23TrivialOffsetCalculatorILi1EjESE_NS0_6memory15LoadWithoutCastENSF_16StoreWithoutCastEEEviT_T0_T2_T3_T4_T5_
; %bb.0:
	s_load_dword s3, s[0:1], 0x0
	s_load_dwordx4 s[8:11], s[0:1], 0x8
	s_lshl_b32 s22, s2, 10
	v_mov_b32_e32 v12, 0
	v_mov_b32_e32 v13, v12
	s_waitcnt lgkmcnt(0)
	s_sub_i32 s23, s3, s22
	v_cmp_gt_i32_e64 s[0:1], s23, v0
	v_or_b32_e32 v2, s22, v0
	v_mov_b32_e32 v1, v0
	v_mov_b64_e32 v[10:11], v[12:13]
	s_and_saveexec_b64 s[2:3], s[0:1]
	s_cbranch_execz .LBB174_2
; %bb.1:
	v_mov_b32_e32 v3, v12
	v_lshl_add_u64 v[4:5], v[2:3], 3, s[10:11]
	global_load_dwordx2 v[10:11], v[4:5], off
	v_or_b32_e32 v1, 0x100, v0
.LBB174_2:
	s_or_b64 exec, exec, s[2:3]
	v_cmp_gt_i32_e32 vcc, s23, v1
	s_and_saveexec_b64 s[2:3], vcc
	s_cbranch_execz .LBB174_4
; %bb.3:
	v_add_u32_e32 v4, s22, v1
	v_mov_b32_e32 v5, 0
	v_lshl_add_u64 v[4:5], v[4:5], 3, s[10:11]
	global_load_dwordx2 v[12:13], v[4:5], off
	v_add_u32_e32 v1, 0x100, v1
.LBB174_4:
	s_or_b64 exec, exec, s[2:3]
	v_mov_b32_e32 v4, 0
	v_mov_b32_e32 v5, v4
	v_cmp_gt_i32_e32 vcc, s23, v1
	v_mov_b64_e32 v[8:9], v[4:5]
	s_and_saveexec_b64 s[2:3], vcc
	s_cbranch_execz .LBB174_6
; %bb.5:
	v_add_u32_e32 v6, s22, v1
	v_mov_b32_e32 v7, v4
	v_lshl_add_u64 v[6:7], v[6:7], 3, s[10:11]
	global_load_dwordx2 v[8:9], v[6:7], off
	v_add_u32_e32 v1, 0x100, v1
.LBB174_6:
	s_or_b64 exec, exec, s[2:3]
	v_cmp_gt_i32_e32 vcc, s23, v1
	s_and_saveexec_b64 s[2:3], vcc
	s_cbranch_execz .LBB174_8
; %bb.7:
	v_add_u32_e32 v4, s22, v1
	v_mov_b32_e32 v5, 0
	v_lshl_add_u64 v[4:5], v[4:5], 3, s[10:11]
	global_load_dwordx2 v[4:5], v[4:5], off
.LBB174_8:
	s_or_b64 exec, exec, s[2:3]
	v_mov_b32_e32 v7, 0
	v_mov_b32_e32 v6, 0
	s_and_saveexec_b64 s[6:7], s[0:1]
	s_cbranch_execz .LBB174_48
; %bb.9:
	s_waitcnt vmcnt(0)
	v_cmp_neq_f32_e32 vcc, 0, v10
	v_cmp_neq_f32_e64 s[2:3], 0, v11
	v_mov_b32_e32 v1, 0
	s_or_b64 s[2:3], vcc, s[2:3]
	s_and_saveexec_b64 s[10:11], s[2:3]
	s_cbranch_execz .LBB174_39
; %bb.10:
	v_mov_b32_e32 v1, 0x7f800000
	v_cmp_neq_f32_e64 s[2:3], |v11|, v1
	s_and_saveexec_b64 s[12:13], s[2:3]
	s_cbranch_execz .LBB174_38
; %bb.11:
	v_cmp_o_f32_e32 vcc, v10, v10
                                        ; implicit-def: $vgpr1
	s_and_saveexec_b64 s[2:3], vcc
	s_xor_b64 s[14:15], exec, s[2:3]
	s_cbranch_execz .LBB174_35
; %bb.12:
	s_mov_b32 s2, 0x7f800000
	v_cmp_neq_f32_e64 s[2:3], |v10|, s2
                                        ; implicit-def: $vgpr1
	s_and_saveexec_b64 s[4:5], s[2:3]
	s_xor_b64 s[16:17], exec, s[4:5]
	s_cbranch_execz .LBB174_28
; %bb.13:
	v_max_f32_e64 v1, |v10|, |v10|
	v_max_f32_e64 v3, |v11|, |v11|
	v_max_f32_e32 v1, v3, v1
	s_mov_b32 s2, 0x7ed413cb
	v_cmp_nle_f32_e64 s[2:3], s2, v1
                                        ; implicit-def: $sgpr18_sgpr19
	s_and_saveexec_b64 s[4:5], s[2:3]
	s_xor_b64 s[4:5], exec, s[4:5]
	s_cbranch_execz .LBB174_17
; %bb.14:
	s_mov_b32 s20, 0x1000000
	v_cmp_le_f32_e64 s[18:19], |v10|, s20
	v_cmp_le_f32_e64 s[20:21], |v11|, s20
	s_and_b64 s[24:25], s[20:21], s[18:19]
	s_mov_b64 s[18:19], 0
	s_and_saveexec_b64 s[20:21], s[24:25]
; %bb.15:
	s_mov_b64 s[18:19], exec
	v_pk_mul_f32 v[10:11], v[10:11], 4.0 op_sel_hi:[1,0]
; %bb.16:
	s_or_b64 exec, exec, s[20:21]
.LBB174_17:
	s_andn2_saveexec_b64 s[4:5], s[4:5]
; %bb.18:
	s_mov_b32 s20, 0x3e800000
	v_pk_mul_f32 v[10:11], v[10:11], s[20:21] op_sel_hi:[1,0]
	s_andn2_b64 s[18:19], s[18:19], exec
; %bb.19:
	s_or_b64 exec, exec, s[4:5]
	v_max_f32_e64 v1, |v11|, |v11|
	v_max_f32_e64 v3, |v10|, |v10|
	v_max_f32_e32 v1, v3, v1
	v_cvt_f64_f32_e32 v[6:7], v1
	v_frexp_exp_i32_f64_e32 v3, v[6:7]
	v_sub_u32_e32 v6, 0, v3
	v_ldexp_f32 v7, |v10|, v6
	v_ldexp_f32 v6, |v11|, v6
	v_mul_f32_e32 v6, v6, v6
	v_fmac_f32_e32 v6, v7, v7
	v_sqrt_f32_e32 v6, v6
	s_mov_b32 s4, 0x7f800000
	v_cmp_neq_f32_e64 s[4:5], s4, v1
	v_cmp_le_f32_e32 vcc, 0, v10
	v_ldexp_f32 v3, v6, v3
	v_mov_b32_e32 v6, 0x7f800000
	v_cndmask_b32_e64 v1, v6, v3, s[4:5]
                                        ; implicit-def: $vgpr6_vgpr7
	s_and_saveexec_b64 s[4:5], vcc
	s_xor_b64 s[20:21], exec, s[4:5]
	s_cbranch_execz .LBB174_21
; %bb.20:
	v_add_f32_e32 v1, v10, v1
	v_mul_f32_e32 v1, 0.5, v1
	s_mov_b32 s4, 0xf800000
	v_mul_f32_e32 v3, 0x4f800000, v1
	v_cmp_gt_f32_e32 vcc, s4, v1
	s_nop 1
	v_cndmask_b32_e32 v1, v1, v3, vcc
	v_sqrt_f32_e32 v3, v1
	s_nop 0
	v_add_u32_e32 v6, -1, v3
	v_fma_f32 v7, -v6, v3, v1
	v_cmp_ge_f32_e64 s[4:5], 0, v7
	v_add_u32_e32 v7, 1, v3
	s_nop 0
	v_cndmask_b32_e64 v6, v3, v6, s[4:5]
	v_fma_f32 v3, -v7, v3, v1
	v_cmp_lt_f32_e64 s[4:5], 0, v3
	s_nop 1
	v_cndmask_b32_e64 v3, v6, v7, s[4:5]
	v_mul_f32_e32 v6, 0x37800000, v3
	v_cndmask_b32_e32 v3, v3, v6, vcc
	v_mov_b32_e32 v6, 0x260
	v_cmp_class_f32_e32 vcc, v1, v6
	s_nop 1
	v_cndmask_b32_e32 v6, v3, v1, vcc
	v_add_f32_e32 v1, v6, v6
	v_div_scale_f32 v3, s[4:5], v1, v1, v11
	v_rcp_f32_e32 v7, v3
	s_nop 0
	v_fma_f32 v10, -v3, v7, 1.0
	v_fmac_f32_e32 v7, v10, v7
	v_div_scale_f32 v10, vcc, v11, v1, v11
	v_mul_f32_e32 v14, v10, v7
	v_fma_f32 v15, -v3, v14, v10
	v_fmac_f32_e32 v14, v15, v7
	v_fma_f32 v3, -v3, v14, v10
	v_div_fmas_f32 v3, v3, v7, v14
	v_div_fixup_f32 v7, v3, v1, v11
                                        ; implicit-def: $vgpr1
                                        ; implicit-def: $vgpr10_vgpr11
	s_andn2_saveexec_b64 s[20:21], s[20:21]
	s_cbranch_execz .LBB174_23
	s_branch .LBB174_22
.LBB174_21:
	s_andn2_saveexec_b64 s[20:21], s[20:21]
	s_cbranch_execz .LBB174_23
.LBB174_22:
	v_sub_f32_e32 v1, v1, v10
	v_mul_f32_e32 v1, 0.5, v1
	s_mov_b32 s4, 0xf800000
	v_mul_f32_e32 v3, 0x4f800000, v1
	v_cmp_gt_f32_e32 vcc, s4, v1
	s_nop 1
	v_cndmask_b32_e32 v1, v1, v3, vcc
	v_sqrt_f32_e32 v3, v1
	s_nop 0
	v_add_u32_e32 v6, -1, v3
	v_fma_f32 v7, -v6, v3, v1
	v_cmp_ge_f32_e64 s[4:5], 0, v7
	v_add_u32_e32 v7, 1, v3
	s_nop 0
	v_cndmask_b32_e64 v6, v3, v6, s[4:5]
	v_fma_f32 v3, -v7, v3, v1
	v_cmp_lt_f32_e64 s[4:5], 0, v3
	s_nop 1
	v_cndmask_b32_e64 v3, v6, v7, s[4:5]
	v_mul_f32_e32 v6, 0x37800000, v3
	v_cndmask_b32_e32 v3, v3, v6, vcc
	v_mov_b32_e32 v6, 0x260
	v_cmp_class_f32_e32 vcc, v1, v6
	v_and_b32_e32 v6, 0x7fffffff, v11
	s_nop 0
	v_cndmask_b32_e32 v1, v3, v1, vcc
	v_add_f32_e32 v3, v1, v1
	v_div_scale_f32 v7, s[4:5], v3, v3, v6
	v_rcp_f32_e32 v10, v7
	v_div_scale_f32 v6, vcc, v6, v3, v6
	s_brev_b32 s4, -2
	v_fma_f32 v14, -v7, v10, 1.0
	v_fmac_f32_e32 v10, v14, v10
	v_mul_f32_e32 v14, v6, v10
	v_fma_f32 v15, -v7, v14, v6
	v_fmac_f32_e32 v14, v15, v10
	v_fma_f32 v6, -v7, v14, v6
	v_div_fmas_f32 v6, v6, v10, v14
	v_div_fixup_f32 v6, v6, v3, |v11|
	v_bfi_b32 v7, s4, v1, v11
.LBB174_23:
	s_or_b64 exec, exec, s[20:21]
                                        ; implicit-def: $vgpr11
                                        ; implicit-def: $vgpr1
	s_and_saveexec_b64 s[4:5], s[2:3]
	s_xor_b64 s[2:3], exec, s[4:5]
	s_cbranch_execz .LBB174_25
; %bb.24:
	v_pk_mul_f32 v[10:11], v[6:7], 0.5 op_sel_hi:[1,0]
	s_nop 0
	v_cndmask_b32_e64 v1, v6, v10, s[18:19]
	v_cndmask_b32_e64 v11, v7, v11, s[18:19]
                                        ; implicit-def: $vgpr6_vgpr7
	s_andn2_saveexec_b64 s[2:3], s[2:3]
	s_cbranch_execnz .LBB174_26
	s_branch .LBB174_27
.LBB174_25:
	s_andn2_saveexec_b64 s[2:3], s[2:3]
.LBB174_26:
	v_pk_add_f32 v[10:11], v[6:7], v[6:7]
	s_nop 0
	v_mov_b32_e32 v1, v10
.LBB174_27:
	s_or_b64 exec, exec, s[2:3]
.LBB174_28:
	s_andn2_saveexec_b64 s[2:3], s[16:17]
	s_cbranch_execz .LBB174_34
; %bb.29:
	v_sub_f32_e32 v3, v11, v11
	v_cmp_lt_i32_e32 vcc, -1, v10
	s_brev_b32 s16, -2
	v_and_b32_e32 v1, 0x7fffffff, v3
	s_and_saveexec_b64 s[4:5], vcc
	s_xor_b64 s[4:5], exec, s[4:5]
; %bb.30:
	v_bfi_b32 v11, s16, v3, v11
	v_mov_b32_e32 v1, v10
; %bb.31:
	s_andn2_saveexec_b64 s[4:5], s[4:5]
; %bb.32:
	v_bfi_b32 v11, s16, v10, v11
; %bb.33:
	s_or_b64 exec, exec, s[4:5]
.LBB174_34:
	s_or_b64 exec, exec, s[2:3]
.LBB174_35:
	s_andn2_saveexec_b64 s[2:3], s[14:15]
	s_cbranch_execz .LBB174_37
; %bb.36:
	v_sub_f32_e32 v1, v11, v11
	v_div_scale_f32 v3, vcc, v1, v1, v1
	v_rcp_f32_e32 v6, v3
	s_nop 0
	v_fma_f32 v7, -v3, v6, 1.0
	v_fmac_f32_e32 v6, v7, v6
	v_mul_f32_e32 v7, v3, v6
	v_fma_f32 v11, -v3, v7, v3
	v_fmac_f32_e32 v7, v11, v6
	v_fma_f32 v3, -v3, v7, v3
	v_div_fmas_f32 v3, v3, v6, v7
	v_div_fixup_f32 v11, v3, v1, v1
	v_mov_b32_e32 v1, v10
.LBB174_37:
	s_or_b64 exec, exec, s[2:3]
.LBB174_38:
	s_or_b64 exec, exec, s[12:13]
.LBB174_39:
	s_or_b64 exec, exec, s[10:11]
	v_cmp_gt_f32_e32 vcc, 0, v11
                                        ; implicit-def: $vgpr6_vgpr7
	s_nop 1
	v_cndmask_b32_e64 v10, v11, -v11, vcc
	v_cmp_gt_f32_e32 vcc, 0, v1
	s_nop 1
	v_cndmask_b32_e64 v3, v1, -v1, vcc
	v_cmp_ge_f32_e32 vcc, v3, v10
	s_and_saveexec_b64 s[2:3], vcc
	s_xor_b64 s[4:5], exec, s[2:3]
	s_cbranch_execz .LBB174_45
; %bb.40:
	v_cmp_neq_f32_e32 vcc, 0, v1
	v_cmp_neq_f32_e64 s[2:3], 0, v11
	s_or_b64 s[2:3], vcc, s[2:3]
                                        ; implicit-def: $vgpr6_vgpr7
	s_and_saveexec_b64 s[10:11], s[2:3]
	s_xor_b64 s[2:3], exec, s[10:11]
	s_cbranch_execz .LBB174_42
; %bb.41:
	v_div_scale_f32 v3, s[10:11], v1, v1, v11
	v_rcp_f32_e32 v6, v3
	v_div_scale_f32 v7, vcc, v11, v1, v11
	v_fma_f32 v10, -v3, v6, 1.0
	v_fmac_f32_e32 v6, v10, v6
	v_mul_f32_e32 v10, v7, v6
	v_fma_f32 v14, -v3, v10, v7
	v_fmac_f32_e32 v10, v14, v6
	v_fma_f32 v3, -v3, v10, v7
	v_div_fmas_f32 v3, v3, v6, v10
	v_div_fixup_f32 v3, v3, v1, v11
	v_fmac_f32_e32 v1, v11, v3
	v_div_scale_f32 v6, s[10:11], v1, v1, 1.0
	v_rcp_f32_e32 v7, v6
	s_nop 0
	v_fma_f32 v10, -v6, v7, 1.0
	v_fmac_f32_e32 v7, v10, v7
	v_div_scale_f32 v10, vcc, 1.0, v1, 1.0
	v_mul_f32_e32 v11, v10, v7
	v_fma_f32 v14, -v6, v11, v10
	v_fmac_f32_e32 v11, v14, v7
	v_fma_f32 v6, -v6, v11, v10
	v_div_fmas_f32 v6, v6, v7, v11
	v_div_fixup_f32 v6, v6, v1, 1.0
	v_mul_f32_e32 v1, 0, v3
	v_add_f32_e32 v10, 1.0, v1
	v_sub_f32_e32 v11, 0, v3
	v_pk_mul_f32 v[6:7], v[10:11], v[6:7] op_sel_hi:[1,0]
                                        ; implicit-def: $vgpr10
                                        ; implicit-def: $vgpr3
.LBB174_42:
	s_andn2_saveexec_b64 s[2:3], s[2:3]
	s_cbranch_execz .LBB174_44
; %bb.43:
	v_div_scale_f32 v1, s[10:11], v10, v10, 0
	v_rcp_f32_e32 v6, v1
	v_div_scale_f32 v7, vcc, 0, v10, 0
	v_fma_f32 v11, -v1, v6, 1.0
	v_fmac_f32_e32 v6, v11, v6
	v_mul_f32_e32 v11, v7, v6
	v_fma_f32 v14, -v1, v11, v7
	v_fmac_f32_e32 v11, v14, v6
	v_div_scale_f32 v14, s[10:11], v3, v3, 1.0
	v_rcp_f32_e32 v15, v14
	v_fma_f32 v1, -v1, v11, v7
	v_div_fmas_f32 v1, v1, v6, v11
	v_div_fixup_f32 v7, v1, v10, 0
	v_fma_f32 v1, -v14, v15, 1.0
	v_fmac_f32_e32 v15, v1, v15
	v_div_scale_f32 v1, vcc, 1.0, v3, 1.0
	v_mul_f32_e32 v6, v1, v15
	v_fma_f32 v10, -v14, v6, v1
	v_fmac_f32_e32 v6, v10, v15
	v_fma_f32 v1, -v14, v6, v1
	v_div_fmas_f32 v1, v1, v15, v6
	v_div_fixup_f32 v6, v1, v3, 1.0
.LBB174_44:
	s_or_b64 exec, exec, s[2:3]
                                        ; implicit-def: $vgpr11
                                        ; implicit-def: $vgpr1
.LBB174_45:
	s_andn2_saveexec_b64 s[2:3], s[4:5]
	s_cbranch_execz .LBB174_47
; %bb.46:
	v_div_scale_f32 v3, s[4:5], v11, v11, v1
	v_rcp_f32_e32 v6, v3
	v_div_scale_f32 v7, vcc, v1, v11, v1
	v_fma_f32 v10, -v3, v6, 1.0
	v_fmac_f32_e32 v6, v10, v6
	v_mul_f32_e32 v10, v7, v6
	v_fma_f32 v14, -v3, v10, v7
	v_fmac_f32_e32 v10, v14, v6
	v_fma_f32 v3, -v3, v10, v7
	v_div_fmas_f32 v3, v3, v6, v10
	v_div_fixup_f32 v6, v3, v11, v1
	v_fmac_f32_e32 v11, v1, v6
	v_div_scale_f32 v1, s[4:5], v11, v11, 1.0
	v_rcp_f32_e32 v3, v1
	s_mov_b32 s4, 0
	s_mov_b32 s5, -1.0
	v_fma_f32 v7, -v1, v3, 1.0
	v_fmac_f32_e32 v3, v7, v3
	v_div_scale_f32 v7, vcc, 1.0, v11, 1.0
	v_mul_f32_e32 v10, v7, v3
	v_fma_f32 v14, -v1, v10, v7
	v_fmac_f32_e32 v10, v14, v3
	v_fma_f32 v1, -v1, v10, v7
	v_div_fmas_f32 v1, v1, v3, v10
	v_mul_f32_e32 v7, 0, v6
	v_div_fixup_f32 v10, v1, v11, 1.0
	v_pk_add_f32 v[6:7], v[6:7], s[4:5]
	s_nop 0
	v_pk_mul_f32 v[6:7], v[6:7], v[10:11] op_sel_hi:[1,0]
.LBB174_47:
	s_or_b64 exec, exec, s[2:3]
.LBB174_48:
	s_or_b64 exec, exec, s[6:7]
	v_or_b32_e32 v1, 0x100, v0
	v_cmp_gt_i32_e32 vcc, s23, v1
	s_waitcnt vmcnt(0)
	v_mov_b32_e32 v11, 0
	v_mov_b32_e32 v10, 0
	s_and_saveexec_b64 s[6:7], vcc
	s_cbranch_execz .LBB174_88
; %bb.49:
	v_cmp_neq_f32_e32 vcc, 0, v12
	v_cmp_neq_f32_e64 s[2:3], 0, v13
	v_mov_b32_e32 v3, 0
	s_or_b64 s[2:3], vcc, s[2:3]
	s_and_saveexec_b64 s[10:11], s[2:3]
	s_cbranch_execz .LBB174_79
; %bb.50:
	v_mov_b32_e32 v3, 0x7f800000
	v_cmp_neq_f32_e64 s[2:3], |v13|, v3
	s_and_saveexec_b64 s[12:13], s[2:3]
	s_cbranch_execz .LBB174_78
; %bb.51:
	v_cmp_o_f32_e32 vcc, v12, v12
                                        ; implicit-def: $vgpr3
	s_and_saveexec_b64 s[2:3], vcc
	s_xor_b64 s[14:15], exec, s[2:3]
	s_cbranch_execz .LBB174_75
; %bb.52:
	s_mov_b32 s2, 0x7f800000
	v_cmp_neq_f32_e64 s[2:3], |v12|, s2
                                        ; implicit-def: $vgpr3
	s_and_saveexec_b64 s[4:5], s[2:3]
	s_xor_b64 s[16:17], exec, s[4:5]
	s_cbranch_execz .LBB174_68
; %bb.53:
	v_max_f32_e64 v3, |v12|, |v12|
	v_max_f32_e64 v10, |v13|, |v13|
	v_max_f32_e32 v3, v10, v3
	s_mov_b32 s2, 0x7ed413cb
	v_cmp_nle_f32_e64 s[2:3], s2, v3
                                        ; implicit-def: $sgpr18_sgpr19
	s_and_saveexec_b64 s[4:5], s[2:3]
	s_xor_b64 s[4:5], exec, s[4:5]
	s_cbranch_execz .LBB174_57
; %bb.54:
	s_mov_b32 s20, 0x1000000
	v_cmp_le_f32_e64 s[18:19], |v12|, s20
	v_cmp_le_f32_e64 s[20:21], |v13|, s20
	s_and_b64 s[24:25], s[20:21], s[18:19]
	s_mov_b64 s[18:19], 0
	s_and_saveexec_b64 s[20:21], s[24:25]
; %bb.55:
	s_mov_b64 s[18:19], exec
	v_pk_mul_f32 v[12:13], v[12:13], 4.0 op_sel_hi:[1,0]
; %bb.56:
	s_or_b64 exec, exec, s[20:21]
.LBB174_57:
	s_andn2_saveexec_b64 s[4:5], s[4:5]
; %bb.58:
	s_mov_b32 s20, 0x3e800000
	v_pk_mul_f32 v[12:13], v[12:13], s[20:21] op_sel_hi:[1,0]
	s_andn2_b64 s[18:19], s[18:19], exec
; %bb.59:
	s_or_b64 exec, exec, s[4:5]
	v_max_f32_e64 v3, |v13|, |v13|
	v_max_f32_e64 v10, |v12|, |v12|
	v_max_f32_e32 v3, v10, v3
	v_cvt_f64_f32_e32 v[10:11], v3
	v_frexp_exp_i32_f64_e32 v10, v[10:11]
	v_sub_u32_e32 v11, 0, v10
	v_ldexp_f32 v14, |v12|, v11
	v_ldexp_f32 v11, |v13|, v11
	v_mul_f32_e32 v11, v11, v11
	v_fmac_f32_e32 v11, v14, v14
	v_sqrt_f32_e32 v11, v11
	s_mov_b32 s4, 0x7f800000
	v_cmp_neq_f32_e64 s[4:5], s4, v3
	v_cmp_le_f32_e32 vcc, 0, v12
	v_ldexp_f32 v10, v11, v10
	v_mov_b32_e32 v11, 0x7f800000
	v_cndmask_b32_e64 v3, v11, v10, s[4:5]
                                        ; implicit-def: $vgpr10_vgpr11
	s_and_saveexec_b64 s[4:5], vcc
	s_xor_b64 s[20:21], exec, s[4:5]
	s_cbranch_execz .LBB174_61
; %bb.60:
	v_add_f32_e32 v3, v12, v3
	v_mul_f32_e32 v3, 0.5, v3
	s_mov_b32 s4, 0xf800000
	v_mul_f32_e32 v10, 0x4f800000, v3
	v_cmp_gt_f32_e32 vcc, s4, v3
	s_nop 1
	v_cndmask_b32_e32 v3, v3, v10, vcc
	v_sqrt_f32_e32 v10, v3
	s_nop 0
	v_add_u32_e32 v11, -1, v10
	v_fma_f32 v12, -v11, v10, v3
	v_cmp_ge_f32_e64 s[4:5], 0, v12
	v_add_u32_e32 v12, 1, v10
	s_nop 0
	v_cndmask_b32_e64 v11, v10, v11, s[4:5]
	v_fma_f32 v10, -v12, v10, v3
	v_cmp_lt_f32_e64 s[4:5], 0, v10
	s_nop 1
	v_cndmask_b32_e64 v10, v11, v12, s[4:5]
	v_mul_f32_e32 v11, 0x37800000, v10
	v_cndmask_b32_e32 v10, v10, v11, vcc
	v_mov_b32_e32 v11, 0x260
	v_cmp_class_f32_e32 vcc, v3, v11
	s_nop 1
	v_cndmask_b32_e32 v10, v10, v3, vcc
	v_add_f32_e32 v3, v10, v10
	v_div_scale_f32 v11, s[4:5], v3, v3, v13
	v_rcp_f32_e32 v12, v11
	s_nop 0
	v_fma_f32 v14, -v11, v12, 1.0
	v_fmac_f32_e32 v12, v14, v12
	v_div_scale_f32 v14, vcc, v13, v3, v13
	v_mul_f32_e32 v15, v14, v12
	v_fma_f32 v16, -v11, v15, v14
	v_fmac_f32_e32 v15, v16, v12
	v_fma_f32 v11, -v11, v15, v14
	v_div_fmas_f32 v11, v11, v12, v15
	v_div_fixup_f32 v11, v11, v3, v13
                                        ; implicit-def: $vgpr3
                                        ; implicit-def: $vgpr12_vgpr13
	s_andn2_saveexec_b64 s[20:21], s[20:21]
	s_cbranch_execz .LBB174_63
	s_branch .LBB174_62
.LBB174_61:
	s_andn2_saveexec_b64 s[20:21], s[20:21]
	s_cbranch_execz .LBB174_63
.LBB174_62:
	v_sub_f32_e32 v3, v3, v12
	v_mul_f32_e32 v3, 0.5, v3
	s_mov_b32 s4, 0xf800000
	v_mul_f32_e32 v10, 0x4f800000, v3
	v_cmp_gt_f32_e32 vcc, s4, v3
	s_nop 1
	v_cndmask_b32_e32 v3, v3, v10, vcc
	v_sqrt_f32_e32 v10, v3
	s_nop 0
	v_add_u32_e32 v11, -1, v10
	v_fma_f32 v12, -v11, v10, v3
	v_cmp_ge_f32_e64 s[4:5], 0, v12
	v_add_u32_e32 v12, 1, v10
	s_nop 0
	v_cndmask_b32_e64 v11, v10, v11, s[4:5]
	v_fma_f32 v10, -v12, v10, v3
	v_cmp_lt_f32_e64 s[4:5], 0, v10
	s_nop 1
	v_cndmask_b32_e64 v10, v11, v12, s[4:5]
	v_mul_f32_e32 v11, 0x37800000, v10
	v_cndmask_b32_e32 v10, v10, v11, vcc
	v_mov_b32_e32 v11, 0x260
	v_cmp_class_f32_e32 vcc, v3, v11
	v_and_b32_e32 v11, 0x7fffffff, v13
	s_nop 0
	v_cndmask_b32_e32 v3, v10, v3, vcc
	v_add_f32_e32 v10, v3, v3
	v_div_scale_f32 v12, s[4:5], v10, v10, v11
	v_rcp_f32_e32 v14, v12
	v_div_scale_f32 v11, vcc, v11, v10, v11
	s_brev_b32 s4, -2
	v_fma_f32 v15, -v12, v14, 1.0
	v_fmac_f32_e32 v14, v15, v14
	v_mul_f32_e32 v15, v11, v14
	v_fma_f32 v16, -v12, v15, v11
	v_fmac_f32_e32 v15, v16, v14
	v_fma_f32 v11, -v12, v15, v11
	v_div_fmas_f32 v11, v11, v14, v15
	v_div_fixup_f32 v10, v11, v10, |v13|
	v_bfi_b32 v11, s4, v3, v13
.LBB174_63:
	s_or_b64 exec, exec, s[20:21]
                                        ; implicit-def: $vgpr13
                                        ; implicit-def: $vgpr3
	s_and_saveexec_b64 s[4:5], s[2:3]
	s_xor_b64 s[2:3], exec, s[4:5]
	s_cbranch_execz .LBB174_65
; %bb.64:
	v_pk_mul_f32 v[12:13], v[10:11], 0.5 op_sel_hi:[1,0]
	s_nop 0
	v_cndmask_b32_e64 v3, v10, v12, s[18:19]
	v_cndmask_b32_e64 v13, v11, v13, s[18:19]
                                        ; implicit-def: $vgpr10_vgpr11
	s_andn2_saveexec_b64 s[2:3], s[2:3]
	s_cbranch_execnz .LBB174_66
	s_branch .LBB174_67
.LBB174_65:
	s_andn2_saveexec_b64 s[2:3], s[2:3]
.LBB174_66:
	v_pk_add_f32 v[12:13], v[10:11], v[10:11]
	s_nop 0
	v_mov_b32_e32 v3, v12
.LBB174_67:
	s_or_b64 exec, exec, s[2:3]
.LBB174_68:
	s_andn2_saveexec_b64 s[2:3], s[16:17]
	s_cbranch_execz .LBB174_74
; %bb.69:
	v_sub_f32_e32 v10, v13, v13
	v_cmp_lt_i32_e32 vcc, -1, v12
	s_brev_b32 s16, -2
	v_and_b32_e32 v3, 0x7fffffff, v10
	s_and_saveexec_b64 s[4:5], vcc
	s_xor_b64 s[4:5], exec, s[4:5]
; %bb.70:
	v_bfi_b32 v13, s16, v10, v13
	v_mov_b32_e32 v3, v12
; %bb.71:
	s_andn2_saveexec_b64 s[4:5], s[4:5]
; %bb.72:
	v_bfi_b32 v13, s16, v12, v13
; %bb.73:
	s_or_b64 exec, exec, s[4:5]
.LBB174_74:
	s_or_b64 exec, exec, s[2:3]
.LBB174_75:
	s_andn2_saveexec_b64 s[2:3], s[14:15]
	s_cbranch_execz .LBB174_77
; %bb.76:
	v_sub_f32_e32 v3, v13, v13
	v_div_scale_f32 v10, vcc, v3, v3, v3
	v_rcp_f32_e32 v11, v10
	s_nop 0
	v_fma_f32 v13, -v10, v11, 1.0
	v_fmac_f32_e32 v11, v13, v11
	v_mul_f32_e32 v13, v10, v11
	v_fma_f32 v14, -v10, v13, v10
	v_fmac_f32_e32 v13, v14, v11
	v_fma_f32 v10, -v10, v13, v10
	v_div_fmas_f32 v10, v10, v11, v13
	v_div_fixup_f32 v13, v10, v3, v3
	v_mov_b32_e32 v3, v12
.LBB174_77:
	s_or_b64 exec, exec, s[2:3]
.LBB174_78:
	s_or_b64 exec, exec, s[12:13]
.LBB174_79:
	s_or_b64 exec, exec, s[10:11]
	v_cmp_gt_f32_e32 vcc, 0, v13
                                        ; implicit-def: $vgpr10_vgpr11
	s_nop 1
	v_cndmask_b32_e64 v14, v13, -v13, vcc
	v_cmp_gt_f32_e32 vcc, 0, v3
	s_nop 1
	v_cndmask_b32_e64 v12, v3, -v3, vcc
	v_cmp_ge_f32_e32 vcc, v12, v14
	s_and_saveexec_b64 s[2:3], vcc
	s_xor_b64 s[4:5], exec, s[2:3]
	s_cbranch_execz .LBB174_85
; %bb.80:
	v_cmp_neq_f32_e32 vcc, 0, v3
	v_cmp_neq_f32_e64 s[2:3], 0, v13
	s_or_b64 s[2:3], vcc, s[2:3]
                                        ; implicit-def: $vgpr10_vgpr11
	s_and_saveexec_b64 s[10:11], s[2:3]
	s_xor_b64 s[2:3], exec, s[10:11]
	s_cbranch_execz .LBB174_82
; %bb.81:
	v_div_scale_f32 v10, s[10:11], v3, v3, v13
	v_rcp_f32_e32 v11, v10
	v_div_scale_f32 v12, vcc, v13, v3, v13
	v_fma_f32 v14, -v10, v11, 1.0
	v_fmac_f32_e32 v11, v14, v11
	v_mul_f32_e32 v14, v12, v11
	v_fma_f32 v15, -v10, v14, v12
	v_fmac_f32_e32 v14, v15, v11
	v_fma_f32 v10, -v10, v14, v12
	v_div_fmas_f32 v10, v10, v11, v14
	v_div_fixup_f32 v11, v10, v3, v13
	v_fmac_f32_e32 v3, v13, v11
	v_div_scale_f32 v10, s[10:11], v3, v3, 1.0
	v_rcp_f32_e32 v12, v10
	s_nop 0
	v_fma_f32 v13, -v10, v12, 1.0
	v_fmac_f32_e32 v12, v13, v12
	v_div_scale_f32 v13, vcc, 1.0, v3, 1.0
	v_mul_f32_e32 v14, v13, v12
	v_fma_f32 v15, -v10, v14, v13
	v_fmac_f32_e32 v14, v15, v12
	v_fma_f32 v10, -v10, v14, v13
	v_div_fmas_f32 v10, v10, v12, v14
	v_div_fixup_f32 v10, v10, v3, 1.0
	v_mul_f32_e32 v3, 0, v11
	v_add_f32_e32 v12, 1.0, v3
	v_sub_f32_e32 v13, 0, v11
	v_pk_mul_f32 v[10:11], v[12:13], v[10:11] op_sel_hi:[1,0]
                                        ; implicit-def: $vgpr14
                                        ; implicit-def: $vgpr12
.LBB174_82:
	s_andn2_saveexec_b64 s[2:3], s[2:3]
	s_cbranch_execz .LBB174_84
; %bb.83:
	v_div_scale_f32 v3, s[10:11], v14, v14, 0
	v_rcp_f32_e32 v10, v3
	v_div_scale_f32 v11, vcc, 0, v14, 0
	v_fma_f32 v13, -v3, v10, 1.0
	v_fmac_f32_e32 v10, v13, v10
	v_mul_f32_e32 v13, v11, v10
	v_fma_f32 v15, -v3, v13, v11
	v_fmac_f32_e32 v13, v15, v10
	v_div_scale_f32 v15, s[10:11], v12, v12, 1.0
	v_rcp_f32_e32 v16, v15
	v_fma_f32 v3, -v3, v13, v11
	v_div_fmas_f32 v3, v3, v10, v13
	v_div_fixup_f32 v11, v3, v14, 0
	v_fma_f32 v3, -v15, v16, 1.0
	v_fmac_f32_e32 v16, v3, v16
	v_div_scale_f32 v3, vcc, 1.0, v12, 1.0
	v_mul_f32_e32 v10, v3, v16
	v_fma_f32 v13, -v15, v10, v3
	v_fmac_f32_e32 v10, v13, v16
	v_fma_f32 v3, -v15, v10, v3
	v_div_fmas_f32 v3, v3, v16, v10
	v_div_fixup_f32 v10, v3, v12, 1.0
.LBB174_84:
	s_or_b64 exec, exec, s[2:3]
                                        ; implicit-def: $vgpr13
                                        ; implicit-def: $vgpr3
.LBB174_85:
	s_andn2_saveexec_b64 s[2:3], s[4:5]
	s_cbranch_execz .LBB174_87
; %bb.86:
	v_div_scale_f32 v10, s[4:5], v13, v13, v3
	v_rcp_f32_e32 v11, v10
	v_div_scale_f32 v12, vcc, v3, v13, v3
	v_fma_f32 v14, -v10, v11, 1.0
	v_fmac_f32_e32 v11, v14, v11
	v_mul_f32_e32 v14, v12, v11
	v_fma_f32 v15, -v10, v14, v12
	v_fmac_f32_e32 v14, v15, v11
	v_fma_f32 v10, -v10, v14, v12
	v_div_fmas_f32 v10, v10, v11, v14
	v_div_fixup_f32 v10, v10, v13, v3
	v_fmac_f32_e32 v13, v3, v10
	v_div_scale_f32 v3, s[4:5], v13, v13, 1.0
	v_rcp_f32_e32 v11, v3
	s_mov_b32 s4, 0
	s_mov_b32 s5, -1.0
	v_fma_f32 v12, -v3, v11, 1.0
	v_fmac_f32_e32 v11, v12, v11
	v_div_scale_f32 v12, vcc, 1.0, v13, 1.0
	v_mul_f32_e32 v14, v12, v11
	v_fma_f32 v15, -v3, v14, v12
	v_fmac_f32_e32 v14, v15, v11
	v_fma_f32 v3, -v3, v14, v12
	v_div_fmas_f32 v3, v3, v11, v14
	v_mul_f32_e32 v11, 0, v10
	v_div_fixup_f32 v12, v3, v13, 1.0
	v_pk_add_f32 v[10:11], v[10:11], s[4:5]
	s_nop 0
	v_pk_mul_f32 v[10:11], v[10:11], v[12:13] op_sel_hi:[1,0]
.LBB174_87:
	s_or_b64 exec, exec, s[2:3]
.LBB174_88:
	s_or_b64 exec, exec, s[6:7]
	v_or_b32_e32 v3, 0x200, v0
	v_cmp_gt_i32_e32 vcc, s23, v3
	v_mov_b32_e32 v13, 0
	v_mov_b32_e32 v12, 0
	s_and_saveexec_b64 s[6:7], vcc
	s_cbranch_execz .LBB174_128
; %bb.89:
	v_cmp_neq_f32_e32 vcc, 0, v8
	v_cmp_neq_f32_e64 s[2:3], 0, v9
	v_mov_b32_e32 v3, 0
	s_or_b64 s[2:3], vcc, s[2:3]
	s_and_saveexec_b64 s[10:11], s[2:3]
	s_cbranch_execz .LBB174_119
; %bb.90:
	v_mov_b32_e32 v3, 0x7f800000
	v_cmp_neq_f32_e64 s[2:3], |v9|, v3
	s_and_saveexec_b64 s[12:13], s[2:3]
	s_cbranch_execz .LBB174_118
; %bb.91:
	v_cmp_o_f32_e32 vcc, v8, v8
                                        ; implicit-def: $vgpr3
	s_and_saveexec_b64 s[2:3], vcc
	s_xor_b64 s[14:15], exec, s[2:3]
	s_cbranch_execz .LBB174_115
; %bb.92:
	s_mov_b32 s2, 0x7f800000
	v_cmp_neq_f32_e64 s[2:3], |v8|, s2
                                        ; implicit-def: $vgpr3
	s_and_saveexec_b64 s[4:5], s[2:3]
	s_xor_b64 s[16:17], exec, s[4:5]
	s_cbranch_execz .LBB174_108
; %bb.93:
	v_max_f32_e64 v3, |v8|, |v8|
	v_max_f32_e64 v12, |v9|, |v9|
	v_max_f32_e32 v3, v12, v3
	s_mov_b32 s2, 0x7ed413cb
	v_cmp_nle_f32_e64 s[2:3], s2, v3
                                        ; implicit-def: $sgpr18_sgpr19
	s_and_saveexec_b64 s[4:5], s[2:3]
	s_xor_b64 s[4:5], exec, s[4:5]
	s_cbranch_execz .LBB174_97
; %bb.94:
	s_mov_b32 s20, 0x1000000
	v_cmp_le_f32_e64 s[18:19], |v8|, s20
	v_cmp_le_f32_e64 s[20:21], |v9|, s20
	s_and_b64 s[24:25], s[20:21], s[18:19]
	s_mov_b64 s[18:19], 0
	s_and_saveexec_b64 s[20:21], s[24:25]
; %bb.95:
	s_mov_b64 s[18:19], exec
	v_pk_mul_f32 v[8:9], v[8:9], 4.0 op_sel_hi:[1,0]
; %bb.96:
	s_or_b64 exec, exec, s[20:21]
.LBB174_97:
	s_andn2_saveexec_b64 s[4:5], s[4:5]
; %bb.98:
	s_mov_b32 s20, 0x3e800000
	v_pk_mul_f32 v[8:9], v[8:9], s[20:21] op_sel_hi:[1,0]
	s_andn2_b64 s[18:19], s[18:19], exec
; %bb.99:
	s_or_b64 exec, exec, s[4:5]
	v_max_f32_e64 v3, |v9|, |v9|
	v_max_f32_e64 v12, |v8|, |v8|
	v_max_f32_e32 v3, v12, v3
	v_cvt_f64_f32_e32 v[12:13], v3
	v_frexp_exp_i32_f64_e32 v12, v[12:13]
	v_sub_u32_e32 v13, 0, v12
	v_ldexp_f32 v14, |v8|, v13
	v_ldexp_f32 v13, |v9|, v13
	v_mul_f32_e32 v13, v13, v13
	v_fmac_f32_e32 v13, v14, v14
	v_sqrt_f32_e32 v13, v13
	s_mov_b32 s4, 0x7f800000
	v_cmp_neq_f32_e64 s[4:5], s4, v3
	v_cmp_le_f32_e32 vcc, 0, v8
	v_ldexp_f32 v12, v13, v12
	v_mov_b32_e32 v13, 0x7f800000
	v_cndmask_b32_e64 v3, v13, v12, s[4:5]
                                        ; implicit-def: $vgpr12_vgpr13
	s_and_saveexec_b64 s[4:5], vcc
	s_xor_b64 s[20:21], exec, s[4:5]
	s_cbranch_execz .LBB174_101
; %bb.100:
	v_add_f32_e32 v3, v8, v3
	v_mul_f32_e32 v3, 0.5, v3
	s_mov_b32 s4, 0xf800000
	v_mul_f32_e32 v8, 0x4f800000, v3
	v_cmp_gt_f32_e32 vcc, s4, v3
	s_nop 1
	v_cndmask_b32_e32 v3, v3, v8, vcc
	v_sqrt_f32_e32 v8, v3
	s_nop 0
	v_add_u32_e32 v12, -1, v8
	v_fma_f32 v13, -v12, v8, v3
	v_cmp_ge_f32_e64 s[4:5], 0, v13
	v_add_u32_e32 v13, 1, v8
	s_nop 0
	v_cndmask_b32_e64 v12, v8, v12, s[4:5]
	v_fma_f32 v8, -v13, v8, v3
	v_cmp_lt_f32_e64 s[4:5], 0, v8
	s_nop 1
	v_cndmask_b32_e64 v8, v12, v13, s[4:5]
	v_mul_f32_e32 v12, 0x37800000, v8
	v_cndmask_b32_e32 v8, v8, v12, vcc
	v_mov_b32_e32 v12, 0x260
	v_cmp_class_f32_e32 vcc, v3, v12
	s_nop 1
	v_cndmask_b32_e32 v12, v8, v3, vcc
	v_add_f32_e32 v3, v12, v12
	v_div_scale_f32 v8, s[4:5], v3, v3, v9
	v_rcp_f32_e32 v13, v8
	s_nop 0
	v_fma_f32 v14, -v8, v13, 1.0
	v_fmac_f32_e32 v13, v14, v13
	v_div_scale_f32 v14, vcc, v9, v3, v9
	v_mul_f32_e32 v15, v14, v13
	v_fma_f32 v16, -v8, v15, v14
	v_fmac_f32_e32 v15, v16, v13
	v_fma_f32 v8, -v8, v15, v14
	v_div_fmas_f32 v8, v8, v13, v15
	v_div_fixup_f32 v13, v8, v3, v9
                                        ; implicit-def: $vgpr3
                                        ; implicit-def: $vgpr8_vgpr9
	s_andn2_saveexec_b64 s[20:21], s[20:21]
	s_cbranch_execz .LBB174_103
	s_branch .LBB174_102
.LBB174_101:
	s_andn2_saveexec_b64 s[20:21], s[20:21]
	s_cbranch_execz .LBB174_103
.LBB174_102:
	v_sub_f32_e32 v3, v3, v8
	v_mul_f32_e32 v3, 0.5, v3
	s_mov_b32 s4, 0xf800000
	v_mul_f32_e32 v8, 0x4f800000, v3
	v_cmp_gt_f32_e32 vcc, s4, v3
	s_nop 1
	v_cndmask_b32_e32 v3, v3, v8, vcc
	v_sqrt_f32_e32 v8, v3
	s_nop 0
	v_add_u32_e32 v12, -1, v8
	v_fma_f32 v13, -v12, v8, v3
	v_cmp_ge_f32_e64 s[4:5], 0, v13
	v_add_u32_e32 v13, 1, v8
	s_nop 0
	v_cndmask_b32_e64 v12, v8, v12, s[4:5]
	v_fma_f32 v8, -v13, v8, v3
	v_cmp_lt_f32_e64 s[4:5], 0, v8
	s_nop 1
	v_cndmask_b32_e64 v8, v12, v13, s[4:5]
	v_mul_f32_e32 v12, 0x37800000, v8
	v_cndmask_b32_e32 v8, v8, v12, vcc
	v_mov_b32_e32 v12, 0x260
	v_cmp_class_f32_e32 vcc, v3, v12
	v_and_b32_e32 v12, 0x7fffffff, v9
	s_nop 0
	v_cndmask_b32_e32 v3, v8, v3, vcc
	v_add_f32_e32 v8, v3, v3
	v_div_scale_f32 v13, s[4:5], v8, v8, v12
	v_rcp_f32_e32 v14, v13
	v_div_scale_f32 v12, vcc, v12, v8, v12
	s_brev_b32 s4, -2
	v_fma_f32 v15, -v13, v14, 1.0
	v_fmac_f32_e32 v14, v15, v14
	v_mul_f32_e32 v15, v12, v14
	v_fma_f32 v16, -v13, v15, v12
	v_fmac_f32_e32 v15, v16, v14
	v_fma_f32 v12, -v13, v15, v12
	v_div_fmas_f32 v12, v12, v14, v15
	v_div_fixup_f32 v12, v12, v8, |v9|
	v_bfi_b32 v13, s4, v3, v9
.LBB174_103:
	s_or_b64 exec, exec, s[20:21]
                                        ; implicit-def: $vgpr9
                                        ; implicit-def: $vgpr3
	s_and_saveexec_b64 s[4:5], s[2:3]
	s_xor_b64 s[2:3], exec, s[4:5]
	s_cbranch_execz .LBB174_105
; %bb.104:
	v_pk_mul_f32 v[8:9], v[12:13], 0.5 op_sel_hi:[1,0]
	s_nop 0
	v_cndmask_b32_e64 v3, v12, v8, s[18:19]
	v_cndmask_b32_e64 v9, v13, v9, s[18:19]
                                        ; implicit-def: $vgpr12_vgpr13
	s_andn2_saveexec_b64 s[2:3], s[2:3]
	s_cbranch_execnz .LBB174_106
	s_branch .LBB174_107
.LBB174_105:
	s_andn2_saveexec_b64 s[2:3], s[2:3]
.LBB174_106:
	v_pk_add_f32 v[8:9], v[12:13], v[12:13]
	s_nop 0
	v_mov_b32_e32 v3, v8
.LBB174_107:
	s_or_b64 exec, exec, s[2:3]
.LBB174_108:
	s_andn2_saveexec_b64 s[2:3], s[16:17]
	s_cbranch_execz .LBB174_114
; %bb.109:
	v_sub_f32_e32 v12, v9, v9
	v_cmp_lt_i32_e32 vcc, -1, v8
	s_brev_b32 s16, -2
	v_and_b32_e32 v3, 0x7fffffff, v12
	s_and_saveexec_b64 s[4:5], vcc
	s_xor_b64 s[4:5], exec, s[4:5]
; %bb.110:
	v_bfi_b32 v9, s16, v12, v9
	v_mov_b32_e32 v3, v8
; %bb.111:
	s_andn2_saveexec_b64 s[4:5], s[4:5]
; %bb.112:
	v_bfi_b32 v9, s16, v8, v9
; %bb.113:
	s_or_b64 exec, exec, s[4:5]
.LBB174_114:
	s_or_b64 exec, exec, s[2:3]
.LBB174_115:
	s_andn2_saveexec_b64 s[2:3], s[14:15]
	s_cbranch_execz .LBB174_117
; %bb.116:
	v_sub_f32_e32 v3, v9, v9
	v_div_scale_f32 v9, vcc, v3, v3, v3
	v_rcp_f32_e32 v12, v9
	s_nop 0
	v_fma_f32 v13, -v9, v12, 1.0
	v_fmac_f32_e32 v12, v13, v12
	v_mul_f32_e32 v13, v9, v12
	v_fma_f32 v14, -v9, v13, v9
	v_fmac_f32_e32 v13, v14, v12
	v_fma_f32 v9, -v9, v13, v9
	v_div_fmas_f32 v9, v9, v12, v13
	v_div_fixup_f32 v9, v9, v3, v3
	v_mov_b32_e32 v3, v8
.LBB174_117:
	s_or_b64 exec, exec, s[2:3]
.LBB174_118:
	s_or_b64 exec, exec, s[12:13]
.LBB174_119:
	s_or_b64 exec, exec, s[10:11]
	v_cmp_gt_f32_e32 vcc, 0, v9
                                        ; implicit-def: $vgpr12_vgpr13
	s_nop 1
	v_cndmask_b32_e64 v14, v9, -v9, vcc
	v_cmp_gt_f32_e32 vcc, 0, v3
	s_nop 1
	v_cndmask_b32_e64 v8, v3, -v3, vcc
	v_cmp_ge_f32_e32 vcc, v8, v14
	s_and_saveexec_b64 s[2:3], vcc
	s_xor_b64 s[4:5], exec, s[2:3]
	s_cbranch_execz .LBB174_125
; %bb.120:
	v_cmp_neq_f32_e32 vcc, 0, v3
	v_cmp_neq_f32_e64 s[2:3], 0, v9
	s_or_b64 s[2:3], vcc, s[2:3]
                                        ; implicit-def: $vgpr12_vgpr13
	s_and_saveexec_b64 s[10:11], s[2:3]
	s_xor_b64 s[2:3], exec, s[10:11]
	s_cbranch_execz .LBB174_122
; %bb.121:
	v_div_scale_f32 v8, s[10:11], v3, v3, v9
	v_rcp_f32_e32 v12, v8
	v_div_scale_f32 v13, vcc, v9, v3, v9
	v_fma_f32 v14, -v8, v12, 1.0
	v_fmac_f32_e32 v12, v14, v12
	v_mul_f32_e32 v14, v13, v12
	v_fma_f32 v15, -v8, v14, v13
	v_fmac_f32_e32 v14, v15, v12
	v_fma_f32 v8, -v8, v14, v13
	v_div_fmas_f32 v8, v8, v12, v14
	v_div_fixup_f32 v13, v8, v3, v9
	v_fmac_f32_e32 v3, v9, v13
	v_div_scale_f32 v8, s[10:11], v3, v3, 1.0
	v_rcp_f32_e32 v9, v8
	s_nop 0
	v_fma_f32 v12, -v8, v9, 1.0
	v_fmac_f32_e32 v9, v12, v9
	v_div_scale_f32 v12, vcc, 1.0, v3, 1.0
	v_mul_f32_e32 v14, v12, v9
	v_fma_f32 v15, -v8, v14, v12
	v_fmac_f32_e32 v14, v15, v9
	v_fma_f32 v8, -v8, v14, v12
	v_div_fmas_f32 v8, v8, v9, v14
	v_div_fixup_f32 v8, v8, v3, 1.0
	v_mul_f32_e32 v3, 0, v13
	v_add_f32_e32 v12, 1.0, v3
	v_sub_f32_e32 v13, 0, v13
	v_pk_mul_f32 v[12:13], v[12:13], v[8:9] op_sel_hi:[1,0]
                                        ; implicit-def: $vgpr14
                                        ; implicit-def: $vgpr8
.LBB174_122:
	s_andn2_saveexec_b64 s[2:3], s[2:3]
	s_cbranch_execz .LBB174_124
; %bb.123:
	v_div_scale_f32 v3, s[10:11], v14, v14, 0
	v_rcp_f32_e32 v9, v3
	v_div_scale_f32 v12, vcc, 0, v14, 0
	v_fma_f32 v13, -v3, v9, 1.0
	v_fmac_f32_e32 v9, v13, v9
	v_mul_f32_e32 v13, v12, v9
	v_fma_f32 v15, -v3, v13, v12
	v_fmac_f32_e32 v13, v15, v9
	v_fma_f32 v3, -v3, v13, v12
	v_div_scale_f32 v12, s[10:11], v8, v8, 1.0
	v_rcp_f32_e32 v15, v12
	v_div_fmas_f32 v3, v3, v9, v13
	v_div_fixup_f32 v13, v3, v14, 0
	v_fma_f32 v3, -v12, v15, 1.0
	v_fmac_f32_e32 v15, v3, v15
	v_div_scale_f32 v3, vcc, 1.0, v8, 1.0
	v_mul_f32_e32 v9, v3, v15
	v_fma_f32 v14, -v12, v9, v3
	v_fmac_f32_e32 v9, v14, v15
	v_fma_f32 v3, -v12, v9, v3
	v_div_fmas_f32 v3, v3, v15, v9
	v_div_fixup_f32 v12, v3, v8, 1.0
.LBB174_124:
	s_or_b64 exec, exec, s[2:3]
                                        ; implicit-def: $vgpr9
                                        ; implicit-def: $vgpr3
.LBB174_125:
	s_andn2_saveexec_b64 s[2:3], s[4:5]
	s_cbranch_execz .LBB174_127
; %bb.126:
	v_div_scale_f32 v8, s[4:5], v9, v9, v3
	v_rcp_f32_e32 v12, v8
	v_div_scale_f32 v13, vcc, v3, v9, v3
	v_fma_f32 v14, -v8, v12, 1.0
	v_fmac_f32_e32 v12, v14, v12
	v_mul_f32_e32 v14, v13, v12
	v_fma_f32 v15, -v8, v14, v13
	v_fmac_f32_e32 v14, v15, v12
	v_fma_f32 v8, -v8, v14, v13
	v_div_fmas_f32 v8, v8, v12, v14
	v_div_fixup_f32 v8, v8, v9, v3
	v_fmac_f32_e32 v9, v3, v8
	v_div_scale_f32 v3, s[4:5], v9, v9, 1.0
	v_rcp_f32_e32 v12, v3
	s_mov_b32 s4, 0
	s_mov_b32 s5, -1.0
	v_fma_f32 v13, -v3, v12, 1.0
	v_fmac_f32_e32 v12, v13, v12
	v_div_scale_f32 v13, vcc, 1.0, v9, 1.0
	v_mul_f32_e32 v14, v13, v12
	v_fma_f32 v15, -v3, v14, v13
	v_fmac_f32_e32 v14, v15, v12
	v_fma_f32 v3, -v3, v14, v13
	v_div_fmas_f32 v3, v3, v12, v14
	v_div_fixup_f32 v12, v3, v9, 1.0
	v_mul_f32_e32 v9, 0, v8
	v_pk_add_f32 v[8:9], v[8:9], s[4:5]
	s_nop 0
	v_pk_mul_f32 v[12:13], v[8:9], v[12:13] op_sel_hi:[1,0]
.LBB174_127:
	s_or_b64 exec, exec, s[2:3]
.LBB174_128:
	s_or_b64 exec, exec, s[6:7]
	v_or_b32_e32 v3, 0x300, v0
	v_cmp_gt_i32_e32 vcc, s23, v3
	v_mov_b32_e32 v9, 0
	v_mov_b32_e32 v8, 0
	s_and_saveexec_b64 s[6:7], vcc
	s_cbranch_execz .LBB174_141
; %bb.129:
	v_cmp_neq_f32_e32 vcc, 0, v4
	v_cmp_neq_f32_e64 s[2:3], 0, v5
	v_mov_b32_e32 v3, 0
	s_or_b64 s[2:3], vcc, s[2:3]
	s_and_saveexec_b64 s[10:11], s[2:3]
	s_cbranch_execz .LBB174_164
; %bb.130:
	v_mov_b32_e32 v3, 0x7f800000
	v_cmp_neq_f32_e64 s[2:3], |v5|, v3
	s_and_saveexec_b64 s[12:13], s[2:3]
	s_cbranch_execz .LBB174_163
; %bb.131:
	v_cmp_o_f32_e32 vcc, v4, v4
                                        ; implicit-def: $vgpr3
	s_and_saveexec_b64 s[2:3], vcc
	s_xor_b64 s[14:15], exec, s[2:3]
	s_cbranch_execz .LBB174_160
; %bb.132:
	s_mov_b32 s2, 0x7f800000
	v_cmp_neq_f32_e64 s[2:3], |v4|, s2
                                        ; implicit-def: $vgpr3
	s_and_saveexec_b64 s[4:5], s[2:3]
	s_xor_b64 s[16:17], exec, s[4:5]
	s_cbranch_execz .LBB174_153
; %bb.133:
	v_max_f32_e64 v3, |v4|, |v4|
	v_max_f32_e64 v8, |v5|, |v5|
	v_max_f32_e32 v3, v8, v3
	s_mov_b32 s2, 0x7ed413cb
	v_cmp_nle_f32_e64 s[2:3], s2, v3
                                        ; implicit-def: $sgpr18_sgpr19
	s_and_saveexec_b64 s[4:5], s[2:3]
	s_xor_b64 s[4:5], exec, s[4:5]
	s_cbranch_execz .LBB174_137
; %bb.134:
	s_mov_b32 s20, 0x1000000
	v_cmp_le_f32_e64 s[18:19], |v4|, s20
	v_cmp_le_f32_e64 s[20:21], |v5|, s20
	s_and_b64 s[24:25], s[20:21], s[18:19]
	s_mov_b64 s[18:19], 0
	s_and_saveexec_b64 s[20:21], s[24:25]
; %bb.135:
	s_mov_b64 s[18:19], exec
	v_pk_mul_f32 v[4:5], v[4:5], 4.0 op_sel_hi:[1,0]
; %bb.136:
	s_or_b64 exec, exec, s[20:21]
.LBB174_137:
	s_andn2_saveexec_b64 s[4:5], s[4:5]
; %bb.138:
	s_mov_b32 s20, 0x3e800000
	v_pk_mul_f32 v[4:5], v[4:5], s[20:21] op_sel_hi:[1,0]
	s_andn2_b64 s[18:19], s[18:19], exec
; %bb.139:
	s_or_b64 exec, exec, s[4:5]
	v_max_f32_e64 v3, |v5|, |v5|
	v_max_f32_e64 v8, |v4|, |v4|
	v_max_f32_e32 v3, v8, v3
	v_cvt_f64_f32_e32 v[8:9], v3
	v_frexp_exp_i32_f64_e32 v8, v[8:9]
	v_sub_u32_e32 v9, 0, v8
	v_ldexp_f32 v14, |v4|, v9
	v_ldexp_f32 v9, |v5|, v9
	v_mul_f32_e32 v9, v9, v9
	v_fmac_f32_e32 v9, v14, v14
	v_sqrt_f32_e32 v9, v9
	s_mov_b32 s4, 0x7f800000
	v_cmp_neq_f32_e64 s[4:5], s4, v3
	v_cmp_le_f32_e32 vcc, 0, v4
	v_ldexp_f32 v8, v9, v8
	v_mov_b32_e32 v9, 0x7f800000
	v_cndmask_b32_e64 v3, v9, v8, s[4:5]
                                        ; implicit-def: $vgpr8_vgpr9
	s_and_saveexec_b64 s[4:5], vcc
	s_xor_b64 s[20:21], exec, s[4:5]
	s_cbranch_execz .LBB174_146
; %bb.140:
	v_add_f32_e32 v3, v4, v3
	v_mul_f32_e32 v3, 0.5, v3
	s_mov_b32 s4, 0xf800000
	v_mul_f32_e32 v4, 0x4f800000, v3
	v_cmp_gt_f32_e32 vcc, s4, v3
	s_nop 1
	v_cndmask_b32_e32 v3, v3, v4, vcc
	v_sqrt_f32_e32 v4, v3
	s_nop 0
	v_add_u32_e32 v8, -1, v4
	v_fma_f32 v9, -v8, v4, v3
	v_cmp_ge_f32_e64 s[4:5], 0, v9
	v_add_u32_e32 v9, 1, v4
	s_nop 0
	v_cndmask_b32_e64 v8, v4, v8, s[4:5]
	v_fma_f32 v4, -v9, v4, v3
	v_cmp_lt_f32_e64 s[4:5], 0, v4
	s_nop 1
	v_cndmask_b32_e64 v4, v8, v9, s[4:5]
	v_mul_f32_e32 v8, 0x37800000, v4
	v_cndmask_b32_e32 v4, v4, v8, vcc
	v_mov_b32_e32 v8, 0x260
	v_cmp_class_f32_e32 vcc, v3, v8
	s_nop 1
	v_cndmask_b32_e32 v8, v4, v3, vcc
	v_add_f32_e32 v3, v8, v8
	v_div_scale_f32 v4, s[4:5], v3, v3, v5
	v_rcp_f32_e32 v9, v4
	s_nop 0
	v_fma_f32 v14, -v4, v9, 1.0
	v_fmac_f32_e32 v9, v14, v9
	v_div_scale_f32 v14, vcc, v5, v3, v5
	v_mul_f32_e32 v15, v14, v9
	v_fma_f32 v16, -v4, v15, v14
	v_fmac_f32_e32 v15, v16, v9
	v_fma_f32 v4, -v4, v15, v14
	v_div_fmas_f32 v4, v4, v9, v15
	v_div_fixup_f32 v9, v4, v3, v5
                                        ; implicit-def: $vgpr3
                                        ; implicit-def: $vgpr4_vgpr5
	s_andn2_saveexec_b64 s[20:21], s[20:21]
	s_cbranch_execz .LBB174_148
	s_branch .LBB174_147
.LBB174_141:
	s_or_b64 exec, exec, s[6:7]
	s_and_saveexec_b64 s[2:3], s[0:1]
	s_xor_b64 s[0:1], exec, s[2:3]
	s_cbranch_execz .LBB174_173
.LBB174_142:
	v_mov_b32_e32 v3, 0
	v_lshl_add_u64 v[2:3], v[2:3], 3, s[8:9]
	v_mov_b32_e32 v0, v1
	global_store_dwordx2 v[2:3], v[6:7], off
	s_or_b64 exec, exec, s[0:1]
	v_cmp_gt_i32_e32 vcc, s23, v0
	s_and_saveexec_b64 s[0:1], vcc
	s_cbranch_execnz .LBB174_174
.LBB174_143:
	s_or_b64 exec, exec, s[0:1]
	v_cmp_gt_i32_e32 vcc, s23, v0
	s_and_saveexec_b64 s[0:1], vcc
	s_cbranch_execz .LBB174_175
.LBB174_144:
	v_add_u32_e32 v2, s22, v0
	v_mov_b32_e32 v3, 0
	v_lshl_add_u64 v[2:3], v[2:3], 3, s[8:9]
	v_add_u32_e32 v0, 0x100, v0
	global_store_dwordx2 v[2:3], v[12:13], off
	s_or_b64 exec, exec, s[0:1]
	v_cmp_gt_i32_e32 vcc, s23, v0
	s_and_saveexec_b64 s[0:1], vcc
	s_cbranch_execnz .LBB174_176
.LBB174_145:
	s_endpgm
.LBB174_146:
	s_andn2_saveexec_b64 s[20:21], s[20:21]
	s_cbranch_execz .LBB174_148
.LBB174_147:
	v_sub_f32_e32 v3, v3, v4
	v_mul_f32_e32 v3, 0.5, v3
	s_mov_b32 s4, 0xf800000
	v_mul_f32_e32 v4, 0x4f800000, v3
	v_cmp_gt_f32_e32 vcc, s4, v3
	s_nop 1
	v_cndmask_b32_e32 v3, v3, v4, vcc
	v_sqrt_f32_e32 v4, v3
	s_nop 0
	v_add_u32_e32 v8, -1, v4
	v_fma_f32 v9, -v8, v4, v3
	v_cmp_ge_f32_e64 s[4:5], 0, v9
	v_add_u32_e32 v9, 1, v4
	s_nop 0
	v_cndmask_b32_e64 v8, v4, v8, s[4:5]
	v_fma_f32 v4, -v9, v4, v3
	v_cmp_lt_f32_e64 s[4:5], 0, v4
	s_nop 1
	v_cndmask_b32_e64 v4, v8, v9, s[4:5]
	v_mul_f32_e32 v8, 0x37800000, v4
	v_cndmask_b32_e32 v4, v4, v8, vcc
	v_mov_b32_e32 v8, 0x260
	v_cmp_class_f32_e32 vcc, v3, v8
	v_and_b32_e32 v8, 0x7fffffff, v5
	s_nop 0
	v_cndmask_b32_e32 v3, v4, v3, vcc
	v_add_f32_e32 v4, v3, v3
	v_div_scale_f32 v9, s[4:5], v4, v4, v8
	v_rcp_f32_e32 v14, v9
	v_div_scale_f32 v8, vcc, v8, v4, v8
	s_brev_b32 s4, -2
	v_fma_f32 v15, -v9, v14, 1.0
	v_fmac_f32_e32 v14, v15, v14
	v_mul_f32_e32 v15, v8, v14
	v_fma_f32 v16, -v9, v15, v8
	v_fmac_f32_e32 v15, v16, v14
	v_fma_f32 v8, -v9, v15, v8
	v_div_fmas_f32 v8, v8, v14, v15
	v_div_fixup_f32 v8, v8, v4, |v5|
	v_bfi_b32 v9, s4, v3, v5
.LBB174_148:
	s_or_b64 exec, exec, s[20:21]
                                        ; implicit-def: $vgpr5
                                        ; implicit-def: $vgpr3
	s_and_saveexec_b64 s[4:5], s[2:3]
	s_xor_b64 s[2:3], exec, s[4:5]
	s_cbranch_execz .LBB174_150
; %bb.149:
	v_pk_mul_f32 v[4:5], v[8:9], 0.5 op_sel_hi:[1,0]
	s_nop 0
	v_cndmask_b32_e64 v3, v8, v4, s[18:19]
	v_cndmask_b32_e64 v5, v9, v5, s[18:19]
                                        ; implicit-def: $vgpr8_vgpr9
	s_andn2_saveexec_b64 s[2:3], s[2:3]
	s_cbranch_execnz .LBB174_151
	s_branch .LBB174_152
.LBB174_150:
	s_andn2_saveexec_b64 s[2:3], s[2:3]
.LBB174_151:
	v_pk_add_f32 v[4:5], v[8:9], v[8:9]
	s_nop 0
	v_mov_b32_e32 v3, v4
.LBB174_152:
	s_or_b64 exec, exec, s[2:3]
.LBB174_153:
	s_andn2_saveexec_b64 s[2:3], s[16:17]
	s_cbranch_execz .LBB174_159
; %bb.154:
	v_sub_f32_e32 v8, v5, v5
	v_cmp_lt_i32_e32 vcc, -1, v4
	s_brev_b32 s16, -2
	v_and_b32_e32 v3, 0x7fffffff, v8
	s_and_saveexec_b64 s[4:5], vcc
	s_xor_b64 s[4:5], exec, s[4:5]
; %bb.155:
	v_bfi_b32 v5, s16, v8, v5
	v_mov_b32_e32 v3, v4
; %bb.156:
	s_andn2_saveexec_b64 s[4:5], s[4:5]
; %bb.157:
	v_bfi_b32 v5, s16, v4, v5
; %bb.158:
	s_or_b64 exec, exec, s[4:5]
.LBB174_159:
	s_or_b64 exec, exec, s[2:3]
.LBB174_160:
	s_andn2_saveexec_b64 s[2:3], s[14:15]
	s_cbranch_execz .LBB174_162
; %bb.161:
	v_sub_f32_e32 v3, v5, v5
	v_div_scale_f32 v5, vcc, v3, v3, v3
	v_rcp_f32_e32 v8, v5
	s_nop 0
	v_fma_f32 v9, -v5, v8, 1.0
	v_fmac_f32_e32 v8, v9, v8
	v_mul_f32_e32 v9, v5, v8
	v_fma_f32 v14, -v5, v9, v5
	v_fmac_f32_e32 v9, v14, v8
	v_fma_f32 v5, -v5, v9, v5
	v_div_fmas_f32 v5, v5, v8, v9
	v_div_fixup_f32 v5, v5, v3, v3
	v_mov_b32_e32 v3, v4
.LBB174_162:
	s_or_b64 exec, exec, s[2:3]
.LBB174_163:
	s_or_b64 exec, exec, s[12:13]
.LBB174_164:
	s_or_b64 exec, exec, s[10:11]
	v_cmp_gt_f32_e32 vcc, 0, v5
                                        ; implicit-def: $vgpr8_vgpr9
	s_nop 1
	v_cndmask_b32_e64 v14, v5, -v5, vcc
	v_cmp_gt_f32_e32 vcc, 0, v3
	s_nop 1
	v_cndmask_b32_e64 v4, v3, -v3, vcc
	v_cmp_ge_f32_e32 vcc, v4, v14
	s_and_saveexec_b64 s[2:3], vcc
	s_xor_b64 s[4:5], exec, s[2:3]
	s_cbranch_execz .LBB174_170
; %bb.165:
	v_cmp_neq_f32_e32 vcc, 0, v3
	v_cmp_neq_f32_e64 s[2:3], 0, v5
	s_or_b64 s[2:3], vcc, s[2:3]
                                        ; implicit-def: $vgpr8_vgpr9
	s_and_saveexec_b64 s[10:11], s[2:3]
	s_xor_b64 s[2:3], exec, s[10:11]
	s_cbranch_execz .LBB174_167
; %bb.166:
	v_div_scale_f32 v4, s[10:11], v3, v3, v5
	v_rcp_f32_e32 v8, v4
	v_div_scale_f32 v9, vcc, v5, v3, v5
	v_fma_f32 v14, -v4, v8, 1.0
	v_fmac_f32_e32 v8, v14, v8
	v_mul_f32_e32 v14, v9, v8
	v_fma_f32 v15, -v4, v14, v9
	v_fmac_f32_e32 v14, v15, v8
	v_fma_f32 v4, -v4, v14, v9
	v_div_fmas_f32 v4, v4, v8, v14
	v_div_fixup_f32 v9, v4, v3, v5
	v_fmac_f32_e32 v3, v5, v9
	v_div_scale_f32 v4, s[10:11], v3, v3, 1.0
	v_rcp_f32_e32 v5, v4
	s_nop 0
	v_fma_f32 v8, -v4, v5, 1.0
	v_fmac_f32_e32 v5, v8, v5
	v_div_scale_f32 v8, vcc, 1.0, v3, 1.0
	v_mul_f32_e32 v14, v8, v5
	v_fma_f32 v15, -v4, v14, v8
	v_fmac_f32_e32 v14, v15, v5
	v_fma_f32 v4, -v4, v14, v8
	v_div_fmas_f32 v4, v4, v5, v14
	v_div_fixup_f32 v4, v4, v3, 1.0
	v_mul_f32_e32 v3, 0, v9
	v_add_f32_e32 v8, 1.0, v3
	v_sub_f32_e32 v9, 0, v9
	v_pk_mul_f32 v[8:9], v[8:9], v[4:5] op_sel_hi:[1,0]
                                        ; implicit-def: $vgpr14
                                        ; implicit-def: $vgpr4
.LBB174_167:
	s_andn2_saveexec_b64 s[2:3], s[2:3]
	s_cbranch_execz .LBB174_169
; %bb.168:
	v_div_scale_f32 v3, s[10:11], v14, v14, 0
	v_rcp_f32_e32 v5, v3
	v_div_scale_f32 v8, vcc, 0, v14, 0
	v_fma_f32 v9, -v3, v5, 1.0
	v_fmac_f32_e32 v5, v9, v5
	v_mul_f32_e32 v9, v8, v5
	v_fma_f32 v15, -v3, v9, v8
	v_fmac_f32_e32 v9, v15, v5
	v_fma_f32 v3, -v3, v9, v8
	v_div_scale_f32 v8, s[10:11], v4, v4, 1.0
	v_rcp_f32_e32 v15, v8
	v_div_fmas_f32 v3, v3, v5, v9
	v_div_fixup_f32 v9, v3, v14, 0
	v_fma_f32 v3, -v8, v15, 1.0
	v_fmac_f32_e32 v15, v3, v15
	v_div_scale_f32 v3, vcc, 1.0, v4, 1.0
	v_mul_f32_e32 v5, v3, v15
	v_fma_f32 v14, -v8, v5, v3
	v_fmac_f32_e32 v5, v14, v15
	v_fma_f32 v3, -v8, v5, v3
	v_div_fmas_f32 v3, v3, v15, v5
	v_div_fixup_f32 v8, v3, v4, 1.0
.LBB174_169:
	s_or_b64 exec, exec, s[2:3]
                                        ; implicit-def: $vgpr5
                                        ; implicit-def: $vgpr3
.LBB174_170:
	s_andn2_saveexec_b64 s[2:3], s[4:5]
	s_cbranch_execz .LBB174_172
; %bb.171:
	v_div_scale_f32 v4, s[4:5], v5, v5, v3
	v_rcp_f32_e32 v8, v4
	v_div_scale_f32 v9, vcc, v3, v5, v3
	v_fma_f32 v14, -v4, v8, 1.0
	v_fmac_f32_e32 v8, v14, v8
	v_mul_f32_e32 v14, v9, v8
	v_fma_f32 v15, -v4, v14, v9
	v_fmac_f32_e32 v14, v15, v8
	v_fma_f32 v4, -v4, v14, v9
	v_div_fmas_f32 v4, v4, v8, v14
	v_div_fixup_f32 v4, v4, v5, v3
	v_fmac_f32_e32 v5, v3, v4
	v_div_scale_f32 v3, s[4:5], v5, v5, 1.0
	v_rcp_f32_e32 v8, v3
	s_mov_b32 s4, 0
	s_mov_b32 s5, -1.0
	v_fma_f32 v9, -v3, v8, 1.0
	v_fmac_f32_e32 v8, v9, v8
	v_div_scale_f32 v9, vcc, 1.0, v5, 1.0
	v_mul_f32_e32 v14, v9, v8
	v_fma_f32 v15, -v3, v14, v9
	v_fmac_f32_e32 v14, v15, v8
	v_fma_f32 v3, -v3, v14, v9
	v_div_fmas_f32 v3, v3, v8, v14
	v_div_fixup_f32 v8, v3, v5, 1.0
	v_mul_f32_e32 v5, 0, v4
	v_pk_add_f32 v[4:5], v[4:5], s[4:5]
	s_nop 0
	v_pk_mul_f32 v[8:9], v[4:5], v[8:9] op_sel_hi:[1,0]
.LBB174_172:
	s_or_b64 exec, exec, s[2:3]
	s_or_b64 exec, exec, s[6:7]
	s_and_saveexec_b64 s[2:3], s[0:1]
	s_xor_b64 s[0:1], exec, s[2:3]
	s_cbranch_execnz .LBB174_142
.LBB174_173:
	s_or_b64 exec, exec, s[0:1]
	v_cmp_gt_i32_e32 vcc, s23, v0
	s_and_saveexec_b64 s[0:1], vcc
	s_cbranch_execz .LBB174_143
.LBB174_174:
	v_add_u32_e32 v2, s22, v0
	v_mov_b32_e32 v3, 0
	v_lshl_add_u64 v[2:3], v[2:3], 3, s[8:9]
	v_add_u32_e32 v0, 0x100, v0
	global_store_dwordx2 v[2:3], v[10:11], off
	s_or_b64 exec, exec, s[0:1]
	v_cmp_gt_i32_e32 vcc, s23, v0
	s_and_saveexec_b64 s[0:1], vcc
	s_cbranch_execnz .LBB174_144
.LBB174_175:
	s_or_b64 exec, exec, s[0:1]
	v_cmp_gt_i32_e32 vcc, s23, v0
	s_and_saveexec_b64 s[0:1], vcc
	s_cbranch_execz .LBB174_145
.LBB174_176:
	v_add_u32_e32 v0, s22, v0
	v_mov_b32_e32 v1, 0
	v_lshl_add_u64 v[0:1], v[0:1], 3, s[8:9]
	global_store_dwordx2 v[0:1], v[8:9], off
	s_endpgm
	.section	.rodata,"a",@progbits
	.p2align	6, 0x0
	.amdhsa_kernel _ZN2at6native27unrolled_elementwise_kernelIZZZNS0_17rsqrt_kernel_cudaERNS_18TensorIteratorBaseEENKUlvE_clEvENKUlvE0_clEvEUlN3c107complexIfEEE_St5arrayIPcLm2EELi4E23TrivialOffsetCalculatorILi1EjESE_NS0_6memory15LoadWithoutCastENSF_16StoreWithoutCastEEEviT_T0_T2_T3_T4_T5_
		.amdhsa_group_segment_fixed_size 0
		.amdhsa_private_segment_fixed_size 0
		.amdhsa_kernarg_size 28
		.amdhsa_user_sgpr_count 2
		.amdhsa_user_sgpr_dispatch_ptr 0
		.amdhsa_user_sgpr_queue_ptr 0
		.amdhsa_user_sgpr_kernarg_segment_ptr 1
		.amdhsa_user_sgpr_dispatch_id 0
		.amdhsa_user_sgpr_kernarg_preload_length 0
		.amdhsa_user_sgpr_kernarg_preload_offset 0
		.amdhsa_user_sgpr_private_segment_size 0
		.amdhsa_uses_dynamic_stack 0
		.amdhsa_enable_private_segment 0
		.amdhsa_system_sgpr_workgroup_id_x 1
		.amdhsa_system_sgpr_workgroup_id_y 0
		.amdhsa_system_sgpr_workgroup_id_z 0
		.amdhsa_system_sgpr_workgroup_info 0
		.amdhsa_system_vgpr_workitem_id 0
		.amdhsa_next_free_vgpr 17
		.amdhsa_next_free_sgpr 26
		.amdhsa_accum_offset 20
		.amdhsa_reserve_vcc 1
		.amdhsa_float_round_mode_32 0
		.amdhsa_float_round_mode_16_64 0
		.amdhsa_float_denorm_mode_32 3
		.amdhsa_float_denorm_mode_16_64 3
		.amdhsa_dx10_clamp 1
		.amdhsa_ieee_mode 1
		.amdhsa_fp16_overflow 0
		.amdhsa_tg_split 0
		.amdhsa_exception_fp_ieee_invalid_op 0
		.amdhsa_exception_fp_denorm_src 0
		.amdhsa_exception_fp_ieee_div_zero 0
		.amdhsa_exception_fp_ieee_overflow 0
		.amdhsa_exception_fp_ieee_underflow 0
		.amdhsa_exception_fp_ieee_inexact 0
		.amdhsa_exception_int_div_zero 0
	.end_amdhsa_kernel
	.section	.text._ZN2at6native27unrolled_elementwise_kernelIZZZNS0_17rsqrt_kernel_cudaERNS_18TensorIteratorBaseEENKUlvE_clEvENKUlvE0_clEvEUlN3c107complexIfEEE_St5arrayIPcLm2EELi4E23TrivialOffsetCalculatorILi1EjESE_NS0_6memory15LoadWithoutCastENSF_16StoreWithoutCastEEEviT_T0_T2_T3_T4_T5_,"axG",@progbits,_ZN2at6native27unrolled_elementwise_kernelIZZZNS0_17rsqrt_kernel_cudaERNS_18TensorIteratorBaseEENKUlvE_clEvENKUlvE0_clEvEUlN3c107complexIfEEE_St5arrayIPcLm2EELi4E23TrivialOffsetCalculatorILi1EjESE_NS0_6memory15LoadWithoutCastENSF_16StoreWithoutCastEEEviT_T0_T2_T3_T4_T5_,comdat
.Lfunc_end174:
	.size	_ZN2at6native27unrolled_elementwise_kernelIZZZNS0_17rsqrt_kernel_cudaERNS_18TensorIteratorBaseEENKUlvE_clEvENKUlvE0_clEvEUlN3c107complexIfEEE_St5arrayIPcLm2EELi4E23TrivialOffsetCalculatorILi1EjESE_NS0_6memory15LoadWithoutCastENSF_16StoreWithoutCastEEEviT_T0_T2_T3_T4_T5_, .Lfunc_end174-_ZN2at6native27unrolled_elementwise_kernelIZZZNS0_17rsqrt_kernel_cudaERNS_18TensorIteratorBaseEENKUlvE_clEvENKUlvE0_clEvEUlN3c107complexIfEEE_St5arrayIPcLm2EELi4E23TrivialOffsetCalculatorILi1EjESE_NS0_6memory15LoadWithoutCastENSF_16StoreWithoutCastEEEviT_T0_T2_T3_T4_T5_
                                        ; -- End function
	.set _ZN2at6native27unrolled_elementwise_kernelIZZZNS0_17rsqrt_kernel_cudaERNS_18TensorIteratorBaseEENKUlvE_clEvENKUlvE0_clEvEUlN3c107complexIfEEE_St5arrayIPcLm2EELi4E23TrivialOffsetCalculatorILi1EjESE_NS0_6memory15LoadWithoutCastENSF_16StoreWithoutCastEEEviT_T0_T2_T3_T4_T5_.num_vgpr, 17
	.set _ZN2at6native27unrolled_elementwise_kernelIZZZNS0_17rsqrt_kernel_cudaERNS_18TensorIteratorBaseEENKUlvE_clEvENKUlvE0_clEvEUlN3c107complexIfEEE_St5arrayIPcLm2EELi4E23TrivialOffsetCalculatorILi1EjESE_NS0_6memory15LoadWithoutCastENSF_16StoreWithoutCastEEEviT_T0_T2_T3_T4_T5_.num_agpr, 0
	.set _ZN2at6native27unrolled_elementwise_kernelIZZZNS0_17rsqrt_kernel_cudaERNS_18TensorIteratorBaseEENKUlvE_clEvENKUlvE0_clEvEUlN3c107complexIfEEE_St5arrayIPcLm2EELi4E23TrivialOffsetCalculatorILi1EjESE_NS0_6memory15LoadWithoutCastENSF_16StoreWithoutCastEEEviT_T0_T2_T3_T4_T5_.numbered_sgpr, 26
	.set _ZN2at6native27unrolled_elementwise_kernelIZZZNS0_17rsqrt_kernel_cudaERNS_18TensorIteratorBaseEENKUlvE_clEvENKUlvE0_clEvEUlN3c107complexIfEEE_St5arrayIPcLm2EELi4E23TrivialOffsetCalculatorILi1EjESE_NS0_6memory15LoadWithoutCastENSF_16StoreWithoutCastEEEviT_T0_T2_T3_T4_T5_.num_named_barrier, 0
	.set _ZN2at6native27unrolled_elementwise_kernelIZZZNS0_17rsqrt_kernel_cudaERNS_18TensorIteratorBaseEENKUlvE_clEvENKUlvE0_clEvEUlN3c107complexIfEEE_St5arrayIPcLm2EELi4E23TrivialOffsetCalculatorILi1EjESE_NS0_6memory15LoadWithoutCastENSF_16StoreWithoutCastEEEviT_T0_T2_T3_T4_T5_.private_seg_size, 0
	.set _ZN2at6native27unrolled_elementwise_kernelIZZZNS0_17rsqrt_kernel_cudaERNS_18TensorIteratorBaseEENKUlvE_clEvENKUlvE0_clEvEUlN3c107complexIfEEE_St5arrayIPcLm2EELi4E23TrivialOffsetCalculatorILi1EjESE_NS0_6memory15LoadWithoutCastENSF_16StoreWithoutCastEEEviT_T0_T2_T3_T4_T5_.uses_vcc, 1
	.set _ZN2at6native27unrolled_elementwise_kernelIZZZNS0_17rsqrt_kernel_cudaERNS_18TensorIteratorBaseEENKUlvE_clEvENKUlvE0_clEvEUlN3c107complexIfEEE_St5arrayIPcLm2EELi4E23TrivialOffsetCalculatorILi1EjESE_NS0_6memory15LoadWithoutCastENSF_16StoreWithoutCastEEEviT_T0_T2_T3_T4_T5_.uses_flat_scratch, 0
	.set _ZN2at6native27unrolled_elementwise_kernelIZZZNS0_17rsqrt_kernel_cudaERNS_18TensorIteratorBaseEENKUlvE_clEvENKUlvE0_clEvEUlN3c107complexIfEEE_St5arrayIPcLm2EELi4E23TrivialOffsetCalculatorILi1EjESE_NS0_6memory15LoadWithoutCastENSF_16StoreWithoutCastEEEviT_T0_T2_T3_T4_T5_.has_dyn_sized_stack, 0
	.set _ZN2at6native27unrolled_elementwise_kernelIZZZNS0_17rsqrt_kernel_cudaERNS_18TensorIteratorBaseEENKUlvE_clEvENKUlvE0_clEvEUlN3c107complexIfEEE_St5arrayIPcLm2EELi4E23TrivialOffsetCalculatorILi1EjESE_NS0_6memory15LoadWithoutCastENSF_16StoreWithoutCastEEEviT_T0_T2_T3_T4_T5_.has_recursion, 0
	.set _ZN2at6native27unrolled_elementwise_kernelIZZZNS0_17rsqrt_kernel_cudaERNS_18TensorIteratorBaseEENKUlvE_clEvENKUlvE0_clEvEUlN3c107complexIfEEE_St5arrayIPcLm2EELi4E23TrivialOffsetCalculatorILi1EjESE_NS0_6memory15LoadWithoutCastENSF_16StoreWithoutCastEEEviT_T0_T2_T3_T4_T5_.has_indirect_call, 0
	.section	.AMDGPU.csdata,"",@progbits
; Kernel info:
; codeLenInByte = 7236
; TotalNumSgprs: 32
; NumVgprs: 17
; NumAgprs: 0
; TotalNumVgprs: 17
; ScratchSize: 0
; MemoryBound: 0
; FloatMode: 240
; IeeeMode: 1
; LDSByteSize: 0 bytes/workgroup (compile time only)
; SGPRBlocks: 3
; VGPRBlocks: 2
; NumSGPRsForWavesPerEU: 32
; NumVGPRsForWavesPerEU: 17
; AccumOffset: 20
; Occupancy: 8
; WaveLimiterHint : 0
; COMPUTE_PGM_RSRC2:SCRATCH_EN: 0
; COMPUTE_PGM_RSRC2:USER_SGPR: 2
; COMPUTE_PGM_RSRC2:TRAP_HANDLER: 0
; COMPUTE_PGM_RSRC2:TGID_X_EN: 1
; COMPUTE_PGM_RSRC2:TGID_Y_EN: 0
; COMPUTE_PGM_RSRC2:TGID_Z_EN: 0
; COMPUTE_PGM_RSRC2:TIDIG_COMP_CNT: 0
; COMPUTE_PGM_RSRC3_GFX90A:ACCUM_OFFSET: 4
; COMPUTE_PGM_RSRC3_GFX90A:TG_SPLIT: 0
	.section	.text._ZN2at6native32elementwise_kernel_manual_unrollILi128ELi4EZNS0_22gpu_kernel_impl_nocastIZZZNS0_17rsqrt_kernel_cudaERNS_18TensorIteratorBaseEENKUlvE_clEvENKUlvE0_clEvEUlN3c107complexIfEEE_EEvS4_RKT_EUlibE_EEviT1_,"axG",@progbits,_ZN2at6native32elementwise_kernel_manual_unrollILi128ELi4EZNS0_22gpu_kernel_impl_nocastIZZZNS0_17rsqrt_kernel_cudaERNS_18TensorIteratorBaseEENKUlvE_clEvENKUlvE0_clEvEUlN3c107complexIfEEE_EEvS4_RKT_EUlibE_EEviT1_,comdat
	.globl	_ZN2at6native32elementwise_kernel_manual_unrollILi128ELi4EZNS0_22gpu_kernel_impl_nocastIZZZNS0_17rsqrt_kernel_cudaERNS_18TensorIteratorBaseEENKUlvE_clEvENKUlvE0_clEvEUlN3c107complexIfEEE_EEvS4_RKT_EUlibE_EEviT1_ ; -- Begin function _ZN2at6native32elementwise_kernel_manual_unrollILi128ELi4EZNS0_22gpu_kernel_impl_nocastIZZZNS0_17rsqrt_kernel_cudaERNS_18TensorIteratorBaseEENKUlvE_clEvENKUlvE0_clEvEUlN3c107complexIfEEE_EEvS4_RKT_EUlibE_EEviT1_
	.p2align	8
	.type	_ZN2at6native32elementwise_kernel_manual_unrollILi128ELi4EZNS0_22gpu_kernel_impl_nocastIZZZNS0_17rsqrt_kernel_cudaERNS_18TensorIteratorBaseEENKUlvE_clEvENKUlvE0_clEvEUlN3c107complexIfEEE_EEvS4_RKT_EUlibE_EEviT1_,@function
_ZN2at6native32elementwise_kernel_manual_unrollILi128ELi4EZNS0_22gpu_kernel_impl_nocastIZZZNS0_17rsqrt_kernel_cudaERNS_18TensorIteratorBaseEENKUlvE_clEvENKUlvE0_clEvEUlN3c107complexIfEEE_EEvS4_RKT_EUlibE_EEviT1_: ; @_ZN2at6native32elementwise_kernel_manual_unrollILi128ELi4EZNS0_22gpu_kernel_impl_nocastIZZZNS0_17rsqrt_kernel_cudaERNS_18TensorIteratorBaseEENKUlvE_clEvENKUlvE0_clEvEUlN3c107complexIfEEE_EEvS4_RKT_EUlibE_EEviT1_
; %bb.0:
	s_load_dword s55, s[0:1], 0x0
	s_load_dword s33, s[0:1], 0x8
	s_add_u32 s34, s0, 8
	s_addc_u32 s35, s1, 0
	v_lshl_or_b32 v6, s2, 9, v0
	v_or_b32_e32 v16, 0x180, v6
	s_waitcnt lgkmcnt(0)
	s_add_i32 s54, s33, -1
	s_cmp_gt_u32 s54, 1
	v_cmp_le_i32_e32 vcc, s55, v16
	s_cselect_b64 s[36:37], -1, 0
	s_mov_b64 s[24:25], 0
                                        ; implicit-def: $vgpr17
                                        ; implicit-def: $vgpr8_vgpr9
	s_and_saveexec_b64 s[0:1], vcc
	s_xor_b64 s[38:39], exec, s[0:1]
	s_cbranch_execz .LBB175_8
; %bb.1:
	s_load_dwordx4 s[24:27], s[34:35], 0x4
	s_load_dwordx2 s[40:41], s[34:35], 0x14
	s_load_dwordx4 s[20:23], s[34:35], 0xc4
	s_load_dwordx4 s[16:19], s[34:35], 0x148
	s_cmp_lg_u32 s33, 0
	s_cselect_b64 s[46:47], -1, 0
	s_add_u32 s44, s34, 0xc4
	s_addc_u32 s45, s35, 0
	s_min_u32 s56, s54, 15
	s_cmp_gt_u32 s33, 1
	s_cselect_b64 s[42:43], -1, 0
	v_cmp_gt_i32_e32 vcc, s55, v6
	s_and_saveexec_b64 s[48:49], vcc
	s_cbranch_execz .LBB175_15
; %bb.2:
	s_andn2_b64 vcc, exec, s[36:37]
	s_cbranch_vccnz .LBB175_23
; %bb.3:
	s_andn2_b64 vcc, exec, s[46:47]
	s_cbranch_vccnz .LBB175_86
; %bb.4:
	s_add_i32 s58, s56, 1
	s_cmp_eq_u32 s54, 2
	s_cbranch_scc1 .LBB175_88
; %bb.5:
	s_and_b32 s57, s58, 28
	s_mov_b32 s59, 0
	v_mov_b32_e32 v0, 0
	v_mov_b32_e32 v2, 0
	s_mov_b64 s[50:51], s[34:35]
	s_mov_b64 s[52:53], s[44:45]
	v_mov_b32_e32 v4, v6
.LBB175_6:                              ; =>This Inner Loop Header: Depth=1
	s_load_dwordx8 s[8:15], s[50:51], 0x4
	s_load_dwordx4 s[28:31], s[50:51], 0x24
	s_load_dwordx8 s[0:7], s[52:53], 0x0
	s_add_u32 s50, s50, 48
	s_addc_u32 s51, s51, 0
	s_waitcnt lgkmcnt(0)
	v_mul_hi_u32 v1, s9, v4
	v_add_u32_e32 v1, v4, v1
	v_lshrrev_b32_e32 v1, s10, v1
	v_mul_lo_u32 v3, v1, s8
	v_mul_hi_u32 v5, s12, v1
	v_sub_u32_e32 v3, v4, v3
	v_add_u32_e32 v4, v1, v5
	v_lshrrev_b32_e32 v4, s13, v4
	v_mul_lo_u32 v7, v4, s11
	v_mul_hi_u32 v8, s15, v4
	v_sub_u32_e32 v1, v1, v7
	v_add_u32_e32 v7, v4, v8
	v_mul_lo_u32 v5, v3, s1
	v_mul_lo_u32 v3, v3, s0
	;; [unrolled: 1-line block ×4, first 2 shown]
	v_lshrrev_b32_e32 v7, s28, v7
	v_add3_u32 v0, v3, v0, v1
	v_mul_hi_u32 v3, s30, v7
	v_add3_u32 v1, v5, v2, v8
	v_mul_lo_u32 v2, v7, s14
	v_add_u32_e32 v3, v7, v3
	v_sub_u32_e32 v2, v4, v2
	v_lshrrev_b32_e32 v4, s31, v3
	s_add_i32 s59, s59, 4
	v_mul_lo_u32 v3, v4, s29
	s_add_u32 s52, s52, 32
	v_sub_u32_e32 v3, v7, v3
	s_addc_u32 s53, s53, 0
	v_mul_lo_u32 v5, v2, s4
	v_mul_lo_u32 v2, v2, s5
	;; [unrolled: 1-line block ×4, first 2 shown]
	s_cmp_lg_u32 s57, s59
	v_add3_u32 v2, v2, v1, v3
	v_add3_u32 v0, v5, v0, v7
	s_cbranch_scc1 .LBB175_6
; %bb.7:
	v_mov_b32_e32 v1, v2
	s_branch .LBB175_89
.LBB175_8:
	s_andn2_saveexec_b64 s[26:27], s[38:39]
	s_cbranch_execz .LBB175_433
.LBB175_9:
	v_cndmask_b32_e64 v0, 0, 1, s[36:37]
	v_cmp_ne_u32_e64 s[0:1], 1, v0
	s_andn2_b64 vcc, exec, s[36:37]
	s_cbranch_vccnz .LBB175_22
; %bb.10:
	s_cmp_lg_u32 s33, 0
	s_mov_b32 s30, 0
	s_cbranch_scc0 .LBB175_25
; %bb.11:
	s_min_u32 s31, s54, 15
	s_add_i32 s31, s31, 1
	s_cmp_eq_u32 s54, 2
	s_cbranch_scc1 .LBB175_26
; %bb.12:
	s_and_b32 s30, s31, 28
	s_add_u32 s2, s34, 0xc4
	s_addc_u32 s3, s35, 0
	s_mov_b32 s36, 0
	v_mov_b32_e32 v0, 0
	v_mov_b32_e32 v10, 0
	s_mov_b64 s[28:29], s[34:35]
	v_mov_b32_e32 v2, v6
.LBB175_13:                             ; =>This Inner Loop Header: Depth=1
	s_load_dwordx8 s[12:19], s[28:29], 0x4
	s_load_dwordx4 s[20:23], s[28:29], 0x24
	s_load_dwordx8 s[4:11], s[2:3], 0x0
	s_add_u32 s28, s28, 48
	s_addc_u32 s29, s29, 0
	s_waitcnt lgkmcnt(0)
	v_mul_hi_u32 v1, s13, v2
	v_add_u32_e32 v1, v2, v1
	v_lshrrev_b32_e32 v1, s14, v1
	v_mul_lo_u32 v3, v1, s12
	v_mul_hi_u32 v4, s16, v1
	v_sub_u32_e32 v2, v2, v3
	v_add_u32_e32 v3, v1, v4
	v_lshrrev_b32_e32 v3, s17, v3
	v_mul_lo_u32 v5, v3, s15
	v_mul_hi_u32 v7, s19, v3
	v_sub_u32_e32 v1, v1, v5
	v_add_u32_e32 v5, v3, v7
	v_mul_lo_u32 v4, v2, s5
	v_mul_lo_u32 v2, v2, s4
	;; [unrolled: 1-line block ×4, first 2 shown]
	v_lshrrev_b32_e32 v5, s20, v5
	v_add3_u32 v0, v2, v0, v1
	v_add3_u32 v1, v4, v10, v7
	v_mul_lo_u32 v2, v5, s18
	v_mul_hi_u32 v4, s22, v5
	v_sub_u32_e32 v2, v3, v2
	v_add_u32_e32 v3, v5, v4
	v_mul_lo_u32 v4, v2, s8
	v_mul_lo_u32 v7, v2, s9
	v_lshrrev_b32_e32 v2, s23, v3
	s_add_i32 s36, s36, 4
	v_mul_lo_u32 v3, v2, s21
	s_add_u32 s2, s2, 32
	v_sub_u32_e32 v3, v5, v3
	s_addc_u32 s3, s3, 0
	v_mul_lo_u32 v5, v3, s10
	v_mul_lo_u32 v3, v3, s11
	s_cmp_lg_u32 s30, s36
	v_add3_u32 v10, v7, v1, v3
	v_add3_u32 v0, v4, v0, v5
	s_cbranch_scc1 .LBB175_13
; %bb.14:
	v_mov_b32_e32 v1, v10
	s_and_b32 s6, s31, 3
	s_cmp_eq_u32 s6, 0
	s_cbranch_scc0 .LBB175_27
	s_branch .LBB175_29
.LBB175_15:
	s_or_b64 exec, exec, s[48:49]
	v_cmp_gt_i32_e32 vcc, s55, v6
	s_and_saveexec_b64 s[48:49], vcc
	s_cbranch_execz .LBB175_299
.LBB175_16:
	s_andn2_b64 vcc, exec, s[36:37]
	s_cbranch_vccnz .LBB175_24
; %bb.17:
	s_andn2_b64 vcc, exec, s[46:47]
	s_cbranch_vccnz .LBB175_87
; %bb.18:
	s_add_i32 s58, s56, 1
	s_cmp_eq_u32 s54, 2
	s_cbranch_scc1 .LBB175_107
; %bb.19:
	s_and_b32 s57, s58, 28
	s_mov_b32 s59, 0
	v_mov_b32_e32 v0, 0
	v_mov_b32_e32 v2, 0
	s_mov_b64 s[50:51], s[34:35]
	s_mov_b64 s[52:53], s[44:45]
	v_mov_b32_e32 v4, v6
.LBB175_20:                             ; =>This Inner Loop Header: Depth=1
	s_load_dwordx8 s[8:15], s[50:51], 0x4
	s_load_dwordx4 s[28:31], s[50:51], 0x24
	s_load_dwordx8 s[0:7], s[52:53], 0x0
	s_add_u32 s50, s50, 48
	s_addc_u32 s51, s51, 0
	s_waitcnt lgkmcnt(0)
	v_mul_hi_u32 v1, s9, v4
	v_add_u32_e32 v1, v4, v1
	v_lshrrev_b32_e32 v1, s10, v1
	v_mul_lo_u32 v3, v1, s8
	v_mul_hi_u32 v5, s12, v1
	v_sub_u32_e32 v3, v4, v3
	v_add_u32_e32 v4, v1, v5
	v_lshrrev_b32_e32 v4, s13, v4
	v_mul_lo_u32 v7, v4, s11
	v_mul_hi_u32 v8, s15, v4
	v_sub_u32_e32 v1, v1, v7
	v_add_u32_e32 v7, v4, v8
	v_mul_lo_u32 v5, v3, s1
	v_mul_lo_u32 v3, v3, s0
	;; [unrolled: 1-line block ×4, first 2 shown]
	v_lshrrev_b32_e32 v7, s28, v7
	v_add3_u32 v0, v3, v0, v1
	v_mul_hi_u32 v3, s30, v7
	v_add3_u32 v1, v5, v2, v8
	v_mul_lo_u32 v2, v7, s14
	v_add_u32_e32 v3, v7, v3
	v_sub_u32_e32 v2, v4, v2
	v_lshrrev_b32_e32 v4, s31, v3
	s_add_i32 s59, s59, 4
	v_mul_lo_u32 v3, v4, s29
	s_add_u32 s52, s52, 32
	v_sub_u32_e32 v3, v7, v3
	s_addc_u32 s53, s53, 0
	v_mul_lo_u32 v5, v2, s4
	v_mul_lo_u32 v2, v2, s5
	;; [unrolled: 1-line block ×4, first 2 shown]
	s_cmp_eq_u32 s57, s59
	v_add3_u32 v2, v2, v1, v3
	v_add3_u32 v0, v5, v0, v7
	s_cbranch_scc0 .LBB175_20
; %bb.21:
	v_mov_b32_e32 v1, v2
	s_branch .LBB175_108
.LBB175_22:
                                        ; implicit-def: $vgpr10
                                        ; implicit-def: $vgpr0
	s_branch .LBB175_30
.LBB175_23:
                                        ; implicit-def: $vgpr2
                                        ; implicit-def: $vgpr0
	s_branch .LBB175_93
.LBB175_24:
                                        ; implicit-def: $vgpr2
                                        ; implicit-def: $vgpr0
	s_branch .LBB175_112
.LBB175_25:
	v_mov_b32_e32 v10, 0
	v_mov_b32_e32 v0, 0
	s_branch .LBB175_29
.LBB175_26:
	v_mov_b32_e32 v0, 0
                                        ; implicit-def: $vgpr10
	v_mov_b32_e32 v1, v0
	v_mov_b32_e32 v2, v6
	s_and_b32 s6, s31, 3
	s_cmp_eq_u32 s6, 0
	s_cbranch_scc1 .LBB175_29
.LBB175_27:
	s_lshl_b32 s2, s30, 3
	s_add_u32 s2, s34, s2
	s_addc_u32 s3, s35, 0
	s_add_u32 s2, s2, 0xc4
	s_addc_u32 s3, s3, 0
	s_mul_i32 s4, s30, 12
	s_add_u32 s4, s34, s4
	s_addc_u32 s5, s35, 0
.LBB175_28:                             ; =>This Inner Loop Header: Depth=1
	s_load_dwordx2 s[8:9], s[4:5], 0x4
	s_load_dword s7, s[4:5], 0xc
	s_load_dwordx2 s[10:11], s[2:3], 0x0
	v_mov_b32_e32 v4, v1
	s_add_u32 s4, s4, 12
	s_waitcnt lgkmcnt(0)
	v_mul_hi_u32 v1, s9, v2
	v_add_u32_e32 v1, v2, v1
	v_lshrrev_b32_e32 v1, s7, v1
	s_addc_u32 s5, s5, 0
	v_mul_lo_u32 v3, v1, s8
	s_add_u32 s2, s2, 8
	v_sub_u32_e32 v3, v2, v3
	s_addc_u32 s3, s3, 0
	s_add_i32 s6, s6, -1
	v_mov_b32_e32 v2, v1
	v_mad_u64_u32 v[10:11], s[8:9], v3, s11, v[4:5]
	v_mad_u64_u32 v[0:1], s[8:9], v3, s10, v[0:1]
	s_cmp_lg_u32 s6, 0
	v_mov_b32_e32 v1, v10
	s_cbranch_scc1 .LBB175_28
.LBB175_29:
	s_cbranch_execnz .LBB175_32
.LBB175_30:
	s_load_dwordx4 s[4:7], s[34:35], 0x4
	s_load_dwordx2 s[2:3], s[34:35], 0xc4
	s_cmp_lt_u32 s33, 2
	s_waitcnt lgkmcnt(0)
	v_mul_hi_u32 v0, s5, v6
	v_add_u32_e32 v0, v6, v0
	v_lshrrev_b32_e32 v1, s6, v0
	v_mul_lo_u32 v0, v1, s4
	v_sub_u32_e32 v0, v6, v0
	v_mul_lo_u32 v10, v0, s3
	v_mul_lo_u32 v0, v0, s2
	s_cbranch_scc1 .LBB175_32
; %bb.31:
	s_load_dwordx4 s[4:7], s[34:35], 0x10
	s_load_dwordx2 s[2:3], s[34:35], 0xcc
	s_waitcnt lgkmcnt(0)
	v_mul_hi_u32 v2, s5, v1
	v_add_u32_e32 v2, v1, v2
	v_lshrrev_b32_e32 v2, s6, v2
	v_mul_lo_u32 v2, v2, s4
	v_sub_u32_e32 v2, v1, v2
	v_mad_u64_u32 v[0:1], s[4:5], v2, s2, v[0:1]
	v_mad_u64_u32 v[10:11], s[2:3], v2, s3, v[10:11]
.LBB175_32:
	s_and_b64 vcc, exec, s[0:1]
	v_add_u32_e32 v4, 0x80, v6
	s_cbranch_vccnz .LBB175_38
; %bb.33:
	s_cmp_lg_u32 s33, 0
	s_mov_b32 s30, 0
	s_cbranch_scc0 .LBB175_39
; %bb.34:
	s_min_u32 s31, s54, 15
	s_add_i32 s31, s31, 1
	s_cmp_eq_u32 s54, 2
	s_cbranch_scc1 .LBB175_40
; %bb.35:
	s_and_b32 s30, s31, 28
	s_add_u32 s2, s34, 0xc4
	s_addc_u32 s3, s35, 0
	s_mov_b32 s36, 0
	v_mov_b32_e32 v2, 0
	v_mov_b32_e32 v14, 0
	s_mov_b64 s[28:29], s[34:35]
	v_mov_b32_e32 v5, v4
.LBB175_36:                             ; =>This Inner Loop Header: Depth=1
	s_load_dwordx8 s[12:19], s[28:29], 0x4
	s_load_dwordx4 s[20:23], s[28:29], 0x24
	s_load_dwordx8 s[4:11], s[2:3], 0x0
	s_add_u32 s28, s28, 48
	s_addc_u32 s29, s29, 0
	s_waitcnt lgkmcnt(0)
	v_mul_hi_u32 v1, s13, v5
	v_add_u32_e32 v1, v5, v1
	v_lshrrev_b32_e32 v1, s14, v1
	v_mul_lo_u32 v3, v1, s12
	v_mul_hi_u32 v7, s16, v1
	v_sub_u32_e32 v3, v5, v3
	v_add_u32_e32 v5, v1, v7
	v_lshrrev_b32_e32 v5, s17, v5
	v_mul_lo_u32 v8, v5, s15
	v_mul_hi_u32 v9, s19, v5
	v_sub_u32_e32 v1, v1, v8
	v_add_u32_e32 v8, v5, v9
	v_mul_lo_u32 v7, v3, s5
	v_mul_lo_u32 v3, v3, s4
	;; [unrolled: 1-line block ×4, first 2 shown]
	v_lshrrev_b32_e32 v8, s20, v8
	v_add3_u32 v1, v3, v2, v1
	v_add3_u32 v2, v7, v14, v9
	v_mul_lo_u32 v3, v8, s18
	v_mul_hi_u32 v7, s22, v8
	v_sub_u32_e32 v3, v5, v3
	v_add_u32_e32 v5, v8, v7
	v_lshrrev_b32_e32 v5, s23, v5
	s_add_i32 s36, s36, 4
	v_mul_lo_u32 v9, v5, s21
	s_add_u32 s2, s2, 32
	v_sub_u32_e32 v8, v8, v9
	s_addc_u32 s3, s3, 0
	v_mul_lo_u32 v7, v3, s8
	v_mul_lo_u32 v3, v3, s9
	;; [unrolled: 1-line block ×4, first 2 shown]
	s_cmp_lg_u32 s30, s36
	v_add3_u32 v14, v3, v2, v8
	v_add3_u32 v2, v7, v1, v9
	s_cbranch_scc1 .LBB175_36
; %bb.37:
	v_mov_b32_e32 v1, v14
	s_and_b32 s6, s31, 3
	s_cmp_eq_u32 s6, 0
	s_cbranch_scc0 .LBB175_41
	s_branch .LBB175_43
.LBB175_38:
                                        ; implicit-def: $vgpr14
                                        ; implicit-def: $vgpr2
	s_branch .LBB175_44
.LBB175_39:
	v_mov_b32_e32 v14, 0
	v_mov_b32_e32 v2, 0
	s_branch .LBB175_43
.LBB175_40:
	v_mov_b32_e32 v2, 0
                                        ; implicit-def: $vgpr14
	v_mov_b32_e32 v1, v2
	v_mov_b32_e32 v5, v4
	s_and_b32 s6, s31, 3
	s_cmp_eq_u32 s6, 0
	s_cbranch_scc1 .LBB175_43
.LBB175_41:
	s_lshl_b32 s2, s30, 3
	s_add_u32 s2, s34, s2
	s_addc_u32 s3, s35, 0
	s_add_u32 s2, s2, 0xc4
	s_addc_u32 s3, s3, 0
	s_mul_i32 s4, s30, 12
	s_add_u32 s4, s34, s4
	s_addc_u32 s5, s35, 0
.LBB175_42:                             ; =>This Inner Loop Header: Depth=1
	s_load_dwordx2 s[8:9], s[4:5], 0x4
	s_load_dword s7, s[4:5], 0xc
	s_load_dwordx2 s[10:11], s[2:3], 0x0
	v_mov_b32_e32 v8, v1
	s_add_u32 s4, s4, 12
	s_waitcnt lgkmcnt(0)
	v_mul_hi_u32 v1, s9, v5
	v_add_u32_e32 v1, v5, v1
	v_lshrrev_b32_e32 v1, s7, v1
	s_addc_u32 s5, s5, 0
	v_mul_lo_u32 v3, v1, s8
	s_add_u32 s2, s2, 8
	v_sub_u32_e32 v3, v5, v3
	s_addc_u32 s3, s3, 0
	s_add_i32 s6, s6, -1
	v_mad_u64_u32 v[14:15], s[8:9], v3, s11, v[8:9]
	s_cmp_lg_u32 s6, 0
	v_mov_b32_e32 v5, v1
	v_mad_u64_u32 v[2:3], s[8:9], v3, s10, v[2:3]
	v_mov_b32_e32 v1, v14
	s_cbranch_scc1 .LBB175_42
.LBB175_43:
	s_cbranch_execnz .LBB175_46
.LBB175_44:
	s_load_dwordx4 s[4:7], s[34:35], 0x4
	s_load_dwordx2 s[2:3], s[34:35], 0xc4
	s_cmp_lt_u32 s33, 2
	s_waitcnt lgkmcnt(0)
	v_mul_hi_u32 v1, s5, v4
	v_add_u32_e32 v1, v4, v1
	v_lshrrev_b32_e32 v1, s6, v1
	v_mul_lo_u32 v2, v1, s4
	v_sub_u32_e32 v2, v4, v2
	v_mul_lo_u32 v14, v2, s3
	v_mul_lo_u32 v2, v2, s2
	s_cbranch_scc1 .LBB175_46
; %bb.45:
	s_load_dwordx4 s[4:7], s[34:35], 0x10
	s_load_dwordx2 s[2:3], s[34:35], 0xcc
	s_waitcnt lgkmcnt(0)
	v_mul_hi_u32 v3, s5, v1
	v_add_u32_e32 v3, v1, v3
	v_lshrrev_b32_e32 v3, s6, v3
	v_mul_lo_u32 v3, v3, s4
	v_sub_u32_e32 v1, v1, v3
	v_mad_u64_u32 v[2:3], s[4:5], v1, s2, v[2:3]
	v_mad_u64_u32 v[14:15], s[2:3], v1, s3, v[14:15]
.LBB175_46:
	s_and_b64 vcc, exec, s[0:1]
	v_add_u32_e32 v3, 0x100, v6
	s_cbranch_vccnz .LBB175_52
; %bb.47:
	s_cmp_lg_u32 s33, 0
	s_mov_b32 s30, 0
	s_cbranch_scc0 .LBB175_53
; %bb.48:
	s_min_u32 s31, s54, 15
	s_add_i32 s31, s31, 1
	s_cmp_eq_u32 s54, 2
	s_cbranch_scc1 .LBB175_54
; %bb.49:
	s_and_b32 s30, s31, 28
	s_add_u32 s2, s34, 0xc4
	s_addc_u32 s3, s35, 0
	s_mov_b32 s36, 0
	v_mov_b32_e32 v4, 0
	v_mov_b32_e32 v12, 0
	s_mov_b64 s[28:29], s[34:35]
	v_mov_b32_e32 v6, v3
.LBB175_50:                             ; =>This Inner Loop Header: Depth=1
	s_load_dwordx8 s[12:19], s[28:29], 0x4
	s_load_dwordx4 s[20:23], s[28:29], 0x24
	s_load_dwordx8 s[4:11], s[2:3], 0x0
	s_add_u32 s28, s28, 48
	s_addc_u32 s29, s29, 0
	s_waitcnt lgkmcnt(0)
	v_mul_hi_u32 v1, s13, v6
	v_add_u32_e32 v1, v6, v1
	v_lshrrev_b32_e32 v1, s14, v1
	v_mul_lo_u32 v5, v1, s12
	v_mul_hi_u32 v7, s16, v1
	v_sub_u32_e32 v5, v6, v5
	v_add_u32_e32 v6, v1, v7
	v_lshrrev_b32_e32 v6, s17, v6
	v_mul_lo_u32 v8, v6, s15
	v_mul_hi_u32 v9, s19, v6
	v_sub_u32_e32 v1, v1, v8
	v_add_u32_e32 v8, v6, v9
	v_mul_lo_u32 v7, v5, s5
	v_mul_lo_u32 v5, v5, s4
	;; [unrolled: 1-line block ×4, first 2 shown]
	v_lshrrev_b32_e32 v8, s20, v8
	v_add3_u32 v1, v5, v4, v1
	v_add3_u32 v4, v7, v12, v9
	v_mul_lo_u32 v5, v8, s18
	v_mul_hi_u32 v7, s22, v8
	v_sub_u32_e32 v5, v6, v5
	v_add_u32_e32 v6, v8, v7
	v_lshrrev_b32_e32 v6, s23, v6
	s_add_i32 s36, s36, 4
	v_mul_lo_u32 v9, v6, s21
	s_add_u32 s2, s2, 32
	v_sub_u32_e32 v8, v8, v9
	s_addc_u32 s3, s3, 0
	v_mul_lo_u32 v7, v5, s8
	v_mul_lo_u32 v5, v5, s9
	;; [unrolled: 1-line block ×4, first 2 shown]
	s_cmp_lg_u32 s30, s36
	v_add3_u32 v12, v5, v4, v8
	v_add3_u32 v4, v7, v1, v9
	s_cbranch_scc1 .LBB175_50
; %bb.51:
	v_mov_b32_e32 v1, v12
	s_and_b32 s6, s31, 3
	s_cmp_eq_u32 s6, 0
	s_cbranch_scc0 .LBB175_55
	s_branch .LBB175_57
.LBB175_52:
                                        ; implicit-def: $vgpr12
                                        ; implicit-def: $vgpr4
	s_branch .LBB175_58
.LBB175_53:
	v_mov_b32_e32 v12, 0
	v_mov_b32_e32 v4, 0
	s_branch .LBB175_57
.LBB175_54:
	v_mov_b32_e32 v4, 0
                                        ; implicit-def: $vgpr12
	v_mov_b32_e32 v1, v4
	v_mov_b32_e32 v6, v3
	s_and_b32 s6, s31, 3
	s_cmp_eq_u32 s6, 0
	s_cbranch_scc1 .LBB175_57
.LBB175_55:
	s_lshl_b32 s2, s30, 3
	s_add_u32 s2, s34, s2
	s_addc_u32 s3, s35, 0
	s_add_u32 s2, s2, 0xc4
	s_addc_u32 s3, s3, 0
	s_mul_i32 s4, s30, 12
	s_add_u32 s4, s34, s4
	s_addc_u32 s5, s35, 0
.LBB175_56:                             ; =>This Inner Loop Header: Depth=1
	s_load_dwordx2 s[8:9], s[4:5], 0x4
	s_load_dword s7, s[4:5], 0xc
	s_load_dwordx2 s[10:11], s[2:3], 0x0
	v_mov_b32_e32 v8, v1
	s_add_u32 s4, s4, 12
	s_waitcnt lgkmcnt(0)
	v_mul_hi_u32 v1, s9, v6
	v_add_u32_e32 v1, v6, v1
	v_lshrrev_b32_e32 v1, s7, v1
	s_addc_u32 s5, s5, 0
	v_mul_lo_u32 v5, v1, s8
	s_add_u32 s2, s2, 8
	v_sub_u32_e32 v5, v6, v5
	s_addc_u32 s3, s3, 0
	s_add_i32 s6, s6, -1
	v_mad_u64_u32 v[12:13], s[8:9], v5, s11, v[8:9]
	s_cmp_lg_u32 s6, 0
	v_mov_b32_e32 v6, v1
	v_mad_u64_u32 v[4:5], s[8:9], v5, s10, v[4:5]
	v_mov_b32_e32 v1, v12
	s_cbranch_scc1 .LBB175_56
.LBB175_57:
	s_cbranch_execnz .LBB175_60
.LBB175_58:
	s_load_dwordx4 s[4:7], s[34:35], 0x4
	s_load_dwordx2 s[2:3], s[34:35], 0xc4
	s_cmp_lt_u32 s33, 2
	s_waitcnt lgkmcnt(0)
	v_mul_hi_u32 v1, s5, v3
	v_add_u32_e32 v1, v3, v1
	v_lshrrev_b32_e32 v1, s6, v1
	v_mul_lo_u32 v4, v1, s4
	v_sub_u32_e32 v3, v3, v4
	v_mul_lo_u32 v12, v3, s3
	v_mul_lo_u32 v4, v3, s2
	s_cbranch_scc1 .LBB175_60
; %bb.59:
	s_load_dwordx4 s[4:7], s[34:35], 0x10
	s_load_dwordx2 s[2:3], s[34:35], 0xcc
	s_waitcnt lgkmcnt(0)
	v_mul_hi_u32 v3, s5, v1
	v_add_u32_e32 v3, v1, v3
	v_lshrrev_b32_e32 v3, s6, v3
	v_mul_lo_u32 v3, v3, s4
	v_sub_u32_e32 v1, v1, v3
	v_mad_u64_u32 v[4:5], s[4:5], v1, s2, v[4:5]
	v_mad_u64_u32 v[12:13], s[2:3], v1, s3, v[12:13]
.LBB175_60:
	s_and_b64 vcc, exec, s[0:1]
	s_cbranch_vccnz .LBB175_66
; %bb.61:
	s_cmp_lg_u32 s33, 0
	s_mov_b32 s28, 0
	s_cbranch_scc0 .LBB175_67
; %bb.62:
	s_min_u32 s29, s54, 15
	s_add_i32 s29, s29, 1
	s_cmp_eq_u32 s54, 2
	s_cbranch_scc1 .LBB175_68
; %bb.63:
	s_and_b32 s28, s29, 28
	s_add_u32 s20, s34, 0xc4
	s_addc_u32 s21, s35, 0
	s_mov_b32 s30, 0
	v_mov_b32_e32 v6, 0
	v_mov_b32_e32 v8, 0
	s_mov_b64 s[22:23], s[34:35]
	v_mov_b32_e32 v3, v16
.LBB175_64:                             ; =>This Inner Loop Header: Depth=1
	s_load_dwordx8 s[8:15], s[22:23], 0x4
	s_load_dwordx4 s[16:19], s[22:23], 0x24
	s_load_dwordx8 s[0:7], s[20:21], 0x0
	s_add_u32 s22, s22, 48
	s_addc_u32 s23, s23, 0
	s_waitcnt lgkmcnt(0)
	v_mul_hi_u32 v1, s9, v3
	v_add_u32_e32 v1, v3, v1
	v_lshrrev_b32_e32 v1, s10, v1
	v_mul_lo_u32 v5, v1, s8
	v_mul_hi_u32 v7, s12, v1
	v_sub_u32_e32 v3, v3, v5
	v_add_u32_e32 v5, v1, v7
	v_lshrrev_b32_e32 v5, s13, v5
	v_mul_lo_u32 v9, v5, s11
	v_mul_hi_u32 v11, s15, v5
	v_sub_u32_e32 v1, v1, v9
	v_add_u32_e32 v9, v5, v11
	v_mul_lo_u32 v7, v3, s1
	v_mul_lo_u32 v3, v3, s0
	;; [unrolled: 1-line block ×4, first 2 shown]
	v_lshrrev_b32_e32 v9, s16, v9
	v_add3_u32 v1, v3, v6, v1
	v_add3_u32 v6, v7, v8, v11
	v_mul_lo_u32 v3, v9, s14
	v_mul_hi_u32 v7, s18, v9
	v_sub_u32_e32 v3, v5, v3
	v_add_u32_e32 v5, v9, v7
	v_mul_lo_u32 v7, v3, s4
	v_mul_lo_u32 v8, v3, s5
	v_lshrrev_b32_e32 v3, s19, v5
	s_add_i32 s30, s30, 4
	v_mul_lo_u32 v5, v3, s17
	s_add_u32 s20, s20, 32
	v_sub_u32_e32 v5, v9, v5
	s_addc_u32 s21, s21, 0
	v_mul_lo_u32 v9, v5, s6
	v_mul_lo_u32 v5, v5, s7
	s_cmp_lg_u32 s28, s30
	v_add3_u32 v8, v8, v6, v5
	v_add3_u32 v6, v7, v1, v9
	s_cbranch_scc1 .LBB175_64
; %bb.65:
	v_mov_b32_e32 v1, v8
	s_and_b32 s4, s29, 3
	s_cmp_eq_u32 s4, 0
	s_cbranch_scc0 .LBB175_69
	s_branch .LBB175_71
.LBB175_66:
                                        ; implicit-def: $vgpr8
                                        ; implicit-def: $vgpr6
	s_branch .LBB175_72
.LBB175_67:
	v_mov_b32_e32 v8, 0
	v_mov_b32_e32 v6, 0
	s_branch .LBB175_71
.LBB175_68:
	v_mov_b32_e32 v6, 0
                                        ; implicit-def: $vgpr8
	v_mov_b32_e32 v1, v6
	v_mov_b32_e32 v3, v16
	s_and_b32 s4, s29, 3
	s_cmp_eq_u32 s4, 0
	s_cbranch_scc1 .LBB175_71
.LBB175_69:
	s_lshl_b32 s0, s28, 3
	s_add_u32 s0, s34, s0
	s_addc_u32 s1, s35, 0
	s_add_u32 s0, s0, 0xc4
	s_addc_u32 s1, s1, 0
	s_mul_i32 s2, s28, 12
	s_add_u32 s2, s34, s2
	s_addc_u32 s3, s35, 0
.LBB175_70:                             ; =>This Inner Loop Header: Depth=1
	s_load_dwordx2 s[6:7], s[2:3], 0x4
	s_load_dword s5, s[2:3], 0xc
	s_load_dwordx2 s[8:9], s[0:1], 0x0
	v_mov_b32_e32 v8, v1
	s_add_u32 s2, s2, 12
	s_waitcnt lgkmcnt(0)
	v_mul_hi_u32 v1, s7, v3
	v_add_u32_e32 v1, v3, v1
	v_lshrrev_b32_e32 v1, s5, v1
	s_addc_u32 s3, s3, 0
	v_mul_lo_u32 v5, v1, s6
	s_add_u32 s0, s0, 8
	v_sub_u32_e32 v5, v3, v5
	s_addc_u32 s1, s1, 0
	s_add_i32 s4, s4, -1
	v_mad_u64_u32 v[8:9], s[6:7], v5, s9, v[8:9]
	s_cmp_lg_u32 s4, 0
	v_mov_b32_e32 v3, v1
	v_mad_u64_u32 v[6:7], s[6:7], v5, s8, v[6:7]
	v_mov_b32_e32 v1, v8
	s_cbranch_scc1 .LBB175_70
.LBB175_71:
	s_cbranch_execnz .LBB175_74
.LBB175_72:
	s_load_dwordx4 s[0:3], s[34:35], 0x4
	s_load_dwordx2 s[4:5], s[34:35], 0xc4
	s_cmp_lt_u32 s33, 2
	s_waitcnt lgkmcnt(0)
	v_mul_hi_u32 v1, s1, v16
	v_add_u32_e32 v1, v16, v1
	v_lshrrev_b32_e32 v1, s2, v1
	v_mul_lo_u32 v3, v1, s0
	v_sub_u32_e32 v3, v16, v3
	v_mul_lo_u32 v8, v3, s5
	v_mul_lo_u32 v6, v3, s4
	s_cbranch_scc1 .LBB175_74
; %bb.73:
	s_load_dwordx4 s[0:3], s[34:35], 0x10
	s_load_dwordx2 s[4:5], s[34:35], 0xcc
	s_waitcnt lgkmcnt(0)
	v_mul_hi_u32 v3, s1, v1
	v_add_u32_e32 v3, v1, v3
	v_lshrrev_b32_e32 v3, s2, v3
	v_mul_lo_u32 v3, v3, s0
	v_sub_u32_e32 v1, v1, v3
	v_mad_u64_u32 v[6:7], s[0:1], v1, s4, v[6:7]
	v_mad_u64_u32 v[8:9], s[0:1], v1, s5, v[8:9]
.LBB175_74:
	s_load_dwordx4 s[4:7], s[34:35], 0x148
	v_mov_b32_e32 v1, 0
	s_waitcnt lgkmcnt(0)
	global_load_dwordx2 v[16:17], v10, s[6:7]
	s_waitcnt vmcnt(0)
	v_cmp_neq_f32_e32 vcc, 0, v16
	v_cmp_neq_f32_e64 s[0:1], 0, v17
	s_or_b64 s[0:1], vcc, s[0:1]
	s_and_saveexec_b64 s[8:9], s[0:1]
	s_cbranch_execz .LBB175_144
; %bb.75:
	v_mov_b32_e32 v1, 0x7f800000
	v_cmp_neq_f32_e64 s[0:1], |v17|, v1
	s_and_saveexec_b64 s[10:11], s[0:1]
	s_cbranch_execz .LBB175_143
; %bb.76:
	v_cmp_o_f32_e32 vcc, v16, v16
                                        ; implicit-def: $vgpr1
	s_and_saveexec_b64 s[0:1], vcc
	s_xor_b64 s[12:13], exec, s[0:1]
	s_cbranch_execz .LBB175_140
; %bb.77:
	s_mov_b32 s0, 0x7f800000
	v_cmp_neq_f32_e64 s[0:1], |v16|, s0
                                        ; implicit-def: $vgpr1
	s_and_saveexec_b64 s[2:3], s[0:1]
	s_xor_b64 s[14:15], exec, s[2:3]
	s_cbranch_execz .LBB175_133
; %bb.78:
	v_max_f32_e64 v1, |v17|, |v17|
	v_max_f32_e64 v3, |v16|, |v16|
	v_max_f32_e32 v1, v3, v1
	s_mov_b32 s0, 0x7ed413cb
	v_cmp_nle_f32_e64 s[0:1], s0, v1
                                        ; implicit-def: $sgpr16_sgpr17
	s_and_saveexec_b64 s[2:3], s[0:1]
	s_xor_b64 s[2:3], exec, s[2:3]
	s_cbranch_execz .LBB175_82
; %bb.79:
	s_mov_b32 s18, 0x1000000
	v_cmp_le_f32_e64 s[16:17], |v16|, s18
	v_cmp_le_f32_e64 s[18:19], |v17|, s18
	s_and_b64 s[20:21], s[16:17], s[18:19]
	s_mov_b64 s[16:17], 0
	s_and_saveexec_b64 s[18:19], s[20:21]
; %bb.80:
	v_mov_b32_e32 v10, v17
	v_mov_b32_e32 v11, v16
	v_pk_mul_f32 v[10:11], v[10:11], 4.0 op_sel_hi:[1,0]
	s_mov_b64 s[16:17], exec
	v_mov_b32_e32 v16, v11
	v_mov_b32_e32 v17, v10
; %bb.81:
	s_or_b64 exec, exec, s[18:19]
.LBB175_82:
	s_andn2_saveexec_b64 s[2:3], s[2:3]
; %bb.83:
	v_mov_b32_e32 v10, v17
	v_mov_b32_e32 v11, v16
	s_mov_b32 s18, 0x3e800000
	v_pk_mul_f32 v[10:11], v[10:11], s[18:19] op_sel_hi:[1,0]
	s_andn2_b64 s[16:17], s[16:17], exec
	v_mov_b32_e32 v17, v10
	v_mov_b32_e32 v16, v11
; %bb.84:
	s_or_b64 exec, exec, s[2:3]
	v_max_f32_e64 v1, |v17|, |v17|
	v_max_f32_e64 v3, |v16|, |v16|
	v_max_f32_e32 v1, v3, v1
	v_cvt_f64_f32_e32 v[10:11], v1
	v_frexp_exp_i32_f64_e32 v3, v[10:11]
	v_sub_u32_e32 v5, 0, v3
	v_ldexp_f32 v7, |v16|, v5
	v_ldexp_f32 v5, |v17|, v5
	v_mul_f32_e32 v5, v5, v5
	v_fmac_f32_e32 v5, v7, v7
	v_sqrt_f32_e32 v5, v5
	s_mov_b32 s2, 0x7f800000
	v_cmp_neq_f32_e64 s[2:3], s2, v1
	v_cmp_le_f32_e32 vcc, 0, v16
	v_ldexp_f32 v3, v5, v3
	v_mov_b32_e32 v5, 0x7f800000
	v_cndmask_b32_e64 v1, v5, v3, s[2:3]
                                        ; implicit-def: $vgpr10_vgpr11
	s_and_saveexec_b64 s[2:3], vcc
	s_xor_b64 s[18:19], exec, s[2:3]
	s_cbranch_execz .LBB175_126
; %bb.85:
	v_add_f32_e32 v1, v16, v1
	v_mul_f32_e32 v1, 0.5, v1
	s_mov_b32 s2, 0xf800000
	v_mul_f32_e32 v3, 0x4f800000, v1
	v_cmp_gt_f32_e32 vcc, s2, v1
	s_nop 1
	v_cndmask_b32_e32 v1, v1, v3, vcc
	v_sqrt_f32_e32 v3, v1
	s_nop 0
	v_add_u32_e32 v5, -1, v3
	v_fma_f32 v7, -v5, v3, v1
	v_cmp_ge_f32_e64 s[2:3], 0, v7
	v_add_u32_e32 v7, 1, v3
	s_nop 0
	v_cndmask_b32_e64 v5, v3, v5, s[2:3]
	v_fma_f32 v3, -v7, v3, v1
	v_cmp_lt_f32_e64 s[2:3], 0, v3
	s_nop 1
	v_cndmask_b32_e64 v3, v5, v7, s[2:3]
	v_mul_f32_e32 v5, 0x37800000, v3
	v_cndmask_b32_e32 v3, v3, v5, vcc
	v_mov_b32_e32 v5, 0x260
	v_cmp_class_f32_e32 vcc, v1, v5
	s_nop 1
	v_cndmask_b32_e32 v10, v3, v1, vcc
	v_add_f32_e32 v1, v10, v10
	v_div_scale_f32 v3, s[2:3], v1, v1, v17
	v_rcp_f32_e32 v5, v3
	s_nop 0
	v_fma_f32 v7, -v3, v5, 1.0
	v_fmac_f32_e32 v5, v7, v5
	v_div_scale_f32 v7, vcc, v17, v1, v17
	v_mul_f32_e32 v9, v7, v5
	v_fma_f32 v11, -v3, v9, v7
	v_fmac_f32_e32 v9, v11, v5
	v_fma_f32 v3, -v3, v9, v7
	v_div_fmas_f32 v3, v3, v5, v9
	v_div_fixup_f32 v11, v3, v1, v17
                                        ; implicit-def: $vgpr1
                                        ; implicit-def: $vgpr16
	s_andn2_saveexec_b64 s[18:19], s[18:19]
	s_cbranch_execz .LBB175_128
	s_branch .LBB175_127
.LBB175_86:
	v_mov_b32_e32 v2, 0
	v_mov_b32_e32 v0, 0
	s_branch .LBB175_92
.LBB175_87:
	v_mov_b32_e32 v2, 0
	v_mov_b32_e32 v0, 0
	s_branch .LBB175_111
.LBB175_88:
	v_mov_b32_e32 v0, 0
	s_mov_b32 s57, 0
	v_mov_b32_e32 v1, v0
                                        ; implicit-def: $vgpr2
	v_mov_b32_e32 v4, v6
.LBB175_89:
	s_and_b32 s4, s58, 3
	s_cmp_eq_u32 s4, 0
	s_cbranch_scc1 .LBB175_92
; %bb.90:
	s_lshl_b32 s0, s57, 3
	s_add_u32 s0, s34, s0
	s_addc_u32 s1, s35, 0
	s_add_u32 s0, s0, 0xc4
	s_addc_u32 s1, s1, 0
	s_mul_i32 s2, s57, 12
	s_add_u32 s2, s34, s2
	s_addc_u32 s3, s35, 0
.LBB175_91:                             ; =>This Inner Loop Header: Depth=1
	s_load_dwordx2 s[6:7], s[2:3], 0x4
	s_load_dword s5, s[2:3], 0xc
	s_load_dwordx2 s[8:9], s[0:1], 0x0
	v_mov_b32_e32 v2, v1
	s_add_u32 s2, s2, 12
	s_waitcnt lgkmcnt(0)
	v_mul_hi_u32 v1, s7, v4
	v_add_u32_e32 v1, v4, v1
	v_lshrrev_b32_e32 v1, s5, v1
	s_addc_u32 s3, s3, 0
	v_mul_lo_u32 v3, v1, s6
	s_add_u32 s0, s0, 8
	v_sub_u32_e32 v5, v4, v3
	s_addc_u32 s1, s1, 0
	s_add_i32 s4, s4, -1
	v_mov_b32_e32 v4, v1
	v_mad_u64_u32 v[2:3], s[6:7], v5, s9, v[2:3]
	v_mad_u64_u32 v[0:1], s[6:7], v5, s8, v[0:1]
	s_cmp_lg_u32 s4, 0
	v_mov_b32_e32 v1, v2
	s_cbranch_scc1 .LBB175_91
.LBB175_92:
	s_cbranch_execnz .LBB175_95
.LBB175_93:
	s_waitcnt lgkmcnt(0)
	v_mul_hi_u32 v0, s25, v6
	v_add_u32_e32 v0, v6, v0
	v_lshrrev_b32_e32 v1, s26, v0
	v_mul_lo_u32 v0, v1, s24
	v_sub_u32_e32 v0, v6, v0
	v_mul_lo_u32 v2, v0, s21
	s_andn2_b64 vcc, exec, s[42:43]
	v_mul_lo_u32 v0, v0, s20
	s_cbranch_vccnz .LBB175_95
; %bb.94:
	v_mul_hi_u32 v3, s40, v1
	v_add_u32_e32 v3, v1, v3
	v_lshrrev_b32_e32 v3, s41, v3
	v_mul_lo_u32 v3, v3, s27
	v_sub_u32_e32 v3, v1, v3
	v_mad_u64_u32 v[0:1], s[0:1], v3, s22, v[0:1]
	v_mad_u64_u32 v[2:3], s[0:1], v3, s23, v[2:3]
.LBB175_95:
	s_waitcnt lgkmcnt(0)
	global_load_dwordx2 v[2:3], v2, s[18:19]
	v_mov_b32_e32 v1, 0
	s_waitcnt vmcnt(0)
	v_cmp_neq_f32_e32 vcc, 0, v2
	v_cmp_neq_f32_e64 s[0:1], 0, v3
	s_or_b64 s[0:1], vcc, s[0:1]
	s_and_saveexec_b64 s[4:5], s[0:1]
	s_cbranch_execz .LBB175_290
; %bb.96:
	v_mov_b32_e32 v1, 0x7f800000
	v_cmp_neq_f32_e64 s[0:1], |v3|, v1
	s_and_saveexec_b64 s[6:7], s[0:1]
	s_cbranch_execz .LBB175_289
; %bb.97:
	v_cmp_o_f32_e32 vcc, v2, v2
                                        ; implicit-def: $vgpr1
	s_and_saveexec_b64 s[0:1], vcc
	s_xor_b64 s[8:9], exec, s[0:1]
	s_cbranch_execz .LBB175_286
; %bb.98:
	s_mov_b32 s0, 0x7f800000
	v_cmp_neq_f32_e64 s[0:1], |v2|, s0
                                        ; implicit-def: $vgpr1
	s_and_saveexec_b64 s[2:3], s[0:1]
	s_xor_b64 s[10:11], exec, s[2:3]
	s_cbranch_execz .LBB175_279
; %bb.99:
	v_max_f32_e64 v1, |v3|, |v3|
	v_max_f32_e64 v4, |v2|, |v2|
	v_max_f32_e32 v1, v4, v1
	s_mov_b32 s0, 0x7ed413cb
	v_cmp_nle_f32_e64 s[0:1], s0, v1
                                        ; implicit-def: $sgpr12_sgpr13
	s_and_saveexec_b64 s[2:3], s[0:1]
	s_xor_b64 s[2:3], exec, s[2:3]
	s_cbranch_execz .LBB175_103
; %bb.100:
	s_mov_b32 s14, 0x1000000
	v_cmp_le_f32_e64 s[12:13], |v2|, s14
	v_cmp_le_f32_e64 s[14:15], |v3|, s14
	s_and_b64 s[28:29], s[12:13], s[14:15]
	s_mov_b64 s[12:13], 0
	s_and_saveexec_b64 s[14:15], s[28:29]
; %bb.101:
	v_mov_b32_e32 v4, v3
	v_mov_b32_e32 v5, v2
	v_pk_mul_f32 v[4:5], v[4:5], 4.0 op_sel_hi:[1,0]
	s_mov_b64 s[12:13], exec
	v_mov_b32_e32 v2, v5
	v_mov_b32_e32 v3, v4
; %bb.102:
	s_or_b64 exec, exec, s[14:15]
.LBB175_103:
	s_andn2_saveexec_b64 s[2:3], s[2:3]
; %bb.104:
	v_mov_b32_e32 v4, v3
	v_mov_b32_e32 v5, v2
	s_mov_b32 s14, 0x3e800000
	v_pk_mul_f32 v[4:5], v[4:5], s[14:15] op_sel_hi:[1,0]
	s_andn2_b64 s[12:13], s[12:13], exec
	v_mov_b32_e32 v3, v4
	v_mov_b32_e32 v2, v5
; %bb.105:
	s_or_b64 exec, exec, s[2:3]
	v_max_f32_e64 v1, |v3|, |v3|
	v_max_f32_e64 v4, |v2|, |v2|
	v_max_f32_e32 v1, v4, v1
	v_cvt_f64_f32_e32 v[4:5], v1
	v_frexp_exp_i32_f64_e32 v4, v[4:5]
	v_sub_u32_e32 v5, 0, v4
	v_ldexp_f32 v7, |v2|, v5
	v_ldexp_f32 v5, |v3|, v5
	v_mul_f32_e32 v5, v5, v5
	v_fmac_f32_e32 v5, v7, v7
	v_sqrt_f32_e32 v5, v5
	s_mov_b32 s2, 0x7f800000
	v_cmp_neq_f32_e64 s[2:3], s2, v1
	v_cmp_le_f32_e32 vcc, 0, v2
	v_ldexp_f32 v4, v5, v4
	v_mov_b32_e32 v5, 0x7f800000
	v_cndmask_b32_e64 v1, v5, v4, s[2:3]
                                        ; implicit-def: $vgpr4_vgpr5
	s_and_saveexec_b64 s[2:3], vcc
	s_xor_b64 s[14:15], exec, s[2:3]
	s_cbranch_execz .LBB175_268
; %bb.106:
	v_add_f32_e32 v1, v2, v1
	v_mul_f32_e32 v1, 0.5, v1
	s_mov_b32 s2, 0xf800000
	v_mul_f32_e32 v2, 0x4f800000, v1
	v_cmp_gt_f32_e32 vcc, s2, v1
	s_nop 1
	v_cndmask_b32_e32 v1, v1, v2, vcc
	v_sqrt_f32_e32 v2, v1
	s_nop 0
	v_add_u32_e32 v4, -1, v2
	v_fma_f32 v5, -v4, v2, v1
	v_cmp_ge_f32_e64 s[2:3], 0, v5
	v_add_u32_e32 v5, 1, v2
	s_nop 0
	v_cndmask_b32_e64 v4, v2, v4, s[2:3]
	v_fma_f32 v2, -v5, v2, v1
	v_cmp_lt_f32_e64 s[2:3], 0, v2
	s_nop 1
	v_cndmask_b32_e64 v2, v4, v5, s[2:3]
	v_mul_f32_e32 v4, 0x37800000, v2
	v_cndmask_b32_e32 v2, v2, v4, vcc
	v_mov_b32_e32 v4, 0x260
	v_cmp_class_f32_e32 vcc, v1, v4
	s_nop 1
	v_cndmask_b32_e32 v4, v2, v1, vcc
	v_add_f32_e32 v1, v4, v4
	v_div_scale_f32 v2, s[2:3], v1, v1, v3
	v_rcp_f32_e32 v5, v2
	s_nop 0
	v_fma_f32 v7, -v2, v5, 1.0
	v_fmac_f32_e32 v5, v7, v5
	v_div_scale_f32 v7, vcc, v3, v1, v3
	v_mul_f32_e32 v8, v7, v5
	v_fma_f32 v9, -v2, v8, v7
	v_fmac_f32_e32 v8, v9, v5
	v_fma_f32 v2, -v2, v8, v7
	v_div_fmas_f32 v2, v2, v5, v8
	v_div_fixup_f32 v5, v2, v1, v3
                                        ; implicit-def: $vgpr1
                                        ; implicit-def: $vgpr2
	s_andn2_saveexec_b64 s[14:15], s[14:15]
	s_cbranch_execz .LBB175_270
	s_branch .LBB175_269
.LBB175_107:
	v_mov_b32_e32 v0, 0
	s_mov_b32 s57, 0
	v_mov_b32_e32 v1, v0
                                        ; implicit-def: $vgpr2
	v_mov_b32_e32 v4, v6
.LBB175_108:
	s_and_b32 s4, s58, 3
	s_cmp_eq_u32 s4, 0
	s_cbranch_scc1 .LBB175_111
; %bb.109:
	s_lshl_b32 s0, s57, 3
	s_add_u32 s0, s34, s0
	s_addc_u32 s1, s35, 0
	s_add_u32 s0, s0, 0xc4
	s_addc_u32 s1, s1, 0
	s_mul_i32 s2, s57, 12
	s_add_u32 s2, s34, s2
	s_addc_u32 s3, s35, 0
.LBB175_110:                            ; =>This Inner Loop Header: Depth=1
	s_load_dwordx2 s[6:7], s[2:3], 0x4
	s_load_dword s5, s[2:3], 0xc
	s_load_dwordx2 s[8:9], s[0:1], 0x0
	v_mov_b32_e32 v2, v1
	s_add_u32 s2, s2, 12
	s_waitcnt lgkmcnt(0)
	v_mul_hi_u32 v1, s7, v4
	v_add_u32_e32 v1, v4, v1
	v_lshrrev_b32_e32 v1, s5, v1
	s_addc_u32 s3, s3, 0
	v_mul_lo_u32 v3, v1, s6
	s_add_u32 s0, s0, 8
	v_sub_u32_e32 v5, v4, v3
	s_addc_u32 s1, s1, 0
	s_add_i32 s4, s4, -1
	v_mov_b32_e32 v4, v1
	v_mad_u64_u32 v[2:3], s[6:7], v5, s9, v[2:3]
	v_mad_u64_u32 v[0:1], s[6:7], v5, s8, v[0:1]
	s_cmp_lg_u32 s4, 0
	v_mov_b32_e32 v1, v2
	s_cbranch_scc1 .LBB175_110
.LBB175_111:
	s_cbranch_execnz .LBB175_114
.LBB175_112:
	s_waitcnt lgkmcnt(0)
	v_mul_hi_u32 v0, s25, v6
	v_add_u32_e32 v0, v6, v0
	v_lshrrev_b32_e32 v1, s26, v0
	v_mul_lo_u32 v0, v1, s24
	v_sub_u32_e32 v0, v6, v0
	v_mul_lo_u32 v2, v0, s21
	s_andn2_b64 vcc, exec, s[42:43]
	v_mul_lo_u32 v0, v0, s20
	s_cbranch_vccnz .LBB175_114
; %bb.113:
	v_mul_hi_u32 v3, s40, v1
	v_add_u32_e32 v3, v1, v3
	v_lshrrev_b32_e32 v3, s41, v3
	v_mul_lo_u32 v3, v3, s27
	v_sub_u32_e32 v3, v1, v3
	v_mad_u64_u32 v[0:1], s[0:1], v3, s22, v[0:1]
	v_mad_u64_u32 v[2:3], s[0:1], v3, s23, v[2:3]
.LBB175_114:
	s_waitcnt lgkmcnt(0)
	global_load_dwordx2 v[2:3], v2, s[18:19]
	v_mov_b32_e32 v1, 0
	s_waitcnt vmcnt(0)
	v_cmp_neq_f32_e32 vcc, 0, v2
	v_cmp_neq_f32_e64 s[0:1], 0, v3
	s_or_b64 s[0:1], vcc, s[0:1]
	s_and_saveexec_b64 s[4:5], s[0:1]
	s_cbranch_execz .LBB175_314
; %bb.115:
	v_mov_b32_e32 v1, 0x7f800000
	v_cmp_neq_f32_e64 s[0:1], |v3|, v1
	s_and_saveexec_b64 s[6:7], s[0:1]
	s_cbranch_execz .LBB175_313
; %bb.116:
	v_cmp_o_f32_e32 vcc, v2, v2
                                        ; implicit-def: $vgpr1
	s_and_saveexec_b64 s[0:1], vcc
	s_xor_b64 s[8:9], exec, s[0:1]
	s_cbranch_execz .LBB175_310
; %bb.117:
	s_mov_b32 s0, 0x7f800000
	v_cmp_neq_f32_e64 s[0:1], |v2|, s0
                                        ; implicit-def: $vgpr1
	s_and_saveexec_b64 s[2:3], s[0:1]
	s_xor_b64 s[10:11], exec, s[2:3]
	s_cbranch_execz .LBB175_303
; %bb.118:
	v_max_f32_e64 v1, |v3|, |v3|
	v_max_f32_e64 v4, |v2|, |v2|
	v_max_f32_e32 v1, v4, v1
	s_mov_b32 s0, 0x7ed413cb
	v_cmp_nle_f32_e64 s[0:1], s0, v1
                                        ; implicit-def: $sgpr12_sgpr13
	s_and_saveexec_b64 s[2:3], s[0:1]
	s_xor_b64 s[2:3], exec, s[2:3]
	s_cbranch_execz .LBB175_122
; %bb.119:
	s_mov_b32 s14, 0x1000000
	v_cmp_le_f32_e64 s[12:13], |v2|, s14
	v_cmp_le_f32_e64 s[14:15], |v3|, s14
	s_and_b64 s[28:29], s[12:13], s[14:15]
	s_mov_b64 s[12:13], 0
	s_and_saveexec_b64 s[14:15], s[28:29]
; %bb.120:
	v_mov_b32_e32 v4, v3
	v_mov_b32_e32 v5, v2
	v_pk_mul_f32 v[4:5], v[4:5], 4.0 op_sel_hi:[1,0]
	s_mov_b64 s[12:13], exec
	v_mov_b32_e32 v2, v5
	v_mov_b32_e32 v3, v4
; %bb.121:
	s_or_b64 exec, exec, s[14:15]
.LBB175_122:
	s_andn2_saveexec_b64 s[2:3], s[2:3]
; %bb.123:
	v_mov_b32_e32 v4, v3
	v_mov_b32_e32 v5, v2
	s_mov_b32 s14, 0x3e800000
	v_pk_mul_f32 v[4:5], v[4:5], s[14:15] op_sel_hi:[1,0]
	s_andn2_b64 s[12:13], s[12:13], exec
	v_mov_b32_e32 v3, v4
	v_mov_b32_e32 v2, v5
; %bb.124:
	s_or_b64 exec, exec, s[2:3]
	v_max_f32_e64 v1, |v3|, |v3|
	v_max_f32_e64 v4, |v2|, |v2|
	v_max_f32_e32 v1, v4, v1
	v_cvt_f64_f32_e32 v[4:5], v1
	v_frexp_exp_i32_f64_e32 v4, v[4:5]
	v_sub_u32_e32 v5, 0, v4
	v_ldexp_f32 v7, |v2|, v5
	v_ldexp_f32 v5, |v3|, v5
	v_mul_f32_e32 v5, v5, v5
	v_fmac_f32_e32 v5, v7, v7
	v_sqrt_f32_e32 v5, v5
	s_mov_b32 s2, 0x7f800000
	v_cmp_neq_f32_e64 s[2:3], s2, v1
	v_cmp_le_f32_e32 vcc, 0, v2
	v_ldexp_f32 v4, v5, v4
	v_mov_b32_e32 v5, 0x7f800000
	v_cndmask_b32_e64 v1, v5, v4, s[2:3]
                                        ; implicit-def: $vgpr4_vgpr5
	s_and_saveexec_b64 s[2:3], vcc
	s_xor_b64 s[14:15], exec, s[2:3]
	s_cbranch_execz .LBB175_272
; %bb.125:
	v_add_f32_e32 v1, v2, v1
	v_mul_f32_e32 v1, 0.5, v1
	s_mov_b32 s2, 0xf800000
	v_mul_f32_e32 v2, 0x4f800000, v1
	v_cmp_gt_f32_e32 vcc, s2, v1
	s_nop 1
	v_cndmask_b32_e32 v1, v1, v2, vcc
	v_sqrt_f32_e32 v2, v1
	s_nop 0
	v_add_u32_e32 v4, -1, v2
	v_fma_f32 v5, -v4, v2, v1
	v_cmp_ge_f32_e64 s[2:3], 0, v5
	v_add_u32_e32 v5, 1, v2
	s_nop 0
	v_cndmask_b32_e64 v4, v2, v4, s[2:3]
	v_fma_f32 v2, -v5, v2, v1
	v_cmp_lt_f32_e64 s[2:3], 0, v2
	s_nop 1
	v_cndmask_b32_e64 v2, v4, v5, s[2:3]
	v_mul_f32_e32 v4, 0x37800000, v2
	v_cndmask_b32_e32 v2, v2, v4, vcc
	v_mov_b32_e32 v4, 0x260
	v_cmp_class_f32_e32 vcc, v1, v4
	s_nop 1
	v_cndmask_b32_e32 v4, v2, v1, vcc
	v_add_f32_e32 v1, v4, v4
	v_div_scale_f32 v2, s[2:3], v1, v1, v3
	v_rcp_f32_e32 v5, v2
	s_nop 0
	v_fma_f32 v7, -v2, v5, 1.0
	v_fmac_f32_e32 v5, v7, v5
	v_div_scale_f32 v7, vcc, v3, v1, v3
	v_mul_f32_e32 v8, v7, v5
	v_fma_f32 v9, -v2, v8, v7
	v_fmac_f32_e32 v8, v9, v5
	v_fma_f32 v2, -v2, v8, v7
	v_div_fmas_f32 v2, v2, v5, v8
	v_div_fixup_f32 v5, v2, v1, v3
                                        ; implicit-def: $vgpr1
                                        ; implicit-def: $vgpr2
	s_andn2_saveexec_b64 s[14:15], s[14:15]
	s_cbranch_execz .LBB175_274
	s_branch .LBB175_273
.LBB175_126:
	s_andn2_saveexec_b64 s[18:19], s[18:19]
	s_cbranch_execz .LBB175_128
.LBB175_127:
	v_sub_f32_e32 v1, v1, v16
	v_mul_f32_e32 v1, 0.5, v1
	s_mov_b32 s2, 0xf800000
	v_mul_f32_e32 v3, 0x4f800000, v1
	v_cmp_gt_f32_e32 vcc, s2, v1
	s_nop 1
	v_cndmask_b32_e32 v1, v1, v3, vcc
	v_sqrt_f32_e32 v3, v1
	s_nop 0
	v_add_u32_e32 v5, -1, v3
	v_fma_f32 v7, -v5, v3, v1
	v_cmp_ge_f32_e64 s[2:3], 0, v7
	v_add_u32_e32 v7, 1, v3
	s_nop 0
	v_cndmask_b32_e64 v5, v3, v5, s[2:3]
	v_fma_f32 v3, -v7, v3, v1
	v_cmp_lt_f32_e64 s[2:3], 0, v3
	s_nop 1
	v_cndmask_b32_e64 v3, v5, v7, s[2:3]
	v_mul_f32_e32 v5, 0x37800000, v3
	v_cndmask_b32_e32 v3, v3, v5, vcc
	v_mov_b32_e32 v5, 0x260
	v_cmp_class_f32_e32 vcc, v1, v5
	v_and_b32_e32 v5, 0x7fffffff, v17
	s_nop 0
	v_cndmask_b32_e32 v1, v3, v1, vcc
	v_add_f32_e32 v3, v1, v1
	v_div_scale_f32 v7, s[2:3], v3, v3, v5
	v_rcp_f32_e32 v9, v7
	v_div_scale_f32 v5, vcc, v5, v3, v5
	s_brev_b32 s2, -2
	v_fma_f32 v10, -v7, v9, 1.0
	v_fmac_f32_e32 v9, v10, v9
	v_mul_f32_e32 v10, v5, v9
	v_fma_f32 v11, -v7, v10, v5
	v_fmac_f32_e32 v10, v11, v9
	v_fma_f32 v5, -v7, v10, v5
	v_div_fmas_f32 v5, v5, v9, v10
	v_div_fixup_f32 v10, v5, v3, |v17|
	v_bfi_b32 v11, s2, v1, v17
.LBB175_128:
	s_or_b64 exec, exec, s[18:19]
                                        ; implicit-def: $vgpr17
                                        ; implicit-def: $vgpr1
	s_and_saveexec_b64 s[2:3], s[0:1]
	s_xor_b64 s[0:1], exec, s[2:3]
	s_cbranch_execz .LBB175_130
; %bb.129:
	v_pk_mul_f32 v[16:17], v[10:11], 0.5 op_sel_hi:[1,0]
	s_nop 0
	v_cndmask_b32_e64 v1, v10, v16, s[16:17]
	v_cndmask_b32_e64 v17, v11, v17, s[16:17]
                                        ; implicit-def: $vgpr10_vgpr11
	s_andn2_saveexec_b64 s[0:1], s[0:1]
	s_cbranch_execnz .LBB175_131
	s_branch .LBB175_132
.LBB175_130:
	s_andn2_saveexec_b64 s[0:1], s[0:1]
.LBB175_131:
	v_pk_add_f32 v[16:17], v[10:11], v[10:11]
	s_nop 0
	v_mov_b32_e32 v1, v16
.LBB175_132:
	s_or_b64 exec, exec, s[0:1]
.LBB175_133:
	s_andn2_saveexec_b64 s[0:1], s[14:15]
	s_cbranch_execz .LBB175_139
; %bb.134:
	v_sub_f32_e32 v3, v17, v17
	v_cmp_lt_i32_e32 vcc, -1, v16
	s_brev_b32 s14, -2
	v_and_b32_e32 v1, 0x7fffffff, v3
	s_and_saveexec_b64 s[2:3], vcc
	s_xor_b64 s[2:3], exec, s[2:3]
; %bb.135:
	v_bfi_b32 v17, s14, v3, v17
	v_mov_b32_e32 v1, v16
; %bb.136:
	s_andn2_saveexec_b64 s[2:3], s[2:3]
; %bb.137:
	v_bfi_b32 v17, s14, v16, v17
; %bb.138:
	s_or_b64 exec, exec, s[2:3]
.LBB175_139:
	s_or_b64 exec, exec, s[0:1]
.LBB175_140:
	s_andn2_saveexec_b64 s[0:1], s[12:13]
	s_cbranch_execz .LBB175_142
; %bb.141:
	v_sub_f32_e32 v1, v17, v17
	v_div_scale_f32 v3, vcc, v1, v1, v1
	v_rcp_f32_e32 v5, v3
	s_nop 0
	v_fma_f32 v7, -v3, v5, 1.0
	v_fmac_f32_e32 v5, v7, v5
	v_mul_f32_e32 v7, v3, v5
	v_fma_f32 v9, -v3, v7, v3
	v_fmac_f32_e32 v7, v9, v5
	v_fma_f32 v3, -v3, v7, v3
	v_div_fmas_f32 v3, v3, v5, v7
	v_div_fixup_f32 v17, v3, v1, v1
	v_mov_b32_e32 v1, v16
.LBB175_142:
	s_or_b64 exec, exec, s[0:1]
.LBB175_143:
	s_or_b64 exec, exec, s[10:11]
.LBB175_144:
	s_or_b64 exec, exec, s[8:9]
	v_cmp_gt_f32_e32 vcc, 0, v17
                                        ; implicit-def: $vgpr10_vgpr11
	s_nop 1
	v_cndmask_b32_e64 v5, v17, -v17, vcc
	v_cmp_gt_f32_e32 vcc, 0, v1
	s_nop 1
	v_cndmask_b32_e64 v3, v1, -v1, vcc
	v_cmp_ge_f32_e32 vcc, v3, v5
	s_and_saveexec_b64 s[0:1], vcc
	s_xor_b64 s[2:3], exec, s[0:1]
	s_cbranch_execz .LBB175_150
; %bb.145:
	v_cmp_neq_f32_e32 vcc, 0, v1
	v_cmp_neq_f32_e64 s[0:1], 0, v17
	s_or_b64 s[0:1], vcc, s[0:1]
                                        ; implicit-def: $vgpr10_vgpr11
	s_and_saveexec_b64 s[8:9], s[0:1]
	s_xor_b64 s[0:1], exec, s[8:9]
	s_cbranch_execz .LBB175_147
; %bb.146:
	v_div_scale_f32 v3, s[8:9], v1, v1, v17
	v_rcp_f32_e32 v5, v3
	v_div_scale_f32 v7, vcc, v17, v1, v17
	v_fma_f32 v9, -v3, v5, 1.0
	v_fmac_f32_e32 v5, v9, v5
	v_mul_f32_e32 v9, v7, v5
	v_fma_f32 v10, -v3, v9, v7
	v_fmac_f32_e32 v9, v10, v5
	v_fma_f32 v3, -v3, v9, v7
	v_div_fmas_f32 v3, v3, v5, v9
	v_div_fixup_f32 v3, v3, v1, v17
	v_fmac_f32_e32 v1, v17, v3
	v_div_scale_f32 v5, s[8:9], v1, v1, 1.0
	v_rcp_f32_e32 v7, v5
	v_sub_f32_e32 v17, 0, v3
	v_fma_f32 v9, -v5, v7, 1.0
	v_fmac_f32_e32 v7, v9, v7
	v_div_scale_f32 v9, vcc, 1.0, v1, 1.0
	v_mul_f32_e32 v10, v9, v7
	v_fma_f32 v11, -v5, v10, v9
	v_fmac_f32_e32 v10, v11, v7
	v_fma_f32 v5, -v5, v10, v9
	v_div_fmas_f32 v5, v5, v7, v10
	v_div_fixup_f32 v10, v5, v1, 1.0
	v_mul_f32_e32 v1, 0, v3
	v_add_f32_e32 v16, 1.0, v1
	v_pk_mul_f32 v[10:11], v[16:17], v[10:11] op_sel_hi:[1,0]
                                        ; implicit-def: $vgpr5
                                        ; implicit-def: $vgpr3
.LBB175_147:
	s_andn2_saveexec_b64 s[0:1], s[0:1]
	s_cbranch_execz .LBB175_149
; %bb.148:
	v_div_scale_f32 v1, s[8:9], v5, v5, 0
	v_rcp_f32_e32 v7, v1
	v_div_scale_f32 v9, vcc, 0, v5, 0
	v_fma_f32 v10, -v1, v7, 1.0
	v_fmac_f32_e32 v7, v10, v7
	v_mul_f32_e32 v10, v9, v7
	v_fma_f32 v11, -v1, v10, v9
	v_fmac_f32_e32 v10, v11, v7
	v_fma_f32 v1, -v1, v10, v9
	v_div_scale_f32 v9, s[8:9], v3, v3, 1.0
	v_rcp_f32_e32 v13, v9
	v_div_fmas_f32 v1, v1, v7, v10
	v_div_fixup_f32 v11, v1, v5, 0
	v_fma_f32 v1, -v9, v13, 1.0
	v_fmac_f32_e32 v13, v1, v13
	v_div_scale_f32 v1, vcc, 1.0, v3, 1.0
	v_mul_f32_e32 v5, v1, v13
	v_fma_f32 v7, -v9, v5, v1
	v_fmac_f32_e32 v5, v7, v13
	v_fma_f32 v1, -v9, v5, v1
	v_div_fmas_f32 v1, v1, v13, v5
	v_div_fixup_f32 v10, v1, v3, 1.0
.LBB175_149:
	s_or_b64 exec, exec, s[0:1]
                                        ; implicit-def: $vgpr17
                                        ; implicit-def: $vgpr1
.LBB175_150:
	s_andn2_saveexec_b64 s[0:1], s[2:3]
	s_cbranch_execz .LBB175_152
; %bb.151:
	v_div_scale_f32 v3, s[2:3], v17, v17, v1
	v_rcp_f32_e32 v5, v3
	v_div_scale_f32 v7, vcc, v1, v17, v1
	v_fma_f32 v9, -v3, v5, 1.0
	v_fmac_f32_e32 v5, v9, v5
	v_mul_f32_e32 v9, v7, v5
	v_fma_f32 v10, -v3, v9, v7
	v_fmac_f32_e32 v9, v10, v5
	v_fma_f32 v3, -v3, v9, v7
	v_div_fmas_f32 v3, v3, v5, v9
	v_div_fixup_f32 v10, v3, v17, v1
	v_fmac_f32_e32 v17, v1, v10
	v_div_scale_f32 v1, s[2:3], v17, v17, 1.0
	v_rcp_f32_e32 v3, v1
	s_mov_b32 s2, 0
	s_mov_b32 s3, -1.0
	v_mul_f32_e32 v11, 0, v10
	v_fma_f32 v5, -v1, v3, 1.0
	v_fmac_f32_e32 v3, v5, v3
	v_div_scale_f32 v5, vcc, 1.0, v17, 1.0
	v_mul_f32_e32 v7, v5, v3
	v_fma_f32 v9, -v1, v7, v5
	v_fmac_f32_e32 v7, v9, v3
	v_fma_f32 v1, -v1, v7, v5
	v_div_fmas_f32 v1, v1, v3, v7
	v_div_fixup_f32 v16, v1, v17, 1.0
	v_pk_add_f32 v[10:11], v[10:11], s[2:3]
	s_nop 0
	v_pk_mul_f32 v[10:11], v[10:11], v[16:17] op_sel_hi:[1,0]
.LBB175_152:
	s_or_b64 exec, exec, s[0:1]
	global_load_dwordx2 v[16:17], v14, s[6:7]
	v_mov_b32_e32 v1, 0
	s_waitcnt vmcnt(0)
	v_cmp_neq_f32_e32 vcc, 0, v16
	v_cmp_neq_f32_e64 s[0:1], 0, v17
	s_or_b64 s[0:1], vcc, s[0:1]
	s_and_saveexec_b64 s[8:9], s[0:1]
	s_cbranch_execz .LBB175_182
; %bb.153:
	v_mov_b32_e32 v1, 0x7f800000
	v_cmp_neq_f32_e64 s[0:1], |v17|, v1
	s_and_saveexec_b64 s[10:11], s[0:1]
	s_cbranch_execz .LBB175_181
; %bb.154:
	v_cmp_o_f32_e32 vcc, v16, v16
                                        ; implicit-def: $vgpr1
	s_and_saveexec_b64 s[0:1], vcc
	s_xor_b64 s[12:13], exec, s[0:1]
	s_cbranch_execz .LBB175_178
; %bb.155:
	s_mov_b32 s0, 0x7f800000
	v_cmp_neq_f32_e64 s[0:1], |v16|, s0
                                        ; implicit-def: $vgpr1
	s_and_saveexec_b64 s[2:3], s[0:1]
	s_xor_b64 s[14:15], exec, s[2:3]
	s_cbranch_execz .LBB175_171
; %bb.156:
	v_max_f32_e64 v1, |v17|, |v17|
	v_max_f32_e64 v3, |v16|, |v16|
	v_max_f32_e32 v1, v3, v1
	s_mov_b32 s0, 0x7ed413cb
	v_cmp_nle_f32_e64 s[0:1], s0, v1
                                        ; implicit-def: $sgpr16_sgpr17
	s_and_saveexec_b64 s[2:3], s[0:1]
	s_xor_b64 s[2:3], exec, s[2:3]
	s_cbranch_execz .LBB175_160
; %bb.157:
	s_mov_b32 s18, 0x1000000
	v_cmp_le_f32_e64 s[16:17], |v16|, s18
	v_cmp_le_f32_e64 s[18:19], |v17|, s18
	s_and_b64 s[20:21], s[16:17], s[18:19]
	s_mov_b64 s[16:17], 0
	s_and_saveexec_b64 s[18:19], s[20:21]
; %bb.158:
	v_mov_b32_e32 v14, v17
	v_mov_b32_e32 v15, v16
	v_pk_mul_f32 v[14:15], v[14:15], 4.0 op_sel_hi:[1,0]
	s_mov_b64 s[16:17], exec
	v_mov_b32_e32 v16, v15
	v_mov_b32_e32 v17, v14
; %bb.159:
	s_or_b64 exec, exec, s[18:19]
.LBB175_160:
	s_andn2_saveexec_b64 s[2:3], s[2:3]
; %bb.161:
	v_mov_b32_e32 v14, v17
	v_mov_b32_e32 v15, v16
	s_mov_b32 s18, 0x3e800000
	v_pk_mul_f32 v[14:15], v[14:15], s[18:19] op_sel_hi:[1,0]
	s_andn2_b64 s[16:17], s[16:17], exec
	v_mov_b32_e32 v17, v14
	v_mov_b32_e32 v16, v15
; %bb.162:
	s_or_b64 exec, exec, s[2:3]
	v_max_f32_e64 v1, |v17|, |v17|
	v_max_f32_e64 v3, |v16|, |v16|
	v_max_f32_e32 v1, v3, v1
	v_cvt_f64_f32_e32 v[14:15], v1
	v_frexp_exp_i32_f64_e32 v3, v[14:15]
	v_sub_u32_e32 v5, 0, v3
	v_ldexp_f32 v7, |v16|, v5
	v_ldexp_f32 v5, |v17|, v5
	v_mul_f32_e32 v5, v5, v5
	v_fmac_f32_e32 v5, v7, v7
	v_sqrt_f32_e32 v5, v5
	s_mov_b32 s2, 0x7f800000
	v_cmp_neq_f32_e64 s[2:3], s2, v1
	v_cmp_le_f32_e32 vcc, 0, v16
	v_ldexp_f32 v3, v5, v3
	v_mov_b32_e32 v5, 0x7f800000
	v_cndmask_b32_e64 v1, v5, v3, s[2:3]
                                        ; implicit-def: $vgpr14_vgpr15
	s_and_saveexec_b64 s[2:3], vcc
	s_xor_b64 s[18:19], exec, s[2:3]
	s_cbranch_execz .LBB175_164
; %bb.163:
	v_add_f32_e32 v1, v16, v1
	v_mul_f32_e32 v1, 0.5, v1
	s_mov_b32 s2, 0xf800000
	v_mul_f32_e32 v3, 0x4f800000, v1
	v_cmp_gt_f32_e32 vcc, s2, v1
	s_nop 1
	v_cndmask_b32_e32 v1, v1, v3, vcc
	v_sqrt_f32_e32 v3, v1
	s_nop 0
	v_add_u32_e32 v5, -1, v3
	v_fma_f32 v7, -v5, v3, v1
	v_cmp_ge_f32_e64 s[2:3], 0, v7
	v_add_u32_e32 v7, 1, v3
	s_nop 0
	v_cndmask_b32_e64 v5, v3, v5, s[2:3]
	v_fma_f32 v3, -v7, v3, v1
	v_cmp_lt_f32_e64 s[2:3], 0, v3
	s_nop 1
	v_cndmask_b32_e64 v3, v5, v7, s[2:3]
	v_mul_f32_e32 v5, 0x37800000, v3
	v_cndmask_b32_e32 v3, v3, v5, vcc
	v_mov_b32_e32 v5, 0x260
	v_cmp_class_f32_e32 vcc, v1, v5
	s_nop 1
	v_cndmask_b32_e32 v14, v3, v1, vcc
	v_add_f32_e32 v1, v14, v14
	v_div_scale_f32 v3, s[2:3], v1, v1, v17
	v_rcp_f32_e32 v5, v3
	s_nop 0
	v_fma_f32 v7, -v3, v5, 1.0
	v_fmac_f32_e32 v5, v7, v5
	v_div_scale_f32 v7, vcc, v17, v1, v17
	v_mul_f32_e32 v9, v7, v5
	v_fma_f32 v13, -v3, v9, v7
	v_fmac_f32_e32 v9, v13, v5
	v_fma_f32 v3, -v3, v9, v7
	v_div_fmas_f32 v3, v3, v5, v9
	v_div_fixup_f32 v15, v3, v1, v17
                                        ; implicit-def: $vgpr1
                                        ; implicit-def: $vgpr16
	s_andn2_saveexec_b64 s[18:19], s[18:19]
	s_cbranch_execz .LBB175_166
	s_branch .LBB175_165
.LBB175_164:
	s_andn2_saveexec_b64 s[18:19], s[18:19]
	s_cbranch_execz .LBB175_166
.LBB175_165:
	v_sub_f32_e32 v1, v1, v16
	v_mul_f32_e32 v1, 0.5, v1
	s_mov_b32 s2, 0xf800000
	v_mul_f32_e32 v3, 0x4f800000, v1
	v_cmp_gt_f32_e32 vcc, s2, v1
	s_nop 1
	v_cndmask_b32_e32 v1, v1, v3, vcc
	v_sqrt_f32_e32 v3, v1
	s_nop 0
	v_add_u32_e32 v5, -1, v3
	v_fma_f32 v7, -v5, v3, v1
	v_cmp_ge_f32_e64 s[2:3], 0, v7
	v_add_u32_e32 v7, 1, v3
	s_nop 0
	v_cndmask_b32_e64 v5, v3, v5, s[2:3]
	v_fma_f32 v3, -v7, v3, v1
	v_cmp_lt_f32_e64 s[2:3], 0, v3
	s_nop 1
	v_cndmask_b32_e64 v3, v5, v7, s[2:3]
	v_mul_f32_e32 v5, 0x37800000, v3
	v_cndmask_b32_e32 v3, v3, v5, vcc
	v_mov_b32_e32 v5, 0x260
	v_cmp_class_f32_e32 vcc, v1, v5
	v_and_b32_e32 v5, 0x7fffffff, v17
	s_nop 0
	v_cndmask_b32_e32 v1, v3, v1, vcc
	v_add_f32_e32 v3, v1, v1
	v_div_scale_f32 v7, s[2:3], v3, v3, v5
	v_rcp_f32_e32 v9, v7
	v_div_scale_f32 v5, vcc, v5, v3, v5
	s_brev_b32 s2, -2
	v_fma_f32 v13, -v7, v9, 1.0
	v_fmac_f32_e32 v9, v13, v9
	v_mul_f32_e32 v13, v5, v9
	v_fma_f32 v14, -v7, v13, v5
	v_fmac_f32_e32 v13, v14, v9
	v_fma_f32 v5, -v7, v13, v5
	v_div_fmas_f32 v5, v5, v9, v13
	v_div_fixup_f32 v14, v5, v3, |v17|
	v_bfi_b32 v15, s2, v1, v17
.LBB175_166:
	s_or_b64 exec, exec, s[18:19]
                                        ; implicit-def: $vgpr17
                                        ; implicit-def: $vgpr1
	s_and_saveexec_b64 s[2:3], s[0:1]
	s_xor_b64 s[0:1], exec, s[2:3]
	s_cbranch_execz .LBB175_168
; %bb.167:
	v_pk_mul_f32 v[16:17], v[14:15], 0.5 op_sel_hi:[1,0]
	s_nop 0
	v_cndmask_b32_e64 v1, v14, v16, s[16:17]
	v_cndmask_b32_e64 v17, v15, v17, s[16:17]
                                        ; implicit-def: $vgpr14_vgpr15
	s_andn2_saveexec_b64 s[0:1], s[0:1]
	s_cbranch_execnz .LBB175_169
	s_branch .LBB175_170
.LBB175_168:
	s_andn2_saveexec_b64 s[0:1], s[0:1]
.LBB175_169:
	v_pk_add_f32 v[16:17], v[14:15], v[14:15]
	s_nop 0
	v_mov_b32_e32 v1, v16
.LBB175_170:
	s_or_b64 exec, exec, s[0:1]
.LBB175_171:
	s_andn2_saveexec_b64 s[0:1], s[14:15]
	s_cbranch_execz .LBB175_177
; %bb.172:
	v_sub_f32_e32 v3, v17, v17
	v_cmp_lt_i32_e32 vcc, -1, v16
	s_brev_b32 s14, -2
	v_and_b32_e32 v1, 0x7fffffff, v3
	s_and_saveexec_b64 s[2:3], vcc
	s_xor_b64 s[2:3], exec, s[2:3]
; %bb.173:
	v_bfi_b32 v17, s14, v3, v17
	v_mov_b32_e32 v1, v16
; %bb.174:
	s_andn2_saveexec_b64 s[2:3], s[2:3]
; %bb.175:
	v_bfi_b32 v17, s14, v16, v17
; %bb.176:
	s_or_b64 exec, exec, s[2:3]
.LBB175_177:
	s_or_b64 exec, exec, s[0:1]
.LBB175_178:
	s_andn2_saveexec_b64 s[0:1], s[12:13]
	s_cbranch_execz .LBB175_180
; %bb.179:
	v_sub_f32_e32 v1, v17, v17
	v_div_scale_f32 v3, vcc, v1, v1, v1
	v_rcp_f32_e32 v5, v3
	s_nop 0
	v_fma_f32 v7, -v3, v5, 1.0
	v_fmac_f32_e32 v5, v7, v5
	v_mul_f32_e32 v7, v3, v5
	v_fma_f32 v9, -v3, v7, v3
	v_fmac_f32_e32 v7, v9, v5
	v_fma_f32 v3, -v3, v7, v3
	v_div_fmas_f32 v3, v3, v5, v7
	v_div_fixup_f32 v17, v3, v1, v1
	v_mov_b32_e32 v1, v16
.LBB175_180:
	s_or_b64 exec, exec, s[0:1]
.LBB175_181:
	s_or_b64 exec, exec, s[10:11]
.LBB175_182:
	s_or_b64 exec, exec, s[8:9]
	v_cmp_gt_f32_e32 vcc, 0, v17
                                        ; implicit-def: $vgpr14_vgpr15
	s_nop 1
	v_cndmask_b32_e64 v5, v17, -v17, vcc
	v_cmp_gt_f32_e32 vcc, 0, v1
	s_nop 1
	v_cndmask_b32_e64 v3, v1, -v1, vcc
	v_cmp_ge_f32_e32 vcc, v3, v5
	s_and_saveexec_b64 s[0:1], vcc
	s_xor_b64 s[2:3], exec, s[0:1]
	s_cbranch_execz .LBB175_188
; %bb.183:
	v_cmp_neq_f32_e32 vcc, 0, v1
	v_cmp_neq_f32_e64 s[0:1], 0, v17
	s_or_b64 s[0:1], vcc, s[0:1]
                                        ; implicit-def: $vgpr14_vgpr15
	s_and_saveexec_b64 s[8:9], s[0:1]
	s_xor_b64 s[0:1], exec, s[8:9]
	s_cbranch_execz .LBB175_185
; %bb.184:
	v_div_scale_f32 v3, s[8:9], v1, v1, v17
	v_rcp_f32_e32 v5, v3
	v_div_scale_f32 v7, vcc, v17, v1, v17
	v_fma_f32 v9, -v3, v5, 1.0
	v_fmac_f32_e32 v5, v9, v5
	v_mul_f32_e32 v9, v7, v5
	v_fma_f32 v13, -v3, v9, v7
	v_fmac_f32_e32 v9, v13, v5
	v_fma_f32 v3, -v3, v9, v7
	v_div_fmas_f32 v3, v3, v5, v9
	v_div_fixup_f32 v3, v3, v1, v17
	v_fmac_f32_e32 v1, v17, v3
	v_div_scale_f32 v5, s[8:9], v1, v1, 1.0
	v_rcp_f32_e32 v7, v5
	v_sub_f32_e32 v17, 0, v3
	v_fma_f32 v9, -v5, v7, 1.0
	v_fmac_f32_e32 v7, v9, v7
	v_div_scale_f32 v9, vcc, 1.0, v1, 1.0
	v_mul_f32_e32 v13, v9, v7
	v_fma_f32 v14, -v5, v13, v9
	v_fmac_f32_e32 v13, v14, v7
	v_fma_f32 v5, -v5, v13, v9
	v_div_fmas_f32 v5, v5, v7, v13
	v_div_fixup_f32 v14, v5, v1, 1.0
	v_mul_f32_e32 v1, 0, v3
	v_add_f32_e32 v16, 1.0, v1
	v_pk_mul_f32 v[14:15], v[16:17], v[14:15] op_sel_hi:[1,0]
                                        ; implicit-def: $vgpr5
                                        ; implicit-def: $vgpr3
.LBB175_185:
	s_andn2_saveexec_b64 s[0:1], s[0:1]
	s_cbranch_execz .LBB175_187
; %bb.186:
	v_div_scale_f32 v1, s[8:9], v5, v5, 0
	v_rcp_f32_e32 v7, v1
	v_div_scale_f32 v9, vcc, 0, v5, 0
	v_fma_f32 v13, -v1, v7, 1.0
	v_fmac_f32_e32 v7, v13, v7
	v_mul_f32_e32 v13, v9, v7
	v_fma_f32 v14, -v1, v13, v9
	v_fmac_f32_e32 v13, v14, v7
	v_fma_f32 v1, -v1, v13, v9
	v_div_scale_f32 v9, s[8:9], v3, v3, 1.0
	v_rcp_f32_e32 v14, v9
	v_div_fmas_f32 v1, v1, v7, v13
	v_div_fixup_f32 v15, v1, v5, 0
	v_fma_f32 v1, -v9, v14, 1.0
	v_fmac_f32_e32 v14, v1, v14
	v_div_scale_f32 v1, vcc, 1.0, v3, 1.0
	v_mul_f32_e32 v5, v1, v14
	v_fma_f32 v7, -v9, v5, v1
	v_fmac_f32_e32 v5, v7, v14
	v_fma_f32 v1, -v9, v5, v1
	v_div_fmas_f32 v1, v1, v14, v5
	v_div_fixup_f32 v14, v1, v3, 1.0
.LBB175_187:
	s_or_b64 exec, exec, s[0:1]
                                        ; implicit-def: $vgpr17
                                        ; implicit-def: $vgpr1
.LBB175_188:
	s_andn2_saveexec_b64 s[0:1], s[2:3]
	s_cbranch_execz .LBB175_190
; %bb.189:
	v_div_scale_f32 v3, s[2:3], v17, v17, v1
	v_rcp_f32_e32 v5, v3
	v_div_scale_f32 v7, vcc, v1, v17, v1
	v_fma_f32 v9, -v3, v5, 1.0
	v_fmac_f32_e32 v5, v9, v5
	v_mul_f32_e32 v9, v7, v5
	v_fma_f32 v13, -v3, v9, v7
	v_fmac_f32_e32 v9, v13, v5
	v_fma_f32 v3, -v3, v9, v7
	v_div_fmas_f32 v3, v3, v5, v9
	v_div_fixup_f32 v14, v3, v17, v1
	v_fmac_f32_e32 v17, v1, v14
	v_div_scale_f32 v1, s[2:3], v17, v17, 1.0
	v_rcp_f32_e32 v3, v1
	s_mov_b32 s2, 0
	s_mov_b32 s3, -1.0
	v_mul_f32_e32 v15, 0, v14
	v_fma_f32 v5, -v1, v3, 1.0
	v_fmac_f32_e32 v3, v5, v3
	v_div_scale_f32 v5, vcc, 1.0, v17, 1.0
	v_mul_f32_e32 v7, v5, v3
	v_fma_f32 v9, -v1, v7, v5
	v_fmac_f32_e32 v7, v9, v3
	v_fma_f32 v1, -v1, v7, v5
	v_div_fmas_f32 v1, v1, v3, v7
	v_div_fixup_f32 v16, v1, v17, 1.0
	v_pk_add_f32 v[14:15], v[14:15], s[2:3]
	s_nop 0
	v_pk_mul_f32 v[14:15], v[14:15], v[16:17] op_sel_hi:[1,0]
.LBB175_190:
	s_or_b64 exec, exec, s[0:1]
	global_load_dwordx2 v[16:17], v12, s[6:7]
	v_mov_b32_e32 v1, 0
	s_waitcnt vmcnt(0)
	v_cmp_neq_f32_e32 vcc, 0, v16
	v_cmp_neq_f32_e64 s[0:1], 0, v17
	s_or_b64 s[0:1], vcc, s[0:1]
	s_and_saveexec_b64 s[8:9], s[0:1]
	s_cbranch_execz .LBB175_220
; %bb.191:
	v_mov_b32_e32 v1, 0x7f800000
	v_cmp_neq_f32_e64 s[0:1], |v17|, v1
	s_and_saveexec_b64 s[10:11], s[0:1]
	s_cbranch_execz .LBB175_219
; %bb.192:
	v_cmp_o_f32_e32 vcc, v16, v16
                                        ; implicit-def: $vgpr1
	s_and_saveexec_b64 s[0:1], vcc
	s_xor_b64 s[12:13], exec, s[0:1]
	s_cbranch_execz .LBB175_216
; %bb.193:
	s_mov_b32 s0, 0x7f800000
	v_cmp_neq_f32_e64 s[0:1], |v16|, s0
                                        ; implicit-def: $vgpr1
	s_and_saveexec_b64 s[2:3], s[0:1]
	s_xor_b64 s[14:15], exec, s[2:3]
	s_cbranch_execz .LBB175_209
; %bb.194:
	v_max_f32_e64 v1, |v17|, |v17|
	v_max_f32_e64 v3, |v16|, |v16|
	v_max_f32_e32 v1, v3, v1
	s_mov_b32 s0, 0x7ed413cb
	v_cmp_nle_f32_e64 s[0:1], s0, v1
                                        ; implicit-def: $sgpr16_sgpr17
	s_and_saveexec_b64 s[2:3], s[0:1]
	s_xor_b64 s[2:3], exec, s[2:3]
	s_cbranch_execz .LBB175_198
; %bb.195:
	s_mov_b32 s18, 0x1000000
	v_cmp_le_f32_e64 s[16:17], |v16|, s18
	v_cmp_le_f32_e64 s[18:19], |v17|, s18
	s_and_b64 s[20:21], s[16:17], s[18:19]
	s_mov_b64 s[16:17], 0
	s_and_saveexec_b64 s[18:19], s[20:21]
; %bb.196:
	v_mov_b32_e32 v12, v17
	v_mov_b32_e32 v13, v16
	v_pk_mul_f32 v[12:13], v[12:13], 4.0 op_sel_hi:[1,0]
	s_mov_b64 s[16:17], exec
	v_mov_b32_e32 v16, v13
	v_mov_b32_e32 v17, v12
; %bb.197:
	s_or_b64 exec, exec, s[18:19]
.LBB175_198:
	s_andn2_saveexec_b64 s[2:3], s[2:3]
; %bb.199:
	v_mov_b32_e32 v12, v17
	v_mov_b32_e32 v13, v16
	s_mov_b32 s18, 0x3e800000
	v_pk_mul_f32 v[12:13], v[12:13], s[18:19] op_sel_hi:[1,0]
	s_andn2_b64 s[16:17], s[16:17], exec
	v_mov_b32_e32 v17, v12
	v_mov_b32_e32 v16, v13
; %bb.200:
	s_or_b64 exec, exec, s[2:3]
	v_max_f32_e64 v1, |v17|, |v17|
	v_max_f32_e64 v3, |v16|, |v16|
	v_max_f32_e32 v1, v3, v1
	v_cvt_f64_f32_e32 v[12:13], v1
	v_frexp_exp_i32_f64_e32 v3, v[12:13]
	v_sub_u32_e32 v5, 0, v3
	v_ldexp_f32 v7, |v16|, v5
	v_ldexp_f32 v5, |v17|, v5
	v_mul_f32_e32 v5, v5, v5
	v_fmac_f32_e32 v5, v7, v7
	v_sqrt_f32_e32 v5, v5
	s_mov_b32 s2, 0x7f800000
	v_cmp_neq_f32_e64 s[2:3], s2, v1
	v_cmp_le_f32_e32 vcc, 0, v16
	v_ldexp_f32 v3, v5, v3
	v_mov_b32_e32 v5, 0x7f800000
	v_cndmask_b32_e64 v1, v5, v3, s[2:3]
                                        ; implicit-def: $vgpr12_vgpr13
	s_and_saveexec_b64 s[2:3], vcc
	s_xor_b64 s[18:19], exec, s[2:3]
	s_cbranch_execz .LBB175_202
; %bb.201:
	v_add_f32_e32 v1, v16, v1
	v_mul_f32_e32 v1, 0.5, v1
	s_mov_b32 s2, 0xf800000
	v_mul_f32_e32 v3, 0x4f800000, v1
	v_cmp_gt_f32_e32 vcc, s2, v1
	s_nop 1
	v_cndmask_b32_e32 v1, v1, v3, vcc
	v_sqrt_f32_e32 v3, v1
	s_nop 0
	v_add_u32_e32 v5, -1, v3
	v_fma_f32 v7, -v5, v3, v1
	v_cmp_ge_f32_e64 s[2:3], 0, v7
	v_add_u32_e32 v7, 1, v3
	s_nop 0
	v_cndmask_b32_e64 v5, v3, v5, s[2:3]
	v_fma_f32 v3, -v7, v3, v1
	v_cmp_lt_f32_e64 s[2:3], 0, v3
	s_nop 1
	v_cndmask_b32_e64 v3, v5, v7, s[2:3]
	v_mul_f32_e32 v5, 0x37800000, v3
	v_cndmask_b32_e32 v3, v3, v5, vcc
	v_mov_b32_e32 v5, 0x260
	v_cmp_class_f32_e32 vcc, v1, v5
	s_nop 1
	v_cndmask_b32_e32 v12, v3, v1, vcc
	v_add_f32_e32 v1, v12, v12
	v_div_scale_f32 v3, s[2:3], v1, v1, v17
	v_rcp_f32_e32 v5, v3
	s_nop 0
	v_fma_f32 v7, -v3, v5, 1.0
	v_fmac_f32_e32 v5, v7, v5
	v_div_scale_f32 v7, vcc, v17, v1, v17
	v_mul_f32_e32 v9, v7, v5
	v_fma_f32 v13, -v3, v9, v7
	v_fmac_f32_e32 v9, v13, v5
	v_fma_f32 v3, -v3, v9, v7
	v_div_fmas_f32 v3, v3, v5, v9
	v_div_fixup_f32 v13, v3, v1, v17
                                        ; implicit-def: $vgpr1
                                        ; implicit-def: $vgpr16
	s_andn2_saveexec_b64 s[18:19], s[18:19]
	s_cbranch_execz .LBB175_204
	s_branch .LBB175_203
.LBB175_202:
	s_andn2_saveexec_b64 s[18:19], s[18:19]
	s_cbranch_execz .LBB175_204
.LBB175_203:
	v_sub_f32_e32 v1, v1, v16
	v_mul_f32_e32 v1, 0.5, v1
	s_mov_b32 s2, 0xf800000
	v_mul_f32_e32 v3, 0x4f800000, v1
	v_cmp_gt_f32_e32 vcc, s2, v1
	s_nop 1
	v_cndmask_b32_e32 v1, v1, v3, vcc
	v_sqrt_f32_e32 v3, v1
	s_nop 0
	v_add_u32_e32 v5, -1, v3
	v_fma_f32 v7, -v5, v3, v1
	v_cmp_ge_f32_e64 s[2:3], 0, v7
	v_add_u32_e32 v7, 1, v3
	s_nop 0
	v_cndmask_b32_e64 v5, v3, v5, s[2:3]
	v_fma_f32 v3, -v7, v3, v1
	v_cmp_lt_f32_e64 s[2:3], 0, v3
	s_nop 1
	v_cndmask_b32_e64 v3, v5, v7, s[2:3]
	v_mul_f32_e32 v5, 0x37800000, v3
	v_cndmask_b32_e32 v3, v3, v5, vcc
	v_mov_b32_e32 v5, 0x260
	v_cmp_class_f32_e32 vcc, v1, v5
	v_and_b32_e32 v5, 0x7fffffff, v17
	s_nop 0
	v_cndmask_b32_e32 v1, v3, v1, vcc
	v_add_f32_e32 v3, v1, v1
	v_div_scale_f32 v7, s[2:3], v3, v3, v5
	v_rcp_f32_e32 v9, v7
	v_div_scale_f32 v5, vcc, v5, v3, v5
	s_brev_b32 s2, -2
	v_fma_f32 v12, -v7, v9, 1.0
	v_fmac_f32_e32 v9, v12, v9
	v_mul_f32_e32 v12, v5, v9
	v_fma_f32 v13, -v7, v12, v5
	v_fmac_f32_e32 v12, v13, v9
	v_fma_f32 v5, -v7, v12, v5
	v_div_fmas_f32 v5, v5, v9, v12
	v_div_fixup_f32 v12, v5, v3, |v17|
	v_bfi_b32 v13, s2, v1, v17
.LBB175_204:
	s_or_b64 exec, exec, s[18:19]
                                        ; implicit-def: $vgpr17
                                        ; implicit-def: $vgpr1
	s_and_saveexec_b64 s[2:3], s[0:1]
	s_xor_b64 s[0:1], exec, s[2:3]
	s_cbranch_execz .LBB175_206
; %bb.205:
	v_pk_mul_f32 v[16:17], v[12:13], 0.5 op_sel_hi:[1,0]
	s_nop 0
	v_cndmask_b32_e64 v1, v12, v16, s[16:17]
	v_cndmask_b32_e64 v17, v13, v17, s[16:17]
                                        ; implicit-def: $vgpr12_vgpr13
	s_andn2_saveexec_b64 s[0:1], s[0:1]
	s_cbranch_execnz .LBB175_207
	s_branch .LBB175_208
.LBB175_206:
	s_andn2_saveexec_b64 s[0:1], s[0:1]
.LBB175_207:
	v_pk_add_f32 v[16:17], v[12:13], v[12:13]
	s_nop 0
	v_mov_b32_e32 v1, v16
.LBB175_208:
	s_or_b64 exec, exec, s[0:1]
.LBB175_209:
	s_andn2_saveexec_b64 s[0:1], s[14:15]
	s_cbranch_execz .LBB175_215
; %bb.210:
	v_sub_f32_e32 v3, v17, v17
	v_cmp_lt_i32_e32 vcc, -1, v16
	s_brev_b32 s14, -2
	v_and_b32_e32 v1, 0x7fffffff, v3
	s_and_saveexec_b64 s[2:3], vcc
	s_xor_b64 s[2:3], exec, s[2:3]
; %bb.211:
	v_bfi_b32 v17, s14, v3, v17
	v_mov_b32_e32 v1, v16
; %bb.212:
	s_andn2_saveexec_b64 s[2:3], s[2:3]
; %bb.213:
	v_bfi_b32 v17, s14, v16, v17
; %bb.214:
	s_or_b64 exec, exec, s[2:3]
.LBB175_215:
	s_or_b64 exec, exec, s[0:1]
.LBB175_216:
	s_andn2_saveexec_b64 s[0:1], s[12:13]
	s_cbranch_execz .LBB175_218
; %bb.217:
	v_sub_f32_e32 v1, v17, v17
	v_div_scale_f32 v3, vcc, v1, v1, v1
	v_rcp_f32_e32 v5, v3
	s_nop 0
	v_fma_f32 v7, -v3, v5, 1.0
	v_fmac_f32_e32 v5, v7, v5
	v_mul_f32_e32 v7, v3, v5
	v_fma_f32 v9, -v3, v7, v3
	v_fmac_f32_e32 v7, v9, v5
	v_fma_f32 v3, -v3, v7, v3
	v_div_fmas_f32 v3, v3, v5, v7
	v_div_fixup_f32 v17, v3, v1, v1
	v_mov_b32_e32 v1, v16
.LBB175_218:
	s_or_b64 exec, exec, s[0:1]
.LBB175_219:
	s_or_b64 exec, exec, s[10:11]
.LBB175_220:
	s_or_b64 exec, exec, s[8:9]
	v_cmp_gt_f32_e32 vcc, 0, v17
                                        ; implicit-def: $vgpr12_vgpr13
	s_nop 1
	v_cndmask_b32_e64 v5, v17, -v17, vcc
	v_cmp_gt_f32_e32 vcc, 0, v1
	s_nop 1
	v_cndmask_b32_e64 v3, v1, -v1, vcc
	v_cmp_ge_f32_e32 vcc, v3, v5
	s_and_saveexec_b64 s[0:1], vcc
	s_xor_b64 s[2:3], exec, s[0:1]
	s_cbranch_execz .LBB175_226
; %bb.221:
	v_cmp_neq_f32_e32 vcc, 0, v1
	v_cmp_neq_f32_e64 s[0:1], 0, v17
	s_or_b64 s[0:1], vcc, s[0:1]
                                        ; implicit-def: $vgpr12_vgpr13
	s_and_saveexec_b64 s[8:9], s[0:1]
	s_xor_b64 s[0:1], exec, s[8:9]
	s_cbranch_execz .LBB175_223
; %bb.222:
	v_div_scale_f32 v3, s[8:9], v1, v1, v17
	v_rcp_f32_e32 v5, v3
	v_div_scale_f32 v7, vcc, v17, v1, v17
	v_fma_f32 v9, -v3, v5, 1.0
	v_fmac_f32_e32 v5, v9, v5
	v_mul_f32_e32 v9, v7, v5
	v_fma_f32 v12, -v3, v9, v7
	v_fmac_f32_e32 v9, v12, v5
	v_fma_f32 v3, -v3, v9, v7
	v_div_fmas_f32 v3, v3, v5, v9
	v_div_fixup_f32 v3, v3, v1, v17
	v_fmac_f32_e32 v1, v17, v3
	v_div_scale_f32 v5, s[8:9], v1, v1, 1.0
	v_rcp_f32_e32 v7, v5
	v_sub_f32_e32 v17, 0, v3
	v_fma_f32 v9, -v5, v7, 1.0
	v_fmac_f32_e32 v7, v9, v7
	v_div_scale_f32 v9, vcc, 1.0, v1, 1.0
	v_mul_f32_e32 v12, v9, v7
	v_fma_f32 v13, -v5, v12, v9
	v_fmac_f32_e32 v12, v13, v7
	v_fma_f32 v5, -v5, v12, v9
	v_div_fmas_f32 v5, v5, v7, v12
	v_div_fixup_f32 v12, v5, v1, 1.0
	v_mul_f32_e32 v1, 0, v3
	v_add_f32_e32 v16, 1.0, v1
	v_pk_mul_f32 v[12:13], v[16:17], v[12:13] op_sel_hi:[1,0]
                                        ; implicit-def: $vgpr5
                                        ; implicit-def: $vgpr3
.LBB175_223:
	s_andn2_saveexec_b64 s[0:1], s[0:1]
	s_cbranch_execz .LBB175_225
; %bb.224:
	v_div_scale_f32 v1, s[8:9], v5, v5, 0
	v_rcp_f32_e32 v7, v1
	v_div_scale_f32 v9, vcc, 0, v5, 0
	v_fma_f32 v12, -v1, v7, 1.0
	v_fmac_f32_e32 v7, v12, v7
	v_mul_f32_e32 v12, v9, v7
	v_fma_f32 v13, -v1, v12, v9
	v_fmac_f32_e32 v12, v13, v7
	v_fma_f32 v1, -v1, v12, v9
	v_div_scale_f32 v9, s[8:9], v3, v3, 1.0
	v_rcp_f32_e32 v16, v9
	v_div_fmas_f32 v1, v1, v7, v12
	v_div_fixup_f32 v13, v1, v5, 0
	v_fma_f32 v1, -v9, v16, 1.0
	v_fmac_f32_e32 v16, v1, v16
	v_div_scale_f32 v1, vcc, 1.0, v3, 1.0
	v_mul_f32_e32 v5, v1, v16
	v_fma_f32 v7, -v9, v5, v1
	v_fmac_f32_e32 v5, v7, v16
	v_fma_f32 v1, -v9, v5, v1
	v_div_fmas_f32 v1, v1, v16, v5
	v_div_fixup_f32 v12, v1, v3, 1.0
.LBB175_225:
	s_or_b64 exec, exec, s[0:1]
                                        ; implicit-def: $vgpr17
                                        ; implicit-def: $vgpr1
.LBB175_226:
	s_andn2_saveexec_b64 s[0:1], s[2:3]
	s_cbranch_execz .LBB175_228
; %bb.227:
	v_div_scale_f32 v3, s[2:3], v17, v17, v1
	v_rcp_f32_e32 v5, v3
	v_div_scale_f32 v7, vcc, v1, v17, v1
	v_fma_f32 v9, -v3, v5, 1.0
	v_fmac_f32_e32 v5, v9, v5
	v_mul_f32_e32 v9, v7, v5
	v_fma_f32 v12, -v3, v9, v7
	v_fmac_f32_e32 v9, v12, v5
	v_fma_f32 v3, -v3, v9, v7
	v_div_fmas_f32 v3, v3, v5, v9
	v_div_fixup_f32 v12, v3, v17, v1
	v_fmac_f32_e32 v17, v1, v12
	v_div_scale_f32 v1, s[2:3], v17, v17, 1.0
	v_rcp_f32_e32 v3, v1
	s_mov_b32 s2, 0
	s_mov_b32 s3, -1.0
	v_mul_f32_e32 v13, 0, v12
	v_fma_f32 v5, -v1, v3, 1.0
	v_fmac_f32_e32 v3, v5, v3
	v_div_scale_f32 v5, vcc, 1.0, v17, 1.0
	v_mul_f32_e32 v7, v5, v3
	v_fma_f32 v9, -v1, v7, v5
	v_fmac_f32_e32 v7, v9, v3
	v_fma_f32 v1, -v1, v7, v5
	v_div_fmas_f32 v1, v1, v3, v7
	v_div_fixup_f32 v16, v1, v17, 1.0
	v_pk_add_f32 v[12:13], v[12:13], s[2:3]
	s_nop 0
	v_pk_mul_f32 v[12:13], v[12:13], v[16:17] op_sel_hi:[1,0]
.LBB175_228:
	s_or_b64 exec, exec, s[0:1]
	global_load_dwordx2 v[8:9], v8, s[6:7]
	v_mov_b32_e32 v1, 0
	s_waitcnt vmcnt(0)
	v_cmp_neq_f32_e32 vcc, 0, v8
	v_cmp_neq_f32_e64 s[0:1], 0, v9
	s_or_b64 s[0:1], vcc, s[0:1]
	s_and_saveexec_b64 s[6:7], s[0:1]
	s_cbranch_execz .LBB175_258
; %bb.229:
	v_mov_b32_e32 v1, 0x7f800000
	v_cmp_neq_f32_e64 s[0:1], |v9|, v1
	s_and_saveexec_b64 s[8:9], s[0:1]
	s_cbranch_execz .LBB175_257
; %bb.230:
	v_cmp_o_f32_e32 vcc, v8, v8
                                        ; implicit-def: $vgpr1
	s_and_saveexec_b64 s[0:1], vcc
	s_xor_b64 s[10:11], exec, s[0:1]
	s_cbranch_execz .LBB175_254
; %bb.231:
	s_mov_b32 s0, 0x7f800000
	v_cmp_neq_f32_e64 s[0:1], |v8|, s0
                                        ; implicit-def: $vgpr1
	s_and_saveexec_b64 s[2:3], s[0:1]
	s_xor_b64 s[12:13], exec, s[2:3]
	s_cbranch_execz .LBB175_247
; %bb.232:
	v_max_f32_e64 v1, |v9|, |v9|
	v_max_f32_e64 v3, |v8|, |v8|
	v_max_f32_e32 v1, v3, v1
	s_mov_b32 s0, 0x7ed413cb
	v_cmp_nle_f32_e64 s[0:1], s0, v1
                                        ; implicit-def: $sgpr14_sgpr15
	s_and_saveexec_b64 s[2:3], s[0:1]
	s_xor_b64 s[2:3], exec, s[2:3]
	s_cbranch_execz .LBB175_236
; %bb.233:
	s_mov_b32 s16, 0x1000000
	v_cmp_le_f32_e64 s[14:15], |v8|, s16
	v_cmp_le_f32_e64 s[16:17], |v9|, s16
	s_and_b64 s[18:19], s[14:15], s[16:17]
	s_mov_b64 s[14:15], 0
	s_and_saveexec_b64 s[16:17], s[18:19]
; %bb.234:
	v_mov_b32_e32 v16, v9
	v_mov_b32_e32 v17, v8
	v_pk_mul_f32 v[16:17], v[16:17], 4.0 op_sel_hi:[1,0]
	s_mov_b64 s[14:15], exec
	v_mov_b32_e32 v8, v17
	v_mov_b32_e32 v9, v16
; %bb.235:
	s_or_b64 exec, exec, s[16:17]
.LBB175_236:
	s_andn2_saveexec_b64 s[2:3], s[2:3]
; %bb.237:
	v_mov_b32_e32 v16, v9
	v_mov_b32_e32 v17, v8
	s_mov_b32 s16, 0x3e800000
	v_pk_mul_f32 v[16:17], v[16:17], s[16:17] op_sel_hi:[1,0]
	s_andn2_b64 s[14:15], s[14:15], exec
	v_mov_b32_e32 v9, v16
	v_mov_b32_e32 v8, v17
; %bb.238:
	s_or_b64 exec, exec, s[2:3]
	v_max_f32_e64 v1, |v9|, |v9|
	v_max_f32_e64 v3, |v8|, |v8|
	v_max_f32_e32 v1, v3, v1
	v_cvt_f64_f32_e32 v[16:17], v1
	v_frexp_exp_i32_f64_e32 v3, v[16:17]
	v_sub_u32_e32 v5, 0, v3
	v_ldexp_f32 v7, |v8|, v5
	v_ldexp_f32 v5, |v9|, v5
	v_mul_f32_e32 v5, v5, v5
	v_fmac_f32_e32 v5, v7, v7
	v_sqrt_f32_e32 v5, v5
	s_mov_b32 s2, 0x7f800000
	v_cmp_neq_f32_e64 s[2:3], s2, v1
	v_cmp_le_f32_e32 vcc, 0, v8
	v_ldexp_f32 v3, v5, v3
	v_mov_b32_e32 v5, 0x7f800000
	v_cndmask_b32_e64 v1, v5, v3, s[2:3]
                                        ; implicit-def: $vgpr16_vgpr17
	s_and_saveexec_b64 s[2:3], vcc
	s_xor_b64 s[16:17], exec, s[2:3]
	s_cbranch_execz .LBB175_240
; %bb.239:
	v_add_f32_e32 v1, v8, v1
	v_mul_f32_e32 v1, 0.5, v1
	s_mov_b32 s2, 0xf800000
	v_mul_f32_e32 v3, 0x4f800000, v1
	v_cmp_gt_f32_e32 vcc, s2, v1
	s_nop 1
	v_cndmask_b32_e32 v1, v1, v3, vcc
	v_sqrt_f32_e32 v3, v1
	s_nop 0
	v_add_u32_e32 v5, -1, v3
	v_fma_f32 v7, -v5, v3, v1
	v_cmp_ge_f32_e64 s[2:3], 0, v7
	v_add_u32_e32 v7, 1, v3
	s_nop 0
	v_cndmask_b32_e64 v5, v3, v5, s[2:3]
	v_fma_f32 v3, -v7, v3, v1
	v_cmp_lt_f32_e64 s[2:3], 0, v3
	s_nop 1
	v_cndmask_b32_e64 v3, v5, v7, s[2:3]
	v_mul_f32_e32 v5, 0x37800000, v3
	v_cndmask_b32_e32 v3, v3, v5, vcc
	v_mov_b32_e32 v5, 0x260
	v_cmp_class_f32_e32 vcc, v1, v5
	s_nop 1
	v_cndmask_b32_e32 v16, v3, v1, vcc
	v_add_f32_e32 v1, v16, v16
	v_div_scale_f32 v3, s[2:3], v1, v1, v9
	v_rcp_f32_e32 v5, v3
	s_nop 0
	v_fma_f32 v7, -v3, v5, 1.0
	v_fmac_f32_e32 v5, v7, v5
	v_div_scale_f32 v7, vcc, v9, v1, v9
	v_mul_f32_e32 v8, v7, v5
	v_fma_f32 v17, -v3, v8, v7
	v_fmac_f32_e32 v8, v17, v5
	v_fma_f32 v3, -v3, v8, v7
	v_div_fmas_f32 v3, v3, v5, v8
	v_div_fixup_f32 v17, v3, v1, v9
                                        ; implicit-def: $vgpr1
                                        ; implicit-def: $vgpr8
	s_andn2_saveexec_b64 s[16:17], s[16:17]
	s_cbranch_execz .LBB175_242
	s_branch .LBB175_241
.LBB175_240:
	s_andn2_saveexec_b64 s[16:17], s[16:17]
	s_cbranch_execz .LBB175_242
.LBB175_241:
	v_sub_f32_e32 v1, v1, v8
	v_mul_f32_e32 v1, 0.5, v1
	s_mov_b32 s2, 0xf800000
	v_mul_f32_e32 v3, 0x4f800000, v1
	v_cmp_gt_f32_e32 vcc, s2, v1
	s_nop 1
	v_cndmask_b32_e32 v1, v1, v3, vcc
	v_sqrt_f32_e32 v3, v1
	s_nop 0
	v_add_u32_e32 v5, -1, v3
	v_fma_f32 v7, -v5, v3, v1
	v_cmp_ge_f32_e64 s[2:3], 0, v7
	v_add_u32_e32 v7, 1, v3
	s_nop 0
	v_cndmask_b32_e64 v5, v3, v5, s[2:3]
	v_fma_f32 v3, -v7, v3, v1
	v_cmp_lt_f32_e64 s[2:3], 0, v3
	s_nop 1
	v_cndmask_b32_e64 v3, v5, v7, s[2:3]
	v_mul_f32_e32 v5, 0x37800000, v3
	v_cndmask_b32_e32 v3, v3, v5, vcc
	v_mov_b32_e32 v5, 0x260
	v_cmp_class_f32_e32 vcc, v1, v5
	v_and_b32_e32 v5, 0x7fffffff, v9
	s_nop 0
	v_cndmask_b32_e32 v1, v3, v1, vcc
	v_add_f32_e32 v3, v1, v1
	v_div_scale_f32 v7, s[2:3], v3, v3, v5
	v_rcp_f32_e32 v8, v7
	v_div_scale_f32 v5, vcc, v5, v3, v5
	s_brev_b32 s2, -2
	v_fma_f32 v16, -v7, v8, 1.0
	v_fmac_f32_e32 v8, v16, v8
	v_mul_f32_e32 v16, v5, v8
	v_fma_f32 v17, -v7, v16, v5
	v_fmac_f32_e32 v16, v17, v8
	v_fma_f32 v5, -v7, v16, v5
	v_div_fmas_f32 v5, v5, v8, v16
	v_div_fixup_f32 v16, v5, v3, |v9|
	v_bfi_b32 v17, s2, v1, v9
.LBB175_242:
	s_or_b64 exec, exec, s[16:17]
                                        ; implicit-def: $vgpr9
                                        ; implicit-def: $vgpr1
	s_and_saveexec_b64 s[2:3], s[0:1]
	s_xor_b64 s[0:1], exec, s[2:3]
	s_cbranch_execz .LBB175_244
; %bb.243:
	v_pk_mul_f32 v[8:9], v[16:17], 0.5 op_sel_hi:[1,0]
	s_nop 0
	v_cndmask_b32_e64 v1, v16, v8, s[14:15]
	v_cndmask_b32_e64 v9, v17, v9, s[14:15]
                                        ; implicit-def: $vgpr16_vgpr17
	s_andn2_saveexec_b64 s[0:1], s[0:1]
	s_cbranch_execnz .LBB175_245
	s_branch .LBB175_246
.LBB175_244:
	s_andn2_saveexec_b64 s[0:1], s[0:1]
.LBB175_245:
	v_pk_add_f32 v[8:9], v[16:17], v[16:17]
	s_nop 0
	v_mov_b32_e32 v1, v8
.LBB175_246:
	s_or_b64 exec, exec, s[0:1]
.LBB175_247:
	s_andn2_saveexec_b64 s[0:1], s[12:13]
	s_cbranch_execz .LBB175_253
; %bb.248:
	v_sub_f32_e32 v3, v9, v9
	v_cmp_lt_i32_e32 vcc, -1, v8
	s_brev_b32 s12, -2
	v_and_b32_e32 v1, 0x7fffffff, v3
	s_and_saveexec_b64 s[2:3], vcc
	s_xor_b64 s[2:3], exec, s[2:3]
; %bb.249:
	v_bfi_b32 v9, s12, v3, v9
	v_mov_b32_e32 v1, v8
; %bb.250:
	s_andn2_saveexec_b64 s[2:3], s[2:3]
; %bb.251:
	v_bfi_b32 v9, s12, v8, v9
; %bb.252:
	s_or_b64 exec, exec, s[2:3]
.LBB175_253:
	s_or_b64 exec, exec, s[0:1]
.LBB175_254:
	s_andn2_saveexec_b64 s[0:1], s[10:11]
	s_cbranch_execz .LBB175_256
; %bb.255:
	v_sub_f32_e32 v1, v9, v9
	v_div_scale_f32 v3, vcc, v1, v1, v1
	v_rcp_f32_e32 v5, v3
	s_nop 0
	v_fma_f32 v7, -v3, v5, 1.0
	v_fmac_f32_e32 v5, v7, v5
	v_mul_f32_e32 v7, v3, v5
	v_fma_f32 v9, -v3, v7, v3
	v_fmac_f32_e32 v7, v9, v5
	v_fma_f32 v3, -v3, v7, v3
	v_div_fmas_f32 v3, v3, v5, v7
	v_div_fixup_f32 v9, v3, v1, v1
	v_mov_b32_e32 v1, v8
.LBB175_256:
	s_or_b64 exec, exec, s[0:1]
.LBB175_257:
	s_or_b64 exec, exec, s[8:9]
.LBB175_258:
	s_or_b64 exec, exec, s[6:7]
	v_cmp_gt_f32_e32 vcc, 0, v9
                                        ; implicit-def: $vgpr16_vgpr17
	s_nop 1
	v_cndmask_b32_e64 v5, v9, -v9, vcc
	v_cmp_gt_f32_e32 vcc, 0, v1
	s_nop 1
	v_cndmask_b32_e64 v3, v1, -v1, vcc
	v_cmp_ge_f32_e32 vcc, v3, v5
	s_and_saveexec_b64 s[0:1], vcc
	s_xor_b64 s[2:3], exec, s[0:1]
	s_cbranch_execz .LBB175_264
; %bb.259:
	v_cmp_neq_f32_e32 vcc, 0, v1
	v_cmp_neq_f32_e64 s[0:1], 0, v9
	s_or_b64 s[0:1], vcc, s[0:1]
                                        ; implicit-def: $vgpr16_vgpr17
	s_and_saveexec_b64 s[6:7], s[0:1]
	s_xor_b64 s[0:1], exec, s[6:7]
	s_cbranch_execz .LBB175_261
; %bb.260:
	v_div_scale_f32 v3, s[6:7], v1, v1, v9
	v_rcp_f32_e32 v5, v3
	v_div_scale_f32 v7, vcc, v9, v1, v9
	v_fma_f32 v8, -v3, v5, 1.0
	v_fmac_f32_e32 v5, v8, v5
	v_mul_f32_e32 v8, v7, v5
	v_fma_f32 v16, -v3, v8, v7
	v_fmac_f32_e32 v8, v16, v5
	v_fma_f32 v3, -v3, v8, v7
	v_div_fmas_f32 v3, v3, v5, v8
	v_div_fixup_f32 v3, v3, v1, v9
	v_fmac_f32_e32 v1, v9, v3
	v_div_scale_f32 v5, s[6:7], v1, v1, 1.0
	v_rcp_f32_e32 v7, v5
	v_sub_f32_e32 v17, 0, v3
	v_fma_f32 v8, -v5, v7, 1.0
	v_fmac_f32_e32 v7, v8, v7
	v_div_scale_f32 v8, vcc, 1.0, v1, 1.0
	v_mul_f32_e32 v9, v8, v7
	v_fma_f32 v16, -v5, v9, v8
	v_fmac_f32_e32 v9, v16, v7
	v_fma_f32 v5, -v5, v9, v8
	v_div_fmas_f32 v5, v5, v7, v9
	v_div_fixup_f32 v8, v5, v1, 1.0
	v_mul_f32_e32 v1, 0, v3
	v_add_f32_e32 v16, 1.0, v1
	v_pk_mul_f32 v[16:17], v[16:17], v[8:9] op_sel_hi:[1,0]
                                        ; implicit-def: $vgpr5
                                        ; implicit-def: $vgpr3
.LBB175_261:
	s_andn2_saveexec_b64 s[0:1], s[0:1]
	s_cbranch_execz .LBB175_263
; %bb.262:
	v_div_scale_f32 v1, s[6:7], v5, v5, 0
	v_rcp_f32_e32 v7, v1
	v_div_scale_f32 v8, vcc, 0, v5, 0
	v_fma_f32 v9, -v1, v7, 1.0
	v_fmac_f32_e32 v7, v9, v7
	v_mul_f32_e32 v9, v8, v7
	v_fma_f32 v16, -v1, v9, v8
	v_fmac_f32_e32 v9, v16, v7
	v_fma_f32 v1, -v1, v9, v8
	v_div_scale_f32 v8, s[6:7], v3, v3, 1.0
	v_rcp_f32_e32 v16, v8
	v_div_fmas_f32 v1, v1, v7, v9
	v_div_fixup_f32 v17, v1, v5, 0
	v_fma_f32 v1, -v8, v16, 1.0
	v_fmac_f32_e32 v16, v1, v16
	v_div_scale_f32 v1, vcc, 1.0, v3, 1.0
	v_mul_f32_e32 v5, v1, v16
	v_fma_f32 v7, -v8, v5, v1
	v_fmac_f32_e32 v5, v7, v16
	v_fma_f32 v1, -v8, v5, v1
	v_div_fmas_f32 v1, v1, v16, v5
	v_div_fixup_f32 v16, v1, v3, 1.0
.LBB175_263:
	s_or_b64 exec, exec, s[0:1]
                                        ; implicit-def: $vgpr9
                                        ; implicit-def: $vgpr1
.LBB175_264:
	s_andn2_saveexec_b64 s[0:1], s[2:3]
	s_cbranch_execz .LBB175_266
; %bb.265:
	v_div_scale_f32 v3, s[2:3], v9, v9, v1
	v_rcp_f32_e32 v5, v3
	v_div_scale_f32 v7, vcc, v1, v9, v1
	v_fma_f32 v8, -v3, v5, 1.0
	v_fmac_f32_e32 v5, v8, v5
	v_mul_f32_e32 v8, v7, v5
	v_fma_f32 v16, -v3, v8, v7
	v_fmac_f32_e32 v8, v16, v5
	v_fma_f32 v3, -v3, v8, v7
	v_div_fmas_f32 v3, v3, v5, v8
	v_div_fixup_f32 v8, v3, v9, v1
	v_fmac_f32_e32 v9, v1, v8
	v_div_scale_f32 v1, s[2:3], v9, v9, 1.0
	v_rcp_f32_e32 v3, v1
	s_mov_b32 s2, 0
	s_mov_b32 s3, -1.0
	v_fma_f32 v5, -v1, v3, 1.0
	v_fmac_f32_e32 v3, v5, v3
	v_div_scale_f32 v5, vcc, 1.0, v9, 1.0
	v_mul_f32_e32 v7, v5, v3
	v_fma_f32 v16, -v1, v7, v5
	v_fmac_f32_e32 v7, v16, v3
	v_fma_f32 v1, -v1, v7, v5
	v_div_fmas_f32 v1, v1, v3, v7
	v_div_fixup_f32 v16, v1, v9, 1.0
	v_mul_f32_e32 v9, 0, v8
	v_pk_add_f32 v[8:9], v[8:9], s[2:3]
	s_nop 0
	v_pk_mul_f32 v[16:17], v[8:9], v[16:17] op_sel_hi:[1,0]
.LBB175_266:
	s_or_b64 exec, exec, s[0:1]
	v_mov_b32_e32 v7, 0
	v_lshl_add_u64 v[8:9], s[4:5], 0, v[6:7]
	s_or_b64 s[24:25], s[24:25], exec
	global_store_dwordx2 v0, v[10:11], s[4:5]
	global_store_dwordx2 v2, v[14:15], s[4:5]
	;; [unrolled: 1-line block ×3, first 2 shown]
	global_store_dword v6, v16, s[4:5]
	s_or_b64 exec, exec, s[26:27]
	s_and_saveexec_b64 s[0:1], s[24:25]
	s_cbranch_execnz .LBB175_434
.LBB175_267:
	s_endpgm
.LBB175_268:
	s_andn2_saveexec_b64 s[14:15], s[14:15]
	s_cbranch_execz .LBB175_270
.LBB175_269:
	v_sub_f32_e32 v1, v1, v2
	v_mul_f32_e32 v1, 0.5, v1
	s_mov_b32 s2, 0xf800000
	v_mul_f32_e32 v2, 0x4f800000, v1
	v_cmp_gt_f32_e32 vcc, s2, v1
	s_nop 1
	v_cndmask_b32_e32 v1, v1, v2, vcc
	v_sqrt_f32_e32 v2, v1
	s_nop 0
	v_add_u32_e32 v4, -1, v2
	v_fma_f32 v5, -v4, v2, v1
	v_cmp_ge_f32_e64 s[2:3], 0, v5
	v_add_u32_e32 v5, 1, v2
	s_nop 0
	v_cndmask_b32_e64 v4, v2, v4, s[2:3]
	v_fma_f32 v2, -v5, v2, v1
	v_cmp_lt_f32_e64 s[2:3], 0, v2
	s_nop 1
	v_cndmask_b32_e64 v2, v4, v5, s[2:3]
	v_mul_f32_e32 v4, 0x37800000, v2
	v_cndmask_b32_e32 v2, v2, v4, vcc
	v_mov_b32_e32 v4, 0x260
	v_cmp_class_f32_e32 vcc, v1, v4
	v_and_b32_e32 v4, 0x7fffffff, v3
	s_nop 0
	v_cndmask_b32_e32 v1, v2, v1, vcc
	v_add_f32_e32 v2, v1, v1
	v_div_scale_f32 v5, s[2:3], v2, v2, v4
	v_rcp_f32_e32 v7, v5
	v_div_scale_f32 v4, vcc, v4, v2, v4
	s_brev_b32 s2, -2
	v_fma_f32 v8, -v5, v7, 1.0
	v_fmac_f32_e32 v7, v8, v7
	v_mul_f32_e32 v8, v4, v7
	v_fma_f32 v9, -v5, v8, v4
	v_fmac_f32_e32 v8, v9, v7
	v_fma_f32 v4, -v5, v8, v4
	v_div_fmas_f32 v4, v4, v7, v8
	v_div_fixup_f32 v4, v4, v2, |v3|
	v_bfi_b32 v5, s2, v1, v3
.LBB175_270:
	s_or_b64 exec, exec, s[14:15]
                                        ; implicit-def: $vgpr3
                                        ; implicit-def: $vgpr1
	s_and_saveexec_b64 s[2:3], s[0:1]
	s_xor_b64 s[0:1], exec, s[2:3]
	s_cbranch_execz .LBB175_276
; %bb.271:
	v_pk_mul_f32 v[2:3], v[4:5], 0.5 op_sel_hi:[1,0]
	s_nop 0
	v_cndmask_b32_e64 v1, v4, v2, s[12:13]
	v_cndmask_b32_e64 v3, v5, v3, s[12:13]
                                        ; implicit-def: $vgpr4_vgpr5
	s_andn2_saveexec_b64 s[0:1], s[0:1]
	s_cbranch_execnz .LBB175_277
	s_branch .LBB175_278
.LBB175_272:
	s_andn2_saveexec_b64 s[14:15], s[14:15]
	s_cbranch_execz .LBB175_274
.LBB175_273:
	v_sub_f32_e32 v1, v1, v2
	v_mul_f32_e32 v1, 0.5, v1
	s_mov_b32 s2, 0xf800000
	v_mul_f32_e32 v2, 0x4f800000, v1
	v_cmp_gt_f32_e32 vcc, s2, v1
	s_nop 1
	v_cndmask_b32_e32 v1, v1, v2, vcc
	v_sqrt_f32_e32 v2, v1
	s_nop 0
	v_add_u32_e32 v4, -1, v2
	v_fma_f32 v5, -v4, v2, v1
	v_cmp_ge_f32_e64 s[2:3], 0, v5
	v_add_u32_e32 v5, 1, v2
	s_nop 0
	v_cndmask_b32_e64 v4, v2, v4, s[2:3]
	v_fma_f32 v2, -v5, v2, v1
	v_cmp_lt_f32_e64 s[2:3], 0, v2
	s_nop 1
	v_cndmask_b32_e64 v2, v4, v5, s[2:3]
	v_mul_f32_e32 v4, 0x37800000, v2
	v_cndmask_b32_e32 v2, v2, v4, vcc
	v_mov_b32_e32 v4, 0x260
	v_cmp_class_f32_e32 vcc, v1, v4
	v_and_b32_e32 v4, 0x7fffffff, v3
	s_nop 0
	v_cndmask_b32_e32 v1, v2, v1, vcc
	v_add_f32_e32 v2, v1, v1
	v_div_scale_f32 v5, s[2:3], v2, v2, v4
	v_rcp_f32_e32 v7, v5
	v_div_scale_f32 v4, vcc, v4, v2, v4
	s_brev_b32 s2, -2
	v_fma_f32 v8, -v5, v7, 1.0
	v_fmac_f32_e32 v7, v8, v7
	v_mul_f32_e32 v8, v4, v7
	v_fma_f32 v9, -v5, v8, v4
	v_fmac_f32_e32 v8, v9, v7
	v_fma_f32 v4, -v5, v8, v4
	v_div_fmas_f32 v4, v4, v7, v8
	v_div_fixup_f32 v4, v4, v2, |v3|
	v_bfi_b32 v5, s2, v1, v3
.LBB175_274:
	s_or_b64 exec, exec, s[14:15]
                                        ; implicit-def: $vgpr3
                                        ; implicit-def: $vgpr1
	s_and_saveexec_b64 s[2:3], s[0:1]
	s_xor_b64 s[0:1], exec, s[2:3]
	s_cbranch_execz .LBB175_300
; %bb.275:
	v_pk_mul_f32 v[2:3], v[4:5], 0.5 op_sel_hi:[1,0]
	s_nop 0
	v_cndmask_b32_e64 v1, v4, v2, s[12:13]
	v_cndmask_b32_e64 v3, v5, v3, s[12:13]
                                        ; implicit-def: $vgpr4_vgpr5
	s_andn2_saveexec_b64 s[0:1], s[0:1]
	s_cbranch_execnz .LBB175_301
	s_branch .LBB175_302
.LBB175_276:
	s_andn2_saveexec_b64 s[0:1], s[0:1]
.LBB175_277:
	v_pk_add_f32 v[2:3], v[4:5], v[4:5]
	s_nop 0
	v_mov_b32_e32 v1, v2
.LBB175_278:
	s_or_b64 exec, exec, s[0:1]
.LBB175_279:
	s_andn2_saveexec_b64 s[0:1], s[10:11]
	s_cbranch_execz .LBB175_285
; %bb.280:
	v_sub_f32_e32 v4, v3, v3
	v_cmp_lt_i32_e32 vcc, -1, v2
	s_brev_b32 s10, -2
	v_and_b32_e32 v1, 0x7fffffff, v4
	s_and_saveexec_b64 s[2:3], vcc
	s_xor_b64 s[2:3], exec, s[2:3]
; %bb.281:
	v_bfi_b32 v3, s10, v4, v3
	v_mov_b32_e32 v1, v2
; %bb.282:
	s_andn2_saveexec_b64 s[2:3], s[2:3]
; %bb.283:
	v_bfi_b32 v3, s10, v2, v3
; %bb.284:
	s_or_b64 exec, exec, s[2:3]
.LBB175_285:
	s_or_b64 exec, exec, s[0:1]
.LBB175_286:
	s_andn2_saveexec_b64 s[0:1], s[8:9]
	s_cbranch_execz .LBB175_288
; %bb.287:
	v_sub_f32_e32 v1, v3, v3
	v_div_scale_f32 v3, vcc, v1, v1, v1
	v_rcp_f32_e32 v4, v3
	s_nop 0
	v_fma_f32 v5, -v3, v4, 1.0
	v_fmac_f32_e32 v4, v5, v4
	v_mul_f32_e32 v5, v3, v4
	v_fma_f32 v7, -v3, v5, v3
	v_fmac_f32_e32 v5, v7, v4
	v_fma_f32 v3, -v3, v5, v3
	v_div_fmas_f32 v3, v3, v4, v5
	v_div_fixup_f32 v3, v3, v1, v1
	v_mov_b32_e32 v1, v2
.LBB175_288:
	s_or_b64 exec, exec, s[0:1]
.LBB175_289:
	s_or_b64 exec, exec, s[6:7]
.LBB175_290:
	s_or_b64 exec, exec, s[4:5]
	v_cmp_gt_f32_e32 vcc, 0, v3
                                        ; implicit-def: $vgpr4_vgpr5
	s_nop 1
	v_cndmask_b32_e64 v7, v3, -v3, vcc
	v_cmp_gt_f32_e32 vcc, 0, v1
	s_nop 1
	v_cndmask_b32_e64 v2, v1, -v1, vcc
	v_cmp_ge_f32_e32 vcc, v2, v7
	s_and_saveexec_b64 s[0:1], vcc
	s_xor_b64 s[2:3], exec, s[0:1]
	s_cbranch_execz .LBB175_296
; %bb.291:
	v_cmp_neq_f32_e32 vcc, 0, v1
	v_cmp_neq_f32_e64 s[0:1], 0, v3
	s_or_b64 s[0:1], vcc, s[0:1]
                                        ; implicit-def: $vgpr4_vgpr5
	s_and_saveexec_b64 s[4:5], s[0:1]
	s_xor_b64 s[0:1], exec, s[4:5]
	s_cbranch_execz .LBB175_293
; %bb.292:
	v_div_scale_f32 v2, s[4:5], v1, v1, v3
	v_rcp_f32_e32 v4, v2
	v_div_scale_f32 v5, vcc, v3, v1, v3
	v_fma_f32 v7, -v2, v4, 1.0
	v_fmac_f32_e32 v4, v7, v4
	v_mul_f32_e32 v7, v5, v4
	v_fma_f32 v8, -v2, v7, v5
	v_fmac_f32_e32 v7, v8, v4
	v_fma_f32 v2, -v2, v7, v5
	v_div_fmas_f32 v2, v2, v4, v7
	v_div_fixup_f32 v5, v2, v1, v3
	v_fmac_f32_e32 v1, v3, v5
	v_div_scale_f32 v2, s[4:5], v1, v1, 1.0
	v_rcp_f32_e32 v3, v2
	s_nop 0
	v_fma_f32 v4, -v2, v3, 1.0
	v_fmac_f32_e32 v3, v4, v3
	v_div_scale_f32 v4, vcc, 1.0, v1, 1.0
	v_mul_f32_e32 v7, v4, v3
	v_fma_f32 v8, -v2, v7, v4
	v_fmac_f32_e32 v7, v8, v3
	v_fma_f32 v2, -v2, v7, v4
	v_div_fmas_f32 v2, v2, v3, v7
	v_div_fixup_f32 v2, v2, v1, 1.0
	v_mul_f32_e32 v1, 0, v5
	v_add_f32_e32 v4, 1.0, v1
	v_sub_f32_e32 v5, 0, v5
	v_pk_mul_f32 v[4:5], v[4:5], v[2:3] op_sel_hi:[1,0]
                                        ; implicit-def: $vgpr7
                                        ; implicit-def: $vgpr2
.LBB175_293:
	s_andn2_saveexec_b64 s[0:1], s[0:1]
	s_cbranch_execz .LBB175_295
; %bb.294:
	v_div_scale_f32 v1, s[4:5], v7, v7, 0
	v_rcp_f32_e32 v3, v1
	v_div_scale_f32 v4, vcc, 0, v7, 0
	v_fma_f32 v5, -v1, v3, 1.0
	v_fmac_f32_e32 v3, v5, v3
	v_mul_f32_e32 v5, v4, v3
	v_fma_f32 v8, -v1, v5, v4
	v_fmac_f32_e32 v5, v8, v3
	v_fma_f32 v1, -v1, v5, v4
	v_div_scale_f32 v4, s[4:5], v2, v2, 1.0
	v_rcp_f32_e32 v8, v4
	v_div_fmas_f32 v1, v1, v3, v5
	v_div_fixup_f32 v5, v1, v7, 0
	v_fma_f32 v1, -v4, v8, 1.0
	v_fmac_f32_e32 v8, v1, v8
	v_div_scale_f32 v1, vcc, 1.0, v2, 1.0
	v_mul_f32_e32 v3, v1, v8
	v_fma_f32 v7, -v4, v3, v1
	v_fmac_f32_e32 v3, v7, v8
	v_fma_f32 v1, -v4, v3, v1
	v_div_fmas_f32 v1, v1, v8, v3
	v_div_fixup_f32 v4, v1, v2, 1.0
.LBB175_295:
	s_or_b64 exec, exec, s[0:1]
                                        ; implicit-def: $vgpr3
                                        ; implicit-def: $vgpr1
.LBB175_296:
	s_andn2_saveexec_b64 s[0:1], s[2:3]
	s_cbranch_execz .LBB175_298
; %bb.297:
	v_div_scale_f32 v2, s[2:3], v3, v3, v1
	v_rcp_f32_e32 v4, v2
	v_div_scale_f32 v5, vcc, v1, v3, v1
	v_fma_f32 v7, -v2, v4, 1.0
	v_fmac_f32_e32 v4, v7, v4
	v_mul_f32_e32 v7, v5, v4
	v_fma_f32 v8, -v2, v7, v5
	v_fmac_f32_e32 v7, v8, v4
	v_fma_f32 v2, -v2, v7, v5
	v_div_fmas_f32 v2, v2, v4, v7
	v_div_fixup_f32 v2, v2, v3, v1
	v_fmac_f32_e32 v3, v1, v2
	v_div_scale_f32 v1, s[2:3], v3, v3, 1.0
	v_rcp_f32_e32 v4, v1
	s_mov_b32 s2, 0
	s_mov_b32 s3, -1.0
	v_fma_f32 v5, -v1, v4, 1.0
	v_fmac_f32_e32 v4, v5, v4
	v_div_scale_f32 v5, vcc, 1.0, v3, 1.0
	v_mul_f32_e32 v7, v5, v4
	v_fma_f32 v8, -v1, v7, v5
	v_fmac_f32_e32 v7, v8, v4
	v_fma_f32 v1, -v1, v7, v5
	v_div_fmas_f32 v1, v1, v4, v7
	v_div_fixup_f32 v4, v1, v3, 1.0
	v_mul_f32_e32 v3, 0, v2
	v_pk_add_f32 v[2:3], v[2:3], s[2:3]
	s_nop 0
	v_pk_mul_f32 v[4:5], v[2:3], v[4:5] op_sel_hi:[1,0]
.LBB175_298:
	s_or_b64 exec, exec, s[0:1]
	v_add_u32_e32 v6, 0x80, v6
	global_store_dwordx2 v0, v[4:5], s[16:17]
	s_or_b64 exec, exec, s[48:49]
	v_cmp_gt_i32_e32 vcc, s55, v6
	s_and_saveexec_b64 s[48:49], vcc
	s_cbranch_execnz .LBB175_16
.LBB175_299:
	s_or_b64 exec, exec, s[48:49]
	v_cmp_gt_i32_e32 vcc, s55, v6
	s_and_saveexec_b64 s[48:49], vcc
	s_cbranch_execnz .LBB175_323
	s_branch .LBB175_377
.LBB175_300:
	s_andn2_saveexec_b64 s[0:1], s[0:1]
.LBB175_301:
	v_pk_add_f32 v[2:3], v[4:5], v[4:5]
	s_nop 0
	v_mov_b32_e32 v1, v2
.LBB175_302:
	s_or_b64 exec, exec, s[0:1]
.LBB175_303:
	s_andn2_saveexec_b64 s[0:1], s[10:11]
	s_cbranch_execz .LBB175_309
; %bb.304:
	v_sub_f32_e32 v4, v3, v3
	v_cmp_lt_i32_e32 vcc, -1, v2
	s_brev_b32 s10, -2
	v_and_b32_e32 v1, 0x7fffffff, v4
	s_and_saveexec_b64 s[2:3], vcc
	s_xor_b64 s[2:3], exec, s[2:3]
; %bb.305:
	v_bfi_b32 v3, s10, v4, v3
	v_mov_b32_e32 v1, v2
; %bb.306:
	s_andn2_saveexec_b64 s[2:3], s[2:3]
; %bb.307:
	v_bfi_b32 v3, s10, v2, v3
; %bb.308:
	s_or_b64 exec, exec, s[2:3]
.LBB175_309:
	s_or_b64 exec, exec, s[0:1]
.LBB175_310:
	s_andn2_saveexec_b64 s[0:1], s[8:9]
	s_cbranch_execz .LBB175_312
; %bb.311:
	v_sub_f32_e32 v1, v3, v3
	v_div_scale_f32 v3, vcc, v1, v1, v1
	v_rcp_f32_e32 v4, v3
	s_nop 0
	v_fma_f32 v5, -v3, v4, 1.0
	v_fmac_f32_e32 v4, v5, v4
	v_mul_f32_e32 v5, v3, v4
	v_fma_f32 v7, -v3, v5, v3
	v_fmac_f32_e32 v5, v7, v4
	v_fma_f32 v3, -v3, v5, v3
	v_div_fmas_f32 v3, v3, v4, v5
	v_div_fixup_f32 v3, v3, v1, v1
	v_mov_b32_e32 v1, v2
.LBB175_312:
	s_or_b64 exec, exec, s[0:1]
.LBB175_313:
	s_or_b64 exec, exec, s[6:7]
.LBB175_314:
	s_or_b64 exec, exec, s[4:5]
	v_cmp_gt_f32_e32 vcc, 0, v3
                                        ; implicit-def: $vgpr4_vgpr5
	s_nop 1
	v_cndmask_b32_e64 v7, v3, -v3, vcc
	v_cmp_gt_f32_e32 vcc, 0, v1
	s_nop 1
	v_cndmask_b32_e64 v2, v1, -v1, vcc
	v_cmp_ge_f32_e32 vcc, v2, v7
	s_and_saveexec_b64 s[0:1], vcc
	s_xor_b64 s[2:3], exec, s[0:1]
	s_cbranch_execz .LBB175_320
; %bb.315:
	v_cmp_neq_f32_e32 vcc, 0, v1
	v_cmp_neq_f32_e64 s[0:1], 0, v3
	s_or_b64 s[0:1], vcc, s[0:1]
                                        ; implicit-def: $vgpr4_vgpr5
	s_and_saveexec_b64 s[4:5], s[0:1]
	s_xor_b64 s[0:1], exec, s[4:5]
	s_cbranch_execz .LBB175_317
; %bb.316:
	v_div_scale_f32 v2, s[4:5], v1, v1, v3
	v_rcp_f32_e32 v4, v2
	v_div_scale_f32 v5, vcc, v3, v1, v3
	v_fma_f32 v7, -v2, v4, 1.0
	v_fmac_f32_e32 v4, v7, v4
	v_mul_f32_e32 v7, v5, v4
	v_fma_f32 v8, -v2, v7, v5
	v_fmac_f32_e32 v7, v8, v4
	v_fma_f32 v2, -v2, v7, v5
	v_div_fmas_f32 v2, v2, v4, v7
	v_div_fixup_f32 v5, v2, v1, v3
	v_fmac_f32_e32 v1, v3, v5
	v_div_scale_f32 v2, s[4:5], v1, v1, 1.0
	v_rcp_f32_e32 v3, v2
	s_nop 0
	v_fma_f32 v4, -v2, v3, 1.0
	v_fmac_f32_e32 v3, v4, v3
	v_div_scale_f32 v4, vcc, 1.0, v1, 1.0
	v_mul_f32_e32 v7, v4, v3
	v_fma_f32 v8, -v2, v7, v4
	v_fmac_f32_e32 v7, v8, v3
	v_fma_f32 v2, -v2, v7, v4
	v_div_fmas_f32 v2, v2, v3, v7
	v_div_fixup_f32 v2, v2, v1, 1.0
	v_mul_f32_e32 v1, 0, v5
	v_add_f32_e32 v4, 1.0, v1
	v_sub_f32_e32 v5, 0, v5
	v_pk_mul_f32 v[4:5], v[4:5], v[2:3] op_sel_hi:[1,0]
                                        ; implicit-def: $vgpr7
                                        ; implicit-def: $vgpr2
.LBB175_317:
	s_andn2_saveexec_b64 s[0:1], s[0:1]
	s_cbranch_execz .LBB175_319
; %bb.318:
	v_div_scale_f32 v1, s[4:5], v7, v7, 0
	v_rcp_f32_e32 v3, v1
	v_div_scale_f32 v4, vcc, 0, v7, 0
	v_fma_f32 v5, -v1, v3, 1.0
	v_fmac_f32_e32 v3, v5, v3
	v_mul_f32_e32 v5, v4, v3
	v_fma_f32 v8, -v1, v5, v4
	v_fmac_f32_e32 v5, v8, v3
	v_fma_f32 v1, -v1, v5, v4
	v_div_scale_f32 v4, s[4:5], v2, v2, 1.0
	v_rcp_f32_e32 v8, v4
	v_div_fmas_f32 v1, v1, v3, v5
	v_div_fixup_f32 v5, v1, v7, 0
	v_fma_f32 v1, -v4, v8, 1.0
	v_fmac_f32_e32 v8, v1, v8
	v_div_scale_f32 v1, vcc, 1.0, v2, 1.0
	v_mul_f32_e32 v3, v1, v8
	v_fma_f32 v7, -v4, v3, v1
	v_fmac_f32_e32 v3, v7, v8
	v_fma_f32 v1, -v4, v3, v1
	v_div_fmas_f32 v1, v1, v8, v3
	v_div_fixup_f32 v4, v1, v2, 1.0
.LBB175_319:
	s_or_b64 exec, exec, s[0:1]
                                        ; implicit-def: $vgpr3
                                        ; implicit-def: $vgpr1
.LBB175_320:
	s_andn2_saveexec_b64 s[0:1], s[2:3]
	s_cbranch_execz .LBB175_322
; %bb.321:
	v_div_scale_f32 v2, s[2:3], v3, v3, v1
	v_rcp_f32_e32 v4, v2
	v_div_scale_f32 v5, vcc, v1, v3, v1
	v_fma_f32 v7, -v2, v4, 1.0
	v_fmac_f32_e32 v4, v7, v4
	v_mul_f32_e32 v7, v5, v4
	v_fma_f32 v8, -v2, v7, v5
	v_fmac_f32_e32 v7, v8, v4
	v_fma_f32 v2, -v2, v7, v5
	v_div_fmas_f32 v2, v2, v4, v7
	v_div_fixup_f32 v2, v2, v3, v1
	v_fmac_f32_e32 v3, v1, v2
	v_div_scale_f32 v1, s[2:3], v3, v3, 1.0
	v_rcp_f32_e32 v4, v1
	s_mov_b32 s2, 0
	s_mov_b32 s3, -1.0
	v_fma_f32 v5, -v1, v4, 1.0
	v_fmac_f32_e32 v4, v5, v4
	v_div_scale_f32 v5, vcc, 1.0, v3, 1.0
	v_mul_f32_e32 v7, v5, v4
	v_fma_f32 v8, -v1, v7, v5
	v_fmac_f32_e32 v7, v8, v4
	v_fma_f32 v1, -v1, v7, v5
	v_div_fmas_f32 v1, v1, v4, v7
	v_div_fixup_f32 v4, v1, v3, 1.0
	v_mul_f32_e32 v3, 0, v2
	v_pk_add_f32 v[2:3], v[2:3], s[2:3]
	s_nop 0
	v_pk_mul_f32 v[4:5], v[2:3], v[4:5] op_sel_hi:[1,0]
.LBB175_322:
	s_or_b64 exec, exec, s[0:1]
	v_add_u32_e32 v6, 0x80, v6
	global_store_dwordx2 v0, v[4:5], s[16:17]
	s_or_b64 exec, exec, s[48:49]
	v_cmp_gt_i32_e32 vcc, s55, v6
	s_and_saveexec_b64 s[48:49], vcc
	s_cbranch_execz .LBB175_377
.LBB175_323:
	s_andn2_b64 vcc, exec, s[36:37]
	s_cbranch_vccnz .LBB175_329
; %bb.324:
	s_andn2_b64 vcc, exec, s[46:47]
	s_cbranch_vccnz .LBB175_330
; %bb.325:
	s_add_i32 s58, s56, 1
	s_cmp_eq_u32 s54, 2
	s_cbranch_scc1 .LBB175_331
; %bb.326:
	s_and_b32 s57, s58, 28
	s_mov_b32 s59, 0
	v_mov_b32_e32 v0, 0
	v_mov_b32_e32 v2, 0
	s_mov_b64 s[50:51], s[34:35]
	s_mov_b64 s[52:53], s[44:45]
	v_mov_b32_e32 v4, v6
.LBB175_327:                            ; =>This Inner Loop Header: Depth=1
	s_load_dwordx8 s[8:15], s[50:51], 0x4
	s_load_dwordx4 s[28:31], s[50:51], 0x24
	s_load_dwordx8 s[0:7], s[52:53], 0x0
	s_add_u32 s50, s50, 48
	s_addc_u32 s51, s51, 0
	s_waitcnt lgkmcnt(0)
	v_mul_hi_u32 v1, s9, v4
	v_add_u32_e32 v1, v4, v1
	v_lshrrev_b32_e32 v1, s10, v1
	v_mul_lo_u32 v3, v1, s8
	v_mul_hi_u32 v5, s12, v1
	v_sub_u32_e32 v3, v4, v3
	v_add_u32_e32 v4, v1, v5
	v_lshrrev_b32_e32 v4, s13, v4
	v_mul_lo_u32 v7, v4, s11
	v_mul_hi_u32 v8, s15, v4
	v_sub_u32_e32 v1, v1, v7
	v_add_u32_e32 v7, v4, v8
	v_mul_lo_u32 v5, v3, s1
	v_mul_lo_u32 v3, v3, s0
	;; [unrolled: 1-line block ×4, first 2 shown]
	v_lshrrev_b32_e32 v7, s28, v7
	v_add3_u32 v0, v3, v0, v1
	v_mul_hi_u32 v3, s30, v7
	v_add3_u32 v1, v5, v2, v8
	v_mul_lo_u32 v2, v7, s14
	v_add_u32_e32 v3, v7, v3
	v_sub_u32_e32 v2, v4, v2
	v_lshrrev_b32_e32 v4, s31, v3
	s_add_i32 s59, s59, 4
	v_mul_lo_u32 v3, v4, s29
	s_add_u32 s52, s52, 32
	v_sub_u32_e32 v3, v7, v3
	s_addc_u32 s53, s53, 0
	v_mul_lo_u32 v5, v2, s4
	v_mul_lo_u32 v2, v2, s5
	;; [unrolled: 1-line block ×4, first 2 shown]
	s_cmp_eq_u32 s57, s59
	v_add3_u32 v2, v2, v1, v3
	v_add3_u32 v0, v5, v0, v7
	s_cbranch_scc0 .LBB175_327
; %bb.328:
	v_mov_b32_e32 v1, v2
	s_branch .LBB175_332
.LBB175_329:
                                        ; implicit-def: $vgpr2
                                        ; implicit-def: $vgpr0
	s_branch .LBB175_336
.LBB175_330:
	v_mov_b32_e32 v2, 0
	v_mov_b32_e32 v0, 0
	s_branch .LBB175_335
.LBB175_331:
	v_mov_b32_e32 v0, 0
	s_mov_b32 s57, 0
	v_mov_b32_e32 v1, v0
                                        ; implicit-def: $vgpr2
	v_mov_b32_e32 v4, v6
.LBB175_332:
	s_and_b32 s4, s58, 3
	s_cmp_eq_u32 s4, 0
	s_cbranch_scc1 .LBB175_335
; %bb.333:
	s_lshl_b32 s0, s57, 3
	s_add_u32 s0, s34, s0
	s_addc_u32 s1, s35, 0
	s_add_u32 s0, s0, 0xc4
	s_addc_u32 s1, s1, 0
	s_mul_i32 s2, s57, 12
	s_add_u32 s2, s34, s2
	s_addc_u32 s3, s35, 0
.LBB175_334:                            ; =>This Inner Loop Header: Depth=1
	s_load_dwordx2 s[6:7], s[2:3], 0x4
	s_load_dword s5, s[2:3], 0xc
	s_load_dwordx2 s[8:9], s[0:1], 0x0
	v_mov_b32_e32 v2, v1
	s_add_u32 s2, s2, 12
	s_waitcnt lgkmcnt(0)
	v_mul_hi_u32 v1, s7, v4
	v_add_u32_e32 v1, v4, v1
	v_lshrrev_b32_e32 v1, s5, v1
	s_addc_u32 s3, s3, 0
	v_mul_lo_u32 v3, v1, s6
	s_add_u32 s0, s0, 8
	v_sub_u32_e32 v5, v4, v3
	s_addc_u32 s1, s1, 0
	s_add_i32 s4, s4, -1
	v_mov_b32_e32 v4, v1
	v_mad_u64_u32 v[2:3], s[6:7], v5, s9, v[2:3]
	v_mad_u64_u32 v[0:1], s[6:7], v5, s8, v[0:1]
	s_cmp_lg_u32 s4, 0
	v_mov_b32_e32 v1, v2
	s_cbranch_scc1 .LBB175_334
.LBB175_335:
	s_cbranch_execnz .LBB175_338
.LBB175_336:
	s_waitcnt lgkmcnt(0)
	v_mul_hi_u32 v0, s25, v6
	v_add_u32_e32 v0, v6, v0
	v_lshrrev_b32_e32 v1, s26, v0
	v_mul_lo_u32 v0, v1, s24
	v_sub_u32_e32 v0, v6, v0
	v_mul_lo_u32 v2, v0, s21
	s_andn2_b64 vcc, exec, s[42:43]
	v_mul_lo_u32 v0, v0, s20
	s_cbranch_vccnz .LBB175_338
; %bb.337:
	v_mul_hi_u32 v3, s40, v1
	v_add_u32_e32 v3, v1, v3
	v_lshrrev_b32_e32 v3, s41, v3
	v_mul_lo_u32 v3, v3, s27
	v_sub_u32_e32 v3, v1, v3
	v_mad_u64_u32 v[0:1], s[0:1], v3, s22, v[0:1]
	v_mad_u64_u32 v[2:3], s[0:1], v3, s23, v[2:3]
.LBB175_338:
	s_waitcnt lgkmcnt(0)
	global_load_dwordx2 v[2:3], v2, s[18:19]
	v_mov_b32_e32 v1, 0
	s_waitcnt vmcnt(0)
	v_cmp_neq_f32_e32 vcc, 0, v2
	v_cmp_neq_f32_e64 s[0:1], 0, v3
	s_or_b64 s[0:1], vcc, s[0:1]
	s_and_saveexec_b64 s[4:5], s[0:1]
	s_cbranch_execz .LBB175_368
; %bb.339:
	v_mov_b32_e32 v1, 0x7f800000
	v_cmp_neq_f32_e64 s[0:1], |v3|, v1
	s_and_saveexec_b64 s[6:7], s[0:1]
	s_cbranch_execz .LBB175_367
; %bb.340:
	v_cmp_o_f32_e32 vcc, v2, v2
                                        ; implicit-def: $vgpr1
	s_and_saveexec_b64 s[0:1], vcc
	s_xor_b64 s[8:9], exec, s[0:1]
	s_cbranch_execz .LBB175_364
; %bb.341:
	s_mov_b32 s0, 0x7f800000
	v_cmp_neq_f32_e64 s[0:1], |v2|, s0
                                        ; implicit-def: $vgpr1
	s_and_saveexec_b64 s[2:3], s[0:1]
	s_xor_b64 s[10:11], exec, s[2:3]
	s_cbranch_execz .LBB175_357
; %bb.342:
	v_max_f32_e64 v1, |v3|, |v3|
	v_max_f32_e64 v4, |v2|, |v2|
	v_max_f32_e32 v1, v4, v1
	s_mov_b32 s0, 0x7ed413cb
	v_cmp_nle_f32_e64 s[0:1], s0, v1
                                        ; implicit-def: $sgpr12_sgpr13
	s_and_saveexec_b64 s[2:3], s[0:1]
	s_xor_b64 s[2:3], exec, s[2:3]
	s_cbranch_execz .LBB175_346
; %bb.343:
	s_mov_b32 s14, 0x1000000
	v_cmp_le_f32_e64 s[12:13], |v2|, s14
	v_cmp_le_f32_e64 s[14:15], |v3|, s14
	s_and_b64 s[28:29], s[12:13], s[14:15]
	s_mov_b64 s[12:13], 0
	s_and_saveexec_b64 s[14:15], s[28:29]
; %bb.344:
	v_mov_b32_e32 v4, v3
	v_mov_b32_e32 v5, v2
	v_pk_mul_f32 v[4:5], v[4:5], 4.0 op_sel_hi:[1,0]
	s_mov_b64 s[12:13], exec
	v_mov_b32_e32 v2, v5
	v_mov_b32_e32 v3, v4
; %bb.345:
	s_or_b64 exec, exec, s[14:15]
.LBB175_346:
	s_andn2_saveexec_b64 s[2:3], s[2:3]
; %bb.347:
	v_mov_b32_e32 v4, v3
	v_mov_b32_e32 v5, v2
	s_mov_b32 s14, 0x3e800000
	v_pk_mul_f32 v[4:5], v[4:5], s[14:15] op_sel_hi:[1,0]
	s_andn2_b64 s[12:13], s[12:13], exec
	v_mov_b32_e32 v3, v4
	v_mov_b32_e32 v2, v5
; %bb.348:
	s_or_b64 exec, exec, s[2:3]
	v_max_f32_e64 v1, |v3|, |v3|
	v_max_f32_e64 v4, |v2|, |v2|
	v_max_f32_e32 v1, v4, v1
	v_cvt_f64_f32_e32 v[4:5], v1
	v_frexp_exp_i32_f64_e32 v4, v[4:5]
	v_sub_u32_e32 v5, 0, v4
	v_ldexp_f32 v7, |v2|, v5
	v_ldexp_f32 v5, |v3|, v5
	v_mul_f32_e32 v5, v5, v5
	v_fmac_f32_e32 v5, v7, v7
	v_sqrt_f32_e32 v5, v5
	s_mov_b32 s2, 0x7f800000
	v_cmp_neq_f32_e64 s[2:3], s2, v1
	v_cmp_le_f32_e32 vcc, 0, v2
	v_ldexp_f32 v4, v5, v4
	v_mov_b32_e32 v5, 0x7f800000
	v_cndmask_b32_e64 v1, v5, v4, s[2:3]
                                        ; implicit-def: $vgpr4_vgpr5
	s_and_saveexec_b64 s[2:3], vcc
	s_xor_b64 s[14:15], exec, s[2:3]
	s_cbranch_execz .LBB175_350
; %bb.349:
	v_add_f32_e32 v1, v2, v1
	v_mul_f32_e32 v1, 0.5, v1
	s_mov_b32 s2, 0xf800000
	v_mul_f32_e32 v2, 0x4f800000, v1
	v_cmp_gt_f32_e32 vcc, s2, v1
	s_nop 1
	v_cndmask_b32_e32 v1, v1, v2, vcc
	v_sqrt_f32_e32 v2, v1
	s_nop 0
	v_add_u32_e32 v4, -1, v2
	v_fma_f32 v5, -v4, v2, v1
	v_cmp_ge_f32_e64 s[2:3], 0, v5
	v_add_u32_e32 v5, 1, v2
	s_nop 0
	v_cndmask_b32_e64 v4, v2, v4, s[2:3]
	v_fma_f32 v2, -v5, v2, v1
	v_cmp_lt_f32_e64 s[2:3], 0, v2
	s_nop 1
	v_cndmask_b32_e64 v2, v4, v5, s[2:3]
	v_mul_f32_e32 v4, 0x37800000, v2
	v_cndmask_b32_e32 v2, v2, v4, vcc
	v_mov_b32_e32 v4, 0x260
	v_cmp_class_f32_e32 vcc, v1, v4
	s_nop 1
	v_cndmask_b32_e32 v4, v2, v1, vcc
	v_add_f32_e32 v1, v4, v4
	v_div_scale_f32 v2, s[2:3], v1, v1, v3
	v_rcp_f32_e32 v5, v2
	s_nop 0
	v_fma_f32 v7, -v2, v5, 1.0
	v_fmac_f32_e32 v5, v7, v5
	v_div_scale_f32 v7, vcc, v3, v1, v3
	v_mul_f32_e32 v8, v7, v5
	v_fma_f32 v9, -v2, v8, v7
	v_fmac_f32_e32 v8, v9, v5
	v_fma_f32 v2, -v2, v8, v7
	v_div_fmas_f32 v2, v2, v5, v8
	v_div_fixup_f32 v5, v2, v1, v3
                                        ; implicit-def: $vgpr1
                                        ; implicit-def: $vgpr2
	s_andn2_saveexec_b64 s[14:15], s[14:15]
	s_cbranch_execz .LBB175_352
	s_branch .LBB175_351
.LBB175_350:
	s_andn2_saveexec_b64 s[14:15], s[14:15]
	s_cbranch_execz .LBB175_352
.LBB175_351:
	v_sub_f32_e32 v1, v1, v2
	v_mul_f32_e32 v1, 0.5, v1
	s_mov_b32 s2, 0xf800000
	v_mul_f32_e32 v2, 0x4f800000, v1
	v_cmp_gt_f32_e32 vcc, s2, v1
	s_nop 1
	v_cndmask_b32_e32 v1, v1, v2, vcc
	v_sqrt_f32_e32 v2, v1
	s_nop 0
	v_add_u32_e32 v4, -1, v2
	v_fma_f32 v5, -v4, v2, v1
	v_cmp_ge_f32_e64 s[2:3], 0, v5
	v_add_u32_e32 v5, 1, v2
	s_nop 0
	v_cndmask_b32_e64 v4, v2, v4, s[2:3]
	v_fma_f32 v2, -v5, v2, v1
	v_cmp_lt_f32_e64 s[2:3], 0, v2
	s_nop 1
	v_cndmask_b32_e64 v2, v4, v5, s[2:3]
	v_mul_f32_e32 v4, 0x37800000, v2
	v_cndmask_b32_e32 v2, v2, v4, vcc
	v_mov_b32_e32 v4, 0x260
	v_cmp_class_f32_e32 vcc, v1, v4
	v_and_b32_e32 v4, 0x7fffffff, v3
	s_nop 0
	v_cndmask_b32_e32 v1, v2, v1, vcc
	v_add_f32_e32 v2, v1, v1
	v_div_scale_f32 v5, s[2:3], v2, v2, v4
	v_rcp_f32_e32 v7, v5
	v_div_scale_f32 v4, vcc, v4, v2, v4
	s_brev_b32 s2, -2
	v_fma_f32 v8, -v5, v7, 1.0
	v_fmac_f32_e32 v7, v8, v7
	v_mul_f32_e32 v8, v4, v7
	v_fma_f32 v9, -v5, v8, v4
	v_fmac_f32_e32 v8, v9, v7
	v_fma_f32 v4, -v5, v8, v4
	v_div_fmas_f32 v4, v4, v7, v8
	v_div_fixup_f32 v4, v4, v2, |v3|
	v_bfi_b32 v5, s2, v1, v3
.LBB175_352:
	s_or_b64 exec, exec, s[14:15]
                                        ; implicit-def: $vgpr3
                                        ; implicit-def: $vgpr1
	s_and_saveexec_b64 s[2:3], s[0:1]
	s_xor_b64 s[0:1], exec, s[2:3]
	s_cbranch_execz .LBB175_354
; %bb.353:
	v_pk_mul_f32 v[2:3], v[4:5], 0.5 op_sel_hi:[1,0]
	s_nop 0
	v_cndmask_b32_e64 v1, v4, v2, s[12:13]
	v_cndmask_b32_e64 v3, v5, v3, s[12:13]
                                        ; implicit-def: $vgpr4_vgpr5
	s_andn2_saveexec_b64 s[0:1], s[0:1]
	s_cbranch_execnz .LBB175_355
	s_branch .LBB175_356
.LBB175_354:
	s_andn2_saveexec_b64 s[0:1], s[0:1]
.LBB175_355:
	v_pk_add_f32 v[2:3], v[4:5], v[4:5]
	s_nop 0
	v_mov_b32_e32 v1, v2
.LBB175_356:
	s_or_b64 exec, exec, s[0:1]
.LBB175_357:
	s_andn2_saveexec_b64 s[0:1], s[10:11]
	s_cbranch_execz .LBB175_363
; %bb.358:
	v_sub_f32_e32 v4, v3, v3
	v_cmp_lt_i32_e32 vcc, -1, v2
	s_brev_b32 s10, -2
	v_and_b32_e32 v1, 0x7fffffff, v4
	s_and_saveexec_b64 s[2:3], vcc
	s_xor_b64 s[2:3], exec, s[2:3]
; %bb.359:
	v_bfi_b32 v3, s10, v4, v3
	v_mov_b32_e32 v1, v2
; %bb.360:
	s_andn2_saveexec_b64 s[2:3], s[2:3]
; %bb.361:
	v_bfi_b32 v3, s10, v2, v3
; %bb.362:
	s_or_b64 exec, exec, s[2:3]
.LBB175_363:
	s_or_b64 exec, exec, s[0:1]
.LBB175_364:
	s_andn2_saveexec_b64 s[0:1], s[8:9]
	s_cbranch_execz .LBB175_366
; %bb.365:
	v_sub_f32_e32 v1, v3, v3
	v_div_scale_f32 v3, vcc, v1, v1, v1
	v_rcp_f32_e32 v4, v3
	s_nop 0
	v_fma_f32 v5, -v3, v4, 1.0
	v_fmac_f32_e32 v4, v5, v4
	v_mul_f32_e32 v5, v3, v4
	v_fma_f32 v7, -v3, v5, v3
	v_fmac_f32_e32 v5, v7, v4
	v_fma_f32 v3, -v3, v5, v3
	v_div_fmas_f32 v3, v3, v4, v5
	v_div_fixup_f32 v3, v3, v1, v1
	v_mov_b32_e32 v1, v2
.LBB175_366:
	s_or_b64 exec, exec, s[0:1]
.LBB175_367:
	s_or_b64 exec, exec, s[6:7]
.LBB175_368:
	s_or_b64 exec, exec, s[4:5]
	v_cmp_gt_f32_e32 vcc, 0, v3
                                        ; implicit-def: $vgpr4_vgpr5
	s_nop 1
	v_cndmask_b32_e64 v7, v3, -v3, vcc
	v_cmp_gt_f32_e32 vcc, 0, v1
	s_nop 1
	v_cndmask_b32_e64 v2, v1, -v1, vcc
	v_cmp_ge_f32_e32 vcc, v2, v7
	s_and_saveexec_b64 s[0:1], vcc
	s_xor_b64 s[2:3], exec, s[0:1]
	s_cbranch_execz .LBB175_374
; %bb.369:
	v_cmp_neq_f32_e32 vcc, 0, v1
	v_cmp_neq_f32_e64 s[0:1], 0, v3
	s_or_b64 s[0:1], vcc, s[0:1]
                                        ; implicit-def: $vgpr4_vgpr5
	s_and_saveexec_b64 s[4:5], s[0:1]
	s_xor_b64 s[0:1], exec, s[4:5]
	s_cbranch_execz .LBB175_371
; %bb.370:
	v_div_scale_f32 v2, s[4:5], v1, v1, v3
	v_rcp_f32_e32 v4, v2
	v_div_scale_f32 v5, vcc, v3, v1, v3
	v_fma_f32 v7, -v2, v4, 1.0
	v_fmac_f32_e32 v4, v7, v4
	v_mul_f32_e32 v7, v5, v4
	v_fma_f32 v8, -v2, v7, v5
	v_fmac_f32_e32 v7, v8, v4
	v_fma_f32 v2, -v2, v7, v5
	v_div_fmas_f32 v2, v2, v4, v7
	v_div_fixup_f32 v5, v2, v1, v3
	v_fmac_f32_e32 v1, v3, v5
	v_div_scale_f32 v2, s[4:5], v1, v1, 1.0
	v_rcp_f32_e32 v3, v2
	s_nop 0
	v_fma_f32 v4, -v2, v3, 1.0
	v_fmac_f32_e32 v3, v4, v3
	v_div_scale_f32 v4, vcc, 1.0, v1, 1.0
	v_mul_f32_e32 v7, v4, v3
	v_fma_f32 v8, -v2, v7, v4
	v_fmac_f32_e32 v7, v8, v3
	v_fma_f32 v2, -v2, v7, v4
	v_div_fmas_f32 v2, v2, v3, v7
	v_div_fixup_f32 v2, v2, v1, 1.0
	v_mul_f32_e32 v1, 0, v5
	v_add_f32_e32 v4, 1.0, v1
	v_sub_f32_e32 v5, 0, v5
	v_pk_mul_f32 v[4:5], v[4:5], v[2:3] op_sel_hi:[1,0]
                                        ; implicit-def: $vgpr7
                                        ; implicit-def: $vgpr2
.LBB175_371:
	s_andn2_saveexec_b64 s[0:1], s[0:1]
	s_cbranch_execz .LBB175_373
; %bb.372:
	v_div_scale_f32 v1, s[4:5], v7, v7, 0
	v_rcp_f32_e32 v3, v1
	v_div_scale_f32 v4, vcc, 0, v7, 0
	v_fma_f32 v5, -v1, v3, 1.0
	v_fmac_f32_e32 v3, v5, v3
	v_mul_f32_e32 v5, v4, v3
	v_fma_f32 v8, -v1, v5, v4
	v_fmac_f32_e32 v5, v8, v3
	v_fma_f32 v1, -v1, v5, v4
	v_div_scale_f32 v4, s[4:5], v2, v2, 1.0
	v_rcp_f32_e32 v8, v4
	v_div_fmas_f32 v1, v1, v3, v5
	v_div_fixup_f32 v5, v1, v7, 0
	v_fma_f32 v1, -v4, v8, 1.0
	v_fmac_f32_e32 v8, v1, v8
	v_div_scale_f32 v1, vcc, 1.0, v2, 1.0
	v_mul_f32_e32 v3, v1, v8
	v_fma_f32 v7, -v4, v3, v1
	v_fmac_f32_e32 v3, v7, v8
	v_fma_f32 v1, -v4, v3, v1
	v_div_fmas_f32 v1, v1, v8, v3
	v_div_fixup_f32 v4, v1, v2, 1.0
.LBB175_373:
	s_or_b64 exec, exec, s[0:1]
                                        ; implicit-def: $vgpr3
                                        ; implicit-def: $vgpr1
.LBB175_374:
	s_andn2_saveexec_b64 s[0:1], s[2:3]
	s_cbranch_execz .LBB175_376
; %bb.375:
	v_div_scale_f32 v2, s[2:3], v3, v3, v1
	v_rcp_f32_e32 v4, v2
	v_div_scale_f32 v5, vcc, v1, v3, v1
	v_fma_f32 v7, -v2, v4, 1.0
	v_fmac_f32_e32 v4, v7, v4
	v_mul_f32_e32 v7, v5, v4
	v_fma_f32 v8, -v2, v7, v5
	v_fmac_f32_e32 v7, v8, v4
	v_fma_f32 v2, -v2, v7, v5
	v_div_fmas_f32 v2, v2, v4, v7
	v_div_fixup_f32 v2, v2, v3, v1
	v_fmac_f32_e32 v3, v1, v2
	v_div_scale_f32 v1, s[2:3], v3, v3, 1.0
	v_rcp_f32_e32 v4, v1
	s_mov_b32 s2, 0
	s_mov_b32 s3, -1.0
	v_fma_f32 v5, -v1, v4, 1.0
	v_fmac_f32_e32 v4, v5, v4
	v_div_scale_f32 v5, vcc, 1.0, v3, 1.0
	v_mul_f32_e32 v7, v5, v4
	v_fma_f32 v8, -v1, v7, v5
	v_fmac_f32_e32 v7, v8, v4
	v_fma_f32 v1, -v1, v7, v5
	v_div_fmas_f32 v1, v1, v4, v7
	v_div_fixup_f32 v4, v1, v3, 1.0
	v_mul_f32_e32 v3, 0, v2
	v_pk_add_f32 v[2:3], v[2:3], s[2:3]
	s_nop 0
	v_pk_mul_f32 v[4:5], v[2:3], v[4:5] op_sel_hi:[1,0]
.LBB175_376:
	s_or_b64 exec, exec, s[0:1]
	v_add_u32_e32 v6, 0x80, v6
	global_store_dwordx2 v0, v[4:5], s[16:17]
.LBB175_377:
	s_or_b64 exec, exec, s[48:49]
	v_cmp_gt_i32_e32 vcc, s55, v6
	s_mov_b64 s[0:1], 0
                                        ; implicit-def: $vgpr17
                                        ; implicit-def: $vgpr8_vgpr9
	s_and_saveexec_b64 s[48:49], vcc
	s_cbranch_execz .LBB175_432
; %bb.378:
	s_andn2_b64 vcc, exec, s[36:37]
	s_cbranch_vccnz .LBB175_384
; %bb.379:
	s_andn2_b64 vcc, exec, s[46:47]
	s_cbranch_vccnz .LBB175_385
; %bb.380:
	s_add_i32 s56, s56, 1
	s_cmp_eq_u32 s54, 2
	s_cbranch_scc1 .LBB175_386
; %bb.381:
	s_and_b32 s50, s56, 28
	s_mov_b32 s51, 0
	v_mov_b32_e32 v0, 0
	v_mov_b32_e32 v2, 0
	s_mov_b64 s[46:47], s[34:35]
	v_mov_b32_e32 v4, v6
.LBB175_382:                            ; =>This Inner Loop Header: Depth=1
	s_load_dwordx8 s[8:15], s[46:47], 0x4
	s_load_dwordx4 s[28:31], s[46:47], 0x24
	s_load_dwordx8 s[0:7], s[44:45], 0x0
	s_add_u32 s46, s46, 48
	s_addc_u32 s47, s47, 0
	s_waitcnt lgkmcnt(0)
	v_mul_hi_u32 v1, s9, v4
	v_add_u32_e32 v1, v4, v1
	v_lshrrev_b32_e32 v1, s10, v1
	v_mul_lo_u32 v3, v1, s8
	v_mul_hi_u32 v5, s12, v1
	v_sub_u32_e32 v3, v4, v3
	v_add_u32_e32 v4, v1, v5
	v_lshrrev_b32_e32 v4, s13, v4
	v_mul_lo_u32 v7, v4, s11
	v_mul_hi_u32 v8, s15, v4
	v_sub_u32_e32 v1, v1, v7
	v_add_u32_e32 v7, v4, v8
	v_mul_lo_u32 v5, v3, s1
	v_mul_lo_u32 v3, v3, s0
	;; [unrolled: 1-line block ×4, first 2 shown]
	v_lshrrev_b32_e32 v7, s28, v7
	v_add3_u32 v0, v3, v0, v1
	v_mul_hi_u32 v3, s30, v7
	v_add3_u32 v1, v5, v2, v8
	v_mul_lo_u32 v2, v7, s14
	v_add_u32_e32 v3, v7, v3
	v_sub_u32_e32 v2, v4, v2
	v_lshrrev_b32_e32 v4, s31, v3
	s_add_i32 s51, s51, 4
	v_mul_lo_u32 v3, v4, s29
	s_add_u32 s44, s44, 32
	v_sub_u32_e32 v3, v7, v3
	s_addc_u32 s45, s45, 0
	v_mul_lo_u32 v5, v2, s4
	v_mul_lo_u32 v2, v2, s5
	v_mul_lo_u32 v7, v3, s6
	v_mul_lo_u32 v3, v3, s7
	s_cmp_eq_u32 s50, s51
	v_add3_u32 v2, v2, v1, v3
	v_add3_u32 v0, v5, v0, v7
	s_cbranch_scc0 .LBB175_382
; %bb.383:
	v_mov_b32_e32 v1, v2
	s_branch .LBB175_387
.LBB175_384:
                                        ; implicit-def: $vgpr2
                                        ; implicit-def: $vgpr0
	s_branch .LBB175_391
.LBB175_385:
	v_mov_b32_e32 v2, 0
	v_mov_b32_e32 v0, 0
	s_branch .LBB175_390
.LBB175_386:
	v_mov_b32_e32 v0, 0
	s_mov_b32 s50, 0
	v_mov_b32_e32 v1, v0
                                        ; implicit-def: $vgpr2
	v_mov_b32_e32 v4, v6
.LBB175_387:
	s_and_b32 s4, s56, 3
	s_cmp_eq_u32 s4, 0
	s_cbranch_scc1 .LBB175_390
; %bb.388:
	s_lshl_b32 s0, s50, 3
	s_add_u32 s0, s34, s0
	s_addc_u32 s1, s35, 0
	s_add_u32 s0, s0, 0xc4
	s_addc_u32 s1, s1, 0
	s_mul_i32 s2, s50, 12
	s_add_u32 s2, s34, s2
	s_addc_u32 s3, s35, 0
.LBB175_389:                            ; =>This Inner Loop Header: Depth=1
	s_load_dwordx2 s[6:7], s[2:3], 0x4
	s_load_dword s5, s[2:3], 0xc
	s_load_dwordx2 s[8:9], s[0:1], 0x0
	v_mov_b32_e32 v2, v1
	s_add_u32 s2, s2, 12
	s_waitcnt lgkmcnt(0)
	v_mul_hi_u32 v1, s7, v4
	v_add_u32_e32 v1, v4, v1
	v_lshrrev_b32_e32 v1, s5, v1
	s_addc_u32 s3, s3, 0
	v_mul_lo_u32 v3, v1, s6
	s_add_u32 s0, s0, 8
	v_sub_u32_e32 v5, v4, v3
	s_addc_u32 s1, s1, 0
	s_add_i32 s4, s4, -1
	v_mov_b32_e32 v4, v1
	v_mad_u64_u32 v[2:3], s[6:7], v5, s9, v[2:3]
	v_mad_u64_u32 v[0:1], s[6:7], v5, s8, v[0:1]
	s_cmp_lg_u32 s4, 0
	v_mov_b32_e32 v1, v2
	s_cbranch_scc1 .LBB175_389
.LBB175_390:
	s_cbranch_execnz .LBB175_393
.LBB175_391:
	s_waitcnt lgkmcnt(0)
	v_mul_hi_u32 v0, s25, v6
	v_add_u32_e32 v0, v6, v0
	v_lshrrev_b32_e32 v1, s26, v0
	v_mul_lo_u32 v0, v1, s24
	v_sub_u32_e32 v0, v6, v0
	v_mul_lo_u32 v2, v0, s21
	s_andn2_b64 vcc, exec, s[42:43]
	v_mul_lo_u32 v0, v0, s20
	s_cbranch_vccnz .LBB175_393
; %bb.392:
	v_mul_hi_u32 v3, s40, v1
	v_add_u32_e32 v3, v1, v3
	v_lshrrev_b32_e32 v3, s41, v3
	v_mul_lo_u32 v3, v3, s27
	v_sub_u32_e32 v3, v1, v3
	v_mad_u64_u32 v[0:1], s[0:1], v3, s22, v[0:1]
	v_mad_u64_u32 v[2:3], s[0:1], v3, s23, v[2:3]
.LBB175_393:
	s_waitcnt lgkmcnt(0)
	global_load_dwordx2 v[2:3], v2, s[18:19]
	v_mov_b32_e32 v5, 0
	s_waitcnt vmcnt(0)
	v_cmp_neq_f32_e32 vcc, 0, v2
	v_cmp_neq_f32_e64 s[0:1], 0, v3
	s_or_b64 s[0:1], vcc, s[0:1]
	s_and_saveexec_b64 s[4:5], s[0:1]
	s_cbranch_execz .LBB175_423
; %bb.394:
	v_mov_b32_e32 v5, 0x7f800000
	v_cmp_neq_f32_e64 s[0:1], |v3|, v5
	s_and_saveexec_b64 s[6:7], s[0:1]
	s_cbranch_execz .LBB175_422
; %bb.395:
	v_cmp_o_f32_e32 vcc, v2, v2
                                        ; implicit-def: $vgpr5
	s_and_saveexec_b64 s[0:1], vcc
	s_xor_b64 s[8:9], exec, s[0:1]
	s_cbranch_execz .LBB175_419
; %bb.396:
	s_mov_b32 s0, 0x7f800000
	v_cmp_neq_f32_e64 s[0:1], |v2|, s0
                                        ; implicit-def: $vgpr5
	s_and_saveexec_b64 s[2:3], s[0:1]
	s_xor_b64 s[10:11], exec, s[2:3]
	s_cbranch_execz .LBB175_412
; %bb.397:
	v_max_f32_e64 v1, |v3|, |v3|
	v_max_f32_e64 v4, |v2|, |v2|
	v_max_f32_e32 v1, v4, v1
	s_mov_b32 s0, 0x7ed413cb
	v_cmp_nle_f32_e64 s[0:1], s0, v1
                                        ; implicit-def: $sgpr12_sgpr13
	s_and_saveexec_b64 s[2:3], s[0:1]
	s_xor_b64 s[2:3], exec, s[2:3]
	s_cbranch_execz .LBB175_401
; %bb.398:
	s_mov_b32 s14, 0x1000000
	v_cmp_le_f32_e64 s[12:13], |v2|, s14
	v_cmp_le_f32_e64 s[14:15], |v3|, s14
	s_and_b64 s[18:19], s[12:13], s[14:15]
	s_mov_b64 s[12:13], 0
	s_and_saveexec_b64 s[14:15], s[18:19]
; %bb.399:
	v_mov_b32_e32 v4, v3
	v_mov_b32_e32 v5, v2
	v_pk_mul_f32 v[4:5], v[4:5], 4.0 op_sel_hi:[1,0]
	s_mov_b64 s[12:13], exec
	v_mov_b32_e32 v2, v5
	v_mov_b32_e32 v3, v4
; %bb.400:
	s_or_b64 exec, exec, s[14:15]
.LBB175_401:
	s_andn2_saveexec_b64 s[2:3], s[2:3]
; %bb.402:
	v_mov_b32_e32 v4, v3
	v_mov_b32_e32 v5, v2
	s_mov_b32 s14, 0x3e800000
	v_pk_mul_f32 v[4:5], v[4:5], s[14:15] op_sel_hi:[1,0]
	s_andn2_b64 s[12:13], s[12:13], exec
	v_mov_b32_e32 v3, v4
	v_mov_b32_e32 v2, v5
; %bb.403:
	s_or_b64 exec, exec, s[2:3]
	v_max_f32_e64 v1, |v3|, |v3|
	v_max_f32_e64 v4, |v2|, |v2|
	v_max_f32_e32 v1, v4, v1
	v_cvt_f64_f32_e32 v[4:5], v1
	v_frexp_exp_i32_f64_e32 v4, v[4:5]
	v_sub_u32_e32 v5, 0, v4
	v_ldexp_f32 v6, |v2|, v5
	v_ldexp_f32 v5, |v3|, v5
	v_mul_f32_e32 v5, v5, v5
	v_fmac_f32_e32 v5, v6, v6
	v_sqrt_f32_e32 v5, v5
	s_mov_b32 s2, 0x7f800000
	v_cmp_neq_f32_e64 s[2:3], s2, v1
	v_cmp_le_f32_e32 vcc, 0, v2
	v_ldexp_f32 v4, v5, v4
	v_mov_b32_e32 v5, 0x7f800000
	v_cndmask_b32_e64 v1, v5, v4, s[2:3]
                                        ; implicit-def: $vgpr6_vgpr7
	s_and_saveexec_b64 s[2:3], vcc
	s_xor_b64 s[14:15], exec, s[2:3]
	s_cbranch_execz .LBB175_405
; %bb.404:
	v_add_f32_e32 v1, v2, v1
	v_mul_f32_e32 v1, 0.5, v1
	s_mov_b32 s2, 0xf800000
	v_mul_f32_e32 v2, 0x4f800000, v1
	v_cmp_gt_f32_e32 vcc, s2, v1
	s_nop 1
	v_cndmask_b32_e32 v1, v1, v2, vcc
	v_sqrt_f32_e32 v2, v1
	s_nop 0
	v_add_u32_e32 v4, -1, v2
	v_fma_f32 v5, -v4, v2, v1
	v_cmp_ge_f32_e64 s[2:3], 0, v5
	v_add_u32_e32 v5, 1, v2
	s_nop 0
	v_cndmask_b32_e64 v4, v2, v4, s[2:3]
	v_fma_f32 v2, -v5, v2, v1
	v_cmp_lt_f32_e64 s[2:3], 0, v2
	s_nop 1
	v_cndmask_b32_e64 v2, v4, v5, s[2:3]
	v_mul_f32_e32 v4, 0x37800000, v2
	v_cndmask_b32_e32 v2, v2, v4, vcc
	v_mov_b32_e32 v4, 0x260
	v_cmp_class_f32_e32 vcc, v1, v4
	s_nop 1
	v_cndmask_b32_e32 v7, v2, v1, vcc
	v_add_f32_e32 v1, v7, v7
	v_div_scale_f32 v2, s[2:3], v1, v1, v3
	v_rcp_f32_e32 v4, v2
	s_nop 0
	v_fma_f32 v5, -v2, v4, 1.0
	v_fmac_f32_e32 v4, v5, v4
	v_div_scale_f32 v5, vcc, v3, v1, v3
	v_mul_f32_e32 v6, v5, v4
	v_fma_f32 v8, -v2, v6, v5
	v_fmac_f32_e32 v6, v8, v4
	v_fma_f32 v2, -v2, v6, v5
	v_div_fmas_f32 v2, v2, v4, v6
	v_div_fixup_f32 v6, v2, v1, v3
                                        ; implicit-def: $vgpr1
                                        ; implicit-def: $vgpr2
	s_andn2_saveexec_b64 s[14:15], s[14:15]
	s_cbranch_execz .LBB175_407
	s_branch .LBB175_406
.LBB175_405:
	s_andn2_saveexec_b64 s[14:15], s[14:15]
	s_cbranch_execz .LBB175_407
.LBB175_406:
	v_sub_f32_e32 v1, v1, v2
	v_mul_f32_e32 v1, 0.5, v1
	s_mov_b32 s2, 0xf800000
	v_mul_f32_e32 v2, 0x4f800000, v1
	v_cmp_gt_f32_e32 vcc, s2, v1
	s_nop 1
	v_cndmask_b32_e32 v1, v1, v2, vcc
	v_sqrt_f32_e32 v2, v1
	s_nop 0
	v_add_u32_e32 v4, -1, v2
	v_fma_f32 v5, -v4, v2, v1
	v_cmp_ge_f32_e64 s[2:3], 0, v5
	v_add_u32_e32 v5, 1, v2
	s_nop 0
	v_cndmask_b32_e64 v4, v2, v4, s[2:3]
	v_fma_f32 v2, -v5, v2, v1
	v_cmp_lt_f32_e64 s[2:3], 0, v2
	s_nop 1
	v_cndmask_b32_e64 v2, v4, v5, s[2:3]
	v_mul_f32_e32 v4, 0x37800000, v2
	v_cndmask_b32_e32 v2, v2, v4, vcc
	v_mov_b32_e32 v4, 0x260
	v_cmp_class_f32_e32 vcc, v1, v4
	v_and_b32_e32 v4, 0x7fffffff, v3
	s_nop 0
	v_cndmask_b32_e32 v1, v2, v1, vcc
	v_add_f32_e32 v2, v1, v1
	v_div_scale_f32 v5, s[2:3], v2, v2, v4
	v_rcp_f32_e32 v6, v5
	v_div_scale_f32 v4, vcc, v4, v2, v4
	s_brev_b32 s2, -2
	v_fma_f32 v7, -v5, v6, 1.0
	v_fmac_f32_e32 v6, v7, v6
	v_mul_f32_e32 v7, v4, v6
	v_fma_f32 v8, -v5, v7, v4
	v_fmac_f32_e32 v7, v8, v6
	v_fma_f32 v4, -v5, v7, v4
	v_div_fmas_f32 v4, v4, v6, v7
	v_div_fixup_f32 v7, v4, v2, |v3|
	v_bfi_b32 v6, s2, v1, v3
.LBB175_407:
	s_or_b64 exec, exec, s[14:15]
                                        ; implicit-def: $vgpr5
                                        ; implicit-def: $vgpr3
	s_and_saveexec_b64 s[2:3], s[0:1]
	s_xor_b64 s[0:1], exec, s[2:3]
	s_cbranch_execz .LBB175_409
; %bb.408:
	v_pk_mul_f32 v[4:5], v[6:7], 0.5 op_sel_hi:[1,0]
	s_nop 0
	v_cndmask_b32_e64 v3, v6, v4, s[12:13]
	v_cndmask_b32_e64 v5, v7, v5, s[12:13]
                                        ; implicit-def: $vgpr6_vgpr7
	s_andn2_saveexec_b64 s[0:1], s[0:1]
	s_cbranch_execnz .LBB175_410
	s_branch .LBB175_411
.LBB175_409:
	s_andn2_saveexec_b64 s[0:1], s[0:1]
.LBB175_410:
	v_pk_add_f32 v[4:5], v[6:7], v[6:7]
	s_nop 0
	v_mov_b32_e32 v3, v4
.LBB175_411:
	s_or_b64 exec, exec, s[0:1]
.LBB175_412:
	s_andn2_saveexec_b64 s[0:1], s[10:11]
	s_cbranch_execz .LBB175_418
; %bb.413:
	v_sub_f32_e32 v1, v3, v3
	v_cmp_lt_i32_e32 vcc, -1, v2
	s_brev_b32 s10, -2
	v_and_b32_e32 v5, 0x7fffffff, v1
	s_and_saveexec_b64 s[2:3], vcc
	s_xor_b64 s[2:3], exec, s[2:3]
; %bb.414:
	v_bfi_b32 v3, s10, v1, v3
	v_mov_b32_e32 v5, v2
; %bb.415:
	s_andn2_saveexec_b64 s[2:3], s[2:3]
; %bb.416:
	v_bfi_b32 v3, s10, v2, v3
; %bb.417:
	s_or_b64 exec, exec, s[2:3]
.LBB175_418:
	s_or_b64 exec, exec, s[0:1]
.LBB175_419:
	s_andn2_saveexec_b64 s[0:1], s[8:9]
	s_cbranch_execz .LBB175_421
; %bb.420:
	v_sub_f32_e32 v1, v3, v3
	v_div_scale_f32 v3, vcc, v1, v1, v1
	v_rcp_f32_e32 v4, v3
	s_nop 0
	v_fma_f32 v5, -v3, v4, 1.0
	v_fmac_f32_e32 v4, v5, v4
	v_mul_f32_e32 v5, v3, v4
	v_fma_f32 v6, -v3, v5, v3
	v_fmac_f32_e32 v5, v6, v4
	v_fma_f32 v3, -v3, v5, v3
	v_div_fmas_f32 v3, v3, v4, v5
	v_div_fixup_f32 v3, v3, v1, v1
	v_mov_b32_e32 v5, v2
.LBB175_421:
	s_or_b64 exec, exec, s[0:1]
.LBB175_422:
	s_or_b64 exec, exec, s[6:7]
.LBB175_423:
	s_or_b64 exec, exec, s[4:5]
	v_cmp_gt_f32_e32 vcc, 0, v5
                                        ; implicit-def: $vgpr6_vgpr7
	s_nop 1
	v_cndmask_b32_e64 v2, v5, -v5, vcc
	v_cmp_gt_f32_e32 vcc, 0, v3
	s_nop 1
	v_cndmask_b32_e64 v1, v3, -v3, vcc
	v_cmp_ge_f32_e32 vcc, v2, v1
	s_and_saveexec_b64 s[0:1], vcc
	s_xor_b64 s[2:3], exec, s[0:1]
	s_cbranch_execz .LBB175_429
; %bb.424:
	v_cmp_neq_f32_e32 vcc, 0, v5
	v_cmp_neq_f32_e64 s[0:1], 0, v3
	s_or_b64 s[0:1], vcc, s[0:1]
                                        ; implicit-def: $vgpr6_vgpr7
	s_and_saveexec_b64 s[4:5], s[0:1]
	s_xor_b64 s[0:1], exec, s[4:5]
	s_cbranch_execz .LBB175_426
; %bb.425:
	v_div_scale_f32 v1, s[4:5], v5, v5, v3
	v_rcp_f32_e32 v2, v1
	v_div_scale_f32 v4, vcc, v3, v5, v3
	v_fma_f32 v6, -v1, v2, 1.0
	v_fmac_f32_e32 v2, v6, v2
	v_mul_f32_e32 v6, v4, v2
	v_fma_f32 v7, -v1, v6, v4
	v_fmac_f32_e32 v6, v7, v2
	v_fma_f32 v1, -v1, v6, v4
	v_div_fmas_f32 v1, v1, v2, v6
	v_div_fixup_f32 v1, v1, v5, v3
	v_fmac_f32_e32 v5, v3, v1
	v_div_scale_f32 v2, s[4:5], v5, v5, 1.0
	v_rcp_f32_e32 v3, v2
	s_nop 0
	v_fma_f32 v4, -v2, v3, 1.0
	v_fmac_f32_e32 v3, v4, v3
	v_div_scale_f32 v4, vcc, 1.0, v5, 1.0
	v_mul_f32_e32 v6, v4, v3
	v_fma_f32 v7, -v2, v6, v4
	v_fmac_f32_e32 v6, v7, v3
	v_fma_f32 v2, -v2, v6, v4
	v_div_fmas_f32 v2, v2, v3, v6
	v_mul_f32_e32 v3, 0, v1
	v_div_fixup_f32 v2, v2, v5, 1.0
	v_add_f32_e32 v5, 1.0, v3
	v_sub_f32_e32 v4, 0, v1
	v_pk_mul_f32 v[6:7], v[4:5], v[2:3] op_sel_hi:[1,0]
                                        ; implicit-def: $vgpr2
                                        ; implicit-def: $vgpr1
.LBB175_426:
	s_andn2_saveexec_b64 s[0:1], s[0:1]
	s_cbranch_execz .LBB175_428
; %bb.427:
	v_div_scale_f32 v3, s[4:5], v2, v2, 1.0
	v_rcp_f32_e32 v4, v3
	v_div_scale_f32 v5, vcc, 1.0, v2, 1.0
	v_fma_f32 v6, -v3, v4, 1.0
	v_fmac_f32_e32 v4, v6, v4
	v_mul_f32_e32 v6, v5, v4
	v_fma_f32 v7, -v3, v6, v5
	v_fmac_f32_e32 v6, v7, v4
	v_fma_f32 v3, -v3, v6, v5
	v_div_scale_f32 v5, s[4:5], v1, v1, 0
	v_rcp_f32_e32 v8, v5
	v_div_fmas_f32 v3, v3, v4, v6
	v_div_fixup_f32 v7, v3, v2, 1.0
	v_fma_f32 v2, -v5, v8, 1.0
	v_fmac_f32_e32 v8, v2, v8
	v_div_scale_f32 v2, vcc, 0, v1, 0
	v_mul_f32_e32 v3, v2, v8
	v_fma_f32 v4, -v5, v3, v2
	v_fmac_f32_e32 v3, v4, v8
	v_fma_f32 v2, -v5, v3, v2
	v_div_fmas_f32 v2, v2, v8, v3
	v_div_fixup_f32 v6, v2, v1, 0
.LBB175_428:
	s_or_b64 exec, exec, s[0:1]
                                        ; implicit-def: $vgpr3
                                        ; implicit-def: $vgpr5
.LBB175_429:
	s_andn2_saveexec_b64 s[0:1], s[2:3]
	s_cbranch_execz .LBB175_431
; %bb.430:
	v_div_scale_f32 v1, s[2:3], v3, v3, v5
	v_rcp_f32_e32 v2, v1
	v_div_scale_f32 v4, vcc, v5, v3, v5
	v_fma_f32 v6, -v1, v2, 1.0
	v_fmac_f32_e32 v2, v6, v2
	v_mul_f32_e32 v6, v4, v2
	v_fma_f32 v7, -v1, v6, v4
	v_fmac_f32_e32 v6, v7, v2
	v_fma_f32 v1, -v1, v6, v4
	v_div_fmas_f32 v1, v1, v2, v6
	v_div_fixup_f32 v7, v1, v3, v5
	v_fmac_f32_e32 v3, v5, v7
	v_div_scale_f32 v1, s[2:3], v3, v3, 1.0
	v_rcp_f32_e32 v2, v1
	s_mov_b64 s[2:3], 0xbf800000
	v_fma_f32 v4, -v1, v2, 1.0
	v_fmac_f32_e32 v2, v4, v2
	v_div_scale_f32 v4, vcc, 1.0, v3, 1.0
	v_mul_f32_e32 v5, v4, v2
	v_fma_f32 v6, -v1, v5, v4
	v_fmac_f32_e32 v5, v6, v2
	v_fma_f32 v1, -v1, v5, v4
	v_div_fmas_f32 v1, v1, v2, v5
	v_mul_f32_e32 v6, 0, v7
	v_div_fixup_f32 v2, v1, v3, 1.0
	v_pk_add_f32 v[4:5], v[6:7], s[2:3]
	s_nop 0
	v_pk_mul_f32 v[6:7], v[4:5], v[2:3] op_sel_hi:[1,0]
.LBB175_431:
	s_or_b64 exec, exec, s[0:1]
	v_mov_b32_e32 v1, 0
	s_mov_b64 s[0:1], exec
	v_lshl_add_u64 v[8:9], s[16:17], 0, v[0:1]
	v_mov_b32_e32 v17, v6
	global_store_dword v0, v7, s[16:17]
.LBB175_432:
	s_or_b64 exec, exec, s[48:49]
	s_waitcnt lgkmcnt(0)
	s_and_b64 s[24:25], s[0:1], exec
                                        ; implicit-def: $vgpr16
                                        ; implicit-def: $vgpr6
	s_andn2_saveexec_b64 s[26:27], s[38:39]
	s_cbranch_execnz .LBB175_9
.LBB175_433:
	s_or_b64 exec, exec, s[26:27]
	s_and_saveexec_b64 s[0:1], s[24:25]
	s_cbranch_execz .LBB175_267
.LBB175_434:
	global_store_dword v[8:9], v17, off offset:4
	s_endpgm
	.section	.rodata,"a",@progbits
	.p2align	6, 0x0
	.amdhsa_kernel _ZN2at6native32elementwise_kernel_manual_unrollILi128ELi4EZNS0_22gpu_kernel_impl_nocastIZZZNS0_17rsqrt_kernel_cudaERNS_18TensorIteratorBaseEENKUlvE_clEvENKUlvE0_clEvEUlN3c107complexIfEEE_EEvS4_RKT_EUlibE_EEviT1_
		.amdhsa_group_segment_fixed_size 0
		.amdhsa_private_segment_fixed_size 0
		.amdhsa_kernarg_size 360
		.amdhsa_user_sgpr_count 2
		.amdhsa_user_sgpr_dispatch_ptr 0
		.amdhsa_user_sgpr_queue_ptr 0
		.amdhsa_user_sgpr_kernarg_segment_ptr 1
		.amdhsa_user_sgpr_dispatch_id 0
		.amdhsa_user_sgpr_kernarg_preload_length 0
		.amdhsa_user_sgpr_kernarg_preload_offset 0
		.amdhsa_user_sgpr_private_segment_size 0
		.amdhsa_uses_dynamic_stack 0
		.amdhsa_enable_private_segment 0
		.amdhsa_system_sgpr_workgroup_id_x 1
		.amdhsa_system_sgpr_workgroup_id_y 0
		.amdhsa_system_sgpr_workgroup_id_z 0
		.amdhsa_system_sgpr_workgroup_info 0
		.amdhsa_system_vgpr_workitem_id 0
		.amdhsa_next_free_vgpr 18
		.amdhsa_next_free_sgpr 60
		.amdhsa_accum_offset 20
		.amdhsa_reserve_vcc 1
		.amdhsa_float_round_mode_32 0
		.amdhsa_float_round_mode_16_64 0
		.amdhsa_float_denorm_mode_32 3
		.amdhsa_float_denorm_mode_16_64 3
		.amdhsa_dx10_clamp 1
		.amdhsa_ieee_mode 1
		.amdhsa_fp16_overflow 0
		.amdhsa_tg_split 0
		.amdhsa_exception_fp_ieee_invalid_op 0
		.amdhsa_exception_fp_denorm_src 0
		.amdhsa_exception_fp_ieee_div_zero 0
		.amdhsa_exception_fp_ieee_overflow 0
		.amdhsa_exception_fp_ieee_underflow 0
		.amdhsa_exception_fp_ieee_inexact 0
		.amdhsa_exception_int_div_zero 0
	.end_amdhsa_kernel
	.section	.text._ZN2at6native32elementwise_kernel_manual_unrollILi128ELi4EZNS0_22gpu_kernel_impl_nocastIZZZNS0_17rsqrt_kernel_cudaERNS_18TensorIteratorBaseEENKUlvE_clEvENKUlvE0_clEvEUlN3c107complexIfEEE_EEvS4_RKT_EUlibE_EEviT1_,"axG",@progbits,_ZN2at6native32elementwise_kernel_manual_unrollILi128ELi4EZNS0_22gpu_kernel_impl_nocastIZZZNS0_17rsqrt_kernel_cudaERNS_18TensorIteratorBaseEENKUlvE_clEvENKUlvE0_clEvEUlN3c107complexIfEEE_EEvS4_RKT_EUlibE_EEviT1_,comdat
.Lfunc_end175:
	.size	_ZN2at6native32elementwise_kernel_manual_unrollILi128ELi4EZNS0_22gpu_kernel_impl_nocastIZZZNS0_17rsqrt_kernel_cudaERNS_18TensorIteratorBaseEENKUlvE_clEvENKUlvE0_clEvEUlN3c107complexIfEEE_EEvS4_RKT_EUlibE_EEviT1_, .Lfunc_end175-_ZN2at6native32elementwise_kernel_manual_unrollILi128ELi4EZNS0_22gpu_kernel_impl_nocastIZZZNS0_17rsqrt_kernel_cudaERNS_18TensorIteratorBaseEENKUlvE_clEvENKUlvE0_clEvEUlN3c107complexIfEEE_EEvS4_RKT_EUlibE_EEviT1_
                                        ; -- End function
	.set _ZN2at6native32elementwise_kernel_manual_unrollILi128ELi4EZNS0_22gpu_kernel_impl_nocastIZZZNS0_17rsqrt_kernel_cudaERNS_18TensorIteratorBaseEENKUlvE_clEvENKUlvE0_clEvEUlN3c107complexIfEEE_EEvS4_RKT_EUlibE_EEviT1_.num_vgpr, 18
	.set _ZN2at6native32elementwise_kernel_manual_unrollILi128ELi4EZNS0_22gpu_kernel_impl_nocastIZZZNS0_17rsqrt_kernel_cudaERNS_18TensorIteratorBaseEENKUlvE_clEvENKUlvE0_clEvEUlN3c107complexIfEEE_EEvS4_RKT_EUlibE_EEviT1_.num_agpr, 0
	.set _ZN2at6native32elementwise_kernel_manual_unrollILi128ELi4EZNS0_22gpu_kernel_impl_nocastIZZZNS0_17rsqrt_kernel_cudaERNS_18TensorIteratorBaseEENKUlvE_clEvENKUlvE0_clEvEUlN3c107complexIfEEE_EEvS4_RKT_EUlibE_EEviT1_.numbered_sgpr, 60
	.set _ZN2at6native32elementwise_kernel_manual_unrollILi128ELi4EZNS0_22gpu_kernel_impl_nocastIZZZNS0_17rsqrt_kernel_cudaERNS_18TensorIteratorBaseEENKUlvE_clEvENKUlvE0_clEvEUlN3c107complexIfEEE_EEvS4_RKT_EUlibE_EEviT1_.num_named_barrier, 0
	.set _ZN2at6native32elementwise_kernel_manual_unrollILi128ELi4EZNS0_22gpu_kernel_impl_nocastIZZZNS0_17rsqrt_kernel_cudaERNS_18TensorIteratorBaseEENKUlvE_clEvENKUlvE0_clEvEUlN3c107complexIfEEE_EEvS4_RKT_EUlibE_EEviT1_.private_seg_size, 0
	.set _ZN2at6native32elementwise_kernel_manual_unrollILi128ELi4EZNS0_22gpu_kernel_impl_nocastIZZZNS0_17rsqrt_kernel_cudaERNS_18TensorIteratorBaseEENKUlvE_clEvENKUlvE0_clEvEUlN3c107complexIfEEE_EEvS4_RKT_EUlibE_EEviT1_.uses_vcc, 1
	.set _ZN2at6native32elementwise_kernel_manual_unrollILi128ELi4EZNS0_22gpu_kernel_impl_nocastIZZZNS0_17rsqrt_kernel_cudaERNS_18TensorIteratorBaseEENKUlvE_clEvENKUlvE0_clEvEUlN3c107complexIfEEE_EEvS4_RKT_EUlibE_EEviT1_.uses_flat_scratch, 0
	.set _ZN2at6native32elementwise_kernel_manual_unrollILi128ELi4EZNS0_22gpu_kernel_impl_nocastIZZZNS0_17rsqrt_kernel_cudaERNS_18TensorIteratorBaseEENKUlvE_clEvENKUlvE0_clEvEUlN3c107complexIfEEE_EEvS4_RKT_EUlibE_EEviT1_.has_dyn_sized_stack, 0
	.set _ZN2at6native32elementwise_kernel_manual_unrollILi128ELi4EZNS0_22gpu_kernel_impl_nocastIZZZNS0_17rsqrt_kernel_cudaERNS_18TensorIteratorBaseEENKUlvE_clEvENKUlvE0_clEvEUlN3c107complexIfEEE_EEvS4_RKT_EUlibE_EEviT1_.has_recursion, 0
	.set _ZN2at6native32elementwise_kernel_manual_unrollILi128ELi4EZNS0_22gpu_kernel_impl_nocastIZZZNS0_17rsqrt_kernel_cudaERNS_18TensorIteratorBaseEENKUlvE_clEvENKUlvE0_clEvEUlN3c107complexIfEEE_EEvS4_RKT_EUlibE_EEviT1_.has_indirect_call, 0
	.section	.AMDGPU.csdata,"",@progbits
; Kernel info:
; codeLenInByte = 19304
; TotalNumSgprs: 66
; NumVgprs: 18
; NumAgprs: 0
; TotalNumVgprs: 18
; ScratchSize: 0
; MemoryBound: 0
; FloatMode: 240
; IeeeMode: 1
; LDSByteSize: 0 bytes/workgroup (compile time only)
; SGPRBlocks: 8
; VGPRBlocks: 2
; NumSGPRsForWavesPerEU: 66
; NumVGPRsForWavesPerEU: 18
; AccumOffset: 20
; Occupancy: 8
; WaveLimiterHint : 1
; COMPUTE_PGM_RSRC2:SCRATCH_EN: 0
; COMPUTE_PGM_RSRC2:USER_SGPR: 2
; COMPUTE_PGM_RSRC2:TRAP_HANDLER: 0
; COMPUTE_PGM_RSRC2:TGID_X_EN: 1
; COMPUTE_PGM_RSRC2:TGID_Y_EN: 0
; COMPUTE_PGM_RSRC2:TGID_Z_EN: 0
; COMPUTE_PGM_RSRC2:TIDIG_COMP_CNT: 0
; COMPUTE_PGM_RSRC3_GFX90A:ACCUM_OFFSET: 4
; COMPUTE_PGM_RSRC3_GFX90A:TG_SPLIT: 0
	.section	.text._ZN2at6native32elementwise_kernel_manual_unrollILi128ELi4EZNS0_15gpu_kernel_implIZZZNS0_17rsqrt_kernel_cudaERNS_18TensorIteratorBaseEENKUlvE_clEvENKUlvE0_clEvEUlN3c107complexIfEEE_EEvS4_RKT_EUlibE_EEviT1_,"axG",@progbits,_ZN2at6native32elementwise_kernel_manual_unrollILi128ELi4EZNS0_15gpu_kernel_implIZZZNS0_17rsqrt_kernel_cudaERNS_18TensorIteratorBaseEENKUlvE_clEvENKUlvE0_clEvEUlN3c107complexIfEEE_EEvS4_RKT_EUlibE_EEviT1_,comdat
	.globl	_ZN2at6native32elementwise_kernel_manual_unrollILi128ELi4EZNS0_15gpu_kernel_implIZZZNS0_17rsqrt_kernel_cudaERNS_18TensorIteratorBaseEENKUlvE_clEvENKUlvE0_clEvEUlN3c107complexIfEEE_EEvS4_RKT_EUlibE_EEviT1_ ; -- Begin function _ZN2at6native32elementwise_kernel_manual_unrollILi128ELi4EZNS0_15gpu_kernel_implIZZZNS0_17rsqrt_kernel_cudaERNS_18TensorIteratorBaseEENKUlvE_clEvENKUlvE0_clEvEUlN3c107complexIfEEE_EEvS4_RKT_EUlibE_EEviT1_
	.p2align	8
	.type	_ZN2at6native32elementwise_kernel_manual_unrollILi128ELi4EZNS0_15gpu_kernel_implIZZZNS0_17rsqrt_kernel_cudaERNS_18TensorIteratorBaseEENKUlvE_clEvENKUlvE0_clEvEUlN3c107complexIfEEE_EEvS4_RKT_EUlibE_EEviT1_,@function
_ZN2at6native32elementwise_kernel_manual_unrollILi128ELi4EZNS0_15gpu_kernel_implIZZZNS0_17rsqrt_kernel_cudaERNS_18TensorIteratorBaseEENKUlvE_clEvENKUlvE0_clEvEUlN3c107complexIfEEE_EEvS4_RKT_EUlibE_EEviT1_: ; @_ZN2at6native32elementwise_kernel_manual_unrollILi128ELi4EZNS0_15gpu_kernel_implIZZZNS0_17rsqrt_kernel_cudaERNS_18TensorIteratorBaseEENKUlvE_clEvENKUlvE0_clEvEUlN3c107complexIfEEE_EEvS4_RKT_EUlibE_EEviT1_
; %bb.0:
	v_mov_b32_e32 v1, 0
	global_load_ushort v1, v1, s[0:1] offset:33
	s_load_dwordx4 s[4:7], s[0:1], 0x8
	s_load_dwordx2 s[8:9], s[0:1], 0x18
	s_load_dword s45, s[0:1], 0x0
	v_lshl_or_b32 v10, s2, 9, v0
	v_or_b32_e32 v0, 0x180, v10
	s_mov_b64 s[10:11], 0
	s_mov_b64 s[14:15], 0
	s_waitcnt lgkmcnt(0)
	v_cmp_le_i32_e32 vcc, s45, v0
	s_waitcnt vmcnt(0)
	v_readfirstlane_b32 s33, v1
	s_and_b32 s0, 0xffff, s33
	s_lshr_b32 s44, s0, 8
	s_and_saveexec_b64 s[0:1], vcc
	s_xor_b64 s[12:13], exec, s[0:1]
	s_cbranch_execz .LBB176_1178
; %bb.1:
	v_cmp_gt_i32_e32 vcc, s45, v10
	s_mov_b64 s[2:3], -1
	s_mov_b64 s[22:23], 0
	s_mov_b64 s[16:17], 0
	s_and_saveexec_b64 s[18:19], vcc
	s_cbranch_execz .LBB176_289
; %bb.2:
	v_mul_lo_u32 v0, v10, s9
	v_ashrrev_i32_e32 v1, 31, v0
	s_and_b32 s20, 0xffff, s44
	s_cmp_lt_i32 s20, 11
	v_lshl_add_u64 v[2:3], s[6:7], 0, v[0:1]
	s_cbranch_scc1 .LBB176_9
; %bb.3:
	s_cmp_gt_i32 s20, 25
	s_cbranch_scc0 .LBB176_23
; %bb.4:
	s_cmp_gt_i32 s20, 28
	s_cbranch_scc0 .LBB176_24
	;; [unrolled: 3-line block ×4, first 2 shown]
; %bb.7:
	s_cmp_eq_u32 s20, 46
	s_mov_b64 s[2:3], 0
	s_cbranch_scc0 .LBB176_65
; %bb.8:
	global_load_dword v0, v[2:3], off
	s_mov_b64 s[0:1], -1
	s_waitcnt vmcnt(0)
	v_and_b32_e32 v1, 0xffff0000, v0
	v_lshlrev_b32_e32 v0, 16, v0
	s_branch .LBB176_67
.LBB176_9:
                                        ; implicit-def: $vgpr0_vgpr1
	s_mov_b64 s[0:1], 0
	s_and_b64 vcc, exec, s[2:3]
	s_cbranch_vccnz .LBB176_240
.LBB176_10:
	s_andn2_b64 vcc, exec, s[0:1]
	s_cbranch_vccnz .LBB176_287
.LBB176_11:
	s_waitcnt vmcnt(0)
	v_cmp_neq_f32_e32 vcc, 0, v0
	v_cmp_neq_f32_e64 s[0:1], 0, v1
	v_mov_b32_e32 v4, 0
	s_or_b64 s[0:1], vcc, s[0:1]
	s_and_saveexec_b64 s[14:15], s[0:1]
	s_cbranch_execz .LBB176_44
; %bb.12:
	v_mov_b32_e32 v4, 0x7f800000
	v_cmp_neq_f32_e64 s[0:1], |v1|, v4
	s_and_saveexec_b64 s[20:21], s[0:1]
	s_cbranch_execz .LBB176_43
; %bb.13:
	v_cmp_o_f32_e32 vcc, v0, v0
                                        ; implicit-def: $vgpr4
	s_and_saveexec_b64 s[0:1], vcc
	s_xor_b64 s[24:25], exec, s[0:1]
	s_cbranch_execz .LBB176_40
; %bb.14:
	s_mov_b32 s0, 0x7f800000
	v_cmp_neq_f32_e64 s[0:1], |v0|, s0
                                        ; implicit-def: $vgpr4
	s_and_saveexec_b64 s[2:3], s[0:1]
	s_xor_b64 s[26:27], exec, s[2:3]
	s_cbranch_execz .LBB176_33
; %bb.15:
	v_max_f32_e64 v2, |v1|, |v1|
	v_max_f32_e64 v3, |v0|, |v0|
	v_max_f32_e32 v2, v3, v2
	s_mov_b32 s0, 0x7ed413cb
	v_cmp_nle_f32_e64 s[0:1], s0, v2
                                        ; implicit-def: $sgpr28_sgpr29
	s_and_saveexec_b64 s[2:3], s[0:1]
	s_xor_b64 s[2:3], exec, s[2:3]
	s_cbranch_execz .LBB176_19
; %bb.16:
	s_mov_b32 s30, 0x1000000
	v_cmp_le_f32_e64 s[28:29], |v0|, s30
	v_cmp_le_f32_e64 s[30:31], |v1|, s30
	s_and_b64 s[34:35], s[28:29], s[30:31]
	s_mov_b64 s[28:29], 0
	s_and_saveexec_b64 s[30:31], s[34:35]
; %bb.17:
	s_mov_b64 s[28:29], exec
	v_pk_mul_f32 v[0:1], v[0:1], 4.0 op_sel_hi:[1,0]
; %bb.18:
	s_or_b64 exec, exec, s[30:31]
.LBB176_19:
	s_andn2_saveexec_b64 s[2:3], s[2:3]
; %bb.20:
	s_mov_b32 s30, 0x3e800000
	v_pk_mul_f32 v[0:1], v[0:1], s[30:31] op_sel_hi:[1,0]
	s_andn2_b64 s[28:29], s[28:29], exec
; %bb.21:
	s_or_b64 exec, exec, s[2:3]
	v_max_f32_e64 v2, |v1|, |v1|
	v_max_f32_e64 v3, |v0|, |v0|
	v_max_f32_e32 v4, v3, v2
	v_cvt_f64_f32_e32 v[2:3], v4
	v_frexp_exp_i32_f64_e32 v2, v[2:3]
	v_sub_u32_e32 v3, 0, v2
	v_ldexp_f32 v5, |v0|, v3
	v_ldexp_f32 v3, |v1|, v3
	v_mul_f32_e32 v3, v3, v3
	v_fmac_f32_e32 v3, v5, v5
	v_sqrt_f32_e32 v3, v3
	s_mov_b32 s2, 0x7f800000
	v_cmp_neq_f32_e64 s[2:3], s2, v4
	v_cmp_le_f32_e32 vcc, 0, v0
	v_ldexp_f32 v2, v3, v2
	v_mov_b32_e32 v3, 0x7f800000
	v_cndmask_b32_e64 v4, v3, v2, s[2:3]
                                        ; implicit-def: $vgpr2_vgpr3
	s_and_saveexec_b64 s[2:3], vcc
	s_xor_b64 s[30:31], exec, s[2:3]
	s_cbranch_execz .LBB176_26
; %bb.22:
	v_add_f32_e32 v0, v0, v4
	v_mul_f32_e32 v0, 0.5, v0
	s_mov_b32 s2, 0xf800000
	v_mul_f32_e32 v2, 0x4f800000, v0
	v_cmp_gt_f32_e32 vcc, s2, v0
	s_nop 1
	v_cndmask_b32_e32 v0, v0, v2, vcc
	v_sqrt_f32_e32 v2, v0
	s_nop 0
	v_add_u32_e32 v3, -1, v2
	v_fma_f32 v4, -v3, v2, v0
	v_cmp_ge_f32_e64 s[2:3], 0, v4
	v_add_u32_e32 v4, 1, v2
	s_nop 0
	v_cndmask_b32_e64 v3, v2, v3, s[2:3]
	v_fma_f32 v2, -v4, v2, v0
	v_cmp_lt_f32_e64 s[2:3], 0, v2
	s_nop 1
	v_cndmask_b32_e64 v2, v3, v4, s[2:3]
	v_mul_f32_e32 v3, 0x37800000, v2
	v_cndmask_b32_e32 v2, v2, v3, vcc
	v_mov_b32_e32 v3, 0x260
	v_cmp_class_f32_e32 vcc, v0, v3
	s_nop 1
	v_cndmask_b32_e32 v2, v2, v0, vcc
	v_add_f32_e32 v0, v2, v2
	v_div_scale_f32 v3, s[2:3], v0, v0, v1
	v_rcp_f32_e32 v4, v3
	s_nop 0
	v_fma_f32 v5, -v3, v4, 1.0
	v_fmac_f32_e32 v4, v5, v4
	v_div_scale_f32 v5, vcc, v1, v0, v1
	v_mul_f32_e32 v6, v5, v4
	v_fma_f32 v7, -v3, v6, v5
	v_fmac_f32_e32 v6, v7, v4
	v_fma_f32 v3, -v3, v6, v5
	v_div_fmas_f32 v3, v3, v4, v6
	v_div_fixup_f32 v3, v3, v0, v1
                                        ; implicit-def: $vgpr4
                                        ; implicit-def: $vgpr0_vgpr1
	s_andn2_saveexec_b64 s[30:31], s[30:31]
	s_cbranch_execz .LBB176_28
	s_branch .LBB176_27
.LBB176_23:
	s_mov_b64 s[0:1], 0
                                        ; implicit-def: $vgpr0_vgpr1
	s_and_b64 vcc, exec, s[2:3]
	s_cbranch_vccnz .LBB176_207
	s_branch .LBB176_239
.LBB176_24:
	s_mov_b64 s[0:1], 0
                                        ; implicit-def: $vgpr0_vgpr1
	s_branch .LBB176_186
.LBB176_25:
	s_mov_b64 s[0:1], 0
                                        ; implicit-def: $vgpr0_vgpr1
	s_branch .LBB176_181
.LBB176_26:
	s_andn2_saveexec_b64 s[30:31], s[30:31]
	s_cbranch_execz .LBB176_28
.LBB176_27:
	v_sub_f32_e32 v0, v4, v0
	v_mul_f32_e32 v0, 0.5, v0
	s_mov_b32 s2, 0xf800000
	v_mul_f32_e32 v2, 0x4f800000, v0
	v_cmp_gt_f32_e32 vcc, s2, v0
	s_nop 1
	v_cndmask_b32_e32 v0, v0, v2, vcc
	v_sqrt_f32_e32 v2, v0
	s_nop 0
	v_add_u32_e32 v3, -1, v2
	v_fma_f32 v4, -v3, v2, v0
	v_cmp_ge_f32_e64 s[2:3], 0, v4
	v_add_u32_e32 v4, 1, v2
	s_nop 0
	v_cndmask_b32_e64 v3, v2, v3, s[2:3]
	v_fma_f32 v2, -v4, v2, v0
	v_cmp_lt_f32_e64 s[2:3], 0, v2
	s_nop 1
	v_cndmask_b32_e64 v2, v3, v4, s[2:3]
	v_mul_f32_e32 v3, 0x37800000, v2
	v_cndmask_b32_e32 v2, v2, v3, vcc
	v_mov_b32_e32 v3, 0x260
	v_cmp_class_f32_e32 vcc, v0, v3
	v_and_b32_e32 v3, 0x7fffffff, v1
	s_nop 0
	v_cndmask_b32_e32 v0, v2, v0, vcc
	v_add_f32_e32 v2, v0, v0
	v_div_scale_f32 v4, s[2:3], v2, v2, v3
	v_rcp_f32_e32 v5, v4
	v_div_scale_f32 v3, vcc, v3, v2, v3
	s_brev_b32 s2, -2
	v_fma_f32 v6, -v4, v5, 1.0
	v_fmac_f32_e32 v5, v6, v5
	v_mul_f32_e32 v6, v3, v5
	v_fma_f32 v7, -v4, v6, v3
	v_fmac_f32_e32 v6, v7, v5
	v_fma_f32 v3, -v4, v6, v3
	v_div_fmas_f32 v3, v3, v5, v6
	v_div_fixup_f32 v2, v3, v2, |v1|
	v_bfi_b32 v3, s2, v0, v1
.LBB176_28:
	s_or_b64 exec, exec, s[30:31]
                                        ; implicit-def: $vgpr1
                                        ; implicit-def: $vgpr4
	s_and_saveexec_b64 s[2:3], s[0:1]
	s_xor_b64 s[0:1], exec, s[2:3]
	s_cbranch_execz .LBB176_30
; %bb.29:
	v_pk_mul_f32 v[0:1], v[2:3], 0.5 op_sel_hi:[1,0]
	s_nop 0
	v_cndmask_b32_e64 v4, v2, v0, s[28:29]
	v_cndmask_b32_e64 v1, v3, v1, s[28:29]
                                        ; implicit-def: $vgpr2_vgpr3
	s_andn2_saveexec_b64 s[0:1], s[0:1]
	s_cbranch_execnz .LBB176_31
	s_branch .LBB176_32
.LBB176_30:
	s_andn2_saveexec_b64 s[0:1], s[0:1]
.LBB176_31:
	v_pk_add_f32 v[0:1], v[2:3], v[2:3]
	s_nop 0
	v_mov_b32_e32 v4, v0
.LBB176_32:
	s_or_b64 exec, exec, s[0:1]
.LBB176_33:
	s_andn2_saveexec_b64 s[0:1], s[26:27]
	s_cbranch_execz .LBB176_39
; %bb.34:
	v_sub_f32_e32 v2, v1, v1
	v_cmp_lt_i32_e32 vcc, -1, v0
	s_brev_b32 s26, -2
	v_and_b32_e32 v4, 0x7fffffff, v2
	s_and_saveexec_b64 s[2:3], vcc
	s_xor_b64 s[2:3], exec, s[2:3]
; %bb.35:
	v_bfi_b32 v1, s26, v2, v1
	v_mov_b32_e32 v4, v0
; %bb.36:
	s_andn2_saveexec_b64 s[2:3], s[2:3]
; %bb.37:
	v_bfi_b32 v1, s26, v0, v1
; %bb.38:
	s_or_b64 exec, exec, s[2:3]
.LBB176_39:
	s_or_b64 exec, exec, s[0:1]
.LBB176_40:
	s_andn2_saveexec_b64 s[0:1], s[24:25]
	s_cbranch_execz .LBB176_42
; %bb.41:
	v_sub_f32_e32 v1, v1, v1
	v_div_scale_f32 v2, vcc, v1, v1, v1
	v_rcp_f32_e32 v3, v2
	s_nop 0
	v_fma_f32 v4, -v2, v3, 1.0
	v_fmac_f32_e32 v3, v4, v3
	v_mul_f32_e32 v4, v2, v3
	v_fma_f32 v5, -v2, v4, v2
	v_fmac_f32_e32 v4, v5, v3
	v_fma_f32 v2, -v2, v4, v2
	v_div_fmas_f32 v2, v2, v3, v4
	v_div_fixup_f32 v1, v2, v1, v1
	v_mov_b32_e32 v4, v0
.LBB176_42:
	s_or_b64 exec, exec, s[0:1]
.LBB176_43:
	s_or_b64 exec, exec, s[20:21]
.LBB176_44:
	s_or_b64 exec, exec, s[14:15]
	v_cmp_gt_f32_e32 vcc, 0, v1
                                        ; implicit-def: $vgpr2_vgpr3
	s_nop 1
	v_cndmask_b32_e64 v5, v1, -v1, vcc
	v_cmp_gt_f32_e32 vcc, 0, v4
	s_nop 1
	v_cndmask_b32_e64 v0, v4, -v4, vcc
	v_cmp_ge_f32_e32 vcc, v0, v5
	s_and_saveexec_b64 s[0:1], vcc
	s_xor_b64 s[2:3], exec, s[0:1]
	s_cbranch_execz .LBB176_50
; %bb.45:
	v_cmp_neq_f32_e32 vcc, 0, v4
	v_cmp_neq_f32_e64 s[0:1], 0, v1
	s_or_b64 s[0:1], vcc, s[0:1]
                                        ; implicit-def: $vgpr2_vgpr3
	s_and_saveexec_b64 s[14:15], s[0:1]
	s_xor_b64 s[0:1], exec, s[14:15]
	s_cbranch_execz .LBB176_47
; %bb.46:
	v_div_scale_f32 v0, s[14:15], v4, v4, v1
	v_rcp_f32_e32 v2, v0
	v_div_scale_f32 v3, vcc, v1, v4, v1
	v_fma_f32 v5, -v0, v2, 1.0
	v_fmac_f32_e32 v2, v5, v2
	v_mul_f32_e32 v5, v3, v2
	v_fma_f32 v6, -v0, v5, v3
	v_fmac_f32_e32 v5, v6, v2
	v_fma_f32 v0, -v0, v5, v3
	v_div_fmas_f32 v0, v0, v2, v5
	v_div_fixup_f32 v3, v0, v4, v1
	v_fmac_f32_e32 v4, v1, v3
	v_div_scale_f32 v0, s[14:15], v4, v4, 1.0
	v_rcp_f32_e32 v1, v0
	s_nop 0
	v_fma_f32 v2, -v0, v1, 1.0
	v_fmac_f32_e32 v1, v2, v1
	v_div_scale_f32 v2, vcc, 1.0, v4, 1.0
	v_mul_f32_e32 v5, v2, v1
	v_fma_f32 v6, -v0, v5, v2
	v_fmac_f32_e32 v5, v6, v1
	v_fma_f32 v0, -v0, v5, v2
	v_div_fmas_f32 v0, v0, v1, v5
	v_mul_f32_e32 v1, 0, v3
	v_div_fixup_f32 v0, v0, v4, 1.0
	v_add_f32_e32 v2, 1.0, v1
	v_sub_f32_e32 v3, 0, v3
	v_pk_mul_f32 v[2:3], v[2:3], v[0:1] op_sel_hi:[1,0]
                                        ; implicit-def: $vgpr5
                                        ; implicit-def: $vgpr0
.LBB176_47:
	s_andn2_saveexec_b64 s[0:1], s[0:1]
	s_cbranch_execz .LBB176_49
; %bb.48:
	v_div_scale_f32 v1, s[14:15], v5, v5, 0
	v_rcp_f32_e32 v2, v1
	v_div_scale_f32 v3, vcc, 0, v5, 0
	v_fma_f32 v4, -v1, v2, 1.0
	v_fmac_f32_e32 v2, v4, v2
	v_mul_f32_e32 v4, v3, v2
	v_fma_f32 v6, -v1, v4, v3
	v_fmac_f32_e32 v4, v6, v2
	v_div_scale_f32 v6, s[14:15], v0, v0, 1.0
	v_rcp_f32_e32 v7, v6
	v_fma_f32 v1, -v1, v4, v3
	v_div_fmas_f32 v1, v1, v2, v4
	v_div_fixup_f32 v3, v1, v5, 0
	v_fma_f32 v1, -v6, v7, 1.0
	v_fmac_f32_e32 v7, v1, v7
	v_div_scale_f32 v1, vcc, 1.0, v0, 1.0
	v_mul_f32_e32 v2, v1, v7
	v_fma_f32 v4, -v6, v2, v1
	v_fmac_f32_e32 v2, v4, v7
	v_fma_f32 v1, -v6, v2, v1
	v_div_fmas_f32 v1, v1, v7, v2
	v_div_fixup_f32 v2, v1, v0, 1.0
.LBB176_49:
	s_or_b64 exec, exec, s[0:1]
                                        ; implicit-def: $vgpr1
                                        ; implicit-def: $vgpr4
.LBB176_50:
	s_andn2_saveexec_b64 s[0:1], s[2:3]
	s_cbranch_execz .LBB176_52
; %bb.51:
	v_div_scale_f32 v0, s[2:3], v1, v1, v4
	v_rcp_f32_e32 v2, v0
	v_div_scale_f32 v3, vcc, v4, v1, v4
	v_fma_f32 v5, -v0, v2, 1.0
	v_fmac_f32_e32 v2, v5, v2
	v_mul_f32_e32 v5, v3, v2
	v_fma_f32 v6, -v0, v5, v3
	v_fmac_f32_e32 v5, v6, v2
	v_fma_f32 v0, -v0, v5, v3
	v_div_fmas_f32 v0, v0, v2, v5
	v_div_fixup_f32 v0, v0, v1, v4
	v_fmac_f32_e32 v1, v4, v0
	v_div_scale_f32 v2, s[2:3], v1, v1, 1.0
	v_rcp_f32_e32 v3, v2
	s_mov_b32 s2, 0
	s_mov_b32 s3, -1.0
	v_fma_f32 v4, -v2, v3, 1.0
	v_fmac_f32_e32 v3, v4, v3
	v_div_scale_f32 v4, vcc, 1.0, v1, 1.0
	v_mul_f32_e32 v5, v4, v3
	v_fma_f32 v6, -v2, v5, v4
	v_fmac_f32_e32 v5, v6, v3
	v_fma_f32 v2, -v2, v5, v4
	v_div_fmas_f32 v2, v2, v3, v5
	v_div_fixup_f32 v2, v2, v1, 1.0
	v_mul_f32_e32 v1, 0, v0
	v_pk_add_f32 v[0:1], v[0:1], s[2:3]
	s_nop 0
	v_pk_mul_f32 v[2:3], v[0:1], v[2:3] op_sel_hi:[1,0]
.LBB176_52:
	s_or_b64 exec, exec, s[0:1]
	v_mul_lo_u32 v0, v10, s8
	v_ashrrev_i32_e32 v1, 31, v0
	s_and_b32 s24, s33, 0xff
	s_cmp_lt_i32 s24, 11
	v_lshl_add_u64 v[0:1], s[4:5], 0, v[0:1]
	s_cbranch_scc1 .LBB176_59
; %bb.53:
	s_and_b32 s25, 0xffff, s24
	s_cmp_gt_i32 s25, 25
	s_cbranch_scc0 .LBB176_62
; %bb.54:
	s_cmp_gt_i32 s25, 28
	s_cbranch_scc0 .LBB176_63
; %bb.55:
	;; [unrolled: 3-line block ×4, first 2 shown]
	s_mov_b64 s[14:15], 0
	s_mov_b64 s[0:1], -1
	s_cmp_eq_u32 s25, 46
	s_mov_b64 s[2:3], 0
	s_cbranch_scc0 .LBB176_71
; %bb.58:
	s_movk_i32 s0, 0x7fff
	v_bfe_u32 v5, v3, 16, 1
	v_add3_u32 v5, v3, v5, s0
	v_bfe_u32 v4, v2, 16, 1
	v_and_b32_e32 v5, 0xffff0000, v5
	v_mov_b32_e32 v6, 0x7fc00000
	v_cmp_o_f32_e32 vcc, v3, v3
	v_add3_u32 v4, v2, v4, s0
	s_mov_b64 s[2:3], -1
	v_cndmask_b32_e32 v5, v6, v5, vcc
	v_cmp_o_f32_e32 vcc, v2, v2
	v_mov_b32_e32 v6, 0x7fc0
	s_mov_b64 s[0:1], 0
	v_cndmask_b32_sdwa v4, v6, v4, vcc dst_sel:DWORD dst_unused:UNUSED_PAD src0_sel:DWORD src1_sel:WORD_1
	v_or_b32_e32 v4, v5, v4
	global_store_dword v[0:1], v4, off
	s_branch .LBB176_71
.LBB176_59:
	s_mov_b64 s[0:1], 0
	s_mov_b64 s[2:3], 0
	s_cbranch_execnz .LBB176_140
.LBB176_60:
	s_andn2_b64 vcc, exec, s[2:3]
	s_cbranch_vccnz .LBB176_178
.LBB176_61:
	v_add_u32_e32 v10, 0x80, v10
	s_mov_b64 s[2:3], -1
	s_branch .LBB176_288
.LBB176_62:
	s_mov_b64 s[14:15], -1
	s_mov_b64 s[0:1], 0
	s_mov_b64 s[2:3], 0
	s_branch .LBB176_98
.LBB176_63:
	s_mov_b64 s[14:15], -1
	s_mov_b64 s[0:1], 0
	s_mov_b64 s[2:3], 0
	s_branch .LBB176_81
.LBB176_64:
	s_mov_b64 s[14:15], -1
	s_mov_b64 s[0:1], 0
	s_mov_b64 s[2:3], 0
	s_branch .LBB176_77
.LBB176_65:
	s_mov_b64 s[16:17], -1
.LBB176_66:
	s_mov_b64 s[0:1], 0
                                        ; implicit-def: $vgpr0_vgpr1
.LBB176_67:
	s_and_b64 vcc, exec, s[2:3]
	s_cbranch_vccz .LBB176_180
; %bb.68:
	s_cmp_eq_u32 s20, 44
	s_cbranch_scc0 .LBB176_179
; %bb.69:
	global_load_ubyte v0, v[2:3], off
	s_movk_i32 s2, 0xff
	v_mov_b32_e32 v4, 0x7f800001
	v_mov_b32_e32 v5, 0x400000
	;; [unrolled: 1-line block ×3, first 2 shown]
	s_mov_b64 s[0:1], -1
	s_mov_b64 s[16:17], 0
	s_waitcnt vmcnt(0)
	v_lshlrev_b32_e32 v6, 23, v0
	v_cmp_ne_u32_e32 vcc, s2, v0
	s_nop 1
	v_cndmask_b32_e32 v4, v4, v6, vcc
	v_cmp_ne_u32_e32 vcc, 0, v0
	s_nop 1
	v_cndmask_b32_e32 v0, v5, v4, vcc
	s_branch .LBB176_180
.LBB176_70:
	s_mov_b64 s[14:15], -1
	s_mov_b64 s[0:1], 0
	s_mov_b64 s[2:3], 0
.LBB176_71:
	s_and_b64 vcc, exec, s[14:15]
	s_cbranch_vccz .LBB176_76
; %bb.72:
	s_cmp_eq_u32 s25, 44
	s_mov_b64 s[0:1], -1
	s_cbranch_scc0 .LBB176_76
; %bb.73:
	v_bfe_u32 v4, v2, 23, 8
	s_movk_i32 s0, 0xff
	v_cmp_ne_u32_e32 vcc, s0, v4
	v_mov_b32_e32 v5, 0xff
	s_and_saveexec_b64 s[2:3], vcc
; %bb.74:
	s_mov_b32 s0, 0x3fffff
	v_and_b32_e32 v6, 0x400000, v2
	v_and_or_b32 v4, v2, s0, v4
	v_cmp_ne_u32_e32 vcc, 0, v6
	v_cmp_ne_u32_e64 s[0:1], 0, v4
	s_and_b64 s[0:1], vcc, s[0:1]
	v_lshrrev_b32_e32 v5, 23, v2
	v_cndmask_b32_e64 v4, 0, 1, s[0:1]
	v_add_u32_e32 v5, v5, v4
; %bb.75:
	s_or_b64 exec, exec, s[2:3]
	s_mov_b64 s[2:3], -1
	s_mov_b64 s[0:1], 0
	global_store_byte v[0:1], v5, off
.LBB176_76:
	s_mov_b64 s[14:15], 0
.LBB176_77:
	s_and_b64 vcc, exec, s[14:15]
	s_cbranch_vccz .LBB176_80
; %bb.78:
	s_cmp_eq_u32 s25, 29
	s_mov_b64 s[0:1], -1
	s_cbranch_scc0 .LBB176_80
; %bb.79:
	v_trunc_f32_e32 v4, v2
	v_mul_f32_e32 v5, 0x2f800000, v4
	v_floor_f32_e32 v6, v5
	v_fmamk_f32 v4, v6, 0xcf800000, v4
	v_cvt_u32_f32_e32 v5, v6
	v_cvt_u32_f32_e32 v4, v4
	s_mov_b64 s[2:3], -1
	s_mov_b64 s[0:1], 0
	s_mov_b64 s[14:15], 0
	global_store_dwordx2 v[0:1], v[4:5], off
	s_branch .LBB176_81
.LBB176_80:
	s_mov_b64 s[14:15], 0
.LBB176_81:
	s_and_b64 vcc, exec, s[14:15]
	s_cbranch_vccz .LBB176_97
; %bb.82:
	s_cmp_lt_i32 s25, 27
	s_mov_b64 s[2:3], -1
	s_cbranch_scc1 .LBB176_88
; %bb.83:
	v_cvt_u32_f32_e32 v4, v2
	s_cmp_gt_i32 s25, 27
	s_cbranch_scc0 .LBB176_85
; %bb.84:
	s_mov_b64 s[2:3], 0
	global_store_dword v[0:1], v4, off
.LBB176_85:
	s_andn2_b64 vcc, exec, s[2:3]
	s_cbranch_vccnz .LBB176_87
; %bb.86:
	global_store_short v[0:1], v4, off
.LBB176_87:
	s_mov_b64 s[2:3], 0
.LBB176_88:
	s_andn2_b64 vcc, exec, s[2:3]
	s_cbranch_vccnz .LBB176_96
; %bb.89:
	v_and_b32_e32 v4, 0x7fffffff, v2
	s_mov_b32 s2, 0x43800000
	v_cmp_gt_u32_e32 vcc, s2, v4
	v_mov_b32_e32 v5, 0x80
	s_and_saveexec_b64 s[2:3], vcc
	s_cbranch_execz .LBB176_95
; %bb.90:
	s_mov_b32 s14, 0x3bffffff
	v_cmp_lt_u32_e32 vcc, s14, v4
	s_mov_b64 s[14:15], 0
                                        ; implicit-def: $vgpr4
	s_and_saveexec_b64 s[20:21], vcc
	s_xor_b64 s[20:21], exec, s[20:21]
	s_cbranch_execz .LBB176_318
; %bb.91:
	v_bfe_u32 v4, v2, 20, 1
	s_mov_b32 s26, 0x487ffff
	v_add3_u32 v4, v2, v4, s26
	s_mov_b64 s[14:15], exec
	v_lshrrev_b32_e32 v4, 20, v4
	s_andn2_saveexec_b64 s[20:21], s[20:21]
	s_cbranch_execnz .LBB176_319
.LBB176_92:
	s_or_b64 exec, exec, s[20:21]
	v_mov_b32_e32 v5, 0
	s_and_saveexec_b64 s[20:21], s[14:15]
.LBB176_93:
	v_lshrrev_b32_e32 v5, 24, v2
	s_movk_i32 s14, 0x80
	v_and_or_b32 v5, v5, s14, v4
.LBB176_94:
	s_or_b64 exec, exec, s[20:21]
.LBB176_95:
	s_or_b64 exec, exec, s[2:3]
	global_store_byte v[0:1], v5, off
.LBB176_96:
	s_mov_b64 s[2:3], -1
.LBB176_97:
	s_mov_b64 s[14:15], 0
.LBB176_98:
	s_and_b64 vcc, exec, s[14:15]
	s_cbranch_vccz .LBB176_139
; %bb.99:
	s_cmp_gt_i32 s25, 22
	s_mov_b64 s[14:15], -1
	s_cbranch_scc0 .LBB176_131
; %bb.100:
	s_cmp_lt_i32 s25, 24
	s_mov_b64 s[2:3], -1
	s_cbranch_scc1 .LBB176_120
; %bb.101:
	s_cmp_gt_i32 s25, 24
	s_cbranch_scc0 .LBB176_109
; %bb.102:
	v_and_b32_e32 v4, 0x7fffffff, v2
	s_mov_b32 s2, 0x47800000
	v_cmp_gt_u32_e32 vcc, s2, v4
	v_mov_b32_e32 v5, 0x80
	s_and_saveexec_b64 s[2:3], vcc
	s_cbranch_execz .LBB176_108
; %bb.103:
	s_mov_b32 s14, 0x37ffffff
	v_cmp_lt_u32_e32 vcc, s14, v4
	s_mov_b64 s[14:15], 0
                                        ; implicit-def: $vgpr4
	s_and_saveexec_b64 s[20:21], vcc
	s_xor_b64 s[20:21], exec, s[20:21]
	s_cbranch_execz .LBB176_358
; %bb.104:
	v_bfe_u32 v4, v2, 21, 1
	s_mov_b32 s26, 0x88fffff
	v_add3_u32 v4, v2, v4, s26
	s_mov_b64 s[14:15], exec
	v_lshrrev_b32_e32 v4, 21, v4
	s_andn2_saveexec_b64 s[20:21], s[20:21]
	s_cbranch_execnz .LBB176_359
.LBB176_105:
	s_or_b64 exec, exec, s[20:21]
	v_mov_b32_e32 v5, 0
	s_and_saveexec_b64 s[20:21], s[14:15]
.LBB176_106:
	v_lshrrev_b32_e32 v5, 24, v2
	s_movk_i32 s14, 0x80
	v_and_or_b32 v5, v5, s14, v4
.LBB176_107:
	s_or_b64 exec, exec, s[20:21]
.LBB176_108:
	s_or_b64 exec, exec, s[2:3]
	s_mov_b64 s[2:3], 0
	global_store_byte v[0:1], v5, off
.LBB176_109:
	s_and_b64 vcc, exec, s[2:3]
	s_cbranch_vccz .LBB176_119
; %bb.110:
	v_and_b32_e32 v5, 0x7fffffff, v2
	s_mov_b32 s2, 0x43f00000
	v_cmp_gt_u32_e32 vcc, s2, v5
                                        ; implicit-def: $vgpr4
	s_and_saveexec_b64 s[2:3], vcc
	s_xor_b64 s[2:3], exec, s[2:3]
	s_cbranch_execz .LBB176_116
; %bb.111:
	s_mov_b32 s14, 0x3c7fffff
	v_cmp_lt_u32_e32 vcc, s14, v5
                                        ; implicit-def: $vgpr4
	s_and_saveexec_b64 s[14:15], vcc
	s_xor_b64 s[14:15], exec, s[14:15]
; %bb.112:
	v_bfe_u32 v4, v2, 20, 1
	s_mov_b32 s20, 0x407ffff
	v_add3_u32 v4, v2, v4, s20
	v_lshrrev_b32_e32 v5, 20, v4
	v_and_b32_e32 v4, 0xff00000, v4
	s_mov_b32 s20, 0x7f00000
	v_mov_b32_e32 v6, 0x7e
	v_cmp_ne_u32_e32 vcc, s20, v4
	s_nop 1
	v_cndmask_b32_e32 v4, v6, v5, vcc
; %bb.113:
	s_andn2_saveexec_b64 s[14:15], s[14:15]
; %bb.114:
	s_mov_b32 s20, 0x46800000
	v_add_f32_e64 v4, |v2|, s20
; %bb.115:
	s_or_b64 exec, exec, s[14:15]
                                        ; implicit-def: $vgpr5
.LBB176_116:
	s_andn2_saveexec_b64 s[2:3], s[2:3]
; %bb.117:
	s_mov_b32 s14, 0x7f800000
	v_mov_b32_e32 v4, 0x7e
	v_mov_b32_e32 v6, 0x7f
	v_cmp_lt_u32_e32 vcc, s14, v5
	s_nop 1
	v_cndmask_b32_e32 v4, v4, v6, vcc
; %bb.118:
	s_or_b64 exec, exec, s[2:3]
	v_lshrrev_b32_e32 v5, 24, v2
	s_movk_i32 s2, 0x80
	v_and_or_b32 v4, v5, s2, v4
	global_store_byte v[0:1], v4, off
.LBB176_119:
	s_mov_b64 s[2:3], 0
.LBB176_120:
	s_andn2_b64 vcc, exec, s[2:3]
	s_cbranch_vccnz .LBB176_130
; %bb.121:
	v_and_b32_e32 v5, 0x7fffffff, v2
	s_mov_b32 s2, 0x47800000
	v_cmp_gt_u32_e32 vcc, s2, v5
                                        ; implicit-def: $vgpr4
	s_and_saveexec_b64 s[2:3], vcc
	s_xor_b64 s[2:3], exec, s[2:3]
	s_cbranch_execz .LBB176_127
; %bb.122:
	s_mov_b32 s14, 0x387fffff
	v_cmp_lt_u32_e32 vcc, s14, v5
                                        ; implicit-def: $vgpr4
	s_and_saveexec_b64 s[14:15], vcc
	s_xor_b64 s[14:15], exec, s[14:15]
; %bb.123:
	v_bfe_u32 v4, v2, 21, 1
	s_mov_b32 s20, 0x80fffff
	v_add3_u32 v4, v2, v4, s20
	v_lshrrev_b32_e32 v4, 21, v4
; %bb.124:
	s_andn2_saveexec_b64 s[14:15], s[14:15]
; %bb.125:
	s_mov_b32 s20, 0x43000000
	v_add_f32_e64 v4, |v2|, s20
; %bb.126:
	s_or_b64 exec, exec, s[14:15]
                                        ; implicit-def: $vgpr5
.LBB176_127:
	s_andn2_saveexec_b64 s[2:3], s[2:3]
; %bb.128:
	s_mov_b32 s14, 0x7f800000
	v_mov_b32_e32 v4, 0x7c
	v_mov_b32_e32 v6, 0x7f
	v_cmp_lt_u32_e32 vcc, s14, v5
	s_nop 1
	v_cndmask_b32_e32 v4, v4, v6, vcc
; %bb.129:
	s_or_b64 exec, exec, s[2:3]
	v_lshrrev_b32_e32 v5, 24, v2
	s_movk_i32 s2, 0x80
	v_and_or_b32 v4, v5, s2, v4
	global_store_byte v[0:1], v4, off
.LBB176_130:
	s_mov_b64 s[14:15], 0
	s_mov_b64 s[2:3], -1
.LBB176_131:
	s_andn2_b64 vcc, exec, s[14:15]
	s_cbranch_vccnz .LBB176_139
; %bb.132:
	s_cmp_gt_i32 s25, 14
	s_mov_b64 s[14:15], -1
	s_cbranch_scc0 .LBB176_136
; %bb.133:
	s_cmp_eq_u32 s25, 15
	s_mov_b64 s[0:1], -1
	s_cbranch_scc0 .LBB176_135
; %bb.134:
	v_bfe_u32 v4, v2, 16, 1
	s_movk_i32 s0, 0x7fff
	v_add3_u32 v4, v2, v4, s0
	v_cmp_o_f32_e32 vcc, v2, v2
	v_mov_b32_e32 v5, 0x7fc0
	s_mov_b64 s[2:3], -1
	v_cndmask_b32_sdwa v4, v5, v4, vcc dst_sel:DWORD dst_unused:UNUSED_PAD src0_sel:DWORD src1_sel:WORD_1
	global_store_short v[0:1], v4, off
	s_mov_b64 s[0:1], 0
.LBB176_135:
	s_mov_b64 s[14:15], 0
.LBB176_136:
	s_and_b64 vcc, exec, s[14:15]
	s_cbranch_vccz .LBB176_139
; %bb.137:
	s_cmp_eq_u32 s25, 11
	s_mov_b64 s[0:1], -1
	s_cbranch_scc0 .LBB176_139
; %bb.138:
	v_cmp_neq_f32_e32 vcc, 0, v2
	v_cmp_neq_f32_e64 s[0:1], 0, v3
	s_or_b64 s[0:1], vcc, s[0:1]
	s_mov_b64 s[2:3], -1
	v_cndmask_b32_e64 v4, 0, 1, s[0:1]
	s_mov_b64 s[0:1], 0
	global_store_byte v[0:1], v4, off
.LBB176_139:
	s_branch .LBB176_60
.LBB176_140:
	s_and_b32 s14, 0xffff, s24
	s_cmp_lt_i32 s14, 5
	s_mov_b64 s[2:3], -1
	s_cbranch_scc1 .LBB176_161
; %bb.141:
	s_cmp_lt_i32 s14, 8
	s_cbranch_scc1 .LBB176_151
; %bb.142:
	s_cmp_lt_i32 s14, 9
	s_cbranch_scc1 .LBB176_148
; %bb.143:
	s_cmp_gt_i32 s14, 9
	s_cbranch_scc0 .LBB176_145
; %bb.144:
	v_cvt_f64_f32_e32 v[4:5], v2
	v_cvt_f64_f32_e32 v[6:7], v3
	global_store_dwordx4 v[0:1], v[4:7], off
	s_mov_b64 s[2:3], 0
.LBB176_145:
	s_andn2_b64 vcc, exec, s[2:3]
	s_cbranch_vccnz .LBB176_147
; %bb.146:
	global_store_dwordx2 v[0:1], v[2:3], off
.LBB176_147:
	s_mov_b64 s[2:3], 0
.LBB176_148:
	s_andn2_b64 vcc, exec, s[2:3]
	s_cbranch_vccnz .LBB176_150
; %bb.149:
	v_cvt_f16_f32_e32 v4, v2
	v_cvt_f16_f32_sdwa v3, v3 dst_sel:WORD_1 dst_unused:UNUSED_PAD src0_sel:DWORD
	s_nop 0
	v_or_b32_e32 v3, v3, v4
	global_store_dword v[0:1], v3, off
.LBB176_150:
	s_mov_b64 s[2:3], 0
.LBB176_151:
	s_andn2_b64 vcc, exec, s[2:3]
	s_cbranch_vccnz .LBB176_160
; %bb.152:
	s_cmp_lt_i32 s14, 6
	s_mov_b64 s[2:3], -1
	s_cbranch_scc1 .LBB176_158
; %bb.153:
	s_cmp_gt_i32 s14, 6
	s_cbranch_scc0 .LBB176_155
; %bb.154:
	v_cvt_f64_f32_e32 v[4:5], v2
	global_store_dwordx2 v[0:1], v[4:5], off
	s_mov_b64 s[2:3], 0
.LBB176_155:
	s_andn2_b64 vcc, exec, s[2:3]
	s_cbranch_vccnz .LBB176_157
; %bb.156:
	global_store_dword v[0:1], v2, off
.LBB176_157:
	s_mov_b64 s[2:3], 0
.LBB176_158:
	s_andn2_b64 vcc, exec, s[2:3]
	s_cbranch_vccnz .LBB176_160
; %bb.159:
	v_cvt_f16_f32_e32 v3, v2
	global_store_short v[0:1], v3, off
.LBB176_160:
	s_mov_b64 s[2:3], 0
.LBB176_161:
	s_andn2_b64 vcc, exec, s[2:3]
	s_cbranch_vccnz .LBB176_177
; %bb.162:
	s_cmp_lt_i32 s14, 2
	s_mov_b64 s[2:3], -1
	s_cbranch_scc1 .LBB176_172
; %bb.163:
	s_cmp_lt_i32 s14, 3
	s_cbranch_scc1 .LBB176_169
; %bb.164:
	s_cmp_gt_i32 s14, 3
	s_cbranch_scc0 .LBB176_166
; %bb.165:
	v_trunc_f32_e32 v3, v2
	s_mov_b32 s2, 0x2f800000
	v_mul_f32_e64 v4, |v3|, s2
	v_floor_f32_e32 v4, v4
	s_mov_b32 s2, 0xcf800000
	v_cvt_u32_f32_e32 v5, v4
	v_fma_f32 v4, v4, s2, |v3|
	v_cvt_u32_f32_e32 v4, v4
	v_ashrrev_i32_e32 v3, 31, v3
	v_xor_b32_e32 v5, v5, v3
	s_mov_b64 s[2:3], 0
	v_xor_b32_e32 v4, v4, v3
	v_sub_co_u32_e32 v4, vcc, v4, v3
	s_nop 1
	v_subb_co_u32_e32 v5, vcc, v5, v3, vcc
	global_store_dwordx2 v[0:1], v[4:5], off
.LBB176_166:
	s_andn2_b64 vcc, exec, s[2:3]
	s_cbranch_vccnz .LBB176_168
; %bb.167:
	v_cvt_i32_f32_e32 v3, v2
	global_store_dword v[0:1], v3, off
.LBB176_168:
	s_mov_b64 s[2:3], 0
.LBB176_169:
	s_andn2_b64 vcc, exec, s[2:3]
	s_cbranch_vccnz .LBB176_171
; %bb.170:
	v_cvt_i32_f32_e32 v3, v2
	global_store_short v[0:1], v3, off
.LBB176_171:
	s_mov_b64 s[2:3], 0
.LBB176_172:
	s_andn2_b64 vcc, exec, s[2:3]
	s_cbranch_vccnz .LBB176_177
; %bb.173:
	s_cmp_gt_i32 s14, 0
	s_mov_b64 s[2:3], -1
	s_cbranch_scc0 .LBB176_175
; %bb.174:
	v_cvt_i32_f32_e32 v3, v2
	s_mov_b64 s[2:3], 0
	global_store_byte v[0:1], v3, off
.LBB176_175:
	s_andn2_b64 vcc, exec, s[2:3]
	s_cbranch_vccnz .LBB176_177
; %bb.176:
	v_trunc_f32_e32 v2, v2
	s_mov_b32 s2, 0x2f800000
	v_mul_f32_e64 v3, |v2|, s2
	v_floor_f32_e32 v3, v3
	s_mov_b32 s2, 0xcf800000
	v_fma_f32 v3, v3, s2, |v2|
	v_cvt_u32_f32_e32 v3, v3
	v_ashrrev_i32_e32 v2, 31, v2
	v_xor_b32_e32 v3, v3, v2
	v_sub_u32_e32 v2, v3, v2
	global_store_byte v[0:1], v2, off
.LBB176_177:
	s_branch .LBB176_61
.LBB176_178:
	s_mov_b64 s[2:3], 0
                                        ; implicit-def: $vgpr10
	s_branch .LBB176_288
.LBB176_179:
	s_mov_b64 s[16:17], -1
                                        ; implicit-def: $vgpr0_vgpr1
.LBB176_180:
	s_mov_b64 s[2:3], 0
.LBB176_181:
	s_and_b64 vcc, exec, s[2:3]
	s_cbranch_vccz .LBB176_185
; %bb.182:
	s_cmp_eq_u32 s20, 29
	s_cbranch_scc0 .LBB176_184
; %bb.183:
	global_load_dwordx2 v[0:1], v[2:3], off
	s_mov_b64 s[0:1], -1
	s_mov_b64 s[16:17], 0
	s_mov_b64 s[2:3], 0
	s_waitcnt vmcnt(0)
	v_ffbh_u32_e32 v4, v1
	v_min_u32_e32 v4, 32, v4
	v_lshlrev_b64 v[0:1], v4, v[0:1]
	v_min_u32_e32 v0, 1, v0
	v_or_b32_e32 v0, v1, v0
	v_cvt_f32_u32_e32 v0, v0
	v_sub_u32_e32 v4, 32, v4
	v_mov_b32_e32 v1, 0
	v_ldexp_f32 v0, v0, v4
	s_branch .LBB176_186
.LBB176_184:
	s_mov_b64 s[16:17], -1
                                        ; implicit-def: $vgpr0_vgpr1
.LBB176_185:
	s_mov_b64 s[2:3], 0
.LBB176_186:
	s_and_b64 vcc, exec, s[2:3]
	s_cbranch_vccz .LBB176_206
; %bb.187:
	s_cmp_lt_i32 s20, 27
	s_cbranch_scc1 .LBB176_190
; %bb.188:
	s_cmp_gt_i32 s20, 27
	s_cbranch_scc0 .LBB176_191
; %bb.189:
	global_load_dword v0, v[2:3], off
	v_mov_b32_e32 v1, 0
	s_mov_b64 s[0:1], 0
	s_waitcnt vmcnt(0)
	v_cvt_f32_u32_e32 v0, v0
	s_branch .LBB176_192
.LBB176_190:
	s_mov_b64 s[0:1], -1
                                        ; implicit-def: $vgpr0_vgpr1
	s_branch .LBB176_195
.LBB176_191:
	s_mov_b64 s[0:1], -1
                                        ; implicit-def: $vgpr0_vgpr1
.LBB176_192:
	s_andn2_b64 vcc, exec, s[0:1]
	s_cbranch_vccnz .LBB176_194
; %bb.193:
	global_load_ushort v0, v[2:3], off
	v_mov_b32_e32 v1, 0
	s_waitcnt vmcnt(0)
	v_cvt_f32_u32_e32 v0, v0
.LBB176_194:
	s_mov_b64 s[0:1], 0
.LBB176_195:
	s_andn2_b64 vcc, exec, s[0:1]
	s_cbranch_vccnz .LBB176_205
; %bb.196:
	global_load_ubyte v4, v[2:3], off
	s_movk_i32 s0, 0x7f
	s_waitcnt vmcnt(0)
	v_cmp_lt_i16_e32 vcc, s0, v4
	s_mov_b64 s[0:1], 0
	s_and_saveexec_b64 s[2:3], vcc
	s_xor_b64 s[2:3], exec, s[2:3]
	s_cbranch_execz .LBB176_200
; %bb.197:
	s_movk_i32 s0, 0x80
	v_cmp_eq_u16_e32 vcc, s0, v4
	s_mov_b64 s[0:1], -1
	s_and_saveexec_b64 s[14:15], vcc
; %bb.198:
	s_xor_b64 s[0:1], exec, -1
; %bb.199:
	s_or_b64 exec, exec, s[14:15]
	s_and_b64 s[0:1], s[0:1], exec
.LBB176_200:
	s_or_saveexec_b64 s[2:3], s[2:3]
	v_mov_b32_e32 v0, 0x7f800001
	v_mov_b32_e32 v1, 0
	s_xor_b64 exec, exec, s[2:3]
; %bb.201:
	v_cmp_ne_u16_e32 vcc, 0, v4
	s_andn2_b64 s[0:1], s[0:1], exec
	s_and_b64 s[14:15], vcc, exec
	v_mov_b32_e32 v0, v1
	s_or_b64 s[0:1], s[0:1], s[14:15]
; %bb.202:
	s_or_b64 exec, exec, s[2:3]
	s_and_saveexec_b64 s[2:3], s[0:1]
	s_cbranch_execz .LBB176_204
; %bb.203:
	v_and_b32_e32 v1, 0xffff, v4
	v_lshlrev_b32_e32 v0, 24, v4
	v_and_b32_e32 v4, 7, v1
	v_ffbh_u32_e32 v6, v4
	v_min_u32_e32 v6, 32, v6
	v_subrev_u32_e32 v7, 28, v6
	v_bfe_u32 v5, v1, 3, 4
	v_lshlrev_b32_e32 v1, v7, v1
	v_sub_u32_e32 v6, 29, v6
	v_and_b32_e32 v1, 7, v1
	v_cmp_eq_u32_e32 vcc, 0, v5
	v_and_b32_e32 v0, 0x80000000, v0
	s_nop 0
	v_cndmask_b32_e32 v5, v5, v6, vcc
	v_cndmask_b32_e32 v1, v4, v1, vcc
	v_mov_b32_e32 v4, 0x3b800000
	v_lshlrev_b32_e32 v1, 20, v1
	v_lshl_add_u32 v4, v5, 23, v4
	v_or3_b32 v0, v0, v4, v1
	v_mov_b32_e32 v1, 0
.LBB176_204:
	s_or_b64 exec, exec, s[2:3]
.LBB176_205:
	s_mov_b64 s[0:1], -1
.LBB176_206:
	s_branch .LBB176_239
.LBB176_207:
	s_cmp_gt_i32 s20, 22
	s_cbranch_scc0 .LBB176_219
; %bb.208:
	s_cmp_lt_i32 s20, 24
	s_cbranch_scc1 .LBB176_220
; %bb.209:
	s_cmp_gt_i32 s20, 24
	s_cbranch_scc0 .LBB176_221
; %bb.210:
	global_load_ubyte v4, v[2:3], off
	s_movk_i32 s0, 0x7f
	s_waitcnt vmcnt(0)
	v_cmp_lt_i16_e32 vcc, s0, v4
	s_mov_b64 s[0:1], 0
	s_and_saveexec_b64 s[2:3], vcc
	s_xor_b64 s[2:3], exec, s[2:3]
	s_cbranch_execz .LBB176_214
; %bb.211:
	s_movk_i32 s0, 0x80
	v_cmp_eq_u16_e32 vcc, s0, v4
	s_mov_b64 s[0:1], -1
	s_and_saveexec_b64 s[14:15], vcc
; %bb.212:
	s_xor_b64 s[0:1], exec, -1
; %bb.213:
	s_or_b64 exec, exec, s[14:15]
	s_and_b64 s[0:1], s[0:1], exec
.LBB176_214:
	s_or_saveexec_b64 s[2:3], s[2:3]
	v_mov_b32_e32 v0, 0x7f800001
	v_mov_b32_e32 v1, 0
	s_xor_b64 exec, exec, s[2:3]
; %bb.215:
	v_cmp_ne_u16_e32 vcc, 0, v4
	s_andn2_b64 s[0:1], s[0:1], exec
	s_and_b64 s[14:15], vcc, exec
	v_mov_b32_e32 v0, v1
	s_or_b64 s[0:1], s[0:1], s[14:15]
; %bb.216:
	s_or_b64 exec, exec, s[2:3]
	s_and_saveexec_b64 s[2:3], s[0:1]
	s_cbranch_execz .LBB176_218
; %bb.217:
	v_and_b32_e32 v1, 0xffff, v4
	v_lshlrev_b32_e32 v0, 24, v4
	v_and_b32_e32 v4, 3, v1
	v_ffbh_u32_e32 v6, v4
	v_min_u32_e32 v6, 32, v6
	v_subrev_u32_e32 v7, 29, v6
	v_bfe_u32 v5, v1, 2, 5
	v_lshlrev_b32_e32 v1, v7, v1
	v_sub_u32_e32 v6, 30, v6
	v_and_b32_e32 v1, 3, v1
	v_cmp_eq_u32_e32 vcc, 0, v5
	v_and_b32_e32 v0, 0x80000000, v0
	s_nop 0
	v_cndmask_b32_e32 v5, v5, v6, vcc
	v_cndmask_b32_e32 v1, v4, v1, vcc
	v_mov_b32_e32 v4, 0x37800000
	v_lshlrev_b32_e32 v1, 21, v1
	v_lshl_add_u32 v4, v5, 23, v4
	v_or3_b32 v0, v0, v4, v1
	v_mov_b32_e32 v1, 0
.LBB176_218:
	s_or_b64 exec, exec, s[2:3]
	s_mov_b64 s[0:1], 0
	s_branch .LBB176_222
.LBB176_219:
	s_mov_b64 s[2:3], -1
                                        ; implicit-def: $vgpr0_vgpr1
	s_branch .LBB176_228
.LBB176_220:
	s_mov_b64 s[0:1], -1
                                        ; implicit-def: $vgpr0_vgpr1
	s_branch .LBB176_225
.LBB176_221:
	s_mov_b64 s[0:1], -1
                                        ; implicit-def: $vgpr0_vgpr1
.LBB176_222:
	s_and_b64 vcc, exec, s[0:1]
	s_cbranch_vccz .LBB176_224
; %bb.223:
	global_load_ubyte v0, v[2:3], off
	s_mov_b32 s0, 0x7f800000
	s_brev_b32 s1, 1
	s_waitcnt vmcnt(0)
	v_lshlrev_b32_e32 v0, 24, v0
	v_and_b32_e32 v1, 0x7f000000, v0
	v_ffbh_u32_e32 v4, v1
	v_min_u32_e32 v4, 32, v4
	v_sub_u32_e64 v4, v4, 4 clamp
	v_lshlrev_b32_e32 v6, v4, v1
	v_lshlrev_b32_e32 v4, 23, v4
	v_lshrrev_b32_e32 v6, 4, v6
	v_add_u32_e32 v5, 0x1000000, v1
	v_sub_u32_e32 v4, v6, v4
	v_ashrrev_i32_e32 v5, 8, v5
	v_add_u32_e32 v4, 0x3c000000, v4
	v_and_or_b32 v4, v5, s0, v4
	v_cmp_ne_u32_e32 vcc, 0, v1
	s_nop 1
	v_cndmask_b32_e32 v1, 0, v4, vcc
	v_and_or_b32 v0, v0, s1, v1
	v_mov_b32_e32 v1, 0
.LBB176_224:
	s_mov_b64 s[0:1], 0
.LBB176_225:
	s_andn2_b64 vcc, exec, s[0:1]
	s_cbranch_vccnz .LBB176_227
; %bb.226:
	global_load_ubyte v0, v[2:3], off
	s_movk_i32 s0, 0x7f00
	s_brev_b32 s1, 16
	s_brev_b32 s2, 1
	s_waitcnt vmcnt(0)
	v_lshlrev_b16_e32 v1, 8, v0
	v_lshlrev_b32_e32 v0, 25, v0
	v_lshrrev_b32_e32 v4, 4, v0
	v_and_or_b32 v5, v1, s0, 0.5
	v_or_b32_e32 v4, 0x70000000, v4
	v_add_f32_e32 v5, -0.5, v5
	v_mul_f32_e32 v4, 0x7800000, v4
	v_cmp_gt_u32_e32 vcc, s1, v0
	v_bfe_i32 v1, v1, 0, 16
	s_nop 0
	v_cndmask_b32_e32 v0, v4, v5, vcc
	v_and_or_b32 v0, v1, s2, v0
	v_mov_b32_e32 v1, 0
.LBB176_227:
	s_mov_b64 s[2:3], 0
	s_mov_b64 s[0:1], -1
.LBB176_228:
	s_andn2_b64 vcc, exec, s[2:3]
	s_cbranch_vccnz .LBB176_239
; %bb.229:
	s_cmp_gt_i32 s20, 14
	s_cbranch_scc0 .LBB176_232
; %bb.230:
	s_cmp_eq_u32 s20, 15
	s_cbranch_scc0 .LBB176_233
; %bb.231:
	global_load_ushort v0, v[2:3], off
	v_mov_b32_e32 v1, 0
	s_mov_b64 s[0:1], -1
	s_mov_b64 s[16:17], 0
	s_waitcnt vmcnt(0)
	v_lshlrev_b32_e32 v0, 16, v0
	s_branch .LBB176_234
.LBB176_232:
	s_mov_b64 s[2:3], -1
                                        ; implicit-def: $vgpr0_vgpr1
	s_branch .LBB176_235
.LBB176_233:
	s_mov_b64 s[16:17], -1
                                        ; implicit-def: $vgpr0_vgpr1
.LBB176_234:
	s_mov_b64 s[2:3], 0
.LBB176_235:
	s_and_b64 vcc, exec, s[2:3]
	s_cbranch_vccz .LBB176_239
; %bb.236:
	s_cmp_eq_u32 s20, 11
	s_cbranch_scc0 .LBB176_238
; %bb.237:
	global_load_ubyte v0, v[2:3], off
	v_mov_b32_e32 v1, 0
	s_mov_b64 s[0:1], -1
	s_mov_b64 s[16:17], 0
	s_waitcnt vmcnt(0)
	v_cmp_ne_u16_e32 vcc, 0, v0
	s_nop 1
	v_cndmask_b32_e64 v0, 0, 1.0, vcc
	s_branch .LBB176_239
.LBB176_238:
	s_mov_b64 s[16:17], -1
                                        ; implicit-def: $vgpr0_vgpr1
.LBB176_239:
	s_branch .LBB176_10
.LBB176_240:
	s_cmp_lt_i32 s20, 5
	s_cbranch_scc1 .LBB176_245
; %bb.241:
	s_cmp_lt_i32 s20, 8
	s_cbranch_scc1 .LBB176_246
; %bb.242:
	;; [unrolled: 3-line block ×3, first 2 shown]
	s_cmp_gt_i32 s20, 9
	s_cbranch_scc0 .LBB176_248
; %bb.244:
	global_load_dwordx4 v[4:7], v[2:3], off
	s_mov_b64 s[0:1], 0
	s_waitcnt vmcnt(0)
	v_cvt_f32_f64_e32 v1, v[6:7]
	v_cvt_f32_f64_e32 v0, v[4:5]
	s_branch .LBB176_249
.LBB176_245:
                                        ; implicit-def: $vgpr0_vgpr1
	s_branch .LBB176_267
.LBB176_246:
	s_mov_b64 s[0:1], -1
                                        ; implicit-def: $vgpr0_vgpr1
	s_branch .LBB176_255
.LBB176_247:
	s_mov_b64 s[0:1], -1
                                        ; implicit-def: $vgpr0_vgpr1
	s_branch .LBB176_252
.LBB176_248:
	s_mov_b64 s[0:1], -1
                                        ; implicit-def: $vgpr0_vgpr1
.LBB176_249:
	s_andn2_b64 vcc, exec, s[0:1]
	s_cbranch_vccnz .LBB176_251
; %bb.250:
	global_load_dwordx2 v[0:1], v[2:3], off
.LBB176_251:
	s_mov_b64 s[0:1], 0
.LBB176_252:
	s_andn2_b64 vcc, exec, s[0:1]
	s_cbranch_vccnz .LBB176_254
; %bb.253:
	global_load_dword v0, v[2:3], off
	s_waitcnt vmcnt(0)
	v_cvt_f32_f16_sdwa v1, v0 dst_sel:DWORD dst_unused:UNUSED_PAD src0_sel:WORD_1
	v_cvt_f32_f16_e32 v0, v0
.LBB176_254:
	s_mov_b64 s[0:1], 0
.LBB176_255:
	s_andn2_b64 vcc, exec, s[0:1]
	s_cbranch_vccnz .LBB176_266
; %bb.256:
	s_cmp_lt_i32 s20, 6
	s_cbranch_scc1 .LBB176_259
; %bb.257:
	s_cmp_gt_i32 s20, 6
	s_cbranch_scc0 .LBB176_260
; %bb.258:
	global_load_dwordx2 v[4:5], v[2:3], off
	s_waitcnt vmcnt(1)
	v_mov_b32_e32 v1, 0
	s_mov_b64 s[0:1], 0
	s_waitcnt vmcnt(0)
	v_cvt_f32_f64_e32 v0, v[4:5]
	s_branch .LBB176_261
.LBB176_259:
	s_mov_b64 s[0:1], -1
                                        ; implicit-def: $vgpr0_vgpr1
	s_branch .LBB176_264
.LBB176_260:
	s_mov_b64 s[0:1], -1
                                        ; implicit-def: $vgpr0_vgpr1
.LBB176_261:
	s_andn2_b64 vcc, exec, s[0:1]
	s_cbranch_vccnz .LBB176_263
; %bb.262:
	global_load_dword v0, v[2:3], off
	s_waitcnt vmcnt(1)
	v_mov_b32_e32 v1, 0
.LBB176_263:
	s_mov_b64 s[0:1], 0
.LBB176_264:
	s_andn2_b64 vcc, exec, s[0:1]
	s_cbranch_vccnz .LBB176_266
; %bb.265:
	global_load_ushort v0, v[2:3], off
	s_waitcnt vmcnt(1)
	v_mov_b32_e32 v1, 0
	s_waitcnt vmcnt(0)
	v_cvt_f32_f16_e32 v0, v0
.LBB176_266:
	s_cbranch_execnz .LBB176_286
.LBB176_267:
	s_cmp_lt_i32 s20, 2
	s_cbranch_scc1 .LBB176_271
; %bb.268:
	s_cmp_lt_i32 s20, 3
	s_cbranch_scc1 .LBB176_272
; %bb.269:
	s_cmp_gt_i32 s20, 3
	s_cbranch_scc0 .LBB176_273
; %bb.270:
	global_load_dwordx2 v[0:1], v[2:3], off
	s_mov_b64 s[0:1], 0
	s_waitcnt vmcnt(0)
	v_xor_b32_e32 v5, v0, v1
	v_ffbh_i32_e32 v4, v1
	v_ashrrev_i32_e32 v5, 31, v5
	v_add_u32_e32 v4, -1, v4
	v_add_u32_e32 v5, 32, v5
	v_min_u32_e32 v4, v4, v5
	v_lshlrev_b64 v[0:1], v4, v[0:1]
	v_min_u32_e32 v0, 1, v0
	v_or_b32_e32 v0, v1, v0
	v_cvt_f32_i32_e32 v0, v0
	v_sub_u32_e32 v4, 32, v4
	v_mov_b32_e32 v1, 0
	v_ldexp_f32 v0, v0, v4
	s_branch .LBB176_274
.LBB176_271:
	s_mov_b64 s[0:1], -1
                                        ; implicit-def: $vgpr0_vgpr1
	s_branch .LBB176_280
.LBB176_272:
	s_mov_b64 s[0:1], -1
                                        ; implicit-def: $vgpr0_vgpr1
	s_branch .LBB176_277
.LBB176_273:
	s_mov_b64 s[0:1], -1
                                        ; implicit-def: $vgpr0_vgpr1
.LBB176_274:
	s_andn2_b64 vcc, exec, s[0:1]
	s_cbranch_vccnz .LBB176_276
; %bb.275:
	global_load_dword v0, v[2:3], off
	s_waitcnt vmcnt(1)
	v_mov_b32_e32 v1, 0
	s_waitcnt vmcnt(0)
	v_cvt_f32_i32_e32 v0, v0
.LBB176_276:
	s_mov_b64 s[0:1], 0
.LBB176_277:
	s_andn2_b64 vcc, exec, s[0:1]
	s_cbranch_vccnz .LBB176_279
; %bb.278:
	global_load_sshort v0, v[2:3], off
	s_waitcnt vmcnt(1)
	v_mov_b32_e32 v1, 0
	s_waitcnt vmcnt(0)
	v_cvt_f32_i32_e32 v0, v0
.LBB176_279:
	s_mov_b64 s[0:1], 0
.LBB176_280:
	s_andn2_b64 vcc, exec, s[0:1]
	s_cbranch_vccnz .LBB176_286
; %bb.281:
	s_cmp_gt_i32 s20, 0
	s_cbranch_scc0 .LBB176_283
; %bb.282:
	global_load_sbyte v0, v[2:3], off
	s_waitcnt vmcnt(1)
	v_mov_b32_e32 v1, 0
	s_mov_b64 s[0:1], 0
	s_waitcnt vmcnt(0)
	v_cvt_f32_i32_e32 v0, v0
	s_branch .LBB176_284
.LBB176_283:
	s_mov_b64 s[0:1], -1
                                        ; implicit-def: $vgpr0_vgpr1
.LBB176_284:
	s_andn2_b64 vcc, exec, s[0:1]
	s_cbranch_vccnz .LBB176_286
; %bb.285:
	global_load_ubyte v0, v[2:3], off
	s_waitcnt vmcnt(1)
	v_mov_b32_e32 v1, 0
	s_waitcnt vmcnt(0)
	v_cvt_f32_ubyte0_e32 v0, v0
.LBB176_286:
	s_branch .LBB176_11
.LBB176_287:
	s_mov_b64 s[0:1], 0
                                        ; implicit-def: $vgpr10
	s_mov_b64 s[2:3], 0
.LBB176_288:
	s_and_b64 s[14:15], s[0:1], exec
	s_and_b64 s[16:17], s[16:17], exec
	s_orn2_b64 s[2:3], s[2:3], exec
.LBB176_289:
	s_or_b64 exec, exec, s[18:19]
	s_mov_b64 s[24:25], 0
	s_mov_b64 s[0:1], 0
                                        ; implicit-def: $vgpr2_vgpr3
                                        ; implicit-def: $vgpr0_vgpr1
	s_and_saveexec_b64 s[18:19], s[2:3]
	s_cbranch_execz .LBB176_298
; %bb.290:
	v_cmp_gt_i32_e32 vcc, s45, v10
	s_mov_b64 s[0:1], -1
	s_mov_b64 s[20:21], s[16:17]
	s_mov_b64 s[22:23], s[14:15]
	s_and_saveexec_b64 s[24:25], vcc
	s_cbranch_execz .LBB176_588
; %bb.291:
	s_waitcnt vmcnt(0)
	v_mul_lo_u32 v0, v10, s9
	v_ashrrev_i32_e32 v1, 31, v0
	s_and_b32 s26, 0xffff, s44
	s_cmp_lt_i32 s26, 11
	v_lshl_add_u64 v[2:3], s[6:7], 0, v[0:1]
	s_cbranch_scc1 .LBB176_301
; %bb.292:
	s_cmp_gt_i32 s26, 25
	s_cbranch_scc0 .LBB176_315
; %bb.293:
	s_cmp_gt_i32 s26, 28
	s_cbranch_scc0 .LBB176_316
	;; [unrolled: 3-line block ×4, first 2 shown]
; %bb.296:
	s_cmp_eq_u32 s26, 46
	s_mov_b64 s[2:3], 0
	s_cbranch_scc0 .LBB176_360
; %bb.297:
	global_load_dword v0, v[2:3], off
	s_mov_b64 s[20:21], 0
	s_waitcnt vmcnt(0)
	v_and_b32_e32 v1, 0xffff0000, v0
	v_lshlrev_b32_e32 v0, 16, v0
	s_branch .LBB176_361
.LBB176_298:
	s_or_b64 exec, exec, s[18:19]
	s_mov_b64 s[18:19], 0
	s_and_saveexec_b64 s[2:3], s[16:17]
	s_cbranch_execnz .LBB176_972
.LBB176_299:
	s_or_b64 exec, exec, s[2:3]
	s_and_saveexec_b64 s[2:3], s[22:23]
	s_xor_b64 s[2:3], exec, s[2:3]
	s_cbranch_execz .LBB176_973
.LBB176_300:
	global_load_ubyte v0, v[2:3], off
	s_waitcnt vmcnt(1)
	v_mov_b32_e32 v1, 0
	s_or_b64 s[0:1], s[0:1], exec
	s_waitcnt vmcnt(0)
	v_cmp_ne_u16_e32 vcc, 0, v0
	s_nop 1
	v_cndmask_b32_e64 v0, 0, 1.0, vcc
	s_or_b64 exec, exec, s[2:3]
	s_and_saveexec_b64 s[2:3], s[24:25]
	s_cbranch_execz .LBB176_1019
	s_branch .LBB176_974
.LBB176_301:
	s_mov_b64 s[0:1], 0
                                        ; implicit-def: $vgpr0_vgpr1
	s_mov_b64 s[20:21], s[16:17]
	s_cbranch_execnz .LBB176_538
.LBB176_302:
	s_andn2_b64 vcc, exec, s[0:1]
	s_cbranch_vccnz .LBB176_586
.LBB176_303:
	s_waitcnt vmcnt(0)
	v_cmp_neq_f32_e32 vcc, 0, v0
	v_cmp_neq_f32_e64 s[0:1], 0, v1
	v_mov_b32_e32 v4, 0
	s_or_b64 s[0:1], vcc, s[0:1]
	s_and_saveexec_b64 s[22:23], s[0:1]
	s_cbranch_execz .LBB176_339
; %bb.304:
	v_mov_b32_e32 v4, 0x7f800000
	v_cmp_neq_f32_e64 s[0:1], |v1|, v4
	s_and_saveexec_b64 s[26:27], s[0:1]
	s_cbranch_execz .LBB176_338
; %bb.305:
	v_cmp_o_f32_e32 vcc, v0, v0
                                        ; implicit-def: $vgpr4
	s_and_saveexec_b64 s[0:1], vcc
	s_xor_b64 s[28:29], exec, s[0:1]
	s_cbranch_execz .LBB176_335
; %bb.306:
	s_mov_b32 s0, 0x7f800000
	v_cmp_neq_f32_e64 s[0:1], |v0|, s0
                                        ; implicit-def: $vgpr4
	s_and_saveexec_b64 s[2:3], s[0:1]
	s_xor_b64 s[30:31], exec, s[2:3]
	s_cbranch_execz .LBB176_328
; %bb.307:
	v_max_f32_e64 v2, |v1|, |v1|
	v_max_f32_e64 v3, |v0|, |v0|
	v_max_f32_e32 v2, v3, v2
	s_mov_b32 s0, 0x7ed413cb
	v_cmp_nle_f32_e64 s[0:1], s0, v2
                                        ; implicit-def: $sgpr34_sgpr35
	s_and_saveexec_b64 s[2:3], s[0:1]
	s_xor_b64 s[2:3], exec, s[2:3]
	s_cbranch_execz .LBB176_311
; %bb.308:
	s_mov_b32 s36, 0x1000000
	v_cmp_le_f32_e64 s[34:35], |v0|, s36
	v_cmp_le_f32_e64 s[36:37], |v1|, s36
	s_and_b64 s[38:39], s[34:35], s[36:37]
	s_mov_b64 s[34:35], 0
	s_and_saveexec_b64 s[36:37], s[38:39]
; %bb.309:
	s_mov_b64 s[34:35], exec
	v_pk_mul_f32 v[0:1], v[0:1], 4.0 op_sel_hi:[1,0]
; %bb.310:
	s_or_b64 exec, exec, s[36:37]
.LBB176_311:
	s_andn2_saveexec_b64 s[2:3], s[2:3]
; %bb.312:
	s_mov_b32 s36, 0x3e800000
	v_pk_mul_f32 v[0:1], v[0:1], s[36:37] op_sel_hi:[1,0]
	s_andn2_b64 s[34:35], s[34:35], exec
; %bb.313:
	s_or_b64 exec, exec, s[2:3]
	v_max_f32_e64 v2, |v1|, |v1|
	v_max_f32_e64 v3, |v0|, |v0|
	v_max_f32_e32 v4, v3, v2
	v_cvt_f64_f32_e32 v[2:3], v4
	v_frexp_exp_i32_f64_e32 v2, v[2:3]
	v_sub_u32_e32 v3, 0, v2
	v_ldexp_f32 v5, |v0|, v3
	v_ldexp_f32 v3, |v1|, v3
	v_mul_f32_e32 v3, v3, v3
	v_fmac_f32_e32 v3, v5, v5
	v_sqrt_f32_e32 v3, v3
	s_mov_b32 s2, 0x7f800000
	v_cmp_neq_f32_e64 s[2:3], s2, v4
	v_cmp_le_f32_e32 vcc, 0, v0
	v_ldexp_f32 v2, v3, v2
	v_mov_b32_e32 v3, 0x7f800000
	v_cndmask_b32_e64 v4, v3, v2, s[2:3]
                                        ; implicit-def: $vgpr2_vgpr3
	s_and_saveexec_b64 s[2:3], vcc
	s_xor_b64 s[36:37], exec, s[2:3]
	s_cbranch_execz .LBB176_321
; %bb.314:
	v_add_f32_e32 v0, v0, v4
	v_mul_f32_e32 v0, 0.5, v0
	s_mov_b32 s2, 0xf800000
	v_mul_f32_e32 v2, 0x4f800000, v0
	v_cmp_gt_f32_e32 vcc, s2, v0
	s_nop 1
	v_cndmask_b32_e32 v0, v0, v2, vcc
	v_sqrt_f32_e32 v2, v0
	s_nop 0
	v_add_u32_e32 v3, -1, v2
	v_fma_f32 v4, -v3, v2, v0
	v_cmp_ge_f32_e64 s[2:3], 0, v4
	v_add_u32_e32 v4, 1, v2
	s_nop 0
	v_cndmask_b32_e64 v3, v2, v3, s[2:3]
	v_fma_f32 v2, -v4, v2, v0
	v_cmp_lt_f32_e64 s[2:3], 0, v2
	s_nop 1
	v_cndmask_b32_e64 v2, v3, v4, s[2:3]
	v_mul_f32_e32 v3, 0x37800000, v2
	v_cndmask_b32_e32 v2, v2, v3, vcc
	v_mov_b32_e32 v3, 0x260
	v_cmp_class_f32_e32 vcc, v0, v3
	s_nop 1
	v_cndmask_b32_e32 v2, v2, v0, vcc
	v_add_f32_e32 v0, v2, v2
	v_div_scale_f32 v3, s[2:3], v0, v0, v1
	v_rcp_f32_e32 v4, v3
	s_nop 0
	v_fma_f32 v5, -v3, v4, 1.0
	v_fmac_f32_e32 v4, v5, v4
	v_div_scale_f32 v5, vcc, v1, v0, v1
	v_mul_f32_e32 v6, v5, v4
	v_fma_f32 v7, -v3, v6, v5
	v_fmac_f32_e32 v6, v7, v4
	v_fma_f32 v3, -v3, v6, v5
	v_div_fmas_f32 v3, v3, v4, v6
	v_div_fixup_f32 v3, v3, v0, v1
                                        ; implicit-def: $vgpr4
                                        ; implicit-def: $vgpr0_vgpr1
	s_andn2_saveexec_b64 s[36:37], s[36:37]
	s_cbranch_execz .LBB176_323
	s_branch .LBB176_322
.LBB176_315:
	s_mov_b64 s[2:3], -1
	s_mov_b64 s[0:1], 0
	s_mov_b64 s[20:21], s[16:17]
                                        ; implicit-def: $vgpr0_vgpr1
	s_branch .LBB176_504
.LBB176_316:
	s_mov_b64 s[2:3], -1
	s_mov_b64 s[0:1], 0
	s_mov_b64 s[20:21], s[16:17]
                                        ; implicit-def: $vgpr0_vgpr1
	s_branch .LBB176_483
.LBB176_317:
	s_mov_b64 s[2:3], -1
	s_mov_b64 s[0:1], 0
	s_mov_b64 s[20:21], s[16:17]
                                        ; implicit-def: $vgpr0_vgpr1
	s_branch .LBB176_478
.LBB176_318:
	s_andn2_saveexec_b64 s[20:21], s[20:21]
	s_cbranch_execz .LBB176_92
.LBB176_319:
	s_mov_b32 s26, 0x46000000
	v_add_f32_e64 v4, |v2|, s26
	v_and_b32_e32 v4, 0xff, v4
	v_cmp_ne_u32_e32 vcc, 0, v4
	s_andn2_b64 s[14:15], s[14:15], exec
	s_and_b64 s[26:27], vcc, exec
	s_or_b64 s[14:15], s[14:15], s[26:27]
	s_or_b64 exec, exec, s[20:21]
	v_mov_b32_e32 v5, 0
	s_and_saveexec_b64 s[20:21], s[14:15]
	s_cbranch_execnz .LBB176_93
	s_branch .LBB176_94
.LBB176_320:
	s_mov_b64 s[2:3], -1
	s_mov_b64 s[0:1], 0
	s_mov_b64 s[20:21], s[16:17]
                                        ; implicit-def: $vgpr0_vgpr1
	s_branch .LBB176_361
.LBB176_321:
	s_andn2_saveexec_b64 s[36:37], s[36:37]
	s_cbranch_execz .LBB176_323
.LBB176_322:
	v_sub_f32_e32 v0, v4, v0
	v_mul_f32_e32 v0, 0.5, v0
	s_mov_b32 s2, 0xf800000
	v_mul_f32_e32 v2, 0x4f800000, v0
	v_cmp_gt_f32_e32 vcc, s2, v0
	s_nop 1
	v_cndmask_b32_e32 v0, v0, v2, vcc
	v_sqrt_f32_e32 v2, v0
	s_nop 0
	v_add_u32_e32 v3, -1, v2
	v_fma_f32 v4, -v3, v2, v0
	v_cmp_ge_f32_e64 s[2:3], 0, v4
	v_add_u32_e32 v4, 1, v2
	s_nop 0
	v_cndmask_b32_e64 v3, v2, v3, s[2:3]
	v_fma_f32 v2, -v4, v2, v0
	v_cmp_lt_f32_e64 s[2:3], 0, v2
	s_nop 1
	v_cndmask_b32_e64 v2, v3, v4, s[2:3]
	v_mul_f32_e32 v3, 0x37800000, v2
	v_cndmask_b32_e32 v2, v2, v3, vcc
	v_mov_b32_e32 v3, 0x260
	v_cmp_class_f32_e32 vcc, v0, v3
	v_and_b32_e32 v3, 0x7fffffff, v1
	s_nop 0
	v_cndmask_b32_e32 v0, v2, v0, vcc
	v_add_f32_e32 v2, v0, v0
	v_div_scale_f32 v4, s[2:3], v2, v2, v3
	v_rcp_f32_e32 v5, v4
	v_div_scale_f32 v3, vcc, v3, v2, v3
	s_brev_b32 s2, -2
	v_fma_f32 v6, -v4, v5, 1.0
	v_fmac_f32_e32 v5, v6, v5
	v_mul_f32_e32 v6, v3, v5
	v_fma_f32 v7, -v4, v6, v3
	v_fmac_f32_e32 v6, v7, v5
	v_fma_f32 v3, -v4, v6, v3
	v_div_fmas_f32 v3, v3, v5, v6
	v_div_fixup_f32 v2, v3, v2, |v1|
	v_bfi_b32 v3, s2, v0, v1
.LBB176_323:
	s_or_b64 exec, exec, s[36:37]
                                        ; implicit-def: $vgpr1
                                        ; implicit-def: $vgpr4
	s_and_saveexec_b64 s[2:3], s[0:1]
	s_xor_b64 s[0:1], exec, s[2:3]
	s_cbranch_execz .LBB176_325
; %bb.324:
	v_pk_mul_f32 v[0:1], v[2:3], 0.5 op_sel_hi:[1,0]
	s_nop 0
	v_cndmask_b32_e64 v4, v2, v0, s[34:35]
	v_cndmask_b32_e64 v1, v3, v1, s[34:35]
                                        ; implicit-def: $vgpr2_vgpr3
	s_andn2_saveexec_b64 s[0:1], s[0:1]
	s_cbranch_execnz .LBB176_326
	s_branch .LBB176_327
.LBB176_325:
	s_andn2_saveexec_b64 s[0:1], s[0:1]
.LBB176_326:
	v_pk_add_f32 v[0:1], v[2:3], v[2:3]
	s_nop 0
	v_mov_b32_e32 v4, v0
.LBB176_327:
	s_or_b64 exec, exec, s[0:1]
.LBB176_328:
	s_andn2_saveexec_b64 s[0:1], s[30:31]
	s_cbranch_execz .LBB176_334
; %bb.329:
	v_sub_f32_e32 v2, v1, v1
	v_cmp_lt_i32_e32 vcc, -1, v0
	s_brev_b32 s30, -2
	v_and_b32_e32 v4, 0x7fffffff, v2
	s_and_saveexec_b64 s[2:3], vcc
	s_xor_b64 s[2:3], exec, s[2:3]
; %bb.330:
	v_bfi_b32 v1, s30, v2, v1
	v_mov_b32_e32 v4, v0
; %bb.331:
	s_andn2_saveexec_b64 s[2:3], s[2:3]
; %bb.332:
	v_bfi_b32 v1, s30, v0, v1
; %bb.333:
	s_or_b64 exec, exec, s[2:3]
.LBB176_334:
	s_or_b64 exec, exec, s[0:1]
.LBB176_335:
	s_andn2_saveexec_b64 s[0:1], s[28:29]
	s_cbranch_execz .LBB176_337
; %bb.336:
	v_sub_f32_e32 v1, v1, v1
	v_div_scale_f32 v2, vcc, v1, v1, v1
	v_rcp_f32_e32 v3, v2
	s_nop 0
	v_fma_f32 v4, -v2, v3, 1.0
	v_fmac_f32_e32 v3, v4, v3
	v_mul_f32_e32 v4, v2, v3
	v_fma_f32 v5, -v2, v4, v2
	v_fmac_f32_e32 v4, v5, v3
	v_fma_f32 v2, -v2, v4, v2
	v_div_fmas_f32 v2, v2, v3, v4
	v_div_fixup_f32 v1, v2, v1, v1
	v_mov_b32_e32 v4, v0
.LBB176_337:
	s_or_b64 exec, exec, s[0:1]
.LBB176_338:
	s_or_b64 exec, exec, s[26:27]
.LBB176_339:
	s_or_b64 exec, exec, s[22:23]
	v_cmp_gt_f32_e32 vcc, 0, v1
                                        ; implicit-def: $vgpr2_vgpr3
	s_nop 1
	v_cndmask_b32_e64 v5, v1, -v1, vcc
	v_cmp_gt_f32_e32 vcc, 0, v4
	s_nop 1
	v_cndmask_b32_e64 v0, v4, -v4, vcc
	v_cmp_ge_f32_e32 vcc, v0, v5
	s_and_saveexec_b64 s[0:1], vcc
	s_xor_b64 s[2:3], exec, s[0:1]
	s_cbranch_execz .LBB176_345
; %bb.340:
	v_cmp_neq_f32_e32 vcc, 0, v4
	v_cmp_neq_f32_e64 s[0:1], 0, v1
	s_or_b64 s[0:1], vcc, s[0:1]
                                        ; implicit-def: $vgpr2_vgpr3
	s_and_saveexec_b64 s[22:23], s[0:1]
	s_xor_b64 s[0:1], exec, s[22:23]
	s_cbranch_execz .LBB176_342
; %bb.341:
	v_div_scale_f32 v0, s[22:23], v4, v4, v1
	v_rcp_f32_e32 v2, v0
	v_div_scale_f32 v3, vcc, v1, v4, v1
	v_fma_f32 v5, -v0, v2, 1.0
	v_fmac_f32_e32 v2, v5, v2
	v_mul_f32_e32 v5, v3, v2
	v_fma_f32 v6, -v0, v5, v3
	v_fmac_f32_e32 v5, v6, v2
	v_fma_f32 v0, -v0, v5, v3
	v_div_fmas_f32 v0, v0, v2, v5
	v_div_fixup_f32 v3, v0, v4, v1
	v_fmac_f32_e32 v4, v1, v3
	v_div_scale_f32 v0, s[22:23], v4, v4, 1.0
	v_rcp_f32_e32 v1, v0
	s_nop 0
	v_fma_f32 v2, -v0, v1, 1.0
	v_fmac_f32_e32 v1, v2, v1
	v_div_scale_f32 v2, vcc, 1.0, v4, 1.0
	v_mul_f32_e32 v5, v2, v1
	v_fma_f32 v6, -v0, v5, v2
	v_fmac_f32_e32 v5, v6, v1
	v_fma_f32 v0, -v0, v5, v2
	v_div_fmas_f32 v0, v0, v1, v5
	v_mul_f32_e32 v1, 0, v3
	v_div_fixup_f32 v0, v0, v4, 1.0
	v_add_f32_e32 v2, 1.0, v1
	v_sub_f32_e32 v3, 0, v3
	v_pk_mul_f32 v[2:3], v[2:3], v[0:1] op_sel_hi:[1,0]
                                        ; implicit-def: $vgpr5
                                        ; implicit-def: $vgpr0
.LBB176_342:
	s_andn2_saveexec_b64 s[0:1], s[0:1]
	s_cbranch_execz .LBB176_344
; %bb.343:
	v_div_scale_f32 v1, s[22:23], v5, v5, 0
	v_rcp_f32_e32 v2, v1
	v_div_scale_f32 v3, vcc, 0, v5, 0
	v_fma_f32 v4, -v1, v2, 1.0
	v_fmac_f32_e32 v2, v4, v2
	v_mul_f32_e32 v4, v3, v2
	v_fma_f32 v6, -v1, v4, v3
	v_fmac_f32_e32 v4, v6, v2
	v_div_scale_f32 v6, s[22:23], v0, v0, 1.0
	v_rcp_f32_e32 v7, v6
	v_fma_f32 v1, -v1, v4, v3
	v_div_fmas_f32 v1, v1, v2, v4
	v_div_fixup_f32 v3, v1, v5, 0
	v_fma_f32 v1, -v6, v7, 1.0
	v_fmac_f32_e32 v7, v1, v7
	v_div_scale_f32 v1, vcc, 1.0, v0, 1.0
	v_mul_f32_e32 v2, v1, v7
	v_fma_f32 v4, -v6, v2, v1
	v_fmac_f32_e32 v2, v4, v7
	v_fma_f32 v1, -v6, v2, v1
	v_div_fmas_f32 v1, v1, v7, v2
	v_div_fixup_f32 v2, v1, v0, 1.0
.LBB176_344:
	s_or_b64 exec, exec, s[0:1]
                                        ; implicit-def: $vgpr1
                                        ; implicit-def: $vgpr4
.LBB176_345:
	s_andn2_saveexec_b64 s[0:1], s[2:3]
	s_cbranch_execz .LBB176_347
; %bb.346:
	v_div_scale_f32 v0, s[2:3], v1, v1, v4
	v_rcp_f32_e32 v2, v0
	v_div_scale_f32 v3, vcc, v4, v1, v4
	v_fma_f32 v5, -v0, v2, 1.0
	v_fmac_f32_e32 v2, v5, v2
	v_mul_f32_e32 v5, v3, v2
	v_fma_f32 v6, -v0, v5, v3
	v_fmac_f32_e32 v5, v6, v2
	v_fma_f32 v0, -v0, v5, v3
	v_div_fmas_f32 v0, v0, v2, v5
	v_div_fixup_f32 v0, v0, v1, v4
	v_fmac_f32_e32 v1, v4, v0
	v_div_scale_f32 v2, s[2:3], v1, v1, 1.0
	v_rcp_f32_e32 v3, v2
	s_mov_b32 s2, 0
	s_mov_b32 s3, -1.0
	v_fma_f32 v4, -v2, v3, 1.0
	v_fmac_f32_e32 v3, v4, v3
	v_div_scale_f32 v4, vcc, 1.0, v1, 1.0
	v_mul_f32_e32 v5, v4, v3
	v_fma_f32 v6, -v2, v5, v4
	v_fmac_f32_e32 v5, v6, v3
	v_fma_f32 v2, -v2, v5, v4
	v_div_fmas_f32 v2, v2, v3, v5
	v_div_fixup_f32 v2, v2, v1, 1.0
	v_mul_f32_e32 v1, 0, v0
	v_pk_add_f32 v[0:1], v[0:1], s[2:3]
	s_nop 0
	v_pk_mul_f32 v[2:3], v[0:1], v[2:3] op_sel_hi:[1,0]
.LBB176_347:
	s_or_b64 exec, exec, s[0:1]
	v_mul_lo_u32 v0, v10, s8
	v_ashrrev_i32_e32 v1, 31, v0
	s_and_b32 s28, s33, 0xff
	s_cmp_lt_i32 s28, 11
	v_lshl_add_u64 v[0:1], s[4:5], 0, v[0:1]
	s_cbranch_scc1 .LBB176_354
; %bb.348:
	s_and_b32 s29, 0xffff, s28
	s_cmp_gt_i32 s29, 25
	s_cbranch_scc0 .LBB176_355
; %bb.349:
	s_cmp_gt_i32 s29, 28
	s_cbranch_scc0 .LBB176_356
; %bb.350:
	;; [unrolled: 3-line block ×4, first 2 shown]
	s_mov_b64 s[22:23], 0
	s_mov_b64 s[0:1], -1
	s_cmp_eq_u32 s29, 46
	s_mov_b64 s[2:3], 0
	s_cbranch_scc0 .LBB176_365
; %bb.353:
	s_movk_i32 s0, 0x7fff
	v_bfe_u32 v5, v3, 16, 1
	v_add3_u32 v5, v3, v5, s0
	v_bfe_u32 v4, v2, 16, 1
	v_and_b32_e32 v5, 0xffff0000, v5
	v_mov_b32_e32 v6, 0x7fc00000
	v_cmp_o_f32_e32 vcc, v3, v3
	v_add3_u32 v4, v2, v4, s0
	s_mov_b64 s[2:3], -1
	v_cndmask_b32_e32 v5, v6, v5, vcc
	v_cmp_o_f32_e32 vcc, v2, v2
	v_mov_b32_e32 v6, 0x7fc0
	s_mov_b64 s[0:1], 0
	v_cndmask_b32_sdwa v4, v6, v4, vcc dst_sel:DWORD dst_unused:UNUSED_PAD src0_sel:DWORD src1_sel:WORD_1
	v_or_b32_e32 v4, v5, v4
	global_store_dword v[0:1], v4, off
	s_branch .LBB176_365
.LBB176_354:
	s_mov_b64 s[22:23], -1
	s_mov_b64 s[2:3], 0
	s_mov_b64 s[0:1], s[14:15]
	s_branch .LBB176_434
.LBB176_355:
	s_mov_b64 s[22:23], -1
	s_mov_b64 s[2:3], 0
	s_mov_b64 s[0:1], s[14:15]
	s_branch .LBB176_392
.LBB176_356:
	s_mov_b64 s[22:23], -1
	s_mov_b64 s[2:3], 0
	s_mov_b64 s[0:1], s[14:15]
	s_branch .LBB176_375
.LBB176_357:
	s_mov_b64 s[22:23], -1
	s_mov_b64 s[2:3], 0
	s_mov_b64 s[0:1], s[14:15]
	s_branch .LBB176_371
.LBB176_358:
	s_andn2_saveexec_b64 s[20:21], s[20:21]
	s_cbranch_execz .LBB176_105
.LBB176_359:
	s_mov_b32 s26, 0x42800000
	v_add_f32_e64 v4, |v2|, s26
	v_and_b32_e32 v4, 0xff, v4
	v_cmp_ne_u32_e32 vcc, 0, v4
	s_andn2_b64 s[14:15], s[14:15], exec
	s_and_b64 s[26:27], vcc, exec
	s_or_b64 s[14:15], s[14:15], s[26:27]
	s_or_b64 exec, exec, s[20:21]
	v_mov_b32_e32 v5, 0
	s_and_saveexec_b64 s[20:21], s[14:15]
	s_cbranch_execnz .LBB176_106
	s_branch .LBB176_107
.LBB176_360:
	s_mov_b64 s[20:21], -1
                                        ; implicit-def: $vgpr0_vgpr1
	s_mov_b64 s[0:1], 0
.LBB176_361:
	s_and_b64 vcc, exec, s[2:3]
	s_cbranch_vccz .LBB176_477
; %bb.362:
	s_cmp_eq_u32 s26, 44
	s_cbranch_scc0 .LBB176_476
; %bb.363:
	global_load_ubyte v0, v[2:3], off
	s_movk_i32 s2, 0xff
	v_mov_b32_e32 v4, 0x7f800001
	v_mov_b32_e32 v5, 0x400000
	;; [unrolled: 1-line block ×3, first 2 shown]
	s_mov_b64 s[0:1], -1
	s_mov_b64 s[20:21], 0
	s_waitcnt vmcnt(0)
	v_lshlrev_b32_e32 v6, 23, v0
	v_cmp_ne_u32_e32 vcc, s2, v0
	s_nop 1
	v_cndmask_b32_e32 v4, v4, v6, vcc
	v_cmp_ne_u32_e32 vcc, 0, v0
	s_nop 1
	v_cndmask_b32_e32 v0, v5, v4, vcc
	s_branch .LBB176_477
.LBB176_364:
	s_mov_b64 s[22:23], -1
	s_mov_b64 s[2:3], 0
	s_mov_b64 s[0:1], s[14:15]
.LBB176_365:
	s_and_b64 vcc, exec, s[22:23]
	s_cbranch_vccz .LBB176_370
; %bb.366:
	s_cmp_eq_u32 s29, 44
	s_mov_b64 s[0:1], -1
	s_cbranch_scc0 .LBB176_370
; %bb.367:
	v_bfe_u32 v4, v2, 23, 8
	s_movk_i32 s0, 0xff
	v_cmp_ne_u32_e32 vcc, s0, v4
	v_mov_b32_e32 v5, 0xff
	s_and_saveexec_b64 s[2:3], vcc
; %bb.368:
	s_mov_b32 s0, 0x3fffff
	v_and_b32_e32 v6, 0x400000, v2
	v_and_or_b32 v4, v2, s0, v4
	v_cmp_ne_u32_e32 vcc, 0, v6
	v_cmp_ne_u32_e64 s[0:1], 0, v4
	s_and_b64 s[0:1], vcc, s[0:1]
	v_lshrrev_b32_e32 v5, 23, v2
	v_cndmask_b32_e64 v4, 0, 1, s[0:1]
	v_add_u32_e32 v5, v5, v4
; %bb.369:
	s_or_b64 exec, exec, s[2:3]
	s_mov_b64 s[2:3], -1
	s_mov_b64 s[0:1], 0
	global_store_byte v[0:1], v5, off
.LBB176_370:
	s_mov_b64 s[22:23], 0
.LBB176_371:
	s_and_b64 vcc, exec, s[22:23]
	s_cbranch_vccz .LBB176_374
; %bb.372:
	s_cmp_eq_u32 s29, 29
	s_mov_b64 s[0:1], -1
	s_cbranch_scc0 .LBB176_374
; %bb.373:
	v_trunc_f32_e32 v4, v2
	v_mul_f32_e32 v5, 0x2f800000, v4
	v_floor_f32_e32 v6, v5
	v_fmamk_f32 v4, v6, 0xcf800000, v4
	v_cvt_u32_f32_e32 v5, v6
	v_cvt_u32_f32_e32 v4, v4
	s_mov_b64 s[2:3], -1
	s_mov_b64 s[0:1], 0
	s_mov_b64 s[22:23], 0
	global_store_dwordx2 v[0:1], v[4:5], off
	s_branch .LBB176_375
.LBB176_374:
	s_mov_b64 s[22:23], 0
.LBB176_375:
	s_and_b64 vcc, exec, s[22:23]
	s_cbranch_vccz .LBB176_391
; %bb.376:
	s_cmp_lt_i32 s29, 27
	s_mov_b64 s[2:3], -1
	s_cbranch_scc1 .LBB176_382
; %bb.377:
	v_cvt_u32_f32_e32 v4, v2
	s_cmp_gt_i32 s29, 27
	s_cbranch_scc0 .LBB176_379
; %bb.378:
	s_mov_b64 s[2:3], 0
	global_store_dword v[0:1], v4, off
.LBB176_379:
	s_andn2_b64 vcc, exec, s[2:3]
	s_cbranch_vccnz .LBB176_381
; %bb.380:
	global_store_short v[0:1], v4, off
.LBB176_381:
	s_mov_b64 s[2:3], 0
.LBB176_382:
	s_andn2_b64 vcc, exec, s[2:3]
	s_cbranch_vccnz .LBB176_390
; %bb.383:
	v_and_b32_e32 v4, 0x7fffffff, v2
	s_mov_b32 s2, 0x43800000
	v_cmp_gt_u32_e32 vcc, s2, v4
	v_mov_b32_e32 v5, 0x80
	s_and_saveexec_b64 s[2:3], vcc
	s_cbranch_execz .LBB176_389
; %bb.384:
	s_mov_b32 s22, 0x3bffffff
	v_cmp_lt_u32_e32 vcc, s22, v4
	s_mov_b64 s[22:23], 0
                                        ; implicit-def: $vgpr4
	s_and_saveexec_b64 s[26:27], vcc
	s_xor_b64 s[26:27], exec, s[26:27]
	s_cbranch_execz .LBB176_601
; %bb.385:
	v_bfe_u32 v4, v2, 20, 1
	s_mov_b32 s30, 0x487ffff
	v_add3_u32 v4, v2, v4, s30
	s_mov_b64 s[22:23], exec
	v_lshrrev_b32_e32 v4, 20, v4
	s_andn2_saveexec_b64 s[26:27], s[26:27]
	s_cbranch_execnz .LBB176_602
.LBB176_386:
	s_or_b64 exec, exec, s[26:27]
	v_mov_b32_e32 v5, 0
	s_and_saveexec_b64 s[26:27], s[22:23]
.LBB176_387:
	v_lshrrev_b32_e32 v5, 24, v2
	s_movk_i32 s22, 0x80
	v_and_or_b32 v5, v5, s22, v4
.LBB176_388:
	s_or_b64 exec, exec, s[26:27]
.LBB176_389:
	s_or_b64 exec, exec, s[2:3]
	global_store_byte v[0:1], v5, off
.LBB176_390:
	s_mov_b64 s[2:3], -1
.LBB176_391:
	s_mov_b64 s[22:23], 0
.LBB176_392:
	s_and_b64 vcc, exec, s[22:23]
	s_cbranch_vccz .LBB176_433
; %bb.393:
	s_cmp_gt_i32 s29, 22
	s_mov_b64 s[22:23], -1
	s_cbranch_scc0 .LBB176_425
; %bb.394:
	s_cmp_lt_i32 s29, 24
	s_mov_b64 s[2:3], -1
	s_cbranch_scc1 .LBB176_414
; %bb.395:
	s_cmp_gt_i32 s29, 24
	s_cbranch_scc0 .LBB176_403
; %bb.396:
	v_and_b32_e32 v4, 0x7fffffff, v2
	s_mov_b32 s2, 0x47800000
	v_cmp_gt_u32_e32 vcc, s2, v4
	v_mov_b32_e32 v5, 0x80
	s_and_saveexec_b64 s[2:3], vcc
	s_cbranch_execz .LBB176_402
; %bb.397:
	s_mov_b32 s22, 0x37ffffff
	v_cmp_lt_u32_e32 vcc, s22, v4
	s_mov_b64 s[22:23], 0
                                        ; implicit-def: $vgpr4
	s_and_saveexec_b64 s[26:27], vcc
	s_xor_b64 s[26:27], exec, s[26:27]
	s_cbranch_execz .LBB176_604
; %bb.398:
	v_bfe_u32 v4, v2, 21, 1
	s_mov_b32 s30, 0x88fffff
	v_add3_u32 v4, v2, v4, s30
	s_mov_b64 s[22:23], exec
	v_lshrrev_b32_e32 v4, 21, v4
	s_andn2_saveexec_b64 s[26:27], s[26:27]
	s_cbranch_execnz .LBB176_605
.LBB176_399:
	s_or_b64 exec, exec, s[26:27]
	v_mov_b32_e32 v5, 0
	s_and_saveexec_b64 s[26:27], s[22:23]
.LBB176_400:
	v_lshrrev_b32_e32 v5, 24, v2
	s_movk_i32 s22, 0x80
	v_and_or_b32 v5, v5, s22, v4
.LBB176_401:
	s_or_b64 exec, exec, s[26:27]
.LBB176_402:
	s_or_b64 exec, exec, s[2:3]
	s_mov_b64 s[2:3], 0
	global_store_byte v[0:1], v5, off
.LBB176_403:
	s_and_b64 vcc, exec, s[2:3]
	s_cbranch_vccz .LBB176_413
; %bb.404:
	v_and_b32_e32 v5, 0x7fffffff, v2
	s_mov_b32 s2, 0x43f00000
	v_cmp_gt_u32_e32 vcc, s2, v5
                                        ; implicit-def: $vgpr4
	s_and_saveexec_b64 s[2:3], vcc
	s_xor_b64 s[2:3], exec, s[2:3]
	s_cbranch_execz .LBB176_410
; %bb.405:
	s_mov_b32 s22, 0x3c7fffff
	v_cmp_lt_u32_e32 vcc, s22, v5
                                        ; implicit-def: $vgpr4
	s_and_saveexec_b64 s[22:23], vcc
	s_xor_b64 s[22:23], exec, s[22:23]
; %bb.406:
	v_bfe_u32 v4, v2, 20, 1
	s_mov_b32 s26, 0x407ffff
	v_add3_u32 v4, v2, v4, s26
	v_lshrrev_b32_e32 v5, 20, v4
	v_and_b32_e32 v4, 0xff00000, v4
	s_mov_b32 s26, 0x7f00000
	v_mov_b32_e32 v6, 0x7e
	v_cmp_ne_u32_e32 vcc, s26, v4
	s_nop 1
	v_cndmask_b32_e32 v4, v6, v5, vcc
; %bb.407:
	s_andn2_saveexec_b64 s[22:23], s[22:23]
; %bb.408:
	s_mov_b32 s26, 0x46800000
	v_add_f32_e64 v4, |v2|, s26
; %bb.409:
	s_or_b64 exec, exec, s[22:23]
                                        ; implicit-def: $vgpr5
.LBB176_410:
	s_andn2_saveexec_b64 s[2:3], s[2:3]
; %bb.411:
	s_mov_b32 s22, 0x7f800000
	v_mov_b32_e32 v4, 0x7e
	v_mov_b32_e32 v6, 0x7f
	v_cmp_lt_u32_e32 vcc, s22, v5
	s_nop 1
	v_cndmask_b32_e32 v4, v4, v6, vcc
; %bb.412:
	s_or_b64 exec, exec, s[2:3]
	v_lshrrev_b32_e32 v5, 24, v2
	s_movk_i32 s2, 0x80
	v_and_or_b32 v4, v5, s2, v4
	global_store_byte v[0:1], v4, off
.LBB176_413:
	s_mov_b64 s[2:3], 0
.LBB176_414:
	s_andn2_b64 vcc, exec, s[2:3]
	s_cbranch_vccnz .LBB176_424
; %bb.415:
	v_and_b32_e32 v5, 0x7fffffff, v2
	s_mov_b32 s2, 0x47800000
	v_cmp_gt_u32_e32 vcc, s2, v5
                                        ; implicit-def: $vgpr4
	s_and_saveexec_b64 s[2:3], vcc
	s_xor_b64 s[2:3], exec, s[2:3]
	s_cbranch_execz .LBB176_421
; %bb.416:
	s_mov_b32 s22, 0x387fffff
	v_cmp_lt_u32_e32 vcc, s22, v5
                                        ; implicit-def: $vgpr4
	s_and_saveexec_b64 s[22:23], vcc
	s_xor_b64 s[22:23], exec, s[22:23]
; %bb.417:
	v_bfe_u32 v4, v2, 21, 1
	s_mov_b32 s26, 0x80fffff
	v_add3_u32 v4, v2, v4, s26
	v_lshrrev_b32_e32 v4, 21, v4
; %bb.418:
	s_andn2_saveexec_b64 s[22:23], s[22:23]
; %bb.419:
	s_mov_b32 s26, 0x43000000
	v_add_f32_e64 v4, |v2|, s26
; %bb.420:
	s_or_b64 exec, exec, s[22:23]
                                        ; implicit-def: $vgpr5
.LBB176_421:
	s_andn2_saveexec_b64 s[2:3], s[2:3]
; %bb.422:
	s_mov_b32 s22, 0x7f800000
	v_mov_b32_e32 v4, 0x7c
	v_mov_b32_e32 v6, 0x7f
	v_cmp_lt_u32_e32 vcc, s22, v5
	s_nop 1
	v_cndmask_b32_e32 v4, v4, v6, vcc
; %bb.423:
	s_or_b64 exec, exec, s[2:3]
	v_lshrrev_b32_e32 v5, 24, v2
	s_movk_i32 s2, 0x80
	v_and_or_b32 v4, v5, s2, v4
	global_store_byte v[0:1], v4, off
.LBB176_424:
	s_mov_b64 s[22:23], 0
	s_mov_b64 s[2:3], -1
.LBB176_425:
	s_andn2_b64 vcc, exec, s[22:23]
	s_cbranch_vccnz .LBB176_433
; %bb.426:
	s_cmp_gt_i32 s29, 14
	s_mov_b64 s[22:23], -1
	s_cbranch_scc0 .LBB176_430
; %bb.427:
	s_cmp_eq_u32 s29, 15
	s_mov_b64 s[0:1], -1
	s_cbranch_scc0 .LBB176_429
; %bb.428:
	v_bfe_u32 v4, v2, 16, 1
	s_movk_i32 s0, 0x7fff
	v_add3_u32 v4, v2, v4, s0
	v_cmp_o_f32_e32 vcc, v2, v2
	v_mov_b32_e32 v5, 0x7fc0
	s_mov_b64 s[2:3], -1
	v_cndmask_b32_sdwa v4, v5, v4, vcc dst_sel:DWORD dst_unused:UNUSED_PAD src0_sel:DWORD src1_sel:WORD_1
	global_store_short v[0:1], v4, off
	s_mov_b64 s[0:1], 0
.LBB176_429:
	s_mov_b64 s[22:23], 0
.LBB176_430:
	s_and_b64 vcc, exec, s[22:23]
	s_cbranch_vccz .LBB176_433
; %bb.431:
	s_cmp_eq_u32 s29, 11
	s_mov_b64 s[0:1], -1
	s_cbranch_scc0 .LBB176_433
; %bb.432:
	v_cmp_neq_f32_e32 vcc, 0, v2
	v_cmp_neq_f32_e64 s[0:1], 0, v3
	s_or_b64 s[0:1], vcc, s[0:1]
	s_mov_b64 s[2:3], -1
	v_cndmask_b32_e64 v4, 0, 1, s[0:1]
	s_mov_b64 s[0:1], 0
	global_store_byte v[0:1], v4, off
.LBB176_433:
	s_mov_b64 s[22:23], 0
.LBB176_434:
	s_and_b64 vcc, exec, s[22:23]
	s_cbranch_vccz .LBB176_473
; %bb.435:
	s_and_b32 s22, 0xffff, s28
	s_cmp_lt_i32 s22, 5
	s_mov_b64 s[2:3], -1
	s_cbranch_scc1 .LBB176_456
; %bb.436:
	s_cmp_lt_i32 s22, 8
	s_cbranch_scc1 .LBB176_446
; %bb.437:
	s_cmp_lt_i32 s22, 9
	s_cbranch_scc1 .LBB176_443
; %bb.438:
	s_cmp_gt_i32 s22, 9
	s_cbranch_scc0 .LBB176_440
; %bb.439:
	v_cvt_f64_f32_e32 v[4:5], v2
	v_cvt_f64_f32_e32 v[6:7], v3
	s_mov_b64 s[2:3], 0
	global_store_dwordx4 v[0:1], v[4:7], off
.LBB176_440:
	s_andn2_b64 vcc, exec, s[2:3]
	s_cbranch_vccnz .LBB176_442
; %bb.441:
	global_store_dwordx2 v[0:1], v[2:3], off
.LBB176_442:
	s_mov_b64 s[2:3], 0
.LBB176_443:
	s_andn2_b64 vcc, exec, s[2:3]
	s_cbranch_vccnz .LBB176_445
; %bb.444:
	v_cvt_f16_f32_e32 v4, v2
	v_cvt_f16_f32_sdwa v3, v3 dst_sel:WORD_1 dst_unused:UNUSED_PAD src0_sel:DWORD
	s_nop 0
	v_or_b32_e32 v3, v3, v4
	global_store_dword v[0:1], v3, off
.LBB176_445:
	s_mov_b64 s[2:3], 0
.LBB176_446:
	s_andn2_b64 vcc, exec, s[2:3]
	s_cbranch_vccnz .LBB176_455
; %bb.447:
	s_cmp_lt_i32 s22, 6
	s_mov_b64 s[2:3], -1
	s_cbranch_scc1 .LBB176_453
; %bb.448:
	s_cmp_gt_i32 s22, 6
	s_cbranch_scc0 .LBB176_450
; %bb.449:
	v_cvt_f64_f32_e32 v[4:5], v2
	s_mov_b64 s[2:3], 0
	global_store_dwordx2 v[0:1], v[4:5], off
.LBB176_450:
	s_andn2_b64 vcc, exec, s[2:3]
	s_cbranch_vccnz .LBB176_452
; %bb.451:
	global_store_dword v[0:1], v2, off
.LBB176_452:
	s_mov_b64 s[2:3], 0
.LBB176_453:
	s_andn2_b64 vcc, exec, s[2:3]
	s_cbranch_vccnz .LBB176_455
; %bb.454:
	v_cvt_f16_f32_e32 v3, v2
	global_store_short v[0:1], v3, off
.LBB176_455:
	s_mov_b64 s[2:3], 0
.LBB176_456:
	s_andn2_b64 vcc, exec, s[2:3]
	s_cbranch_vccnz .LBB176_472
; %bb.457:
	s_cmp_lt_i32 s22, 2
	s_mov_b64 s[2:3], -1
	s_cbranch_scc1 .LBB176_467
; %bb.458:
	s_cmp_lt_i32 s22, 3
	s_cbranch_scc1 .LBB176_464
; %bb.459:
	s_cmp_gt_i32 s22, 3
	s_cbranch_scc0 .LBB176_461
; %bb.460:
	v_trunc_f32_e32 v3, v2
	s_mov_b32 s2, 0x2f800000
	v_mul_f32_e64 v4, |v3|, s2
	v_floor_f32_e32 v4, v4
	s_mov_b32 s2, 0xcf800000
	v_cvt_u32_f32_e32 v5, v4
	v_fma_f32 v4, v4, s2, |v3|
	v_cvt_u32_f32_e32 v4, v4
	v_ashrrev_i32_e32 v3, 31, v3
	v_xor_b32_e32 v5, v5, v3
	s_mov_b64 s[2:3], 0
	v_xor_b32_e32 v4, v4, v3
	v_sub_co_u32_e32 v4, vcc, v4, v3
	s_nop 1
	v_subb_co_u32_e32 v5, vcc, v5, v3, vcc
	global_store_dwordx2 v[0:1], v[4:5], off
.LBB176_461:
	s_andn2_b64 vcc, exec, s[2:3]
	s_cbranch_vccnz .LBB176_463
; %bb.462:
	v_cvt_i32_f32_e32 v3, v2
	global_store_dword v[0:1], v3, off
.LBB176_463:
	s_mov_b64 s[2:3], 0
.LBB176_464:
	s_andn2_b64 vcc, exec, s[2:3]
	s_cbranch_vccnz .LBB176_466
; %bb.465:
	v_cvt_i32_f32_e32 v3, v2
	global_store_short v[0:1], v3, off
.LBB176_466:
	s_mov_b64 s[2:3], 0
.LBB176_467:
	s_andn2_b64 vcc, exec, s[2:3]
	s_cbranch_vccnz .LBB176_472
; %bb.468:
	s_cmp_gt_i32 s22, 0
	s_mov_b64 s[2:3], -1
	s_cbranch_scc0 .LBB176_470
; %bb.469:
	v_cvt_i32_f32_e32 v3, v2
	s_mov_b64 s[2:3], 0
	global_store_byte v[0:1], v3, off
.LBB176_470:
	s_andn2_b64 vcc, exec, s[2:3]
	s_cbranch_vccnz .LBB176_472
; %bb.471:
	v_trunc_f32_e32 v2, v2
	s_mov_b32 s2, 0x2f800000
	v_mul_f32_e64 v3, |v2|, s2
	v_floor_f32_e32 v3, v3
	s_mov_b32 s2, 0xcf800000
	v_fma_f32 v3, v3, s2, |v2|
	v_cvt_u32_f32_e32 v3, v3
	v_ashrrev_i32_e32 v2, 31, v2
	v_xor_b32_e32 v3, v3, v2
	v_sub_u32_e32 v2, v3, v2
	global_store_byte v[0:1], v2, off
.LBB176_472:
	s_mov_b64 s[2:3], -1
.LBB176_473:
	s_andn2_b64 vcc, exec, s[2:3]
	s_cbranch_vccnz .LBB176_475
; %bb.474:
	v_add_u32_e32 v10, 0x80, v10
	s_mov_b64 s[2:3], -1
	s_branch .LBB176_587
.LBB176_475:
	s_mov_b64 s[2:3], 0
                                        ; implicit-def: $vgpr10
	s_branch .LBB176_587
.LBB176_476:
	s_mov_b64 s[20:21], -1
                                        ; implicit-def: $vgpr0_vgpr1
.LBB176_477:
	s_mov_b64 s[2:3], 0
.LBB176_478:
	s_and_b64 vcc, exec, s[2:3]
	s_cbranch_vccz .LBB176_482
; %bb.479:
	s_cmp_eq_u32 s26, 29
	s_cbranch_scc0 .LBB176_481
; %bb.480:
	global_load_dwordx2 v[0:1], v[2:3], off
	s_mov_b64 s[0:1], -1
	s_mov_b64 s[20:21], 0
	s_mov_b64 s[2:3], 0
	s_waitcnt vmcnt(0)
	v_ffbh_u32_e32 v4, v1
	v_min_u32_e32 v4, 32, v4
	v_lshlrev_b64 v[0:1], v4, v[0:1]
	v_min_u32_e32 v0, 1, v0
	v_or_b32_e32 v0, v1, v0
	v_cvt_f32_u32_e32 v0, v0
	v_sub_u32_e32 v4, 32, v4
	v_mov_b32_e32 v1, 0
	v_ldexp_f32 v0, v0, v4
	s_branch .LBB176_483
.LBB176_481:
	s_mov_b64 s[20:21], -1
                                        ; implicit-def: $vgpr0_vgpr1
.LBB176_482:
	s_mov_b64 s[2:3], 0
.LBB176_483:
	s_and_b64 vcc, exec, s[2:3]
	s_cbranch_vccz .LBB176_503
; %bb.484:
	s_cmp_lt_i32 s26, 27
	s_cbranch_scc1 .LBB176_487
; %bb.485:
	s_cmp_gt_i32 s26, 27
	s_cbranch_scc0 .LBB176_488
; %bb.486:
	global_load_dword v0, v[2:3], off
	v_mov_b32_e32 v1, 0
	s_mov_b64 s[0:1], 0
	s_waitcnt vmcnt(0)
	v_cvt_f32_u32_e32 v0, v0
	s_branch .LBB176_489
.LBB176_487:
	s_mov_b64 s[0:1], -1
                                        ; implicit-def: $vgpr0_vgpr1
	s_branch .LBB176_492
.LBB176_488:
	s_mov_b64 s[0:1], -1
                                        ; implicit-def: $vgpr0_vgpr1
.LBB176_489:
	s_andn2_b64 vcc, exec, s[0:1]
	s_cbranch_vccnz .LBB176_491
; %bb.490:
	global_load_ushort v0, v[2:3], off
	v_mov_b32_e32 v1, 0
	s_waitcnt vmcnt(0)
	v_cvt_f32_u32_e32 v0, v0
.LBB176_491:
	s_mov_b64 s[0:1], 0
.LBB176_492:
	s_andn2_b64 vcc, exec, s[0:1]
	s_cbranch_vccnz .LBB176_502
; %bb.493:
	global_load_ubyte v4, v[2:3], off
	s_movk_i32 s0, 0x7f
	s_waitcnt vmcnt(0)
	v_cmp_lt_i16_e32 vcc, s0, v4
	s_mov_b64 s[0:1], 0
	s_and_saveexec_b64 s[2:3], vcc
	s_xor_b64 s[2:3], exec, s[2:3]
	s_cbranch_execz .LBB176_497
; %bb.494:
	s_movk_i32 s0, 0x80
	v_cmp_eq_u16_e32 vcc, s0, v4
	s_mov_b64 s[0:1], -1
	s_and_saveexec_b64 s[22:23], vcc
; %bb.495:
	s_xor_b64 s[0:1], exec, -1
; %bb.496:
	s_or_b64 exec, exec, s[22:23]
	s_and_b64 s[0:1], s[0:1], exec
.LBB176_497:
	s_or_saveexec_b64 s[2:3], s[2:3]
	v_mov_b32_e32 v0, 0x7f800001
	v_mov_b32_e32 v1, 0
	s_xor_b64 exec, exec, s[2:3]
; %bb.498:
	v_cmp_ne_u16_e32 vcc, 0, v4
	s_andn2_b64 s[0:1], s[0:1], exec
	s_and_b64 s[22:23], vcc, exec
	v_mov_b32_e32 v0, v1
	s_or_b64 s[0:1], s[0:1], s[22:23]
; %bb.499:
	s_or_b64 exec, exec, s[2:3]
	s_and_saveexec_b64 s[2:3], s[0:1]
	s_cbranch_execz .LBB176_501
; %bb.500:
	v_and_b32_e32 v1, 0xffff, v4
	v_lshlrev_b32_e32 v0, 24, v4
	v_and_b32_e32 v4, 7, v1
	v_ffbh_u32_e32 v6, v4
	v_min_u32_e32 v6, 32, v6
	v_subrev_u32_e32 v7, 28, v6
	v_bfe_u32 v5, v1, 3, 4
	v_lshlrev_b32_e32 v1, v7, v1
	v_sub_u32_e32 v6, 29, v6
	v_and_b32_e32 v1, 7, v1
	v_cmp_eq_u32_e32 vcc, 0, v5
	v_and_b32_e32 v0, 0x80000000, v0
	s_nop 0
	v_cndmask_b32_e32 v5, v5, v6, vcc
	v_cndmask_b32_e32 v1, v4, v1, vcc
	v_mov_b32_e32 v4, 0x3b800000
	v_lshlrev_b32_e32 v1, 20, v1
	v_lshl_add_u32 v4, v5, 23, v4
	v_or3_b32 v0, v0, v4, v1
	v_mov_b32_e32 v1, 0
.LBB176_501:
	s_or_b64 exec, exec, s[2:3]
.LBB176_502:
	s_mov_b64 s[0:1], -1
.LBB176_503:
	s_mov_b64 s[2:3], 0
.LBB176_504:
	s_and_b64 vcc, exec, s[2:3]
	s_cbranch_vccz .LBB176_537
; %bb.505:
	s_cmp_gt_i32 s26, 22
	s_cbranch_scc0 .LBB176_517
; %bb.506:
	s_cmp_lt_i32 s26, 24
	s_cbranch_scc1 .LBB176_518
; %bb.507:
	s_cmp_gt_i32 s26, 24
	s_cbranch_scc0 .LBB176_519
; %bb.508:
	global_load_ubyte v4, v[2:3], off
	s_movk_i32 s0, 0x7f
	s_waitcnt vmcnt(0)
	v_cmp_lt_i16_e32 vcc, s0, v4
	s_mov_b64 s[0:1], 0
	s_and_saveexec_b64 s[2:3], vcc
	s_xor_b64 s[2:3], exec, s[2:3]
	s_cbranch_execz .LBB176_512
; %bb.509:
	s_movk_i32 s0, 0x80
	v_cmp_eq_u16_e32 vcc, s0, v4
	s_mov_b64 s[0:1], -1
	s_and_saveexec_b64 s[22:23], vcc
; %bb.510:
	s_xor_b64 s[0:1], exec, -1
; %bb.511:
	s_or_b64 exec, exec, s[22:23]
	s_and_b64 s[0:1], s[0:1], exec
.LBB176_512:
	s_or_saveexec_b64 s[2:3], s[2:3]
	v_mov_b32_e32 v0, 0x7f800001
	v_mov_b32_e32 v1, 0
	s_xor_b64 exec, exec, s[2:3]
; %bb.513:
	v_cmp_ne_u16_e32 vcc, 0, v4
	s_andn2_b64 s[0:1], s[0:1], exec
	s_and_b64 s[22:23], vcc, exec
	v_mov_b32_e32 v0, v1
	s_or_b64 s[0:1], s[0:1], s[22:23]
; %bb.514:
	s_or_b64 exec, exec, s[2:3]
	s_and_saveexec_b64 s[2:3], s[0:1]
	s_cbranch_execz .LBB176_516
; %bb.515:
	v_and_b32_e32 v1, 0xffff, v4
	v_lshlrev_b32_e32 v0, 24, v4
	v_and_b32_e32 v4, 3, v1
	v_ffbh_u32_e32 v6, v4
	v_min_u32_e32 v6, 32, v6
	v_subrev_u32_e32 v7, 29, v6
	v_bfe_u32 v5, v1, 2, 5
	v_lshlrev_b32_e32 v1, v7, v1
	v_sub_u32_e32 v6, 30, v6
	v_and_b32_e32 v1, 3, v1
	v_cmp_eq_u32_e32 vcc, 0, v5
	v_and_b32_e32 v0, 0x80000000, v0
	s_nop 0
	v_cndmask_b32_e32 v5, v5, v6, vcc
	v_cndmask_b32_e32 v1, v4, v1, vcc
	v_mov_b32_e32 v4, 0x37800000
	v_lshlrev_b32_e32 v1, 21, v1
	v_lshl_add_u32 v4, v5, 23, v4
	v_or3_b32 v0, v0, v4, v1
	v_mov_b32_e32 v1, 0
.LBB176_516:
	s_or_b64 exec, exec, s[2:3]
	s_mov_b64 s[0:1], 0
	s_branch .LBB176_520
.LBB176_517:
	s_mov_b64 s[2:3], -1
                                        ; implicit-def: $vgpr0_vgpr1
	s_branch .LBB176_526
.LBB176_518:
	s_mov_b64 s[0:1], -1
                                        ; implicit-def: $vgpr0_vgpr1
	s_branch .LBB176_523
.LBB176_519:
	s_mov_b64 s[0:1], -1
                                        ; implicit-def: $vgpr0_vgpr1
.LBB176_520:
	s_and_b64 vcc, exec, s[0:1]
	s_cbranch_vccz .LBB176_522
; %bb.521:
	global_load_ubyte v0, v[2:3], off
	s_mov_b32 s0, 0x7f800000
	s_brev_b32 s1, 1
	s_waitcnt vmcnt(0)
	v_lshlrev_b32_e32 v0, 24, v0
	v_and_b32_e32 v1, 0x7f000000, v0
	v_ffbh_u32_e32 v4, v1
	v_min_u32_e32 v4, 32, v4
	v_sub_u32_e64 v4, v4, 4 clamp
	v_lshlrev_b32_e32 v6, v4, v1
	v_lshlrev_b32_e32 v4, 23, v4
	v_lshrrev_b32_e32 v6, 4, v6
	v_add_u32_e32 v5, 0x1000000, v1
	v_sub_u32_e32 v4, v6, v4
	v_ashrrev_i32_e32 v5, 8, v5
	v_add_u32_e32 v4, 0x3c000000, v4
	v_and_or_b32 v4, v5, s0, v4
	v_cmp_ne_u32_e32 vcc, 0, v1
	s_nop 1
	v_cndmask_b32_e32 v1, 0, v4, vcc
	v_and_or_b32 v0, v0, s1, v1
	v_mov_b32_e32 v1, 0
.LBB176_522:
	s_mov_b64 s[0:1], 0
.LBB176_523:
	s_andn2_b64 vcc, exec, s[0:1]
	s_cbranch_vccnz .LBB176_525
; %bb.524:
	global_load_ubyte v0, v[2:3], off
	s_movk_i32 s0, 0x7f00
	s_brev_b32 s1, 16
	s_brev_b32 s2, 1
	s_waitcnt vmcnt(0)
	v_lshlrev_b16_e32 v1, 8, v0
	v_lshlrev_b32_e32 v0, 25, v0
	v_lshrrev_b32_e32 v4, 4, v0
	v_and_or_b32 v5, v1, s0, 0.5
	v_or_b32_e32 v4, 0x70000000, v4
	v_add_f32_e32 v5, -0.5, v5
	v_mul_f32_e32 v4, 0x7800000, v4
	v_cmp_gt_u32_e32 vcc, s1, v0
	v_bfe_i32 v1, v1, 0, 16
	s_nop 0
	v_cndmask_b32_e32 v0, v4, v5, vcc
	v_and_or_b32 v0, v1, s2, v0
	v_mov_b32_e32 v1, 0
.LBB176_525:
	s_mov_b64 s[2:3], 0
	s_mov_b64 s[0:1], -1
.LBB176_526:
	s_andn2_b64 vcc, exec, s[2:3]
	s_cbranch_vccnz .LBB176_537
; %bb.527:
	s_cmp_gt_i32 s26, 14
	s_cbranch_scc0 .LBB176_530
; %bb.528:
	s_cmp_eq_u32 s26, 15
	s_cbranch_scc0 .LBB176_531
; %bb.529:
	global_load_ushort v0, v[2:3], off
	v_mov_b32_e32 v1, 0
	s_mov_b64 s[0:1], -1
	s_mov_b64 s[20:21], 0
	s_waitcnt vmcnt(0)
	v_lshlrev_b32_e32 v0, 16, v0
	s_branch .LBB176_532
.LBB176_530:
	s_mov_b64 s[2:3], -1
                                        ; implicit-def: $vgpr0_vgpr1
	s_branch .LBB176_533
.LBB176_531:
	s_mov_b64 s[20:21], -1
                                        ; implicit-def: $vgpr0_vgpr1
.LBB176_532:
	s_mov_b64 s[2:3], 0
.LBB176_533:
	s_and_b64 vcc, exec, s[2:3]
	s_cbranch_vccz .LBB176_537
; %bb.534:
	s_cmp_eq_u32 s26, 11
	s_cbranch_scc0 .LBB176_536
; %bb.535:
	global_load_ubyte v0, v[2:3], off
	v_mov_b32_e32 v1, 0
	s_mov_b64 s[0:1], -1
	s_mov_b64 s[20:21], 0
	s_waitcnt vmcnt(0)
	v_cmp_ne_u16_e32 vcc, 0, v0
	s_nop 1
	v_cndmask_b32_e64 v0, 0, 1.0, vcc
	s_branch .LBB176_537
.LBB176_536:
	s_mov_b64 s[20:21], -1
                                        ; implicit-def: $vgpr0_vgpr1
.LBB176_537:
	s_branch .LBB176_302
.LBB176_538:
	s_cmp_lt_i32 s26, 5
	s_cbranch_scc1 .LBB176_543
; %bb.539:
	s_cmp_lt_i32 s26, 8
	s_cbranch_scc1 .LBB176_544
; %bb.540:
	;; [unrolled: 3-line block ×3, first 2 shown]
	s_cmp_gt_i32 s26, 9
	s_cbranch_scc0 .LBB176_546
; %bb.542:
	global_load_dwordx4 v[4:7], v[2:3], off
	s_mov_b64 s[0:1], 0
	s_waitcnt vmcnt(0)
	v_cvt_f32_f64_e32 v1, v[6:7]
	v_cvt_f32_f64_e32 v0, v[4:5]
	s_branch .LBB176_547
.LBB176_543:
	s_mov_b64 s[0:1], -1
                                        ; implicit-def: $vgpr0_vgpr1
	s_branch .LBB176_565
.LBB176_544:
	s_mov_b64 s[0:1], -1
                                        ; implicit-def: $vgpr0_vgpr1
	s_branch .LBB176_553
.LBB176_545:
	s_mov_b64 s[0:1], -1
                                        ; implicit-def: $vgpr0_vgpr1
	s_branch .LBB176_550
.LBB176_546:
	s_mov_b64 s[0:1], -1
                                        ; implicit-def: $vgpr0_vgpr1
.LBB176_547:
	s_andn2_b64 vcc, exec, s[0:1]
	s_cbranch_vccnz .LBB176_549
; %bb.548:
	global_load_dwordx2 v[0:1], v[2:3], off
.LBB176_549:
	s_mov_b64 s[0:1], 0
.LBB176_550:
	s_andn2_b64 vcc, exec, s[0:1]
	s_cbranch_vccnz .LBB176_552
; %bb.551:
	global_load_dword v0, v[2:3], off
	s_waitcnt vmcnt(0)
	v_cvt_f32_f16_sdwa v1, v0 dst_sel:DWORD dst_unused:UNUSED_PAD src0_sel:WORD_1
	v_cvt_f32_f16_e32 v0, v0
.LBB176_552:
	s_mov_b64 s[0:1], 0
.LBB176_553:
	s_andn2_b64 vcc, exec, s[0:1]
	s_cbranch_vccnz .LBB176_564
; %bb.554:
	s_cmp_lt_i32 s26, 6
	s_cbranch_scc1 .LBB176_557
; %bb.555:
	s_cmp_gt_i32 s26, 6
	s_cbranch_scc0 .LBB176_558
; %bb.556:
	global_load_dwordx2 v[4:5], v[2:3], off
	s_waitcnt vmcnt(1)
	v_mov_b32_e32 v1, 0
	s_mov_b64 s[0:1], 0
	s_waitcnt vmcnt(0)
	v_cvt_f32_f64_e32 v0, v[4:5]
	s_branch .LBB176_559
.LBB176_557:
	s_mov_b64 s[0:1], -1
                                        ; implicit-def: $vgpr0_vgpr1
	s_branch .LBB176_562
.LBB176_558:
	s_mov_b64 s[0:1], -1
                                        ; implicit-def: $vgpr0_vgpr1
.LBB176_559:
	s_andn2_b64 vcc, exec, s[0:1]
	s_cbranch_vccnz .LBB176_561
; %bb.560:
	global_load_dword v0, v[2:3], off
	s_waitcnt vmcnt(1)
	v_mov_b32_e32 v1, 0
.LBB176_561:
	s_mov_b64 s[0:1], 0
.LBB176_562:
	s_andn2_b64 vcc, exec, s[0:1]
	s_cbranch_vccnz .LBB176_564
; %bb.563:
	global_load_ushort v0, v[2:3], off
	s_waitcnt vmcnt(1)
	v_mov_b32_e32 v1, 0
	s_waitcnt vmcnt(0)
	v_cvt_f32_f16_e32 v0, v0
.LBB176_564:
	s_mov_b64 s[0:1], 0
.LBB176_565:
	s_andn2_b64 vcc, exec, s[0:1]
	s_cbranch_vccnz .LBB176_585
; %bb.566:
	s_cmp_lt_i32 s26, 2
	s_cbranch_scc1 .LBB176_570
; %bb.567:
	s_cmp_lt_i32 s26, 3
	s_cbranch_scc1 .LBB176_571
; %bb.568:
	s_cmp_gt_i32 s26, 3
	s_cbranch_scc0 .LBB176_572
; %bb.569:
	global_load_dwordx2 v[0:1], v[2:3], off
	s_mov_b64 s[0:1], 0
	s_waitcnt vmcnt(0)
	v_xor_b32_e32 v5, v0, v1
	v_ffbh_i32_e32 v4, v1
	v_ashrrev_i32_e32 v5, 31, v5
	v_add_u32_e32 v4, -1, v4
	v_add_u32_e32 v5, 32, v5
	v_min_u32_e32 v4, v4, v5
	v_lshlrev_b64 v[0:1], v4, v[0:1]
	v_min_u32_e32 v0, 1, v0
	v_or_b32_e32 v0, v1, v0
	v_cvt_f32_i32_e32 v0, v0
	v_sub_u32_e32 v4, 32, v4
	v_mov_b32_e32 v1, 0
	v_ldexp_f32 v0, v0, v4
	s_branch .LBB176_573
.LBB176_570:
	s_mov_b64 s[0:1], -1
                                        ; implicit-def: $vgpr0_vgpr1
	s_branch .LBB176_579
.LBB176_571:
	s_mov_b64 s[0:1], -1
                                        ; implicit-def: $vgpr0_vgpr1
	s_branch .LBB176_576
.LBB176_572:
	s_mov_b64 s[0:1], -1
                                        ; implicit-def: $vgpr0_vgpr1
.LBB176_573:
	s_andn2_b64 vcc, exec, s[0:1]
	s_cbranch_vccnz .LBB176_575
; %bb.574:
	global_load_dword v0, v[2:3], off
	s_waitcnt vmcnt(1)
	v_mov_b32_e32 v1, 0
	s_waitcnt vmcnt(0)
	v_cvt_f32_i32_e32 v0, v0
.LBB176_575:
	s_mov_b64 s[0:1], 0
.LBB176_576:
	s_andn2_b64 vcc, exec, s[0:1]
	s_cbranch_vccnz .LBB176_578
; %bb.577:
	global_load_sshort v0, v[2:3], off
	s_waitcnt vmcnt(1)
	v_mov_b32_e32 v1, 0
	s_waitcnt vmcnt(0)
	v_cvt_f32_i32_e32 v0, v0
.LBB176_578:
	s_mov_b64 s[0:1], 0
.LBB176_579:
	s_andn2_b64 vcc, exec, s[0:1]
	s_cbranch_vccnz .LBB176_585
; %bb.580:
	s_cmp_gt_i32 s26, 0
	s_cbranch_scc0 .LBB176_582
; %bb.581:
	global_load_sbyte v0, v[2:3], off
	s_waitcnt vmcnt(1)
	v_mov_b32_e32 v1, 0
	s_mov_b64 s[0:1], 0
	s_waitcnt vmcnt(0)
	v_cvt_f32_i32_e32 v0, v0
	s_branch .LBB176_583
.LBB176_582:
	s_mov_b64 s[0:1], -1
                                        ; implicit-def: $vgpr0_vgpr1
.LBB176_583:
	s_andn2_b64 vcc, exec, s[0:1]
	s_cbranch_vccnz .LBB176_585
; %bb.584:
	global_load_ubyte v0, v[2:3], off
	s_waitcnt vmcnt(1)
	v_mov_b32_e32 v1, 0
	s_waitcnt vmcnt(0)
	v_cvt_f32_ubyte0_e32 v0, v0
.LBB176_585:
	s_branch .LBB176_303
.LBB176_586:
	s_mov_b64 s[2:3], 0
                                        ; implicit-def: $vgpr10
	s_mov_b64 s[0:1], s[14:15]
.LBB176_587:
	s_andn2_b64 s[22:23], s[14:15], exec
	s_and_b64 s[0:1], s[0:1], exec
	s_or_b64 s[22:23], s[22:23], s[0:1]
	s_andn2_b64 s[0:1], s[16:17], exec
	s_and_b64 s[20:21], s[20:21], exec
	s_or_b64 s[20:21], s[0:1], s[20:21]
	s_orn2_b64 s[0:1], s[2:3], exec
.LBB176_588:
	s_or_b64 exec, exec, s[24:25]
	s_mov_b64 s[2:3], 0
	s_mov_b64 s[26:27], 0
	s_mov_b64 s[28:29], 0
                                        ; implicit-def: $vgpr2_vgpr3
                                        ; implicit-def: $vgpr0_vgpr1
	s_and_saveexec_b64 s[24:25], s[0:1]
	s_cbranch_execz .LBB176_971
; %bb.589:
	v_cmp_gt_i32_e32 vcc, s45, v10
	s_mov_b64 s[34:35], -1
	s_mov_b64 s[0:1], s[20:21]
	s_mov_b64 s[2:3], s[22:23]
	s_and_saveexec_b64 s[26:27], vcc
	s_cbranch_execz .LBB176_885
; %bb.590:
	s_waitcnt vmcnt(0)
	v_mul_lo_u32 v0, v10, s9
	v_ashrrev_i32_e32 v1, 31, v0
	s_and_b32 s34, 0xffff, s44
	s_cmp_lt_i32 s34, 11
	v_lshl_add_u64 v[2:3], s[6:7], 0, v[0:1]
	s_cbranch_scc1 .LBB176_597
; %bb.591:
	s_cmp_gt_i32 s34, 25
	s_cbranch_scc0 .LBB176_598
; %bb.592:
	s_cmp_gt_i32 s34, 28
	s_cbranch_scc0 .LBB176_599
	;; [unrolled: 3-line block ×4, first 2 shown]
; %bb.595:
	s_cmp_eq_u32 s34, 46
	s_mov_b64 s[2:3], 0
	s_cbranch_scc0 .LBB176_606
; %bb.596:
	global_load_dword v0, v[2:3], off
	s_mov_b64 s[0:1], -1
	s_waitcnt vmcnt(0)
	v_and_b32_e32 v1, 0xffff0000, v0
	v_lshlrev_b32_e32 v0, 16, v0
	s_branch .LBB176_607
.LBB176_597:
	s_mov_b64 s[2:3], -1
	s_mov_b64 s[0:1], 0
                                        ; implicit-def: $vgpr0_vgpr1
	s_mov_b64 s[28:29], s[20:21]
	s_branch .LBB176_672
.LBB176_598:
	s_mov_b64 s[2:3], -1
	s_mov_b64 s[0:1], 0
	s_mov_b64 s[28:29], s[20:21]
                                        ; implicit-def: $vgpr0_vgpr1
	s_branch .LBB176_638
.LBB176_599:
	s_mov_b64 s[2:3], -1
	s_mov_b64 s[0:1], 0
	s_mov_b64 s[28:29], s[20:21]
                                        ; implicit-def: $vgpr0_vgpr1
	s_branch .LBB176_617
.LBB176_600:
	s_mov_b64 s[2:3], -1
	s_mov_b64 s[0:1], 0
	s_mov_b64 s[28:29], s[20:21]
                                        ; implicit-def: $vgpr0_vgpr1
	s_branch .LBB176_612
.LBB176_601:
	s_andn2_saveexec_b64 s[26:27], s[26:27]
	s_cbranch_execz .LBB176_386
.LBB176_602:
	s_mov_b32 s30, 0x46000000
	v_add_f32_e64 v4, |v2|, s30
	v_and_b32_e32 v4, 0xff, v4
	v_cmp_ne_u32_e32 vcc, 0, v4
	s_andn2_b64 s[22:23], s[22:23], exec
	s_and_b64 s[30:31], vcc, exec
	s_or_b64 s[22:23], s[22:23], s[30:31]
	s_or_b64 exec, exec, s[26:27]
	v_mov_b32_e32 v5, 0
	s_and_saveexec_b64 s[26:27], s[22:23]
	s_cbranch_execnz .LBB176_387
	s_branch .LBB176_388
.LBB176_603:
	s_mov_b64 s[2:3], -1
	s_mov_b64 s[0:1], 0
	s_mov_b64 s[28:29], s[20:21]
                                        ; implicit-def: $vgpr0_vgpr1
	s_branch .LBB176_607
.LBB176_604:
	s_andn2_saveexec_b64 s[26:27], s[26:27]
	s_cbranch_execz .LBB176_399
.LBB176_605:
	s_mov_b32 s30, 0x42800000
	v_add_f32_e64 v4, |v2|, s30
	v_and_b32_e32 v4, 0xff, v4
	v_cmp_ne_u32_e32 vcc, 0, v4
	s_andn2_b64 s[22:23], s[22:23], exec
	s_and_b64 s[30:31], vcc, exec
	s_or_b64 s[22:23], s[22:23], s[30:31]
	s_or_b64 exec, exec, s[26:27]
	v_mov_b32_e32 v5, 0
	s_and_saveexec_b64 s[26:27], s[22:23]
	s_cbranch_execnz .LBB176_400
	s_branch .LBB176_401
.LBB176_606:
	s_mov_b64 s[28:29], -1
                                        ; implicit-def: $vgpr0_vgpr1
	s_mov_b64 s[0:1], 0
.LBB176_607:
	s_and_b64 vcc, exec, s[2:3]
	s_cbranch_vccz .LBB176_611
; %bb.608:
	s_cmp_eq_u32 s34, 44
	s_cbranch_scc0 .LBB176_610
; %bb.609:
	global_load_ubyte v0, v[2:3], off
	s_movk_i32 s2, 0xff
	v_mov_b32_e32 v4, 0x7f800001
	v_mov_b32_e32 v5, 0x400000
	;; [unrolled: 1-line block ×3, first 2 shown]
	s_mov_b64 s[0:1], -1
	s_mov_b64 s[28:29], 0
	s_waitcnt vmcnt(0)
	v_lshlrev_b32_e32 v6, 23, v0
	v_cmp_ne_u32_e32 vcc, s2, v0
	s_nop 1
	v_cndmask_b32_e32 v4, v4, v6, vcc
	v_cmp_ne_u32_e32 vcc, 0, v0
	s_nop 1
	v_cndmask_b32_e32 v0, v5, v4, vcc
	s_branch .LBB176_611
.LBB176_610:
	s_mov_b64 s[28:29], -1
                                        ; implicit-def: $vgpr0_vgpr1
.LBB176_611:
	s_mov_b64 s[2:3], 0
.LBB176_612:
	s_and_b64 vcc, exec, s[2:3]
	s_cbranch_vccz .LBB176_616
; %bb.613:
	s_cmp_eq_u32 s34, 29
	s_cbranch_scc0 .LBB176_615
; %bb.614:
	global_load_dwordx2 v[0:1], v[2:3], off
	s_mov_b64 s[0:1], -1
	s_mov_b64 s[28:29], 0
	s_mov_b64 s[2:3], 0
	s_waitcnt vmcnt(0)
	v_ffbh_u32_e32 v4, v1
	v_min_u32_e32 v4, 32, v4
	v_lshlrev_b64 v[0:1], v4, v[0:1]
	v_min_u32_e32 v0, 1, v0
	v_or_b32_e32 v0, v1, v0
	v_cvt_f32_u32_e32 v0, v0
	v_sub_u32_e32 v4, 32, v4
	v_mov_b32_e32 v1, 0
	v_ldexp_f32 v0, v0, v4
	s_branch .LBB176_617
.LBB176_615:
	s_mov_b64 s[28:29], -1
                                        ; implicit-def: $vgpr0_vgpr1
.LBB176_616:
	s_mov_b64 s[2:3], 0
.LBB176_617:
	s_and_b64 vcc, exec, s[2:3]
	s_cbranch_vccz .LBB176_637
; %bb.618:
	s_cmp_lt_i32 s34, 27
	s_cbranch_scc1 .LBB176_621
; %bb.619:
	s_cmp_gt_i32 s34, 27
	s_cbranch_scc0 .LBB176_622
; %bb.620:
	global_load_dword v0, v[2:3], off
	v_mov_b32_e32 v1, 0
	s_mov_b64 s[0:1], 0
	s_waitcnt vmcnt(0)
	v_cvt_f32_u32_e32 v0, v0
	s_branch .LBB176_623
.LBB176_621:
	s_mov_b64 s[0:1], -1
                                        ; implicit-def: $vgpr0_vgpr1
	s_branch .LBB176_626
.LBB176_622:
	s_mov_b64 s[0:1], -1
                                        ; implicit-def: $vgpr0_vgpr1
.LBB176_623:
	s_andn2_b64 vcc, exec, s[0:1]
	s_cbranch_vccnz .LBB176_625
; %bb.624:
	global_load_ushort v0, v[2:3], off
	v_mov_b32_e32 v1, 0
	s_waitcnt vmcnt(0)
	v_cvt_f32_u32_e32 v0, v0
.LBB176_625:
	s_mov_b64 s[0:1], 0
.LBB176_626:
	s_andn2_b64 vcc, exec, s[0:1]
	s_cbranch_vccnz .LBB176_636
; %bb.627:
	global_load_ubyte v4, v[2:3], off
	s_movk_i32 s0, 0x7f
	s_waitcnt vmcnt(0)
	v_cmp_lt_i16_e32 vcc, s0, v4
	s_mov_b64 s[0:1], 0
	s_and_saveexec_b64 s[2:3], vcc
	s_xor_b64 s[2:3], exec, s[2:3]
	s_cbranch_execz .LBB176_631
; %bb.628:
	s_movk_i32 s0, 0x80
	v_cmp_eq_u16_e32 vcc, s0, v4
	s_mov_b64 s[0:1], -1
	s_and_saveexec_b64 s[30:31], vcc
; %bb.629:
	s_xor_b64 s[0:1], exec, -1
; %bb.630:
	s_or_b64 exec, exec, s[30:31]
	s_and_b64 s[0:1], s[0:1], exec
.LBB176_631:
	s_or_saveexec_b64 s[2:3], s[2:3]
	v_mov_b32_e32 v0, 0x7f800001
	v_mov_b32_e32 v1, 0
	s_xor_b64 exec, exec, s[2:3]
; %bb.632:
	v_cmp_ne_u16_e32 vcc, 0, v4
	s_andn2_b64 s[0:1], s[0:1], exec
	s_and_b64 s[30:31], vcc, exec
	v_mov_b32_e32 v0, v1
	s_or_b64 s[0:1], s[0:1], s[30:31]
; %bb.633:
	s_or_b64 exec, exec, s[2:3]
	s_and_saveexec_b64 s[2:3], s[0:1]
	s_cbranch_execz .LBB176_635
; %bb.634:
	v_and_b32_e32 v1, 0xffff, v4
	v_lshlrev_b32_e32 v0, 24, v4
	v_and_b32_e32 v4, 7, v1
	v_ffbh_u32_e32 v6, v4
	v_min_u32_e32 v6, 32, v6
	v_subrev_u32_e32 v7, 28, v6
	v_bfe_u32 v5, v1, 3, 4
	v_lshlrev_b32_e32 v1, v7, v1
	v_sub_u32_e32 v6, 29, v6
	v_and_b32_e32 v1, 7, v1
	v_cmp_eq_u32_e32 vcc, 0, v5
	v_and_b32_e32 v0, 0x80000000, v0
	s_nop 0
	v_cndmask_b32_e32 v5, v5, v6, vcc
	v_cndmask_b32_e32 v1, v4, v1, vcc
	v_mov_b32_e32 v4, 0x3b800000
	v_lshlrev_b32_e32 v1, 20, v1
	v_lshl_add_u32 v4, v5, 23, v4
	v_or3_b32 v0, v0, v4, v1
	v_mov_b32_e32 v1, 0
.LBB176_635:
	s_or_b64 exec, exec, s[2:3]
.LBB176_636:
	s_mov_b64 s[0:1], -1
.LBB176_637:
	s_mov_b64 s[2:3], 0
.LBB176_638:
	s_and_b64 vcc, exec, s[2:3]
	s_cbranch_vccz .LBB176_671
; %bb.639:
	s_cmp_gt_i32 s34, 22
	s_cbranch_scc0 .LBB176_651
; %bb.640:
	s_cmp_lt_i32 s34, 24
	s_cbranch_scc1 .LBB176_652
; %bb.641:
	s_cmp_gt_i32 s34, 24
	s_cbranch_scc0 .LBB176_653
; %bb.642:
	global_load_ubyte v4, v[2:3], off
	s_movk_i32 s0, 0x7f
	s_waitcnt vmcnt(0)
	v_cmp_lt_i16_e32 vcc, s0, v4
	s_mov_b64 s[0:1], 0
	s_and_saveexec_b64 s[2:3], vcc
	s_xor_b64 s[2:3], exec, s[2:3]
	s_cbranch_execz .LBB176_646
; %bb.643:
	s_movk_i32 s0, 0x80
	v_cmp_eq_u16_e32 vcc, s0, v4
	s_mov_b64 s[0:1], -1
	s_and_saveexec_b64 s[30:31], vcc
; %bb.644:
	s_xor_b64 s[0:1], exec, -1
; %bb.645:
	s_or_b64 exec, exec, s[30:31]
	s_and_b64 s[0:1], s[0:1], exec
.LBB176_646:
	s_or_saveexec_b64 s[2:3], s[2:3]
	v_mov_b32_e32 v0, 0x7f800001
	v_mov_b32_e32 v1, 0
	s_xor_b64 exec, exec, s[2:3]
; %bb.647:
	v_cmp_ne_u16_e32 vcc, 0, v4
	s_andn2_b64 s[0:1], s[0:1], exec
	s_and_b64 s[30:31], vcc, exec
	v_mov_b32_e32 v0, v1
	s_or_b64 s[0:1], s[0:1], s[30:31]
; %bb.648:
	s_or_b64 exec, exec, s[2:3]
	s_and_saveexec_b64 s[2:3], s[0:1]
	s_cbranch_execz .LBB176_650
; %bb.649:
	v_and_b32_e32 v1, 0xffff, v4
	v_lshlrev_b32_e32 v0, 24, v4
	v_and_b32_e32 v4, 3, v1
	v_ffbh_u32_e32 v6, v4
	v_min_u32_e32 v6, 32, v6
	v_subrev_u32_e32 v7, 29, v6
	v_bfe_u32 v5, v1, 2, 5
	v_lshlrev_b32_e32 v1, v7, v1
	v_sub_u32_e32 v6, 30, v6
	v_and_b32_e32 v1, 3, v1
	v_cmp_eq_u32_e32 vcc, 0, v5
	v_and_b32_e32 v0, 0x80000000, v0
	s_nop 0
	v_cndmask_b32_e32 v5, v5, v6, vcc
	v_cndmask_b32_e32 v1, v4, v1, vcc
	v_mov_b32_e32 v4, 0x37800000
	v_lshlrev_b32_e32 v1, 21, v1
	v_lshl_add_u32 v4, v5, 23, v4
	v_or3_b32 v0, v0, v4, v1
	v_mov_b32_e32 v1, 0
.LBB176_650:
	s_or_b64 exec, exec, s[2:3]
	s_mov_b64 s[0:1], 0
	s_branch .LBB176_654
.LBB176_651:
	s_mov_b64 s[2:3], -1
                                        ; implicit-def: $vgpr0_vgpr1
	s_branch .LBB176_660
.LBB176_652:
	s_mov_b64 s[0:1], -1
                                        ; implicit-def: $vgpr0_vgpr1
	s_branch .LBB176_657
.LBB176_653:
	s_mov_b64 s[0:1], -1
                                        ; implicit-def: $vgpr0_vgpr1
.LBB176_654:
	s_and_b64 vcc, exec, s[0:1]
	s_cbranch_vccz .LBB176_656
; %bb.655:
	global_load_ubyte v0, v[2:3], off
	s_mov_b32 s0, 0x7f800000
	s_brev_b32 s1, 1
	s_waitcnt vmcnt(0)
	v_lshlrev_b32_e32 v0, 24, v0
	v_and_b32_e32 v1, 0x7f000000, v0
	v_ffbh_u32_e32 v4, v1
	v_min_u32_e32 v4, 32, v4
	v_sub_u32_e64 v4, v4, 4 clamp
	v_lshlrev_b32_e32 v6, v4, v1
	v_lshlrev_b32_e32 v4, 23, v4
	v_lshrrev_b32_e32 v6, 4, v6
	v_add_u32_e32 v5, 0x1000000, v1
	v_sub_u32_e32 v4, v6, v4
	v_ashrrev_i32_e32 v5, 8, v5
	v_add_u32_e32 v4, 0x3c000000, v4
	v_and_or_b32 v4, v5, s0, v4
	v_cmp_ne_u32_e32 vcc, 0, v1
	s_nop 1
	v_cndmask_b32_e32 v1, 0, v4, vcc
	v_and_or_b32 v0, v0, s1, v1
	v_mov_b32_e32 v1, 0
.LBB176_656:
	s_mov_b64 s[0:1], 0
.LBB176_657:
	s_andn2_b64 vcc, exec, s[0:1]
	s_cbranch_vccnz .LBB176_659
; %bb.658:
	global_load_ubyte v0, v[2:3], off
	s_movk_i32 s0, 0x7f00
	s_brev_b32 s1, 16
	s_brev_b32 s2, 1
	s_waitcnt vmcnt(0)
	v_lshlrev_b16_e32 v1, 8, v0
	v_lshlrev_b32_e32 v0, 25, v0
	v_lshrrev_b32_e32 v4, 4, v0
	v_and_or_b32 v5, v1, s0, 0.5
	v_or_b32_e32 v4, 0x70000000, v4
	v_add_f32_e32 v5, -0.5, v5
	v_mul_f32_e32 v4, 0x7800000, v4
	v_cmp_gt_u32_e32 vcc, s1, v0
	v_bfe_i32 v1, v1, 0, 16
	s_nop 0
	v_cndmask_b32_e32 v0, v4, v5, vcc
	v_and_or_b32 v0, v1, s2, v0
	v_mov_b32_e32 v1, 0
.LBB176_659:
	s_mov_b64 s[2:3], 0
	s_mov_b64 s[0:1], -1
.LBB176_660:
	s_andn2_b64 vcc, exec, s[2:3]
	s_cbranch_vccnz .LBB176_671
; %bb.661:
	s_cmp_gt_i32 s34, 14
	s_cbranch_scc0 .LBB176_664
; %bb.662:
	s_cmp_eq_u32 s34, 15
	s_cbranch_scc0 .LBB176_665
; %bb.663:
	global_load_ushort v0, v[2:3], off
	v_mov_b32_e32 v1, 0
	s_mov_b64 s[0:1], -1
	s_mov_b64 s[28:29], 0
	s_waitcnt vmcnt(0)
	v_lshlrev_b32_e32 v0, 16, v0
	s_branch .LBB176_666
.LBB176_664:
	s_mov_b64 s[2:3], -1
                                        ; implicit-def: $vgpr0_vgpr1
	s_branch .LBB176_667
.LBB176_665:
	s_mov_b64 s[28:29], -1
                                        ; implicit-def: $vgpr0_vgpr1
.LBB176_666:
	s_mov_b64 s[2:3], 0
.LBB176_667:
	s_and_b64 vcc, exec, s[2:3]
	s_cbranch_vccz .LBB176_671
; %bb.668:
	s_cmp_eq_u32 s34, 11
	s_cbranch_scc0 .LBB176_670
; %bb.669:
	global_load_ubyte v0, v[2:3], off
	v_mov_b32_e32 v1, 0
	s_mov_b64 s[0:1], -1
	s_mov_b64 s[28:29], 0
	s_waitcnt vmcnt(0)
	v_cmp_ne_u16_e32 vcc, 0, v0
	s_nop 1
	v_cndmask_b32_e64 v0, 0, 1.0, vcc
	s_branch .LBB176_671
.LBB176_670:
	s_mov_b64 s[28:29], -1
                                        ; implicit-def: $vgpr0_vgpr1
.LBB176_671:
	s_mov_b64 s[2:3], 0
.LBB176_672:
	s_and_b64 vcc, exec, s[2:3]
	s_cbranch_vccz .LBB176_721
; %bb.673:
	s_cmp_lt_i32 s34, 5
	s_cbranch_scc1 .LBB176_678
; %bb.674:
	s_cmp_lt_i32 s34, 8
	s_cbranch_scc1 .LBB176_679
	;; [unrolled: 3-line block ×3, first 2 shown]
; %bb.676:
	s_cmp_gt_i32 s34, 9
	s_cbranch_scc0 .LBB176_681
; %bb.677:
	global_load_dwordx4 v[4:7], v[2:3], off
	s_mov_b64 s[0:1], 0
	s_waitcnt vmcnt(0)
	v_cvt_f32_f64_e32 v1, v[6:7]
	v_cvt_f32_f64_e32 v0, v[4:5]
	s_branch .LBB176_682
.LBB176_678:
	s_mov_b64 s[0:1], -1
                                        ; implicit-def: $vgpr0_vgpr1
	s_branch .LBB176_700
.LBB176_679:
	s_mov_b64 s[0:1], -1
                                        ; implicit-def: $vgpr0_vgpr1
	s_branch .LBB176_688
.LBB176_680:
	s_mov_b64 s[0:1], -1
                                        ; implicit-def: $vgpr0_vgpr1
	s_branch .LBB176_685
.LBB176_681:
	s_mov_b64 s[0:1], -1
                                        ; implicit-def: $vgpr0_vgpr1
.LBB176_682:
	s_andn2_b64 vcc, exec, s[0:1]
	s_cbranch_vccnz .LBB176_684
; %bb.683:
	global_load_dwordx2 v[0:1], v[2:3], off
.LBB176_684:
	s_mov_b64 s[0:1], 0
.LBB176_685:
	s_andn2_b64 vcc, exec, s[0:1]
	s_cbranch_vccnz .LBB176_687
; %bb.686:
	global_load_dword v0, v[2:3], off
	s_waitcnt vmcnt(0)
	v_cvt_f32_f16_sdwa v1, v0 dst_sel:DWORD dst_unused:UNUSED_PAD src0_sel:WORD_1
	v_cvt_f32_f16_e32 v0, v0
.LBB176_687:
	s_mov_b64 s[0:1], 0
.LBB176_688:
	s_andn2_b64 vcc, exec, s[0:1]
	s_cbranch_vccnz .LBB176_699
; %bb.689:
	s_cmp_lt_i32 s34, 6
	s_cbranch_scc1 .LBB176_692
; %bb.690:
	s_cmp_gt_i32 s34, 6
	s_cbranch_scc0 .LBB176_693
; %bb.691:
	global_load_dwordx2 v[4:5], v[2:3], off
	s_waitcnt vmcnt(1)
	v_mov_b32_e32 v1, 0
	s_mov_b64 s[0:1], 0
	s_waitcnt vmcnt(0)
	v_cvt_f32_f64_e32 v0, v[4:5]
	s_branch .LBB176_694
.LBB176_692:
	s_mov_b64 s[0:1], -1
                                        ; implicit-def: $vgpr0_vgpr1
	s_branch .LBB176_697
.LBB176_693:
	s_mov_b64 s[0:1], -1
                                        ; implicit-def: $vgpr0_vgpr1
.LBB176_694:
	s_andn2_b64 vcc, exec, s[0:1]
	s_cbranch_vccnz .LBB176_696
; %bb.695:
	global_load_dword v0, v[2:3], off
	s_waitcnt vmcnt(1)
	v_mov_b32_e32 v1, 0
.LBB176_696:
	s_mov_b64 s[0:1], 0
.LBB176_697:
	s_andn2_b64 vcc, exec, s[0:1]
	s_cbranch_vccnz .LBB176_699
; %bb.698:
	global_load_ushort v0, v[2:3], off
	s_waitcnt vmcnt(1)
	v_mov_b32_e32 v1, 0
	s_waitcnt vmcnt(0)
	v_cvt_f32_f16_e32 v0, v0
.LBB176_699:
	s_mov_b64 s[0:1], 0
.LBB176_700:
	s_andn2_b64 vcc, exec, s[0:1]
	s_cbranch_vccnz .LBB176_720
; %bb.701:
	s_cmp_lt_i32 s34, 2
	s_cbranch_scc1 .LBB176_705
; %bb.702:
	s_cmp_lt_i32 s34, 3
	s_cbranch_scc1 .LBB176_706
; %bb.703:
	s_cmp_gt_i32 s34, 3
	s_cbranch_scc0 .LBB176_707
; %bb.704:
	global_load_dwordx2 v[0:1], v[2:3], off
	s_mov_b64 s[0:1], 0
	s_waitcnt vmcnt(0)
	v_xor_b32_e32 v5, v0, v1
	v_ffbh_i32_e32 v4, v1
	v_ashrrev_i32_e32 v5, 31, v5
	v_add_u32_e32 v4, -1, v4
	v_add_u32_e32 v5, 32, v5
	v_min_u32_e32 v4, v4, v5
	v_lshlrev_b64 v[0:1], v4, v[0:1]
	v_min_u32_e32 v0, 1, v0
	v_or_b32_e32 v0, v1, v0
	v_cvt_f32_i32_e32 v0, v0
	v_sub_u32_e32 v4, 32, v4
	v_mov_b32_e32 v1, 0
	v_ldexp_f32 v0, v0, v4
	s_branch .LBB176_708
.LBB176_705:
	s_mov_b64 s[0:1], -1
                                        ; implicit-def: $vgpr0_vgpr1
	s_branch .LBB176_714
.LBB176_706:
	s_mov_b64 s[0:1], -1
                                        ; implicit-def: $vgpr0_vgpr1
	s_branch .LBB176_711
.LBB176_707:
	s_mov_b64 s[0:1], -1
                                        ; implicit-def: $vgpr0_vgpr1
.LBB176_708:
	s_andn2_b64 vcc, exec, s[0:1]
	s_cbranch_vccnz .LBB176_710
; %bb.709:
	global_load_dword v0, v[2:3], off
	s_waitcnt vmcnt(1)
	v_mov_b32_e32 v1, 0
	s_waitcnt vmcnt(0)
	v_cvt_f32_i32_e32 v0, v0
.LBB176_710:
	s_mov_b64 s[0:1], 0
.LBB176_711:
	s_andn2_b64 vcc, exec, s[0:1]
	s_cbranch_vccnz .LBB176_713
; %bb.712:
	global_load_sshort v0, v[2:3], off
	s_waitcnt vmcnt(1)
	v_mov_b32_e32 v1, 0
	s_waitcnt vmcnt(0)
	v_cvt_f32_i32_e32 v0, v0
.LBB176_713:
	s_mov_b64 s[0:1], 0
.LBB176_714:
	s_andn2_b64 vcc, exec, s[0:1]
	s_cbranch_vccnz .LBB176_720
; %bb.715:
	s_cmp_gt_i32 s34, 0
	s_cbranch_scc0 .LBB176_717
; %bb.716:
	global_load_sbyte v0, v[2:3], off
	s_waitcnt vmcnt(1)
	v_mov_b32_e32 v1, 0
	s_mov_b64 s[0:1], 0
	s_waitcnt vmcnt(0)
	v_cvt_f32_i32_e32 v0, v0
	s_branch .LBB176_718
.LBB176_717:
	s_mov_b64 s[0:1], -1
                                        ; implicit-def: $vgpr0_vgpr1
.LBB176_718:
	s_andn2_b64 vcc, exec, s[0:1]
	s_cbranch_vccnz .LBB176_720
; %bb.719:
	global_load_ubyte v0, v[2:3], off
	s_waitcnt vmcnt(1)
	v_mov_b32_e32 v1, 0
	s_waitcnt vmcnt(0)
	v_cvt_f32_ubyte0_e32 v0, v0
.LBB176_720:
	s_mov_b64 s[0:1], -1
.LBB176_721:
	s_andn2_b64 vcc, exec, s[0:1]
	s_cbranch_vccnz .LBB176_734
; %bb.722:
	s_waitcnt vmcnt(0)
	v_cmp_neq_f32_e32 vcc, 0, v0
	v_cmp_neq_f32_e64 s[0:1], 0, v1
	v_mov_b32_e32 v4, 0
	s_or_b64 s[0:1], vcc, s[0:1]
	s_and_saveexec_b64 s[30:31], s[0:1]
	s_cbranch_execz .LBB176_753
; %bb.723:
	v_mov_b32_e32 v4, 0x7f800000
	v_cmp_neq_f32_e64 s[0:1], |v1|, v4
	s_and_saveexec_b64 s[34:35], s[0:1]
	s_cbranch_execz .LBB176_752
; %bb.724:
	v_cmp_o_f32_e32 vcc, v0, v0
                                        ; implicit-def: $vgpr4
	s_and_saveexec_b64 s[0:1], vcc
	s_xor_b64 s[36:37], exec, s[0:1]
	s_cbranch_execz .LBB176_749
; %bb.725:
	s_mov_b32 s0, 0x7f800000
	v_cmp_neq_f32_e64 s[0:1], |v0|, s0
                                        ; implicit-def: $vgpr4
	s_and_saveexec_b64 s[2:3], s[0:1]
	s_xor_b64 s[38:39], exec, s[2:3]
	s_cbranch_execz .LBB176_742
; %bb.726:
	v_max_f32_e64 v2, |v1|, |v1|
	v_max_f32_e64 v3, |v0|, |v0|
	v_max_f32_e32 v2, v3, v2
	s_mov_b32 s0, 0x7ed413cb
	v_cmp_nle_f32_e64 s[0:1], s0, v2
                                        ; implicit-def: $sgpr40_sgpr41
	s_and_saveexec_b64 s[2:3], s[0:1]
	s_xor_b64 s[2:3], exec, s[2:3]
	s_cbranch_execz .LBB176_730
; %bb.727:
	s_mov_b32 s42, 0x1000000
	v_cmp_le_f32_e64 s[40:41], |v0|, s42
	v_cmp_le_f32_e64 s[42:43], |v1|, s42
	s_and_b64 s[46:47], s[40:41], s[42:43]
	s_mov_b64 s[40:41], 0
	s_and_saveexec_b64 s[42:43], s[46:47]
; %bb.728:
	s_mov_b64 s[40:41], exec
	v_pk_mul_f32 v[0:1], v[0:1], 4.0 op_sel_hi:[1,0]
; %bb.729:
	s_or_b64 exec, exec, s[42:43]
.LBB176_730:
	s_andn2_saveexec_b64 s[2:3], s[2:3]
; %bb.731:
	s_mov_b32 s42, 0x3e800000
	v_pk_mul_f32 v[0:1], v[0:1], s[42:43] op_sel_hi:[1,0]
	s_andn2_b64 s[40:41], s[40:41], exec
; %bb.732:
	s_or_b64 exec, exec, s[2:3]
	v_max_f32_e64 v2, |v1|, |v1|
	v_max_f32_e64 v3, |v0|, |v0|
	v_max_f32_e32 v4, v3, v2
	v_cvt_f64_f32_e32 v[2:3], v4
	v_frexp_exp_i32_f64_e32 v2, v[2:3]
	v_sub_u32_e32 v3, 0, v2
	v_ldexp_f32 v5, |v0|, v3
	v_ldexp_f32 v3, |v1|, v3
	v_mul_f32_e32 v3, v3, v3
	v_fmac_f32_e32 v3, v5, v5
	v_sqrt_f32_e32 v3, v3
	s_mov_b32 s2, 0x7f800000
	v_cmp_neq_f32_e64 s[2:3], s2, v4
	v_cmp_le_f32_e32 vcc, 0, v0
	v_ldexp_f32 v2, v3, v2
	v_mov_b32_e32 v3, 0x7f800000
	v_cndmask_b32_e64 v4, v3, v2, s[2:3]
                                        ; implicit-def: $vgpr2_vgpr3
	s_and_saveexec_b64 s[2:3], vcc
	s_xor_b64 s[42:43], exec, s[2:3]
	s_cbranch_execz .LBB176_735
; %bb.733:
	v_add_f32_e32 v0, v0, v4
	v_mul_f32_e32 v0, 0.5, v0
	s_mov_b32 s2, 0xf800000
	v_mul_f32_e32 v2, 0x4f800000, v0
	v_cmp_gt_f32_e32 vcc, s2, v0
	s_nop 1
	v_cndmask_b32_e32 v0, v0, v2, vcc
	v_sqrt_f32_e32 v2, v0
	s_nop 0
	v_add_u32_e32 v3, -1, v2
	v_fma_f32 v4, -v3, v2, v0
	v_cmp_ge_f32_e64 s[2:3], 0, v4
	v_add_u32_e32 v4, 1, v2
	s_nop 0
	v_cndmask_b32_e64 v3, v2, v3, s[2:3]
	v_fma_f32 v2, -v4, v2, v0
	v_cmp_lt_f32_e64 s[2:3], 0, v2
	s_nop 1
	v_cndmask_b32_e64 v2, v3, v4, s[2:3]
	v_mul_f32_e32 v3, 0x37800000, v2
	v_cndmask_b32_e32 v2, v2, v3, vcc
	v_mov_b32_e32 v3, 0x260
	v_cmp_class_f32_e32 vcc, v0, v3
	s_nop 1
	v_cndmask_b32_e32 v2, v2, v0, vcc
	v_add_f32_e32 v0, v2, v2
	v_div_scale_f32 v3, s[2:3], v0, v0, v1
	v_rcp_f32_e32 v4, v3
	s_nop 0
	v_fma_f32 v5, -v3, v4, 1.0
	v_fmac_f32_e32 v4, v5, v4
	v_div_scale_f32 v5, vcc, v1, v0, v1
	v_mul_f32_e32 v6, v5, v4
	v_fma_f32 v7, -v3, v6, v5
	v_fmac_f32_e32 v6, v7, v4
	v_fma_f32 v3, -v3, v6, v5
	v_div_fmas_f32 v3, v3, v4, v6
	v_div_fixup_f32 v3, v3, v0, v1
                                        ; implicit-def: $vgpr4
                                        ; implicit-def: $vgpr0_vgpr1
	s_andn2_saveexec_b64 s[42:43], s[42:43]
	s_cbranch_execz .LBB176_737
	s_branch .LBB176_736
.LBB176_734:
	s_mov_b64 s[30:31], 0
                                        ; implicit-def: $vgpr10
	s_mov_b64 s[0:1], s[22:23]
	s_branch .LBB176_884
.LBB176_735:
	s_andn2_saveexec_b64 s[42:43], s[42:43]
	s_cbranch_execz .LBB176_737
.LBB176_736:
	v_sub_f32_e32 v0, v4, v0
	v_mul_f32_e32 v0, 0.5, v0
	s_mov_b32 s2, 0xf800000
	v_mul_f32_e32 v2, 0x4f800000, v0
	v_cmp_gt_f32_e32 vcc, s2, v0
	s_nop 1
	v_cndmask_b32_e32 v0, v0, v2, vcc
	v_sqrt_f32_e32 v2, v0
	s_nop 0
	v_add_u32_e32 v3, -1, v2
	v_fma_f32 v4, -v3, v2, v0
	v_cmp_ge_f32_e64 s[2:3], 0, v4
	v_add_u32_e32 v4, 1, v2
	s_nop 0
	v_cndmask_b32_e64 v3, v2, v3, s[2:3]
	v_fma_f32 v2, -v4, v2, v0
	v_cmp_lt_f32_e64 s[2:3], 0, v2
	s_nop 1
	v_cndmask_b32_e64 v2, v3, v4, s[2:3]
	v_mul_f32_e32 v3, 0x37800000, v2
	v_cndmask_b32_e32 v2, v2, v3, vcc
	v_mov_b32_e32 v3, 0x260
	v_cmp_class_f32_e32 vcc, v0, v3
	v_and_b32_e32 v3, 0x7fffffff, v1
	s_nop 0
	v_cndmask_b32_e32 v0, v2, v0, vcc
	v_add_f32_e32 v2, v0, v0
	v_div_scale_f32 v4, s[2:3], v2, v2, v3
	v_rcp_f32_e32 v5, v4
	v_div_scale_f32 v3, vcc, v3, v2, v3
	s_brev_b32 s2, -2
	v_fma_f32 v6, -v4, v5, 1.0
	v_fmac_f32_e32 v5, v6, v5
	v_mul_f32_e32 v6, v3, v5
	v_fma_f32 v7, -v4, v6, v3
	v_fmac_f32_e32 v6, v7, v5
	v_fma_f32 v3, -v4, v6, v3
	v_div_fmas_f32 v3, v3, v5, v6
	v_div_fixup_f32 v2, v3, v2, |v1|
	v_bfi_b32 v3, s2, v0, v1
.LBB176_737:
	s_or_b64 exec, exec, s[42:43]
                                        ; implicit-def: $vgpr1
                                        ; implicit-def: $vgpr4
	s_and_saveexec_b64 s[2:3], s[0:1]
	s_xor_b64 s[0:1], exec, s[2:3]
	s_cbranch_execz .LBB176_739
; %bb.738:
	v_pk_mul_f32 v[0:1], v[2:3], 0.5 op_sel_hi:[1,0]
	s_nop 0
	v_cndmask_b32_e64 v4, v2, v0, s[40:41]
	v_cndmask_b32_e64 v1, v3, v1, s[40:41]
                                        ; implicit-def: $vgpr2_vgpr3
	s_andn2_saveexec_b64 s[0:1], s[0:1]
	s_cbranch_execnz .LBB176_740
	s_branch .LBB176_741
.LBB176_739:
	s_andn2_saveexec_b64 s[0:1], s[0:1]
.LBB176_740:
	v_pk_add_f32 v[0:1], v[2:3], v[2:3]
	s_nop 0
	v_mov_b32_e32 v4, v0
.LBB176_741:
	s_or_b64 exec, exec, s[0:1]
.LBB176_742:
	s_andn2_saveexec_b64 s[0:1], s[38:39]
	s_cbranch_execz .LBB176_748
; %bb.743:
	v_sub_f32_e32 v2, v1, v1
	v_cmp_lt_i32_e32 vcc, -1, v0
	s_brev_b32 s38, -2
	v_and_b32_e32 v4, 0x7fffffff, v2
	s_and_saveexec_b64 s[2:3], vcc
	s_xor_b64 s[2:3], exec, s[2:3]
; %bb.744:
	v_bfi_b32 v1, s38, v2, v1
	v_mov_b32_e32 v4, v0
; %bb.745:
	s_andn2_saveexec_b64 s[2:3], s[2:3]
; %bb.746:
	v_bfi_b32 v1, s38, v0, v1
; %bb.747:
	s_or_b64 exec, exec, s[2:3]
.LBB176_748:
	s_or_b64 exec, exec, s[0:1]
.LBB176_749:
	s_andn2_saveexec_b64 s[0:1], s[36:37]
	s_cbranch_execz .LBB176_751
; %bb.750:
	v_sub_f32_e32 v1, v1, v1
	v_div_scale_f32 v2, vcc, v1, v1, v1
	v_rcp_f32_e32 v3, v2
	s_nop 0
	v_fma_f32 v4, -v2, v3, 1.0
	v_fmac_f32_e32 v3, v4, v3
	v_mul_f32_e32 v4, v2, v3
	v_fma_f32 v5, -v2, v4, v2
	v_fmac_f32_e32 v4, v5, v3
	v_fma_f32 v2, -v2, v4, v2
	v_div_fmas_f32 v2, v2, v3, v4
	v_div_fixup_f32 v1, v2, v1, v1
	v_mov_b32_e32 v4, v0
.LBB176_751:
	s_or_b64 exec, exec, s[0:1]
.LBB176_752:
	s_or_b64 exec, exec, s[34:35]
.LBB176_753:
	s_or_b64 exec, exec, s[30:31]
	v_cmp_gt_f32_e32 vcc, 0, v1
                                        ; implicit-def: $vgpr2_vgpr3
	s_nop 1
	v_cndmask_b32_e64 v5, v1, -v1, vcc
	v_cmp_gt_f32_e32 vcc, 0, v4
	s_nop 1
	v_cndmask_b32_e64 v0, v4, -v4, vcc
	v_cmp_ge_f32_e32 vcc, v0, v5
	s_and_saveexec_b64 s[0:1], vcc
	s_xor_b64 s[2:3], exec, s[0:1]
	s_cbranch_execz .LBB176_759
; %bb.754:
	v_cmp_neq_f32_e32 vcc, 0, v4
	v_cmp_neq_f32_e64 s[0:1], 0, v1
	s_or_b64 s[0:1], vcc, s[0:1]
                                        ; implicit-def: $vgpr2_vgpr3
	s_and_saveexec_b64 s[30:31], s[0:1]
	s_xor_b64 s[0:1], exec, s[30:31]
	s_cbranch_execz .LBB176_756
; %bb.755:
	v_div_scale_f32 v0, s[30:31], v4, v4, v1
	v_rcp_f32_e32 v2, v0
	v_div_scale_f32 v3, vcc, v1, v4, v1
	v_fma_f32 v5, -v0, v2, 1.0
	v_fmac_f32_e32 v2, v5, v2
	v_mul_f32_e32 v5, v3, v2
	v_fma_f32 v6, -v0, v5, v3
	v_fmac_f32_e32 v5, v6, v2
	v_fma_f32 v0, -v0, v5, v3
	v_div_fmas_f32 v0, v0, v2, v5
	v_div_fixup_f32 v3, v0, v4, v1
	v_fmac_f32_e32 v4, v1, v3
	v_div_scale_f32 v0, s[30:31], v4, v4, 1.0
	v_rcp_f32_e32 v1, v0
	s_nop 0
	v_fma_f32 v2, -v0, v1, 1.0
	v_fmac_f32_e32 v1, v2, v1
	v_div_scale_f32 v2, vcc, 1.0, v4, 1.0
	v_mul_f32_e32 v5, v2, v1
	v_fma_f32 v6, -v0, v5, v2
	v_fmac_f32_e32 v5, v6, v1
	v_fma_f32 v0, -v0, v5, v2
	v_div_fmas_f32 v0, v0, v1, v5
	v_mul_f32_e32 v1, 0, v3
	v_div_fixup_f32 v0, v0, v4, 1.0
	v_add_f32_e32 v2, 1.0, v1
	v_sub_f32_e32 v3, 0, v3
	v_pk_mul_f32 v[2:3], v[2:3], v[0:1] op_sel_hi:[1,0]
                                        ; implicit-def: $vgpr5
                                        ; implicit-def: $vgpr0
.LBB176_756:
	s_andn2_saveexec_b64 s[0:1], s[0:1]
	s_cbranch_execz .LBB176_758
; %bb.757:
	v_div_scale_f32 v1, s[30:31], v5, v5, 0
	v_rcp_f32_e32 v2, v1
	v_div_scale_f32 v3, vcc, 0, v5, 0
	v_fma_f32 v4, -v1, v2, 1.0
	v_fmac_f32_e32 v2, v4, v2
	v_mul_f32_e32 v4, v3, v2
	v_fma_f32 v6, -v1, v4, v3
	v_fmac_f32_e32 v4, v6, v2
	v_div_scale_f32 v6, s[30:31], v0, v0, 1.0
	v_rcp_f32_e32 v7, v6
	v_fma_f32 v1, -v1, v4, v3
	v_div_fmas_f32 v1, v1, v2, v4
	v_div_fixup_f32 v3, v1, v5, 0
	v_fma_f32 v1, -v6, v7, 1.0
	v_fmac_f32_e32 v7, v1, v7
	v_div_scale_f32 v1, vcc, 1.0, v0, 1.0
	v_mul_f32_e32 v2, v1, v7
	v_fma_f32 v4, -v6, v2, v1
	v_fmac_f32_e32 v2, v4, v7
	v_fma_f32 v1, -v6, v2, v1
	v_div_fmas_f32 v1, v1, v7, v2
	v_div_fixup_f32 v2, v1, v0, 1.0
.LBB176_758:
	s_or_b64 exec, exec, s[0:1]
                                        ; implicit-def: $vgpr1
                                        ; implicit-def: $vgpr4
.LBB176_759:
	s_andn2_saveexec_b64 s[0:1], s[2:3]
	s_cbranch_execz .LBB176_761
; %bb.760:
	v_div_scale_f32 v0, s[2:3], v1, v1, v4
	v_rcp_f32_e32 v2, v0
	v_div_scale_f32 v3, vcc, v4, v1, v4
	v_fma_f32 v5, -v0, v2, 1.0
	v_fmac_f32_e32 v2, v5, v2
	v_mul_f32_e32 v5, v3, v2
	v_fma_f32 v6, -v0, v5, v3
	v_fmac_f32_e32 v5, v6, v2
	v_fma_f32 v0, -v0, v5, v3
	v_div_fmas_f32 v0, v0, v2, v5
	v_div_fixup_f32 v0, v0, v1, v4
	v_fmac_f32_e32 v1, v4, v0
	v_div_scale_f32 v2, s[2:3], v1, v1, 1.0
	v_rcp_f32_e32 v3, v2
	s_mov_b32 s2, 0
	s_mov_b32 s3, -1.0
	v_fma_f32 v4, -v2, v3, 1.0
	v_fmac_f32_e32 v3, v4, v3
	v_div_scale_f32 v4, vcc, 1.0, v1, 1.0
	v_mul_f32_e32 v5, v4, v3
	v_fma_f32 v6, -v2, v5, v4
	v_fmac_f32_e32 v5, v6, v3
	v_fma_f32 v2, -v2, v5, v4
	v_div_fmas_f32 v2, v2, v3, v5
	v_div_fixup_f32 v2, v2, v1, 1.0
	v_mul_f32_e32 v1, 0, v0
	v_pk_add_f32 v[0:1], v[0:1], s[2:3]
	s_nop 0
	v_pk_mul_f32 v[2:3], v[0:1], v[2:3] op_sel_hi:[1,0]
.LBB176_761:
	s_or_b64 exec, exec, s[0:1]
	v_mul_lo_u32 v0, v10, s8
	v_ashrrev_i32_e32 v1, 31, v0
	s_and_b32 s36, s33, 0xff
	s_cmp_lt_i32 s36, 11
	v_lshl_add_u64 v[0:1], s[4:5], 0, v[0:1]
	s_cbranch_scc1 .LBB176_768
; %bb.762:
	s_and_b32 s37, 0xffff, s36
	s_cmp_gt_i32 s37, 25
	s_cbranch_scc0 .LBB176_769
; %bb.763:
	s_cmp_gt_i32 s37, 28
	s_cbranch_scc0 .LBB176_770
; %bb.764:
	;; [unrolled: 3-line block ×4, first 2 shown]
	s_mov_b64 s[30:31], 0
	s_mov_b64 s[0:1], -1
	s_cmp_eq_u32 s37, 46
	s_mov_b64 s[2:3], 0
	s_cbranch_scc0 .LBB176_773
; %bb.767:
	s_movk_i32 s0, 0x7fff
	v_bfe_u32 v5, v3, 16, 1
	v_add3_u32 v5, v3, v5, s0
	v_bfe_u32 v4, v2, 16, 1
	v_and_b32_e32 v5, 0xffff0000, v5
	v_mov_b32_e32 v6, 0x7fc00000
	v_cmp_o_f32_e32 vcc, v3, v3
	v_add3_u32 v4, v2, v4, s0
	s_mov_b64 s[2:3], -1
	v_cndmask_b32_e32 v5, v6, v5, vcc
	v_cmp_o_f32_e32 vcc, v2, v2
	v_mov_b32_e32 v6, 0x7fc0
	s_mov_b64 s[0:1], 0
	v_cndmask_b32_sdwa v4, v6, v4, vcc dst_sel:DWORD dst_unused:UNUSED_PAD src0_sel:DWORD src1_sel:WORD_1
	v_or_b32_e32 v4, v5, v4
	global_store_dword v[0:1], v4, off
	s_branch .LBB176_773
.LBB176_768:
	s_mov_b64 s[30:31], -1
	s_mov_b64 s[2:3], 0
	s_mov_b64 s[0:1], s[22:23]
	s_branch .LBB176_842
.LBB176_769:
	s_mov_b64 s[30:31], -1
	s_mov_b64 s[2:3], 0
	s_mov_b64 s[0:1], s[22:23]
	s_branch .LBB176_800
.LBB176_770:
	s_mov_b64 s[30:31], -1
	s_mov_b64 s[2:3], 0
	s_mov_b64 s[0:1], s[22:23]
	s_branch .LBB176_783
.LBB176_771:
	s_mov_b64 s[30:31], -1
	s_mov_b64 s[2:3], 0
	s_mov_b64 s[0:1], s[22:23]
	s_branch .LBB176_779
.LBB176_772:
	s_mov_b64 s[30:31], -1
	s_mov_b64 s[2:3], 0
	s_mov_b64 s[0:1], s[22:23]
.LBB176_773:
	s_and_b64 vcc, exec, s[30:31]
	s_cbranch_vccz .LBB176_778
; %bb.774:
	s_cmp_eq_u32 s37, 44
	s_mov_b64 s[0:1], -1
	s_cbranch_scc0 .LBB176_778
; %bb.775:
	v_bfe_u32 v4, v2, 23, 8
	s_movk_i32 s0, 0xff
	v_cmp_ne_u32_e32 vcc, s0, v4
	v_mov_b32_e32 v5, 0xff
	s_and_saveexec_b64 s[2:3], vcc
; %bb.776:
	s_mov_b32 s0, 0x3fffff
	v_and_b32_e32 v6, 0x400000, v2
	v_and_or_b32 v4, v2, s0, v4
	v_cmp_ne_u32_e32 vcc, 0, v6
	v_cmp_ne_u32_e64 s[0:1], 0, v4
	s_and_b64 s[0:1], vcc, s[0:1]
	v_lshrrev_b32_e32 v5, 23, v2
	v_cndmask_b32_e64 v4, 0, 1, s[0:1]
	v_add_u32_e32 v5, v5, v4
; %bb.777:
	s_or_b64 exec, exec, s[2:3]
	s_mov_b64 s[2:3], -1
	s_mov_b64 s[0:1], 0
	global_store_byte v[0:1], v5, off
.LBB176_778:
	s_mov_b64 s[30:31], 0
.LBB176_779:
	s_and_b64 vcc, exec, s[30:31]
	s_cbranch_vccz .LBB176_782
; %bb.780:
	s_cmp_eq_u32 s37, 29
	s_mov_b64 s[0:1], -1
	s_cbranch_scc0 .LBB176_782
; %bb.781:
	v_trunc_f32_e32 v4, v2
	v_mul_f32_e32 v5, 0x2f800000, v4
	v_floor_f32_e32 v6, v5
	v_fmamk_f32 v4, v6, 0xcf800000, v4
	v_cvt_u32_f32_e32 v5, v6
	v_cvt_u32_f32_e32 v4, v4
	s_mov_b64 s[2:3], -1
	s_mov_b64 s[0:1], 0
	s_mov_b64 s[30:31], 0
	global_store_dwordx2 v[0:1], v[4:5], off
	s_branch .LBB176_783
.LBB176_782:
	s_mov_b64 s[30:31], 0
.LBB176_783:
	s_and_b64 vcc, exec, s[30:31]
	s_cbranch_vccz .LBB176_799
; %bb.784:
	s_cmp_lt_i32 s37, 27
	s_mov_b64 s[2:3], -1
	s_cbranch_scc1 .LBB176_790
; %bb.785:
	v_cvt_u32_f32_e32 v4, v2
	s_cmp_gt_i32 s37, 27
	s_cbranch_scc0 .LBB176_787
; %bb.786:
	s_mov_b64 s[2:3], 0
	global_store_dword v[0:1], v4, off
.LBB176_787:
	s_andn2_b64 vcc, exec, s[2:3]
	s_cbranch_vccnz .LBB176_789
; %bb.788:
	global_store_short v[0:1], v4, off
.LBB176_789:
	s_mov_b64 s[2:3], 0
.LBB176_790:
	s_andn2_b64 vcc, exec, s[2:3]
	s_cbranch_vccnz .LBB176_798
; %bb.791:
	v_and_b32_e32 v4, 0x7fffffff, v2
	s_mov_b32 s2, 0x43800000
	v_cmp_gt_u32_e32 vcc, s2, v4
	v_mov_b32_e32 v5, 0x80
	s_and_saveexec_b64 s[2:3], vcc
	s_cbranch_execz .LBB176_797
; %bb.792:
	s_mov_b32 s30, 0x3bffffff
	v_cmp_lt_u32_e32 vcc, s30, v4
	s_mov_b64 s[30:31], 0
                                        ; implicit-def: $vgpr4
	s_and_saveexec_b64 s[34:35], vcc
	s_xor_b64 s[34:35], exec, s[34:35]
	s_cbranch_execz .LBB176_898
; %bb.793:
	v_bfe_u32 v4, v2, 20, 1
	s_mov_b32 s38, 0x487ffff
	v_add3_u32 v4, v2, v4, s38
	s_mov_b64 s[30:31], exec
	v_lshrrev_b32_e32 v4, 20, v4
	s_andn2_saveexec_b64 s[34:35], s[34:35]
	s_cbranch_execnz .LBB176_899
.LBB176_794:
	s_or_b64 exec, exec, s[34:35]
	v_mov_b32_e32 v5, 0
	s_and_saveexec_b64 s[34:35], s[30:31]
.LBB176_795:
	v_lshrrev_b32_e32 v5, 24, v2
	s_movk_i32 s30, 0x80
	v_and_or_b32 v5, v5, s30, v4
.LBB176_796:
	s_or_b64 exec, exec, s[34:35]
.LBB176_797:
	s_or_b64 exec, exec, s[2:3]
	global_store_byte v[0:1], v5, off
.LBB176_798:
	s_mov_b64 s[2:3], -1
.LBB176_799:
	s_mov_b64 s[30:31], 0
.LBB176_800:
	s_and_b64 vcc, exec, s[30:31]
	s_cbranch_vccz .LBB176_841
; %bb.801:
	s_cmp_gt_i32 s37, 22
	s_mov_b64 s[30:31], -1
	s_cbranch_scc0 .LBB176_833
; %bb.802:
	s_cmp_lt_i32 s37, 24
	s_mov_b64 s[2:3], -1
	s_cbranch_scc1 .LBB176_822
; %bb.803:
	s_cmp_gt_i32 s37, 24
	s_cbranch_scc0 .LBB176_811
; %bb.804:
	v_and_b32_e32 v4, 0x7fffffff, v2
	s_mov_b32 s2, 0x47800000
	v_cmp_gt_u32_e32 vcc, s2, v4
	v_mov_b32_e32 v5, 0x80
	s_and_saveexec_b64 s[2:3], vcc
	s_cbranch_execz .LBB176_810
; %bb.805:
	s_mov_b32 s30, 0x37ffffff
	v_cmp_lt_u32_e32 vcc, s30, v4
	s_mov_b64 s[30:31], 0
                                        ; implicit-def: $vgpr4
	s_and_saveexec_b64 s[34:35], vcc
	s_xor_b64 s[34:35], exec, s[34:35]
	s_cbranch_execz .LBB176_901
; %bb.806:
	v_bfe_u32 v4, v2, 21, 1
	s_mov_b32 s38, 0x88fffff
	v_add3_u32 v4, v2, v4, s38
	s_mov_b64 s[30:31], exec
	v_lshrrev_b32_e32 v4, 21, v4
	s_andn2_saveexec_b64 s[34:35], s[34:35]
	s_cbranch_execnz .LBB176_902
.LBB176_807:
	s_or_b64 exec, exec, s[34:35]
	v_mov_b32_e32 v5, 0
	s_and_saveexec_b64 s[34:35], s[30:31]
.LBB176_808:
	v_lshrrev_b32_e32 v5, 24, v2
	s_movk_i32 s30, 0x80
	v_and_or_b32 v5, v5, s30, v4
.LBB176_809:
	s_or_b64 exec, exec, s[34:35]
.LBB176_810:
	s_or_b64 exec, exec, s[2:3]
	s_mov_b64 s[2:3], 0
	global_store_byte v[0:1], v5, off
.LBB176_811:
	s_and_b64 vcc, exec, s[2:3]
	s_cbranch_vccz .LBB176_821
; %bb.812:
	v_and_b32_e32 v5, 0x7fffffff, v2
	s_mov_b32 s2, 0x43f00000
	v_cmp_gt_u32_e32 vcc, s2, v5
                                        ; implicit-def: $vgpr4
	s_and_saveexec_b64 s[2:3], vcc
	s_xor_b64 s[2:3], exec, s[2:3]
	s_cbranch_execz .LBB176_818
; %bb.813:
	s_mov_b32 s30, 0x3c7fffff
	v_cmp_lt_u32_e32 vcc, s30, v5
                                        ; implicit-def: $vgpr4
	s_and_saveexec_b64 s[30:31], vcc
	s_xor_b64 s[30:31], exec, s[30:31]
; %bb.814:
	v_bfe_u32 v4, v2, 20, 1
	s_mov_b32 s34, 0x407ffff
	v_add3_u32 v4, v2, v4, s34
	v_lshrrev_b32_e32 v5, 20, v4
	v_and_b32_e32 v4, 0xff00000, v4
	s_mov_b32 s34, 0x7f00000
	v_mov_b32_e32 v6, 0x7e
	v_cmp_ne_u32_e32 vcc, s34, v4
	s_nop 1
	v_cndmask_b32_e32 v4, v6, v5, vcc
; %bb.815:
	s_andn2_saveexec_b64 s[30:31], s[30:31]
; %bb.816:
	s_mov_b32 s34, 0x46800000
	v_add_f32_e64 v4, |v2|, s34
; %bb.817:
	s_or_b64 exec, exec, s[30:31]
                                        ; implicit-def: $vgpr5
.LBB176_818:
	s_andn2_saveexec_b64 s[2:3], s[2:3]
; %bb.819:
	s_mov_b32 s30, 0x7f800000
	v_mov_b32_e32 v4, 0x7e
	v_mov_b32_e32 v6, 0x7f
	v_cmp_lt_u32_e32 vcc, s30, v5
	s_nop 1
	v_cndmask_b32_e32 v4, v4, v6, vcc
; %bb.820:
	s_or_b64 exec, exec, s[2:3]
	v_lshrrev_b32_e32 v5, 24, v2
	s_movk_i32 s2, 0x80
	v_and_or_b32 v4, v5, s2, v4
	global_store_byte v[0:1], v4, off
.LBB176_821:
	s_mov_b64 s[2:3], 0
.LBB176_822:
	s_andn2_b64 vcc, exec, s[2:3]
	s_cbranch_vccnz .LBB176_832
; %bb.823:
	v_and_b32_e32 v5, 0x7fffffff, v2
	s_mov_b32 s2, 0x47800000
	v_cmp_gt_u32_e32 vcc, s2, v5
                                        ; implicit-def: $vgpr4
	s_and_saveexec_b64 s[2:3], vcc
	s_xor_b64 s[2:3], exec, s[2:3]
	s_cbranch_execz .LBB176_829
; %bb.824:
	s_mov_b32 s30, 0x387fffff
	v_cmp_lt_u32_e32 vcc, s30, v5
                                        ; implicit-def: $vgpr4
	s_and_saveexec_b64 s[30:31], vcc
	s_xor_b64 s[30:31], exec, s[30:31]
; %bb.825:
	v_bfe_u32 v4, v2, 21, 1
	s_mov_b32 s34, 0x80fffff
	v_add3_u32 v4, v2, v4, s34
	v_lshrrev_b32_e32 v4, 21, v4
; %bb.826:
	s_andn2_saveexec_b64 s[30:31], s[30:31]
; %bb.827:
	s_mov_b32 s34, 0x43000000
	v_add_f32_e64 v4, |v2|, s34
; %bb.828:
	s_or_b64 exec, exec, s[30:31]
                                        ; implicit-def: $vgpr5
.LBB176_829:
	s_andn2_saveexec_b64 s[2:3], s[2:3]
; %bb.830:
	s_mov_b32 s30, 0x7f800000
	v_mov_b32_e32 v4, 0x7c
	v_mov_b32_e32 v6, 0x7f
	v_cmp_lt_u32_e32 vcc, s30, v5
	s_nop 1
	v_cndmask_b32_e32 v4, v4, v6, vcc
; %bb.831:
	s_or_b64 exec, exec, s[2:3]
	v_lshrrev_b32_e32 v5, 24, v2
	s_movk_i32 s2, 0x80
	v_and_or_b32 v4, v5, s2, v4
	global_store_byte v[0:1], v4, off
.LBB176_832:
	s_mov_b64 s[30:31], 0
	s_mov_b64 s[2:3], -1
.LBB176_833:
	s_andn2_b64 vcc, exec, s[30:31]
	s_cbranch_vccnz .LBB176_841
; %bb.834:
	s_cmp_gt_i32 s37, 14
	s_mov_b64 s[30:31], -1
	s_cbranch_scc0 .LBB176_838
; %bb.835:
	s_cmp_eq_u32 s37, 15
	s_mov_b64 s[0:1], -1
	s_cbranch_scc0 .LBB176_837
; %bb.836:
	v_bfe_u32 v4, v2, 16, 1
	s_movk_i32 s0, 0x7fff
	v_add3_u32 v4, v2, v4, s0
	v_cmp_o_f32_e32 vcc, v2, v2
	v_mov_b32_e32 v5, 0x7fc0
	s_mov_b64 s[2:3], -1
	v_cndmask_b32_sdwa v4, v5, v4, vcc dst_sel:DWORD dst_unused:UNUSED_PAD src0_sel:DWORD src1_sel:WORD_1
	global_store_short v[0:1], v4, off
	s_mov_b64 s[0:1], 0
.LBB176_837:
	s_mov_b64 s[30:31], 0
.LBB176_838:
	s_and_b64 vcc, exec, s[30:31]
	s_cbranch_vccz .LBB176_841
; %bb.839:
	s_cmp_eq_u32 s37, 11
	s_mov_b64 s[0:1], -1
	s_cbranch_scc0 .LBB176_841
; %bb.840:
	v_cmp_neq_f32_e32 vcc, 0, v2
	v_cmp_neq_f32_e64 s[0:1], 0, v3
	s_or_b64 s[0:1], vcc, s[0:1]
	s_mov_b64 s[2:3], -1
	v_cndmask_b32_e64 v4, 0, 1, s[0:1]
	s_mov_b64 s[0:1], 0
	global_store_byte v[0:1], v4, off
.LBB176_841:
	s_mov_b64 s[30:31], 0
.LBB176_842:
	s_and_b64 vcc, exec, s[30:31]
	s_cbranch_vccz .LBB176_881
; %bb.843:
	s_and_b32 s30, 0xffff, s36
	s_cmp_lt_i32 s30, 5
	s_mov_b64 s[2:3], -1
	s_cbranch_scc1 .LBB176_864
; %bb.844:
	s_cmp_lt_i32 s30, 8
	s_cbranch_scc1 .LBB176_854
; %bb.845:
	s_cmp_lt_i32 s30, 9
	s_cbranch_scc1 .LBB176_851
; %bb.846:
	s_cmp_gt_i32 s30, 9
	s_cbranch_scc0 .LBB176_848
; %bb.847:
	v_cvt_f64_f32_e32 v[4:5], v2
	v_cvt_f64_f32_e32 v[6:7], v3
	s_mov_b64 s[2:3], 0
	global_store_dwordx4 v[0:1], v[4:7], off
.LBB176_848:
	s_andn2_b64 vcc, exec, s[2:3]
	s_cbranch_vccnz .LBB176_850
; %bb.849:
	global_store_dwordx2 v[0:1], v[2:3], off
.LBB176_850:
	s_mov_b64 s[2:3], 0
.LBB176_851:
	s_andn2_b64 vcc, exec, s[2:3]
	s_cbranch_vccnz .LBB176_853
; %bb.852:
	v_cvt_f16_f32_e32 v4, v2
	v_cvt_f16_f32_sdwa v3, v3 dst_sel:WORD_1 dst_unused:UNUSED_PAD src0_sel:DWORD
	s_nop 0
	v_or_b32_e32 v3, v3, v4
	global_store_dword v[0:1], v3, off
.LBB176_853:
	s_mov_b64 s[2:3], 0
.LBB176_854:
	s_andn2_b64 vcc, exec, s[2:3]
	s_cbranch_vccnz .LBB176_863
; %bb.855:
	s_cmp_lt_i32 s30, 6
	s_mov_b64 s[2:3], -1
	s_cbranch_scc1 .LBB176_861
; %bb.856:
	s_cmp_gt_i32 s30, 6
	s_cbranch_scc0 .LBB176_858
; %bb.857:
	v_cvt_f64_f32_e32 v[4:5], v2
	s_mov_b64 s[2:3], 0
	global_store_dwordx2 v[0:1], v[4:5], off
.LBB176_858:
	s_andn2_b64 vcc, exec, s[2:3]
	s_cbranch_vccnz .LBB176_860
; %bb.859:
	global_store_dword v[0:1], v2, off
.LBB176_860:
	s_mov_b64 s[2:3], 0
.LBB176_861:
	s_andn2_b64 vcc, exec, s[2:3]
	s_cbranch_vccnz .LBB176_863
; %bb.862:
	v_cvt_f16_f32_e32 v3, v2
	global_store_short v[0:1], v3, off
.LBB176_863:
	s_mov_b64 s[2:3], 0
.LBB176_864:
	s_andn2_b64 vcc, exec, s[2:3]
	s_cbranch_vccnz .LBB176_880
; %bb.865:
	s_cmp_lt_i32 s30, 2
	s_mov_b64 s[2:3], -1
	s_cbranch_scc1 .LBB176_875
; %bb.866:
	s_cmp_lt_i32 s30, 3
	s_cbranch_scc1 .LBB176_872
; %bb.867:
	s_cmp_gt_i32 s30, 3
	s_cbranch_scc0 .LBB176_869
; %bb.868:
	v_trunc_f32_e32 v3, v2
	s_mov_b32 s2, 0x2f800000
	v_mul_f32_e64 v4, |v3|, s2
	v_floor_f32_e32 v4, v4
	s_mov_b32 s2, 0xcf800000
	v_cvt_u32_f32_e32 v5, v4
	v_fma_f32 v4, v4, s2, |v3|
	v_cvt_u32_f32_e32 v4, v4
	v_ashrrev_i32_e32 v3, 31, v3
	v_xor_b32_e32 v5, v5, v3
	s_mov_b64 s[2:3], 0
	v_xor_b32_e32 v4, v4, v3
	v_sub_co_u32_e32 v4, vcc, v4, v3
	s_nop 1
	v_subb_co_u32_e32 v5, vcc, v5, v3, vcc
	global_store_dwordx2 v[0:1], v[4:5], off
.LBB176_869:
	s_andn2_b64 vcc, exec, s[2:3]
	s_cbranch_vccnz .LBB176_871
; %bb.870:
	v_cvt_i32_f32_e32 v3, v2
	global_store_dword v[0:1], v3, off
.LBB176_871:
	s_mov_b64 s[2:3], 0
.LBB176_872:
	s_andn2_b64 vcc, exec, s[2:3]
	s_cbranch_vccnz .LBB176_874
; %bb.873:
	v_cvt_i32_f32_e32 v3, v2
	global_store_short v[0:1], v3, off
.LBB176_874:
	s_mov_b64 s[2:3], 0
.LBB176_875:
	s_andn2_b64 vcc, exec, s[2:3]
	s_cbranch_vccnz .LBB176_880
; %bb.876:
	s_cmp_gt_i32 s30, 0
	s_mov_b64 s[2:3], -1
	s_cbranch_scc0 .LBB176_878
; %bb.877:
	v_cvt_i32_f32_e32 v3, v2
	s_mov_b64 s[2:3], 0
	global_store_byte v[0:1], v3, off
.LBB176_878:
	s_andn2_b64 vcc, exec, s[2:3]
	s_cbranch_vccnz .LBB176_880
; %bb.879:
	v_trunc_f32_e32 v2, v2
	s_mov_b32 s2, 0x2f800000
	v_mul_f32_e64 v3, |v2|, s2
	v_floor_f32_e32 v3, v3
	s_mov_b32 s2, 0xcf800000
	v_fma_f32 v3, v3, s2, |v2|
	v_cvt_u32_f32_e32 v3, v3
	v_ashrrev_i32_e32 v2, 31, v2
	v_xor_b32_e32 v3, v3, v2
	v_sub_u32_e32 v2, v3, v2
	global_store_byte v[0:1], v2, off
.LBB176_880:
	s_mov_b64 s[2:3], -1
.LBB176_881:
	s_andn2_b64 vcc, exec, s[2:3]
	s_cbranch_vccnz .LBB176_883
; %bb.882:
	v_add_u32_e32 v10, 0x80, v10
	s_mov_b64 s[30:31], -1
	s_branch .LBB176_884
.LBB176_883:
	s_mov_b64 s[30:31], 0
                                        ; implicit-def: $vgpr10
.LBB176_884:
	s_andn2_b64 s[2:3], s[22:23], exec
	s_and_b64 s[0:1], s[0:1], exec
	s_or_b64 s[2:3], s[2:3], s[0:1]
	s_andn2_b64 s[0:1], s[20:21], exec
	s_and_b64 s[28:29], s[28:29], exec
	s_or_b64 s[0:1], s[0:1], s[28:29]
	s_orn2_b64 s[34:35], s[30:31], exec
.LBB176_885:
	s_or_b64 exec, exec, s[26:27]
	s_mov_b64 s[30:31], 0
	s_mov_b64 s[36:37], 0
	;; [unrolled: 1-line block ×3, first 2 shown]
                                        ; implicit-def: $vgpr2_vgpr3
                                        ; implicit-def: $vgpr0_vgpr1
	s_and_saveexec_b64 s[26:27], s[34:35]
	s_cbranch_execz .LBB176_970
; %bb.886:
	v_cmp_gt_i32_e32 vcc, s45, v10
	s_mov_b64 s[34:35], 0
	s_mov_b64 s[38:39], s[0:1]
	;; [unrolled: 1-line block ×3, first 2 shown]
                                        ; implicit-def: $vgpr2_vgpr3
                                        ; implicit-def: $vgpr0_vgpr1
	s_and_saveexec_b64 s[28:29], vcc
	s_cbranch_execz .LBB176_969
; %bb.887:
	s_waitcnt vmcnt(0)
	v_mul_lo_u32 v0, v10, s9
	v_ashrrev_i32_e32 v1, 31, v0
	s_and_b32 s42, 0xffff, s44
	s_cmp_lt_i32 s42, 11
	v_lshl_add_u64 v[2:3], s[6:7], 0, v[0:1]
	s_cbranch_scc1 .LBB176_894
; %bb.888:
	s_cmp_gt_i32 s42, 25
	s_cbranch_scc0 .LBB176_895
; %bb.889:
	s_cmp_gt_i32 s42, 28
	s_cbranch_scc0 .LBB176_896
	;; [unrolled: 3-line block ×4, first 2 shown]
; %bb.892:
	s_cmp_eq_u32 s42, 46
	s_mov_b64 s[38:39], 0
	s_cbranch_scc0 .LBB176_903
; %bb.893:
	global_load_dword v0, v[2:3], off
	s_mov_b64 s[36:37], -1
	s_waitcnt vmcnt(0)
	v_and_b32_e32 v1, 0xffff0000, v0
	v_lshlrev_b32_e32 v0, 16, v0
	s_branch .LBB176_905
.LBB176_894:
	s_mov_b64 s[38:39], -1
                                        ; implicit-def: $vgpr0_vgpr1
	s_mov_b64 s[30:31], s[0:1]
	s_branch .LBB176_968
.LBB176_895:
	s_mov_b64 s[38:39], -1
	s_mov_b64 s[30:31], s[0:1]
                                        ; implicit-def: $vgpr0_vgpr1
	s_branch .LBB176_936
.LBB176_896:
	s_mov_b64 s[38:39], -1
	s_mov_b64 s[30:31], s[0:1]
                                        ; implicit-def: $vgpr0_vgpr1
	s_branch .LBB176_915
.LBB176_897:
	s_mov_b64 s[38:39], -1
	s_mov_b64 s[30:31], s[0:1]
                                        ; implicit-def: $vgpr0_vgpr1
	s_branch .LBB176_910
.LBB176_898:
	s_andn2_saveexec_b64 s[34:35], s[34:35]
	s_cbranch_execz .LBB176_794
.LBB176_899:
	s_mov_b32 s38, 0x46000000
	v_add_f32_e64 v4, |v2|, s38
	v_and_b32_e32 v4, 0xff, v4
	v_cmp_ne_u32_e32 vcc, 0, v4
	s_andn2_b64 s[30:31], s[30:31], exec
	s_and_b64 s[38:39], vcc, exec
	s_or_b64 s[30:31], s[30:31], s[38:39]
	s_or_b64 exec, exec, s[34:35]
	v_mov_b32_e32 v5, 0
	s_and_saveexec_b64 s[34:35], s[30:31]
	s_cbranch_execnz .LBB176_795
	s_branch .LBB176_796
.LBB176_900:
	s_mov_b64 s[38:39], -1
	s_mov_b64 s[30:31], s[0:1]
	s_branch .LBB176_904
.LBB176_901:
	s_andn2_saveexec_b64 s[34:35], s[34:35]
	s_cbranch_execz .LBB176_807
.LBB176_902:
	s_mov_b32 s38, 0x42800000
	v_add_f32_e64 v4, |v2|, s38
	v_and_b32_e32 v4, 0xff, v4
	v_cmp_ne_u32_e32 vcc, 0, v4
	s_andn2_b64 s[30:31], s[30:31], exec
	s_and_b64 s[38:39], vcc, exec
	s_or_b64 s[30:31], s[30:31], s[38:39]
	s_or_b64 exec, exec, s[34:35]
	v_mov_b32_e32 v5, 0
	s_and_saveexec_b64 s[34:35], s[30:31]
	s_cbranch_execnz .LBB176_808
	s_branch .LBB176_809
.LBB176_903:
	s_mov_b64 s[30:31], -1
.LBB176_904:
                                        ; implicit-def: $vgpr0_vgpr1
.LBB176_905:
	s_and_b64 vcc, exec, s[38:39]
	s_cbranch_vccz .LBB176_909
; %bb.906:
	s_cmp_eq_u32 s42, 44
	s_cbranch_scc0 .LBB176_908
; %bb.907:
	global_load_ubyte v0, v[2:3], off
	s_movk_i32 s36, 0xff
	v_mov_b32_e32 v4, 0x7f800001
	v_mov_b32_e32 v5, 0x400000
	;; [unrolled: 1-line block ×3, first 2 shown]
	s_mov_b64 s[30:31], 0
	s_waitcnt vmcnt(0)
	v_lshlrev_b32_e32 v6, 23, v0
	v_cmp_ne_u32_e32 vcc, s36, v0
	s_mov_b64 s[36:37], -1
	s_nop 0
	v_cndmask_b32_e32 v4, v4, v6, vcc
	v_cmp_ne_u32_e32 vcc, 0, v0
	s_nop 1
	v_cndmask_b32_e32 v0, v5, v4, vcc
	s_branch .LBB176_909
.LBB176_908:
	s_mov_b64 s[30:31], -1
                                        ; implicit-def: $vgpr0_vgpr1
.LBB176_909:
	s_mov_b64 s[38:39], 0
.LBB176_910:
	s_and_b64 vcc, exec, s[38:39]
	s_cbranch_vccz .LBB176_914
; %bb.911:
	s_cmp_eq_u32 s42, 29
	s_cbranch_scc0 .LBB176_913
; %bb.912:
	global_load_dwordx2 v[0:1], v[2:3], off
	s_mov_b64 s[30:31], 0
	s_mov_b64 s[36:37], -1
	s_mov_b64 s[38:39], 0
	s_waitcnt vmcnt(0)
	v_ffbh_u32_e32 v4, v1
	v_min_u32_e32 v4, 32, v4
	v_lshlrev_b64 v[0:1], v4, v[0:1]
	v_min_u32_e32 v0, 1, v0
	v_or_b32_e32 v0, v1, v0
	v_cvt_f32_u32_e32 v0, v0
	v_sub_u32_e32 v4, 32, v4
	v_mov_b32_e32 v1, 0
	v_ldexp_f32 v0, v0, v4
	s_branch .LBB176_915
.LBB176_913:
	s_mov_b64 s[30:31], -1
                                        ; implicit-def: $vgpr0_vgpr1
.LBB176_914:
	s_mov_b64 s[38:39], 0
.LBB176_915:
	s_and_b64 vcc, exec, s[38:39]
	s_cbranch_vccz .LBB176_935
; %bb.916:
	s_cmp_lt_i32 s42, 27
	s_cbranch_scc1 .LBB176_919
; %bb.917:
	s_cmp_gt_i32 s42, 27
	s_cbranch_scc0 .LBB176_920
; %bb.918:
	global_load_dword v0, v[2:3], off
	v_mov_b32_e32 v1, 0
	s_mov_b64 s[36:37], 0
	s_waitcnt vmcnt(0)
	v_cvt_f32_u32_e32 v0, v0
	s_branch .LBB176_921
.LBB176_919:
	s_mov_b64 s[36:37], -1
                                        ; implicit-def: $vgpr0_vgpr1
	s_branch .LBB176_924
.LBB176_920:
	s_mov_b64 s[36:37], -1
                                        ; implicit-def: $vgpr0_vgpr1
.LBB176_921:
	s_andn2_b64 vcc, exec, s[36:37]
	s_cbranch_vccnz .LBB176_923
; %bb.922:
	global_load_ushort v0, v[2:3], off
	v_mov_b32_e32 v1, 0
	s_waitcnt vmcnt(0)
	v_cvt_f32_u32_e32 v0, v0
.LBB176_923:
	s_mov_b64 s[36:37], 0
.LBB176_924:
	s_andn2_b64 vcc, exec, s[36:37]
	s_cbranch_vccnz .LBB176_934
; %bb.925:
	global_load_ubyte v4, v[2:3], off
	s_movk_i32 s36, 0x7f
	s_waitcnt vmcnt(0)
	v_cmp_lt_i16_e32 vcc, s36, v4
	s_mov_b64 s[36:37], 0
	s_and_saveexec_b64 s[38:39], vcc
	s_xor_b64 s[38:39], exec, s[38:39]
	s_cbranch_execz .LBB176_929
; %bb.926:
	s_movk_i32 s36, 0x80
	v_cmp_eq_u16_e32 vcc, s36, v4
	s_mov_b64 s[36:37], -1
	s_and_saveexec_b64 s[40:41], vcc
; %bb.927:
	s_xor_b64 s[36:37], exec, -1
; %bb.928:
	s_or_b64 exec, exec, s[40:41]
	s_and_b64 s[36:37], s[36:37], exec
.LBB176_929:
	s_or_saveexec_b64 s[38:39], s[38:39]
	v_mov_b32_e32 v0, 0x7f800001
	v_mov_b32_e32 v1, 0
	s_xor_b64 exec, exec, s[38:39]
; %bb.930:
	v_cmp_ne_u16_e32 vcc, 0, v4
	s_andn2_b64 s[36:37], s[36:37], exec
	s_and_b64 s[40:41], vcc, exec
	v_mov_b32_e32 v0, v1
	s_or_b64 s[36:37], s[36:37], s[40:41]
; %bb.931:
	s_or_b64 exec, exec, s[38:39]
	s_and_saveexec_b64 s[38:39], s[36:37]
	s_cbranch_execz .LBB176_933
; %bb.932:
	v_and_b32_e32 v1, 0xffff, v4
	v_lshlrev_b32_e32 v0, 24, v4
	v_and_b32_e32 v4, 7, v1
	v_ffbh_u32_e32 v6, v4
	v_min_u32_e32 v6, 32, v6
	v_subrev_u32_e32 v7, 28, v6
	v_bfe_u32 v5, v1, 3, 4
	v_lshlrev_b32_e32 v1, v7, v1
	v_sub_u32_e32 v6, 29, v6
	v_and_b32_e32 v1, 7, v1
	v_cmp_eq_u32_e32 vcc, 0, v5
	v_and_b32_e32 v0, 0x80000000, v0
	s_nop 0
	v_cndmask_b32_e32 v5, v5, v6, vcc
	v_cndmask_b32_e32 v1, v4, v1, vcc
	v_mov_b32_e32 v4, 0x3b800000
	v_lshlrev_b32_e32 v1, 20, v1
	v_lshl_add_u32 v4, v5, 23, v4
	v_or3_b32 v0, v0, v4, v1
	v_mov_b32_e32 v1, 0
.LBB176_933:
	s_or_b64 exec, exec, s[38:39]
.LBB176_934:
	s_mov_b64 s[36:37], -1
.LBB176_935:
	s_mov_b64 s[38:39], 0
.LBB176_936:
	s_and_b64 vcc, exec, s[38:39]
	s_cbranch_vccz .LBB176_967
; %bb.937:
	s_cmp_gt_i32 s42, 22
	s_cbranch_scc0 .LBB176_949
; %bb.938:
	s_cmp_lt_i32 s42, 24
	s_cbranch_scc1 .LBB176_950
; %bb.939:
	s_cmp_gt_i32 s42, 24
	s_cbranch_scc0 .LBB176_951
; %bb.940:
	global_load_ubyte v4, v[2:3], off
	s_movk_i32 s34, 0x7f
	s_waitcnt vmcnt(0)
	v_cmp_lt_i16_e32 vcc, s34, v4
	s_mov_b64 s[34:35], 0
	s_and_saveexec_b64 s[36:37], vcc
	s_xor_b64 s[36:37], exec, s[36:37]
	s_cbranch_execz .LBB176_944
; %bb.941:
	s_movk_i32 s34, 0x80
	v_cmp_eq_u16_e32 vcc, s34, v4
	s_mov_b64 s[34:35], -1
	s_and_saveexec_b64 s[38:39], vcc
; %bb.942:
	s_xor_b64 s[34:35], exec, -1
; %bb.943:
	s_or_b64 exec, exec, s[38:39]
	s_and_b64 s[34:35], s[34:35], exec
.LBB176_944:
	s_or_saveexec_b64 s[36:37], s[36:37]
	v_mov_b32_e32 v0, 0x7f800001
	v_mov_b32_e32 v1, 0
	s_xor_b64 exec, exec, s[36:37]
; %bb.945:
	v_cmp_ne_u16_e32 vcc, 0, v4
	s_andn2_b64 s[34:35], s[34:35], exec
	s_and_b64 s[38:39], vcc, exec
	v_mov_b32_e32 v0, v1
	s_or_b64 s[34:35], s[34:35], s[38:39]
; %bb.946:
	s_or_b64 exec, exec, s[36:37]
	s_and_saveexec_b64 s[36:37], s[34:35]
	s_cbranch_execz .LBB176_948
; %bb.947:
	v_and_b32_e32 v1, 0xffff, v4
	v_lshlrev_b32_e32 v0, 24, v4
	v_and_b32_e32 v4, 3, v1
	v_ffbh_u32_e32 v6, v4
	v_min_u32_e32 v6, 32, v6
	v_subrev_u32_e32 v7, 29, v6
	v_bfe_u32 v5, v1, 2, 5
	v_lshlrev_b32_e32 v1, v7, v1
	v_sub_u32_e32 v6, 30, v6
	v_and_b32_e32 v1, 3, v1
	v_cmp_eq_u32_e32 vcc, 0, v5
	v_and_b32_e32 v0, 0x80000000, v0
	s_nop 0
	v_cndmask_b32_e32 v5, v5, v6, vcc
	v_cndmask_b32_e32 v1, v4, v1, vcc
	v_mov_b32_e32 v4, 0x37800000
	v_lshlrev_b32_e32 v1, 21, v1
	v_lshl_add_u32 v4, v5, 23, v4
	v_or3_b32 v0, v0, v4, v1
	v_mov_b32_e32 v1, 0
.LBB176_948:
	s_or_b64 exec, exec, s[36:37]
	s_mov_b64 s[34:35], 0
	s_branch .LBB176_952
.LBB176_949:
	s_mov_b64 s[34:35], -1
                                        ; implicit-def: $vgpr0_vgpr1
	s_branch .LBB176_958
.LBB176_950:
	s_mov_b64 s[34:35], -1
                                        ; implicit-def: $vgpr0_vgpr1
	s_branch .LBB176_955
.LBB176_951:
	s_mov_b64 s[34:35], -1
                                        ; implicit-def: $vgpr0_vgpr1
.LBB176_952:
	s_and_b64 vcc, exec, s[34:35]
	s_cbranch_vccz .LBB176_954
; %bb.953:
	global_load_ubyte v0, v[2:3], off
	s_mov_b32 s34, 0x7f800000
	s_brev_b32 s35, 1
	s_waitcnt vmcnt(0)
	v_lshlrev_b32_e32 v0, 24, v0
	v_and_b32_e32 v1, 0x7f000000, v0
	v_ffbh_u32_e32 v4, v1
	v_min_u32_e32 v4, 32, v4
	v_sub_u32_e64 v4, v4, 4 clamp
	v_lshlrev_b32_e32 v6, v4, v1
	v_lshlrev_b32_e32 v4, 23, v4
	v_lshrrev_b32_e32 v6, 4, v6
	v_add_u32_e32 v5, 0x1000000, v1
	v_sub_u32_e32 v4, v6, v4
	v_ashrrev_i32_e32 v5, 8, v5
	v_add_u32_e32 v4, 0x3c000000, v4
	v_and_or_b32 v4, v5, s34, v4
	v_cmp_ne_u32_e32 vcc, 0, v1
	s_nop 1
	v_cndmask_b32_e32 v1, 0, v4, vcc
	v_and_or_b32 v0, v0, s35, v1
	v_mov_b32_e32 v1, 0
.LBB176_954:
	s_mov_b64 s[34:35], 0
.LBB176_955:
	s_andn2_b64 vcc, exec, s[34:35]
	s_cbranch_vccnz .LBB176_957
; %bb.956:
	global_load_ubyte v0, v[2:3], off
	s_movk_i32 s34, 0x7f00
	s_brev_b32 s35, 16
	s_brev_b32 s36, 1
	s_waitcnt vmcnt(0)
	v_lshlrev_b16_e32 v1, 8, v0
	v_lshlrev_b32_e32 v0, 25, v0
	v_lshrrev_b32_e32 v4, 4, v0
	v_and_or_b32 v5, v1, s34, 0.5
	v_or_b32_e32 v4, 0x70000000, v4
	v_add_f32_e32 v5, -0.5, v5
	v_mul_f32_e32 v4, 0x7800000, v4
	v_cmp_gt_u32_e32 vcc, s35, v0
	v_bfe_i32 v1, v1, 0, 16
	s_nop 0
	v_cndmask_b32_e32 v0, v4, v5, vcc
	v_and_or_b32 v0, v1, s36, v0
	v_mov_b32_e32 v1, 0
.LBB176_957:
	s_mov_b64 s[34:35], 0
	s_mov_b64 s[36:37], -1
.LBB176_958:
	s_andn2_b64 vcc, exec, s[34:35]
	s_mov_b64 s[34:35], 0
	s_cbranch_vccnz .LBB176_967
; %bb.959:
	s_cmp_gt_i32 s42, 14
	s_cbranch_scc0 .LBB176_962
; %bb.960:
	s_cmp_eq_u32 s42, 15
	s_cbranch_scc0 .LBB176_963
; %bb.961:
	global_load_ushort v0, v[2:3], off
	v_mov_b32_e32 v1, 0
	s_mov_b64 s[30:31], 0
	s_mov_b64 s[36:37], -1
	s_waitcnt vmcnt(0)
	v_lshlrev_b32_e32 v0, 16, v0
	s_branch .LBB176_964
.LBB176_962:
	s_mov_b64 s[38:39], -1
                                        ; implicit-def: $vgpr0_vgpr1
	s_branch .LBB176_965
.LBB176_963:
	s_mov_b64 s[30:31], -1
                                        ; implicit-def: $vgpr0_vgpr1
.LBB176_964:
	s_mov_b64 s[38:39], 0
.LBB176_965:
	s_and_b64 vcc, exec, s[38:39]
	s_cbranch_vccz .LBB176_967
; %bb.966:
	s_cmp_lg_u32 s42, 11
	s_cselect_b64 s[38:39], -1, 0
	s_andn2_b64 s[30:31], s[30:31], exec
	s_and_b64 s[38:39], s[38:39], exec
	s_mov_b64 s[34:35], -1
	s_or_b64 s[30:31], s[30:31], s[38:39]
.LBB176_967:
	s_mov_b64 s[38:39], 0
.LBB176_968:
	s_and_b64 s[40:41], s[36:37], exec
	s_and_b64 s[36:37], s[38:39], exec
	s_andn2_b64 s[38:39], s[0:1], exec
	s_and_b64 s[30:31], s[30:31], exec
	s_and_b64 s[34:35], s[34:35], exec
	s_or_b64 s[38:39], s[38:39], s[30:31]
.LBB176_969:
	s_or_b64 exec, exec, s[28:29]
	s_and_b64 s[30:31], s[34:35], exec
	s_andn2_b64 s[0:1], s[0:1], exec
	s_and_b64 s[34:35], s[38:39], exec
	s_and_b64 s[28:29], s[40:41], exec
	;; [unrolled: 1-line block ×3, first 2 shown]
	s_or_b64 s[0:1], s[0:1], s[34:35]
.LBB176_970:
	s_or_b64 exec, exec, s[26:27]
	s_andn2_b64 s[22:23], s[22:23], exec
	s_and_b64 s[2:3], s[2:3], exec
	s_andn2_b64 s[20:21], s[20:21], exec
	s_and_b64 s[0:1], s[0:1], exec
	s_or_b64 s[22:23], s[22:23], s[2:3]
	s_and_b64 s[28:29], s[28:29], exec
	s_and_b64 s[26:27], s[36:37], exec
	;; [unrolled: 1-line block ×3, first 2 shown]
	s_or_b64 s[20:21], s[20:21], s[0:1]
.LBB176_971:
	s_or_b64 exec, exec, s[24:25]
	s_andn2_b64 s[0:1], s[14:15], exec
	s_and_b64 s[14:15], s[22:23], exec
	s_and_b64 s[22:23], s[2:3], exec
	s_andn2_b64 s[2:3], s[16:17], exec
	s_and_b64 s[16:17], s[20:21], exec
	s_or_b64 s[14:15], s[0:1], s[14:15]
	s_and_b64 s[0:1], s[28:29], exec
	s_and_b64 s[24:25], s[26:27], exec
	s_or_b64 s[16:17], s[2:3], s[16:17]
	s_or_b64 exec, exec, s[18:19]
	s_mov_b64 s[18:19], 0
	s_and_saveexec_b64 s[2:3], s[16:17]
	s_cbranch_execz .LBB176_299
.LBB176_972:
	s_mov_b64 s[18:19], exec
	s_andn2_b64 s[22:23], s[22:23], exec
	s_trap 2
	s_or_b64 exec, exec, s[2:3]
	s_and_saveexec_b64 s[2:3], s[22:23]
	s_xor_b64 s[2:3], exec, s[2:3]
	s_cbranch_execnz .LBB176_300
.LBB176_973:
	s_or_b64 exec, exec, s[2:3]
	s_and_saveexec_b64 s[2:3], s[24:25]
	s_cbranch_execz .LBB176_1019
.LBB176_974:
	s_sext_i32_i16 s16, s44
	s_cmp_lt_i32 s16, 5
	s_cbranch_scc1 .LBB176_979
; %bb.975:
	s_cmp_lt_i32 s16, 8
	s_cbranch_scc1 .LBB176_980
; %bb.976:
	;; [unrolled: 3-line block ×3, first 2 shown]
	s_cmp_gt_i32 s16, 9
	s_cbranch_scc0 .LBB176_982
; %bb.978:
	global_load_dwordx4 v[4:7], v[2:3], off
	s_mov_b64 s[16:17], 0
	s_waitcnt vmcnt(0)
	v_cvt_f32_f64_e32 v1, v[6:7]
	v_cvt_f32_f64_e32 v0, v[4:5]
	s_branch .LBB176_983
.LBB176_979:
                                        ; implicit-def: $vgpr0_vgpr1
	s_branch .LBB176_1000
.LBB176_980:
                                        ; implicit-def: $vgpr0_vgpr1
	s_branch .LBB176_989
.LBB176_981:
	s_mov_b64 s[16:17], -1
                                        ; implicit-def: $vgpr0_vgpr1
	s_branch .LBB176_986
.LBB176_982:
	s_mov_b64 s[16:17], -1
                                        ; implicit-def: $vgpr0_vgpr1
.LBB176_983:
	s_andn2_b64 vcc, exec, s[16:17]
	s_cbranch_vccnz .LBB176_985
; %bb.984:
	global_load_dwordx2 v[0:1], v[2:3], off
.LBB176_985:
	s_mov_b64 s[16:17], 0
.LBB176_986:
	s_andn2_b64 vcc, exec, s[16:17]
	s_cbranch_vccnz .LBB176_988
; %bb.987:
	global_load_dword v0, v[2:3], off
	s_waitcnt vmcnt(0)
	v_cvt_f32_f16_sdwa v1, v0 dst_sel:DWORD dst_unused:UNUSED_PAD src0_sel:WORD_1
	v_cvt_f32_f16_e32 v0, v0
.LBB176_988:
	s_cbranch_execnz .LBB176_999
.LBB176_989:
	s_sext_i32_i16 s16, s44
	s_cmp_lt_i32 s16, 6
	s_cbranch_scc1 .LBB176_992
; %bb.990:
	s_cmp_gt_i32 s16, 6
	s_cbranch_scc0 .LBB176_993
; %bb.991:
	global_load_dwordx2 v[4:5], v[2:3], off
	s_waitcnt vmcnt(1)
	v_mov_b32_e32 v1, 0
	s_mov_b64 s[16:17], 0
	s_waitcnt vmcnt(0)
	v_cvt_f32_f64_e32 v0, v[4:5]
	s_branch .LBB176_994
.LBB176_992:
	s_mov_b64 s[16:17], -1
                                        ; implicit-def: $vgpr0_vgpr1
	s_branch .LBB176_997
.LBB176_993:
	s_mov_b64 s[16:17], -1
                                        ; implicit-def: $vgpr0_vgpr1
.LBB176_994:
	s_andn2_b64 vcc, exec, s[16:17]
	s_cbranch_vccnz .LBB176_996
; %bb.995:
	global_load_dword v0, v[2:3], off
	s_waitcnt vmcnt(1)
	v_mov_b32_e32 v1, 0
.LBB176_996:
	s_mov_b64 s[16:17], 0
.LBB176_997:
	s_andn2_b64 vcc, exec, s[16:17]
	s_cbranch_vccnz .LBB176_999
; %bb.998:
	global_load_ushort v0, v[2:3], off
	s_waitcnt vmcnt(1)
	v_mov_b32_e32 v1, 0
	s_waitcnt vmcnt(0)
	v_cvt_f32_f16_e32 v0, v0
.LBB176_999:
	s_cbranch_execnz .LBB176_1018
.LBB176_1000:
	s_sext_i32_i16 s16, s44
	s_cmp_lt_i32 s16, 2
	s_cbranch_scc1 .LBB176_1004
; %bb.1001:
	s_cmp_lt_i32 s16, 3
	s_cbranch_scc1 .LBB176_1005
; %bb.1002:
	s_cmp_gt_i32 s16, 3
	s_cbranch_scc0 .LBB176_1006
; %bb.1003:
	global_load_dwordx2 v[0:1], v[2:3], off
	s_mov_b64 s[16:17], 0
	s_waitcnt vmcnt(0)
	v_xor_b32_e32 v5, v0, v1
	v_ffbh_i32_e32 v4, v1
	v_ashrrev_i32_e32 v5, 31, v5
	v_add_u32_e32 v4, -1, v4
	v_add_u32_e32 v5, 32, v5
	v_min_u32_e32 v4, v4, v5
	v_lshlrev_b64 v[0:1], v4, v[0:1]
	v_min_u32_e32 v0, 1, v0
	v_or_b32_e32 v0, v1, v0
	v_cvt_f32_i32_e32 v0, v0
	v_sub_u32_e32 v4, 32, v4
	v_mov_b32_e32 v1, 0
	v_ldexp_f32 v0, v0, v4
	s_branch .LBB176_1007
.LBB176_1004:
                                        ; implicit-def: $vgpr0_vgpr1
	s_branch .LBB176_1013
.LBB176_1005:
	s_mov_b64 s[16:17], -1
                                        ; implicit-def: $vgpr0_vgpr1
	s_branch .LBB176_1010
.LBB176_1006:
	s_mov_b64 s[16:17], -1
                                        ; implicit-def: $vgpr0_vgpr1
.LBB176_1007:
	s_andn2_b64 vcc, exec, s[16:17]
	s_cbranch_vccnz .LBB176_1009
; %bb.1008:
	global_load_dword v0, v[2:3], off
	s_waitcnt vmcnt(1)
	v_mov_b32_e32 v1, 0
	s_waitcnt vmcnt(0)
	v_cvt_f32_i32_e32 v0, v0
.LBB176_1009:
	s_mov_b64 s[16:17], 0
.LBB176_1010:
	s_andn2_b64 vcc, exec, s[16:17]
	s_cbranch_vccnz .LBB176_1012
; %bb.1011:
	global_load_sshort v0, v[2:3], off
	s_waitcnt vmcnt(1)
	v_mov_b32_e32 v1, 0
	s_waitcnt vmcnt(0)
	v_cvt_f32_i32_e32 v0, v0
.LBB176_1012:
	s_cbranch_execnz .LBB176_1018
.LBB176_1013:
	s_sext_i32_i16 s16, s44
	s_cmp_gt_i32 s16, 0
	s_cbranch_scc0 .LBB176_1015
; %bb.1014:
	global_load_sbyte v0, v[2:3], off
	s_waitcnt vmcnt(1)
	v_mov_b32_e32 v1, 0
	s_mov_b64 s[16:17], 0
	s_waitcnt vmcnt(0)
	v_cvt_f32_i32_e32 v0, v0
	s_branch .LBB176_1016
.LBB176_1015:
	s_mov_b64 s[16:17], -1
                                        ; implicit-def: $vgpr0_vgpr1
.LBB176_1016:
	s_andn2_b64 vcc, exec, s[16:17]
	s_cbranch_vccnz .LBB176_1018
; %bb.1017:
	global_load_ubyte v0, v[2:3], off
	s_waitcnt vmcnt(1)
	v_mov_b32_e32 v1, 0
	s_waitcnt vmcnt(0)
	v_cvt_f32_ubyte0_e32 v0, v0
.LBB176_1018:
	s_or_b64 s[0:1], s[0:1], exec
.LBB176_1019:
	s_or_b64 exec, exec, s[2:3]
	s_mov_b64 s[20:21], 0
	s_mov_b64 s[2:3], 0
                                        ; implicit-def: $sgpr26
                                        ; implicit-def: $vgpr4_vgpr5
                                        ; implicit-def: $vgpr2
	s_and_saveexec_b64 s[16:17], s[0:1]
	s_cbranch_execz .LBB176_1032
; %bb.1020:
	s_waitcnt vmcnt(0)
	v_cmp_neq_f32_e32 vcc, 0, v0
	v_cmp_neq_f32_e64 s[0:1], 0, v1
	v_mov_b32_e32 v4, 0
	s_or_b64 s[0:1], vcc, s[0:1]
	s_and_saveexec_b64 s[20:21], s[0:1]
	s_cbranch_execz .LBB176_1053
; %bb.1021:
	v_mov_b32_e32 v4, 0x7f800000
	v_cmp_neq_f32_e64 s[0:1], |v1|, v4
	s_and_saveexec_b64 s[22:23], s[0:1]
	s_cbranch_execz .LBB176_1052
; %bb.1022:
	v_cmp_o_f32_e32 vcc, v0, v0
                                        ; implicit-def: $vgpr4
	s_and_saveexec_b64 s[0:1], vcc
	s_xor_b64 s[24:25], exec, s[0:1]
	s_cbranch_execz .LBB176_1049
; %bb.1023:
	s_mov_b32 s0, 0x7f800000
	v_cmp_neq_f32_e64 s[0:1], |v0|, s0
                                        ; implicit-def: $vgpr4
	s_and_saveexec_b64 s[2:3], s[0:1]
	s_xor_b64 s[26:27], exec, s[2:3]
	s_cbranch_execz .LBB176_1042
; %bb.1024:
	v_max_f32_e64 v2, |v1|, |v1|
	v_max_f32_e64 v3, |v0|, |v0|
	v_max_f32_e32 v2, v3, v2
	s_mov_b32 s0, 0x7ed413cb
	v_cmp_nle_f32_e64 s[0:1], s0, v2
                                        ; implicit-def: $sgpr28_sgpr29
	s_and_saveexec_b64 s[2:3], s[0:1]
	s_xor_b64 s[2:3], exec, s[2:3]
	s_cbranch_execz .LBB176_1028
; %bb.1025:
	s_mov_b32 s30, 0x1000000
	v_cmp_le_f32_e64 s[28:29], |v0|, s30
	v_cmp_le_f32_e64 s[30:31], |v1|, s30
	s_and_b64 s[34:35], s[28:29], s[30:31]
	s_mov_b64 s[28:29], 0
	s_and_saveexec_b64 s[30:31], s[34:35]
; %bb.1026:
	s_mov_b64 s[28:29], exec
	v_pk_mul_f32 v[0:1], v[0:1], 4.0 op_sel_hi:[1,0]
; %bb.1027:
	s_or_b64 exec, exec, s[30:31]
.LBB176_1028:
	s_andn2_saveexec_b64 s[2:3], s[2:3]
; %bb.1029:
	s_mov_b32 s30, 0x3e800000
	v_pk_mul_f32 v[0:1], v[0:1], s[30:31] op_sel_hi:[1,0]
	s_andn2_b64 s[28:29], s[28:29], exec
; %bb.1030:
	s_or_b64 exec, exec, s[2:3]
	v_max_f32_e64 v2, |v1|, |v1|
	v_max_f32_e64 v3, |v0|, |v0|
	v_max_f32_e32 v4, v3, v2
	v_cvt_f64_f32_e32 v[2:3], v4
	v_frexp_exp_i32_f64_e32 v2, v[2:3]
	v_sub_u32_e32 v3, 0, v2
	v_ldexp_f32 v5, |v0|, v3
	v_ldexp_f32 v3, |v1|, v3
	v_mul_f32_e32 v3, v3, v3
	v_fmac_f32_e32 v3, v5, v5
	v_sqrt_f32_e32 v3, v3
	s_mov_b32 s2, 0x7f800000
	v_cmp_neq_f32_e64 s[2:3], s2, v4
	v_cmp_le_f32_e32 vcc, 0, v0
	v_ldexp_f32 v2, v3, v2
	v_mov_b32_e32 v3, 0x7f800000
	v_cndmask_b32_e64 v4, v3, v2, s[2:3]
                                        ; implicit-def: $vgpr2_vgpr3
	s_and_saveexec_b64 s[2:3], vcc
	s_xor_b64 s[30:31], exec, s[2:3]
	s_cbranch_execz .LBB176_1035
; %bb.1031:
	v_add_f32_e32 v0, v0, v4
	v_mul_f32_e32 v0, 0.5, v0
	s_mov_b32 s2, 0xf800000
	v_mul_f32_e32 v2, 0x4f800000, v0
	v_cmp_gt_f32_e32 vcc, s2, v0
	s_nop 1
	v_cndmask_b32_e32 v0, v0, v2, vcc
	v_sqrt_f32_e32 v2, v0
	s_nop 0
	v_add_u32_e32 v3, -1, v2
	v_fma_f32 v4, -v3, v2, v0
	v_cmp_ge_f32_e64 s[2:3], 0, v4
	v_add_u32_e32 v4, 1, v2
	s_nop 0
	v_cndmask_b32_e64 v3, v2, v3, s[2:3]
	v_fma_f32 v2, -v4, v2, v0
	v_cmp_lt_f32_e64 s[2:3], 0, v2
	s_nop 1
	v_cndmask_b32_e64 v2, v3, v4, s[2:3]
	v_mul_f32_e32 v3, 0x37800000, v2
	v_cndmask_b32_e32 v2, v2, v3, vcc
	v_mov_b32_e32 v3, 0x260
	v_cmp_class_f32_e32 vcc, v0, v3
	s_nop 1
	v_cndmask_b32_e32 v2, v2, v0, vcc
	v_add_f32_e32 v0, v2, v2
	v_div_scale_f32 v3, s[2:3], v0, v0, v1
	v_rcp_f32_e32 v4, v3
	s_nop 0
	v_fma_f32 v5, -v3, v4, 1.0
	v_fmac_f32_e32 v4, v5, v4
	v_div_scale_f32 v5, vcc, v1, v0, v1
	v_mul_f32_e32 v6, v5, v4
	v_fma_f32 v7, -v3, v6, v5
	v_fmac_f32_e32 v6, v7, v4
	v_fma_f32 v3, -v3, v6, v5
	v_div_fmas_f32 v3, v3, v4, v6
	v_div_fixup_f32 v3, v3, v0, v1
                                        ; implicit-def: $vgpr4
                                        ; implicit-def: $vgpr0_vgpr1
	s_andn2_saveexec_b64 s[30:31], s[30:31]
	s_cbranch_execz .LBB176_1037
	s_branch .LBB176_1036
.LBB176_1032:
	s_or_b64 exec, exec, s[16:17]
	s_and_saveexec_b64 s[0:1], s[14:15]
	s_cbranch_execnz .LBB176_1138
.LBB176_1033:
	s_or_b64 exec, exec, s[0:1]
	s_and_saveexec_b64 s[0:1], s[20:21]
	s_xor_b64 s[14:15], exec, s[0:1]
	s_cbranch_execz .LBB176_1139
.LBB176_1034:
	v_cmp_neq_f32_e32 vcc, 0, v2
	v_cmp_neq_f32_e64 s[0:1], 0, v3
	s_or_b64 s[0:1], vcc, s[0:1]
	s_waitcnt vmcnt(0)
	v_cndmask_b32_e64 v0, 0, 1, s[0:1]
	global_store_byte v[4:5], v0, off
	s_or_b64 exec, exec, s[14:15]
	s_and_saveexec_b64 s[0:1], s[2:3]
	s_xor_b64 s[0:1], exec, s[0:1]
	s_cbranch_execz .LBB176_1177
	s_branch .LBB176_1140
.LBB176_1035:
	s_andn2_saveexec_b64 s[30:31], s[30:31]
	s_cbranch_execz .LBB176_1037
.LBB176_1036:
	v_sub_f32_e32 v0, v4, v0
	v_mul_f32_e32 v0, 0.5, v0
	s_mov_b32 s2, 0xf800000
	v_mul_f32_e32 v2, 0x4f800000, v0
	v_cmp_gt_f32_e32 vcc, s2, v0
	s_nop 1
	v_cndmask_b32_e32 v0, v0, v2, vcc
	v_sqrt_f32_e32 v2, v0
	s_nop 0
	v_add_u32_e32 v3, -1, v2
	v_fma_f32 v4, -v3, v2, v0
	v_cmp_ge_f32_e64 s[2:3], 0, v4
	v_add_u32_e32 v4, 1, v2
	s_nop 0
	v_cndmask_b32_e64 v3, v2, v3, s[2:3]
	v_fma_f32 v2, -v4, v2, v0
	v_cmp_lt_f32_e64 s[2:3], 0, v2
	s_nop 1
	v_cndmask_b32_e64 v2, v3, v4, s[2:3]
	v_mul_f32_e32 v3, 0x37800000, v2
	v_cndmask_b32_e32 v2, v2, v3, vcc
	v_mov_b32_e32 v3, 0x260
	v_cmp_class_f32_e32 vcc, v0, v3
	v_and_b32_e32 v3, 0x7fffffff, v1
	s_nop 0
	v_cndmask_b32_e32 v0, v2, v0, vcc
	v_add_f32_e32 v2, v0, v0
	v_div_scale_f32 v4, s[2:3], v2, v2, v3
	v_rcp_f32_e32 v5, v4
	v_div_scale_f32 v3, vcc, v3, v2, v3
	s_brev_b32 s2, -2
	v_fma_f32 v6, -v4, v5, 1.0
	v_fmac_f32_e32 v5, v6, v5
	v_mul_f32_e32 v6, v3, v5
	v_fma_f32 v7, -v4, v6, v3
	v_fmac_f32_e32 v6, v7, v5
	v_fma_f32 v3, -v4, v6, v3
	v_div_fmas_f32 v3, v3, v5, v6
	v_div_fixup_f32 v2, v3, v2, |v1|
	v_bfi_b32 v3, s2, v0, v1
.LBB176_1037:
	s_or_b64 exec, exec, s[30:31]
                                        ; implicit-def: $vgpr1
                                        ; implicit-def: $vgpr4
	s_and_saveexec_b64 s[2:3], s[0:1]
	s_xor_b64 s[0:1], exec, s[2:3]
	s_cbranch_execz .LBB176_1039
; %bb.1038:
	v_pk_mul_f32 v[0:1], v[2:3], 0.5 op_sel_hi:[1,0]
	s_nop 0
	v_cndmask_b32_e64 v4, v2, v0, s[28:29]
	v_cndmask_b32_e64 v1, v3, v1, s[28:29]
                                        ; implicit-def: $vgpr2_vgpr3
	s_andn2_saveexec_b64 s[0:1], s[0:1]
	s_cbranch_execnz .LBB176_1040
	s_branch .LBB176_1041
.LBB176_1039:
	s_andn2_saveexec_b64 s[0:1], s[0:1]
.LBB176_1040:
	v_pk_add_f32 v[0:1], v[2:3], v[2:3]
	s_nop 0
	v_mov_b32_e32 v4, v0
.LBB176_1041:
	s_or_b64 exec, exec, s[0:1]
.LBB176_1042:
	s_andn2_saveexec_b64 s[0:1], s[26:27]
	s_cbranch_execz .LBB176_1048
; %bb.1043:
	v_sub_f32_e32 v2, v1, v1
	v_cmp_lt_i32_e32 vcc, -1, v0
	s_brev_b32 s26, -2
	v_and_b32_e32 v4, 0x7fffffff, v2
	s_and_saveexec_b64 s[2:3], vcc
	s_xor_b64 s[2:3], exec, s[2:3]
; %bb.1044:
	v_bfi_b32 v1, s26, v2, v1
	v_mov_b32_e32 v4, v0
; %bb.1045:
	s_andn2_saveexec_b64 s[2:3], s[2:3]
; %bb.1046:
	v_bfi_b32 v1, s26, v0, v1
; %bb.1047:
	s_or_b64 exec, exec, s[2:3]
.LBB176_1048:
	s_or_b64 exec, exec, s[0:1]
.LBB176_1049:
	s_andn2_saveexec_b64 s[0:1], s[24:25]
	s_cbranch_execz .LBB176_1051
; %bb.1050:
	v_sub_f32_e32 v1, v1, v1
	v_div_scale_f32 v2, vcc, v1, v1, v1
	v_rcp_f32_e32 v3, v2
	s_nop 0
	v_fma_f32 v4, -v2, v3, 1.0
	v_fmac_f32_e32 v3, v4, v3
	v_mul_f32_e32 v4, v2, v3
	v_fma_f32 v5, -v2, v4, v2
	v_fmac_f32_e32 v4, v5, v3
	v_fma_f32 v2, -v2, v4, v2
	v_div_fmas_f32 v2, v2, v3, v4
	v_div_fixup_f32 v1, v2, v1, v1
	v_mov_b32_e32 v4, v0
.LBB176_1051:
	s_or_b64 exec, exec, s[0:1]
.LBB176_1052:
	s_or_b64 exec, exec, s[22:23]
.LBB176_1053:
	s_or_b64 exec, exec, s[20:21]
	v_cmp_gt_f32_e32 vcc, 0, v1
                                        ; implicit-def: $vgpr2_vgpr3
	s_nop 1
	v_cndmask_b32_e64 v5, v1, -v1, vcc
	v_cmp_gt_f32_e32 vcc, 0, v4
	s_nop 1
	v_cndmask_b32_e64 v0, v4, -v4, vcc
	v_cmp_ge_f32_e32 vcc, v0, v5
	s_and_saveexec_b64 s[0:1], vcc
	s_xor_b64 s[2:3], exec, s[0:1]
	s_cbranch_execz .LBB176_1059
; %bb.1054:
	v_cmp_neq_f32_e32 vcc, 0, v4
	v_cmp_neq_f32_e64 s[0:1], 0, v1
	s_or_b64 s[0:1], vcc, s[0:1]
                                        ; implicit-def: $vgpr2_vgpr3
	s_and_saveexec_b64 s[20:21], s[0:1]
	s_xor_b64 s[0:1], exec, s[20:21]
	s_cbranch_execz .LBB176_1056
; %bb.1055:
	v_div_scale_f32 v0, s[20:21], v4, v4, v1
	v_rcp_f32_e32 v2, v0
	v_div_scale_f32 v3, vcc, v1, v4, v1
	v_fma_f32 v5, -v0, v2, 1.0
	v_fmac_f32_e32 v2, v5, v2
	v_mul_f32_e32 v5, v3, v2
	v_fma_f32 v6, -v0, v5, v3
	v_fmac_f32_e32 v5, v6, v2
	v_fma_f32 v0, -v0, v5, v3
	v_div_fmas_f32 v0, v0, v2, v5
	v_div_fixup_f32 v3, v0, v4, v1
	v_fmac_f32_e32 v4, v1, v3
	v_div_scale_f32 v0, s[20:21], v4, v4, 1.0
	v_rcp_f32_e32 v1, v0
	s_nop 0
	v_fma_f32 v2, -v0, v1, 1.0
	v_fmac_f32_e32 v1, v2, v1
	v_div_scale_f32 v2, vcc, 1.0, v4, 1.0
	v_mul_f32_e32 v5, v2, v1
	v_fma_f32 v6, -v0, v5, v2
	v_fmac_f32_e32 v5, v6, v1
	v_fma_f32 v0, -v0, v5, v2
	v_div_fmas_f32 v0, v0, v1, v5
	v_mul_f32_e32 v1, 0, v3
	v_div_fixup_f32 v0, v0, v4, 1.0
	v_add_f32_e32 v2, 1.0, v1
	v_sub_f32_e32 v3, 0, v3
	v_pk_mul_f32 v[2:3], v[2:3], v[0:1] op_sel_hi:[1,0]
                                        ; implicit-def: $vgpr5
                                        ; implicit-def: $vgpr0
.LBB176_1056:
	s_andn2_saveexec_b64 s[0:1], s[0:1]
	s_cbranch_execz .LBB176_1058
; %bb.1057:
	v_div_scale_f32 v1, s[20:21], v5, v5, 0
	v_rcp_f32_e32 v2, v1
	v_div_scale_f32 v3, vcc, 0, v5, 0
	v_fma_f32 v4, -v1, v2, 1.0
	v_fmac_f32_e32 v2, v4, v2
	v_mul_f32_e32 v4, v3, v2
	v_fma_f32 v6, -v1, v4, v3
	v_fmac_f32_e32 v4, v6, v2
	v_div_scale_f32 v6, s[20:21], v0, v0, 1.0
	v_rcp_f32_e32 v7, v6
	v_fma_f32 v1, -v1, v4, v3
	v_div_fmas_f32 v1, v1, v2, v4
	v_div_fixup_f32 v3, v1, v5, 0
	v_fma_f32 v1, -v6, v7, 1.0
	v_fmac_f32_e32 v7, v1, v7
	v_div_scale_f32 v1, vcc, 1.0, v0, 1.0
	v_mul_f32_e32 v2, v1, v7
	v_fma_f32 v4, -v6, v2, v1
	v_fmac_f32_e32 v2, v4, v7
	v_fma_f32 v1, -v6, v2, v1
	v_div_fmas_f32 v1, v1, v7, v2
	v_div_fixup_f32 v2, v1, v0, 1.0
.LBB176_1058:
	s_or_b64 exec, exec, s[0:1]
                                        ; implicit-def: $vgpr1
                                        ; implicit-def: $vgpr4
.LBB176_1059:
	s_andn2_saveexec_b64 s[0:1], s[2:3]
	s_cbranch_execz .LBB176_1061
; %bb.1060:
	v_div_scale_f32 v0, s[2:3], v1, v1, v4
	v_rcp_f32_e32 v2, v0
	v_div_scale_f32 v3, vcc, v4, v1, v4
	v_fma_f32 v5, -v0, v2, 1.0
	v_fmac_f32_e32 v2, v5, v2
	v_mul_f32_e32 v5, v3, v2
	v_fma_f32 v6, -v0, v5, v3
	v_fmac_f32_e32 v5, v6, v2
	v_fma_f32 v0, -v0, v5, v3
	v_div_fmas_f32 v0, v0, v2, v5
	v_div_fixup_f32 v0, v0, v1, v4
	v_fmac_f32_e32 v1, v4, v0
	v_div_scale_f32 v2, s[2:3], v1, v1, 1.0
	v_rcp_f32_e32 v3, v2
	s_mov_b32 s2, 0
	s_mov_b32 s3, -1.0
	v_fma_f32 v4, -v2, v3, 1.0
	v_fmac_f32_e32 v3, v4, v3
	v_div_scale_f32 v4, vcc, 1.0, v1, 1.0
	v_mul_f32_e32 v5, v4, v3
	v_fma_f32 v6, -v2, v5, v4
	v_fmac_f32_e32 v5, v6, v3
	v_fma_f32 v2, -v2, v5, v4
	v_div_fmas_f32 v2, v2, v3, v5
	v_div_fixup_f32 v2, v2, v1, 1.0
	v_mul_f32_e32 v1, 0, v0
	v_pk_add_f32 v[0:1], v[0:1], s[2:3]
	s_nop 0
	v_pk_mul_f32 v[2:3], v[0:1], v[2:3] op_sel_hi:[1,0]
.LBB176_1061:
	s_or_b64 exec, exec, s[0:1]
	v_mul_lo_u32 v0, v10, s8
	v_ashrrev_i32_e32 v1, 31, v0
	s_and_b32 s26, s33, 0xff
	s_cmp_lt_i32 s26, 11
	v_lshl_add_u64 v[4:5], s[4:5], 0, v[0:1]
	s_cbranch_scc1 .LBB176_1068
; %bb.1062:
	s_and_b32 s27, 0xffff, s26
	s_mov_b64 s[20:21], -1
	s_cmp_gt_i32 s27, 25
	s_mov_b64 s[0:1], s[14:15]
	s_cbranch_scc0 .LBB176_1096
; %bb.1063:
	s_mov_b64 s[2:3], -1
	s_cmp_gt_i32 s27, 28
	s_mov_b64 s[0:1], s[14:15]
	s_cbranch_scc0 .LBB176_1080
; %bb.1064:
	s_cmp_gt_i32 s27, 43
	s_mov_b64 s[0:1], s[14:15]
	s_cbranch_scc0 .LBB176_1076
; %bb.1065:
	;; [unrolled: 4-line block ×3, first 2 shown]
	s_cmp_eq_u32 s27, 46
	s_mov_b64 s[0:1], -1
	s_cbranch_scc0 .LBB176_1069
; %bb.1067:
	s_movk_i32 s0, 0x7fff
	v_bfe_u32 v1, v3, 16, 1
	v_add3_u32 v1, v3, v1, s0
	v_bfe_u32 v0, v2, 16, 1
	v_and_b32_e32 v1, 0xffff0000, v1
	v_mov_b32_e32 v6, 0x7fc00000
	v_cmp_o_f32_e32 vcc, v3, v3
	v_add3_u32 v0, v2, v0, s0
	s_mov_b64 s[0:1], 0
	v_cndmask_b32_e32 v1, v6, v1, vcc
	v_cmp_o_f32_e32 vcc, v2, v2
	v_mov_b32_e32 v6, 0x7fc0
	s_mov_b64 s[2:3], 0
	v_cndmask_b32_sdwa v0, v6, v0, vcc dst_sel:DWORD dst_unused:UNUSED_PAD src0_sel:DWORD src1_sel:WORD_1
	v_or_b32_e32 v0, v1, v0
	global_store_dword v[4:5], v0, off
	s_branch .LBB176_1070
.LBB176_1068:
	s_mov_b64 s[20:21], 0
	s_mov_b64 s[2:3], -1
	s_mov_b64 s[0:1], s[14:15]
	s_branch .LBB176_1137
.LBB176_1069:
	s_mov_b64 s[2:3], 0
.LBB176_1070:
	s_and_b64 vcc, exec, s[2:3]
	s_cbranch_vccz .LBB176_1075
; %bb.1071:
	s_cmp_eq_u32 s27, 44
	s_mov_b64 s[0:1], -1
	s_cbranch_scc0 .LBB176_1075
; %bb.1072:
	v_bfe_u32 v0, v2, 23, 8
	s_movk_i32 s0, 0xff
	v_cmp_ne_u32_e32 vcc, s0, v0
	v_mov_b32_e32 v1, 0xff
	s_and_saveexec_b64 s[2:3], vcc
; %bb.1073:
	s_mov_b32 s0, 0x3fffff
	v_and_b32_e32 v6, 0x400000, v2
	v_and_or_b32 v0, v2, s0, v0
	v_cmp_ne_u32_e32 vcc, 0, v6
	v_cmp_ne_u32_e64 s[0:1], 0, v0
	s_and_b64 s[0:1], vcc, s[0:1]
	v_lshrrev_b32_e32 v1, 23, v2
	v_cndmask_b32_e64 v0, 0, 1, s[0:1]
	v_add_u32_e32 v1, v1, v0
; %bb.1074:
	s_or_b64 exec, exec, s[2:3]
	s_mov_b64 s[0:1], 0
	global_store_byte v[4:5], v1, off
.LBB176_1075:
	s_mov_b64 s[2:3], 0
.LBB176_1076:
	s_and_b64 vcc, exec, s[2:3]
	s_cbranch_vccz .LBB176_1079
; %bb.1077:
	s_cmp_eq_u32 s27, 29
	s_mov_b64 s[0:1], -1
	s_cbranch_scc0 .LBB176_1079
; %bb.1078:
	v_trunc_f32_e32 v0, v2
	v_mul_f32_e32 v1, 0x2f800000, v0
	v_floor_f32_e32 v6, v1
	v_fmamk_f32 v0, v6, 0xcf800000, v0
	v_cvt_u32_f32_e32 v1, v6
	v_cvt_u32_f32_e32 v0, v0
	s_mov_b64 s[0:1], 0
	s_mov_b64 s[2:3], 0
	global_store_dwordx2 v[4:5], v[0:1], off
	s_branch .LBB176_1080
.LBB176_1079:
	s_mov_b64 s[2:3], 0
.LBB176_1080:
	s_and_b64 vcc, exec, s[2:3]
	s_cbranch_vccz .LBB176_1095
; %bb.1081:
	s_cmp_lt_i32 s27, 27
	s_mov_b64 s[2:3], -1
	s_cbranch_scc1 .LBB176_1087
; %bb.1082:
	v_cvt_u32_f32_e32 v0, v2
	s_cmp_gt_i32 s27, 27
	s_cbranch_scc0 .LBB176_1084
; %bb.1083:
	s_mov_b64 s[2:3], 0
	global_store_dword v[4:5], v0, off
.LBB176_1084:
	s_andn2_b64 vcc, exec, s[2:3]
	s_cbranch_vccnz .LBB176_1086
; %bb.1085:
	global_store_short v[4:5], v0, off
.LBB176_1086:
	s_mov_b64 s[2:3], 0
.LBB176_1087:
	s_andn2_b64 vcc, exec, s[2:3]
	s_cbranch_vccnz .LBB176_1095
; %bb.1088:
	v_and_b32_e32 v0, 0x7fffffff, v2
	s_mov_b32 s2, 0x43800000
	v_cmp_gt_u32_e32 vcc, s2, v0
	v_mov_b32_e32 v1, 0x80
	s_and_saveexec_b64 s[2:3], vcc
	s_cbranch_execz .LBB176_1094
; %bb.1089:
	s_mov_b32 s20, 0x3bffffff
	v_cmp_lt_u32_e32 vcc, s20, v0
	s_mov_b64 s[20:21], 0
                                        ; implicit-def: $vgpr0
	s_and_saveexec_b64 s[22:23], vcc
	s_xor_b64 s[22:23], exec, s[22:23]
	s_cbranch_execz .LBB176_1192
; %bb.1090:
	v_bfe_u32 v0, v2, 20, 1
	s_mov_b32 s24, 0x487ffff
	v_add3_u32 v0, v2, v0, s24
	s_mov_b64 s[20:21], exec
	v_lshrrev_b32_e32 v0, 20, v0
	s_andn2_saveexec_b64 s[22:23], s[22:23]
	s_cbranch_execnz .LBB176_1193
.LBB176_1091:
	s_or_b64 exec, exec, s[22:23]
	v_mov_b32_e32 v1, 0
	s_and_saveexec_b64 s[22:23], s[20:21]
.LBB176_1092:
	v_lshrrev_b32_e32 v1, 24, v2
	s_movk_i32 s20, 0x80
	v_and_or_b32 v1, v1, s20, v0
.LBB176_1093:
	s_or_b64 exec, exec, s[22:23]
.LBB176_1094:
	s_or_b64 exec, exec, s[2:3]
	global_store_byte v[4:5], v1, off
.LBB176_1095:
	s_mov_b64 s[20:21], 0
.LBB176_1096:
	s_mov_b64 s[2:3], 0
	s_and_b64 vcc, exec, s[20:21]
	s_cbranch_vccz .LBB176_1136
; %bb.1097:
	s_cmp_gt_i32 s27, 22
	s_mov_b64 s[20:21], -1
	s_cbranch_scc0 .LBB176_1129
; %bb.1098:
	s_cmp_lt_i32 s27, 24
	s_cbranch_scc1 .LBB176_1118
; %bb.1099:
	s_cmp_gt_i32 s27, 24
	s_cbranch_scc0 .LBB176_1107
; %bb.1100:
	v_and_b32_e32 v0, 0x7fffffff, v2
	s_mov_b32 s20, 0x47800000
	v_cmp_gt_u32_e32 vcc, s20, v0
	v_mov_b32_e32 v1, 0x80
	s_and_saveexec_b64 s[20:21], vcc
	s_cbranch_execz .LBB176_1106
; %bb.1101:
	s_mov_b32 s22, 0x37ffffff
	v_cmp_lt_u32_e32 vcc, s22, v0
	s_mov_b64 s[22:23], 0
                                        ; implicit-def: $vgpr0
	s_and_saveexec_b64 s[24:25], vcc
	s_xor_b64 s[24:25], exec, s[24:25]
	s_cbranch_execz .LBB176_1356
; %bb.1102:
	v_bfe_u32 v0, v2, 21, 1
	s_mov_b32 s28, 0x88fffff
	v_add3_u32 v0, v2, v0, s28
	s_mov_b64 s[22:23], exec
	v_lshrrev_b32_e32 v0, 21, v0
	s_andn2_saveexec_b64 s[24:25], s[24:25]
	s_cbranch_execnz .LBB176_1357
.LBB176_1103:
	s_or_b64 exec, exec, s[24:25]
	v_mov_b32_e32 v1, 0
	s_and_saveexec_b64 s[24:25], s[22:23]
.LBB176_1104:
	v_lshrrev_b32_e32 v1, 24, v2
	s_movk_i32 s22, 0x80
	v_and_or_b32 v1, v1, s22, v0
.LBB176_1105:
	s_or_b64 exec, exec, s[24:25]
.LBB176_1106:
	s_or_b64 exec, exec, s[20:21]
	s_mov_b64 s[20:21], 0
	global_store_byte v[4:5], v1, off
.LBB176_1107:
	s_and_b64 vcc, exec, s[20:21]
	s_cbranch_vccz .LBB176_1117
; %bb.1108:
	v_and_b32_e32 v1, 0x7fffffff, v2
	s_mov_b32 s20, 0x43f00000
	v_cmp_gt_u32_e32 vcc, s20, v1
                                        ; implicit-def: $vgpr0
	s_and_saveexec_b64 s[20:21], vcc
	s_xor_b64 s[20:21], exec, s[20:21]
	s_cbranch_execz .LBB176_1114
; %bb.1109:
	s_mov_b32 s22, 0x3c7fffff
	v_cmp_lt_u32_e32 vcc, s22, v1
                                        ; implicit-def: $vgpr0
	s_and_saveexec_b64 s[22:23], vcc
	s_xor_b64 s[22:23], exec, s[22:23]
; %bb.1110:
	v_bfe_u32 v0, v2, 20, 1
	s_mov_b32 s24, 0x407ffff
	v_add3_u32 v0, v2, v0, s24
	v_lshrrev_b32_e32 v1, 20, v0
	v_and_b32_e32 v0, 0xff00000, v0
	s_mov_b32 s24, 0x7f00000
	v_mov_b32_e32 v6, 0x7e
	v_cmp_ne_u32_e32 vcc, s24, v0
	s_nop 1
	v_cndmask_b32_e32 v0, v6, v1, vcc
; %bb.1111:
	s_andn2_saveexec_b64 s[22:23], s[22:23]
; %bb.1112:
	s_mov_b32 s24, 0x46800000
	v_add_f32_e64 v0, |v2|, s24
; %bb.1113:
	s_or_b64 exec, exec, s[22:23]
                                        ; implicit-def: $vgpr1
.LBB176_1114:
	s_andn2_saveexec_b64 s[20:21], s[20:21]
; %bb.1115:
	s_mov_b32 s22, 0x7f800000
	v_mov_b32_e32 v0, 0x7e
	v_mov_b32_e32 v6, 0x7f
	v_cmp_lt_u32_e32 vcc, s22, v1
	s_nop 1
	v_cndmask_b32_e32 v0, v0, v6, vcc
; %bb.1116:
	s_or_b64 exec, exec, s[20:21]
	v_lshrrev_b32_e32 v1, 24, v2
	s_movk_i32 s20, 0x80
	v_and_or_b32 v0, v1, s20, v0
	global_store_byte v[4:5], v0, off
.LBB176_1117:
	s_mov_b64 s[20:21], 0
.LBB176_1118:
	s_andn2_b64 vcc, exec, s[20:21]
	s_cbranch_vccnz .LBB176_1128
; %bb.1119:
	v_and_b32_e32 v1, 0x7fffffff, v2
	s_mov_b32 s20, 0x47800000
	v_cmp_gt_u32_e32 vcc, s20, v1
                                        ; implicit-def: $vgpr0
	s_and_saveexec_b64 s[20:21], vcc
	s_xor_b64 s[20:21], exec, s[20:21]
	s_cbranch_execz .LBB176_1125
; %bb.1120:
	s_mov_b32 s22, 0x387fffff
	v_cmp_lt_u32_e32 vcc, s22, v1
                                        ; implicit-def: $vgpr0
	s_and_saveexec_b64 s[22:23], vcc
	s_xor_b64 s[22:23], exec, s[22:23]
; %bb.1121:
	v_bfe_u32 v0, v2, 21, 1
	s_mov_b32 s24, 0x80fffff
	v_add3_u32 v0, v2, v0, s24
	v_lshrrev_b32_e32 v0, 21, v0
; %bb.1122:
	s_andn2_saveexec_b64 s[22:23], s[22:23]
; %bb.1123:
	s_mov_b32 s24, 0x43000000
	v_add_f32_e64 v0, |v2|, s24
; %bb.1124:
	s_or_b64 exec, exec, s[22:23]
                                        ; implicit-def: $vgpr1
.LBB176_1125:
	s_andn2_saveexec_b64 s[20:21], s[20:21]
; %bb.1126:
	s_mov_b32 s22, 0x7f800000
	v_mov_b32_e32 v0, 0x7c
	v_mov_b32_e32 v6, 0x7f
	v_cmp_lt_u32_e32 vcc, s22, v1
	s_nop 1
	v_cndmask_b32_e32 v0, v0, v6, vcc
; %bb.1127:
	s_or_b64 exec, exec, s[20:21]
	v_lshrrev_b32_e32 v1, 24, v2
	s_movk_i32 s20, 0x80
	v_and_or_b32 v0, v1, s20, v0
	global_store_byte v[4:5], v0, off
.LBB176_1128:
	s_mov_b64 s[20:21], 0
.LBB176_1129:
	s_andn2_b64 vcc, exec, s[20:21]
	s_mov_b64 s[20:21], 0
	s_cbranch_vccnz .LBB176_1137
; %bb.1130:
	s_cmp_gt_i32 s27, 14
	s_mov_b64 s[22:23], -1
	s_cbranch_scc0 .LBB176_1134
; %bb.1131:
	s_cmp_eq_u32 s27, 15
	s_mov_b64 s[0:1], -1
	s_cbranch_scc0 .LBB176_1133
; %bb.1132:
	v_bfe_u32 v0, v2, 16, 1
	s_movk_i32 s0, 0x7fff
	v_add3_u32 v0, v2, v0, s0
	v_cmp_o_f32_e32 vcc, v2, v2
	v_mov_b32_e32 v1, 0x7fc0
	s_mov_b64 s[0:1], 0
	v_cndmask_b32_sdwa v0, v1, v0, vcc dst_sel:DWORD dst_unused:UNUSED_PAD src0_sel:DWORD src1_sel:WORD_1
	global_store_short v[4:5], v0, off
.LBB176_1133:
	s_mov_b64 s[22:23], 0
.LBB176_1134:
	s_and_b64 vcc, exec, s[22:23]
	s_cbranch_vccz .LBB176_1137
; %bb.1135:
	s_cmp_lg_u32 s27, 11
	s_cselect_b64 s[22:23], -1, 0
	s_andn2_b64 s[0:1], s[0:1], exec
	s_and_b64 s[22:23], s[22:23], exec
	s_mov_b64 s[20:21], -1
	s_or_b64 s[0:1], s[0:1], s[22:23]
	s_branch .LBB176_1137
.LBB176_1136:
	s_mov_b64 s[20:21], 0
.LBB176_1137:
	s_andn2_b64 s[14:15], s[14:15], exec
	s_and_b64 s[0:1], s[0:1], exec
	s_and_b64 s[2:3], s[2:3], exec
	;; [unrolled: 1-line block ×3, first 2 shown]
	s_or_b64 s[14:15], s[14:15], s[0:1]
	s_or_b64 exec, exec, s[16:17]
	s_and_saveexec_b64 s[0:1], s[14:15]
	s_cbranch_execz .LBB176_1033
.LBB176_1138:
	s_or_b64 s[18:19], s[18:19], exec
	s_andn2_b64 s[20:21], s[20:21], exec
	s_trap 2
	s_or_b64 exec, exec, s[0:1]
	s_and_saveexec_b64 s[0:1], s[20:21]
	s_xor_b64 s[14:15], exec, s[0:1]
	s_cbranch_execnz .LBB176_1034
.LBB176_1139:
	s_or_b64 exec, exec, s[14:15]
	s_and_saveexec_b64 s[0:1], s[2:3]
	s_xor_b64 s[0:1], exec, s[0:1]
	s_cbranch_execz .LBB176_1177
.LBB176_1140:
	s_sext_i32_i16 s14, s26
	s_cmp_lt_i32 s14, 5
	s_mov_b64 s[2:3], -1
	s_cbranch_scc1 .LBB176_1161
; %bb.1141:
	s_cmp_lt_i32 s14, 8
	s_cbranch_scc1 .LBB176_1151
; %bb.1142:
	s_cmp_lt_i32 s14, 9
	s_cbranch_scc1 .LBB176_1148
; %bb.1143:
	s_cmp_gt_i32 s14, 9
	s_cbranch_scc0 .LBB176_1145
; %bb.1144:
	v_cvt_f64_f32_e32 v[6:7], v2
	v_cvt_f64_f32_e32 v[8:9], v3
	s_mov_b64 s[2:3], 0
	global_store_dwordx4 v[4:5], v[6:9], off
.LBB176_1145:
	s_andn2_b64 vcc, exec, s[2:3]
	s_cbranch_vccnz .LBB176_1147
; %bb.1146:
	global_store_dwordx2 v[4:5], v[2:3], off
.LBB176_1147:
	s_mov_b64 s[2:3], 0
.LBB176_1148:
	s_andn2_b64 vcc, exec, s[2:3]
	s_cbranch_vccnz .LBB176_1150
; %bb.1149:
	s_waitcnt vmcnt(0)
	v_cvt_f16_f32_e32 v0, v2
	v_cvt_f16_f32_sdwa v1, v3 dst_sel:WORD_1 dst_unused:UNUSED_PAD src0_sel:DWORD
	s_nop 0
	v_or_b32_e32 v0, v1, v0
	global_store_dword v[4:5], v0, off
.LBB176_1150:
	s_mov_b64 s[2:3], 0
.LBB176_1151:
	s_andn2_b64 vcc, exec, s[2:3]
	s_cbranch_vccnz .LBB176_1160
; %bb.1152:
	s_sext_i32_i16 s14, s26
	s_cmp_lt_i32 s14, 6
	s_mov_b64 s[2:3], -1
	s_cbranch_scc1 .LBB176_1158
; %bb.1153:
	s_cmp_gt_i32 s14, 6
	s_cbranch_scc0 .LBB176_1155
; %bb.1154:
	s_waitcnt vmcnt(0)
	v_cvt_f64_f32_e32 v[0:1], v2
	s_mov_b64 s[2:3], 0
	global_store_dwordx2 v[4:5], v[0:1], off
.LBB176_1155:
	s_andn2_b64 vcc, exec, s[2:3]
	s_cbranch_vccnz .LBB176_1157
; %bb.1156:
	global_store_dword v[4:5], v2, off
.LBB176_1157:
	s_mov_b64 s[2:3], 0
.LBB176_1158:
	s_andn2_b64 vcc, exec, s[2:3]
	s_cbranch_vccnz .LBB176_1160
; %bb.1159:
	s_waitcnt vmcnt(0)
	v_cvt_f16_f32_e32 v0, v2
	global_store_short v[4:5], v0, off
.LBB176_1160:
	s_mov_b64 s[2:3], 0
.LBB176_1161:
	s_andn2_b64 vcc, exec, s[2:3]
	s_cbranch_vccnz .LBB176_1177
; %bb.1162:
	s_sext_i32_i16 s14, s26
	s_cmp_lt_i32 s14, 2
	s_mov_b64 s[2:3], -1
	s_cbranch_scc1 .LBB176_1172
; %bb.1163:
	s_cmp_lt_i32 s14, 3
	s_cbranch_scc1 .LBB176_1169
; %bb.1164:
	s_cmp_gt_i32 s14, 3
	s_cbranch_scc0 .LBB176_1166
; %bb.1165:
	s_waitcnt vmcnt(0)
	v_trunc_f32_e32 v0, v2
	s_mov_b32 s2, 0x2f800000
	v_mul_f32_e64 v1, |v0|, s2
	v_floor_f32_e32 v1, v1
	s_mov_b32 s2, 0xcf800000
	v_cvt_u32_f32_e32 v3, v1
	v_fma_f32 v1, v1, s2, |v0|
	v_cvt_u32_f32_e32 v1, v1
	v_ashrrev_i32_e32 v6, 31, v0
	v_xor_b32_e32 v3, v3, v6
	s_mov_b64 s[2:3], 0
	v_xor_b32_e32 v0, v1, v6
	v_sub_co_u32_e32 v0, vcc, v0, v6
	s_nop 1
	v_subb_co_u32_e32 v1, vcc, v3, v6, vcc
	global_store_dwordx2 v[4:5], v[0:1], off
.LBB176_1166:
	s_andn2_b64 vcc, exec, s[2:3]
	s_cbranch_vccnz .LBB176_1168
; %bb.1167:
	s_waitcnt vmcnt(0)
	v_cvt_i32_f32_e32 v0, v2
	global_store_dword v[4:5], v0, off
.LBB176_1168:
	s_mov_b64 s[2:3], 0
.LBB176_1169:
	s_andn2_b64 vcc, exec, s[2:3]
	s_cbranch_vccnz .LBB176_1171
; %bb.1170:
	s_waitcnt vmcnt(0)
	v_cvt_i32_f32_e32 v0, v2
	global_store_short v[4:5], v0, off
.LBB176_1171:
	s_mov_b64 s[2:3], 0
.LBB176_1172:
	s_andn2_b64 vcc, exec, s[2:3]
	s_cbranch_vccnz .LBB176_1177
; %bb.1173:
	s_sext_i32_i16 s2, s26
	s_cmp_gt_i32 s2, 0
	s_mov_b64 s[2:3], -1
	s_cbranch_scc0 .LBB176_1175
; %bb.1174:
	s_waitcnt vmcnt(0)
	v_cvt_i32_f32_e32 v0, v2
	s_mov_b64 s[2:3], 0
	global_store_byte v[4:5], v0, off
.LBB176_1175:
	s_andn2_b64 vcc, exec, s[2:3]
	s_cbranch_vccnz .LBB176_1177
; %bb.1176:
	s_waitcnt vmcnt(0)
	v_trunc_f32_e32 v0, v2
	s_mov_b32 s2, 0x2f800000
	v_mul_f32_e64 v1, |v0|, s2
	v_floor_f32_e32 v1, v1
	s_mov_b32 s2, 0xcf800000
	v_fma_f32 v1, v1, s2, |v0|
	v_cvt_u32_f32_e32 v1, v1
	v_ashrrev_i32_e32 v0, 31, v0
	v_xor_b32_e32 v1, v1, v0
	v_sub_u32_e32 v0, v1, v0
	global_store_byte v[4:5], v0, off
.LBB176_1177:
	s_or_b64 exec, exec, s[0:1]
	s_and_b64 s[14:15], s[18:19], exec
                                        ; implicit-def: $vgpr10
.LBB176_1178:
	s_or_saveexec_b64 s[12:13], s[12:13]
	s_mov_b64 s[18:19], 0
                                        ; implicit-def: $sgpr24
                                        ; implicit-def: $vgpr0_vgpr1
                                        ; implicit-def: $vgpr6_vgpr7
	s_xor_b64 exec, exec, s[12:13]
	s_cbranch_execz .LBB176_1821
; %bb.1179:
	v_mul_lo_u32 v2, s9, v10
	v_ashrrev_i32_e32 v3, 31, v2
	s_and_b32 s28, 0xffff, s44
	s_cmp_lt_i32 s28, 11
	s_waitcnt vmcnt(0)
	v_lshl_add_u64 v[0:1], s[6:7], 0, v[2:3]
	s_cbranch_scc1 .LBB176_1186
; %bb.1180:
	s_cmp_gt_i32 s28, 25
	s_mov_b64 s[2:3], 0
	s_cbranch_scc0 .LBB176_1188
; %bb.1181:
	s_cmp_gt_i32 s28, 28
	s_cbranch_scc0 .LBB176_1189
; %bb.1182:
	s_cmp_gt_i32 s28, 43
	;; [unrolled: 3-line block ×3, first 2 shown]
	s_cbranch_scc0 .LBB176_1191
; %bb.1184:
	s_cmp_eq_u32 s28, 46
	s_mov_b64 s[16:17], 0
	s_cbranch_scc0 .LBB176_1194
; %bb.1185:
	global_load_dword v3, v[0:1], off
	s_mov_b64 s[0:1], 0
	s_mov_b64 s[10:11], -1
	s_waitcnt vmcnt(0)
	v_and_b32_e32 v5, 0xffff0000, v3
	v_lshlrev_b32_e32 v4, 16, v3
	s_branch .LBB176_1196
.LBB176_1186:
                                        ; implicit-def: $vgpr4_vgpr5
	s_mov_b64 s[16:17], s[14:15]
	s_cbranch_execnz .LBB176_1259
.LBB176_1187:
	s_andn2_b64 vcc, exec, s[10:11]
	s_cbranch_vccz .LBB176_1304
	s_branch .LBB176_1818
.LBB176_1188:
	s_mov_b64 s[0:1], 0
                                        ; implicit-def: $vgpr4_vgpr5
	s_cbranch_execnz .LBB176_1226
	s_branch .LBB176_1255
.LBB176_1189:
	s_mov_b64 s[16:17], -1
	s_mov_b64 s[0:1], 0
                                        ; implicit-def: $vgpr4_vgpr5
	s_branch .LBB176_1205
.LBB176_1190:
	s_mov_b64 s[0:1], 0
                                        ; implicit-def: $vgpr4_vgpr5
	s_cbranch_execnz .LBB176_1201
	s_branch .LBB176_1204
.LBB176_1191:
	s_mov_b64 s[16:17], -1
	s_mov_b64 s[0:1], 0
	s_branch .LBB176_1195
.LBB176_1192:
	s_andn2_saveexec_b64 s[22:23], s[22:23]
	s_cbranch_execz .LBB176_1091
.LBB176_1193:
	s_mov_b32 s24, 0x46000000
	v_add_f32_e64 v0, |v2|, s24
	v_and_b32_e32 v0, 0xff, v0
	v_cmp_ne_u32_e32 vcc, 0, v0
	s_andn2_b64 s[20:21], s[20:21], exec
	s_and_b64 s[24:25], vcc, exec
	s_or_b64 s[20:21], s[20:21], s[24:25]
	s_or_b64 exec, exec, s[22:23]
	v_mov_b32_e32 v1, 0
	s_and_saveexec_b64 s[22:23], s[20:21]
	s_cbranch_execnz .LBB176_1092
	s_branch .LBB176_1093
.LBB176_1194:
	s_mov_b64 s[0:1], -1
.LBB176_1195:
                                        ; implicit-def: $vgpr4_vgpr5
.LBB176_1196:
	s_and_b64 vcc, exec, s[16:17]
	s_cbranch_vccz .LBB176_1199
; %bb.1197:
	s_cmp_eq_u32 s28, 44
	s_cbranch_scc0 .LBB176_1200
; %bb.1198:
	global_load_ubyte v3, v[0:1], off
	s_movk_i32 s10, 0xff
	v_mov_b32_e32 v4, 0x7f800001
	v_mov_b32_e32 v6, 0x400000
	;; [unrolled: 1-line block ×3, first 2 shown]
	s_mov_b64 s[0:1], 0
	s_waitcnt vmcnt(0)
	v_lshlrev_b32_e32 v7, 23, v3
	v_cmp_ne_u32_e32 vcc, s10, v3
	s_mov_b64 s[10:11], -1
	s_nop 0
	v_cndmask_b32_e32 v4, v4, v7, vcc
	v_cmp_ne_u32_e32 vcc, 0, v3
	s_nop 1
	v_cndmask_b32_e32 v4, v6, v4, vcc
.LBB176_1199:
	s_branch .LBB176_1204
.LBB176_1200:
	s_mov_b64 s[0:1], -1
                                        ; implicit-def: $vgpr4_vgpr5
	s_branch .LBB176_1204
.LBB176_1201:
	s_cmp_eq_u32 s28, 29
	s_cbranch_scc0 .LBB176_1203
; %bb.1202:
	global_load_dwordx2 v[4:5], v[0:1], off
	s_mov_b64 s[0:1], 0
	s_mov_b64 s[10:11], -1
	s_mov_b64 s[16:17], 0
	s_waitcnt vmcnt(0)
	v_ffbh_u32_e32 v3, v5
	v_min_u32_e32 v3, 32, v3
	v_lshlrev_b64 v[4:5], v3, v[4:5]
	v_min_u32_e32 v4, 1, v4
	v_or_b32_e32 v4, v5, v4
	v_cvt_f32_u32_e32 v4, v4
	v_sub_u32_e32 v3, 32, v3
	v_mov_b32_e32 v5, 0
	v_ldexp_f32 v4, v4, v3
	s_branch .LBB176_1205
.LBB176_1203:
	s_mov_b64 s[0:1], -1
                                        ; implicit-def: $vgpr4_vgpr5
.LBB176_1204:
	s_mov_b64 s[16:17], 0
.LBB176_1205:
	s_and_b64 vcc, exec, s[16:17]
	s_cbranch_vccz .LBB176_1225
; %bb.1206:
	s_cmp_lt_i32 s28, 27
	s_cbranch_scc1 .LBB176_1209
; %bb.1207:
	s_cmp_gt_i32 s28, 27
	s_cbranch_scc0 .LBB176_1210
; %bb.1208:
	global_load_dword v3, v[0:1], off
	v_mov_b32_e32 v5, 0
	s_mov_b64 s[10:11], 0
	s_waitcnt vmcnt(0)
	v_cvt_f32_u32_e32 v4, v3
	s_branch .LBB176_1211
.LBB176_1209:
	s_mov_b64 s[10:11], -1
                                        ; implicit-def: $vgpr4_vgpr5
	s_branch .LBB176_1214
.LBB176_1210:
	s_mov_b64 s[10:11], -1
                                        ; implicit-def: $vgpr4_vgpr5
.LBB176_1211:
	s_andn2_b64 vcc, exec, s[10:11]
	s_cbranch_vccnz .LBB176_1213
; %bb.1212:
	global_load_ushort v3, v[0:1], off
	v_mov_b32_e32 v5, 0
	s_waitcnt vmcnt(0)
	v_cvt_f32_u32_e32 v4, v3
.LBB176_1213:
	s_mov_b64 s[10:11], 0
.LBB176_1214:
	s_andn2_b64 vcc, exec, s[10:11]
	s_cbranch_vccnz .LBB176_1224
; %bb.1215:
	global_load_ubyte v3, v[0:1], off
	s_movk_i32 s10, 0x7f
	s_waitcnt vmcnt(0)
	v_cmp_lt_i16_e32 vcc, s10, v3
	s_mov_b64 s[10:11], 0
	s_and_saveexec_b64 s[16:17], vcc
	s_xor_b64 s[16:17], exec, s[16:17]
	s_cbranch_execz .LBB176_1219
; %bb.1216:
	s_movk_i32 s10, 0x80
	v_cmp_eq_u16_e32 vcc, s10, v3
	s_mov_b64 s[10:11], -1
	s_and_saveexec_b64 s[18:19], vcc
; %bb.1217:
	s_xor_b64 s[10:11], exec, -1
; %bb.1218:
	s_or_b64 exec, exec, s[18:19]
	s_and_b64 s[10:11], s[10:11], exec
.LBB176_1219:
	s_or_saveexec_b64 s[16:17], s[16:17]
	v_mov_b32_e32 v4, 0x7f800001
	v_mov_b32_e32 v5, 0
	s_xor_b64 exec, exec, s[16:17]
; %bb.1220:
	v_cmp_ne_u16_e32 vcc, 0, v3
	s_andn2_b64 s[10:11], s[10:11], exec
	s_and_b64 s[18:19], vcc, exec
	v_mov_b32_e32 v4, v5
	s_or_b64 s[10:11], s[10:11], s[18:19]
; %bb.1221:
	s_or_b64 exec, exec, s[16:17]
	s_and_saveexec_b64 s[16:17], s[10:11]
	s_cbranch_execz .LBB176_1223
; %bb.1222:
	v_lshlrev_b32_e32 v4, 24, v3
	v_and_b32_e32 v3, 0xffff, v3
	v_and_b32_e32 v5, 7, v3
	v_ffbh_u32_e32 v7, v5
	v_min_u32_e32 v7, 32, v7
	v_subrev_u32_e32 v8, 28, v7
	v_bfe_u32 v6, v3, 3, 4
	v_lshlrev_b32_e32 v3, v8, v3
	v_sub_u32_e32 v7, 29, v7
	v_and_b32_e32 v3, 7, v3
	v_cmp_eq_u32_e32 vcc, 0, v6
	v_and_b32_e32 v4, 0x80000000, v4
	s_nop 0
	v_cndmask_b32_e32 v6, v6, v7, vcc
	v_cndmask_b32_e32 v3, v5, v3, vcc
	v_mov_b32_e32 v5, 0x3b800000
	v_lshlrev_b32_e32 v3, 20, v3
	v_lshl_add_u32 v5, v6, 23, v5
	v_or3_b32 v4, v4, v5, v3
	v_mov_b32_e32 v5, 0
.LBB176_1223:
	s_or_b64 exec, exec, s[16:17]
.LBB176_1224:
	s_mov_b64 s[10:11], -1
.LBB176_1225:
	s_branch .LBB176_1255
.LBB176_1226:
	s_cmp_gt_i32 s28, 22
	s_cbranch_scc0 .LBB176_1238
; %bb.1227:
	s_cmp_lt_i32 s28, 24
	s_cbranch_scc1 .LBB176_1239
; %bb.1228:
	s_cmp_gt_i32 s28, 24
	s_cbranch_scc0 .LBB176_1240
; %bb.1229:
	global_load_ubyte v3, v[0:1], off
	s_movk_i32 s2, 0x7f
	s_waitcnt vmcnt(0)
	v_cmp_lt_i16_e32 vcc, s2, v3
	s_mov_b64 s[2:3], 0
	s_and_saveexec_b64 s[10:11], vcc
	s_xor_b64 s[10:11], exec, s[10:11]
	s_cbranch_execz .LBB176_1233
; %bb.1230:
	s_movk_i32 s2, 0x80
	v_cmp_eq_u16_e32 vcc, s2, v3
	s_mov_b64 s[2:3], -1
	s_and_saveexec_b64 s[16:17], vcc
; %bb.1231:
	s_xor_b64 s[2:3], exec, -1
; %bb.1232:
	s_or_b64 exec, exec, s[16:17]
	s_and_b64 s[2:3], s[2:3], exec
.LBB176_1233:
	s_or_saveexec_b64 s[10:11], s[10:11]
	v_mov_b32_e32 v4, 0x7f800001
	v_mov_b32_e32 v5, 0
	s_xor_b64 exec, exec, s[10:11]
; %bb.1234:
	v_cmp_ne_u16_e32 vcc, 0, v3
	s_andn2_b64 s[2:3], s[2:3], exec
	s_and_b64 s[16:17], vcc, exec
	v_mov_b32_e32 v4, v5
	s_or_b64 s[2:3], s[2:3], s[16:17]
; %bb.1235:
	s_or_b64 exec, exec, s[10:11]
	s_and_saveexec_b64 s[10:11], s[2:3]
	s_cbranch_execz .LBB176_1237
; %bb.1236:
	v_lshlrev_b32_e32 v4, 24, v3
	v_and_b32_e32 v3, 0xffff, v3
	v_and_b32_e32 v5, 3, v3
	v_ffbh_u32_e32 v7, v5
	v_min_u32_e32 v7, 32, v7
	v_subrev_u32_e32 v8, 29, v7
	v_bfe_u32 v6, v3, 2, 5
	v_lshlrev_b32_e32 v3, v8, v3
	v_sub_u32_e32 v7, 30, v7
	v_and_b32_e32 v3, 3, v3
	v_cmp_eq_u32_e32 vcc, 0, v6
	v_and_b32_e32 v4, 0x80000000, v4
	s_nop 0
	v_cndmask_b32_e32 v6, v6, v7, vcc
	v_cndmask_b32_e32 v3, v5, v3, vcc
	v_mov_b32_e32 v5, 0x37800000
	v_lshlrev_b32_e32 v3, 21, v3
	v_lshl_add_u32 v5, v6, 23, v5
	v_or3_b32 v4, v4, v5, v3
	v_mov_b32_e32 v5, 0
.LBB176_1237:
	s_or_b64 exec, exec, s[10:11]
	s_mov_b64 s[2:3], 0
	s_branch .LBB176_1241
.LBB176_1238:
                                        ; implicit-def: $vgpr4_vgpr5
	s_mov_b64 s[2:3], 0
	s_branch .LBB176_1247
.LBB176_1239:
	s_mov_b64 s[2:3], -1
                                        ; implicit-def: $vgpr4_vgpr5
	s_branch .LBB176_1244
.LBB176_1240:
	s_mov_b64 s[2:3], -1
                                        ; implicit-def: $vgpr4_vgpr5
.LBB176_1241:
	s_and_b64 vcc, exec, s[2:3]
	s_cbranch_vccz .LBB176_1243
; %bb.1242:
	global_load_ubyte v3, v[0:1], off
	s_mov_b32 s2, 0x7f800000
	s_brev_b32 s3, 1
	s_waitcnt vmcnt(0)
	v_lshlrev_b32_e32 v3, 24, v3
	v_and_b32_e32 v4, 0x7f000000, v3
	v_ffbh_u32_e32 v5, v4
	v_min_u32_e32 v5, 32, v5
	v_sub_u32_e64 v5, v5, 4 clamp
	v_lshlrev_b32_e32 v7, v5, v4
	v_lshlrev_b32_e32 v5, 23, v5
	v_lshrrev_b32_e32 v7, 4, v7
	v_add_u32_e32 v6, 0x1000000, v4
	v_sub_u32_e32 v5, v7, v5
	v_ashrrev_i32_e32 v6, 8, v6
	v_add_u32_e32 v5, 0x3c000000, v5
	v_and_or_b32 v5, v6, s2, v5
	v_cmp_ne_u32_e32 vcc, 0, v4
	s_nop 1
	v_cndmask_b32_e32 v4, 0, v5, vcc
	v_and_or_b32 v4, v3, s3, v4
	v_mov_b32_e32 v5, 0
.LBB176_1243:
	s_mov_b64 s[2:3], 0
.LBB176_1244:
	s_andn2_b64 vcc, exec, s[2:3]
	s_cbranch_vccnz .LBB176_1246
; %bb.1245:
	global_load_ubyte v3, v[0:1], off
	s_movk_i32 s2, 0x7f00
	s_brev_b32 s3, 16
	s_brev_b32 s10, 1
	s_waitcnt vmcnt(0)
	v_lshlrev_b16_e32 v4, 8, v3
	v_lshlrev_b32_e32 v3, 25, v3
	v_lshrrev_b32_e32 v5, 4, v3
	v_and_or_b32 v6, v4, s2, 0.5
	v_or_b32_e32 v5, 0x70000000, v5
	v_add_f32_e32 v6, -0.5, v6
	v_mul_f32_e32 v5, 0x7800000, v5
	v_cmp_gt_u32_e32 vcc, s3, v3
	v_bfe_i32 v4, v4, 0, 16
	s_nop 0
	v_cndmask_b32_e32 v3, v5, v6, vcc
	v_and_or_b32 v4, v4, s10, v3
	v_mov_b32_e32 v5, 0
.LBB176_1246:
	s_mov_b64 s[10:11], -1
	s_mov_b64 s[2:3], 0
	s_cbranch_execnz .LBB176_1255
.LBB176_1247:
	s_cmp_gt_i32 s28, 14
	s_cbranch_scc0 .LBB176_1250
; %bb.1248:
	s_cmp_eq_u32 s28, 15
	s_cbranch_scc0 .LBB176_1251
; %bb.1249:
	global_load_ushort v3, v[0:1], off
	v_mov_b32_e32 v5, 0
	s_mov_b64 s[0:1], 0
	s_mov_b64 s[10:11], -1
	s_waitcnt vmcnt(0)
	v_lshlrev_b32_e32 v4, 16, v3
	s_branch .LBB176_1252
.LBB176_1250:
	s_mov_b64 s[16:17], -1
                                        ; implicit-def: $vgpr4_vgpr5
	s_branch .LBB176_1253
.LBB176_1251:
	s_mov_b64 s[0:1], -1
                                        ; implicit-def: $vgpr4_vgpr5
.LBB176_1252:
	s_mov_b64 s[16:17], 0
.LBB176_1253:
	s_and_b64 vcc, exec, s[16:17]
	s_cbranch_vccz .LBB176_1255
; %bb.1254:
	s_cmp_lg_u32 s28, 11
	s_mov_b64 s[2:3], -1
	s_cselect_b64 s[0:1], -1, 0
.LBB176_1255:
	s_and_b64 vcc, exec, s[0:1]
	s_mov_b64 s[16:17], s[14:15]
	s_cbranch_vccnz .LBB176_1354
; %bb.1256:
	s_andn2_b64 vcc, exec, s[2:3]
	s_cbranch_vccnz .LBB176_1258
.LBB176_1257:
	global_load_ubyte v3, v[0:1], off
	v_mov_b32_e32 v5, 0
	s_mov_b64 s[10:11], -1
	s_waitcnt vmcnt(0)
	v_cmp_ne_u16_e32 vcc, 0, v3
	s_nop 1
	v_cndmask_b32_e64 v4, 0, 1.0, vcc
.LBB176_1258:
	s_branch .LBB176_1187
.LBB176_1259:
	s_cmp_lt_i32 s28, 5
	s_cbranch_scc1 .LBB176_1264
; %bb.1260:
	s_cmp_lt_i32 s28, 8
	s_cbranch_scc1 .LBB176_1265
; %bb.1261:
	;; [unrolled: 3-line block ×3, first 2 shown]
	s_cmp_gt_i32 s28, 9
	s_cbranch_scc0 .LBB176_1267
; %bb.1263:
	global_load_dwordx4 v[6:9], v[0:1], off
	s_mov_b64 s[0:1], 0
	s_waitcnt vmcnt(0)
	v_cvt_f32_f64_e32 v5, v[8:9]
	v_cvt_f32_f64_e32 v4, v[6:7]
	s_branch .LBB176_1268
.LBB176_1264:
                                        ; implicit-def: $vgpr4_vgpr5
	s_branch .LBB176_1285
.LBB176_1265:
                                        ; implicit-def: $vgpr4_vgpr5
	s_branch .LBB176_1274
.LBB176_1266:
	s_mov_b64 s[0:1], -1
                                        ; implicit-def: $vgpr4_vgpr5
	s_branch .LBB176_1271
.LBB176_1267:
	s_mov_b64 s[0:1], -1
                                        ; implicit-def: $vgpr4_vgpr5
.LBB176_1268:
	s_andn2_b64 vcc, exec, s[0:1]
	s_cbranch_vccnz .LBB176_1270
; %bb.1269:
	global_load_dwordx2 v[4:5], v[0:1], off
.LBB176_1270:
	s_mov_b64 s[0:1], 0
.LBB176_1271:
	s_andn2_b64 vcc, exec, s[0:1]
	s_cbranch_vccnz .LBB176_1273
; %bb.1272:
	global_load_dword v3, v[0:1], off
	s_waitcnt vmcnt(0)
	v_cvt_f32_f16_sdwa v5, v3 dst_sel:DWORD dst_unused:UNUSED_PAD src0_sel:WORD_1
	v_cvt_f32_f16_e32 v4, v3
.LBB176_1273:
	s_cbranch_execnz .LBB176_1284
.LBB176_1274:
	s_cmp_lt_i32 s28, 6
	s_cbranch_scc1 .LBB176_1277
; %bb.1275:
	s_cmp_gt_i32 s28, 6
	s_cbranch_scc0 .LBB176_1278
; %bb.1276:
	global_load_dwordx2 v[6:7], v[0:1], off
	s_waitcnt vmcnt(1)
	v_mov_b32_e32 v5, 0
	s_mov_b64 s[0:1], 0
	s_waitcnt vmcnt(0)
	v_cvt_f32_f64_e32 v4, v[6:7]
	s_branch .LBB176_1279
.LBB176_1277:
	s_mov_b64 s[0:1], -1
                                        ; implicit-def: $vgpr4_vgpr5
	s_branch .LBB176_1282
.LBB176_1278:
	s_mov_b64 s[0:1], -1
                                        ; implicit-def: $vgpr4_vgpr5
.LBB176_1279:
	s_andn2_b64 vcc, exec, s[0:1]
	s_cbranch_vccnz .LBB176_1281
; %bb.1280:
	global_load_dword v4, v[0:1], off
	s_waitcnt vmcnt(1)
	v_mov_b32_e32 v5, 0
.LBB176_1281:
	s_mov_b64 s[0:1], 0
.LBB176_1282:
	s_andn2_b64 vcc, exec, s[0:1]
	s_cbranch_vccnz .LBB176_1284
; %bb.1283:
	global_load_ushort v3, v[0:1], off
	s_waitcnt vmcnt(1)
	v_mov_b32_e32 v5, 0
	s_waitcnt vmcnt(0)
	v_cvt_f32_f16_e32 v4, v3
.LBB176_1284:
	s_cbranch_execnz .LBB176_1303
.LBB176_1285:
	s_cmp_lt_i32 s28, 2
	s_cbranch_scc1 .LBB176_1289
; %bb.1286:
	s_cmp_lt_i32 s28, 3
	s_cbranch_scc1 .LBB176_1290
; %bb.1287:
	s_cmp_gt_i32 s28, 3
	s_cbranch_scc0 .LBB176_1291
; %bb.1288:
	global_load_dwordx2 v[4:5], v[0:1], off
	s_mov_b64 s[0:1], 0
	s_waitcnt vmcnt(0)
	v_xor_b32_e32 v6, v4, v5
	v_ffbh_i32_e32 v3, v5
	v_ashrrev_i32_e32 v6, 31, v6
	v_add_u32_e32 v3, -1, v3
	v_add_u32_e32 v6, 32, v6
	v_min_u32_e32 v3, v3, v6
	v_lshlrev_b64 v[4:5], v3, v[4:5]
	v_min_u32_e32 v4, 1, v4
	v_or_b32_e32 v4, v5, v4
	v_cvt_f32_i32_e32 v4, v4
	v_sub_u32_e32 v3, 32, v3
	v_mov_b32_e32 v5, 0
	v_ldexp_f32 v4, v4, v3
	s_branch .LBB176_1292
.LBB176_1289:
                                        ; implicit-def: $vgpr4_vgpr5
	s_branch .LBB176_1298
.LBB176_1290:
	s_mov_b64 s[0:1], -1
                                        ; implicit-def: $vgpr4_vgpr5
	s_branch .LBB176_1295
.LBB176_1291:
	s_mov_b64 s[0:1], -1
                                        ; implicit-def: $vgpr4_vgpr5
.LBB176_1292:
	s_andn2_b64 vcc, exec, s[0:1]
	s_cbranch_vccnz .LBB176_1294
; %bb.1293:
	global_load_dword v3, v[0:1], off
	s_waitcnt vmcnt(1)
	v_mov_b32_e32 v5, 0
	s_waitcnt vmcnt(0)
	v_cvt_f32_i32_e32 v4, v3
.LBB176_1294:
	s_mov_b64 s[0:1], 0
.LBB176_1295:
	s_andn2_b64 vcc, exec, s[0:1]
	s_cbranch_vccnz .LBB176_1297
; %bb.1296:
	global_load_sshort v3, v[0:1], off
	s_waitcnt vmcnt(1)
	v_mov_b32_e32 v5, 0
	s_waitcnt vmcnt(0)
	v_cvt_f32_i32_e32 v4, v3
.LBB176_1297:
	s_cbranch_execnz .LBB176_1303
.LBB176_1298:
	s_cmp_gt_i32 s28, 0
	s_cbranch_scc0 .LBB176_1300
; %bb.1299:
	global_load_sbyte v3, v[0:1], off
	s_waitcnt vmcnt(1)
	v_mov_b32_e32 v5, 0
	s_mov_b64 s[0:1], 0
	s_waitcnt vmcnt(0)
	v_cvt_f32_i32_e32 v4, v3
	s_branch .LBB176_1301
.LBB176_1300:
	s_mov_b64 s[0:1], -1
                                        ; implicit-def: $vgpr4_vgpr5
.LBB176_1301:
	s_andn2_b64 vcc, exec, s[0:1]
	s_cbranch_vccnz .LBB176_1303
; %bb.1302:
	global_load_ubyte v0, v[0:1], off
	s_waitcnt vmcnt(1)
	v_mov_b32_e32 v5, 0
	s_waitcnt vmcnt(0)
	v_cvt_f32_ubyte0_e32 v4, v0
.LBB176_1303:
.LBB176_1304:
	s_waitcnt vmcnt(0)
	v_cmp_neq_f32_e32 vcc, 0, v4
	v_cmp_neq_f32_e64 s[0:1], 0, v5
	v_mov_b32_e32 v3, 0
	s_or_b64 s[0:1], vcc, s[0:1]
	s_and_saveexec_b64 s[10:11], s[0:1]
	s_cbranch_execz .LBB176_1334
; %bb.1305:
	v_mov_b32_e32 v3, 0x7f800000
	v_cmp_neq_f32_e64 s[0:1], |v5|, v3
	s_and_saveexec_b64 s[18:19], s[0:1]
	s_cbranch_execz .LBB176_1333
; %bb.1306:
	v_cmp_o_f32_e32 vcc, v4, v4
                                        ; implicit-def: $vgpr3
	s_and_saveexec_b64 s[0:1], vcc
	s_xor_b64 s[20:21], exec, s[0:1]
	s_cbranch_execz .LBB176_1330
; %bb.1307:
	s_mov_b32 s0, 0x7f800000
	v_cmp_neq_f32_e64 s[0:1], |v4|, s0
                                        ; implicit-def: $vgpr3
	s_and_saveexec_b64 s[2:3], s[0:1]
	s_xor_b64 s[22:23], exec, s[2:3]
	s_cbranch_execz .LBB176_1323
; %bb.1308:
	v_max_f32_e64 v0, |v5|, |v5|
	v_max_f32_e64 v1, |v4|, |v4|
	v_max_f32_e32 v0, v1, v0
	s_mov_b32 s0, 0x7ed413cb
	v_cmp_nle_f32_e64 s[0:1], s0, v0
                                        ; implicit-def: $sgpr24_sgpr25
	s_and_saveexec_b64 s[2:3], s[0:1]
	s_xor_b64 s[2:3], exec, s[2:3]
	s_cbranch_execz .LBB176_1312
; %bb.1309:
	s_mov_b32 s26, 0x1000000
	v_cmp_le_f32_e64 s[24:25], |v4|, s26
	v_cmp_le_f32_e64 s[26:27], |v5|, s26
	s_and_b64 s[30:31], s[24:25], s[26:27]
	s_mov_b64 s[24:25], 0
	s_and_saveexec_b64 s[26:27], s[30:31]
; %bb.1310:
	s_mov_b64 s[24:25], exec
	v_pk_mul_f32 v[4:5], v[4:5], 4.0 op_sel_hi:[1,0]
; %bb.1311:
	s_or_b64 exec, exec, s[26:27]
.LBB176_1312:
	s_andn2_saveexec_b64 s[2:3], s[2:3]
; %bb.1313:
	s_mov_b32 s26, 0x3e800000
	v_pk_mul_f32 v[4:5], v[4:5], s[26:27] op_sel_hi:[1,0]
	s_andn2_b64 s[24:25], s[24:25], exec
; %bb.1314:
	s_or_b64 exec, exec, s[2:3]
	v_max_f32_e64 v0, |v5|, |v5|
	v_max_f32_e64 v1, |v4|, |v4|
	v_max_f32_e32 v3, v1, v0
	v_cvt_f64_f32_e32 v[0:1], v3
	v_frexp_exp_i32_f64_e32 v0, v[0:1]
	v_sub_u32_e32 v1, 0, v0
	v_ldexp_f32 v6, |v4|, v1
	v_ldexp_f32 v1, |v5|, v1
	v_mul_f32_e32 v1, v1, v1
	v_fmac_f32_e32 v1, v6, v6
	v_sqrt_f32_e32 v1, v1
	s_mov_b32 s2, 0x7f800000
	v_cmp_neq_f32_e64 s[2:3], s2, v3
	v_cmp_le_f32_e32 vcc, 0, v4
	v_ldexp_f32 v0, v1, v0
	v_mov_b32_e32 v1, 0x7f800000
	v_cndmask_b32_e64 v3, v1, v0, s[2:3]
                                        ; implicit-def: $vgpr0_vgpr1
	s_and_saveexec_b64 s[2:3], vcc
	s_xor_b64 s[26:27], exec, s[2:3]
	s_cbranch_execz .LBB176_1316
; %bb.1315:
	v_add_f32_e32 v0, v4, v3
	v_mul_f32_e32 v0, 0.5, v0
	s_mov_b32 s2, 0xf800000
	v_mul_f32_e32 v1, 0x4f800000, v0
	v_cmp_gt_f32_e32 vcc, s2, v0
	s_nop 1
	v_cndmask_b32_e32 v0, v0, v1, vcc
	v_sqrt_f32_e32 v1, v0
	s_nop 0
	v_add_u32_e32 v3, -1, v1
	v_fma_f32 v4, -v3, v1, v0
	v_cmp_ge_f32_e64 s[2:3], 0, v4
	v_add_u32_e32 v4, 1, v1
	s_nop 0
	v_cndmask_b32_e64 v3, v1, v3, s[2:3]
	v_fma_f32 v1, -v4, v1, v0
	v_cmp_lt_f32_e64 s[2:3], 0, v1
	s_nop 1
	v_cndmask_b32_e64 v1, v3, v4, s[2:3]
	v_mul_f32_e32 v3, 0x37800000, v1
	v_cndmask_b32_e32 v1, v1, v3, vcc
	v_mov_b32_e32 v3, 0x260
	v_cmp_class_f32_e32 vcc, v0, v3
	s_nop 1
	v_cndmask_b32_e32 v0, v1, v0, vcc
	v_add_f32_e32 v1, v0, v0
	v_div_scale_f32 v3, s[2:3], v1, v1, v5
	v_rcp_f32_e32 v4, v3
	s_nop 0
	v_fma_f32 v6, -v3, v4, 1.0
	v_fmac_f32_e32 v4, v6, v4
	v_div_scale_f32 v6, vcc, v5, v1, v5
	v_mul_f32_e32 v7, v6, v4
	v_fma_f32 v8, -v3, v7, v6
	v_fmac_f32_e32 v7, v8, v4
	v_fma_f32 v3, -v3, v7, v6
	v_div_fmas_f32 v3, v3, v4, v7
	v_div_fixup_f32 v1, v3, v1, v5
                                        ; implicit-def: $vgpr3
                                        ; implicit-def: $vgpr4_vgpr5
	s_andn2_saveexec_b64 s[26:27], s[26:27]
	s_cbranch_execz .LBB176_1318
	s_branch .LBB176_1317
.LBB176_1316:
	s_andn2_saveexec_b64 s[26:27], s[26:27]
	s_cbranch_execz .LBB176_1318
.LBB176_1317:
	v_sub_f32_e32 v0, v3, v4
	v_mul_f32_e32 v0, 0.5, v0
	s_mov_b32 s2, 0xf800000
	v_mul_f32_e32 v1, 0x4f800000, v0
	v_cmp_gt_f32_e32 vcc, s2, v0
	s_nop 1
	v_cndmask_b32_e32 v0, v0, v1, vcc
	v_sqrt_f32_e32 v1, v0
	s_nop 0
	v_add_u32_e32 v3, -1, v1
	v_fma_f32 v4, -v3, v1, v0
	v_cmp_ge_f32_e64 s[2:3], 0, v4
	v_add_u32_e32 v4, 1, v1
	s_nop 0
	v_cndmask_b32_e64 v3, v1, v3, s[2:3]
	v_fma_f32 v1, -v4, v1, v0
	v_cmp_lt_f32_e64 s[2:3], 0, v1
	s_nop 1
	v_cndmask_b32_e64 v1, v3, v4, s[2:3]
	v_mul_f32_e32 v3, 0x37800000, v1
	v_cndmask_b32_e32 v1, v1, v3, vcc
	v_mov_b32_e32 v3, 0x260
	v_cmp_class_f32_e32 vcc, v0, v3
	v_and_b32_e32 v3, 0x7fffffff, v5
	s_nop 0
	v_cndmask_b32_e32 v1, v1, v0, vcc
	v_add_f32_e32 v0, v1, v1
	v_div_scale_f32 v4, s[2:3], v0, v0, v3
	v_rcp_f32_e32 v6, v4
	v_div_scale_f32 v3, vcc, v3, v0, v3
	s_brev_b32 s2, -2
	v_fma_f32 v7, -v4, v6, 1.0
	v_fmac_f32_e32 v6, v7, v6
	v_mul_f32_e32 v7, v3, v6
	v_fma_f32 v8, -v4, v7, v3
	v_fmac_f32_e32 v7, v8, v6
	v_fma_f32 v3, -v4, v7, v3
	v_div_fmas_f32 v3, v3, v6, v7
	v_div_fixup_f32 v0, v3, v0, |v5|
	v_bfi_b32 v1, s2, v1, v5
.LBB176_1318:
	s_or_b64 exec, exec, s[26:27]
                                        ; implicit-def: $vgpr5
                                        ; implicit-def: $vgpr3
	s_and_saveexec_b64 s[2:3], s[0:1]
	s_xor_b64 s[0:1], exec, s[2:3]
	s_cbranch_execz .LBB176_1320
; %bb.1319:
	v_pk_mul_f32 v[4:5], v[0:1], 0.5 op_sel_hi:[1,0]
	s_nop 0
	v_cndmask_b32_e64 v3, v0, v4, s[24:25]
	v_cndmask_b32_e64 v5, v1, v5, s[24:25]
                                        ; implicit-def: $vgpr0_vgpr1
	s_andn2_saveexec_b64 s[0:1], s[0:1]
	s_cbranch_execnz .LBB176_1321
	s_branch .LBB176_1322
.LBB176_1320:
	s_andn2_saveexec_b64 s[0:1], s[0:1]
.LBB176_1321:
	v_pk_add_f32 v[4:5], v[0:1], v[0:1]
	s_nop 0
	v_mov_b32_e32 v3, v4
.LBB176_1322:
	s_or_b64 exec, exec, s[0:1]
.LBB176_1323:
	s_andn2_saveexec_b64 s[0:1], s[22:23]
	s_cbranch_execz .LBB176_1329
; %bb.1324:
	v_sub_f32_e32 v0, v5, v5
	v_cmp_lt_i32_e32 vcc, -1, v4
	s_brev_b32 s22, -2
	v_and_b32_e32 v3, 0x7fffffff, v0
	s_and_saveexec_b64 s[2:3], vcc
	s_xor_b64 s[2:3], exec, s[2:3]
; %bb.1325:
	v_bfi_b32 v5, s22, v0, v5
	v_mov_b32_e32 v3, v4
; %bb.1326:
	s_andn2_saveexec_b64 s[2:3], s[2:3]
; %bb.1327:
	v_bfi_b32 v5, s22, v4, v5
; %bb.1328:
	s_or_b64 exec, exec, s[2:3]
.LBB176_1329:
	s_or_b64 exec, exec, s[0:1]
.LBB176_1330:
	s_andn2_saveexec_b64 s[0:1], s[20:21]
	s_cbranch_execz .LBB176_1332
; %bb.1331:
	v_sub_f32_e32 v0, v5, v5
	v_div_scale_f32 v1, vcc, v0, v0, v0
	v_rcp_f32_e32 v3, v1
	s_nop 0
	v_fma_f32 v5, -v1, v3, 1.0
	v_fmac_f32_e32 v3, v5, v3
	v_mul_f32_e32 v5, v1, v3
	v_fma_f32 v6, -v1, v5, v1
	v_fmac_f32_e32 v5, v6, v3
	v_fma_f32 v1, -v1, v5, v1
	v_div_fmas_f32 v1, v1, v3, v5
	v_div_fixup_f32 v5, v1, v0, v0
	v_mov_b32_e32 v3, v4
.LBB176_1332:
	s_or_b64 exec, exec, s[0:1]
.LBB176_1333:
	s_or_b64 exec, exec, s[18:19]
.LBB176_1334:
	s_or_b64 exec, exec, s[10:11]
	v_cmp_gt_f32_e32 vcc, 0, v5
                                        ; implicit-def: $vgpr0_vgpr1
	s_nop 1
	v_cndmask_b32_e64 v6, v5, -v5, vcc
	v_cmp_gt_f32_e32 vcc, 0, v3
	s_nop 1
	v_cndmask_b32_e64 v4, v3, -v3, vcc
	v_cmp_ge_f32_e32 vcc, v4, v6
	s_and_saveexec_b64 s[0:1], vcc
	s_xor_b64 s[2:3], exec, s[0:1]
	s_cbranch_execz .LBB176_1340
; %bb.1335:
	v_cmp_neq_f32_e32 vcc, 0, v3
	v_cmp_neq_f32_e64 s[0:1], 0, v5
	s_or_b64 s[0:1], vcc, s[0:1]
                                        ; implicit-def: $vgpr0_vgpr1
	s_and_saveexec_b64 s[10:11], s[0:1]
	s_xor_b64 s[0:1], exec, s[10:11]
	s_cbranch_execz .LBB176_1337
; %bb.1336:
	v_div_scale_f32 v0, s[10:11], v3, v3, v5
	v_rcp_f32_e32 v1, v0
	v_div_scale_f32 v4, vcc, v5, v3, v5
	v_fma_f32 v6, -v0, v1, 1.0
	v_fmac_f32_e32 v1, v6, v1
	v_mul_f32_e32 v6, v4, v1
	v_fma_f32 v7, -v0, v6, v4
	v_fmac_f32_e32 v6, v7, v1
	v_fma_f32 v0, -v0, v6, v4
	v_div_fmas_f32 v0, v0, v1, v6
	v_div_fixup_f32 v1, v0, v3, v5
	v_fmac_f32_e32 v3, v5, v1
	v_div_scale_f32 v0, s[10:11], v3, v3, 1.0
	v_rcp_f32_e32 v4, v0
	s_nop 0
	v_fma_f32 v5, -v0, v4, 1.0
	v_fmac_f32_e32 v4, v5, v4
	v_div_scale_f32 v5, vcc, 1.0, v3, 1.0
	v_mul_f32_e32 v6, v5, v4
	v_fma_f32 v7, -v0, v6, v5
	v_fmac_f32_e32 v6, v7, v4
	v_fma_f32 v0, -v0, v6, v5
	v_div_fmas_f32 v0, v0, v4, v6
	v_div_fixup_f32 v0, v0, v3, 1.0
	v_mul_f32_e32 v3, 0, v1
	v_sub_f32_e32 v5, 0, v1
	v_add_f32_e32 v4, 1.0, v3
	v_pk_mul_f32 v[0:1], v[4:5], v[0:1] op_sel_hi:[1,0]
                                        ; implicit-def: $vgpr6
                                        ; implicit-def: $vgpr4
.LBB176_1337:
	s_andn2_saveexec_b64 s[0:1], s[0:1]
	s_cbranch_execz .LBB176_1339
; %bb.1338:
	v_div_scale_f32 v0, s[10:11], v6, v6, 0
	v_rcp_f32_e32 v1, v0
	v_div_scale_f32 v3, vcc, 0, v6, 0
	v_fma_f32 v5, -v0, v1, 1.0
	v_fmac_f32_e32 v1, v5, v1
	v_mul_f32_e32 v5, v3, v1
	v_fma_f32 v7, -v0, v5, v3
	v_fmac_f32_e32 v5, v7, v1
	v_fma_f32 v0, -v0, v5, v3
	v_div_scale_f32 v3, s[10:11], v4, v4, 1.0
	v_rcp_f32_e32 v7, v3
	v_div_fmas_f32 v0, v0, v1, v5
	v_div_fixup_f32 v1, v0, v6, 0
	v_fma_f32 v0, -v3, v7, 1.0
	v_fmac_f32_e32 v7, v0, v7
	v_div_scale_f32 v0, vcc, 1.0, v4, 1.0
	v_mul_f32_e32 v5, v0, v7
	v_fma_f32 v6, -v3, v5, v0
	v_fmac_f32_e32 v5, v6, v7
	v_fma_f32 v0, -v3, v5, v0
	v_div_fmas_f32 v0, v0, v7, v5
	v_div_fixup_f32 v0, v0, v4, 1.0
.LBB176_1339:
	s_or_b64 exec, exec, s[0:1]
                                        ; implicit-def: $vgpr5
                                        ; implicit-def: $vgpr3
.LBB176_1340:
	s_andn2_saveexec_b64 s[0:1], s[2:3]
	s_cbranch_execz .LBB176_1342
; %bb.1341:
	v_div_scale_f32 v0, s[2:3], v5, v5, v3
	v_rcp_f32_e32 v1, v0
	v_div_scale_f32 v4, vcc, v3, v5, v3
	v_fma_f32 v6, -v0, v1, 1.0
	v_fmac_f32_e32 v1, v6, v1
	v_mul_f32_e32 v6, v4, v1
	v_fma_f32 v7, -v0, v6, v4
	v_fmac_f32_e32 v6, v7, v1
	v_fma_f32 v0, -v0, v6, v4
	v_div_fmas_f32 v0, v0, v1, v6
	v_div_fixup_f32 v0, v0, v5, v3
	v_fmac_f32_e32 v5, v3, v0
	v_div_scale_f32 v1, s[2:3], v5, v5, 1.0
	v_rcp_f32_e32 v3, v1
	s_mov_b32 s2, 0
	s_mov_b32 s3, -1.0
	v_fma_f32 v4, -v1, v3, 1.0
	v_fmac_f32_e32 v3, v4, v3
	v_div_scale_f32 v4, vcc, 1.0, v5, 1.0
	v_mul_f32_e32 v6, v4, v3
	v_fma_f32 v7, -v1, v6, v4
	v_fmac_f32_e32 v6, v7, v3
	v_fma_f32 v1, -v1, v6, v4
	v_div_fmas_f32 v1, v1, v3, v6
	v_div_fixup_f32 v4, v1, v5, 1.0
	v_mul_f32_e32 v1, 0, v0
	v_pk_add_f32 v[0:1], v[0:1], s[2:3]
	s_nop 0
	v_pk_mul_f32 v[0:1], v[0:1], v[4:5] op_sel_hi:[1,0]
.LBB176_1342:
	s_or_b64 exec, exec, s[0:1]
	s_lshl_b32 s9, s9, 7
	v_add_u32_e32 v4, s9, v2
	v_ashrrev_i32_e32 v5, 31, v4
	s_cmp_lt_i32 s28, 11
	v_lshl_add_u64 v[2:3], s[6:7], 0, v[4:5]
	s_cbranch_scc1 .LBB176_1349
; %bb.1343:
	s_cmp_gt_i32 s28, 25
	s_mov_b64 s[2:3], 0
	s_cbranch_scc0 .LBB176_1351
; %bb.1344:
	s_cmp_gt_i32 s28, 28
	s_cbranch_scc0 .LBB176_1352
; %bb.1345:
	s_cmp_gt_i32 s28, 43
	;; [unrolled: 3-line block ×3, first 2 shown]
	s_cbranch_scc0 .LBB176_1355
; %bb.1347:
	s_cmp_eq_u32 s28, 46
	s_mov_b64 s[18:19], 0
	s_cbranch_scc0 .LBB176_1358
; %bb.1348:
	global_load_dword v5, v[2:3], off
	s_mov_b64 s[0:1], 0
	s_mov_b64 s[10:11], -1
	s_waitcnt vmcnt(0)
	v_and_b32_e32 v7, 0xffff0000, v5
	v_lshlrev_b32_e32 v6, 16, v5
	s_branch .LBB176_1359
.LBB176_1349:
	s_mov_b64 s[10:11], 0
                                        ; implicit-def: $vgpr6_vgpr7
	s_cbranch_execnz .LBB176_1424
.LBB176_1350:
	s_andn2_b64 vcc, exec, s[10:11]
	s_cbranch_vccnz .LBB176_1818
	s_branch .LBB176_1471
.LBB176_1351:
	s_mov_b64 s[10:11], 0
	s_mov_b64 s[0:1], 0
                                        ; implicit-def: $vgpr6_vgpr7
	s_cbranch_execnz .LBB176_1390
	s_branch .LBB176_1420
.LBB176_1352:
	s_mov_b64 s[18:19], -1
	s_mov_b64 s[10:11], 0
	s_mov_b64 s[0:1], 0
                                        ; implicit-def: $vgpr6_vgpr7
	s_branch .LBB176_1369
.LBB176_1353:
	s_mov_b64 s[18:19], -1
	s_mov_b64 s[10:11], 0
	s_mov_b64 s[0:1], 0
                                        ; implicit-def: $vgpr6_vgpr7
	s_branch .LBB176_1364
.LBB176_1354:
	s_or_b64 s[16:17], s[14:15], exec
	s_trap 2
	s_cbranch_execz .LBB176_1257
	s_branch .LBB176_1258
.LBB176_1355:
	s_mov_b64 s[18:19], -1
	s_mov_b64 s[10:11], 0
	s_mov_b64 s[0:1], 0
                                        ; implicit-def: $vgpr6_vgpr7
	s_branch .LBB176_1359
.LBB176_1356:
	s_andn2_saveexec_b64 s[24:25], s[24:25]
	s_cbranch_execz .LBB176_1103
.LBB176_1357:
	s_mov_b32 s28, 0x42800000
	v_add_f32_e64 v0, |v2|, s28
	v_and_b32_e32 v0, 0xff, v0
	v_cmp_ne_u32_e32 vcc, 0, v0
	s_andn2_b64 s[22:23], s[22:23], exec
	s_and_b64 s[28:29], vcc, exec
	s_or_b64 s[22:23], s[22:23], s[28:29]
	s_or_b64 exec, exec, s[24:25]
	v_mov_b32_e32 v1, 0
	s_and_saveexec_b64 s[24:25], s[22:23]
	s_cbranch_execnz .LBB176_1104
	s_branch .LBB176_1105
.LBB176_1358:
	s_mov_b64 s[0:1], -1
                                        ; implicit-def: $vgpr6_vgpr7
	s_mov_b64 s[10:11], 0
.LBB176_1359:
	s_and_b64 vcc, exec, s[18:19]
	s_cbranch_vccz .LBB176_1363
; %bb.1360:
	s_cmp_eq_u32 s28, 44
	s_cbranch_scc0 .LBB176_1362
; %bb.1361:
	global_load_ubyte v5, v[2:3], off
	s_movk_i32 s10, 0xff
	v_mov_b32_e32 v6, 0x7f800001
	v_mov_b32_e32 v8, 0x400000
	;; [unrolled: 1-line block ×3, first 2 shown]
	s_mov_b64 s[0:1], 0
	s_waitcnt vmcnt(0)
	v_lshlrev_b32_e32 v9, 23, v5
	v_cmp_ne_u32_e32 vcc, s10, v5
	s_mov_b64 s[10:11], -1
	s_nop 0
	v_cndmask_b32_e32 v6, v6, v9, vcc
	v_cmp_ne_u32_e32 vcc, 0, v5
	s_nop 1
	v_cndmask_b32_e32 v6, v8, v6, vcc
	s_branch .LBB176_1363
.LBB176_1362:
	s_mov_b64 s[0:1], -1
                                        ; implicit-def: $vgpr6_vgpr7
.LBB176_1363:
	s_mov_b64 s[18:19], 0
.LBB176_1364:
	s_and_b64 vcc, exec, s[18:19]
	s_cbranch_vccz .LBB176_1368
; %bb.1365:
	s_cmp_eq_u32 s28, 29
	s_cbranch_scc0 .LBB176_1367
; %bb.1366:
	global_load_dwordx2 v[6:7], v[2:3], off
	s_mov_b64 s[0:1], 0
	s_mov_b64 s[10:11], -1
	s_mov_b64 s[18:19], 0
	s_waitcnt vmcnt(0)
	v_ffbh_u32_e32 v5, v7
	v_min_u32_e32 v5, 32, v5
	v_lshlrev_b64 v[6:7], v5, v[6:7]
	v_min_u32_e32 v6, 1, v6
	v_or_b32_e32 v6, v7, v6
	v_cvt_f32_u32_e32 v6, v6
	v_sub_u32_e32 v5, 32, v5
	v_mov_b32_e32 v7, 0
	v_ldexp_f32 v6, v6, v5
	s_branch .LBB176_1369
.LBB176_1367:
	s_mov_b64 s[0:1], -1
                                        ; implicit-def: $vgpr6_vgpr7
.LBB176_1368:
	s_mov_b64 s[18:19], 0
.LBB176_1369:
	s_and_b64 vcc, exec, s[18:19]
	s_cbranch_vccz .LBB176_1389
; %bb.1370:
	s_cmp_lt_i32 s28, 27
	s_cbranch_scc1 .LBB176_1373
; %bb.1371:
	s_cmp_gt_i32 s28, 27
	s_cbranch_scc0 .LBB176_1374
; %bb.1372:
	global_load_dword v5, v[2:3], off
	v_mov_b32_e32 v7, 0
	s_mov_b64 s[10:11], 0
	s_waitcnt vmcnt(0)
	v_cvt_f32_u32_e32 v6, v5
	s_branch .LBB176_1375
.LBB176_1373:
	s_mov_b64 s[10:11], -1
                                        ; implicit-def: $vgpr6_vgpr7
	s_branch .LBB176_1378
.LBB176_1374:
	s_mov_b64 s[10:11], -1
                                        ; implicit-def: $vgpr6_vgpr7
.LBB176_1375:
	s_andn2_b64 vcc, exec, s[10:11]
	s_cbranch_vccnz .LBB176_1377
; %bb.1376:
	global_load_ushort v5, v[2:3], off
	v_mov_b32_e32 v7, 0
	s_waitcnt vmcnt(0)
	v_cvt_f32_u32_e32 v6, v5
.LBB176_1377:
	s_mov_b64 s[10:11], 0
.LBB176_1378:
	s_andn2_b64 vcc, exec, s[10:11]
	s_cbranch_vccnz .LBB176_1388
; %bb.1379:
	global_load_ubyte v5, v[2:3], off
	s_movk_i32 s10, 0x7f
	s_waitcnt vmcnt(0)
	v_cmp_lt_i16_e32 vcc, s10, v5
	s_mov_b64 s[10:11], 0
	s_and_saveexec_b64 s[18:19], vcc
	s_xor_b64 s[18:19], exec, s[18:19]
	s_cbranch_execz .LBB176_1383
; %bb.1380:
	s_movk_i32 s10, 0x80
	v_cmp_eq_u16_e32 vcc, s10, v5
	s_mov_b64 s[10:11], -1
	s_and_saveexec_b64 s[20:21], vcc
; %bb.1381:
	s_xor_b64 s[10:11], exec, -1
; %bb.1382:
	s_or_b64 exec, exec, s[20:21]
	s_and_b64 s[10:11], s[10:11], exec
.LBB176_1383:
	s_or_saveexec_b64 s[18:19], s[18:19]
	v_mov_b32_e32 v6, 0x7f800001
	v_mov_b32_e32 v7, 0
	s_xor_b64 exec, exec, s[18:19]
; %bb.1384:
	v_cmp_ne_u16_e32 vcc, 0, v5
	s_andn2_b64 s[10:11], s[10:11], exec
	s_and_b64 s[20:21], vcc, exec
	v_mov_b32_e32 v6, v7
	s_or_b64 s[10:11], s[10:11], s[20:21]
; %bb.1385:
	s_or_b64 exec, exec, s[18:19]
	s_and_saveexec_b64 s[18:19], s[10:11]
	s_cbranch_execz .LBB176_1387
; %bb.1386:
	v_lshlrev_b32_e32 v6, 24, v5
	v_and_b32_e32 v5, 0xffff, v5
	v_and_b32_e32 v7, 7, v5
	v_ffbh_u32_e32 v9, v7
	v_min_u32_e32 v9, 32, v9
	v_subrev_u32_e32 v11, 28, v9
	v_bfe_u32 v8, v5, 3, 4
	v_lshlrev_b32_e32 v5, v11, v5
	v_sub_u32_e32 v9, 29, v9
	v_and_b32_e32 v5, 7, v5
	v_cmp_eq_u32_e32 vcc, 0, v8
	v_and_b32_e32 v6, 0x80000000, v6
	s_nop 0
	v_cndmask_b32_e32 v8, v8, v9, vcc
	v_cndmask_b32_e32 v5, v7, v5, vcc
	v_mov_b32_e32 v7, 0x3b800000
	v_lshlrev_b32_e32 v5, 20, v5
	v_lshl_add_u32 v7, v8, 23, v7
	v_or3_b32 v6, v6, v7, v5
	v_mov_b32_e32 v7, 0
.LBB176_1387:
	s_or_b64 exec, exec, s[18:19]
.LBB176_1388:
	s_mov_b64 s[10:11], -1
.LBB176_1389:
	s_branch .LBB176_1420
.LBB176_1390:
	s_cmp_gt_i32 s28, 22
	s_cbranch_scc0 .LBB176_1402
; %bb.1391:
	s_cmp_lt_i32 s28, 24
	s_cbranch_scc1 .LBB176_1403
; %bb.1392:
	s_cmp_gt_i32 s28, 24
	s_cbranch_scc0 .LBB176_1404
; %bb.1393:
	global_load_ubyte v5, v[2:3], off
	s_movk_i32 s2, 0x7f
	s_waitcnt vmcnt(0)
	v_cmp_lt_i16_e32 vcc, s2, v5
	s_mov_b64 s[2:3], 0
	s_and_saveexec_b64 s[10:11], vcc
	s_xor_b64 s[10:11], exec, s[10:11]
	s_cbranch_execz .LBB176_1397
; %bb.1394:
	s_movk_i32 s2, 0x80
	v_cmp_eq_u16_e32 vcc, s2, v5
	s_mov_b64 s[2:3], -1
	s_and_saveexec_b64 s[18:19], vcc
; %bb.1395:
	s_xor_b64 s[2:3], exec, -1
; %bb.1396:
	s_or_b64 exec, exec, s[18:19]
	s_and_b64 s[2:3], s[2:3], exec
.LBB176_1397:
	s_or_saveexec_b64 s[10:11], s[10:11]
	v_mov_b32_e32 v6, 0x7f800001
	v_mov_b32_e32 v7, 0
	s_xor_b64 exec, exec, s[10:11]
; %bb.1398:
	v_cmp_ne_u16_e32 vcc, 0, v5
	s_andn2_b64 s[2:3], s[2:3], exec
	s_and_b64 s[18:19], vcc, exec
	v_mov_b32_e32 v6, v7
	s_or_b64 s[2:3], s[2:3], s[18:19]
; %bb.1399:
	s_or_b64 exec, exec, s[10:11]
	s_and_saveexec_b64 s[10:11], s[2:3]
	s_cbranch_execz .LBB176_1401
; %bb.1400:
	v_lshlrev_b32_e32 v6, 24, v5
	v_and_b32_e32 v5, 0xffff, v5
	v_and_b32_e32 v7, 3, v5
	v_ffbh_u32_e32 v9, v7
	v_min_u32_e32 v9, 32, v9
	v_subrev_u32_e32 v11, 29, v9
	v_bfe_u32 v8, v5, 2, 5
	v_lshlrev_b32_e32 v5, v11, v5
	v_sub_u32_e32 v9, 30, v9
	v_and_b32_e32 v5, 3, v5
	v_cmp_eq_u32_e32 vcc, 0, v8
	v_and_b32_e32 v6, 0x80000000, v6
	s_nop 0
	v_cndmask_b32_e32 v8, v8, v9, vcc
	v_cndmask_b32_e32 v5, v7, v5, vcc
	v_mov_b32_e32 v7, 0x37800000
	v_lshlrev_b32_e32 v5, 21, v5
	v_lshl_add_u32 v7, v8, 23, v7
	v_or3_b32 v6, v6, v7, v5
	v_mov_b32_e32 v7, 0
.LBB176_1401:
	s_or_b64 exec, exec, s[10:11]
	s_mov_b64 s[2:3], 0
	s_branch .LBB176_1405
.LBB176_1402:
	s_mov_b64 s[2:3], -1
                                        ; implicit-def: $vgpr6_vgpr7
	s_branch .LBB176_1411
.LBB176_1403:
	s_mov_b64 s[2:3], -1
                                        ; implicit-def: $vgpr6_vgpr7
	s_branch .LBB176_1408
.LBB176_1404:
	s_mov_b64 s[2:3], -1
                                        ; implicit-def: $vgpr6_vgpr7
.LBB176_1405:
	s_and_b64 vcc, exec, s[2:3]
	s_cbranch_vccz .LBB176_1407
; %bb.1406:
	global_load_ubyte v5, v[2:3], off
	s_mov_b32 s2, 0x7f800000
	s_brev_b32 s3, 1
	s_waitcnt vmcnt(0)
	v_lshlrev_b32_e32 v5, 24, v5
	v_and_b32_e32 v6, 0x7f000000, v5
	v_ffbh_u32_e32 v7, v6
	v_min_u32_e32 v7, 32, v7
	v_sub_u32_e64 v7, v7, 4 clamp
	v_lshlrev_b32_e32 v9, v7, v6
	v_lshlrev_b32_e32 v7, 23, v7
	v_lshrrev_b32_e32 v9, 4, v9
	v_add_u32_e32 v8, 0x1000000, v6
	v_sub_u32_e32 v7, v9, v7
	v_ashrrev_i32_e32 v8, 8, v8
	v_add_u32_e32 v7, 0x3c000000, v7
	v_and_or_b32 v7, v8, s2, v7
	v_cmp_ne_u32_e32 vcc, 0, v6
	s_nop 1
	v_cndmask_b32_e32 v6, 0, v7, vcc
	v_and_or_b32 v6, v5, s3, v6
	v_mov_b32_e32 v7, 0
.LBB176_1407:
	s_mov_b64 s[2:3], 0
.LBB176_1408:
	s_andn2_b64 vcc, exec, s[2:3]
	s_cbranch_vccnz .LBB176_1410
; %bb.1409:
	global_load_ubyte v5, v[2:3], off
	s_movk_i32 s2, 0x7f00
	s_brev_b32 s3, 16
	s_brev_b32 s10, 1
	s_waitcnt vmcnt(0)
	v_lshlrev_b16_e32 v6, 8, v5
	v_lshlrev_b32_e32 v5, 25, v5
	v_lshrrev_b32_e32 v7, 4, v5
	v_and_or_b32 v8, v6, s2, 0.5
	v_or_b32_e32 v7, 0x70000000, v7
	v_add_f32_e32 v8, -0.5, v8
	v_mul_f32_e32 v7, 0x7800000, v7
	v_cmp_gt_u32_e32 vcc, s3, v5
	v_bfe_i32 v6, v6, 0, 16
	s_nop 0
	v_cndmask_b32_e32 v5, v7, v8, vcc
	v_and_or_b32 v6, v6, s10, v5
	v_mov_b32_e32 v7, 0
.LBB176_1410:
	s_mov_b64 s[2:3], 0
	s_mov_b64 s[10:11], -1
.LBB176_1411:
	s_andn2_b64 vcc, exec, s[2:3]
	s_mov_b64 s[2:3], 0
	s_cbranch_vccnz .LBB176_1420
; %bb.1412:
	s_cmp_gt_i32 s28, 14
	s_cbranch_scc0 .LBB176_1415
; %bb.1413:
	s_cmp_eq_u32 s28, 15
	s_cbranch_scc0 .LBB176_1416
; %bb.1414:
	global_load_ushort v5, v[2:3], off
	v_mov_b32_e32 v7, 0
	s_mov_b64 s[0:1], 0
	s_mov_b64 s[10:11], -1
	s_waitcnt vmcnt(0)
	v_lshlrev_b32_e32 v6, 16, v5
	s_branch .LBB176_1417
.LBB176_1415:
	s_mov_b64 s[18:19], -1
                                        ; implicit-def: $vgpr6_vgpr7
	s_branch .LBB176_1418
.LBB176_1416:
	s_mov_b64 s[0:1], -1
                                        ; implicit-def: $vgpr6_vgpr7
.LBB176_1417:
	s_mov_b64 s[18:19], 0
.LBB176_1418:
	s_and_b64 vcc, exec, s[18:19]
	s_cbranch_vccz .LBB176_1420
; %bb.1419:
	s_cmp_lg_u32 s28, 11
	s_mov_b64 s[2:3], -1
	s_cselect_b64 s[0:1], -1, 0
.LBB176_1420:
	s_and_b64 vcc, exec, s[0:1]
	s_cbranch_vccnz .LBB176_1521
; %bb.1421:
	s_andn2_b64 vcc, exec, s[2:3]
	s_cbranch_vccnz .LBB176_1423
.LBB176_1422:
	global_load_ubyte v5, v[2:3], off
	v_mov_b32_e32 v7, 0
	s_mov_b64 s[10:11], -1
	s_waitcnt vmcnt(0)
	v_cmp_ne_u16_e32 vcc, 0, v5
	s_nop 1
	v_cndmask_b32_e64 v6, 0, 1.0, vcc
.LBB176_1423:
	s_branch .LBB176_1350
.LBB176_1424:
	s_cmp_lt_i32 s28, 5
	s_cbranch_scc1 .LBB176_1429
; %bb.1425:
	s_cmp_lt_i32 s28, 8
	s_cbranch_scc1 .LBB176_1430
; %bb.1426:
	;; [unrolled: 3-line block ×3, first 2 shown]
	s_cmp_gt_i32 s28, 9
	s_cbranch_scc0 .LBB176_1432
; %bb.1428:
	global_load_dwordx4 v[12:15], v[2:3], off
	s_mov_b64 s[0:1], 0
	s_waitcnt vmcnt(0)
	v_cvt_f32_f64_e32 v7, v[14:15]
	v_cvt_f32_f64_e32 v6, v[12:13]
	s_branch .LBB176_1433
.LBB176_1429:
                                        ; implicit-def: $vgpr6_vgpr7
	s_branch .LBB176_1451
.LBB176_1430:
	s_mov_b64 s[0:1], -1
                                        ; implicit-def: $vgpr6_vgpr7
	s_branch .LBB176_1439
.LBB176_1431:
	s_mov_b64 s[0:1], -1
                                        ; implicit-def: $vgpr6_vgpr7
	s_branch .LBB176_1436
.LBB176_1432:
	s_mov_b64 s[0:1], -1
                                        ; implicit-def: $vgpr6_vgpr7
.LBB176_1433:
	s_andn2_b64 vcc, exec, s[0:1]
	s_cbranch_vccnz .LBB176_1435
; %bb.1434:
	global_load_dwordx2 v[6:7], v[2:3], off
.LBB176_1435:
	s_mov_b64 s[0:1], 0
.LBB176_1436:
	s_andn2_b64 vcc, exec, s[0:1]
	s_cbranch_vccnz .LBB176_1438
; %bb.1437:
	global_load_dword v5, v[2:3], off
	s_waitcnt vmcnt(0)
	v_cvt_f32_f16_sdwa v7, v5 dst_sel:DWORD dst_unused:UNUSED_PAD src0_sel:WORD_1
	v_cvt_f32_f16_e32 v6, v5
.LBB176_1438:
	s_mov_b64 s[0:1], 0
.LBB176_1439:
	s_andn2_b64 vcc, exec, s[0:1]
	s_cbranch_vccnz .LBB176_1450
; %bb.1440:
	s_cmp_lt_i32 s28, 6
	s_cbranch_scc1 .LBB176_1443
; %bb.1441:
	s_cmp_gt_i32 s28, 6
	s_cbranch_scc0 .LBB176_1444
; %bb.1442:
	global_load_dwordx2 v[8:9], v[2:3], off
	s_waitcnt vmcnt(1)
	v_mov_b32_e32 v7, 0
	s_mov_b64 s[0:1], 0
	s_waitcnt vmcnt(0)
	v_cvt_f32_f64_e32 v6, v[8:9]
	s_branch .LBB176_1445
.LBB176_1443:
	s_mov_b64 s[0:1], -1
                                        ; implicit-def: $vgpr6_vgpr7
	s_branch .LBB176_1448
.LBB176_1444:
	s_mov_b64 s[0:1], -1
                                        ; implicit-def: $vgpr6_vgpr7
.LBB176_1445:
	s_andn2_b64 vcc, exec, s[0:1]
	s_cbranch_vccnz .LBB176_1447
; %bb.1446:
	global_load_dword v6, v[2:3], off
	s_waitcnt vmcnt(1)
	v_mov_b32_e32 v7, 0
.LBB176_1447:
	s_mov_b64 s[0:1], 0
.LBB176_1448:
	s_andn2_b64 vcc, exec, s[0:1]
	s_cbranch_vccnz .LBB176_1450
; %bb.1449:
	global_load_ushort v5, v[2:3], off
	s_waitcnt vmcnt(1)
	v_mov_b32_e32 v7, 0
	s_waitcnt vmcnt(0)
	v_cvt_f32_f16_e32 v6, v5
.LBB176_1450:
	s_cbranch_execnz .LBB176_1470
.LBB176_1451:
	s_cmp_lt_i32 s28, 2
	s_cbranch_scc1 .LBB176_1455
; %bb.1452:
	s_cmp_lt_i32 s28, 3
	s_cbranch_scc1 .LBB176_1456
; %bb.1453:
	s_cmp_gt_i32 s28, 3
	s_cbranch_scc0 .LBB176_1457
; %bb.1454:
	global_load_dwordx2 v[6:7], v[2:3], off
	s_mov_b64 s[0:1], 0
	s_waitcnt vmcnt(0)
	v_xor_b32_e32 v8, v6, v7
	v_ffbh_i32_e32 v5, v7
	v_ashrrev_i32_e32 v8, 31, v8
	v_add_u32_e32 v5, -1, v5
	v_add_u32_e32 v8, 32, v8
	v_min_u32_e32 v5, v5, v8
	v_lshlrev_b64 v[6:7], v5, v[6:7]
	v_min_u32_e32 v6, 1, v6
	v_or_b32_e32 v6, v7, v6
	v_cvt_f32_i32_e32 v6, v6
	v_sub_u32_e32 v5, 32, v5
	v_mov_b32_e32 v7, 0
	v_ldexp_f32 v6, v6, v5
	s_branch .LBB176_1458
.LBB176_1455:
	s_mov_b64 s[0:1], -1
                                        ; implicit-def: $vgpr6_vgpr7
	s_branch .LBB176_1464
.LBB176_1456:
	s_mov_b64 s[0:1], -1
                                        ; implicit-def: $vgpr6_vgpr7
	s_branch .LBB176_1461
.LBB176_1457:
	s_mov_b64 s[0:1], -1
                                        ; implicit-def: $vgpr6_vgpr7
.LBB176_1458:
	s_andn2_b64 vcc, exec, s[0:1]
	s_cbranch_vccnz .LBB176_1460
; %bb.1459:
	global_load_dword v5, v[2:3], off
	s_waitcnt vmcnt(1)
	v_mov_b32_e32 v7, 0
	s_waitcnt vmcnt(0)
	v_cvt_f32_i32_e32 v6, v5
.LBB176_1460:
	s_mov_b64 s[0:1], 0
.LBB176_1461:
	s_andn2_b64 vcc, exec, s[0:1]
	s_cbranch_vccnz .LBB176_1463
; %bb.1462:
	global_load_sshort v5, v[2:3], off
	s_waitcnt vmcnt(1)
	v_mov_b32_e32 v7, 0
	s_waitcnt vmcnt(0)
	v_cvt_f32_i32_e32 v6, v5
.LBB176_1463:
	s_mov_b64 s[0:1], 0
.LBB176_1464:
	s_andn2_b64 vcc, exec, s[0:1]
	s_cbranch_vccnz .LBB176_1470
; %bb.1465:
	s_cmp_gt_i32 s28, 0
	s_cbranch_scc0 .LBB176_1467
; %bb.1466:
	global_load_sbyte v5, v[2:3], off
	s_waitcnt vmcnt(1)
	v_mov_b32_e32 v7, 0
	s_mov_b64 s[0:1], 0
	s_waitcnt vmcnt(0)
	v_cvt_f32_i32_e32 v6, v5
	s_branch .LBB176_1468
.LBB176_1467:
	s_mov_b64 s[0:1], -1
                                        ; implicit-def: $vgpr6_vgpr7
.LBB176_1468:
	s_andn2_b64 vcc, exec, s[0:1]
	s_cbranch_vccnz .LBB176_1470
; %bb.1469:
	global_load_ubyte v2, v[2:3], off
	s_waitcnt vmcnt(1)
	v_mov_b32_e32 v7, 0
	s_waitcnt vmcnt(0)
	v_cvt_f32_ubyte0_e32 v6, v2
.LBB176_1470:
.LBB176_1471:
	s_waitcnt vmcnt(0)
	v_cmp_neq_f32_e32 vcc, 0, v6
	v_cmp_neq_f32_e64 s[0:1], 0, v7
	v_mov_b32_e32 v5, 0
	s_or_b64 s[0:1], vcc, s[0:1]
	s_and_saveexec_b64 s[10:11], s[0:1]
	s_cbranch_execz .LBB176_1501
; %bb.1472:
	v_mov_b32_e32 v5, 0x7f800000
	v_cmp_neq_f32_e64 s[0:1], |v7|, v5
	s_and_saveexec_b64 s[18:19], s[0:1]
	s_cbranch_execz .LBB176_1500
; %bb.1473:
	v_cmp_o_f32_e32 vcc, v6, v6
                                        ; implicit-def: $vgpr5
	s_and_saveexec_b64 s[0:1], vcc
	s_xor_b64 s[20:21], exec, s[0:1]
	s_cbranch_execz .LBB176_1497
; %bb.1474:
	s_mov_b32 s0, 0x7f800000
	v_cmp_neq_f32_e64 s[0:1], |v6|, s0
                                        ; implicit-def: $vgpr5
	s_and_saveexec_b64 s[2:3], s[0:1]
	s_xor_b64 s[22:23], exec, s[2:3]
	s_cbranch_execz .LBB176_1490
; %bb.1475:
	v_max_f32_e64 v2, |v7|, |v7|
	v_max_f32_e64 v3, |v6|, |v6|
	v_max_f32_e32 v2, v3, v2
	s_mov_b32 s0, 0x7ed413cb
	v_cmp_nle_f32_e64 s[0:1], s0, v2
                                        ; implicit-def: $sgpr24_sgpr25
	s_and_saveexec_b64 s[2:3], s[0:1]
	s_xor_b64 s[2:3], exec, s[2:3]
	s_cbranch_execz .LBB176_1479
; %bb.1476:
	s_mov_b32 s26, 0x1000000
	v_cmp_le_f32_e64 s[24:25], |v6|, s26
	v_cmp_le_f32_e64 s[26:27], |v7|, s26
	s_and_b64 s[30:31], s[24:25], s[26:27]
	s_mov_b64 s[24:25], 0
	s_and_saveexec_b64 s[26:27], s[30:31]
; %bb.1477:
	s_mov_b64 s[24:25], exec
	v_pk_mul_f32 v[6:7], v[6:7], 4.0 op_sel_hi:[1,0]
; %bb.1478:
	s_or_b64 exec, exec, s[26:27]
.LBB176_1479:
	s_andn2_saveexec_b64 s[2:3], s[2:3]
; %bb.1480:
	s_mov_b32 s26, 0x3e800000
	v_pk_mul_f32 v[6:7], v[6:7], s[26:27] op_sel_hi:[1,0]
	s_andn2_b64 s[24:25], s[24:25], exec
; %bb.1481:
	s_or_b64 exec, exec, s[2:3]
	v_max_f32_e64 v2, |v7|, |v7|
	v_max_f32_e64 v3, |v6|, |v6|
	v_max_f32_e32 v5, v3, v2
	v_cvt_f64_f32_e32 v[2:3], v5
	v_frexp_exp_i32_f64_e32 v2, v[2:3]
	v_sub_u32_e32 v3, 0, v2
	v_ldexp_f32 v8, |v6|, v3
	v_ldexp_f32 v3, |v7|, v3
	v_mul_f32_e32 v3, v3, v3
	v_fmac_f32_e32 v3, v8, v8
	v_sqrt_f32_e32 v3, v3
	s_mov_b32 s2, 0x7f800000
	v_cmp_neq_f32_e64 s[2:3], s2, v5
	v_cmp_le_f32_e32 vcc, 0, v6
	v_ldexp_f32 v2, v3, v2
	v_mov_b32_e32 v3, 0x7f800000
	v_cndmask_b32_e64 v5, v3, v2, s[2:3]
                                        ; implicit-def: $vgpr2_vgpr3
	s_and_saveexec_b64 s[2:3], vcc
	s_xor_b64 s[26:27], exec, s[2:3]
	s_cbranch_execz .LBB176_1483
; %bb.1482:
	v_add_f32_e32 v2, v6, v5
	v_mul_f32_e32 v2, 0.5, v2
	s_mov_b32 s2, 0xf800000
	v_mul_f32_e32 v3, 0x4f800000, v2
	v_cmp_gt_f32_e32 vcc, s2, v2
	s_nop 1
	v_cndmask_b32_e32 v2, v2, v3, vcc
	v_sqrt_f32_e32 v3, v2
	s_nop 0
	v_add_u32_e32 v5, -1, v3
	v_fma_f32 v6, -v5, v3, v2
	v_cmp_ge_f32_e64 s[2:3], 0, v6
	v_add_u32_e32 v6, 1, v3
	s_nop 0
	v_cndmask_b32_e64 v5, v3, v5, s[2:3]
	v_fma_f32 v3, -v6, v3, v2
	v_cmp_lt_f32_e64 s[2:3], 0, v3
	s_nop 1
	v_cndmask_b32_e64 v3, v5, v6, s[2:3]
	v_mul_f32_e32 v5, 0x37800000, v3
	v_cndmask_b32_e32 v3, v3, v5, vcc
	v_mov_b32_e32 v5, 0x260
	v_cmp_class_f32_e32 vcc, v2, v5
	s_nop 1
	v_cndmask_b32_e32 v2, v3, v2, vcc
	v_add_f32_e32 v3, v2, v2
	v_div_scale_f32 v5, s[2:3], v3, v3, v7
	v_rcp_f32_e32 v6, v5
	s_nop 0
	v_fma_f32 v8, -v5, v6, 1.0
	v_fmac_f32_e32 v6, v8, v6
	v_div_scale_f32 v8, vcc, v7, v3, v7
	v_mul_f32_e32 v9, v8, v6
	v_fma_f32 v11, -v5, v9, v8
	v_fmac_f32_e32 v9, v11, v6
	v_fma_f32 v5, -v5, v9, v8
	v_div_fmas_f32 v5, v5, v6, v9
	v_div_fixup_f32 v3, v5, v3, v7
                                        ; implicit-def: $vgpr5
                                        ; implicit-def: $vgpr6_vgpr7
	s_andn2_saveexec_b64 s[26:27], s[26:27]
	s_cbranch_execz .LBB176_1485
	s_branch .LBB176_1484
.LBB176_1483:
	s_andn2_saveexec_b64 s[26:27], s[26:27]
	s_cbranch_execz .LBB176_1485
.LBB176_1484:
	v_sub_f32_e32 v2, v5, v6
	v_mul_f32_e32 v2, 0.5, v2
	s_mov_b32 s2, 0xf800000
	v_mul_f32_e32 v3, 0x4f800000, v2
	v_cmp_gt_f32_e32 vcc, s2, v2
	s_nop 1
	v_cndmask_b32_e32 v2, v2, v3, vcc
	v_sqrt_f32_e32 v3, v2
	s_nop 0
	v_add_u32_e32 v5, -1, v3
	v_fma_f32 v6, -v5, v3, v2
	v_cmp_ge_f32_e64 s[2:3], 0, v6
	v_add_u32_e32 v6, 1, v3
	s_nop 0
	v_cndmask_b32_e64 v5, v3, v5, s[2:3]
	v_fma_f32 v3, -v6, v3, v2
	v_cmp_lt_f32_e64 s[2:3], 0, v3
	s_nop 1
	v_cndmask_b32_e64 v3, v5, v6, s[2:3]
	v_mul_f32_e32 v5, 0x37800000, v3
	v_cndmask_b32_e32 v3, v3, v5, vcc
	v_mov_b32_e32 v5, 0x260
	v_cmp_class_f32_e32 vcc, v2, v5
	v_and_b32_e32 v5, 0x7fffffff, v7
	s_nop 0
	v_cndmask_b32_e32 v3, v3, v2, vcc
	v_add_f32_e32 v2, v3, v3
	v_div_scale_f32 v6, s[2:3], v2, v2, v5
	v_rcp_f32_e32 v8, v6
	v_div_scale_f32 v5, vcc, v5, v2, v5
	s_brev_b32 s2, -2
	v_fma_f32 v9, -v6, v8, 1.0
	v_fmac_f32_e32 v8, v9, v8
	v_mul_f32_e32 v9, v5, v8
	v_fma_f32 v11, -v6, v9, v5
	v_fmac_f32_e32 v9, v11, v8
	v_fma_f32 v5, -v6, v9, v5
	v_div_fmas_f32 v5, v5, v8, v9
	v_div_fixup_f32 v2, v5, v2, |v7|
	v_bfi_b32 v3, s2, v3, v7
.LBB176_1485:
	s_or_b64 exec, exec, s[26:27]
                                        ; implicit-def: $vgpr7
                                        ; implicit-def: $vgpr5
	s_and_saveexec_b64 s[2:3], s[0:1]
	s_xor_b64 s[0:1], exec, s[2:3]
	s_cbranch_execz .LBB176_1487
; %bb.1486:
	v_pk_mul_f32 v[6:7], v[2:3], 0.5 op_sel_hi:[1,0]
	s_nop 0
	v_cndmask_b32_e64 v5, v2, v6, s[24:25]
	v_cndmask_b32_e64 v7, v3, v7, s[24:25]
                                        ; implicit-def: $vgpr2_vgpr3
	s_andn2_saveexec_b64 s[0:1], s[0:1]
	s_cbranch_execnz .LBB176_1488
	s_branch .LBB176_1489
.LBB176_1487:
	s_andn2_saveexec_b64 s[0:1], s[0:1]
.LBB176_1488:
	v_pk_add_f32 v[6:7], v[2:3], v[2:3]
	s_nop 0
	v_mov_b32_e32 v5, v6
.LBB176_1489:
	s_or_b64 exec, exec, s[0:1]
.LBB176_1490:
	s_andn2_saveexec_b64 s[0:1], s[22:23]
	s_cbranch_execz .LBB176_1496
; %bb.1491:
	v_sub_f32_e32 v2, v7, v7
	v_cmp_lt_i32_e32 vcc, -1, v6
	s_brev_b32 s22, -2
	v_and_b32_e32 v5, 0x7fffffff, v2
	s_and_saveexec_b64 s[2:3], vcc
	s_xor_b64 s[2:3], exec, s[2:3]
; %bb.1492:
	v_bfi_b32 v7, s22, v2, v7
	v_mov_b32_e32 v5, v6
; %bb.1493:
	s_andn2_saveexec_b64 s[2:3], s[2:3]
; %bb.1494:
	v_bfi_b32 v7, s22, v6, v7
; %bb.1495:
	s_or_b64 exec, exec, s[2:3]
.LBB176_1496:
	s_or_b64 exec, exec, s[0:1]
.LBB176_1497:
	s_andn2_saveexec_b64 s[0:1], s[20:21]
	s_cbranch_execz .LBB176_1499
; %bb.1498:
	v_sub_f32_e32 v2, v7, v7
	v_div_scale_f32 v3, vcc, v2, v2, v2
	v_rcp_f32_e32 v5, v3
	s_nop 0
	v_fma_f32 v7, -v3, v5, 1.0
	v_fmac_f32_e32 v5, v7, v5
	v_mul_f32_e32 v7, v3, v5
	v_fma_f32 v8, -v3, v7, v3
	v_fmac_f32_e32 v7, v8, v5
	v_fma_f32 v3, -v3, v7, v3
	v_div_fmas_f32 v3, v3, v5, v7
	v_div_fixup_f32 v7, v3, v2, v2
	v_mov_b32_e32 v5, v6
.LBB176_1499:
	s_or_b64 exec, exec, s[0:1]
.LBB176_1500:
	s_or_b64 exec, exec, s[18:19]
.LBB176_1501:
	s_or_b64 exec, exec, s[10:11]
	v_cmp_gt_f32_e32 vcc, 0, v7
                                        ; implicit-def: $vgpr2_vgpr3
	s_nop 1
	v_cndmask_b32_e64 v8, v7, -v7, vcc
	v_cmp_gt_f32_e32 vcc, 0, v5
	s_nop 1
	v_cndmask_b32_e64 v6, v5, -v5, vcc
	v_cmp_ge_f32_e32 vcc, v6, v8
	s_and_saveexec_b64 s[0:1], vcc
	s_xor_b64 s[2:3], exec, s[0:1]
	s_cbranch_execz .LBB176_1507
; %bb.1502:
	v_cmp_neq_f32_e32 vcc, 0, v5
	v_cmp_neq_f32_e64 s[0:1], 0, v7
	s_or_b64 s[0:1], vcc, s[0:1]
                                        ; implicit-def: $vgpr2_vgpr3
	s_and_saveexec_b64 s[10:11], s[0:1]
	s_xor_b64 s[0:1], exec, s[10:11]
	s_cbranch_execz .LBB176_1504
; %bb.1503:
	v_div_scale_f32 v2, s[10:11], v5, v5, v7
	v_rcp_f32_e32 v3, v2
	v_div_scale_f32 v6, vcc, v7, v5, v7
	v_fma_f32 v8, -v2, v3, 1.0
	v_fmac_f32_e32 v3, v8, v3
	v_mul_f32_e32 v8, v6, v3
	v_fma_f32 v9, -v2, v8, v6
	v_fmac_f32_e32 v8, v9, v3
	v_fma_f32 v2, -v2, v8, v6
	v_div_fmas_f32 v2, v2, v3, v8
	v_div_fixup_f32 v3, v2, v5, v7
	v_fmac_f32_e32 v5, v7, v3
	v_div_scale_f32 v2, s[10:11], v5, v5, 1.0
	v_rcp_f32_e32 v6, v2
	s_nop 0
	v_fma_f32 v7, -v2, v6, 1.0
	v_fmac_f32_e32 v6, v7, v6
	v_div_scale_f32 v7, vcc, 1.0, v5, 1.0
	v_mul_f32_e32 v8, v7, v6
	v_fma_f32 v9, -v2, v8, v7
	v_fmac_f32_e32 v8, v9, v6
	v_fma_f32 v2, -v2, v8, v7
	v_div_fmas_f32 v2, v2, v6, v8
	v_div_fixup_f32 v2, v2, v5, 1.0
	v_mul_f32_e32 v5, 0, v3
	v_sub_f32_e32 v7, 0, v3
	v_add_f32_e32 v6, 1.0, v5
	v_pk_mul_f32 v[2:3], v[6:7], v[2:3] op_sel_hi:[1,0]
                                        ; implicit-def: $vgpr8
                                        ; implicit-def: $vgpr6
.LBB176_1504:
	s_andn2_saveexec_b64 s[0:1], s[0:1]
	s_cbranch_execz .LBB176_1506
; %bb.1505:
	v_div_scale_f32 v2, s[10:11], v8, v8, 0
	v_rcp_f32_e32 v3, v2
	v_div_scale_f32 v5, vcc, 0, v8, 0
	v_fma_f32 v7, -v2, v3, 1.0
	v_fmac_f32_e32 v3, v7, v3
	v_mul_f32_e32 v7, v5, v3
	v_fma_f32 v9, -v2, v7, v5
	v_fmac_f32_e32 v7, v9, v3
	v_fma_f32 v2, -v2, v7, v5
	v_div_scale_f32 v5, s[10:11], v6, v6, 1.0
	v_rcp_f32_e32 v9, v5
	v_div_fmas_f32 v2, v2, v3, v7
	v_div_fixup_f32 v3, v2, v8, 0
	v_fma_f32 v2, -v5, v9, 1.0
	v_fmac_f32_e32 v9, v2, v9
	v_div_scale_f32 v2, vcc, 1.0, v6, 1.0
	v_mul_f32_e32 v7, v2, v9
	v_fma_f32 v8, -v5, v7, v2
	v_fmac_f32_e32 v7, v8, v9
	v_fma_f32 v2, -v5, v7, v2
	v_div_fmas_f32 v2, v2, v9, v7
	v_div_fixup_f32 v2, v2, v6, 1.0
.LBB176_1506:
	s_or_b64 exec, exec, s[0:1]
                                        ; implicit-def: $vgpr7
                                        ; implicit-def: $vgpr5
.LBB176_1507:
	s_andn2_saveexec_b64 s[0:1], s[2:3]
	s_cbranch_execz .LBB176_1509
; %bb.1508:
	v_div_scale_f32 v2, s[2:3], v7, v7, v5
	v_rcp_f32_e32 v3, v2
	v_div_scale_f32 v6, vcc, v5, v7, v5
	v_fma_f32 v8, -v2, v3, 1.0
	v_fmac_f32_e32 v3, v8, v3
	v_mul_f32_e32 v8, v6, v3
	v_fma_f32 v9, -v2, v8, v6
	v_fmac_f32_e32 v8, v9, v3
	v_fma_f32 v2, -v2, v8, v6
	v_div_fmas_f32 v2, v2, v3, v8
	v_div_fixup_f32 v2, v2, v7, v5
	v_fmac_f32_e32 v7, v5, v2
	v_div_scale_f32 v3, s[2:3], v7, v7, 1.0
	v_rcp_f32_e32 v5, v3
	s_mov_b32 s2, 0
	s_mov_b32 s3, -1.0
	v_fma_f32 v6, -v3, v5, 1.0
	v_fmac_f32_e32 v5, v6, v5
	v_div_scale_f32 v6, vcc, 1.0, v7, 1.0
	v_mul_f32_e32 v8, v6, v5
	v_fma_f32 v9, -v3, v8, v6
	v_fmac_f32_e32 v8, v9, v5
	v_fma_f32 v3, -v3, v8, v6
	v_div_fmas_f32 v3, v3, v5, v8
	v_div_fixup_f32 v6, v3, v7, 1.0
	v_mul_f32_e32 v3, 0, v2
	v_pk_add_f32 v[2:3], v[2:3], s[2:3]
	s_nop 0
	v_pk_mul_f32 v[2:3], v[2:3], v[6:7] op_sel_hi:[1,0]
.LBB176_1509:
	s_or_b64 exec, exec, s[0:1]
	v_add_u32_e32 v6, s9, v4
	v_ashrrev_i32_e32 v7, 31, v6
	s_cmp_lt_i32 s28, 11
	v_lshl_add_u64 v[4:5], s[6:7], 0, v[6:7]
	s_cbranch_scc1 .LBB176_1516
; %bb.1510:
	s_cmp_gt_i32 s28, 25
	s_mov_b64 s[2:3], 0
	s_cbranch_scc0 .LBB176_1518
; %bb.1511:
	s_cmp_gt_i32 s28, 28
	s_cbranch_scc0 .LBB176_1519
; %bb.1512:
	s_cmp_gt_i32 s28, 43
	;; [unrolled: 3-line block ×3, first 2 shown]
	s_cbranch_scc0 .LBB176_1522
; %bb.1514:
	s_cmp_eq_u32 s28, 46
	s_mov_b64 s[18:19], 0
	s_cbranch_scc0 .LBB176_1523
; %bb.1515:
	global_load_dword v7, v[4:5], off
	s_mov_b64 s[0:1], 0
	s_mov_b64 s[10:11], -1
	s_waitcnt vmcnt(0)
	v_and_b32_e32 v9, 0xffff0000, v7
	v_lshlrev_b32_e32 v8, 16, v7
	s_branch .LBB176_1524
.LBB176_1516:
	s_mov_b64 s[10:11], 0
                                        ; implicit-def: $vgpr8_vgpr9
	s_cbranch_execnz .LBB176_1590
.LBB176_1517:
	s_andn2_b64 vcc, exec, s[10:11]
	s_cbranch_vccnz .LBB176_1818
	s_branch .LBB176_1638
.LBB176_1518:
	s_mov_b64 s[18:19], -1
	s_mov_b64 s[10:11], 0
	s_mov_b64 s[0:1], 0
                                        ; implicit-def: $vgpr8_vgpr9
	s_branch .LBB176_1555
.LBB176_1519:
	s_mov_b64 s[18:19], -1
	s_mov_b64 s[10:11], 0
	s_mov_b64 s[0:1], 0
                                        ; implicit-def: $vgpr8_vgpr9
	s_branch .LBB176_1534
.LBB176_1520:
	s_mov_b64 s[18:19], -1
	s_mov_b64 s[10:11], 0
	s_mov_b64 s[0:1], 0
                                        ; implicit-def: $vgpr8_vgpr9
	s_branch .LBB176_1529
.LBB176_1521:
	s_trap 2
	s_or_b64 s[16:17], s[16:17], exec
	s_cbranch_execz .LBB176_1422
	s_branch .LBB176_1423
.LBB176_1522:
	s_mov_b64 s[18:19], -1
	s_mov_b64 s[10:11], 0
	s_mov_b64 s[0:1], 0
                                        ; implicit-def: $vgpr8_vgpr9
	s_branch .LBB176_1524
.LBB176_1523:
	s_mov_b64 s[0:1], -1
                                        ; implicit-def: $vgpr8_vgpr9
	s_mov_b64 s[10:11], 0
.LBB176_1524:
	s_and_b64 vcc, exec, s[18:19]
	s_cbranch_vccz .LBB176_1528
; %bb.1525:
	s_cmp_eq_u32 s28, 44
	s_cbranch_scc0 .LBB176_1527
; %bb.1526:
	global_load_ubyte v7, v[4:5], off
	s_movk_i32 s10, 0xff
	v_mov_b32_e32 v8, 0x7f800001
	v_mov_b32_e32 v11, 0x400000
	;; [unrolled: 1-line block ×3, first 2 shown]
	s_mov_b64 s[0:1], 0
	s_waitcnt vmcnt(0)
	v_lshlrev_b32_e32 v12, 23, v7
	v_cmp_ne_u32_e32 vcc, s10, v7
	s_mov_b64 s[10:11], -1
	s_nop 0
	v_cndmask_b32_e32 v8, v8, v12, vcc
	v_cmp_ne_u32_e32 vcc, 0, v7
	s_nop 1
	v_cndmask_b32_e32 v8, v11, v8, vcc
	s_branch .LBB176_1528
.LBB176_1527:
	s_mov_b64 s[0:1], -1
                                        ; implicit-def: $vgpr8_vgpr9
.LBB176_1528:
	s_mov_b64 s[18:19], 0
.LBB176_1529:
	s_and_b64 vcc, exec, s[18:19]
	s_cbranch_vccz .LBB176_1533
; %bb.1530:
	s_cmp_eq_u32 s28, 29
	s_cbranch_scc0 .LBB176_1532
; %bb.1531:
	global_load_dwordx2 v[8:9], v[4:5], off
	s_mov_b64 s[0:1], 0
	s_mov_b64 s[10:11], -1
	s_mov_b64 s[18:19], 0
	s_waitcnt vmcnt(0)
	v_ffbh_u32_e32 v7, v9
	v_min_u32_e32 v7, 32, v7
	v_lshlrev_b64 v[8:9], v7, v[8:9]
	v_min_u32_e32 v8, 1, v8
	v_or_b32_e32 v8, v9, v8
	v_cvt_f32_u32_e32 v8, v8
	v_sub_u32_e32 v7, 32, v7
	v_mov_b32_e32 v9, 0
	v_ldexp_f32 v8, v8, v7
	s_branch .LBB176_1534
.LBB176_1532:
	s_mov_b64 s[0:1], -1
                                        ; implicit-def: $vgpr8_vgpr9
.LBB176_1533:
	s_mov_b64 s[18:19], 0
.LBB176_1534:
	s_and_b64 vcc, exec, s[18:19]
	s_cbranch_vccz .LBB176_1554
; %bb.1535:
	s_cmp_lt_i32 s28, 27
	s_cbranch_scc1 .LBB176_1538
; %bb.1536:
	s_cmp_gt_i32 s28, 27
	s_cbranch_scc0 .LBB176_1539
; %bb.1537:
	global_load_dword v7, v[4:5], off
	v_mov_b32_e32 v9, 0
	s_mov_b64 s[10:11], 0
	s_waitcnt vmcnt(0)
	v_cvt_f32_u32_e32 v8, v7
	s_branch .LBB176_1540
.LBB176_1538:
	s_mov_b64 s[10:11], -1
                                        ; implicit-def: $vgpr8_vgpr9
	s_branch .LBB176_1543
.LBB176_1539:
	s_mov_b64 s[10:11], -1
                                        ; implicit-def: $vgpr8_vgpr9
.LBB176_1540:
	s_andn2_b64 vcc, exec, s[10:11]
	s_cbranch_vccnz .LBB176_1542
; %bb.1541:
	global_load_ushort v7, v[4:5], off
	v_mov_b32_e32 v9, 0
	s_waitcnt vmcnt(0)
	v_cvt_f32_u32_e32 v8, v7
.LBB176_1542:
	s_mov_b64 s[10:11], 0
.LBB176_1543:
	s_andn2_b64 vcc, exec, s[10:11]
	s_cbranch_vccnz .LBB176_1553
; %bb.1544:
	global_load_ubyte v7, v[4:5], off
	s_movk_i32 s10, 0x7f
	s_waitcnt vmcnt(0)
	v_cmp_lt_i16_e32 vcc, s10, v7
	s_mov_b64 s[10:11], 0
	s_and_saveexec_b64 s[18:19], vcc
	s_xor_b64 s[18:19], exec, s[18:19]
	s_cbranch_execz .LBB176_1548
; %bb.1545:
	s_movk_i32 s10, 0x80
	v_cmp_eq_u16_e32 vcc, s10, v7
	s_mov_b64 s[10:11], -1
	s_and_saveexec_b64 s[20:21], vcc
; %bb.1546:
	s_xor_b64 s[10:11], exec, -1
; %bb.1547:
	s_or_b64 exec, exec, s[20:21]
	s_and_b64 s[10:11], s[10:11], exec
.LBB176_1548:
	s_or_saveexec_b64 s[18:19], s[18:19]
	v_mov_b32_e32 v8, 0x7f800001
	v_mov_b32_e32 v9, 0
	s_xor_b64 exec, exec, s[18:19]
; %bb.1549:
	v_cmp_ne_u16_e32 vcc, 0, v7
	s_andn2_b64 s[10:11], s[10:11], exec
	s_and_b64 s[20:21], vcc, exec
	v_mov_b32_e32 v8, v9
	s_or_b64 s[10:11], s[10:11], s[20:21]
; %bb.1550:
	s_or_b64 exec, exec, s[18:19]
	s_and_saveexec_b64 s[18:19], s[10:11]
	s_cbranch_execz .LBB176_1552
; %bb.1551:
	v_lshlrev_b32_e32 v8, 24, v7
	v_and_b32_e32 v7, 0xffff, v7
	v_and_b32_e32 v9, 7, v7
	v_ffbh_u32_e32 v12, v9
	v_min_u32_e32 v12, 32, v12
	v_subrev_u32_e32 v13, 28, v12
	v_bfe_u32 v11, v7, 3, 4
	v_lshlrev_b32_e32 v7, v13, v7
	v_sub_u32_e32 v12, 29, v12
	v_and_b32_e32 v7, 7, v7
	v_cmp_eq_u32_e32 vcc, 0, v11
	v_and_b32_e32 v8, 0x80000000, v8
	s_nop 0
	v_cndmask_b32_e32 v11, v11, v12, vcc
	v_cndmask_b32_e32 v7, v9, v7, vcc
	v_mov_b32_e32 v9, 0x3b800000
	v_lshlrev_b32_e32 v7, 20, v7
	v_lshl_add_u32 v9, v11, 23, v9
	v_or3_b32 v8, v8, v9, v7
	v_mov_b32_e32 v9, 0
.LBB176_1552:
	s_or_b64 exec, exec, s[18:19]
.LBB176_1553:
	s_mov_b64 s[10:11], -1
.LBB176_1554:
	s_mov_b64 s[18:19], 0
.LBB176_1555:
	s_and_b64 vcc, exec, s[18:19]
	s_cbranch_vccz .LBB176_1586
; %bb.1556:
	s_cmp_gt_i32 s28, 22
	s_cbranch_scc0 .LBB176_1568
; %bb.1557:
	s_cmp_lt_i32 s28, 24
	s_cbranch_scc1 .LBB176_1569
; %bb.1558:
	s_cmp_gt_i32 s28, 24
	s_cbranch_scc0 .LBB176_1570
; %bb.1559:
	global_load_ubyte v7, v[4:5], off
	s_movk_i32 s2, 0x7f
	s_waitcnt vmcnt(0)
	v_cmp_lt_i16_e32 vcc, s2, v7
	s_mov_b64 s[2:3], 0
	s_and_saveexec_b64 s[10:11], vcc
	s_xor_b64 s[10:11], exec, s[10:11]
	s_cbranch_execz .LBB176_1563
; %bb.1560:
	s_movk_i32 s2, 0x80
	v_cmp_eq_u16_e32 vcc, s2, v7
	s_mov_b64 s[2:3], -1
	s_and_saveexec_b64 s[18:19], vcc
; %bb.1561:
	s_xor_b64 s[2:3], exec, -1
; %bb.1562:
	s_or_b64 exec, exec, s[18:19]
	s_and_b64 s[2:3], s[2:3], exec
.LBB176_1563:
	s_or_saveexec_b64 s[10:11], s[10:11]
	v_mov_b32_e32 v8, 0x7f800001
	v_mov_b32_e32 v9, 0
	s_xor_b64 exec, exec, s[10:11]
; %bb.1564:
	v_cmp_ne_u16_e32 vcc, 0, v7
	s_andn2_b64 s[2:3], s[2:3], exec
	s_and_b64 s[18:19], vcc, exec
	v_mov_b32_e32 v8, v9
	s_or_b64 s[2:3], s[2:3], s[18:19]
; %bb.1565:
	s_or_b64 exec, exec, s[10:11]
	s_and_saveexec_b64 s[10:11], s[2:3]
	s_cbranch_execz .LBB176_1567
; %bb.1566:
	v_lshlrev_b32_e32 v8, 24, v7
	v_and_b32_e32 v7, 0xffff, v7
	v_and_b32_e32 v9, 3, v7
	v_ffbh_u32_e32 v12, v9
	v_min_u32_e32 v12, 32, v12
	v_subrev_u32_e32 v13, 29, v12
	v_bfe_u32 v11, v7, 2, 5
	v_lshlrev_b32_e32 v7, v13, v7
	v_sub_u32_e32 v12, 30, v12
	v_and_b32_e32 v7, 3, v7
	v_cmp_eq_u32_e32 vcc, 0, v11
	v_and_b32_e32 v8, 0x80000000, v8
	s_nop 0
	v_cndmask_b32_e32 v11, v11, v12, vcc
	v_cndmask_b32_e32 v7, v9, v7, vcc
	v_mov_b32_e32 v9, 0x37800000
	v_lshlrev_b32_e32 v7, 21, v7
	v_lshl_add_u32 v9, v11, 23, v9
	v_or3_b32 v8, v8, v9, v7
	v_mov_b32_e32 v9, 0
.LBB176_1567:
	s_or_b64 exec, exec, s[10:11]
	s_mov_b64 s[2:3], 0
	s_branch .LBB176_1571
.LBB176_1568:
	s_mov_b64 s[2:3], -1
                                        ; implicit-def: $vgpr8_vgpr9
	s_branch .LBB176_1577
.LBB176_1569:
	s_mov_b64 s[2:3], -1
                                        ; implicit-def: $vgpr8_vgpr9
	s_branch .LBB176_1574
.LBB176_1570:
	s_mov_b64 s[2:3], -1
                                        ; implicit-def: $vgpr8_vgpr9
.LBB176_1571:
	s_and_b64 vcc, exec, s[2:3]
	s_cbranch_vccz .LBB176_1573
; %bb.1572:
	global_load_ubyte v7, v[4:5], off
	s_mov_b32 s2, 0x7f800000
	s_brev_b32 s3, 1
	s_waitcnt vmcnt(0)
	v_lshlrev_b32_e32 v7, 24, v7
	v_and_b32_e32 v8, 0x7f000000, v7
	v_ffbh_u32_e32 v9, v8
	v_min_u32_e32 v9, 32, v9
	v_sub_u32_e64 v9, v9, 4 clamp
	v_lshlrev_b32_e32 v12, v9, v8
	v_lshlrev_b32_e32 v9, 23, v9
	v_lshrrev_b32_e32 v12, 4, v12
	v_add_u32_e32 v11, 0x1000000, v8
	v_sub_u32_e32 v9, v12, v9
	v_ashrrev_i32_e32 v11, 8, v11
	v_add_u32_e32 v9, 0x3c000000, v9
	v_and_or_b32 v9, v11, s2, v9
	v_cmp_ne_u32_e32 vcc, 0, v8
	s_nop 1
	v_cndmask_b32_e32 v8, 0, v9, vcc
	v_and_or_b32 v8, v7, s3, v8
	v_mov_b32_e32 v9, 0
.LBB176_1573:
	s_mov_b64 s[2:3], 0
.LBB176_1574:
	s_andn2_b64 vcc, exec, s[2:3]
	s_cbranch_vccnz .LBB176_1576
; %bb.1575:
	global_load_ubyte v7, v[4:5], off
	s_movk_i32 s2, 0x7f00
	s_brev_b32 s3, 16
	s_brev_b32 s10, 1
	s_waitcnt vmcnt(0)
	v_lshlrev_b16_e32 v8, 8, v7
	v_lshlrev_b32_e32 v7, 25, v7
	v_lshrrev_b32_e32 v9, 4, v7
	v_and_or_b32 v11, v8, s2, 0.5
	v_or_b32_e32 v9, 0x70000000, v9
	v_add_f32_e32 v11, -0.5, v11
	v_mul_f32_e32 v9, 0x7800000, v9
	v_cmp_gt_u32_e32 vcc, s3, v7
	v_bfe_i32 v8, v8, 0, 16
	s_nop 0
	v_cndmask_b32_e32 v7, v9, v11, vcc
	v_and_or_b32 v8, v8, s10, v7
	v_mov_b32_e32 v9, 0
.LBB176_1576:
	s_mov_b64 s[2:3], 0
	s_mov_b64 s[10:11], -1
.LBB176_1577:
	s_andn2_b64 vcc, exec, s[2:3]
	s_mov_b64 s[2:3], 0
	s_cbranch_vccnz .LBB176_1586
; %bb.1578:
	s_cmp_gt_i32 s28, 14
	s_cbranch_scc0 .LBB176_1581
; %bb.1579:
	s_cmp_eq_u32 s28, 15
	s_cbranch_scc0 .LBB176_1582
; %bb.1580:
	global_load_ushort v7, v[4:5], off
	v_mov_b32_e32 v9, 0
	s_mov_b64 s[0:1], 0
	s_mov_b64 s[10:11], -1
	s_waitcnt vmcnt(0)
	v_lshlrev_b32_e32 v8, 16, v7
	s_branch .LBB176_1583
.LBB176_1581:
	s_mov_b64 s[18:19], -1
                                        ; implicit-def: $vgpr8_vgpr9
	s_branch .LBB176_1584
.LBB176_1582:
	s_mov_b64 s[0:1], -1
                                        ; implicit-def: $vgpr8_vgpr9
.LBB176_1583:
	s_mov_b64 s[18:19], 0
.LBB176_1584:
	s_and_b64 vcc, exec, s[18:19]
	s_cbranch_vccz .LBB176_1586
; %bb.1585:
	s_cmp_lg_u32 s28, 11
	s_mov_b64 s[2:3], -1
	s_cselect_b64 s[0:1], -1, 0
.LBB176_1586:
	s_and_b64 vcc, exec, s[0:1]
	s_cbranch_vccnz .LBB176_1687
; %bb.1587:
	s_andn2_b64 vcc, exec, s[2:3]
	s_cbranch_vccnz .LBB176_1589
.LBB176_1588:
	global_load_ubyte v7, v[4:5], off
	v_mov_b32_e32 v9, 0
	s_mov_b64 s[10:11], -1
	s_waitcnt vmcnt(0)
	v_cmp_ne_u16_e32 vcc, 0, v7
	s_nop 1
	v_cndmask_b32_e64 v8, 0, 1.0, vcc
.LBB176_1589:
	s_branch .LBB176_1517
.LBB176_1590:
	s_cmp_lt_i32 s28, 5
	s_cbranch_scc1 .LBB176_1595
; %bb.1591:
	s_cmp_lt_i32 s28, 8
	s_cbranch_scc1 .LBB176_1596
; %bb.1592:
	;; [unrolled: 3-line block ×3, first 2 shown]
	s_cmp_gt_i32 s28, 9
	s_cbranch_scc0 .LBB176_1598
; %bb.1594:
	global_load_dwordx4 v[12:15], v[4:5], off
	s_mov_b64 s[0:1], 0
	s_waitcnt vmcnt(0)
	v_cvt_f32_f64_e32 v9, v[14:15]
	v_cvt_f32_f64_e32 v8, v[12:13]
	s_branch .LBB176_1599
.LBB176_1595:
	s_mov_b64 s[0:1], -1
                                        ; implicit-def: $vgpr8_vgpr9
	s_branch .LBB176_1617
.LBB176_1596:
	s_mov_b64 s[0:1], -1
                                        ; implicit-def: $vgpr8_vgpr9
	s_branch .LBB176_1605
.LBB176_1597:
	s_mov_b64 s[0:1], -1
                                        ; implicit-def: $vgpr8_vgpr9
	s_branch .LBB176_1602
.LBB176_1598:
	s_mov_b64 s[0:1], -1
                                        ; implicit-def: $vgpr8_vgpr9
.LBB176_1599:
	s_andn2_b64 vcc, exec, s[0:1]
	s_cbranch_vccnz .LBB176_1601
; %bb.1600:
	global_load_dwordx2 v[8:9], v[4:5], off
.LBB176_1601:
	s_mov_b64 s[0:1], 0
.LBB176_1602:
	s_andn2_b64 vcc, exec, s[0:1]
	s_cbranch_vccnz .LBB176_1604
; %bb.1603:
	global_load_dword v7, v[4:5], off
	s_waitcnt vmcnt(0)
	v_cvt_f32_f16_sdwa v9, v7 dst_sel:DWORD dst_unused:UNUSED_PAD src0_sel:WORD_1
	v_cvt_f32_f16_e32 v8, v7
.LBB176_1604:
	s_mov_b64 s[0:1], 0
.LBB176_1605:
	s_andn2_b64 vcc, exec, s[0:1]
	s_cbranch_vccnz .LBB176_1616
; %bb.1606:
	s_cmp_lt_i32 s28, 6
	s_cbranch_scc1 .LBB176_1609
; %bb.1607:
	s_cmp_gt_i32 s28, 6
	s_cbranch_scc0 .LBB176_1610
; %bb.1608:
	global_load_dwordx2 v[12:13], v[4:5], off
	s_waitcnt vmcnt(1)
	v_mov_b32_e32 v9, 0
	s_mov_b64 s[0:1], 0
	s_waitcnt vmcnt(0)
	v_cvt_f32_f64_e32 v8, v[12:13]
	s_branch .LBB176_1611
.LBB176_1609:
	s_mov_b64 s[0:1], -1
                                        ; implicit-def: $vgpr8_vgpr9
	s_branch .LBB176_1614
.LBB176_1610:
	s_mov_b64 s[0:1], -1
                                        ; implicit-def: $vgpr8_vgpr9
.LBB176_1611:
	s_andn2_b64 vcc, exec, s[0:1]
	s_cbranch_vccnz .LBB176_1613
; %bb.1612:
	global_load_dword v8, v[4:5], off
	s_waitcnt vmcnt(1)
	v_mov_b32_e32 v9, 0
.LBB176_1613:
	s_mov_b64 s[0:1], 0
.LBB176_1614:
	s_andn2_b64 vcc, exec, s[0:1]
	s_cbranch_vccnz .LBB176_1616
; %bb.1615:
	global_load_ushort v7, v[4:5], off
	s_waitcnt vmcnt(1)
	v_mov_b32_e32 v9, 0
	s_waitcnt vmcnt(0)
	v_cvt_f32_f16_e32 v8, v7
.LBB176_1616:
	s_mov_b64 s[0:1], 0
.LBB176_1617:
	s_andn2_b64 vcc, exec, s[0:1]
	s_cbranch_vccnz .LBB176_1637
; %bb.1618:
	s_cmp_lt_i32 s28, 2
	s_cbranch_scc1 .LBB176_1622
; %bb.1619:
	s_cmp_lt_i32 s28, 3
	s_cbranch_scc1 .LBB176_1623
; %bb.1620:
	s_cmp_gt_i32 s28, 3
	s_cbranch_scc0 .LBB176_1624
; %bb.1621:
	global_load_dwordx2 v[8:9], v[4:5], off
	s_mov_b64 s[0:1], 0
	s_waitcnt vmcnt(0)
	v_xor_b32_e32 v11, v8, v9
	v_ffbh_i32_e32 v7, v9
	v_ashrrev_i32_e32 v11, 31, v11
	v_add_u32_e32 v7, -1, v7
	v_add_u32_e32 v11, 32, v11
	v_min_u32_e32 v7, v7, v11
	v_lshlrev_b64 v[8:9], v7, v[8:9]
	v_min_u32_e32 v8, 1, v8
	v_or_b32_e32 v8, v9, v8
	v_cvt_f32_i32_e32 v8, v8
	v_sub_u32_e32 v7, 32, v7
	v_mov_b32_e32 v9, 0
	v_ldexp_f32 v8, v8, v7
	s_branch .LBB176_1625
.LBB176_1622:
	s_mov_b64 s[0:1], -1
                                        ; implicit-def: $vgpr8_vgpr9
	s_branch .LBB176_1631
.LBB176_1623:
	s_mov_b64 s[0:1], -1
                                        ; implicit-def: $vgpr8_vgpr9
	s_branch .LBB176_1628
.LBB176_1624:
	s_mov_b64 s[0:1], -1
                                        ; implicit-def: $vgpr8_vgpr9
.LBB176_1625:
	s_andn2_b64 vcc, exec, s[0:1]
	s_cbranch_vccnz .LBB176_1627
; %bb.1626:
	global_load_dword v7, v[4:5], off
	s_waitcnt vmcnt(1)
	v_mov_b32_e32 v9, 0
	s_waitcnt vmcnt(0)
	v_cvt_f32_i32_e32 v8, v7
.LBB176_1627:
	s_mov_b64 s[0:1], 0
.LBB176_1628:
	s_andn2_b64 vcc, exec, s[0:1]
	s_cbranch_vccnz .LBB176_1630
; %bb.1629:
	global_load_sshort v7, v[4:5], off
	s_waitcnt vmcnt(1)
	v_mov_b32_e32 v9, 0
	s_waitcnt vmcnt(0)
	v_cvt_f32_i32_e32 v8, v7
.LBB176_1630:
	s_mov_b64 s[0:1], 0
.LBB176_1631:
	s_andn2_b64 vcc, exec, s[0:1]
	s_cbranch_vccnz .LBB176_1637
; %bb.1632:
	s_cmp_gt_i32 s28, 0
	s_cbranch_scc0 .LBB176_1634
; %bb.1633:
	global_load_sbyte v7, v[4:5], off
	s_waitcnt vmcnt(1)
	v_mov_b32_e32 v9, 0
	s_mov_b64 s[0:1], 0
	s_waitcnt vmcnt(0)
	v_cvt_f32_i32_e32 v8, v7
	s_branch .LBB176_1635
.LBB176_1634:
	s_mov_b64 s[0:1], -1
                                        ; implicit-def: $vgpr8_vgpr9
.LBB176_1635:
	s_andn2_b64 vcc, exec, s[0:1]
	s_cbranch_vccnz .LBB176_1637
; %bb.1636:
	global_load_ubyte v4, v[4:5], off
	s_waitcnt vmcnt(1)
	v_mov_b32_e32 v9, 0
	s_waitcnt vmcnt(0)
	v_cvt_f32_ubyte0_e32 v8, v4
.LBB176_1637:
.LBB176_1638:
	s_waitcnt vmcnt(0)
	v_cmp_neq_f32_e32 vcc, 0, v8
	v_cmp_neq_f32_e64 s[0:1], 0, v9
	v_mov_b32_e32 v7, 0
	s_or_b64 s[0:1], vcc, s[0:1]
	s_and_saveexec_b64 s[10:11], s[0:1]
	s_cbranch_execz .LBB176_1668
; %bb.1639:
	v_mov_b32_e32 v7, 0x7f800000
	v_cmp_neq_f32_e64 s[0:1], |v9|, v7
	s_and_saveexec_b64 s[18:19], s[0:1]
	s_cbranch_execz .LBB176_1667
; %bb.1640:
	v_cmp_o_f32_e32 vcc, v8, v8
                                        ; implicit-def: $vgpr7
	s_and_saveexec_b64 s[0:1], vcc
	s_xor_b64 s[20:21], exec, s[0:1]
	s_cbranch_execz .LBB176_1664
; %bb.1641:
	s_mov_b32 s0, 0x7f800000
	v_cmp_neq_f32_e64 s[0:1], |v8|, s0
                                        ; implicit-def: $vgpr7
	s_and_saveexec_b64 s[2:3], s[0:1]
	s_xor_b64 s[22:23], exec, s[2:3]
	s_cbranch_execz .LBB176_1657
; %bb.1642:
	v_max_f32_e64 v4, |v9|, |v9|
	v_max_f32_e64 v5, |v8|, |v8|
	v_max_f32_e32 v4, v5, v4
	s_mov_b32 s0, 0x7ed413cb
	v_cmp_nle_f32_e64 s[0:1], s0, v4
                                        ; implicit-def: $sgpr24_sgpr25
	s_and_saveexec_b64 s[2:3], s[0:1]
	s_xor_b64 s[2:3], exec, s[2:3]
	s_cbranch_execz .LBB176_1646
; %bb.1643:
	s_mov_b32 s26, 0x1000000
	v_cmp_le_f32_e64 s[24:25], |v8|, s26
	v_cmp_le_f32_e64 s[26:27], |v9|, s26
	s_and_b64 s[30:31], s[24:25], s[26:27]
	s_mov_b64 s[24:25], 0
	s_and_saveexec_b64 s[26:27], s[30:31]
; %bb.1644:
	s_mov_b64 s[24:25], exec
	v_pk_mul_f32 v[8:9], v[8:9], 4.0 op_sel_hi:[1,0]
; %bb.1645:
	s_or_b64 exec, exec, s[26:27]
.LBB176_1646:
	s_andn2_saveexec_b64 s[2:3], s[2:3]
; %bb.1647:
	s_mov_b32 s26, 0x3e800000
	v_pk_mul_f32 v[8:9], v[8:9], s[26:27] op_sel_hi:[1,0]
	s_andn2_b64 s[24:25], s[24:25], exec
; %bb.1648:
	s_or_b64 exec, exec, s[2:3]
	v_max_f32_e64 v4, |v9|, |v9|
	v_max_f32_e64 v5, |v8|, |v8|
	v_max_f32_e32 v7, v5, v4
	v_cvt_f64_f32_e32 v[4:5], v7
	v_frexp_exp_i32_f64_e32 v4, v[4:5]
	v_sub_u32_e32 v5, 0, v4
	v_ldexp_f32 v11, |v8|, v5
	v_ldexp_f32 v5, |v9|, v5
	v_mul_f32_e32 v5, v5, v5
	v_fmac_f32_e32 v5, v11, v11
	v_sqrt_f32_e32 v5, v5
	s_mov_b32 s2, 0x7f800000
	v_cmp_neq_f32_e64 s[2:3], s2, v7
	v_cmp_le_f32_e32 vcc, 0, v8
	v_ldexp_f32 v4, v5, v4
	v_mov_b32_e32 v5, 0x7f800000
	v_cndmask_b32_e64 v7, v5, v4, s[2:3]
                                        ; implicit-def: $vgpr4_vgpr5
	s_and_saveexec_b64 s[2:3], vcc
	s_xor_b64 s[26:27], exec, s[2:3]
	s_cbranch_execz .LBB176_1650
; %bb.1649:
	v_add_f32_e32 v4, v8, v7
	v_mul_f32_e32 v4, 0.5, v4
	s_mov_b32 s2, 0xf800000
	v_mul_f32_e32 v5, 0x4f800000, v4
	v_cmp_gt_f32_e32 vcc, s2, v4
	s_nop 1
	v_cndmask_b32_e32 v4, v4, v5, vcc
	v_sqrt_f32_e32 v5, v4
	s_nop 0
	v_add_u32_e32 v7, -1, v5
	v_fma_f32 v8, -v7, v5, v4
	v_cmp_ge_f32_e64 s[2:3], 0, v8
	v_add_u32_e32 v8, 1, v5
	s_nop 0
	v_cndmask_b32_e64 v7, v5, v7, s[2:3]
	v_fma_f32 v5, -v8, v5, v4
	v_cmp_lt_f32_e64 s[2:3], 0, v5
	s_nop 1
	v_cndmask_b32_e64 v5, v7, v8, s[2:3]
	v_mul_f32_e32 v7, 0x37800000, v5
	v_cndmask_b32_e32 v5, v5, v7, vcc
	v_mov_b32_e32 v7, 0x260
	v_cmp_class_f32_e32 vcc, v4, v7
	s_nop 1
	v_cndmask_b32_e32 v4, v5, v4, vcc
	v_add_f32_e32 v5, v4, v4
	v_div_scale_f32 v7, s[2:3], v5, v5, v9
	v_rcp_f32_e32 v8, v7
	s_nop 0
	v_fma_f32 v11, -v7, v8, 1.0
	v_fmac_f32_e32 v8, v11, v8
	v_div_scale_f32 v11, vcc, v9, v5, v9
	v_mul_f32_e32 v12, v11, v8
	v_fma_f32 v13, -v7, v12, v11
	v_fmac_f32_e32 v12, v13, v8
	v_fma_f32 v7, -v7, v12, v11
	v_div_fmas_f32 v7, v7, v8, v12
	v_div_fixup_f32 v5, v7, v5, v9
                                        ; implicit-def: $vgpr7
                                        ; implicit-def: $vgpr8_vgpr9
	s_andn2_saveexec_b64 s[26:27], s[26:27]
	s_cbranch_execz .LBB176_1652
	s_branch .LBB176_1651
.LBB176_1650:
	s_andn2_saveexec_b64 s[26:27], s[26:27]
	s_cbranch_execz .LBB176_1652
.LBB176_1651:
	v_sub_f32_e32 v4, v7, v8
	v_mul_f32_e32 v4, 0.5, v4
	s_mov_b32 s2, 0xf800000
	v_mul_f32_e32 v5, 0x4f800000, v4
	v_cmp_gt_f32_e32 vcc, s2, v4
	s_nop 1
	v_cndmask_b32_e32 v4, v4, v5, vcc
	v_sqrt_f32_e32 v5, v4
	s_nop 0
	v_add_u32_e32 v7, -1, v5
	v_fma_f32 v8, -v7, v5, v4
	v_cmp_ge_f32_e64 s[2:3], 0, v8
	v_add_u32_e32 v8, 1, v5
	s_nop 0
	v_cndmask_b32_e64 v7, v5, v7, s[2:3]
	v_fma_f32 v5, -v8, v5, v4
	v_cmp_lt_f32_e64 s[2:3], 0, v5
	s_nop 1
	v_cndmask_b32_e64 v5, v7, v8, s[2:3]
	v_mul_f32_e32 v7, 0x37800000, v5
	v_cndmask_b32_e32 v5, v5, v7, vcc
	v_mov_b32_e32 v7, 0x260
	v_cmp_class_f32_e32 vcc, v4, v7
	v_and_b32_e32 v7, 0x7fffffff, v9
	s_nop 0
	v_cndmask_b32_e32 v5, v5, v4, vcc
	v_add_f32_e32 v4, v5, v5
	v_div_scale_f32 v8, s[2:3], v4, v4, v7
	v_rcp_f32_e32 v11, v8
	v_div_scale_f32 v7, vcc, v7, v4, v7
	s_brev_b32 s2, -2
	v_fma_f32 v12, -v8, v11, 1.0
	v_fmac_f32_e32 v11, v12, v11
	v_mul_f32_e32 v12, v7, v11
	v_fma_f32 v13, -v8, v12, v7
	v_fmac_f32_e32 v12, v13, v11
	v_fma_f32 v7, -v8, v12, v7
	v_div_fmas_f32 v7, v7, v11, v12
	v_div_fixup_f32 v4, v7, v4, |v9|
	v_bfi_b32 v5, s2, v5, v9
.LBB176_1652:
	s_or_b64 exec, exec, s[26:27]
                                        ; implicit-def: $vgpr9
                                        ; implicit-def: $vgpr7
	s_and_saveexec_b64 s[2:3], s[0:1]
	s_xor_b64 s[0:1], exec, s[2:3]
	s_cbranch_execz .LBB176_1654
; %bb.1653:
	v_pk_mul_f32 v[8:9], v[4:5], 0.5 op_sel_hi:[1,0]
	s_nop 0
	v_cndmask_b32_e64 v7, v4, v8, s[24:25]
	v_cndmask_b32_e64 v9, v5, v9, s[24:25]
                                        ; implicit-def: $vgpr4_vgpr5
	s_andn2_saveexec_b64 s[0:1], s[0:1]
	s_cbranch_execnz .LBB176_1655
	s_branch .LBB176_1656
.LBB176_1654:
	s_andn2_saveexec_b64 s[0:1], s[0:1]
.LBB176_1655:
	v_pk_add_f32 v[8:9], v[4:5], v[4:5]
	s_nop 0
	v_mov_b32_e32 v7, v8
.LBB176_1656:
	s_or_b64 exec, exec, s[0:1]
.LBB176_1657:
	s_andn2_saveexec_b64 s[0:1], s[22:23]
	s_cbranch_execz .LBB176_1663
; %bb.1658:
	v_sub_f32_e32 v4, v9, v9
	v_cmp_lt_i32_e32 vcc, -1, v8
	s_brev_b32 s22, -2
	v_and_b32_e32 v7, 0x7fffffff, v4
	s_and_saveexec_b64 s[2:3], vcc
	s_xor_b64 s[2:3], exec, s[2:3]
; %bb.1659:
	v_bfi_b32 v9, s22, v4, v9
	v_mov_b32_e32 v7, v8
; %bb.1660:
	s_andn2_saveexec_b64 s[2:3], s[2:3]
; %bb.1661:
	v_bfi_b32 v9, s22, v8, v9
; %bb.1662:
	s_or_b64 exec, exec, s[2:3]
.LBB176_1663:
	s_or_b64 exec, exec, s[0:1]
.LBB176_1664:
	s_andn2_saveexec_b64 s[0:1], s[20:21]
	s_cbranch_execz .LBB176_1666
; %bb.1665:
	v_sub_f32_e32 v4, v9, v9
	v_div_scale_f32 v5, vcc, v4, v4, v4
	v_rcp_f32_e32 v7, v5
	s_nop 0
	v_fma_f32 v9, -v5, v7, 1.0
	v_fmac_f32_e32 v7, v9, v7
	v_mul_f32_e32 v9, v5, v7
	v_fma_f32 v11, -v5, v9, v5
	v_fmac_f32_e32 v9, v11, v7
	v_fma_f32 v5, -v5, v9, v5
	v_div_fmas_f32 v5, v5, v7, v9
	v_div_fixup_f32 v9, v5, v4, v4
	v_mov_b32_e32 v7, v8
.LBB176_1666:
	s_or_b64 exec, exec, s[0:1]
.LBB176_1667:
	s_or_b64 exec, exec, s[18:19]
.LBB176_1668:
	s_or_b64 exec, exec, s[10:11]
	v_cmp_gt_f32_e32 vcc, 0, v9
                                        ; implicit-def: $vgpr4_vgpr5
	s_nop 1
	v_cndmask_b32_e64 v11, v9, -v9, vcc
	v_cmp_gt_f32_e32 vcc, 0, v7
	s_nop 1
	v_cndmask_b32_e64 v8, v7, -v7, vcc
	v_cmp_ge_f32_e32 vcc, v8, v11
	s_and_saveexec_b64 s[0:1], vcc
	s_xor_b64 s[2:3], exec, s[0:1]
	s_cbranch_execz .LBB176_1674
; %bb.1669:
	v_cmp_neq_f32_e32 vcc, 0, v7
	v_cmp_neq_f32_e64 s[0:1], 0, v9
	s_or_b64 s[0:1], vcc, s[0:1]
                                        ; implicit-def: $vgpr4_vgpr5
	s_and_saveexec_b64 s[10:11], s[0:1]
	s_xor_b64 s[0:1], exec, s[10:11]
	s_cbranch_execz .LBB176_1671
; %bb.1670:
	v_div_scale_f32 v4, s[10:11], v7, v7, v9
	v_rcp_f32_e32 v5, v4
	v_div_scale_f32 v8, vcc, v9, v7, v9
	v_fma_f32 v11, -v4, v5, 1.0
	v_fmac_f32_e32 v5, v11, v5
	v_mul_f32_e32 v11, v8, v5
	v_fma_f32 v12, -v4, v11, v8
	v_fmac_f32_e32 v11, v12, v5
	v_fma_f32 v4, -v4, v11, v8
	v_div_fmas_f32 v4, v4, v5, v11
	v_div_fixup_f32 v5, v4, v7, v9
	v_fmac_f32_e32 v7, v9, v5
	v_div_scale_f32 v4, s[10:11], v7, v7, 1.0
	v_rcp_f32_e32 v8, v4
	s_nop 0
	v_fma_f32 v9, -v4, v8, 1.0
	v_fmac_f32_e32 v8, v9, v8
	v_div_scale_f32 v9, vcc, 1.0, v7, 1.0
	v_mul_f32_e32 v11, v9, v8
	v_fma_f32 v12, -v4, v11, v9
	v_fmac_f32_e32 v11, v12, v8
	v_fma_f32 v4, -v4, v11, v9
	v_div_fmas_f32 v4, v4, v8, v11
	v_div_fixup_f32 v4, v4, v7, 1.0
	v_mul_f32_e32 v7, 0, v5
	v_sub_f32_e32 v9, 0, v5
	v_add_f32_e32 v8, 1.0, v7
	v_pk_mul_f32 v[4:5], v[8:9], v[4:5] op_sel_hi:[1,0]
                                        ; implicit-def: $vgpr11
                                        ; implicit-def: $vgpr8
.LBB176_1671:
	s_andn2_saveexec_b64 s[0:1], s[0:1]
	s_cbranch_execz .LBB176_1673
; %bb.1672:
	v_div_scale_f32 v4, s[10:11], v11, v11, 0
	v_rcp_f32_e32 v5, v4
	v_div_scale_f32 v7, vcc, 0, v11, 0
	v_fma_f32 v9, -v4, v5, 1.0
	v_fmac_f32_e32 v5, v9, v5
	v_mul_f32_e32 v9, v7, v5
	v_fma_f32 v12, -v4, v9, v7
	v_fmac_f32_e32 v9, v12, v5
	v_fma_f32 v4, -v4, v9, v7
	v_div_scale_f32 v7, s[10:11], v8, v8, 1.0
	v_rcp_f32_e32 v12, v7
	v_div_fmas_f32 v4, v4, v5, v9
	v_div_fixup_f32 v5, v4, v11, 0
	v_fma_f32 v4, -v7, v12, 1.0
	v_fmac_f32_e32 v12, v4, v12
	v_div_scale_f32 v4, vcc, 1.0, v8, 1.0
	v_mul_f32_e32 v9, v4, v12
	v_fma_f32 v11, -v7, v9, v4
	v_fmac_f32_e32 v9, v11, v12
	v_fma_f32 v4, -v7, v9, v4
	v_div_fmas_f32 v4, v4, v12, v9
	v_div_fixup_f32 v4, v4, v8, 1.0
.LBB176_1673:
	s_or_b64 exec, exec, s[0:1]
                                        ; implicit-def: $vgpr9
                                        ; implicit-def: $vgpr7
.LBB176_1674:
	s_andn2_saveexec_b64 s[0:1], s[2:3]
	s_cbranch_execz .LBB176_1676
; %bb.1675:
	v_div_scale_f32 v4, s[2:3], v9, v9, v7
	v_rcp_f32_e32 v5, v4
	v_div_scale_f32 v8, vcc, v7, v9, v7
	v_fma_f32 v11, -v4, v5, 1.0
	v_fmac_f32_e32 v5, v11, v5
	v_mul_f32_e32 v11, v8, v5
	v_fma_f32 v12, -v4, v11, v8
	v_fmac_f32_e32 v11, v12, v5
	v_fma_f32 v4, -v4, v11, v8
	v_div_fmas_f32 v4, v4, v5, v11
	v_div_fixup_f32 v4, v4, v9, v7
	v_fmac_f32_e32 v9, v7, v4
	v_div_scale_f32 v5, s[2:3], v9, v9, 1.0
	v_rcp_f32_e32 v7, v5
	s_mov_b32 s2, 0
	s_mov_b32 s3, -1.0
	v_fma_f32 v8, -v5, v7, 1.0
	v_fmac_f32_e32 v7, v8, v7
	v_div_scale_f32 v8, vcc, 1.0, v9, 1.0
	v_mul_f32_e32 v11, v8, v7
	v_fma_f32 v12, -v5, v11, v8
	v_fmac_f32_e32 v11, v12, v7
	v_fma_f32 v5, -v5, v11, v8
	v_div_fmas_f32 v5, v5, v7, v11
	v_div_fixup_f32 v8, v5, v9, 1.0
	v_mul_f32_e32 v5, 0, v4
	v_pk_add_f32 v[4:5], v[4:5], s[2:3]
	s_nop 0
	v_pk_mul_f32 v[4:5], v[4:5], v[8:9] op_sel_hi:[1,0]
.LBB176_1676:
	s_or_b64 exec, exec, s[0:1]
	v_add_u32_e32 v6, s9, v6
	v_ashrrev_i32_e32 v7, 31, v6
	s_cmp_lt_i32 s28, 11
	v_lshl_add_u64 v[6:7], s[6:7], 0, v[6:7]
	s_cbranch_scc1 .LBB176_1683
; %bb.1677:
	s_cmp_gt_i32 s28, 25
	s_mov_b64 s[2:3], 0
	s_cbranch_scc0 .LBB176_1684
; %bb.1678:
	s_cmp_gt_i32 s28, 28
	s_cbranch_scc0 .LBB176_1685
; %bb.1679:
	s_cmp_gt_i32 s28, 43
	;; [unrolled: 3-line block ×3, first 2 shown]
	s_cbranch_scc0 .LBB176_1688
; %bb.1681:
	s_cmp_eq_u32 s28, 46
	s_mov_b64 s[10:11], 0
	s_cbranch_scc0 .LBB176_1689
; %bb.1682:
	global_load_dword v8, v[6:7], off
	s_mov_b64 s[0:1], 0
	s_mov_b64 s[6:7], -1
	s_waitcnt vmcnt(0)
	v_and_b32_e32 v9, 0xffff0000, v8
	v_lshlrev_b32_e32 v8, 16, v8
	s_branch .LBB176_1690
.LBB176_1683:
	s_mov_b64 s[0:1], -1
	s_mov_b64 s[6:7], 0
                                        ; implicit-def: $vgpr8_vgpr9
	s_branch .LBB176_1756
.LBB176_1684:
	s_mov_b64 s[10:11], -1
	s_mov_b64 s[6:7], 0
	s_mov_b64 s[0:1], 0
                                        ; implicit-def: $vgpr8_vgpr9
	s_branch .LBB176_1721
.LBB176_1685:
	s_mov_b64 s[10:11], -1
	s_mov_b64 s[6:7], 0
	s_mov_b64 s[0:1], 0
                                        ; implicit-def: $vgpr8_vgpr9
	s_branch .LBB176_1700
.LBB176_1686:
	s_mov_b64 s[10:11], -1
	s_mov_b64 s[6:7], 0
	s_mov_b64 s[0:1], 0
                                        ; implicit-def: $vgpr8_vgpr9
	s_branch .LBB176_1695
.LBB176_1687:
	s_trap 2
	s_or_b64 s[16:17], s[16:17], exec
	s_cbranch_execz .LBB176_1588
	s_branch .LBB176_1589
.LBB176_1688:
	s_mov_b64 s[10:11], -1
	s_mov_b64 s[6:7], 0
	s_mov_b64 s[0:1], 0
                                        ; implicit-def: $vgpr8_vgpr9
	s_branch .LBB176_1690
.LBB176_1689:
	s_mov_b64 s[0:1], -1
                                        ; implicit-def: $vgpr8_vgpr9
	s_mov_b64 s[6:7], 0
.LBB176_1690:
	s_and_b64 vcc, exec, s[10:11]
	s_cbranch_vccz .LBB176_1694
; %bb.1691:
	s_cmp_eq_u32 s28, 44
	s_cbranch_scc0 .LBB176_1693
; %bb.1692:
	global_load_ubyte v8, v[6:7], off
	s_movk_i32 s6, 0xff
	v_mov_b32_e32 v11, 0x7f800001
	v_mov_b32_e32 v12, 0x400000
	;; [unrolled: 1-line block ×3, first 2 shown]
	s_mov_b64 s[0:1], 0
	s_waitcnt vmcnt(0)
	v_lshlrev_b32_e32 v13, 23, v8
	v_cmp_ne_u32_e32 vcc, s6, v8
	s_mov_b64 s[6:7], -1
	s_nop 0
	v_cndmask_b32_e32 v11, v11, v13, vcc
	v_cmp_ne_u32_e32 vcc, 0, v8
	s_nop 1
	v_cndmask_b32_e32 v8, v12, v11, vcc
	s_branch .LBB176_1694
.LBB176_1693:
	s_mov_b64 s[0:1], -1
                                        ; implicit-def: $vgpr8_vgpr9
.LBB176_1694:
	s_mov_b64 s[10:11], 0
.LBB176_1695:
	s_and_b64 vcc, exec, s[10:11]
	s_cbranch_vccz .LBB176_1699
; %bb.1696:
	s_cmp_eq_u32 s28, 29
	s_cbranch_scc0 .LBB176_1698
; %bb.1697:
	global_load_dwordx2 v[8:9], v[6:7], off
	s_mov_b64 s[0:1], 0
	s_mov_b64 s[6:7], -1
	s_mov_b64 s[10:11], 0
	s_waitcnt vmcnt(0)
	v_ffbh_u32_e32 v11, v9
	v_min_u32_e32 v11, 32, v11
	v_lshlrev_b64 v[8:9], v11, v[8:9]
	v_min_u32_e32 v8, 1, v8
	v_or_b32_e32 v8, v9, v8
	v_cvt_f32_u32_e32 v8, v8
	v_sub_u32_e32 v11, 32, v11
	v_mov_b32_e32 v9, 0
	v_ldexp_f32 v8, v8, v11
	s_branch .LBB176_1700
.LBB176_1698:
	s_mov_b64 s[0:1], -1
                                        ; implicit-def: $vgpr8_vgpr9
.LBB176_1699:
	s_mov_b64 s[10:11], 0
.LBB176_1700:
	s_and_b64 vcc, exec, s[10:11]
	s_cbranch_vccz .LBB176_1720
; %bb.1701:
	s_cmp_lt_i32 s28, 27
	s_cbranch_scc1 .LBB176_1704
; %bb.1702:
	s_cmp_gt_i32 s28, 27
	s_cbranch_scc0 .LBB176_1705
; %bb.1703:
	global_load_dword v8, v[6:7], off
	v_mov_b32_e32 v9, 0
	s_mov_b64 s[6:7], 0
	s_waitcnt vmcnt(0)
	v_cvt_f32_u32_e32 v8, v8
	s_branch .LBB176_1706
.LBB176_1704:
	s_mov_b64 s[6:7], -1
                                        ; implicit-def: $vgpr8_vgpr9
	s_branch .LBB176_1709
.LBB176_1705:
	s_mov_b64 s[6:7], -1
                                        ; implicit-def: $vgpr8_vgpr9
.LBB176_1706:
	s_andn2_b64 vcc, exec, s[6:7]
	s_cbranch_vccnz .LBB176_1708
; %bb.1707:
	global_load_ushort v8, v[6:7], off
	v_mov_b32_e32 v9, 0
	s_waitcnt vmcnt(0)
	v_cvt_f32_u32_e32 v8, v8
.LBB176_1708:
	s_mov_b64 s[6:7], 0
.LBB176_1709:
	s_andn2_b64 vcc, exec, s[6:7]
	s_cbranch_vccnz .LBB176_1719
; %bb.1710:
	global_load_ubyte v11, v[6:7], off
	s_movk_i32 s6, 0x7f
	s_waitcnt vmcnt(0)
	v_cmp_lt_i16_e32 vcc, s6, v11
	s_mov_b64 s[6:7], 0
	s_and_saveexec_b64 s[10:11], vcc
	s_xor_b64 s[10:11], exec, s[10:11]
	s_cbranch_execz .LBB176_1714
; %bb.1711:
	s_movk_i32 s6, 0x80
	v_cmp_eq_u16_e32 vcc, s6, v11
	s_mov_b64 s[6:7], -1
	s_and_saveexec_b64 s[18:19], vcc
; %bb.1712:
	s_xor_b64 s[6:7], exec, -1
; %bb.1713:
	s_or_b64 exec, exec, s[18:19]
	s_and_b64 s[6:7], s[6:7], exec
.LBB176_1714:
	s_or_saveexec_b64 s[10:11], s[10:11]
	v_mov_b32_e32 v8, 0x7f800001
	v_mov_b32_e32 v9, 0
	s_xor_b64 exec, exec, s[10:11]
; %bb.1715:
	v_cmp_ne_u16_e32 vcc, 0, v11
	s_andn2_b64 s[6:7], s[6:7], exec
	s_and_b64 s[18:19], vcc, exec
	v_mov_b32_e32 v8, v9
	s_or_b64 s[6:7], s[6:7], s[18:19]
; %bb.1716:
	s_or_b64 exec, exec, s[10:11]
	s_and_saveexec_b64 s[10:11], s[6:7]
	s_cbranch_execz .LBB176_1718
; %bb.1717:
	v_and_b32_e32 v9, 0xffff, v11
	v_lshlrev_b32_e32 v8, 24, v11
	v_and_b32_e32 v11, 7, v9
	v_ffbh_u32_e32 v13, v11
	v_min_u32_e32 v13, 32, v13
	v_subrev_u32_e32 v14, 28, v13
	v_bfe_u32 v12, v9, 3, 4
	v_lshlrev_b32_e32 v9, v14, v9
	v_sub_u32_e32 v13, 29, v13
	v_and_b32_e32 v9, 7, v9
	v_cmp_eq_u32_e32 vcc, 0, v12
	v_and_b32_e32 v8, 0x80000000, v8
	s_nop 0
	v_cndmask_b32_e32 v12, v12, v13, vcc
	v_cndmask_b32_e32 v9, v11, v9, vcc
	v_mov_b32_e32 v11, 0x3b800000
	v_lshlrev_b32_e32 v9, 20, v9
	v_lshl_add_u32 v11, v12, 23, v11
	v_or3_b32 v8, v8, v11, v9
	v_mov_b32_e32 v9, 0
.LBB176_1718:
	s_or_b64 exec, exec, s[10:11]
.LBB176_1719:
	s_mov_b64 s[6:7], -1
.LBB176_1720:
	s_mov_b64 s[10:11], 0
.LBB176_1721:
	s_and_b64 vcc, exec, s[10:11]
	s_cbranch_vccz .LBB176_1752
; %bb.1722:
	s_cmp_gt_i32 s28, 22
	s_cbranch_scc0 .LBB176_1734
; %bb.1723:
	s_cmp_lt_i32 s28, 24
	s_cbranch_scc1 .LBB176_1735
; %bb.1724:
	s_cmp_gt_i32 s28, 24
	s_cbranch_scc0 .LBB176_1736
; %bb.1725:
	global_load_ubyte v11, v[6:7], off
	s_movk_i32 s2, 0x7f
	s_waitcnt vmcnt(0)
	v_cmp_lt_i16_e32 vcc, s2, v11
	s_mov_b64 s[2:3], 0
	s_and_saveexec_b64 s[6:7], vcc
	s_xor_b64 s[6:7], exec, s[6:7]
	s_cbranch_execz .LBB176_1729
; %bb.1726:
	s_movk_i32 s2, 0x80
	v_cmp_eq_u16_e32 vcc, s2, v11
	s_mov_b64 s[2:3], -1
	s_and_saveexec_b64 s[10:11], vcc
; %bb.1727:
	s_xor_b64 s[2:3], exec, -1
; %bb.1728:
	s_or_b64 exec, exec, s[10:11]
	s_and_b64 s[2:3], s[2:3], exec
.LBB176_1729:
	s_or_saveexec_b64 s[6:7], s[6:7]
	v_mov_b32_e32 v8, 0x7f800001
	v_mov_b32_e32 v9, 0
	s_xor_b64 exec, exec, s[6:7]
; %bb.1730:
	v_cmp_ne_u16_e32 vcc, 0, v11
	s_andn2_b64 s[2:3], s[2:3], exec
	s_and_b64 s[10:11], vcc, exec
	v_mov_b32_e32 v8, v9
	s_or_b64 s[2:3], s[2:3], s[10:11]
; %bb.1731:
	s_or_b64 exec, exec, s[6:7]
	s_and_saveexec_b64 s[6:7], s[2:3]
	s_cbranch_execz .LBB176_1733
; %bb.1732:
	v_and_b32_e32 v9, 0xffff, v11
	v_lshlrev_b32_e32 v8, 24, v11
	v_and_b32_e32 v11, 3, v9
	v_ffbh_u32_e32 v13, v11
	v_min_u32_e32 v13, 32, v13
	v_subrev_u32_e32 v14, 29, v13
	v_bfe_u32 v12, v9, 2, 5
	v_lshlrev_b32_e32 v9, v14, v9
	v_sub_u32_e32 v13, 30, v13
	v_and_b32_e32 v9, 3, v9
	v_cmp_eq_u32_e32 vcc, 0, v12
	v_and_b32_e32 v8, 0x80000000, v8
	s_nop 0
	v_cndmask_b32_e32 v12, v12, v13, vcc
	v_cndmask_b32_e32 v9, v11, v9, vcc
	v_mov_b32_e32 v11, 0x37800000
	v_lshlrev_b32_e32 v9, 21, v9
	v_lshl_add_u32 v11, v12, 23, v11
	v_or3_b32 v8, v8, v11, v9
	v_mov_b32_e32 v9, 0
.LBB176_1733:
	s_or_b64 exec, exec, s[6:7]
	s_mov_b64 s[2:3], 0
	s_branch .LBB176_1737
.LBB176_1734:
	s_mov_b64 s[2:3], -1
                                        ; implicit-def: $vgpr8_vgpr9
	s_branch .LBB176_1743
.LBB176_1735:
	s_mov_b64 s[2:3], -1
                                        ; implicit-def: $vgpr8_vgpr9
	s_branch .LBB176_1740
.LBB176_1736:
	s_mov_b64 s[2:3], -1
                                        ; implicit-def: $vgpr8_vgpr9
.LBB176_1737:
	s_and_b64 vcc, exec, s[2:3]
	s_cbranch_vccz .LBB176_1739
; %bb.1738:
	global_load_ubyte v8, v[6:7], off
	s_mov_b32 s2, 0x7f800000
	s_brev_b32 s3, 1
	s_waitcnt vmcnt(0)
	v_lshlrev_b32_e32 v8, 24, v8
	v_and_b32_e32 v9, 0x7f000000, v8
	v_ffbh_u32_e32 v11, v9
	v_min_u32_e32 v11, 32, v11
	v_sub_u32_e64 v11, v11, 4 clamp
	v_lshlrev_b32_e32 v13, v11, v9
	v_lshlrev_b32_e32 v11, 23, v11
	v_lshrrev_b32_e32 v13, 4, v13
	v_add_u32_e32 v12, 0x1000000, v9
	v_sub_u32_e32 v11, v13, v11
	v_ashrrev_i32_e32 v12, 8, v12
	v_add_u32_e32 v11, 0x3c000000, v11
	v_and_or_b32 v11, v12, s2, v11
	v_cmp_ne_u32_e32 vcc, 0, v9
	s_nop 1
	v_cndmask_b32_e32 v9, 0, v11, vcc
	v_and_or_b32 v8, v8, s3, v9
	v_mov_b32_e32 v9, 0
.LBB176_1739:
	s_mov_b64 s[2:3], 0
.LBB176_1740:
	s_andn2_b64 vcc, exec, s[2:3]
	s_cbranch_vccnz .LBB176_1742
; %bb.1741:
	global_load_ubyte v8, v[6:7], off
	s_movk_i32 s2, 0x7f00
	s_brev_b32 s3, 16
	s_brev_b32 s6, 1
	s_waitcnt vmcnt(0)
	v_lshlrev_b16_e32 v9, 8, v8
	v_lshlrev_b32_e32 v8, 25, v8
	v_lshrrev_b32_e32 v11, 4, v8
	v_and_or_b32 v12, v9, s2, 0.5
	v_or_b32_e32 v11, 0x70000000, v11
	v_add_f32_e32 v12, -0.5, v12
	v_mul_f32_e32 v11, 0x7800000, v11
	v_cmp_gt_u32_e32 vcc, s3, v8
	v_bfe_i32 v9, v9, 0, 16
	s_nop 0
	v_cndmask_b32_e32 v8, v11, v12, vcc
	v_and_or_b32 v8, v9, s6, v8
	v_mov_b32_e32 v9, 0
.LBB176_1742:
	s_mov_b64 s[2:3], 0
	s_mov_b64 s[6:7], -1
.LBB176_1743:
	s_andn2_b64 vcc, exec, s[2:3]
	s_mov_b64 s[2:3], 0
	s_cbranch_vccnz .LBB176_1752
; %bb.1744:
	s_cmp_gt_i32 s28, 14
	s_cbranch_scc0 .LBB176_1747
; %bb.1745:
	s_cmp_eq_u32 s28, 15
	s_cbranch_scc0 .LBB176_1748
; %bb.1746:
	global_load_ushort v8, v[6:7], off
	v_mov_b32_e32 v9, 0
	s_mov_b64 s[0:1], 0
	s_mov_b64 s[6:7], -1
	s_waitcnt vmcnt(0)
	v_lshlrev_b32_e32 v8, 16, v8
	s_branch .LBB176_1749
.LBB176_1747:
	s_mov_b64 s[10:11], -1
                                        ; implicit-def: $vgpr8_vgpr9
	s_branch .LBB176_1750
.LBB176_1748:
	s_mov_b64 s[0:1], -1
                                        ; implicit-def: $vgpr8_vgpr9
.LBB176_1749:
	s_mov_b64 s[10:11], 0
.LBB176_1750:
	s_and_b64 vcc, exec, s[10:11]
	s_cbranch_vccz .LBB176_1752
; %bb.1751:
	s_cmp_lg_u32 s28, 11
	s_mov_b64 s[2:3], -1
	s_cselect_b64 s[0:1], -1, 0
.LBB176_1752:
	s_and_b64 vcc, exec, s[0:1]
	s_cbranch_vccnz .LBB176_2325
; %bb.1753:
	s_andn2_b64 vcc, exec, s[2:3]
	s_cbranch_vccnz .LBB176_1755
.LBB176_1754:
	global_load_ubyte v8, v[6:7], off
	v_mov_b32_e32 v9, 0
	s_mov_b64 s[6:7], -1
	s_waitcnt vmcnt(0)
	v_cmp_ne_u16_e32 vcc, 0, v8
	s_nop 1
	v_cndmask_b32_e64 v8, 0, 1.0, vcc
.LBB176_1755:
	s_mov_b64 s[0:1], 0
.LBB176_1756:
	s_and_b64 vcc, exec, s[0:1]
	s_cbranch_vccz .LBB176_1805
; %bb.1757:
	s_cmp_lt_i32 s28, 5
	s_cbranch_scc1 .LBB176_1762
; %bb.1758:
	s_cmp_lt_i32 s28, 8
	s_cbranch_scc1 .LBB176_1763
	;; [unrolled: 3-line block ×3, first 2 shown]
; %bb.1760:
	s_cmp_gt_i32 s28, 9
	s_cbranch_scc0 .LBB176_1765
; %bb.1761:
	global_load_dwordx4 v[12:15], v[6:7], off
	s_mov_b64 s[0:1], 0
	s_waitcnt vmcnt(0)
	v_cvt_f32_f64_e32 v9, v[14:15]
	v_cvt_f32_f64_e32 v8, v[12:13]
	s_branch .LBB176_1766
.LBB176_1762:
	s_mov_b64 s[0:1], -1
                                        ; implicit-def: $vgpr8_vgpr9
	s_branch .LBB176_1784
.LBB176_1763:
	s_mov_b64 s[0:1], -1
                                        ; implicit-def: $vgpr8_vgpr9
	s_branch .LBB176_1772
.LBB176_1764:
	s_mov_b64 s[0:1], -1
                                        ; implicit-def: $vgpr8_vgpr9
	s_branch .LBB176_1769
.LBB176_1765:
	s_mov_b64 s[0:1], -1
                                        ; implicit-def: $vgpr8_vgpr9
.LBB176_1766:
	s_andn2_b64 vcc, exec, s[0:1]
	s_cbranch_vccnz .LBB176_1768
; %bb.1767:
	global_load_dwordx2 v[8:9], v[6:7], off
.LBB176_1768:
	s_mov_b64 s[0:1], 0
.LBB176_1769:
	s_andn2_b64 vcc, exec, s[0:1]
	s_cbranch_vccnz .LBB176_1771
; %bb.1770:
	global_load_dword v8, v[6:7], off
	s_waitcnt vmcnt(0)
	v_cvt_f32_f16_sdwa v9, v8 dst_sel:DWORD dst_unused:UNUSED_PAD src0_sel:WORD_1
	v_cvt_f32_f16_e32 v8, v8
.LBB176_1771:
	s_mov_b64 s[0:1], 0
.LBB176_1772:
	s_andn2_b64 vcc, exec, s[0:1]
	s_cbranch_vccnz .LBB176_1783
; %bb.1773:
	s_cmp_lt_i32 s28, 6
	s_cbranch_scc1 .LBB176_1776
; %bb.1774:
	s_cmp_gt_i32 s28, 6
	s_cbranch_scc0 .LBB176_1777
; %bb.1775:
	global_load_dwordx2 v[12:13], v[6:7], off
	s_waitcnt vmcnt(1)
	v_mov_b32_e32 v9, 0
	s_mov_b64 s[0:1], 0
	s_waitcnt vmcnt(0)
	v_cvt_f32_f64_e32 v8, v[12:13]
	s_branch .LBB176_1778
.LBB176_1776:
	s_mov_b64 s[0:1], -1
                                        ; implicit-def: $vgpr8_vgpr9
	s_branch .LBB176_1781
.LBB176_1777:
	s_mov_b64 s[0:1], -1
                                        ; implicit-def: $vgpr8_vgpr9
.LBB176_1778:
	s_andn2_b64 vcc, exec, s[0:1]
	s_cbranch_vccnz .LBB176_1780
; %bb.1779:
	global_load_dword v8, v[6:7], off
	s_waitcnt vmcnt(1)
	v_mov_b32_e32 v9, 0
.LBB176_1780:
	s_mov_b64 s[0:1], 0
.LBB176_1781:
	s_andn2_b64 vcc, exec, s[0:1]
	s_cbranch_vccnz .LBB176_1783
; %bb.1782:
	global_load_ushort v8, v[6:7], off
	s_waitcnt vmcnt(1)
	v_mov_b32_e32 v9, 0
	s_waitcnt vmcnt(0)
	v_cvt_f32_f16_e32 v8, v8
.LBB176_1783:
	s_mov_b64 s[0:1], 0
.LBB176_1784:
	s_andn2_b64 vcc, exec, s[0:1]
	s_cbranch_vccnz .LBB176_1804
; %bb.1785:
	s_cmp_lt_i32 s28, 2
	s_cbranch_scc1 .LBB176_1789
; %bb.1786:
	s_cmp_lt_i32 s28, 3
	s_cbranch_scc1 .LBB176_1790
; %bb.1787:
	s_cmp_gt_i32 s28, 3
	s_cbranch_scc0 .LBB176_1791
; %bb.1788:
	global_load_dwordx2 v[8:9], v[6:7], off
	s_mov_b64 s[0:1], 0
	s_waitcnt vmcnt(0)
	v_xor_b32_e32 v12, v8, v9
	v_ffbh_i32_e32 v11, v9
	v_ashrrev_i32_e32 v12, 31, v12
	v_add_u32_e32 v11, -1, v11
	v_add_u32_e32 v12, 32, v12
	v_min_u32_e32 v11, v11, v12
	v_lshlrev_b64 v[8:9], v11, v[8:9]
	v_min_u32_e32 v8, 1, v8
	v_or_b32_e32 v8, v9, v8
	v_cvt_f32_i32_e32 v8, v8
	v_sub_u32_e32 v11, 32, v11
	v_mov_b32_e32 v9, 0
	v_ldexp_f32 v8, v8, v11
	s_branch .LBB176_1792
.LBB176_1789:
	s_mov_b64 s[0:1], -1
                                        ; implicit-def: $vgpr8_vgpr9
	s_branch .LBB176_1798
.LBB176_1790:
	s_mov_b64 s[0:1], -1
                                        ; implicit-def: $vgpr8_vgpr9
	s_branch .LBB176_1795
.LBB176_1791:
	s_mov_b64 s[0:1], -1
                                        ; implicit-def: $vgpr8_vgpr9
.LBB176_1792:
	s_andn2_b64 vcc, exec, s[0:1]
	s_cbranch_vccnz .LBB176_1794
; %bb.1793:
	global_load_dword v8, v[6:7], off
	s_waitcnt vmcnt(1)
	v_mov_b32_e32 v9, 0
	s_waitcnt vmcnt(0)
	v_cvt_f32_i32_e32 v8, v8
.LBB176_1794:
	s_mov_b64 s[0:1], 0
.LBB176_1795:
	s_andn2_b64 vcc, exec, s[0:1]
	s_cbranch_vccnz .LBB176_1797
; %bb.1796:
	global_load_sshort v8, v[6:7], off
	s_waitcnt vmcnt(1)
	v_mov_b32_e32 v9, 0
	s_waitcnt vmcnt(0)
	v_cvt_f32_i32_e32 v8, v8
.LBB176_1797:
	s_mov_b64 s[0:1], 0
.LBB176_1798:
	s_andn2_b64 vcc, exec, s[0:1]
	s_cbranch_vccnz .LBB176_1804
; %bb.1799:
	s_cmp_gt_i32 s28, 0
	s_cbranch_scc0 .LBB176_1801
; %bb.1800:
	global_load_sbyte v8, v[6:7], off
	s_waitcnt vmcnt(1)
	v_mov_b32_e32 v9, 0
	s_mov_b64 s[0:1], 0
	s_waitcnt vmcnt(0)
	v_cvt_f32_i32_e32 v8, v8
	s_branch .LBB176_1802
.LBB176_1801:
	s_mov_b64 s[0:1], -1
                                        ; implicit-def: $vgpr8_vgpr9
.LBB176_1802:
	s_andn2_b64 vcc, exec, s[0:1]
	s_cbranch_vccnz .LBB176_1804
; %bb.1803:
	global_load_ubyte v6, v[6:7], off
	s_waitcnt vmcnt(1)
	v_mov_b32_e32 v9, 0
	s_waitcnt vmcnt(0)
	v_cvt_f32_ubyte0_e32 v8, v6
.LBB176_1804:
	s_mov_b64 s[6:7], -1
.LBB176_1805:
	s_andn2_b64 vcc, exec, s[6:7]
	s_cbranch_vccnz .LBB176_1818
; %bb.1806:
	s_waitcnt vmcnt(0)
	v_cmp_neq_f32_e32 vcc, 0, v8
	v_cmp_neq_f32_e64 s[0:1], 0, v9
	v_mov_b32_e32 v11, 0
	s_or_b64 s[0:1], vcc, s[0:1]
	s_and_saveexec_b64 s[6:7], s[0:1]
	s_cbranch_execz .LBB176_1882
; %bb.1807:
	v_mov_b32_e32 v11, 0x7f800000
	v_cmp_neq_f32_e64 s[0:1], |v9|, v11
	s_and_saveexec_b64 s[10:11], s[0:1]
	s_cbranch_execz .LBB176_1881
; %bb.1808:
	v_cmp_o_f32_e32 vcc, v8, v8
                                        ; implicit-def: $vgpr11
	s_and_saveexec_b64 s[0:1], vcc
	s_xor_b64 s[18:19], exec, s[0:1]
	s_cbranch_execz .LBB176_1878
; %bb.1809:
	s_mov_b32 s0, 0x7f800000
	v_cmp_neq_f32_e64 s[0:1], |v8|, s0
                                        ; implicit-def: $vgpr11
	s_and_saveexec_b64 s[2:3], s[0:1]
	s_xor_b64 s[20:21], exec, s[2:3]
	s_cbranch_execz .LBB176_1871
; %bb.1810:
	v_max_f32_e64 v6, |v9|, |v9|
	v_max_f32_e64 v7, |v8|, |v8|
	v_max_f32_e32 v6, v7, v6
	s_mov_b32 s0, 0x7ed413cb
	v_cmp_nle_f32_e64 s[0:1], s0, v6
                                        ; implicit-def: $sgpr22_sgpr23
	s_and_saveexec_b64 s[2:3], s[0:1]
	s_xor_b64 s[2:3], exec, s[2:3]
	s_cbranch_execz .LBB176_1814
; %bb.1811:
	s_mov_b32 s9, 0x1000000
	v_cmp_le_f32_e64 s[22:23], |v8|, s9
	v_cmp_le_f32_e64 s[24:25], |v9|, s9
	s_and_b64 s[26:27], s[22:23], s[24:25]
	s_mov_b64 s[22:23], 0
	s_and_saveexec_b64 s[24:25], s[26:27]
; %bb.1812:
	s_mov_b64 s[22:23], exec
	v_pk_mul_f32 v[8:9], v[8:9], 4.0 op_sel_hi:[1,0]
; %bb.1813:
	s_or_b64 exec, exec, s[24:25]
.LBB176_1814:
	s_andn2_saveexec_b64 s[2:3], s[2:3]
; %bb.1815:
	s_mov_b32 s24, 0x3e800000
	v_pk_mul_f32 v[8:9], v[8:9], s[24:25] op_sel_hi:[1,0]
	s_andn2_b64 s[22:23], s[22:23], exec
; %bb.1816:
	s_or_b64 exec, exec, s[2:3]
	v_max_f32_e64 v6, |v9|, |v9|
	v_max_f32_e64 v7, |v8|, |v8|
	v_max_f32_e32 v11, v7, v6
	v_cvt_f64_f32_e32 v[6:7], v11
	v_frexp_exp_i32_f64_e32 v6, v[6:7]
	v_sub_u32_e32 v7, 0, v6
	v_ldexp_f32 v12, |v8|, v7
	v_ldexp_f32 v7, |v9|, v7
	v_mul_f32_e32 v7, v7, v7
	v_fmac_f32_e32 v7, v12, v12
	v_sqrt_f32_e32 v7, v7
	s_mov_b32 s2, 0x7f800000
	v_cmp_neq_f32_e64 s[2:3], s2, v11
	v_cmp_le_f32_e32 vcc, 0, v8
	v_ldexp_f32 v6, v7, v6
	v_mov_b32_e32 v7, 0x7f800000
	v_cndmask_b32_e64 v11, v7, v6, s[2:3]
                                        ; implicit-def: $vgpr6_vgpr7
	s_and_saveexec_b64 s[2:3], vcc
	s_xor_b64 s[24:25], exec, s[2:3]
	s_cbranch_execz .LBB176_1864
; %bb.1817:
	v_add_f32_e32 v6, v8, v11
	v_mul_f32_e32 v6, 0.5, v6
	s_mov_b32 s2, 0xf800000
	v_mul_f32_e32 v7, 0x4f800000, v6
	v_cmp_gt_f32_e32 vcc, s2, v6
	s_nop 1
	v_cndmask_b32_e32 v6, v6, v7, vcc
	v_sqrt_f32_e32 v7, v6
	s_nop 0
	v_add_u32_e32 v8, -1, v7
	v_fma_f32 v11, -v8, v7, v6
	v_cmp_ge_f32_e64 s[2:3], 0, v11
	v_add_u32_e32 v11, 1, v7
	s_nop 0
	v_cndmask_b32_e64 v8, v7, v8, s[2:3]
	v_fma_f32 v7, -v11, v7, v6
	v_cmp_lt_f32_e64 s[2:3], 0, v7
	s_nop 1
	v_cndmask_b32_e64 v7, v8, v11, s[2:3]
	v_mul_f32_e32 v8, 0x37800000, v7
	v_cndmask_b32_e32 v7, v7, v8, vcc
	v_mov_b32_e32 v8, 0x260
	v_cmp_class_f32_e32 vcc, v6, v8
	s_nop 1
	v_cndmask_b32_e32 v6, v7, v6, vcc
	v_add_f32_e32 v7, v6, v6
	v_div_scale_f32 v8, s[2:3], v7, v7, v9
	v_rcp_f32_e32 v11, v8
	s_nop 0
	v_fma_f32 v12, -v8, v11, 1.0
	v_fmac_f32_e32 v11, v12, v11
	v_div_scale_f32 v12, vcc, v9, v7, v9
	v_mul_f32_e32 v13, v12, v11
	v_fma_f32 v14, -v8, v13, v12
	v_fmac_f32_e32 v13, v14, v11
	v_fma_f32 v8, -v8, v13, v12
	v_div_fmas_f32 v8, v8, v11, v13
	v_div_fixup_f32 v7, v8, v7, v9
                                        ; implicit-def: $vgpr11
                                        ; implicit-def: $vgpr8_vgpr9
	s_andn2_saveexec_b64 s[24:25], s[24:25]
	s_cbranch_execz .LBB176_1866
	s_branch .LBB176_1865
.LBB176_1818:
	s_mov_b64 s[0:1], 0
                                        ; implicit-def: $sgpr24
                                        ; implicit-def: $vgpr0_vgpr1
                                        ; implicit-def: $vgpr6_vgpr7
.LBB176_1819:
	s_mov_b64 s[2:3], 0
.LBB176_1820:
	s_and_b64 s[18:19], s[0:1], exec
	s_and_b64 s[10:11], s[2:3], exec
	s_andn2_b64 s[0:1], s[14:15], exec
	s_and_b64 s[2:3], s[16:17], exec
	s_or_b64 s[14:15], s[0:1], s[2:3]
.LBB176_1821:
	s_or_b64 exec, exec, s[12:13]
	s_and_saveexec_b64 s[0:1], s[14:15]
	s_cbranch_execz .LBB176_1824
; %bb.1822:
	; divergent unreachable
	s_or_b64 exec, exec, s[0:1]
	s_and_saveexec_b64 s[0:1], s[10:11]
	s_xor_b64 s[2:3], exec, s[0:1]
	s_cbranch_execnz .LBB176_1825
.LBB176_1823:
	s_or_b64 exec, exec, s[2:3]
	s_and_saveexec_b64 s[0:1], s[18:19]
	s_cbranch_execnz .LBB176_1826
	s_branch .LBB176_1863
.LBB176_1824:
	s_or_b64 exec, exec, s[0:1]
	s_and_saveexec_b64 s[0:1], s[10:11]
	s_xor_b64 s[2:3], exec, s[0:1]
	s_cbranch_execz .LBB176_1823
.LBB176_1825:
	s_waitcnt vmcnt(0)
	v_cmp_neq_f32_e32 vcc, 0, v6
	v_cmp_neq_f32_e64 s[0:1], 0, v7
	s_or_b64 s[0:1], vcc, s[0:1]
	s_nop 0
	v_cndmask_b32_e64 v2, 0, 1, s[0:1]
	global_store_byte v[0:1], v2, off
	s_or_b64 exec, exec, s[2:3]
	s_and_saveexec_b64 s[0:1], s[18:19]
	s_cbranch_execz .LBB176_1863
.LBB176_1826:
	s_sext_i32_i16 s2, s24
	s_cmp_lt_i32 s2, 5
	s_mov_b64 s[0:1], -1
	s_cbranch_scc1 .LBB176_1847
; %bb.1827:
	s_cmp_lt_i32 s2, 8
	s_cbranch_scc1 .LBB176_1837
; %bb.1828:
	s_cmp_lt_i32 s2, 9
	s_cbranch_scc1 .LBB176_1834
; %bb.1829:
	s_cmp_gt_i32 s2, 9
	s_cbranch_scc0 .LBB176_1831
; %bb.1830:
	s_waitcnt vmcnt(0)
	v_cvt_f64_f32_e32 v[2:3], v6
	v_cvt_f64_f32_e32 v[4:5], v7
	global_store_dwordx4 v[0:1], v[2:5], off
	s_mov_b64 s[0:1], 0
.LBB176_1831:
	s_andn2_b64 vcc, exec, s[0:1]
	s_cbranch_vccnz .LBB176_1833
; %bb.1832:
	s_waitcnt vmcnt(0)
	global_store_dwordx2 v[0:1], v[6:7], off
.LBB176_1833:
	s_mov_b64 s[0:1], 0
.LBB176_1834:
	s_andn2_b64 vcc, exec, s[0:1]
	s_cbranch_vccnz .LBB176_1836
; %bb.1835:
	s_waitcnt vmcnt(0)
	v_cvt_f16_f32_e32 v2, v6
	v_cvt_f16_f32_sdwa v3, v7 dst_sel:WORD_1 dst_unused:UNUSED_PAD src0_sel:DWORD
	s_nop 0
	v_or_b32_e32 v2, v3, v2
	global_store_dword v[0:1], v2, off
.LBB176_1836:
	s_mov_b64 s[0:1], 0
.LBB176_1837:
	s_andn2_b64 vcc, exec, s[0:1]
	s_cbranch_vccnz .LBB176_1846
; %bb.1838:
	s_sext_i32_i16 s2, s24
	s_cmp_lt_i32 s2, 6
	s_mov_b64 s[0:1], -1
	s_cbranch_scc1 .LBB176_1844
; %bb.1839:
	s_cmp_gt_i32 s2, 6
	s_cbranch_scc0 .LBB176_1841
; %bb.1840:
	s_waitcnt vmcnt(0)
	v_cvt_f64_f32_e32 v[2:3], v6
	global_store_dwordx2 v[0:1], v[2:3], off
	s_mov_b64 s[0:1], 0
.LBB176_1841:
	s_andn2_b64 vcc, exec, s[0:1]
	s_cbranch_vccnz .LBB176_1843
; %bb.1842:
	s_waitcnt vmcnt(0)
	global_store_dword v[0:1], v6, off
.LBB176_1843:
	s_mov_b64 s[0:1], 0
.LBB176_1844:
	s_andn2_b64 vcc, exec, s[0:1]
	s_cbranch_vccnz .LBB176_1846
; %bb.1845:
	s_waitcnt vmcnt(0)
	v_cvt_f16_f32_e32 v2, v6
	global_store_short v[0:1], v2, off
.LBB176_1846:
	s_mov_b64 s[0:1], 0
.LBB176_1847:
	s_andn2_b64 vcc, exec, s[0:1]
	s_cbranch_vccnz .LBB176_1863
; %bb.1848:
	s_sext_i32_i16 s2, s24
	s_cmp_lt_i32 s2, 2
	s_mov_b64 s[0:1], -1
	s_cbranch_scc1 .LBB176_1858
; %bb.1849:
	s_cmp_lt_i32 s2, 3
	s_cbranch_scc1 .LBB176_1855
; %bb.1850:
	s_cmp_gt_i32 s2, 3
	s_cbranch_scc0 .LBB176_1852
; %bb.1851:
	s_waitcnt vmcnt(0)
	v_trunc_f32_e32 v2, v6
	s_mov_b32 s0, 0x2f800000
	v_mul_f32_e64 v3, |v2|, s0
	v_floor_f32_e32 v3, v3
	s_mov_b32 s0, 0xcf800000
	v_cvt_u32_f32_e32 v4, v3
	v_fma_f32 v3, v3, s0, |v2|
	v_cvt_u32_f32_e32 v3, v3
	v_ashrrev_i32_e32 v5, 31, v2
	v_xor_b32_e32 v4, v4, v5
	s_mov_b64 s[0:1], 0
	v_xor_b32_e32 v2, v3, v5
	v_sub_co_u32_e32 v2, vcc, v2, v5
	s_nop 1
	v_subb_co_u32_e32 v3, vcc, v4, v5, vcc
	global_store_dwordx2 v[0:1], v[2:3], off
.LBB176_1852:
	s_andn2_b64 vcc, exec, s[0:1]
	s_cbranch_vccnz .LBB176_1854
; %bb.1853:
	s_waitcnt vmcnt(0)
	v_cvt_i32_f32_e32 v2, v6
	global_store_dword v[0:1], v2, off
.LBB176_1854:
	s_mov_b64 s[0:1], 0
.LBB176_1855:
	s_andn2_b64 vcc, exec, s[0:1]
	s_cbranch_vccnz .LBB176_1857
; %bb.1856:
	s_waitcnt vmcnt(0)
	v_cvt_i32_f32_e32 v2, v6
	global_store_short v[0:1], v2, off
.LBB176_1857:
	s_mov_b64 s[0:1], 0
.LBB176_1858:
	s_andn2_b64 vcc, exec, s[0:1]
	s_cbranch_vccnz .LBB176_1863
; %bb.1859:
	s_sext_i32_i16 s0, s24
	s_cmp_gt_i32 s0, 0
	s_mov_b64 s[0:1], -1
	s_cbranch_scc0 .LBB176_1861
; %bb.1860:
	s_waitcnt vmcnt(0)
	v_cvt_i32_f32_e32 v2, v6
	s_mov_b64 s[0:1], 0
	global_store_byte v[0:1], v2, off
.LBB176_1861:
	s_andn2_b64 vcc, exec, s[0:1]
	s_cbranch_vccnz .LBB176_1863
; %bb.1862:
	s_waitcnt vmcnt(0)
	v_trunc_f32_e32 v2, v6
	s_mov_b32 s0, 0x2f800000
	v_mul_f32_e64 v3, |v2|, s0
	v_floor_f32_e32 v3, v3
	s_mov_b32 s0, 0xcf800000
	v_fma_f32 v3, v3, s0, |v2|
	v_cvt_u32_f32_e32 v3, v3
	v_ashrrev_i32_e32 v2, 31, v2
	v_xor_b32_e32 v3, v3, v2
	v_sub_u32_e32 v2, v3, v2
	global_store_byte v[0:1], v2, off
	s_endpgm
.LBB176_1863:
	s_endpgm
.LBB176_1864:
	s_andn2_saveexec_b64 s[24:25], s[24:25]
	s_cbranch_execz .LBB176_1866
.LBB176_1865:
	v_sub_f32_e32 v6, v11, v8
	v_mul_f32_e32 v6, 0.5, v6
	s_mov_b32 s2, 0xf800000
	v_mul_f32_e32 v7, 0x4f800000, v6
	v_cmp_gt_f32_e32 vcc, s2, v6
	s_nop 1
	v_cndmask_b32_e32 v6, v6, v7, vcc
	v_sqrt_f32_e32 v7, v6
	s_nop 0
	v_add_u32_e32 v8, -1, v7
	v_fma_f32 v11, -v8, v7, v6
	v_cmp_ge_f32_e64 s[2:3], 0, v11
	v_add_u32_e32 v11, 1, v7
	s_nop 0
	v_cndmask_b32_e64 v8, v7, v8, s[2:3]
	v_fma_f32 v7, -v11, v7, v6
	v_cmp_lt_f32_e64 s[2:3], 0, v7
	s_nop 1
	v_cndmask_b32_e64 v7, v8, v11, s[2:3]
	v_mul_f32_e32 v8, 0x37800000, v7
	v_cndmask_b32_e32 v7, v7, v8, vcc
	v_mov_b32_e32 v8, 0x260
	v_cmp_class_f32_e32 vcc, v6, v8
	v_and_b32_e32 v8, 0x7fffffff, v9
	s_nop 0
	v_cndmask_b32_e32 v7, v7, v6, vcc
	v_add_f32_e32 v6, v7, v7
	v_div_scale_f32 v11, s[2:3], v6, v6, v8
	v_rcp_f32_e32 v12, v11
	v_div_scale_f32 v8, vcc, v8, v6, v8
	s_brev_b32 s2, -2
	v_fma_f32 v13, -v11, v12, 1.0
	v_fmac_f32_e32 v12, v13, v12
	v_mul_f32_e32 v13, v8, v12
	v_fma_f32 v14, -v11, v13, v8
	v_fmac_f32_e32 v13, v14, v12
	v_fma_f32 v8, -v11, v13, v8
	v_div_fmas_f32 v8, v8, v12, v13
	v_div_fixup_f32 v6, v8, v6, |v9|
	v_bfi_b32 v7, s2, v7, v9
.LBB176_1866:
	s_or_b64 exec, exec, s[24:25]
                                        ; implicit-def: $vgpr9
                                        ; implicit-def: $vgpr11
	s_and_saveexec_b64 s[2:3], s[0:1]
	s_xor_b64 s[0:1], exec, s[2:3]
	s_cbranch_execz .LBB176_1868
; %bb.1867:
	v_pk_mul_f32 v[8:9], v[6:7], 0.5 op_sel_hi:[1,0]
	s_nop 0
	v_cndmask_b32_e64 v11, v6, v8, s[22:23]
	v_cndmask_b32_e64 v9, v7, v9, s[22:23]
                                        ; implicit-def: $vgpr6_vgpr7
	s_andn2_saveexec_b64 s[0:1], s[0:1]
	s_cbranch_execnz .LBB176_1869
	s_branch .LBB176_1870
.LBB176_1868:
	s_andn2_saveexec_b64 s[0:1], s[0:1]
.LBB176_1869:
	v_pk_add_f32 v[8:9], v[6:7], v[6:7]
	s_nop 0
	v_mov_b32_e32 v11, v8
.LBB176_1870:
	s_or_b64 exec, exec, s[0:1]
.LBB176_1871:
	s_andn2_saveexec_b64 s[0:1], s[20:21]
	s_cbranch_execz .LBB176_1877
; %bb.1872:
	v_sub_f32_e32 v6, v9, v9
	v_cmp_lt_i32_e32 vcc, -1, v8
	s_brev_b32 s9, -2
	v_and_b32_e32 v11, 0x7fffffff, v6
	s_and_saveexec_b64 s[2:3], vcc
	s_xor_b64 s[2:3], exec, s[2:3]
; %bb.1873:
	v_bfi_b32 v9, s9, v6, v9
	v_mov_b32_e32 v11, v8
; %bb.1874:
	s_andn2_saveexec_b64 s[2:3], s[2:3]
; %bb.1875:
	v_bfi_b32 v9, s9, v8, v9
; %bb.1876:
	s_or_b64 exec, exec, s[2:3]
.LBB176_1877:
	s_or_b64 exec, exec, s[0:1]
.LBB176_1878:
	s_andn2_saveexec_b64 s[0:1], s[18:19]
	s_cbranch_execz .LBB176_1880
; %bb.1879:
	v_sub_f32_e32 v6, v9, v9
	v_div_scale_f32 v7, vcc, v6, v6, v6
	v_rcp_f32_e32 v9, v7
	s_nop 0
	v_fma_f32 v11, -v7, v9, 1.0
	v_fmac_f32_e32 v9, v11, v9
	v_mul_f32_e32 v11, v7, v9
	v_fma_f32 v12, -v7, v11, v7
	v_fmac_f32_e32 v11, v12, v9
	v_fma_f32 v7, -v7, v11, v7
	v_div_fmas_f32 v7, v7, v9, v11
	v_div_fixup_f32 v9, v7, v6, v6
	v_mov_b32_e32 v11, v8
.LBB176_1880:
	s_or_b64 exec, exec, s[0:1]
.LBB176_1881:
	s_or_b64 exec, exec, s[10:11]
.LBB176_1882:
	s_or_b64 exec, exec, s[6:7]
	v_cmp_gt_f32_e32 vcc, 0, v9
                                        ; implicit-def: $vgpr6_vgpr7
	s_nop 1
	v_cndmask_b32_e64 v12, v9, -v9, vcc
	v_cmp_gt_f32_e32 vcc, 0, v11
	s_nop 1
	v_cndmask_b32_e64 v8, v11, -v11, vcc
	v_cmp_ge_f32_e32 vcc, v8, v12
	s_and_saveexec_b64 s[0:1], vcc
	s_xor_b64 s[2:3], exec, s[0:1]
	s_cbranch_execz .LBB176_1888
; %bb.1883:
	v_cmp_neq_f32_e32 vcc, 0, v11
	v_cmp_neq_f32_e64 s[0:1], 0, v9
	s_or_b64 s[0:1], vcc, s[0:1]
                                        ; implicit-def: $vgpr6_vgpr7
	s_and_saveexec_b64 s[6:7], s[0:1]
	s_xor_b64 s[0:1], exec, s[6:7]
	s_cbranch_execz .LBB176_1885
; %bb.1884:
	v_div_scale_f32 v6, s[6:7], v11, v11, v9
	v_rcp_f32_e32 v7, v6
	v_div_scale_f32 v8, vcc, v9, v11, v9
	v_fma_f32 v12, -v6, v7, 1.0
	v_fmac_f32_e32 v7, v12, v7
	v_mul_f32_e32 v12, v8, v7
	v_fma_f32 v13, -v6, v12, v8
	v_fmac_f32_e32 v12, v13, v7
	v_fma_f32 v6, -v6, v12, v8
	v_div_fmas_f32 v6, v6, v7, v12
	v_div_fixup_f32 v7, v6, v11, v9
	v_fmac_f32_e32 v11, v9, v7
	v_div_scale_f32 v6, s[6:7], v11, v11, 1.0
	v_rcp_f32_e32 v8, v6
	s_nop 0
	v_fma_f32 v9, -v6, v8, 1.0
	v_fmac_f32_e32 v8, v9, v8
	v_div_scale_f32 v9, vcc, 1.0, v11, 1.0
	v_mul_f32_e32 v12, v9, v8
	v_fma_f32 v13, -v6, v12, v9
	v_fmac_f32_e32 v12, v13, v8
	v_fma_f32 v6, -v6, v12, v9
	v_div_fmas_f32 v6, v6, v8, v12
	v_mul_f32_e32 v8, 0, v7
	v_div_fixup_f32 v6, v6, v11, 1.0
	v_sub_f32_e32 v9, 0, v7
	v_add_f32_e32 v8, 1.0, v8
	v_pk_mul_f32 v[6:7], v[8:9], v[6:7] op_sel_hi:[1,0]
                                        ; implicit-def: $vgpr12
                                        ; implicit-def: $vgpr8
.LBB176_1885:
	s_andn2_saveexec_b64 s[0:1], s[0:1]
	s_cbranch_execz .LBB176_1887
; %bb.1886:
	v_div_scale_f32 v6, s[6:7], v12, v12, 0
	v_rcp_f32_e32 v7, v6
	v_div_scale_f32 v9, vcc, 0, v12, 0
	v_fma_f32 v11, -v6, v7, 1.0
	v_fmac_f32_e32 v7, v11, v7
	v_mul_f32_e32 v11, v9, v7
	v_fma_f32 v13, -v6, v11, v9
	v_fmac_f32_e32 v11, v13, v7
	v_fma_f32 v6, -v6, v11, v9
	v_div_scale_f32 v9, s[6:7], v8, v8, 1.0
	v_rcp_f32_e32 v13, v9
	v_div_fmas_f32 v6, v6, v7, v11
	v_div_fixup_f32 v7, v6, v12, 0
	v_fma_f32 v6, -v9, v13, 1.0
	v_fmac_f32_e32 v13, v6, v13
	v_div_scale_f32 v6, vcc, 1.0, v8, 1.0
	v_mul_f32_e32 v11, v6, v13
	v_fma_f32 v12, -v9, v11, v6
	v_fmac_f32_e32 v11, v12, v13
	v_fma_f32 v6, -v9, v11, v6
	v_div_fmas_f32 v6, v6, v13, v11
	v_div_fixup_f32 v6, v6, v8, 1.0
.LBB176_1887:
	s_or_b64 exec, exec, s[0:1]
                                        ; implicit-def: $vgpr9
                                        ; implicit-def: $vgpr11
.LBB176_1888:
	s_andn2_saveexec_b64 s[0:1], s[2:3]
	s_cbranch_execz .LBB176_1890
; %bb.1889:
	v_div_scale_f32 v6, s[2:3], v9, v9, v11
	v_rcp_f32_e32 v7, v6
	v_div_scale_f32 v8, vcc, v11, v9, v11
	v_fma_f32 v12, -v6, v7, 1.0
	v_fmac_f32_e32 v7, v12, v7
	v_mul_f32_e32 v12, v8, v7
	v_fma_f32 v13, -v6, v12, v8
	v_fmac_f32_e32 v12, v13, v7
	v_fma_f32 v6, -v6, v12, v8
	v_div_fmas_f32 v6, v6, v7, v12
	v_div_fixup_f32 v6, v6, v9, v11
	v_fmac_f32_e32 v9, v11, v6
	v_div_scale_f32 v7, s[2:3], v9, v9, 1.0
	v_rcp_f32_e32 v8, v7
	s_mov_b32 s2, 0
	s_mov_b32 s3, -1.0
	v_fma_f32 v11, -v7, v8, 1.0
	v_fmac_f32_e32 v8, v11, v8
	v_div_scale_f32 v11, vcc, 1.0, v9, 1.0
	v_mul_f32_e32 v12, v11, v8
	v_fma_f32 v13, -v7, v12, v11
	v_fmac_f32_e32 v12, v13, v8
	v_fma_f32 v7, -v7, v12, v11
	v_div_fmas_f32 v7, v7, v8, v12
	v_div_fixup_f32 v8, v7, v9, 1.0
	v_mul_f32_e32 v7, 0, v6
	v_pk_add_f32 v[6:7], v[6:7], s[2:3]
	s_nop 0
	v_pk_mul_f32 v[6:7], v[6:7], v[8:9] op_sel_hi:[1,0]
.LBB176_1890:
	s_or_b64 exec, exec, s[0:1]
	v_mul_lo_u32 v8, s8, v10
	v_ashrrev_i32_e32 v9, 31, v8
	s_and_b32 s24, s33, 0xff
	s_cmp_lt_i32 s24, 11
	v_lshl_add_u64 v[10:11], s[4:5], 0, v[8:9]
	s_cbranch_scc1 .LBB176_1968
; %bb.1891:
	s_and_b32 s9, 0xffff, s24
	s_mov_b64 s[10:11], -1
	s_mov_b64 s[2:3], 0
	s_cmp_gt_i32 s9, 25
	s_mov_b64 s[6:7], 0
	s_mov_b64 s[0:1], 0
	s_cbranch_scc0 .LBB176_1924
; %bb.1892:
	s_cmp_gt_i32 s9, 28
	s_cbranch_scc0 .LBB176_1907
; %bb.1893:
	s_cmp_gt_i32 s9, 43
	;; [unrolled: 3-line block ×3, first 2 shown]
	s_cbranch_scc0 .LBB176_1897
; %bb.1895:
	s_mov_b64 s[0:1], -1
	s_mov_b64 s[10:11], 0
	s_cmp_eq_u32 s9, 46
	s_cbranch_scc0 .LBB176_1897
; %bb.1896:
	v_mov_b32_e32 v9, 1
	v_and_b32_sdwa v12, v1, v9 dst_sel:DWORD dst_unused:UNUSED_PAD src0_sel:WORD_1 src1_sel:DWORD
	v_and_b32_sdwa v9, v0, v9 dst_sel:DWORD dst_unused:UNUSED_PAD src0_sel:WORD_1 src1_sel:DWORD
	s_movk_i32 s0, 0x7fff
	v_add3_u32 v9, v0, v9, s0
	v_add3_u32 v12, v1, v12, s0
	v_cmp_o_f32_e32 vcc, v0, v0
	v_mov_b32_e32 v13, 0x7fc0
	v_and_b32_e32 v12, 0xffff0000, v12
	v_cndmask_b32_sdwa v9, v13, v9, vcc dst_sel:DWORD dst_unused:UNUSED_PAD src0_sel:DWORD src1_sel:WORD_1
	v_mov_b32_e32 v13, 0x7fc00000
	v_cmp_o_f32_e32 vcc, v1, v1
	s_mov_b64 s[0:1], 0
	s_mov_b64 s[6:7], -1
	v_cndmask_b32_e32 v12, v13, v12, vcc
	v_or_b32_e32 v9, v12, v9
	global_store_dword v[10:11], v9, off
.LBB176_1897:
	s_and_b64 vcc, exec, s[10:11]
	s_cbranch_vccz .LBB176_1902
; %bb.1898:
	s_cmp_eq_u32 s9, 44
	s_mov_b64 s[0:1], -1
	s_cbranch_scc0 .LBB176_1902
; %bb.1899:
	v_bfe_u32 v9, v0, 23, 8
	s_movk_i32 s0, 0xff
	v_cmp_ne_u32_e32 vcc, s0, v9
	v_mov_b32_e32 v12, 0xff
	s_and_saveexec_b64 s[6:7], vcc
; %bb.1900:
	s_mov_b32 s0, 0x3fffff
	v_and_b32_e32 v13, 0x400000, v0
	v_and_or_b32 v9, v0, s0, v9
	v_cmp_ne_u32_e32 vcc, 0, v13
	v_cmp_ne_u32_e64 s[0:1], 0, v9
	s_and_b64 s[0:1], vcc, s[0:1]
	v_lshrrev_b32_e32 v12, 23, v0
	v_cndmask_b32_e64 v9, 0, 1, s[0:1]
	v_add_u32_e32 v12, v12, v9
; %bb.1901:
	s_or_b64 exec, exec, s[6:7]
	s_mov_b64 s[0:1], 0
	s_mov_b64 s[6:7], -1
	global_store_byte v[10:11], v12, off
.LBB176_1902:
	s_mov_b64 s[10:11], 0
.LBB176_1903:
	s_and_b64 vcc, exec, s[10:11]
	s_cbranch_vccz .LBB176_1906
; %bb.1904:
	s_cmp_eq_u32 s9, 29
	s_mov_b64 s[0:1], -1
	s_cbranch_scc0 .LBB176_1906
; %bb.1905:
	v_trunc_f32_e32 v9, v0
	v_mul_f32_e32 v12, 0x2f800000, v9
	v_floor_f32_e32 v12, v12
	v_fmamk_f32 v9, v12, 0xcf800000, v9
	v_cvt_u32_f32_e32 v13, v12
	v_cvt_u32_f32_e32 v12, v9
	s_mov_b64 s[0:1], 0
	s_mov_b64 s[6:7], -1
	global_store_dwordx2 v[10:11], v[12:13], off
.LBB176_1906:
	s_mov_b64 s[10:11], 0
.LBB176_1907:
	s_and_b64 vcc, exec, s[10:11]
	s_cbranch_vccz .LBB176_1923
; %bb.1908:
	s_cmp_lt_i32 s9, 27
	s_mov_b64 s[6:7], -1
	s_cbranch_scc1 .LBB176_1914
; %bb.1909:
	v_cvt_u32_f32_e32 v9, v0
	s_cmp_gt_i32 s9, 27
	s_cbranch_scc0 .LBB176_1911
; %bb.1910:
	s_mov_b64 s[6:7], 0
	global_store_dword v[10:11], v9, off
.LBB176_1911:
	s_andn2_b64 vcc, exec, s[6:7]
	s_cbranch_vccnz .LBB176_1913
; %bb.1912:
	global_store_short v[10:11], v9, off
.LBB176_1913:
	s_mov_b64 s[6:7], 0
.LBB176_1914:
	s_andn2_b64 vcc, exec, s[6:7]
	s_cbranch_vccnz .LBB176_1922
; %bb.1915:
	v_and_b32_e32 v9, 0x7fffffff, v0
	s_mov_b32 s6, 0x43800000
	v_cmp_gt_u32_e32 vcc, s6, v9
	v_mov_b32_e32 v12, 0x80
	s_and_saveexec_b64 s[6:7], vcc
	s_cbranch_execz .LBB176_1921
; %bb.1916:
	s_mov_b32 s10, 0x3bffffff
	v_cmp_lt_u32_e32 vcc, s10, v9
	s_mov_b64 s[10:11], 0
                                        ; implicit-def: $vgpr9
	s_and_saveexec_b64 s[18:19], vcc
	s_xor_b64 s[18:19], exec, s[18:19]
	s_cbranch_execz .LBB176_2326
; %bb.1917:
	v_bfe_u32 v9, v0, 20, 1
	s_mov_b32 s20, 0x487ffff
	v_add3_u32 v9, v0, v9, s20
	s_mov_b64 s[10:11], exec
	v_lshrrev_b32_e32 v9, 20, v9
	s_andn2_saveexec_b64 s[18:19], s[18:19]
	s_cbranch_execnz .LBB176_2327
.LBB176_1918:
	s_or_b64 exec, exec, s[18:19]
	v_mov_b32_e32 v12, 0
	s_and_saveexec_b64 s[18:19], s[10:11]
.LBB176_1919:
	v_lshrrev_b32_e32 v12, 24, v0
	s_movk_i32 s10, 0x80
	v_and_or_b32 v12, v12, s10, v9
.LBB176_1920:
	s_or_b64 exec, exec, s[18:19]
.LBB176_1921:
	s_or_b64 exec, exec, s[6:7]
	global_store_byte v[10:11], v12, off
.LBB176_1922:
	s_mov_b64 s[6:7], -1
.LBB176_1923:
	s_mov_b64 s[10:11], 0
.LBB176_1924:
	s_and_b64 vcc, exec, s[10:11]
	s_cbranch_vccz .LBB176_1964
; %bb.1925:
	s_cmp_gt_i32 s9, 22
	s_mov_b64 s[2:3], -1
	s_cbranch_scc0 .LBB176_1957
; %bb.1926:
	s_cmp_lt_i32 s9, 24
	s_cbranch_scc1 .LBB176_1946
; %bb.1927:
	s_cmp_gt_i32 s9, 24
	s_cbranch_scc0 .LBB176_1935
; %bb.1928:
	v_and_b32_e32 v9, 0x7fffffff, v0
	s_mov_b32 s2, 0x47800000
	v_cmp_gt_u32_e32 vcc, s2, v9
	v_mov_b32_e32 v12, 0x80
	s_and_saveexec_b64 s[2:3], vcc
	s_cbranch_execz .LBB176_1934
; %bb.1929:
	s_mov_b32 s6, 0x37ffffff
	v_cmp_lt_u32_e32 vcc, s6, v9
	s_mov_b64 s[6:7], 0
                                        ; implicit-def: $vgpr9
	s_and_saveexec_b64 s[10:11], vcc
	s_xor_b64 s[10:11], exec, s[10:11]
	s_cbranch_execz .LBB176_2331
; %bb.1930:
	v_bfe_u32 v9, v0, 21, 1
	s_mov_b32 s18, 0x88fffff
	v_add3_u32 v9, v0, v9, s18
	s_mov_b64 s[6:7], exec
	v_lshrrev_b32_e32 v9, 21, v9
	s_andn2_saveexec_b64 s[10:11], s[10:11]
	s_cbranch_execnz .LBB176_2332
.LBB176_1931:
	s_or_b64 exec, exec, s[10:11]
	v_mov_b32_e32 v12, 0
	s_and_saveexec_b64 s[10:11], s[6:7]
.LBB176_1932:
	v_lshrrev_b32_e32 v12, 24, v0
	s_movk_i32 s6, 0x80
	v_and_or_b32 v12, v12, s6, v9
.LBB176_1933:
	s_or_b64 exec, exec, s[10:11]
.LBB176_1934:
	s_or_b64 exec, exec, s[2:3]
	s_mov_b64 s[2:3], 0
	global_store_byte v[10:11], v12, off
.LBB176_1935:
	s_and_b64 vcc, exec, s[2:3]
	s_cbranch_vccz .LBB176_1945
; %bb.1936:
	v_and_b32_e32 v12, 0x7fffffff, v0
	s_mov_b32 s2, 0x43f00000
	v_cmp_gt_u32_e32 vcc, s2, v12
                                        ; implicit-def: $vgpr9
	s_and_saveexec_b64 s[2:3], vcc
	s_xor_b64 s[2:3], exec, s[2:3]
	s_cbranch_execz .LBB176_1942
; %bb.1937:
	s_mov_b32 s6, 0x3c7fffff
	v_cmp_lt_u32_e32 vcc, s6, v12
                                        ; implicit-def: $vgpr9
	s_and_saveexec_b64 s[6:7], vcc
	s_xor_b64 s[6:7], exec, s[6:7]
; %bb.1938:
	v_bfe_u32 v9, v0, 20, 1
	s_mov_b32 s10, 0x407ffff
	v_add3_u32 v9, v0, v9, s10
	v_lshrrev_b32_e32 v12, 20, v9
	v_and_b32_e32 v9, 0xff00000, v9
	s_mov_b32 s10, 0x7f00000
	v_mov_b32_e32 v13, 0x7e
	v_cmp_ne_u32_e32 vcc, s10, v9
	s_nop 1
	v_cndmask_b32_e32 v9, v13, v12, vcc
; %bb.1939:
	s_andn2_saveexec_b64 s[6:7], s[6:7]
; %bb.1940:
	s_mov_b32 s10, 0x46800000
	v_add_f32_e64 v9, |v0|, s10
; %bb.1941:
	s_or_b64 exec, exec, s[6:7]
                                        ; implicit-def: $vgpr12
.LBB176_1942:
	s_andn2_saveexec_b64 s[2:3], s[2:3]
; %bb.1943:
	s_mov_b32 s6, 0x7f800000
	v_mov_b32_e32 v9, 0x7e
	v_mov_b32_e32 v13, 0x7f
	v_cmp_lt_u32_e32 vcc, s6, v12
	s_nop 1
	v_cndmask_b32_e32 v9, v9, v13, vcc
; %bb.1944:
	s_or_b64 exec, exec, s[2:3]
	v_lshrrev_b32_e32 v12, 24, v0
	s_movk_i32 s2, 0x80
	v_and_or_b32 v9, v12, s2, v9
	global_store_byte v[10:11], v9, off
.LBB176_1945:
	s_mov_b64 s[2:3], 0
.LBB176_1946:
	s_andn2_b64 vcc, exec, s[2:3]
	s_cbranch_vccnz .LBB176_1956
; %bb.1947:
	v_and_b32_e32 v12, 0x7fffffff, v0
	s_mov_b32 s2, 0x47800000
	v_cmp_gt_u32_e32 vcc, s2, v12
                                        ; implicit-def: $vgpr9
	s_and_saveexec_b64 s[2:3], vcc
	s_xor_b64 s[2:3], exec, s[2:3]
	s_cbranch_execz .LBB176_1953
; %bb.1948:
	s_mov_b32 s6, 0x387fffff
	v_cmp_lt_u32_e32 vcc, s6, v12
                                        ; implicit-def: $vgpr9
	s_and_saveexec_b64 s[6:7], vcc
	s_xor_b64 s[6:7], exec, s[6:7]
; %bb.1949:
	v_bfe_u32 v9, v0, 21, 1
	s_mov_b32 s10, 0x80fffff
	v_add3_u32 v9, v0, v9, s10
	v_lshrrev_b32_e32 v9, 21, v9
; %bb.1950:
	s_andn2_saveexec_b64 s[6:7], s[6:7]
; %bb.1951:
	s_mov_b32 s10, 0x43000000
	v_add_f32_e64 v9, |v0|, s10
; %bb.1952:
	s_or_b64 exec, exec, s[6:7]
                                        ; implicit-def: $vgpr12
.LBB176_1953:
	s_andn2_saveexec_b64 s[2:3], s[2:3]
; %bb.1954:
	s_mov_b32 s6, 0x7f800000
	v_mov_b32_e32 v9, 0x7c
	v_mov_b32_e32 v13, 0x7f
	v_cmp_lt_u32_e32 vcc, s6, v12
	s_nop 1
	v_cndmask_b32_e32 v9, v9, v13, vcc
; %bb.1955:
	s_or_b64 exec, exec, s[2:3]
	v_lshrrev_b32_e32 v12, 24, v0
	s_movk_i32 s2, 0x80
	v_and_or_b32 v9, v12, s2, v9
	global_store_byte v[10:11], v9, off
.LBB176_1956:
	s_mov_b64 s[2:3], 0
	s_mov_b64 s[6:7], -1
.LBB176_1957:
	s_andn2_b64 vcc, exec, s[2:3]
	s_mov_b64 s[2:3], 0
	s_cbranch_vccnz .LBB176_1964
; %bb.1958:
	s_cmp_gt_i32 s9, 14
	s_mov_b64 s[10:11], -1
	s_cbranch_scc0 .LBB176_1962
; %bb.1959:
	s_cmp_eq_u32 s9, 15
	s_mov_b64 s[0:1], -1
	s_cbranch_scc0 .LBB176_1961
; %bb.1960:
	v_bfe_u32 v9, v0, 16, 1
	s_movk_i32 s0, 0x7fff
	v_add3_u32 v9, v0, v9, s0
	v_cmp_o_f32_e32 vcc, v0, v0
	v_mov_b32_e32 v12, 0x7fc0
	s_mov_b64 s[0:1], 0
	v_cndmask_b32_sdwa v9, v12, v9, vcc dst_sel:DWORD dst_unused:UNUSED_PAD src0_sel:DWORD src1_sel:WORD_1
	global_store_short v[10:11], v9, off
	s_mov_b64 s[6:7], -1
.LBB176_1961:
	s_mov_b64 s[10:11], 0
.LBB176_1962:
	s_and_b64 vcc, exec, s[10:11]
	s_cbranch_vccz .LBB176_1964
; %bb.1963:
	s_cmp_lg_u32 s9, 11
	s_mov_b64 s[2:3], -1
	s_cselect_b64 s[0:1], -1, 0
.LBB176_1964:
	s_and_b64 vcc, exec, s[0:1]
	s_cbranch_vccnz .LBB176_2330
; %bb.1965:
	s_andn2_b64 vcc, exec, s[2:3]
	s_cbranch_vccnz .LBB176_1967
.LBB176_1966:
	v_cmp_neq_f32_e32 vcc, 0, v0
	v_cmp_neq_f32_e64 s[0:1], 0, v1
	s_or_b64 s[0:1], vcc, s[0:1]
	s_mov_b64 s[6:7], -1
	v_cndmask_b32_e64 v9, 0, 1, s[0:1]
	global_store_byte v[10:11], v9, off
.LBB176_1967:
	s_mov_b64 s[0:1], 0
	s_branch .LBB176_1969
.LBB176_1968:
	s_mov_b64 s[0:1], -1
	s_mov_b64 s[6:7], 0
.LBB176_1969:
	s_and_b64 vcc, exec, s[0:1]
	s_cbranch_vccz .LBB176_2008
; %bb.1970:
	s_and_b32 s2, 0xffff, s24
	s_cmp_lt_i32 s2, 5
	s_mov_b64 s[0:1], -1
	s_cbranch_scc1 .LBB176_1991
; %bb.1971:
	s_cmp_lt_i32 s2, 8
	s_cbranch_scc1 .LBB176_1981
; %bb.1972:
	s_cmp_lt_i32 s2, 9
	s_cbranch_scc1 .LBB176_1978
; %bb.1973:
	s_cmp_gt_i32 s2, 9
	s_cbranch_scc0 .LBB176_1975
; %bb.1974:
	v_cvt_f64_f32_e32 v[12:13], v0
	v_cvt_f64_f32_e32 v[14:15], v1
	global_store_dwordx4 v[10:11], v[12:15], off
	s_mov_b64 s[0:1], 0
.LBB176_1975:
	s_andn2_b64 vcc, exec, s[0:1]
	s_cbranch_vccnz .LBB176_1977
; %bb.1976:
	global_store_dwordx2 v[10:11], v[0:1], off
.LBB176_1977:
	s_mov_b64 s[0:1], 0
.LBB176_1978:
	s_andn2_b64 vcc, exec, s[0:1]
	s_cbranch_vccnz .LBB176_1980
; %bb.1979:
	v_cvt_f16_f32_e32 v9, v0
	v_cvt_f16_f32_sdwa v1, v1 dst_sel:WORD_1 dst_unused:UNUSED_PAD src0_sel:DWORD
	s_nop 0
	v_or_b32_e32 v1, v1, v9
	global_store_dword v[10:11], v1, off
.LBB176_1980:
	s_mov_b64 s[0:1], 0
.LBB176_1981:
	s_andn2_b64 vcc, exec, s[0:1]
	s_cbranch_vccnz .LBB176_1990
; %bb.1982:
	s_cmp_lt_i32 s2, 6
	s_mov_b64 s[0:1], -1
	s_cbranch_scc1 .LBB176_1988
; %bb.1983:
	s_cmp_gt_i32 s2, 6
	s_cbranch_scc0 .LBB176_1985
; %bb.1984:
	v_cvt_f64_f32_e32 v[12:13], v0
	global_store_dwordx2 v[10:11], v[12:13], off
	s_mov_b64 s[0:1], 0
.LBB176_1985:
	s_andn2_b64 vcc, exec, s[0:1]
	s_cbranch_vccnz .LBB176_1987
; %bb.1986:
	global_store_dword v[10:11], v0, off
.LBB176_1987:
	s_mov_b64 s[0:1], 0
.LBB176_1988:
	s_andn2_b64 vcc, exec, s[0:1]
	s_cbranch_vccnz .LBB176_1990
; %bb.1989:
	v_cvt_f16_f32_e32 v1, v0
	global_store_short v[10:11], v1, off
.LBB176_1990:
	s_mov_b64 s[0:1], 0
.LBB176_1991:
	s_andn2_b64 vcc, exec, s[0:1]
	s_cbranch_vccnz .LBB176_2007
; %bb.1992:
	s_cmp_lt_i32 s2, 2
	s_mov_b64 s[0:1], -1
	s_cbranch_scc1 .LBB176_2002
; %bb.1993:
	s_cmp_lt_i32 s2, 3
	s_cbranch_scc1 .LBB176_1999
; %bb.1994:
	s_cmp_gt_i32 s2, 3
	s_cbranch_scc0 .LBB176_1996
; %bb.1995:
	v_trunc_f32_e32 v1, v0
	s_mov_b32 s0, 0x2f800000
	v_mul_f32_e64 v9, |v1|, s0
	v_floor_f32_e32 v9, v9
	s_mov_b32 s0, 0xcf800000
	v_cvt_u32_f32_e32 v12, v9
	v_fma_f32 v9, v9, s0, |v1|
	v_cvt_u32_f32_e32 v9, v9
	v_ashrrev_i32_e32 v1, 31, v1
	v_xor_b32_e32 v13, v12, v1
	s_mov_b64 s[0:1], 0
	v_xor_b32_e32 v9, v9, v1
	v_sub_co_u32_e32 v12, vcc, v9, v1
	s_nop 1
	v_subb_co_u32_e32 v13, vcc, v13, v1, vcc
	global_store_dwordx2 v[10:11], v[12:13], off
.LBB176_1996:
	s_andn2_b64 vcc, exec, s[0:1]
	s_cbranch_vccnz .LBB176_1998
; %bb.1997:
	v_cvt_i32_f32_e32 v1, v0
	global_store_dword v[10:11], v1, off
.LBB176_1998:
	s_mov_b64 s[0:1], 0
.LBB176_1999:
	s_andn2_b64 vcc, exec, s[0:1]
	s_cbranch_vccnz .LBB176_2001
; %bb.2000:
	v_cvt_i32_f32_e32 v1, v0
	global_store_short v[10:11], v1, off
.LBB176_2001:
	s_mov_b64 s[0:1], 0
.LBB176_2002:
	s_andn2_b64 vcc, exec, s[0:1]
	s_cbranch_vccnz .LBB176_2007
; %bb.2003:
	s_cmp_gt_i32 s2, 0
	s_mov_b64 s[0:1], -1
	s_cbranch_scc0 .LBB176_2005
; %bb.2004:
	v_cvt_i32_f32_e32 v1, v0
	s_mov_b64 s[0:1], 0
	global_store_byte v[10:11], v1, off
.LBB176_2005:
	s_andn2_b64 vcc, exec, s[0:1]
	s_cbranch_vccnz .LBB176_2007
; %bb.2006:
	v_trunc_f32_e32 v0, v0
	s_mov_b32 s0, 0x2f800000
	v_mul_f32_e64 v1, |v0|, s0
	v_floor_f32_e32 v1, v1
	s_mov_b32 s0, 0xcf800000
	v_fma_f32 v1, v1, s0, |v0|
	v_cvt_u32_f32_e32 v1, v1
	v_ashrrev_i32_e32 v0, 31, v0
	v_xor_b32_e32 v1, v1, v0
	v_sub_u32_e32 v0, v1, v0
	global_store_byte v[10:11], v0, off
.LBB176_2007:
	s_mov_b64 s[6:7], -1
.LBB176_2008:
	s_andn2_b64 vcc, exec, s[6:7]
	s_cbranch_vccnz .LBB176_2323
; %bb.2009:
	s_lshl_b32 s22, s8, 7
	v_add_u32_e32 v0, s22, v8
	v_ashrrev_i32_e32 v1, 31, v0
	s_cmp_lt_i32 s24, 11
	v_lshl_add_u64 v[8:9], s[4:5], 0, v[0:1]
	s_cbranch_scc1 .LBB176_2087
; %bb.2010:
	s_and_b32 s23, 0xffff, s24
	s_mov_b64 s[8:9], -1
	s_mov_b64 s[2:3], 0
	s_cmp_gt_i32 s23, 25
	s_mov_b64 s[6:7], 0
	s_mov_b64 s[0:1], 0
	s_cbranch_scc0 .LBB176_2043
; %bb.2011:
	s_cmp_gt_i32 s23, 28
	s_cbranch_scc0 .LBB176_2026
; %bb.2012:
	s_cmp_gt_i32 s23, 43
	s_cbranch_scc0 .LBB176_2022
; %bb.2013:
	s_cmp_gt_i32 s23, 45
	s_cbranch_scc0 .LBB176_2016
; %bb.2014:
	s_mov_b64 s[0:1], -1
	s_mov_b64 s[8:9], 0
	s_cmp_eq_u32 s23, 46
	s_cbranch_scc0 .LBB176_2016
; %bb.2015:
	v_mov_b32_e32 v1, 1
	v_and_b32_sdwa v10, v3, v1 dst_sel:DWORD dst_unused:UNUSED_PAD src0_sel:WORD_1 src1_sel:DWORD
	v_and_b32_sdwa v1, v2, v1 dst_sel:DWORD dst_unused:UNUSED_PAD src0_sel:WORD_1 src1_sel:DWORD
	s_movk_i32 s0, 0x7fff
	v_add3_u32 v1, v2, v1, s0
	v_add3_u32 v10, v3, v10, s0
	v_cmp_o_f32_e32 vcc, v2, v2
	v_mov_b32_e32 v11, 0x7fc0
	v_and_b32_e32 v10, 0xffff0000, v10
	v_cndmask_b32_sdwa v1, v11, v1, vcc dst_sel:DWORD dst_unused:UNUSED_PAD src0_sel:DWORD src1_sel:WORD_1
	v_mov_b32_e32 v11, 0x7fc00000
	v_cmp_o_f32_e32 vcc, v3, v3
	s_mov_b64 s[0:1], 0
	s_mov_b64 s[6:7], -1
	v_cndmask_b32_e32 v10, v11, v10, vcc
	v_or_b32_e32 v1, v10, v1
	global_store_dword v[8:9], v1, off
.LBB176_2016:
	s_and_b64 vcc, exec, s[8:9]
	s_cbranch_vccz .LBB176_2021
; %bb.2017:
	s_cmp_eq_u32 s23, 44
	s_mov_b64 s[0:1], -1
	s_cbranch_scc0 .LBB176_2021
; %bb.2018:
	v_bfe_u32 v1, v2, 23, 8
	s_movk_i32 s0, 0xff
	v_cmp_ne_u32_e32 vcc, s0, v1
	v_mov_b32_e32 v10, 0xff
	s_and_saveexec_b64 s[6:7], vcc
; %bb.2019:
	s_mov_b32 s0, 0x3fffff
	v_and_b32_e32 v11, 0x400000, v2
	v_and_or_b32 v1, v2, s0, v1
	v_cmp_ne_u32_e32 vcc, 0, v11
	v_cmp_ne_u32_e64 s[0:1], 0, v1
	s_and_b64 s[0:1], vcc, s[0:1]
	v_lshrrev_b32_e32 v10, 23, v2
	v_cndmask_b32_e64 v1, 0, 1, s[0:1]
	v_add_u32_e32 v10, v10, v1
; %bb.2020:
	s_or_b64 exec, exec, s[6:7]
	s_mov_b64 s[0:1], 0
	s_mov_b64 s[6:7], -1
	global_store_byte v[8:9], v10, off
.LBB176_2021:
	s_mov_b64 s[8:9], 0
.LBB176_2022:
	s_and_b64 vcc, exec, s[8:9]
	s_cbranch_vccz .LBB176_2025
; %bb.2023:
	s_cmp_eq_u32 s23, 29
	s_mov_b64 s[0:1], -1
	s_cbranch_scc0 .LBB176_2025
; %bb.2024:
	v_trunc_f32_e32 v1, v2
	v_mul_f32_e32 v10, 0x2f800000, v1
	v_floor_f32_e32 v10, v10
	v_fmamk_f32 v1, v10, 0xcf800000, v1
	v_cvt_u32_f32_e32 v11, v10
	v_cvt_u32_f32_e32 v10, v1
	s_mov_b64 s[0:1], 0
	s_mov_b64 s[6:7], -1
	global_store_dwordx2 v[8:9], v[10:11], off
.LBB176_2025:
	s_mov_b64 s[8:9], 0
.LBB176_2026:
	s_and_b64 vcc, exec, s[8:9]
	s_cbranch_vccz .LBB176_2042
; %bb.2027:
	s_cmp_lt_i32 s23, 27
	s_mov_b64 s[6:7], -1
	s_cbranch_scc1 .LBB176_2033
; %bb.2028:
	v_cvt_u32_f32_e32 v1, v2
	s_cmp_gt_i32 s23, 27
	s_cbranch_scc0 .LBB176_2030
; %bb.2029:
	s_mov_b64 s[6:7], 0
	global_store_dword v[8:9], v1, off
.LBB176_2030:
	s_andn2_b64 vcc, exec, s[6:7]
	s_cbranch_vccnz .LBB176_2032
; %bb.2031:
	global_store_short v[8:9], v1, off
.LBB176_2032:
	s_mov_b64 s[6:7], 0
.LBB176_2033:
	s_andn2_b64 vcc, exec, s[6:7]
	s_cbranch_vccnz .LBB176_2041
; %bb.2034:
	v_and_b32_e32 v1, 0x7fffffff, v2
	s_mov_b32 s6, 0x43800000
	v_cmp_gt_u32_e32 vcc, s6, v1
	v_mov_b32_e32 v10, 0x80
	s_and_saveexec_b64 s[6:7], vcc
	s_cbranch_execz .LBB176_2040
; %bb.2035:
	s_mov_b32 s8, 0x3bffffff
	v_cmp_lt_u32_e32 vcc, s8, v1
	s_mov_b64 s[8:9], 0
                                        ; implicit-def: $vgpr1
	s_and_saveexec_b64 s[10:11], vcc
	s_xor_b64 s[10:11], exec, s[10:11]
	s_cbranch_execz .LBB176_2335
; %bb.2036:
	v_bfe_u32 v1, v2, 20, 1
	s_mov_b32 s18, 0x487ffff
	v_add3_u32 v1, v2, v1, s18
	s_mov_b64 s[8:9], exec
	v_lshrrev_b32_e32 v1, 20, v1
	s_andn2_saveexec_b64 s[10:11], s[10:11]
	s_cbranch_execnz .LBB176_2336
.LBB176_2037:
	s_or_b64 exec, exec, s[10:11]
	v_mov_b32_e32 v10, 0
	s_and_saveexec_b64 s[10:11], s[8:9]
.LBB176_2038:
	v_lshrrev_b32_e32 v10, 24, v2
	s_movk_i32 s8, 0x80
	v_and_or_b32 v10, v10, s8, v1
.LBB176_2039:
	s_or_b64 exec, exec, s[10:11]
.LBB176_2040:
	s_or_b64 exec, exec, s[6:7]
	global_store_byte v[8:9], v10, off
.LBB176_2041:
	s_mov_b64 s[6:7], -1
.LBB176_2042:
	s_mov_b64 s[8:9], 0
.LBB176_2043:
	s_and_b64 vcc, exec, s[8:9]
	s_cbranch_vccz .LBB176_2083
; %bb.2044:
	s_cmp_gt_i32 s23, 22
	s_mov_b64 s[2:3], -1
	s_cbranch_scc0 .LBB176_2076
; %bb.2045:
	s_cmp_lt_i32 s23, 24
	s_cbranch_scc1 .LBB176_2065
; %bb.2046:
	s_cmp_gt_i32 s23, 24
	s_cbranch_scc0 .LBB176_2054
; %bb.2047:
	v_and_b32_e32 v1, 0x7fffffff, v2
	s_mov_b32 s2, 0x47800000
	v_cmp_gt_u32_e32 vcc, s2, v1
	v_mov_b32_e32 v10, 0x80
	s_and_saveexec_b64 s[2:3], vcc
	s_cbranch_execz .LBB176_2053
; %bb.2048:
	s_mov_b32 s6, 0x37ffffff
	v_cmp_lt_u32_e32 vcc, s6, v1
	s_mov_b64 s[6:7], 0
                                        ; implicit-def: $vgpr1
	s_and_saveexec_b64 s[8:9], vcc
	s_xor_b64 s[8:9], exec, s[8:9]
	s_cbranch_execz .LBB176_2340
; %bb.2049:
	v_bfe_u32 v1, v2, 21, 1
	s_mov_b32 s10, 0x88fffff
	v_add3_u32 v1, v2, v1, s10
	s_mov_b64 s[6:7], exec
	v_lshrrev_b32_e32 v1, 21, v1
	s_andn2_saveexec_b64 s[8:9], s[8:9]
	s_cbranch_execnz .LBB176_2341
.LBB176_2050:
	s_or_b64 exec, exec, s[8:9]
	v_mov_b32_e32 v10, 0
	s_and_saveexec_b64 s[8:9], s[6:7]
.LBB176_2051:
	v_lshrrev_b32_e32 v10, 24, v2
	s_movk_i32 s6, 0x80
	v_and_or_b32 v10, v10, s6, v1
.LBB176_2052:
	s_or_b64 exec, exec, s[8:9]
.LBB176_2053:
	s_or_b64 exec, exec, s[2:3]
	s_mov_b64 s[2:3], 0
	global_store_byte v[8:9], v10, off
.LBB176_2054:
	s_and_b64 vcc, exec, s[2:3]
	s_cbranch_vccz .LBB176_2064
; %bb.2055:
	v_and_b32_e32 v10, 0x7fffffff, v2
	s_mov_b32 s2, 0x43f00000
	v_cmp_gt_u32_e32 vcc, s2, v10
                                        ; implicit-def: $vgpr1
	s_and_saveexec_b64 s[2:3], vcc
	s_xor_b64 s[2:3], exec, s[2:3]
	s_cbranch_execz .LBB176_2061
; %bb.2056:
	s_mov_b32 s6, 0x3c7fffff
	v_cmp_lt_u32_e32 vcc, s6, v10
                                        ; implicit-def: $vgpr1
	s_and_saveexec_b64 s[6:7], vcc
	s_xor_b64 s[6:7], exec, s[6:7]
; %bb.2057:
	v_bfe_u32 v1, v2, 20, 1
	s_mov_b32 s8, 0x407ffff
	v_add3_u32 v1, v2, v1, s8
	v_lshrrev_b32_e32 v10, 20, v1
	v_and_b32_e32 v1, 0xff00000, v1
	s_mov_b32 s8, 0x7f00000
	v_mov_b32_e32 v11, 0x7e
	v_cmp_ne_u32_e32 vcc, s8, v1
	s_nop 1
	v_cndmask_b32_e32 v1, v11, v10, vcc
; %bb.2058:
	s_andn2_saveexec_b64 s[6:7], s[6:7]
; %bb.2059:
	s_mov_b32 s8, 0x46800000
	v_add_f32_e64 v1, |v2|, s8
; %bb.2060:
	s_or_b64 exec, exec, s[6:7]
                                        ; implicit-def: $vgpr10
.LBB176_2061:
	s_andn2_saveexec_b64 s[2:3], s[2:3]
; %bb.2062:
	s_mov_b32 s6, 0x7f800000
	v_mov_b32_e32 v1, 0x7e
	v_mov_b32_e32 v11, 0x7f
	v_cmp_lt_u32_e32 vcc, s6, v10
	s_nop 1
	v_cndmask_b32_e32 v1, v1, v11, vcc
; %bb.2063:
	s_or_b64 exec, exec, s[2:3]
	v_lshrrev_b32_e32 v10, 24, v2
	s_movk_i32 s2, 0x80
	v_and_or_b32 v1, v10, s2, v1
	global_store_byte v[8:9], v1, off
.LBB176_2064:
	s_mov_b64 s[2:3], 0
.LBB176_2065:
	s_andn2_b64 vcc, exec, s[2:3]
	s_cbranch_vccnz .LBB176_2075
; %bb.2066:
	v_and_b32_e32 v10, 0x7fffffff, v2
	s_mov_b32 s2, 0x47800000
	v_cmp_gt_u32_e32 vcc, s2, v10
                                        ; implicit-def: $vgpr1
	s_and_saveexec_b64 s[2:3], vcc
	s_xor_b64 s[2:3], exec, s[2:3]
	s_cbranch_execz .LBB176_2072
; %bb.2067:
	s_mov_b32 s6, 0x387fffff
	v_cmp_lt_u32_e32 vcc, s6, v10
                                        ; implicit-def: $vgpr1
	s_and_saveexec_b64 s[6:7], vcc
	s_xor_b64 s[6:7], exec, s[6:7]
; %bb.2068:
	v_bfe_u32 v1, v2, 21, 1
	s_mov_b32 s8, 0x80fffff
	v_add3_u32 v1, v2, v1, s8
	v_lshrrev_b32_e32 v1, 21, v1
; %bb.2069:
	s_andn2_saveexec_b64 s[6:7], s[6:7]
; %bb.2070:
	s_mov_b32 s8, 0x43000000
	v_add_f32_e64 v1, |v2|, s8
; %bb.2071:
	s_or_b64 exec, exec, s[6:7]
                                        ; implicit-def: $vgpr10
.LBB176_2072:
	s_andn2_saveexec_b64 s[2:3], s[2:3]
; %bb.2073:
	s_mov_b32 s6, 0x7f800000
	v_mov_b32_e32 v1, 0x7c
	v_mov_b32_e32 v11, 0x7f
	v_cmp_lt_u32_e32 vcc, s6, v10
	s_nop 1
	v_cndmask_b32_e32 v1, v1, v11, vcc
; %bb.2074:
	s_or_b64 exec, exec, s[2:3]
	v_lshrrev_b32_e32 v10, 24, v2
	s_movk_i32 s2, 0x80
	v_and_or_b32 v1, v10, s2, v1
	global_store_byte v[8:9], v1, off
.LBB176_2075:
	s_mov_b64 s[2:3], 0
	s_mov_b64 s[6:7], -1
.LBB176_2076:
	s_andn2_b64 vcc, exec, s[2:3]
	s_mov_b64 s[2:3], 0
	s_cbranch_vccnz .LBB176_2083
; %bb.2077:
	s_cmp_gt_i32 s23, 14
	s_mov_b64 s[8:9], -1
	s_cbranch_scc0 .LBB176_2081
; %bb.2078:
	s_cmp_eq_u32 s23, 15
	s_mov_b64 s[0:1], -1
	s_cbranch_scc0 .LBB176_2080
; %bb.2079:
	v_bfe_u32 v1, v2, 16, 1
	s_movk_i32 s0, 0x7fff
	v_add3_u32 v1, v2, v1, s0
	v_cmp_o_f32_e32 vcc, v2, v2
	v_mov_b32_e32 v10, 0x7fc0
	s_mov_b64 s[0:1], 0
	v_cndmask_b32_sdwa v1, v10, v1, vcc dst_sel:DWORD dst_unused:UNUSED_PAD src0_sel:DWORD src1_sel:WORD_1
	global_store_short v[8:9], v1, off
	s_mov_b64 s[6:7], -1
.LBB176_2080:
	s_mov_b64 s[8:9], 0
.LBB176_2081:
	s_and_b64 vcc, exec, s[8:9]
	s_cbranch_vccz .LBB176_2083
; %bb.2082:
	s_cmp_lg_u32 s23, 11
	s_mov_b64 s[2:3], -1
	s_cselect_b64 s[0:1], -1, 0
.LBB176_2083:
	s_and_b64 vcc, exec, s[0:1]
	s_cbranch_vccnz .LBB176_2339
; %bb.2084:
	s_andn2_b64 vcc, exec, s[2:3]
	s_cbranch_vccnz .LBB176_2086
.LBB176_2085:
	v_cmp_neq_f32_e32 vcc, 0, v2
	v_cmp_neq_f32_e64 s[0:1], 0, v3
	s_or_b64 s[0:1], vcc, s[0:1]
	s_mov_b64 s[6:7], -1
	v_cndmask_b32_e64 v1, 0, 1, s[0:1]
	global_store_byte v[8:9], v1, off
.LBB176_2086:
	s_mov_b64 s[0:1], 0
	s_branch .LBB176_2088
.LBB176_2087:
	s_mov_b64 s[0:1], -1
	s_mov_b64 s[6:7], 0
.LBB176_2088:
	s_and_b64 vcc, exec, s[0:1]
	s_cbranch_vccz .LBB176_2127
; %bb.2089:
	s_and_b32 s2, 0xffff, s24
	s_cmp_lt_i32 s2, 5
	s_mov_b64 s[0:1], -1
	s_cbranch_scc1 .LBB176_2110
; %bb.2090:
	s_cmp_lt_i32 s2, 8
	s_cbranch_scc1 .LBB176_2100
; %bb.2091:
	s_cmp_lt_i32 s2, 9
	s_cbranch_scc1 .LBB176_2097
; %bb.2092:
	s_cmp_gt_i32 s2, 9
	s_cbranch_scc0 .LBB176_2094
; %bb.2093:
	v_cvt_f64_f32_e32 v[10:11], v2
	v_cvt_f64_f32_e32 v[12:13], v3
	global_store_dwordx4 v[8:9], v[10:13], off
	s_mov_b64 s[0:1], 0
.LBB176_2094:
	s_andn2_b64 vcc, exec, s[0:1]
	s_cbranch_vccnz .LBB176_2096
; %bb.2095:
	global_store_dwordx2 v[8:9], v[2:3], off
.LBB176_2096:
	s_mov_b64 s[0:1], 0
.LBB176_2097:
	s_andn2_b64 vcc, exec, s[0:1]
	s_cbranch_vccnz .LBB176_2099
; %bb.2098:
	v_cvt_f16_f32_e32 v1, v2
	v_cvt_f16_f32_sdwa v3, v3 dst_sel:WORD_1 dst_unused:UNUSED_PAD src0_sel:DWORD
	s_nop 0
	v_or_b32_e32 v1, v3, v1
	global_store_dword v[8:9], v1, off
.LBB176_2099:
	s_mov_b64 s[0:1], 0
.LBB176_2100:
	s_andn2_b64 vcc, exec, s[0:1]
	s_cbranch_vccnz .LBB176_2109
; %bb.2101:
	s_cmp_lt_i32 s2, 6
	s_mov_b64 s[0:1], -1
	s_cbranch_scc1 .LBB176_2107
; %bb.2102:
	s_cmp_gt_i32 s2, 6
	s_cbranch_scc0 .LBB176_2104
; %bb.2103:
	v_cvt_f64_f32_e32 v[10:11], v2
	global_store_dwordx2 v[8:9], v[10:11], off
	s_mov_b64 s[0:1], 0
.LBB176_2104:
	s_andn2_b64 vcc, exec, s[0:1]
	s_cbranch_vccnz .LBB176_2106
; %bb.2105:
	global_store_dword v[8:9], v2, off
.LBB176_2106:
	s_mov_b64 s[0:1], 0
.LBB176_2107:
	s_andn2_b64 vcc, exec, s[0:1]
	s_cbranch_vccnz .LBB176_2109
; %bb.2108:
	v_cvt_f16_f32_e32 v1, v2
	global_store_short v[8:9], v1, off
.LBB176_2109:
	s_mov_b64 s[0:1], 0
.LBB176_2110:
	s_andn2_b64 vcc, exec, s[0:1]
	s_cbranch_vccnz .LBB176_2126
; %bb.2111:
	s_cmp_lt_i32 s2, 2
	s_mov_b64 s[0:1], -1
	s_cbranch_scc1 .LBB176_2121
; %bb.2112:
	s_cmp_lt_i32 s2, 3
	s_cbranch_scc1 .LBB176_2118
; %bb.2113:
	s_cmp_gt_i32 s2, 3
	s_cbranch_scc0 .LBB176_2115
; %bb.2114:
	v_trunc_f32_e32 v1, v2
	s_mov_b32 s0, 0x2f800000
	v_mul_f32_e64 v3, |v1|, s0
	v_floor_f32_e32 v3, v3
	s_mov_b32 s0, 0xcf800000
	v_cvt_u32_f32_e32 v10, v3
	v_fma_f32 v3, v3, s0, |v1|
	v_cvt_u32_f32_e32 v3, v3
	v_ashrrev_i32_e32 v1, 31, v1
	v_xor_b32_e32 v11, v10, v1
	s_mov_b64 s[0:1], 0
	v_xor_b32_e32 v3, v3, v1
	v_sub_co_u32_e32 v10, vcc, v3, v1
	s_nop 1
	v_subb_co_u32_e32 v11, vcc, v11, v1, vcc
	global_store_dwordx2 v[8:9], v[10:11], off
.LBB176_2115:
	s_andn2_b64 vcc, exec, s[0:1]
	s_cbranch_vccnz .LBB176_2117
; %bb.2116:
	v_cvt_i32_f32_e32 v1, v2
	global_store_dword v[8:9], v1, off
.LBB176_2117:
	s_mov_b64 s[0:1], 0
.LBB176_2118:
	s_andn2_b64 vcc, exec, s[0:1]
	s_cbranch_vccnz .LBB176_2120
; %bb.2119:
	v_cvt_i32_f32_e32 v1, v2
	global_store_short v[8:9], v1, off
.LBB176_2120:
	s_mov_b64 s[0:1], 0
.LBB176_2121:
	s_andn2_b64 vcc, exec, s[0:1]
	s_cbranch_vccnz .LBB176_2126
; %bb.2122:
	s_cmp_gt_i32 s2, 0
	s_mov_b64 s[0:1], -1
	s_cbranch_scc0 .LBB176_2124
; %bb.2123:
	v_cvt_i32_f32_e32 v1, v2
	s_mov_b64 s[0:1], 0
	global_store_byte v[8:9], v1, off
.LBB176_2124:
	s_andn2_b64 vcc, exec, s[0:1]
	s_cbranch_vccnz .LBB176_2126
; %bb.2125:
	v_trunc_f32_e32 v1, v2
	s_mov_b32 s0, 0x2f800000
	v_mul_f32_e64 v2, |v1|, s0
	v_floor_f32_e32 v2, v2
	s_mov_b32 s0, 0xcf800000
	v_fma_f32 v2, v2, s0, |v1|
	v_cvt_u32_f32_e32 v2, v2
	v_ashrrev_i32_e32 v1, 31, v1
	v_xor_b32_e32 v2, v2, v1
	v_sub_u32_e32 v1, v2, v1
	global_store_byte v[8:9], v1, off
.LBB176_2126:
	s_mov_b64 s[6:7], -1
.LBB176_2127:
	s_andn2_b64 vcc, exec, s[6:7]
	s_cbranch_vccnz .LBB176_2323
; %bb.2128:
	v_add_u32_e32 v0, s22, v0
	v_ashrrev_i32_e32 v1, 31, v0
	s_cmp_lt_i32 s24, 11
	v_lshl_add_u64 v[2:3], s[4:5], 0, v[0:1]
	s_cbranch_scc1 .LBB176_2206
; %bb.2129:
	s_and_b32 s23, 0xffff, s24
	s_mov_b64 s[8:9], -1
	s_mov_b64 s[2:3], 0
	s_cmp_gt_i32 s23, 25
	s_mov_b64 s[6:7], 0
	s_mov_b64 s[0:1], 0
	s_cbranch_scc0 .LBB176_2162
; %bb.2130:
	s_cmp_gt_i32 s23, 28
	s_cbranch_scc0 .LBB176_2145
; %bb.2131:
	s_cmp_gt_i32 s23, 43
	;; [unrolled: 3-line block ×3, first 2 shown]
	s_cbranch_scc0 .LBB176_2135
; %bb.2133:
	s_mov_b64 s[0:1], -1
	s_mov_b64 s[8:9], 0
	s_cmp_eq_u32 s23, 46
	s_cbranch_scc0 .LBB176_2135
; %bb.2134:
	v_mov_b32_e32 v1, 1
	v_and_b32_sdwa v8, v5, v1 dst_sel:DWORD dst_unused:UNUSED_PAD src0_sel:WORD_1 src1_sel:DWORD
	v_and_b32_sdwa v1, v4, v1 dst_sel:DWORD dst_unused:UNUSED_PAD src0_sel:WORD_1 src1_sel:DWORD
	s_movk_i32 s0, 0x7fff
	v_add3_u32 v1, v4, v1, s0
	v_add3_u32 v8, v5, v8, s0
	v_cmp_o_f32_e32 vcc, v4, v4
	v_mov_b32_e32 v9, 0x7fc0
	v_and_b32_e32 v8, 0xffff0000, v8
	v_cndmask_b32_sdwa v1, v9, v1, vcc dst_sel:DWORD dst_unused:UNUSED_PAD src0_sel:DWORD src1_sel:WORD_1
	v_mov_b32_e32 v9, 0x7fc00000
	v_cmp_o_f32_e32 vcc, v5, v5
	s_mov_b64 s[0:1], 0
	s_mov_b64 s[6:7], -1
	v_cndmask_b32_e32 v8, v9, v8, vcc
	v_or_b32_e32 v1, v8, v1
	global_store_dword v[2:3], v1, off
.LBB176_2135:
	s_and_b64 vcc, exec, s[8:9]
	s_cbranch_vccz .LBB176_2140
; %bb.2136:
	s_cmp_eq_u32 s23, 44
	s_mov_b64 s[0:1], -1
	s_cbranch_scc0 .LBB176_2140
; %bb.2137:
	v_bfe_u32 v1, v4, 23, 8
	s_movk_i32 s0, 0xff
	v_cmp_ne_u32_e32 vcc, s0, v1
	v_mov_b32_e32 v8, 0xff
	s_and_saveexec_b64 s[6:7], vcc
; %bb.2138:
	s_mov_b32 s0, 0x3fffff
	v_and_b32_e32 v9, 0x400000, v4
	v_and_or_b32 v1, v4, s0, v1
	v_cmp_ne_u32_e32 vcc, 0, v9
	v_cmp_ne_u32_e64 s[0:1], 0, v1
	s_and_b64 s[0:1], vcc, s[0:1]
	v_lshrrev_b32_e32 v8, 23, v4
	v_cndmask_b32_e64 v1, 0, 1, s[0:1]
	v_add_u32_e32 v8, v8, v1
; %bb.2139:
	s_or_b64 exec, exec, s[6:7]
	s_mov_b64 s[0:1], 0
	s_mov_b64 s[6:7], -1
	global_store_byte v[2:3], v8, off
.LBB176_2140:
	s_mov_b64 s[8:9], 0
.LBB176_2141:
	s_and_b64 vcc, exec, s[8:9]
	s_cbranch_vccz .LBB176_2144
; %bb.2142:
	s_cmp_eq_u32 s23, 29
	s_mov_b64 s[0:1], -1
	s_cbranch_scc0 .LBB176_2144
; %bb.2143:
	v_trunc_f32_e32 v1, v4
	v_mul_f32_e32 v8, 0x2f800000, v1
	v_floor_f32_e32 v8, v8
	v_fmamk_f32 v1, v8, 0xcf800000, v1
	v_cvt_u32_f32_e32 v9, v8
	v_cvt_u32_f32_e32 v8, v1
	s_mov_b64 s[0:1], 0
	s_mov_b64 s[6:7], -1
	global_store_dwordx2 v[2:3], v[8:9], off
.LBB176_2144:
	s_mov_b64 s[8:9], 0
.LBB176_2145:
	s_and_b64 vcc, exec, s[8:9]
	s_cbranch_vccz .LBB176_2161
; %bb.2146:
	s_cmp_lt_i32 s23, 27
	s_mov_b64 s[6:7], -1
	s_cbranch_scc1 .LBB176_2152
; %bb.2147:
	v_cvt_u32_f32_e32 v1, v4
	s_cmp_gt_i32 s23, 27
	s_cbranch_scc0 .LBB176_2149
; %bb.2148:
	s_mov_b64 s[6:7], 0
	global_store_dword v[2:3], v1, off
.LBB176_2149:
	s_andn2_b64 vcc, exec, s[6:7]
	s_cbranch_vccnz .LBB176_2151
; %bb.2150:
	global_store_short v[2:3], v1, off
.LBB176_2151:
	s_mov_b64 s[6:7], 0
.LBB176_2152:
	s_andn2_b64 vcc, exec, s[6:7]
	s_cbranch_vccnz .LBB176_2160
; %bb.2153:
	v_and_b32_e32 v1, 0x7fffffff, v4
	s_mov_b32 s6, 0x43800000
	v_cmp_gt_u32_e32 vcc, s6, v1
	v_mov_b32_e32 v8, 0x80
	s_and_saveexec_b64 s[6:7], vcc
	s_cbranch_execz .LBB176_2159
; %bb.2154:
	s_mov_b32 s8, 0x3bffffff
	v_cmp_lt_u32_e32 vcc, s8, v1
	s_mov_b64 s[8:9], 0
                                        ; implicit-def: $vgpr1
	s_and_saveexec_b64 s[10:11], vcc
	s_xor_b64 s[10:11], exec, s[10:11]
	s_cbranch_execz .LBB176_2344
; %bb.2155:
	v_bfe_u32 v1, v4, 20, 1
	s_mov_b32 s18, 0x487ffff
	v_add3_u32 v1, v4, v1, s18
	s_mov_b64 s[8:9], exec
	v_lshrrev_b32_e32 v1, 20, v1
	s_andn2_saveexec_b64 s[10:11], s[10:11]
	s_cbranch_execnz .LBB176_2345
.LBB176_2156:
	s_or_b64 exec, exec, s[10:11]
	v_mov_b32_e32 v8, 0
	s_and_saveexec_b64 s[10:11], s[8:9]
.LBB176_2157:
	v_lshrrev_b32_e32 v8, 24, v4
	s_movk_i32 s8, 0x80
	v_and_or_b32 v8, v8, s8, v1
.LBB176_2158:
	s_or_b64 exec, exec, s[10:11]
.LBB176_2159:
	s_or_b64 exec, exec, s[6:7]
	global_store_byte v[2:3], v8, off
.LBB176_2160:
	s_mov_b64 s[6:7], -1
.LBB176_2161:
	s_mov_b64 s[8:9], 0
.LBB176_2162:
	s_and_b64 vcc, exec, s[8:9]
	s_cbranch_vccz .LBB176_2202
; %bb.2163:
	s_cmp_gt_i32 s23, 22
	s_mov_b64 s[2:3], -1
	s_cbranch_scc0 .LBB176_2195
; %bb.2164:
	s_cmp_lt_i32 s23, 24
	s_cbranch_scc1 .LBB176_2184
; %bb.2165:
	s_cmp_gt_i32 s23, 24
	s_cbranch_scc0 .LBB176_2173
; %bb.2166:
	v_and_b32_e32 v1, 0x7fffffff, v4
	s_mov_b32 s2, 0x47800000
	v_cmp_gt_u32_e32 vcc, s2, v1
	v_mov_b32_e32 v8, 0x80
	s_and_saveexec_b64 s[2:3], vcc
	s_cbranch_execz .LBB176_2172
; %bb.2167:
	s_mov_b32 s6, 0x37ffffff
	v_cmp_lt_u32_e32 vcc, s6, v1
	s_mov_b64 s[6:7], 0
                                        ; implicit-def: $vgpr1
	s_and_saveexec_b64 s[8:9], vcc
	s_xor_b64 s[8:9], exec, s[8:9]
	s_cbranch_execz .LBB176_2349
; %bb.2168:
	v_bfe_u32 v1, v4, 21, 1
	s_mov_b32 s10, 0x88fffff
	v_add3_u32 v1, v4, v1, s10
	s_mov_b64 s[6:7], exec
	v_lshrrev_b32_e32 v1, 21, v1
	s_andn2_saveexec_b64 s[8:9], s[8:9]
	s_cbranch_execnz .LBB176_2350
.LBB176_2169:
	s_or_b64 exec, exec, s[8:9]
	v_mov_b32_e32 v8, 0
	s_and_saveexec_b64 s[8:9], s[6:7]
.LBB176_2170:
	v_lshrrev_b32_e32 v8, 24, v4
	s_movk_i32 s6, 0x80
	v_and_or_b32 v8, v8, s6, v1
.LBB176_2171:
	s_or_b64 exec, exec, s[8:9]
.LBB176_2172:
	s_or_b64 exec, exec, s[2:3]
	s_mov_b64 s[2:3], 0
	global_store_byte v[2:3], v8, off
.LBB176_2173:
	s_and_b64 vcc, exec, s[2:3]
	s_cbranch_vccz .LBB176_2183
; %bb.2174:
	v_and_b32_e32 v8, 0x7fffffff, v4
	s_mov_b32 s2, 0x43f00000
	v_cmp_gt_u32_e32 vcc, s2, v8
                                        ; implicit-def: $vgpr1
	s_and_saveexec_b64 s[2:3], vcc
	s_xor_b64 s[2:3], exec, s[2:3]
	s_cbranch_execz .LBB176_2180
; %bb.2175:
	s_mov_b32 s6, 0x3c7fffff
	v_cmp_lt_u32_e32 vcc, s6, v8
                                        ; implicit-def: $vgpr1
	s_and_saveexec_b64 s[6:7], vcc
	s_xor_b64 s[6:7], exec, s[6:7]
; %bb.2176:
	v_bfe_u32 v1, v4, 20, 1
	s_mov_b32 s8, 0x407ffff
	v_add3_u32 v1, v4, v1, s8
	v_lshrrev_b32_e32 v8, 20, v1
	v_and_b32_e32 v1, 0xff00000, v1
	s_mov_b32 s8, 0x7f00000
	v_mov_b32_e32 v9, 0x7e
	v_cmp_ne_u32_e32 vcc, s8, v1
	s_nop 1
	v_cndmask_b32_e32 v1, v9, v8, vcc
; %bb.2177:
	s_andn2_saveexec_b64 s[6:7], s[6:7]
; %bb.2178:
	s_mov_b32 s8, 0x46800000
	v_add_f32_e64 v1, |v4|, s8
; %bb.2179:
	s_or_b64 exec, exec, s[6:7]
                                        ; implicit-def: $vgpr8
.LBB176_2180:
	s_andn2_saveexec_b64 s[2:3], s[2:3]
; %bb.2181:
	s_mov_b32 s6, 0x7f800000
	v_mov_b32_e32 v1, 0x7e
	v_mov_b32_e32 v9, 0x7f
	v_cmp_lt_u32_e32 vcc, s6, v8
	s_nop 1
	v_cndmask_b32_e32 v1, v1, v9, vcc
; %bb.2182:
	s_or_b64 exec, exec, s[2:3]
	v_lshrrev_b32_e32 v8, 24, v4
	s_movk_i32 s2, 0x80
	v_and_or_b32 v1, v8, s2, v1
	global_store_byte v[2:3], v1, off
.LBB176_2183:
	s_mov_b64 s[2:3], 0
.LBB176_2184:
	s_andn2_b64 vcc, exec, s[2:3]
	s_cbranch_vccnz .LBB176_2194
; %bb.2185:
	v_and_b32_e32 v8, 0x7fffffff, v4
	s_mov_b32 s2, 0x47800000
	v_cmp_gt_u32_e32 vcc, s2, v8
                                        ; implicit-def: $vgpr1
	s_and_saveexec_b64 s[2:3], vcc
	s_xor_b64 s[2:3], exec, s[2:3]
	s_cbranch_execz .LBB176_2191
; %bb.2186:
	s_mov_b32 s6, 0x387fffff
	v_cmp_lt_u32_e32 vcc, s6, v8
                                        ; implicit-def: $vgpr1
	s_and_saveexec_b64 s[6:7], vcc
	s_xor_b64 s[6:7], exec, s[6:7]
; %bb.2187:
	v_bfe_u32 v1, v4, 21, 1
	s_mov_b32 s8, 0x80fffff
	v_add3_u32 v1, v4, v1, s8
	v_lshrrev_b32_e32 v1, 21, v1
; %bb.2188:
	s_andn2_saveexec_b64 s[6:7], s[6:7]
; %bb.2189:
	s_mov_b32 s8, 0x43000000
	v_add_f32_e64 v1, |v4|, s8
; %bb.2190:
	s_or_b64 exec, exec, s[6:7]
                                        ; implicit-def: $vgpr8
.LBB176_2191:
	s_andn2_saveexec_b64 s[2:3], s[2:3]
; %bb.2192:
	s_mov_b32 s6, 0x7f800000
	v_mov_b32_e32 v1, 0x7c
	v_mov_b32_e32 v9, 0x7f
	v_cmp_lt_u32_e32 vcc, s6, v8
	s_nop 1
	v_cndmask_b32_e32 v1, v1, v9, vcc
; %bb.2193:
	s_or_b64 exec, exec, s[2:3]
	v_lshrrev_b32_e32 v8, 24, v4
	s_movk_i32 s2, 0x80
	v_and_or_b32 v1, v8, s2, v1
	global_store_byte v[2:3], v1, off
.LBB176_2194:
	s_mov_b64 s[2:3], 0
	s_mov_b64 s[6:7], -1
.LBB176_2195:
	s_andn2_b64 vcc, exec, s[2:3]
	s_mov_b64 s[2:3], 0
	s_cbranch_vccnz .LBB176_2202
; %bb.2196:
	s_cmp_gt_i32 s23, 14
	s_mov_b64 s[8:9], -1
	s_cbranch_scc0 .LBB176_2200
; %bb.2197:
	s_cmp_eq_u32 s23, 15
	s_mov_b64 s[0:1], -1
	s_cbranch_scc0 .LBB176_2199
; %bb.2198:
	v_bfe_u32 v1, v4, 16, 1
	s_movk_i32 s0, 0x7fff
	v_add3_u32 v1, v4, v1, s0
	v_cmp_o_f32_e32 vcc, v4, v4
	v_mov_b32_e32 v8, 0x7fc0
	s_mov_b64 s[0:1], 0
	v_cndmask_b32_sdwa v1, v8, v1, vcc dst_sel:DWORD dst_unused:UNUSED_PAD src0_sel:DWORD src1_sel:WORD_1
	global_store_short v[2:3], v1, off
	s_mov_b64 s[6:7], -1
.LBB176_2199:
	s_mov_b64 s[8:9], 0
.LBB176_2200:
	s_and_b64 vcc, exec, s[8:9]
	s_cbranch_vccz .LBB176_2202
; %bb.2201:
	s_cmp_lg_u32 s23, 11
	s_mov_b64 s[2:3], -1
	s_cselect_b64 s[0:1], -1, 0
.LBB176_2202:
	s_and_b64 vcc, exec, s[0:1]
	s_cbranch_vccnz .LBB176_2348
; %bb.2203:
	s_andn2_b64 vcc, exec, s[2:3]
	s_cbranch_vccnz .LBB176_2205
.LBB176_2204:
	v_cmp_neq_f32_e32 vcc, 0, v4
	v_cmp_neq_f32_e64 s[0:1], 0, v5
	s_or_b64 s[0:1], vcc, s[0:1]
	s_mov_b64 s[6:7], -1
	v_cndmask_b32_e64 v1, 0, 1, s[0:1]
	global_store_byte v[2:3], v1, off
.LBB176_2205:
	s_mov_b64 s[0:1], 0
	s_branch .LBB176_2207
.LBB176_2206:
	s_mov_b64 s[0:1], -1
	s_mov_b64 s[6:7], 0
.LBB176_2207:
	s_and_b64 vcc, exec, s[0:1]
	s_cbranch_vccz .LBB176_2246
; %bb.2208:
	s_and_b32 s2, 0xffff, s24
	s_cmp_lt_i32 s2, 5
	s_mov_b64 s[0:1], -1
	s_cbranch_scc1 .LBB176_2229
; %bb.2209:
	s_cmp_lt_i32 s2, 8
	s_cbranch_scc1 .LBB176_2219
; %bb.2210:
	s_cmp_lt_i32 s2, 9
	s_cbranch_scc1 .LBB176_2216
; %bb.2211:
	s_cmp_gt_i32 s2, 9
	s_cbranch_scc0 .LBB176_2213
; %bb.2212:
	v_cvt_f64_f32_e32 v[8:9], v4
	v_cvt_f64_f32_e32 v[10:11], v5
	global_store_dwordx4 v[2:3], v[8:11], off
	s_mov_b64 s[0:1], 0
.LBB176_2213:
	s_andn2_b64 vcc, exec, s[0:1]
	s_cbranch_vccnz .LBB176_2215
; %bb.2214:
	global_store_dwordx2 v[2:3], v[4:5], off
.LBB176_2215:
	s_mov_b64 s[0:1], 0
.LBB176_2216:
	s_andn2_b64 vcc, exec, s[0:1]
	s_cbranch_vccnz .LBB176_2218
; %bb.2217:
	v_cvt_f16_f32_e32 v1, v4
	v_cvt_f16_f32_sdwa v5, v5 dst_sel:WORD_1 dst_unused:UNUSED_PAD src0_sel:DWORD
	s_nop 0
	v_or_b32_e32 v1, v5, v1
	global_store_dword v[2:3], v1, off
.LBB176_2218:
	s_mov_b64 s[0:1], 0
.LBB176_2219:
	s_andn2_b64 vcc, exec, s[0:1]
	s_cbranch_vccnz .LBB176_2228
; %bb.2220:
	s_cmp_lt_i32 s2, 6
	s_mov_b64 s[0:1], -1
	s_cbranch_scc1 .LBB176_2226
; %bb.2221:
	s_cmp_gt_i32 s2, 6
	s_cbranch_scc0 .LBB176_2223
; %bb.2222:
	v_cvt_f64_f32_e32 v[8:9], v4
	global_store_dwordx2 v[2:3], v[8:9], off
	s_mov_b64 s[0:1], 0
.LBB176_2223:
	s_andn2_b64 vcc, exec, s[0:1]
	s_cbranch_vccnz .LBB176_2225
; %bb.2224:
	global_store_dword v[2:3], v4, off
.LBB176_2225:
	s_mov_b64 s[0:1], 0
.LBB176_2226:
	s_andn2_b64 vcc, exec, s[0:1]
	s_cbranch_vccnz .LBB176_2228
; %bb.2227:
	v_cvt_f16_f32_e32 v1, v4
	global_store_short v[2:3], v1, off
.LBB176_2228:
	s_mov_b64 s[0:1], 0
.LBB176_2229:
	s_andn2_b64 vcc, exec, s[0:1]
	s_cbranch_vccnz .LBB176_2245
; %bb.2230:
	s_cmp_lt_i32 s2, 2
	s_mov_b64 s[0:1], -1
	s_cbranch_scc1 .LBB176_2240
; %bb.2231:
	s_cmp_lt_i32 s2, 3
	s_cbranch_scc1 .LBB176_2237
; %bb.2232:
	s_cmp_gt_i32 s2, 3
	s_cbranch_scc0 .LBB176_2234
; %bb.2233:
	v_trunc_f32_e32 v1, v4
	s_mov_b32 s0, 0x2f800000
	v_mul_f32_e64 v5, |v1|, s0
	v_floor_f32_e32 v5, v5
	s_mov_b32 s0, 0xcf800000
	v_cvt_u32_f32_e32 v8, v5
	v_fma_f32 v5, v5, s0, |v1|
	v_cvt_u32_f32_e32 v5, v5
	v_ashrrev_i32_e32 v1, 31, v1
	v_xor_b32_e32 v9, v8, v1
	s_mov_b64 s[0:1], 0
	v_xor_b32_e32 v5, v5, v1
	v_sub_co_u32_e32 v8, vcc, v5, v1
	s_nop 1
	v_subb_co_u32_e32 v9, vcc, v9, v1, vcc
	global_store_dwordx2 v[2:3], v[8:9], off
.LBB176_2234:
	s_andn2_b64 vcc, exec, s[0:1]
	s_cbranch_vccnz .LBB176_2236
; %bb.2235:
	v_cvt_i32_f32_e32 v1, v4
	global_store_dword v[2:3], v1, off
.LBB176_2236:
	s_mov_b64 s[0:1], 0
.LBB176_2237:
	s_andn2_b64 vcc, exec, s[0:1]
	s_cbranch_vccnz .LBB176_2239
; %bb.2238:
	v_cvt_i32_f32_e32 v1, v4
	global_store_short v[2:3], v1, off
.LBB176_2239:
	s_mov_b64 s[0:1], 0
.LBB176_2240:
	s_andn2_b64 vcc, exec, s[0:1]
	s_cbranch_vccnz .LBB176_2245
; %bb.2241:
	s_cmp_gt_i32 s2, 0
	s_mov_b64 s[0:1], -1
	s_cbranch_scc0 .LBB176_2243
; %bb.2242:
	v_cvt_i32_f32_e32 v1, v4
	s_mov_b64 s[0:1], 0
	global_store_byte v[2:3], v1, off
.LBB176_2243:
	s_andn2_b64 vcc, exec, s[0:1]
	s_cbranch_vccnz .LBB176_2245
; %bb.2244:
	v_trunc_f32_e32 v1, v4
	s_mov_b32 s0, 0x2f800000
	v_mul_f32_e64 v4, |v1|, s0
	v_floor_f32_e32 v4, v4
	s_mov_b32 s0, 0xcf800000
	v_fma_f32 v4, v4, s0, |v1|
	v_cvt_u32_f32_e32 v4, v4
	v_ashrrev_i32_e32 v1, 31, v1
	v_xor_b32_e32 v4, v4, v1
	v_sub_u32_e32 v1, v4, v1
	global_store_byte v[2:3], v1, off
.LBB176_2245:
	s_mov_b64 s[6:7], -1
.LBB176_2246:
	s_andn2_b64 vcc, exec, s[6:7]
	s_cbranch_vccnz .LBB176_2323
; %bb.2247:
	v_add_u32_e32 v0, s22, v0
	v_ashrrev_i32_e32 v1, 31, v0
	s_cmp_lt_i32 s24, 11
	v_lshl_add_u64 v[0:1], s[4:5], 0, v[0:1]
	s_cbranch_scc1 .LBB176_2324
; %bb.2248:
	s_and_b32 s20, 0xffff, s24
	s_mov_b64 s[4:5], -1
	s_mov_b64 s[2:3], 0
	s_cmp_gt_i32 s20, 25
	s_mov_b64 s[0:1], 0
	s_cbranch_scc0 .LBB176_2281
; %bb.2249:
	s_cmp_gt_i32 s20, 28
	s_cbranch_scc0 .LBB176_2265
; %bb.2250:
	s_cmp_gt_i32 s20, 43
	;; [unrolled: 3-line block ×3, first 2 shown]
	s_cbranch_scc0 .LBB176_2255
; %bb.2252:
	s_cmp_eq_u32 s20, 46
	s_mov_b64 s[0:1], -1
	s_cbranch_scc0 .LBB176_2254
; %bb.2253:
	v_mov_b32_e32 v2, 1
	v_and_b32_sdwa v3, v7, v2 dst_sel:DWORD dst_unused:UNUSED_PAD src0_sel:WORD_1 src1_sel:DWORD
	v_and_b32_sdwa v2, v6, v2 dst_sel:DWORD dst_unused:UNUSED_PAD src0_sel:WORD_1 src1_sel:DWORD
	s_movk_i32 s0, 0x7fff
	v_add3_u32 v2, v6, v2, s0
	v_add3_u32 v3, v7, v3, s0
	v_cmp_o_f32_e32 vcc, v6, v6
	v_mov_b32_e32 v4, 0x7fc0
	v_and_b32_e32 v3, 0xffff0000, v3
	v_cndmask_b32_sdwa v2, v4, v2, vcc dst_sel:DWORD dst_unused:UNUSED_PAD src0_sel:DWORD src1_sel:WORD_1
	v_mov_b32_e32 v4, 0x7fc00000
	v_cmp_o_f32_e32 vcc, v7, v7
	s_mov_b64 s[0:1], 0
	s_nop 0
	v_cndmask_b32_e32 v3, v4, v3, vcc
	v_or_b32_e32 v2, v3, v2
	global_store_dword v[0:1], v2, off
.LBB176_2254:
	s_mov_b64 s[4:5], 0
.LBB176_2255:
	s_and_b64 vcc, exec, s[4:5]
	s_cbranch_vccz .LBB176_2260
; %bb.2256:
	s_cmp_eq_u32 s20, 44
	s_mov_b64 s[0:1], -1
	s_cbranch_scc0 .LBB176_2260
; %bb.2257:
	v_bfe_u32 v2, v6, 23, 8
	s_movk_i32 s0, 0xff
	v_cmp_ne_u32_e32 vcc, s0, v2
	v_mov_b32_e32 v3, 0xff
	s_and_saveexec_b64 s[4:5], vcc
; %bb.2258:
	s_mov_b32 s0, 0x3fffff
	v_and_b32_e32 v4, 0x400000, v6
	v_and_or_b32 v2, v6, s0, v2
	v_cmp_ne_u32_e32 vcc, 0, v4
	v_cmp_ne_u32_e64 s[0:1], 0, v2
	s_and_b64 s[0:1], vcc, s[0:1]
	v_lshrrev_b32_e32 v3, 23, v6
	v_cndmask_b32_e64 v2, 0, 1, s[0:1]
	v_add_u32_e32 v3, v3, v2
; %bb.2259:
	s_or_b64 exec, exec, s[4:5]
	s_mov_b64 s[0:1], 0
	global_store_byte v[0:1], v3, off
.LBB176_2260:
	s_mov_b64 s[4:5], 0
.LBB176_2261:
	s_and_b64 vcc, exec, s[4:5]
	s_cbranch_vccz .LBB176_2264
; %bb.2262:
	s_cmp_eq_u32 s20, 29
	s_mov_b64 s[0:1], -1
	s_cbranch_scc0 .LBB176_2264
; %bb.2263:
	v_trunc_f32_e32 v2, v6
	v_mul_f32_e32 v3, 0x2f800000, v2
	v_floor_f32_e32 v4, v3
	v_fmamk_f32 v2, v4, 0xcf800000, v2
	v_cvt_u32_f32_e32 v3, v4
	v_cvt_u32_f32_e32 v2, v2
	s_mov_b64 s[0:1], 0
	global_store_dwordx2 v[0:1], v[2:3], off
.LBB176_2264:
	s_mov_b64 s[4:5], 0
.LBB176_2265:
	s_and_b64 vcc, exec, s[4:5]
	s_cbranch_vccz .LBB176_2280
; %bb.2266:
	s_cmp_lt_i32 s20, 27
	s_mov_b64 s[4:5], -1
	s_cbranch_scc1 .LBB176_2272
; %bb.2267:
	v_cvt_u32_f32_e32 v2, v6
	s_cmp_gt_i32 s20, 27
	s_cbranch_scc0 .LBB176_2269
; %bb.2268:
	global_store_dword v[0:1], v2, off
	s_mov_b64 s[4:5], 0
.LBB176_2269:
	s_andn2_b64 vcc, exec, s[4:5]
	s_cbranch_vccnz .LBB176_2271
; %bb.2270:
	global_store_short v[0:1], v2, off
.LBB176_2271:
	s_mov_b64 s[4:5], 0
.LBB176_2272:
	s_andn2_b64 vcc, exec, s[4:5]
	s_cbranch_vccnz .LBB176_2280
; %bb.2273:
	v_and_b32_e32 v2, 0x7fffffff, v6
	s_mov_b32 s4, 0x43800000
	v_cmp_gt_u32_e32 vcc, s4, v2
	v_mov_b32_e32 v3, 0x80
	s_and_saveexec_b64 s[4:5], vcc
	s_cbranch_execz .LBB176_2279
; %bb.2274:
	s_mov_b32 s6, 0x3bffffff
	v_cmp_lt_u32_e32 vcc, s6, v2
	s_mov_b64 s[6:7], 0
                                        ; implicit-def: $vgpr2
	s_and_saveexec_b64 s[8:9], vcc
	s_xor_b64 s[8:9], exec, s[8:9]
	s_cbranch_execz .LBB176_2353
; %bb.2275:
	v_bfe_u32 v2, v6, 20, 1
	s_mov_b32 s10, 0x487ffff
	v_add3_u32 v2, v6, v2, s10
	s_mov_b64 s[6:7], exec
	v_lshrrev_b32_e32 v2, 20, v2
	s_andn2_saveexec_b64 s[8:9], s[8:9]
	s_cbranch_execnz .LBB176_2354
.LBB176_2276:
	s_or_b64 exec, exec, s[8:9]
	v_mov_b32_e32 v3, 0
	s_and_saveexec_b64 s[8:9], s[6:7]
.LBB176_2277:
	v_lshrrev_b32_e32 v3, 24, v6
	s_movk_i32 s6, 0x80
	v_and_or_b32 v3, v3, s6, v2
.LBB176_2278:
	s_or_b64 exec, exec, s[8:9]
.LBB176_2279:
	s_or_b64 exec, exec, s[4:5]
	global_store_byte v[0:1], v3, off
.LBB176_2280:
	s_mov_b64 s[4:5], 0
.LBB176_2281:
	s_and_b64 vcc, exec, s[4:5]
	s_cbranch_vccz .LBB176_2321
; %bb.2282:
	s_cmp_gt_i32 s20, 22
	s_mov_b64 s[2:3], -1
	s_cbranch_scc0 .LBB176_2314
; %bb.2283:
	s_cmp_lt_i32 s20, 24
	s_cbranch_scc1 .LBB176_2303
; %bb.2284:
	s_cmp_gt_i32 s20, 24
	s_cbranch_scc0 .LBB176_2292
; %bb.2285:
	v_and_b32_e32 v2, 0x7fffffff, v6
	s_mov_b32 s2, 0x47800000
	v_cmp_gt_u32_e32 vcc, s2, v2
	v_mov_b32_e32 v3, 0x80
	s_and_saveexec_b64 s[2:3], vcc
	s_cbranch_execz .LBB176_2291
; %bb.2286:
	s_mov_b32 s4, 0x37ffffff
	v_cmp_lt_u32_e32 vcc, s4, v2
	s_mov_b64 s[4:5], 0
                                        ; implicit-def: $vgpr2
	s_and_saveexec_b64 s[6:7], vcc
	s_xor_b64 s[6:7], exec, s[6:7]
	s_cbranch_execz .LBB176_2358
; %bb.2287:
	v_bfe_u32 v2, v6, 21, 1
	s_mov_b32 s8, 0x88fffff
	v_add3_u32 v2, v6, v2, s8
	s_mov_b64 s[4:5], exec
	v_lshrrev_b32_e32 v2, 21, v2
	s_andn2_saveexec_b64 s[6:7], s[6:7]
	s_cbranch_execnz .LBB176_2359
.LBB176_2288:
	s_or_b64 exec, exec, s[6:7]
	v_mov_b32_e32 v3, 0
	s_and_saveexec_b64 s[6:7], s[4:5]
.LBB176_2289:
	v_lshrrev_b32_e32 v3, 24, v6
	s_movk_i32 s4, 0x80
	v_and_or_b32 v3, v3, s4, v2
.LBB176_2290:
	s_or_b64 exec, exec, s[6:7]
.LBB176_2291:
	s_or_b64 exec, exec, s[2:3]
	s_mov_b64 s[2:3], 0
	global_store_byte v[0:1], v3, off
.LBB176_2292:
	s_and_b64 vcc, exec, s[2:3]
	s_cbranch_vccz .LBB176_2302
; %bb.2293:
	v_and_b32_e32 v3, 0x7fffffff, v6
	s_mov_b32 s2, 0x43f00000
	v_cmp_gt_u32_e32 vcc, s2, v3
                                        ; implicit-def: $vgpr2
	s_and_saveexec_b64 s[2:3], vcc
	s_xor_b64 s[2:3], exec, s[2:3]
	s_cbranch_execz .LBB176_2299
; %bb.2294:
	s_mov_b32 s4, 0x3c7fffff
	v_cmp_lt_u32_e32 vcc, s4, v3
                                        ; implicit-def: $vgpr2
	s_and_saveexec_b64 s[4:5], vcc
	s_xor_b64 s[4:5], exec, s[4:5]
; %bb.2295:
	v_bfe_u32 v2, v6, 20, 1
	s_mov_b32 s6, 0x407ffff
	v_add3_u32 v2, v6, v2, s6
	v_lshrrev_b32_e32 v3, 20, v2
	v_and_b32_e32 v2, 0xff00000, v2
	s_mov_b32 s6, 0x7f00000
	v_mov_b32_e32 v4, 0x7e
	v_cmp_ne_u32_e32 vcc, s6, v2
	s_nop 1
	v_cndmask_b32_e32 v2, v4, v3, vcc
; %bb.2296:
	s_andn2_saveexec_b64 s[4:5], s[4:5]
; %bb.2297:
	s_mov_b32 s6, 0x46800000
	v_add_f32_e64 v2, |v6|, s6
; %bb.2298:
	s_or_b64 exec, exec, s[4:5]
                                        ; implicit-def: $vgpr3
.LBB176_2299:
	s_andn2_saveexec_b64 s[2:3], s[2:3]
; %bb.2300:
	s_mov_b32 s4, 0x7f800000
	v_mov_b32_e32 v2, 0x7e
	v_mov_b32_e32 v4, 0x7f
	v_cmp_lt_u32_e32 vcc, s4, v3
	s_nop 1
	v_cndmask_b32_e32 v2, v2, v4, vcc
; %bb.2301:
	s_or_b64 exec, exec, s[2:3]
	v_lshrrev_b32_e32 v3, 24, v6
	s_movk_i32 s2, 0x80
	v_and_or_b32 v2, v3, s2, v2
	global_store_byte v[0:1], v2, off
.LBB176_2302:
	s_mov_b64 s[2:3], 0
.LBB176_2303:
	s_andn2_b64 vcc, exec, s[2:3]
	s_cbranch_vccnz .LBB176_2313
; %bb.2304:
	v_and_b32_e32 v3, 0x7fffffff, v6
	s_mov_b32 s2, 0x47800000
	v_cmp_gt_u32_e32 vcc, s2, v3
                                        ; implicit-def: $vgpr2
	s_and_saveexec_b64 s[2:3], vcc
	s_xor_b64 s[2:3], exec, s[2:3]
	s_cbranch_execz .LBB176_2310
; %bb.2305:
	s_mov_b32 s4, 0x387fffff
	v_cmp_lt_u32_e32 vcc, s4, v3
                                        ; implicit-def: $vgpr2
	s_and_saveexec_b64 s[4:5], vcc
	s_xor_b64 s[4:5], exec, s[4:5]
; %bb.2306:
	v_bfe_u32 v2, v6, 21, 1
	s_mov_b32 s6, 0x80fffff
	v_add3_u32 v2, v6, v2, s6
	v_lshrrev_b32_e32 v2, 21, v2
; %bb.2307:
	s_andn2_saveexec_b64 s[4:5], s[4:5]
; %bb.2308:
	s_mov_b32 s6, 0x43000000
	v_add_f32_e64 v2, |v6|, s6
; %bb.2309:
	s_or_b64 exec, exec, s[4:5]
                                        ; implicit-def: $vgpr3
.LBB176_2310:
	s_andn2_saveexec_b64 s[2:3], s[2:3]
; %bb.2311:
	s_mov_b32 s4, 0x7f800000
	v_mov_b32_e32 v2, 0x7c
	v_mov_b32_e32 v4, 0x7f
	v_cmp_lt_u32_e32 vcc, s4, v3
	s_nop 1
	v_cndmask_b32_e32 v2, v2, v4, vcc
; %bb.2312:
	s_or_b64 exec, exec, s[2:3]
	v_lshrrev_b32_e32 v3, 24, v6
	s_movk_i32 s2, 0x80
	v_and_or_b32 v2, v3, s2, v2
	global_store_byte v[0:1], v2, off
.LBB176_2313:
	s_mov_b64 s[2:3], 0
.LBB176_2314:
	s_andn2_b64 vcc, exec, s[2:3]
	s_mov_b64 s[2:3], 0
	s_cbranch_vccnz .LBB176_2321
; %bb.2315:
	s_cmp_gt_i32 s20, 14
	s_mov_b64 s[4:5], -1
	s_cbranch_scc0 .LBB176_2319
; %bb.2316:
	s_cmp_eq_u32 s20, 15
	s_mov_b64 s[0:1], -1
	s_cbranch_scc0 .LBB176_2318
; %bb.2317:
	v_bfe_u32 v2, v6, 16, 1
	s_movk_i32 s0, 0x7fff
	v_add3_u32 v2, v6, v2, s0
	v_cmp_o_f32_e32 vcc, v6, v6
	v_mov_b32_e32 v3, 0x7fc0
	s_mov_b64 s[0:1], 0
	v_cndmask_b32_sdwa v2, v3, v2, vcc dst_sel:DWORD dst_unused:UNUSED_PAD src0_sel:DWORD src1_sel:WORD_1
	global_store_short v[0:1], v2, off
.LBB176_2318:
	s_mov_b64 s[4:5], 0
.LBB176_2319:
	s_and_b64 vcc, exec, s[4:5]
	s_cbranch_vccz .LBB176_2321
; %bb.2320:
	s_cmp_lg_u32 s20, 11
	s_mov_b64 s[2:3], -1
	s_cselect_b64 s[0:1], -1, 0
.LBB176_2321:
	s_and_b64 vcc, exec, s[0:1]
	s_cbranch_vccnz .LBB176_2357
.LBB176_2322:
	s_mov_b64 s[0:1], 0
	s_branch .LBB176_1820
.LBB176_2323:
	s_mov_b64 s[0:1], 0
                                        ; implicit-def: $sgpr24
                                        ; implicit-def: $vgpr0_vgpr1
	s_branch .LBB176_1819
.LBB176_2324:
	s_mov_b64 s[2:3], 0
	s_mov_b64 s[0:1], -1
	s_branch .LBB176_1820
.LBB176_2325:
	s_trap 2
	s_or_b64 s[16:17], s[16:17], exec
	s_cbranch_execz .LBB176_1754
	s_branch .LBB176_1755
.LBB176_2326:
	s_andn2_saveexec_b64 s[18:19], s[18:19]
	s_cbranch_execz .LBB176_1918
.LBB176_2327:
	s_mov_b32 s20, 0x46000000
	v_add_f32_e64 v9, |v0|, s20
	v_and_b32_e32 v9, 0xff, v9
	v_cmp_ne_u32_e32 vcc, 0, v9
	s_mov_b64 s[20:21], s[10:11]
	s_and_saveexec_b64 s[22:23], vcc
; %bb.2328:
	s_or_b64 s[20:21], s[10:11], exec
; %bb.2329:
	s_or_b64 exec, exec, s[22:23]
	s_andn2_b64 s[10:11], s[10:11], exec
	s_and_b64 s[20:21], s[20:21], exec
	s_or_b64 s[10:11], s[10:11], s[20:21]
	s_or_b64 exec, exec, s[18:19]
	v_mov_b32_e32 v12, 0
	s_and_saveexec_b64 s[18:19], s[10:11]
	s_cbranch_execnz .LBB176_1919
	s_branch .LBB176_1920
.LBB176_2330:
	s_trap 2
	s_or_b64 s[16:17], s[16:17], exec
	s_cbranch_execz .LBB176_1966
	s_branch .LBB176_1967
.LBB176_2331:
	s_andn2_saveexec_b64 s[10:11], s[10:11]
	s_cbranch_execz .LBB176_1931
.LBB176_2332:
	s_mov_b32 s18, 0x42800000
	v_add_f32_e64 v9, |v0|, s18
	v_and_b32_e32 v9, 0xff, v9
	v_cmp_ne_u32_e32 vcc, 0, v9
	s_mov_b64 s[18:19], s[6:7]
	s_and_saveexec_b64 s[20:21], vcc
; %bb.2333:
	s_or_b64 s[18:19], s[6:7], exec
; %bb.2334:
	s_or_b64 exec, exec, s[20:21]
	s_andn2_b64 s[6:7], s[6:7], exec
	s_and_b64 s[18:19], s[18:19], exec
	s_or_b64 s[6:7], s[6:7], s[18:19]
	s_or_b64 exec, exec, s[10:11]
	v_mov_b32_e32 v12, 0
	s_and_saveexec_b64 s[10:11], s[6:7]
	s_cbranch_execnz .LBB176_1932
	s_branch .LBB176_1933
.LBB176_2335:
	s_andn2_saveexec_b64 s[10:11], s[10:11]
	s_cbranch_execz .LBB176_2037
.LBB176_2336:
	s_mov_b32 s18, 0x46000000
	v_add_f32_e64 v1, |v2|, s18
	v_and_b32_e32 v1, 0xff, v1
	v_cmp_ne_u32_e32 vcc, 0, v1
	s_mov_b64 s[18:19], s[8:9]
	s_and_saveexec_b64 s[20:21], vcc
; %bb.2337:
	s_or_b64 s[18:19], s[8:9], exec
; %bb.2338:
	s_or_b64 exec, exec, s[20:21]
	s_andn2_b64 s[8:9], s[8:9], exec
	s_and_b64 s[18:19], s[18:19], exec
	s_or_b64 s[8:9], s[8:9], s[18:19]
	s_or_b64 exec, exec, s[10:11]
	v_mov_b32_e32 v10, 0
	s_and_saveexec_b64 s[10:11], s[8:9]
	s_cbranch_execnz .LBB176_2038
	s_branch .LBB176_2039
.LBB176_2339:
	s_trap 2
	s_or_b64 s[16:17], s[16:17], exec
	s_cbranch_execz .LBB176_2085
	s_branch .LBB176_2086
.LBB176_2340:
	s_andn2_saveexec_b64 s[8:9], s[8:9]
	s_cbranch_execz .LBB176_2050
.LBB176_2341:
	s_mov_b32 s10, 0x42800000
	v_add_f32_e64 v1, |v2|, s10
	v_and_b32_e32 v1, 0xff, v1
	v_cmp_ne_u32_e32 vcc, 0, v1
	s_mov_b64 s[10:11], s[6:7]
	s_and_saveexec_b64 s[18:19], vcc
; %bb.2342:
	s_or_b64 s[10:11], s[6:7], exec
; %bb.2343:
	s_or_b64 exec, exec, s[18:19]
	s_andn2_b64 s[6:7], s[6:7], exec
	s_and_b64 s[10:11], s[10:11], exec
	s_or_b64 s[6:7], s[6:7], s[10:11]
	s_or_b64 exec, exec, s[8:9]
	v_mov_b32_e32 v10, 0
	s_and_saveexec_b64 s[8:9], s[6:7]
	s_cbranch_execnz .LBB176_2051
	s_branch .LBB176_2052
.LBB176_2344:
	s_andn2_saveexec_b64 s[10:11], s[10:11]
	s_cbranch_execz .LBB176_2156
.LBB176_2345:
	s_mov_b32 s18, 0x46000000
	v_add_f32_e64 v1, |v4|, s18
	v_and_b32_e32 v1, 0xff, v1
	v_cmp_ne_u32_e32 vcc, 0, v1
	s_mov_b64 s[18:19], s[8:9]
	s_and_saveexec_b64 s[20:21], vcc
; %bb.2346:
	s_or_b64 s[18:19], s[8:9], exec
; %bb.2347:
	s_or_b64 exec, exec, s[20:21]
	s_andn2_b64 s[8:9], s[8:9], exec
	s_and_b64 s[18:19], s[18:19], exec
	s_or_b64 s[8:9], s[8:9], s[18:19]
	s_or_b64 exec, exec, s[10:11]
	v_mov_b32_e32 v8, 0
	s_and_saveexec_b64 s[10:11], s[8:9]
	s_cbranch_execnz .LBB176_2157
	s_branch .LBB176_2158
.LBB176_2348:
	s_trap 2
	s_or_b64 s[16:17], s[16:17], exec
	s_cbranch_execz .LBB176_2204
	s_branch .LBB176_2205
.LBB176_2349:
	s_andn2_saveexec_b64 s[8:9], s[8:9]
	s_cbranch_execz .LBB176_2169
.LBB176_2350:
	s_mov_b32 s10, 0x42800000
	v_add_f32_e64 v1, |v4|, s10
	v_and_b32_e32 v1, 0xff, v1
	v_cmp_ne_u32_e32 vcc, 0, v1
	s_mov_b64 s[10:11], s[6:7]
	s_and_saveexec_b64 s[18:19], vcc
; %bb.2351:
	s_or_b64 s[10:11], s[6:7], exec
; %bb.2352:
	s_or_b64 exec, exec, s[18:19]
	s_andn2_b64 s[6:7], s[6:7], exec
	s_and_b64 s[10:11], s[10:11], exec
	s_or_b64 s[6:7], s[6:7], s[10:11]
	s_or_b64 exec, exec, s[8:9]
	v_mov_b32_e32 v8, 0
	s_and_saveexec_b64 s[8:9], s[6:7]
	s_cbranch_execnz .LBB176_2170
	s_branch .LBB176_2171
.LBB176_2353:
	s_andn2_saveexec_b64 s[8:9], s[8:9]
	s_cbranch_execz .LBB176_2276
.LBB176_2354:
	s_mov_b32 s10, 0x46000000
	v_add_f32_e64 v2, |v6|, s10
	v_and_b32_e32 v2, 0xff, v2
	v_cmp_ne_u32_e32 vcc, 0, v2
	s_mov_b64 s[10:11], s[6:7]
	s_and_saveexec_b64 s[18:19], vcc
; %bb.2355:
	s_or_b64 s[10:11], s[6:7], exec
; %bb.2356:
	s_or_b64 exec, exec, s[18:19]
	s_andn2_b64 s[6:7], s[6:7], exec
	s_and_b64 s[10:11], s[10:11], exec
	s_or_b64 s[6:7], s[6:7], s[10:11]
	s_or_b64 exec, exec, s[8:9]
	v_mov_b32_e32 v3, 0
	s_and_saveexec_b64 s[8:9], s[6:7]
	s_cbranch_execnz .LBB176_2277
	s_branch .LBB176_2278
.LBB176_2357:
	s_mov_b64 s[2:3], 0
	s_or_b64 s[16:17], s[16:17], exec
	s_trap 2
	s_branch .LBB176_2322
.LBB176_2358:
	s_andn2_saveexec_b64 s[6:7], s[6:7]
	s_cbranch_execz .LBB176_2288
.LBB176_2359:
	s_mov_b32 s8, 0x42800000
	v_add_f32_e64 v2, |v6|, s8
	v_and_b32_e32 v2, 0xff, v2
	v_cmp_ne_u32_e32 vcc, 0, v2
	s_mov_b64 s[8:9], s[4:5]
	s_and_saveexec_b64 s[10:11], vcc
; %bb.2360:
	s_or_b64 s[8:9], s[4:5], exec
; %bb.2361:
	s_or_b64 exec, exec, s[10:11]
	s_andn2_b64 s[4:5], s[4:5], exec
	s_and_b64 s[8:9], s[8:9], exec
	s_or_b64 s[4:5], s[4:5], s[8:9]
	s_or_b64 exec, exec, s[6:7]
	v_mov_b32_e32 v3, 0
	s_and_saveexec_b64 s[6:7], s[4:5]
	s_cbranch_execnz .LBB176_2289
	s_branch .LBB176_2290
	.section	.rodata,"a",@progbits
	.p2align	6, 0x0
	.amdhsa_kernel _ZN2at6native32elementwise_kernel_manual_unrollILi128ELi4EZNS0_15gpu_kernel_implIZZZNS0_17rsqrt_kernel_cudaERNS_18TensorIteratorBaseEENKUlvE_clEvENKUlvE0_clEvEUlN3c107complexIfEEE_EEvS4_RKT_EUlibE_EEviT1_
		.amdhsa_group_segment_fixed_size 0
		.amdhsa_private_segment_fixed_size 0
		.amdhsa_kernarg_size 40
		.amdhsa_user_sgpr_count 2
		.amdhsa_user_sgpr_dispatch_ptr 0
		.amdhsa_user_sgpr_queue_ptr 0
		.amdhsa_user_sgpr_kernarg_segment_ptr 1
		.amdhsa_user_sgpr_dispatch_id 0
		.amdhsa_user_sgpr_kernarg_preload_length 0
		.amdhsa_user_sgpr_kernarg_preload_offset 0
		.amdhsa_user_sgpr_private_segment_size 0
		.amdhsa_uses_dynamic_stack 0
		.amdhsa_enable_private_segment 0
		.amdhsa_system_sgpr_workgroup_id_x 1
		.amdhsa_system_sgpr_workgroup_id_y 0
		.amdhsa_system_sgpr_workgroup_id_z 0
		.amdhsa_system_sgpr_workgroup_info 0
		.amdhsa_system_vgpr_workitem_id 0
		.amdhsa_next_free_vgpr 16
		.amdhsa_next_free_sgpr 48
		.amdhsa_accum_offset 16
		.amdhsa_reserve_vcc 1
		.amdhsa_float_round_mode_32 0
		.amdhsa_float_round_mode_16_64 0
		.amdhsa_float_denorm_mode_32 3
		.amdhsa_float_denorm_mode_16_64 3
		.amdhsa_dx10_clamp 1
		.amdhsa_ieee_mode 1
		.amdhsa_fp16_overflow 0
		.amdhsa_tg_split 0
		.amdhsa_exception_fp_ieee_invalid_op 0
		.amdhsa_exception_fp_denorm_src 0
		.amdhsa_exception_fp_ieee_div_zero 0
		.amdhsa_exception_fp_ieee_overflow 0
		.amdhsa_exception_fp_ieee_underflow 0
		.amdhsa_exception_fp_ieee_inexact 0
		.amdhsa_exception_int_div_zero 0
	.end_amdhsa_kernel
	.section	.text._ZN2at6native32elementwise_kernel_manual_unrollILi128ELi4EZNS0_15gpu_kernel_implIZZZNS0_17rsqrt_kernel_cudaERNS_18TensorIteratorBaseEENKUlvE_clEvENKUlvE0_clEvEUlN3c107complexIfEEE_EEvS4_RKT_EUlibE_EEviT1_,"axG",@progbits,_ZN2at6native32elementwise_kernel_manual_unrollILi128ELi4EZNS0_15gpu_kernel_implIZZZNS0_17rsqrt_kernel_cudaERNS_18TensorIteratorBaseEENKUlvE_clEvENKUlvE0_clEvEUlN3c107complexIfEEE_EEvS4_RKT_EUlibE_EEviT1_,comdat
.Lfunc_end176:
	.size	_ZN2at6native32elementwise_kernel_manual_unrollILi128ELi4EZNS0_15gpu_kernel_implIZZZNS0_17rsqrt_kernel_cudaERNS_18TensorIteratorBaseEENKUlvE_clEvENKUlvE0_clEvEUlN3c107complexIfEEE_EEvS4_RKT_EUlibE_EEviT1_, .Lfunc_end176-_ZN2at6native32elementwise_kernel_manual_unrollILi128ELi4EZNS0_15gpu_kernel_implIZZZNS0_17rsqrt_kernel_cudaERNS_18TensorIteratorBaseEENKUlvE_clEvENKUlvE0_clEvEUlN3c107complexIfEEE_EEvS4_RKT_EUlibE_EEviT1_
                                        ; -- End function
	.set _ZN2at6native32elementwise_kernel_manual_unrollILi128ELi4EZNS0_15gpu_kernel_implIZZZNS0_17rsqrt_kernel_cudaERNS_18TensorIteratorBaseEENKUlvE_clEvENKUlvE0_clEvEUlN3c107complexIfEEE_EEvS4_RKT_EUlibE_EEviT1_.num_vgpr, 16
	.set _ZN2at6native32elementwise_kernel_manual_unrollILi128ELi4EZNS0_15gpu_kernel_implIZZZNS0_17rsqrt_kernel_cudaERNS_18TensorIteratorBaseEENKUlvE_clEvENKUlvE0_clEvEUlN3c107complexIfEEE_EEvS4_RKT_EUlibE_EEviT1_.num_agpr, 0
	.set _ZN2at6native32elementwise_kernel_manual_unrollILi128ELi4EZNS0_15gpu_kernel_implIZZZNS0_17rsqrt_kernel_cudaERNS_18TensorIteratorBaseEENKUlvE_clEvENKUlvE0_clEvEUlN3c107complexIfEEE_EEvS4_RKT_EUlibE_EEviT1_.numbered_sgpr, 48
	.set _ZN2at6native32elementwise_kernel_manual_unrollILi128ELi4EZNS0_15gpu_kernel_implIZZZNS0_17rsqrt_kernel_cudaERNS_18TensorIteratorBaseEENKUlvE_clEvENKUlvE0_clEvEUlN3c107complexIfEEE_EEvS4_RKT_EUlibE_EEviT1_.num_named_barrier, 0
	.set _ZN2at6native32elementwise_kernel_manual_unrollILi128ELi4EZNS0_15gpu_kernel_implIZZZNS0_17rsqrt_kernel_cudaERNS_18TensorIteratorBaseEENKUlvE_clEvENKUlvE0_clEvEUlN3c107complexIfEEE_EEvS4_RKT_EUlibE_EEviT1_.private_seg_size, 0
	.set _ZN2at6native32elementwise_kernel_manual_unrollILi128ELi4EZNS0_15gpu_kernel_implIZZZNS0_17rsqrt_kernel_cudaERNS_18TensorIteratorBaseEENKUlvE_clEvENKUlvE0_clEvEUlN3c107complexIfEEE_EEvS4_RKT_EUlibE_EEviT1_.uses_vcc, 1
	.set _ZN2at6native32elementwise_kernel_manual_unrollILi128ELi4EZNS0_15gpu_kernel_implIZZZNS0_17rsqrt_kernel_cudaERNS_18TensorIteratorBaseEENKUlvE_clEvENKUlvE0_clEvEUlN3c107complexIfEEE_EEvS4_RKT_EUlibE_EEviT1_.uses_flat_scratch, 0
	.set _ZN2at6native32elementwise_kernel_manual_unrollILi128ELi4EZNS0_15gpu_kernel_implIZZZNS0_17rsqrt_kernel_cudaERNS_18TensorIteratorBaseEENKUlvE_clEvENKUlvE0_clEvEUlN3c107complexIfEEE_EEvS4_RKT_EUlibE_EEviT1_.has_dyn_sized_stack, 0
	.set _ZN2at6native32elementwise_kernel_manual_unrollILi128ELi4EZNS0_15gpu_kernel_implIZZZNS0_17rsqrt_kernel_cudaERNS_18TensorIteratorBaseEENKUlvE_clEvENKUlvE0_clEvEUlN3c107complexIfEEE_EEvS4_RKT_EUlibE_EEviT1_.has_recursion, 0
	.set _ZN2at6native32elementwise_kernel_manual_unrollILi128ELi4EZNS0_15gpu_kernel_implIZZZNS0_17rsqrt_kernel_cudaERNS_18TensorIteratorBaseEENKUlvE_clEvENKUlvE0_clEvEUlN3c107complexIfEEE_EEvS4_RKT_EUlibE_EEviT1_.has_indirect_call, 0
	.section	.AMDGPU.csdata,"",@progbits
; Kernel info:
; codeLenInByte = 46792
; TotalNumSgprs: 54
; NumVgprs: 16
; NumAgprs: 0
; TotalNumVgprs: 16
; ScratchSize: 0
; MemoryBound: 1
; FloatMode: 240
; IeeeMode: 1
; LDSByteSize: 0 bytes/workgroup (compile time only)
; SGPRBlocks: 6
; VGPRBlocks: 1
; NumSGPRsForWavesPerEU: 54
; NumVGPRsForWavesPerEU: 16
; AccumOffset: 16
; Occupancy: 8
; WaveLimiterHint : 0
; COMPUTE_PGM_RSRC2:SCRATCH_EN: 0
; COMPUTE_PGM_RSRC2:USER_SGPR: 2
; COMPUTE_PGM_RSRC2:TRAP_HANDLER: 0
; COMPUTE_PGM_RSRC2:TGID_X_EN: 1
; COMPUTE_PGM_RSRC2:TGID_Y_EN: 0
; COMPUTE_PGM_RSRC2:TGID_Z_EN: 0
; COMPUTE_PGM_RSRC2:TIDIG_COMP_CNT: 0
; COMPUTE_PGM_RSRC3_GFX90A:ACCUM_OFFSET: 3
; COMPUTE_PGM_RSRC3_GFX90A:TG_SPLIT: 0
	.section	.text._ZN2at6native32elementwise_kernel_manual_unrollILi128ELi4EZNS0_15gpu_kernel_implIZZZNS0_17rsqrt_kernel_cudaERNS_18TensorIteratorBaseEENKUlvE_clEvENKUlvE0_clEvEUlN3c107complexIfEEE_EEvS4_RKT_EUlibE0_EEviT1_,"axG",@progbits,_ZN2at6native32elementwise_kernel_manual_unrollILi128ELi4EZNS0_15gpu_kernel_implIZZZNS0_17rsqrt_kernel_cudaERNS_18TensorIteratorBaseEENKUlvE_clEvENKUlvE0_clEvEUlN3c107complexIfEEE_EEvS4_RKT_EUlibE0_EEviT1_,comdat
	.globl	_ZN2at6native32elementwise_kernel_manual_unrollILi128ELi4EZNS0_15gpu_kernel_implIZZZNS0_17rsqrt_kernel_cudaERNS_18TensorIteratorBaseEENKUlvE_clEvENKUlvE0_clEvEUlN3c107complexIfEEE_EEvS4_RKT_EUlibE0_EEviT1_ ; -- Begin function _ZN2at6native32elementwise_kernel_manual_unrollILi128ELi4EZNS0_15gpu_kernel_implIZZZNS0_17rsqrt_kernel_cudaERNS_18TensorIteratorBaseEENKUlvE_clEvENKUlvE0_clEvEUlN3c107complexIfEEE_EEvS4_RKT_EUlibE0_EEviT1_
	.p2align	8
	.type	_ZN2at6native32elementwise_kernel_manual_unrollILi128ELi4EZNS0_15gpu_kernel_implIZZZNS0_17rsqrt_kernel_cudaERNS_18TensorIteratorBaseEENKUlvE_clEvENKUlvE0_clEvEUlN3c107complexIfEEE_EEvS4_RKT_EUlibE0_EEviT1_,@function
_ZN2at6native32elementwise_kernel_manual_unrollILi128ELi4EZNS0_15gpu_kernel_implIZZZNS0_17rsqrt_kernel_cudaERNS_18TensorIteratorBaseEENKUlvE_clEvENKUlvE0_clEvEUlN3c107complexIfEEE_EEvS4_RKT_EUlibE0_EEviT1_: ; @_ZN2at6native32elementwise_kernel_manual_unrollILi128ELi4EZNS0_15gpu_kernel_implIZZZNS0_17rsqrt_kernel_cudaERNS_18TensorIteratorBaseEENKUlvE_clEvENKUlvE0_clEvEUlN3c107complexIfEEE_EEvS4_RKT_EUlibE0_EEviT1_
; %bb.0:
	s_load_dword s70, s[0:1], 0x0
	s_load_dword s33, s[0:1], 0x8
	s_add_u32 s34, s0, 8
	s_addc_u32 s35, s1, 0
	v_lshl_or_b32 v14, s2, 9, v0
	v_or_b32_e32 v16, 0x180, v14
	s_waitcnt lgkmcnt(0)
	s_add_i32 s72, s33, -1
	s_cmp_gt_u32 s72, 1
	v_cmp_le_i32_e32 vcc, s70, v16
	s_cselect_b64 s[42:43], -1, 0
	s_mov_b64 s[40:41], 0
	s_mov_b64 s[24:25], 0
	s_and_saveexec_b64 s[2:3], vcc
	s_xor_b64 s[44:45], exec, s[2:3]
	s_cbranch_execz .LBB177_1242
; %bb.1:
	v_mov_b32_e32 v0, 0
	global_load_ushort v0, v0, s[34:35] offset:345
	s_load_dwordx4 s[28:31], s[34:35], 0x4
	s_load_dwordx2 s[46:47], s[34:35], 0x14
	s_load_dwordx4 s[24:27], s[34:35], 0xc4
	s_load_dwordx4 s[20:23], s[34:35], 0x148
	s_cmp_lg_u32 s33, 0
	s_cselect_b64 s[52:53], -1, 0
	s_add_u32 s50, s34, 0xc4
	s_addc_u32 s51, s35, 0
	s_min_u32 s75, s72, 15
	s_cmp_gt_u32 s33, 1
	s_cselect_b64 s[48:49], -1, 0
	v_cmp_gt_i32_e32 vcc, s70, v14
	s_mov_b64 s[4:5], -1
	s_mov_b64 s[62:63], 0
	s_mov_b64 s[56:57], 0
	;; [unrolled: 1-line block ×3, first 2 shown]
	s_waitcnt vmcnt(0)
	v_readfirstlane_b32 s73, v0
	s_and_b32 s2, 0xffff, s73
	s_lshr_b32 s74, s2, 8
	s_and_saveexec_b64 s[58:59], vcc
	s_cbranch_execz .LBB177_305
; %bb.2:
	s_andn2_b64 vcc, exec, s[42:43]
	s_cbranch_vccnz .LBB177_8
; %bb.3:
	s_andn2_b64 vcc, exec, s[52:53]
	s_cbranch_vccnz .LBB177_9
; %bb.4:
	s_add_i32 s57, s75, 1
	s_cmp_eq_u32 s72, 2
	s_cbranch_scc1 .LBB177_10
; %bb.5:
	s_and_b32 s56, s57, 28
	s_mov_b32 s60, 0
	v_mov_b32_e32 v0, 0
	v_mov_b32_e32 v2, 0
	s_mov_b64 s[2:3], s[34:35]
	s_mov_b64 s[54:55], s[50:51]
	v_mov_b32_e32 v4, v14
.LBB177_6:                              ; =>This Inner Loop Header: Depth=1
	s_load_dwordx8 s[12:19], s[2:3], 0x4
	s_load_dwordx4 s[36:39], s[2:3], 0x24
	s_load_dwordx8 s[4:11], s[54:55], 0x0
	s_add_u32 s2, s2, 48
	s_addc_u32 s3, s3, 0
	s_waitcnt lgkmcnt(0)
	v_mul_hi_u32 v1, s13, v4
	v_add_u32_e32 v1, v4, v1
	v_lshrrev_b32_e32 v1, s14, v1
	v_mul_lo_u32 v3, v1, s12
	v_mul_hi_u32 v5, s16, v1
	v_sub_u32_e32 v3, v4, v3
	v_add_u32_e32 v4, v1, v5
	v_lshrrev_b32_e32 v4, s17, v4
	v_mul_lo_u32 v6, v4, s15
	v_mul_hi_u32 v7, s19, v4
	v_sub_u32_e32 v1, v1, v6
	v_add_u32_e32 v6, v4, v7
	v_mul_lo_u32 v5, v3, s5
	v_mul_lo_u32 v3, v3, s4
	v_mul_lo_u32 v7, v1, s7
	v_mul_lo_u32 v1, v1, s6
	v_lshrrev_b32_e32 v6, s36, v6
	v_add3_u32 v0, v3, v0, v1
	v_mul_hi_u32 v3, s38, v6
	v_add3_u32 v1, v5, v2, v7
	v_mul_lo_u32 v2, v6, s18
	v_add_u32_e32 v3, v6, v3
	v_sub_u32_e32 v2, v4, v2
	v_lshrrev_b32_e32 v4, s39, v3
	s_add_i32 s60, s60, 4
	v_mul_lo_u32 v3, v4, s37
	s_add_u32 s54, s54, 32
	v_sub_u32_e32 v3, v6, v3
	s_addc_u32 s55, s55, 0
	v_mul_lo_u32 v5, v2, s8
	v_mul_lo_u32 v2, v2, s9
	;; [unrolled: 1-line block ×4, first 2 shown]
	s_cmp_lg_u32 s56, s60
	v_add3_u32 v2, v2, v1, v3
	v_add3_u32 v0, v5, v0, v6
	s_cbranch_scc1 .LBB177_6
; %bb.7:
	v_mov_b32_e32 v1, v2
	s_branch .LBB177_11
.LBB177_8:
                                        ; implicit-def: $vgpr2
                                        ; implicit-def: $vgpr0
	s_branch .LBB177_15
.LBB177_9:
	v_mov_b32_e32 v2, 0
	v_mov_b32_e32 v0, 0
	s_branch .LBB177_14
.LBB177_10:
	v_mov_b32_e32 v0, 0
	s_mov_b32 s56, 0
	v_mov_b32_e32 v1, v0
                                        ; implicit-def: $vgpr2
	v_mov_b32_e32 v4, v14
.LBB177_11:
	s_and_b32 s6, s57, 3
	s_cmp_eq_u32 s6, 0
	s_cbranch_scc1 .LBB177_14
; %bb.12:
	s_lshl_b32 s2, s56, 3
	s_add_u32 s2, s34, s2
	s_addc_u32 s3, s35, 0
	s_add_u32 s2, s2, 0xc4
	s_addc_u32 s3, s3, 0
	s_mul_i32 s4, s56, 12
	s_add_u32 s4, s34, s4
	s_addc_u32 s5, s35, 0
.LBB177_13:                             ; =>This Inner Loop Header: Depth=1
	s_load_dwordx2 s[8:9], s[4:5], 0x4
	s_load_dword s7, s[4:5], 0xc
	s_load_dwordx2 s[10:11], s[2:3], 0x0
	v_mov_b32_e32 v2, v1
	s_add_u32 s4, s4, 12
	s_waitcnt lgkmcnt(0)
	v_mul_hi_u32 v1, s9, v4
	v_add_u32_e32 v1, v4, v1
	v_lshrrev_b32_e32 v1, s7, v1
	s_addc_u32 s5, s5, 0
	v_mul_lo_u32 v3, v1, s8
	s_add_u32 s2, s2, 8
	v_sub_u32_e32 v5, v4, v3
	s_addc_u32 s3, s3, 0
	s_add_i32 s6, s6, -1
	v_mov_b32_e32 v4, v1
	v_mad_u64_u32 v[2:3], s[8:9], v5, s11, v[2:3]
	v_mad_u64_u32 v[0:1], s[8:9], v5, s10, v[0:1]
	s_cmp_lg_u32 s6, 0
	v_mov_b32_e32 v1, v2
	s_cbranch_scc1 .LBB177_13
.LBB177_14:
	s_cbranch_execnz .LBB177_17
.LBB177_15:
	s_waitcnt lgkmcnt(0)
	v_mul_hi_u32 v0, s29, v14
	v_add_u32_e32 v0, v14, v0
	v_lshrrev_b32_e32 v1, s30, v0
	v_mul_lo_u32 v0, v1, s28
	v_sub_u32_e32 v0, v14, v0
	v_mul_lo_u32 v2, v0, s25
	s_andn2_b64 vcc, exec, s[48:49]
	v_mul_lo_u32 v0, v0, s24
	s_cbranch_vccnz .LBB177_17
; %bb.16:
	v_mul_hi_u32 v3, s46, v1
	v_add_u32_e32 v3, v1, v3
	v_lshrrev_b32_e32 v3, s47, v3
	v_mul_lo_u32 v3, v3, s31
	v_sub_u32_e32 v3, v1, v3
	v_mad_u64_u32 v[0:1], s[2:3], v3, s26, v[0:1]
	v_mad_u64_u32 v[2:3], s[2:3], v3, s27, v[2:3]
.LBB177_17:
	v_mov_b32_e32 v3, 0
	s_and_b32 s10, 0xffff, s74
	s_cmp_lt_i32 s10, 11
	s_waitcnt lgkmcnt(0)
	v_lshl_add_u64 v[4:5], s[22:23], 0, v[2:3]
	s_cbranch_scc1 .LBB177_24
; %bb.18:
	s_cmp_gt_i32 s10, 25
	s_cbranch_scc0 .LBB177_38
; %bb.19:
	s_cmp_gt_i32 s10, 28
	s_cbranch_scc0 .LBB177_39
; %bb.20:
	s_cmp_gt_i32 s10, 43
	s_cbranch_scc0 .LBB177_40
; %bb.21:
	s_cmp_gt_i32 s10, 45
	s_cbranch_scc0 .LBB177_41
; %bb.22:
	s_cmp_eq_u32 s10, 46
	s_mov_b64 s[4:5], 0
	s_cbranch_scc0 .LBB177_80
; %bb.23:
	global_load_dword v1, v[4:5], off
	s_mov_b64 s[2:3], -1
	s_mov_b64 s[6:7], 0
	s_waitcnt vmcnt(0)
	v_and_b32_e32 v3, 0xffff0000, v1
	v_lshlrev_b32_e32 v2, 16, v1
	s_branch .LBB177_82
.LBB177_24:
	s_mov_b64 s[6:7], 0
                                        ; implicit-def: $vgpr2_vgpr3
	s_mov_b64 s[2:3], 0
	s_cbranch_execnz .LBB177_255
.LBB177_25:
	s_andn2_b64 vcc, exec, s[2:3]
	s_cbranch_vccnz .LBB177_302
.LBB177_26:
	s_waitcnt vmcnt(0)
	v_cmp_neq_f32_e32 vcc, 0, v2
	v_cmp_neq_f32_e64 s[2:3], 0, v3
	v_mov_b32_e32 v1, 0
	s_or_b64 s[2:3], vcc, s[2:3]
	s_and_saveexec_b64 s[8:9], s[2:3]
	s_cbranch_execz .LBB177_60
; %bb.27:
	v_mov_b32_e32 v1, 0x7f800000
	v_cmp_neq_f32_e64 s[2:3], |v3|, v1
	s_and_saveexec_b64 s[10:11], s[2:3]
	s_cbranch_execz .LBB177_59
; %bb.28:
	v_cmp_o_f32_e32 vcc, v2, v2
                                        ; implicit-def: $vgpr1
	s_and_saveexec_b64 s[2:3], vcc
	s_xor_b64 s[12:13], exec, s[2:3]
	s_cbranch_execz .LBB177_56
; %bb.29:
	s_mov_b32 s2, 0x7f800000
	v_cmp_neq_f32_e64 s[2:3], |v2|, s2
                                        ; implicit-def: $vgpr1
	s_and_saveexec_b64 s[4:5], s[2:3]
	s_xor_b64 s[14:15], exec, s[4:5]
	s_cbranch_execz .LBB177_49
; %bb.30:
	v_max_f32_e64 v1, |v3|, |v3|
	v_max_f32_e64 v4, |v2|, |v2|
	v_max_f32_e32 v1, v4, v1
	s_mov_b32 s2, 0x7ed413cb
	v_cmp_nle_f32_e64 s[2:3], s2, v1
                                        ; implicit-def: $sgpr16_sgpr17
	s_and_saveexec_b64 s[4:5], s[2:3]
	s_xor_b64 s[4:5], exec, s[4:5]
	s_cbranch_execz .LBB177_34
; %bb.31:
	s_mov_b32 s18, 0x1000000
	v_cmp_le_f32_e64 s[16:17], |v2|, s18
	v_cmp_le_f32_e64 s[18:19], |v3|, s18
	s_and_b64 s[36:37], s[16:17], s[18:19]
	s_mov_b64 s[16:17], 0
	s_and_saveexec_b64 s[18:19], s[36:37]
; %bb.32:
	s_mov_b64 s[16:17], exec
	v_pk_mul_f32 v[2:3], v[2:3], 4.0 op_sel_hi:[1,0]
; %bb.33:
	s_or_b64 exec, exec, s[18:19]
.LBB177_34:
	s_andn2_saveexec_b64 s[4:5], s[4:5]
; %bb.35:
	s_mov_b32 s18, 0x3e800000
	v_pk_mul_f32 v[2:3], v[2:3], s[18:19] op_sel_hi:[1,0]
	s_andn2_b64 s[16:17], s[16:17], exec
; %bb.36:
	s_or_b64 exec, exec, s[4:5]
	v_max_f32_e64 v1, |v3|, |v3|
	v_max_f32_e64 v4, |v2|, |v2|
	v_max_f32_e32 v1, v4, v1
	v_cvt_f64_f32_e32 v[4:5], v1
	v_frexp_exp_i32_f64_e32 v4, v[4:5]
	v_sub_u32_e32 v5, 0, v4
	v_ldexp_f32 v6, |v2|, v5
	v_ldexp_f32 v5, |v3|, v5
	v_mul_f32_e32 v5, v5, v5
	v_fmac_f32_e32 v5, v6, v6
	v_sqrt_f32_e32 v5, v5
	s_mov_b32 s4, 0x7f800000
	v_cmp_neq_f32_e64 s[4:5], s4, v1
	v_cmp_le_f32_e32 vcc, 0, v2
	v_ldexp_f32 v4, v5, v4
	v_mov_b32_e32 v5, 0x7f800000
	v_cndmask_b32_e64 v1, v5, v4, s[4:5]
                                        ; implicit-def: $vgpr4_vgpr5
	s_and_saveexec_b64 s[4:5], vcc
	s_xor_b64 s[18:19], exec, s[4:5]
	s_cbranch_execz .LBB177_42
; %bb.37:
	v_add_f32_e32 v1, v2, v1
	v_mul_f32_e32 v1, 0.5, v1
	s_mov_b32 s4, 0xf800000
	v_mul_f32_e32 v2, 0x4f800000, v1
	v_cmp_gt_f32_e32 vcc, s4, v1
	s_nop 1
	v_cndmask_b32_e32 v1, v1, v2, vcc
	v_sqrt_f32_e32 v2, v1
	s_nop 0
	v_add_u32_e32 v4, -1, v2
	v_fma_f32 v5, -v4, v2, v1
	v_cmp_ge_f32_e64 s[4:5], 0, v5
	v_add_u32_e32 v5, 1, v2
	s_nop 0
	v_cndmask_b32_e64 v4, v2, v4, s[4:5]
	v_fma_f32 v2, -v5, v2, v1
	v_cmp_lt_f32_e64 s[4:5], 0, v2
	s_nop 1
	v_cndmask_b32_e64 v2, v4, v5, s[4:5]
	v_mul_f32_e32 v4, 0x37800000, v2
	v_cndmask_b32_e32 v2, v2, v4, vcc
	v_mov_b32_e32 v4, 0x260
	v_cmp_class_f32_e32 vcc, v1, v4
	s_nop 1
	v_cndmask_b32_e32 v4, v2, v1, vcc
	v_add_f32_e32 v1, v4, v4
	v_div_scale_f32 v2, s[4:5], v1, v1, v3
	v_rcp_f32_e32 v5, v2
	s_nop 0
	v_fma_f32 v6, -v2, v5, 1.0
	v_fmac_f32_e32 v5, v6, v5
	v_div_scale_f32 v6, vcc, v3, v1, v3
	v_mul_f32_e32 v7, v6, v5
	v_fma_f32 v8, -v2, v7, v6
	v_fmac_f32_e32 v7, v8, v5
	v_fma_f32 v2, -v2, v7, v6
	v_div_fmas_f32 v2, v2, v5, v7
	v_div_fixup_f32 v5, v2, v1, v3
                                        ; implicit-def: $vgpr1
                                        ; implicit-def: $vgpr2_vgpr3
	s_andn2_saveexec_b64 s[18:19], s[18:19]
	s_cbranch_execz .LBB177_44
	s_branch .LBB177_43
.LBB177_38:
	s_mov_b64 s[6:7], 0
	s_mov_b64 s[2:3], 0
                                        ; implicit-def: $vgpr2_vgpr3
	s_cbranch_execnz .LBB177_222
	s_branch .LBB177_254
.LBB177_39:
	s_mov_b64 s[4:5], -1
	s_mov_b64 s[6:7], 0
	s_mov_b64 s[2:3], 0
                                        ; implicit-def: $vgpr2_vgpr3
	s_branch .LBB177_201
.LBB177_40:
	s_mov_b64 s[4:5], -1
	s_mov_b64 s[6:7], 0
	s_mov_b64 s[2:3], 0
                                        ; implicit-def: $vgpr2_vgpr3
	s_branch .LBB177_196
.LBB177_41:
	s_mov_b64 s[4:5], -1
	s_mov_b64 s[6:7], 0
	s_branch .LBB177_81
.LBB177_42:
	s_andn2_saveexec_b64 s[18:19], s[18:19]
	s_cbranch_execz .LBB177_44
.LBB177_43:
	v_sub_f32_e32 v1, v1, v2
	v_mul_f32_e32 v1, 0.5, v1
	s_mov_b32 s4, 0xf800000
	v_mul_f32_e32 v2, 0x4f800000, v1
	v_cmp_gt_f32_e32 vcc, s4, v1
	s_nop 1
	v_cndmask_b32_e32 v1, v1, v2, vcc
	v_sqrt_f32_e32 v2, v1
	s_nop 0
	v_add_u32_e32 v4, -1, v2
	v_fma_f32 v5, -v4, v2, v1
	v_cmp_ge_f32_e64 s[4:5], 0, v5
	v_add_u32_e32 v5, 1, v2
	s_nop 0
	v_cndmask_b32_e64 v4, v2, v4, s[4:5]
	v_fma_f32 v2, -v5, v2, v1
	v_cmp_lt_f32_e64 s[4:5], 0, v2
	s_nop 1
	v_cndmask_b32_e64 v2, v4, v5, s[4:5]
	v_mul_f32_e32 v4, 0x37800000, v2
	v_cndmask_b32_e32 v2, v2, v4, vcc
	v_mov_b32_e32 v4, 0x260
	v_cmp_class_f32_e32 vcc, v1, v4
	v_and_b32_e32 v4, 0x7fffffff, v3
	s_nop 0
	v_cndmask_b32_e32 v1, v2, v1, vcc
	v_add_f32_e32 v2, v1, v1
	v_div_scale_f32 v5, s[4:5], v2, v2, v4
	v_rcp_f32_e32 v6, v5
	v_div_scale_f32 v4, vcc, v4, v2, v4
	s_brev_b32 s4, -2
	v_fma_f32 v7, -v5, v6, 1.0
	v_fmac_f32_e32 v6, v7, v6
	v_mul_f32_e32 v7, v4, v6
	v_fma_f32 v8, -v5, v7, v4
	v_fmac_f32_e32 v7, v8, v6
	v_fma_f32 v4, -v5, v7, v4
	v_div_fmas_f32 v4, v4, v6, v7
	v_div_fixup_f32 v4, v4, v2, |v3|
	v_bfi_b32 v5, s4, v1, v3
.LBB177_44:
	s_or_b64 exec, exec, s[18:19]
                                        ; implicit-def: $vgpr3
                                        ; implicit-def: $vgpr1
	s_and_saveexec_b64 s[4:5], s[2:3]
	s_xor_b64 s[2:3], exec, s[4:5]
	s_cbranch_execz .LBB177_46
; %bb.45:
	v_pk_mul_f32 v[2:3], v[4:5], 0.5 op_sel_hi:[1,0]
	s_nop 0
	v_cndmask_b32_e64 v1, v4, v2, s[16:17]
	v_cndmask_b32_e64 v3, v5, v3, s[16:17]
                                        ; implicit-def: $vgpr4_vgpr5
	s_andn2_saveexec_b64 s[2:3], s[2:3]
	s_cbranch_execnz .LBB177_47
	s_branch .LBB177_48
.LBB177_46:
	s_andn2_saveexec_b64 s[2:3], s[2:3]
.LBB177_47:
	v_pk_add_f32 v[2:3], v[4:5], v[4:5]
	s_nop 0
	v_mov_b32_e32 v1, v2
.LBB177_48:
	s_or_b64 exec, exec, s[2:3]
.LBB177_49:
	s_andn2_saveexec_b64 s[2:3], s[14:15]
	s_cbranch_execz .LBB177_55
; %bb.50:
	v_sub_f32_e32 v4, v3, v3
	v_cmp_lt_i32_e32 vcc, -1, v2
	s_brev_b32 s14, -2
	v_and_b32_e32 v1, 0x7fffffff, v4
	s_and_saveexec_b64 s[4:5], vcc
	s_xor_b64 s[4:5], exec, s[4:5]
; %bb.51:
	v_bfi_b32 v3, s14, v4, v3
	v_mov_b32_e32 v1, v2
; %bb.52:
	s_andn2_saveexec_b64 s[4:5], s[4:5]
; %bb.53:
	v_bfi_b32 v3, s14, v2, v3
; %bb.54:
	s_or_b64 exec, exec, s[4:5]
.LBB177_55:
	s_or_b64 exec, exec, s[2:3]
.LBB177_56:
	s_andn2_saveexec_b64 s[2:3], s[12:13]
	s_cbranch_execz .LBB177_58
; %bb.57:
	v_sub_f32_e32 v1, v3, v3
	v_div_scale_f32 v3, vcc, v1, v1, v1
	v_rcp_f32_e32 v4, v3
	s_nop 0
	v_fma_f32 v5, -v3, v4, 1.0
	v_fmac_f32_e32 v4, v5, v4
	v_mul_f32_e32 v5, v3, v4
	v_fma_f32 v6, -v3, v5, v3
	v_fmac_f32_e32 v5, v6, v4
	v_fma_f32 v3, -v3, v5, v3
	v_div_fmas_f32 v3, v3, v4, v5
	v_div_fixup_f32 v3, v3, v1, v1
	v_mov_b32_e32 v1, v2
.LBB177_58:
	s_or_b64 exec, exec, s[2:3]
.LBB177_59:
	s_or_b64 exec, exec, s[10:11]
.LBB177_60:
	s_or_b64 exec, exec, s[8:9]
	v_cmp_gt_f32_e32 vcc, 0, v3
                                        ; implicit-def: $vgpr4_vgpr5
	s_nop 1
	v_cndmask_b32_e64 v6, v3, -v3, vcc
	v_cmp_gt_f32_e32 vcc, 0, v1
	s_nop 1
	v_cndmask_b32_e64 v2, v1, -v1, vcc
	v_cmp_ge_f32_e32 vcc, v2, v6
	s_and_saveexec_b64 s[2:3], vcc
	s_xor_b64 s[4:5], exec, s[2:3]
	s_cbranch_execz .LBB177_66
; %bb.61:
	v_cmp_neq_f32_e32 vcc, 0, v1
	v_cmp_neq_f32_e64 s[2:3], 0, v3
	s_or_b64 s[2:3], vcc, s[2:3]
                                        ; implicit-def: $vgpr4_vgpr5
	s_and_saveexec_b64 s[8:9], s[2:3]
	s_xor_b64 s[2:3], exec, s[8:9]
	s_cbranch_execz .LBB177_63
; %bb.62:
	v_div_scale_f32 v2, s[8:9], v1, v1, v3
	v_rcp_f32_e32 v4, v2
	v_div_scale_f32 v5, vcc, v3, v1, v3
	v_fma_f32 v6, -v2, v4, 1.0
	v_fmac_f32_e32 v4, v6, v4
	v_mul_f32_e32 v6, v5, v4
	v_fma_f32 v7, -v2, v6, v5
	v_fmac_f32_e32 v6, v7, v4
	v_fma_f32 v2, -v2, v6, v5
	v_div_fmas_f32 v2, v2, v4, v6
	v_div_fixup_f32 v5, v2, v1, v3
	v_fmac_f32_e32 v1, v3, v5
	v_div_scale_f32 v2, s[8:9], v1, v1, 1.0
	v_rcp_f32_e32 v3, v2
	s_nop 0
	v_fma_f32 v4, -v2, v3, 1.0
	v_fmac_f32_e32 v3, v4, v3
	v_div_scale_f32 v4, vcc, 1.0, v1, 1.0
	v_mul_f32_e32 v6, v4, v3
	v_fma_f32 v7, -v2, v6, v4
	v_fmac_f32_e32 v6, v7, v3
	v_fma_f32 v2, -v2, v6, v4
	v_div_fmas_f32 v2, v2, v3, v6
	v_div_fixup_f32 v2, v2, v1, 1.0
	v_mul_f32_e32 v1, 0, v5
	v_add_f32_e32 v4, 1.0, v1
	v_sub_f32_e32 v5, 0, v5
	v_pk_mul_f32 v[4:5], v[4:5], v[2:3] op_sel_hi:[1,0]
                                        ; implicit-def: $vgpr6
                                        ; implicit-def: $vgpr2
.LBB177_63:
	s_andn2_saveexec_b64 s[2:3], s[2:3]
	s_cbranch_execz .LBB177_65
; %bb.64:
	v_div_scale_f32 v1, s[8:9], v6, v6, 0
	v_rcp_f32_e32 v3, v1
	v_div_scale_f32 v4, vcc, 0, v6, 0
	v_fma_f32 v5, -v1, v3, 1.0
	v_fmac_f32_e32 v3, v5, v3
	v_mul_f32_e32 v5, v4, v3
	v_fma_f32 v7, -v1, v5, v4
	v_fmac_f32_e32 v5, v7, v3
	v_fma_f32 v1, -v1, v5, v4
	v_div_scale_f32 v4, s[8:9], v2, v2, 1.0
	v_rcp_f32_e32 v7, v4
	v_div_fmas_f32 v1, v1, v3, v5
	v_div_fixup_f32 v5, v1, v6, 0
	v_fma_f32 v1, -v4, v7, 1.0
	v_fmac_f32_e32 v7, v1, v7
	v_div_scale_f32 v1, vcc, 1.0, v2, 1.0
	v_mul_f32_e32 v3, v1, v7
	v_fma_f32 v6, -v4, v3, v1
	v_fmac_f32_e32 v3, v6, v7
	v_fma_f32 v1, -v4, v3, v1
	v_div_fmas_f32 v1, v1, v7, v3
	v_div_fixup_f32 v4, v1, v2, 1.0
.LBB177_65:
	s_or_b64 exec, exec, s[2:3]
                                        ; implicit-def: $vgpr3
                                        ; implicit-def: $vgpr1
.LBB177_66:
	s_andn2_saveexec_b64 s[2:3], s[4:5]
	s_cbranch_execz .LBB177_68
; %bb.67:
	v_div_scale_f32 v2, s[4:5], v3, v3, v1
	v_rcp_f32_e32 v4, v2
	v_div_scale_f32 v5, vcc, v1, v3, v1
	v_fma_f32 v6, -v2, v4, 1.0
	v_fmac_f32_e32 v4, v6, v4
	v_mul_f32_e32 v6, v5, v4
	v_fma_f32 v7, -v2, v6, v5
	v_fmac_f32_e32 v6, v7, v4
	v_fma_f32 v2, -v2, v6, v5
	v_div_fmas_f32 v2, v2, v4, v6
	v_div_fixup_f32 v2, v2, v3, v1
	v_fmac_f32_e32 v3, v1, v2
	v_div_scale_f32 v1, s[4:5], v3, v3, 1.0
	v_rcp_f32_e32 v4, v1
	s_mov_b32 s4, 0
	s_mov_b32 s5, -1.0
	v_fma_f32 v5, -v1, v4, 1.0
	v_fmac_f32_e32 v4, v5, v4
	v_div_scale_f32 v5, vcc, 1.0, v3, 1.0
	v_mul_f32_e32 v6, v5, v4
	v_fma_f32 v7, -v1, v6, v5
	v_fmac_f32_e32 v6, v7, v4
	v_fma_f32 v1, -v1, v6, v5
	v_div_fmas_f32 v1, v1, v4, v6
	v_div_fixup_f32 v4, v1, v3, 1.0
	v_mul_f32_e32 v3, 0, v2
	v_pk_add_f32 v[2:3], v[2:3], s[4:5]
	s_nop 0
	v_pk_mul_f32 v[4:5], v[2:3], v[4:5] op_sel_hi:[1,0]
.LBB177_68:
	s_or_b64 exec, exec, s[2:3]
	v_mov_b32_e32 v1, 0
	s_and_b32 s12, s73, 0xff
	s_cmp_lt_i32 s12, 11
	v_lshl_add_u64 v[0:1], s[20:21], 0, v[0:1]
	s_cbranch_scc1 .LBB177_75
; %bb.69:
	s_and_b32 s13, 0xffff, s12
	s_cmp_gt_i32 s13, 25
	s_cbranch_scc0 .LBB177_77
; %bb.70:
	s_cmp_gt_i32 s13, 28
	s_cbranch_scc0 .LBB177_78
; %bb.71:
	;; [unrolled: 3-line block ×4, first 2 shown]
	s_mov_b64 s[8:9], 0
	s_mov_b64 s[2:3], -1
	s_cmp_eq_u32 s13, 46
	s_mov_b64 s[4:5], 0
	s_cbranch_scc0 .LBB177_86
; %bb.74:
	s_movk_i32 s2, 0x7fff
	v_bfe_u32 v3, v5, 16, 1
	v_add3_u32 v3, v5, v3, s2
	v_bfe_u32 v2, v4, 16, 1
	v_and_b32_e32 v3, 0xffff0000, v3
	v_mov_b32_e32 v6, 0x7fc00000
	v_cmp_o_f32_e32 vcc, v5, v5
	v_add3_u32 v2, v4, v2, s2
	s_mov_b64 s[4:5], -1
	v_cndmask_b32_e32 v3, v6, v3, vcc
	v_cmp_o_f32_e32 vcc, v4, v4
	v_mov_b32_e32 v6, 0x7fc0
	s_mov_b64 s[2:3], 0
	v_cndmask_b32_sdwa v2, v6, v2, vcc dst_sel:DWORD dst_unused:UNUSED_PAD src0_sel:DWORD src1_sel:WORD_1
	v_or_b32_e32 v2, v3, v2
	global_store_dword v[0:1], v2, off
	s_branch .LBB177_86
.LBB177_75:
	s_mov_b64 s[2:3], 0
	s_mov_b64 s[4:5], 0
	s_cbranch_execnz .LBB177_155
.LBB177_76:
	s_andn2_b64 vcc, exec, s[4:5]
	s_cbranch_vccnz .LBB177_303
	s_branch .LBB177_193
.LBB177_77:
	s_mov_b64 s[8:9], -1
	s_mov_b64 s[2:3], 0
	s_mov_b64 s[4:5], 0
	s_branch .LBB177_113
.LBB177_78:
	s_mov_b64 s[8:9], -1
	s_mov_b64 s[2:3], 0
	s_mov_b64 s[4:5], 0
	s_branch .LBB177_96
.LBB177_79:
	s_mov_b64 s[8:9], -1
	s_mov_b64 s[2:3], 0
	s_mov_b64 s[4:5], 0
	s_branch .LBB177_92
.LBB177_80:
	s_mov_b64 s[6:7], -1
.LBB177_81:
	s_mov_b64 s[2:3], 0
                                        ; implicit-def: $vgpr2_vgpr3
.LBB177_82:
	s_and_b64 vcc, exec, s[4:5]
	s_cbranch_vccz .LBB177_195
; %bb.83:
	s_cmp_eq_u32 s10, 44
	s_cbranch_scc0 .LBB177_194
; %bb.84:
	global_load_ubyte v1, v[4:5], off
	s_movk_i32 s4, 0xff
	v_mov_b32_e32 v2, 0x7f800001
	v_mov_b32_e32 v6, 0x400000
	;; [unrolled: 1-line block ×3, first 2 shown]
	s_mov_b64 s[2:3], -1
	s_mov_b64 s[6:7], 0
	s_waitcnt vmcnt(0)
	v_lshlrev_b32_e32 v7, 23, v1
	v_cmp_ne_u32_e32 vcc, s4, v1
	s_nop 1
	v_cndmask_b32_e32 v2, v2, v7, vcc
	v_cmp_ne_u32_e32 vcc, 0, v1
	s_nop 1
	v_cndmask_b32_e32 v2, v6, v2, vcc
	s_branch .LBB177_195
.LBB177_85:
	s_mov_b64 s[8:9], -1
	s_mov_b64 s[2:3], 0
	s_mov_b64 s[4:5], 0
.LBB177_86:
	s_and_b64 vcc, exec, s[8:9]
	s_cbranch_vccz .LBB177_91
; %bb.87:
	s_cmp_eq_u32 s13, 44
	s_mov_b64 s[2:3], -1
	s_cbranch_scc0 .LBB177_91
; %bb.88:
	v_bfe_u32 v2, v4, 23, 8
	s_movk_i32 s2, 0xff
	v_cmp_ne_u32_e32 vcc, s2, v2
	v_mov_b32_e32 v3, 0xff
	s_and_saveexec_b64 s[4:5], vcc
; %bb.89:
	s_mov_b32 s2, 0x3fffff
	v_and_b32_e32 v6, 0x400000, v4
	v_and_or_b32 v2, v4, s2, v2
	v_cmp_ne_u32_e32 vcc, 0, v6
	v_cmp_ne_u32_e64 s[2:3], 0, v2
	s_and_b64 s[2:3], vcc, s[2:3]
	v_lshrrev_b32_e32 v3, 23, v4
	v_cndmask_b32_e64 v2, 0, 1, s[2:3]
	v_add_u32_e32 v3, v3, v2
; %bb.90:
	s_or_b64 exec, exec, s[4:5]
	s_mov_b64 s[4:5], -1
	s_mov_b64 s[2:3], 0
	global_store_byte v[0:1], v3, off
.LBB177_91:
	s_mov_b64 s[8:9], 0
.LBB177_92:
	s_and_b64 vcc, exec, s[8:9]
	s_cbranch_vccz .LBB177_95
; %bb.93:
	s_cmp_eq_u32 s13, 29
	s_mov_b64 s[2:3], -1
	s_cbranch_scc0 .LBB177_95
; %bb.94:
	v_trunc_f32_e32 v2, v4
	v_mul_f32_e32 v3, 0x2f800000, v2
	v_floor_f32_e32 v6, v3
	v_fmamk_f32 v2, v6, 0xcf800000, v2
	v_cvt_u32_f32_e32 v3, v6
	v_cvt_u32_f32_e32 v2, v2
	s_mov_b64 s[4:5], -1
	s_mov_b64 s[2:3], 0
	s_mov_b64 s[8:9], 0
	global_store_dwordx2 v[0:1], v[2:3], off
	s_branch .LBB177_96
.LBB177_95:
	s_mov_b64 s[8:9], 0
.LBB177_96:
	s_and_b64 vcc, exec, s[8:9]
	s_cbranch_vccz .LBB177_112
; %bb.97:
	s_cmp_lt_i32 s13, 27
	s_mov_b64 s[4:5], -1
	s_cbranch_scc1 .LBB177_103
; %bb.98:
	v_cvt_u32_f32_e32 v2, v4
	s_cmp_gt_i32 s13, 27
	s_cbranch_scc0 .LBB177_100
; %bb.99:
	s_mov_b64 s[4:5], 0
	global_store_dword v[0:1], v2, off
.LBB177_100:
	s_andn2_b64 vcc, exec, s[4:5]
	s_cbranch_vccnz .LBB177_102
; %bb.101:
	global_store_short v[0:1], v2, off
.LBB177_102:
	s_mov_b64 s[4:5], 0
.LBB177_103:
	s_andn2_b64 vcc, exec, s[4:5]
	s_cbranch_vccnz .LBB177_111
; %bb.104:
	v_and_b32_e32 v2, 0x7fffffff, v4
	s_mov_b32 s4, 0x43800000
	v_cmp_gt_u32_e32 vcc, s4, v2
	v_mov_b32_e32 v3, 0x80
	s_and_saveexec_b64 s[4:5], vcc
	s_cbranch_execz .LBB177_110
; %bb.105:
	s_mov_b32 s8, 0x3bffffff
	v_cmp_lt_u32_e32 vcc, s8, v2
	s_mov_b64 s[8:9], 0
                                        ; implicit-def: $vgpr2
	s_and_saveexec_b64 s[10:11], vcc
	s_xor_b64 s[10:11], exec, s[10:11]
	s_cbranch_execz .LBB177_349
; %bb.106:
	v_bfe_u32 v2, v4, 20, 1
	s_mov_b32 s14, 0x487ffff
	v_add3_u32 v2, v4, v2, s14
	s_mov_b64 s[8:9], exec
	v_lshrrev_b32_e32 v2, 20, v2
	s_andn2_saveexec_b64 s[10:11], s[10:11]
	s_cbranch_execnz .LBB177_350
.LBB177_107:
	s_or_b64 exec, exec, s[10:11]
	v_mov_b32_e32 v3, 0
	s_and_saveexec_b64 s[10:11], s[8:9]
.LBB177_108:
	v_lshrrev_b32_e32 v3, 24, v4
	s_movk_i32 s8, 0x80
	v_and_or_b32 v3, v3, s8, v2
.LBB177_109:
	s_or_b64 exec, exec, s[10:11]
.LBB177_110:
	s_or_b64 exec, exec, s[4:5]
	global_store_byte v[0:1], v3, off
.LBB177_111:
	s_mov_b64 s[4:5], -1
.LBB177_112:
	s_mov_b64 s[8:9], 0
.LBB177_113:
	s_and_b64 vcc, exec, s[8:9]
	s_cbranch_vccz .LBB177_154
; %bb.114:
	s_cmp_gt_i32 s13, 22
	s_mov_b64 s[8:9], -1
	s_cbranch_scc0 .LBB177_146
; %bb.115:
	s_cmp_lt_i32 s13, 24
	s_mov_b64 s[4:5], -1
	s_cbranch_scc1 .LBB177_135
; %bb.116:
	s_cmp_gt_i32 s13, 24
	s_cbranch_scc0 .LBB177_124
; %bb.117:
	v_and_b32_e32 v2, 0x7fffffff, v4
	s_mov_b32 s4, 0x47800000
	v_cmp_gt_u32_e32 vcc, s4, v2
	v_mov_b32_e32 v3, 0x80
	s_and_saveexec_b64 s[4:5], vcc
	s_cbranch_execz .LBB177_123
; %bb.118:
	s_mov_b32 s8, 0x37ffffff
	v_cmp_lt_u32_e32 vcc, s8, v2
	s_mov_b64 s[8:9], 0
                                        ; implicit-def: $vgpr2
	s_and_saveexec_b64 s[10:11], vcc
	s_xor_b64 s[10:11], exec, s[10:11]
	s_cbranch_execz .LBB177_389
; %bb.119:
	v_bfe_u32 v2, v4, 21, 1
	s_mov_b32 s14, 0x88fffff
	v_add3_u32 v2, v4, v2, s14
	s_mov_b64 s[8:9], exec
	v_lshrrev_b32_e32 v2, 21, v2
	s_andn2_saveexec_b64 s[10:11], s[10:11]
	s_cbranch_execnz .LBB177_390
.LBB177_120:
	s_or_b64 exec, exec, s[10:11]
	v_mov_b32_e32 v3, 0
	s_and_saveexec_b64 s[10:11], s[8:9]
.LBB177_121:
	v_lshrrev_b32_e32 v3, 24, v4
	s_movk_i32 s8, 0x80
	v_and_or_b32 v3, v3, s8, v2
.LBB177_122:
	s_or_b64 exec, exec, s[10:11]
.LBB177_123:
	s_or_b64 exec, exec, s[4:5]
	s_mov_b64 s[4:5], 0
	global_store_byte v[0:1], v3, off
.LBB177_124:
	s_and_b64 vcc, exec, s[4:5]
	s_cbranch_vccz .LBB177_134
; %bb.125:
	v_and_b32_e32 v3, 0x7fffffff, v4
	s_mov_b32 s4, 0x43f00000
	v_cmp_gt_u32_e32 vcc, s4, v3
                                        ; implicit-def: $vgpr2
	s_and_saveexec_b64 s[4:5], vcc
	s_xor_b64 s[4:5], exec, s[4:5]
	s_cbranch_execz .LBB177_131
; %bb.126:
	s_mov_b32 s8, 0x3c7fffff
	v_cmp_lt_u32_e32 vcc, s8, v3
                                        ; implicit-def: $vgpr2
	s_and_saveexec_b64 s[8:9], vcc
	s_xor_b64 s[8:9], exec, s[8:9]
; %bb.127:
	v_bfe_u32 v2, v4, 20, 1
	s_mov_b32 s10, 0x407ffff
	v_add3_u32 v2, v4, v2, s10
	v_lshrrev_b32_e32 v3, 20, v2
	v_and_b32_e32 v2, 0xff00000, v2
	s_mov_b32 s10, 0x7f00000
	v_mov_b32_e32 v6, 0x7e
	v_cmp_ne_u32_e32 vcc, s10, v2
	s_nop 1
	v_cndmask_b32_e32 v2, v6, v3, vcc
; %bb.128:
	s_andn2_saveexec_b64 s[8:9], s[8:9]
; %bb.129:
	s_mov_b32 s10, 0x46800000
	v_add_f32_e64 v2, |v4|, s10
; %bb.130:
	s_or_b64 exec, exec, s[8:9]
                                        ; implicit-def: $vgpr3
.LBB177_131:
	s_andn2_saveexec_b64 s[4:5], s[4:5]
; %bb.132:
	s_mov_b32 s8, 0x7f800000
	v_mov_b32_e32 v2, 0x7e
	v_mov_b32_e32 v6, 0x7f
	v_cmp_lt_u32_e32 vcc, s8, v3
	s_nop 1
	v_cndmask_b32_e32 v2, v2, v6, vcc
; %bb.133:
	s_or_b64 exec, exec, s[4:5]
	v_lshrrev_b32_e32 v3, 24, v4
	s_movk_i32 s4, 0x80
	v_and_or_b32 v2, v3, s4, v2
	global_store_byte v[0:1], v2, off
.LBB177_134:
	s_mov_b64 s[4:5], 0
.LBB177_135:
	s_andn2_b64 vcc, exec, s[4:5]
	s_cbranch_vccnz .LBB177_145
; %bb.136:
	v_and_b32_e32 v3, 0x7fffffff, v4
	s_mov_b32 s4, 0x47800000
	v_cmp_gt_u32_e32 vcc, s4, v3
                                        ; implicit-def: $vgpr2
	s_and_saveexec_b64 s[4:5], vcc
	s_xor_b64 s[4:5], exec, s[4:5]
	s_cbranch_execz .LBB177_142
; %bb.137:
	s_mov_b32 s8, 0x387fffff
	v_cmp_lt_u32_e32 vcc, s8, v3
                                        ; implicit-def: $vgpr2
	s_and_saveexec_b64 s[8:9], vcc
	s_xor_b64 s[8:9], exec, s[8:9]
; %bb.138:
	v_bfe_u32 v2, v4, 21, 1
	s_mov_b32 s10, 0x80fffff
	v_add3_u32 v2, v4, v2, s10
	v_lshrrev_b32_e32 v2, 21, v2
; %bb.139:
	s_andn2_saveexec_b64 s[8:9], s[8:9]
; %bb.140:
	s_mov_b32 s10, 0x43000000
	v_add_f32_e64 v2, |v4|, s10
; %bb.141:
	s_or_b64 exec, exec, s[8:9]
                                        ; implicit-def: $vgpr3
.LBB177_142:
	s_andn2_saveexec_b64 s[4:5], s[4:5]
; %bb.143:
	s_mov_b32 s8, 0x7f800000
	v_mov_b32_e32 v2, 0x7c
	v_mov_b32_e32 v6, 0x7f
	v_cmp_lt_u32_e32 vcc, s8, v3
	s_nop 1
	v_cndmask_b32_e32 v2, v2, v6, vcc
; %bb.144:
	s_or_b64 exec, exec, s[4:5]
	v_lshrrev_b32_e32 v3, 24, v4
	s_movk_i32 s4, 0x80
	v_and_or_b32 v2, v3, s4, v2
	global_store_byte v[0:1], v2, off
.LBB177_145:
	s_mov_b64 s[8:9], 0
	s_mov_b64 s[4:5], -1
.LBB177_146:
	s_andn2_b64 vcc, exec, s[8:9]
	s_cbranch_vccnz .LBB177_154
; %bb.147:
	s_cmp_gt_i32 s13, 14
	s_mov_b64 s[8:9], -1
	s_cbranch_scc0 .LBB177_151
; %bb.148:
	s_cmp_eq_u32 s13, 15
	s_mov_b64 s[2:3], -1
	s_cbranch_scc0 .LBB177_150
; %bb.149:
	v_bfe_u32 v2, v4, 16, 1
	s_movk_i32 s2, 0x7fff
	v_add3_u32 v2, v4, v2, s2
	v_cmp_o_f32_e32 vcc, v4, v4
	v_mov_b32_e32 v3, 0x7fc0
	s_mov_b64 s[4:5], -1
	v_cndmask_b32_sdwa v2, v3, v2, vcc dst_sel:DWORD dst_unused:UNUSED_PAD src0_sel:DWORD src1_sel:WORD_1
	global_store_short v[0:1], v2, off
	s_mov_b64 s[2:3], 0
.LBB177_150:
	s_mov_b64 s[8:9], 0
.LBB177_151:
	s_and_b64 vcc, exec, s[8:9]
	s_cbranch_vccz .LBB177_154
; %bb.152:
	s_cmp_eq_u32 s13, 11
	s_mov_b64 s[2:3], -1
	s_cbranch_scc0 .LBB177_154
; %bb.153:
	v_cmp_neq_f32_e32 vcc, 0, v4
	v_cmp_neq_f32_e64 s[2:3], 0, v5
	s_or_b64 s[2:3], vcc, s[2:3]
	s_mov_b64 s[4:5], -1
	v_cndmask_b32_e64 v2, 0, 1, s[2:3]
	s_mov_b64 s[2:3], 0
	global_store_byte v[0:1], v2, off
.LBB177_154:
	s_branch .LBB177_76
.LBB177_155:
	s_and_b32 s8, 0xffff, s12
	s_cmp_lt_i32 s8, 5
	s_mov_b64 s[4:5], -1
	s_cbranch_scc1 .LBB177_176
; %bb.156:
	s_cmp_lt_i32 s8, 8
	s_cbranch_scc1 .LBB177_166
; %bb.157:
	s_cmp_lt_i32 s8, 9
	s_cbranch_scc1 .LBB177_163
; %bb.158:
	s_cmp_gt_i32 s8, 9
	s_cbranch_scc0 .LBB177_160
; %bb.159:
	v_cvt_f64_f32_e32 v[6:7], v4
	v_cvt_f64_f32_e32 v[8:9], v5
	global_store_dwordx4 v[0:1], v[6:9], off
	s_mov_b64 s[4:5], 0
.LBB177_160:
	s_andn2_b64 vcc, exec, s[4:5]
	s_cbranch_vccnz .LBB177_162
; %bb.161:
	global_store_dwordx2 v[0:1], v[4:5], off
.LBB177_162:
	s_mov_b64 s[4:5], 0
.LBB177_163:
	s_andn2_b64 vcc, exec, s[4:5]
	s_cbranch_vccnz .LBB177_165
; %bb.164:
	v_cvt_f16_f32_e32 v2, v4
	v_cvt_f16_f32_sdwa v3, v5 dst_sel:WORD_1 dst_unused:UNUSED_PAD src0_sel:DWORD
	s_nop 0
	v_or_b32_e32 v2, v3, v2
	global_store_dword v[0:1], v2, off
.LBB177_165:
	s_mov_b64 s[4:5], 0
.LBB177_166:
	s_andn2_b64 vcc, exec, s[4:5]
	s_cbranch_vccnz .LBB177_175
; %bb.167:
	s_cmp_lt_i32 s8, 6
	s_mov_b64 s[4:5], -1
	s_cbranch_scc1 .LBB177_173
; %bb.168:
	s_cmp_gt_i32 s8, 6
	s_cbranch_scc0 .LBB177_170
; %bb.169:
	v_cvt_f64_f32_e32 v[2:3], v4
	global_store_dwordx2 v[0:1], v[2:3], off
	s_mov_b64 s[4:5], 0
.LBB177_170:
	s_andn2_b64 vcc, exec, s[4:5]
	s_cbranch_vccnz .LBB177_172
; %bb.171:
	global_store_dword v[0:1], v4, off
.LBB177_172:
	s_mov_b64 s[4:5], 0
.LBB177_173:
	s_andn2_b64 vcc, exec, s[4:5]
	s_cbranch_vccnz .LBB177_175
; %bb.174:
	v_cvt_f16_f32_e32 v2, v4
	global_store_short v[0:1], v2, off
.LBB177_175:
	s_mov_b64 s[4:5], 0
.LBB177_176:
	s_andn2_b64 vcc, exec, s[4:5]
	s_cbranch_vccnz .LBB177_192
; %bb.177:
	s_cmp_lt_i32 s8, 2
	s_mov_b64 s[4:5], -1
	s_cbranch_scc1 .LBB177_187
; %bb.178:
	s_cmp_lt_i32 s8, 3
	s_cbranch_scc1 .LBB177_184
; %bb.179:
	s_cmp_gt_i32 s8, 3
	s_cbranch_scc0 .LBB177_181
; %bb.180:
	v_trunc_f32_e32 v2, v4
	s_mov_b32 s4, 0x2f800000
	v_mul_f32_e64 v3, |v2|, s4
	v_floor_f32_e32 v3, v3
	s_mov_b32 s4, 0xcf800000
	v_cvt_u32_f32_e32 v5, v3
	v_fma_f32 v3, v3, s4, |v2|
	v_cvt_u32_f32_e32 v3, v3
	v_ashrrev_i32_e32 v6, 31, v2
	v_xor_b32_e32 v5, v5, v6
	s_mov_b64 s[4:5], 0
	v_xor_b32_e32 v2, v3, v6
	v_sub_co_u32_e32 v2, vcc, v2, v6
	s_nop 1
	v_subb_co_u32_e32 v3, vcc, v5, v6, vcc
	global_store_dwordx2 v[0:1], v[2:3], off
.LBB177_181:
	s_andn2_b64 vcc, exec, s[4:5]
	s_cbranch_vccnz .LBB177_183
; %bb.182:
	v_cvt_i32_f32_e32 v2, v4
	global_store_dword v[0:1], v2, off
.LBB177_183:
	s_mov_b64 s[4:5], 0
.LBB177_184:
	s_andn2_b64 vcc, exec, s[4:5]
	s_cbranch_vccnz .LBB177_186
; %bb.185:
	v_cvt_i32_f32_e32 v2, v4
	global_store_short v[0:1], v2, off
.LBB177_186:
	s_mov_b64 s[4:5], 0
.LBB177_187:
	s_andn2_b64 vcc, exec, s[4:5]
	s_cbranch_vccnz .LBB177_192
; %bb.188:
	s_cmp_gt_i32 s8, 0
	s_mov_b64 s[4:5], -1
	s_cbranch_scc0 .LBB177_190
; %bb.189:
	v_cvt_i32_f32_e32 v2, v4
	s_mov_b64 s[4:5], 0
	global_store_byte v[0:1], v2, off
.LBB177_190:
	s_andn2_b64 vcc, exec, s[4:5]
	s_cbranch_vccnz .LBB177_192
; %bb.191:
	v_trunc_f32_e32 v2, v4
	s_mov_b32 s4, 0x2f800000
	v_mul_f32_e64 v3, |v2|, s4
	v_floor_f32_e32 v3, v3
	s_mov_b32 s4, 0xcf800000
	v_fma_f32 v3, v3, s4, |v2|
	v_cvt_u32_f32_e32 v3, v3
	v_ashrrev_i32_e32 v2, 31, v2
	v_xor_b32_e32 v3, v3, v2
	v_sub_u32_e32 v2, v3, v2
	global_store_byte v[0:1], v2, off
.LBB177_192:
.LBB177_193:
	v_add_u32_e32 v14, 0x80, v14
	s_mov_b64 s[4:5], -1
	s_branch .LBB177_304
.LBB177_194:
	s_mov_b64 s[6:7], -1
                                        ; implicit-def: $vgpr2_vgpr3
.LBB177_195:
	s_mov_b64 s[4:5], 0
.LBB177_196:
	s_and_b64 vcc, exec, s[4:5]
	s_cbranch_vccz .LBB177_200
; %bb.197:
	s_cmp_eq_u32 s10, 29
	s_cbranch_scc0 .LBB177_199
; %bb.198:
	global_load_dwordx2 v[2:3], v[4:5], off
	s_mov_b64 s[2:3], -1
	s_mov_b64 s[6:7], 0
	s_mov_b64 s[4:5], 0
	s_waitcnt vmcnt(0)
	v_ffbh_u32_e32 v1, v3
	v_min_u32_e32 v1, 32, v1
	v_lshlrev_b64 v[2:3], v1, v[2:3]
	v_min_u32_e32 v2, 1, v2
	v_or_b32_e32 v2, v3, v2
	v_cvt_f32_u32_e32 v2, v2
	v_sub_u32_e32 v1, 32, v1
	v_mov_b32_e32 v3, 0
	v_ldexp_f32 v2, v2, v1
	s_branch .LBB177_201
.LBB177_199:
	s_mov_b64 s[6:7], -1
                                        ; implicit-def: $vgpr2_vgpr3
.LBB177_200:
	s_mov_b64 s[4:5], 0
.LBB177_201:
	s_and_b64 vcc, exec, s[4:5]
	s_cbranch_vccz .LBB177_221
; %bb.202:
	s_cmp_lt_i32 s10, 27
	s_cbranch_scc1 .LBB177_205
; %bb.203:
	s_cmp_gt_i32 s10, 27
	s_cbranch_scc0 .LBB177_206
; %bb.204:
	global_load_dword v1, v[4:5], off
	v_mov_b32_e32 v3, 0
	s_mov_b64 s[2:3], 0
	s_waitcnt vmcnt(0)
	v_cvt_f32_u32_e32 v2, v1
	s_branch .LBB177_207
.LBB177_205:
	s_mov_b64 s[2:3], -1
                                        ; implicit-def: $vgpr2_vgpr3
	s_branch .LBB177_210
.LBB177_206:
	s_mov_b64 s[2:3], -1
                                        ; implicit-def: $vgpr2_vgpr3
.LBB177_207:
	s_andn2_b64 vcc, exec, s[2:3]
	s_cbranch_vccnz .LBB177_209
; %bb.208:
	global_load_ushort v1, v[4:5], off
	v_mov_b32_e32 v3, 0
	s_waitcnt vmcnt(0)
	v_cvt_f32_u32_e32 v2, v1
.LBB177_209:
	s_mov_b64 s[2:3], 0
.LBB177_210:
	s_andn2_b64 vcc, exec, s[2:3]
	s_cbranch_vccnz .LBB177_220
; %bb.211:
	global_load_ubyte v1, v[4:5], off
	s_movk_i32 s2, 0x7f
	s_waitcnt vmcnt(0)
	v_cmp_lt_i16_e32 vcc, s2, v1
	s_mov_b64 s[2:3], 0
	s_and_saveexec_b64 s[4:5], vcc
	s_xor_b64 s[4:5], exec, s[4:5]
	s_cbranch_execz .LBB177_215
; %bb.212:
	s_movk_i32 s2, 0x80
	v_cmp_eq_u16_e32 vcc, s2, v1
	s_mov_b64 s[2:3], -1
	s_and_saveexec_b64 s[8:9], vcc
; %bb.213:
	s_xor_b64 s[2:3], exec, -1
; %bb.214:
	s_or_b64 exec, exec, s[8:9]
	s_and_b64 s[2:3], s[2:3], exec
.LBB177_215:
	s_or_saveexec_b64 s[4:5], s[4:5]
	v_mov_b32_e32 v2, 0x7f800001
	v_mov_b32_e32 v3, 0
	s_xor_b64 exec, exec, s[4:5]
; %bb.216:
	v_cmp_ne_u16_e32 vcc, 0, v1
	s_andn2_b64 s[2:3], s[2:3], exec
	s_and_b64 s[8:9], vcc, exec
	v_mov_b32_e32 v2, v3
	s_or_b64 s[2:3], s[2:3], s[8:9]
; %bb.217:
	s_or_b64 exec, exec, s[4:5]
	s_and_saveexec_b64 s[4:5], s[2:3]
	s_cbranch_execz .LBB177_219
; %bb.218:
	v_lshlrev_b32_e32 v2, 24, v1
	v_and_b32_e32 v1, 0xffff, v1
	v_and_b32_e32 v3, 7, v1
	v_ffbh_u32_e32 v7, v3
	v_min_u32_e32 v7, 32, v7
	v_subrev_u32_e32 v8, 28, v7
	v_bfe_u32 v6, v1, 3, 4
	v_lshlrev_b32_e32 v1, v8, v1
	v_sub_u32_e32 v7, 29, v7
	v_and_b32_e32 v1, 7, v1
	v_cmp_eq_u32_e32 vcc, 0, v6
	v_and_b32_e32 v2, 0x80000000, v2
	s_nop 0
	v_cndmask_b32_e32 v6, v6, v7, vcc
	v_cndmask_b32_e32 v1, v3, v1, vcc
	v_mov_b32_e32 v3, 0x3b800000
	v_lshlrev_b32_e32 v1, 20, v1
	v_lshl_add_u32 v3, v6, 23, v3
	v_or3_b32 v2, v2, v3, v1
	v_mov_b32_e32 v3, 0
.LBB177_219:
	s_or_b64 exec, exec, s[4:5]
.LBB177_220:
	s_mov_b64 s[2:3], -1
.LBB177_221:
	s_branch .LBB177_254
.LBB177_222:
	s_cmp_gt_i32 s10, 22
	s_cbranch_scc0 .LBB177_234
; %bb.223:
	s_cmp_lt_i32 s10, 24
	s_cbranch_scc1 .LBB177_235
; %bb.224:
	s_cmp_gt_i32 s10, 24
	s_cbranch_scc0 .LBB177_236
; %bb.225:
	global_load_ubyte v1, v[4:5], off
	s_movk_i32 s2, 0x7f
	s_waitcnt vmcnt(0)
	v_cmp_lt_i16_e32 vcc, s2, v1
	s_mov_b64 s[2:3], 0
	s_and_saveexec_b64 s[4:5], vcc
	s_xor_b64 s[4:5], exec, s[4:5]
	s_cbranch_execz .LBB177_229
; %bb.226:
	s_movk_i32 s2, 0x80
	v_cmp_eq_u16_e32 vcc, s2, v1
	s_mov_b64 s[2:3], -1
	s_and_saveexec_b64 s[8:9], vcc
; %bb.227:
	s_xor_b64 s[2:3], exec, -1
; %bb.228:
	s_or_b64 exec, exec, s[8:9]
	s_and_b64 s[2:3], s[2:3], exec
.LBB177_229:
	s_or_saveexec_b64 s[4:5], s[4:5]
	v_mov_b32_e32 v2, 0x7f800001
	v_mov_b32_e32 v3, 0
	s_xor_b64 exec, exec, s[4:5]
; %bb.230:
	v_cmp_ne_u16_e32 vcc, 0, v1
	s_andn2_b64 s[2:3], s[2:3], exec
	s_and_b64 s[8:9], vcc, exec
	v_mov_b32_e32 v2, v3
	s_or_b64 s[2:3], s[2:3], s[8:9]
; %bb.231:
	s_or_b64 exec, exec, s[4:5]
	s_and_saveexec_b64 s[4:5], s[2:3]
	s_cbranch_execz .LBB177_233
; %bb.232:
	v_lshlrev_b32_e32 v2, 24, v1
	v_and_b32_e32 v1, 0xffff, v1
	v_and_b32_e32 v3, 3, v1
	v_ffbh_u32_e32 v7, v3
	v_min_u32_e32 v7, 32, v7
	v_subrev_u32_e32 v8, 29, v7
	v_bfe_u32 v6, v1, 2, 5
	v_lshlrev_b32_e32 v1, v8, v1
	v_sub_u32_e32 v7, 30, v7
	v_and_b32_e32 v1, 3, v1
	v_cmp_eq_u32_e32 vcc, 0, v6
	v_and_b32_e32 v2, 0x80000000, v2
	s_nop 0
	v_cndmask_b32_e32 v6, v6, v7, vcc
	v_cndmask_b32_e32 v1, v3, v1, vcc
	v_mov_b32_e32 v3, 0x37800000
	v_lshlrev_b32_e32 v1, 21, v1
	v_lshl_add_u32 v3, v6, 23, v3
	v_or3_b32 v2, v2, v3, v1
	v_mov_b32_e32 v3, 0
.LBB177_233:
	s_or_b64 exec, exec, s[4:5]
	s_mov_b64 s[2:3], 0
	s_branch .LBB177_237
.LBB177_234:
	s_mov_b64 s[4:5], -1
                                        ; implicit-def: $vgpr2_vgpr3
	s_branch .LBB177_243
.LBB177_235:
	s_mov_b64 s[2:3], -1
                                        ; implicit-def: $vgpr2_vgpr3
	s_branch .LBB177_240
.LBB177_236:
	s_mov_b64 s[2:3], -1
                                        ; implicit-def: $vgpr2_vgpr3
.LBB177_237:
	s_and_b64 vcc, exec, s[2:3]
	s_cbranch_vccz .LBB177_239
; %bb.238:
	global_load_ubyte v1, v[4:5], off
	s_mov_b32 s2, 0x7f800000
	s_brev_b32 s3, 1
	s_waitcnt vmcnt(0)
	v_lshlrev_b32_e32 v1, 24, v1
	v_and_b32_e32 v2, 0x7f000000, v1
	v_ffbh_u32_e32 v3, v2
	v_min_u32_e32 v3, 32, v3
	v_sub_u32_e64 v3, v3, 4 clamp
	v_lshlrev_b32_e32 v7, v3, v2
	v_lshlrev_b32_e32 v3, 23, v3
	v_lshrrev_b32_e32 v7, 4, v7
	v_add_u32_e32 v6, 0x1000000, v2
	v_sub_u32_e32 v3, v7, v3
	v_ashrrev_i32_e32 v6, 8, v6
	v_add_u32_e32 v3, 0x3c000000, v3
	v_and_or_b32 v3, v6, s2, v3
	v_cmp_ne_u32_e32 vcc, 0, v2
	s_nop 1
	v_cndmask_b32_e32 v2, 0, v3, vcc
	v_and_or_b32 v2, v1, s3, v2
	v_mov_b32_e32 v3, 0
.LBB177_239:
	s_mov_b64 s[2:3], 0
.LBB177_240:
	s_andn2_b64 vcc, exec, s[2:3]
	s_cbranch_vccnz .LBB177_242
; %bb.241:
	global_load_ubyte v1, v[4:5], off
	s_movk_i32 s2, 0x7f00
	s_brev_b32 s3, 16
	s_brev_b32 s4, 1
	s_waitcnt vmcnt(0)
	v_lshlrev_b16_e32 v2, 8, v1
	v_lshlrev_b32_e32 v1, 25, v1
	v_lshrrev_b32_e32 v3, 4, v1
	v_and_or_b32 v6, v2, s2, 0.5
	v_or_b32_e32 v3, 0x70000000, v3
	v_add_f32_e32 v6, -0.5, v6
	v_mul_f32_e32 v3, 0x7800000, v3
	v_cmp_gt_u32_e32 vcc, s3, v1
	v_bfe_i32 v2, v2, 0, 16
	s_nop 0
	v_cndmask_b32_e32 v1, v3, v6, vcc
	v_and_or_b32 v2, v2, s4, v1
	v_mov_b32_e32 v3, 0
.LBB177_242:
	s_mov_b64 s[4:5], 0
	s_mov_b64 s[2:3], -1
.LBB177_243:
	s_andn2_b64 vcc, exec, s[4:5]
	s_cbranch_vccnz .LBB177_254
; %bb.244:
	s_cmp_gt_i32 s10, 14
	s_cbranch_scc0 .LBB177_247
; %bb.245:
	s_cmp_eq_u32 s10, 15
	s_cbranch_scc0 .LBB177_248
; %bb.246:
	global_load_ushort v1, v[4:5], off
	v_mov_b32_e32 v3, 0
	s_mov_b64 s[2:3], -1
	s_mov_b64 s[6:7], 0
	s_waitcnt vmcnt(0)
	v_lshlrev_b32_e32 v2, 16, v1
	s_branch .LBB177_249
.LBB177_247:
	s_mov_b64 s[4:5], -1
                                        ; implicit-def: $vgpr2_vgpr3
	s_branch .LBB177_250
.LBB177_248:
	s_mov_b64 s[6:7], -1
                                        ; implicit-def: $vgpr2_vgpr3
.LBB177_249:
	s_mov_b64 s[4:5], 0
.LBB177_250:
	s_and_b64 vcc, exec, s[4:5]
	s_cbranch_vccz .LBB177_254
; %bb.251:
	s_cmp_eq_u32 s10, 11
	s_cbranch_scc0 .LBB177_253
; %bb.252:
	global_load_ubyte v1, v[4:5], off
	v_mov_b32_e32 v3, 0
	s_mov_b64 s[2:3], -1
	s_mov_b64 s[6:7], 0
	s_waitcnt vmcnt(0)
	v_cmp_ne_u16_e32 vcc, 0, v1
	s_nop 1
	v_cndmask_b32_e64 v2, 0, 1.0, vcc
	s_branch .LBB177_254
.LBB177_253:
	s_mov_b64 s[6:7], -1
                                        ; implicit-def: $vgpr2_vgpr3
.LBB177_254:
	s_branch .LBB177_25
.LBB177_255:
	s_cmp_lt_i32 s10, 5
	s_cbranch_scc1 .LBB177_260
; %bb.256:
	s_cmp_lt_i32 s10, 8
	s_cbranch_scc1 .LBB177_261
; %bb.257:
	;; [unrolled: 3-line block ×3, first 2 shown]
	s_cmp_gt_i32 s10, 9
	s_cbranch_scc0 .LBB177_263
; %bb.259:
	global_load_dwordx4 v[6:9], v[4:5], off
	s_mov_b64 s[2:3], 0
	s_waitcnt vmcnt(0)
	v_cvt_f32_f64_e32 v3, v[8:9]
	v_cvt_f32_f64_e32 v2, v[6:7]
	s_branch .LBB177_264
.LBB177_260:
                                        ; implicit-def: $vgpr2_vgpr3
	s_branch .LBB177_282
.LBB177_261:
	s_mov_b64 s[2:3], -1
                                        ; implicit-def: $vgpr2_vgpr3
	s_branch .LBB177_270
.LBB177_262:
	s_mov_b64 s[2:3], -1
                                        ; implicit-def: $vgpr2_vgpr3
	s_branch .LBB177_267
.LBB177_263:
	s_mov_b64 s[2:3], -1
                                        ; implicit-def: $vgpr2_vgpr3
.LBB177_264:
	s_andn2_b64 vcc, exec, s[2:3]
	s_cbranch_vccnz .LBB177_266
; %bb.265:
	global_load_dwordx2 v[2:3], v[4:5], off
.LBB177_266:
	s_mov_b64 s[2:3], 0
.LBB177_267:
	s_andn2_b64 vcc, exec, s[2:3]
	s_cbranch_vccnz .LBB177_269
; %bb.268:
	global_load_dword v1, v[4:5], off
	s_waitcnt vmcnt(0)
	v_cvt_f32_f16_sdwa v3, v1 dst_sel:DWORD dst_unused:UNUSED_PAD src0_sel:WORD_1
	v_cvt_f32_f16_e32 v2, v1
.LBB177_269:
	s_mov_b64 s[2:3], 0
.LBB177_270:
	s_andn2_b64 vcc, exec, s[2:3]
	s_cbranch_vccnz .LBB177_281
; %bb.271:
	s_cmp_lt_i32 s10, 6
	s_cbranch_scc1 .LBB177_274
; %bb.272:
	s_cmp_gt_i32 s10, 6
	s_cbranch_scc0 .LBB177_275
; %bb.273:
	global_load_dwordx2 v[6:7], v[4:5], off
	s_waitcnt vmcnt(1)
	v_mov_b32_e32 v3, 0
	s_mov_b64 s[2:3], 0
	s_waitcnt vmcnt(0)
	v_cvt_f32_f64_e32 v2, v[6:7]
	s_branch .LBB177_276
.LBB177_274:
	s_mov_b64 s[2:3], -1
                                        ; implicit-def: $vgpr2_vgpr3
	s_branch .LBB177_279
.LBB177_275:
	s_mov_b64 s[2:3], -1
                                        ; implicit-def: $vgpr2_vgpr3
.LBB177_276:
	s_andn2_b64 vcc, exec, s[2:3]
	s_cbranch_vccnz .LBB177_278
; %bb.277:
	global_load_dword v2, v[4:5], off
	s_waitcnt vmcnt(1)
	v_mov_b32_e32 v3, 0
.LBB177_278:
	s_mov_b64 s[2:3], 0
.LBB177_279:
	s_andn2_b64 vcc, exec, s[2:3]
	s_cbranch_vccnz .LBB177_281
; %bb.280:
	global_load_ushort v1, v[4:5], off
	s_waitcnt vmcnt(1)
	v_mov_b32_e32 v3, 0
	s_waitcnt vmcnt(0)
	v_cvt_f32_f16_e32 v2, v1
.LBB177_281:
	s_cbranch_execnz .LBB177_301
.LBB177_282:
	s_cmp_lt_i32 s10, 2
	s_cbranch_scc1 .LBB177_286
; %bb.283:
	s_cmp_lt_i32 s10, 3
	s_cbranch_scc1 .LBB177_287
; %bb.284:
	s_cmp_gt_i32 s10, 3
	s_cbranch_scc0 .LBB177_288
; %bb.285:
	global_load_dwordx2 v[2:3], v[4:5], off
	s_mov_b64 s[2:3], 0
	s_waitcnt vmcnt(0)
	v_xor_b32_e32 v6, v2, v3
	v_ffbh_i32_e32 v1, v3
	v_ashrrev_i32_e32 v6, 31, v6
	v_add_u32_e32 v1, -1, v1
	v_add_u32_e32 v6, 32, v6
	v_min_u32_e32 v1, v1, v6
	v_lshlrev_b64 v[2:3], v1, v[2:3]
	v_min_u32_e32 v2, 1, v2
	v_or_b32_e32 v2, v3, v2
	v_cvt_f32_i32_e32 v2, v2
	v_sub_u32_e32 v1, 32, v1
	v_mov_b32_e32 v3, 0
	v_ldexp_f32 v2, v2, v1
	s_branch .LBB177_289
.LBB177_286:
	s_mov_b64 s[2:3], -1
                                        ; implicit-def: $vgpr2_vgpr3
	s_branch .LBB177_295
.LBB177_287:
	s_mov_b64 s[2:3], -1
                                        ; implicit-def: $vgpr2_vgpr3
	s_branch .LBB177_292
.LBB177_288:
	s_mov_b64 s[2:3], -1
                                        ; implicit-def: $vgpr2_vgpr3
.LBB177_289:
	s_andn2_b64 vcc, exec, s[2:3]
	s_cbranch_vccnz .LBB177_291
; %bb.290:
	global_load_dword v1, v[4:5], off
	s_waitcnt vmcnt(1)
	v_mov_b32_e32 v3, 0
	s_waitcnt vmcnt(0)
	v_cvt_f32_i32_e32 v2, v1
.LBB177_291:
	s_mov_b64 s[2:3], 0
.LBB177_292:
	s_andn2_b64 vcc, exec, s[2:3]
	s_cbranch_vccnz .LBB177_294
; %bb.293:
	global_load_sshort v1, v[4:5], off
	s_waitcnt vmcnt(1)
	v_mov_b32_e32 v3, 0
	s_waitcnt vmcnt(0)
	v_cvt_f32_i32_e32 v2, v1
.LBB177_294:
	s_mov_b64 s[2:3], 0
.LBB177_295:
	s_andn2_b64 vcc, exec, s[2:3]
	s_cbranch_vccnz .LBB177_301
; %bb.296:
	s_cmp_gt_i32 s10, 0
	s_cbranch_scc0 .LBB177_298
; %bb.297:
	global_load_sbyte v1, v[4:5], off
	s_waitcnt vmcnt(1)
	v_mov_b32_e32 v3, 0
	s_mov_b64 s[2:3], 0
	s_waitcnt vmcnt(0)
	v_cvt_f32_i32_e32 v2, v1
	s_branch .LBB177_299
.LBB177_298:
	s_mov_b64 s[2:3], -1
                                        ; implicit-def: $vgpr2_vgpr3
.LBB177_299:
	s_andn2_b64 vcc, exec, s[2:3]
	s_cbranch_vccnz .LBB177_301
; %bb.300:
	global_load_ubyte v1, v[4:5], off
	s_waitcnt vmcnt(1)
	v_mov_b32_e32 v3, 0
	s_waitcnt vmcnt(0)
	v_cvt_f32_ubyte0_e32 v2, v1
.LBB177_301:
	s_branch .LBB177_26
.LBB177_302:
	s_mov_b64 s[2:3], 0
.LBB177_303:
	s_mov_b64 s[4:5], 0
                                        ; implicit-def: $vgpr14
.LBB177_304:
	s_and_b64 s[54:55], s[2:3], exec
	s_and_b64 s[56:57], s[6:7], exec
	s_orn2_b64 s[4:5], s[4:5], exec
.LBB177_305:
	s_or_b64 exec, exec, s[58:59]
	s_mov_b64 s[8:9], 0
	s_mov_b64 s[2:3], 0
                                        ; implicit-def: $vgpr4_vgpr5
                                        ; implicit-def: $vgpr0
                                        ; implicit-def: $vgpr2_vgpr3
	s_and_saveexec_b64 s[58:59], s[4:5]
	s_cbranch_execz .LBB177_313
; %bb.306:
	v_cmp_gt_i32_e32 vcc, s70, v14
	s_mov_b64 s[2:3], -1
	s_mov_b64 s[60:61], s[56:57]
	s_mov_b64 s[62:63], s[54:55]
	s_and_saveexec_b64 s[64:65], vcc
	s_cbranch_execz .LBB177_620
; %bb.307:
	s_andn2_b64 vcc, exec, s[42:43]
	s_cbranch_vccnz .LBB177_316
; %bb.308:
	s_andn2_b64 vcc, exec, s[52:53]
	s_cbranch_vccnz .LBB177_317
; %bb.309:
	s_add_i32 s63, s75, 1
	s_cmp_eq_u32 s72, 2
	s_cbranch_scc1 .LBB177_318
; %bb.310:
	s_and_b32 s62, s63, 28
	s_mov_b32 s66, 0
	v_mov_b32_e32 v0, 0
	s_waitcnt vmcnt(0)
	v_mov_b32_e32 v2, 0
	s_mov_b64 s[2:3], s[34:35]
	s_mov_b64 s[60:61], s[50:51]
	v_mov_b32_e32 v4, v14
.LBB177_311:                            ; =>This Inner Loop Header: Depth=1
	s_load_dwordx8 s[12:19], s[2:3], 0x4
	s_load_dwordx4 s[36:39], s[2:3], 0x24
	s_load_dwordx8 s[4:11], s[60:61], 0x0
	s_add_u32 s2, s2, 48
	s_addc_u32 s3, s3, 0
	s_waitcnt lgkmcnt(0)
	v_mul_hi_u32 v1, s13, v4
	v_add_u32_e32 v1, v4, v1
	v_lshrrev_b32_e32 v1, s14, v1
	v_mul_lo_u32 v3, v1, s12
	v_mul_hi_u32 v5, s16, v1
	v_sub_u32_e32 v3, v4, v3
	v_add_u32_e32 v4, v1, v5
	v_lshrrev_b32_e32 v4, s17, v4
	v_mul_lo_u32 v6, v4, s15
	v_mul_hi_u32 v7, s19, v4
	v_sub_u32_e32 v1, v1, v6
	v_add_u32_e32 v6, v4, v7
	v_mul_lo_u32 v5, v3, s5
	v_mul_lo_u32 v3, v3, s4
	;; [unrolled: 1-line block ×4, first 2 shown]
	v_lshrrev_b32_e32 v6, s36, v6
	v_add3_u32 v0, v3, v0, v1
	v_mul_hi_u32 v3, s38, v6
	v_add3_u32 v1, v5, v2, v7
	v_mul_lo_u32 v2, v6, s18
	v_add_u32_e32 v3, v6, v3
	v_sub_u32_e32 v2, v4, v2
	v_lshrrev_b32_e32 v4, s39, v3
	s_add_i32 s66, s66, 4
	v_mul_lo_u32 v3, v4, s37
	s_add_u32 s60, s60, 32
	v_sub_u32_e32 v3, v6, v3
	s_addc_u32 s61, s61, 0
	v_mul_lo_u32 v5, v2, s8
	v_mul_lo_u32 v2, v2, s9
	;; [unrolled: 1-line block ×4, first 2 shown]
	s_cmp_eq_u32 s62, s66
	v_add3_u32 v2, v2, v1, v3
	v_add3_u32 v0, v5, v0, v6
	s_cbranch_scc0 .LBB177_311
; %bb.312:
	v_mov_b32_e32 v1, v2
	s_branch .LBB177_319
.LBB177_313:
	s_or_b64 exec, exec, s[58:59]
	s_mov_b64 s[6:7], 0
	s_and_saveexec_b64 s[4:5], s[56:57]
	s_cbranch_execnz .LBB177_1036
.LBB177_314:
	s_or_b64 exec, exec, s[4:5]
	s_and_saveexec_b64 s[4:5], s[62:63]
	s_xor_b64 s[4:5], exec, s[4:5]
	s_cbranch_execz .LBB177_1037
.LBB177_315:
	global_load_ubyte v1, v[4:5], off
	s_waitcnt vmcnt(1)
	v_mov_b32_e32 v3, 0
	s_or_b64 s[2:3], s[2:3], exec
	s_waitcnt vmcnt(0)
	v_cmp_ne_u16_e32 vcc, 0, v1
	s_nop 1
	v_cndmask_b32_e64 v2, 0, 1.0, vcc
	s_or_b64 exec, exec, s[4:5]
	s_and_saveexec_b64 s[4:5], s[8:9]
	s_cbranch_execz .LBB177_1083
	s_branch .LBB177_1038
.LBB177_316:
                                        ; implicit-def: $vgpr2
                                        ; implicit-def: $vgpr0
	s_andn2_b64 vcc, exec, s[2:3]
	s_cbranch_vccz .LBB177_323
	s_branch .LBB177_325
.LBB177_317:
	s_waitcnt vmcnt(0)
	v_mov_b32_e32 v2, 0
	v_mov_b32_e32 v0, 0
	s_branch .LBB177_322
.LBB177_318:
	v_mov_b32_e32 v0, 0
	s_mov_b32 s62, 0
	v_mov_b32_e32 v1, v0
                                        ; implicit-def: $vgpr2
	v_mov_b32_e32 v4, v14
.LBB177_319:
	s_and_b32 s6, s63, 3
	s_cmp_eq_u32 s6, 0
	s_cbranch_scc1 .LBB177_322
; %bb.320:
	s_lshl_b32 s2, s62, 3
	s_add_u32 s2, s34, s2
	s_addc_u32 s3, s35, 0
	s_add_u32 s2, s2, 0xc4
	s_addc_u32 s3, s3, 0
	s_mul_i32 s4, s62, 12
	s_add_u32 s4, s34, s4
	s_addc_u32 s5, s35, 0
.LBB177_321:                            ; =>This Inner Loop Header: Depth=1
	s_load_dwordx2 s[8:9], s[4:5], 0x4
	s_load_dword s7, s[4:5], 0xc
	s_load_dwordx2 s[10:11], s[2:3], 0x0
	s_waitcnt vmcnt(0)
	v_mov_b32_e32 v2, v1
	s_add_u32 s4, s4, 12
	s_waitcnt lgkmcnt(0)
	v_mul_hi_u32 v1, s9, v4
	v_add_u32_e32 v1, v4, v1
	v_lshrrev_b32_e32 v1, s7, v1
	s_addc_u32 s5, s5, 0
	v_mul_lo_u32 v3, v1, s8
	s_add_u32 s2, s2, 8
	v_sub_u32_e32 v5, v4, v3
	s_addc_u32 s3, s3, 0
	s_add_i32 s6, s6, -1
	v_mov_b32_e32 v4, v1
	v_mad_u64_u32 v[2:3], s[8:9], v5, s11, v[2:3]
	v_mad_u64_u32 v[0:1], s[8:9], v5, s10, v[0:1]
	s_cmp_lg_u32 s6, 0
	v_mov_b32_e32 v1, v2
	s_cbranch_scc1 .LBB177_321
.LBB177_322:
	s_cbranch_execnz .LBB177_325
.LBB177_323:
	s_waitcnt lgkmcnt(0)
	v_mul_hi_u32 v0, s29, v14
	v_add_u32_e32 v0, v14, v0
	v_lshrrev_b32_e32 v1, s30, v0
	v_mul_lo_u32 v0, v1, s28
	v_sub_u32_e32 v0, v14, v0
	s_waitcnt vmcnt(0)
	v_mul_lo_u32 v2, v0, s25
	s_andn2_b64 vcc, exec, s[48:49]
	v_mul_lo_u32 v0, v0, s24
	s_cbranch_vccnz .LBB177_325
; %bb.324:
	v_mul_hi_u32 v3, s46, v1
	v_add_u32_e32 v3, v1, v3
	v_lshrrev_b32_e32 v3, s47, v3
	v_mul_lo_u32 v3, v3, s31
	v_sub_u32_e32 v3, v1, v3
	v_mad_u64_u32 v[0:1], s[2:3], v3, s26, v[0:1]
	v_mad_u64_u32 v[2:3], s[2:3], v3, s27, v[2:3]
.LBB177_325:
	s_waitcnt vmcnt(0)
	v_mov_b32_e32 v3, 0
	s_and_b32 s10, 0xffff, s74
	s_cmp_lt_i32 s10, 11
	s_waitcnt lgkmcnt(0)
	v_lshl_add_u64 v[4:5], s[22:23], 0, v[2:3]
	s_cbranch_scc1 .LBB177_332
; %bb.326:
	s_cmp_gt_i32 s10, 25
	s_cbranch_scc0 .LBB177_346
; %bb.327:
	s_cmp_gt_i32 s10, 28
	s_cbranch_scc0 .LBB177_347
	;; [unrolled: 3-line block ×4, first 2 shown]
; %bb.330:
	s_cmp_eq_u32 s10, 46
	s_mov_b64 s[4:5], 0
	s_cbranch_scc0 .LBB177_391
; %bb.331:
	global_load_dword v1, v[4:5], off
	s_mov_b64 s[2:3], -1
	s_mov_b64 s[6:7], 0
	s_waitcnt vmcnt(0)
	v_and_b32_e32 v3, 0xffff0000, v1
	v_lshlrev_b32_e32 v2, 16, v1
	s_branch .LBB177_392
.LBB177_332:
	s_mov_b64 s[2:3], 0
                                        ; implicit-def: $vgpr2_vgpr3
	s_mov_b64 s[6:7], s[56:57]
	s_cbranch_execnz .LBB177_569
.LBB177_333:
	s_andn2_b64 vcc, exec, s[2:3]
	s_cbranch_vccnz .LBB177_617
.LBB177_334:
	s_waitcnt vmcnt(0)
	v_cmp_neq_f32_e32 vcc, 0, v2
	v_cmp_neq_f32_e64 s[2:3], 0, v3
	v_mov_b32_e32 v1, 0
	s_or_b64 s[2:3], vcc, s[2:3]
	s_and_saveexec_b64 s[8:9], s[2:3]
	s_cbranch_execz .LBB177_370
; %bb.335:
	v_mov_b32_e32 v1, 0x7f800000
	v_cmp_neq_f32_e64 s[2:3], |v3|, v1
	s_and_saveexec_b64 s[10:11], s[2:3]
	s_cbranch_execz .LBB177_369
; %bb.336:
	v_cmp_o_f32_e32 vcc, v2, v2
                                        ; implicit-def: $vgpr1
	s_and_saveexec_b64 s[2:3], vcc
	s_xor_b64 s[12:13], exec, s[2:3]
	s_cbranch_execz .LBB177_366
; %bb.337:
	s_mov_b32 s2, 0x7f800000
	v_cmp_neq_f32_e64 s[2:3], |v2|, s2
                                        ; implicit-def: $vgpr1
	s_and_saveexec_b64 s[4:5], s[2:3]
	s_xor_b64 s[14:15], exec, s[4:5]
	s_cbranch_execz .LBB177_359
; %bb.338:
	v_max_f32_e64 v1, |v3|, |v3|
	v_max_f32_e64 v4, |v2|, |v2|
	v_max_f32_e32 v1, v4, v1
	s_mov_b32 s2, 0x7ed413cb
	v_cmp_nle_f32_e64 s[2:3], s2, v1
                                        ; implicit-def: $sgpr16_sgpr17
	s_and_saveexec_b64 s[4:5], s[2:3]
	s_xor_b64 s[4:5], exec, s[4:5]
	s_cbranch_execz .LBB177_342
; %bb.339:
	s_mov_b32 s18, 0x1000000
	v_cmp_le_f32_e64 s[16:17], |v2|, s18
	v_cmp_le_f32_e64 s[18:19], |v3|, s18
	s_and_b64 s[36:37], s[16:17], s[18:19]
	s_mov_b64 s[16:17], 0
	s_and_saveexec_b64 s[18:19], s[36:37]
; %bb.340:
	s_mov_b64 s[16:17], exec
	v_pk_mul_f32 v[2:3], v[2:3], 4.0 op_sel_hi:[1,0]
; %bb.341:
	s_or_b64 exec, exec, s[18:19]
.LBB177_342:
	s_andn2_saveexec_b64 s[4:5], s[4:5]
; %bb.343:
	s_mov_b32 s18, 0x3e800000
	v_pk_mul_f32 v[2:3], v[2:3], s[18:19] op_sel_hi:[1,0]
	s_andn2_b64 s[16:17], s[16:17], exec
; %bb.344:
	s_or_b64 exec, exec, s[4:5]
	v_max_f32_e64 v1, |v3|, |v3|
	v_max_f32_e64 v4, |v2|, |v2|
	v_max_f32_e32 v1, v4, v1
	v_cvt_f64_f32_e32 v[4:5], v1
	v_frexp_exp_i32_f64_e32 v4, v[4:5]
	v_sub_u32_e32 v5, 0, v4
	v_ldexp_f32 v6, |v2|, v5
	v_ldexp_f32 v5, |v3|, v5
	v_mul_f32_e32 v5, v5, v5
	v_fmac_f32_e32 v5, v6, v6
	v_sqrt_f32_e32 v5, v5
	s_mov_b32 s4, 0x7f800000
	v_cmp_neq_f32_e64 s[4:5], s4, v1
	v_cmp_le_f32_e32 vcc, 0, v2
	v_ldexp_f32 v4, v5, v4
	v_mov_b32_e32 v5, 0x7f800000
	v_cndmask_b32_e64 v1, v5, v4, s[4:5]
                                        ; implicit-def: $vgpr4_vgpr5
	s_and_saveexec_b64 s[4:5], vcc
	s_xor_b64 s[18:19], exec, s[4:5]
	s_cbranch_execz .LBB177_352
; %bb.345:
	v_add_f32_e32 v1, v2, v1
	v_mul_f32_e32 v1, 0.5, v1
	s_mov_b32 s4, 0xf800000
	v_mul_f32_e32 v2, 0x4f800000, v1
	v_cmp_gt_f32_e32 vcc, s4, v1
	s_nop 1
	v_cndmask_b32_e32 v1, v1, v2, vcc
	v_sqrt_f32_e32 v2, v1
	s_nop 0
	v_add_u32_e32 v4, -1, v2
	v_fma_f32 v5, -v4, v2, v1
	v_cmp_ge_f32_e64 s[4:5], 0, v5
	v_add_u32_e32 v5, 1, v2
	s_nop 0
	v_cndmask_b32_e64 v4, v2, v4, s[4:5]
	v_fma_f32 v2, -v5, v2, v1
	v_cmp_lt_f32_e64 s[4:5], 0, v2
	s_nop 1
	v_cndmask_b32_e64 v2, v4, v5, s[4:5]
	v_mul_f32_e32 v4, 0x37800000, v2
	v_cndmask_b32_e32 v2, v2, v4, vcc
	v_mov_b32_e32 v4, 0x260
	v_cmp_class_f32_e32 vcc, v1, v4
	s_nop 1
	v_cndmask_b32_e32 v4, v2, v1, vcc
	v_add_f32_e32 v1, v4, v4
	v_div_scale_f32 v2, s[4:5], v1, v1, v3
	v_rcp_f32_e32 v5, v2
	s_nop 0
	v_fma_f32 v6, -v2, v5, 1.0
	v_fmac_f32_e32 v5, v6, v5
	v_div_scale_f32 v6, vcc, v3, v1, v3
	v_mul_f32_e32 v7, v6, v5
	v_fma_f32 v8, -v2, v7, v6
	v_fmac_f32_e32 v7, v8, v5
	v_fma_f32 v2, -v2, v7, v6
	v_div_fmas_f32 v2, v2, v5, v7
	v_div_fixup_f32 v5, v2, v1, v3
                                        ; implicit-def: $vgpr1
                                        ; implicit-def: $vgpr2_vgpr3
	s_andn2_saveexec_b64 s[18:19], s[18:19]
	s_cbranch_execz .LBB177_354
	s_branch .LBB177_353
.LBB177_346:
	s_mov_b64 s[4:5], -1
	s_mov_b64 s[2:3], 0
	s_mov_b64 s[6:7], s[56:57]
                                        ; implicit-def: $vgpr2_vgpr3
	s_branch .LBB177_535
.LBB177_347:
	s_mov_b64 s[4:5], -1
	s_mov_b64 s[2:3], 0
	s_mov_b64 s[6:7], s[56:57]
                                        ; implicit-def: $vgpr2_vgpr3
	s_branch .LBB177_514
.LBB177_348:
	s_mov_b64 s[4:5], -1
	s_mov_b64 s[2:3], 0
	s_mov_b64 s[6:7], s[56:57]
                                        ; implicit-def: $vgpr2_vgpr3
	s_branch .LBB177_509
.LBB177_349:
	s_andn2_saveexec_b64 s[10:11], s[10:11]
	s_cbranch_execz .LBB177_107
.LBB177_350:
	s_mov_b32 s14, 0x46000000
	v_add_f32_e64 v2, |v4|, s14
	v_and_b32_e32 v2, 0xff, v2
	v_cmp_ne_u32_e32 vcc, 0, v2
	s_andn2_b64 s[8:9], s[8:9], exec
	s_and_b64 s[14:15], vcc, exec
	s_or_b64 s[8:9], s[8:9], s[14:15]
	s_or_b64 exec, exec, s[10:11]
	v_mov_b32_e32 v3, 0
	s_and_saveexec_b64 s[10:11], s[8:9]
	s_cbranch_execnz .LBB177_108
	s_branch .LBB177_109
.LBB177_351:
	s_mov_b64 s[4:5], -1
	s_mov_b64 s[2:3], 0
	s_mov_b64 s[6:7], s[56:57]
                                        ; implicit-def: $vgpr2_vgpr3
	s_branch .LBB177_392
.LBB177_352:
	s_andn2_saveexec_b64 s[18:19], s[18:19]
	s_cbranch_execz .LBB177_354
.LBB177_353:
	v_sub_f32_e32 v1, v1, v2
	v_mul_f32_e32 v1, 0.5, v1
	s_mov_b32 s4, 0xf800000
	v_mul_f32_e32 v2, 0x4f800000, v1
	v_cmp_gt_f32_e32 vcc, s4, v1
	s_nop 1
	v_cndmask_b32_e32 v1, v1, v2, vcc
	v_sqrt_f32_e32 v2, v1
	s_nop 0
	v_add_u32_e32 v4, -1, v2
	v_fma_f32 v5, -v4, v2, v1
	v_cmp_ge_f32_e64 s[4:5], 0, v5
	v_add_u32_e32 v5, 1, v2
	s_nop 0
	v_cndmask_b32_e64 v4, v2, v4, s[4:5]
	v_fma_f32 v2, -v5, v2, v1
	v_cmp_lt_f32_e64 s[4:5], 0, v2
	s_nop 1
	v_cndmask_b32_e64 v2, v4, v5, s[4:5]
	v_mul_f32_e32 v4, 0x37800000, v2
	v_cndmask_b32_e32 v2, v2, v4, vcc
	v_mov_b32_e32 v4, 0x260
	v_cmp_class_f32_e32 vcc, v1, v4
	v_and_b32_e32 v4, 0x7fffffff, v3
	s_nop 0
	v_cndmask_b32_e32 v1, v2, v1, vcc
	v_add_f32_e32 v2, v1, v1
	v_div_scale_f32 v5, s[4:5], v2, v2, v4
	v_rcp_f32_e32 v6, v5
	v_div_scale_f32 v4, vcc, v4, v2, v4
	s_brev_b32 s4, -2
	v_fma_f32 v7, -v5, v6, 1.0
	v_fmac_f32_e32 v6, v7, v6
	v_mul_f32_e32 v7, v4, v6
	v_fma_f32 v8, -v5, v7, v4
	v_fmac_f32_e32 v7, v8, v6
	v_fma_f32 v4, -v5, v7, v4
	v_div_fmas_f32 v4, v4, v6, v7
	v_div_fixup_f32 v4, v4, v2, |v3|
	v_bfi_b32 v5, s4, v1, v3
.LBB177_354:
	s_or_b64 exec, exec, s[18:19]
                                        ; implicit-def: $vgpr3
                                        ; implicit-def: $vgpr1
	s_and_saveexec_b64 s[4:5], s[2:3]
	s_xor_b64 s[2:3], exec, s[4:5]
	s_cbranch_execz .LBB177_356
; %bb.355:
	v_pk_mul_f32 v[2:3], v[4:5], 0.5 op_sel_hi:[1,0]
	s_nop 0
	v_cndmask_b32_e64 v1, v4, v2, s[16:17]
	v_cndmask_b32_e64 v3, v5, v3, s[16:17]
                                        ; implicit-def: $vgpr4_vgpr5
	s_andn2_saveexec_b64 s[2:3], s[2:3]
	s_cbranch_execnz .LBB177_357
	s_branch .LBB177_358
.LBB177_356:
	s_andn2_saveexec_b64 s[2:3], s[2:3]
.LBB177_357:
	v_pk_add_f32 v[2:3], v[4:5], v[4:5]
	s_nop 0
	v_mov_b32_e32 v1, v2
.LBB177_358:
	s_or_b64 exec, exec, s[2:3]
.LBB177_359:
	s_andn2_saveexec_b64 s[2:3], s[14:15]
	s_cbranch_execz .LBB177_365
; %bb.360:
	v_sub_f32_e32 v4, v3, v3
	v_cmp_lt_i32_e32 vcc, -1, v2
	s_brev_b32 s14, -2
	v_and_b32_e32 v1, 0x7fffffff, v4
	s_and_saveexec_b64 s[4:5], vcc
	s_xor_b64 s[4:5], exec, s[4:5]
; %bb.361:
	v_bfi_b32 v3, s14, v4, v3
	v_mov_b32_e32 v1, v2
; %bb.362:
	s_andn2_saveexec_b64 s[4:5], s[4:5]
; %bb.363:
	v_bfi_b32 v3, s14, v2, v3
; %bb.364:
	s_or_b64 exec, exec, s[4:5]
.LBB177_365:
	s_or_b64 exec, exec, s[2:3]
.LBB177_366:
	s_andn2_saveexec_b64 s[2:3], s[12:13]
	s_cbranch_execz .LBB177_368
; %bb.367:
	v_sub_f32_e32 v1, v3, v3
	v_div_scale_f32 v3, vcc, v1, v1, v1
	v_rcp_f32_e32 v4, v3
	s_nop 0
	v_fma_f32 v5, -v3, v4, 1.0
	v_fmac_f32_e32 v4, v5, v4
	v_mul_f32_e32 v5, v3, v4
	v_fma_f32 v6, -v3, v5, v3
	v_fmac_f32_e32 v5, v6, v4
	v_fma_f32 v3, -v3, v5, v3
	v_div_fmas_f32 v3, v3, v4, v5
	v_div_fixup_f32 v3, v3, v1, v1
	v_mov_b32_e32 v1, v2
.LBB177_368:
	s_or_b64 exec, exec, s[2:3]
.LBB177_369:
	s_or_b64 exec, exec, s[10:11]
.LBB177_370:
	s_or_b64 exec, exec, s[8:9]
	v_cmp_gt_f32_e32 vcc, 0, v3
                                        ; implicit-def: $vgpr4_vgpr5
	s_nop 1
	v_cndmask_b32_e64 v6, v3, -v3, vcc
	v_cmp_gt_f32_e32 vcc, 0, v1
	s_nop 1
	v_cndmask_b32_e64 v2, v1, -v1, vcc
	v_cmp_ge_f32_e32 vcc, v2, v6
	s_and_saveexec_b64 s[2:3], vcc
	s_xor_b64 s[4:5], exec, s[2:3]
	s_cbranch_execz .LBB177_376
; %bb.371:
	v_cmp_neq_f32_e32 vcc, 0, v1
	v_cmp_neq_f32_e64 s[2:3], 0, v3
	s_or_b64 s[2:3], vcc, s[2:3]
                                        ; implicit-def: $vgpr4_vgpr5
	s_and_saveexec_b64 s[8:9], s[2:3]
	s_xor_b64 s[2:3], exec, s[8:9]
	s_cbranch_execz .LBB177_373
; %bb.372:
	v_div_scale_f32 v2, s[8:9], v1, v1, v3
	v_rcp_f32_e32 v4, v2
	v_div_scale_f32 v5, vcc, v3, v1, v3
	v_fma_f32 v6, -v2, v4, 1.0
	v_fmac_f32_e32 v4, v6, v4
	v_mul_f32_e32 v6, v5, v4
	v_fma_f32 v7, -v2, v6, v5
	v_fmac_f32_e32 v6, v7, v4
	v_fma_f32 v2, -v2, v6, v5
	v_div_fmas_f32 v2, v2, v4, v6
	v_div_fixup_f32 v5, v2, v1, v3
	v_fmac_f32_e32 v1, v3, v5
	v_div_scale_f32 v2, s[8:9], v1, v1, 1.0
	v_rcp_f32_e32 v3, v2
	s_nop 0
	v_fma_f32 v4, -v2, v3, 1.0
	v_fmac_f32_e32 v3, v4, v3
	v_div_scale_f32 v4, vcc, 1.0, v1, 1.0
	v_mul_f32_e32 v6, v4, v3
	v_fma_f32 v7, -v2, v6, v4
	v_fmac_f32_e32 v6, v7, v3
	v_fma_f32 v2, -v2, v6, v4
	v_div_fmas_f32 v2, v2, v3, v6
	v_div_fixup_f32 v2, v2, v1, 1.0
	v_mul_f32_e32 v1, 0, v5
	v_add_f32_e32 v4, 1.0, v1
	v_sub_f32_e32 v5, 0, v5
	v_pk_mul_f32 v[4:5], v[4:5], v[2:3] op_sel_hi:[1,0]
                                        ; implicit-def: $vgpr6
                                        ; implicit-def: $vgpr2
.LBB177_373:
	s_andn2_saveexec_b64 s[2:3], s[2:3]
	s_cbranch_execz .LBB177_375
; %bb.374:
	v_div_scale_f32 v1, s[8:9], v6, v6, 0
	v_rcp_f32_e32 v3, v1
	v_div_scale_f32 v4, vcc, 0, v6, 0
	v_fma_f32 v5, -v1, v3, 1.0
	v_fmac_f32_e32 v3, v5, v3
	v_mul_f32_e32 v5, v4, v3
	v_fma_f32 v7, -v1, v5, v4
	v_fmac_f32_e32 v5, v7, v3
	v_fma_f32 v1, -v1, v5, v4
	v_div_scale_f32 v4, s[8:9], v2, v2, 1.0
	v_rcp_f32_e32 v7, v4
	v_div_fmas_f32 v1, v1, v3, v5
	v_div_fixup_f32 v5, v1, v6, 0
	v_fma_f32 v1, -v4, v7, 1.0
	v_fmac_f32_e32 v7, v1, v7
	v_div_scale_f32 v1, vcc, 1.0, v2, 1.0
	v_mul_f32_e32 v3, v1, v7
	v_fma_f32 v6, -v4, v3, v1
	v_fmac_f32_e32 v3, v6, v7
	v_fma_f32 v1, -v4, v3, v1
	v_div_fmas_f32 v1, v1, v7, v3
	v_div_fixup_f32 v4, v1, v2, 1.0
.LBB177_375:
	s_or_b64 exec, exec, s[2:3]
                                        ; implicit-def: $vgpr3
                                        ; implicit-def: $vgpr1
.LBB177_376:
	s_andn2_saveexec_b64 s[2:3], s[4:5]
	s_cbranch_execz .LBB177_378
; %bb.377:
	v_div_scale_f32 v2, s[4:5], v3, v3, v1
	v_rcp_f32_e32 v4, v2
	v_div_scale_f32 v5, vcc, v1, v3, v1
	v_fma_f32 v6, -v2, v4, 1.0
	v_fmac_f32_e32 v4, v6, v4
	v_mul_f32_e32 v6, v5, v4
	v_fma_f32 v7, -v2, v6, v5
	v_fmac_f32_e32 v6, v7, v4
	v_fma_f32 v2, -v2, v6, v5
	v_div_fmas_f32 v2, v2, v4, v6
	v_div_fixup_f32 v2, v2, v3, v1
	v_fmac_f32_e32 v3, v1, v2
	v_div_scale_f32 v1, s[4:5], v3, v3, 1.0
	v_rcp_f32_e32 v4, v1
	s_mov_b32 s4, 0
	s_mov_b32 s5, -1.0
	v_fma_f32 v5, -v1, v4, 1.0
	v_fmac_f32_e32 v4, v5, v4
	v_div_scale_f32 v5, vcc, 1.0, v3, 1.0
	v_mul_f32_e32 v6, v5, v4
	v_fma_f32 v7, -v1, v6, v5
	v_fmac_f32_e32 v6, v7, v4
	v_fma_f32 v1, -v1, v6, v5
	v_div_fmas_f32 v1, v1, v4, v6
	v_div_fixup_f32 v4, v1, v3, 1.0
	v_mul_f32_e32 v3, 0, v2
	v_pk_add_f32 v[2:3], v[2:3], s[4:5]
	s_nop 0
	v_pk_mul_f32 v[4:5], v[2:3], v[4:5] op_sel_hi:[1,0]
.LBB177_378:
	s_or_b64 exec, exec, s[2:3]
	v_mov_b32_e32 v1, 0
	s_and_b32 s12, s73, 0xff
	s_cmp_lt_i32 s12, 11
	v_lshl_add_u64 v[0:1], s[20:21], 0, v[0:1]
	s_cbranch_scc1 .LBB177_385
; %bb.379:
	s_and_b32 s13, 0xffff, s12
	s_cmp_gt_i32 s13, 25
	s_cbranch_scc0 .LBB177_386
; %bb.380:
	s_cmp_gt_i32 s13, 28
	s_cbranch_scc0 .LBB177_387
; %bb.381:
	;; [unrolled: 3-line block ×4, first 2 shown]
	s_mov_b64 s[8:9], 0
	s_mov_b64 s[2:3], -1
	s_cmp_eq_u32 s13, 46
	s_mov_b64 s[4:5], 0
	s_cbranch_scc0 .LBB177_396
; %bb.384:
	s_movk_i32 s2, 0x7fff
	v_bfe_u32 v3, v5, 16, 1
	v_add3_u32 v3, v5, v3, s2
	v_bfe_u32 v2, v4, 16, 1
	v_and_b32_e32 v3, 0xffff0000, v3
	v_mov_b32_e32 v6, 0x7fc00000
	v_cmp_o_f32_e32 vcc, v5, v5
	v_add3_u32 v2, v4, v2, s2
	s_mov_b64 s[4:5], -1
	v_cndmask_b32_e32 v3, v6, v3, vcc
	v_cmp_o_f32_e32 vcc, v4, v4
	v_mov_b32_e32 v6, 0x7fc0
	s_mov_b64 s[2:3], 0
	v_cndmask_b32_sdwa v2, v6, v2, vcc dst_sel:DWORD dst_unused:UNUSED_PAD src0_sel:DWORD src1_sel:WORD_1
	v_or_b32_e32 v2, v3, v2
	global_store_dword v[0:1], v2, off
	s_branch .LBB177_396
.LBB177_385:
	s_mov_b64 s[8:9], -1
	s_mov_b64 s[4:5], 0
	s_mov_b64 s[2:3], s[54:55]
	s_branch .LBB177_465
.LBB177_386:
	s_mov_b64 s[8:9], -1
	s_mov_b64 s[4:5], 0
	s_mov_b64 s[2:3], s[54:55]
	s_branch .LBB177_423
.LBB177_387:
	s_mov_b64 s[8:9], -1
	s_mov_b64 s[4:5], 0
	s_mov_b64 s[2:3], s[54:55]
	s_branch .LBB177_406
.LBB177_388:
	s_mov_b64 s[8:9], -1
	s_mov_b64 s[4:5], 0
	s_mov_b64 s[2:3], s[54:55]
	s_branch .LBB177_402
.LBB177_389:
	s_andn2_saveexec_b64 s[10:11], s[10:11]
	s_cbranch_execz .LBB177_120
.LBB177_390:
	s_mov_b32 s14, 0x42800000
	v_add_f32_e64 v2, |v4|, s14
	v_and_b32_e32 v2, 0xff, v2
	v_cmp_ne_u32_e32 vcc, 0, v2
	s_andn2_b64 s[8:9], s[8:9], exec
	s_and_b64 s[14:15], vcc, exec
	s_or_b64 s[8:9], s[8:9], s[14:15]
	s_or_b64 exec, exec, s[10:11]
	v_mov_b32_e32 v3, 0
	s_and_saveexec_b64 s[10:11], s[8:9]
	s_cbranch_execnz .LBB177_121
	s_branch .LBB177_122
.LBB177_391:
	s_mov_b64 s[6:7], -1
                                        ; implicit-def: $vgpr2_vgpr3
	s_mov_b64 s[2:3], 0
.LBB177_392:
	s_and_b64 vcc, exec, s[4:5]
	s_cbranch_vccz .LBB177_508
; %bb.393:
	s_cmp_eq_u32 s10, 44
	s_cbranch_scc0 .LBB177_507
; %bb.394:
	global_load_ubyte v1, v[4:5], off
	s_movk_i32 s4, 0xff
	v_mov_b32_e32 v2, 0x7f800001
	v_mov_b32_e32 v6, 0x400000
	;; [unrolled: 1-line block ×3, first 2 shown]
	s_mov_b64 s[2:3], -1
	s_mov_b64 s[6:7], 0
	s_waitcnt vmcnt(0)
	v_lshlrev_b32_e32 v7, 23, v1
	v_cmp_ne_u32_e32 vcc, s4, v1
	s_nop 1
	v_cndmask_b32_e32 v2, v2, v7, vcc
	v_cmp_ne_u32_e32 vcc, 0, v1
	s_nop 1
	v_cndmask_b32_e32 v2, v6, v2, vcc
	s_branch .LBB177_508
.LBB177_395:
	s_mov_b64 s[8:9], -1
	s_mov_b64 s[4:5], 0
	s_mov_b64 s[2:3], s[54:55]
.LBB177_396:
	s_and_b64 vcc, exec, s[8:9]
	s_cbranch_vccz .LBB177_401
; %bb.397:
	s_cmp_eq_u32 s13, 44
	s_mov_b64 s[2:3], -1
	s_cbranch_scc0 .LBB177_401
; %bb.398:
	v_bfe_u32 v2, v4, 23, 8
	s_movk_i32 s2, 0xff
	v_cmp_ne_u32_e32 vcc, s2, v2
	v_mov_b32_e32 v3, 0xff
	s_and_saveexec_b64 s[4:5], vcc
; %bb.399:
	s_mov_b32 s2, 0x3fffff
	v_and_b32_e32 v6, 0x400000, v4
	v_and_or_b32 v2, v4, s2, v2
	v_cmp_ne_u32_e32 vcc, 0, v6
	v_cmp_ne_u32_e64 s[2:3], 0, v2
	s_and_b64 s[2:3], vcc, s[2:3]
	v_lshrrev_b32_e32 v3, 23, v4
	v_cndmask_b32_e64 v2, 0, 1, s[2:3]
	v_add_u32_e32 v3, v3, v2
; %bb.400:
	s_or_b64 exec, exec, s[4:5]
	s_mov_b64 s[4:5], -1
	s_mov_b64 s[2:3], 0
	global_store_byte v[0:1], v3, off
.LBB177_401:
	s_mov_b64 s[8:9], 0
.LBB177_402:
	s_and_b64 vcc, exec, s[8:9]
	s_cbranch_vccz .LBB177_405
; %bb.403:
	s_cmp_eq_u32 s13, 29
	s_mov_b64 s[2:3], -1
	s_cbranch_scc0 .LBB177_405
; %bb.404:
	v_trunc_f32_e32 v2, v4
	v_mul_f32_e32 v3, 0x2f800000, v2
	v_floor_f32_e32 v6, v3
	v_fmamk_f32 v2, v6, 0xcf800000, v2
	v_cvt_u32_f32_e32 v3, v6
	v_cvt_u32_f32_e32 v2, v2
	s_mov_b64 s[4:5], -1
	s_mov_b64 s[2:3], 0
	s_mov_b64 s[8:9], 0
	global_store_dwordx2 v[0:1], v[2:3], off
	s_branch .LBB177_406
.LBB177_405:
	s_mov_b64 s[8:9], 0
.LBB177_406:
	s_and_b64 vcc, exec, s[8:9]
	s_cbranch_vccz .LBB177_422
; %bb.407:
	s_cmp_lt_i32 s13, 27
	s_mov_b64 s[4:5], -1
	s_cbranch_scc1 .LBB177_413
; %bb.408:
	v_cvt_u32_f32_e32 v2, v4
	s_cmp_gt_i32 s13, 27
	s_cbranch_scc0 .LBB177_410
; %bb.409:
	s_mov_b64 s[4:5], 0
	global_store_dword v[0:1], v2, off
.LBB177_410:
	s_andn2_b64 vcc, exec, s[4:5]
	s_cbranch_vccnz .LBB177_412
; %bb.411:
	global_store_short v[0:1], v2, off
.LBB177_412:
	s_mov_b64 s[4:5], 0
.LBB177_413:
	s_andn2_b64 vcc, exec, s[4:5]
	s_cbranch_vccnz .LBB177_421
; %bb.414:
	v_and_b32_e32 v2, 0x7fffffff, v4
	s_mov_b32 s4, 0x43800000
	v_cmp_gt_u32_e32 vcc, s4, v2
	v_mov_b32_e32 v3, 0x80
	s_and_saveexec_b64 s[4:5], vcc
	s_cbranch_execz .LBB177_420
; %bb.415:
	s_mov_b32 s8, 0x3bffffff
	v_cmp_lt_u32_e32 vcc, s8, v2
	s_mov_b64 s[8:9], 0
                                        ; implicit-def: $vgpr2
	s_and_saveexec_b64 s[10:11], vcc
	s_xor_b64 s[10:11], exec, s[10:11]
	s_cbranch_execz .LBB177_649
; %bb.416:
	v_bfe_u32 v2, v4, 20, 1
	s_mov_b32 s14, 0x487ffff
	v_add3_u32 v2, v4, v2, s14
	s_mov_b64 s[8:9], exec
	v_lshrrev_b32_e32 v2, 20, v2
	s_andn2_saveexec_b64 s[10:11], s[10:11]
	s_cbranch_execnz .LBB177_650
.LBB177_417:
	s_or_b64 exec, exec, s[10:11]
	v_mov_b32_e32 v3, 0
	s_and_saveexec_b64 s[10:11], s[8:9]
.LBB177_418:
	v_lshrrev_b32_e32 v3, 24, v4
	s_movk_i32 s8, 0x80
	v_and_or_b32 v3, v3, s8, v2
.LBB177_419:
	s_or_b64 exec, exec, s[10:11]
.LBB177_420:
	s_or_b64 exec, exec, s[4:5]
	global_store_byte v[0:1], v3, off
.LBB177_421:
	s_mov_b64 s[4:5], -1
.LBB177_422:
	s_mov_b64 s[8:9], 0
.LBB177_423:
	s_and_b64 vcc, exec, s[8:9]
	s_cbranch_vccz .LBB177_464
; %bb.424:
	s_cmp_gt_i32 s13, 22
	s_mov_b64 s[8:9], -1
	s_cbranch_scc0 .LBB177_456
; %bb.425:
	s_cmp_lt_i32 s13, 24
	s_mov_b64 s[4:5], -1
	s_cbranch_scc1 .LBB177_445
; %bb.426:
	s_cmp_gt_i32 s13, 24
	s_cbranch_scc0 .LBB177_434
; %bb.427:
	v_and_b32_e32 v2, 0x7fffffff, v4
	s_mov_b32 s4, 0x47800000
	v_cmp_gt_u32_e32 vcc, s4, v2
	v_mov_b32_e32 v3, 0x80
	s_and_saveexec_b64 s[4:5], vcc
	s_cbranch_execz .LBB177_433
; %bb.428:
	s_mov_b32 s8, 0x37ffffff
	v_cmp_lt_u32_e32 vcc, s8, v2
	s_mov_b64 s[8:9], 0
                                        ; implicit-def: $vgpr2
	s_and_saveexec_b64 s[10:11], vcc
	s_xor_b64 s[10:11], exec, s[10:11]
	s_cbranch_execz .LBB177_652
; %bb.429:
	v_bfe_u32 v2, v4, 21, 1
	s_mov_b32 s14, 0x88fffff
	v_add3_u32 v2, v4, v2, s14
	s_mov_b64 s[8:9], exec
	v_lshrrev_b32_e32 v2, 21, v2
	s_andn2_saveexec_b64 s[10:11], s[10:11]
	s_cbranch_execnz .LBB177_653
.LBB177_430:
	s_or_b64 exec, exec, s[10:11]
	v_mov_b32_e32 v3, 0
	s_and_saveexec_b64 s[10:11], s[8:9]
.LBB177_431:
	v_lshrrev_b32_e32 v3, 24, v4
	s_movk_i32 s8, 0x80
	v_and_or_b32 v3, v3, s8, v2
.LBB177_432:
	s_or_b64 exec, exec, s[10:11]
.LBB177_433:
	s_or_b64 exec, exec, s[4:5]
	s_mov_b64 s[4:5], 0
	global_store_byte v[0:1], v3, off
.LBB177_434:
	s_and_b64 vcc, exec, s[4:5]
	s_cbranch_vccz .LBB177_444
; %bb.435:
	v_and_b32_e32 v3, 0x7fffffff, v4
	s_mov_b32 s4, 0x43f00000
	v_cmp_gt_u32_e32 vcc, s4, v3
                                        ; implicit-def: $vgpr2
	s_and_saveexec_b64 s[4:5], vcc
	s_xor_b64 s[4:5], exec, s[4:5]
	s_cbranch_execz .LBB177_441
; %bb.436:
	s_mov_b32 s8, 0x3c7fffff
	v_cmp_lt_u32_e32 vcc, s8, v3
                                        ; implicit-def: $vgpr2
	s_and_saveexec_b64 s[8:9], vcc
	s_xor_b64 s[8:9], exec, s[8:9]
; %bb.437:
	v_bfe_u32 v2, v4, 20, 1
	s_mov_b32 s10, 0x407ffff
	v_add3_u32 v2, v4, v2, s10
	v_lshrrev_b32_e32 v3, 20, v2
	v_and_b32_e32 v2, 0xff00000, v2
	s_mov_b32 s10, 0x7f00000
	v_mov_b32_e32 v6, 0x7e
	v_cmp_ne_u32_e32 vcc, s10, v2
	s_nop 1
	v_cndmask_b32_e32 v2, v6, v3, vcc
; %bb.438:
	s_andn2_saveexec_b64 s[8:9], s[8:9]
; %bb.439:
	s_mov_b32 s10, 0x46800000
	v_add_f32_e64 v2, |v4|, s10
; %bb.440:
	s_or_b64 exec, exec, s[8:9]
                                        ; implicit-def: $vgpr3
.LBB177_441:
	s_andn2_saveexec_b64 s[4:5], s[4:5]
; %bb.442:
	s_mov_b32 s8, 0x7f800000
	v_mov_b32_e32 v2, 0x7e
	v_mov_b32_e32 v6, 0x7f
	v_cmp_lt_u32_e32 vcc, s8, v3
	s_nop 1
	v_cndmask_b32_e32 v2, v2, v6, vcc
; %bb.443:
	s_or_b64 exec, exec, s[4:5]
	v_lshrrev_b32_e32 v3, 24, v4
	s_movk_i32 s4, 0x80
	v_and_or_b32 v2, v3, s4, v2
	global_store_byte v[0:1], v2, off
.LBB177_444:
	s_mov_b64 s[4:5], 0
.LBB177_445:
	s_andn2_b64 vcc, exec, s[4:5]
	s_cbranch_vccnz .LBB177_455
; %bb.446:
	v_and_b32_e32 v3, 0x7fffffff, v4
	s_mov_b32 s4, 0x47800000
	v_cmp_gt_u32_e32 vcc, s4, v3
                                        ; implicit-def: $vgpr2
	s_and_saveexec_b64 s[4:5], vcc
	s_xor_b64 s[4:5], exec, s[4:5]
	s_cbranch_execz .LBB177_452
; %bb.447:
	s_mov_b32 s8, 0x387fffff
	v_cmp_lt_u32_e32 vcc, s8, v3
                                        ; implicit-def: $vgpr2
	s_and_saveexec_b64 s[8:9], vcc
	s_xor_b64 s[8:9], exec, s[8:9]
; %bb.448:
	v_bfe_u32 v2, v4, 21, 1
	s_mov_b32 s10, 0x80fffff
	v_add3_u32 v2, v4, v2, s10
	v_lshrrev_b32_e32 v2, 21, v2
; %bb.449:
	s_andn2_saveexec_b64 s[8:9], s[8:9]
; %bb.450:
	s_mov_b32 s10, 0x43000000
	v_add_f32_e64 v2, |v4|, s10
; %bb.451:
	s_or_b64 exec, exec, s[8:9]
                                        ; implicit-def: $vgpr3
.LBB177_452:
	s_andn2_saveexec_b64 s[4:5], s[4:5]
; %bb.453:
	s_mov_b32 s8, 0x7f800000
	v_mov_b32_e32 v2, 0x7c
	v_mov_b32_e32 v6, 0x7f
	v_cmp_lt_u32_e32 vcc, s8, v3
	s_nop 1
	v_cndmask_b32_e32 v2, v2, v6, vcc
; %bb.454:
	s_or_b64 exec, exec, s[4:5]
	v_lshrrev_b32_e32 v3, 24, v4
	s_movk_i32 s4, 0x80
	v_and_or_b32 v2, v3, s4, v2
	global_store_byte v[0:1], v2, off
.LBB177_455:
	s_mov_b64 s[8:9], 0
	s_mov_b64 s[4:5], -1
.LBB177_456:
	s_andn2_b64 vcc, exec, s[8:9]
	s_cbranch_vccnz .LBB177_464
; %bb.457:
	s_cmp_gt_i32 s13, 14
	s_mov_b64 s[8:9], -1
	s_cbranch_scc0 .LBB177_461
; %bb.458:
	s_cmp_eq_u32 s13, 15
	s_mov_b64 s[2:3], -1
	s_cbranch_scc0 .LBB177_460
; %bb.459:
	v_bfe_u32 v2, v4, 16, 1
	s_movk_i32 s2, 0x7fff
	v_add3_u32 v2, v4, v2, s2
	v_cmp_o_f32_e32 vcc, v4, v4
	v_mov_b32_e32 v3, 0x7fc0
	s_mov_b64 s[4:5], -1
	v_cndmask_b32_sdwa v2, v3, v2, vcc dst_sel:DWORD dst_unused:UNUSED_PAD src0_sel:DWORD src1_sel:WORD_1
	global_store_short v[0:1], v2, off
	s_mov_b64 s[2:3], 0
.LBB177_460:
	s_mov_b64 s[8:9], 0
.LBB177_461:
	s_and_b64 vcc, exec, s[8:9]
	s_cbranch_vccz .LBB177_464
; %bb.462:
	s_cmp_eq_u32 s13, 11
	s_mov_b64 s[2:3], -1
	s_cbranch_scc0 .LBB177_464
; %bb.463:
	v_cmp_neq_f32_e32 vcc, 0, v4
	v_cmp_neq_f32_e64 s[2:3], 0, v5
	s_or_b64 s[2:3], vcc, s[2:3]
	s_mov_b64 s[4:5], -1
	v_cndmask_b32_e64 v2, 0, 1, s[2:3]
	s_mov_b64 s[2:3], 0
	global_store_byte v[0:1], v2, off
.LBB177_464:
	s_mov_b64 s[8:9], 0
.LBB177_465:
	s_and_b64 vcc, exec, s[8:9]
	s_cbranch_vccz .LBB177_504
; %bb.466:
	s_and_b32 s8, 0xffff, s12
	s_cmp_lt_i32 s8, 5
	s_mov_b64 s[4:5], -1
	s_cbranch_scc1 .LBB177_487
; %bb.467:
	s_cmp_lt_i32 s8, 8
	s_cbranch_scc1 .LBB177_477
; %bb.468:
	s_cmp_lt_i32 s8, 9
	s_cbranch_scc1 .LBB177_474
; %bb.469:
	s_cmp_gt_i32 s8, 9
	s_cbranch_scc0 .LBB177_471
; %bb.470:
	v_cvt_f64_f32_e32 v[6:7], v4
	v_cvt_f64_f32_e32 v[8:9], v5
	s_mov_b64 s[4:5], 0
	global_store_dwordx4 v[0:1], v[6:9], off
.LBB177_471:
	s_andn2_b64 vcc, exec, s[4:5]
	s_cbranch_vccnz .LBB177_473
; %bb.472:
	global_store_dwordx2 v[0:1], v[4:5], off
.LBB177_473:
	s_mov_b64 s[4:5], 0
.LBB177_474:
	s_andn2_b64 vcc, exec, s[4:5]
	s_cbranch_vccnz .LBB177_476
; %bb.475:
	v_cvt_f16_f32_e32 v2, v4
	v_cvt_f16_f32_sdwa v3, v5 dst_sel:WORD_1 dst_unused:UNUSED_PAD src0_sel:DWORD
	s_nop 0
	v_or_b32_e32 v2, v3, v2
	global_store_dword v[0:1], v2, off
.LBB177_476:
	s_mov_b64 s[4:5], 0
.LBB177_477:
	s_andn2_b64 vcc, exec, s[4:5]
	s_cbranch_vccnz .LBB177_486
; %bb.478:
	s_cmp_lt_i32 s8, 6
	s_mov_b64 s[4:5], -1
	s_cbranch_scc1 .LBB177_484
; %bb.479:
	s_cmp_gt_i32 s8, 6
	s_cbranch_scc0 .LBB177_481
; %bb.480:
	v_cvt_f64_f32_e32 v[2:3], v4
	s_mov_b64 s[4:5], 0
	global_store_dwordx2 v[0:1], v[2:3], off
.LBB177_481:
	s_andn2_b64 vcc, exec, s[4:5]
	s_cbranch_vccnz .LBB177_483
; %bb.482:
	global_store_dword v[0:1], v4, off
.LBB177_483:
	s_mov_b64 s[4:5], 0
.LBB177_484:
	s_andn2_b64 vcc, exec, s[4:5]
	s_cbranch_vccnz .LBB177_486
; %bb.485:
	v_cvt_f16_f32_e32 v2, v4
	global_store_short v[0:1], v2, off
.LBB177_486:
	s_mov_b64 s[4:5], 0
.LBB177_487:
	s_andn2_b64 vcc, exec, s[4:5]
	s_cbranch_vccnz .LBB177_503
; %bb.488:
	s_cmp_lt_i32 s8, 2
	s_mov_b64 s[4:5], -1
	s_cbranch_scc1 .LBB177_498
; %bb.489:
	s_cmp_lt_i32 s8, 3
	s_cbranch_scc1 .LBB177_495
; %bb.490:
	s_cmp_gt_i32 s8, 3
	s_cbranch_scc0 .LBB177_492
; %bb.491:
	v_trunc_f32_e32 v2, v4
	s_mov_b32 s4, 0x2f800000
	v_mul_f32_e64 v3, |v2|, s4
	v_floor_f32_e32 v3, v3
	s_mov_b32 s4, 0xcf800000
	v_cvt_u32_f32_e32 v5, v3
	v_fma_f32 v3, v3, s4, |v2|
	v_cvt_u32_f32_e32 v3, v3
	v_ashrrev_i32_e32 v6, 31, v2
	v_xor_b32_e32 v5, v5, v6
	s_mov_b64 s[4:5], 0
	v_xor_b32_e32 v2, v3, v6
	v_sub_co_u32_e32 v2, vcc, v2, v6
	s_nop 1
	v_subb_co_u32_e32 v3, vcc, v5, v6, vcc
	global_store_dwordx2 v[0:1], v[2:3], off
.LBB177_492:
	s_andn2_b64 vcc, exec, s[4:5]
	s_cbranch_vccnz .LBB177_494
; %bb.493:
	v_cvt_i32_f32_e32 v2, v4
	global_store_dword v[0:1], v2, off
.LBB177_494:
	s_mov_b64 s[4:5], 0
.LBB177_495:
	s_andn2_b64 vcc, exec, s[4:5]
	s_cbranch_vccnz .LBB177_497
; %bb.496:
	v_cvt_i32_f32_e32 v2, v4
	global_store_short v[0:1], v2, off
.LBB177_497:
	s_mov_b64 s[4:5], 0
.LBB177_498:
	s_andn2_b64 vcc, exec, s[4:5]
	s_cbranch_vccnz .LBB177_503
; %bb.499:
	s_cmp_gt_i32 s8, 0
	s_mov_b64 s[4:5], -1
	s_cbranch_scc0 .LBB177_501
; %bb.500:
	v_cvt_i32_f32_e32 v2, v4
	s_mov_b64 s[4:5], 0
	global_store_byte v[0:1], v2, off
.LBB177_501:
	s_andn2_b64 vcc, exec, s[4:5]
	s_cbranch_vccnz .LBB177_503
; %bb.502:
	v_trunc_f32_e32 v2, v4
	s_mov_b32 s4, 0x2f800000
	v_mul_f32_e64 v3, |v2|, s4
	v_floor_f32_e32 v3, v3
	s_mov_b32 s4, 0xcf800000
	v_fma_f32 v3, v3, s4, |v2|
	v_cvt_u32_f32_e32 v3, v3
	v_ashrrev_i32_e32 v2, 31, v2
	v_xor_b32_e32 v3, v3, v2
	v_sub_u32_e32 v2, v3, v2
	global_store_byte v[0:1], v2, off
.LBB177_503:
	s_mov_b64 s[4:5], -1
.LBB177_504:
	s_andn2_b64 vcc, exec, s[4:5]
	s_cbranch_vccnz .LBB177_506
; %bb.505:
	v_add_u32_e32 v14, 0x80, v14
	s_mov_b64 s[4:5], -1
	s_branch .LBB177_619
.LBB177_506:
	s_mov_b64 s[4:5], 0
	s_branch .LBB177_618
.LBB177_507:
	s_mov_b64 s[6:7], -1
                                        ; implicit-def: $vgpr2_vgpr3
.LBB177_508:
	s_mov_b64 s[4:5], 0
.LBB177_509:
	s_and_b64 vcc, exec, s[4:5]
	s_cbranch_vccz .LBB177_513
; %bb.510:
	s_cmp_eq_u32 s10, 29
	s_cbranch_scc0 .LBB177_512
; %bb.511:
	global_load_dwordx2 v[2:3], v[4:5], off
	s_mov_b64 s[2:3], -1
	s_mov_b64 s[6:7], 0
	s_mov_b64 s[4:5], 0
	s_waitcnt vmcnt(0)
	v_ffbh_u32_e32 v1, v3
	v_min_u32_e32 v1, 32, v1
	v_lshlrev_b64 v[2:3], v1, v[2:3]
	v_min_u32_e32 v2, 1, v2
	v_or_b32_e32 v2, v3, v2
	v_cvt_f32_u32_e32 v2, v2
	v_sub_u32_e32 v1, 32, v1
	v_mov_b32_e32 v3, 0
	v_ldexp_f32 v2, v2, v1
	s_branch .LBB177_514
.LBB177_512:
	s_mov_b64 s[6:7], -1
                                        ; implicit-def: $vgpr2_vgpr3
.LBB177_513:
	s_mov_b64 s[4:5], 0
.LBB177_514:
	s_and_b64 vcc, exec, s[4:5]
	s_cbranch_vccz .LBB177_534
; %bb.515:
	s_cmp_lt_i32 s10, 27
	s_cbranch_scc1 .LBB177_518
; %bb.516:
	s_cmp_gt_i32 s10, 27
	s_cbranch_scc0 .LBB177_519
; %bb.517:
	global_load_dword v1, v[4:5], off
	v_mov_b32_e32 v3, 0
	s_mov_b64 s[2:3], 0
	s_waitcnt vmcnt(0)
	v_cvt_f32_u32_e32 v2, v1
	s_branch .LBB177_520
.LBB177_518:
	s_mov_b64 s[2:3], -1
                                        ; implicit-def: $vgpr2_vgpr3
	s_branch .LBB177_523
.LBB177_519:
	s_mov_b64 s[2:3], -1
                                        ; implicit-def: $vgpr2_vgpr3
.LBB177_520:
	s_andn2_b64 vcc, exec, s[2:3]
	s_cbranch_vccnz .LBB177_522
; %bb.521:
	global_load_ushort v1, v[4:5], off
	v_mov_b32_e32 v3, 0
	s_waitcnt vmcnt(0)
	v_cvt_f32_u32_e32 v2, v1
.LBB177_522:
	s_mov_b64 s[2:3], 0
.LBB177_523:
	s_andn2_b64 vcc, exec, s[2:3]
	s_cbranch_vccnz .LBB177_533
; %bb.524:
	global_load_ubyte v1, v[4:5], off
	s_movk_i32 s2, 0x7f
	s_waitcnt vmcnt(0)
	v_cmp_lt_i16_e32 vcc, s2, v1
	s_mov_b64 s[2:3], 0
	s_and_saveexec_b64 s[4:5], vcc
	s_xor_b64 s[4:5], exec, s[4:5]
	s_cbranch_execz .LBB177_528
; %bb.525:
	s_movk_i32 s2, 0x80
	v_cmp_eq_u16_e32 vcc, s2, v1
	s_mov_b64 s[2:3], -1
	s_and_saveexec_b64 s[8:9], vcc
; %bb.526:
	s_xor_b64 s[2:3], exec, -1
; %bb.527:
	s_or_b64 exec, exec, s[8:9]
	s_and_b64 s[2:3], s[2:3], exec
.LBB177_528:
	s_or_saveexec_b64 s[4:5], s[4:5]
	v_mov_b32_e32 v2, 0x7f800001
	v_mov_b32_e32 v3, 0
	s_xor_b64 exec, exec, s[4:5]
; %bb.529:
	v_cmp_ne_u16_e32 vcc, 0, v1
	s_andn2_b64 s[2:3], s[2:3], exec
	s_and_b64 s[8:9], vcc, exec
	v_mov_b32_e32 v2, v3
	s_or_b64 s[2:3], s[2:3], s[8:9]
; %bb.530:
	s_or_b64 exec, exec, s[4:5]
	s_and_saveexec_b64 s[4:5], s[2:3]
	s_cbranch_execz .LBB177_532
; %bb.531:
	v_lshlrev_b32_e32 v2, 24, v1
	v_and_b32_e32 v1, 0xffff, v1
	v_and_b32_e32 v3, 7, v1
	v_ffbh_u32_e32 v7, v3
	v_min_u32_e32 v7, 32, v7
	v_subrev_u32_e32 v8, 28, v7
	v_bfe_u32 v6, v1, 3, 4
	v_lshlrev_b32_e32 v1, v8, v1
	v_sub_u32_e32 v7, 29, v7
	v_and_b32_e32 v1, 7, v1
	v_cmp_eq_u32_e32 vcc, 0, v6
	v_and_b32_e32 v2, 0x80000000, v2
	s_nop 0
	v_cndmask_b32_e32 v6, v6, v7, vcc
	v_cndmask_b32_e32 v1, v3, v1, vcc
	v_mov_b32_e32 v3, 0x3b800000
	v_lshlrev_b32_e32 v1, 20, v1
	v_lshl_add_u32 v3, v6, 23, v3
	v_or3_b32 v2, v2, v3, v1
	v_mov_b32_e32 v3, 0
.LBB177_532:
	s_or_b64 exec, exec, s[4:5]
.LBB177_533:
	s_mov_b64 s[2:3], -1
.LBB177_534:
	s_mov_b64 s[4:5], 0
.LBB177_535:
	s_and_b64 vcc, exec, s[4:5]
	s_cbranch_vccz .LBB177_568
; %bb.536:
	s_cmp_gt_i32 s10, 22
	s_cbranch_scc0 .LBB177_548
; %bb.537:
	s_cmp_lt_i32 s10, 24
	s_cbranch_scc1 .LBB177_549
; %bb.538:
	s_cmp_gt_i32 s10, 24
	s_cbranch_scc0 .LBB177_550
; %bb.539:
	global_load_ubyte v1, v[4:5], off
	s_movk_i32 s2, 0x7f
	s_waitcnt vmcnt(0)
	v_cmp_lt_i16_e32 vcc, s2, v1
	s_mov_b64 s[2:3], 0
	s_and_saveexec_b64 s[4:5], vcc
	s_xor_b64 s[4:5], exec, s[4:5]
	s_cbranch_execz .LBB177_543
; %bb.540:
	s_movk_i32 s2, 0x80
	v_cmp_eq_u16_e32 vcc, s2, v1
	s_mov_b64 s[2:3], -1
	s_and_saveexec_b64 s[8:9], vcc
; %bb.541:
	s_xor_b64 s[2:3], exec, -1
; %bb.542:
	s_or_b64 exec, exec, s[8:9]
	s_and_b64 s[2:3], s[2:3], exec
.LBB177_543:
	s_or_saveexec_b64 s[4:5], s[4:5]
	v_mov_b32_e32 v2, 0x7f800001
	v_mov_b32_e32 v3, 0
	s_xor_b64 exec, exec, s[4:5]
; %bb.544:
	v_cmp_ne_u16_e32 vcc, 0, v1
	s_andn2_b64 s[2:3], s[2:3], exec
	s_and_b64 s[8:9], vcc, exec
	v_mov_b32_e32 v2, v3
	s_or_b64 s[2:3], s[2:3], s[8:9]
; %bb.545:
	s_or_b64 exec, exec, s[4:5]
	s_and_saveexec_b64 s[4:5], s[2:3]
	s_cbranch_execz .LBB177_547
; %bb.546:
	v_lshlrev_b32_e32 v2, 24, v1
	v_and_b32_e32 v1, 0xffff, v1
	v_and_b32_e32 v3, 3, v1
	v_ffbh_u32_e32 v7, v3
	v_min_u32_e32 v7, 32, v7
	v_subrev_u32_e32 v8, 29, v7
	v_bfe_u32 v6, v1, 2, 5
	v_lshlrev_b32_e32 v1, v8, v1
	v_sub_u32_e32 v7, 30, v7
	v_and_b32_e32 v1, 3, v1
	v_cmp_eq_u32_e32 vcc, 0, v6
	v_and_b32_e32 v2, 0x80000000, v2
	s_nop 0
	v_cndmask_b32_e32 v6, v6, v7, vcc
	v_cndmask_b32_e32 v1, v3, v1, vcc
	v_mov_b32_e32 v3, 0x37800000
	v_lshlrev_b32_e32 v1, 21, v1
	v_lshl_add_u32 v3, v6, 23, v3
	v_or3_b32 v2, v2, v3, v1
	v_mov_b32_e32 v3, 0
.LBB177_547:
	s_or_b64 exec, exec, s[4:5]
	s_mov_b64 s[2:3], 0
	s_branch .LBB177_551
.LBB177_548:
	s_mov_b64 s[4:5], -1
                                        ; implicit-def: $vgpr2_vgpr3
	s_branch .LBB177_557
.LBB177_549:
	s_mov_b64 s[2:3], -1
                                        ; implicit-def: $vgpr2_vgpr3
	s_branch .LBB177_554
.LBB177_550:
	s_mov_b64 s[2:3], -1
                                        ; implicit-def: $vgpr2_vgpr3
.LBB177_551:
	s_and_b64 vcc, exec, s[2:3]
	s_cbranch_vccz .LBB177_553
; %bb.552:
	global_load_ubyte v1, v[4:5], off
	s_mov_b32 s2, 0x7f800000
	s_brev_b32 s3, 1
	s_waitcnt vmcnt(0)
	v_lshlrev_b32_e32 v1, 24, v1
	v_and_b32_e32 v2, 0x7f000000, v1
	v_ffbh_u32_e32 v3, v2
	v_min_u32_e32 v3, 32, v3
	v_sub_u32_e64 v3, v3, 4 clamp
	v_lshlrev_b32_e32 v7, v3, v2
	v_lshlrev_b32_e32 v3, 23, v3
	v_lshrrev_b32_e32 v7, 4, v7
	v_add_u32_e32 v6, 0x1000000, v2
	v_sub_u32_e32 v3, v7, v3
	v_ashrrev_i32_e32 v6, 8, v6
	v_add_u32_e32 v3, 0x3c000000, v3
	v_and_or_b32 v3, v6, s2, v3
	v_cmp_ne_u32_e32 vcc, 0, v2
	s_nop 1
	v_cndmask_b32_e32 v2, 0, v3, vcc
	v_and_or_b32 v2, v1, s3, v2
	v_mov_b32_e32 v3, 0
.LBB177_553:
	s_mov_b64 s[2:3], 0
.LBB177_554:
	s_andn2_b64 vcc, exec, s[2:3]
	s_cbranch_vccnz .LBB177_556
; %bb.555:
	global_load_ubyte v1, v[4:5], off
	s_movk_i32 s2, 0x7f00
	s_brev_b32 s3, 16
	s_brev_b32 s4, 1
	s_waitcnt vmcnt(0)
	v_lshlrev_b16_e32 v2, 8, v1
	v_lshlrev_b32_e32 v1, 25, v1
	v_lshrrev_b32_e32 v3, 4, v1
	v_and_or_b32 v6, v2, s2, 0.5
	v_or_b32_e32 v3, 0x70000000, v3
	v_add_f32_e32 v6, -0.5, v6
	v_mul_f32_e32 v3, 0x7800000, v3
	v_cmp_gt_u32_e32 vcc, s3, v1
	v_bfe_i32 v2, v2, 0, 16
	s_nop 0
	v_cndmask_b32_e32 v1, v3, v6, vcc
	v_and_or_b32 v2, v2, s4, v1
	v_mov_b32_e32 v3, 0
.LBB177_556:
	s_mov_b64 s[4:5], 0
	s_mov_b64 s[2:3], -1
.LBB177_557:
	s_andn2_b64 vcc, exec, s[4:5]
	s_cbranch_vccnz .LBB177_568
; %bb.558:
	s_cmp_gt_i32 s10, 14
	s_cbranch_scc0 .LBB177_561
; %bb.559:
	s_cmp_eq_u32 s10, 15
	s_cbranch_scc0 .LBB177_562
; %bb.560:
	global_load_ushort v1, v[4:5], off
	v_mov_b32_e32 v3, 0
	s_mov_b64 s[2:3], -1
	s_mov_b64 s[6:7], 0
	s_waitcnt vmcnt(0)
	v_lshlrev_b32_e32 v2, 16, v1
	s_branch .LBB177_563
.LBB177_561:
	s_mov_b64 s[4:5], -1
                                        ; implicit-def: $vgpr2_vgpr3
	s_branch .LBB177_564
.LBB177_562:
	s_mov_b64 s[6:7], -1
                                        ; implicit-def: $vgpr2_vgpr3
.LBB177_563:
	s_mov_b64 s[4:5], 0
.LBB177_564:
	s_and_b64 vcc, exec, s[4:5]
	s_cbranch_vccz .LBB177_568
; %bb.565:
	s_cmp_eq_u32 s10, 11
	s_cbranch_scc0 .LBB177_567
; %bb.566:
	global_load_ubyte v1, v[4:5], off
	v_mov_b32_e32 v3, 0
	s_mov_b64 s[2:3], -1
	s_mov_b64 s[6:7], 0
	s_waitcnt vmcnt(0)
	v_cmp_ne_u16_e32 vcc, 0, v1
	s_nop 1
	v_cndmask_b32_e64 v2, 0, 1.0, vcc
	s_branch .LBB177_568
.LBB177_567:
	s_mov_b64 s[6:7], -1
                                        ; implicit-def: $vgpr2_vgpr3
.LBB177_568:
	s_branch .LBB177_333
.LBB177_569:
	s_cmp_lt_i32 s10, 5
	s_cbranch_scc1 .LBB177_574
; %bb.570:
	s_cmp_lt_i32 s10, 8
	s_cbranch_scc1 .LBB177_575
; %bb.571:
	;; [unrolled: 3-line block ×3, first 2 shown]
	s_cmp_gt_i32 s10, 9
	s_cbranch_scc0 .LBB177_577
; %bb.573:
	global_load_dwordx4 v[6:9], v[4:5], off
	s_mov_b64 s[2:3], 0
	s_waitcnt vmcnt(0)
	v_cvt_f32_f64_e32 v3, v[8:9]
	v_cvt_f32_f64_e32 v2, v[6:7]
	s_branch .LBB177_578
.LBB177_574:
	s_mov_b64 s[2:3], -1
                                        ; implicit-def: $vgpr2_vgpr3
	s_branch .LBB177_596
.LBB177_575:
	s_mov_b64 s[2:3], -1
                                        ; implicit-def: $vgpr2_vgpr3
	s_branch .LBB177_584
.LBB177_576:
	s_mov_b64 s[2:3], -1
                                        ; implicit-def: $vgpr2_vgpr3
	s_branch .LBB177_581
.LBB177_577:
	s_mov_b64 s[2:3], -1
                                        ; implicit-def: $vgpr2_vgpr3
.LBB177_578:
	s_andn2_b64 vcc, exec, s[2:3]
	s_cbranch_vccnz .LBB177_580
; %bb.579:
	global_load_dwordx2 v[2:3], v[4:5], off
.LBB177_580:
	s_mov_b64 s[2:3], 0
.LBB177_581:
	s_andn2_b64 vcc, exec, s[2:3]
	s_cbranch_vccnz .LBB177_583
; %bb.582:
	global_load_dword v1, v[4:5], off
	s_waitcnt vmcnt(0)
	v_cvt_f32_f16_sdwa v3, v1 dst_sel:DWORD dst_unused:UNUSED_PAD src0_sel:WORD_1
	v_cvt_f32_f16_e32 v2, v1
.LBB177_583:
	s_mov_b64 s[2:3], 0
.LBB177_584:
	s_andn2_b64 vcc, exec, s[2:3]
	s_cbranch_vccnz .LBB177_595
; %bb.585:
	s_cmp_lt_i32 s10, 6
	s_cbranch_scc1 .LBB177_588
; %bb.586:
	s_cmp_gt_i32 s10, 6
	s_cbranch_scc0 .LBB177_589
; %bb.587:
	global_load_dwordx2 v[6:7], v[4:5], off
	s_waitcnt vmcnt(1)
	v_mov_b32_e32 v3, 0
	s_mov_b64 s[2:3], 0
	s_waitcnt vmcnt(0)
	v_cvt_f32_f64_e32 v2, v[6:7]
	s_branch .LBB177_590
.LBB177_588:
	s_mov_b64 s[2:3], -1
                                        ; implicit-def: $vgpr2_vgpr3
	s_branch .LBB177_593
.LBB177_589:
	s_mov_b64 s[2:3], -1
                                        ; implicit-def: $vgpr2_vgpr3
.LBB177_590:
	s_andn2_b64 vcc, exec, s[2:3]
	s_cbranch_vccnz .LBB177_592
; %bb.591:
	global_load_dword v2, v[4:5], off
	s_waitcnt vmcnt(1)
	v_mov_b32_e32 v3, 0
.LBB177_592:
	s_mov_b64 s[2:3], 0
.LBB177_593:
	s_andn2_b64 vcc, exec, s[2:3]
	s_cbranch_vccnz .LBB177_595
; %bb.594:
	global_load_ushort v1, v[4:5], off
	s_waitcnt vmcnt(1)
	v_mov_b32_e32 v3, 0
	s_waitcnt vmcnt(0)
	v_cvt_f32_f16_e32 v2, v1
.LBB177_595:
	s_mov_b64 s[2:3], 0
.LBB177_596:
	s_andn2_b64 vcc, exec, s[2:3]
	s_cbranch_vccnz .LBB177_616
; %bb.597:
	s_cmp_lt_i32 s10, 2
	s_cbranch_scc1 .LBB177_601
; %bb.598:
	s_cmp_lt_i32 s10, 3
	s_cbranch_scc1 .LBB177_602
; %bb.599:
	s_cmp_gt_i32 s10, 3
	s_cbranch_scc0 .LBB177_603
; %bb.600:
	global_load_dwordx2 v[2:3], v[4:5], off
	s_mov_b64 s[2:3], 0
	s_waitcnt vmcnt(0)
	v_xor_b32_e32 v6, v2, v3
	v_ffbh_i32_e32 v1, v3
	v_ashrrev_i32_e32 v6, 31, v6
	v_add_u32_e32 v1, -1, v1
	v_add_u32_e32 v6, 32, v6
	v_min_u32_e32 v1, v1, v6
	v_lshlrev_b64 v[2:3], v1, v[2:3]
	v_min_u32_e32 v2, 1, v2
	v_or_b32_e32 v2, v3, v2
	v_cvt_f32_i32_e32 v2, v2
	v_sub_u32_e32 v1, 32, v1
	v_mov_b32_e32 v3, 0
	v_ldexp_f32 v2, v2, v1
	s_branch .LBB177_604
.LBB177_601:
	s_mov_b64 s[2:3], -1
                                        ; implicit-def: $vgpr2_vgpr3
	s_branch .LBB177_610
.LBB177_602:
	s_mov_b64 s[2:3], -1
                                        ; implicit-def: $vgpr2_vgpr3
	s_branch .LBB177_607
.LBB177_603:
	s_mov_b64 s[2:3], -1
                                        ; implicit-def: $vgpr2_vgpr3
.LBB177_604:
	s_andn2_b64 vcc, exec, s[2:3]
	s_cbranch_vccnz .LBB177_606
; %bb.605:
	global_load_dword v1, v[4:5], off
	s_waitcnt vmcnt(1)
	v_mov_b32_e32 v3, 0
	s_waitcnt vmcnt(0)
	v_cvt_f32_i32_e32 v2, v1
.LBB177_606:
	s_mov_b64 s[2:3], 0
.LBB177_607:
	s_andn2_b64 vcc, exec, s[2:3]
	s_cbranch_vccnz .LBB177_609
; %bb.608:
	global_load_sshort v1, v[4:5], off
	s_waitcnt vmcnt(1)
	v_mov_b32_e32 v3, 0
	s_waitcnt vmcnt(0)
	v_cvt_f32_i32_e32 v2, v1
.LBB177_609:
	s_mov_b64 s[2:3], 0
.LBB177_610:
	s_andn2_b64 vcc, exec, s[2:3]
	s_cbranch_vccnz .LBB177_616
; %bb.611:
	s_cmp_gt_i32 s10, 0
	s_cbranch_scc0 .LBB177_613
; %bb.612:
	global_load_sbyte v1, v[4:5], off
	s_waitcnt vmcnt(1)
	v_mov_b32_e32 v3, 0
	s_mov_b64 s[2:3], 0
	s_waitcnt vmcnt(0)
	v_cvt_f32_i32_e32 v2, v1
	s_branch .LBB177_614
.LBB177_613:
	s_mov_b64 s[2:3], -1
                                        ; implicit-def: $vgpr2_vgpr3
.LBB177_614:
	s_andn2_b64 vcc, exec, s[2:3]
	s_cbranch_vccnz .LBB177_616
; %bb.615:
	global_load_ubyte v1, v[4:5], off
	s_waitcnt vmcnt(1)
	v_mov_b32_e32 v3, 0
	s_waitcnt vmcnt(0)
	v_cvt_f32_ubyte0_e32 v2, v1
.LBB177_616:
	s_branch .LBB177_334
.LBB177_617:
	s_mov_b64 s[4:5], 0
	s_mov_b64 s[2:3], s[54:55]
.LBB177_618:
                                        ; implicit-def: $vgpr14
.LBB177_619:
	s_andn2_b64 s[8:9], s[54:55], exec
	s_and_b64 s[2:3], s[2:3], exec
	s_or_b64 s[62:63], s[8:9], s[2:3]
	s_andn2_b64 s[2:3], s[56:57], exec
	s_and_b64 s[6:7], s[6:7], exec
	s_or_b64 s[60:61], s[2:3], s[6:7]
	s_orn2_b64 s[2:3], s[4:5], exec
.LBB177_620:
	s_or_b64 exec, exec, s[64:65]
	s_mov_b64 s[4:5], 0
	s_mov_b64 s[6:7], 0
	;; [unrolled: 1-line block ×3, first 2 shown]
                                        ; implicit-def: $vgpr4_vgpr5
                                        ; implicit-def: $vgpr0
                                        ; implicit-def: $vgpr2_vgpr3
	s_and_saveexec_b64 s[64:65], s[2:3]
	s_cbranch_execz .LBB177_1035
; %bb.621:
	v_cmp_gt_i32_e32 vcc, s70, v14
	s_mov_b64 s[6:7], -1
	s_mov_b64 s[2:3], s[60:61]
	s_mov_b64 s[68:69], s[62:63]
	s_and_saveexec_b64 s[66:67], vcc
	s_cbranch_execz .LBB177_934
; %bb.622:
	s_andn2_b64 vcc, exec, s[42:43]
	s_cbranch_vccnz .LBB177_628
; %bb.623:
	s_andn2_b64 vcc, exec, s[52:53]
	s_cbranch_vccnz .LBB177_629
; %bb.624:
	s_add_i32 s76, s75, 1
	s_cmp_eq_u32 s72, 2
	s_cbranch_scc1 .LBB177_630
; %bb.625:
	s_and_b32 s71, s76, 28
	s_mov_b32 s77, 0
	v_mov_b32_e32 v0, 0
	s_waitcnt vmcnt(0)
	v_mov_b32_e32 v2, 0
	s_mov_b64 s[2:3], s[34:35]
	s_mov_b64 s[68:69], s[50:51]
	v_mov_b32_e32 v4, v14
.LBB177_626:                            ; =>This Inner Loop Header: Depth=1
	s_load_dwordx8 s[12:19], s[2:3], 0x4
	s_load_dwordx4 s[36:39], s[2:3], 0x24
	s_load_dwordx8 s[4:11], s[68:69], 0x0
	s_add_u32 s2, s2, 48
	s_addc_u32 s3, s3, 0
	s_waitcnt lgkmcnt(0)
	v_mul_hi_u32 v1, s13, v4
	v_add_u32_e32 v1, v4, v1
	v_lshrrev_b32_e32 v1, s14, v1
	v_mul_lo_u32 v3, v1, s12
	v_mul_hi_u32 v5, s16, v1
	v_sub_u32_e32 v3, v4, v3
	v_add_u32_e32 v4, v1, v5
	v_lshrrev_b32_e32 v4, s17, v4
	v_mul_lo_u32 v6, v4, s15
	v_mul_hi_u32 v7, s19, v4
	v_sub_u32_e32 v1, v1, v6
	v_add_u32_e32 v6, v4, v7
	v_mul_lo_u32 v5, v3, s5
	v_mul_lo_u32 v3, v3, s4
	;; [unrolled: 1-line block ×4, first 2 shown]
	v_lshrrev_b32_e32 v6, s36, v6
	v_add3_u32 v0, v3, v0, v1
	v_mul_hi_u32 v3, s38, v6
	v_add3_u32 v1, v5, v2, v7
	v_mul_lo_u32 v2, v6, s18
	v_add_u32_e32 v3, v6, v3
	v_sub_u32_e32 v2, v4, v2
	v_lshrrev_b32_e32 v4, s39, v3
	s_add_i32 s77, s77, 4
	v_mul_lo_u32 v3, v4, s37
	s_add_u32 s68, s68, 32
	v_sub_u32_e32 v3, v6, v3
	s_addc_u32 s69, s69, 0
	v_mul_lo_u32 v5, v2, s8
	v_mul_lo_u32 v2, v2, s9
	;; [unrolled: 1-line block ×4, first 2 shown]
	s_cmp_eq_u32 s71, s77
	v_add3_u32 v2, v2, v1, v3
	v_add3_u32 v0, v5, v0, v6
	s_cbranch_scc0 .LBB177_626
; %bb.627:
	v_mov_b32_e32 v1, v2
	s_branch .LBB177_631
.LBB177_628:
	s_mov_b64 s[2:3], -1
                                        ; implicit-def: $vgpr2
                                        ; implicit-def: $vgpr0
	s_branch .LBB177_635
.LBB177_629:
	s_waitcnt vmcnt(0)
	v_mov_b32_e32 v2, 0
	v_mov_b32_e32 v0, 0
	s_branch .LBB177_634
.LBB177_630:
	v_mov_b32_e32 v0, 0
	s_mov_b32 s71, 0
	v_mov_b32_e32 v1, v0
                                        ; implicit-def: $vgpr2
	v_mov_b32_e32 v4, v14
.LBB177_631:
	s_and_b32 s6, s76, 3
	s_cmp_eq_u32 s6, 0
	s_cbranch_scc1 .LBB177_634
; %bb.632:
	s_lshl_b32 s2, s71, 3
	s_add_u32 s2, s34, s2
	s_addc_u32 s3, s35, 0
	s_add_u32 s2, s2, 0xc4
	s_addc_u32 s3, s3, 0
	s_mul_i32 s4, s71, 12
	s_add_u32 s4, s34, s4
	s_addc_u32 s5, s35, 0
.LBB177_633:                            ; =>This Inner Loop Header: Depth=1
	s_load_dwordx2 s[8:9], s[4:5], 0x4
	s_load_dword s7, s[4:5], 0xc
	s_load_dwordx2 s[10:11], s[2:3], 0x0
	s_waitcnt vmcnt(0)
	v_mov_b32_e32 v2, v1
	s_add_u32 s4, s4, 12
	s_waitcnt lgkmcnt(0)
	v_mul_hi_u32 v1, s9, v4
	v_add_u32_e32 v1, v4, v1
	v_lshrrev_b32_e32 v1, s7, v1
	s_addc_u32 s5, s5, 0
	v_mul_lo_u32 v3, v1, s8
	s_add_u32 s2, s2, 8
	v_sub_u32_e32 v5, v4, v3
	s_addc_u32 s3, s3, 0
	s_add_i32 s6, s6, -1
	v_mov_b32_e32 v4, v1
	v_mad_u64_u32 v[2:3], s[8:9], v5, s11, v[2:3]
	v_mad_u64_u32 v[0:1], s[8:9], v5, s10, v[0:1]
	s_cmp_lg_u32 s6, 0
	v_mov_b32_e32 v1, v2
	s_cbranch_scc1 .LBB177_633
.LBB177_634:
	s_mov_b64 s[2:3], 0
.LBB177_635:
	s_andn2_b64 vcc, exec, s[2:3]
	s_cbranch_vccnz .LBB177_638
; %bb.636:
	s_waitcnt lgkmcnt(0)
	v_mul_hi_u32 v0, s29, v14
	v_add_u32_e32 v0, v14, v0
	v_lshrrev_b32_e32 v1, s30, v0
	v_mul_lo_u32 v0, v1, s28
	v_sub_u32_e32 v0, v14, v0
	s_waitcnt vmcnt(0)
	v_mul_lo_u32 v2, v0, s25
	s_andn2_b64 vcc, exec, s[48:49]
	v_mul_lo_u32 v0, v0, s24
	s_cbranch_vccnz .LBB177_638
; %bb.637:
	v_mul_hi_u32 v3, s46, v1
	v_add_u32_e32 v3, v1, v3
	v_lshrrev_b32_e32 v3, s47, v3
	v_mul_lo_u32 v3, v3, s31
	v_sub_u32_e32 v3, v1, v3
	v_mad_u64_u32 v[0:1], s[2:3], v3, s26, v[0:1]
	v_mad_u64_u32 v[2:3], s[2:3], v3, s27, v[2:3]
.LBB177_638:
	s_waitcnt vmcnt(0)
	v_mov_b32_e32 v3, 0
	s_and_b32 s10, 0xffff, s74
	s_cmp_lt_i32 s10, 11
	s_waitcnt lgkmcnt(0)
	v_lshl_add_u64 v[4:5], s[22:23], 0, v[2:3]
	s_cbranch_scc1 .LBB177_645
; %bb.639:
	s_cmp_gt_i32 s10, 25
	s_cbranch_scc0 .LBB177_646
; %bb.640:
	s_cmp_gt_i32 s10, 28
	s_cbranch_scc0 .LBB177_647
	;; [unrolled: 3-line block ×4, first 2 shown]
; %bb.643:
	s_cmp_eq_u32 s10, 46
	s_mov_b64 s[4:5], 0
	s_cbranch_scc0 .LBB177_654
; %bb.644:
	global_load_dword v1, v[4:5], off
	s_mov_b64 s[2:3], -1
	s_mov_b64 s[6:7], 0
	s_waitcnt vmcnt(0)
	v_and_b32_e32 v3, 0xffff0000, v1
	v_lshlrev_b32_e32 v2, 16, v1
	s_branch .LBB177_655
.LBB177_645:
	s_mov_b64 s[4:5], -1
	s_mov_b64 s[2:3], 0
                                        ; implicit-def: $vgpr2_vgpr3
	s_mov_b64 s[6:7], s[60:61]
	s_branch .LBB177_720
.LBB177_646:
	s_mov_b64 s[4:5], -1
	s_mov_b64 s[2:3], 0
	s_mov_b64 s[6:7], s[60:61]
                                        ; implicit-def: $vgpr2_vgpr3
	s_branch .LBB177_686
.LBB177_647:
	s_mov_b64 s[4:5], -1
	s_mov_b64 s[2:3], 0
	s_mov_b64 s[6:7], s[60:61]
                                        ; implicit-def: $vgpr2_vgpr3
	s_branch .LBB177_665
.LBB177_648:
	s_mov_b64 s[4:5], -1
	s_mov_b64 s[2:3], 0
	s_mov_b64 s[6:7], s[60:61]
                                        ; implicit-def: $vgpr2_vgpr3
	s_branch .LBB177_660
.LBB177_649:
	s_andn2_saveexec_b64 s[10:11], s[10:11]
	s_cbranch_execz .LBB177_417
.LBB177_650:
	s_mov_b32 s14, 0x46000000
	v_add_f32_e64 v2, |v4|, s14
	v_and_b32_e32 v2, 0xff, v2
	v_cmp_ne_u32_e32 vcc, 0, v2
	s_andn2_b64 s[8:9], s[8:9], exec
	s_and_b64 s[14:15], vcc, exec
	s_or_b64 s[8:9], s[8:9], s[14:15]
	s_or_b64 exec, exec, s[10:11]
	v_mov_b32_e32 v3, 0
	s_and_saveexec_b64 s[10:11], s[8:9]
	s_cbranch_execnz .LBB177_418
	s_branch .LBB177_419
.LBB177_651:
	s_mov_b64 s[4:5], -1
	s_mov_b64 s[2:3], 0
	s_mov_b64 s[6:7], s[60:61]
                                        ; implicit-def: $vgpr2_vgpr3
	s_branch .LBB177_655
.LBB177_652:
	s_andn2_saveexec_b64 s[10:11], s[10:11]
	s_cbranch_execz .LBB177_430
.LBB177_653:
	s_mov_b32 s14, 0x42800000
	v_add_f32_e64 v2, |v4|, s14
	v_and_b32_e32 v2, 0xff, v2
	v_cmp_ne_u32_e32 vcc, 0, v2
	s_andn2_b64 s[8:9], s[8:9], exec
	s_and_b64 s[14:15], vcc, exec
	s_or_b64 s[8:9], s[8:9], s[14:15]
	s_or_b64 exec, exec, s[10:11]
	v_mov_b32_e32 v3, 0
	s_and_saveexec_b64 s[10:11], s[8:9]
	s_cbranch_execnz .LBB177_431
	s_branch .LBB177_432
.LBB177_654:
	s_mov_b64 s[6:7], -1
                                        ; implicit-def: $vgpr2_vgpr3
	s_mov_b64 s[2:3], 0
.LBB177_655:
	s_and_b64 vcc, exec, s[4:5]
	s_cbranch_vccz .LBB177_659
; %bb.656:
	s_cmp_eq_u32 s10, 44
	s_cbranch_scc0 .LBB177_658
; %bb.657:
	global_load_ubyte v1, v[4:5], off
	s_movk_i32 s4, 0xff
	v_mov_b32_e32 v2, 0x7f800001
	v_mov_b32_e32 v6, 0x400000
	;; [unrolled: 1-line block ×3, first 2 shown]
	s_mov_b64 s[2:3], -1
	s_mov_b64 s[6:7], 0
	s_waitcnt vmcnt(0)
	v_lshlrev_b32_e32 v7, 23, v1
	v_cmp_ne_u32_e32 vcc, s4, v1
	s_nop 1
	v_cndmask_b32_e32 v2, v2, v7, vcc
	v_cmp_ne_u32_e32 vcc, 0, v1
	s_nop 1
	v_cndmask_b32_e32 v2, v6, v2, vcc
	s_branch .LBB177_659
.LBB177_658:
	s_mov_b64 s[6:7], -1
                                        ; implicit-def: $vgpr2_vgpr3
.LBB177_659:
	s_mov_b64 s[4:5], 0
.LBB177_660:
	s_and_b64 vcc, exec, s[4:5]
	s_cbranch_vccz .LBB177_664
; %bb.661:
	s_cmp_eq_u32 s10, 29
	s_cbranch_scc0 .LBB177_663
; %bb.662:
	global_load_dwordx2 v[2:3], v[4:5], off
	s_mov_b64 s[2:3], -1
	s_mov_b64 s[6:7], 0
	s_mov_b64 s[4:5], 0
	s_waitcnt vmcnt(0)
	v_ffbh_u32_e32 v1, v3
	v_min_u32_e32 v1, 32, v1
	v_lshlrev_b64 v[2:3], v1, v[2:3]
	v_min_u32_e32 v2, 1, v2
	v_or_b32_e32 v2, v3, v2
	v_cvt_f32_u32_e32 v2, v2
	v_sub_u32_e32 v1, 32, v1
	v_mov_b32_e32 v3, 0
	v_ldexp_f32 v2, v2, v1
	s_branch .LBB177_665
.LBB177_663:
	s_mov_b64 s[6:7], -1
                                        ; implicit-def: $vgpr2_vgpr3
.LBB177_664:
	s_mov_b64 s[4:5], 0
.LBB177_665:
	s_and_b64 vcc, exec, s[4:5]
	s_cbranch_vccz .LBB177_685
; %bb.666:
	s_cmp_lt_i32 s10, 27
	s_cbranch_scc1 .LBB177_669
; %bb.667:
	s_cmp_gt_i32 s10, 27
	s_cbranch_scc0 .LBB177_670
; %bb.668:
	global_load_dword v1, v[4:5], off
	v_mov_b32_e32 v3, 0
	s_mov_b64 s[2:3], 0
	s_waitcnt vmcnt(0)
	v_cvt_f32_u32_e32 v2, v1
	s_branch .LBB177_671
.LBB177_669:
	s_mov_b64 s[2:3], -1
                                        ; implicit-def: $vgpr2_vgpr3
	s_branch .LBB177_674
.LBB177_670:
	s_mov_b64 s[2:3], -1
                                        ; implicit-def: $vgpr2_vgpr3
.LBB177_671:
	s_andn2_b64 vcc, exec, s[2:3]
	s_cbranch_vccnz .LBB177_673
; %bb.672:
	global_load_ushort v1, v[4:5], off
	v_mov_b32_e32 v3, 0
	s_waitcnt vmcnt(0)
	v_cvt_f32_u32_e32 v2, v1
.LBB177_673:
	s_mov_b64 s[2:3], 0
.LBB177_674:
	s_andn2_b64 vcc, exec, s[2:3]
	s_cbranch_vccnz .LBB177_684
; %bb.675:
	global_load_ubyte v1, v[4:5], off
	s_movk_i32 s2, 0x7f
	s_waitcnt vmcnt(0)
	v_cmp_lt_i16_e32 vcc, s2, v1
	s_mov_b64 s[2:3], 0
	s_and_saveexec_b64 s[4:5], vcc
	s_xor_b64 s[4:5], exec, s[4:5]
	s_cbranch_execz .LBB177_679
; %bb.676:
	s_movk_i32 s2, 0x80
	v_cmp_eq_u16_e32 vcc, s2, v1
	s_mov_b64 s[2:3], -1
	s_and_saveexec_b64 s[8:9], vcc
; %bb.677:
	s_xor_b64 s[2:3], exec, -1
; %bb.678:
	s_or_b64 exec, exec, s[8:9]
	s_and_b64 s[2:3], s[2:3], exec
.LBB177_679:
	s_or_saveexec_b64 s[4:5], s[4:5]
	v_mov_b32_e32 v2, 0x7f800001
	v_mov_b32_e32 v3, 0
	s_xor_b64 exec, exec, s[4:5]
; %bb.680:
	v_cmp_ne_u16_e32 vcc, 0, v1
	s_andn2_b64 s[2:3], s[2:3], exec
	s_and_b64 s[8:9], vcc, exec
	v_mov_b32_e32 v2, v3
	s_or_b64 s[2:3], s[2:3], s[8:9]
; %bb.681:
	s_or_b64 exec, exec, s[4:5]
	s_and_saveexec_b64 s[4:5], s[2:3]
	s_cbranch_execz .LBB177_683
; %bb.682:
	v_lshlrev_b32_e32 v2, 24, v1
	v_and_b32_e32 v1, 0xffff, v1
	v_and_b32_e32 v3, 7, v1
	v_ffbh_u32_e32 v7, v3
	v_min_u32_e32 v7, 32, v7
	v_subrev_u32_e32 v8, 28, v7
	v_bfe_u32 v6, v1, 3, 4
	v_lshlrev_b32_e32 v1, v8, v1
	v_sub_u32_e32 v7, 29, v7
	v_and_b32_e32 v1, 7, v1
	v_cmp_eq_u32_e32 vcc, 0, v6
	v_and_b32_e32 v2, 0x80000000, v2
	s_nop 0
	v_cndmask_b32_e32 v6, v6, v7, vcc
	v_cndmask_b32_e32 v1, v3, v1, vcc
	v_mov_b32_e32 v3, 0x3b800000
	v_lshlrev_b32_e32 v1, 20, v1
	v_lshl_add_u32 v3, v6, 23, v3
	v_or3_b32 v2, v2, v3, v1
	v_mov_b32_e32 v3, 0
.LBB177_683:
	s_or_b64 exec, exec, s[4:5]
.LBB177_684:
	s_mov_b64 s[2:3], -1
.LBB177_685:
	s_mov_b64 s[4:5], 0
.LBB177_686:
	s_and_b64 vcc, exec, s[4:5]
	s_cbranch_vccz .LBB177_719
; %bb.687:
	s_cmp_gt_i32 s10, 22
	s_cbranch_scc0 .LBB177_699
; %bb.688:
	s_cmp_lt_i32 s10, 24
	s_cbranch_scc1 .LBB177_700
; %bb.689:
	s_cmp_gt_i32 s10, 24
	s_cbranch_scc0 .LBB177_701
; %bb.690:
	global_load_ubyte v1, v[4:5], off
	s_movk_i32 s2, 0x7f
	s_waitcnt vmcnt(0)
	v_cmp_lt_i16_e32 vcc, s2, v1
	s_mov_b64 s[2:3], 0
	s_and_saveexec_b64 s[4:5], vcc
	s_xor_b64 s[4:5], exec, s[4:5]
	s_cbranch_execz .LBB177_694
; %bb.691:
	s_movk_i32 s2, 0x80
	v_cmp_eq_u16_e32 vcc, s2, v1
	s_mov_b64 s[2:3], -1
	s_and_saveexec_b64 s[8:9], vcc
; %bb.692:
	s_xor_b64 s[2:3], exec, -1
; %bb.693:
	s_or_b64 exec, exec, s[8:9]
	s_and_b64 s[2:3], s[2:3], exec
.LBB177_694:
	s_or_saveexec_b64 s[4:5], s[4:5]
	v_mov_b32_e32 v2, 0x7f800001
	v_mov_b32_e32 v3, 0
	s_xor_b64 exec, exec, s[4:5]
; %bb.695:
	v_cmp_ne_u16_e32 vcc, 0, v1
	s_andn2_b64 s[2:3], s[2:3], exec
	s_and_b64 s[8:9], vcc, exec
	v_mov_b32_e32 v2, v3
	s_or_b64 s[2:3], s[2:3], s[8:9]
; %bb.696:
	s_or_b64 exec, exec, s[4:5]
	s_and_saveexec_b64 s[4:5], s[2:3]
	s_cbranch_execz .LBB177_698
; %bb.697:
	v_lshlrev_b32_e32 v2, 24, v1
	v_and_b32_e32 v1, 0xffff, v1
	v_and_b32_e32 v3, 3, v1
	v_ffbh_u32_e32 v7, v3
	v_min_u32_e32 v7, 32, v7
	v_subrev_u32_e32 v8, 29, v7
	v_bfe_u32 v6, v1, 2, 5
	v_lshlrev_b32_e32 v1, v8, v1
	v_sub_u32_e32 v7, 30, v7
	v_and_b32_e32 v1, 3, v1
	v_cmp_eq_u32_e32 vcc, 0, v6
	v_and_b32_e32 v2, 0x80000000, v2
	s_nop 0
	v_cndmask_b32_e32 v6, v6, v7, vcc
	v_cndmask_b32_e32 v1, v3, v1, vcc
	v_mov_b32_e32 v3, 0x37800000
	v_lshlrev_b32_e32 v1, 21, v1
	v_lshl_add_u32 v3, v6, 23, v3
	v_or3_b32 v2, v2, v3, v1
	v_mov_b32_e32 v3, 0
.LBB177_698:
	s_or_b64 exec, exec, s[4:5]
	s_mov_b64 s[2:3], 0
	s_branch .LBB177_702
.LBB177_699:
	s_mov_b64 s[4:5], -1
                                        ; implicit-def: $vgpr2_vgpr3
	s_branch .LBB177_708
.LBB177_700:
	s_mov_b64 s[2:3], -1
                                        ; implicit-def: $vgpr2_vgpr3
	s_branch .LBB177_705
.LBB177_701:
	s_mov_b64 s[2:3], -1
                                        ; implicit-def: $vgpr2_vgpr3
.LBB177_702:
	s_and_b64 vcc, exec, s[2:3]
	s_cbranch_vccz .LBB177_704
; %bb.703:
	global_load_ubyte v1, v[4:5], off
	s_mov_b32 s2, 0x7f800000
	s_brev_b32 s3, 1
	s_waitcnt vmcnt(0)
	v_lshlrev_b32_e32 v1, 24, v1
	v_and_b32_e32 v2, 0x7f000000, v1
	v_ffbh_u32_e32 v3, v2
	v_min_u32_e32 v3, 32, v3
	v_sub_u32_e64 v3, v3, 4 clamp
	v_lshlrev_b32_e32 v7, v3, v2
	v_lshlrev_b32_e32 v3, 23, v3
	v_lshrrev_b32_e32 v7, 4, v7
	v_add_u32_e32 v6, 0x1000000, v2
	v_sub_u32_e32 v3, v7, v3
	v_ashrrev_i32_e32 v6, 8, v6
	v_add_u32_e32 v3, 0x3c000000, v3
	v_and_or_b32 v3, v6, s2, v3
	v_cmp_ne_u32_e32 vcc, 0, v2
	s_nop 1
	v_cndmask_b32_e32 v2, 0, v3, vcc
	v_and_or_b32 v2, v1, s3, v2
	v_mov_b32_e32 v3, 0
.LBB177_704:
	s_mov_b64 s[2:3], 0
.LBB177_705:
	s_andn2_b64 vcc, exec, s[2:3]
	s_cbranch_vccnz .LBB177_707
; %bb.706:
	global_load_ubyte v1, v[4:5], off
	s_movk_i32 s2, 0x7f00
	s_brev_b32 s3, 16
	s_brev_b32 s4, 1
	s_waitcnt vmcnt(0)
	v_lshlrev_b16_e32 v2, 8, v1
	v_lshlrev_b32_e32 v1, 25, v1
	v_lshrrev_b32_e32 v3, 4, v1
	v_and_or_b32 v6, v2, s2, 0.5
	v_or_b32_e32 v3, 0x70000000, v3
	v_add_f32_e32 v6, -0.5, v6
	v_mul_f32_e32 v3, 0x7800000, v3
	v_cmp_gt_u32_e32 vcc, s3, v1
	v_bfe_i32 v2, v2, 0, 16
	s_nop 0
	v_cndmask_b32_e32 v1, v3, v6, vcc
	v_and_or_b32 v2, v2, s4, v1
	v_mov_b32_e32 v3, 0
.LBB177_707:
	s_mov_b64 s[4:5], 0
	s_mov_b64 s[2:3], -1
.LBB177_708:
	s_andn2_b64 vcc, exec, s[4:5]
	s_cbranch_vccnz .LBB177_719
; %bb.709:
	s_cmp_gt_i32 s10, 14
	s_cbranch_scc0 .LBB177_712
; %bb.710:
	s_cmp_eq_u32 s10, 15
	s_cbranch_scc0 .LBB177_713
; %bb.711:
	global_load_ushort v1, v[4:5], off
	v_mov_b32_e32 v3, 0
	s_mov_b64 s[2:3], -1
	s_mov_b64 s[6:7], 0
	s_waitcnt vmcnt(0)
	v_lshlrev_b32_e32 v2, 16, v1
	s_branch .LBB177_714
.LBB177_712:
	s_mov_b64 s[4:5], -1
                                        ; implicit-def: $vgpr2_vgpr3
	s_branch .LBB177_715
.LBB177_713:
	s_mov_b64 s[6:7], -1
                                        ; implicit-def: $vgpr2_vgpr3
.LBB177_714:
	s_mov_b64 s[4:5], 0
.LBB177_715:
	s_and_b64 vcc, exec, s[4:5]
	s_cbranch_vccz .LBB177_719
; %bb.716:
	s_cmp_eq_u32 s10, 11
	s_cbranch_scc0 .LBB177_718
; %bb.717:
	global_load_ubyte v1, v[4:5], off
	v_mov_b32_e32 v3, 0
	s_mov_b64 s[2:3], -1
	s_mov_b64 s[6:7], 0
	s_waitcnt vmcnt(0)
	v_cmp_ne_u16_e32 vcc, 0, v1
	s_nop 1
	v_cndmask_b32_e64 v2, 0, 1.0, vcc
	s_branch .LBB177_719
.LBB177_718:
	s_mov_b64 s[6:7], -1
                                        ; implicit-def: $vgpr2_vgpr3
.LBB177_719:
	s_mov_b64 s[4:5], 0
.LBB177_720:
	s_and_b64 vcc, exec, s[4:5]
	s_cbranch_vccz .LBB177_769
; %bb.721:
	s_cmp_lt_i32 s10, 5
	s_cbranch_scc1 .LBB177_726
; %bb.722:
	s_cmp_lt_i32 s10, 8
	s_cbranch_scc1 .LBB177_727
	;; [unrolled: 3-line block ×3, first 2 shown]
; %bb.724:
	s_cmp_gt_i32 s10, 9
	s_cbranch_scc0 .LBB177_729
; %bb.725:
	global_load_dwordx4 v[6:9], v[4:5], off
	s_mov_b64 s[2:3], 0
	s_waitcnt vmcnt(0)
	v_cvt_f32_f64_e32 v3, v[8:9]
	v_cvt_f32_f64_e32 v2, v[6:7]
	s_branch .LBB177_730
.LBB177_726:
	s_mov_b64 s[2:3], -1
                                        ; implicit-def: $vgpr2_vgpr3
	s_branch .LBB177_748
.LBB177_727:
	s_mov_b64 s[2:3], -1
                                        ; implicit-def: $vgpr2_vgpr3
	s_branch .LBB177_736
.LBB177_728:
	s_mov_b64 s[2:3], -1
                                        ; implicit-def: $vgpr2_vgpr3
	s_branch .LBB177_733
.LBB177_729:
	s_mov_b64 s[2:3], -1
                                        ; implicit-def: $vgpr2_vgpr3
.LBB177_730:
	s_andn2_b64 vcc, exec, s[2:3]
	s_cbranch_vccnz .LBB177_732
; %bb.731:
	global_load_dwordx2 v[2:3], v[4:5], off
.LBB177_732:
	s_mov_b64 s[2:3], 0
.LBB177_733:
	s_andn2_b64 vcc, exec, s[2:3]
	s_cbranch_vccnz .LBB177_735
; %bb.734:
	global_load_dword v1, v[4:5], off
	s_waitcnt vmcnt(0)
	v_cvt_f32_f16_sdwa v3, v1 dst_sel:DWORD dst_unused:UNUSED_PAD src0_sel:WORD_1
	v_cvt_f32_f16_e32 v2, v1
.LBB177_735:
	s_mov_b64 s[2:3], 0
.LBB177_736:
	s_andn2_b64 vcc, exec, s[2:3]
	s_cbranch_vccnz .LBB177_747
; %bb.737:
	s_cmp_lt_i32 s10, 6
	s_cbranch_scc1 .LBB177_740
; %bb.738:
	s_cmp_gt_i32 s10, 6
	s_cbranch_scc0 .LBB177_741
; %bb.739:
	global_load_dwordx2 v[6:7], v[4:5], off
	s_waitcnt vmcnt(1)
	v_mov_b32_e32 v3, 0
	s_mov_b64 s[2:3], 0
	s_waitcnt vmcnt(0)
	v_cvt_f32_f64_e32 v2, v[6:7]
	s_branch .LBB177_742
.LBB177_740:
	s_mov_b64 s[2:3], -1
                                        ; implicit-def: $vgpr2_vgpr3
	s_branch .LBB177_745
.LBB177_741:
	s_mov_b64 s[2:3], -1
                                        ; implicit-def: $vgpr2_vgpr3
.LBB177_742:
	s_andn2_b64 vcc, exec, s[2:3]
	s_cbranch_vccnz .LBB177_744
; %bb.743:
	global_load_dword v2, v[4:5], off
	s_waitcnt vmcnt(1)
	v_mov_b32_e32 v3, 0
.LBB177_744:
	s_mov_b64 s[2:3], 0
.LBB177_745:
	s_andn2_b64 vcc, exec, s[2:3]
	s_cbranch_vccnz .LBB177_747
; %bb.746:
	global_load_ushort v1, v[4:5], off
	s_waitcnt vmcnt(1)
	v_mov_b32_e32 v3, 0
	s_waitcnt vmcnt(0)
	v_cvt_f32_f16_e32 v2, v1
.LBB177_747:
	s_mov_b64 s[2:3], 0
.LBB177_748:
	s_andn2_b64 vcc, exec, s[2:3]
	s_cbranch_vccnz .LBB177_768
; %bb.749:
	s_cmp_lt_i32 s10, 2
	s_cbranch_scc1 .LBB177_753
; %bb.750:
	s_cmp_lt_i32 s10, 3
	s_cbranch_scc1 .LBB177_754
; %bb.751:
	s_cmp_gt_i32 s10, 3
	s_cbranch_scc0 .LBB177_755
; %bb.752:
	global_load_dwordx2 v[2:3], v[4:5], off
	s_mov_b64 s[2:3], 0
	s_waitcnt vmcnt(0)
	v_xor_b32_e32 v6, v2, v3
	v_ffbh_i32_e32 v1, v3
	v_ashrrev_i32_e32 v6, 31, v6
	v_add_u32_e32 v1, -1, v1
	v_add_u32_e32 v6, 32, v6
	v_min_u32_e32 v1, v1, v6
	v_lshlrev_b64 v[2:3], v1, v[2:3]
	v_min_u32_e32 v2, 1, v2
	v_or_b32_e32 v2, v3, v2
	v_cvt_f32_i32_e32 v2, v2
	v_sub_u32_e32 v1, 32, v1
	v_mov_b32_e32 v3, 0
	v_ldexp_f32 v2, v2, v1
	s_branch .LBB177_756
.LBB177_753:
	s_mov_b64 s[2:3], -1
                                        ; implicit-def: $vgpr2_vgpr3
	s_branch .LBB177_762
.LBB177_754:
	s_mov_b64 s[2:3], -1
                                        ; implicit-def: $vgpr2_vgpr3
	s_branch .LBB177_759
.LBB177_755:
	s_mov_b64 s[2:3], -1
                                        ; implicit-def: $vgpr2_vgpr3
.LBB177_756:
	s_andn2_b64 vcc, exec, s[2:3]
	s_cbranch_vccnz .LBB177_758
; %bb.757:
	global_load_dword v1, v[4:5], off
	s_waitcnt vmcnt(1)
	v_mov_b32_e32 v3, 0
	s_waitcnt vmcnt(0)
	v_cvt_f32_i32_e32 v2, v1
.LBB177_758:
	s_mov_b64 s[2:3], 0
.LBB177_759:
	s_andn2_b64 vcc, exec, s[2:3]
	s_cbranch_vccnz .LBB177_761
; %bb.760:
	global_load_sshort v1, v[4:5], off
	s_waitcnt vmcnt(1)
	v_mov_b32_e32 v3, 0
	s_waitcnt vmcnt(0)
	v_cvt_f32_i32_e32 v2, v1
.LBB177_761:
	s_mov_b64 s[2:3], 0
.LBB177_762:
	s_andn2_b64 vcc, exec, s[2:3]
	s_cbranch_vccnz .LBB177_768
; %bb.763:
	s_cmp_gt_i32 s10, 0
	s_cbranch_scc0 .LBB177_765
; %bb.764:
	global_load_sbyte v1, v[4:5], off
	s_waitcnt vmcnt(1)
	v_mov_b32_e32 v3, 0
	s_mov_b64 s[2:3], 0
	s_waitcnt vmcnt(0)
	v_cvt_f32_i32_e32 v2, v1
	s_branch .LBB177_766
.LBB177_765:
	s_mov_b64 s[2:3], -1
                                        ; implicit-def: $vgpr2_vgpr3
.LBB177_766:
	s_andn2_b64 vcc, exec, s[2:3]
	s_cbranch_vccnz .LBB177_768
; %bb.767:
	global_load_ubyte v1, v[4:5], off
	s_waitcnt vmcnt(1)
	v_mov_b32_e32 v3, 0
	s_waitcnt vmcnt(0)
	v_cvt_f32_ubyte0_e32 v2, v1
.LBB177_768:
	s_mov_b64 s[2:3], -1
.LBB177_769:
	s_andn2_b64 vcc, exec, s[2:3]
	s_cbranch_vccnz .LBB177_782
; %bb.770:
	s_waitcnt vmcnt(0)
	v_cmp_neq_f32_e32 vcc, 0, v2
	v_cmp_neq_f32_e64 s[2:3], 0, v3
	v_mov_b32_e32 v1, 0
	s_or_b64 s[2:3], vcc, s[2:3]
	s_and_saveexec_b64 s[8:9], s[2:3]
	s_cbranch_execz .LBB177_801
; %bb.771:
	v_mov_b32_e32 v1, 0x7f800000
	v_cmp_neq_f32_e64 s[2:3], |v3|, v1
	s_and_saveexec_b64 s[10:11], s[2:3]
	s_cbranch_execz .LBB177_800
; %bb.772:
	v_cmp_o_f32_e32 vcc, v2, v2
                                        ; implicit-def: $vgpr1
	s_and_saveexec_b64 s[2:3], vcc
	s_xor_b64 s[12:13], exec, s[2:3]
	s_cbranch_execz .LBB177_797
; %bb.773:
	s_mov_b32 s2, 0x7f800000
	v_cmp_neq_f32_e64 s[2:3], |v2|, s2
                                        ; implicit-def: $vgpr1
	s_and_saveexec_b64 s[4:5], s[2:3]
	s_xor_b64 s[14:15], exec, s[4:5]
	s_cbranch_execz .LBB177_790
; %bb.774:
	v_max_f32_e64 v1, |v3|, |v3|
	v_max_f32_e64 v4, |v2|, |v2|
	v_max_f32_e32 v1, v4, v1
	s_mov_b32 s2, 0x7ed413cb
	v_cmp_nle_f32_e64 s[2:3], s2, v1
                                        ; implicit-def: $sgpr16_sgpr17
	s_and_saveexec_b64 s[4:5], s[2:3]
	s_xor_b64 s[4:5], exec, s[4:5]
	s_cbranch_execz .LBB177_778
; %bb.775:
	s_mov_b32 s18, 0x1000000
	v_cmp_le_f32_e64 s[16:17], |v2|, s18
	v_cmp_le_f32_e64 s[18:19], |v3|, s18
	s_and_b64 s[36:37], s[16:17], s[18:19]
	s_mov_b64 s[16:17], 0
	s_and_saveexec_b64 s[18:19], s[36:37]
; %bb.776:
	s_mov_b64 s[16:17], exec
	v_pk_mul_f32 v[2:3], v[2:3], 4.0 op_sel_hi:[1,0]
; %bb.777:
	s_or_b64 exec, exec, s[18:19]
.LBB177_778:
	s_andn2_saveexec_b64 s[4:5], s[4:5]
; %bb.779:
	s_mov_b32 s18, 0x3e800000
	v_pk_mul_f32 v[2:3], v[2:3], s[18:19] op_sel_hi:[1,0]
	s_andn2_b64 s[16:17], s[16:17], exec
; %bb.780:
	s_or_b64 exec, exec, s[4:5]
	v_max_f32_e64 v1, |v3|, |v3|
	v_max_f32_e64 v4, |v2|, |v2|
	v_max_f32_e32 v1, v4, v1
	v_cvt_f64_f32_e32 v[4:5], v1
	v_frexp_exp_i32_f64_e32 v4, v[4:5]
	v_sub_u32_e32 v5, 0, v4
	v_ldexp_f32 v6, |v2|, v5
	v_ldexp_f32 v5, |v3|, v5
	v_mul_f32_e32 v5, v5, v5
	v_fmac_f32_e32 v5, v6, v6
	v_sqrt_f32_e32 v5, v5
	s_mov_b32 s4, 0x7f800000
	v_cmp_neq_f32_e64 s[4:5], s4, v1
	v_cmp_le_f32_e32 vcc, 0, v2
	v_ldexp_f32 v4, v5, v4
	v_mov_b32_e32 v5, 0x7f800000
	v_cndmask_b32_e64 v1, v5, v4, s[4:5]
                                        ; implicit-def: $vgpr4_vgpr5
	s_and_saveexec_b64 s[4:5], vcc
	s_xor_b64 s[18:19], exec, s[4:5]
	s_cbranch_execz .LBB177_783
; %bb.781:
	v_add_f32_e32 v1, v2, v1
	v_mul_f32_e32 v1, 0.5, v1
	s_mov_b32 s4, 0xf800000
	v_mul_f32_e32 v2, 0x4f800000, v1
	v_cmp_gt_f32_e32 vcc, s4, v1
	s_nop 1
	v_cndmask_b32_e32 v1, v1, v2, vcc
	v_sqrt_f32_e32 v2, v1
	s_nop 0
	v_add_u32_e32 v4, -1, v2
	v_fma_f32 v5, -v4, v2, v1
	v_cmp_ge_f32_e64 s[4:5], 0, v5
	v_add_u32_e32 v5, 1, v2
	s_nop 0
	v_cndmask_b32_e64 v4, v2, v4, s[4:5]
	v_fma_f32 v2, -v5, v2, v1
	v_cmp_lt_f32_e64 s[4:5], 0, v2
	s_nop 1
	v_cndmask_b32_e64 v2, v4, v5, s[4:5]
	v_mul_f32_e32 v4, 0x37800000, v2
	v_cndmask_b32_e32 v2, v2, v4, vcc
	v_mov_b32_e32 v4, 0x260
	v_cmp_class_f32_e32 vcc, v1, v4
	s_nop 1
	v_cndmask_b32_e32 v4, v2, v1, vcc
	v_add_f32_e32 v1, v4, v4
	v_div_scale_f32 v2, s[4:5], v1, v1, v3
	v_rcp_f32_e32 v5, v2
	s_nop 0
	v_fma_f32 v6, -v2, v5, 1.0
	v_fmac_f32_e32 v5, v6, v5
	v_div_scale_f32 v6, vcc, v3, v1, v3
	v_mul_f32_e32 v7, v6, v5
	v_fma_f32 v8, -v2, v7, v6
	v_fmac_f32_e32 v7, v8, v5
	v_fma_f32 v2, -v2, v7, v6
	v_div_fmas_f32 v2, v2, v5, v7
	v_div_fixup_f32 v5, v2, v1, v3
                                        ; implicit-def: $vgpr1
                                        ; implicit-def: $vgpr2_vgpr3
	s_andn2_saveexec_b64 s[18:19], s[18:19]
	s_cbranch_execz .LBB177_785
	s_branch .LBB177_784
.LBB177_782:
	s_mov_b64 s[4:5], 0
	s_mov_b64 s[2:3], s[62:63]
	s_branch .LBB177_932
.LBB177_783:
	s_andn2_saveexec_b64 s[18:19], s[18:19]
	s_cbranch_execz .LBB177_785
.LBB177_784:
	v_sub_f32_e32 v1, v1, v2
	v_mul_f32_e32 v1, 0.5, v1
	s_mov_b32 s4, 0xf800000
	v_mul_f32_e32 v2, 0x4f800000, v1
	v_cmp_gt_f32_e32 vcc, s4, v1
	s_nop 1
	v_cndmask_b32_e32 v1, v1, v2, vcc
	v_sqrt_f32_e32 v2, v1
	s_nop 0
	v_add_u32_e32 v4, -1, v2
	v_fma_f32 v5, -v4, v2, v1
	v_cmp_ge_f32_e64 s[4:5], 0, v5
	v_add_u32_e32 v5, 1, v2
	s_nop 0
	v_cndmask_b32_e64 v4, v2, v4, s[4:5]
	v_fma_f32 v2, -v5, v2, v1
	v_cmp_lt_f32_e64 s[4:5], 0, v2
	s_nop 1
	v_cndmask_b32_e64 v2, v4, v5, s[4:5]
	v_mul_f32_e32 v4, 0x37800000, v2
	v_cndmask_b32_e32 v2, v2, v4, vcc
	v_mov_b32_e32 v4, 0x260
	v_cmp_class_f32_e32 vcc, v1, v4
	v_and_b32_e32 v4, 0x7fffffff, v3
	s_nop 0
	v_cndmask_b32_e32 v1, v2, v1, vcc
	v_add_f32_e32 v2, v1, v1
	v_div_scale_f32 v5, s[4:5], v2, v2, v4
	v_rcp_f32_e32 v6, v5
	v_div_scale_f32 v4, vcc, v4, v2, v4
	s_brev_b32 s4, -2
	v_fma_f32 v7, -v5, v6, 1.0
	v_fmac_f32_e32 v6, v7, v6
	v_mul_f32_e32 v7, v4, v6
	v_fma_f32 v8, -v5, v7, v4
	v_fmac_f32_e32 v7, v8, v6
	v_fma_f32 v4, -v5, v7, v4
	v_div_fmas_f32 v4, v4, v6, v7
	v_div_fixup_f32 v4, v4, v2, |v3|
	v_bfi_b32 v5, s4, v1, v3
.LBB177_785:
	s_or_b64 exec, exec, s[18:19]
                                        ; implicit-def: $vgpr3
                                        ; implicit-def: $vgpr1
	s_and_saveexec_b64 s[4:5], s[2:3]
	s_xor_b64 s[2:3], exec, s[4:5]
	s_cbranch_execz .LBB177_787
; %bb.786:
	v_pk_mul_f32 v[2:3], v[4:5], 0.5 op_sel_hi:[1,0]
	s_nop 0
	v_cndmask_b32_e64 v1, v4, v2, s[16:17]
	v_cndmask_b32_e64 v3, v5, v3, s[16:17]
                                        ; implicit-def: $vgpr4_vgpr5
	s_andn2_saveexec_b64 s[2:3], s[2:3]
	s_cbranch_execnz .LBB177_788
	s_branch .LBB177_789
.LBB177_787:
	s_andn2_saveexec_b64 s[2:3], s[2:3]
.LBB177_788:
	v_pk_add_f32 v[2:3], v[4:5], v[4:5]
	s_nop 0
	v_mov_b32_e32 v1, v2
.LBB177_789:
	s_or_b64 exec, exec, s[2:3]
.LBB177_790:
	s_andn2_saveexec_b64 s[2:3], s[14:15]
	s_cbranch_execz .LBB177_796
; %bb.791:
	v_sub_f32_e32 v4, v3, v3
	v_cmp_lt_i32_e32 vcc, -1, v2
	s_brev_b32 s14, -2
	v_and_b32_e32 v1, 0x7fffffff, v4
	s_and_saveexec_b64 s[4:5], vcc
	s_xor_b64 s[4:5], exec, s[4:5]
; %bb.792:
	v_bfi_b32 v3, s14, v4, v3
	v_mov_b32_e32 v1, v2
; %bb.793:
	s_andn2_saveexec_b64 s[4:5], s[4:5]
; %bb.794:
	v_bfi_b32 v3, s14, v2, v3
; %bb.795:
	s_or_b64 exec, exec, s[4:5]
.LBB177_796:
	s_or_b64 exec, exec, s[2:3]
.LBB177_797:
	s_andn2_saveexec_b64 s[2:3], s[12:13]
	s_cbranch_execz .LBB177_799
; %bb.798:
	v_sub_f32_e32 v1, v3, v3
	v_div_scale_f32 v3, vcc, v1, v1, v1
	v_rcp_f32_e32 v4, v3
	s_nop 0
	v_fma_f32 v5, -v3, v4, 1.0
	v_fmac_f32_e32 v4, v5, v4
	v_mul_f32_e32 v5, v3, v4
	v_fma_f32 v6, -v3, v5, v3
	v_fmac_f32_e32 v5, v6, v4
	v_fma_f32 v3, -v3, v5, v3
	v_div_fmas_f32 v3, v3, v4, v5
	v_div_fixup_f32 v3, v3, v1, v1
	v_mov_b32_e32 v1, v2
.LBB177_799:
	s_or_b64 exec, exec, s[2:3]
.LBB177_800:
	s_or_b64 exec, exec, s[10:11]
.LBB177_801:
	s_or_b64 exec, exec, s[8:9]
	v_cmp_gt_f32_e32 vcc, 0, v3
                                        ; implicit-def: $vgpr4_vgpr5
	s_nop 1
	v_cndmask_b32_e64 v6, v3, -v3, vcc
	v_cmp_gt_f32_e32 vcc, 0, v1
	s_nop 1
	v_cndmask_b32_e64 v2, v1, -v1, vcc
	v_cmp_ge_f32_e32 vcc, v2, v6
	s_and_saveexec_b64 s[2:3], vcc
	s_xor_b64 s[4:5], exec, s[2:3]
	s_cbranch_execz .LBB177_807
; %bb.802:
	v_cmp_neq_f32_e32 vcc, 0, v1
	v_cmp_neq_f32_e64 s[2:3], 0, v3
	s_or_b64 s[2:3], vcc, s[2:3]
                                        ; implicit-def: $vgpr4_vgpr5
	s_and_saveexec_b64 s[8:9], s[2:3]
	s_xor_b64 s[2:3], exec, s[8:9]
	s_cbranch_execz .LBB177_804
; %bb.803:
	v_div_scale_f32 v2, s[8:9], v1, v1, v3
	v_rcp_f32_e32 v4, v2
	v_div_scale_f32 v5, vcc, v3, v1, v3
	v_fma_f32 v6, -v2, v4, 1.0
	v_fmac_f32_e32 v4, v6, v4
	v_mul_f32_e32 v6, v5, v4
	v_fma_f32 v7, -v2, v6, v5
	v_fmac_f32_e32 v6, v7, v4
	v_fma_f32 v2, -v2, v6, v5
	v_div_fmas_f32 v2, v2, v4, v6
	v_div_fixup_f32 v5, v2, v1, v3
	v_fmac_f32_e32 v1, v3, v5
	v_div_scale_f32 v2, s[8:9], v1, v1, 1.0
	v_rcp_f32_e32 v3, v2
	s_nop 0
	v_fma_f32 v4, -v2, v3, 1.0
	v_fmac_f32_e32 v3, v4, v3
	v_div_scale_f32 v4, vcc, 1.0, v1, 1.0
	v_mul_f32_e32 v6, v4, v3
	v_fma_f32 v7, -v2, v6, v4
	v_fmac_f32_e32 v6, v7, v3
	v_fma_f32 v2, -v2, v6, v4
	v_div_fmas_f32 v2, v2, v3, v6
	v_div_fixup_f32 v2, v2, v1, 1.0
	v_mul_f32_e32 v1, 0, v5
	v_add_f32_e32 v4, 1.0, v1
	v_sub_f32_e32 v5, 0, v5
	v_pk_mul_f32 v[4:5], v[4:5], v[2:3] op_sel_hi:[1,0]
                                        ; implicit-def: $vgpr6
                                        ; implicit-def: $vgpr2
.LBB177_804:
	s_andn2_saveexec_b64 s[2:3], s[2:3]
	s_cbranch_execz .LBB177_806
; %bb.805:
	v_div_scale_f32 v1, s[8:9], v6, v6, 0
	v_rcp_f32_e32 v3, v1
	v_div_scale_f32 v4, vcc, 0, v6, 0
	v_fma_f32 v5, -v1, v3, 1.0
	v_fmac_f32_e32 v3, v5, v3
	v_mul_f32_e32 v5, v4, v3
	v_fma_f32 v7, -v1, v5, v4
	v_fmac_f32_e32 v5, v7, v3
	v_fma_f32 v1, -v1, v5, v4
	v_div_scale_f32 v4, s[8:9], v2, v2, 1.0
	v_rcp_f32_e32 v7, v4
	v_div_fmas_f32 v1, v1, v3, v5
	v_div_fixup_f32 v5, v1, v6, 0
	v_fma_f32 v1, -v4, v7, 1.0
	v_fmac_f32_e32 v7, v1, v7
	v_div_scale_f32 v1, vcc, 1.0, v2, 1.0
	v_mul_f32_e32 v3, v1, v7
	v_fma_f32 v6, -v4, v3, v1
	v_fmac_f32_e32 v3, v6, v7
	v_fma_f32 v1, -v4, v3, v1
	v_div_fmas_f32 v1, v1, v7, v3
	v_div_fixup_f32 v4, v1, v2, 1.0
.LBB177_806:
	s_or_b64 exec, exec, s[2:3]
                                        ; implicit-def: $vgpr3
                                        ; implicit-def: $vgpr1
.LBB177_807:
	s_andn2_saveexec_b64 s[2:3], s[4:5]
	s_cbranch_execz .LBB177_809
; %bb.808:
	v_div_scale_f32 v2, s[4:5], v3, v3, v1
	v_rcp_f32_e32 v4, v2
	v_div_scale_f32 v5, vcc, v1, v3, v1
	v_fma_f32 v6, -v2, v4, 1.0
	v_fmac_f32_e32 v4, v6, v4
	v_mul_f32_e32 v6, v5, v4
	v_fma_f32 v7, -v2, v6, v5
	v_fmac_f32_e32 v6, v7, v4
	v_fma_f32 v2, -v2, v6, v5
	v_div_fmas_f32 v2, v2, v4, v6
	v_div_fixup_f32 v2, v2, v3, v1
	v_fmac_f32_e32 v3, v1, v2
	v_div_scale_f32 v1, s[4:5], v3, v3, 1.0
	v_rcp_f32_e32 v4, v1
	s_mov_b32 s4, 0
	s_mov_b32 s5, -1.0
	v_fma_f32 v5, -v1, v4, 1.0
	v_fmac_f32_e32 v4, v5, v4
	v_div_scale_f32 v5, vcc, 1.0, v3, 1.0
	v_mul_f32_e32 v6, v5, v4
	v_fma_f32 v7, -v1, v6, v5
	v_fmac_f32_e32 v6, v7, v4
	v_fma_f32 v1, -v1, v6, v5
	v_div_fmas_f32 v1, v1, v4, v6
	v_div_fixup_f32 v4, v1, v3, 1.0
	v_mul_f32_e32 v3, 0, v2
	v_pk_add_f32 v[2:3], v[2:3], s[4:5]
	s_nop 0
	v_pk_mul_f32 v[4:5], v[2:3], v[4:5] op_sel_hi:[1,0]
.LBB177_809:
	s_or_b64 exec, exec, s[2:3]
	v_mov_b32_e32 v1, 0
	s_and_b32 s12, s73, 0xff
	s_cmp_lt_i32 s12, 11
	v_lshl_add_u64 v[0:1], s[20:21], 0, v[0:1]
	s_cbranch_scc1 .LBB177_816
; %bb.810:
	s_and_b32 s13, 0xffff, s12
	s_cmp_gt_i32 s13, 25
	s_cbranch_scc0 .LBB177_817
; %bb.811:
	s_cmp_gt_i32 s13, 28
	s_cbranch_scc0 .LBB177_818
; %bb.812:
	;; [unrolled: 3-line block ×4, first 2 shown]
	s_mov_b64 s[8:9], 0
	s_mov_b64 s[2:3], -1
	s_cmp_eq_u32 s13, 46
	s_mov_b64 s[4:5], 0
	s_cbranch_scc0 .LBB177_821
; %bb.815:
	s_movk_i32 s2, 0x7fff
	v_bfe_u32 v3, v5, 16, 1
	v_add3_u32 v3, v5, v3, s2
	v_bfe_u32 v2, v4, 16, 1
	v_and_b32_e32 v3, 0xffff0000, v3
	v_mov_b32_e32 v6, 0x7fc00000
	v_cmp_o_f32_e32 vcc, v5, v5
	v_add3_u32 v2, v4, v2, s2
	s_mov_b64 s[4:5], -1
	v_cndmask_b32_e32 v3, v6, v3, vcc
	v_cmp_o_f32_e32 vcc, v4, v4
	v_mov_b32_e32 v6, 0x7fc0
	s_mov_b64 s[2:3], 0
	v_cndmask_b32_sdwa v2, v6, v2, vcc dst_sel:DWORD dst_unused:UNUSED_PAD src0_sel:DWORD src1_sel:WORD_1
	v_or_b32_e32 v2, v3, v2
	global_store_dword v[0:1], v2, off
	s_branch .LBB177_821
.LBB177_816:
	s_mov_b64 s[8:9], -1
	s_mov_b64 s[4:5], 0
	s_mov_b64 s[2:3], s[62:63]
	s_branch .LBB177_890
.LBB177_817:
	s_mov_b64 s[8:9], -1
	s_mov_b64 s[4:5], 0
	s_mov_b64 s[2:3], s[62:63]
	s_branch .LBB177_848
.LBB177_818:
	s_mov_b64 s[8:9], -1
	s_mov_b64 s[4:5], 0
	s_mov_b64 s[2:3], s[62:63]
	s_branch .LBB177_831
.LBB177_819:
	s_mov_b64 s[8:9], -1
	s_mov_b64 s[4:5], 0
	s_mov_b64 s[2:3], s[62:63]
	s_branch .LBB177_827
.LBB177_820:
	s_mov_b64 s[8:9], -1
	s_mov_b64 s[4:5], 0
	s_mov_b64 s[2:3], s[62:63]
.LBB177_821:
	s_and_b64 vcc, exec, s[8:9]
	s_cbranch_vccz .LBB177_826
; %bb.822:
	s_cmp_eq_u32 s13, 44
	s_mov_b64 s[2:3], -1
	s_cbranch_scc0 .LBB177_826
; %bb.823:
	v_bfe_u32 v2, v4, 23, 8
	s_movk_i32 s2, 0xff
	v_cmp_ne_u32_e32 vcc, s2, v2
	v_mov_b32_e32 v3, 0xff
	s_and_saveexec_b64 s[4:5], vcc
; %bb.824:
	s_mov_b32 s2, 0x3fffff
	v_and_b32_e32 v6, 0x400000, v4
	v_and_or_b32 v2, v4, s2, v2
	v_cmp_ne_u32_e32 vcc, 0, v6
	v_cmp_ne_u32_e64 s[2:3], 0, v2
	s_and_b64 s[2:3], vcc, s[2:3]
	v_lshrrev_b32_e32 v3, 23, v4
	v_cndmask_b32_e64 v2, 0, 1, s[2:3]
	v_add_u32_e32 v3, v3, v2
; %bb.825:
	s_or_b64 exec, exec, s[4:5]
	s_mov_b64 s[4:5], -1
	s_mov_b64 s[2:3], 0
	global_store_byte v[0:1], v3, off
.LBB177_826:
	s_mov_b64 s[8:9], 0
.LBB177_827:
	s_and_b64 vcc, exec, s[8:9]
	s_cbranch_vccz .LBB177_830
; %bb.828:
	s_cmp_eq_u32 s13, 29
	s_mov_b64 s[2:3], -1
	s_cbranch_scc0 .LBB177_830
; %bb.829:
	v_trunc_f32_e32 v2, v4
	v_mul_f32_e32 v3, 0x2f800000, v2
	v_floor_f32_e32 v6, v3
	v_fmamk_f32 v2, v6, 0xcf800000, v2
	v_cvt_u32_f32_e32 v3, v6
	v_cvt_u32_f32_e32 v2, v2
	s_mov_b64 s[4:5], -1
	s_mov_b64 s[2:3], 0
	s_mov_b64 s[8:9], 0
	global_store_dwordx2 v[0:1], v[2:3], off
	s_branch .LBB177_831
.LBB177_830:
	s_mov_b64 s[8:9], 0
.LBB177_831:
	s_and_b64 vcc, exec, s[8:9]
	s_cbranch_vccz .LBB177_847
; %bb.832:
	s_cmp_lt_i32 s13, 27
	s_mov_b64 s[4:5], -1
	s_cbranch_scc1 .LBB177_838
; %bb.833:
	v_cvt_u32_f32_e32 v2, v4
	s_cmp_gt_i32 s13, 27
	s_cbranch_scc0 .LBB177_835
; %bb.834:
	s_mov_b64 s[4:5], 0
	global_store_dword v[0:1], v2, off
.LBB177_835:
	s_andn2_b64 vcc, exec, s[4:5]
	s_cbranch_vccnz .LBB177_837
; %bb.836:
	global_store_short v[0:1], v2, off
.LBB177_837:
	s_mov_b64 s[4:5], 0
.LBB177_838:
	s_andn2_b64 vcc, exec, s[4:5]
	s_cbranch_vccnz .LBB177_846
; %bb.839:
	v_and_b32_e32 v2, 0x7fffffff, v4
	s_mov_b32 s4, 0x43800000
	v_cmp_gt_u32_e32 vcc, s4, v2
	v_mov_b32_e32 v3, 0x80
	s_and_saveexec_b64 s[4:5], vcc
	s_cbranch_execz .LBB177_845
; %bb.840:
	s_mov_b32 s8, 0x3bffffff
	v_cmp_lt_u32_e32 vcc, s8, v2
	s_mov_b64 s[8:9], 0
                                        ; implicit-def: $vgpr2
	s_and_saveexec_b64 s[10:11], vcc
	s_xor_b64 s[10:11], exec, s[10:11]
	s_cbranch_execz .LBB177_963
; %bb.841:
	v_bfe_u32 v2, v4, 20, 1
	s_mov_b32 s14, 0x487ffff
	v_add3_u32 v2, v4, v2, s14
	s_mov_b64 s[8:9], exec
	v_lshrrev_b32_e32 v2, 20, v2
	s_andn2_saveexec_b64 s[10:11], s[10:11]
	s_cbranch_execnz .LBB177_964
.LBB177_842:
	s_or_b64 exec, exec, s[10:11]
	v_mov_b32_e32 v3, 0
	s_and_saveexec_b64 s[10:11], s[8:9]
.LBB177_843:
	v_lshrrev_b32_e32 v3, 24, v4
	s_movk_i32 s8, 0x80
	v_and_or_b32 v3, v3, s8, v2
.LBB177_844:
	s_or_b64 exec, exec, s[10:11]
.LBB177_845:
	s_or_b64 exec, exec, s[4:5]
	global_store_byte v[0:1], v3, off
.LBB177_846:
	s_mov_b64 s[4:5], -1
.LBB177_847:
	s_mov_b64 s[8:9], 0
.LBB177_848:
	s_and_b64 vcc, exec, s[8:9]
	s_cbranch_vccz .LBB177_889
; %bb.849:
	s_cmp_gt_i32 s13, 22
	s_mov_b64 s[8:9], -1
	s_cbranch_scc0 .LBB177_881
; %bb.850:
	s_cmp_lt_i32 s13, 24
	s_mov_b64 s[4:5], -1
	s_cbranch_scc1 .LBB177_870
; %bb.851:
	s_cmp_gt_i32 s13, 24
	s_cbranch_scc0 .LBB177_859
; %bb.852:
	v_and_b32_e32 v2, 0x7fffffff, v4
	s_mov_b32 s4, 0x47800000
	v_cmp_gt_u32_e32 vcc, s4, v2
	v_mov_b32_e32 v3, 0x80
	s_and_saveexec_b64 s[4:5], vcc
	s_cbranch_execz .LBB177_858
; %bb.853:
	s_mov_b32 s8, 0x37ffffff
	v_cmp_lt_u32_e32 vcc, s8, v2
	s_mov_b64 s[8:9], 0
                                        ; implicit-def: $vgpr2
	s_and_saveexec_b64 s[10:11], vcc
	s_xor_b64 s[10:11], exec, s[10:11]
	s_cbranch_execz .LBB177_966
; %bb.854:
	v_bfe_u32 v2, v4, 21, 1
	s_mov_b32 s14, 0x88fffff
	v_add3_u32 v2, v4, v2, s14
	s_mov_b64 s[8:9], exec
	v_lshrrev_b32_e32 v2, 21, v2
	s_andn2_saveexec_b64 s[10:11], s[10:11]
	s_cbranch_execnz .LBB177_967
.LBB177_855:
	s_or_b64 exec, exec, s[10:11]
	v_mov_b32_e32 v3, 0
	s_and_saveexec_b64 s[10:11], s[8:9]
.LBB177_856:
	v_lshrrev_b32_e32 v3, 24, v4
	s_movk_i32 s8, 0x80
	v_and_or_b32 v3, v3, s8, v2
.LBB177_857:
	s_or_b64 exec, exec, s[10:11]
.LBB177_858:
	s_or_b64 exec, exec, s[4:5]
	s_mov_b64 s[4:5], 0
	global_store_byte v[0:1], v3, off
.LBB177_859:
	s_and_b64 vcc, exec, s[4:5]
	s_cbranch_vccz .LBB177_869
; %bb.860:
	v_and_b32_e32 v3, 0x7fffffff, v4
	s_mov_b32 s4, 0x43f00000
	v_cmp_gt_u32_e32 vcc, s4, v3
                                        ; implicit-def: $vgpr2
	s_and_saveexec_b64 s[4:5], vcc
	s_xor_b64 s[4:5], exec, s[4:5]
	s_cbranch_execz .LBB177_866
; %bb.861:
	s_mov_b32 s8, 0x3c7fffff
	v_cmp_lt_u32_e32 vcc, s8, v3
                                        ; implicit-def: $vgpr2
	s_and_saveexec_b64 s[8:9], vcc
	s_xor_b64 s[8:9], exec, s[8:9]
; %bb.862:
	v_bfe_u32 v2, v4, 20, 1
	s_mov_b32 s10, 0x407ffff
	v_add3_u32 v2, v4, v2, s10
	v_lshrrev_b32_e32 v3, 20, v2
	v_and_b32_e32 v2, 0xff00000, v2
	s_mov_b32 s10, 0x7f00000
	v_mov_b32_e32 v6, 0x7e
	v_cmp_ne_u32_e32 vcc, s10, v2
	s_nop 1
	v_cndmask_b32_e32 v2, v6, v3, vcc
; %bb.863:
	s_andn2_saveexec_b64 s[8:9], s[8:9]
; %bb.864:
	s_mov_b32 s10, 0x46800000
	v_add_f32_e64 v2, |v4|, s10
; %bb.865:
	s_or_b64 exec, exec, s[8:9]
                                        ; implicit-def: $vgpr3
.LBB177_866:
	s_andn2_saveexec_b64 s[4:5], s[4:5]
; %bb.867:
	s_mov_b32 s8, 0x7f800000
	v_mov_b32_e32 v2, 0x7e
	v_mov_b32_e32 v6, 0x7f
	v_cmp_lt_u32_e32 vcc, s8, v3
	s_nop 1
	v_cndmask_b32_e32 v2, v2, v6, vcc
; %bb.868:
	s_or_b64 exec, exec, s[4:5]
	v_lshrrev_b32_e32 v3, 24, v4
	s_movk_i32 s4, 0x80
	v_and_or_b32 v2, v3, s4, v2
	global_store_byte v[0:1], v2, off
.LBB177_869:
	s_mov_b64 s[4:5], 0
.LBB177_870:
	s_andn2_b64 vcc, exec, s[4:5]
	s_cbranch_vccnz .LBB177_880
; %bb.871:
	v_and_b32_e32 v3, 0x7fffffff, v4
	s_mov_b32 s4, 0x47800000
	v_cmp_gt_u32_e32 vcc, s4, v3
                                        ; implicit-def: $vgpr2
	s_and_saveexec_b64 s[4:5], vcc
	s_xor_b64 s[4:5], exec, s[4:5]
	s_cbranch_execz .LBB177_877
; %bb.872:
	s_mov_b32 s8, 0x387fffff
	v_cmp_lt_u32_e32 vcc, s8, v3
                                        ; implicit-def: $vgpr2
	s_and_saveexec_b64 s[8:9], vcc
	s_xor_b64 s[8:9], exec, s[8:9]
; %bb.873:
	v_bfe_u32 v2, v4, 21, 1
	s_mov_b32 s10, 0x80fffff
	v_add3_u32 v2, v4, v2, s10
	v_lshrrev_b32_e32 v2, 21, v2
; %bb.874:
	s_andn2_saveexec_b64 s[8:9], s[8:9]
; %bb.875:
	s_mov_b32 s10, 0x43000000
	v_add_f32_e64 v2, |v4|, s10
; %bb.876:
	s_or_b64 exec, exec, s[8:9]
                                        ; implicit-def: $vgpr3
.LBB177_877:
	s_andn2_saveexec_b64 s[4:5], s[4:5]
; %bb.878:
	s_mov_b32 s8, 0x7f800000
	v_mov_b32_e32 v2, 0x7c
	v_mov_b32_e32 v6, 0x7f
	v_cmp_lt_u32_e32 vcc, s8, v3
	s_nop 1
	v_cndmask_b32_e32 v2, v2, v6, vcc
; %bb.879:
	s_or_b64 exec, exec, s[4:5]
	v_lshrrev_b32_e32 v3, 24, v4
	s_movk_i32 s4, 0x80
	v_and_or_b32 v2, v3, s4, v2
	global_store_byte v[0:1], v2, off
.LBB177_880:
	s_mov_b64 s[8:9], 0
	s_mov_b64 s[4:5], -1
.LBB177_881:
	s_andn2_b64 vcc, exec, s[8:9]
	s_cbranch_vccnz .LBB177_889
; %bb.882:
	s_cmp_gt_i32 s13, 14
	s_mov_b64 s[8:9], -1
	s_cbranch_scc0 .LBB177_886
; %bb.883:
	s_cmp_eq_u32 s13, 15
	s_mov_b64 s[2:3], -1
	s_cbranch_scc0 .LBB177_885
; %bb.884:
	v_bfe_u32 v2, v4, 16, 1
	s_movk_i32 s2, 0x7fff
	v_add3_u32 v2, v4, v2, s2
	v_cmp_o_f32_e32 vcc, v4, v4
	v_mov_b32_e32 v3, 0x7fc0
	s_mov_b64 s[4:5], -1
	v_cndmask_b32_sdwa v2, v3, v2, vcc dst_sel:DWORD dst_unused:UNUSED_PAD src0_sel:DWORD src1_sel:WORD_1
	global_store_short v[0:1], v2, off
	s_mov_b64 s[2:3], 0
.LBB177_885:
	s_mov_b64 s[8:9], 0
.LBB177_886:
	s_and_b64 vcc, exec, s[8:9]
	s_cbranch_vccz .LBB177_889
; %bb.887:
	s_cmp_eq_u32 s13, 11
	s_mov_b64 s[2:3], -1
	s_cbranch_scc0 .LBB177_889
; %bb.888:
	v_cmp_neq_f32_e32 vcc, 0, v4
	v_cmp_neq_f32_e64 s[2:3], 0, v5
	s_or_b64 s[2:3], vcc, s[2:3]
	s_mov_b64 s[4:5], -1
	v_cndmask_b32_e64 v2, 0, 1, s[2:3]
	s_mov_b64 s[2:3], 0
	global_store_byte v[0:1], v2, off
.LBB177_889:
	s_mov_b64 s[8:9], 0
.LBB177_890:
	s_and_b64 vcc, exec, s[8:9]
	s_cbranch_vccz .LBB177_929
; %bb.891:
	s_and_b32 s8, 0xffff, s12
	s_cmp_lt_i32 s8, 5
	s_mov_b64 s[4:5], -1
	s_cbranch_scc1 .LBB177_912
; %bb.892:
	s_cmp_lt_i32 s8, 8
	s_cbranch_scc1 .LBB177_902
; %bb.893:
	s_cmp_lt_i32 s8, 9
	s_cbranch_scc1 .LBB177_899
; %bb.894:
	s_cmp_gt_i32 s8, 9
	s_cbranch_scc0 .LBB177_896
; %bb.895:
	v_cvt_f64_f32_e32 v[6:7], v4
	v_cvt_f64_f32_e32 v[8:9], v5
	s_mov_b64 s[4:5], 0
	global_store_dwordx4 v[0:1], v[6:9], off
.LBB177_896:
	s_andn2_b64 vcc, exec, s[4:5]
	s_cbranch_vccnz .LBB177_898
; %bb.897:
	global_store_dwordx2 v[0:1], v[4:5], off
.LBB177_898:
	s_mov_b64 s[4:5], 0
.LBB177_899:
	s_andn2_b64 vcc, exec, s[4:5]
	s_cbranch_vccnz .LBB177_901
; %bb.900:
	v_cvt_f16_f32_e32 v2, v4
	v_cvt_f16_f32_sdwa v3, v5 dst_sel:WORD_1 dst_unused:UNUSED_PAD src0_sel:DWORD
	s_nop 0
	v_or_b32_e32 v2, v3, v2
	global_store_dword v[0:1], v2, off
.LBB177_901:
	s_mov_b64 s[4:5], 0
.LBB177_902:
	s_andn2_b64 vcc, exec, s[4:5]
	s_cbranch_vccnz .LBB177_911
; %bb.903:
	s_cmp_lt_i32 s8, 6
	s_mov_b64 s[4:5], -1
	s_cbranch_scc1 .LBB177_909
; %bb.904:
	s_cmp_gt_i32 s8, 6
	s_cbranch_scc0 .LBB177_906
; %bb.905:
	v_cvt_f64_f32_e32 v[2:3], v4
	s_mov_b64 s[4:5], 0
	global_store_dwordx2 v[0:1], v[2:3], off
.LBB177_906:
	s_andn2_b64 vcc, exec, s[4:5]
	s_cbranch_vccnz .LBB177_908
; %bb.907:
	global_store_dword v[0:1], v4, off
.LBB177_908:
	s_mov_b64 s[4:5], 0
.LBB177_909:
	s_andn2_b64 vcc, exec, s[4:5]
	s_cbranch_vccnz .LBB177_911
; %bb.910:
	v_cvt_f16_f32_e32 v2, v4
	global_store_short v[0:1], v2, off
.LBB177_911:
	s_mov_b64 s[4:5], 0
.LBB177_912:
	s_andn2_b64 vcc, exec, s[4:5]
	s_cbranch_vccnz .LBB177_928
; %bb.913:
	s_cmp_lt_i32 s8, 2
	s_mov_b64 s[4:5], -1
	s_cbranch_scc1 .LBB177_923
; %bb.914:
	s_cmp_lt_i32 s8, 3
	s_cbranch_scc1 .LBB177_920
; %bb.915:
	s_cmp_gt_i32 s8, 3
	s_cbranch_scc0 .LBB177_917
; %bb.916:
	v_trunc_f32_e32 v2, v4
	s_mov_b32 s4, 0x2f800000
	v_mul_f32_e64 v3, |v2|, s4
	v_floor_f32_e32 v3, v3
	s_mov_b32 s4, 0xcf800000
	v_cvt_u32_f32_e32 v5, v3
	v_fma_f32 v3, v3, s4, |v2|
	v_cvt_u32_f32_e32 v3, v3
	v_ashrrev_i32_e32 v6, 31, v2
	v_xor_b32_e32 v5, v5, v6
	s_mov_b64 s[4:5], 0
	v_xor_b32_e32 v2, v3, v6
	v_sub_co_u32_e32 v2, vcc, v2, v6
	s_nop 1
	v_subb_co_u32_e32 v3, vcc, v5, v6, vcc
	global_store_dwordx2 v[0:1], v[2:3], off
.LBB177_917:
	s_andn2_b64 vcc, exec, s[4:5]
	s_cbranch_vccnz .LBB177_919
; %bb.918:
	v_cvt_i32_f32_e32 v2, v4
	global_store_dword v[0:1], v2, off
.LBB177_919:
	s_mov_b64 s[4:5], 0
.LBB177_920:
	s_andn2_b64 vcc, exec, s[4:5]
	s_cbranch_vccnz .LBB177_922
; %bb.921:
	v_cvt_i32_f32_e32 v2, v4
	global_store_short v[0:1], v2, off
.LBB177_922:
	s_mov_b64 s[4:5], 0
.LBB177_923:
	s_andn2_b64 vcc, exec, s[4:5]
	s_cbranch_vccnz .LBB177_928
; %bb.924:
	s_cmp_gt_i32 s8, 0
	s_mov_b64 s[4:5], -1
	s_cbranch_scc0 .LBB177_926
; %bb.925:
	v_cvt_i32_f32_e32 v2, v4
	s_mov_b64 s[4:5], 0
	global_store_byte v[0:1], v2, off
.LBB177_926:
	s_andn2_b64 vcc, exec, s[4:5]
	s_cbranch_vccnz .LBB177_928
; %bb.927:
	v_trunc_f32_e32 v2, v4
	s_mov_b32 s4, 0x2f800000
	v_mul_f32_e64 v3, |v2|, s4
	v_floor_f32_e32 v3, v3
	s_mov_b32 s4, 0xcf800000
	v_fma_f32 v3, v3, s4, |v2|
	v_cvt_u32_f32_e32 v3, v3
	v_ashrrev_i32_e32 v2, 31, v2
	v_xor_b32_e32 v3, v3, v2
	v_sub_u32_e32 v2, v3, v2
	global_store_byte v[0:1], v2, off
.LBB177_928:
	s_mov_b64 s[4:5], -1
.LBB177_929:
	s_andn2_b64 vcc, exec, s[4:5]
	s_cbranch_vccnz .LBB177_931
; %bb.930:
	v_add_u32_e32 v14, 0x80, v14
	s_mov_b64 s[4:5], -1
	s_branch .LBB177_933
.LBB177_931:
	s_mov_b64 s[4:5], 0
.LBB177_932:
                                        ; implicit-def: $vgpr14
.LBB177_933:
	s_andn2_b64 s[8:9], s[62:63], exec
	s_and_b64 s[2:3], s[2:3], exec
	s_or_b64 s[68:69], s[8:9], s[2:3]
	s_andn2_b64 s[2:3], s[60:61], exec
	s_and_b64 s[6:7], s[6:7], exec
	s_or_b64 s[2:3], s[2:3], s[6:7]
	s_orn2_b64 s[6:7], s[4:5], exec
.LBB177_934:
	s_or_b64 exec, exec, s[66:67]
	s_mov_b64 s[4:5], 0
	s_mov_b64 s[10:11], 0
	;; [unrolled: 1-line block ×3, first 2 shown]
                                        ; implicit-def: $vgpr4_vgpr5
                                        ; implicit-def: $vgpr0
                                        ; implicit-def: $vgpr2_vgpr3
	s_and_saveexec_b64 s[66:67], s[6:7]
	s_cbranch_execz .LBB177_1034
; %bb.935:
	v_cmp_gt_i32_e32 vcc, s70, v14
	s_mov_b64 s[6:7], 0
	s_mov_b64 s[12:13], s[2:3]
                                        ; implicit-def: $vgpr4_vgpr5
                                        ; implicit-def: $vgpr0
                                        ; implicit-def: $vgpr2_vgpr3
	s_and_saveexec_b64 s[70:71], vcc
	s_cbranch_execz .LBB177_1033
; %bb.936:
	s_andn2_b64 vcc, exec, s[42:43]
	s_cbranch_vccnz .LBB177_942
; %bb.937:
	s_andn2_b64 vcc, exec, s[52:53]
	s_cbranch_vccnz .LBB177_943
; %bb.938:
	s_add_i32 s76, s75, 1
	s_cmp_eq_u32 s72, 2
	s_cbranch_scc1 .LBB177_944
; %bb.939:
	s_and_b32 s75, s76, 28
	s_mov_b32 s77, 0
	v_mov_b32_e32 v0, 0
	s_waitcnt vmcnt(0)
	v_mov_b32_e32 v2, 0
	s_mov_b64 s[52:53], s[34:35]
	v_mov_b32_e32 v4, v14
.LBB177_940:                            ; =>This Inner Loop Header: Depth=1
	s_load_dwordx8 s[12:19], s[52:53], 0x4
	s_load_dwordx4 s[36:39], s[52:53], 0x24
	s_load_dwordx8 s[4:11], s[50:51], 0x0
	s_add_u32 s52, s52, 48
	s_addc_u32 s53, s53, 0
	s_waitcnt lgkmcnt(0)
	v_mul_hi_u32 v1, s13, v4
	v_add_u32_e32 v1, v4, v1
	v_lshrrev_b32_e32 v1, s14, v1
	v_mul_lo_u32 v3, v1, s12
	v_mul_hi_u32 v5, s16, v1
	v_sub_u32_e32 v3, v4, v3
	v_add_u32_e32 v4, v1, v5
	v_lshrrev_b32_e32 v4, s17, v4
	v_mul_lo_u32 v6, v4, s15
	v_mul_hi_u32 v7, s19, v4
	v_sub_u32_e32 v1, v1, v6
	v_add_u32_e32 v6, v4, v7
	v_mul_lo_u32 v5, v3, s5
	v_mul_lo_u32 v3, v3, s4
	;; [unrolled: 1-line block ×4, first 2 shown]
	v_lshrrev_b32_e32 v6, s36, v6
	v_add3_u32 v0, v3, v0, v1
	v_mul_hi_u32 v3, s38, v6
	v_add3_u32 v1, v5, v2, v7
	v_mul_lo_u32 v2, v6, s18
	v_add_u32_e32 v3, v6, v3
	v_sub_u32_e32 v2, v4, v2
	v_lshrrev_b32_e32 v4, s39, v3
	s_add_i32 s77, s77, 4
	v_mul_lo_u32 v3, v4, s37
	s_add_u32 s50, s50, 32
	v_sub_u32_e32 v3, v6, v3
	s_addc_u32 s51, s51, 0
	v_mul_lo_u32 v5, v2, s8
	v_mul_lo_u32 v2, v2, s9
	;; [unrolled: 1-line block ×4, first 2 shown]
	s_cmp_eq_u32 s75, s77
	v_add3_u32 v2, v2, v1, v3
	v_add3_u32 v0, v5, v0, v6
	s_cbranch_scc0 .LBB177_940
; %bb.941:
	v_mov_b32_e32 v1, v2
	s_branch .LBB177_945
.LBB177_942:
	s_mov_b64 s[4:5], -1
                                        ; implicit-def: $vgpr2
                                        ; implicit-def: $vgpr0
	s_branch .LBB177_949
.LBB177_943:
	s_waitcnt vmcnt(0)
	v_mov_b32_e32 v2, 0
	v_mov_b32_e32 v0, 0
	s_branch .LBB177_948
.LBB177_944:
	v_mov_b32_e32 v0, 0
	s_mov_b32 s75, 0
	v_mov_b32_e32 v1, v0
                                        ; implicit-def: $vgpr2
	v_mov_b32_e32 v4, v14
.LBB177_945:
	s_and_b32 s8, s76, 3
	s_cmp_eq_u32 s8, 0
	s_cbranch_scc1 .LBB177_948
; %bb.946:
	s_lshl_b32 s4, s75, 3
	s_add_u32 s4, s34, s4
	s_addc_u32 s5, s35, 0
	s_add_u32 s4, s4, 0xc4
	s_addc_u32 s5, s5, 0
	s_mul_i32 s6, s75, 12
	s_add_u32 s6, s34, s6
	s_addc_u32 s7, s35, 0
.LBB177_947:                            ; =>This Inner Loop Header: Depth=1
	s_load_dwordx2 s[10:11], s[6:7], 0x4
	s_load_dword s9, s[6:7], 0xc
	s_load_dwordx2 s[12:13], s[4:5], 0x0
	s_waitcnt vmcnt(0)
	v_mov_b32_e32 v2, v1
	s_add_u32 s6, s6, 12
	s_waitcnt lgkmcnt(0)
	v_mul_hi_u32 v1, s11, v4
	v_add_u32_e32 v1, v4, v1
	v_lshrrev_b32_e32 v1, s9, v1
	s_addc_u32 s7, s7, 0
	v_mul_lo_u32 v3, v1, s10
	s_add_u32 s4, s4, 8
	v_sub_u32_e32 v5, v4, v3
	s_addc_u32 s5, s5, 0
	s_add_i32 s8, s8, -1
	v_mov_b32_e32 v4, v1
	v_mad_u64_u32 v[2:3], s[10:11], v5, s13, v[2:3]
	v_mad_u64_u32 v[0:1], s[10:11], v5, s12, v[0:1]
	s_cmp_lg_u32 s8, 0
	v_mov_b32_e32 v1, v2
	s_cbranch_scc1 .LBB177_947
.LBB177_948:
	s_mov_b64 s[4:5], 0
.LBB177_949:
	s_andn2_b64 vcc, exec, s[4:5]
	s_cbranch_vccnz .LBB177_952
; %bb.950:
	s_waitcnt lgkmcnt(0)
	v_mul_hi_u32 v0, s29, v14
	v_add_u32_e32 v0, v14, v0
	v_lshrrev_b32_e32 v1, s30, v0
	v_mul_lo_u32 v0, v1, s28
	v_sub_u32_e32 v0, v14, v0
	s_waitcnt vmcnt(0)
	v_mul_lo_u32 v2, v0, s25
	s_andn2_b64 vcc, exec, s[48:49]
	v_mul_lo_u32 v0, v0, s24
	s_cbranch_vccnz .LBB177_952
; %bb.951:
	v_mul_hi_u32 v3, s46, v1
	v_add_u32_e32 v3, v1, v3
	v_lshrrev_b32_e32 v3, s47, v3
	v_mul_lo_u32 v3, v3, s31
	v_sub_u32_e32 v3, v1, v3
	v_mad_u64_u32 v[0:1], s[4:5], v3, s26, v[0:1]
	v_mad_u64_u32 v[2:3], s[4:5], v3, s27, v[2:3]
.LBB177_952:
	s_waitcnt vmcnt(0)
	v_mov_b32_e32 v3, 0
	s_and_b32 s14, 0xffff, s74
	s_cmp_lt_i32 s14, 11
	s_waitcnt lgkmcnt(0)
	v_lshl_add_u64 v[4:5], s[22:23], 0, v[2:3]
	s_cbranch_scc1 .LBB177_959
; %bb.953:
	s_cmp_gt_i32 s14, 25
	s_mov_b64 s[6:7], 0
	s_cbranch_scc0 .LBB177_960
; %bb.954:
	s_cmp_gt_i32 s14, 28
	s_cbranch_scc0 .LBB177_961
; %bb.955:
	s_cmp_gt_i32 s14, 43
	;; [unrolled: 3-line block ×3, first 2 shown]
	s_cbranch_scc0 .LBB177_965
; %bb.957:
	s_cmp_eq_u32 s14, 46
	s_mov_b64 s[10:11], 0
	s_cbranch_scc0 .LBB177_968
; %bb.958:
	global_load_dword v1, v[4:5], off
	s_mov_b64 s[4:5], 0
	s_mov_b64 s[8:9], -1
	s_waitcnt vmcnt(0)
	v_and_b32_e32 v3, 0xffff0000, v1
	v_lshlrev_b32_e32 v2, 16, v1
	s_branch .LBB177_969
.LBB177_959:
	s_mov_b64 s[10:11], -1
	s_mov_b64 s[8:9], 0
	s_mov_b64 s[6:7], 0
	;; [unrolled: 1-line block ×3, first 2 shown]
                                        ; implicit-def: $vgpr2_vgpr3
	s_branch .LBB177_1032
.LBB177_960:
	s_mov_b64 s[10:11], -1
	s_mov_b64 s[8:9], 0
	s_mov_b64 s[4:5], s[2:3]
                                        ; implicit-def: $vgpr2_vgpr3
	s_branch .LBB177_1000
.LBB177_961:
	s_mov_b64 s[10:11], -1
	s_mov_b64 s[8:9], 0
	s_mov_b64 s[4:5], s[2:3]
                                        ; implicit-def: $vgpr2_vgpr3
	s_branch .LBB177_979
.LBB177_962:
	s_mov_b64 s[10:11], -1
	s_mov_b64 s[8:9], 0
	s_mov_b64 s[4:5], s[2:3]
                                        ; implicit-def: $vgpr2_vgpr3
	s_branch .LBB177_974
.LBB177_963:
	s_andn2_saveexec_b64 s[10:11], s[10:11]
	s_cbranch_execz .LBB177_842
.LBB177_964:
	s_mov_b32 s14, 0x46000000
	v_add_f32_e64 v2, |v4|, s14
	v_and_b32_e32 v2, 0xff, v2
	v_cmp_ne_u32_e32 vcc, 0, v2
	s_andn2_b64 s[8:9], s[8:9], exec
	s_and_b64 s[14:15], vcc, exec
	s_or_b64 s[8:9], s[8:9], s[14:15]
	s_or_b64 exec, exec, s[10:11]
	v_mov_b32_e32 v3, 0
	s_and_saveexec_b64 s[10:11], s[8:9]
	s_cbranch_execnz .LBB177_843
	s_branch .LBB177_844
.LBB177_965:
	s_mov_b64 s[10:11], -1
	s_mov_b64 s[8:9], 0
	s_mov_b64 s[4:5], s[2:3]
                                        ; implicit-def: $vgpr2_vgpr3
	s_branch .LBB177_969
.LBB177_966:
	s_andn2_saveexec_b64 s[10:11], s[10:11]
	s_cbranch_execz .LBB177_855
.LBB177_967:
	s_mov_b32 s14, 0x42800000
	v_add_f32_e64 v2, |v4|, s14
	v_and_b32_e32 v2, 0xff, v2
	v_cmp_ne_u32_e32 vcc, 0, v2
	s_andn2_b64 s[8:9], s[8:9], exec
	s_and_b64 s[14:15], vcc, exec
	s_or_b64 s[8:9], s[8:9], s[14:15]
	s_or_b64 exec, exec, s[10:11]
	v_mov_b32_e32 v3, 0
	s_and_saveexec_b64 s[10:11], s[8:9]
	s_cbranch_execnz .LBB177_856
	s_branch .LBB177_857
.LBB177_968:
	s_mov_b64 s[4:5], -1
                                        ; implicit-def: $vgpr2_vgpr3
	s_mov_b64 s[8:9], 0
.LBB177_969:
	s_and_b64 vcc, exec, s[10:11]
	s_cbranch_vccz .LBB177_973
; %bb.970:
	s_cmp_eq_u32 s14, 44
	s_cbranch_scc0 .LBB177_972
; %bb.971:
	global_load_ubyte v1, v[4:5], off
	s_movk_i32 s8, 0xff
	v_mov_b32_e32 v2, 0x7f800001
	v_mov_b32_e32 v6, 0x400000
	;; [unrolled: 1-line block ×3, first 2 shown]
	s_mov_b64 s[4:5], 0
	s_waitcnt vmcnt(0)
	v_lshlrev_b32_e32 v7, 23, v1
	v_cmp_ne_u32_e32 vcc, s8, v1
	s_mov_b64 s[8:9], -1
	s_nop 0
	v_cndmask_b32_e32 v2, v2, v7, vcc
	v_cmp_ne_u32_e32 vcc, 0, v1
	s_nop 1
	v_cndmask_b32_e32 v2, v6, v2, vcc
	s_branch .LBB177_973
.LBB177_972:
	s_mov_b64 s[4:5], -1
                                        ; implicit-def: $vgpr2_vgpr3
.LBB177_973:
	s_mov_b64 s[10:11], 0
.LBB177_974:
	s_and_b64 vcc, exec, s[10:11]
	s_cbranch_vccz .LBB177_978
; %bb.975:
	s_cmp_eq_u32 s14, 29
	s_cbranch_scc0 .LBB177_977
; %bb.976:
	global_load_dwordx2 v[2:3], v[4:5], off
	s_mov_b64 s[4:5], 0
	s_mov_b64 s[8:9], -1
	s_mov_b64 s[10:11], 0
	s_waitcnt vmcnt(0)
	v_ffbh_u32_e32 v1, v3
	v_min_u32_e32 v1, 32, v1
	v_lshlrev_b64 v[2:3], v1, v[2:3]
	v_min_u32_e32 v2, 1, v2
	v_or_b32_e32 v2, v3, v2
	v_cvt_f32_u32_e32 v2, v2
	v_sub_u32_e32 v1, 32, v1
	v_mov_b32_e32 v3, 0
	v_ldexp_f32 v2, v2, v1
	s_branch .LBB177_979
.LBB177_977:
	s_mov_b64 s[4:5], -1
                                        ; implicit-def: $vgpr2_vgpr3
.LBB177_978:
	s_mov_b64 s[10:11], 0
.LBB177_979:
	s_and_b64 vcc, exec, s[10:11]
	s_cbranch_vccz .LBB177_999
; %bb.980:
	s_cmp_lt_i32 s14, 27
	s_cbranch_scc1 .LBB177_983
; %bb.981:
	s_cmp_gt_i32 s14, 27
	s_cbranch_scc0 .LBB177_984
; %bb.982:
	global_load_dword v1, v[4:5], off
	v_mov_b32_e32 v3, 0
	s_mov_b64 s[8:9], 0
	s_waitcnt vmcnt(0)
	v_cvt_f32_u32_e32 v2, v1
	s_branch .LBB177_985
.LBB177_983:
	s_mov_b64 s[8:9], -1
                                        ; implicit-def: $vgpr2_vgpr3
	s_branch .LBB177_988
.LBB177_984:
	s_mov_b64 s[8:9], -1
                                        ; implicit-def: $vgpr2_vgpr3
.LBB177_985:
	s_andn2_b64 vcc, exec, s[8:9]
	s_cbranch_vccnz .LBB177_987
; %bb.986:
	global_load_ushort v1, v[4:5], off
	v_mov_b32_e32 v3, 0
	s_waitcnt vmcnt(0)
	v_cvt_f32_u32_e32 v2, v1
.LBB177_987:
	s_mov_b64 s[8:9], 0
.LBB177_988:
	s_andn2_b64 vcc, exec, s[8:9]
	s_cbranch_vccnz .LBB177_998
; %bb.989:
	global_load_ubyte v1, v[4:5], off
	s_movk_i32 s8, 0x7f
	s_waitcnt vmcnt(0)
	v_cmp_lt_i16_e32 vcc, s8, v1
	s_mov_b64 s[8:9], 0
	s_and_saveexec_b64 s[10:11], vcc
	s_xor_b64 s[10:11], exec, s[10:11]
	s_cbranch_execz .LBB177_993
; %bb.990:
	s_movk_i32 s8, 0x80
	v_cmp_eq_u16_e32 vcc, s8, v1
	s_mov_b64 s[8:9], -1
	s_and_saveexec_b64 s[12:13], vcc
; %bb.991:
	s_xor_b64 s[8:9], exec, -1
; %bb.992:
	s_or_b64 exec, exec, s[12:13]
	s_and_b64 s[8:9], s[8:9], exec
.LBB177_993:
	s_or_saveexec_b64 s[10:11], s[10:11]
	v_mov_b32_e32 v2, 0x7f800001
	v_mov_b32_e32 v3, 0
	s_xor_b64 exec, exec, s[10:11]
; %bb.994:
	v_cmp_ne_u16_e32 vcc, 0, v1
	s_andn2_b64 s[8:9], s[8:9], exec
	s_and_b64 s[12:13], vcc, exec
	v_mov_b32_e32 v2, v3
	s_or_b64 s[8:9], s[8:9], s[12:13]
; %bb.995:
	s_or_b64 exec, exec, s[10:11]
	s_and_saveexec_b64 s[10:11], s[8:9]
	s_cbranch_execz .LBB177_997
; %bb.996:
	v_lshlrev_b32_e32 v2, 24, v1
	v_and_b32_e32 v1, 0xffff, v1
	v_and_b32_e32 v3, 7, v1
	v_ffbh_u32_e32 v7, v3
	v_min_u32_e32 v7, 32, v7
	v_subrev_u32_e32 v8, 28, v7
	v_bfe_u32 v6, v1, 3, 4
	v_lshlrev_b32_e32 v1, v8, v1
	v_sub_u32_e32 v7, 29, v7
	v_and_b32_e32 v1, 7, v1
	v_cmp_eq_u32_e32 vcc, 0, v6
	v_and_b32_e32 v2, 0x80000000, v2
	s_nop 0
	v_cndmask_b32_e32 v6, v6, v7, vcc
	v_cndmask_b32_e32 v1, v3, v1, vcc
	v_mov_b32_e32 v3, 0x3b800000
	v_lshlrev_b32_e32 v1, 20, v1
	v_lshl_add_u32 v3, v6, 23, v3
	v_or3_b32 v2, v2, v3, v1
	v_mov_b32_e32 v3, 0
.LBB177_997:
	s_or_b64 exec, exec, s[10:11]
.LBB177_998:
	s_mov_b64 s[8:9], -1
.LBB177_999:
	s_mov_b64 s[10:11], 0
.LBB177_1000:
	s_and_b64 vcc, exec, s[10:11]
	s_cbranch_vccz .LBB177_1031
; %bb.1001:
	s_cmp_gt_i32 s14, 22
	s_cbranch_scc0 .LBB177_1013
; %bb.1002:
	s_cmp_lt_i32 s14, 24
	s_cbranch_scc1 .LBB177_1014
; %bb.1003:
	s_cmp_gt_i32 s14, 24
	s_cbranch_scc0 .LBB177_1015
; %bb.1004:
	global_load_ubyte v1, v[4:5], off
	s_movk_i32 s6, 0x7f
	s_waitcnt vmcnt(0)
	v_cmp_lt_i16_e32 vcc, s6, v1
	s_mov_b64 s[6:7], 0
	s_and_saveexec_b64 s[8:9], vcc
	s_xor_b64 s[8:9], exec, s[8:9]
	s_cbranch_execz .LBB177_1008
; %bb.1005:
	s_movk_i32 s6, 0x80
	v_cmp_eq_u16_e32 vcc, s6, v1
	s_mov_b64 s[6:7], -1
	s_and_saveexec_b64 s[10:11], vcc
; %bb.1006:
	s_xor_b64 s[6:7], exec, -1
; %bb.1007:
	s_or_b64 exec, exec, s[10:11]
	s_and_b64 s[6:7], s[6:7], exec
.LBB177_1008:
	s_or_saveexec_b64 s[8:9], s[8:9]
	v_mov_b32_e32 v2, 0x7f800001
	v_mov_b32_e32 v3, 0
	s_xor_b64 exec, exec, s[8:9]
; %bb.1009:
	v_cmp_ne_u16_e32 vcc, 0, v1
	s_andn2_b64 s[6:7], s[6:7], exec
	s_and_b64 s[10:11], vcc, exec
	v_mov_b32_e32 v2, v3
	s_or_b64 s[6:7], s[6:7], s[10:11]
; %bb.1010:
	s_or_b64 exec, exec, s[8:9]
	s_and_saveexec_b64 s[8:9], s[6:7]
	s_cbranch_execz .LBB177_1012
; %bb.1011:
	v_lshlrev_b32_e32 v2, 24, v1
	v_and_b32_e32 v1, 0xffff, v1
	v_and_b32_e32 v3, 3, v1
	v_ffbh_u32_e32 v7, v3
	v_min_u32_e32 v7, 32, v7
	v_subrev_u32_e32 v8, 29, v7
	v_bfe_u32 v6, v1, 2, 5
	v_lshlrev_b32_e32 v1, v8, v1
	v_sub_u32_e32 v7, 30, v7
	v_and_b32_e32 v1, 3, v1
	v_cmp_eq_u32_e32 vcc, 0, v6
	v_and_b32_e32 v2, 0x80000000, v2
	s_nop 0
	v_cndmask_b32_e32 v6, v6, v7, vcc
	v_cndmask_b32_e32 v1, v3, v1, vcc
	v_mov_b32_e32 v3, 0x37800000
	v_lshlrev_b32_e32 v1, 21, v1
	v_lshl_add_u32 v3, v6, 23, v3
	v_or3_b32 v2, v2, v3, v1
	v_mov_b32_e32 v3, 0
.LBB177_1012:
	s_or_b64 exec, exec, s[8:9]
	s_mov_b64 s[6:7], 0
	s_branch .LBB177_1016
.LBB177_1013:
	s_mov_b64 s[6:7], -1
                                        ; implicit-def: $vgpr2_vgpr3
	s_branch .LBB177_1022
.LBB177_1014:
	s_mov_b64 s[6:7], -1
                                        ; implicit-def: $vgpr2_vgpr3
	s_branch .LBB177_1019
.LBB177_1015:
	s_mov_b64 s[6:7], -1
                                        ; implicit-def: $vgpr2_vgpr3
.LBB177_1016:
	s_and_b64 vcc, exec, s[6:7]
	s_cbranch_vccz .LBB177_1018
; %bb.1017:
	global_load_ubyte v1, v[4:5], off
	s_mov_b32 s6, 0x7f800000
	s_brev_b32 s7, 1
	s_waitcnt vmcnt(0)
	v_lshlrev_b32_e32 v1, 24, v1
	v_and_b32_e32 v2, 0x7f000000, v1
	v_ffbh_u32_e32 v3, v2
	v_min_u32_e32 v3, 32, v3
	v_sub_u32_e64 v3, v3, 4 clamp
	v_lshlrev_b32_e32 v7, v3, v2
	v_lshlrev_b32_e32 v3, 23, v3
	v_lshrrev_b32_e32 v7, 4, v7
	v_add_u32_e32 v6, 0x1000000, v2
	v_sub_u32_e32 v3, v7, v3
	v_ashrrev_i32_e32 v6, 8, v6
	v_add_u32_e32 v3, 0x3c000000, v3
	v_and_or_b32 v3, v6, s6, v3
	v_cmp_ne_u32_e32 vcc, 0, v2
	s_nop 1
	v_cndmask_b32_e32 v2, 0, v3, vcc
	v_and_or_b32 v2, v1, s7, v2
	v_mov_b32_e32 v3, 0
.LBB177_1018:
	s_mov_b64 s[6:7], 0
.LBB177_1019:
	s_andn2_b64 vcc, exec, s[6:7]
	s_cbranch_vccnz .LBB177_1021
; %bb.1020:
	global_load_ubyte v1, v[4:5], off
	s_movk_i32 s6, 0x7f00
	s_brev_b32 s7, 16
	s_brev_b32 s8, 1
	s_waitcnt vmcnt(0)
	v_lshlrev_b16_e32 v2, 8, v1
	v_lshlrev_b32_e32 v1, 25, v1
	v_lshrrev_b32_e32 v3, 4, v1
	v_and_or_b32 v6, v2, s6, 0.5
	v_or_b32_e32 v3, 0x70000000, v3
	v_add_f32_e32 v6, -0.5, v6
	v_mul_f32_e32 v3, 0x7800000, v3
	v_cmp_gt_u32_e32 vcc, s7, v1
	v_bfe_i32 v2, v2, 0, 16
	s_nop 0
	v_cndmask_b32_e32 v1, v3, v6, vcc
	v_and_or_b32 v2, v2, s8, v1
	v_mov_b32_e32 v3, 0
.LBB177_1021:
	s_mov_b64 s[6:7], 0
	s_mov_b64 s[8:9], -1
.LBB177_1022:
	s_andn2_b64 vcc, exec, s[6:7]
	s_mov_b64 s[6:7], 0
	s_cbranch_vccnz .LBB177_1031
; %bb.1023:
	s_cmp_gt_i32 s14, 14
	s_cbranch_scc0 .LBB177_1026
; %bb.1024:
	s_cmp_eq_u32 s14, 15
	s_cbranch_scc0 .LBB177_1027
; %bb.1025:
	global_load_ushort v1, v[4:5], off
	v_mov_b32_e32 v3, 0
	s_mov_b64 s[4:5], 0
	s_mov_b64 s[8:9], -1
	s_waitcnt vmcnt(0)
	v_lshlrev_b32_e32 v2, 16, v1
	s_branch .LBB177_1028
.LBB177_1026:
	s_mov_b64 s[10:11], -1
                                        ; implicit-def: $vgpr2_vgpr3
	s_branch .LBB177_1029
.LBB177_1027:
	s_mov_b64 s[4:5], -1
                                        ; implicit-def: $vgpr2_vgpr3
.LBB177_1028:
	s_mov_b64 s[10:11], 0
.LBB177_1029:
	s_and_b64 vcc, exec, s[10:11]
	s_cbranch_vccz .LBB177_1031
; %bb.1030:
	s_cmp_lg_u32 s14, 11
	s_cselect_b64 s[10:11], -1, 0
	s_andn2_b64 s[4:5], s[4:5], exec
	s_and_b64 s[10:11], s[10:11], exec
	s_mov_b64 s[6:7], -1
	s_or_b64 s[4:5], s[4:5], s[10:11]
.LBB177_1031:
	s_mov_b64 s[10:11], 0
.LBB177_1032:
	s_andn2_b64 s[12:13], s[2:3], exec
	s_and_b64 s[4:5], s[4:5], exec
	s_and_b64 s[8:9], s[8:9], exec
	;; [unrolled: 1-line block ×4, first 2 shown]
	s_or_b64 s[12:13], s[12:13], s[4:5]
.LBB177_1033:
	s_or_b64 exec, exec, s[70:71]
	s_and_b64 s[4:5], s[6:7], exec
	s_andn2_b64 s[2:3], s[2:3], exec
	s_and_b64 s[6:7], s[12:13], exec
	s_and_b64 s[8:9], s[8:9], exec
	;; [unrolled: 1-line block ×3, first 2 shown]
	s_or_b64 s[2:3], s[2:3], s[6:7]
.LBB177_1034:
	s_or_b64 exec, exec, s[66:67]
	s_andn2_b64 s[6:7], s[62:63], exec
	s_and_b64 s[12:13], s[68:69], exec
	s_or_b64 s[62:63], s[6:7], s[12:13]
	s_and_b64 s[6:7], s[10:11], exec
	s_andn2_b64 s[10:11], s[60:61], exec
	s_and_b64 s[2:3], s[2:3], exec
	s_and_b64 s[8:9], s[8:9], exec
	;; [unrolled: 1-line block ×3, first 2 shown]
	s_or_b64 s[60:61], s[10:11], s[2:3]
.LBB177_1035:
	s_or_b64 exec, exec, s[64:65]
	s_andn2_b64 s[2:3], s[54:55], exec
	s_and_b64 s[10:11], s[62:63], exec
	s_or_b64 s[54:55], s[2:3], s[10:11]
	s_and_b64 s[2:3], s[8:9], exec
	s_and_b64 s[8:9], s[6:7], exec
	;; [unrolled: 1-line block ×3, first 2 shown]
	s_andn2_b64 s[4:5], s[56:57], exec
	s_and_b64 s[6:7], s[60:61], exec
	s_or_b64 s[56:57], s[4:5], s[6:7]
	s_or_b64 exec, exec, s[58:59]
	s_mov_b64 s[6:7], 0
	s_and_saveexec_b64 s[4:5], s[56:57]
	s_cbranch_execz .LBB177_314
.LBB177_1036:
	s_mov_b64 s[6:7], exec
	s_andn2_b64 s[62:63], s[62:63], exec
	s_trap 2
	s_or_b64 exec, exec, s[4:5]
	s_and_saveexec_b64 s[4:5], s[62:63]
	s_xor_b64 s[4:5], exec, s[4:5]
	s_cbranch_execnz .LBB177_315
.LBB177_1037:
	s_or_b64 exec, exec, s[4:5]
	s_and_saveexec_b64 s[4:5], s[8:9]
	s_cbranch_execz .LBB177_1083
.LBB177_1038:
	s_sext_i32_i16 s8, s74
	s_cmp_lt_i32 s8, 5
	s_cbranch_scc1 .LBB177_1043
; %bb.1039:
	s_cmp_lt_i32 s8, 8
	s_cbranch_scc1 .LBB177_1044
; %bb.1040:
	;; [unrolled: 3-line block ×3, first 2 shown]
	s_cmp_gt_i32 s8, 9
	s_cbranch_scc0 .LBB177_1046
; %bb.1042:
	global_load_dwordx4 v[6:9], v[4:5], off
	s_mov_b64 s[8:9], 0
	s_waitcnt vmcnt(0)
	v_cvt_f32_f64_e32 v3, v[8:9]
	v_cvt_f32_f64_e32 v2, v[6:7]
	s_branch .LBB177_1047
.LBB177_1043:
                                        ; implicit-def: $vgpr2_vgpr3
	s_branch .LBB177_1064
.LBB177_1044:
                                        ; implicit-def: $vgpr2_vgpr3
	s_branch .LBB177_1053
.LBB177_1045:
	s_mov_b64 s[8:9], -1
                                        ; implicit-def: $vgpr2_vgpr3
	s_branch .LBB177_1050
.LBB177_1046:
	s_mov_b64 s[8:9], -1
                                        ; implicit-def: $vgpr2_vgpr3
.LBB177_1047:
	s_andn2_b64 vcc, exec, s[8:9]
	s_cbranch_vccnz .LBB177_1049
; %bb.1048:
	global_load_dwordx2 v[2:3], v[4:5], off
.LBB177_1049:
	s_mov_b64 s[8:9], 0
.LBB177_1050:
	s_andn2_b64 vcc, exec, s[8:9]
	s_cbranch_vccnz .LBB177_1052
; %bb.1051:
	global_load_dword v1, v[4:5], off
	s_waitcnt vmcnt(0)
	v_cvt_f32_f16_sdwa v3, v1 dst_sel:DWORD dst_unused:UNUSED_PAD src0_sel:WORD_1
	v_cvt_f32_f16_e32 v2, v1
.LBB177_1052:
	s_cbranch_execnz .LBB177_1063
.LBB177_1053:
	s_sext_i32_i16 s8, s74
	s_cmp_lt_i32 s8, 6
	s_cbranch_scc1 .LBB177_1056
; %bb.1054:
	s_cmp_gt_i32 s8, 6
	s_cbranch_scc0 .LBB177_1057
; %bb.1055:
	global_load_dwordx2 v[6:7], v[4:5], off
	s_waitcnt vmcnt(1)
	v_mov_b32_e32 v3, 0
	s_mov_b64 s[8:9], 0
	s_waitcnt vmcnt(0)
	v_cvt_f32_f64_e32 v2, v[6:7]
	s_branch .LBB177_1058
.LBB177_1056:
	s_mov_b64 s[8:9], -1
                                        ; implicit-def: $vgpr2_vgpr3
	s_branch .LBB177_1061
.LBB177_1057:
	s_mov_b64 s[8:9], -1
                                        ; implicit-def: $vgpr2_vgpr3
.LBB177_1058:
	s_andn2_b64 vcc, exec, s[8:9]
	s_cbranch_vccnz .LBB177_1060
; %bb.1059:
	global_load_dword v2, v[4:5], off
	s_waitcnt vmcnt(1)
	v_mov_b32_e32 v3, 0
.LBB177_1060:
	s_mov_b64 s[8:9], 0
.LBB177_1061:
	s_andn2_b64 vcc, exec, s[8:9]
	s_cbranch_vccnz .LBB177_1063
; %bb.1062:
	global_load_ushort v1, v[4:5], off
	s_waitcnt vmcnt(1)
	v_mov_b32_e32 v3, 0
	s_waitcnt vmcnt(0)
	v_cvt_f32_f16_e32 v2, v1
.LBB177_1063:
	s_cbranch_execnz .LBB177_1082
.LBB177_1064:
	s_sext_i32_i16 s8, s74
	s_cmp_lt_i32 s8, 2
	s_cbranch_scc1 .LBB177_1068
; %bb.1065:
	s_cmp_lt_i32 s8, 3
	s_cbranch_scc1 .LBB177_1069
; %bb.1066:
	s_cmp_gt_i32 s8, 3
	s_cbranch_scc0 .LBB177_1070
; %bb.1067:
	global_load_dwordx2 v[2:3], v[4:5], off
	s_mov_b64 s[8:9], 0
	s_waitcnt vmcnt(0)
	v_xor_b32_e32 v6, v2, v3
	v_ffbh_i32_e32 v1, v3
	v_ashrrev_i32_e32 v6, 31, v6
	v_add_u32_e32 v1, -1, v1
	v_add_u32_e32 v6, 32, v6
	v_min_u32_e32 v1, v1, v6
	v_lshlrev_b64 v[2:3], v1, v[2:3]
	v_min_u32_e32 v2, 1, v2
	v_or_b32_e32 v2, v3, v2
	v_cvt_f32_i32_e32 v2, v2
	v_sub_u32_e32 v1, 32, v1
	v_mov_b32_e32 v3, 0
	v_ldexp_f32 v2, v2, v1
	s_branch .LBB177_1071
.LBB177_1068:
                                        ; implicit-def: $vgpr2_vgpr3
	s_branch .LBB177_1077
.LBB177_1069:
	s_mov_b64 s[8:9], -1
                                        ; implicit-def: $vgpr2_vgpr3
	s_branch .LBB177_1074
.LBB177_1070:
	s_mov_b64 s[8:9], -1
                                        ; implicit-def: $vgpr2_vgpr3
.LBB177_1071:
	s_andn2_b64 vcc, exec, s[8:9]
	s_cbranch_vccnz .LBB177_1073
; %bb.1072:
	global_load_dword v1, v[4:5], off
	s_waitcnt vmcnt(1)
	v_mov_b32_e32 v3, 0
	s_waitcnt vmcnt(0)
	v_cvt_f32_i32_e32 v2, v1
.LBB177_1073:
	s_mov_b64 s[8:9], 0
.LBB177_1074:
	s_andn2_b64 vcc, exec, s[8:9]
	s_cbranch_vccnz .LBB177_1076
; %bb.1075:
	global_load_sshort v1, v[4:5], off
	s_waitcnt vmcnt(1)
	v_mov_b32_e32 v3, 0
	s_waitcnt vmcnt(0)
	v_cvt_f32_i32_e32 v2, v1
.LBB177_1076:
	s_cbranch_execnz .LBB177_1082
.LBB177_1077:
	s_sext_i32_i16 s8, s74
	s_cmp_gt_i32 s8, 0
	s_cbranch_scc0 .LBB177_1079
; %bb.1078:
	global_load_sbyte v1, v[4:5], off
	s_waitcnt vmcnt(1)
	v_mov_b32_e32 v3, 0
	s_mov_b64 s[8:9], 0
	s_waitcnt vmcnt(0)
	v_cvt_f32_i32_e32 v2, v1
	s_branch .LBB177_1080
.LBB177_1079:
	s_mov_b64 s[8:9], -1
                                        ; implicit-def: $vgpr2_vgpr3
.LBB177_1080:
	s_andn2_b64 vcc, exec, s[8:9]
	s_cbranch_vccnz .LBB177_1082
; %bb.1081:
	global_load_ubyte v1, v[4:5], off
	s_waitcnt vmcnt(1)
	v_mov_b32_e32 v3, 0
	s_waitcnt vmcnt(0)
	v_cvt_f32_ubyte0_e32 v2, v1
.LBB177_1082:
	s_or_b64 s[2:3], s[2:3], exec
.LBB177_1083:
	s_or_b64 exec, exec, s[4:5]
	s_mov_b64 s[10:11], 0
	s_mov_b64 s[4:5], 0
                                        ; implicit-def: $sgpr16
                                        ; implicit-def: $vgpr6_vgpr7
                                        ; implicit-def: $vgpr4
	s_and_saveexec_b64 s[8:9], s[2:3]
	s_cbranch_execz .LBB177_1096
; %bb.1084:
	s_waitcnt vmcnt(0)
	v_cmp_neq_f32_e32 vcc, 0, v2
	v_cmp_neq_f32_e64 s[2:3], 0, v3
	v_mov_b32_e32 v1, 0
	s_or_b64 s[2:3], vcc, s[2:3]
	s_and_saveexec_b64 s[10:11], s[2:3]
	s_cbranch_execz .LBB177_1117
; %bb.1085:
	v_mov_b32_e32 v1, 0x7f800000
	v_cmp_neq_f32_e64 s[2:3], |v3|, v1
	s_and_saveexec_b64 s[12:13], s[2:3]
	s_cbranch_execz .LBB177_1116
; %bb.1086:
	v_cmp_o_f32_e32 vcc, v2, v2
                                        ; implicit-def: $vgpr1
	s_and_saveexec_b64 s[2:3], vcc
	s_xor_b64 s[14:15], exec, s[2:3]
	s_cbranch_execz .LBB177_1113
; %bb.1087:
	s_mov_b32 s2, 0x7f800000
	v_cmp_neq_f32_e64 s[2:3], |v2|, s2
                                        ; implicit-def: $vgpr1
	s_and_saveexec_b64 s[4:5], s[2:3]
	s_xor_b64 s[16:17], exec, s[4:5]
	s_cbranch_execz .LBB177_1106
; %bb.1088:
	v_max_f32_e64 v1, |v3|, |v3|
	v_max_f32_e64 v4, |v2|, |v2|
	v_max_f32_e32 v1, v4, v1
	s_mov_b32 s2, 0x7ed413cb
	v_cmp_nle_f32_e64 s[2:3], s2, v1
                                        ; implicit-def: $sgpr18_sgpr19
	s_and_saveexec_b64 s[4:5], s[2:3]
	s_xor_b64 s[4:5], exec, s[4:5]
	s_cbranch_execz .LBB177_1092
; %bb.1089:
	s_waitcnt lgkmcnt(0)
	s_mov_b32 s22, 0x1000000
	v_cmp_le_f32_e64 s[18:19], |v2|, s22
	v_cmp_le_f32_e64 s[22:23], |v3|, s22
	s_and_b64 s[24:25], s[18:19], s[22:23]
	s_mov_b64 s[18:19], 0
	s_and_saveexec_b64 s[22:23], s[24:25]
; %bb.1090:
	s_mov_b64 s[18:19], exec
	v_pk_mul_f32 v[2:3], v[2:3], 4.0 op_sel_hi:[1,0]
; %bb.1091:
	s_or_b64 exec, exec, s[22:23]
.LBB177_1092:
	s_andn2_saveexec_b64 s[4:5], s[4:5]
	s_cbranch_execz .LBB177_1094
; %bb.1093:
	s_waitcnt lgkmcnt(0)
	s_mov_b32 s22, 0x3e800000
	v_pk_mul_f32 v[2:3], v[2:3], s[22:23] op_sel_hi:[1,0]
	s_andn2_b64 s[18:19], s[18:19], exec
.LBB177_1094:
	s_or_b64 exec, exec, s[4:5]
	v_max_f32_e64 v1, |v3|, |v3|
	v_max_f32_e64 v4, |v2|, |v2|
	v_max_f32_e32 v1, v4, v1
	v_cvt_f64_f32_e32 v[4:5], v1
	v_frexp_exp_i32_f64_e32 v4, v[4:5]
	v_sub_u32_e32 v5, 0, v4
	v_ldexp_f32 v6, |v2|, v5
	v_ldexp_f32 v5, |v3|, v5
	v_mul_f32_e32 v5, v5, v5
	v_fmac_f32_e32 v5, v6, v6
	v_sqrt_f32_e32 v5, v5
	s_mov_b32 s4, 0x7f800000
	v_cmp_neq_f32_e64 s[4:5], s4, v1
	v_cmp_le_f32_e32 vcc, 0, v2
	v_ldexp_f32 v4, v5, v4
	v_mov_b32_e32 v5, 0x7f800000
	v_cndmask_b32_e64 v1, v5, v4, s[4:5]
                                        ; implicit-def: $vgpr4_vgpr5
	s_and_saveexec_b64 s[4:5], vcc
	s_waitcnt lgkmcnt(0)
	s_xor_b64 s[22:23], exec, s[4:5]
	s_cbranch_execz .LBB177_1099
; %bb.1095:
	v_add_f32_e32 v1, v2, v1
	v_mul_f32_e32 v1, 0.5, v1
	s_mov_b32 s4, 0xf800000
	v_mul_f32_e32 v2, 0x4f800000, v1
	v_cmp_gt_f32_e32 vcc, s4, v1
	s_nop 1
	v_cndmask_b32_e32 v1, v1, v2, vcc
	v_sqrt_f32_e32 v2, v1
	s_nop 0
	v_add_u32_e32 v4, -1, v2
	v_fma_f32 v5, -v4, v2, v1
	v_cmp_ge_f32_e64 s[4:5], 0, v5
	v_add_u32_e32 v5, 1, v2
	s_nop 0
	v_cndmask_b32_e64 v4, v2, v4, s[4:5]
	v_fma_f32 v2, -v5, v2, v1
	v_cmp_lt_f32_e64 s[4:5], 0, v2
	s_nop 1
	v_cndmask_b32_e64 v2, v4, v5, s[4:5]
	v_mul_f32_e32 v4, 0x37800000, v2
	v_cndmask_b32_e32 v2, v2, v4, vcc
	v_mov_b32_e32 v4, 0x260
	v_cmp_class_f32_e32 vcc, v1, v4
	s_nop 1
	v_cndmask_b32_e32 v4, v2, v1, vcc
	v_add_f32_e32 v1, v4, v4
	v_div_scale_f32 v2, s[4:5], v1, v1, v3
	v_rcp_f32_e32 v5, v2
	s_nop 0
	v_fma_f32 v6, -v2, v5, 1.0
	v_fmac_f32_e32 v5, v6, v5
	v_div_scale_f32 v6, vcc, v3, v1, v3
	v_mul_f32_e32 v7, v6, v5
	v_fma_f32 v8, -v2, v7, v6
	v_fmac_f32_e32 v7, v8, v5
	v_fma_f32 v2, -v2, v7, v6
	v_div_fmas_f32 v2, v2, v5, v7
	v_div_fixup_f32 v5, v2, v1, v3
                                        ; implicit-def: $vgpr1
                                        ; implicit-def: $vgpr2_vgpr3
	s_andn2_saveexec_b64 s[22:23], s[22:23]
	s_cbranch_execz .LBB177_1101
	s_branch .LBB177_1100
.LBB177_1096:
	s_or_b64 exec, exec, s[8:9]
	s_and_saveexec_b64 s[2:3], s[54:55]
	s_cbranch_execnz .LBB177_1202
.LBB177_1097:
	s_or_b64 exec, exec, s[2:3]
	s_and_saveexec_b64 s[2:3], s[10:11]
	s_xor_b64 s[8:9], exec, s[2:3]
	s_cbranch_execz .LBB177_1203
.LBB177_1098:
	v_cmp_neq_f32_e32 vcc, 0, v4
	v_cmp_neq_f32_e64 s[2:3], 0, v5
	s_or_b64 s[2:3], vcc, s[2:3]
	s_nop 0
	v_cndmask_b32_e64 v0, 0, 1, s[2:3]
	global_store_byte v[6:7], v0, off
	s_or_b64 exec, exec, s[8:9]
	s_and_saveexec_b64 s[2:3], s[4:5]
	s_xor_b64 s[2:3], exec, s[2:3]
	s_cbranch_execz .LBB177_1241
	s_branch .LBB177_1204
.LBB177_1099:
	s_andn2_saveexec_b64 s[22:23], s[22:23]
	s_cbranch_execz .LBB177_1101
.LBB177_1100:
	v_sub_f32_e32 v1, v1, v2
	v_mul_f32_e32 v1, 0.5, v1
	s_mov_b32 s4, 0xf800000
	v_mul_f32_e32 v2, 0x4f800000, v1
	v_cmp_gt_f32_e32 vcc, s4, v1
	s_nop 1
	v_cndmask_b32_e32 v1, v1, v2, vcc
	v_sqrt_f32_e32 v2, v1
	s_nop 0
	v_add_u32_e32 v4, -1, v2
	v_fma_f32 v5, -v4, v2, v1
	v_cmp_ge_f32_e64 s[4:5], 0, v5
	v_add_u32_e32 v5, 1, v2
	s_nop 0
	v_cndmask_b32_e64 v4, v2, v4, s[4:5]
	v_fma_f32 v2, -v5, v2, v1
	v_cmp_lt_f32_e64 s[4:5], 0, v2
	s_nop 1
	v_cndmask_b32_e64 v2, v4, v5, s[4:5]
	v_mul_f32_e32 v4, 0x37800000, v2
	v_cndmask_b32_e32 v2, v2, v4, vcc
	v_mov_b32_e32 v4, 0x260
	v_cmp_class_f32_e32 vcc, v1, v4
	v_and_b32_e32 v4, 0x7fffffff, v3
	s_nop 0
	v_cndmask_b32_e32 v1, v2, v1, vcc
	v_add_f32_e32 v2, v1, v1
	v_div_scale_f32 v5, s[4:5], v2, v2, v4
	v_rcp_f32_e32 v6, v5
	v_div_scale_f32 v4, vcc, v4, v2, v4
	s_brev_b32 s4, -2
	v_fma_f32 v7, -v5, v6, 1.0
	v_fmac_f32_e32 v6, v7, v6
	v_mul_f32_e32 v7, v4, v6
	v_fma_f32 v8, -v5, v7, v4
	v_fmac_f32_e32 v7, v8, v6
	v_fma_f32 v4, -v5, v7, v4
	v_div_fmas_f32 v4, v4, v6, v7
	v_div_fixup_f32 v4, v4, v2, |v3|
	v_bfi_b32 v5, s4, v1, v3
.LBB177_1101:
	s_or_b64 exec, exec, s[22:23]
                                        ; implicit-def: $vgpr3
                                        ; implicit-def: $vgpr1
	s_and_saveexec_b64 s[4:5], s[2:3]
	s_xor_b64 s[2:3], exec, s[4:5]
	s_cbranch_execz .LBB177_1103
; %bb.1102:
	v_pk_mul_f32 v[2:3], v[4:5], 0.5 op_sel_hi:[1,0]
	s_nop 0
	v_cndmask_b32_e64 v1, v4, v2, s[18:19]
	v_cndmask_b32_e64 v3, v5, v3, s[18:19]
                                        ; implicit-def: $vgpr4_vgpr5
	s_andn2_saveexec_b64 s[2:3], s[2:3]
	s_cbranch_execnz .LBB177_1104
	s_branch .LBB177_1105
.LBB177_1103:
	s_andn2_saveexec_b64 s[2:3], s[2:3]
.LBB177_1104:
	v_pk_add_f32 v[2:3], v[4:5], v[4:5]
	s_nop 0
	v_mov_b32_e32 v1, v2
.LBB177_1105:
	s_or_b64 exec, exec, s[2:3]
.LBB177_1106:
	s_andn2_saveexec_b64 s[2:3], s[16:17]
	s_cbranch_execz .LBB177_1112
; %bb.1107:
	v_sub_f32_e32 v4, v3, v3
	v_cmp_lt_i32_e32 vcc, -1, v2
	s_brev_b32 s16, -2
	v_and_b32_e32 v1, 0x7fffffff, v4
	s_and_saveexec_b64 s[4:5], vcc
	s_xor_b64 s[4:5], exec, s[4:5]
; %bb.1108:
	v_bfi_b32 v3, s16, v4, v3
	v_mov_b32_e32 v1, v2
; %bb.1109:
	s_andn2_saveexec_b64 s[4:5], s[4:5]
; %bb.1110:
	v_bfi_b32 v3, s16, v2, v3
; %bb.1111:
	s_or_b64 exec, exec, s[4:5]
.LBB177_1112:
	s_or_b64 exec, exec, s[2:3]
.LBB177_1113:
	s_andn2_saveexec_b64 s[2:3], s[14:15]
	s_cbranch_execz .LBB177_1115
; %bb.1114:
	v_sub_f32_e32 v1, v3, v3
	v_div_scale_f32 v3, vcc, v1, v1, v1
	v_rcp_f32_e32 v4, v3
	s_nop 0
	v_fma_f32 v5, -v3, v4, 1.0
	v_fmac_f32_e32 v4, v5, v4
	v_mul_f32_e32 v5, v3, v4
	v_fma_f32 v6, -v3, v5, v3
	v_fmac_f32_e32 v5, v6, v4
	v_fma_f32 v3, -v3, v5, v3
	v_div_fmas_f32 v3, v3, v4, v5
	v_div_fixup_f32 v3, v3, v1, v1
	v_mov_b32_e32 v1, v2
.LBB177_1115:
	s_or_b64 exec, exec, s[2:3]
.LBB177_1116:
	s_or_b64 exec, exec, s[12:13]
.LBB177_1117:
	s_or_b64 exec, exec, s[10:11]
	v_cmp_gt_f32_e32 vcc, 0, v3
                                        ; implicit-def: $vgpr4_vgpr5
	s_nop 1
	v_cndmask_b32_e64 v6, v3, -v3, vcc
	v_cmp_gt_f32_e32 vcc, 0, v1
	s_nop 1
	v_cndmask_b32_e64 v2, v1, -v1, vcc
	v_cmp_ge_f32_e32 vcc, v2, v6
	s_and_saveexec_b64 s[2:3], vcc
	s_xor_b64 s[4:5], exec, s[2:3]
	s_cbranch_execz .LBB177_1123
; %bb.1118:
	v_cmp_neq_f32_e32 vcc, 0, v1
	v_cmp_neq_f32_e64 s[2:3], 0, v3
	s_or_b64 s[2:3], vcc, s[2:3]
                                        ; implicit-def: $vgpr4_vgpr5
	s_and_saveexec_b64 s[10:11], s[2:3]
	s_xor_b64 s[2:3], exec, s[10:11]
	s_cbranch_execz .LBB177_1120
; %bb.1119:
	v_div_scale_f32 v2, s[10:11], v1, v1, v3
	v_rcp_f32_e32 v4, v2
	v_div_scale_f32 v5, vcc, v3, v1, v3
	v_fma_f32 v6, -v2, v4, 1.0
	v_fmac_f32_e32 v4, v6, v4
	v_mul_f32_e32 v6, v5, v4
	v_fma_f32 v7, -v2, v6, v5
	v_fmac_f32_e32 v6, v7, v4
	v_fma_f32 v2, -v2, v6, v5
	v_div_fmas_f32 v2, v2, v4, v6
	v_div_fixup_f32 v5, v2, v1, v3
	v_fmac_f32_e32 v1, v3, v5
	v_div_scale_f32 v2, s[10:11], v1, v1, 1.0
	v_rcp_f32_e32 v3, v2
	s_nop 0
	v_fma_f32 v4, -v2, v3, 1.0
	v_fmac_f32_e32 v3, v4, v3
	v_div_scale_f32 v4, vcc, 1.0, v1, 1.0
	v_mul_f32_e32 v6, v4, v3
	v_fma_f32 v7, -v2, v6, v4
	v_fmac_f32_e32 v6, v7, v3
	v_fma_f32 v2, -v2, v6, v4
	v_div_fmas_f32 v2, v2, v3, v6
	v_div_fixup_f32 v2, v2, v1, 1.0
	v_mul_f32_e32 v1, 0, v5
	v_add_f32_e32 v4, 1.0, v1
	v_sub_f32_e32 v5, 0, v5
	v_pk_mul_f32 v[4:5], v[4:5], v[2:3] op_sel_hi:[1,0]
                                        ; implicit-def: $vgpr6
                                        ; implicit-def: $vgpr2
.LBB177_1120:
	s_andn2_saveexec_b64 s[2:3], s[2:3]
	s_cbranch_execz .LBB177_1122
; %bb.1121:
	v_div_scale_f32 v1, s[10:11], v6, v6, 0
	v_rcp_f32_e32 v3, v1
	v_div_scale_f32 v4, vcc, 0, v6, 0
	v_fma_f32 v5, -v1, v3, 1.0
	v_fmac_f32_e32 v3, v5, v3
	v_mul_f32_e32 v5, v4, v3
	v_fma_f32 v7, -v1, v5, v4
	v_fmac_f32_e32 v5, v7, v3
	v_fma_f32 v1, -v1, v5, v4
	v_div_scale_f32 v4, s[10:11], v2, v2, 1.0
	v_rcp_f32_e32 v7, v4
	v_div_fmas_f32 v1, v1, v3, v5
	v_div_fixup_f32 v5, v1, v6, 0
	v_fma_f32 v1, -v4, v7, 1.0
	v_fmac_f32_e32 v7, v1, v7
	v_div_scale_f32 v1, vcc, 1.0, v2, 1.0
	v_mul_f32_e32 v3, v1, v7
	v_fma_f32 v6, -v4, v3, v1
	v_fmac_f32_e32 v3, v6, v7
	v_fma_f32 v1, -v4, v3, v1
	v_div_fmas_f32 v1, v1, v7, v3
	v_div_fixup_f32 v4, v1, v2, 1.0
.LBB177_1122:
	s_or_b64 exec, exec, s[2:3]
                                        ; implicit-def: $vgpr3
                                        ; implicit-def: $vgpr1
.LBB177_1123:
	s_andn2_saveexec_b64 s[2:3], s[4:5]
	s_cbranch_execz .LBB177_1125
; %bb.1124:
	v_div_scale_f32 v2, s[4:5], v3, v3, v1
	v_rcp_f32_e32 v4, v2
	v_div_scale_f32 v5, vcc, v1, v3, v1
	v_fma_f32 v6, -v2, v4, 1.0
	v_fmac_f32_e32 v4, v6, v4
	v_mul_f32_e32 v6, v5, v4
	v_fma_f32 v7, -v2, v6, v5
	v_fmac_f32_e32 v6, v7, v4
	v_fma_f32 v2, -v2, v6, v5
	v_div_fmas_f32 v2, v2, v4, v6
	v_div_fixup_f32 v2, v2, v3, v1
	v_fmac_f32_e32 v3, v1, v2
	v_div_scale_f32 v1, s[4:5], v3, v3, 1.0
	v_rcp_f32_e32 v4, v1
	s_mov_b32 s4, 0
	s_mov_b32 s5, -1.0
	v_fma_f32 v5, -v1, v4, 1.0
	v_fmac_f32_e32 v4, v5, v4
	v_div_scale_f32 v5, vcc, 1.0, v3, 1.0
	v_mul_f32_e32 v6, v5, v4
	v_fma_f32 v7, -v1, v6, v5
	v_fmac_f32_e32 v6, v7, v4
	v_fma_f32 v1, -v1, v6, v5
	v_div_fmas_f32 v1, v1, v4, v6
	v_div_fixup_f32 v4, v1, v3, 1.0
	v_mul_f32_e32 v3, 0, v2
	v_pk_add_f32 v[2:3], v[2:3], s[4:5]
	s_nop 0
	v_pk_mul_f32 v[4:5], v[2:3], v[4:5] op_sel_hi:[1,0]
.LBB177_1125:
	s_or_b64 exec, exec, s[2:3]
	v_mov_b32_e32 v1, 0
	s_and_b32 s16, s73, 0xff
	s_cmp_lt_i32 s16, 11
	s_waitcnt lgkmcnt(0)
	v_lshl_add_u64 v[6:7], s[20:21], 0, v[0:1]
	s_cbranch_scc1 .LBB177_1132
; %bb.1126:
	s_and_b32 s17, 0xffff, s16
	s_mov_b64 s[10:11], -1
	s_cmp_gt_i32 s17, 25
	s_mov_b64 s[2:3], s[54:55]
	s_cbranch_scc0 .LBB177_1160
; %bb.1127:
	s_mov_b64 s[4:5], -1
	s_cmp_gt_i32 s17, 28
	s_mov_b64 s[2:3], s[54:55]
	s_cbranch_scc0 .LBB177_1144
; %bb.1128:
	s_cmp_gt_i32 s17, 43
	s_mov_b64 s[2:3], s[54:55]
	s_cbranch_scc0 .LBB177_1140
; %bb.1129:
	;; [unrolled: 4-line block ×3, first 2 shown]
	s_cmp_eq_u32 s17, 46
	s_mov_b64 s[2:3], -1
	s_cbranch_scc0 .LBB177_1133
; %bb.1131:
	s_movk_i32 s2, 0x7fff
	v_bfe_u32 v1, v5, 16, 1
	v_add3_u32 v1, v5, v1, s2
	v_bfe_u32 v0, v4, 16, 1
	v_and_b32_e32 v1, 0xffff0000, v1
	v_mov_b32_e32 v2, 0x7fc00000
	v_cmp_o_f32_e32 vcc, v5, v5
	v_add3_u32 v0, v4, v0, s2
	s_mov_b64 s[2:3], 0
	v_cndmask_b32_e32 v1, v2, v1, vcc
	v_cmp_o_f32_e32 vcc, v4, v4
	v_mov_b32_e32 v2, 0x7fc0
	s_mov_b64 s[4:5], 0
	v_cndmask_b32_sdwa v0, v2, v0, vcc dst_sel:DWORD dst_unused:UNUSED_PAD src0_sel:DWORD src1_sel:WORD_1
	v_or_b32_e32 v0, v1, v0
	global_store_dword v[6:7], v0, off
	s_branch .LBB177_1134
.LBB177_1132:
	s_mov_b64 s[10:11], 0
	s_mov_b64 s[4:5], -1
	s_mov_b64 s[2:3], s[54:55]
	s_branch .LBB177_1201
.LBB177_1133:
	s_mov_b64 s[4:5], 0
.LBB177_1134:
	s_and_b64 vcc, exec, s[4:5]
	s_cbranch_vccz .LBB177_1139
; %bb.1135:
	s_cmp_eq_u32 s17, 44
	s_mov_b64 s[2:3], -1
	s_cbranch_scc0 .LBB177_1139
; %bb.1136:
	v_bfe_u32 v0, v4, 23, 8
	s_movk_i32 s2, 0xff
	v_cmp_ne_u32_e32 vcc, s2, v0
	v_mov_b32_e32 v1, 0xff
	s_and_saveexec_b64 s[4:5], vcc
; %bb.1137:
	s_mov_b32 s2, 0x3fffff
	v_and_b32_e32 v2, 0x400000, v4
	v_and_or_b32 v0, v4, s2, v0
	v_cmp_ne_u32_e32 vcc, 0, v2
	v_cmp_ne_u32_e64 s[2:3], 0, v0
	s_and_b64 s[2:3], vcc, s[2:3]
	v_lshrrev_b32_e32 v1, 23, v4
	v_cndmask_b32_e64 v0, 0, 1, s[2:3]
	v_add_u32_e32 v1, v1, v0
; %bb.1138:
	s_or_b64 exec, exec, s[4:5]
	s_mov_b64 s[2:3], 0
	global_store_byte v[6:7], v1, off
.LBB177_1139:
	s_mov_b64 s[4:5], 0
.LBB177_1140:
	s_and_b64 vcc, exec, s[4:5]
	s_cbranch_vccz .LBB177_1143
; %bb.1141:
	s_cmp_eq_u32 s17, 29
	s_mov_b64 s[2:3], -1
	s_cbranch_scc0 .LBB177_1143
; %bb.1142:
	v_trunc_f32_e32 v0, v4
	v_mul_f32_e32 v1, 0x2f800000, v0
	v_floor_f32_e32 v2, v1
	v_fmamk_f32 v0, v2, 0xcf800000, v0
	v_cvt_u32_f32_e32 v1, v2
	v_cvt_u32_f32_e32 v0, v0
	s_mov_b64 s[2:3], 0
	s_mov_b64 s[4:5], 0
	global_store_dwordx2 v[6:7], v[0:1], off
	s_branch .LBB177_1144
.LBB177_1143:
	s_mov_b64 s[4:5], 0
.LBB177_1144:
	s_and_b64 vcc, exec, s[4:5]
	s_cbranch_vccz .LBB177_1159
; %bb.1145:
	s_cmp_lt_i32 s17, 27
	s_mov_b64 s[4:5], -1
	s_cbranch_scc1 .LBB177_1151
; %bb.1146:
	s_cmp_gt_i32 s17, 27
	s_cbranch_scc0 .LBB177_1148
; %bb.1147:
	v_cvt_u32_f32_e32 v0, v4
	s_mov_b64 s[4:5], 0
	global_store_dword v[6:7], v0, off
.LBB177_1148:
	s_andn2_b64 vcc, exec, s[4:5]
	s_cbranch_vccnz .LBB177_1150
; %bb.1149:
	v_cvt_u32_f32_e32 v0, v4
	global_store_short v[6:7], v0, off
.LBB177_1150:
	s_mov_b64 s[4:5], 0
.LBB177_1151:
	s_andn2_b64 vcc, exec, s[4:5]
	s_cbranch_vccnz .LBB177_1159
; %bb.1152:
	v_and_b32_e32 v0, 0x7fffffff, v4
	s_mov_b32 s4, 0x43800000
	v_cmp_gt_u32_e32 vcc, s4, v0
	v_mov_b32_e32 v1, 0x80
	s_and_saveexec_b64 s[4:5], vcc
	s_cbranch_execz .LBB177_1158
; %bb.1153:
	s_mov_b32 s10, 0x3bffffff
	v_cmp_lt_u32_e32 vcc, s10, v0
	s_mov_b64 s[10:11], 0
                                        ; implicit-def: $vgpr0
	s_and_saveexec_b64 s[12:13], vcc
	s_xor_b64 s[12:13], exec, s[12:13]
	s_cbranch_execz .LBB177_1312
; %bb.1154:
	v_bfe_u32 v0, v4, 20, 1
	s_mov_b32 s14, 0x487ffff
	v_add3_u32 v0, v4, v0, s14
	s_mov_b64 s[10:11], exec
	v_lshrrev_b32_e32 v0, 20, v0
	s_andn2_saveexec_b64 s[12:13], s[12:13]
	s_cbranch_execnz .LBB177_1313
.LBB177_1155:
	s_or_b64 exec, exec, s[12:13]
	v_mov_b32_e32 v1, 0
	s_and_saveexec_b64 s[12:13], s[10:11]
.LBB177_1156:
	v_lshrrev_b32_e32 v1, 24, v4
	s_movk_i32 s10, 0x80
	v_and_or_b32 v1, v1, s10, v0
.LBB177_1157:
	s_or_b64 exec, exec, s[12:13]
.LBB177_1158:
	s_or_b64 exec, exec, s[4:5]
	global_store_byte v[6:7], v1, off
.LBB177_1159:
	s_mov_b64 s[10:11], 0
.LBB177_1160:
	s_mov_b64 s[4:5], 0
	s_and_b64 vcc, exec, s[10:11]
	s_cbranch_vccz .LBB177_1200
; %bb.1161:
	s_cmp_gt_i32 s17, 22
	s_mov_b64 s[10:11], -1
	s_cbranch_scc0 .LBB177_1193
; %bb.1162:
	s_cmp_lt_i32 s17, 24
	s_cbranch_scc1 .LBB177_1182
; %bb.1163:
	s_cmp_gt_i32 s17, 24
	s_cbranch_scc0 .LBB177_1171
; %bb.1164:
	v_and_b32_e32 v0, 0x7fffffff, v4
	s_mov_b32 s10, 0x47800000
	v_cmp_gt_u32_e32 vcc, s10, v0
	v_mov_b32_e32 v1, 0x80
	s_and_saveexec_b64 s[10:11], vcc
	s_cbranch_execz .LBB177_1170
; %bb.1165:
	s_mov_b32 s12, 0x37ffffff
	v_cmp_lt_u32_e32 vcc, s12, v0
	s_mov_b64 s[12:13], 0
                                        ; implicit-def: $vgpr0
	s_and_saveexec_b64 s[14:15], vcc
	s_xor_b64 s[14:15], exec, s[14:15]
	s_cbranch_execz .LBB177_1475
; %bb.1166:
	v_bfe_u32 v0, v4, 21, 1
	s_mov_b32 s18, 0x88fffff
	v_add3_u32 v0, v4, v0, s18
	s_mov_b64 s[12:13], exec
	v_lshrrev_b32_e32 v0, 21, v0
	s_andn2_saveexec_b64 s[14:15], s[14:15]
	s_cbranch_execnz .LBB177_1476
.LBB177_1167:
	s_or_b64 exec, exec, s[14:15]
	v_mov_b32_e32 v1, 0
	s_and_saveexec_b64 s[14:15], s[12:13]
.LBB177_1168:
	v_lshrrev_b32_e32 v1, 24, v4
	s_movk_i32 s12, 0x80
	v_and_or_b32 v1, v1, s12, v0
.LBB177_1169:
	s_or_b64 exec, exec, s[14:15]
.LBB177_1170:
	s_or_b64 exec, exec, s[10:11]
	s_mov_b64 s[10:11], 0
	global_store_byte v[6:7], v1, off
.LBB177_1171:
	s_and_b64 vcc, exec, s[10:11]
	s_cbranch_vccz .LBB177_1181
; %bb.1172:
	v_and_b32_e32 v1, 0x7fffffff, v4
	s_mov_b32 s10, 0x43f00000
	v_cmp_gt_u32_e32 vcc, s10, v1
                                        ; implicit-def: $vgpr0
	s_and_saveexec_b64 s[10:11], vcc
	s_xor_b64 s[10:11], exec, s[10:11]
	s_cbranch_execz .LBB177_1178
; %bb.1173:
	s_mov_b32 s12, 0x3c7fffff
	v_cmp_lt_u32_e32 vcc, s12, v1
                                        ; implicit-def: $vgpr0
	s_and_saveexec_b64 s[12:13], vcc
	s_xor_b64 s[12:13], exec, s[12:13]
; %bb.1174:
	v_bfe_u32 v0, v4, 20, 1
	s_mov_b32 s14, 0x407ffff
	v_add3_u32 v0, v4, v0, s14
	v_lshrrev_b32_e32 v1, 20, v0
	v_and_b32_e32 v0, 0xff00000, v0
	s_mov_b32 s14, 0x7f00000
	v_mov_b32_e32 v2, 0x7e
	v_cmp_ne_u32_e32 vcc, s14, v0
	s_nop 1
	v_cndmask_b32_e32 v0, v2, v1, vcc
; %bb.1175:
	s_andn2_saveexec_b64 s[12:13], s[12:13]
; %bb.1176:
	s_mov_b32 s14, 0x46800000
	v_add_f32_e64 v0, |v4|, s14
; %bb.1177:
	s_or_b64 exec, exec, s[12:13]
                                        ; implicit-def: $vgpr1
.LBB177_1178:
	s_andn2_saveexec_b64 s[10:11], s[10:11]
; %bb.1179:
	s_mov_b32 s12, 0x7f800000
	v_mov_b32_e32 v0, 0x7e
	v_mov_b32_e32 v2, 0x7f
	v_cmp_lt_u32_e32 vcc, s12, v1
	s_nop 1
	v_cndmask_b32_e32 v0, v0, v2, vcc
; %bb.1180:
	s_or_b64 exec, exec, s[10:11]
	v_lshrrev_b32_e32 v1, 24, v4
	s_movk_i32 s10, 0x80
	v_and_or_b32 v0, v1, s10, v0
	global_store_byte v[6:7], v0, off
.LBB177_1181:
	s_mov_b64 s[10:11], 0
.LBB177_1182:
	s_andn2_b64 vcc, exec, s[10:11]
	s_cbranch_vccnz .LBB177_1192
; %bb.1183:
	v_and_b32_e32 v1, 0x7fffffff, v4
	s_mov_b32 s10, 0x47800000
	v_cmp_gt_u32_e32 vcc, s10, v1
                                        ; implicit-def: $vgpr0
	s_and_saveexec_b64 s[10:11], vcc
	s_xor_b64 s[10:11], exec, s[10:11]
	s_cbranch_execz .LBB177_1189
; %bb.1184:
	s_mov_b32 s12, 0x387fffff
	v_cmp_lt_u32_e32 vcc, s12, v1
                                        ; implicit-def: $vgpr0
	s_and_saveexec_b64 s[12:13], vcc
	s_xor_b64 s[12:13], exec, s[12:13]
; %bb.1185:
	v_bfe_u32 v0, v4, 21, 1
	s_mov_b32 s14, 0x80fffff
	v_add3_u32 v0, v4, v0, s14
	v_lshrrev_b32_e32 v0, 21, v0
; %bb.1186:
	s_andn2_saveexec_b64 s[12:13], s[12:13]
; %bb.1187:
	s_mov_b32 s14, 0x43000000
	v_add_f32_e64 v0, |v4|, s14
; %bb.1188:
	s_or_b64 exec, exec, s[12:13]
                                        ; implicit-def: $vgpr1
.LBB177_1189:
	s_andn2_saveexec_b64 s[10:11], s[10:11]
; %bb.1190:
	s_mov_b32 s12, 0x7f800000
	v_mov_b32_e32 v0, 0x7c
	v_mov_b32_e32 v2, 0x7f
	v_cmp_lt_u32_e32 vcc, s12, v1
	s_nop 1
	v_cndmask_b32_e32 v0, v0, v2, vcc
; %bb.1191:
	s_or_b64 exec, exec, s[10:11]
	v_lshrrev_b32_e32 v1, 24, v4
	s_movk_i32 s10, 0x80
	v_and_or_b32 v0, v1, s10, v0
	global_store_byte v[6:7], v0, off
.LBB177_1192:
	s_mov_b64 s[10:11], 0
.LBB177_1193:
	s_andn2_b64 vcc, exec, s[10:11]
	s_mov_b64 s[10:11], 0
	s_cbranch_vccnz .LBB177_1201
; %bb.1194:
	s_cmp_gt_i32 s17, 14
	s_mov_b64 s[12:13], -1
	s_cbranch_scc0 .LBB177_1198
; %bb.1195:
	s_cmp_eq_u32 s17, 15
	s_mov_b64 s[2:3], -1
	s_cbranch_scc0 .LBB177_1197
; %bb.1196:
	v_bfe_u32 v0, v4, 16, 1
	s_movk_i32 s2, 0x7fff
	v_add3_u32 v0, v4, v0, s2
	v_cmp_o_f32_e32 vcc, v4, v4
	v_mov_b32_e32 v1, 0x7fc0
	s_mov_b64 s[2:3], 0
	v_cndmask_b32_sdwa v0, v1, v0, vcc dst_sel:DWORD dst_unused:UNUSED_PAD src0_sel:DWORD src1_sel:WORD_1
	global_store_short v[6:7], v0, off
.LBB177_1197:
	s_mov_b64 s[12:13], 0
.LBB177_1198:
	s_and_b64 vcc, exec, s[12:13]
	s_cbranch_vccz .LBB177_1201
; %bb.1199:
	s_cmp_lg_u32 s17, 11
	s_cselect_b64 s[12:13], -1, 0
	s_andn2_b64 s[2:3], s[2:3], exec
	s_and_b64 s[12:13], s[12:13], exec
	s_mov_b64 s[10:11], -1
	s_or_b64 s[2:3], s[2:3], s[12:13]
	s_branch .LBB177_1201
.LBB177_1200:
	s_mov_b64 s[10:11], 0
.LBB177_1201:
	s_andn2_b64 s[12:13], s[54:55], exec
	s_and_b64 s[2:3], s[2:3], exec
	s_and_b64 s[4:5], s[4:5], exec
	;; [unrolled: 1-line block ×3, first 2 shown]
	s_or_b64 s[54:55], s[12:13], s[2:3]
	s_or_b64 exec, exec, s[8:9]
	s_and_saveexec_b64 s[2:3], s[54:55]
	s_cbranch_execz .LBB177_1097
.LBB177_1202:
	s_or_b64 s[6:7], s[6:7], exec
	s_andn2_b64 s[10:11], s[10:11], exec
	s_trap 2
	s_or_b64 exec, exec, s[2:3]
	s_and_saveexec_b64 s[2:3], s[10:11]
	s_xor_b64 s[8:9], exec, s[2:3]
	s_cbranch_execnz .LBB177_1098
.LBB177_1203:
	s_or_b64 exec, exec, s[8:9]
	s_and_saveexec_b64 s[2:3], s[4:5]
	s_xor_b64 s[2:3], exec, s[2:3]
	s_cbranch_execz .LBB177_1241
.LBB177_1204:
	s_sext_i32_i16 s8, s16
	s_cmp_lt_i32 s8, 5
	s_mov_b64 s[4:5], -1
	s_cbranch_scc1 .LBB177_1225
; %bb.1205:
	s_cmp_lt_i32 s8, 8
	s_cbranch_scc1 .LBB177_1215
; %bb.1206:
	s_cmp_lt_i32 s8, 9
	s_cbranch_scc1 .LBB177_1212
; %bb.1207:
	s_cmp_gt_i32 s8, 9
	s_cbranch_scc0 .LBB177_1209
; %bb.1208:
	v_cvt_f64_f32_e32 v[0:1], v4
	s_waitcnt vmcnt(0)
	v_cvt_f64_f32_e32 v[2:3], v5
	s_mov_b64 s[4:5], 0
	global_store_dwordx4 v[6:7], v[0:3], off
.LBB177_1209:
	s_andn2_b64 vcc, exec, s[4:5]
	s_cbranch_vccnz .LBB177_1211
; %bb.1210:
	global_store_dwordx2 v[6:7], v[4:5], off
.LBB177_1211:
	s_mov_b64 s[4:5], 0
.LBB177_1212:
	s_andn2_b64 vcc, exec, s[4:5]
	s_cbranch_vccnz .LBB177_1214
; %bb.1213:
	v_cvt_f16_f32_e32 v0, v4
	v_cvt_f16_f32_sdwa v1, v5 dst_sel:WORD_1 dst_unused:UNUSED_PAD src0_sel:DWORD
	s_nop 0
	v_or_b32_e32 v0, v1, v0
	global_store_dword v[6:7], v0, off
.LBB177_1214:
	s_mov_b64 s[4:5], 0
.LBB177_1215:
	s_andn2_b64 vcc, exec, s[4:5]
	s_cbranch_vccnz .LBB177_1224
; %bb.1216:
	s_sext_i32_i16 s8, s16
	s_cmp_lt_i32 s8, 6
	s_mov_b64 s[4:5], -1
	s_cbranch_scc1 .LBB177_1222
; %bb.1217:
	s_cmp_gt_i32 s8, 6
	s_cbranch_scc0 .LBB177_1219
; %bb.1218:
	v_cvt_f64_f32_e32 v[0:1], v4
	s_mov_b64 s[4:5], 0
	global_store_dwordx2 v[6:7], v[0:1], off
.LBB177_1219:
	s_andn2_b64 vcc, exec, s[4:5]
	s_cbranch_vccnz .LBB177_1221
; %bb.1220:
	global_store_dword v[6:7], v4, off
.LBB177_1221:
	s_mov_b64 s[4:5], 0
.LBB177_1222:
	s_andn2_b64 vcc, exec, s[4:5]
	s_cbranch_vccnz .LBB177_1224
; %bb.1223:
	v_cvt_f16_f32_e32 v0, v4
	global_store_short v[6:7], v0, off
.LBB177_1224:
	s_mov_b64 s[4:5], 0
.LBB177_1225:
	s_andn2_b64 vcc, exec, s[4:5]
	s_cbranch_vccnz .LBB177_1241
; %bb.1226:
	s_sext_i32_i16 s8, s16
	s_cmp_lt_i32 s8, 2
	s_mov_b64 s[4:5], -1
	s_cbranch_scc1 .LBB177_1236
; %bb.1227:
	s_cmp_lt_i32 s8, 3
	s_cbranch_scc1 .LBB177_1233
; %bb.1228:
	s_cmp_gt_i32 s8, 3
	s_cbranch_scc0 .LBB177_1230
; %bb.1229:
	v_trunc_f32_e32 v0, v4
	s_mov_b32 s4, 0x2f800000
	v_mul_f32_e64 v1, |v0|, s4
	v_floor_f32_e32 v1, v1
	s_mov_b32 s4, 0xcf800000
	s_waitcnt vmcnt(0)
	v_cvt_u32_f32_e32 v2, v1
	v_fma_f32 v1, v1, s4, |v0|
	v_cvt_u32_f32_e32 v1, v1
	v_ashrrev_i32_e32 v3, 31, v0
	v_xor_b32_e32 v2, v2, v3
	s_mov_b64 s[4:5], 0
	v_xor_b32_e32 v0, v1, v3
	v_sub_co_u32_e32 v0, vcc, v0, v3
	s_nop 1
	v_subb_co_u32_e32 v1, vcc, v2, v3, vcc
	global_store_dwordx2 v[6:7], v[0:1], off
.LBB177_1230:
	s_andn2_b64 vcc, exec, s[4:5]
	s_cbranch_vccnz .LBB177_1232
; %bb.1231:
	v_cvt_i32_f32_e32 v0, v4
	global_store_dword v[6:7], v0, off
.LBB177_1232:
	s_mov_b64 s[4:5], 0
.LBB177_1233:
	s_andn2_b64 vcc, exec, s[4:5]
	s_cbranch_vccnz .LBB177_1235
; %bb.1234:
	v_cvt_i32_f32_e32 v0, v4
	global_store_short v[6:7], v0, off
.LBB177_1235:
	s_mov_b64 s[4:5], 0
.LBB177_1236:
	s_andn2_b64 vcc, exec, s[4:5]
	s_cbranch_vccnz .LBB177_1241
; %bb.1237:
	s_sext_i32_i16 s4, s16
	s_cmp_gt_i32 s4, 0
	s_mov_b64 s[4:5], -1
	s_cbranch_scc0 .LBB177_1239
; %bb.1238:
	v_cvt_i32_f32_e32 v0, v4
	s_mov_b64 s[4:5], 0
	global_store_byte v[6:7], v0, off
.LBB177_1239:
	s_andn2_b64 vcc, exec, s[4:5]
	s_cbranch_vccnz .LBB177_1241
; %bb.1240:
	v_trunc_f32_e32 v0, v4
	s_mov_b32 s4, 0x2f800000
	v_mul_f32_e64 v1, |v0|, s4
	v_floor_f32_e32 v1, v1
	s_mov_b32 s4, 0xcf800000
	v_fma_f32 v1, v1, s4, |v0|
	v_cvt_u32_f32_e32 v1, v1
	v_ashrrev_i32_e32 v0, 31, v0
	v_xor_b32_e32 v1, v1, v0
	v_sub_u32_e32 v0, v1, v0
	global_store_byte v[6:7], v0, off
.LBB177_1241:
	s_or_b64 exec, exec, s[2:3]
	s_waitcnt lgkmcnt(0)
	s_and_b64 s[24:25], s[6:7], exec
                                        ; implicit-def: $vgpr16
                                        ; implicit-def: $vgpr14
.LBB177_1242:
	s_or_saveexec_b64 s[26:27], s[44:45]
	s_mov_b64 s[4:5], 0
                                        ; implicit-def: $vgpr0_vgpr1
                                        ; implicit-def: $sgpr18
                                        ; implicit-def: $vgpr12_vgpr13
	s_xor_b64 exec, exec, s[26:27]
	s_cbranch_execz .LBB177_1940
; %bb.1243:
	v_cndmask_b32_e64 v0, 0, 1, s[42:43]
	v_cmp_ne_u32_e64 s[2:3], 1, v0
	s_andn2_b64 vcc, exec, s[42:43]
	s_cbranch_vccnz .LBB177_1249
; %bb.1244:
	s_cmp_lg_u32 s33, 0
	s_mov_b32 s36, 0
	s_cbranch_scc0 .LBB177_1250
; %bb.1245:
	s_min_u32 s37, s72, 15
	s_add_i32 s37, s37, 1
	s_cmp_eq_u32 s72, 2
	s_cbranch_scc1 .LBB177_1251
; %bb.1246:
	s_and_b32 s36, s37, 28
	s_add_u32 s28, s34, 0xc4
	s_addc_u32 s29, s35, 0
	s_mov_b32 s38, 0
	v_mov_b32_e32 v6, 0
	v_mov_b32_e32 v8, 0
	s_mov_b64 s[30:31], s[34:35]
	v_mov_b32_e32 v0, v14
.LBB177_1247:                           ; =>This Inner Loop Header: Depth=1
	s_load_dwordx8 s[12:19], s[30:31], 0x4
	s_load_dwordx4 s[20:23], s[30:31], 0x24
	s_load_dwordx8 s[4:11], s[28:29], 0x0
	s_add_u32 s30, s30, 48
	s_addc_u32 s31, s31, 0
	s_waitcnt lgkmcnt(0)
	v_mul_hi_u32 v1, s13, v0
	v_add_u32_e32 v1, v0, v1
	v_lshrrev_b32_e32 v1, s14, v1
	s_waitcnt vmcnt(0)
	v_mul_lo_u32 v2, v1, s12
	v_mul_hi_u32 v3, s16, v1
	v_sub_u32_e32 v0, v0, v2
	v_add_u32_e32 v2, v1, v3
	v_lshrrev_b32_e32 v2, s17, v2
	v_mul_lo_u32 v4, v2, s15
	v_mul_hi_u32 v5, s19, v2
	v_sub_u32_e32 v1, v1, v4
	v_add_u32_e32 v4, v2, v5
	v_mul_lo_u32 v3, v0, s5
	v_mul_lo_u32 v0, v0, s4
	;; [unrolled: 1-line block ×4, first 2 shown]
	v_lshrrev_b32_e32 v4, s20, v4
	v_add3_u32 v1, v0, v6, v1
	v_add3_u32 v3, v3, v8, v5
	v_mul_lo_u32 v0, v4, s18
	v_mul_hi_u32 v5, s22, v4
	v_sub_u32_e32 v0, v2, v0
	v_add_u32_e32 v2, v4, v5
	v_mul_lo_u32 v5, v0, s8
	v_mul_lo_u32 v6, v0, s9
	v_lshrrev_b32_e32 v0, s23, v2
	s_add_i32 s38, s38, 4
	v_mul_lo_u32 v2, v0, s21
	s_add_u32 s28, s28, 32
	v_sub_u32_e32 v2, v4, v2
	s_addc_u32 s29, s29, 0
	v_mul_lo_u32 v4, v2, s10
	v_mul_lo_u32 v2, v2, s11
	s_cmp_lg_u32 s36, s38
	v_add3_u32 v8, v6, v3, v2
	v_add3_u32 v6, v5, v1, v4
	s_cbranch_scc1 .LBB177_1247
; %bb.1248:
	v_mov_b32_e32 v1, v8
	s_and_b32 s8, s37, 3
	s_cmp_eq_u32 s8, 0
	s_cbranch_scc0 .LBB177_1252
	s_branch .LBB177_1254
.LBB177_1249:
                                        ; implicit-def: $vgpr8
                                        ; implicit-def: $vgpr6
	s_branch .LBB177_1255
.LBB177_1250:
	v_mov_b32_e32 v8, 0
	v_mov_b32_e32 v6, 0
	s_branch .LBB177_1254
.LBB177_1251:
	v_mov_b32_e32 v6, 0
                                        ; implicit-def: $vgpr8
	v_mov_b32_e32 v1, v6
	v_mov_b32_e32 v0, v14
	s_and_b32 s8, s37, 3
	s_cmp_eq_u32 s8, 0
	s_cbranch_scc1 .LBB177_1254
.LBB177_1252:
	s_lshl_b32 s4, s36, 3
	s_add_u32 s4, s34, s4
	s_addc_u32 s5, s35, 0
	s_add_u32 s4, s4, 0xc4
	s_addc_u32 s5, s5, 0
	s_mul_i32 s6, s36, 12
	s_add_u32 s6, s34, s6
	s_addc_u32 s7, s35, 0
.LBB177_1253:                           ; =>This Inner Loop Header: Depth=1
	s_load_dwordx2 s[10:11], s[6:7], 0x4
	s_load_dword s9, s[6:7], 0xc
	s_load_dwordx2 s[12:13], s[4:5], 0x0
	s_waitcnt vmcnt(0)
	v_mov_b32_e32 v2, v1
	s_add_u32 s6, s6, 12
	s_waitcnt lgkmcnt(0)
	v_mul_hi_u32 v1, s11, v0
	v_add_u32_e32 v1, v0, v1
	v_lshrrev_b32_e32 v1, s9, v1
	s_addc_u32 s7, s7, 0
	v_mul_lo_u32 v3, v1, s10
	s_add_u32 s4, s4, 8
	v_sub_u32_e32 v3, v0, v3
	s_addc_u32 s5, s5, 0
	s_add_i32 s8, s8, -1
	v_mad_u64_u32 v[8:9], s[10:11], v3, s13, v[2:3]
	s_cmp_lg_u32 s8, 0
	v_mov_b32_e32 v0, v1
	v_mad_u64_u32 v[6:7], s[10:11], v3, s12, v[6:7]
	v_mov_b32_e32 v1, v8
	s_cbranch_scc1 .LBB177_1253
.LBB177_1254:
	s_cbranch_execnz .LBB177_1257
.LBB177_1255:
	s_load_dwordx4 s[4:7], s[34:35], 0x4
	s_load_dwordx2 s[8:9], s[34:35], 0xc4
	s_cmp_lt_u32 s33, 2
	s_waitcnt lgkmcnt(0)
	v_mul_hi_u32 v0, s5, v14
	v_add_u32_e32 v0, v14, v0
	v_lshrrev_b32_e32 v0, s6, v0
	v_mul_lo_u32 v1, v0, s4
	v_sub_u32_e32 v1, v14, v1
	v_mul_lo_u32 v8, v1, s9
	v_mul_lo_u32 v6, v1, s8
	s_cbranch_scc1 .LBB177_1257
; %bb.1256:
	s_load_dwordx4 s[4:7], s[34:35], 0x10
	s_load_dwordx2 s[8:9], s[34:35], 0xcc
	s_waitcnt lgkmcnt(0)
	v_mul_hi_u32 v1, s5, v0
	v_add_u32_e32 v1, v0, v1
	v_lshrrev_b32_e32 v1, s6, v1
	v_mul_lo_u32 v1, v1, s4
	v_sub_u32_e32 v0, v0, v1
	v_mad_u64_u32 v[6:7], s[4:5], v0, s8, v[6:7]
	v_mad_u64_u32 v[8:9], s[4:5], v0, s9, v[8:9]
.LBB177_1257:
	s_and_b64 vcc, exec, s[2:3]
	v_add_u32_e32 v0, 0x80, v14
	s_cbranch_vccnz .LBB177_1263
; %bb.1258:
	s_cmp_lg_u32 s33, 0
	s_mov_b32 s36, 0
	s_cbranch_scc0 .LBB177_1264
; %bb.1259:
	s_min_u32 s37, s72, 15
	s_add_i32 s37, s37, 1
	s_cmp_eq_u32 s72, 2
	s_cbranch_scc1 .LBB177_1265
; %bb.1260:
	s_and_b32 s36, s37, 28
	s_add_u32 s28, s34, 0xc4
	s_addc_u32 s29, s35, 0
	s_mov_b32 s38, 0
	v_mov_b32_e32 v4, 0
	v_mov_b32_e32 v10, 0
	s_mov_b64 s[30:31], s[34:35]
	s_waitcnt vmcnt(0)
	v_mov_b32_e32 v2, v0
.LBB177_1261:                           ; =>This Inner Loop Header: Depth=1
	s_load_dwordx8 s[12:19], s[30:31], 0x4
	s_load_dwordx4 s[20:23], s[30:31], 0x24
	s_load_dwordx8 s[4:11], s[28:29], 0x0
	s_add_u32 s30, s30, 48
	s_addc_u32 s31, s31, 0
	s_waitcnt lgkmcnt(0)
	v_mul_hi_u32 v1, s13, v2
	v_add_u32_e32 v1, v2, v1
	v_lshrrev_b32_e32 v1, s14, v1
	v_mul_lo_u32 v3, v1, s12
	v_mul_hi_u32 v5, s16, v1
	v_sub_u32_e32 v2, v2, v3
	v_add_u32_e32 v3, v1, v5
	v_lshrrev_b32_e32 v3, s17, v3
	v_mul_lo_u32 v7, v3, s15
	v_mul_hi_u32 v9, s19, v3
	v_sub_u32_e32 v1, v1, v7
	v_add_u32_e32 v7, v3, v9
	v_mul_lo_u32 v5, v2, s5
	v_mul_lo_u32 v2, v2, s4
	;; [unrolled: 1-line block ×4, first 2 shown]
	v_lshrrev_b32_e32 v7, s20, v7
	v_add3_u32 v1, v2, v4, v1
	v_add3_u32 v4, v5, v10, v9
	v_mul_lo_u32 v2, v7, s18
	v_mul_hi_u32 v5, s22, v7
	v_sub_u32_e32 v2, v3, v2
	v_add_u32_e32 v3, v7, v5
	v_mul_lo_u32 v5, v2, s8
	v_mul_lo_u32 v9, v2, s9
	v_lshrrev_b32_e32 v2, s23, v3
	s_add_i32 s38, s38, 4
	v_mul_lo_u32 v3, v2, s21
	s_add_u32 s28, s28, 32
	v_sub_u32_e32 v3, v7, v3
	s_addc_u32 s29, s29, 0
	v_mul_lo_u32 v7, v3, s10
	v_mul_lo_u32 v3, v3, s11
	s_cmp_lg_u32 s36, s38
	v_add3_u32 v10, v9, v4, v3
	v_add3_u32 v4, v5, v1, v7
	s_cbranch_scc1 .LBB177_1261
; %bb.1262:
	v_mov_b32_e32 v1, v10
	s_and_b32 s8, s37, 3
	s_cmp_eq_u32 s8, 0
	s_cbranch_scc0 .LBB177_1266
	s_branch .LBB177_1268
.LBB177_1263:
                                        ; implicit-def: $vgpr10
                                        ; implicit-def: $vgpr4
	s_branch .LBB177_1269
.LBB177_1264:
	v_mov_b32_e32 v10, 0
	v_mov_b32_e32 v4, 0
	s_branch .LBB177_1268
.LBB177_1265:
	v_mov_b32_e32 v4, 0
                                        ; implicit-def: $vgpr10
	v_mov_b32_e32 v1, v4
	s_waitcnt vmcnt(0)
	v_mov_b32_e32 v2, v0
	s_and_b32 s8, s37, 3
	s_cmp_eq_u32 s8, 0
	s_cbranch_scc1 .LBB177_1268
.LBB177_1266:
	s_lshl_b32 s4, s36, 3
	s_add_u32 s4, s34, s4
	s_addc_u32 s5, s35, 0
	s_add_u32 s4, s4, 0xc4
	s_addc_u32 s5, s5, 0
	s_mul_i32 s6, s36, 12
	s_add_u32 s6, s34, s6
	s_addc_u32 s7, s35, 0
.LBB177_1267:                           ; =>This Inner Loop Header: Depth=1
	s_load_dwordx2 s[10:11], s[6:7], 0x4
	s_load_dword s9, s[6:7], 0xc
	s_load_dwordx2 s[12:13], s[4:5], 0x0
	v_mov_b32_e32 v10, v1
	s_add_u32 s6, s6, 12
	s_waitcnt lgkmcnt(0)
	v_mul_hi_u32 v1, s11, v2
	v_add_u32_e32 v1, v2, v1
	v_lshrrev_b32_e32 v1, s9, v1
	s_addc_u32 s7, s7, 0
	v_mul_lo_u32 v3, v1, s10
	s_add_u32 s4, s4, 8
	v_sub_u32_e32 v3, v2, v3
	s_addc_u32 s5, s5, 0
	s_add_i32 s8, s8, -1
	v_mad_u64_u32 v[10:11], s[10:11], v3, s13, v[10:11]
	s_cmp_lg_u32 s8, 0
	v_mov_b32_e32 v2, v1
	v_mad_u64_u32 v[4:5], s[10:11], v3, s12, v[4:5]
	v_mov_b32_e32 v1, v10
	s_cbranch_scc1 .LBB177_1267
.LBB177_1268:
	s_cbranch_execnz .LBB177_1271
.LBB177_1269:
	s_load_dwordx4 s[4:7], s[34:35], 0x4
	s_load_dwordx2 s[8:9], s[34:35], 0xc4
	s_cmp_lt_u32 s33, 2
	s_waitcnt lgkmcnt(0)
	v_mul_hi_u32 v1, s5, v0
	v_add_u32_e32 v1, v0, v1
	v_lshrrev_b32_e32 v1, s6, v1
	s_waitcnt vmcnt(0)
	v_mul_lo_u32 v2, v1, s4
	v_sub_u32_e32 v0, v0, v2
	v_mul_lo_u32 v10, v0, s9
	v_mul_lo_u32 v4, v0, s8
	s_cbranch_scc1 .LBB177_1271
; %bb.1270:
	s_load_dwordx4 s[4:7], s[34:35], 0x10
	s_load_dwordx2 s[8:9], s[34:35], 0xcc
	s_waitcnt lgkmcnt(0)
	v_mul_hi_u32 v0, s5, v1
	v_add_u32_e32 v0, v1, v0
	v_lshrrev_b32_e32 v0, s6, v0
	v_mul_lo_u32 v0, v0, s4
	v_sub_u32_e32 v0, v1, v0
	v_mad_u64_u32 v[4:5], s[4:5], v0, s8, v[4:5]
	v_mad_u64_u32 v[10:11], s[4:5], v0, s9, v[10:11]
.LBB177_1271:
	s_and_b64 vcc, exec, s[2:3]
	v_add_u32_e32 v0, 0x100, v14
	s_cbranch_vccnz .LBB177_1277
; %bb.1272:
	s_cmp_lg_u32 s33, 0
	s_mov_b32 s36, 0
	s_cbranch_scc0 .LBB177_1278
; %bb.1273:
	s_min_u32 s37, s72, 15
	s_add_i32 s37, s37, 1
	s_cmp_eq_u32 s72, 2
	s_cbranch_scc1 .LBB177_1279
; %bb.1274:
	s_and_b32 s36, s37, 28
	s_add_u32 s28, s34, 0xc4
	s_addc_u32 s29, s35, 0
	s_mov_b32 s38, 0
	s_waitcnt vmcnt(0)
	v_mov_b32_e32 v2, 0
	v_mov_b32_e32 v14, 0
	s_mov_b64 s[30:31], s[34:35]
	v_mov_b32_e32 v5, v0
.LBB177_1275:                           ; =>This Inner Loop Header: Depth=1
	s_load_dwordx8 s[12:19], s[30:31], 0x4
	s_load_dwordx4 s[20:23], s[30:31], 0x24
	s_load_dwordx8 s[4:11], s[28:29], 0x0
	s_add_u32 s30, s30, 48
	s_addc_u32 s31, s31, 0
	s_waitcnt lgkmcnt(0)
	v_mul_hi_u32 v1, s13, v5
	v_add_u32_e32 v1, v5, v1
	v_lshrrev_b32_e32 v1, s14, v1
	v_mul_lo_u32 v3, v1, s12
	v_mul_hi_u32 v7, s16, v1
	v_sub_u32_e32 v3, v5, v3
	v_add_u32_e32 v5, v1, v7
	v_lshrrev_b32_e32 v5, s17, v5
	v_mul_lo_u32 v9, v5, s15
	v_mul_hi_u32 v11, s19, v5
	v_sub_u32_e32 v1, v1, v9
	v_add_u32_e32 v9, v5, v11
	v_mul_lo_u32 v7, v3, s5
	v_mul_lo_u32 v3, v3, s4
	;; [unrolled: 1-line block ×4, first 2 shown]
	v_lshrrev_b32_e32 v9, s20, v9
	v_add3_u32 v1, v3, v2, v1
	v_add3_u32 v2, v7, v14, v11
	v_mul_lo_u32 v3, v9, s18
	v_mul_hi_u32 v7, s22, v9
	v_sub_u32_e32 v3, v5, v3
	v_add_u32_e32 v5, v9, v7
	v_lshrrev_b32_e32 v5, s23, v5
	s_add_i32 s38, s38, 4
	v_mul_lo_u32 v11, v5, s21
	s_add_u32 s28, s28, 32
	v_sub_u32_e32 v9, v9, v11
	s_addc_u32 s29, s29, 0
	v_mul_lo_u32 v7, v3, s8
	v_mul_lo_u32 v3, v3, s9
	;; [unrolled: 1-line block ×4, first 2 shown]
	s_cmp_lg_u32 s36, s38
	v_add3_u32 v14, v3, v2, v9
	v_add3_u32 v2, v7, v1, v11
	s_cbranch_scc1 .LBB177_1275
; %bb.1276:
	v_mov_b32_e32 v1, v14
	s_and_b32 s8, s37, 3
	s_cmp_eq_u32 s8, 0
	s_cbranch_scc0 .LBB177_1280
	s_branch .LBB177_1282
.LBB177_1277:
                                        ; implicit-def: $vgpr14
                                        ; implicit-def: $vgpr2
	s_branch .LBB177_1283
.LBB177_1278:
	v_mov_b32_e32 v14, 0
	s_waitcnt vmcnt(0)
	v_mov_b32_e32 v2, 0
	s_branch .LBB177_1282
.LBB177_1279:
	s_waitcnt vmcnt(0)
	v_mov_b32_e32 v2, 0
                                        ; implicit-def: $vgpr14
	v_mov_b32_e32 v1, v2
	v_mov_b32_e32 v5, v0
	s_and_b32 s8, s37, 3
	s_cmp_eq_u32 s8, 0
	s_cbranch_scc1 .LBB177_1282
.LBB177_1280:
	s_lshl_b32 s4, s36, 3
	s_add_u32 s4, s34, s4
	s_addc_u32 s5, s35, 0
	s_add_u32 s4, s4, 0xc4
	s_addc_u32 s5, s5, 0
	s_mul_i32 s6, s36, 12
	s_add_u32 s6, s34, s6
	s_addc_u32 s7, s35, 0
.LBB177_1281:                           ; =>This Inner Loop Header: Depth=1
	s_load_dwordx2 s[10:11], s[6:7], 0x4
	s_load_dword s9, s[6:7], 0xc
	s_load_dwordx2 s[12:13], s[4:5], 0x0
	v_mov_b32_e32 v12, v1
	s_add_u32 s6, s6, 12
	s_waitcnt lgkmcnt(0)
	v_mul_hi_u32 v1, s11, v5
	v_add_u32_e32 v1, v5, v1
	v_lshrrev_b32_e32 v1, s9, v1
	s_addc_u32 s7, s7, 0
	v_mul_lo_u32 v3, v1, s10
	s_add_u32 s4, s4, 8
	v_sub_u32_e32 v3, v5, v3
	s_addc_u32 s5, s5, 0
	s_add_i32 s8, s8, -1
	v_mad_u64_u32 v[14:15], s[10:11], v3, s13, v[12:13]
	s_cmp_lg_u32 s8, 0
	v_mov_b32_e32 v5, v1
	v_mad_u64_u32 v[2:3], s[10:11], v3, s12, v[2:3]
	v_mov_b32_e32 v1, v14
	s_cbranch_scc1 .LBB177_1281
.LBB177_1282:
	s_cbranch_execnz .LBB177_1285
.LBB177_1283:
	s_load_dwordx4 s[4:7], s[34:35], 0x4
	s_load_dwordx2 s[8:9], s[34:35], 0xc4
	s_cmp_lt_u32 s33, 2
	s_waitcnt lgkmcnt(0)
	v_mul_hi_u32 v1, s5, v0
	v_add_u32_e32 v1, v0, v1
	v_lshrrev_b32_e32 v1, s6, v1
	s_waitcnt vmcnt(0)
	v_mul_lo_u32 v2, v1, s4
	v_sub_u32_e32 v0, v0, v2
	v_mul_lo_u32 v14, v0, s9
	v_mul_lo_u32 v2, v0, s8
	s_cbranch_scc1 .LBB177_1285
; %bb.1284:
	s_load_dwordx4 s[4:7], s[34:35], 0x10
	s_load_dwordx2 s[8:9], s[34:35], 0xcc
	s_waitcnt lgkmcnt(0)
	v_mul_hi_u32 v0, s5, v1
	v_add_u32_e32 v0, v1, v0
	v_lshrrev_b32_e32 v0, s6, v0
	v_mul_lo_u32 v0, v0, s4
	v_sub_u32_e32 v0, v1, v0
	v_mad_u64_u32 v[2:3], s[4:5], v0, s8, v[2:3]
	v_mad_u64_u32 v[14:15], s[4:5], v0, s9, v[14:15]
.LBB177_1285:
	s_and_b64 vcc, exec, s[2:3]
	s_cbranch_vccnz .LBB177_1291
; %bb.1286:
	s_cmp_lg_u32 s33, 0
	s_mov_b32 s30, 0
	s_cbranch_scc0 .LBB177_1292
; %bb.1287:
	s_min_u32 s31, s72, 15
	s_add_i32 s31, s31, 1
	s_cmp_eq_u32 s72, 2
	s_cbranch_scc1 .LBB177_1293
; %bb.1288:
	s_and_b32 s30, s31, 28
	s_add_u32 s2, s34, 0xc4
	s_addc_u32 s3, s35, 0
	s_mov_b32 s36, 0
	v_mov_b32_e32 v0, 0
	v_mov_b32_e32 v12, 0
	s_mov_b64 s[28:29], s[34:35]
	s_waitcnt vmcnt(0)
	v_mov_b32_e32 v3, v16
.LBB177_1289:                           ; =>This Inner Loop Header: Depth=1
	s_load_dwordx8 s[12:19], s[28:29], 0x4
	s_load_dwordx4 s[20:23], s[28:29], 0x24
	s_load_dwordx8 s[4:11], s[2:3], 0x0
	s_add_u32 s28, s28, 48
	s_addc_u32 s29, s29, 0
	s_waitcnt lgkmcnt(0)
	v_mul_hi_u32 v1, s13, v3
	v_add_u32_e32 v1, v3, v1
	v_lshrrev_b32_e32 v1, s14, v1
	v_mul_lo_u32 v5, v1, s12
	v_mul_hi_u32 v7, s16, v1
	v_sub_u32_e32 v3, v3, v5
	v_add_u32_e32 v5, v1, v7
	v_lshrrev_b32_e32 v5, s17, v5
	v_mul_lo_u32 v9, v5, s15
	v_mul_hi_u32 v11, s19, v5
	v_sub_u32_e32 v1, v1, v9
	v_add_u32_e32 v9, v5, v11
	v_mul_lo_u32 v7, v3, s5
	v_mul_lo_u32 v3, v3, s4
	v_mul_lo_u32 v11, v1, s7
	v_mul_lo_u32 v1, v1, s6
	v_lshrrev_b32_e32 v9, s20, v9
	v_add3_u32 v0, v3, v0, v1
	v_add3_u32 v1, v7, v12, v11
	v_mul_lo_u32 v3, v9, s18
	v_mul_hi_u32 v7, s22, v9
	v_sub_u32_e32 v3, v5, v3
	v_add_u32_e32 v5, v9, v7
	v_mul_lo_u32 v7, v3, s8
	v_mul_lo_u32 v11, v3, s9
	v_lshrrev_b32_e32 v3, s23, v5
	s_add_i32 s36, s36, 4
	v_mul_lo_u32 v5, v3, s21
	s_add_u32 s2, s2, 32
	v_sub_u32_e32 v5, v9, v5
	s_addc_u32 s3, s3, 0
	v_mul_lo_u32 v9, v5, s10
	v_mul_lo_u32 v5, v5, s11
	s_cmp_lg_u32 s30, s36
	v_add3_u32 v12, v11, v1, v5
	v_add3_u32 v0, v7, v0, v9
	s_cbranch_scc1 .LBB177_1289
; %bb.1290:
	v_mov_b32_e32 v1, v12
	s_and_b32 s6, s31, 3
	s_cmp_eq_u32 s6, 0
	s_cbranch_scc0 .LBB177_1294
	s_branch .LBB177_1296
.LBB177_1291:
                                        ; implicit-def: $vgpr12
                                        ; implicit-def: $vgpr0
	s_branch .LBB177_1297
.LBB177_1292:
	v_mov_b32_e32 v12, 0
	v_mov_b32_e32 v0, 0
	s_branch .LBB177_1296
.LBB177_1293:
	v_mov_b32_e32 v0, 0
                                        ; implicit-def: $vgpr12
	v_mov_b32_e32 v1, v0
	s_waitcnt vmcnt(0)
	v_mov_b32_e32 v3, v16
	s_and_b32 s6, s31, 3
	s_cmp_eq_u32 s6, 0
	s_cbranch_scc1 .LBB177_1296
.LBB177_1294:
	s_lshl_b32 s2, s30, 3
	s_add_u32 s2, s34, s2
	s_addc_u32 s3, s35, 0
	s_add_u32 s2, s2, 0xc4
	s_addc_u32 s3, s3, 0
	s_mul_i32 s4, s30, 12
	s_add_u32 s4, s34, s4
	s_addc_u32 s5, s35, 0
.LBB177_1295:                           ; =>This Inner Loop Header: Depth=1
	s_load_dwordx2 s[8:9], s[4:5], 0x4
	s_load_dword s7, s[4:5], 0xc
	s_load_dwordx2 s[10:11], s[2:3], 0x0
	v_mov_b32_e32 v12, v1
	s_add_u32 s4, s4, 12
	s_waitcnt lgkmcnt(0)
	v_mul_hi_u32 v1, s9, v3
	v_add_u32_e32 v1, v3, v1
	v_lshrrev_b32_e32 v1, s7, v1
	s_addc_u32 s5, s5, 0
	v_mul_lo_u32 v5, v1, s8
	s_add_u32 s2, s2, 8
	v_sub_u32_e32 v5, v3, v5
	s_addc_u32 s3, s3, 0
	s_add_i32 s6, s6, -1
	v_mov_b32_e32 v3, v1
	v_mad_u64_u32 v[12:13], s[8:9], v5, s11, v[12:13]
	v_mad_u64_u32 v[0:1], s[8:9], v5, s10, v[0:1]
	s_cmp_lg_u32 s6, 0
	v_mov_b32_e32 v1, v12
	s_cbranch_scc1 .LBB177_1295
.LBB177_1296:
	s_cbranch_execnz .LBB177_1299
.LBB177_1297:
	s_load_dwordx4 s[4:7], s[34:35], 0x4
	s_load_dwordx2 s[2:3], s[34:35], 0xc4
	s_cmp_lt_u32 s33, 2
	s_waitcnt lgkmcnt(0)
	v_mul_hi_u32 v0, s5, v16
	v_add_u32_e32 v0, v16, v0
	v_lshrrev_b32_e32 v1, s6, v0
	v_mul_lo_u32 v0, v1, s4
	v_sub_u32_e32 v0, v16, v0
	v_mul_lo_u32 v12, v0, s3
	v_mul_lo_u32 v0, v0, s2
	s_cbranch_scc1 .LBB177_1299
; %bb.1298:
	s_load_dwordx4 s[4:7], s[34:35], 0x10
	s_load_dwordx2 s[2:3], s[34:35], 0xcc
	s_waitcnt vmcnt(0) lgkmcnt(0)
	v_mul_hi_u32 v3, s5, v1
	v_add_u32_e32 v3, v1, v3
	v_lshrrev_b32_e32 v3, s6, v3
	v_mul_lo_u32 v3, v3, s4
	v_sub_u32_e32 v3, v1, v3
	v_mad_u64_u32 v[0:1], s[4:5], v3, s2, v[0:1]
	v_mad_u64_u32 v[12:13], s[2:3], v3, s3, v[12:13]
.LBB177_1299:
	s_load_dword s22, s[0:1], 0x160
	s_load_dwordx4 s[4:7], s[34:35], 0x148
	v_mov_b32_e32 v9, 0
	s_waitcnt lgkmcnt(0)
	s_bfe_u32 s14, s22, 0x80010
	s_cmp_lt_i32 s14, 11
	v_lshl_add_u64 v[8:9], s[6:7], 0, v[8:9]
	s_cbranch_scc1 .LBB177_1306
; %bb.1300:
	s_and_b32 s15, 0xffff, s14
	s_cmp_gt_i32 s15, 25
	s_mov_b64 s[2:3], 0
	s_cbranch_scc0 .LBB177_1308
; %bb.1301:
	s_cmp_gt_i32 s15, 28
	s_cbranch_scc0 .LBB177_1309
; %bb.1302:
	s_cmp_gt_i32 s15, 43
	;; [unrolled: 3-line block ×3, first 2 shown]
	s_cbranch_scc0 .LBB177_1311
; %bb.1304:
	s_cmp_eq_u32 s15, 46
	s_mov_b64 s[8:9], 0
	s_cbranch_scc0 .LBB177_1314
; %bb.1305:
	global_load_dword v1, v[8:9], off
	s_mov_b64 s[0:1], 0
	s_mov_b64 s[10:11], -1
	s_waitcnt vmcnt(0)
	v_and_b32_e32 v17, 0xffff0000, v1
	v_lshlrev_b32_e32 v16, 16, v1
	s_branch .LBB177_1315
.LBB177_1306:
	s_mov_b64 s[10:11], 0
                                        ; implicit-def: $vgpr16_vgpr17
	s_mov_b64 s[8:9], s[24:25]
	s_cbranch_execnz .LBB177_1378
.LBB177_1307:
	s_andn2_b64 vcc, exec, s[10:11]
	s_cbranch_vccz .LBB177_1423
	s_branch .LBB177_1937
.LBB177_1308:
	s_mov_b64 s[10:11], 0
	s_mov_b64 s[0:1], 0
                                        ; implicit-def: $vgpr16_vgpr17
	s_cbranch_execnz .LBB177_1345
	s_branch .LBB177_1374
.LBB177_1309:
	s_mov_b64 s[8:9], -1
	s_mov_b64 s[10:11], 0
	s_mov_b64 s[0:1], 0
                                        ; implicit-def: $vgpr16_vgpr17
	s_branch .LBB177_1324
.LBB177_1310:
	s_mov_b64 s[10:11], 0
	s_mov_b64 s[0:1], 0
                                        ; implicit-def: $vgpr16_vgpr17
	s_cbranch_execnz .LBB177_1320
	s_branch .LBB177_1323
.LBB177_1311:
	s_mov_b64 s[8:9], -1
	s_mov_b64 s[10:11], 0
	s_mov_b64 s[0:1], 0
                                        ; implicit-def: $vgpr16_vgpr17
	s_branch .LBB177_1315
.LBB177_1312:
	s_andn2_saveexec_b64 s[12:13], s[12:13]
	s_cbranch_execz .LBB177_1155
.LBB177_1313:
	s_mov_b32 s14, 0x46000000
	v_add_f32_e64 v0, |v4|, s14
	v_and_b32_e32 v0, 0xff, v0
	v_cmp_ne_u32_e32 vcc, 0, v0
	s_andn2_b64 s[10:11], s[10:11], exec
	s_and_b64 s[14:15], vcc, exec
	s_or_b64 s[10:11], s[10:11], s[14:15]
	s_or_b64 exec, exec, s[12:13]
	v_mov_b32_e32 v1, 0
	s_and_saveexec_b64 s[12:13], s[10:11]
	s_cbranch_execnz .LBB177_1156
	s_branch .LBB177_1157
.LBB177_1314:
	s_mov_b64 s[0:1], -1
                                        ; implicit-def: $vgpr16_vgpr17
	s_mov_b64 s[10:11], 0
.LBB177_1315:
	s_and_b64 vcc, exec, s[8:9]
	s_cbranch_vccz .LBB177_1318
; %bb.1316:
	s_cmp_eq_u32 s15, 44
	s_cbranch_scc0 .LBB177_1319
; %bb.1317:
	global_load_ubyte v1, v[8:9], off
	s_movk_i32 s8, 0xff
	s_waitcnt vmcnt(1)
	v_mov_b32_e32 v3, 0x7f800001
	v_mov_b32_e32 v5, 0x400000
	v_mov_b32_e32 v17, 0
	s_mov_b64 s[0:1], 0
	s_mov_b64 s[10:11], -1
	s_waitcnt vmcnt(0)
	v_lshlrev_b32_e32 v7, 23, v1
	v_cmp_ne_u32_e32 vcc, s8, v1
	s_nop 1
	v_cndmask_b32_e32 v3, v3, v7, vcc
	v_cmp_ne_u32_e32 vcc, 0, v1
	s_nop 1
	v_cndmask_b32_e32 v16, v5, v3, vcc
.LBB177_1318:
	s_branch .LBB177_1323
.LBB177_1319:
	s_mov_b64 s[0:1], -1
                                        ; implicit-def: $vgpr16_vgpr17
	s_branch .LBB177_1323
.LBB177_1320:
	s_cmp_eq_u32 s15, 29
	s_cbranch_scc0 .LBB177_1322
; %bb.1321:
	global_load_dwordx2 v[16:17], v[8:9], off
	s_mov_b64 s[0:1], 0
	s_mov_b64 s[10:11], -1
	s_mov_b64 s[8:9], 0
	s_waitcnt vmcnt(0)
	v_ffbh_u32_e32 v1, v17
	v_min_u32_e32 v1, 32, v1
	v_lshlrev_b64 v[16:17], v1, v[16:17]
	v_min_u32_e32 v3, 1, v16
	v_or_b32_e32 v3, v17, v3
	v_cvt_f32_u32_e32 v3, v3
	v_sub_u32_e32 v1, 32, v1
	v_mov_b32_e32 v17, 0
	v_ldexp_f32 v16, v3, v1
	s_branch .LBB177_1324
.LBB177_1322:
	s_mov_b64 s[0:1], -1
                                        ; implicit-def: $vgpr16_vgpr17
.LBB177_1323:
	s_mov_b64 s[8:9], 0
.LBB177_1324:
	s_and_b64 vcc, exec, s[8:9]
	s_cbranch_vccz .LBB177_1344
; %bb.1325:
	s_cmp_lt_i32 s15, 27
	s_cbranch_scc1 .LBB177_1328
; %bb.1326:
	s_cmp_gt_i32 s15, 27
	s_cbranch_scc0 .LBB177_1329
; %bb.1327:
	global_load_dword v1, v[8:9], off
	v_mov_b32_e32 v17, 0
	s_mov_b64 s[8:9], 0
	s_waitcnt vmcnt(0)
	v_cvt_f32_u32_e32 v16, v1
	s_branch .LBB177_1330
.LBB177_1328:
	s_mov_b64 s[8:9], -1
                                        ; implicit-def: $vgpr16_vgpr17
	s_branch .LBB177_1333
.LBB177_1329:
	s_mov_b64 s[8:9], -1
                                        ; implicit-def: $vgpr16_vgpr17
.LBB177_1330:
	s_andn2_b64 vcc, exec, s[8:9]
	s_cbranch_vccnz .LBB177_1332
; %bb.1331:
	global_load_ushort v1, v[8:9], off
	v_mov_b32_e32 v17, 0
	s_waitcnt vmcnt(0)
	v_cvt_f32_u32_e32 v16, v1
.LBB177_1332:
	s_mov_b64 s[8:9], 0
.LBB177_1333:
	s_andn2_b64 vcc, exec, s[8:9]
	s_cbranch_vccnz .LBB177_1343
; %bb.1334:
	global_load_ubyte v1, v[8:9], off
	s_movk_i32 s8, 0x7f
	s_waitcnt vmcnt(0)
	v_cmp_lt_i16_e32 vcc, s8, v1
	s_mov_b64 s[8:9], 0
	s_and_saveexec_b64 s[10:11], vcc
	s_xor_b64 s[10:11], exec, s[10:11]
	s_cbranch_execz .LBB177_1338
; %bb.1335:
	s_movk_i32 s8, 0x80
	v_cmp_eq_u16_e32 vcc, s8, v1
	s_mov_b64 s[8:9], -1
	s_and_saveexec_b64 s[12:13], vcc
; %bb.1336:
	s_xor_b64 s[8:9], exec, -1
; %bb.1337:
	s_or_b64 exec, exec, s[12:13]
	s_and_b64 s[8:9], s[8:9], exec
.LBB177_1338:
	s_or_saveexec_b64 s[10:11], s[10:11]
	v_mov_b32_e32 v16, 0x7f800001
	v_mov_b32_e32 v17, 0
	s_xor_b64 exec, exec, s[10:11]
; %bb.1339:
	v_cmp_ne_u16_e32 vcc, 0, v1
	s_andn2_b64 s[8:9], s[8:9], exec
	s_and_b64 s[12:13], vcc, exec
	v_mov_b32_e32 v16, v17
	s_or_b64 s[8:9], s[8:9], s[12:13]
; %bb.1340:
	s_or_b64 exec, exec, s[10:11]
	s_and_saveexec_b64 s[10:11], s[8:9]
	s_cbranch_execz .LBB177_1342
; %bb.1341:
	v_lshlrev_b32_e32 v3, 24, v1
	v_and_b32_e32 v1, 0xffff, v1
	v_and_b32_e32 v5, 7, v1
	v_ffbh_u32_e32 v11, v5
	v_min_u32_e32 v11, 32, v11
	v_subrev_u32_e32 v13, 28, v11
	v_bfe_u32 v7, v1, 3, 4
	v_lshlrev_b32_e32 v1, v13, v1
	v_sub_u32_e32 v11, 29, v11
	v_and_b32_e32 v1, 7, v1
	v_cmp_eq_u32_e32 vcc, 0, v7
	v_and_b32_e32 v3, 0x80000000, v3
	v_mov_b32_e32 v17, 0
	v_cndmask_b32_e32 v7, v7, v11, vcc
	v_cndmask_b32_e32 v1, v5, v1, vcc
	v_mov_b32_e32 v5, 0x3b800000
	v_lshlrev_b32_e32 v1, 20, v1
	v_lshl_add_u32 v5, v7, 23, v5
	v_or3_b32 v16, v3, v5, v1
.LBB177_1342:
	s_or_b64 exec, exec, s[10:11]
.LBB177_1343:
	s_mov_b64 s[10:11], -1
.LBB177_1344:
	s_branch .LBB177_1374
.LBB177_1345:
	s_cmp_gt_i32 s15, 22
	s_cbranch_scc0 .LBB177_1357
; %bb.1346:
	s_cmp_lt_i32 s15, 24
	s_cbranch_scc1 .LBB177_1358
; %bb.1347:
	s_cmp_gt_i32 s15, 24
	s_cbranch_scc0 .LBB177_1359
; %bb.1348:
	global_load_ubyte v1, v[8:9], off
	s_movk_i32 s2, 0x7f
	s_waitcnt vmcnt(0)
	v_cmp_lt_i16_e32 vcc, s2, v1
	s_mov_b64 s[2:3], 0
	s_and_saveexec_b64 s[8:9], vcc
	s_xor_b64 s[8:9], exec, s[8:9]
	s_cbranch_execz .LBB177_1352
; %bb.1349:
	s_movk_i32 s2, 0x80
	v_cmp_eq_u16_e32 vcc, s2, v1
	s_mov_b64 s[2:3], -1
	s_and_saveexec_b64 s[10:11], vcc
; %bb.1350:
	s_xor_b64 s[2:3], exec, -1
; %bb.1351:
	s_or_b64 exec, exec, s[10:11]
	s_and_b64 s[2:3], s[2:3], exec
.LBB177_1352:
	s_or_saveexec_b64 s[8:9], s[8:9]
	v_mov_b32_e32 v16, 0x7f800001
	v_mov_b32_e32 v17, 0
	s_xor_b64 exec, exec, s[8:9]
; %bb.1353:
	v_cmp_ne_u16_e32 vcc, 0, v1
	s_andn2_b64 s[2:3], s[2:3], exec
	s_and_b64 s[10:11], vcc, exec
	v_mov_b32_e32 v16, v17
	s_or_b64 s[2:3], s[2:3], s[10:11]
; %bb.1354:
	s_or_b64 exec, exec, s[8:9]
	s_and_saveexec_b64 s[8:9], s[2:3]
	s_cbranch_execz .LBB177_1356
; %bb.1355:
	v_lshlrev_b32_e32 v3, 24, v1
	v_and_b32_e32 v1, 0xffff, v1
	v_and_b32_e32 v5, 3, v1
	v_ffbh_u32_e32 v11, v5
	v_min_u32_e32 v11, 32, v11
	v_subrev_u32_e32 v13, 29, v11
	v_bfe_u32 v7, v1, 2, 5
	v_lshlrev_b32_e32 v1, v13, v1
	v_sub_u32_e32 v11, 30, v11
	v_and_b32_e32 v1, 3, v1
	v_cmp_eq_u32_e32 vcc, 0, v7
	v_and_b32_e32 v3, 0x80000000, v3
	v_mov_b32_e32 v17, 0
	v_cndmask_b32_e32 v7, v7, v11, vcc
	v_cndmask_b32_e32 v1, v5, v1, vcc
	v_mov_b32_e32 v5, 0x37800000
	v_lshlrev_b32_e32 v1, 21, v1
	v_lshl_add_u32 v5, v7, 23, v5
	v_or3_b32 v16, v3, v5, v1
.LBB177_1356:
	s_or_b64 exec, exec, s[8:9]
	s_mov_b64 s[2:3], 0
	s_branch .LBB177_1360
.LBB177_1357:
                                        ; implicit-def: $vgpr16_vgpr17
	s_mov_b64 s[2:3], 0
	s_branch .LBB177_1366
.LBB177_1358:
	s_mov_b64 s[2:3], -1
                                        ; implicit-def: $vgpr16_vgpr17
	s_branch .LBB177_1363
.LBB177_1359:
	s_mov_b64 s[2:3], -1
                                        ; implicit-def: $vgpr16_vgpr17
.LBB177_1360:
	s_and_b64 vcc, exec, s[2:3]
	s_cbranch_vccz .LBB177_1362
; %bb.1361:
	global_load_ubyte v1, v[8:9], off
	s_mov_b32 s2, 0x7f800000
	s_brev_b32 s3, 1
	v_mov_b32_e32 v17, 0
	s_waitcnt vmcnt(0)
	v_lshlrev_b32_e32 v1, 24, v1
	v_and_b32_e32 v3, 0x7f000000, v1
	v_ffbh_u32_e32 v5, v3
	v_min_u32_e32 v5, 32, v5
	v_sub_u32_e64 v5, v5, 4 clamp
	v_lshlrev_b32_e32 v11, v5, v3
	v_lshlrev_b32_e32 v5, 23, v5
	v_lshrrev_b32_e32 v11, 4, v11
	v_add_u32_e32 v7, 0x1000000, v3
	v_sub_u32_e32 v5, v11, v5
	v_ashrrev_i32_e32 v7, 8, v7
	v_add_u32_e32 v5, 0x3c000000, v5
	v_and_or_b32 v5, v7, s2, v5
	v_cmp_ne_u32_e32 vcc, 0, v3
	s_nop 1
	v_cndmask_b32_e32 v3, 0, v5, vcc
	v_and_or_b32 v16, v1, s3, v3
.LBB177_1362:
	s_mov_b64 s[2:3], 0
.LBB177_1363:
	s_andn2_b64 vcc, exec, s[2:3]
	s_cbranch_vccnz .LBB177_1365
; %bb.1364:
	global_load_ubyte v1, v[8:9], off
	s_movk_i32 s2, 0x7f00
	s_brev_b32 s3, 16
	s_brev_b32 s8, 1
	v_mov_b32_e32 v17, 0
	s_waitcnt vmcnt(0)
	v_lshlrev_b16_e32 v3, 8, v1
	v_lshlrev_b32_e32 v1, 25, v1
	v_lshrrev_b32_e32 v5, 4, v1
	v_and_or_b32 v7, v3, s2, 0.5
	v_or_b32_e32 v5, 0x70000000, v5
	v_add_f32_e32 v7, -0.5, v7
	v_mul_f32_e32 v5, 0x7800000, v5
	v_cmp_gt_u32_e32 vcc, s3, v1
	v_bfe_i32 v3, v3, 0, 16
	s_nop 0
	v_cndmask_b32_e32 v1, v5, v7, vcc
	v_and_or_b32 v16, v3, s8, v1
.LBB177_1365:
	s_mov_b64 s[10:11], -1
	s_mov_b64 s[2:3], 0
	s_cbranch_execnz .LBB177_1374
.LBB177_1366:
	s_cmp_gt_i32 s15, 14
	s_cbranch_scc0 .LBB177_1369
; %bb.1367:
	s_cmp_eq_u32 s15, 15
	s_cbranch_scc0 .LBB177_1370
; %bb.1368:
	global_load_ushort v1, v[8:9], off
	v_mov_b32_e32 v17, 0
	s_mov_b64 s[0:1], 0
	s_mov_b64 s[10:11], -1
	s_waitcnt vmcnt(0)
	v_lshlrev_b32_e32 v16, 16, v1
	s_branch .LBB177_1371
.LBB177_1369:
	s_mov_b64 s[8:9], -1
                                        ; implicit-def: $vgpr16_vgpr17
	s_branch .LBB177_1372
.LBB177_1370:
	s_mov_b64 s[0:1], -1
                                        ; implicit-def: $vgpr16_vgpr17
.LBB177_1371:
	s_mov_b64 s[8:9], 0
.LBB177_1372:
	s_and_b64 vcc, exec, s[8:9]
	s_cbranch_vccz .LBB177_1374
; %bb.1373:
	s_cmp_lg_u32 s15, 11
	s_mov_b64 s[2:3], -1
	s_cselect_b64 s[0:1], -1, 0
.LBB177_1374:
	s_and_b64 vcc, exec, s[0:1]
	s_mov_b64 s[8:9], s[24:25]
	s_cbranch_vccnz .LBB177_1473
; %bb.1375:
	s_andn2_b64 vcc, exec, s[2:3]
	s_cbranch_vccnz .LBB177_1377
.LBB177_1376:
	global_load_ubyte v1, v[8:9], off
	v_mov_b32_e32 v17, 0
	s_mov_b64 s[10:11], -1
	s_waitcnt vmcnt(0)
	v_cmp_ne_u16_e32 vcc, 0, v1
	s_nop 1
	v_cndmask_b32_e64 v16, 0, 1.0, vcc
.LBB177_1377:
	s_branch .LBB177_1307
.LBB177_1378:
	s_and_b32 s2, 0xffff, s14
	s_cmp_lt_i32 s2, 5
	s_cbranch_scc1 .LBB177_1383
; %bb.1379:
	s_cmp_lt_i32 s2, 8
	s_cbranch_scc1 .LBB177_1384
; %bb.1380:
	;; [unrolled: 3-line block ×3, first 2 shown]
	s_cmp_gt_i32 s2, 9
	s_cbranch_scc0 .LBB177_1386
; %bb.1382:
	global_load_dwordx4 v[18:21], v[8:9], off
	s_mov_b64 s[0:1], 0
	s_waitcnt vmcnt(0)
	v_cvt_f32_f64_e32 v17, v[20:21]
	v_cvt_f32_f64_e32 v16, v[18:19]
	s_branch .LBB177_1387
.LBB177_1383:
                                        ; implicit-def: $vgpr16_vgpr17
	s_branch .LBB177_1404
.LBB177_1384:
                                        ; implicit-def: $vgpr16_vgpr17
	s_branch .LBB177_1393
.LBB177_1385:
	s_mov_b64 s[0:1], -1
                                        ; implicit-def: $vgpr16_vgpr17
	s_branch .LBB177_1390
.LBB177_1386:
	s_mov_b64 s[0:1], -1
                                        ; implicit-def: $vgpr16_vgpr17
.LBB177_1387:
	s_andn2_b64 vcc, exec, s[0:1]
	s_cbranch_vccnz .LBB177_1389
; %bb.1388:
	global_load_dwordx2 v[16:17], v[8:9], off
.LBB177_1389:
	s_mov_b64 s[0:1], 0
.LBB177_1390:
	s_andn2_b64 vcc, exec, s[0:1]
	s_cbranch_vccnz .LBB177_1392
; %bb.1391:
	global_load_dword v1, v[8:9], off
	s_waitcnt vmcnt(0)
	v_cvt_f32_f16_sdwa v17, v1 dst_sel:DWORD dst_unused:UNUSED_PAD src0_sel:WORD_1
	v_cvt_f32_f16_e32 v16, v1
.LBB177_1392:
	s_cbranch_execnz .LBB177_1403
.LBB177_1393:
	s_cmp_lt_i32 s2, 6
	s_cbranch_scc1 .LBB177_1396
; %bb.1394:
	s_cmp_gt_i32 s2, 6
	s_cbranch_scc0 .LBB177_1397
; %bb.1395:
	global_load_dwordx2 v[18:19], v[8:9], off
	s_waitcnt vmcnt(1)
	v_mov_b32_e32 v17, 0
	s_mov_b64 s[0:1], 0
	s_waitcnt vmcnt(0)
	v_cvt_f32_f64_e32 v16, v[18:19]
	s_branch .LBB177_1398
.LBB177_1396:
	s_mov_b64 s[0:1], -1
                                        ; implicit-def: $vgpr16_vgpr17
	s_branch .LBB177_1401
.LBB177_1397:
	s_mov_b64 s[0:1], -1
                                        ; implicit-def: $vgpr16_vgpr17
.LBB177_1398:
	s_andn2_b64 vcc, exec, s[0:1]
	s_cbranch_vccnz .LBB177_1400
; %bb.1399:
	global_load_dword v16, v[8:9], off
	s_waitcnt vmcnt(1)
	v_mov_b32_e32 v17, 0
.LBB177_1400:
	s_mov_b64 s[0:1], 0
.LBB177_1401:
	s_andn2_b64 vcc, exec, s[0:1]
	s_cbranch_vccnz .LBB177_1403
; %bb.1402:
	global_load_ushort v1, v[8:9], off
	s_waitcnt vmcnt(1)
	v_mov_b32_e32 v17, 0
	s_waitcnt vmcnt(0)
	v_cvt_f32_f16_e32 v16, v1
.LBB177_1403:
	s_cbranch_execnz .LBB177_1422
.LBB177_1404:
	s_cmp_lt_i32 s2, 2
	s_cbranch_scc1 .LBB177_1408
; %bb.1405:
	s_cmp_lt_i32 s2, 3
	s_cbranch_scc1 .LBB177_1409
; %bb.1406:
	s_cmp_gt_i32 s2, 3
	s_cbranch_scc0 .LBB177_1410
; %bb.1407:
	global_load_dwordx2 v[16:17], v[8:9], off
	s_mov_b64 s[0:1], 0
	s_waitcnt vmcnt(0)
	v_xor_b32_e32 v3, v16, v17
	v_ffbh_i32_e32 v1, v17
	v_ashrrev_i32_e32 v3, 31, v3
	v_add_u32_e32 v1, -1, v1
	v_add_u32_e32 v3, 32, v3
	v_min_u32_e32 v1, v1, v3
	v_lshlrev_b64 v[16:17], v1, v[16:17]
	v_min_u32_e32 v3, 1, v16
	v_or_b32_e32 v3, v17, v3
	v_cvt_f32_i32_e32 v3, v3
	v_sub_u32_e32 v1, 32, v1
	v_mov_b32_e32 v17, 0
	v_ldexp_f32 v16, v3, v1
	s_branch .LBB177_1411
.LBB177_1408:
                                        ; implicit-def: $vgpr16_vgpr17
	s_branch .LBB177_1417
.LBB177_1409:
	s_mov_b64 s[0:1], -1
                                        ; implicit-def: $vgpr16_vgpr17
	s_branch .LBB177_1414
.LBB177_1410:
	s_mov_b64 s[0:1], -1
                                        ; implicit-def: $vgpr16_vgpr17
.LBB177_1411:
	s_andn2_b64 vcc, exec, s[0:1]
	s_cbranch_vccnz .LBB177_1413
; %bb.1412:
	global_load_dword v1, v[8:9], off
	s_waitcnt vmcnt(1)
	v_mov_b32_e32 v17, 0
	s_waitcnt vmcnt(0)
	v_cvt_f32_i32_e32 v16, v1
.LBB177_1413:
	s_mov_b64 s[0:1], 0
.LBB177_1414:
	s_andn2_b64 vcc, exec, s[0:1]
	s_cbranch_vccnz .LBB177_1416
; %bb.1415:
	global_load_sshort v1, v[8:9], off
	s_waitcnt vmcnt(1)
	v_mov_b32_e32 v17, 0
	s_waitcnt vmcnt(0)
	v_cvt_f32_i32_e32 v16, v1
.LBB177_1416:
	s_cbranch_execnz .LBB177_1422
.LBB177_1417:
	s_cmp_gt_i32 s2, 0
	s_cbranch_scc0 .LBB177_1419
; %bb.1418:
	global_load_sbyte v1, v[8:9], off
	s_waitcnt vmcnt(1)
	v_mov_b32_e32 v17, 0
	s_mov_b64 s[0:1], 0
	s_waitcnt vmcnt(0)
	v_cvt_f32_i32_e32 v16, v1
	s_branch .LBB177_1420
.LBB177_1419:
	s_mov_b64 s[0:1], -1
                                        ; implicit-def: $vgpr16_vgpr17
.LBB177_1420:
	s_andn2_b64 vcc, exec, s[0:1]
	s_cbranch_vccnz .LBB177_1422
; %bb.1421:
	global_load_ubyte v1, v[8:9], off
	s_waitcnt vmcnt(1)
	v_mov_b32_e32 v17, 0
	s_waitcnt vmcnt(0)
	v_cvt_f32_ubyte0_e32 v16, v1
.LBB177_1422:
.LBB177_1423:
	s_waitcnt vmcnt(0)
	v_cmp_neq_f32_e32 vcc, 0, v16
	v_cmp_neq_f32_e64 s[0:1], 0, v17
	v_mov_b32_e32 v1, 0
	s_or_b64 s[0:1], vcc, s[0:1]
	s_and_saveexec_b64 s[10:11], s[0:1]
	s_cbranch_execz .LBB177_1453
; %bb.1424:
	v_mov_b32_e32 v1, 0x7f800000
	v_cmp_neq_f32_e64 s[0:1], |v17|, v1
	s_and_saveexec_b64 s[12:13], s[0:1]
	s_cbranch_execz .LBB177_1452
; %bb.1425:
	v_cmp_o_f32_e32 vcc, v16, v16
                                        ; implicit-def: $vgpr1
	s_and_saveexec_b64 s[0:1], vcc
	s_xor_b64 s[14:15], exec, s[0:1]
	s_cbranch_execz .LBB177_1449
; %bb.1426:
	s_mov_b32 s0, 0x7f800000
	v_cmp_neq_f32_e64 s[0:1], |v16|, s0
                                        ; implicit-def: $vgpr1
	s_and_saveexec_b64 s[2:3], s[0:1]
	s_xor_b64 s[16:17], exec, s[2:3]
	s_cbranch_execz .LBB177_1442
; %bb.1427:
	v_max_f32_e64 v1, |v17|, |v17|
	v_max_f32_e64 v3, |v16|, |v16|
	v_max_f32_e32 v1, v3, v1
	s_mov_b32 s0, 0x7ed413cb
	v_cmp_nle_f32_e64 s[0:1], s0, v1
                                        ; implicit-def: $sgpr18_sgpr19
	s_and_saveexec_b64 s[2:3], s[0:1]
	s_xor_b64 s[2:3], exec, s[2:3]
	s_cbranch_execz .LBB177_1431
; %bb.1428:
	s_mov_b32 s20, 0x1000000
	v_cmp_le_f32_e64 s[18:19], |v16|, s20
	v_cmp_le_f32_e64 s[20:21], |v17|, s20
	s_and_b64 s[28:29], s[18:19], s[20:21]
	s_mov_b64 s[18:19], 0
	s_and_saveexec_b64 s[20:21], s[28:29]
; %bb.1429:
	s_mov_b64 s[18:19], exec
	v_pk_mul_f32 v[16:17], v[16:17], 4.0 op_sel_hi:[1,0]
; %bb.1430:
	s_or_b64 exec, exec, s[20:21]
.LBB177_1431:
	s_andn2_saveexec_b64 s[2:3], s[2:3]
; %bb.1432:
	s_mov_b32 s20, 0x3e800000
	v_pk_mul_f32 v[16:17], v[16:17], s[20:21] op_sel_hi:[1,0]
	s_andn2_b64 s[18:19], s[18:19], exec
; %bb.1433:
	s_or_b64 exec, exec, s[2:3]
	v_max_f32_e64 v1, |v17|, |v17|
	v_max_f32_e64 v3, |v16|, |v16|
	v_max_f32_e32 v1, v3, v1
	v_cvt_f64_f32_e32 v[8:9], v1
	v_frexp_exp_i32_f64_e32 v3, v[8:9]
	v_sub_u32_e32 v5, 0, v3
	v_ldexp_f32 v7, |v16|, v5
	v_ldexp_f32 v5, |v17|, v5
	v_mul_f32_e32 v5, v5, v5
	v_fmac_f32_e32 v5, v7, v7
	v_sqrt_f32_e32 v5, v5
	s_mov_b32 s2, 0x7f800000
	v_cmp_neq_f32_e64 s[2:3], s2, v1
	v_cmp_le_f32_e32 vcc, 0, v16
	v_ldexp_f32 v3, v5, v3
	v_mov_b32_e32 v5, 0x7f800000
	v_cndmask_b32_e64 v1, v5, v3, s[2:3]
                                        ; implicit-def: $vgpr8_vgpr9
	s_and_saveexec_b64 s[2:3], vcc
	s_xor_b64 s[20:21], exec, s[2:3]
	s_cbranch_execz .LBB177_1435
; %bb.1434:
	v_add_f32_e32 v1, v16, v1
	v_mul_f32_e32 v1, 0.5, v1
	s_mov_b32 s2, 0xf800000
	v_mul_f32_e32 v3, 0x4f800000, v1
	v_cmp_gt_f32_e32 vcc, s2, v1
	s_nop 1
	v_cndmask_b32_e32 v1, v1, v3, vcc
	v_sqrt_f32_e32 v3, v1
	s_nop 0
	v_add_u32_e32 v5, -1, v3
	v_fma_f32 v7, -v5, v3, v1
	v_cmp_ge_f32_e64 s[2:3], 0, v7
	v_add_u32_e32 v7, 1, v3
	s_nop 0
	v_cndmask_b32_e64 v5, v3, v5, s[2:3]
	v_fma_f32 v3, -v7, v3, v1
	v_cmp_lt_f32_e64 s[2:3], 0, v3
	s_nop 1
	v_cndmask_b32_e64 v3, v5, v7, s[2:3]
	v_mul_f32_e32 v5, 0x37800000, v3
	v_cndmask_b32_e32 v3, v3, v5, vcc
	v_mov_b32_e32 v5, 0x260
	v_cmp_class_f32_e32 vcc, v1, v5
	s_nop 1
	v_cndmask_b32_e32 v8, v3, v1, vcc
	v_add_f32_e32 v1, v8, v8
	v_div_scale_f32 v3, s[2:3], v1, v1, v17
	v_rcp_f32_e32 v5, v3
	s_nop 0
	v_fma_f32 v7, -v3, v5, 1.0
	v_fmac_f32_e32 v5, v7, v5
	v_div_scale_f32 v7, vcc, v17, v1, v17
	v_mul_f32_e32 v9, v7, v5
	v_fma_f32 v11, -v3, v9, v7
	v_fmac_f32_e32 v9, v11, v5
	v_fma_f32 v3, -v3, v9, v7
	v_div_fmas_f32 v3, v3, v5, v9
	v_div_fixup_f32 v9, v3, v1, v17
                                        ; implicit-def: $vgpr1
                                        ; implicit-def: $vgpr16_vgpr17
	s_andn2_saveexec_b64 s[20:21], s[20:21]
	s_cbranch_execz .LBB177_1437
	s_branch .LBB177_1436
.LBB177_1435:
	s_andn2_saveexec_b64 s[20:21], s[20:21]
	s_cbranch_execz .LBB177_1437
.LBB177_1436:
	v_sub_f32_e32 v1, v1, v16
	v_mul_f32_e32 v1, 0.5, v1
	s_mov_b32 s2, 0xf800000
	v_mul_f32_e32 v3, 0x4f800000, v1
	v_cmp_gt_f32_e32 vcc, s2, v1
	s_nop 1
	v_cndmask_b32_e32 v1, v1, v3, vcc
	v_sqrt_f32_e32 v3, v1
	s_nop 0
	v_add_u32_e32 v5, -1, v3
	v_fma_f32 v7, -v5, v3, v1
	v_cmp_ge_f32_e64 s[2:3], 0, v7
	v_add_u32_e32 v7, 1, v3
	s_nop 0
	v_cndmask_b32_e64 v5, v3, v5, s[2:3]
	v_fma_f32 v3, -v7, v3, v1
	v_cmp_lt_f32_e64 s[2:3], 0, v3
	s_nop 1
	v_cndmask_b32_e64 v3, v5, v7, s[2:3]
	v_mul_f32_e32 v5, 0x37800000, v3
	v_cndmask_b32_e32 v3, v3, v5, vcc
	v_mov_b32_e32 v5, 0x260
	v_cmp_class_f32_e32 vcc, v1, v5
	v_and_b32_e32 v5, 0x7fffffff, v17
	s_nop 0
	v_cndmask_b32_e32 v1, v3, v1, vcc
	v_add_f32_e32 v3, v1, v1
	v_div_scale_f32 v7, s[2:3], v3, v3, v5
	v_rcp_f32_e32 v8, v7
	v_div_scale_f32 v5, vcc, v5, v3, v5
	s_brev_b32 s2, -2
	v_fma_f32 v9, -v7, v8, 1.0
	v_fmac_f32_e32 v8, v9, v8
	v_mul_f32_e32 v9, v5, v8
	v_fma_f32 v11, -v7, v9, v5
	v_fmac_f32_e32 v9, v11, v8
	v_fma_f32 v5, -v7, v9, v5
	v_div_fmas_f32 v5, v5, v8, v9
	v_div_fixup_f32 v8, v5, v3, |v17|
	v_bfi_b32 v9, s2, v1, v17
.LBB177_1437:
	s_or_b64 exec, exec, s[20:21]
                                        ; implicit-def: $vgpr17
                                        ; implicit-def: $vgpr1
	s_and_saveexec_b64 s[2:3], s[0:1]
	s_xor_b64 s[0:1], exec, s[2:3]
	s_cbranch_execz .LBB177_1439
; %bb.1438:
	v_pk_mul_f32 v[16:17], v[8:9], 0.5 op_sel_hi:[1,0]
	s_nop 0
	v_cndmask_b32_e64 v1, v8, v16, s[18:19]
	v_cndmask_b32_e64 v17, v9, v17, s[18:19]
                                        ; implicit-def: $vgpr8_vgpr9
	s_andn2_saveexec_b64 s[0:1], s[0:1]
	s_cbranch_execnz .LBB177_1440
	s_branch .LBB177_1441
.LBB177_1439:
	s_andn2_saveexec_b64 s[0:1], s[0:1]
.LBB177_1440:
	v_pk_add_f32 v[16:17], v[8:9], v[8:9]
	s_nop 0
	v_mov_b32_e32 v1, v16
.LBB177_1441:
	s_or_b64 exec, exec, s[0:1]
.LBB177_1442:
	s_andn2_saveexec_b64 s[0:1], s[16:17]
	s_cbranch_execz .LBB177_1448
; %bb.1443:
	v_sub_f32_e32 v3, v17, v17
	v_cmp_lt_i32_e32 vcc, -1, v16
	s_brev_b32 s16, -2
	v_and_b32_e32 v1, 0x7fffffff, v3
	s_and_saveexec_b64 s[2:3], vcc
	s_xor_b64 s[2:3], exec, s[2:3]
; %bb.1444:
	v_bfi_b32 v17, s16, v3, v17
	v_mov_b32_e32 v1, v16
; %bb.1445:
	s_andn2_saveexec_b64 s[2:3], s[2:3]
; %bb.1446:
	v_bfi_b32 v17, s16, v16, v17
; %bb.1447:
	s_or_b64 exec, exec, s[2:3]
.LBB177_1448:
	s_or_b64 exec, exec, s[0:1]
.LBB177_1449:
	s_andn2_saveexec_b64 s[0:1], s[14:15]
	s_cbranch_execz .LBB177_1451
; %bb.1450:
	v_sub_f32_e32 v1, v17, v17
	v_div_scale_f32 v3, vcc, v1, v1, v1
	v_rcp_f32_e32 v5, v3
	s_nop 0
	v_fma_f32 v7, -v3, v5, 1.0
	v_fmac_f32_e32 v5, v7, v5
	v_mul_f32_e32 v7, v3, v5
	v_fma_f32 v8, -v3, v7, v3
	v_fmac_f32_e32 v7, v8, v5
	v_fma_f32 v3, -v3, v7, v3
	v_div_fmas_f32 v3, v3, v5, v7
	v_div_fixup_f32 v17, v3, v1, v1
	v_mov_b32_e32 v1, v16
.LBB177_1451:
	s_or_b64 exec, exec, s[0:1]
.LBB177_1452:
	s_or_b64 exec, exec, s[12:13]
.LBB177_1453:
	s_or_b64 exec, exec, s[10:11]
	v_cmp_gt_f32_e32 vcc, 0, v17
                                        ; implicit-def: $vgpr8_vgpr9
	s_nop 1
	v_cndmask_b32_e64 v5, v17, -v17, vcc
	v_cmp_gt_f32_e32 vcc, 0, v1
	s_nop 1
	v_cndmask_b32_e64 v3, v1, -v1, vcc
	v_cmp_ge_f32_e32 vcc, v3, v5
	s_and_saveexec_b64 s[0:1], vcc
	s_xor_b64 s[2:3], exec, s[0:1]
	s_cbranch_execz .LBB177_1459
; %bb.1454:
	v_cmp_neq_f32_e32 vcc, 0, v1
	v_cmp_neq_f32_e64 s[0:1], 0, v17
	s_or_b64 s[0:1], vcc, s[0:1]
                                        ; implicit-def: $vgpr8_vgpr9
	s_and_saveexec_b64 s[10:11], s[0:1]
	s_xor_b64 s[0:1], exec, s[10:11]
	s_cbranch_execz .LBB177_1456
; %bb.1455:
	v_div_scale_f32 v3, s[10:11], v1, v1, v17
	v_rcp_f32_e32 v5, v3
	v_div_scale_f32 v7, vcc, v17, v1, v17
	v_fma_f32 v8, -v3, v5, 1.0
	v_fmac_f32_e32 v5, v8, v5
	v_mul_f32_e32 v8, v7, v5
	v_fma_f32 v9, -v3, v8, v7
	v_fmac_f32_e32 v8, v9, v5
	v_fma_f32 v3, -v3, v8, v7
	v_div_fmas_f32 v3, v3, v5, v8
	v_div_fixup_f32 v3, v3, v1, v17
	v_fmac_f32_e32 v1, v17, v3
	v_div_scale_f32 v5, s[10:11], v1, v1, 1.0
	v_rcp_f32_e32 v7, v5
	v_sub_f32_e32 v17, 0, v3
	v_fma_f32 v8, -v5, v7, 1.0
	v_fmac_f32_e32 v7, v8, v7
	v_div_scale_f32 v8, vcc, 1.0, v1, 1.0
	v_mul_f32_e32 v9, v8, v7
	v_fma_f32 v11, -v5, v9, v8
	v_fmac_f32_e32 v9, v11, v7
	v_fma_f32 v5, -v5, v9, v8
	v_div_fmas_f32 v5, v5, v7, v9
	v_div_fixup_f32 v8, v5, v1, 1.0
	v_mul_f32_e32 v1, 0, v3
	v_add_f32_e32 v16, 1.0, v1
	v_pk_mul_f32 v[8:9], v[16:17], v[8:9] op_sel_hi:[1,0]
                                        ; implicit-def: $vgpr5
                                        ; implicit-def: $vgpr3
.LBB177_1456:
	s_andn2_saveexec_b64 s[0:1], s[0:1]
	s_cbranch_execz .LBB177_1458
; %bb.1457:
	v_div_scale_f32 v1, s[10:11], v5, v5, 0
	v_rcp_f32_e32 v7, v1
	v_div_scale_f32 v8, vcc, 0, v5, 0
	v_fma_f32 v9, -v1, v7, 1.0
	v_fmac_f32_e32 v7, v9, v7
	v_mul_f32_e32 v9, v8, v7
	v_fma_f32 v11, -v1, v9, v8
	v_fmac_f32_e32 v9, v11, v7
	v_fma_f32 v1, -v1, v9, v8
	v_div_scale_f32 v8, s[10:11], v3, v3, 1.0
	v_rcp_f32_e32 v11, v8
	v_div_fmas_f32 v1, v1, v7, v9
	v_div_fixup_f32 v9, v1, v5, 0
	v_fma_f32 v1, -v8, v11, 1.0
	v_fmac_f32_e32 v11, v1, v11
	v_div_scale_f32 v1, vcc, 1.0, v3, 1.0
	v_mul_f32_e32 v5, v1, v11
	v_fma_f32 v7, -v8, v5, v1
	v_fmac_f32_e32 v5, v7, v11
	v_fma_f32 v1, -v8, v5, v1
	v_div_fmas_f32 v1, v1, v11, v5
	v_div_fixup_f32 v8, v1, v3, 1.0
.LBB177_1458:
	s_or_b64 exec, exec, s[0:1]
                                        ; implicit-def: $vgpr17
                                        ; implicit-def: $vgpr1
.LBB177_1459:
	s_andn2_saveexec_b64 s[0:1], s[2:3]
	s_cbranch_execz .LBB177_1461
; %bb.1460:
	v_div_scale_f32 v3, s[2:3], v17, v17, v1
	v_rcp_f32_e32 v5, v3
	v_div_scale_f32 v7, vcc, v1, v17, v1
	v_fma_f32 v8, -v3, v5, 1.0
	v_fmac_f32_e32 v5, v8, v5
	v_mul_f32_e32 v8, v7, v5
	v_fma_f32 v9, -v3, v8, v7
	v_fmac_f32_e32 v8, v9, v5
	v_fma_f32 v3, -v3, v8, v7
	v_div_fmas_f32 v3, v3, v5, v8
	v_div_fixup_f32 v8, v3, v17, v1
	v_fmac_f32_e32 v17, v1, v8
	v_div_scale_f32 v1, s[2:3], v17, v17, 1.0
	v_rcp_f32_e32 v3, v1
	s_mov_b32 s2, 0
	s_mov_b32 s3, -1.0
	v_fma_f32 v5, -v1, v3, 1.0
	v_fmac_f32_e32 v3, v5, v3
	v_div_scale_f32 v5, vcc, 1.0, v17, 1.0
	v_mul_f32_e32 v7, v5, v3
	v_fma_f32 v9, -v1, v7, v5
	v_fmac_f32_e32 v7, v9, v3
	v_fma_f32 v1, -v1, v7, v5
	v_div_fmas_f32 v1, v1, v3, v7
	v_mul_f32_e32 v9, 0, v8
	v_div_fixup_f32 v16, v1, v17, 1.0
	v_pk_add_f32 v[8:9], v[8:9], s[2:3]
	s_nop 0
	v_pk_mul_f32 v[8:9], v[8:9], v[16:17] op_sel_hi:[1,0]
.LBB177_1461:
	s_or_b64 exec, exec, s[0:1]
	s_lshr_b32 s0, s22, 16
	v_mov_b32_e32 v11, 0
	s_and_b32 s23, s0, 0xff
	s_cmp_lt_i32 s23, 11
	v_lshl_add_u64 v[10:11], s[6:7], 0, v[10:11]
	s_cbranch_scc1 .LBB177_1468
; %bb.1462:
	s_and_b32 s16, 0xffff, s23
	s_cmp_gt_i32 s16, 25
	s_mov_b64 s[2:3], 0
	s_cbranch_scc0 .LBB177_1470
; %bb.1463:
	s_cmp_gt_i32 s16, 28
	s_cbranch_scc0 .LBB177_1471
; %bb.1464:
	s_cmp_gt_i32 s16, 43
	;; [unrolled: 3-line block ×3, first 2 shown]
	s_cbranch_scc0 .LBB177_1474
; %bb.1466:
	s_cmp_eq_u32 s16, 46
	s_mov_b64 s[12:13], 0
	s_cbranch_scc0 .LBB177_1477
; %bb.1467:
	global_load_dword v1, v[10:11], off
	s_mov_b64 s[0:1], 0
	s_mov_b64 s[10:11], -1
	s_waitcnt vmcnt(0)
	v_and_b32_e32 v17, 0xffff0000, v1
	v_lshlrev_b32_e32 v16, 16, v1
	s_branch .LBB177_1478
.LBB177_1468:
	s_mov_b64 s[10:11], 0
                                        ; implicit-def: $vgpr16_vgpr17
	s_cbranch_execnz .LBB177_1543
.LBB177_1469:
	s_andn2_b64 vcc, exec, s[10:11]
	s_cbranch_vccnz .LBB177_1937
	s_branch .LBB177_1590
.LBB177_1470:
	s_mov_b64 s[10:11], 0
	s_mov_b64 s[0:1], 0
                                        ; implicit-def: $vgpr16_vgpr17
	s_cbranch_execnz .LBB177_1509
	s_branch .LBB177_1539
.LBB177_1471:
	s_mov_b64 s[12:13], -1
	s_mov_b64 s[10:11], 0
	s_mov_b64 s[0:1], 0
                                        ; implicit-def: $vgpr16_vgpr17
	s_branch .LBB177_1488
.LBB177_1472:
	s_mov_b64 s[12:13], -1
	s_mov_b64 s[10:11], 0
	s_mov_b64 s[0:1], 0
                                        ; implicit-def: $vgpr16_vgpr17
	s_branch .LBB177_1483
.LBB177_1473:
	s_or_b64 s[8:9], s[24:25], exec
	s_trap 2
	s_cbranch_execz .LBB177_1376
	s_branch .LBB177_1377
.LBB177_1474:
	s_mov_b64 s[12:13], -1
	s_mov_b64 s[10:11], 0
	s_mov_b64 s[0:1], 0
                                        ; implicit-def: $vgpr16_vgpr17
	s_branch .LBB177_1478
.LBB177_1475:
	s_andn2_saveexec_b64 s[14:15], s[14:15]
	s_cbranch_execz .LBB177_1167
.LBB177_1476:
	s_mov_b32 s18, 0x42800000
	v_add_f32_e64 v0, |v4|, s18
	v_and_b32_e32 v0, 0xff, v0
	v_cmp_ne_u32_e32 vcc, 0, v0
	s_andn2_b64 s[12:13], s[12:13], exec
	s_and_b64 s[18:19], vcc, exec
	s_or_b64 s[12:13], s[12:13], s[18:19]
	s_or_b64 exec, exec, s[14:15]
	v_mov_b32_e32 v1, 0
	s_and_saveexec_b64 s[14:15], s[12:13]
	s_cbranch_execnz .LBB177_1168
	s_branch .LBB177_1169
.LBB177_1477:
	s_mov_b64 s[0:1], -1
                                        ; implicit-def: $vgpr16_vgpr17
	s_mov_b64 s[10:11], 0
.LBB177_1478:
	s_and_b64 vcc, exec, s[12:13]
	s_cbranch_vccz .LBB177_1482
; %bb.1479:
	s_cmp_eq_u32 s16, 44
	s_cbranch_scc0 .LBB177_1481
; %bb.1480:
	global_load_ubyte v1, v[10:11], off
	s_movk_i32 s10, 0xff
	v_mov_b32_e32 v3, 0x7f800001
	v_mov_b32_e32 v5, 0x400000
	v_mov_b32_e32 v17, 0
	s_mov_b64 s[0:1], 0
	s_waitcnt vmcnt(0)
	v_lshlrev_b32_e32 v7, 23, v1
	v_cmp_ne_u32_e32 vcc, s10, v1
	s_mov_b64 s[10:11], -1
	s_nop 0
	v_cndmask_b32_e32 v3, v3, v7, vcc
	v_cmp_ne_u32_e32 vcc, 0, v1
	s_nop 1
	v_cndmask_b32_e32 v16, v5, v3, vcc
	s_branch .LBB177_1482
.LBB177_1481:
	s_mov_b64 s[0:1], -1
                                        ; implicit-def: $vgpr16_vgpr17
.LBB177_1482:
	s_mov_b64 s[12:13], 0
.LBB177_1483:
	s_and_b64 vcc, exec, s[12:13]
	s_cbranch_vccz .LBB177_1487
; %bb.1484:
	s_cmp_eq_u32 s16, 29
	s_cbranch_scc0 .LBB177_1486
; %bb.1485:
	global_load_dwordx2 v[16:17], v[10:11], off
	s_mov_b64 s[0:1], 0
	s_mov_b64 s[10:11], -1
	s_mov_b64 s[12:13], 0
	s_waitcnt vmcnt(0)
	v_ffbh_u32_e32 v1, v17
	v_min_u32_e32 v1, 32, v1
	v_lshlrev_b64 v[16:17], v1, v[16:17]
	v_min_u32_e32 v3, 1, v16
	v_or_b32_e32 v3, v17, v3
	v_cvt_f32_u32_e32 v3, v3
	v_sub_u32_e32 v1, 32, v1
	v_mov_b32_e32 v17, 0
	v_ldexp_f32 v16, v3, v1
	s_branch .LBB177_1488
.LBB177_1486:
	s_mov_b64 s[0:1], -1
                                        ; implicit-def: $vgpr16_vgpr17
.LBB177_1487:
	s_mov_b64 s[12:13], 0
.LBB177_1488:
	s_and_b64 vcc, exec, s[12:13]
	s_cbranch_vccz .LBB177_1508
; %bb.1489:
	s_cmp_lt_i32 s16, 27
	s_cbranch_scc1 .LBB177_1492
; %bb.1490:
	s_cmp_gt_i32 s16, 27
	s_cbranch_scc0 .LBB177_1493
; %bb.1491:
	global_load_dword v1, v[10:11], off
	v_mov_b32_e32 v17, 0
	s_mov_b64 s[10:11], 0
	s_waitcnt vmcnt(0)
	v_cvt_f32_u32_e32 v16, v1
	s_branch .LBB177_1494
.LBB177_1492:
	s_mov_b64 s[10:11], -1
                                        ; implicit-def: $vgpr16_vgpr17
	s_branch .LBB177_1497
.LBB177_1493:
	s_mov_b64 s[10:11], -1
                                        ; implicit-def: $vgpr16_vgpr17
.LBB177_1494:
	s_andn2_b64 vcc, exec, s[10:11]
	s_cbranch_vccnz .LBB177_1496
; %bb.1495:
	global_load_ushort v1, v[10:11], off
	v_mov_b32_e32 v17, 0
	s_waitcnt vmcnt(0)
	v_cvt_f32_u32_e32 v16, v1
.LBB177_1496:
	s_mov_b64 s[10:11], 0
.LBB177_1497:
	s_andn2_b64 vcc, exec, s[10:11]
	s_cbranch_vccnz .LBB177_1507
; %bb.1498:
	global_load_ubyte v1, v[10:11], off
	s_movk_i32 s10, 0x7f
	s_waitcnt vmcnt(0)
	v_cmp_lt_i16_e32 vcc, s10, v1
	s_mov_b64 s[10:11], 0
	s_and_saveexec_b64 s[12:13], vcc
	s_xor_b64 s[12:13], exec, s[12:13]
	s_cbranch_execz .LBB177_1502
; %bb.1499:
	s_movk_i32 s10, 0x80
	v_cmp_eq_u16_e32 vcc, s10, v1
	s_mov_b64 s[10:11], -1
	s_and_saveexec_b64 s[14:15], vcc
; %bb.1500:
	s_xor_b64 s[10:11], exec, -1
; %bb.1501:
	s_or_b64 exec, exec, s[14:15]
	s_and_b64 s[10:11], s[10:11], exec
.LBB177_1502:
	s_or_saveexec_b64 s[12:13], s[12:13]
	v_mov_b32_e32 v16, 0x7f800001
	v_mov_b32_e32 v17, 0
	s_xor_b64 exec, exec, s[12:13]
; %bb.1503:
	v_cmp_ne_u16_e32 vcc, 0, v1
	s_andn2_b64 s[10:11], s[10:11], exec
	s_and_b64 s[14:15], vcc, exec
	v_mov_b32_e32 v16, v17
	s_or_b64 s[10:11], s[10:11], s[14:15]
; %bb.1504:
	s_or_b64 exec, exec, s[12:13]
	s_and_saveexec_b64 s[12:13], s[10:11]
	s_cbranch_execz .LBB177_1506
; %bb.1505:
	v_lshlrev_b32_e32 v3, 24, v1
	v_and_b32_e32 v1, 0xffff, v1
	v_and_b32_e32 v5, 7, v1
	v_ffbh_u32_e32 v13, v5
	v_min_u32_e32 v13, 32, v13
	v_subrev_u32_e32 v15, 28, v13
	v_bfe_u32 v7, v1, 3, 4
	v_lshlrev_b32_e32 v1, v15, v1
	v_sub_u32_e32 v13, 29, v13
	v_and_b32_e32 v1, 7, v1
	v_cmp_eq_u32_e32 vcc, 0, v7
	v_and_b32_e32 v3, 0x80000000, v3
	v_mov_b32_e32 v17, 0
	v_cndmask_b32_e32 v7, v7, v13, vcc
	v_cndmask_b32_e32 v1, v5, v1, vcc
	v_mov_b32_e32 v5, 0x3b800000
	v_lshlrev_b32_e32 v1, 20, v1
	v_lshl_add_u32 v5, v7, 23, v5
	v_or3_b32 v16, v3, v5, v1
.LBB177_1506:
	s_or_b64 exec, exec, s[12:13]
.LBB177_1507:
	s_mov_b64 s[10:11], -1
.LBB177_1508:
	s_branch .LBB177_1539
.LBB177_1509:
	s_cmp_gt_i32 s16, 22
	s_cbranch_scc0 .LBB177_1521
; %bb.1510:
	s_cmp_lt_i32 s16, 24
	s_cbranch_scc1 .LBB177_1522
; %bb.1511:
	s_cmp_gt_i32 s16, 24
	s_cbranch_scc0 .LBB177_1523
; %bb.1512:
	global_load_ubyte v1, v[10:11], off
	s_movk_i32 s2, 0x7f
	s_waitcnt vmcnt(0)
	v_cmp_lt_i16_e32 vcc, s2, v1
	s_mov_b64 s[2:3], 0
	s_and_saveexec_b64 s[10:11], vcc
	s_xor_b64 s[10:11], exec, s[10:11]
	s_cbranch_execz .LBB177_1516
; %bb.1513:
	s_movk_i32 s2, 0x80
	v_cmp_eq_u16_e32 vcc, s2, v1
	s_mov_b64 s[2:3], -1
	s_and_saveexec_b64 s[12:13], vcc
; %bb.1514:
	s_xor_b64 s[2:3], exec, -1
; %bb.1515:
	s_or_b64 exec, exec, s[12:13]
	s_and_b64 s[2:3], s[2:3], exec
.LBB177_1516:
	s_or_saveexec_b64 s[10:11], s[10:11]
	v_mov_b32_e32 v16, 0x7f800001
	v_mov_b32_e32 v17, 0
	s_xor_b64 exec, exec, s[10:11]
; %bb.1517:
	v_cmp_ne_u16_e32 vcc, 0, v1
	s_andn2_b64 s[2:3], s[2:3], exec
	s_and_b64 s[12:13], vcc, exec
	v_mov_b32_e32 v16, v17
	s_or_b64 s[2:3], s[2:3], s[12:13]
; %bb.1518:
	s_or_b64 exec, exec, s[10:11]
	s_and_saveexec_b64 s[10:11], s[2:3]
	s_cbranch_execz .LBB177_1520
; %bb.1519:
	v_lshlrev_b32_e32 v3, 24, v1
	v_and_b32_e32 v1, 0xffff, v1
	v_and_b32_e32 v5, 3, v1
	v_ffbh_u32_e32 v13, v5
	v_min_u32_e32 v13, 32, v13
	v_subrev_u32_e32 v15, 29, v13
	v_bfe_u32 v7, v1, 2, 5
	v_lshlrev_b32_e32 v1, v15, v1
	v_sub_u32_e32 v13, 30, v13
	v_and_b32_e32 v1, 3, v1
	v_cmp_eq_u32_e32 vcc, 0, v7
	v_and_b32_e32 v3, 0x80000000, v3
	v_mov_b32_e32 v17, 0
	v_cndmask_b32_e32 v7, v7, v13, vcc
	v_cndmask_b32_e32 v1, v5, v1, vcc
	v_mov_b32_e32 v5, 0x37800000
	v_lshlrev_b32_e32 v1, 21, v1
	v_lshl_add_u32 v5, v7, 23, v5
	v_or3_b32 v16, v3, v5, v1
.LBB177_1520:
	s_or_b64 exec, exec, s[10:11]
	s_mov_b64 s[2:3], 0
	s_branch .LBB177_1524
.LBB177_1521:
	s_mov_b64 s[2:3], -1
                                        ; implicit-def: $vgpr16_vgpr17
	s_branch .LBB177_1530
.LBB177_1522:
	s_mov_b64 s[2:3], -1
                                        ; implicit-def: $vgpr16_vgpr17
	s_branch .LBB177_1527
.LBB177_1523:
	s_mov_b64 s[2:3], -1
                                        ; implicit-def: $vgpr16_vgpr17
.LBB177_1524:
	s_and_b64 vcc, exec, s[2:3]
	s_cbranch_vccz .LBB177_1526
; %bb.1525:
	global_load_ubyte v1, v[10:11], off
	s_mov_b32 s2, 0x7f800000
	s_brev_b32 s3, 1
	v_mov_b32_e32 v17, 0
	s_waitcnt vmcnt(0)
	v_lshlrev_b32_e32 v1, 24, v1
	v_and_b32_e32 v3, 0x7f000000, v1
	v_ffbh_u32_e32 v5, v3
	v_min_u32_e32 v5, 32, v5
	v_sub_u32_e64 v5, v5, 4 clamp
	v_lshlrev_b32_e32 v13, v5, v3
	v_lshlrev_b32_e32 v5, 23, v5
	v_lshrrev_b32_e32 v13, 4, v13
	v_add_u32_e32 v7, 0x1000000, v3
	v_sub_u32_e32 v5, v13, v5
	v_ashrrev_i32_e32 v7, 8, v7
	v_add_u32_e32 v5, 0x3c000000, v5
	v_and_or_b32 v5, v7, s2, v5
	v_cmp_ne_u32_e32 vcc, 0, v3
	s_nop 1
	v_cndmask_b32_e32 v3, 0, v5, vcc
	v_and_or_b32 v16, v1, s3, v3
.LBB177_1526:
	s_mov_b64 s[2:3], 0
.LBB177_1527:
	s_andn2_b64 vcc, exec, s[2:3]
	s_cbranch_vccnz .LBB177_1529
; %bb.1528:
	global_load_ubyte v1, v[10:11], off
	s_movk_i32 s2, 0x7f00
	s_brev_b32 s3, 16
	s_brev_b32 s10, 1
	v_mov_b32_e32 v17, 0
	s_waitcnt vmcnt(0)
	v_lshlrev_b16_e32 v3, 8, v1
	v_lshlrev_b32_e32 v1, 25, v1
	v_lshrrev_b32_e32 v5, 4, v1
	v_and_or_b32 v7, v3, s2, 0.5
	v_or_b32_e32 v5, 0x70000000, v5
	v_add_f32_e32 v7, -0.5, v7
	v_mul_f32_e32 v5, 0x7800000, v5
	v_cmp_gt_u32_e32 vcc, s3, v1
	v_bfe_i32 v3, v3, 0, 16
	s_nop 0
	v_cndmask_b32_e32 v1, v5, v7, vcc
	v_and_or_b32 v16, v3, s10, v1
.LBB177_1529:
	s_mov_b64 s[2:3], 0
	s_mov_b64 s[10:11], -1
.LBB177_1530:
	s_andn2_b64 vcc, exec, s[2:3]
	s_mov_b64 s[2:3], 0
	s_cbranch_vccnz .LBB177_1539
; %bb.1531:
	s_cmp_gt_i32 s16, 14
	s_cbranch_scc0 .LBB177_1534
; %bb.1532:
	s_cmp_eq_u32 s16, 15
	s_cbranch_scc0 .LBB177_1535
; %bb.1533:
	global_load_ushort v1, v[10:11], off
	v_mov_b32_e32 v17, 0
	s_mov_b64 s[0:1], 0
	s_mov_b64 s[10:11], -1
	s_waitcnt vmcnt(0)
	v_lshlrev_b32_e32 v16, 16, v1
	s_branch .LBB177_1536
.LBB177_1534:
	s_mov_b64 s[12:13], -1
                                        ; implicit-def: $vgpr16_vgpr17
	s_branch .LBB177_1537
.LBB177_1535:
	s_mov_b64 s[0:1], -1
                                        ; implicit-def: $vgpr16_vgpr17
.LBB177_1536:
	s_mov_b64 s[12:13], 0
.LBB177_1537:
	s_and_b64 vcc, exec, s[12:13]
	s_cbranch_vccz .LBB177_1539
; %bb.1538:
	s_cmp_lg_u32 s16, 11
	s_mov_b64 s[2:3], -1
	s_cselect_b64 s[0:1], -1, 0
.LBB177_1539:
	s_and_b64 vcc, exec, s[0:1]
	s_cbranch_vccnz .LBB177_1640
; %bb.1540:
	s_andn2_b64 vcc, exec, s[2:3]
	s_cbranch_vccnz .LBB177_1542
.LBB177_1541:
	global_load_ubyte v1, v[10:11], off
	v_mov_b32_e32 v17, 0
	s_mov_b64 s[10:11], -1
	s_waitcnt vmcnt(0)
	v_cmp_ne_u16_e32 vcc, 0, v1
	s_nop 1
	v_cndmask_b32_e64 v16, 0, 1.0, vcc
.LBB177_1542:
	s_branch .LBB177_1469
.LBB177_1543:
	s_and_b32 s2, 0xffff, s23
	s_cmp_lt_i32 s2, 5
	s_cbranch_scc1 .LBB177_1548
; %bb.1544:
	s_cmp_lt_i32 s2, 8
	s_cbranch_scc1 .LBB177_1549
; %bb.1545:
	;; [unrolled: 3-line block ×3, first 2 shown]
	s_cmp_gt_i32 s2, 9
	s_cbranch_scc0 .LBB177_1551
; %bb.1547:
	global_load_dwordx4 v[18:21], v[10:11], off
	s_mov_b64 s[0:1], 0
	s_waitcnt vmcnt(0)
	v_cvt_f32_f64_e32 v17, v[20:21]
	v_cvt_f32_f64_e32 v16, v[18:19]
	s_branch .LBB177_1552
.LBB177_1548:
                                        ; implicit-def: $vgpr16_vgpr17
	s_branch .LBB177_1570
.LBB177_1549:
	s_mov_b64 s[0:1], -1
                                        ; implicit-def: $vgpr16_vgpr17
	s_branch .LBB177_1558
.LBB177_1550:
	s_mov_b64 s[0:1], -1
                                        ; implicit-def: $vgpr16_vgpr17
	s_branch .LBB177_1555
.LBB177_1551:
	s_mov_b64 s[0:1], -1
                                        ; implicit-def: $vgpr16_vgpr17
.LBB177_1552:
	s_andn2_b64 vcc, exec, s[0:1]
	s_cbranch_vccnz .LBB177_1554
; %bb.1553:
	global_load_dwordx2 v[16:17], v[10:11], off
.LBB177_1554:
	s_mov_b64 s[0:1], 0
.LBB177_1555:
	s_andn2_b64 vcc, exec, s[0:1]
	s_cbranch_vccnz .LBB177_1557
; %bb.1556:
	global_load_dword v1, v[10:11], off
	s_waitcnt vmcnt(0)
	v_cvt_f32_f16_sdwa v17, v1 dst_sel:DWORD dst_unused:UNUSED_PAD src0_sel:WORD_1
	v_cvt_f32_f16_e32 v16, v1
.LBB177_1557:
	s_mov_b64 s[0:1], 0
.LBB177_1558:
	s_andn2_b64 vcc, exec, s[0:1]
	s_cbranch_vccnz .LBB177_1569
; %bb.1559:
	s_cmp_lt_i32 s2, 6
	s_cbranch_scc1 .LBB177_1562
; %bb.1560:
	s_cmp_gt_i32 s2, 6
	s_cbranch_scc0 .LBB177_1563
; %bb.1561:
	global_load_dwordx2 v[18:19], v[10:11], off
	s_waitcnt vmcnt(1)
	v_mov_b32_e32 v17, 0
	s_mov_b64 s[0:1], 0
	s_waitcnt vmcnt(0)
	v_cvt_f32_f64_e32 v16, v[18:19]
	s_branch .LBB177_1564
.LBB177_1562:
	s_mov_b64 s[0:1], -1
                                        ; implicit-def: $vgpr16_vgpr17
	s_branch .LBB177_1567
.LBB177_1563:
	s_mov_b64 s[0:1], -1
                                        ; implicit-def: $vgpr16_vgpr17
.LBB177_1564:
	s_andn2_b64 vcc, exec, s[0:1]
	s_cbranch_vccnz .LBB177_1566
; %bb.1565:
	global_load_dword v16, v[10:11], off
	s_waitcnt vmcnt(1)
	v_mov_b32_e32 v17, 0
.LBB177_1566:
	s_mov_b64 s[0:1], 0
.LBB177_1567:
	s_andn2_b64 vcc, exec, s[0:1]
	s_cbranch_vccnz .LBB177_1569
; %bb.1568:
	global_load_ushort v1, v[10:11], off
	s_waitcnt vmcnt(1)
	v_mov_b32_e32 v17, 0
	s_waitcnt vmcnt(0)
	v_cvt_f32_f16_e32 v16, v1
.LBB177_1569:
	s_cbranch_execnz .LBB177_1589
.LBB177_1570:
	s_cmp_lt_i32 s2, 2
	s_cbranch_scc1 .LBB177_1574
; %bb.1571:
	s_cmp_lt_i32 s2, 3
	s_cbranch_scc1 .LBB177_1575
; %bb.1572:
	s_cmp_gt_i32 s2, 3
	s_cbranch_scc0 .LBB177_1576
; %bb.1573:
	global_load_dwordx2 v[16:17], v[10:11], off
	s_mov_b64 s[0:1], 0
	s_waitcnt vmcnt(0)
	v_xor_b32_e32 v3, v16, v17
	v_ffbh_i32_e32 v1, v17
	v_ashrrev_i32_e32 v3, 31, v3
	v_add_u32_e32 v1, -1, v1
	v_add_u32_e32 v3, 32, v3
	v_min_u32_e32 v1, v1, v3
	v_lshlrev_b64 v[16:17], v1, v[16:17]
	v_min_u32_e32 v3, 1, v16
	v_or_b32_e32 v3, v17, v3
	v_cvt_f32_i32_e32 v3, v3
	v_sub_u32_e32 v1, 32, v1
	v_mov_b32_e32 v17, 0
	v_ldexp_f32 v16, v3, v1
	s_branch .LBB177_1577
.LBB177_1574:
	s_mov_b64 s[0:1], -1
                                        ; implicit-def: $vgpr16_vgpr17
	s_branch .LBB177_1583
.LBB177_1575:
	s_mov_b64 s[0:1], -1
                                        ; implicit-def: $vgpr16_vgpr17
	s_branch .LBB177_1580
.LBB177_1576:
	s_mov_b64 s[0:1], -1
                                        ; implicit-def: $vgpr16_vgpr17
.LBB177_1577:
	s_andn2_b64 vcc, exec, s[0:1]
	s_cbranch_vccnz .LBB177_1579
; %bb.1578:
	global_load_dword v1, v[10:11], off
	s_waitcnt vmcnt(1)
	v_mov_b32_e32 v17, 0
	s_waitcnt vmcnt(0)
	v_cvt_f32_i32_e32 v16, v1
.LBB177_1579:
	s_mov_b64 s[0:1], 0
.LBB177_1580:
	s_andn2_b64 vcc, exec, s[0:1]
	s_cbranch_vccnz .LBB177_1582
; %bb.1581:
	global_load_sshort v1, v[10:11], off
	s_waitcnt vmcnt(1)
	v_mov_b32_e32 v17, 0
	s_waitcnt vmcnt(0)
	v_cvt_f32_i32_e32 v16, v1
.LBB177_1582:
	s_mov_b64 s[0:1], 0
.LBB177_1583:
	s_andn2_b64 vcc, exec, s[0:1]
	s_cbranch_vccnz .LBB177_1589
; %bb.1584:
	s_cmp_gt_i32 s2, 0
	s_cbranch_scc0 .LBB177_1586
; %bb.1585:
	global_load_sbyte v1, v[10:11], off
	s_waitcnt vmcnt(1)
	v_mov_b32_e32 v17, 0
	s_mov_b64 s[0:1], 0
	s_waitcnt vmcnt(0)
	v_cvt_f32_i32_e32 v16, v1
	s_branch .LBB177_1587
.LBB177_1586:
	s_mov_b64 s[0:1], -1
                                        ; implicit-def: $vgpr16_vgpr17
.LBB177_1587:
	s_andn2_b64 vcc, exec, s[0:1]
	s_cbranch_vccnz .LBB177_1589
; %bb.1588:
	global_load_ubyte v1, v[10:11], off
	s_waitcnt vmcnt(1)
	v_mov_b32_e32 v17, 0
	s_waitcnt vmcnt(0)
	v_cvt_f32_ubyte0_e32 v16, v1
.LBB177_1589:
.LBB177_1590:
	s_waitcnt vmcnt(0)
	v_cmp_neq_f32_e32 vcc, 0, v16
	v_cmp_neq_f32_e64 s[0:1], 0, v17
	v_mov_b32_e32 v1, 0
	s_or_b64 s[0:1], vcc, s[0:1]
	s_and_saveexec_b64 s[10:11], s[0:1]
	s_cbranch_execz .LBB177_1620
; %bb.1591:
	v_mov_b32_e32 v1, 0x7f800000
	v_cmp_neq_f32_e64 s[0:1], |v17|, v1
	s_and_saveexec_b64 s[12:13], s[0:1]
	s_cbranch_execz .LBB177_1619
; %bb.1592:
	v_cmp_o_f32_e32 vcc, v16, v16
                                        ; implicit-def: $vgpr1
	s_and_saveexec_b64 s[0:1], vcc
	s_xor_b64 s[14:15], exec, s[0:1]
	s_cbranch_execz .LBB177_1616
; %bb.1593:
	s_mov_b32 s0, 0x7f800000
	v_cmp_neq_f32_e64 s[0:1], |v16|, s0
                                        ; implicit-def: $vgpr1
	s_and_saveexec_b64 s[2:3], s[0:1]
	s_xor_b64 s[16:17], exec, s[2:3]
	s_cbranch_execz .LBB177_1609
; %bb.1594:
	v_max_f32_e64 v1, |v17|, |v17|
	v_max_f32_e64 v3, |v16|, |v16|
	v_max_f32_e32 v1, v3, v1
	s_mov_b32 s0, 0x7ed413cb
	v_cmp_nle_f32_e64 s[0:1], s0, v1
                                        ; implicit-def: $sgpr18_sgpr19
	s_and_saveexec_b64 s[2:3], s[0:1]
	s_xor_b64 s[2:3], exec, s[2:3]
	s_cbranch_execz .LBB177_1598
; %bb.1595:
	s_mov_b32 s20, 0x1000000
	v_cmp_le_f32_e64 s[18:19], |v16|, s20
	v_cmp_le_f32_e64 s[20:21], |v17|, s20
	s_and_b64 s[28:29], s[18:19], s[20:21]
	s_mov_b64 s[18:19], 0
	s_and_saveexec_b64 s[20:21], s[28:29]
; %bb.1596:
	s_mov_b64 s[18:19], exec
	v_pk_mul_f32 v[16:17], v[16:17], 4.0 op_sel_hi:[1,0]
; %bb.1597:
	s_or_b64 exec, exec, s[20:21]
.LBB177_1598:
	s_andn2_saveexec_b64 s[2:3], s[2:3]
; %bb.1599:
	s_mov_b32 s20, 0x3e800000
	v_pk_mul_f32 v[16:17], v[16:17], s[20:21] op_sel_hi:[1,0]
	s_andn2_b64 s[18:19], s[18:19], exec
; %bb.1600:
	s_or_b64 exec, exec, s[2:3]
	v_max_f32_e64 v1, |v17|, |v17|
	v_max_f32_e64 v3, |v16|, |v16|
	v_max_f32_e32 v1, v3, v1
	v_cvt_f64_f32_e32 v[10:11], v1
	v_frexp_exp_i32_f64_e32 v3, v[10:11]
	v_sub_u32_e32 v5, 0, v3
	v_ldexp_f32 v7, |v16|, v5
	v_ldexp_f32 v5, |v17|, v5
	v_mul_f32_e32 v5, v5, v5
	v_fmac_f32_e32 v5, v7, v7
	v_sqrt_f32_e32 v5, v5
	s_mov_b32 s2, 0x7f800000
	v_cmp_neq_f32_e64 s[2:3], s2, v1
	v_cmp_le_f32_e32 vcc, 0, v16
	v_ldexp_f32 v3, v5, v3
	v_mov_b32_e32 v5, 0x7f800000
	v_cndmask_b32_e64 v1, v5, v3, s[2:3]
                                        ; implicit-def: $vgpr10_vgpr11
	s_and_saveexec_b64 s[2:3], vcc
	s_xor_b64 s[20:21], exec, s[2:3]
	s_cbranch_execz .LBB177_1602
; %bb.1601:
	v_add_f32_e32 v1, v16, v1
	v_mul_f32_e32 v1, 0.5, v1
	s_mov_b32 s2, 0xf800000
	v_mul_f32_e32 v3, 0x4f800000, v1
	v_cmp_gt_f32_e32 vcc, s2, v1
	s_nop 1
	v_cndmask_b32_e32 v1, v1, v3, vcc
	v_sqrt_f32_e32 v3, v1
	s_nop 0
	v_add_u32_e32 v5, -1, v3
	v_fma_f32 v7, -v5, v3, v1
	v_cmp_ge_f32_e64 s[2:3], 0, v7
	v_add_u32_e32 v7, 1, v3
	s_nop 0
	v_cndmask_b32_e64 v5, v3, v5, s[2:3]
	v_fma_f32 v3, -v7, v3, v1
	v_cmp_lt_f32_e64 s[2:3], 0, v3
	s_nop 1
	v_cndmask_b32_e64 v3, v5, v7, s[2:3]
	v_mul_f32_e32 v5, 0x37800000, v3
	v_cndmask_b32_e32 v3, v3, v5, vcc
	v_mov_b32_e32 v5, 0x260
	v_cmp_class_f32_e32 vcc, v1, v5
	s_nop 1
	v_cndmask_b32_e32 v10, v3, v1, vcc
	v_add_f32_e32 v1, v10, v10
	v_div_scale_f32 v3, s[2:3], v1, v1, v17
	v_rcp_f32_e32 v5, v3
	s_nop 0
	v_fma_f32 v7, -v3, v5, 1.0
	v_fmac_f32_e32 v5, v7, v5
	v_div_scale_f32 v7, vcc, v17, v1, v17
	v_mul_f32_e32 v11, v7, v5
	v_fma_f32 v13, -v3, v11, v7
	v_fmac_f32_e32 v11, v13, v5
	v_fma_f32 v3, -v3, v11, v7
	v_div_fmas_f32 v3, v3, v5, v11
	v_div_fixup_f32 v11, v3, v1, v17
                                        ; implicit-def: $vgpr1
                                        ; implicit-def: $vgpr16_vgpr17
	s_andn2_saveexec_b64 s[20:21], s[20:21]
	s_cbranch_execz .LBB177_1604
	s_branch .LBB177_1603
.LBB177_1602:
	s_andn2_saveexec_b64 s[20:21], s[20:21]
	s_cbranch_execz .LBB177_1604
.LBB177_1603:
	v_sub_f32_e32 v1, v1, v16
	v_mul_f32_e32 v1, 0.5, v1
	s_mov_b32 s2, 0xf800000
	v_mul_f32_e32 v3, 0x4f800000, v1
	v_cmp_gt_f32_e32 vcc, s2, v1
	s_nop 1
	v_cndmask_b32_e32 v1, v1, v3, vcc
	v_sqrt_f32_e32 v3, v1
	s_nop 0
	v_add_u32_e32 v5, -1, v3
	v_fma_f32 v7, -v5, v3, v1
	v_cmp_ge_f32_e64 s[2:3], 0, v7
	v_add_u32_e32 v7, 1, v3
	s_nop 0
	v_cndmask_b32_e64 v5, v3, v5, s[2:3]
	v_fma_f32 v3, -v7, v3, v1
	v_cmp_lt_f32_e64 s[2:3], 0, v3
	s_nop 1
	v_cndmask_b32_e64 v3, v5, v7, s[2:3]
	v_mul_f32_e32 v5, 0x37800000, v3
	v_cndmask_b32_e32 v3, v3, v5, vcc
	v_mov_b32_e32 v5, 0x260
	v_cmp_class_f32_e32 vcc, v1, v5
	v_and_b32_e32 v5, 0x7fffffff, v17
	s_nop 0
	v_cndmask_b32_e32 v1, v3, v1, vcc
	v_add_f32_e32 v3, v1, v1
	v_div_scale_f32 v7, s[2:3], v3, v3, v5
	v_rcp_f32_e32 v10, v7
	v_div_scale_f32 v5, vcc, v5, v3, v5
	s_brev_b32 s2, -2
	v_fma_f32 v11, -v7, v10, 1.0
	v_fmac_f32_e32 v10, v11, v10
	v_mul_f32_e32 v11, v5, v10
	v_fma_f32 v13, -v7, v11, v5
	v_fmac_f32_e32 v11, v13, v10
	v_fma_f32 v5, -v7, v11, v5
	v_div_fmas_f32 v5, v5, v10, v11
	v_div_fixup_f32 v10, v5, v3, |v17|
	v_bfi_b32 v11, s2, v1, v17
.LBB177_1604:
	s_or_b64 exec, exec, s[20:21]
                                        ; implicit-def: $vgpr17
                                        ; implicit-def: $vgpr1
	s_and_saveexec_b64 s[2:3], s[0:1]
	s_xor_b64 s[0:1], exec, s[2:3]
	s_cbranch_execz .LBB177_1606
; %bb.1605:
	v_pk_mul_f32 v[16:17], v[10:11], 0.5 op_sel_hi:[1,0]
	s_nop 0
	v_cndmask_b32_e64 v1, v10, v16, s[18:19]
	v_cndmask_b32_e64 v17, v11, v17, s[18:19]
                                        ; implicit-def: $vgpr10_vgpr11
	s_andn2_saveexec_b64 s[0:1], s[0:1]
	s_cbranch_execnz .LBB177_1607
	s_branch .LBB177_1608
.LBB177_1606:
	s_andn2_saveexec_b64 s[0:1], s[0:1]
.LBB177_1607:
	v_pk_add_f32 v[16:17], v[10:11], v[10:11]
	s_nop 0
	v_mov_b32_e32 v1, v16
.LBB177_1608:
	s_or_b64 exec, exec, s[0:1]
.LBB177_1609:
	s_andn2_saveexec_b64 s[0:1], s[16:17]
	s_cbranch_execz .LBB177_1615
; %bb.1610:
	v_sub_f32_e32 v3, v17, v17
	v_cmp_lt_i32_e32 vcc, -1, v16
	s_brev_b32 s16, -2
	v_and_b32_e32 v1, 0x7fffffff, v3
	s_and_saveexec_b64 s[2:3], vcc
	s_xor_b64 s[2:3], exec, s[2:3]
; %bb.1611:
	v_bfi_b32 v17, s16, v3, v17
	v_mov_b32_e32 v1, v16
; %bb.1612:
	s_andn2_saveexec_b64 s[2:3], s[2:3]
; %bb.1613:
	v_bfi_b32 v17, s16, v16, v17
; %bb.1614:
	s_or_b64 exec, exec, s[2:3]
.LBB177_1615:
	s_or_b64 exec, exec, s[0:1]
.LBB177_1616:
	s_andn2_saveexec_b64 s[0:1], s[14:15]
	s_cbranch_execz .LBB177_1618
; %bb.1617:
	v_sub_f32_e32 v1, v17, v17
	v_div_scale_f32 v3, vcc, v1, v1, v1
	v_rcp_f32_e32 v5, v3
	s_nop 0
	v_fma_f32 v7, -v3, v5, 1.0
	v_fmac_f32_e32 v5, v7, v5
	v_mul_f32_e32 v7, v3, v5
	v_fma_f32 v10, -v3, v7, v3
	v_fmac_f32_e32 v7, v10, v5
	v_fma_f32 v3, -v3, v7, v3
	v_div_fmas_f32 v3, v3, v5, v7
	v_div_fixup_f32 v17, v3, v1, v1
	v_mov_b32_e32 v1, v16
.LBB177_1618:
	s_or_b64 exec, exec, s[0:1]
.LBB177_1619:
	s_or_b64 exec, exec, s[12:13]
.LBB177_1620:
	s_or_b64 exec, exec, s[10:11]
	v_cmp_gt_f32_e32 vcc, 0, v17
                                        ; implicit-def: $vgpr10_vgpr11
	s_nop 1
	v_cndmask_b32_e64 v5, v17, -v17, vcc
	v_cmp_gt_f32_e32 vcc, 0, v1
	s_nop 1
	v_cndmask_b32_e64 v3, v1, -v1, vcc
	v_cmp_ge_f32_e32 vcc, v3, v5
	s_and_saveexec_b64 s[0:1], vcc
	s_xor_b64 s[2:3], exec, s[0:1]
	s_cbranch_execz .LBB177_1626
; %bb.1621:
	v_cmp_neq_f32_e32 vcc, 0, v1
	v_cmp_neq_f32_e64 s[0:1], 0, v17
	s_or_b64 s[0:1], vcc, s[0:1]
                                        ; implicit-def: $vgpr10_vgpr11
	s_and_saveexec_b64 s[10:11], s[0:1]
	s_xor_b64 s[0:1], exec, s[10:11]
	s_cbranch_execz .LBB177_1623
; %bb.1622:
	v_div_scale_f32 v3, s[10:11], v1, v1, v17
	v_rcp_f32_e32 v5, v3
	v_div_scale_f32 v7, vcc, v17, v1, v17
	v_fma_f32 v10, -v3, v5, 1.0
	v_fmac_f32_e32 v5, v10, v5
	v_mul_f32_e32 v10, v7, v5
	v_fma_f32 v11, -v3, v10, v7
	v_fmac_f32_e32 v10, v11, v5
	v_fma_f32 v3, -v3, v10, v7
	v_div_fmas_f32 v3, v3, v5, v10
	v_div_fixup_f32 v3, v3, v1, v17
	v_fmac_f32_e32 v1, v17, v3
	v_div_scale_f32 v5, s[10:11], v1, v1, 1.0
	v_rcp_f32_e32 v7, v5
	v_sub_f32_e32 v17, 0, v3
	v_fma_f32 v10, -v5, v7, 1.0
	v_fmac_f32_e32 v7, v10, v7
	v_div_scale_f32 v10, vcc, 1.0, v1, 1.0
	v_mul_f32_e32 v11, v10, v7
	v_fma_f32 v13, -v5, v11, v10
	v_fmac_f32_e32 v11, v13, v7
	v_fma_f32 v5, -v5, v11, v10
	v_div_fmas_f32 v5, v5, v7, v11
	v_div_fixup_f32 v10, v5, v1, 1.0
	v_mul_f32_e32 v1, 0, v3
	v_add_f32_e32 v16, 1.0, v1
	v_pk_mul_f32 v[10:11], v[16:17], v[10:11] op_sel_hi:[1,0]
                                        ; implicit-def: $vgpr5
                                        ; implicit-def: $vgpr3
.LBB177_1623:
	s_andn2_saveexec_b64 s[0:1], s[0:1]
	s_cbranch_execz .LBB177_1625
; %bb.1624:
	v_div_scale_f32 v1, s[10:11], v5, v5, 0
	v_rcp_f32_e32 v7, v1
	v_div_scale_f32 v10, vcc, 0, v5, 0
	v_fma_f32 v11, -v1, v7, 1.0
	v_fmac_f32_e32 v7, v11, v7
	v_mul_f32_e32 v11, v10, v7
	v_fma_f32 v13, -v1, v11, v10
	v_fmac_f32_e32 v11, v13, v7
	v_fma_f32 v1, -v1, v11, v10
	v_div_scale_f32 v10, s[10:11], v3, v3, 1.0
	v_rcp_f32_e32 v13, v10
	v_div_fmas_f32 v1, v1, v7, v11
	v_div_fixup_f32 v11, v1, v5, 0
	v_fma_f32 v1, -v10, v13, 1.0
	v_fmac_f32_e32 v13, v1, v13
	v_div_scale_f32 v1, vcc, 1.0, v3, 1.0
	v_mul_f32_e32 v5, v1, v13
	v_fma_f32 v7, -v10, v5, v1
	v_fmac_f32_e32 v5, v7, v13
	v_fma_f32 v1, -v10, v5, v1
	v_div_fmas_f32 v1, v1, v13, v5
	v_div_fixup_f32 v10, v1, v3, 1.0
.LBB177_1625:
	s_or_b64 exec, exec, s[0:1]
                                        ; implicit-def: $vgpr17
                                        ; implicit-def: $vgpr1
.LBB177_1626:
	s_andn2_saveexec_b64 s[0:1], s[2:3]
	s_cbranch_execz .LBB177_1628
; %bb.1627:
	v_div_scale_f32 v3, s[2:3], v17, v17, v1
	v_rcp_f32_e32 v5, v3
	v_div_scale_f32 v7, vcc, v1, v17, v1
	v_fma_f32 v10, -v3, v5, 1.0
	v_fmac_f32_e32 v5, v10, v5
	v_mul_f32_e32 v10, v7, v5
	v_fma_f32 v11, -v3, v10, v7
	v_fmac_f32_e32 v10, v11, v5
	v_fma_f32 v3, -v3, v10, v7
	v_div_fmas_f32 v3, v3, v5, v10
	v_div_fixup_f32 v10, v3, v17, v1
	v_fmac_f32_e32 v17, v1, v10
	v_div_scale_f32 v1, s[2:3], v17, v17, 1.0
	v_rcp_f32_e32 v3, v1
	s_mov_b32 s2, 0
	s_mov_b32 s3, -1.0
	v_fma_f32 v5, -v1, v3, 1.0
	v_fmac_f32_e32 v3, v5, v3
	v_div_scale_f32 v5, vcc, 1.0, v17, 1.0
	v_mul_f32_e32 v7, v5, v3
	v_fma_f32 v11, -v1, v7, v5
	v_fmac_f32_e32 v7, v11, v3
	v_fma_f32 v1, -v1, v7, v5
	v_div_fmas_f32 v1, v1, v3, v7
	v_mul_f32_e32 v11, 0, v10
	v_div_fixup_f32 v16, v1, v17, 1.0
	v_pk_add_f32 v[10:11], v[10:11], s[2:3]
	s_nop 0
	v_pk_mul_f32 v[10:11], v[10:11], v[16:17] op_sel_hi:[1,0]
.LBB177_1628:
	s_or_b64 exec, exec, s[0:1]
	v_mov_b32_e32 v15, 0
	s_cmp_lt_i32 s23, 11
	v_lshl_add_u64 v[14:15], s[6:7], 0, v[14:15]
	s_cbranch_scc1 .LBB177_1635
; %bb.1629:
	s_and_b32 s16, 0xffff, s23
	s_cmp_gt_i32 s16, 25
	s_mov_b64 s[2:3], 0
	s_cbranch_scc0 .LBB177_1637
; %bb.1630:
	s_cmp_gt_i32 s16, 28
	s_cbranch_scc0 .LBB177_1638
; %bb.1631:
	s_cmp_gt_i32 s16, 43
	;; [unrolled: 3-line block ×3, first 2 shown]
	s_cbranch_scc0 .LBB177_1641
; %bb.1633:
	s_cmp_eq_u32 s16, 46
	s_mov_b64 s[12:13], 0
	s_cbranch_scc0 .LBB177_1642
; %bb.1634:
	global_load_dword v1, v[14:15], off
	s_mov_b64 s[0:1], 0
	s_mov_b64 s[10:11], -1
	s_waitcnt vmcnt(0)
	v_and_b32_e32 v17, 0xffff0000, v1
	v_lshlrev_b32_e32 v16, 16, v1
	s_branch .LBB177_1643
.LBB177_1635:
	s_mov_b64 s[10:11], 0
                                        ; implicit-def: $vgpr16_vgpr17
	s_cbranch_execnz .LBB177_1709
.LBB177_1636:
	s_andn2_b64 vcc, exec, s[10:11]
	s_cbranch_vccnz .LBB177_1937
	s_branch .LBB177_1757
.LBB177_1637:
	s_mov_b64 s[12:13], -1
	s_mov_b64 s[10:11], 0
	s_mov_b64 s[0:1], 0
                                        ; implicit-def: $vgpr16_vgpr17
	s_branch .LBB177_1674
.LBB177_1638:
	s_mov_b64 s[12:13], -1
	s_mov_b64 s[10:11], 0
	s_mov_b64 s[0:1], 0
                                        ; implicit-def: $vgpr16_vgpr17
	s_branch .LBB177_1653
.LBB177_1639:
	s_mov_b64 s[12:13], -1
	s_mov_b64 s[10:11], 0
	s_mov_b64 s[0:1], 0
                                        ; implicit-def: $vgpr16_vgpr17
	s_branch .LBB177_1648
.LBB177_1640:
	s_trap 2
	s_or_b64 s[8:9], s[8:9], exec
	s_cbranch_execz .LBB177_1541
	s_branch .LBB177_1542
.LBB177_1641:
	s_mov_b64 s[12:13], -1
	s_mov_b64 s[10:11], 0
	s_mov_b64 s[0:1], 0
                                        ; implicit-def: $vgpr16_vgpr17
	s_branch .LBB177_1643
.LBB177_1642:
	s_mov_b64 s[0:1], -1
                                        ; implicit-def: $vgpr16_vgpr17
	s_mov_b64 s[10:11], 0
.LBB177_1643:
	s_and_b64 vcc, exec, s[12:13]
	s_cbranch_vccz .LBB177_1647
; %bb.1644:
	s_cmp_eq_u32 s16, 44
	s_cbranch_scc0 .LBB177_1646
; %bb.1645:
	global_load_ubyte v1, v[14:15], off
	s_movk_i32 s10, 0xff
	v_mov_b32_e32 v3, 0x7f800001
	v_mov_b32_e32 v5, 0x400000
	;; [unrolled: 1-line block ×3, first 2 shown]
	s_mov_b64 s[0:1], 0
	s_waitcnt vmcnt(0)
	v_lshlrev_b32_e32 v7, 23, v1
	v_cmp_ne_u32_e32 vcc, s10, v1
	s_mov_b64 s[10:11], -1
	s_nop 0
	v_cndmask_b32_e32 v3, v3, v7, vcc
	v_cmp_ne_u32_e32 vcc, 0, v1
	s_nop 1
	v_cndmask_b32_e32 v16, v5, v3, vcc
	s_branch .LBB177_1647
.LBB177_1646:
	s_mov_b64 s[0:1], -1
                                        ; implicit-def: $vgpr16_vgpr17
.LBB177_1647:
	s_mov_b64 s[12:13], 0
.LBB177_1648:
	s_and_b64 vcc, exec, s[12:13]
	s_cbranch_vccz .LBB177_1652
; %bb.1649:
	s_cmp_eq_u32 s16, 29
	s_cbranch_scc0 .LBB177_1651
; %bb.1650:
	global_load_dwordx2 v[16:17], v[14:15], off
	s_mov_b64 s[0:1], 0
	s_mov_b64 s[10:11], -1
	s_mov_b64 s[12:13], 0
	s_waitcnt vmcnt(0)
	v_ffbh_u32_e32 v1, v17
	v_min_u32_e32 v1, 32, v1
	v_lshlrev_b64 v[16:17], v1, v[16:17]
	v_min_u32_e32 v3, 1, v16
	v_or_b32_e32 v3, v17, v3
	v_cvt_f32_u32_e32 v3, v3
	v_sub_u32_e32 v1, 32, v1
	v_mov_b32_e32 v17, 0
	v_ldexp_f32 v16, v3, v1
	s_branch .LBB177_1653
.LBB177_1651:
	s_mov_b64 s[0:1], -1
                                        ; implicit-def: $vgpr16_vgpr17
.LBB177_1652:
	s_mov_b64 s[12:13], 0
.LBB177_1653:
	s_and_b64 vcc, exec, s[12:13]
	s_cbranch_vccz .LBB177_1673
; %bb.1654:
	s_cmp_lt_i32 s16, 27
	s_cbranch_scc1 .LBB177_1657
; %bb.1655:
	s_cmp_gt_i32 s16, 27
	s_cbranch_scc0 .LBB177_1658
; %bb.1656:
	global_load_dword v1, v[14:15], off
	v_mov_b32_e32 v17, 0
	s_mov_b64 s[10:11], 0
	s_waitcnt vmcnt(0)
	v_cvt_f32_u32_e32 v16, v1
	s_branch .LBB177_1659
.LBB177_1657:
	s_mov_b64 s[10:11], -1
                                        ; implicit-def: $vgpr16_vgpr17
	s_branch .LBB177_1662
.LBB177_1658:
	s_mov_b64 s[10:11], -1
                                        ; implicit-def: $vgpr16_vgpr17
.LBB177_1659:
	s_andn2_b64 vcc, exec, s[10:11]
	s_cbranch_vccnz .LBB177_1661
; %bb.1660:
	global_load_ushort v1, v[14:15], off
	v_mov_b32_e32 v17, 0
	s_waitcnt vmcnt(0)
	v_cvt_f32_u32_e32 v16, v1
.LBB177_1661:
	s_mov_b64 s[10:11], 0
.LBB177_1662:
	s_andn2_b64 vcc, exec, s[10:11]
	s_cbranch_vccnz .LBB177_1672
; %bb.1663:
	global_load_ubyte v1, v[14:15], off
	s_movk_i32 s10, 0x7f
	s_waitcnt vmcnt(0)
	v_cmp_lt_i16_e32 vcc, s10, v1
	s_mov_b64 s[10:11], 0
	s_and_saveexec_b64 s[12:13], vcc
	s_xor_b64 s[12:13], exec, s[12:13]
	s_cbranch_execz .LBB177_1667
; %bb.1664:
	s_movk_i32 s10, 0x80
	v_cmp_eq_u16_e32 vcc, s10, v1
	s_mov_b64 s[10:11], -1
	s_and_saveexec_b64 s[14:15], vcc
; %bb.1665:
	s_xor_b64 s[10:11], exec, -1
; %bb.1666:
	s_or_b64 exec, exec, s[14:15]
	s_and_b64 s[10:11], s[10:11], exec
.LBB177_1667:
	s_or_saveexec_b64 s[12:13], s[12:13]
	v_mov_b32_e32 v16, 0x7f800001
	v_mov_b32_e32 v17, 0
	s_xor_b64 exec, exec, s[12:13]
; %bb.1668:
	v_cmp_ne_u16_e32 vcc, 0, v1
	s_andn2_b64 s[10:11], s[10:11], exec
	s_and_b64 s[14:15], vcc, exec
	v_mov_b32_e32 v16, v17
	s_or_b64 s[10:11], s[10:11], s[14:15]
; %bb.1669:
	s_or_b64 exec, exec, s[12:13]
	s_and_saveexec_b64 s[12:13], s[10:11]
	s_cbranch_execz .LBB177_1671
; %bb.1670:
	v_lshlrev_b32_e32 v3, 24, v1
	v_and_b32_e32 v1, 0xffff, v1
	v_and_b32_e32 v5, 7, v1
	v_ffbh_u32_e32 v13, v5
	v_min_u32_e32 v13, 32, v13
	v_subrev_u32_e32 v16, 28, v13
	v_bfe_u32 v7, v1, 3, 4
	v_lshlrev_b32_e32 v1, v16, v1
	v_sub_u32_e32 v13, 29, v13
	v_and_b32_e32 v1, 7, v1
	v_cmp_eq_u32_e32 vcc, 0, v7
	v_and_b32_e32 v3, 0x80000000, v3
	v_mov_b32_e32 v17, 0
	v_cndmask_b32_e32 v7, v7, v13, vcc
	v_cndmask_b32_e32 v1, v5, v1, vcc
	v_mov_b32_e32 v5, 0x3b800000
	v_lshlrev_b32_e32 v1, 20, v1
	v_lshl_add_u32 v5, v7, 23, v5
	v_or3_b32 v16, v3, v5, v1
.LBB177_1671:
	s_or_b64 exec, exec, s[12:13]
.LBB177_1672:
	s_mov_b64 s[10:11], -1
.LBB177_1673:
	s_mov_b64 s[12:13], 0
.LBB177_1674:
	s_and_b64 vcc, exec, s[12:13]
	s_cbranch_vccz .LBB177_1705
; %bb.1675:
	s_cmp_gt_i32 s16, 22
	s_cbranch_scc0 .LBB177_1687
; %bb.1676:
	s_cmp_lt_i32 s16, 24
	s_cbranch_scc1 .LBB177_1688
; %bb.1677:
	s_cmp_gt_i32 s16, 24
	s_cbranch_scc0 .LBB177_1689
; %bb.1678:
	global_load_ubyte v1, v[14:15], off
	s_movk_i32 s2, 0x7f
	s_waitcnt vmcnt(0)
	v_cmp_lt_i16_e32 vcc, s2, v1
	s_mov_b64 s[2:3], 0
	s_and_saveexec_b64 s[10:11], vcc
	s_xor_b64 s[10:11], exec, s[10:11]
	s_cbranch_execz .LBB177_1682
; %bb.1679:
	s_movk_i32 s2, 0x80
	v_cmp_eq_u16_e32 vcc, s2, v1
	s_mov_b64 s[2:3], -1
	s_and_saveexec_b64 s[12:13], vcc
; %bb.1680:
	s_xor_b64 s[2:3], exec, -1
; %bb.1681:
	s_or_b64 exec, exec, s[12:13]
	s_and_b64 s[2:3], s[2:3], exec
.LBB177_1682:
	s_or_saveexec_b64 s[10:11], s[10:11]
	v_mov_b32_e32 v16, 0x7f800001
	v_mov_b32_e32 v17, 0
	s_xor_b64 exec, exec, s[10:11]
; %bb.1683:
	v_cmp_ne_u16_e32 vcc, 0, v1
	s_andn2_b64 s[2:3], s[2:3], exec
	s_and_b64 s[12:13], vcc, exec
	v_mov_b32_e32 v16, v17
	s_or_b64 s[2:3], s[2:3], s[12:13]
; %bb.1684:
	s_or_b64 exec, exec, s[10:11]
	s_and_saveexec_b64 s[10:11], s[2:3]
	s_cbranch_execz .LBB177_1686
; %bb.1685:
	v_lshlrev_b32_e32 v3, 24, v1
	v_and_b32_e32 v1, 0xffff, v1
	v_and_b32_e32 v5, 3, v1
	v_ffbh_u32_e32 v13, v5
	v_min_u32_e32 v13, 32, v13
	v_subrev_u32_e32 v16, 29, v13
	v_bfe_u32 v7, v1, 2, 5
	v_lshlrev_b32_e32 v1, v16, v1
	v_sub_u32_e32 v13, 30, v13
	v_and_b32_e32 v1, 3, v1
	v_cmp_eq_u32_e32 vcc, 0, v7
	v_and_b32_e32 v3, 0x80000000, v3
	v_mov_b32_e32 v17, 0
	v_cndmask_b32_e32 v7, v7, v13, vcc
	v_cndmask_b32_e32 v1, v5, v1, vcc
	v_mov_b32_e32 v5, 0x37800000
	v_lshlrev_b32_e32 v1, 21, v1
	v_lshl_add_u32 v5, v7, 23, v5
	v_or3_b32 v16, v3, v5, v1
.LBB177_1686:
	s_or_b64 exec, exec, s[10:11]
	s_mov_b64 s[2:3], 0
	s_branch .LBB177_1690
.LBB177_1687:
	s_mov_b64 s[2:3], -1
                                        ; implicit-def: $vgpr16_vgpr17
	s_branch .LBB177_1696
.LBB177_1688:
	s_mov_b64 s[2:3], -1
                                        ; implicit-def: $vgpr16_vgpr17
	s_branch .LBB177_1693
.LBB177_1689:
	s_mov_b64 s[2:3], -1
                                        ; implicit-def: $vgpr16_vgpr17
.LBB177_1690:
	s_and_b64 vcc, exec, s[2:3]
	s_cbranch_vccz .LBB177_1692
; %bb.1691:
	global_load_ubyte v1, v[14:15], off
	s_mov_b32 s2, 0x7f800000
	s_brev_b32 s3, 1
	v_mov_b32_e32 v17, 0
	s_waitcnt vmcnt(0)
	v_lshlrev_b32_e32 v1, 24, v1
	v_and_b32_e32 v3, 0x7f000000, v1
	v_ffbh_u32_e32 v5, v3
	v_min_u32_e32 v5, 32, v5
	v_sub_u32_e64 v5, v5, 4 clamp
	v_lshlrev_b32_e32 v13, v5, v3
	v_lshlrev_b32_e32 v5, 23, v5
	v_lshrrev_b32_e32 v13, 4, v13
	v_add_u32_e32 v7, 0x1000000, v3
	v_sub_u32_e32 v5, v13, v5
	v_ashrrev_i32_e32 v7, 8, v7
	v_add_u32_e32 v5, 0x3c000000, v5
	v_and_or_b32 v5, v7, s2, v5
	v_cmp_ne_u32_e32 vcc, 0, v3
	s_nop 1
	v_cndmask_b32_e32 v3, 0, v5, vcc
	v_and_or_b32 v16, v1, s3, v3
.LBB177_1692:
	s_mov_b64 s[2:3], 0
.LBB177_1693:
	s_andn2_b64 vcc, exec, s[2:3]
	s_cbranch_vccnz .LBB177_1695
; %bb.1694:
	global_load_ubyte v1, v[14:15], off
	s_movk_i32 s2, 0x7f00
	s_brev_b32 s3, 16
	s_brev_b32 s10, 1
	v_mov_b32_e32 v17, 0
	s_waitcnt vmcnt(0)
	v_lshlrev_b16_e32 v3, 8, v1
	v_lshlrev_b32_e32 v1, 25, v1
	v_lshrrev_b32_e32 v5, 4, v1
	v_and_or_b32 v7, v3, s2, 0.5
	v_or_b32_e32 v5, 0x70000000, v5
	v_add_f32_e32 v7, -0.5, v7
	v_mul_f32_e32 v5, 0x7800000, v5
	v_cmp_gt_u32_e32 vcc, s3, v1
	v_bfe_i32 v3, v3, 0, 16
	s_nop 0
	v_cndmask_b32_e32 v1, v5, v7, vcc
	v_and_or_b32 v16, v3, s10, v1
.LBB177_1695:
	s_mov_b64 s[2:3], 0
	s_mov_b64 s[10:11], -1
.LBB177_1696:
	s_andn2_b64 vcc, exec, s[2:3]
	s_mov_b64 s[2:3], 0
	s_cbranch_vccnz .LBB177_1705
; %bb.1697:
	s_cmp_gt_i32 s16, 14
	s_cbranch_scc0 .LBB177_1700
; %bb.1698:
	s_cmp_eq_u32 s16, 15
	s_cbranch_scc0 .LBB177_1701
; %bb.1699:
	global_load_ushort v1, v[14:15], off
	v_mov_b32_e32 v17, 0
	s_mov_b64 s[0:1], 0
	s_mov_b64 s[10:11], -1
	s_waitcnt vmcnt(0)
	v_lshlrev_b32_e32 v16, 16, v1
	s_branch .LBB177_1702
.LBB177_1700:
	s_mov_b64 s[12:13], -1
                                        ; implicit-def: $vgpr16_vgpr17
	s_branch .LBB177_1703
.LBB177_1701:
	s_mov_b64 s[0:1], -1
                                        ; implicit-def: $vgpr16_vgpr17
.LBB177_1702:
	s_mov_b64 s[12:13], 0
.LBB177_1703:
	s_and_b64 vcc, exec, s[12:13]
	s_cbranch_vccz .LBB177_1705
; %bb.1704:
	s_cmp_lg_u32 s16, 11
	s_mov_b64 s[2:3], -1
	s_cselect_b64 s[0:1], -1, 0
.LBB177_1705:
	s_and_b64 vcc, exec, s[0:1]
	s_cbranch_vccnz .LBB177_1806
; %bb.1706:
	s_andn2_b64 vcc, exec, s[2:3]
	s_cbranch_vccnz .LBB177_1708
.LBB177_1707:
	global_load_ubyte v1, v[14:15], off
	v_mov_b32_e32 v17, 0
	s_mov_b64 s[10:11], -1
	s_waitcnt vmcnt(0)
	v_cmp_ne_u16_e32 vcc, 0, v1
	s_nop 1
	v_cndmask_b32_e64 v16, 0, 1.0, vcc
.LBB177_1708:
	s_branch .LBB177_1636
.LBB177_1709:
	s_and_b32 s2, 0xffff, s23
	s_cmp_lt_i32 s2, 5
	s_cbranch_scc1 .LBB177_1714
; %bb.1710:
	s_cmp_lt_i32 s2, 8
	s_cbranch_scc1 .LBB177_1715
; %bb.1711:
	;; [unrolled: 3-line block ×3, first 2 shown]
	s_cmp_gt_i32 s2, 9
	s_cbranch_scc0 .LBB177_1717
; %bb.1713:
	global_load_dwordx4 v[18:21], v[14:15], off
	s_mov_b64 s[0:1], 0
	s_waitcnt vmcnt(0)
	v_cvt_f32_f64_e32 v17, v[20:21]
	v_cvt_f32_f64_e32 v16, v[18:19]
	s_branch .LBB177_1718
.LBB177_1714:
	s_mov_b64 s[0:1], -1
                                        ; implicit-def: $vgpr16_vgpr17
	s_branch .LBB177_1736
.LBB177_1715:
	s_mov_b64 s[0:1], -1
                                        ; implicit-def: $vgpr16_vgpr17
	s_branch .LBB177_1724
.LBB177_1716:
	s_mov_b64 s[0:1], -1
                                        ; implicit-def: $vgpr16_vgpr17
	s_branch .LBB177_1721
.LBB177_1717:
	s_mov_b64 s[0:1], -1
                                        ; implicit-def: $vgpr16_vgpr17
.LBB177_1718:
	s_andn2_b64 vcc, exec, s[0:1]
	s_cbranch_vccnz .LBB177_1720
; %bb.1719:
	global_load_dwordx2 v[16:17], v[14:15], off
.LBB177_1720:
	s_mov_b64 s[0:1], 0
.LBB177_1721:
	s_andn2_b64 vcc, exec, s[0:1]
	s_cbranch_vccnz .LBB177_1723
; %bb.1722:
	global_load_dword v1, v[14:15], off
	s_waitcnt vmcnt(0)
	v_cvt_f32_f16_sdwa v17, v1 dst_sel:DWORD dst_unused:UNUSED_PAD src0_sel:WORD_1
	v_cvt_f32_f16_e32 v16, v1
.LBB177_1723:
	s_mov_b64 s[0:1], 0
.LBB177_1724:
	s_andn2_b64 vcc, exec, s[0:1]
	s_cbranch_vccnz .LBB177_1735
; %bb.1725:
	s_cmp_lt_i32 s2, 6
	s_cbranch_scc1 .LBB177_1728
; %bb.1726:
	s_cmp_gt_i32 s2, 6
	s_cbranch_scc0 .LBB177_1729
; %bb.1727:
	global_load_dwordx2 v[18:19], v[14:15], off
	s_waitcnt vmcnt(1)
	v_mov_b32_e32 v17, 0
	s_mov_b64 s[0:1], 0
	s_waitcnt vmcnt(0)
	v_cvt_f32_f64_e32 v16, v[18:19]
	s_branch .LBB177_1730
.LBB177_1728:
	s_mov_b64 s[0:1], -1
                                        ; implicit-def: $vgpr16_vgpr17
	s_branch .LBB177_1733
.LBB177_1729:
	s_mov_b64 s[0:1], -1
                                        ; implicit-def: $vgpr16_vgpr17
.LBB177_1730:
	s_andn2_b64 vcc, exec, s[0:1]
	s_cbranch_vccnz .LBB177_1732
; %bb.1731:
	global_load_dword v16, v[14:15], off
	s_waitcnt vmcnt(1)
	v_mov_b32_e32 v17, 0
.LBB177_1732:
	s_mov_b64 s[0:1], 0
.LBB177_1733:
	s_andn2_b64 vcc, exec, s[0:1]
	s_cbranch_vccnz .LBB177_1735
; %bb.1734:
	global_load_ushort v1, v[14:15], off
	s_waitcnt vmcnt(1)
	v_mov_b32_e32 v17, 0
	s_waitcnt vmcnt(0)
	v_cvt_f32_f16_e32 v16, v1
.LBB177_1735:
	s_mov_b64 s[0:1], 0
.LBB177_1736:
	s_andn2_b64 vcc, exec, s[0:1]
	s_cbranch_vccnz .LBB177_1756
; %bb.1737:
	s_cmp_lt_i32 s2, 2
	s_cbranch_scc1 .LBB177_1741
; %bb.1738:
	s_cmp_lt_i32 s2, 3
	s_cbranch_scc1 .LBB177_1742
; %bb.1739:
	s_cmp_gt_i32 s2, 3
	s_cbranch_scc0 .LBB177_1743
; %bb.1740:
	global_load_dwordx2 v[16:17], v[14:15], off
	s_mov_b64 s[0:1], 0
	s_waitcnt vmcnt(0)
	v_xor_b32_e32 v3, v16, v17
	v_ffbh_i32_e32 v1, v17
	v_ashrrev_i32_e32 v3, 31, v3
	v_add_u32_e32 v1, -1, v1
	v_add_u32_e32 v3, 32, v3
	v_min_u32_e32 v1, v1, v3
	v_lshlrev_b64 v[16:17], v1, v[16:17]
	v_min_u32_e32 v3, 1, v16
	v_or_b32_e32 v3, v17, v3
	v_cvt_f32_i32_e32 v3, v3
	v_sub_u32_e32 v1, 32, v1
	v_mov_b32_e32 v17, 0
	v_ldexp_f32 v16, v3, v1
	s_branch .LBB177_1744
.LBB177_1741:
	s_mov_b64 s[0:1], -1
                                        ; implicit-def: $vgpr16_vgpr17
	s_branch .LBB177_1750
.LBB177_1742:
	s_mov_b64 s[0:1], -1
                                        ; implicit-def: $vgpr16_vgpr17
	s_branch .LBB177_1747
.LBB177_1743:
	s_mov_b64 s[0:1], -1
                                        ; implicit-def: $vgpr16_vgpr17
.LBB177_1744:
	s_andn2_b64 vcc, exec, s[0:1]
	s_cbranch_vccnz .LBB177_1746
; %bb.1745:
	global_load_dword v1, v[14:15], off
	s_waitcnt vmcnt(1)
	v_mov_b32_e32 v17, 0
	s_waitcnt vmcnt(0)
	v_cvt_f32_i32_e32 v16, v1
.LBB177_1746:
	s_mov_b64 s[0:1], 0
.LBB177_1747:
	s_andn2_b64 vcc, exec, s[0:1]
	s_cbranch_vccnz .LBB177_1749
; %bb.1748:
	global_load_sshort v1, v[14:15], off
	s_waitcnt vmcnt(1)
	v_mov_b32_e32 v17, 0
	s_waitcnt vmcnt(0)
	v_cvt_f32_i32_e32 v16, v1
.LBB177_1749:
	s_mov_b64 s[0:1], 0
.LBB177_1750:
	s_andn2_b64 vcc, exec, s[0:1]
	s_cbranch_vccnz .LBB177_1756
; %bb.1751:
	s_cmp_gt_i32 s2, 0
	s_cbranch_scc0 .LBB177_1753
; %bb.1752:
	global_load_sbyte v1, v[14:15], off
	s_waitcnt vmcnt(1)
	v_mov_b32_e32 v17, 0
	s_mov_b64 s[0:1], 0
	s_waitcnt vmcnt(0)
	v_cvt_f32_i32_e32 v16, v1
	s_branch .LBB177_1754
.LBB177_1753:
	s_mov_b64 s[0:1], -1
                                        ; implicit-def: $vgpr16_vgpr17
.LBB177_1754:
	s_andn2_b64 vcc, exec, s[0:1]
	s_cbranch_vccnz .LBB177_1756
; %bb.1755:
	global_load_ubyte v1, v[14:15], off
	s_waitcnt vmcnt(1)
	v_mov_b32_e32 v17, 0
	s_waitcnt vmcnt(0)
	v_cvt_f32_ubyte0_e32 v16, v1
.LBB177_1756:
.LBB177_1757:
	s_waitcnt vmcnt(0)
	v_cmp_neq_f32_e32 vcc, 0, v16
	v_cmp_neq_f32_e64 s[0:1], 0, v17
	v_mov_b32_e32 v1, 0
	s_or_b64 s[0:1], vcc, s[0:1]
	s_and_saveexec_b64 s[10:11], s[0:1]
	s_cbranch_execz .LBB177_1787
; %bb.1758:
	v_mov_b32_e32 v1, 0x7f800000
	v_cmp_neq_f32_e64 s[0:1], |v17|, v1
	s_and_saveexec_b64 s[12:13], s[0:1]
	s_cbranch_execz .LBB177_1786
; %bb.1759:
	v_cmp_o_f32_e32 vcc, v16, v16
                                        ; implicit-def: $vgpr1
	s_and_saveexec_b64 s[0:1], vcc
	s_xor_b64 s[14:15], exec, s[0:1]
	s_cbranch_execz .LBB177_1783
; %bb.1760:
	s_mov_b32 s0, 0x7f800000
	v_cmp_neq_f32_e64 s[0:1], |v16|, s0
                                        ; implicit-def: $vgpr1
	s_and_saveexec_b64 s[2:3], s[0:1]
	s_xor_b64 s[16:17], exec, s[2:3]
	s_cbranch_execz .LBB177_1776
; %bb.1761:
	v_max_f32_e64 v1, |v17|, |v17|
	v_max_f32_e64 v3, |v16|, |v16|
	v_max_f32_e32 v1, v3, v1
	s_mov_b32 s0, 0x7ed413cb
	v_cmp_nle_f32_e64 s[0:1], s0, v1
                                        ; implicit-def: $sgpr18_sgpr19
	s_and_saveexec_b64 s[2:3], s[0:1]
	s_xor_b64 s[2:3], exec, s[2:3]
	s_cbranch_execz .LBB177_1765
; %bb.1762:
	s_mov_b32 s20, 0x1000000
	v_cmp_le_f32_e64 s[18:19], |v16|, s20
	v_cmp_le_f32_e64 s[20:21], |v17|, s20
	s_and_b64 s[28:29], s[18:19], s[20:21]
	s_mov_b64 s[18:19], 0
	s_and_saveexec_b64 s[20:21], s[28:29]
; %bb.1763:
	s_mov_b64 s[18:19], exec
	v_pk_mul_f32 v[16:17], v[16:17], 4.0 op_sel_hi:[1,0]
; %bb.1764:
	s_or_b64 exec, exec, s[20:21]
.LBB177_1765:
	s_andn2_saveexec_b64 s[2:3], s[2:3]
; %bb.1766:
	s_mov_b32 s20, 0x3e800000
	v_pk_mul_f32 v[16:17], v[16:17], s[20:21] op_sel_hi:[1,0]
	s_andn2_b64 s[18:19], s[18:19], exec
; %bb.1767:
	s_or_b64 exec, exec, s[2:3]
	v_max_f32_e64 v1, |v17|, |v17|
	v_max_f32_e64 v3, |v16|, |v16|
	v_max_f32_e32 v1, v3, v1
	v_cvt_f64_f32_e32 v[14:15], v1
	v_frexp_exp_i32_f64_e32 v3, v[14:15]
	v_sub_u32_e32 v5, 0, v3
	v_ldexp_f32 v7, |v16|, v5
	v_ldexp_f32 v5, |v17|, v5
	v_mul_f32_e32 v5, v5, v5
	v_fmac_f32_e32 v5, v7, v7
	v_sqrt_f32_e32 v5, v5
	s_mov_b32 s2, 0x7f800000
	v_cmp_neq_f32_e64 s[2:3], s2, v1
	v_cmp_le_f32_e32 vcc, 0, v16
	v_ldexp_f32 v3, v5, v3
	v_mov_b32_e32 v5, 0x7f800000
	v_cndmask_b32_e64 v1, v5, v3, s[2:3]
                                        ; implicit-def: $vgpr14_vgpr15
	s_and_saveexec_b64 s[2:3], vcc
	s_xor_b64 s[20:21], exec, s[2:3]
	s_cbranch_execz .LBB177_1769
; %bb.1768:
	v_add_f32_e32 v1, v16, v1
	v_mul_f32_e32 v1, 0.5, v1
	s_mov_b32 s2, 0xf800000
	v_mul_f32_e32 v3, 0x4f800000, v1
	v_cmp_gt_f32_e32 vcc, s2, v1
	s_nop 1
	v_cndmask_b32_e32 v1, v1, v3, vcc
	v_sqrt_f32_e32 v3, v1
	s_nop 0
	v_add_u32_e32 v5, -1, v3
	v_fma_f32 v7, -v5, v3, v1
	v_cmp_ge_f32_e64 s[2:3], 0, v7
	v_add_u32_e32 v7, 1, v3
	s_nop 0
	v_cndmask_b32_e64 v5, v3, v5, s[2:3]
	v_fma_f32 v3, -v7, v3, v1
	v_cmp_lt_f32_e64 s[2:3], 0, v3
	s_nop 1
	v_cndmask_b32_e64 v3, v5, v7, s[2:3]
	v_mul_f32_e32 v5, 0x37800000, v3
	v_cndmask_b32_e32 v3, v3, v5, vcc
	v_mov_b32_e32 v5, 0x260
	v_cmp_class_f32_e32 vcc, v1, v5
	s_nop 1
	v_cndmask_b32_e32 v14, v3, v1, vcc
	v_add_f32_e32 v1, v14, v14
	v_div_scale_f32 v3, s[2:3], v1, v1, v17
	v_rcp_f32_e32 v5, v3
	s_nop 0
	v_fma_f32 v7, -v3, v5, 1.0
	v_fmac_f32_e32 v5, v7, v5
	v_div_scale_f32 v7, vcc, v17, v1, v17
	v_mul_f32_e32 v13, v7, v5
	v_fma_f32 v15, -v3, v13, v7
	v_fmac_f32_e32 v13, v15, v5
	v_fma_f32 v3, -v3, v13, v7
	v_div_fmas_f32 v3, v3, v5, v13
	v_div_fixup_f32 v15, v3, v1, v17
                                        ; implicit-def: $vgpr1
                                        ; implicit-def: $vgpr16_vgpr17
	s_andn2_saveexec_b64 s[20:21], s[20:21]
	s_cbranch_execz .LBB177_1771
	s_branch .LBB177_1770
.LBB177_1769:
	s_andn2_saveexec_b64 s[20:21], s[20:21]
	s_cbranch_execz .LBB177_1771
.LBB177_1770:
	v_sub_f32_e32 v1, v1, v16
	v_mul_f32_e32 v1, 0.5, v1
	s_mov_b32 s2, 0xf800000
	v_mul_f32_e32 v3, 0x4f800000, v1
	v_cmp_gt_f32_e32 vcc, s2, v1
	s_nop 1
	v_cndmask_b32_e32 v1, v1, v3, vcc
	v_sqrt_f32_e32 v3, v1
	s_nop 0
	v_add_u32_e32 v5, -1, v3
	v_fma_f32 v7, -v5, v3, v1
	v_cmp_ge_f32_e64 s[2:3], 0, v7
	v_add_u32_e32 v7, 1, v3
	s_nop 0
	v_cndmask_b32_e64 v5, v3, v5, s[2:3]
	v_fma_f32 v3, -v7, v3, v1
	v_cmp_lt_f32_e64 s[2:3], 0, v3
	s_nop 1
	v_cndmask_b32_e64 v3, v5, v7, s[2:3]
	v_mul_f32_e32 v5, 0x37800000, v3
	v_cndmask_b32_e32 v3, v3, v5, vcc
	v_mov_b32_e32 v5, 0x260
	v_cmp_class_f32_e32 vcc, v1, v5
	v_and_b32_e32 v5, 0x7fffffff, v17
	s_nop 0
	v_cndmask_b32_e32 v1, v3, v1, vcc
	v_add_f32_e32 v3, v1, v1
	v_div_scale_f32 v7, s[2:3], v3, v3, v5
	v_rcp_f32_e32 v13, v7
	v_div_scale_f32 v5, vcc, v5, v3, v5
	s_brev_b32 s2, -2
	v_fma_f32 v14, -v7, v13, 1.0
	v_fmac_f32_e32 v13, v14, v13
	v_mul_f32_e32 v14, v5, v13
	v_fma_f32 v15, -v7, v14, v5
	v_fmac_f32_e32 v14, v15, v13
	v_fma_f32 v5, -v7, v14, v5
	v_div_fmas_f32 v5, v5, v13, v14
	v_div_fixup_f32 v14, v5, v3, |v17|
	v_bfi_b32 v15, s2, v1, v17
.LBB177_1771:
	s_or_b64 exec, exec, s[20:21]
                                        ; implicit-def: $vgpr17
                                        ; implicit-def: $vgpr1
	s_and_saveexec_b64 s[2:3], s[0:1]
	s_xor_b64 s[0:1], exec, s[2:3]
	s_cbranch_execz .LBB177_1773
; %bb.1772:
	v_pk_mul_f32 v[16:17], v[14:15], 0.5 op_sel_hi:[1,0]
	s_nop 0
	v_cndmask_b32_e64 v1, v14, v16, s[18:19]
	v_cndmask_b32_e64 v17, v15, v17, s[18:19]
                                        ; implicit-def: $vgpr14_vgpr15
	s_andn2_saveexec_b64 s[0:1], s[0:1]
	s_cbranch_execnz .LBB177_1774
	s_branch .LBB177_1775
.LBB177_1773:
	s_andn2_saveexec_b64 s[0:1], s[0:1]
.LBB177_1774:
	v_pk_add_f32 v[16:17], v[14:15], v[14:15]
	s_nop 0
	v_mov_b32_e32 v1, v16
.LBB177_1775:
	s_or_b64 exec, exec, s[0:1]
.LBB177_1776:
	s_andn2_saveexec_b64 s[0:1], s[16:17]
	s_cbranch_execz .LBB177_1782
; %bb.1777:
	v_sub_f32_e32 v3, v17, v17
	v_cmp_lt_i32_e32 vcc, -1, v16
	s_brev_b32 s16, -2
	v_and_b32_e32 v1, 0x7fffffff, v3
	s_and_saveexec_b64 s[2:3], vcc
	s_xor_b64 s[2:3], exec, s[2:3]
; %bb.1778:
	v_bfi_b32 v17, s16, v3, v17
	v_mov_b32_e32 v1, v16
; %bb.1779:
	s_andn2_saveexec_b64 s[2:3], s[2:3]
; %bb.1780:
	v_bfi_b32 v17, s16, v16, v17
; %bb.1781:
	s_or_b64 exec, exec, s[2:3]
.LBB177_1782:
	s_or_b64 exec, exec, s[0:1]
.LBB177_1783:
	s_andn2_saveexec_b64 s[0:1], s[14:15]
	s_cbranch_execz .LBB177_1785
; %bb.1784:
	v_sub_f32_e32 v1, v17, v17
	v_div_scale_f32 v3, vcc, v1, v1, v1
	v_rcp_f32_e32 v5, v3
	s_nop 0
	v_fma_f32 v7, -v3, v5, 1.0
	v_fmac_f32_e32 v5, v7, v5
	v_mul_f32_e32 v7, v3, v5
	v_fma_f32 v13, -v3, v7, v3
	v_fmac_f32_e32 v7, v13, v5
	v_fma_f32 v3, -v3, v7, v3
	v_div_fmas_f32 v3, v3, v5, v7
	v_div_fixup_f32 v17, v3, v1, v1
	v_mov_b32_e32 v1, v16
.LBB177_1785:
	s_or_b64 exec, exec, s[0:1]
.LBB177_1786:
	s_or_b64 exec, exec, s[12:13]
.LBB177_1787:
	s_or_b64 exec, exec, s[10:11]
	v_cmp_gt_f32_e32 vcc, 0, v17
                                        ; implicit-def: $vgpr14_vgpr15
	s_nop 1
	v_cndmask_b32_e64 v5, v17, -v17, vcc
	v_cmp_gt_f32_e32 vcc, 0, v1
	s_nop 1
	v_cndmask_b32_e64 v3, v1, -v1, vcc
	v_cmp_ge_f32_e32 vcc, v3, v5
	s_and_saveexec_b64 s[0:1], vcc
	s_xor_b64 s[2:3], exec, s[0:1]
	s_cbranch_execz .LBB177_1793
; %bb.1788:
	v_cmp_neq_f32_e32 vcc, 0, v1
	v_cmp_neq_f32_e64 s[0:1], 0, v17
	s_or_b64 s[0:1], vcc, s[0:1]
                                        ; implicit-def: $vgpr14_vgpr15
	s_and_saveexec_b64 s[10:11], s[0:1]
	s_xor_b64 s[0:1], exec, s[10:11]
	s_cbranch_execz .LBB177_1790
; %bb.1789:
	v_div_scale_f32 v3, s[10:11], v1, v1, v17
	v_rcp_f32_e32 v5, v3
	v_div_scale_f32 v7, vcc, v17, v1, v17
	v_fma_f32 v13, -v3, v5, 1.0
	v_fmac_f32_e32 v5, v13, v5
	v_mul_f32_e32 v13, v7, v5
	v_fma_f32 v14, -v3, v13, v7
	v_fmac_f32_e32 v13, v14, v5
	v_fma_f32 v3, -v3, v13, v7
	v_div_fmas_f32 v3, v3, v5, v13
	v_div_fixup_f32 v3, v3, v1, v17
	v_fmac_f32_e32 v1, v17, v3
	v_div_scale_f32 v5, s[10:11], v1, v1, 1.0
	v_rcp_f32_e32 v7, v5
	v_sub_f32_e32 v17, 0, v3
	v_fma_f32 v13, -v5, v7, 1.0
	v_fmac_f32_e32 v7, v13, v7
	v_div_scale_f32 v13, vcc, 1.0, v1, 1.0
	v_mul_f32_e32 v14, v13, v7
	v_fma_f32 v15, -v5, v14, v13
	v_fmac_f32_e32 v14, v15, v7
	v_fma_f32 v5, -v5, v14, v13
	v_div_fmas_f32 v5, v5, v7, v14
	v_div_fixup_f32 v14, v5, v1, 1.0
	v_mul_f32_e32 v1, 0, v3
	v_add_f32_e32 v16, 1.0, v1
	v_pk_mul_f32 v[14:15], v[16:17], v[14:15] op_sel_hi:[1,0]
                                        ; implicit-def: $vgpr5
                                        ; implicit-def: $vgpr3
.LBB177_1790:
	s_andn2_saveexec_b64 s[0:1], s[0:1]
	s_cbranch_execz .LBB177_1792
; %bb.1791:
	v_div_scale_f32 v1, s[10:11], v5, v5, 0
	v_rcp_f32_e32 v7, v1
	v_div_scale_f32 v13, vcc, 0, v5, 0
	v_fma_f32 v14, -v1, v7, 1.0
	v_fmac_f32_e32 v7, v14, v7
	v_mul_f32_e32 v14, v13, v7
	v_fma_f32 v15, -v1, v14, v13
	v_fmac_f32_e32 v14, v15, v7
	v_fma_f32 v1, -v1, v14, v13
	v_div_scale_f32 v13, s[10:11], v3, v3, 1.0
	v_rcp_f32_e32 v16, v13
	v_div_fmas_f32 v1, v1, v7, v14
	v_div_fixup_f32 v15, v1, v5, 0
	v_fma_f32 v1, -v13, v16, 1.0
	v_fmac_f32_e32 v16, v1, v16
	v_div_scale_f32 v1, vcc, 1.0, v3, 1.0
	v_mul_f32_e32 v5, v1, v16
	v_fma_f32 v7, -v13, v5, v1
	v_fmac_f32_e32 v5, v7, v16
	v_fma_f32 v1, -v13, v5, v1
	v_div_fmas_f32 v1, v1, v16, v5
	v_div_fixup_f32 v14, v1, v3, 1.0
.LBB177_1792:
	s_or_b64 exec, exec, s[0:1]
                                        ; implicit-def: $vgpr17
                                        ; implicit-def: $vgpr1
.LBB177_1793:
	s_andn2_saveexec_b64 s[0:1], s[2:3]
	s_cbranch_execz .LBB177_1795
; %bb.1794:
	v_div_scale_f32 v3, s[2:3], v17, v17, v1
	v_rcp_f32_e32 v5, v3
	v_div_scale_f32 v7, vcc, v1, v17, v1
	v_fma_f32 v13, -v3, v5, 1.0
	v_fmac_f32_e32 v5, v13, v5
	v_mul_f32_e32 v13, v7, v5
	v_fma_f32 v14, -v3, v13, v7
	v_fmac_f32_e32 v13, v14, v5
	v_fma_f32 v3, -v3, v13, v7
	v_div_fmas_f32 v3, v3, v5, v13
	v_div_fixup_f32 v14, v3, v17, v1
	v_fmac_f32_e32 v17, v1, v14
	v_div_scale_f32 v1, s[2:3], v17, v17, 1.0
	v_rcp_f32_e32 v3, v1
	s_mov_b32 s2, 0
	s_mov_b32 s3, -1.0
	v_mul_f32_e32 v15, 0, v14
	v_fma_f32 v5, -v1, v3, 1.0
	v_fmac_f32_e32 v3, v5, v3
	v_div_scale_f32 v5, vcc, 1.0, v17, 1.0
	v_mul_f32_e32 v7, v5, v3
	v_fma_f32 v13, -v1, v7, v5
	v_fmac_f32_e32 v7, v13, v3
	v_fma_f32 v1, -v1, v7, v5
	v_div_fmas_f32 v1, v1, v3, v7
	v_div_fixup_f32 v16, v1, v17, 1.0
	v_pk_add_f32 v[14:15], v[14:15], s[2:3]
	s_nop 0
	v_pk_mul_f32 v[14:15], v[14:15], v[16:17] op_sel_hi:[1,0]
.LBB177_1795:
	s_or_b64 exec, exec, s[0:1]
	v_mov_b32_e32 v13, 0
	s_cmp_lt_i32 s23, 11
	v_lshl_add_u64 v[12:13], s[6:7], 0, v[12:13]
	s_cbranch_scc1 .LBB177_1802
; %bb.1796:
	s_and_b32 s14, 0xffff, s23
	s_cmp_gt_i32 s14, 25
	s_mov_b64 s[2:3], 0
	s_cbranch_scc0 .LBB177_1803
; %bb.1797:
	s_cmp_gt_i32 s14, 28
	s_cbranch_scc0 .LBB177_1804
; %bb.1798:
	s_cmp_gt_i32 s14, 43
	;; [unrolled: 3-line block ×3, first 2 shown]
	s_cbranch_scc0 .LBB177_1807
; %bb.1800:
	s_cmp_eq_u32 s14, 46
	s_mov_b64 s[10:11], 0
	s_cbranch_scc0 .LBB177_1808
; %bb.1801:
	global_load_dword v1, v[12:13], off
	s_mov_b64 s[0:1], 0
	s_mov_b64 s[6:7], -1
	s_waitcnt vmcnt(0)
	v_and_b32_e32 v17, 0xffff0000, v1
	v_lshlrev_b32_e32 v16, 16, v1
	s_branch .LBB177_1809
.LBB177_1802:
	s_mov_b64 s[0:1], -1
	s_mov_b64 s[6:7], 0
                                        ; implicit-def: $vgpr16_vgpr17
	s_branch .LBB177_1875
.LBB177_1803:
	s_mov_b64 s[10:11], -1
	s_mov_b64 s[6:7], 0
	s_mov_b64 s[0:1], 0
                                        ; implicit-def: $vgpr16_vgpr17
	s_branch .LBB177_1840
.LBB177_1804:
	s_mov_b64 s[10:11], -1
	s_mov_b64 s[6:7], 0
	s_mov_b64 s[0:1], 0
                                        ; implicit-def: $vgpr16_vgpr17
	s_branch .LBB177_1819
.LBB177_1805:
	s_mov_b64 s[10:11], -1
	s_mov_b64 s[6:7], 0
	s_mov_b64 s[0:1], 0
                                        ; implicit-def: $vgpr16_vgpr17
	s_branch .LBB177_1814
.LBB177_1806:
	s_trap 2
	s_or_b64 s[8:9], s[8:9], exec
	s_cbranch_execz .LBB177_1707
	s_branch .LBB177_1708
.LBB177_1807:
	s_mov_b64 s[10:11], -1
	s_mov_b64 s[6:7], 0
	s_mov_b64 s[0:1], 0
                                        ; implicit-def: $vgpr16_vgpr17
	s_branch .LBB177_1809
.LBB177_1808:
	s_mov_b64 s[0:1], -1
                                        ; implicit-def: $vgpr16_vgpr17
	s_mov_b64 s[6:7], 0
.LBB177_1809:
	s_and_b64 vcc, exec, s[10:11]
	s_cbranch_vccz .LBB177_1813
; %bb.1810:
	s_cmp_eq_u32 s14, 44
	s_cbranch_scc0 .LBB177_1812
; %bb.1811:
	global_load_ubyte v1, v[12:13], off
	s_movk_i32 s6, 0xff
	v_mov_b32_e32 v3, 0x7f800001
	v_mov_b32_e32 v5, 0x400000
	;; [unrolled: 1-line block ×3, first 2 shown]
	s_mov_b64 s[0:1], 0
	s_waitcnt vmcnt(0)
	v_lshlrev_b32_e32 v7, 23, v1
	v_cmp_ne_u32_e32 vcc, s6, v1
	s_mov_b64 s[6:7], -1
	s_nop 0
	v_cndmask_b32_e32 v3, v3, v7, vcc
	v_cmp_ne_u32_e32 vcc, 0, v1
	s_nop 1
	v_cndmask_b32_e32 v16, v5, v3, vcc
	s_branch .LBB177_1813
.LBB177_1812:
	s_mov_b64 s[0:1], -1
                                        ; implicit-def: $vgpr16_vgpr17
.LBB177_1813:
	s_mov_b64 s[10:11], 0
.LBB177_1814:
	s_and_b64 vcc, exec, s[10:11]
	s_cbranch_vccz .LBB177_1818
; %bb.1815:
	s_cmp_eq_u32 s14, 29
	s_cbranch_scc0 .LBB177_1817
; %bb.1816:
	global_load_dwordx2 v[16:17], v[12:13], off
	s_mov_b64 s[0:1], 0
	s_mov_b64 s[6:7], -1
	s_mov_b64 s[10:11], 0
	s_waitcnt vmcnt(0)
	v_ffbh_u32_e32 v1, v17
	v_min_u32_e32 v1, 32, v1
	v_lshlrev_b64 v[16:17], v1, v[16:17]
	v_min_u32_e32 v3, 1, v16
	v_or_b32_e32 v3, v17, v3
	v_cvt_f32_u32_e32 v3, v3
	v_sub_u32_e32 v1, 32, v1
	v_mov_b32_e32 v17, 0
	v_ldexp_f32 v16, v3, v1
	s_branch .LBB177_1819
.LBB177_1817:
	s_mov_b64 s[0:1], -1
                                        ; implicit-def: $vgpr16_vgpr17
.LBB177_1818:
	s_mov_b64 s[10:11], 0
.LBB177_1819:
	s_and_b64 vcc, exec, s[10:11]
	s_cbranch_vccz .LBB177_1839
; %bb.1820:
	s_cmp_lt_i32 s14, 27
	s_cbranch_scc1 .LBB177_1823
; %bb.1821:
	s_cmp_gt_i32 s14, 27
	s_cbranch_scc0 .LBB177_1824
; %bb.1822:
	global_load_dword v1, v[12:13], off
	v_mov_b32_e32 v17, 0
	s_mov_b64 s[6:7], 0
	s_waitcnt vmcnt(0)
	v_cvt_f32_u32_e32 v16, v1
	s_branch .LBB177_1825
.LBB177_1823:
	s_mov_b64 s[6:7], -1
                                        ; implicit-def: $vgpr16_vgpr17
	s_branch .LBB177_1828
.LBB177_1824:
	s_mov_b64 s[6:7], -1
                                        ; implicit-def: $vgpr16_vgpr17
.LBB177_1825:
	s_andn2_b64 vcc, exec, s[6:7]
	s_cbranch_vccnz .LBB177_1827
; %bb.1826:
	global_load_ushort v1, v[12:13], off
	v_mov_b32_e32 v17, 0
	s_waitcnt vmcnt(0)
	v_cvt_f32_u32_e32 v16, v1
.LBB177_1827:
	s_mov_b64 s[6:7], 0
.LBB177_1828:
	s_andn2_b64 vcc, exec, s[6:7]
	s_cbranch_vccnz .LBB177_1838
; %bb.1829:
	global_load_ubyte v1, v[12:13], off
	s_movk_i32 s6, 0x7f
	s_waitcnt vmcnt(0)
	v_cmp_lt_i16_e32 vcc, s6, v1
	s_mov_b64 s[6:7], 0
	s_and_saveexec_b64 s[10:11], vcc
	s_xor_b64 s[10:11], exec, s[10:11]
	s_cbranch_execz .LBB177_1833
; %bb.1830:
	s_movk_i32 s6, 0x80
	v_cmp_eq_u16_e32 vcc, s6, v1
	s_mov_b64 s[6:7], -1
	s_and_saveexec_b64 s[12:13], vcc
; %bb.1831:
	s_xor_b64 s[6:7], exec, -1
; %bb.1832:
	s_or_b64 exec, exec, s[12:13]
	s_and_b64 s[6:7], s[6:7], exec
.LBB177_1833:
	s_or_saveexec_b64 s[10:11], s[10:11]
	v_mov_b32_e32 v16, 0x7f800001
	v_mov_b32_e32 v17, 0
	s_xor_b64 exec, exec, s[10:11]
; %bb.1834:
	v_cmp_ne_u16_e32 vcc, 0, v1
	s_andn2_b64 s[6:7], s[6:7], exec
	s_and_b64 s[12:13], vcc, exec
	v_mov_b32_e32 v16, v17
	s_or_b64 s[6:7], s[6:7], s[12:13]
; %bb.1835:
	s_or_b64 exec, exec, s[10:11]
	s_and_saveexec_b64 s[10:11], s[6:7]
	s_cbranch_execz .LBB177_1837
; %bb.1836:
	v_lshlrev_b32_e32 v3, 24, v1
	v_and_b32_e32 v1, 0xffff, v1
	v_and_b32_e32 v5, 7, v1
	v_ffbh_u32_e32 v16, v5
	v_min_u32_e32 v16, 32, v16
	v_subrev_u32_e32 v17, 28, v16
	v_bfe_u32 v7, v1, 3, 4
	v_lshlrev_b32_e32 v1, v17, v1
	v_sub_u32_e32 v16, 29, v16
	v_and_b32_e32 v1, 7, v1
	v_cmp_eq_u32_e32 vcc, 0, v7
	v_and_b32_e32 v3, 0x80000000, v3
	v_mov_b32_e32 v17, 0
	v_cndmask_b32_e32 v7, v7, v16, vcc
	v_cndmask_b32_e32 v1, v5, v1, vcc
	v_mov_b32_e32 v5, 0x3b800000
	v_lshlrev_b32_e32 v1, 20, v1
	v_lshl_add_u32 v5, v7, 23, v5
	v_or3_b32 v16, v3, v5, v1
.LBB177_1837:
	s_or_b64 exec, exec, s[10:11]
.LBB177_1838:
	s_mov_b64 s[6:7], -1
.LBB177_1839:
	s_mov_b64 s[10:11], 0
.LBB177_1840:
	s_and_b64 vcc, exec, s[10:11]
	s_cbranch_vccz .LBB177_1871
; %bb.1841:
	s_cmp_gt_i32 s14, 22
	s_cbranch_scc0 .LBB177_1853
; %bb.1842:
	s_cmp_lt_i32 s14, 24
	s_cbranch_scc1 .LBB177_1854
; %bb.1843:
	s_cmp_gt_i32 s14, 24
	s_cbranch_scc0 .LBB177_1855
; %bb.1844:
	global_load_ubyte v1, v[12:13], off
	s_movk_i32 s2, 0x7f
	s_waitcnt vmcnt(0)
	v_cmp_lt_i16_e32 vcc, s2, v1
	s_mov_b64 s[2:3], 0
	s_and_saveexec_b64 s[6:7], vcc
	s_xor_b64 s[6:7], exec, s[6:7]
	s_cbranch_execz .LBB177_1848
; %bb.1845:
	s_movk_i32 s2, 0x80
	v_cmp_eq_u16_e32 vcc, s2, v1
	s_mov_b64 s[2:3], -1
	s_and_saveexec_b64 s[10:11], vcc
; %bb.1846:
	s_xor_b64 s[2:3], exec, -1
; %bb.1847:
	s_or_b64 exec, exec, s[10:11]
	s_and_b64 s[2:3], s[2:3], exec
.LBB177_1848:
	s_or_saveexec_b64 s[6:7], s[6:7]
	v_mov_b32_e32 v16, 0x7f800001
	v_mov_b32_e32 v17, 0
	s_xor_b64 exec, exec, s[6:7]
; %bb.1849:
	v_cmp_ne_u16_e32 vcc, 0, v1
	s_andn2_b64 s[2:3], s[2:3], exec
	s_and_b64 s[10:11], vcc, exec
	v_mov_b32_e32 v16, v17
	s_or_b64 s[2:3], s[2:3], s[10:11]
; %bb.1850:
	s_or_b64 exec, exec, s[6:7]
	s_and_saveexec_b64 s[6:7], s[2:3]
	s_cbranch_execz .LBB177_1852
; %bb.1851:
	v_lshlrev_b32_e32 v3, 24, v1
	v_and_b32_e32 v1, 0xffff, v1
	v_and_b32_e32 v5, 3, v1
	v_ffbh_u32_e32 v16, v5
	v_min_u32_e32 v16, 32, v16
	v_subrev_u32_e32 v17, 29, v16
	v_bfe_u32 v7, v1, 2, 5
	v_lshlrev_b32_e32 v1, v17, v1
	v_sub_u32_e32 v16, 30, v16
	v_and_b32_e32 v1, 3, v1
	v_cmp_eq_u32_e32 vcc, 0, v7
	v_and_b32_e32 v3, 0x80000000, v3
	v_mov_b32_e32 v17, 0
	v_cndmask_b32_e32 v7, v7, v16, vcc
	v_cndmask_b32_e32 v1, v5, v1, vcc
	v_mov_b32_e32 v5, 0x37800000
	v_lshlrev_b32_e32 v1, 21, v1
	v_lshl_add_u32 v5, v7, 23, v5
	v_or3_b32 v16, v3, v5, v1
.LBB177_1852:
	s_or_b64 exec, exec, s[6:7]
	s_mov_b64 s[2:3], 0
	s_branch .LBB177_1856
.LBB177_1853:
	s_mov_b64 s[2:3], -1
                                        ; implicit-def: $vgpr16_vgpr17
	s_branch .LBB177_1862
.LBB177_1854:
	s_mov_b64 s[2:3], -1
                                        ; implicit-def: $vgpr16_vgpr17
	s_branch .LBB177_1859
.LBB177_1855:
	s_mov_b64 s[2:3], -1
                                        ; implicit-def: $vgpr16_vgpr17
.LBB177_1856:
	s_and_b64 vcc, exec, s[2:3]
	s_cbranch_vccz .LBB177_1858
; %bb.1857:
	global_load_ubyte v1, v[12:13], off
	s_mov_b32 s2, 0x7f800000
	s_brev_b32 s3, 1
	v_mov_b32_e32 v17, 0
	s_waitcnt vmcnt(0)
	v_lshlrev_b32_e32 v1, 24, v1
	v_and_b32_e32 v3, 0x7f000000, v1
	v_ffbh_u32_e32 v5, v3
	v_min_u32_e32 v5, 32, v5
	v_sub_u32_e64 v5, v5, 4 clamp
	v_lshlrev_b32_e32 v16, v5, v3
	v_lshlrev_b32_e32 v5, 23, v5
	v_lshrrev_b32_e32 v16, 4, v16
	v_add_u32_e32 v7, 0x1000000, v3
	v_sub_u32_e32 v5, v16, v5
	v_ashrrev_i32_e32 v7, 8, v7
	v_add_u32_e32 v5, 0x3c000000, v5
	v_and_or_b32 v5, v7, s2, v5
	v_cmp_ne_u32_e32 vcc, 0, v3
	s_nop 1
	v_cndmask_b32_e32 v3, 0, v5, vcc
	v_and_or_b32 v16, v1, s3, v3
.LBB177_1858:
	s_mov_b64 s[2:3], 0
.LBB177_1859:
	s_andn2_b64 vcc, exec, s[2:3]
	s_cbranch_vccnz .LBB177_1861
; %bb.1860:
	global_load_ubyte v1, v[12:13], off
	s_movk_i32 s2, 0x7f00
	s_brev_b32 s3, 16
	s_brev_b32 s6, 1
	v_mov_b32_e32 v17, 0
	s_waitcnt vmcnt(0)
	v_lshlrev_b16_e32 v3, 8, v1
	v_lshlrev_b32_e32 v1, 25, v1
	v_lshrrev_b32_e32 v5, 4, v1
	v_and_or_b32 v7, v3, s2, 0.5
	v_or_b32_e32 v5, 0x70000000, v5
	v_add_f32_e32 v7, -0.5, v7
	v_mul_f32_e32 v5, 0x7800000, v5
	v_cmp_gt_u32_e32 vcc, s3, v1
	v_bfe_i32 v3, v3, 0, 16
	s_nop 0
	v_cndmask_b32_e32 v1, v5, v7, vcc
	v_and_or_b32 v16, v3, s6, v1
.LBB177_1861:
	s_mov_b64 s[2:3], 0
	s_mov_b64 s[6:7], -1
.LBB177_1862:
	s_andn2_b64 vcc, exec, s[2:3]
	s_mov_b64 s[2:3], 0
	s_cbranch_vccnz .LBB177_1871
; %bb.1863:
	s_cmp_gt_i32 s14, 14
	s_cbranch_scc0 .LBB177_1866
; %bb.1864:
	s_cmp_eq_u32 s14, 15
	s_cbranch_scc0 .LBB177_1867
; %bb.1865:
	global_load_ushort v1, v[12:13], off
	v_mov_b32_e32 v17, 0
	s_mov_b64 s[0:1], 0
	s_mov_b64 s[6:7], -1
	s_waitcnt vmcnt(0)
	v_lshlrev_b32_e32 v16, 16, v1
	s_branch .LBB177_1868
.LBB177_1866:
	s_mov_b64 s[10:11], -1
                                        ; implicit-def: $vgpr16_vgpr17
	s_branch .LBB177_1869
.LBB177_1867:
	s_mov_b64 s[0:1], -1
                                        ; implicit-def: $vgpr16_vgpr17
.LBB177_1868:
	s_mov_b64 s[10:11], 0
.LBB177_1869:
	s_and_b64 vcc, exec, s[10:11]
	s_cbranch_vccz .LBB177_1871
; %bb.1870:
	s_cmp_lg_u32 s14, 11
	s_mov_b64 s[2:3], -1
	s_cselect_b64 s[0:1], -1, 0
.LBB177_1871:
	s_and_b64 vcc, exec, s[0:1]
	s_cbranch_vccnz .LBB177_2444
; %bb.1872:
	s_andn2_b64 vcc, exec, s[2:3]
	s_cbranch_vccnz .LBB177_1874
.LBB177_1873:
	global_load_ubyte v1, v[12:13], off
	v_mov_b32_e32 v17, 0
	s_mov_b64 s[6:7], -1
	s_waitcnt vmcnt(0)
	v_cmp_ne_u16_e32 vcc, 0, v1
	s_nop 1
	v_cndmask_b32_e64 v16, 0, 1.0, vcc
.LBB177_1874:
	s_mov_b64 s[0:1], 0
.LBB177_1875:
	s_and_b64 vcc, exec, s[0:1]
	s_cbranch_vccz .LBB177_1924
; %bb.1876:
	s_and_b32 s2, 0xffff, s23
	s_cmp_lt_i32 s2, 5
	s_cbranch_scc1 .LBB177_1881
; %bb.1877:
	s_cmp_lt_i32 s2, 8
	s_cbranch_scc1 .LBB177_1882
; %bb.1878:
	;; [unrolled: 3-line block ×3, first 2 shown]
	s_cmp_gt_i32 s2, 9
	s_cbranch_scc0 .LBB177_1884
; %bb.1880:
	global_load_dwordx4 v[18:21], v[12:13], off
	s_mov_b64 s[0:1], 0
	s_waitcnt vmcnt(0)
	v_cvt_f32_f64_e32 v17, v[20:21]
	v_cvt_f32_f64_e32 v16, v[18:19]
	s_branch .LBB177_1885
.LBB177_1881:
	s_mov_b64 s[0:1], -1
                                        ; implicit-def: $vgpr16_vgpr17
	s_branch .LBB177_1903
.LBB177_1882:
	s_mov_b64 s[0:1], -1
                                        ; implicit-def: $vgpr16_vgpr17
	s_branch .LBB177_1891
.LBB177_1883:
	s_mov_b64 s[0:1], -1
                                        ; implicit-def: $vgpr16_vgpr17
	s_branch .LBB177_1888
.LBB177_1884:
	s_mov_b64 s[0:1], -1
                                        ; implicit-def: $vgpr16_vgpr17
.LBB177_1885:
	s_andn2_b64 vcc, exec, s[0:1]
	s_cbranch_vccnz .LBB177_1887
; %bb.1886:
	global_load_dwordx2 v[16:17], v[12:13], off
.LBB177_1887:
	s_mov_b64 s[0:1], 0
.LBB177_1888:
	s_andn2_b64 vcc, exec, s[0:1]
	s_cbranch_vccnz .LBB177_1890
; %bb.1889:
	global_load_dword v1, v[12:13], off
	s_waitcnt vmcnt(0)
	v_cvt_f32_f16_sdwa v17, v1 dst_sel:DWORD dst_unused:UNUSED_PAD src0_sel:WORD_1
	v_cvt_f32_f16_e32 v16, v1
.LBB177_1890:
	s_mov_b64 s[0:1], 0
.LBB177_1891:
	s_andn2_b64 vcc, exec, s[0:1]
	s_cbranch_vccnz .LBB177_1902
; %bb.1892:
	s_cmp_lt_i32 s2, 6
	s_cbranch_scc1 .LBB177_1895
; %bb.1893:
	s_cmp_gt_i32 s2, 6
	s_cbranch_scc0 .LBB177_1896
; %bb.1894:
	global_load_dwordx2 v[18:19], v[12:13], off
	s_waitcnt vmcnt(1)
	v_mov_b32_e32 v17, 0
	s_mov_b64 s[0:1], 0
	s_waitcnt vmcnt(0)
	v_cvt_f32_f64_e32 v16, v[18:19]
	s_branch .LBB177_1897
.LBB177_1895:
	s_mov_b64 s[0:1], -1
                                        ; implicit-def: $vgpr16_vgpr17
	s_branch .LBB177_1900
.LBB177_1896:
	s_mov_b64 s[0:1], -1
                                        ; implicit-def: $vgpr16_vgpr17
.LBB177_1897:
	s_andn2_b64 vcc, exec, s[0:1]
	s_cbranch_vccnz .LBB177_1899
; %bb.1898:
	global_load_dword v16, v[12:13], off
	s_waitcnt vmcnt(1)
	v_mov_b32_e32 v17, 0
.LBB177_1899:
	s_mov_b64 s[0:1], 0
.LBB177_1900:
	s_andn2_b64 vcc, exec, s[0:1]
	s_cbranch_vccnz .LBB177_1902
; %bb.1901:
	global_load_ushort v1, v[12:13], off
	s_waitcnt vmcnt(1)
	v_mov_b32_e32 v17, 0
	s_waitcnt vmcnt(0)
	v_cvt_f32_f16_e32 v16, v1
.LBB177_1902:
	s_mov_b64 s[0:1], 0
.LBB177_1903:
	s_andn2_b64 vcc, exec, s[0:1]
	s_cbranch_vccnz .LBB177_1923
; %bb.1904:
	s_cmp_lt_i32 s2, 2
	s_cbranch_scc1 .LBB177_1908
; %bb.1905:
	s_cmp_lt_i32 s2, 3
	s_cbranch_scc1 .LBB177_1909
; %bb.1906:
	s_cmp_gt_i32 s2, 3
	s_cbranch_scc0 .LBB177_1910
; %bb.1907:
	global_load_dwordx2 v[16:17], v[12:13], off
	s_mov_b64 s[0:1], 0
	s_waitcnt vmcnt(0)
	v_xor_b32_e32 v3, v16, v17
	v_ffbh_i32_e32 v1, v17
	v_ashrrev_i32_e32 v3, 31, v3
	v_add_u32_e32 v1, -1, v1
	v_add_u32_e32 v3, 32, v3
	v_min_u32_e32 v1, v1, v3
	v_lshlrev_b64 v[16:17], v1, v[16:17]
	v_min_u32_e32 v3, 1, v16
	v_or_b32_e32 v3, v17, v3
	v_cvt_f32_i32_e32 v3, v3
	v_sub_u32_e32 v1, 32, v1
	v_mov_b32_e32 v17, 0
	v_ldexp_f32 v16, v3, v1
	s_branch .LBB177_1911
.LBB177_1908:
	s_mov_b64 s[0:1], -1
                                        ; implicit-def: $vgpr16_vgpr17
	s_branch .LBB177_1917
.LBB177_1909:
	s_mov_b64 s[0:1], -1
                                        ; implicit-def: $vgpr16_vgpr17
	s_branch .LBB177_1914
.LBB177_1910:
	s_mov_b64 s[0:1], -1
                                        ; implicit-def: $vgpr16_vgpr17
.LBB177_1911:
	s_andn2_b64 vcc, exec, s[0:1]
	s_cbranch_vccnz .LBB177_1913
; %bb.1912:
	global_load_dword v1, v[12:13], off
	s_waitcnt vmcnt(1)
	v_mov_b32_e32 v17, 0
	s_waitcnt vmcnt(0)
	v_cvt_f32_i32_e32 v16, v1
.LBB177_1913:
	s_mov_b64 s[0:1], 0
.LBB177_1914:
	s_andn2_b64 vcc, exec, s[0:1]
	s_cbranch_vccnz .LBB177_1916
; %bb.1915:
	global_load_sshort v1, v[12:13], off
	s_waitcnt vmcnt(1)
	v_mov_b32_e32 v17, 0
	s_waitcnt vmcnt(0)
	v_cvt_f32_i32_e32 v16, v1
.LBB177_1916:
	s_mov_b64 s[0:1], 0
.LBB177_1917:
	s_andn2_b64 vcc, exec, s[0:1]
	s_cbranch_vccnz .LBB177_1923
; %bb.1918:
	s_cmp_gt_i32 s2, 0
	s_cbranch_scc0 .LBB177_1920
; %bb.1919:
	global_load_sbyte v1, v[12:13], off
	s_waitcnt vmcnt(1)
	v_mov_b32_e32 v17, 0
	s_mov_b64 s[0:1], 0
	s_waitcnt vmcnt(0)
	v_cvt_f32_i32_e32 v16, v1
	s_branch .LBB177_1921
.LBB177_1920:
	s_mov_b64 s[0:1], -1
                                        ; implicit-def: $vgpr16_vgpr17
.LBB177_1921:
	s_andn2_b64 vcc, exec, s[0:1]
	s_cbranch_vccnz .LBB177_1923
; %bb.1922:
	global_load_ubyte v1, v[12:13], off
	s_waitcnt vmcnt(1)
	v_mov_b32_e32 v17, 0
	s_waitcnt vmcnt(0)
	v_cvt_f32_ubyte0_e32 v16, v1
.LBB177_1923:
	s_mov_b64 s[6:7], -1
.LBB177_1924:
	s_andn2_b64 vcc, exec, s[6:7]
	s_cbranch_vccnz .LBB177_1937
; %bb.1925:
	s_waitcnt vmcnt(0)
	v_cmp_neq_f32_e32 vcc, 0, v16
	v_cmp_neq_f32_e64 s[0:1], 0, v17
	v_mov_b32_e32 v1, 0
	s_or_b64 s[0:1], vcc, s[0:1]
	s_and_saveexec_b64 s[6:7], s[0:1]
	s_cbranch_execz .LBB177_2001
; %bb.1926:
	v_mov_b32_e32 v1, 0x7f800000
	v_cmp_neq_f32_e64 s[0:1], |v17|, v1
	s_and_saveexec_b64 s[10:11], s[0:1]
	s_cbranch_execz .LBB177_2000
; %bb.1927:
	v_cmp_o_f32_e32 vcc, v16, v16
                                        ; implicit-def: $vgpr1
	s_and_saveexec_b64 s[0:1], vcc
	s_xor_b64 s[12:13], exec, s[0:1]
	s_cbranch_execz .LBB177_1997
; %bb.1928:
	s_mov_b32 s0, 0x7f800000
	v_cmp_neq_f32_e64 s[0:1], |v16|, s0
                                        ; implicit-def: $vgpr1
	s_and_saveexec_b64 s[2:3], s[0:1]
	s_xor_b64 s[14:15], exec, s[2:3]
	s_cbranch_execz .LBB177_1990
; %bb.1929:
	v_max_f32_e64 v1, |v17|, |v17|
	v_max_f32_e64 v3, |v16|, |v16|
	v_max_f32_e32 v1, v3, v1
	s_mov_b32 s0, 0x7ed413cb
	v_cmp_nle_f32_e64 s[0:1], s0, v1
                                        ; implicit-def: $sgpr16_sgpr17
	s_and_saveexec_b64 s[2:3], s[0:1]
	s_xor_b64 s[2:3], exec, s[2:3]
	s_cbranch_execz .LBB177_1933
; %bb.1930:
	s_mov_b32 s18, 0x1000000
	v_cmp_le_f32_e64 s[16:17], |v16|, s18
	v_cmp_le_f32_e64 s[18:19], |v17|, s18
	s_and_b64 s[20:21], s[16:17], s[18:19]
	s_mov_b64 s[16:17], 0
	s_and_saveexec_b64 s[18:19], s[20:21]
; %bb.1931:
	s_mov_b64 s[16:17], exec
	v_pk_mul_f32 v[16:17], v[16:17], 4.0 op_sel_hi:[1,0]
; %bb.1932:
	s_or_b64 exec, exec, s[18:19]
.LBB177_1933:
	s_andn2_saveexec_b64 s[2:3], s[2:3]
; %bb.1934:
	s_mov_b32 s18, 0x3e800000
	v_pk_mul_f32 v[16:17], v[16:17], s[18:19] op_sel_hi:[1,0]
	s_andn2_b64 s[16:17], s[16:17], exec
; %bb.1935:
	s_or_b64 exec, exec, s[2:3]
	v_max_f32_e64 v1, |v17|, |v17|
	v_max_f32_e64 v3, |v16|, |v16|
	v_max_f32_e32 v1, v3, v1
	v_cvt_f64_f32_e32 v[12:13], v1
	v_frexp_exp_i32_f64_e32 v3, v[12:13]
	v_sub_u32_e32 v5, 0, v3
	v_ldexp_f32 v7, |v16|, v5
	v_ldexp_f32 v5, |v17|, v5
	v_mul_f32_e32 v5, v5, v5
	v_fmac_f32_e32 v5, v7, v7
	v_sqrt_f32_e32 v5, v5
	s_mov_b32 s2, 0x7f800000
	v_cmp_neq_f32_e64 s[2:3], s2, v1
	v_cmp_le_f32_e32 vcc, 0, v16
	v_ldexp_f32 v3, v5, v3
	v_mov_b32_e32 v5, 0x7f800000
	v_cndmask_b32_e64 v1, v5, v3, s[2:3]
                                        ; implicit-def: $vgpr12_vgpr13
	s_and_saveexec_b64 s[2:3], vcc
	s_xor_b64 s[18:19], exec, s[2:3]
	s_cbranch_execz .LBB177_1983
; %bb.1936:
	v_add_f32_e32 v1, v16, v1
	v_mul_f32_e32 v1, 0.5, v1
	s_mov_b32 s2, 0xf800000
	v_mul_f32_e32 v3, 0x4f800000, v1
	v_cmp_gt_f32_e32 vcc, s2, v1
	s_nop 1
	v_cndmask_b32_e32 v1, v1, v3, vcc
	v_sqrt_f32_e32 v3, v1
	s_nop 0
	v_add_u32_e32 v5, -1, v3
	v_fma_f32 v7, -v5, v3, v1
	v_cmp_ge_f32_e64 s[2:3], 0, v7
	v_add_u32_e32 v7, 1, v3
	s_nop 0
	v_cndmask_b32_e64 v5, v3, v5, s[2:3]
	v_fma_f32 v3, -v7, v3, v1
	v_cmp_lt_f32_e64 s[2:3], 0, v3
	s_nop 1
	v_cndmask_b32_e64 v3, v5, v7, s[2:3]
	v_mul_f32_e32 v5, 0x37800000, v3
	v_cndmask_b32_e32 v3, v3, v5, vcc
	v_mov_b32_e32 v5, 0x260
	v_cmp_class_f32_e32 vcc, v1, v5
	s_nop 1
	v_cndmask_b32_e32 v12, v3, v1, vcc
	v_add_f32_e32 v1, v12, v12
	v_div_scale_f32 v3, s[2:3], v1, v1, v17
	v_rcp_f32_e32 v5, v3
	s_nop 0
	v_fma_f32 v7, -v3, v5, 1.0
	v_fmac_f32_e32 v5, v7, v5
	v_div_scale_f32 v7, vcc, v17, v1, v17
	v_mul_f32_e32 v13, v7, v5
	v_fma_f32 v16, -v3, v13, v7
	v_fmac_f32_e32 v13, v16, v5
	v_fma_f32 v3, -v3, v13, v7
	v_div_fmas_f32 v3, v3, v5, v13
	v_div_fixup_f32 v13, v3, v1, v17
                                        ; implicit-def: $vgpr1
                                        ; implicit-def: $vgpr16_vgpr17
	s_andn2_saveexec_b64 s[18:19], s[18:19]
	s_cbranch_execz .LBB177_1985
	s_branch .LBB177_1984
.LBB177_1937:
	s_mov_b64 s[0:1], 0
                                        ; implicit-def: $vgpr0_vgpr1
                                        ; implicit-def: $sgpr18
                                        ; implicit-def: $vgpr12_vgpr13
.LBB177_1938:
	s_mov_b64 s[2:3], 0
.LBB177_1939:
	s_and_b64 s[4:5], s[0:1], exec
	s_and_b64 s[40:41], s[2:3], exec
	s_andn2_b64 s[0:1], s[24:25], exec
	s_and_b64 s[2:3], s[8:9], exec
	s_or_b64 s[24:25], s[0:1], s[2:3]
.LBB177_1940:
	s_or_b64 exec, exec, s[26:27]
	s_and_saveexec_b64 s[0:1], s[24:25]
	s_cbranch_execz .LBB177_1943
; %bb.1941:
	; divergent unreachable
	s_or_b64 exec, exec, s[0:1]
	s_and_saveexec_b64 s[0:1], s[40:41]
	s_xor_b64 s[2:3], exec, s[0:1]
	s_cbranch_execnz .LBB177_1944
.LBB177_1942:
	s_or_b64 exec, exec, s[2:3]
	s_and_saveexec_b64 s[0:1], s[4:5]
	s_cbranch_execnz .LBB177_1945
	s_branch .LBB177_1982
.LBB177_1943:
	s_or_b64 exec, exec, s[0:1]
	s_and_saveexec_b64 s[0:1], s[40:41]
	s_xor_b64 s[2:3], exec, s[0:1]
	s_cbranch_execz .LBB177_1942
.LBB177_1944:
	v_cmp_neq_f32_e32 vcc, 0, v12
	v_cmp_neq_f32_e64 s[0:1], 0, v13
	s_or_b64 s[0:1], vcc, s[0:1]
	s_waitcnt vmcnt(0)
	v_cndmask_b32_e64 v2, 0, 1, s[0:1]
	global_store_byte v[0:1], v2, off
	s_or_b64 exec, exec, s[2:3]
	s_and_saveexec_b64 s[0:1], s[4:5]
	s_cbranch_execz .LBB177_1982
.LBB177_1945:
	s_sext_i32_i16 s2, s18
	s_cmp_lt_i32 s2, 5
	s_mov_b64 s[0:1], -1
	s_cbranch_scc1 .LBB177_1966
; %bb.1946:
	s_cmp_lt_i32 s2, 8
	s_cbranch_scc1 .LBB177_1956
; %bb.1947:
	s_cmp_lt_i32 s2, 9
	s_cbranch_scc1 .LBB177_1953
; %bb.1948:
	s_cmp_gt_i32 s2, 9
	s_cbranch_scc0 .LBB177_1950
; %bb.1949:
	s_waitcnt vmcnt(0)
	v_cvt_f64_f32_e32 v[2:3], v12
	v_cvt_f64_f32_e32 v[4:5], v13
	global_store_dwordx4 v[0:1], v[2:5], off
	s_mov_b64 s[0:1], 0
.LBB177_1950:
	s_andn2_b64 vcc, exec, s[0:1]
	s_cbranch_vccnz .LBB177_1952
; %bb.1951:
	global_store_dwordx2 v[0:1], v[12:13], off
.LBB177_1952:
	s_mov_b64 s[0:1], 0
.LBB177_1953:
	s_andn2_b64 vcc, exec, s[0:1]
	s_cbranch_vccnz .LBB177_1955
; %bb.1954:
	s_waitcnt vmcnt(0)
	v_cvt_f16_f32_e32 v2, v12
	v_cvt_f16_f32_sdwa v3, v13 dst_sel:WORD_1 dst_unused:UNUSED_PAD src0_sel:DWORD
	s_nop 0
	v_or_b32_e32 v2, v3, v2
	global_store_dword v[0:1], v2, off
.LBB177_1955:
	s_mov_b64 s[0:1], 0
.LBB177_1956:
	s_andn2_b64 vcc, exec, s[0:1]
	s_cbranch_vccnz .LBB177_1965
; %bb.1957:
	s_sext_i32_i16 s2, s18
	s_cmp_lt_i32 s2, 6
	s_mov_b64 s[0:1], -1
	s_cbranch_scc1 .LBB177_1963
; %bb.1958:
	s_cmp_gt_i32 s2, 6
	s_cbranch_scc0 .LBB177_1960
; %bb.1959:
	s_waitcnt vmcnt(0)
	v_cvt_f64_f32_e32 v[2:3], v12
	global_store_dwordx2 v[0:1], v[2:3], off
	s_mov_b64 s[0:1], 0
.LBB177_1960:
	s_andn2_b64 vcc, exec, s[0:1]
	s_cbranch_vccnz .LBB177_1962
; %bb.1961:
	global_store_dword v[0:1], v12, off
.LBB177_1962:
	s_mov_b64 s[0:1], 0
.LBB177_1963:
	s_andn2_b64 vcc, exec, s[0:1]
	s_cbranch_vccnz .LBB177_1965
; %bb.1964:
	s_waitcnt vmcnt(0)
	v_cvt_f16_f32_e32 v2, v12
	global_store_short v[0:1], v2, off
.LBB177_1965:
	s_mov_b64 s[0:1], 0
.LBB177_1966:
	s_andn2_b64 vcc, exec, s[0:1]
	s_cbranch_vccnz .LBB177_1982
; %bb.1967:
	s_sext_i32_i16 s2, s18
	s_cmp_lt_i32 s2, 2
	s_mov_b64 s[0:1], -1
	s_cbranch_scc1 .LBB177_1977
; %bb.1968:
	s_cmp_lt_i32 s2, 3
	s_cbranch_scc1 .LBB177_1974
; %bb.1969:
	s_cmp_gt_i32 s2, 3
	s_cbranch_scc0 .LBB177_1971
; %bb.1970:
	s_waitcnt vmcnt(0)
	v_trunc_f32_e32 v2, v12
	s_mov_b32 s0, 0x2f800000
	v_mul_f32_e64 v3, |v2|, s0
	v_floor_f32_e32 v3, v3
	s_mov_b32 s0, 0xcf800000
	v_cvt_u32_f32_e32 v4, v3
	v_fma_f32 v3, v3, s0, |v2|
	v_cvt_u32_f32_e32 v3, v3
	v_ashrrev_i32_e32 v5, 31, v2
	v_xor_b32_e32 v4, v4, v5
	s_mov_b64 s[0:1], 0
	v_xor_b32_e32 v2, v3, v5
	v_sub_co_u32_e32 v2, vcc, v2, v5
	s_nop 1
	v_subb_co_u32_e32 v3, vcc, v4, v5, vcc
	global_store_dwordx2 v[0:1], v[2:3], off
.LBB177_1971:
	s_andn2_b64 vcc, exec, s[0:1]
	s_cbranch_vccnz .LBB177_1973
; %bb.1972:
	s_waitcnt vmcnt(0)
	v_cvt_i32_f32_e32 v2, v12
	global_store_dword v[0:1], v2, off
.LBB177_1973:
	s_mov_b64 s[0:1], 0
.LBB177_1974:
	s_andn2_b64 vcc, exec, s[0:1]
	s_cbranch_vccnz .LBB177_1976
; %bb.1975:
	s_waitcnt vmcnt(0)
	v_cvt_i32_f32_e32 v2, v12
	global_store_short v[0:1], v2, off
.LBB177_1976:
	s_mov_b64 s[0:1], 0
.LBB177_1977:
	s_andn2_b64 vcc, exec, s[0:1]
	s_cbranch_vccnz .LBB177_1982
; %bb.1978:
	s_sext_i32_i16 s0, s18
	s_cmp_gt_i32 s0, 0
	s_mov_b64 s[0:1], -1
	s_cbranch_scc0 .LBB177_1980
; %bb.1979:
	s_waitcnt vmcnt(0)
	v_cvt_i32_f32_e32 v2, v12
	s_mov_b64 s[0:1], 0
	global_store_byte v[0:1], v2, off
.LBB177_1980:
	s_andn2_b64 vcc, exec, s[0:1]
	s_cbranch_vccnz .LBB177_1982
; %bb.1981:
	s_waitcnt vmcnt(0)
	v_trunc_f32_e32 v2, v12
	s_mov_b32 s0, 0x2f800000
	v_mul_f32_e64 v3, |v2|, s0
	v_floor_f32_e32 v3, v3
	s_mov_b32 s0, 0xcf800000
	v_fma_f32 v3, v3, s0, |v2|
	v_cvt_u32_f32_e32 v3, v3
	v_ashrrev_i32_e32 v2, 31, v2
	v_xor_b32_e32 v3, v3, v2
	v_sub_u32_e32 v2, v3, v2
	global_store_byte v[0:1], v2, off
	s_endpgm
.LBB177_1982:
	s_endpgm
.LBB177_1983:
	s_andn2_saveexec_b64 s[18:19], s[18:19]
	s_cbranch_execz .LBB177_1985
.LBB177_1984:
	v_sub_f32_e32 v1, v1, v16
	v_mul_f32_e32 v1, 0.5, v1
	s_mov_b32 s2, 0xf800000
	v_mul_f32_e32 v3, 0x4f800000, v1
	v_cmp_gt_f32_e32 vcc, s2, v1
	s_nop 1
	v_cndmask_b32_e32 v1, v1, v3, vcc
	v_sqrt_f32_e32 v3, v1
	s_nop 0
	v_add_u32_e32 v5, -1, v3
	v_fma_f32 v7, -v5, v3, v1
	v_cmp_ge_f32_e64 s[2:3], 0, v7
	v_add_u32_e32 v7, 1, v3
	s_nop 0
	v_cndmask_b32_e64 v5, v3, v5, s[2:3]
	v_fma_f32 v3, -v7, v3, v1
	v_cmp_lt_f32_e64 s[2:3], 0, v3
	s_nop 1
	v_cndmask_b32_e64 v3, v5, v7, s[2:3]
	v_mul_f32_e32 v5, 0x37800000, v3
	v_cndmask_b32_e32 v3, v3, v5, vcc
	v_mov_b32_e32 v5, 0x260
	v_cmp_class_f32_e32 vcc, v1, v5
	v_and_b32_e32 v5, 0x7fffffff, v17
	s_nop 0
	v_cndmask_b32_e32 v1, v3, v1, vcc
	v_add_f32_e32 v3, v1, v1
	v_div_scale_f32 v7, s[2:3], v3, v3, v5
	v_rcp_f32_e32 v12, v7
	v_div_scale_f32 v5, vcc, v5, v3, v5
	s_brev_b32 s2, -2
	v_fma_f32 v13, -v7, v12, 1.0
	v_fmac_f32_e32 v12, v13, v12
	v_mul_f32_e32 v13, v5, v12
	v_fma_f32 v16, -v7, v13, v5
	v_fmac_f32_e32 v13, v16, v12
	v_fma_f32 v5, -v7, v13, v5
	v_div_fmas_f32 v5, v5, v12, v13
	v_div_fixup_f32 v12, v5, v3, |v17|
	v_bfi_b32 v13, s2, v1, v17
.LBB177_1985:
	s_or_b64 exec, exec, s[18:19]
                                        ; implicit-def: $vgpr17
                                        ; implicit-def: $vgpr1
	s_and_saveexec_b64 s[2:3], s[0:1]
	s_xor_b64 s[0:1], exec, s[2:3]
	s_cbranch_execz .LBB177_1987
; %bb.1986:
	v_pk_mul_f32 v[16:17], v[12:13], 0.5 op_sel_hi:[1,0]
	s_nop 0
	v_cndmask_b32_e64 v1, v12, v16, s[16:17]
	v_cndmask_b32_e64 v17, v13, v17, s[16:17]
                                        ; implicit-def: $vgpr12_vgpr13
	s_andn2_saveexec_b64 s[0:1], s[0:1]
	s_cbranch_execnz .LBB177_1988
	s_branch .LBB177_1989
.LBB177_1987:
	s_andn2_saveexec_b64 s[0:1], s[0:1]
.LBB177_1988:
	v_pk_add_f32 v[16:17], v[12:13], v[12:13]
	s_nop 0
	v_mov_b32_e32 v1, v16
.LBB177_1989:
	s_or_b64 exec, exec, s[0:1]
.LBB177_1990:
	s_andn2_saveexec_b64 s[0:1], s[14:15]
	s_cbranch_execz .LBB177_1996
; %bb.1991:
	v_sub_f32_e32 v3, v17, v17
	v_cmp_lt_i32_e32 vcc, -1, v16
	s_brev_b32 s14, -2
	v_and_b32_e32 v1, 0x7fffffff, v3
	s_and_saveexec_b64 s[2:3], vcc
	s_xor_b64 s[2:3], exec, s[2:3]
; %bb.1992:
	v_bfi_b32 v17, s14, v3, v17
	v_mov_b32_e32 v1, v16
; %bb.1993:
	s_andn2_saveexec_b64 s[2:3], s[2:3]
; %bb.1994:
	v_bfi_b32 v17, s14, v16, v17
; %bb.1995:
	s_or_b64 exec, exec, s[2:3]
.LBB177_1996:
	s_or_b64 exec, exec, s[0:1]
.LBB177_1997:
	s_andn2_saveexec_b64 s[0:1], s[12:13]
	s_cbranch_execz .LBB177_1999
; %bb.1998:
	v_sub_f32_e32 v1, v17, v17
	v_div_scale_f32 v3, vcc, v1, v1, v1
	v_rcp_f32_e32 v5, v3
	s_nop 0
	v_fma_f32 v7, -v3, v5, 1.0
	v_fmac_f32_e32 v5, v7, v5
	v_mul_f32_e32 v7, v3, v5
	v_fma_f32 v12, -v3, v7, v3
	v_fmac_f32_e32 v7, v12, v5
	v_fma_f32 v3, -v3, v7, v3
	v_div_fmas_f32 v3, v3, v5, v7
	v_div_fixup_f32 v17, v3, v1, v1
	v_mov_b32_e32 v1, v16
.LBB177_1999:
	s_or_b64 exec, exec, s[0:1]
.LBB177_2000:
	s_or_b64 exec, exec, s[10:11]
.LBB177_2001:
	s_or_b64 exec, exec, s[6:7]
	v_cmp_gt_f32_e32 vcc, 0, v17
                                        ; implicit-def: $vgpr12_vgpr13
	s_nop 1
	v_cndmask_b32_e64 v5, v17, -v17, vcc
	v_cmp_gt_f32_e32 vcc, 0, v1
	s_nop 1
	v_cndmask_b32_e64 v3, v1, -v1, vcc
	v_cmp_ge_f32_e32 vcc, v3, v5
	s_and_saveexec_b64 s[0:1], vcc
	s_xor_b64 s[2:3], exec, s[0:1]
	s_cbranch_execz .LBB177_2007
; %bb.2002:
	v_cmp_neq_f32_e32 vcc, 0, v1
	v_cmp_neq_f32_e64 s[0:1], 0, v17
	s_or_b64 s[0:1], vcc, s[0:1]
                                        ; implicit-def: $vgpr12_vgpr13
	s_and_saveexec_b64 s[6:7], s[0:1]
	s_xor_b64 s[0:1], exec, s[6:7]
	s_cbranch_execz .LBB177_2004
; %bb.2003:
	v_div_scale_f32 v3, s[6:7], v1, v1, v17
	v_rcp_f32_e32 v5, v3
	v_div_scale_f32 v7, vcc, v17, v1, v17
	v_fma_f32 v12, -v3, v5, 1.0
	v_fmac_f32_e32 v5, v12, v5
	v_mul_f32_e32 v12, v7, v5
	v_fma_f32 v13, -v3, v12, v7
	v_fmac_f32_e32 v12, v13, v5
	v_fma_f32 v3, -v3, v12, v7
	v_div_fmas_f32 v3, v3, v5, v12
	v_div_fixup_f32 v3, v3, v1, v17
	v_fmac_f32_e32 v1, v17, v3
	v_div_scale_f32 v5, s[6:7], v1, v1, 1.0
	v_rcp_f32_e32 v7, v5
	v_sub_f32_e32 v17, 0, v3
	v_fma_f32 v12, -v5, v7, 1.0
	v_fmac_f32_e32 v7, v12, v7
	v_div_scale_f32 v12, vcc, 1.0, v1, 1.0
	v_mul_f32_e32 v13, v12, v7
	v_fma_f32 v16, -v5, v13, v12
	v_fmac_f32_e32 v13, v16, v7
	v_fma_f32 v5, -v5, v13, v12
	v_div_fmas_f32 v5, v5, v7, v13
	v_div_fixup_f32 v12, v5, v1, 1.0
	v_mul_f32_e32 v1, 0, v3
	v_add_f32_e32 v16, 1.0, v1
	v_pk_mul_f32 v[12:13], v[16:17], v[12:13] op_sel_hi:[1,0]
                                        ; implicit-def: $vgpr5
                                        ; implicit-def: $vgpr3
.LBB177_2004:
	s_andn2_saveexec_b64 s[0:1], s[0:1]
	s_cbranch_execz .LBB177_2006
; %bb.2005:
	v_div_scale_f32 v1, s[6:7], v5, v5, 0
	v_rcp_f32_e32 v7, v1
	v_div_scale_f32 v12, vcc, 0, v5, 0
	v_fma_f32 v13, -v1, v7, 1.0
	v_fmac_f32_e32 v7, v13, v7
	v_mul_f32_e32 v13, v12, v7
	v_fma_f32 v16, -v1, v13, v12
	v_fmac_f32_e32 v13, v16, v7
	v_fma_f32 v1, -v1, v13, v12
	v_div_scale_f32 v12, s[6:7], v3, v3, 1.0
	v_rcp_f32_e32 v16, v12
	v_div_fmas_f32 v1, v1, v7, v13
	v_div_fixup_f32 v13, v1, v5, 0
	v_fma_f32 v1, -v12, v16, 1.0
	v_fmac_f32_e32 v16, v1, v16
	v_div_scale_f32 v1, vcc, 1.0, v3, 1.0
	v_mul_f32_e32 v5, v1, v16
	v_fma_f32 v7, -v12, v5, v1
	v_fmac_f32_e32 v5, v7, v16
	v_fma_f32 v1, -v12, v5, v1
	v_div_fmas_f32 v1, v1, v16, v5
	v_div_fixup_f32 v12, v1, v3, 1.0
.LBB177_2006:
	s_or_b64 exec, exec, s[0:1]
                                        ; implicit-def: $vgpr17
                                        ; implicit-def: $vgpr1
.LBB177_2007:
	s_andn2_saveexec_b64 s[0:1], s[2:3]
	s_cbranch_execz .LBB177_2009
; %bb.2008:
	v_div_scale_f32 v3, s[2:3], v17, v17, v1
	v_rcp_f32_e32 v5, v3
	v_div_scale_f32 v7, vcc, v1, v17, v1
	v_fma_f32 v12, -v3, v5, 1.0
	v_fmac_f32_e32 v5, v12, v5
	v_mul_f32_e32 v12, v7, v5
	v_fma_f32 v13, -v3, v12, v7
	v_fmac_f32_e32 v12, v13, v5
	v_fma_f32 v3, -v3, v12, v7
	v_div_fmas_f32 v3, v3, v5, v12
	v_div_fixup_f32 v12, v3, v17, v1
	v_fmac_f32_e32 v17, v1, v12
	v_div_scale_f32 v1, s[2:3], v17, v17, 1.0
	v_rcp_f32_e32 v3, v1
	s_mov_b32 s2, 0
	s_mov_b32 s3, -1.0
	v_fma_f32 v5, -v1, v3, 1.0
	v_fmac_f32_e32 v3, v5, v3
	v_div_scale_f32 v5, vcc, 1.0, v17, 1.0
	v_mul_f32_e32 v7, v5, v3
	v_fma_f32 v13, -v1, v7, v5
	v_fmac_f32_e32 v7, v13, v3
	v_fma_f32 v1, -v1, v7, v5
	v_div_fmas_f32 v1, v1, v3, v7
	v_mul_f32_e32 v13, 0, v12
	v_div_fixup_f32 v16, v1, v17, 1.0
	v_pk_add_f32 v[12:13], v[12:13], s[2:3]
	s_nop 0
	v_pk_mul_f32 v[12:13], v[12:13], v[16:17] op_sel_hi:[1,0]
.LBB177_2009:
	s_or_b64 exec, exec, s[0:1]
	s_bfe_u32 s18, s22, 0x80008
	v_mov_b32_e32 v7, 0
	s_cmp_lt_i32 s18, 11
	v_lshl_add_u64 v[6:7], s[4:5], 0, v[6:7]
	s_cbranch_scc1 .LBB177_2087
; %bb.2010:
	s_and_b32 s19, 0xffff, s18
	s_mov_b64 s[10:11], -1
	s_mov_b64 s[2:3], 0
	s_cmp_gt_i32 s19, 25
	s_mov_b64 s[6:7], 0
	s_mov_b64 s[0:1], 0
	s_cbranch_scc0 .LBB177_2043
; %bb.2011:
	s_cmp_gt_i32 s19, 28
	s_cbranch_scc0 .LBB177_2026
; %bb.2012:
	s_cmp_gt_i32 s19, 43
	;; [unrolled: 3-line block ×3, first 2 shown]
	s_cbranch_scc0 .LBB177_2016
; %bb.2014:
	s_mov_b64 s[0:1], -1
	s_mov_b64 s[10:11], 0
	s_cmp_eq_u32 s19, 46
	s_cbranch_scc0 .LBB177_2016
; %bb.2015:
	v_mov_b32_e32 v1, 1
	v_and_b32_sdwa v3, v9, v1 dst_sel:DWORD dst_unused:UNUSED_PAD src0_sel:WORD_1 src1_sel:DWORD
	v_and_b32_sdwa v1, v8, v1 dst_sel:DWORD dst_unused:UNUSED_PAD src0_sel:WORD_1 src1_sel:DWORD
	s_movk_i32 s0, 0x7fff
	v_add3_u32 v1, v8, v1, s0
	v_add3_u32 v3, v9, v3, s0
	v_cmp_o_f32_e32 vcc, v8, v8
	v_mov_b32_e32 v5, 0x7fc0
	v_and_b32_e32 v3, 0xffff0000, v3
	v_cndmask_b32_sdwa v1, v5, v1, vcc dst_sel:DWORD dst_unused:UNUSED_PAD src0_sel:DWORD src1_sel:WORD_1
	v_mov_b32_e32 v5, 0x7fc00000
	v_cmp_o_f32_e32 vcc, v9, v9
	s_mov_b64 s[0:1], 0
	s_mov_b64 s[6:7], -1
	v_cndmask_b32_e32 v3, v5, v3, vcc
	v_or_b32_e32 v1, v3, v1
	global_store_dword v[6:7], v1, off
.LBB177_2016:
	s_and_b64 vcc, exec, s[10:11]
	s_cbranch_vccz .LBB177_2021
; %bb.2017:
	s_cmp_eq_u32 s19, 44
	s_mov_b64 s[0:1], -1
	s_cbranch_scc0 .LBB177_2021
; %bb.2018:
	v_bfe_u32 v1, v8, 23, 8
	s_movk_i32 s0, 0xff
	v_cmp_ne_u32_e32 vcc, s0, v1
	v_mov_b32_e32 v3, 0xff
	s_and_saveexec_b64 s[6:7], vcc
; %bb.2019:
	s_mov_b32 s0, 0x3fffff
	v_and_b32_e32 v5, 0x400000, v8
	v_and_or_b32 v1, v8, s0, v1
	v_cmp_ne_u32_e32 vcc, 0, v5
	v_cmp_ne_u32_e64 s[0:1], 0, v1
	s_and_b64 s[0:1], vcc, s[0:1]
	v_lshrrev_b32_e32 v3, 23, v8
	v_cndmask_b32_e64 v1, 0, 1, s[0:1]
	v_add_u32_e32 v3, v3, v1
; %bb.2020:
	s_or_b64 exec, exec, s[6:7]
	s_mov_b64 s[0:1], 0
	s_mov_b64 s[6:7], -1
	global_store_byte v[6:7], v3, off
.LBB177_2021:
	s_mov_b64 s[10:11], 0
.LBB177_2022:
	s_and_b64 vcc, exec, s[10:11]
	s_cbranch_vccz .LBB177_2025
; %bb.2023:
	s_cmp_eq_u32 s19, 29
	s_mov_b64 s[0:1], -1
	s_cbranch_scc0 .LBB177_2025
; %bb.2024:
	v_trunc_f32_e32 v1, v8
	v_mul_f32_e32 v3, 0x2f800000, v1
	v_floor_f32_e32 v3, v3
	v_fmamk_f32 v1, v3, 0xcf800000, v1
	v_cvt_u32_f32_e32 v17, v3
	v_cvt_u32_f32_e32 v16, v1
	s_mov_b64 s[0:1], 0
	s_mov_b64 s[6:7], -1
	global_store_dwordx2 v[6:7], v[16:17], off
.LBB177_2025:
	s_mov_b64 s[10:11], 0
.LBB177_2026:
	s_and_b64 vcc, exec, s[10:11]
	s_cbranch_vccz .LBB177_2042
; %bb.2027:
	s_cmp_lt_i32 s19, 27
	s_mov_b64 s[6:7], -1
	s_cbranch_scc1 .LBB177_2033
; %bb.2028:
	v_cvt_u32_f32_e32 v1, v8
	s_cmp_gt_i32 s19, 27
	s_cbranch_scc0 .LBB177_2030
; %bb.2029:
	s_mov_b64 s[6:7], 0
	global_store_dword v[6:7], v1, off
.LBB177_2030:
	s_andn2_b64 vcc, exec, s[6:7]
	s_cbranch_vccnz .LBB177_2032
; %bb.2031:
	global_store_short v[6:7], v1, off
.LBB177_2032:
	s_mov_b64 s[6:7], 0
.LBB177_2033:
	s_andn2_b64 vcc, exec, s[6:7]
	s_cbranch_vccnz .LBB177_2041
; %bb.2034:
	v_and_b32_e32 v1, 0x7fffffff, v8
	s_mov_b32 s6, 0x43800000
	v_cmp_gt_u32_e32 vcc, s6, v1
	v_mov_b32_e32 v3, 0x80
	s_and_saveexec_b64 s[6:7], vcc
	s_cbranch_execz .LBB177_2040
; %bb.2035:
	s_mov_b32 s10, 0x3bffffff
	v_cmp_lt_u32_e32 vcc, s10, v1
	s_mov_b64 s[10:11], 0
                                        ; implicit-def: $vgpr1
	s_and_saveexec_b64 s[12:13], vcc
	s_xor_b64 s[12:13], exec, s[12:13]
	s_cbranch_execz .LBB177_2445
; %bb.2036:
	v_bfe_u32 v1, v8, 20, 1
	s_mov_b32 s14, 0x487ffff
	v_add3_u32 v1, v8, v1, s14
	s_mov_b64 s[10:11], exec
	v_lshrrev_b32_e32 v1, 20, v1
	s_andn2_saveexec_b64 s[12:13], s[12:13]
	s_cbranch_execnz .LBB177_2446
.LBB177_2037:
	s_or_b64 exec, exec, s[12:13]
	v_mov_b32_e32 v3, 0
	s_and_saveexec_b64 s[12:13], s[10:11]
.LBB177_2038:
	v_lshrrev_b32_e32 v3, 24, v8
	s_movk_i32 s10, 0x80
	v_and_or_b32 v3, v3, s10, v1
.LBB177_2039:
	s_or_b64 exec, exec, s[12:13]
.LBB177_2040:
	s_or_b64 exec, exec, s[6:7]
	global_store_byte v[6:7], v3, off
.LBB177_2041:
	s_mov_b64 s[6:7], -1
.LBB177_2042:
	s_mov_b64 s[10:11], 0
.LBB177_2043:
	s_and_b64 vcc, exec, s[10:11]
	s_cbranch_vccz .LBB177_2083
; %bb.2044:
	s_cmp_gt_i32 s19, 22
	s_mov_b64 s[2:3], -1
	s_cbranch_scc0 .LBB177_2076
; %bb.2045:
	s_cmp_lt_i32 s19, 24
	s_cbranch_scc1 .LBB177_2065
; %bb.2046:
	s_cmp_gt_i32 s19, 24
	s_cbranch_scc0 .LBB177_2054
; %bb.2047:
	v_and_b32_e32 v1, 0x7fffffff, v8
	s_mov_b32 s2, 0x47800000
	v_cmp_gt_u32_e32 vcc, s2, v1
	v_mov_b32_e32 v3, 0x80
	s_and_saveexec_b64 s[2:3], vcc
	s_cbranch_execz .LBB177_2053
; %bb.2048:
	s_mov_b32 s6, 0x37ffffff
	v_cmp_lt_u32_e32 vcc, s6, v1
	s_mov_b64 s[6:7], 0
                                        ; implicit-def: $vgpr1
	s_and_saveexec_b64 s[10:11], vcc
	s_xor_b64 s[10:11], exec, s[10:11]
	s_cbranch_execz .LBB177_2450
; %bb.2049:
	v_bfe_u32 v1, v8, 21, 1
	s_mov_b32 s12, 0x88fffff
	v_add3_u32 v1, v8, v1, s12
	s_mov_b64 s[6:7], exec
	v_lshrrev_b32_e32 v1, 21, v1
	s_andn2_saveexec_b64 s[10:11], s[10:11]
	s_cbranch_execnz .LBB177_2451
.LBB177_2050:
	s_or_b64 exec, exec, s[10:11]
	v_mov_b32_e32 v3, 0
	s_and_saveexec_b64 s[10:11], s[6:7]
.LBB177_2051:
	v_lshrrev_b32_e32 v3, 24, v8
	s_movk_i32 s6, 0x80
	v_and_or_b32 v3, v3, s6, v1
.LBB177_2052:
	s_or_b64 exec, exec, s[10:11]
.LBB177_2053:
	s_or_b64 exec, exec, s[2:3]
	s_mov_b64 s[2:3], 0
	global_store_byte v[6:7], v3, off
.LBB177_2054:
	s_and_b64 vcc, exec, s[2:3]
	s_cbranch_vccz .LBB177_2064
; %bb.2055:
	v_and_b32_e32 v3, 0x7fffffff, v8
	s_mov_b32 s2, 0x43f00000
	v_cmp_gt_u32_e32 vcc, s2, v3
                                        ; implicit-def: $vgpr1
	s_and_saveexec_b64 s[2:3], vcc
	s_xor_b64 s[2:3], exec, s[2:3]
	s_cbranch_execz .LBB177_2061
; %bb.2056:
	s_mov_b32 s6, 0x3c7fffff
	v_cmp_lt_u32_e32 vcc, s6, v3
                                        ; implicit-def: $vgpr1
	s_and_saveexec_b64 s[6:7], vcc
	s_xor_b64 s[6:7], exec, s[6:7]
; %bb.2057:
	v_bfe_u32 v1, v8, 20, 1
	s_mov_b32 s10, 0x407ffff
	v_add3_u32 v1, v8, v1, s10
	v_lshrrev_b32_e32 v3, 20, v1
	v_and_b32_e32 v1, 0xff00000, v1
	s_mov_b32 s10, 0x7f00000
	v_mov_b32_e32 v5, 0x7e
	v_cmp_ne_u32_e32 vcc, s10, v1
	s_nop 1
	v_cndmask_b32_e32 v1, v5, v3, vcc
; %bb.2058:
	s_andn2_saveexec_b64 s[6:7], s[6:7]
; %bb.2059:
	s_mov_b32 s10, 0x46800000
	v_add_f32_e64 v1, |v8|, s10
; %bb.2060:
	s_or_b64 exec, exec, s[6:7]
                                        ; implicit-def: $vgpr3
.LBB177_2061:
	s_andn2_saveexec_b64 s[2:3], s[2:3]
; %bb.2062:
	s_mov_b32 s6, 0x7f800000
	v_mov_b32_e32 v1, 0x7e
	v_mov_b32_e32 v5, 0x7f
	v_cmp_lt_u32_e32 vcc, s6, v3
	s_nop 1
	v_cndmask_b32_e32 v1, v1, v5, vcc
; %bb.2063:
	s_or_b64 exec, exec, s[2:3]
	v_lshrrev_b32_e32 v3, 24, v8
	s_movk_i32 s2, 0x80
	v_and_or_b32 v1, v3, s2, v1
	global_store_byte v[6:7], v1, off
.LBB177_2064:
	s_mov_b64 s[2:3], 0
.LBB177_2065:
	s_andn2_b64 vcc, exec, s[2:3]
	s_cbranch_vccnz .LBB177_2075
; %bb.2066:
	v_and_b32_e32 v3, 0x7fffffff, v8
	s_mov_b32 s2, 0x47800000
	v_cmp_gt_u32_e32 vcc, s2, v3
                                        ; implicit-def: $vgpr1
	s_and_saveexec_b64 s[2:3], vcc
	s_xor_b64 s[2:3], exec, s[2:3]
	s_cbranch_execz .LBB177_2072
; %bb.2067:
	s_mov_b32 s6, 0x387fffff
	v_cmp_lt_u32_e32 vcc, s6, v3
                                        ; implicit-def: $vgpr1
	s_and_saveexec_b64 s[6:7], vcc
	s_xor_b64 s[6:7], exec, s[6:7]
; %bb.2068:
	v_bfe_u32 v1, v8, 21, 1
	s_mov_b32 s10, 0x80fffff
	v_add3_u32 v1, v8, v1, s10
	v_lshrrev_b32_e32 v1, 21, v1
; %bb.2069:
	s_andn2_saveexec_b64 s[6:7], s[6:7]
; %bb.2070:
	s_mov_b32 s10, 0x43000000
	v_add_f32_e64 v1, |v8|, s10
; %bb.2071:
	s_or_b64 exec, exec, s[6:7]
                                        ; implicit-def: $vgpr3
.LBB177_2072:
	s_andn2_saveexec_b64 s[2:3], s[2:3]
; %bb.2073:
	s_mov_b32 s6, 0x7f800000
	v_mov_b32_e32 v1, 0x7c
	v_mov_b32_e32 v5, 0x7f
	v_cmp_lt_u32_e32 vcc, s6, v3
	s_nop 1
	v_cndmask_b32_e32 v1, v1, v5, vcc
; %bb.2074:
	s_or_b64 exec, exec, s[2:3]
	v_lshrrev_b32_e32 v3, 24, v8
	s_movk_i32 s2, 0x80
	v_and_or_b32 v1, v3, s2, v1
	global_store_byte v[6:7], v1, off
.LBB177_2075:
	s_mov_b64 s[2:3], 0
	s_mov_b64 s[6:7], -1
.LBB177_2076:
	s_andn2_b64 vcc, exec, s[2:3]
	s_mov_b64 s[2:3], 0
	s_cbranch_vccnz .LBB177_2083
; %bb.2077:
	s_cmp_gt_i32 s19, 14
	s_mov_b64 s[10:11], -1
	s_cbranch_scc0 .LBB177_2081
; %bb.2078:
	s_cmp_eq_u32 s19, 15
	s_mov_b64 s[0:1], -1
	s_cbranch_scc0 .LBB177_2080
; %bb.2079:
	v_bfe_u32 v1, v8, 16, 1
	s_movk_i32 s0, 0x7fff
	v_add3_u32 v1, v8, v1, s0
	v_cmp_o_f32_e32 vcc, v8, v8
	v_mov_b32_e32 v3, 0x7fc0
	s_mov_b64 s[0:1], 0
	v_cndmask_b32_sdwa v1, v3, v1, vcc dst_sel:DWORD dst_unused:UNUSED_PAD src0_sel:DWORD src1_sel:WORD_1
	global_store_short v[6:7], v1, off
	s_mov_b64 s[6:7], -1
.LBB177_2080:
	s_mov_b64 s[10:11], 0
.LBB177_2081:
	s_and_b64 vcc, exec, s[10:11]
	s_cbranch_vccz .LBB177_2083
; %bb.2082:
	s_cmp_lg_u32 s19, 11
	s_mov_b64 s[2:3], -1
	s_cselect_b64 s[0:1], -1, 0
.LBB177_2083:
	s_and_b64 vcc, exec, s[0:1]
	s_cbranch_vccnz .LBB177_2449
; %bb.2084:
	s_andn2_b64 vcc, exec, s[2:3]
	s_cbranch_vccnz .LBB177_2086
.LBB177_2085:
	v_cmp_neq_f32_e32 vcc, 0, v8
	v_cmp_neq_f32_e64 s[0:1], 0, v9
	s_or_b64 s[0:1], vcc, s[0:1]
	s_mov_b64 s[6:7], -1
	v_cndmask_b32_e64 v1, 0, 1, s[0:1]
	global_store_byte v[6:7], v1, off
.LBB177_2086:
	s_mov_b64 s[0:1], 0
	s_branch .LBB177_2088
.LBB177_2087:
	s_mov_b64 s[0:1], -1
	s_mov_b64 s[6:7], 0
.LBB177_2088:
	s_and_b64 vcc, exec, s[0:1]
	s_cbranch_vccz .LBB177_2127
; %bb.2089:
	s_and_b32 s2, 0xffff, s18
	s_cmp_lt_i32 s2, 5
	s_mov_b64 s[0:1], -1
	s_cbranch_scc1 .LBB177_2110
; %bb.2090:
	s_cmp_lt_i32 s2, 8
	s_cbranch_scc1 .LBB177_2100
; %bb.2091:
	s_cmp_lt_i32 s2, 9
	s_cbranch_scc1 .LBB177_2097
; %bb.2092:
	s_cmp_gt_i32 s2, 9
	s_cbranch_scc0 .LBB177_2094
; %bb.2093:
	v_cvt_f64_f32_e32 v[16:17], v8
	v_cvt_f64_f32_e32 v[18:19], v9
	global_store_dwordx4 v[6:7], v[16:19], off
	s_mov_b64 s[0:1], 0
.LBB177_2094:
	s_andn2_b64 vcc, exec, s[0:1]
	s_cbranch_vccnz .LBB177_2096
; %bb.2095:
	global_store_dwordx2 v[6:7], v[8:9], off
.LBB177_2096:
	s_mov_b64 s[0:1], 0
.LBB177_2097:
	s_andn2_b64 vcc, exec, s[0:1]
	s_cbranch_vccnz .LBB177_2099
; %bb.2098:
	v_cvt_f16_f32_e32 v1, v8
	v_cvt_f16_f32_sdwa v3, v9 dst_sel:WORD_1 dst_unused:UNUSED_PAD src0_sel:DWORD
	s_nop 0
	v_or_b32_e32 v1, v3, v1
	global_store_dword v[6:7], v1, off
.LBB177_2099:
	s_mov_b64 s[0:1], 0
.LBB177_2100:
	s_andn2_b64 vcc, exec, s[0:1]
	s_cbranch_vccnz .LBB177_2109
; %bb.2101:
	s_cmp_lt_i32 s2, 6
	s_mov_b64 s[0:1], -1
	s_cbranch_scc1 .LBB177_2107
; %bb.2102:
	s_cmp_gt_i32 s2, 6
	s_cbranch_scc0 .LBB177_2104
; %bb.2103:
	v_cvt_f64_f32_e32 v[16:17], v8
	global_store_dwordx2 v[6:7], v[16:17], off
	s_mov_b64 s[0:1], 0
.LBB177_2104:
	s_andn2_b64 vcc, exec, s[0:1]
	s_cbranch_vccnz .LBB177_2106
; %bb.2105:
	global_store_dword v[6:7], v8, off
.LBB177_2106:
	s_mov_b64 s[0:1], 0
.LBB177_2107:
	s_andn2_b64 vcc, exec, s[0:1]
	s_cbranch_vccnz .LBB177_2109
; %bb.2108:
	v_cvt_f16_f32_e32 v1, v8
	global_store_short v[6:7], v1, off
.LBB177_2109:
	s_mov_b64 s[0:1], 0
.LBB177_2110:
	s_andn2_b64 vcc, exec, s[0:1]
	s_cbranch_vccnz .LBB177_2126
; %bb.2111:
	s_cmp_lt_i32 s2, 2
	s_mov_b64 s[0:1], -1
	s_cbranch_scc1 .LBB177_2121
; %bb.2112:
	s_cmp_lt_i32 s2, 3
	s_cbranch_scc1 .LBB177_2118
; %bb.2113:
	s_cmp_gt_i32 s2, 3
	s_cbranch_scc0 .LBB177_2115
; %bb.2114:
	v_trunc_f32_e32 v1, v8
	s_mov_b32 s0, 0x2f800000
	v_mul_f32_e64 v3, |v1|, s0
	v_floor_f32_e32 v3, v3
	s_mov_b32 s0, 0xcf800000
	v_cvt_u32_f32_e32 v5, v3
	v_fma_f32 v3, v3, s0, |v1|
	v_cvt_u32_f32_e32 v3, v3
	v_ashrrev_i32_e32 v1, 31, v1
	v_xor_b32_e32 v5, v5, v1
	s_mov_b64 s[0:1], 0
	v_xor_b32_e32 v3, v3, v1
	v_sub_co_u32_e32 v16, vcc, v3, v1
	s_nop 1
	v_subb_co_u32_e32 v17, vcc, v5, v1, vcc
	global_store_dwordx2 v[6:7], v[16:17], off
.LBB177_2115:
	s_andn2_b64 vcc, exec, s[0:1]
	s_cbranch_vccnz .LBB177_2117
; %bb.2116:
	v_cvt_i32_f32_e32 v1, v8
	global_store_dword v[6:7], v1, off
.LBB177_2117:
	s_mov_b64 s[0:1], 0
.LBB177_2118:
	s_andn2_b64 vcc, exec, s[0:1]
	s_cbranch_vccnz .LBB177_2120
; %bb.2119:
	v_cvt_i32_f32_e32 v1, v8
	global_store_short v[6:7], v1, off
.LBB177_2120:
	s_mov_b64 s[0:1], 0
.LBB177_2121:
	s_andn2_b64 vcc, exec, s[0:1]
	s_cbranch_vccnz .LBB177_2126
; %bb.2122:
	s_cmp_gt_i32 s2, 0
	s_mov_b64 s[0:1], -1
	s_cbranch_scc0 .LBB177_2124
; %bb.2123:
	v_cvt_i32_f32_e32 v1, v8
	s_mov_b64 s[0:1], 0
	global_store_byte v[6:7], v1, off
.LBB177_2124:
	s_andn2_b64 vcc, exec, s[0:1]
	s_cbranch_vccnz .LBB177_2126
; %bb.2125:
	v_trunc_f32_e32 v1, v8
	s_mov_b32 s0, 0x2f800000
	v_mul_f32_e64 v3, |v1|, s0
	v_floor_f32_e32 v3, v3
	s_mov_b32 s0, 0xcf800000
	v_fma_f32 v3, v3, s0, |v1|
	v_cvt_u32_f32_e32 v3, v3
	v_ashrrev_i32_e32 v1, 31, v1
	v_xor_b32_e32 v3, v3, v1
	v_sub_u32_e32 v1, v3, v1
	global_store_byte v[6:7], v1, off
.LBB177_2126:
	s_mov_b64 s[6:7], -1
.LBB177_2127:
	s_andn2_b64 vcc, exec, s[6:7]
	s_cbranch_vccnz .LBB177_2442
; %bb.2128:
	s_lshr_b32 s0, s22, 8
	s_and_b32 s18, s0, 0xff
	v_mov_b32_e32 v5, 0
	s_cmp_lt_i32 s18, 11
	v_lshl_add_u64 v[4:5], s[4:5], 0, v[4:5]
	s_cbranch_scc1 .LBB177_2206
; %bb.2129:
	s_and_b32 s19, 0xffff, s18
	s_mov_b64 s[10:11], -1
	s_mov_b64 s[2:3], 0
	s_cmp_gt_i32 s19, 25
	s_mov_b64 s[6:7], 0
	s_mov_b64 s[0:1], 0
	s_cbranch_scc0 .LBB177_2162
; %bb.2130:
	s_cmp_gt_i32 s19, 28
	s_cbranch_scc0 .LBB177_2145
; %bb.2131:
	s_cmp_gt_i32 s19, 43
	;; [unrolled: 3-line block ×3, first 2 shown]
	s_cbranch_scc0 .LBB177_2135
; %bb.2133:
	s_mov_b64 s[0:1], -1
	s_mov_b64 s[10:11], 0
	s_cmp_eq_u32 s19, 46
	s_cbranch_scc0 .LBB177_2135
; %bb.2134:
	v_mov_b32_e32 v1, 1
	v_and_b32_sdwa v3, v11, v1 dst_sel:DWORD dst_unused:UNUSED_PAD src0_sel:WORD_1 src1_sel:DWORD
	v_and_b32_sdwa v1, v10, v1 dst_sel:DWORD dst_unused:UNUSED_PAD src0_sel:WORD_1 src1_sel:DWORD
	s_movk_i32 s0, 0x7fff
	v_add3_u32 v1, v10, v1, s0
	v_add3_u32 v3, v11, v3, s0
	v_cmp_o_f32_e32 vcc, v10, v10
	v_mov_b32_e32 v6, 0x7fc0
	v_and_b32_e32 v3, 0xffff0000, v3
	v_cndmask_b32_sdwa v1, v6, v1, vcc dst_sel:DWORD dst_unused:UNUSED_PAD src0_sel:DWORD src1_sel:WORD_1
	v_mov_b32_e32 v6, 0x7fc00000
	v_cmp_o_f32_e32 vcc, v11, v11
	s_mov_b64 s[0:1], 0
	s_mov_b64 s[6:7], -1
	v_cndmask_b32_e32 v3, v6, v3, vcc
	v_or_b32_e32 v1, v3, v1
	global_store_dword v[4:5], v1, off
.LBB177_2135:
	s_and_b64 vcc, exec, s[10:11]
	s_cbranch_vccz .LBB177_2140
; %bb.2136:
	s_cmp_eq_u32 s19, 44
	s_mov_b64 s[0:1], -1
	s_cbranch_scc0 .LBB177_2140
; %bb.2137:
	v_bfe_u32 v1, v10, 23, 8
	s_movk_i32 s0, 0xff
	v_cmp_ne_u32_e32 vcc, s0, v1
	v_mov_b32_e32 v3, 0xff
	s_and_saveexec_b64 s[6:7], vcc
; %bb.2138:
	s_mov_b32 s0, 0x3fffff
	v_and_b32_e32 v6, 0x400000, v10
	v_and_or_b32 v1, v10, s0, v1
	v_cmp_ne_u32_e32 vcc, 0, v6
	v_cmp_ne_u32_e64 s[0:1], 0, v1
	s_and_b64 s[0:1], vcc, s[0:1]
	v_lshrrev_b32_e32 v3, 23, v10
	v_cndmask_b32_e64 v1, 0, 1, s[0:1]
	v_add_u32_e32 v3, v3, v1
; %bb.2139:
	s_or_b64 exec, exec, s[6:7]
	s_mov_b64 s[0:1], 0
	s_mov_b64 s[6:7], -1
	global_store_byte v[4:5], v3, off
.LBB177_2140:
	s_mov_b64 s[10:11], 0
.LBB177_2141:
	s_and_b64 vcc, exec, s[10:11]
	s_cbranch_vccz .LBB177_2144
; %bb.2142:
	s_cmp_eq_u32 s19, 29
	s_mov_b64 s[0:1], -1
	s_cbranch_scc0 .LBB177_2144
; %bb.2143:
	v_trunc_f32_e32 v1, v10
	v_mul_f32_e32 v3, 0x2f800000, v1
	v_floor_f32_e32 v3, v3
	v_fmamk_f32 v1, v3, 0xcf800000, v1
	v_cvt_u32_f32_e32 v7, v3
	v_cvt_u32_f32_e32 v6, v1
	s_mov_b64 s[0:1], 0
	s_mov_b64 s[6:7], -1
	global_store_dwordx2 v[4:5], v[6:7], off
.LBB177_2144:
	s_mov_b64 s[10:11], 0
.LBB177_2145:
	s_and_b64 vcc, exec, s[10:11]
	s_cbranch_vccz .LBB177_2161
; %bb.2146:
	s_cmp_lt_i32 s19, 27
	s_mov_b64 s[6:7], -1
	s_cbranch_scc1 .LBB177_2152
; %bb.2147:
	s_cmp_gt_i32 s19, 27
	s_cbranch_scc0 .LBB177_2149
; %bb.2148:
	v_cvt_u32_f32_e32 v1, v10
	s_mov_b64 s[6:7], 0
	global_store_dword v[4:5], v1, off
.LBB177_2149:
	s_andn2_b64 vcc, exec, s[6:7]
	s_cbranch_vccnz .LBB177_2151
; %bb.2150:
	v_cvt_u32_f32_e32 v1, v10
	global_store_short v[4:5], v1, off
.LBB177_2151:
	s_mov_b64 s[6:7], 0
.LBB177_2152:
	s_andn2_b64 vcc, exec, s[6:7]
	s_cbranch_vccnz .LBB177_2160
; %bb.2153:
	v_and_b32_e32 v1, 0x7fffffff, v10
	s_mov_b32 s6, 0x43800000
	v_cmp_gt_u32_e32 vcc, s6, v1
	v_mov_b32_e32 v3, 0x80
	s_and_saveexec_b64 s[6:7], vcc
	s_cbranch_execz .LBB177_2159
; %bb.2154:
	s_mov_b32 s10, 0x3bffffff
	v_cmp_lt_u32_e32 vcc, s10, v1
	s_mov_b64 s[10:11], 0
                                        ; implicit-def: $vgpr1
	s_and_saveexec_b64 s[12:13], vcc
	s_xor_b64 s[12:13], exec, s[12:13]
	s_cbranch_execz .LBB177_2454
; %bb.2155:
	v_bfe_u32 v1, v10, 20, 1
	s_mov_b32 s14, 0x487ffff
	v_add3_u32 v1, v10, v1, s14
	s_mov_b64 s[10:11], exec
	v_lshrrev_b32_e32 v1, 20, v1
	s_andn2_saveexec_b64 s[12:13], s[12:13]
	s_cbranch_execnz .LBB177_2455
.LBB177_2156:
	s_or_b64 exec, exec, s[12:13]
	v_mov_b32_e32 v3, 0
	s_and_saveexec_b64 s[12:13], s[10:11]
.LBB177_2157:
	v_lshrrev_b32_e32 v3, 24, v10
	s_movk_i32 s10, 0x80
	v_and_or_b32 v3, v3, s10, v1
.LBB177_2158:
	s_or_b64 exec, exec, s[12:13]
.LBB177_2159:
	s_or_b64 exec, exec, s[6:7]
	global_store_byte v[4:5], v3, off
.LBB177_2160:
	s_mov_b64 s[6:7], -1
.LBB177_2161:
	s_mov_b64 s[10:11], 0
.LBB177_2162:
	s_and_b64 vcc, exec, s[10:11]
	s_cbranch_vccz .LBB177_2202
; %bb.2163:
	s_cmp_gt_i32 s19, 22
	s_mov_b64 s[2:3], -1
	s_cbranch_scc0 .LBB177_2195
; %bb.2164:
	s_cmp_lt_i32 s19, 24
	s_cbranch_scc1 .LBB177_2184
; %bb.2165:
	s_cmp_gt_i32 s19, 24
	s_cbranch_scc0 .LBB177_2173
; %bb.2166:
	v_and_b32_e32 v1, 0x7fffffff, v10
	s_mov_b32 s2, 0x47800000
	v_cmp_gt_u32_e32 vcc, s2, v1
	v_mov_b32_e32 v3, 0x80
	s_and_saveexec_b64 s[2:3], vcc
	s_cbranch_execz .LBB177_2172
; %bb.2167:
	s_mov_b32 s6, 0x37ffffff
	v_cmp_lt_u32_e32 vcc, s6, v1
	s_mov_b64 s[6:7], 0
                                        ; implicit-def: $vgpr1
	s_and_saveexec_b64 s[10:11], vcc
	s_xor_b64 s[10:11], exec, s[10:11]
	s_cbranch_execz .LBB177_2459
; %bb.2168:
	v_bfe_u32 v1, v10, 21, 1
	s_mov_b32 s12, 0x88fffff
	v_add3_u32 v1, v10, v1, s12
	s_mov_b64 s[6:7], exec
	v_lshrrev_b32_e32 v1, 21, v1
	s_andn2_saveexec_b64 s[10:11], s[10:11]
	s_cbranch_execnz .LBB177_2460
.LBB177_2169:
	s_or_b64 exec, exec, s[10:11]
	v_mov_b32_e32 v3, 0
	s_and_saveexec_b64 s[10:11], s[6:7]
.LBB177_2170:
	v_lshrrev_b32_e32 v3, 24, v10
	s_movk_i32 s6, 0x80
	v_and_or_b32 v3, v3, s6, v1
.LBB177_2171:
	s_or_b64 exec, exec, s[10:11]
.LBB177_2172:
	s_or_b64 exec, exec, s[2:3]
	s_mov_b64 s[2:3], 0
	global_store_byte v[4:5], v3, off
.LBB177_2173:
	s_and_b64 vcc, exec, s[2:3]
	s_cbranch_vccz .LBB177_2183
; %bb.2174:
	v_and_b32_e32 v3, 0x7fffffff, v10
	s_mov_b32 s2, 0x43f00000
	v_cmp_gt_u32_e32 vcc, s2, v3
                                        ; implicit-def: $vgpr1
	s_and_saveexec_b64 s[2:3], vcc
	s_xor_b64 s[2:3], exec, s[2:3]
	s_cbranch_execz .LBB177_2180
; %bb.2175:
	s_mov_b32 s6, 0x3c7fffff
	v_cmp_lt_u32_e32 vcc, s6, v3
                                        ; implicit-def: $vgpr1
	s_and_saveexec_b64 s[6:7], vcc
	s_xor_b64 s[6:7], exec, s[6:7]
; %bb.2176:
	v_bfe_u32 v1, v10, 20, 1
	s_mov_b32 s10, 0x407ffff
	v_add3_u32 v1, v10, v1, s10
	v_lshrrev_b32_e32 v3, 20, v1
	v_and_b32_e32 v1, 0xff00000, v1
	s_mov_b32 s10, 0x7f00000
	v_mov_b32_e32 v6, 0x7e
	v_cmp_ne_u32_e32 vcc, s10, v1
	s_nop 1
	v_cndmask_b32_e32 v1, v6, v3, vcc
; %bb.2177:
	s_andn2_saveexec_b64 s[6:7], s[6:7]
; %bb.2178:
	s_mov_b32 s10, 0x46800000
	v_add_f32_e64 v1, |v10|, s10
; %bb.2179:
	s_or_b64 exec, exec, s[6:7]
                                        ; implicit-def: $vgpr3
.LBB177_2180:
	s_andn2_saveexec_b64 s[2:3], s[2:3]
; %bb.2181:
	s_mov_b32 s6, 0x7f800000
	v_mov_b32_e32 v1, 0x7e
	v_mov_b32_e32 v6, 0x7f
	v_cmp_lt_u32_e32 vcc, s6, v3
	s_nop 1
	v_cndmask_b32_e32 v1, v1, v6, vcc
; %bb.2182:
	s_or_b64 exec, exec, s[2:3]
	v_lshrrev_b32_e32 v3, 24, v10
	s_movk_i32 s2, 0x80
	v_and_or_b32 v1, v3, s2, v1
	global_store_byte v[4:5], v1, off
.LBB177_2183:
	s_mov_b64 s[2:3], 0
.LBB177_2184:
	s_andn2_b64 vcc, exec, s[2:3]
	s_cbranch_vccnz .LBB177_2194
; %bb.2185:
	v_and_b32_e32 v3, 0x7fffffff, v10
	s_mov_b32 s2, 0x47800000
	v_cmp_gt_u32_e32 vcc, s2, v3
                                        ; implicit-def: $vgpr1
	s_and_saveexec_b64 s[2:3], vcc
	s_xor_b64 s[2:3], exec, s[2:3]
	s_cbranch_execz .LBB177_2191
; %bb.2186:
	s_mov_b32 s6, 0x387fffff
	v_cmp_lt_u32_e32 vcc, s6, v3
                                        ; implicit-def: $vgpr1
	s_and_saveexec_b64 s[6:7], vcc
	s_xor_b64 s[6:7], exec, s[6:7]
; %bb.2187:
	v_bfe_u32 v1, v10, 21, 1
	s_mov_b32 s10, 0x80fffff
	v_add3_u32 v1, v10, v1, s10
	v_lshrrev_b32_e32 v1, 21, v1
; %bb.2188:
	s_andn2_saveexec_b64 s[6:7], s[6:7]
; %bb.2189:
	s_mov_b32 s10, 0x43000000
	v_add_f32_e64 v1, |v10|, s10
; %bb.2190:
	s_or_b64 exec, exec, s[6:7]
                                        ; implicit-def: $vgpr3
.LBB177_2191:
	s_andn2_saveexec_b64 s[2:3], s[2:3]
; %bb.2192:
	s_mov_b32 s6, 0x7f800000
	v_mov_b32_e32 v1, 0x7c
	v_mov_b32_e32 v6, 0x7f
	v_cmp_lt_u32_e32 vcc, s6, v3
	s_nop 1
	v_cndmask_b32_e32 v1, v1, v6, vcc
; %bb.2193:
	s_or_b64 exec, exec, s[2:3]
	v_lshrrev_b32_e32 v3, 24, v10
	s_movk_i32 s2, 0x80
	v_and_or_b32 v1, v3, s2, v1
	global_store_byte v[4:5], v1, off
.LBB177_2194:
	s_mov_b64 s[2:3], 0
	s_mov_b64 s[6:7], -1
.LBB177_2195:
	s_andn2_b64 vcc, exec, s[2:3]
	s_mov_b64 s[2:3], 0
	s_cbranch_vccnz .LBB177_2202
; %bb.2196:
	s_cmp_gt_i32 s19, 14
	s_mov_b64 s[10:11], -1
	s_cbranch_scc0 .LBB177_2200
; %bb.2197:
	s_cmp_eq_u32 s19, 15
	s_mov_b64 s[0:1], -1
	s_cbranch_scc0 .LBB177_2199
; %bb.2198:
	v_bfe_u32 v1, v10, 16, 1
	s_movk_i32 s0, 0x7fff
	v_add3_u32 v1, v10, v1, s0
	v_cmp_o_f32_e32 vcc, v10, v10
	v_mov_b32_e32 v3, 0x7fc0
	s_mov_b64 s[0:1], 0
	v_cndmask_b32_sdwa v1, v3, v1, vcc dst_sel:DWORD dst_unused:UNUSED_PAD src0_sel:DWORD src1_sel:WORD_1
	global_store_short v[4:5], v1, off
	s_mov_b64 s[6:7], -1
.LBB177_2199:
	s_mov_b64 s[10:11], 0
.LBB177_2200:
	s_and_b64 vcc, exec, s[10:11]
	s_cbranch_vccz .LBB177_2202
; %bb.2201:
	s_cmp_lg_u32 s19, 11
	s_mov_b64 s[2:3], -1
	s_cselect_b64 s[0:1], -1, 0
.LBB177_2202:
	s_and_b64 vcc, exec, s[0:1]
	s_cbranch_vccnz .LBB177_2458
; %bb.2203:
	s_andn2_b64 vcc, exec, s[2:3]
	s_cbranch_vccnz .LBB177_2205
.LBB177_2204:
	v_cmp_neq_f32_e32 vcc, 0, v10
	v_cmp_neq_f32_e64 s[0:1], 0, v11
	s_or_b64 s[0:1], vcc, s[0:1]
	s_mov_b64 s[6:7], -1
	v_cndmask_b32_e64 v1, 0, 1, s[0:1]
	global_store_byte v[4:5], v1, off
.LBB177_2205:
	s_mov_b64 s[0:1], 0
	s_branch .LBB177_2207
.LBB177_2206:
	s_mov_b64 s[0:1], -1
	s_mov_b64 s[6:7], 0
.LBB177_2207:
	s_and_b64 vcc, exec, s[0:1]
	s_cbranch_vccz .LBB177_2246
; %bb.2208:
	s_and_b32 s2, 0xffff, s18
	s_cmp_lt_i32 s2, 5
	s_mov_b64 s[0:1], -1
	s_cbranch_scc1 .LBB177_2229
; %bb.2209:
	s_cmp_lt_i32 s2, 8
	s_cbranch_scc1 .LBB177_2219
; %bb.2210:
	s_cmp_lt_i32 s2, 9
	s_cbranch_scc1 .LBB177_2216
; %bb.2211:
	s_cmp_gt_i32 s2, 9
	s_cbranch_scc0 .LBB177_2213
; %bb.2212:
	v_cvt_f64_f32_e32 v[6:7], v10
	v_cvt_f64_f32_e32 v[8:9], v11
	global_store_dwordx4 v[4:5], v[6:9], off
	s_mov_b64 s[0:1], 0
.LBB177_2213:
	s_andn2_b64 vcc, exec, s[0:1]
	s_cbranch_vccnz .LBB177_2215
; %bb.2214:
	global_store_dwordx2 v[4:5], v[10:11], off
.LBB177_2215:
	s_mov_b64 s[0:1], 0
.LBB177_2216:
	s_andn2_b64 vcc, exec, s[0:1]
	s_cbranch_vccnz .LBB177_2218
; %bb.2217:
	v_cvt_f16_f32_e32 v1, v10
	v_cvt_f16_f32_sdwa v3, v11 dst_sel:WORD_1 dst_unused:UNUSED_PAD src0_sel:DWORD
	s_nop 0
	v_or_b32_e32 v1, v3, v1
	global_store_dword v[4:5], v1, off
.LBB177_2218:
	s_mov_b64 s[0:1], 0
.LBB177_2219:
	s_andn2_b64 vcc, exec, s[0:1]
	s_cbranch_vccnz .LBB177_2228
; %bb.2220:
	s_cmp_lt_i32 s2, 6
	s_mov_b64 s[0:1], -1
	s_cbranch_scc1 .LBB177_2226
; %bb.2221:
	s_cmp_gt_i32 s2, 6
	s_cbranch_scc0 .LBB177_2223
; %bb.2222:
	v_cvt_f64_f32_e32 v[6:7], v10
	global_store_dwordx2 v[4:5], v[6:7], off
	s_mov_b64 s[0:1], 0
.LBB177_2223:
	s_andn2_b64 vcc, exec, s[0:1]
	s_cbranch_vccnz .LBB177_2225
; %bb.2224:
	global_store_dword v[4:5], v10, off
.LBB177_2225:
	s_mov_b64 s[0:1], 0
.LBB177_2226:
	s_andn2_b64 vcc, exec, s[0:1]
	s_cbranch_vccnz .LBB177_2228
; %bb.2227:
	v_cvt_f16_f32_e32 v1, v10
	global_store_short v[4:5], v1, off
.LBB177_2228:
	s_mov_b64 s[0:1], 0
.LBB177_2229:
	s_andn2_b64 vcc, exec, s[0:1]
	s_cbranch_vccnz .LBB177_2245
; %bb.2230:
	s_cmp_lt_i32 s2, 2
	s_mov_b64 s[0:1], -1
	s_cbranch_scc1 .LBB177_2240
; %bb.2231:
	s_cmp_lt_i32 s2, 3
	s_cbranch_scc1 .LBB177_2237
; %bb.2232:
	s_cmp_gt_i32 s2, 3
	s_cbranch_scc0 .LBB177_2234
; %bb.2233:
	v_trunc_f32_e32 v1, v10
	s_mov_b32 s0, 0x2f800000
	v_mul_f32_e64 v3, |v1|, s0
	v_floor_f32_e32 v3, v3
	s_mov_b32 s0, 0xcf800000
	v_cvt_u32_f32_e32 v6, v3
	v_fma_f32 v3, v3, s0, |v1|
	v_cvt_u32_f32_e32 v3, v3
	v_ashrrev_i32_e32 v1, 31, v1
	v_xor_b32_e32 v7, v6, v1
	s_mov_b64 s[0:1], 0
	v_xor_b32_e32 v3, v3, v1
	v_sub_co_u32_e32 v6, vcc, v3, v1
	s_nop 1
	v_subb_co_u32_e32 v7, vcc, v7, v1, vcc
	global_store_dwordx2 v[4:5], v[6:7], off
.LBB177_2234:
	s_andn2_b64 vcc, exec, s[0:1]
	s_cbranch_vccnz .LBB177_2236
; %bb.2235:
	v_cvt_i32_f32_e32 v1, v10
	global_store_dword v[4:5], v1, off
.LBB177_2236:
	s_mov_b64 s[0:1], 0
.LBB177_2237:
	s_andn2_b64 vcc, exec, s[0:1]
	s_cbranch_vccnz .LBB177_2239
; %bb.2238:
	v_cvt_i32_f32_e32 v1, v10
	global_store_short v[4:5], v1, off
.LBB177_2239:
	s_mov_b64 s[0:1], 0
.LBB177_2240:
	s_andn2_b64 vcc, exec, s[0:1]
	s_cbranch_vccnz .LBB177_2245
; %bb.2241:
	s_cmp_gt_i32 s2, 0
	s_mov_b64 s[0:1], -1
	s_cbranch_scc0 .LBB177_2243
; %bb.2242:
	v_cvt_i32_f32_e32 v1, v10
	s_mov_b64 s[0:1], 0
	global_store_byte v[4:5], v1, off
.LBB177_2243:
	s_andn2_b64 vcc, exec, s[0:1]
	s_cbranch_vccnz .LBB177_2245
; %bb.2244:
	v_trunc_f32_e32 v1, v10
	s_mov_b32 s0, 0x2f800000
	v_mul_f32_e64 v3, |v1|, s0
	v_floor_f32_e32 v3, v3
	s_mov_b32 s0, 0xcf800000
	v_fma_f32 v3, v3, s0, |v1|
	v_cvt_u32_f32_e32 v3, v3
	v_ashrrev_i32_e32 v1, 31, v1
	v_xor_b32_e32 v3, v3, v1
	v_sub_u32_e32 v1, v3, v1
	global_store_byte v[4:5], v1, off
.LBB177_2245:
	s_mov_b64 s[6:7], -1
.LBB177_2246:
	s_andn2_b64 vcc, exec, s[6:7]
	s_cbranch_vccnz .LBB177_2442
; %bb.2247:
	v_mov_b32_e32 v3, 0
	s_cmp_lt_i32 s18, 11
	v_lshl_add_u64 v[2:3], s[4:5], 0, v[2:3]
	s_cbranch_scc1 .LBB177_2325
; %bb.2248:
	s_and_b32 s19, 0xffff, s18
	s_mov_b64 s[10:11], -1
	s_mov_b64 s[2:3], 0
	s_cmp_gt_i32 s19, 25
	s_mov_b64 s[6:7], 0
	s_mov_b64 s[0:1], 0
	s_cbranch_scc0 .LBB177_2281
; %bb.2249:
	s_cmp_gt_i32 s19, 28
	s_cbranch_scc0 .LBB177_2264
; %bb.2250:
	s_cmp_gt_i32 s19, 43
	;; [unrolled: 3-line block ×3, first 2 shown]
	s_cbranch_scc0 .LBB177_2254
; %bb.2252:
	s_mov_b64 s[0:1], -1
	s_mov_b64 s[10:11], 0
	s_cmp_eq_u32 s19, 46
	s_cbranch_scc0 .LBB177_2254
; %bb.2253:
	v_mov_b32_e32 v1, 1
	v_and_b32_sdwa v4, v15, v1 dst_sel:DWORD dst_unused:UNUSED_PAD src0_sel:WORD_1 src1_sel:DWORD
	v_and_b32_sdwa v1, v14, v1 dst_sel:DWORD dst_unused:UNUSED_PAD src0_sel:WORD_1 src1_sel:DWORD
	s_movk_i32 s0, 0x7fff
	v_add3_u32 v1, v14, v1, s0
	v_add3_u32 v4, v15, v4, s0
	v_cmp_o_f32_e32 vcc, v14, v14
	v_mov_b32_e32 v5, 0x7fc0
	v_and_b32_e32 v4, 0xffff0000, v4
	v_cndmask_b32_sdwa v1, v5, v1, vcc dst_sel:DWORD dst_unused:UNUSED_PAD src0_sel:DWORD src1_sel:WORD_1
	v_mov_b32_e32 v5, 0x7fc00000
	v_cmp_o_f32_e32 vcc, v15, v15
	s_mov_b64 s[0:1], 0
	s_mov_b64 s[6:7], -1
	v_cndmask_b32_e32 v4, v5, v4, vcc
	v_or_b32_e32 v1, v4, v1
	global_store_dword v[2:3], v1, off
.LBB177_2254:
	s_and_b64 vcc, exec, s[10:11]
	s_cbranch_vccz .LBB177_2259
; %bb.2255:
	s_cmp_eq_u32 s19, 44
	s_mov_b64 s[0:1], -1
	s_cbranch_scc0 .LBB177_2259
; %bb.2256:
	v_bfe_u32 v1, v14, 23, 8
	s_movk_i32 s0, 0xff
	v_cmp_ne_u32_e32 vcc, s0, v1
	v_mov_b32_e32 v4, 0xff
	s_and_saveexec_b64 s[6:7], vcc
; %bb.2257:
	s_mov_b32 s0, 0x3fffff
	v_and_b32_e32 v5, 0x400000, v14
	v_and_or_b32 v1, v14, s0, v1
	v_cmp_ne_u32_e32 vcc, 0, v5
	v_cmp_ne_u32_e64 s[0:1], 0, v1
	s_and_b64 s[0:1], vcc, s[0:1]
	v_lshrrev_b32_e32 v4, 23, v14
	v_cndmask_b32_e64 v1, 0, 1, s[0:1]
	v_add_u32_e32 v4, v4, v1
; %bb.2258:
	s_or_b64 exec, exec, s[6:7]
	s_mov_b64 s[0:1], 0
	s_mov_b64 s[6:7], -1
	global_store_byte v[2:3], v4, off
.LBB177_2259:
	s_mov_b64 s[10:11], 0
.LBB177_2260:
	s_and_b64 vcc, exec, s[10:11]
	s_cbranch_vccz .LBB177_2263
; %bb.2261:
	s_cmp_eq_u32 s19, 29
	s_mov_b64 s[0:1], -1
	s_cbranch_scc0 .LBB177_2263
; %bb.2262:
	v_trunc_f32_e32 v1, v14
	v_mul_f32_e32 v4, 0x2f800000, v1
	v_floor_f32_e32 v4, v4
	v_fmamk_f32 v1, v4, 0xcf800000, v1
	v_cvt_u32_f32_e32 v5, v4
	v_cvt_u32_f32_e32 v4, v1
	s_mov_b64 s[0:1], 0
	s_mov_b64 s[6:7], -1
	global_store_dwordx2 v[2:3], v[4:5], off
.LBB177_2263:
	s_mov_b64 s[10:11], 0
.LBB177_2264:
	s_and_b64 vcc, exec, s[10:11]
	s_cbranch_vccz .LBB177_2280
; %bb.2265:
	s_cmp_lt_i32 s19, 27
	s_mov_b64 s[6:7], -1
	s_cbranch_scc1 .LBB177_2271
; %bb.2266:
	v_cvt_u32_f32_e32 v1, v14
	s_cmp_gt_i32 s19, 27
	s_cbranch_scc0 .LBB177_2268
; %bb.2267:
	s_mov_b64 s[6:7], 0
	global_store_dword v[2:3], v1, off
.LBB177_2268:
	s_andn2_b64 vcc, exec, s[6:7]
	s_cbranch_vccnz .LBB177_2270
; %bb.2269:
	global_store_short v[2:3], v1, off
.LBB177_2270:
	s_mov_b64 s[6:7], 0
.LBB177_2271:
	s_andn2_b64 vcc, exec, s[6:7]
	s_cbranch_vccnz .LBB177_2279
; %bb.2272:
	v_and_b32_e32 v1, 0x7fffffff, v14
	s_mov_b32 s6, 0x43800000
	v_cmp_gt_u32_e32 vcc, s6, v1
	v_mov_b32_e32 v4, 0x80
	s_and_saveexec_b64 s[6:7], vcc
	s_cbranch_execz .LBB177_2278
; %bb.2273:
	s_mov_b32 s10, 0x3bffffff
	v_cmp_lt_u32_e32 vcc, s10, v1
	s_mov_b64 s[10:11], 0
                                        ; implicit-def: $vgpr1
	s_and_saveexec_b64 s[12:13], vcc
	s_xor_b64 s[12:13], exec, s[12:13]
	s_cbranch_execz .LBB177_2463
; %bb.2274:
	v_bfe_u32 v1, v14, 20, 1
	s_mov_b32 s14, 0x487ffff
	v_add3_u32 v1, v14, v1, s14
	s_mov_b64 s[10:11], exec
	v_lshrrev_b32_e32 v1, 20, v1
	s_andn2_saveexec_b64 s[12:13], s[12:13]
	s_cbranch_execnz .LBB177_2464
.LBB177_2275:
	s_or_b64 exec, exec, s[12:13]
	v_mov_b32_e32 v4, 0
	s_and_saveexec_b64 s[12:13], s[10:11]
.LBB177_2276:
	v_lshrrev_b32_e32 v4, 24, v14
	s_movk_i32 s10, 0x80
	v_and_or_b32 v4, v4, s10, v1
.LBB177_2277:
	s_or_b64 exec, exec, s[12:13]
.LBB177_2278:
	s_or_b64 exec, exec, s[6:7]
	global_store_byte v[2:3], v4, off
.LBB177_2279:
	s_mov_b64 s[6:7], -1
.LBB177_2280:
	s_mov_b64 s[10:11], 0
.LBB177_2281:
	s_and_b64 vcc, exec, s[10:11]
	s_cbranch_vccz .LBB177_2321
; %bb.2282:
	s_cmp_gt_i32 s19, 22
	s_mov_b64 s[2:3], -1
	s_cbranch_scc0 .LBB177_2314
; %bb.2283:
	s_cmp_lt_i32 s19, 24
	s_cbranch_scc1 .LBB177_2303
; %bb.2284:
	s_cmp_gt_i32 s19, 24
	s_cbranch_scc0 .LBB177_2292
; %bb.2285:
	v_and_b32_e32 v1, 0x7fffffff, v14
	s_mov_b32 s2, 0x47800000
	v_cmp_gt_u32_e32 vcc, s2, v1
	v_mov_b32_e32 v4, 0x80
	s_and_saveexec_b64 s[2:3], vcc
	s_cbranch_execz .LBB177_2291
; %bb.2286:
	s_mov_b32 s6, 0x37ffffff
	v_cmp_lt_u32_e32 vcc, s6, v1
	s_mov_b64 s[6:7], 0
                                        ; implicit-def: $vgpr1
	s_and_saveexec_b64 s[10:11], vcc
	s_xor_b64 s[10:11], exec, s[10:11]
	s_cbranch_execz .LBB177_2468
; %bb.2287:
	v_bfe_u32 v1, v14, 21, 1
	s_mov_b32 s12, 0x88fffff
	v_add3_u32 v1, v14, v1, s12
	s_mov_b64 s[6:7], exec
	v_lshrrev_b32_e32 v1, 21, v1
	s_andn2_saveexec_b64 s[10:11], s[10:11]
	s_cbranch_execnz .LBB177_2469
.LBB177_2288:
	s_or_b64 exec, exec, s[10:11]
	v_mov_b32_e32 v4, 0
	s_and_saveexec_b64 s[10:11], s[6:7]
.LBB177_2289:
	v_lshrrev_b32_e32 v4, 24, v14
	s_movk_i32 s6, 0x80
	v_and_or_b32 v4, v4, s6, v1
.LBB177_2290:
	s_or_b64 exec, exec, s[10:11]
.LBB177_2291:
	s_or_b64 exec, exec, s[2:3]
	s_mov_b64 s[2:3], 0
	global_store_byte v[2:3], v4, off
.LBB177_2292:
	s_and_b64 vcc, exec, s[2:3]
	s_cbranch_vccz .LBB177_2302
; %bb.2293:
	v_and_b32_e32 v4, 0x7fffffff, v14
	s_mov_b32 s2, 0x43f00000
	v_cmp_gt_u32_e32 vcc, s2, v4
                                        ; implicit-def: $vgpr1
	s_and_saveexec_b64 s[2:3], vcc
	s_xor_b64 s[2:3], exec, s[2:3]
	s_cbranch_execz .LBB177_2299
; %bb.2294:
	s_mov_b32 s6, 0x3c7fffff
	v_cmp_lt_u32_e32 vcc, s6, v4
                                        ; implicit-def: $vgpr1
	s_and_saveexec_b64 s[6:7], vcc
	s_xor_b64 s[6:7], exec, s[6:7]
; %bb.2295:
	v_bfe_u32 v1, v14, 20, 1
	s_mov_b32 s10, 0x407ffff
	v_add3_u32 v1, v14, v1, s10
	v_lshrrev_b32_e32 v4, 20, v1
	v_and_b32_e32 v1, 0xff00000, v1
	s_mov_b32 s10, 0x7f00000
	v_mov_b32_e32 v5, 0x7e
	v_cmp_ne_u32_e32 vcc, s10, v1
	s_nop 1
	v_cndmask_b32_e32 v1, v5, v4, vcc
; %bb.2296:
	s_andn2_saveexec_b64 s[6:7], s[6:7]
; %bb.2297:
	s_mov_b32 s10, 0x46800000
	v_add_f32_e64 v1, |v14|, s10
; %bb.2298:
	s_or_b64 exec, exec, s[6:7]
                                        ; implicit-def: $vgpr4
.LBB177_2299:
	s_andn2_saveexec_b64 s[2:3], s[2:3]
; %bb.2300:
	s_mov_b32 s6, 0x7f800000
	v_mov_b32_e32 v1, 0x7e
	v_mov_b32_e32 v5, 0x7f
	v_cmp_lt_u32_e32 vcc, s6, v4
	s_nop 1
	v_cndmask_b32_e32 v1, v1, v5, vcc
; %bb.2301:
	s_or_b64 exec, exec, s[2:3]
	v_lshrrev_b32_e32 v4, 24, v14
	s_movk_i32 s2, 0x80
	v_and_or_b32 v1, v4, s2, v1
	global_store_byte v[2:3], v1, off
.LBB177_2302:
	s_mov_b64 s[2:3], 0
.LBB177_2303:
	s_andn2_b64 vcc, exec, s[2:3]
	s_cbranch_vccnz .LBB177_2313
; %bb.2304:
	v_and_b32_e32 v4, 0x7fffffff, v14
	s_mov_b32 s2, 0x47800000
	v_cmp_gt_u32_e32 vcc, s2, v4
                                        ; implicit-def: $vgpr1
	s_and_saveexec_b64 s[2:3], vcc
	s_xor_b64 s[2:3], exec, s[2:3]
	s_cbranch_execz .LBB177_2310
; %bb.2305:
	s_mov_b32 s6, 0x387fffff
	v_cmp_lt_u32_e32 vcc, s6, v4
                                        ; implicit-def: $vgpr1
	s_and_saveexec_b64 s[6:7], vcc
	s_xor_b64 s[6:7], exec, s[6:7]
; %bb.2306:
	v_bfe_u32 v1, v14, 21, 1
	s_mov_b32 s10, 0x80fffff
	v_add3_u32 v1, v14, v1, s10
	v_lshrrev_b32_e32 v1, 21, v1
; %bb.2307:
	s_andn2_saveexec_b64 s[6:7], s[6:7]
; %bb.2308:
	s_mov_b32 s10, 0x43000000
	v_add_f32_e64 v1, |v14|, s10
; %bb.2309:
	s_or_b64 exec, exec, s[6:7]
                                        ; implicit-def: $vgpr4
.LBB177_2310:
	s_andn2_saveexec_b64 s[2:3], s[2:3]
; %bb.2311:
	s_mov_b32 s6, 0x7f800000
	v_mov_b32_e32 v1, 0x7c
	v_mov_b32_e32 v5, 0x7f
	v_cmp_lt_u32_e32 vcc, s6, v4
	s_nop 1
	v_cndmask_b32_e32 v1, v1, v5, vcc
; %bb.2312:
	s_or_b64 exec, exec, s[2:3]
	v_lshrrev_b32_e32 v4, 24, v14
	s_movk_i32 s2, 0x80
	v_and_or_b32 v1, v4, s2, v1
	global_store_byte v[2:3], v1, off
.LBB177_2313:
	s_mov_b64 s[2:3], 0
	s_mov_b64 s[6:7], -1
.LBB177_2314:
	s_andn2_b64 vcc, exec, s[2:3]
	s_mov_b64 s[2:3], 0
	s_cbranch_vccnz .LBB177_2321
; %bb.2315:
	s_cmp_gt_i32 s19, 14
	s_mov_b64 s[10:11], -1
	s_cbranch_scc0 .LBB177_2319
; %bb.2316:
	s_cmp_eq_u32 s19, 15
	s_mov_b64 s[0:1], -1
	s_cbranch_scc0 .LBB177_2318
; %bb.2317:
	v_bfe_u32 v1, v14, 16, 1
	s_movk_i32 s0, 0x7fff
	v_add3_u32 v1, v14, v1, s0
	v_cmp_o_f32_e32 vcc, v14, v14
	v_mov_b32_e32 v4, 0x7fc0
	s_mov_b64 s[0:1], 0
	v_cndmask_b32_sdwa v1, v4, v1, vcc dst_sel:DWORD dst_unused:UNUSED_PAD src0_sel:DWORD src1_sel:WORD_1
	global_store_short v[2:3], v1, off
	s_mov_b64 s[6:7], -1
.LBB177_2318:
	s_mov_b64 s[10:11], 0
.LBB177_2319:
	s_and_b64 vcc, exec, s[10:11]
	s_cbranch_vccz .LBB177_2321
; %bb.2320:
	s_cmp_lg_u32 s19, 11
	s_mov_b64 s[2:3], -1
	s_cselect_b64 s[0:1], -1, 0
.LBB177_2321:
	s_and_b64 vcc, exec, s[0:1]
	s_cbranch_vccnz .LBB177_2467
; %bb.2322:
	s_andn2_b64 vcc, exec, s[2:3]
	s_cbranch_vccnz .LBB177_2324
.LBB177_2323:
	v_cmp_neq_f32_e32 vcc, 0, v14
	v_cmp_neq_f32_e64 s[0:1], 0, v15
	s_or_b64 s[0:1], vcc, s[0:1]
	s_mov_b64 s[6:7], -1
	v_cndmask_b32_e64 v1, 0, 1, s[0:1]
	global_store_byte v[2:3], v1, off
.LBB177_2324:
	s_mov_b64 s[0:1], 0
	s_branch .LBB177_2326
.LBB177_2325:
	s_mov_b64 s[0:1], -1
	s_mov_b64 s[6:7], 0
.LBB177_2326:
	s_and_b64 vcc, exec, s[0:1]
	s_cbranch_vccz .LBB177_2365
; %bb.2327:
	s_and_b32 s2, 0xffff, s18
	s_cmp_lt_i32 s2, 5
	s_mov_b64 s[0:1], -1
	s_cbranch_scc1 .LBB177_2348
; %bb.2328:
	s_cmp_lt_i32 s2, 8
	s_cbranch_scc1 .LBB177_2338
; %bb.2329:
	s_cmp_lt_i32 s2, 9
	s_cbranch_scc1 .LBB177_2335
; %bb.2330:
	s_cmp_gt_i32 s2, 9
	s_cbranch_scc0 .LBB177_2332
; %bb.2331:
	v_cvt_f64_f32_e32 v[4:5], v14
	v_cvt_f64_f32_e32 v[6:7], v15
	global_store_dwordx4 v[2:3], v[4:7], off
	s_mov_b64 s[0:1], 0
.LBB177_2332:
	s_andn2_b64 vcc, exec, s[0:1]
	s_cbranch_vccnz .LBB177_2334
; %bb.2333:
	global_store_dwordx2 v[2:3], v[14:15], off
.LBB177_2334:
	s_mov_b64 s[0:1], 0
.LBB177_2335:
	s_andn2_b64 vcc, exec, s[0:1]
	s_cbranch_vccnz .LBB177_2337
; %bb.2336:
	v_cvt_f16_f32_e32 v1, v14
	v_cvt_f16_f32_sdwa v4, v15 dst_sel:WORD_1 dst_unused:UNUSED_PAD src0_sel:DWORD
	s_nop 0
	v_or_b32_e32 v1, v4, v1
	global_store_dword v[2:3], v1, off
.LBB177_2337:
	s_mov_b64 s[0:1], 0
.LBB177_2338:
	s_andn2_b64 vcc, exec, s[0:1]
	s_cbranch_vccnz .LBB177_2347
; %bb.2339:
	s_cmp_lt_i32 s2, 6
	s_mov_b64 s[0:1], -1
	s_cbranch_scc1 .LBB177_2345
; %bb.2340:
	s_cmp_gt_i32 s2, 6
	s_cbranch_scc0 .LBB177_2342
; %bb.2341:
	v_cvt_f64_f32_e32 v[4:5], v14
	global_store_dwordx2 v[2:3], v[4:5], off
	s_mov_b64 s[0:1], 0
.LBB177_2342:
	s_andn2_b64 vcc, exec, s[0:1]
	s_cbranch_vccnz .LBB177_2344
; %bb.2343:
	global_store_dword v[2:3], v14, off
.LBB177_2344:
	s_mov_b64 s[0:1], 0
.LBB177_2345:
	s_andn2_b64 vcc, exec, s[0:1]
	s_cbranch_vccnz .LBB177_2347
; %bb.2346:
	v_cvt_f16_f32_e32 v1, v14
	global_store_short v[2:3], v1, off
.LBB177_2347:
	s_mov_b64 s[0:1], 0
.LBB177_2348:
	s_andn2_b64 vcc, exec, s[0:1]
	s_cbranch_vccnz .LBB177_2364
; %bb.2349:
	s_cmp_lt_i32 s2, 2
	s_mov_b64 s[0:1], -1
	s_cbranch_scc1 .LBB177_2359
; %bb.2350:
	s_cmp_lt_i32 s2, 3
	s_cbranch_scc1 .LBB177_2356
; %bb.2351:
	s_cmp_gt_i32 s2, 3
	s_cbranch_scc0 .LBB177_2353
; %bb.2352:
	v_trunc_f32_e32 v1, v14
	s_mov_b32 s0, 0x2f800000
	v_mul_f32_e64 v4, |v1|, s0
	v_floor_f32_e32 v4, v4
	s_mov_b32 s0, 0xcf800000
	v_cvt_u32_f32_e32 v5, v4
	v_fma_f32 v4, v4, s0, |v1|
	v_cvt_u32_f32_e32 v4, v4
	v_ashrrev_i32_e32 v1, 31, v1
	v_xor_b32_e32 v5, v5, v1
	s_mov_b64 s[0:1], 0
	v_xor_b32_e32 v4, v4, v1
	v_sub_co_u32_e32 v4, vcc, v4, v1
	s_nop 1
	v_subb_co_u32_e32 v5, vcc, v5, v1, vcc
	global_store_dwordx2 v[2:3], v[4:5], off
.LBB177_2353:
	s_andn2_b64 vcc, exec, s[0:1]
	s_cbranch_vccnz .LBB177_2355
; %bb.2354:
	v_cvt_i32_f32_e32 v1, v14
	global_store_dword v[2:3], v1, off
.LBB177_2355:
	s_mov_b64 s[0:1], 0
.LBB177_2356:
	s_andn2_b64 vcc, exec, s[0:1]
	s_cbranch_vccnz .LBB177_2358
; %bb.2357:
	v_cvt_i32_f32_e32 v1, v14
	global_store_short v[2:3], v1, off
.LBB177_2358:
	s_mov_b64 s[0:1], 0
.LBB177_2359:
	s_andn2_b64 vcc, exec, s[0:1]
	s_cbranch_vccnz .LBB177_2364
; %bb.2360:
	s_cmp_gt_i32 s2, 0
	s_mov_b64 s[0:1], -1
	s_cbranch_scc0 .LBB177_2362
; %bb.2361:
	v_cvt_i32_f32_e32 v1, v14
	s_mov_b64 s[0:1], 0
	global_store_byte v[2:3], v1, off
.LBB177_2362:
	s_andn2_b64 vcc, exec, s[0:1]
	s_cbranch_vccnz .LBB177_2364
; %bb.2363:
	v_trunc_f32_e32 v1, v14
	s_mov_b32 s0, 0x2f800000
	v_mul_f32_e64 v4, |v1|, s0
	v_floor_f32_e32 v4, v4
	s_mov_b32 s0, 0xcf800000
	v_fma_f32 v4, v4, s0, |v1|
	v_cvt_u32_f32_e32 v4, v4
	v_ashrrev_i32_e32 v1, 31, v1
	v_xor_b32_e32 v4, v4, v1
	v_sub_u32_e32 v1, v4, v1
	global_store_byte v[2:3], v1, off
.LBB177_2364:
	s_mov_b64 s[6:7], -1
.LBB177_2365:
	s_andn2_b64 vcc, exec, s[6:7]
	s_cbranch_vccnz .LBB177_2442
; %bb.2366:
	v_mov_b32_e32 v1, 0
	s_cmp_lt_i32 s18, 11
	v_lshl_add_u64 v[0:1], s[4:5], 0, v[0:1]
	s_cbranch_scc1 .LBB177_2443
; %bb.2367:
	s_and_b32 s16, 0xffff, s18
	s_mov_b64 s[4:5], -1
	s_mov_b64 s[2:3], 0
	s_cmp_gt_i32 s16, 25
	s_mov_b64 s[0:1], 0
	s_cbranch_scc0 .LBB177_2400
; %bb.2368:
	s_cmp_gt_i32 s16, 28
	s_cbranch_scc0 .LBB177_2384
; %bb.2369:
	s_cmp_gt_i32 s16, 43
	;; [unrolled: 3-line block ×3, first 2 shown]
	s_cbranch_scc0 .LBB177_2374
; %bb.2371:
	s_cmp_eq_u32 s16, 46
	s_mov_b64 s[0:1], -1
	s_cbranch_scc0 .LBB177_2373
; %bb.2372:
	v_mov_b32_e32 v2, 1
	v_and_b32_sdwa v3, v13, v2 dst_sel:DWORD dst_unused:UNUSED_PAD src0_sel:WORD_1 src1_sel:DWORD
	v_and_b32_sdwa v2, v12, v2 dst_sel:DWORD dst_unused:UNUSED_PAD src0_sel:WORD_1 src1_sel:DWORD
	s_movk_i32 s0, 0x7fff
	v_add3_u32 v2, v12, v2, s0
	v_add3_u32 v3, v13, v3, s0
	v_cmp_o_f32_e32 vcc, v12, v12
	v_mov_b32_e32 v4, 0x7fc0
	v_and_b32_e32 v3, 0xffff0000, v3
	v_cndmask_b32_sdwa v2, v4, v2, vcc dst_sel:DWORD dst_unused:UNUSED_PAD src0_sel:DWORD src1_sel:WORD_1
	v_mov_b32_e32 v4, 0x7fc00000
	v_cmp_o_f32_e32 vcc, v13, v13
	s_mov_b64 s[0:1], 0
	s_nop 0
	v_cndmask_b32_e32 v3, v4, v3, vcc
	v_or_b32_e32 v2, v3, v2
	global_store_dword v[0:1], v2, off
.LBB177_2373:
	s_mov_b64 s[4:5], 0
.LBB177_2374:
	s_and_b64 vcc, exec, s[4:5]
	s_cbranch_vccz .LBB177_2379
; %bb.2375:
	s_cmp_eq_u32 s16, 44
	s_mov_b64 s[0:1], -1
	s_cbranch_scc0 .LBB177_2379
; %bb.2376:
	v_bfe_u32 v2, v12, 23, 8
	s_movk_i32 s0, 0xff
	v_cmp_ne_u32_e32 vcc, s0, v2
	v_mov_b32_e32 v3, 0xff
	s_and_saveexec_b64 s[4:5], vcc
; %bb.2377:
	s_mov_b32 s0, 0x3fffff
	v_and_b32_e32 v4, 0x400000, v12
	v_and_or_b32 v2, v12, s0, v2
	v_cmp_ne_u32_e32 vcc, 0, v4
	v_cmp_ne_u32_e64 s[0:1], 0, v2
	s_and_b64 s[0:1], vcc, s[0:1]
	v_lshrrev_b32_e32 v3, 23, v12
	v_cndmask_b32_e64 v2, 0, 1, s[0:1]
	v_add_u32_e32 v3, v3, v2
; %bb.2378:
	s_or_b64 exec, exec, s[4:5]
	s_mov_b64 s[0:1], 0
	global_store_byte v[0:1], v3, off
.LBB177_2379:
	s_mov_b64 s[4:5], 0
.LBB177_2380:
	s_and_b64 vcc, exec, s[4:5]
	s_cbranch_vccz .LBB177_2383
; %bb.2381:
	s_cmp_eq_u32 s16, 29
	s_mov_b64 s[0:1], -1
	s_cbranch_scc0 .LBB177_2383
; %bb.2382:
	v_trunc_f32_e32 v2, v12
	v_mul_f32_e32 v3, 0x2f800000, v2
	v_floor_f32_e32 v4, v3
	v_fmamk_f32 v2, v4, 0xcf800000, v2
	v_cvt_u32_f32_e32 v3, v4
	v_cvt_u32_f32_e32 v2, v2
	s_mov_b64 s[0:1], 0
	global_store_dwordx2 v[0:1], v[2:3], off
.LBB177_2383:
	s_mov_b64 s[4:5], 0
.LBB177_2384:
	s_and_b64 vcc, exec, s[4:5]
	s_cbranch_vccz .LBB177_2399
; %bb.2385:
	s_cmp_lt_i32 s16, 27
	s_mov_b64 s[4:5], -1
	s_cbranch_scc1 .LBB177_2391
; %bb.2386:
	s_cmp_gt_i32 s16, 27
	s_cbranch_scc0 .LBB177_2388
; %bb.2387:
	v_cvt_u32_f32_e32 v2, v12
	s_mov_b64 s[4:5], 0
	global_store_dword v[0:1], v2, off
.LBB177_2388:
	s_andn2_b64 vcc, exec, s[4:5]
	s_cbranch_vccnz .LBB177_2390
; %bb.2389:
	v_cvt_u32_f32_e32 v2, v12
	global_store_short v[0:1], v2, off
.LBB177_2390:
	s_mov_b64 s[4:5], 0
.LBB177_2391:
	s_andn2_b64 vcc, exec, s[4:5]
	s_cbranch_vccnz .LBB177_2399
; %bb.2392:
	v_and_b32_e32 v2, 0x7fffffff, v12
	s_mov_b32 s4, 0x43800000
	v_cmp_gt_u32_e32 vcc, s4, v2
	v_mov_b32_e32 v3, 0x80
	s_and_saveexec_b64 s[4:5], vcc
	s_cbranch_execz .LBB177_2398
; %bb.2393:
	s_mov_b32 s6, 0x3bffffff
	v_cmp_lt_u32_e32 vcc, s6, v2
	s_mov_b64 s[6:7], 0
                                        ; implicit-def: $vgpr2
	s_and_saveexec_b64 s[10:11], vcc
	s_xor_b64 s[10:11], exec, s[10:11]
	s_cbranch_execz .LBB177_2472
; %bb.2394:
	v_bfe_u32 v2, v12, 20, 1
	s_mov_b32 s12, 0x487ffff
	v_add3_u32 v2, v12, v2, s12
	s_mov_b64 s[6:7], exec
	v_lshrrev_b32_e32 v2, 20, v2
	s_andn2_saveexec_b64 s[10:11], s[10:11]
	s_cbranch_execnz .LBB177_2473
.LBB177_2395:
	s_or_b64 exec, exec, s[10:11]
	v_mov_b32_e32 v3, 0
	s_and_saveexec_b64 s[10:11], s[6:7]
.LBB177_2396:
	v_lshrrev_b32_e32 v3, 24, v12
	s_movk_i32 s6, 0x80
	v_and_or_b32 v3, v3, s6, v2
.LBB177_2397:
	s_or_b64 exec, exec, s[10:11]
.LBB177_2398:
	s_or_b64 exec, exec, s[4:5]
	global_store_byte v[0:1], v3, off
.LBB177_2399:
	s_mov_b64 s[4:5], 0
.LBB177_2400:
	s_and_b64 vcc, exec, s[4:5]
	s_cbranch_vccz .LBB177_2440
; %bb.2401:
	s_cmp_gt_i32 s16, 22
	s_mov_b64 s[2:3], -1
	s_cbranch_scc0 .LBB177_2433
; %bb.2402:
	s_cmp_lt_i32 s16, 24
	s_cbranch_scc1 .LBB177_2422
; %bb.2403:
	s_cmp_gt_i32 s16, 24
	s_cbranch_scc0 .LBB177_2411
; %bb.2404:
	v_and_b32_e32 v2, 0x7fffffff, v12
	s_mov_b32 s2, 0x47800000
	v_cmp_gt_u32_e32 vcc, s2, v2
	v_mov_b32_e32 v3, 0x80
	s_and_saveexec_b64 s[2:3], vcc
	s_cbranch_execz .LBB177_2410
; %bb.2405:
	s_mov_b32 s4, 0x37ffffff
	v_cmp_lt_u32_e32 vcc, s4, v2
	s_mov_b64 s[4:5], 0
                                        ; implicit-def: $vgpr2
	s_and_saveexec_b64 s[6:7], vcc
	s_xor_b64 s[6:7], exec, s[6:7]
	s_cbranch_execz .LBB177_2477
; %bb.2406:
	v_bfe_u32 v2, v12, 21, 1
	s_mov_b32 s10, 0x88fffff
	v_add3_u32 v2, v12, v2, s10
	s_mov_b64 s[4:5], exec
	v_lshrrev_b32_e32 v2, 21, v2
	s_andn2_saveexec_b64 s[6:7], s[6:7]
	s_cbranch_execnz .LBB177_2478
.LBB177_2407:
	s_or_b64 exec, exec, s[6:7]
	v_mov_b32_e32 v3, 0
	s_and_saveexec_b64 s[6:7], s[4:5]
.LBB177_2408:
	v_lshrrev_b32_e32 v3, 24, v12
	s_movk_i32 s4, 0x80
	v_and_or_b32 v3, v3, s4, v2
.LBB177_2409:
	s_or_b64 exec, exec, s[6:7]
.LBB177_2410:
	s_or_b64 exec, exec, s[2:3]
	s_mov_b64 s[2:3], 0
	global_store_byte v[0:1], v3, off
.LBB177_2411:
	s_and_b64 vcc, exec, s[2:3]
	s_cbranch_vccz .LBB177_2421
; %bb.2412:
	v_and_b32_e32 v3, 0x7fffffff, v12
	s_mov_b32 s2, 0x43f00000
	v_cmp_gt_u32_e32 vcc, s2, v3
                                        ; implicit-def: $vgpr2
	s_and_saveexec_b64 s[2:3], vcc
	s_xor_b64 s[2:3], exec, s[2:3]
	s_cbranch_execz .LBB177_2418
; %bb.2413:
	s_mov_b32 s4, 0x3c7fffff
	v_cmp_lt_u32_e32 vcc, s4, v3
                                        ; implicit-def: $vgpr2
	s_and_saveexec_b64 s[4:5], vcc
	s_xor_b64 s[4:5], exec, s[4:5]
; %bb.2414:
	v_bfe_u32 v2, v12, 20, 1
	s_mov_b32 s6, 0x407ffff
	v_add3_u32 v2, v12, v2, s6
	v_lshrrev_b32_e32 v3, 20, v2
	v_and_b32_e32 v2, 0xff00000, v2
	s_mov_b32 s6, 0x7f00000
	v_mov_b32_e32 v4, 0x7e
	v_cmp_ne_u32_e32 vcc, s6, v2
	s_nop 1
	v_cndmask_b32_e32 v2, v4, v3, vcc
; %bb.2415:
	s_andn2_saveexec_b64 s[4:5], s[4:5]
; %bb.2416:
	s_mov_b32 s6, 0x46800000
	v_add_f32_e64 v2, |v12|, s6
; %bb.2417:
	s_or_b64 exec, exec, s[4:5]
                                        ; implicit-def: $vgpr3
.LBB177_2418:
	s_andn2_saveexec_b64 s[2:3], s[2:3]
; %bb.2419:
	s_mov_b32 s4, 0x7f800000
	v_mov_b32_e32 v2, 0x7e
	v_mov_b32_e32 v4, 0x7f
	v_cmp_lt_u32_e32 vcc, s4, v3
	s_nop 1
	v_cndmask_b32_e32 v2, v2, v4, vcc
; %bb.2420:
	s_or_b64 exec, exec, s[2:3]
	v_lshrrev_b32_e32 v3, 24, v12
	s_movk_i32 s2, 0x80
	v_and_or_b32 v2, v3, s2, v2
	global_store_byte v[0:1], v2, off
.LBB177_2421:
	s_mov_b64 s[2:3], 0
.LBB177_2422:
	s_andn2_b64 vcc, exec, s[2:3]
	s_cbranch_vccnz .LBB177_2432
; %bb.2423:
	v_and_b32_e32 v3, 0x7fffffff, v12
	s_mov_b32 s2, 0x47800000
	v_cmp_gt_u32_e32 vcc, s2, v3
                                        ; implicit-def: $vgpr2
	s_and_saveexec_b64 s[2:3], vcc
	s_xor_b64 s[2:3], exec, s[2:3]
	s_cbranch_execz .LBB177_2429
; %bb.2424:
	s_mov_b32 s4, 0x387fffff
	v_cmp_lt_u32_e32 vcc, s4, v3
                                        ; implicit-def: $vgpr2
	s_and_saveexec_b64 s[4:5], vcc
	s_xor_b64 s[4:5], exec, s[4:5]
; %bb.2425:
	v_bfe_u32 v2, v12, 21, 1
	s_mov_b32 s6, 0x80fffff
	v_add3_u32 v2, v12, v2, s6
	v_lshrrev_b32_e32 v2, 21, v2
; %bb.2426:
	s_andn2_saveexec_b64 s[4:5], s[4:5]
; %bb.2427:
	s_mov_b32 s6, 0x43000000
	v_add_f32_e64 v2, |v12|, s6
; %bb.2428:
	s_or_b64 exec, exec, s[4:5]
                                        ; implicit-def: $vgpr3
.LBB177_2429:
	s_andn2_saveexec_b64 s[2:3], s[2:3]
; %bb.2430:
	s_mov_b32 s4, 0x7f800000
	v_mov_b32_e32 v2, 0x7c
	v_mov_b32_e32 v4, 0x7f
	v_cmp_lt_u32_e32 vcc, s4, v3
	s_nop 1
	v_cndmask_b32_e32 v2, v2, v4, vcc
; %bb.2431:
	s_or_b64 exec, exec, s[2:3]
	v_lshrrev_b32_e32 v3, 24, v12
	s_movk_i32 s2, 0x80
	v_and_or_b32 v2, v3, s2, v2
	global_store_byte v[0:1], v2, off
.LBB177_2432:
	s_mov_b64 s[2:3], 0
.LBB177_2433:
	s_andn2_b64 vcc, exec, s[2:3]
	s_mov_b64 s[2:3], 0
	s_cbranch_vccnz .LBB177_2440
; %bb.2434:
	s_cmp_gt_i32 s16, 14
	s_mov_b64 s[4:5], -1
	s_cbranch_scc0 .LBB177_2438
; %bb.2435:
	s_cmp_eq_u32 s16, 15
	s_mov_b64 s[0:1], -1
	s_cbranch_scc0 .LBB177_2437
; %bb.2436:
	v_bfe_u32 v2, v12, 16, 1
	s_movk_i32 s0, 0x7fff
	v_add3_u32 v2, v12, v2, s0
	v_cmp_o_f32_e32 vcc, v12, v12
	v_mov_b32_e32 v3, 0x7fc0
	s_mov_b64 s[0:1], 0
	v_cndmask_b32_sdwa v2, v3, v2, vcc dst_sel:DWORD dst_unused:UNUSED_PAD src0_sel:DWORD src1_sel:WORD_1
	global_store_short v[0:1], v2, off
.LBB177_2437:
	s_mov_b64 s[4:5], 0
.LBB177_2438:
	s_and_b64 vcc, exec, s[4:5]
	s_cbranch_vccz .LBB177_2440
; %bb.2439:
	s_cmp_lg_u32 s16, 11
	s_mov_b64 s[2:3], -1
	s_cselect_b64 s[0:1], -1, 0
.LBB177_2440:
	s_and_b64 vcc, exec, s[0:1]
	s_cbranch_vccnz .LBB177_2476
.LBB177_2441:
	s_mov_b64 s[0:1], 0
	s_branch .LBB177_1939
.LBB177_2442:
	s_mov_b64 s[0:1], 0
                                        ; implicit-def: $vgpr0_vgpr1
                                        ; implicit-def: $sgpr18
	s_branch .LBB177_1938
.LBB177_2443:
	s_mov_b64 s[2:3], 0
	s_mov_b64 s[0:1], -1
	s_branch .LBB177_1939
.LBB177_2444:
	s_trap 2
	s_or_b64 s[8:9], s[8:9], exec
	s_cbranch_execz .LBB177_1873
	s_branch .LBB177_1874
.LBB177_2445:
	s_andn2_saveexec_b64 s[12:13], s[12:13]
	s_cbranch_execz .LBB177_2037
.LBB177_2446:
	s_mov_b32 s14, 0x46000000
	v_add_f32_e64 v1, |v8|, s14
	v_and_b32_e32 v1, 0xff, v1
	v_cmp_ne_u32_e32 vcc, 0, v1
	s_mov_b64 s[14:15], s[10:11]
	s_and_saveexec_b64 s[16:17], vcc
; %bb.2447:
	s_or_b64 s[14:15], s[10:11], exec
; %bb.2448:
	s_or_b64 exec, exec, s[16:17]
	s_andn2_b64 s[10:11], s[10:11], exec
	s_and_b64 s[14:15], s[14:15], exec
	s_or_b64 s[10:11], s[10:11], s[14:15]
	s_or_b64 exec, exec, s[12:13]
	v_mov_b32_e32 v3, 0
	s_and_saveexec_b64 s[12:13], s[10:11]
	s_cbranch_execnz .LBB177_2038
	s_branch .LBB177_2039
.LBB177_2449:
	s_trap 2
	s_or_b64 s[8:9], s[8:9], exec
	s_cbranch_execz .LBB177_2085
	s_branch .LBB177_2086
.LBB177_2450:
	s_andn2_saveexec_b64 s[10:11], s[10:11]
	s_cbranch_execz .LBB177_2050
.LBB177_2451:
	s_mov_b32 s12, 0x42800000
	v_add_f32_e64 v1, |v8|, s12
	v_and_b32_e32 v1, 0xff, v1
	v_cmp_ne_u32_e32 vcc, 0, v1
	s_mov_b64 s[12:13], s[6:7]
	s_and_saveexec_b64 s[14:15], vcc
; %bb.2452:
	s_or_b64 s[12:13], s[6:7], exec
; %bb.2453:
	s_or_b64 exec, exec, s[14:15]
	s_andn2_b64 s[6:7], s[6:7], exec
	s_and_b64 s[12:13], s[12:13], exec
	s_or_b64 s[6:7], s[6:7], s[12:13]
	s_or_b64 exec, exec, s[10:11]
	v_mov_b32_e32 v3, 0
	s_and_saveexec_b64 s[10:11], s[6:7]
	s_cbranch_execnz .LBB177_2051
	s_branch .LBB177_2052
.LBB177_2454:
	s_andn2_saveexec_b64 s[12:13], s[12:13]
	s_cbranch_execz .LBB177_2156
.LBB177_2455:
	s_mov_b32 s14, 0x46000000
	v_add_f32_e64 v1, |v10|, s14
	v_and_b32_e32 v1, 0xff, v1
	v_cmp_ne_u32_e32 vcc, 0, v1
	s_mov_b64 s[14:15], s[10:11]
	s_and_saveexec_b64 s[16:17], vcc
; %bb.2456:
	s_or_b64 s[14:15], s[10:11], exec
; %bb.2457:
	s_or_b64 exec, exec, s[16:17]
	s_andn2_b64 s[10:11], s[10:11], exec
	s_and_b64 s[14:15], s[14:15], exec
	s_or_b64 s[10:11], s[10:11], s[14:15]
	s_or_b64 exec, exec, s[12:13]
	v_mov_b32_e32 v3, 0
	s_and_saveexec_b64 s[12:13], s[10:11]
	s_cbranch_execnz .LBB177_2157
	s_branch .LBB177_2158
.LBB177_2458:
	s_trap 2
	s_or_b64 s[8:9], s[8:9], exec
	s_cbranch_execz .LBB177_2204
	s_branch .LBB177_2205
.LBB177_2459:
	s_andn2_saveexec_b64 s[10:11], s[10:11]
	s_cbranch_execz .LBB177_2169
.LBB177_2460:
	s_mov_b32 s12, 0x42800000
	v_add_f32_e64 v1, |v10|, s12
	v_and_b32_e32 v1, 0xff, v1
	v_cmp_ne_u32_e32 vcc, 0, v1
	s_mov_b64 s[12:13], s[6:7]
	s_and_saveexec_b64 s[14:15], vcc
; %bb.2461:
	s_or_b64 s[12:13], s[6:7], exec
; %bb.2462:
	s_or_b64 exec, exec, s[14:15]
	s_andn2_b64 s[6:7], s[6:7], exec
	s_and_b64 s[12:13], s[12:13], exec
	s_or_b64 s[6:7], s[6:7], s[12:13]
	s_or_b64 exec, exec, s[10:11]
	v_mov_b32_e32 v3, 0
	s_and_saveexec_b64 s[10:11], s[6:7]
	s_cbranch_execnz .LBB177_2170
	s_branch .LBB177_2171
.LBB177_2463:
	s_andn2_saveexec_b64 s[12:13], s[12:13]
	s_cbranch_execz .LBB177_2275
.LBB177_2464:
	s_mov_b32 s14, 0x46000000
	v_add_f32_e64 v1, |v14|, s14
	v_and_b32_e32 v1, 0xff, v1
	v_cmp_ne_u32_e32 vcc, 0, v1
	s_mov_b64 s[14:15], s[10:11]
	s_and_saveexec_b64 s[16:17], vcc
; %bb.2465:
	s_or_b64 s[14:15], s[10:11], exec
; %bb.2466:
	s_or_b64 exec, exec, s[16:17]
	s_andn2_b64 s[10:11], s[10:11], exec
	s_and_b64 s[14:15], s[14:15], exec
	s_or_b64 s[10:11], s[10:11], s[14:15]
	s_or_b64 exec, exec, s[12:13]
	v_mov_b32_e32 v4, 0
	s_and_saveexec_b64 s[12:13], s[10:11]
	s_cbranch_execnz .LBB177_2276
	s_branch .LBB177_2277
.LBB177_2467:
	s_trap 2
	s_or_b64 s[8:9], s[8:9], exec
	s_cbranch_execz .LBB177_2323
	s_branch .LBB177_2324
.LBB177_2468:
	s_andn2_saveexec_b64 s[10:11], s[10:11]
	s_cbranch_execz .LBB177_2288
.LBB177_2469:
	s_mov_b32 s12, 0x42800000
	v_add_f32_e64 v1, |v14|, s12
	v_and_b32_e32 v1, 0xff, v1
	v_cmp_ne_u32_e32 vcc, 0, v1
	s_mov_b64 s[12:13], s[6:7]
	s_and_saveexec_b64 s[14:15], vcc
; %bb.2470:
	s_or_b64 s[12:13], s[6:7], exec
; %bb.2471:
	s_or_b64 exec, exec, s[14:15]
	s_andn2_b64 s[6:7], s[6:7], exec
	s_and_b64 s[12:13], s[12:13], exec
	s_or_b64 s[6:7], s[6:7], s[12:13]
	s_or_b64 exec, exec, s[10:11]
	v_mov_b32_e32 v4, 0
	s_and_saveexec_b64 s[10:11], s[6:7]
	s_cbranch_execnz .LBB177_2289
	s_branch .LBB177_2290
.LBB177_2472:
	s_andn2_saveexec_b64 s[10:11], s[10:11]
	s_cbranch_execz .LBB177_2395
.LBB177_2473:
	s_mov_b32 s12, 0x46000000
	v_add_f32_e64 v2, |v12|, s12
	v_and_b32_e32 v2, 0xff, v2
	v_cmp_ne_u32_e32 vcc, 0, v2
	s_mov_b64 s[12:13], s[6:7]
	s_and_saveexec_b64 s[14:15], vcc
; %bb.2474:
	s_or_b64 s[12:13], s[6:7], exec
; %bb.2475:
	s_or_b64 exec, exec, s[14:15]
	s_andn2_b64 s[6:7], s[6:7], exec
	s_and_b64 s[12:13], s[12:13], exec
	s_or_b64 s[6:7], s[6:7], s[12:13]
	s_or_b64 exec, exec, s[10:11]
	v_mov_b32_e32 v3, 0
	s_and_saveexec_b64 s[10:11], s[6:7]
	s_cbranch_execnz .LBB177_2396
	s_branch .LBB177_2397
.LBB177_2476:
	s_mov_b64 s[2:3], 0
	s_or_b64 s[8:9], s[8:9], exec
	s_trap 2
	s_branch .LBB177_2441
.LBB177_2477:
	s_andn2_saveexec_b64 s[6:7], s[6:7]
	s_cbranch_execz .LBB177_2407
.LBB177_2478:
	s_mov_b32 s10, 0x42800000
	v_add_f32_e64 v2, |v12|, s10
	v_and_b32_e32 v2, 0xff, v2
	v_cmp_ne_u32_e32 vcc, 0, v2
	s_mov_b64 s[10:11], s[4:5]
	s_and_saveexec_b64 s[12:13], vcc
; %bb.2479:
	s_or_b64 s[10:11], s[4:5], exec
; %bb.2480:
	s_or_b64 exec, exec, s[12:13]
	s_andn2_b64 s[4:5], s[4:5], exec
	s_and_b64 s[10:11], s[10:11], exec
	s_or_b64 s[4:5], s[4:5], s[10:11]
	s_or_b64 exec, exec, s[6:7]
	v_mov_b32_e32 v3, 0
	s_and_saveexec_b64 s[6:7], s[4:5]
	s_cbranch_execnz .LBB177_2408
	s_branch .LBB177_2409
	.section	.rodata,"a",@progbits
	.p2align	6, 0x0
	.amdhsa_kernel _ZN2at6native32elementwise_kernel_manual_unrollILi128ELi4EZNS0_15gpu_kernel_implIZZZNS0_17rsqrt_kernel_cudaERNS_18TensorIteratorBaseEENKUlvE_clEvENKUlvE0_clEvEUlN3c107complexIfEEE_EEvS4_RKT_EUlibE0_EEviT1_
		.amdhsa_group_segment_fixed_size 0
		.amdhsa_private_segment_fixed_size 0
		.amdhsa_kernarg_size 360
		.amdhsa_user_sgpr_count 2
		.amdhsa_user_sgpr_dispatch_ptr 0
		.amdhsa_user_sgpr_queue_ptr 0
		.amdhsa_user_sgpr_kernarg_segment_ptr 1
		.amdhsa_user_sgpr_dispatch_id 0
		.amdhsa_user_sgpr_kernarg_preload_length 0
		.amdhsa_user_sgpr_kernarg_preload_offset 0
		.amdhsa_user_sgpr_private_segment_size 0
		.amdhsa_uses_dynamic_stack 0
		.amdhsa_enable_private_segment 0
		.amdhsa_system_sgpr_workgroup_id_x 1
		.amdhsa_system_sgpr_workgroup_id_y 0
		.amdhsa_system_sgpr_workgroup_id_z 0
		.amdhsa_system_sgpr_workgroup_info 0
		.amdhsa_system_vgpr_workitem_id 0
		.amdhsa_next_free_vgpr 22
		.amdhsa_next_free_sgpr 78
		.amdhsa_accum_offset 24
		.amdhsa_reserve_vcc 1
		.amdhsa_float_round_mode_32 0
		.amdhsa_float_round_mode_16_64 0
		.amdhsa_float_denorm_mode_32 3
		.amdhsa_float_denorm_mode_16_64 3
		.amdhsa_dx10_clamp 1
		.amdhsa_ieee_mode 1
		.amdhsa_fp16_overflow 0
		.amdhsa_tg_split 0
		.amdhsa_exception_fp_ieee_invalid_op 0
		.amdhsa_exception_fp_denorm_src 0
		.amdhsa_exception_fp_ieee_div_zero 0
		.amdhsa_exception_fp_ieee_overflow 0
		.amdhsa_exception_fp_ieee_underflow 0
		.amdhsa_exception_fp_ieee_inexact 0
		.amdhsa_exception_int_div_zero 0
	.end_amdhsa_kernel
	.section	.text._ZN2at6native32elementwise_kernel_manual_unrollILi128ELi4EZNS0_15gpu_kernel_implIZZZNS0_17rsqrt_kernel_cudaERNS_18TensorIteratorBaseEENKUlvE_clEvENKUlvE0_clEvEUlN3c107complexIfEEE_EEvS4_RKT_EUlibE0_EEviT1_,"axG",@progbits,_ZN2at6native32elementwise_kernel_manual_unrollILi128ELi4EZNS0_15gpu_kernel_implIZZZNS0_17rsqrt_kernel_cudaERNS_18TensorIteratorBaseEENKUlvE_clEvENKUlvE0_clEvEUlN3c107complexIfEEE_EEvS4_RKT_EUlibE0_EEviT1_,comdat
.Lfunc_end177:
	.size	_ZN2at6native32elementwise_kernel_manual_unrollILi128ELi4EZNS0_15gpu_kernel_implIZZZNS0_17rsqrt_kernel_cudaERNS_18TensorIteratorBaseEENKUlvE_clEvENKUlvE0_clEvEUlN3c107complexIfEEE_EEvS4_RKT_EUlibE0_EEviT1_, .Lfunc_end177-_ZN2at6native32elementwise_kernel_manual_unrollILi128ELi4EZNS0_15gpu_kernel_implIZZZNS0_17rsqrt_kernel_cudaERNS_18TensorIteratorBaseEENKUlvE_clEvENKUlvE0_clEvEUlN3c107complexIfEEE_EEvS4_RKT_EUlibE0_EEviT1_
                                        ; -- End function
	.set _ZN2at6native32elementwise_kernel_manual_unrollILi128ELi4EZNS0_15gpu_kernel_implIZZZNS0_17rsqrt_kernel_cudaERNS_18TensorIteratorBaseEENKUlvE_clEvENKUlvE0_clEvEUlN3c107complexIfEEE_EEvS4_RKT_EUlibE0_EEviT1_.num_vgpr, 22
	.set _ZN2at6native32elementwise_kernel_manual_unrollILi128ELi4EZNS0_15gpu_kernel_implIZZZNS0_17rsqrt_kernel_cudaERNS_18TensorIteratorBaseEENKUlvE_clEvENKUlvE0_clEvEUlN3c107complexIfEEE_EEvS4_RKT_EUlibE0_EEviT1_.num_agpr, 0
	.set _ZN2at6native32elementwise_kernel_manual_unrollILi128ELi4EZNS0_15gpu_kernel_implIZZZNS0_17rsqrt_kernel_cudaERNS_18TensorIteratorBaseEENKUlvE_clEvENKUlvE0_clEvEUlN3c107complexIfEEE_EEvS4_RKT_EUlibE0_EEviT1_.numbered_sgpr, 78
	.set _ZN2at6native32elementwise_kernel_manual_unrollILi128ELi4EZNS0_15gpu_kernel_implIZZZNS0_17rsqrt_kernel_cudaERNS_18TensorIteratorBaseEENKUlvE_clEvENKUlvE0_clEvEUlN3c107complexIfEEE_EEvS4_RKT_EUlibE0_EEviT1_.num_named_barrier, 0
	.set _ZN2at6native32elementwise_kernel_manual_unrollILi128ELi4EZNS0_15gpu_kernel_implIZZZNS0_17rsqrt_kernel_cudaERNS_18TensorIteratorBaseEENKUlvE_clEvENKUlvE0_clEvEUlN3c107complexIfEEE_EEvS4_RKT_EUlibE0_EEviT1_.private_seg_size, 0
	.set _ZN2at6native32elementwise_kernel_manual_unrollILi128ELi4EZNS0_15gpu_kernel_implIZZZNS0_17rsqrt_kernel_cudaERNS_18TensorIteratorBaseEENKUlvE_clEvENKUlvE0_clEvEUlN3c107complexIfEEE_EEvS4_RKT_EUlibE0_EEviT1_.uses_vcc, 1
	.set _ZN2at6native32elementwise_kernel_manual_unrollILi128ELi4EZNS0_15gpu_kernel_implIZZZNS0_17rsqrt_kernel_cudaERNS_18TensorIteratorBaseEENKUlvE_clEvENKUlvE0_clEvEUlN3c107complexIfEEE_EEvS4_RKT_EUlibE0_EEviT1_.uses_flat_scratch, 0
	.set _ZN2at6native32elementwise_kernel_manual_unrollILi128ELi4EZNS0_15gpu_kernel_implIZZZNS0_17rsqrt_kernel_cudaERNS_18TensorIteratorBaseEENKUlvE_clEvENKUlvE0_clEvEUlN3c107complexIfEEE_EEvS4_RKT_EUlibE0_EEviT1_.has_dyn_sized_stack, 0
	.set _ZN2at6native32elementwise_kernel_manual_unrollILi128ELi4EZNS0_15gpu_kernel_implIZZZNS0_17rsqrt_kernel_cudaERNS_18TensorIteratorBaseEENKUlvE_clEvENKUlvE0_clEvEUlN3c107complexIfEEE_EEvS4_RKT_EUlibE0_EEviT1_.has_recursion, 0
	.set _ZN2at6native32elementwise_kernel_manual_unrollILi128ELi4EZNS0_15gpu_kernel_implIZZZNS0_17rsqrt_kernel_cudaERNS_18TensorIteratorBaseEENKUlvE_clEvENKUlvE0_clEvEUlN3c107complexIfEEE_EEvS4_RKT_EUlibE0_EEviT1_.has_indirect_call, 0
	.section	.AMDGPU.csdata,"",@progbits
; Kernel info:
; codeLenInByte = 52308
; TotalNumSgprs: 84
; NumVgprs: 22
; NumAgprs: 0
; TotalNumVgprs: 22
; ScratchSize: 0
; MemoryBound: 1
; FloatMode: 240
; IeeeMode: 1
; LDSByteSize: 0 bytes/workgroup (compile time only)
; SGPRBlocks: 10
; VGPRBlocks: 2
; NumSGPRsForWavesPerEU: 84
; NumVGPRsForWavesPerEU: 22
; AccumOffset: 24
; Occupancy: 8
; WaveLimiterHint : 1
; COMPUTE_PGM_RSRC2:SCRATCH_EN: 0
; COMPUTE_PGM_RSRC2:USER_SGPR: 2
; COMPUTE_PGM_RSRC2:TRAP_HANDLER: 0
; COMPUTE_PGM_RSRC2:TGID_X_EN: 1
; COMPUTE_PGM_RSRC2:TGID_Y_EN: 0
; COMPUTE_PGM_RSRC2:TGID_Z_EN: 0
; COMPUTE_PGM_RSRC2:TIDIG_COMP_CNT: 0
; COMPUTE_PGM_RSRC3_GFX90A:ACCUM_OFFSET: 5
; COMPUTE_PGM_RSRC3_GFX90A:TG_SPLIT: 0
	.section	.text._ZN2at6native29vectorized_elementwise_kernelILi16EZZZNS0_17rsqrt_kernel_cudaERNS_18TensorIteratorBaseEENKUlvE_clEvENKUlvE1_clEvEUlN3c107complexINS6_4HalfEEEE_St5arrayIPcLm2EEEEviT0_T1_,"axG",@progbits,_ZN2at6native29vectorized_elementwise_kernelILi16EZZZNS0_17rsqrt_kernel_cudaERNS_18TensorIteratorBaseEENKUlvE_clEvENKUlvE1_clEvEUlN3c107complexINS6_4HalfEEEE_St5arrayIPcLm2EEEEviT0_T1_,comdat
	.globl	_ZN2at6native29vectorized_elementwise_kernelILi16EZZZNS0_17rsqrt_kernel_cudaERNS_18TensorIteratorBaseEENKUlvE_clEvENKUlvE1_clEvEUlN3c107complexINS6_4HalfEEEE_St5arrayIPcLm2EEEEviT0_T1_ ; -- Begin function _ZN2at6native29vectorized_elementwise_kernelILi16EZZZNS0_17rsqrt_kernel_cudaERNS_18TensorIteratorBaseEENKUlvE_clEvENKUlvE1_clEvEUlN3c107complexINS6_4HalfEEEE_St5arrayIPcLm2EEEEviT0_T1_
	.p2align	8
	.type	_ZN2at6native29vectorized_elementwise_kernelILi16EZZZNS0_17rsqrt_kernel_cudaERNS_18TensorIteratorBaseEENKUlvE_clEvENKUlvE1_clEvEUlN3c107complexINS6_4HalfEEEE_St5arrayIPcLm2EEEEviT0_T1_,@function
_ZN2at6native29vectorized_elementwise_kernelILi16EZZZNS0_17rsqrt_kernel_cudaERNS_18TensorIteratorBaseEENKUlvE_clEvENKUlvE1_clEvEUlN3c107complexINS6_4HalfEEEE_St5arrayIPcLm2EEEEviT0_T1_: ; @_ZN2at6native29vectorized_elementwise_kernelILi16EZZZNS0_17rsqrt_kernel_cudaERNS_18TensorIteratorBaseEENKUlvE_clEvENKUlvE1_clEvEUlN3c107complexINS6_4HalfEEEE_St5arrayIPcLm2EEEEviT0_T1_
; %bb.0:
	s_load_dword s3, s[0:1], 0x0
	s_load_dwordx4 s[8:11], s[0:1], 0x8
	s_lshl_b32 s6, s2, 10
	s_mov_b64 s[0:1], -1
	s_waitcnt lgkmcnt(0)
	s_sub_i32 s24, s3, s6
	s_cmpk_gt_i32 s24, 0x3ff
	s_cbranch_scc0 .LBB178_154
; %bb.1:
	s_ashr_i32 s7, s6, 31
	s_lshl_b64 s[4:5], s[6:7], 2
	s_add_u32 s0, s10, s4
	s_addc_u32 s1, s11, s5
	v_lshlrev_b32_e32 v1, 4, v0
	global_load_dwordx4 v[2:5], v1, s[0:1]
	v_mov_b32_e32 v6, 0
	v_mov_b32_e32 v11, 0
	s_waitcnt vmcnt(0)
	v_cvt_f32_f16_sdwa v8, v2 dst_sel:DWORD dst_unused:UNUSED_PAD src0_sel:WORD_1
	v_cmp_neq_f16_e32 vcc, 0, v2
	v_cmp_neq_f16_sdwa s[0:1], v2, v6 src0_sel:WORD_1 src1_sel:DWORD
	s_or_b64 s[0:1], vcc, s[0:1]
	s_and_saveexec_b64 s[12:13], s[0:1]
	s_cbranch_execz .LBB178_31
; %bb.2:
	v_cvt_f32_f16_e32 v9, v2
	v_mov_b32_e32 v11, 0x7f800000
	v_cmp_neq_f32_e64 s[0:1], |v8|, v11
	s_and_saveexec_b64 s[14:15], s[0:1]
	s_cbranch_execz .LBB178_30
; %bb.3:
	v_cmp_o_f16_e32 vcc, v2, v2
                                        ; implicit-def: $vgpr11
	s_and_saveexec_b64 s[0:1], vcc
	s_xor_b64 s[16:17], exec, s[0:1]
	s_cbranch_execz .LBB178_27
; %bb.4:
	s_mov_b32 s0, 0x7f800000
	v_cmp_neq_f32_e64 s[0:1], |v9|, s0
                                        ; implicit-def: $vgpr11
	s_and_saveexec_b64 s[2:3], s[0:1]
	s_xor_b64 s[18:19], exec, s[2:3]
	s_cbranch_execz .LBB178_20
; %bb.5:
	v_max_f32_e64 v6, |v8|, |v8|
	v_max_f32_e64 v7, |v9|, |v9|
	v_max_f32_e32 v6, v7, v6
	s_mov_b32 s0, 0x7ed413cb
	v_cmp_nle_f32_e64 s[0:1], s0, v6
                                        ; implicit-def: $sgpr20_sgpr21
	s_and_saveexec_b64 s[2:3], s[0:1]
	s_xor_b64 s[2:3], exec, s[2:3]
	s_cbranch_execz .LBB178_9
; %bb.6:
	s_mov_b32 s7, 0x1000000
	v_cmp_le_f32_e64 s[20:21], |v9|, s7
	v_cmp_le_f32_e64 s[22:23], |v8|, s7
	s_and_b64 s[26:27], s[20:21], s[22:23]
	s_mov_b64 s[20:21], 0
	s_and_saveexec_b64 s[22:23], s[26:27]
; %bb.7:
	s_mov_b64 s[20:21], exec
	v_pk_mul_f32 v[8:9], v[8:9], 4.0 op_sel_hi:[1,0]
; %bb.8:
	s_or_b64 exec, exec, s[22:23]
.LBB178_9:
	s_andn2_saveexec_b64 s[2:3], s[2:3]
; %bb.10:
	s_mov_b32 s22, 0x3e800000
	v_pk_mul_f32 v[8:9], v[8:9], s[22:23] op_sel_hi:[1,0]
	s_andn2_b64 s[20:21], s[20:21], exec
; %bb.11:
	s_or_b64 exec, exec, s[2:3]
	v_max_f32_e64 v6, |v8|, |v8|
	v_max_f32_e64 v7, |v9|, |v9|
	v_max_f32_e32 v10, v7, v6
	v_cvt_f64_f32_e32 v[6:7], v10
	v_frexp_exp_i32_f64_e32 v6, v[6:7]
	v_sub_u32_e32 v7, 0, v6
	v_ldexp_f32 v11, |v9|, v7
	v_ldexp_f32 v7, |v8|, v7
	v_mul_f32_e32 v7, v7, v7
	v_fmac_f32_e32 v7, v11, v11
	v_sqrt_f32_e32 v7, v7
	s_mov_b32 s2, 0x7f800000
	v_cmp_neq_f32_e64 s[2:3], s2, v10
	v_cmp_le_f32_e32 vcc, 0, v9
	v_ldexp_f32 v6, v7, v6
	v_mov_b32_e32 v7, 0x7f800000
	v_cndmask_b32_e64 v10, v7, v6, s[2:3]
                                        ; implicit-def: $vgpr6_vgpr7
	s_and_saveexec_b64 s[2:3], vcc
	s_xor_b64 s[22:23], exec, s[2:3]
	s_cbranch_execz .LBB178_13
; %bb.12:
	v_add_f32_e32 v6, v9, v10
	v_mul_f32_e32 v6, 0.5, v6
	s_mov_b32 s2, 0xf800000
	v_mul_f32_e32 v7, 0x4f800000, v6
	v_cmp_gt_f32_e32 vcc, s2, v6
	s_nop 1
	v_cndmask_b32_e32 v6, v6, v7, vcc
	v_sqrt_f32_e32 v7, v6
	s_nop 0
	v_add_u32_e32 v9, -1, v7
	v_fma_f32 v10, -v9, v7, v6
	v_cmp_ge_f32_e64 s[2:3], 0, v10
	v_add_u32_e32 v10, 1, v7
	s_nop 0
	v_cndmask_b32_e64 v9, v7, v9, s[2:3]
	v_fma_f32 v7, -v10, v7, v6
	v_cmp_lt_f32_e64 s[2:3], 0, v7
	s_nop 1
	v_cndmask_b32_e64 v7, v9, v10, s[2:3]
	v_mul_f32_e32 v9, 0x37800000, v7
	v_cndmask_b32_e32 v7, v7, v9, vcc
	v_mov_b32_e32 v9, 0x260
	v_cmp_class_f32_e32 vcc, v6, v9
	s_nop 1
	v_cndmask_b32_e32 v7, v7, v6, vcc
	v_add_f32_e32 v6, v7, v7
	v_div_scale_f32 v9, s[2:3], v6, v6, v8
	v_rcp_f32_e32 v10, v9
	s_nop 0
	v_fma_f32 v11, -v9, v10, 1.0
	v_fmac_f32_e32 v10, v11, v10
	v_div_scale_f32 v11, vcc, v8, v6, v8
	v_mul_f32_e32 v12, v11, v10
	v_fma_f32 v13, -v9, v12, v11
	v_fmac_f32_e32 v12, v13, v10
	v_fma_f32 v9, -v9, v12, v11
	v_div_fmas_f32 v9, v9, v10, v12
	v_div_fixup_f32 v6, v9, v6, v8
                                        ; implicit-def: $vgpr10
                                        ; implicit-def: $vgpr8_vgpr9
	s_andn2_saveexec_b64 s[22:23], s[22:23]
	s_cbranch_execz .LBB178_15
	s_branch .LBB178_14
.LBB178_13:
	s_andn2_saveexec_b64 s[22:23], s[22:23]
	s_cbranch_execz .LBB178_15
.LBB178_14:
	v_sub_f32_e32 v6, v10, v9
	v_mul_f32_e32 v6, 0.5, v6
	s_mov_b32 s2, 0xf800000
	v_mul_f32_e32 v7, 0x4f800000, v6
	v_cmp_gt_f32_e32 vcc, s2, v6
	s_nop 1
	v_cndmask_b32_e32 v6, v6, v7, vcc
	v_sqrt_f32_e32 v7, v6
	s_nop 0
	v_add_u32_e32 v9, -1, v7
	v_fma_f32 v10, -v9, v7, v6
	v_cmp_ge_f32_e64 s[2:3], 0, v10
	v_add_u32_e32 v10, 1, v7
	s_nop 0
	v_cndmask_b32_e64 v9, v7, v9, s[2:3]
	v_fma_f32 v7, -v10, v7, v6
	v_cmp_lt_f32_e64 s[2:3], 0, v7
	s_nop 1
	v_cndmask_b32_e64 v7, v9, v10, s[2:3]
	v_mul_f32_e32 v9, 0x37800000, v7
	v_cndmask_b32_e32 v7, v7, v9, vcc
	v_mov_b32_e32 v9, 0x260
	v_cmp_class_f32_e32 vcc, v6, v9
	v_and_b32_e32 v9, 0x7fffffff, v8
	s_nop 0
	v_cndmask_b32_e32 v6, v7, v6, vcc
	v_add_f32_e32 v7, v6, v6
	v_div_scale_f32 v10, s[2:3], v7, v7, v9
	v_rcp_f32_e32 v11, v10
	v_div_scale_f32 v9, vcc, v9, v7, v9
	s_brev_b32 s2, -2
	v_fma_f32 v12, -v10, v11, 1.0
	v_fmac_f32_e32 v11, v12, v11
	v_mul_f32_e32 v12, v9, v11
	v_fma_f32 v13, -v10, v12, v9
	v_fmac_f32_e32 v12, v13, v11
	v_fma_f32 v9, -v10, v12, v9
	v_div_fmas_f32 v9, v9, v11, v12
	v_div_fixup_f32 v7, v9, v7, |v8|
	v_bfi_b32 v6, s2, v6, v8
.LBB178_15:
	s_or_b64 exec, exec, s[22:23]
                                        ; implicit-def: $vgpr11
                                        ; implicit-def: $vgpr8
	s_and_saveexec_b64 s[2:3], s[0:1]
	s_xor_b64 s[0:1], exec, s[2:3]
	s_cbranch_execz .LBB178_17
; %bb.16:
	v_pk_mul_f32 v[8:9], v[6:7], 0.5 op_sel_hi:[1,0]
	s_nop 0
	v_cndmask_b32_e64 v8, v6, v8, s[20:21]
	v_cndmask_b32_e64 v11, v7, v9, s[20:21]
                                        ; implicit-def: $vgpr6_vgpr7
	s_andn2_saveexec_b64 s[0:1], s[0:1]
	s_cbranch_execnz .LBB178_18
	s_branch .LBB178_19
.LBB178_17:
	s_andn2_saveexec_b64 s[0:1], s[0:1]
.LBB178_18:
	v_pk_add_f32 v[10:11], v[6:7], v[6:7]
	s_nop 0
	v_mov_b32_e32 v8, v10
.LBB178_19:
	s_or_b64 exec, exec, s[0:1]
.LBB178_20:
	s_andn2_saveexec_b64 s[0:1], s[18:19]
	s_cbranch_execz .LBB178_26
; %bb.21:
	v_and_b32_e32 v2, 0x8000, v2
	v_cmp_ne_u32_e32 vcc, 0, v2
	v_sub_f32_e32 v2, v8, v8
                                        ; implicit-def: $vgpr11
	s_and_saveexec_b64 s[2:3], vcc
	s_xor_b64 s[2:3], exec, s[2:3]
; %bb.22:
	s_brev_b32 s7, -2
	v_and_b32_e32 v11, 0x7fffffff, v2
	v_bfi_b32 v8, s7, v9, v8
                                        ; implicit-def: $vgpr2
; %bb.23:
	s_andn2_saveexec_b64 s[2:3], s[2:3]
; %bb.24:
	s_brev_b32 s7, -2
	v_bfi_b32 v8, s7, v2, v8
	v_mov_b32_e32 v11, v9
; %bb.25:
	s_or_b64 exec, exec, s[2:3]
.LBB178_26:
	s_or_b64 exec, exec, s[0:1]
.LBB178_27:
	s_andn2_saveexec_b64 s[0:1], s[16:17]
	s_cbranch_execz .LBB178_29
; %bb.28:
	v_sub_f32_e32 v2, v8, v8
	v_div_scale_f32 v6, vcc, v2, v2, v2
	v_rcp_f32_e32 v7, v6
	v_mov_b32_e32 v11, v9
	v_fma_f32 v8, -v6, v7, 1.0
	v_fmac_f32_e32 v7, v8, v7
	v_mul_f32_e32 v8, v6, v7
	v_fma_f32 v10, -v6, v8, v6
	v_fmac_f32_e32 v8, v10, v7
	v_fma_f32 v6, -v6, v8, v6
	v_div_fmas_f32 v6, v6, v7, v8
	v_div_fixup_f32 v8, v6, v2, v2
.LBB178_29:
	s_or_b64 exec, exec, s[0:1]
.LBB178_30:
	s_or_b64 exec, exec, s[14:15]
.LBB178_31:
	s_or_b64 exec, exec, s[12:13]
	v_cmp_gt_f32_e32 vcc, 0, v11
                                        ; implicit-def: $vgpr6_vgpr7
	s_nop 1
	v_cndmask_b32_e64 v9, v11, -v11, vcc
	v_cmp_gt_f32_e32 vcc, 0, v8
	s_nop 1
	v_cndmask_b32_e64 v2, v8, -v8, vcc
	v_cmp_ge_f32_e32 vcc, v9, v2
	s_and_saveexec_b64 s[0:1], vcc
	s_xor_b64 s[2:3], exec, s[0:1]
	s_cbranch_execz .LBB178_37
; %bb.32:
	v_cmp_neq_f32_e32 vcc, 0, v11
	v_cmp_neq_f32_e64 s[0:1], 0, v8
	s_or_b64 s[0:1], vcc, s[0:1]
                                        ; implicit-def: $vgpr6_vgpr7
	s_and_saveexec_b64 s[12:13], s[0:1]
	s_xor_b64 s[0:1], exec, s[12:13]
	s_cbranch_execz .LBB178_34
; %bb.33:
	v_div_scale_f32 v2, s[12:13], v11, v11, v8
	v_rcp_f32_e32 v6, v2
	v_div_scale_f32 v7, vcc, v8, v11, v8
	v_fma_f32 v9, -v2, v6, 1.0
	v_fmac_f32_e32 v6, v9, v6
	v_mul_f32_e32 v9, v7, v6
	v_fma_f32 v10, -v2, v9, v7
	v_fmac_f32_e32 v9, v10, v6
	v_fma_f32 v2, -v2, v9, v7
	v_div_fmas_f32 v2, v2, v6, v9
	v_div_fixup_f32 v6, v2, v11, v8
	v_fmac_f32_e32 v11, v8, v6
	v_div_scale_f32 v2, s[12:13], v11, v11, 1.0
	v_rcp_f32_e32 v7, v2
	s_nop 0
	v_fma_f32 v8, -v2, v7, 1.0
	v_fmac_f32_e32 v7, v8, v7
	v_div_scale_f32 v8, vcc, 1.0, v11, 1.0
	v_mul_f32_e32 v9, v8, v7
	v_fma_f32 v10, -v2, v9, v8
	v_fmac_f32_e32 v9, v10, v7
	v_fma_f32 v2, -v2, v9, v8
	v_div_fmas_f32 v2, v2, v7, v9
	v_mul_f32_e32 v7, 0, v6
	v_div_fixup_f32 v2, v2, v11, 1.0
	v_add_f32_e32 v7, 1.0, v7
	v_sub_f32_e32 v6, 0, v6
	v_pk_mul_f32 v[6:7], v[6:7], v[2:3] op_sel_hi:[1,0]
                                        ; implicit-def: $vgpr9
                                        ; implicit-def: $vgpr2
.LBB178_34:
	s_andn2_saveexec_b64 s[0:1], s[0:1]
	s_cbranch_execz .LBB178_36
; %bb.35:
	v_div_scale_f32 v6, s[12:13], v9, v9, 1.0
	v_rcp_f32_e32 v7, v6
	v_div_scale_f32 v8, vcc, 1.0, v9, 1.0
	v_fma_f32 v10, -v6, v7, 1.0
	v_fmac_f32_e32 v7, v10, v7
	v_mul_f32_e32 v10, v8, v7
	v_fma_f32 v11, -v6, v10, v8
	v_fmac_f32_e32 v10, v11, v7
	v_fma_f32 v6, -v6, v10, v8
	v_div_scale_f32 v8, s[12:13], v2, v2, 0
	v_rcp_f32_e32 v11, v8
	v_div_fmas_f32 v6, v6, v7, v10
	v_div_fixup_f32 v7, v6, v9, 1.0
	v_fma_f32 v6, -v8, v11, 1.0
	v_fmac_f32_e32 v11, v6, v11
	v_div_scale_f32 v6, vcc, 0, v2, 0
	v_mul_f32_e32 v9, v6, v11
	v_fma_f32 v10, -v8, v9, v6
	v_fmac_f32_e32 v9, v10, v11
	v_fma_f32 v6, -v8, v9, v6
	v_div_fmas_f32 v6, v6, v11, v9
	v_div_fixup_f32 v6, v6, v2, 0
.LBB178_36:
	s_or_b64 exec, exec, s[0:1]
                                        ; implicit-def: $vgpr8
                                        ; implicit-def: $vgpr11
.LBB178_37:
	s_andn2_saveexec_b64 s[0:1], s[2:3]
	s_cbranch_execz .LBB178_39
; %bb.38:
	v_div_scale_f32 v2, s[2:3], v8, v8, v11
	v_rcp_f32_e32 v6, v2
	v_div_scale_f32 v7, vcc, v11, v8, v11
	v_fma_f32 v9, -v2, v6, 1.0
	v_fmac_f32_e32 v6, v9, v6
	v_mul_f32_e32 v9, v7, v6
	v_fma_f32 v10, -v2, v9, v7
	v_fmac_f32_e32 v9, v10, v6
	v_fma_f32 v2, -v2, v9, v7
	v_div_fmas_f32 v2, v2, v6, v9
	v_div_fixup_f32 v7, v2, v8, v11
	v_fmac_f32_e32 v8, v11, v7
	v_div_scale_f32 v2, s[2:3], v8, v8, 1.0
	v_rcp_f32_e32 v6, v2
	s_mov_b64 s[2:3], 0xbf800000
	v_fma_f32 v9, -v2, v6, 1.0
	v_fmac_f32_e32 v6, v9, v6
	v_div_scale_f32 v9, vcc, 1.0, v8, 1.0
	v_mul_f32_e32 v10, v9, v6
	v_fma_f32 v11, -v2, v10, v9
	v_fmac_f32_e32 v10, v11, v6
	v_fma_f32 v2, -v2, v10, v9
	v_div_fmas_f32 v2, v2, v6, v10
	v_mul_f32_e32 v6, 0, v7
	v_div_fixup_f32 v2, v2, v8, 1.0
	v_pk_add_f32 v[6:7], v[6:7], s[2:3]
	s_nop 0
	v_pk_mul_f32 v[6:7], v[6:7], v[2:3] op_sel_hi:[1,0]
.LBB178_39:
	s_or_b64 exec, exec, s[0:1]
	v_cvt_f32_f16_sdwa v10, v3 dst_sel:DWORD dst_unused:UNUSED_PAD src0_sel:WORD_1
	v_mov_b32_e32 v13, 0
	v_cmp_neq_f16_e32 vcc, 0, v3
	v_cmp_neq_f16_sdwa s[0:1], v3, v13 src0_sel:WORD_1 src1_sel:DWORD
	s_or_b64 s[0:1], vcc, s[0:1]
	s_and_saveexec_b64 s[12:13], s[0:1]
	s_cbranch_execz .LBB178_69
; %bb.40:
	v_cvt_f32_f16_e32 v11, v3
	v_mov_b32_e32 v13, 0x7f800000
	v_cmp_neq_f32_e64 s[0:1], |v10|, v13
	s_and_saveexec_b64 s[14:15], s[0:1]
	s_cbranch_execz .LBB178_68
; %bb.41:
	v_cmp_o_f16_e32 vcc, v3, v3
                                        ; implicit-def: $vgpr13
	s_and_saveexec_b64 s[0:1], vcc
	s_xor_b64 s[16:17], exec, s[0:1]
	s_cbranch_execz .LBB178_65
; %bb.42:
	s_mov_b32 s0, 0x7f800000
	v_cmp_neq_f32_e64 s[0:1], |v11|, s0
                                        ; implicit-def: $vgpr13
	s_and_saveexec_b64 s[2:3], s[0:1]
	s_xor_b64 s[18:19], exec, s[2:3]
	s_cbranch_execz .LBB178_58
; %bb.43:
	v_max_f32_e64 v2, |v10|, |v10|
	v_max_f32_e64 v8, |v11|, |v11|
	v_max_f32_e32 v2, v8, v2
	s_mov_b32 s0, 0x7ed413cb
	v_cmp_nle_f32_e64 s[0:1], s0, v2
                                        ; implicit-def: $sgpr20_sgpr21
	s_and_saveexec_b64 s[2:3], s[0:1]
	s_xor_b64 s[2:3], exec, s[2:3]
	s_cbranch_execz .LBB178_47
; %bb.44:
	s_mov_b32 s7, 0x1000000
	v_cmp_le_f32_e64 s[20:21], |v11|, s7
	v_cmp_le_f32_e64 s[22:23], |v10|, s7
	s_and_b64 s[26:27], s[20:21], s[22:23]
	s_mov_b64 s[20:21], 0
	s_and_saveexec_b64 s[22:23], s[26:27]
; %bb.45:
	s_mov_b64 s[20:21], exec
	v_pk_mul_f32 v[10:11], v[10:11], 4.0 op_sel_hi:[1,0]
; %bb.46:
	s_or_b64 exec, exec, s[22:23]
.LBB178_47:
	s_andn2_saveexec_b64 s[2:3], s[2:3]
; %bb.48:
	s_mov_b32 s22, 0x3e800000
	v_pk_mul_f32 v[10:11], v[10:11], s[22:23] op_sel_hi:[1,0]
	s_andn2_b64 s[20:21], s[20:21], exec
; %bb.49:
	s_or_b64 exec, exec, s[2:3]
	v_max_f32_e64 v2, |v10|, |v10|
	v_max_f32_e64 v8, |v11|, |v11|
	v_max_f32_e32 v2, v8, v2
	v_cvt_f64_f32_e32 v[8:9], v2
	v_frexp_exp_i32_f64_e32 v8, v[8:9]
	v_sub_u32_e32 v9, 0, v8
	v_ldexp_f32 v12, |v11|, v9
	v_ldexp_f32 v9, |v10|, v9
	v_mul_f32_e32 v9, v9, v9
	v_fmac_f32_e32 v9, v12, v12
	v_sqrt_f32_e32 v9, v9
	s_mov_b32 s2, 0x7f800000
	v_cmp_neq_f32_e64 s[2:3], s2, v2
	v_cmp_le_f32_e32 vcc, 0, v11
	v_ldexp_f32 v8, v9, v8
	v_mov_b32_e32 v9, 0x7f800000
	v_cndmask_b32_e64 v2, v9, v8, s[2:3]
                                        ; implicit-def: $vgpr8_vgpr9
	s_and_saveexec_b64 s[2:3], vcc
	s_xor_b64 s[22:23], exec, s[2:3]
	s_cbranch_execz .LBB178_51
; %bb.50:
	v_add_f32_e32 v2, v11, v2
	v_mul_f32_e32 v2, 0.5, v2
	s_mov_b32 s2, 0xf800000
	v_mul_f32_e32 v8, 0x4f800000, v2
	v_cmp_gt_f32_e32 vcc, s2, v2
	s_nop 1
	v_cndmask_b32_e32 v2, v2, v8, vcc
	v_sqrt_f32_e32 v8, v2
	s_nop 0
	v_add_u32_e32 v9, -1, v8
	v_fma_f32 v11, -v9, v8, v2
	v_cmp_ge_f32_e64 s[2:3], 0, v11
	v_add_u32_e32 v11, 1, v8
	s_nop 0
	v_cndmask_b32_e64 v9, v8, v9, s[2:3]
	v_fma_f32 v8, -v11, v8, v2
	v_cmp_lt_f32_e64 s[2:3], 0, v8
	s_nop 1
	v_cndmask_b32_e64 v8, v9, v11, s[2:3]
	v_mul_f32_e32 v9, 0x37800000, v8
	v_cndmask_b32_e32 v8, v8, v9, vcc
	v_mov_b32_e32 v9, 0x260
	v_cmp_class_f32_e32 vcc, v2, v9
	s_nop 1
	v_cndmask_b32_e32 v9, v8, v2, vcc
	v_add_f32_e32 v2, v9, v9
	v_div_scale_f32 v8, s[2:3], v2, v2, v10
	v_rcp_f32_e32 v11, v8
	s_nop 0
	v_fma_f32 v12, -v8, v11, 1.0
	v_fmac_f32_e32 v11, v12, v11
	v_div_scale_f32 v12, vcc, v10, v2, v10
	v_mul_f32_e32 v13, v12, v11
	v_fma_f32 v14, -v8, v13, v12
	v_fmac_f32_e32 v13, v14, v11
	v_fma_f32 v8, -v8, v13, v12
	v_div_fmas_f32 v8, v8, v11, v13
	v_div_fixup_f32 v8, v8, v2, v10
                                        ; implicit-def: $vgpr2
                                        ; implicit-def: $vgpr10_vgpr11
	s_andn2_saveexec_b64 s[22:23], s[22:23]
	s_cbranch_execz .LBB178_53
	s_branch .LBB178_52
.LBB178_51:
	s_andn2_saveexec_b64 s[22:23], s[22:23]
	s_cbranch_execz .LBB178_53
.LBB178_52:
	v_sub_f32_e32 v2, v2, v11
	v_mul_f32_e32 v2, 0.5, v2
	s_mov_b32 s2, 0xf800000
	v_mul_f32_e32 v8, 0x4f800000, v2
	v_cmp_gt_f32_e32 vcc, s2, v2
	s_nop 1
	v_cndmask_b32_e32 v2, v2, v8, vcc
	v_sqrt_f32_e32 v8, v2
	s_nop 0
	v_add_u32_e32 v9, -1, v8
	v_fma_f32 v11, -v9, v8, v2
	v_cmp_ge_f32_e64 s[2:3], 0, v11
	v_add_u32_e32 v11, 1, v8
	s_nop 0
	v_cndmask_b32_e64 v9, v8, v9, s[2:3]
	v_fma_f32 v8, -v11, v8, v2
	v_cmp_lt_f32_e64 s[2:3], 0, v8
	s_nop 1
	v_cndmask_b32_e64 v8, v9, v11, s[2:3]
	v_mul_f32_e32 v9, 0x37800000, v8
	v_cndmask_b32_e32 v8, v8, v9, vcc
	v_mov_b32_e32 v9, 0x260
	v_cmp_class_f32_e32 vcc, v2, v9
	v_and_b32_e32 v9, 0x7fffffff, v10
	s_nop 0
	v_cndmask_b32_e32 v2, v8, v2, vcc
	v_add_f32_e32 v8, v2, v2
	v_div_scale_f32 v11, s[2:3], v8, v8, v9
	v_rcp_f32_e32 v12, v11
	v_div_scale_f32 v9, vcc, v9, v8, v9
	s_brev_b32 s2, -2
	v_fma_f32 v13, -v11, v12, 1.0
	v_fmac_f32_e32 v12, v13, v12
	v_mul_f32_e32 v13, v9, v12
	v_fma_f32 v14, -v11, v13, v9
	v_fmac_f32_e32 v13, v14, v12
	v_fma_f32 v9, -v11, v13, v9
	v_div_fmas_f32 v9, v9, v12, v13
	v_div_fixup_f32 v9, v9, v8, |v10|
	v_bfi_b32 v8, s2, v2, v10
.LBB178_53:
	s_or_b64 exec, exec, s[22:23]
                                        ; implicit-def: $vgpr13
                                        ; implicit-def: $vgpr10
	s_and_saveexec_b64 s[2:3], s[0:1]
	s_xor_b64 s[0:1], exec, s[2:3]
	s_cbranch_execz .LBB178_55
; %bb.54:
	v_pk_mul_f32 v[10:11], v[8:9], 0.5 op_sel_hi:[1,0]
	s_nop 0
	v_cndmask_b32_e64 v10, v8, v10, s[20:21]
	v_cndmask_b32_e64 v13, v9, v11, s[20:21]
                                        ; implicit-def: $vgpr8_vgpr9
	s_andn2_saveexec_b64 s[0:1], s[0:1]
	s_cbranch_execnz .LBB178_56
	s_branch .LBB178_57
.LBB178_55:
	s_andn2_saveexec_b64 s[0:1], s[0:1]
.LBB178_56:
	v_pk_add_f32 v[12:13], v[8:9], v[8:9]
	s_nop 0
	v_mov_b32_e32 v10, v12
.LBB178_57:
	s_or_b64 exec, exec, s[0:1]
.LBB178_58:
	s_andn2_saveexec_b64 s[0:1], s[18:19]
	s_cbranch_execz .LBB178_64
; %bb.59:
	v_and_b32_e32 v2, 0x8000, v3
	v_cmp_ne_u32_e32 vcc, 0, v2
	v_sub_f32_e32 v2, v10, v10
                                        ; implicit-def: $vgpr13
	s_and_saveexec_b64 s[2:3], vcc
	s_xor_b64 s[2:3], exec, s[2:3]
; %bb.60:
	s_brev_b32 s7, -2
	v_and_b32_e32 v13, 0x7fffffff, v2
	v_bfi_b32 v10, s7, v11, v10
                                        ; implicit-def: $vgpr2
; %bb.61:
	s_andn2_saveexec_b64 s[2:3], s[2:3]
; %bb.62:
	s_brev_b32 s7, -2
	v_bfi_b32 v10, s7, v2, v10
	v_mov_b32_e32 v13, v11
; %bb.63:
	s_or_b64 exec, exec, s[2:3]
.LBB178_64:
	s_or_b64 exec, exec, s[0:1]
.LBB178_65:
	s_andn2_saveexec_b64 s[0:1], s[16:17]
	s_cbranch_execz .LBB178_67
; %bb.66:
	v_sub_f32_e32 v2, v10, v10
	v_div_scale_f32 v3, vcc, v2, v2, v2
	v_rcp_f32_e32 v8, v3
	v_mov_b32_e32 v13, v11
	v_fma_f32 v9, -v3, v8, 1.0
	v_fmac_f32_e32 v8, v9, v8
	v_mul_f32_e32 v9, v3, v8
	v_fma_f32 v10, -v3, v9, v3
	v_fmac_f32_e32 v9, v10, v8
	v_fma_f32 v3, -v3, v9, v3
	v_div_fmas_f32 v3, v3, v8, v9
	v_div_fixup_f32 v10, v3, v2, v2
.LBB178_67:
	s_or_b64 exec, exec, s[0:1]
.LBB178_68:
	s_or_b64 exec, exec, s[14:15]
.LBB178_69:
	s_or_b64 exec, exec, s[12:13]
	v_cmp_gt_f32_e32 vcc, 0, v13
                                        ; implicit-def: $vgpr8_vgpr9
	s_nop 1
	v_cndmask_b32_e64 v3, v13, -v13, vcc
	v_cmp_gt_f32_e32 vcc, 0, v10
	s_nop 1
	v_cndmask_b32_e64 v2, v10, -v10, vcc
	v_cmp_ge_f32_e32 vcc, v3, v2
	s_and_saveexec_b64 s[0:1], vcc
	s_xor_b64 s[2:3], exec, s[0:1]
	s_cbranch_execz .LBB178_75
; %bb.70:
	v_cmp_neq_f32_e32 vcc, 0, v13
	v_cmp_neq_f32_e64 s[0:1], 0, v10
	s_or_b64 s[0:1], vcc, s[0:1]
                                        ; implicit-def: $vgpr8_vgpr9
	s_and_saveexec_b64 s[12:13], s[0:1]
	s_xor_b64 s[0:1], exec, s[12:13]
	s_cbranch_execz .LBB178_72
; %bb.71:
	v_div_scale_f32 v2, s[12:13], v13, v13, v10
	v_rcp_f32_e32 v3, v2
	v_div_scale_f32 v8, vcc, v10, v13, v10
	v_fma_f32 v9, -v2, v3, 1.0
	v_fmac_f32_e32 v3, v9, v3
	v_mul_f32_e32 v9, v8, v3
	v_fma_f32 v11, -v2, v9, v8
	v_fmac_f32_e32 v9, v11, v3
	v_fma_f32 v2, -v2, v9, v8
	v_div_fmas_f32 v2, v2, v3, v9
	v_div_fixup_f32 v3, v2, v13, v10
	v_fmac_f32_e32 v13, v10, v3
	v_div_scale_f32 v2, s[12:13], v13, v13, 1.0
	v_rcp_f32_e32 v8, v2
	s_nop 0
	v_fma_f32 v9, -v2, v8, 1.0
	v_fmac_f32_e32 v8, v9, v8
	v_div_scale_f32 v9, vcc, 1.0, v13, 1.0
	v_mul_f32_e32 v10, v9, v8
	v_fma_f32 v11, -v2, v10, v9
	v_fmac_f32_e32 v10, v11, v8
	v_fma_f32 v2, -v2, v10, v9
	v_div_fmas_f32 v2, v2, v8, v10
	v_mul_f32_e32 v8, 0, v3
	v_div_fixup_f32 v2, v2, v13, 1.0
	v_add_f32_e32 v9, 1.0, v8
	v_sub_f32_e32 v8, 0, v3
	v_pk_mul_f32 v[8:9], v[8:9], v[2:3] op_sel_hi:[1,0]
                                        ; implicit-def: $vgpr3
                                        ; implicit-def: $vgpr2
.LBB178_72:
	s_andn2_saveexec_b64 s[0:1], s[0:1]
	s_cbranch_execz .LBB178_74
; %bb.73:
	v_div_scale_f32 v8, s[12:13], v3, v3, 1.0
	v_rcp_f32_e32 v9, v8
	v_div_scale_f32 v10, vcc, 1.0, v3, 1.0
	v_fma_f32 v11, -v8, v9, 1.0
	v_fmac_f32_e32 v9, v11, v9
	v_mul_f32_e32 v11, v10, v9
	v_fma_f32 v12, -v8, v11, v10
	v_fmac_f32_e32 v11, v12, v9
	v_fma_f32 v8, -v8, v11, v10
	v_div_scale_f32 v10, s[12:13], v2, v2, 0
	v_rcp_f32_e32 v12, v10
	v_div_fmas_f32 v8, v8, v9, v11
	v_div_fixup_f32 v9, v8, v3, 1.0
	v_fma_f32 v3, -v10, v12, 1.0
	v_fmac_f32_e32 v12, v3, v12
	v_div_scale_f32 v3, vcc, 0, v2, 0
	v_mul_f32_e32 v8, v3, v12
	v_fma_f32 v11, -v10, v8, v3
	v_fmac_f32_e32 v8, v11, v12
	v_fma_f32 v3, -v10, v8, v3
	v_div_fmas_f32 v3, v3, v12, v8
	v_div_fixup_f32 v8, v3, v2, 0
.LBB178_74:
	s_or_b64 exec, exec, s[0:1]
                                        ; implicit-def: $vgpr10
                                        ; implicit-def: $vgpr13
.LBB178_75:
	s_andn2_saveexec_b64 s[0:1], s[2:3]
	s_cbranch_execz .LBB178_77
; %bb.76:
	v_div_scale_f32 v2, s[2:3], v10, v10, v13
	v_rcp_f32_e32 v3, v2
	v_div_scale_f32 v8, vcc, v13, v10, v13
	v_fma_f32 v9, -v2, v3, 1.0
	v_fmac_f32_e32 v3, v9, v3
	v_mul_f32_e32 v9, v8, v3
	v_fma_f32 v11, -v2, v9, v8
	v_fmac_f32_e32 v9, v11, v3
	v_fma_f32 v2, -v2, v9, v8
	v_div_fmas_f32 v2, v2, v3, v9
	v_div_fixup_f32 v3, v2, v10, v13
	v_fmac_f32_e32 v10, v13, v3
	v_div_scale_f32 v2, s[2:3], v10, v10, 1.0
	v_rcp_f32_e32 v8, v2
	s_mov_b64 s[2:3], 0xbf800000
	v_fma_f32 v9, -v2, v8, 1.0
	v_fmac_f32_e32 v8, v9, v8
	v_div_scale_f32 v9, vcc, 1.0, v10, 1.0
	v_mul_f32_e32 v11, v9, v8
	v_fma_f32 v12, -v2, v11, v9
	v_fmac_f32_e32 v11, v12, v8
	v_fma_f32 v2, -v2, v11, v9
	v_div_fmas_f32 v2, v2, v8, v11
	v_div_fixup_f32 v8, v2, v10, 1.0
	v_mul_f32_e32 v2, 0, v3
	v_pk_add_f32 v[2:3], v[2:3], s[2:3]
	s_nop 0
	v_pk_mul_f32 v[8:9], v[2:3], v[8:9] op_sel_hi:[1,0]
.LBB178_77:
	s_or_b64 exec, exec, s[0:1]
	v_cvt_f32_f16_sdwa v2, v4 dst_sel:DWORD dst_unused:UNUSED_PAD src0_sel:WORD_1
	v_mov_b32_e32 v13, 0
	v_cmp_neq_f16_e32 vcc, 0, v4
	v_cmp_neq_f16_sdwa s[0:1], v4, v13 src0_sel:WORD_1 src1_sel:DWORD
	s_or_b64 s[0:1], vcc, s[0:1]
	s_and_saveexec_b64 s[12:13], s[0:1]
	s_cbranch_execz .LBB178_107
; %bb.78:
	v_cvt_f32_f16_e32 v3, v4
	v_mov_b32_e32 v13, 0x7f800000
	v_cmp_neq_f32_e64 s[0:1], |v2|, v13
	s_and_saveexec_b64 s[14:15], s[0:1]
	s_cbranch_execz .LBB178_106
; %bb.79:
	v_cmp_o_f16_e32 vcc, v4, v4
                                        ; implicit-def: $vgpr13
	s_and_saveexec_b64 s[0:1], vcc
	s_xor_b64 s[16:17], exec, s[0:1]
	s_cbranch_execz .LBB178_103
; %bb.80:
	s_mov_b32 s0, 0x7f800000
	v_cmp_neq_f32_e64 s[0:1], |v3|, s0
                                        ; implicit-def: $vgpr13
	s_and_saveexec_b64 s[2:3], s[0:1]
	s_xor_b64 s[18:19], exec, s[2:3]
	s_cbranch_execz .LBB178_96
; %bb.81:
	v_max_f32_e64 v10, |v2|, |v2|
	v_max_f32_e64 v11, |v3|, |v3|
	v_max_f32_e32 v10, v11, v10
	s_mov_b32 s0, 0x7ed413cb
	v_cmp_nle_f32_e64 s[0:1], s0, v10
                                        ; implicit-def: $sgpr20_sgpr21
	s_and_saveexec_b64 s[2:3], s[0:1]
	s_xor_b64 s[2:3], exec, s[2:3]
	s_cbranch_execz .LBB178_85
; %bb.82:
	s_mov_b32 s7, 0x1000000
	v_cmp_le_f32_e64 s[20:21], |v3|, s7
	v_cmp_le_f32_e64 s[22:23], |v2|, s7
	s_and_b64 s[26:27], s[20:21], s[22:23]
	s_mov_b64 s[20:21], 0
	s_and_saveexec_b64 s[22:23], s[26:27]
; %bb.83:
	s_mov_b64 s[20:21], exec
	v_pk_mul_f32 v[2:3], v[2:3], 4.0 op_sel_hi:[1,0]
; %bb.84:
	s_or_b64 exec, exec, s[22:23]
.LBB178_85:
	s_andn2_saveexec_b64 s[2:3], s[2:3]
; %bb.86:
	s_mov_b32 s22, 0x3e800000
	v_pk_mul_f32 v[2:3], v[2:3], s[22:23] op_sel_hi:[1,0]
	s_andn2_b64 s[20:21], s[20:21], exec
; %bb.87:
	s_or_b64 exec, exec, s[2:3]
	v_max_f32_e64 v10, |v2|, |v2|
	v_max_f32_e64 v11, |v3|, |v3|
	v_max_f32_e32 v12, v11, v10
	v_cvt_f64_f32_e32 v[10:11], v12
	v_frexp_exp_i32_f64_e32 v10, v[10:11]
	v_sub_u32_e32 v11, 0, v10
	v_ldexp_f32 v13, |v3|, v11
	v_ldexp_f32 v11, |v2|, v11
	v_mul_f32_e32 v11, v11, v11
	v_fmac_f32_e32 v11, v13, v13
	v_sqrt_f32_e32 v11, v11
	s_mov_b32 s2, 0x7f800000
	v_cmp_neq_f32_e64 s[2:3], s2, v12
	v_cmp_le_f32_e32 vcc, 0, v3
	v_ldexp_f32 v10, v11, v10
	v_mov_b32_e32 v11, 0x7f800000
	v_cndmask_b32_e64 v12, v11, v10, s[2:3]
                                        ; implicit-def: $vgpr10_vgpr11
	s_and_saveexec_b64 s[2:3], vcc
	s_xor_b64 s[22:23], exec, s[2:3]
	s_cbranch_execz .LBB178_89
; %bb.88:
	v_add_f32_e32 v3, v3, v12
	v_mul_f32_e32 v3, 0.5, v3
	s_mov_b32 s2, 0xf800000
	v_mul_f32_e32 v10, 0x4f800000, v3
	v_cmp_gt_f32_e32 vcc, s2, v3
	s_nop 1
	v_cndmask_b32_e32 v3, v3, v10, vcc
	v_sqrt_f32_e32 v10, v3
	s_nop 0
	v_add_u32_e32 v11, -1, v10
	v_fma_f32 v12, -v11, v10, v3
	v_cmp_ge_f32_e64 s[2:3], 0, v12
	v_add_u32_e32 v12, 1, v10
	s_nop 0
	v_cndmask_b32_e64 v11, v10, v11, s[2:3]
	v_fma_f32 v10, -v12, v10, v3
	v_cmp_lt_f32_e64 s[2:3], 0, v10
	s_nop 1
	v_cndmask_b32_e64 v10, v11, v12, s[2:3]
	v_mul_f32_e32 v11, 0x37800000, v10
	v_cndmask_b32_e32 v10, v10, v11, vcc
	v_mov_b32_e32 v11, 0x260
	v_cmp_class_f32_e32 vcc, v3, v11
	s_nop 1
	v_cndmask_b32_e32 v11, v10, v3, vcc
	v_add_f32_e32 v3, v11, v11
	v_div_scale_f32 v10, s[2:3], v3, v3, v2
	v_rcp_f32_e32 v12, v10
	s_nop 0
	v_fma_f32 v13, -v10, v12, 1.0
	v_fmac_f32_e32 v12, v13, v12
	v_div_scale_f32 v13, vcc, v2, v3, v2
	v_mul_f32_e32 v14, v13, v12
	v_fma_f32 v15, -v10, v14, v13
	v_fmac_f32_e32 v14, v15, v12
	v_fma_f32 v10, -v10, v14, v13
	v_div_fmas_f32 v10, v10, v12, v14
	v_div_fixup_f32 v10, v10, v3, v2
                                        ; implicit-def: $vgpr12
                                        ; implicit-def: $vgpr2_vgpr3
	s_andn2_saveexec_b64 s[22:23], s[22:23]
	s_cbranch_execz .LBB178_91
	s_branch .LBB178_90
.LBB178_89:
	s_andn2_saveexec_b64 s[22:23], s[22:23]
	s_cbranch_execz .LBB178_91
.LBB178_90:
	v_sub_f32_e32 v3, v12, v3
	v_mul_f32_e32 v3, 0.5, v3
	s_mov_b32 s2, 0xf800000
	v_mul_f32_e32 v10, 0x4f800000, v3
	v_cmp_gt_f32_e32 vcc, s2, v3
	s_nop 1
	v_cndmask_b32_e32 v3, v3, v10, vcc
	v_sqrt_f32_e32 v10, v3
	s_nop 0
	v_add_u32_e32 v11, -1, v10
	v_fma_f32 v12, -v11, v10, v3
	v_cmp_ge_f32_e64 s[2:3], 0, v12
	v_add_u32_e32 v12, 1, v10
	s_nop 0
	v_cndmask_b32_e64 v11, v10, v11, s[2:3]
	v_fma_f32 v10, -v12, v10, v3
	v_cmp_lt_f32_e64 s[2:3], 0, v10
	s_nop 1
	v_cndmask_b32_e64 v10, v11, v12, s[2:3]
	v_mul_f32_e32 v11, 0x37800000, v10
	v_cndmask_b32_e32 v10, v10, v11, vcc
	v_mov_b32_e32 v11, 0x260
	v_cmp_class_f32_e32 vcc, v3, v11
	v_and_b32_e32 v11, 0x7fffffff, v2
	s_nop 0
	v_cndmask_b32_e32 v3, v10, v3, vcc
	v_add_f32_e32 v10, v3, v3
	v_div_scale_f32 v12, s[2:3], v10, v10, v11
	v_rcp_f32_e32 v13, v12
	v_div_scale_f32 v11, vcc, v11, v10, v11
	s_brev_b32 s2, -2
	v_fma_f32 v14, -v12, v13, 1.0
	v_fmac_f32_e32 v13, v14, v13
	v_mul_f32_e32 v14, v11, v13
	v_fma_f32 v15, -v12, v14, v11
	v_fmac_f32_e32 v14, v15, v13
	v_fma_f32 v11, -v12, v14, v11
	v_div_fmas_f32 v11, v11, v13, v14
	v_div_fixup_f32 v11, v11, v10, |v2|
	v_bfi_b32 v10, s2, v3, v2
.LBB178_91:
	s_or_b64 exec, exec, s[22:23]
                                        ; implicit-def: $vgpr13
                                        ; implicit-def: $vgpr2
	s_and_saveexec_b64 s[2:3], s[0:1]
	s_xor_b64 s[0:1], exec, s[2:3]
	s_cbranch_execz .LBB178_93
; %bb.92:
	v_pk_mul_f32 v[2:3], v[10:11], 0.5 op_sel_hi:[1,0]
	s_nop 0
	v_cndmask_b32_e64 v2, v10, v2, s[20:21]
	v_cndmask_b32_e64 v13, v11, v3, s[20:21]
                                        ; implicit-def: $vgpr10_vgpr11
	s_andn2_saveexec_b64 s[0:1], s[0:1]
	s_cbranch_execnz .LBB178_94
	s_branch .LBB178_95
.LBB178_93:
	s_andn2_saveexec_b64 s[0:1], s[0:1]
.LBB178_94:
	v_pk_add_f32 v[12:13], v[10:11], v[10:11]
	s_nop 0
	v_mov_b32_e32 v2, v12
.LBB178_95:
	s_or_b64 exec, exec, s[0:1]
.LBB178_96:
	s_andn2_saveexec_b64 s[0:1], s[18:19]
	s_cbranch_execz .LBB178_102
; %bb.97:
	v_and_b32_e32 v4, 0x8000, v4
	v_cmp_ne_u32_e32 vcc, 0, v4
	v_sub_f32_e32 v4, v2, v2
                                        ; implicit-def: $vgpr13
	s_and_saveexec_b64 s[2:3], vcc
	s_xor_b64 s[2:3], exec, s[2:3]
; %bb.98:
	s_brev_b32 s7, -2
	v_and_b32_e32 v13, 0x7fffffff, v4
	v_bfi_b32 v2, s7, v3, v2
                                        ; implicit-def: $vgpr4
; %bb.99:
	s_andn2_saveexec_b64 s[2:3], s[2:3]
; %bb.100:
	s_brev_b32 s7, -2
	v_bfi_b32 v2, s7, v4, v2
	v_mov_b32_e32 v13, v3
; %bb.101:
	s_or_b64 exec, exec, s[2:3]
.LBB178_102:
	s_or_b64 exec, exec, s[0:1]
.LBB178_103:
	s_andn2_saveexec_b64 s[0:1], s[16:17]
	s_cbranch_execz .LBB178_105
; %bb.104:
	v_sub_f32_e32 v2, v2, v2
	v_div_scale_f32 v4, vcc, v2, v2, v2
	v_rcp_f32_e32 v10, v4
	v_mov_b32_e32 v13, v3
	v_fma_f32 v11, -v4, v10, 1.0
	v_fmac_f32_e32 v10, v11, v10
	v_mul_f32_e32 v11, v4, v10
	v_fma_f32 v12, -v4, v11, v4
	v_fmac_f32_e32 v11, v12, v10
	v_fma_f32 v4, -v4, v11, v4
	v_div_fmas_f32 v4, v4, v10, v11
	v_div_fixup_f32 v2, v4, v2, v2
.LBB178_105:
	s_or_b64 exec, exec, s[0:1]
.LBB178_106:
	s_or_b64 exec, exec, s[14:15]
.LBB178_107:
	s_or_b64 exec, exec, s[12:13]
	v_cmp_gt_f32_e32 vcc, 0, v13
                                        ; implicit-def: $vgpr10_vgpr11
	s_nop 1
	v_cndmask_b32_e64 v4, v13, -v13, vcc
	v_cmp_gt_f32_e32 vcc, 0, v2
	s_nop 1
	v_cndmask_b32_e64 v3, v2, -v2, vcc
	v_cmp_ge_f32_e32 vcc, v4, v3
	s_and_saveexec_b64 s[0:1], vcc
	s_xor_b64 s[2:3], exec, s[0:1]
	s_cbranch_execz .LBB178_113
; %bb.108:
	v_cmp_neq_f32_e32 vcc, 0, v13
	v_cmp_neq_f32_e64 s[0:1], 0, v2
	s_or_b64 s[0:1], vcc, s[0:1]
                                        ; implicit-def: $vgpr10_vgpr11
	s_and_saveexec_b64 s[12:13], s[0:1]
	s_xor_b64 s[0:1], exec, s[12:13]
	s_cbranch_execz .LBB178_110
; %bb.109:
	v_div_scale_f32 v3, s[12:13], v13, v13, v2
	v_rcp_f32_e32 v4, v3
	v_div_scale_f32 v10, vcc, v2, v13, v2
	v_fma_f32 v11, -v3, v4, 1.0
	v_fmac_f32_e32 v4, v11, v4
	v_mul_f32_e32 v11, v10, v4
	v_fma_f32 v12, -v3, v11, v10
	v_fmac_f32_e32 v11, v12, v4
	v_fma_f32 v3, -v3, v11, v10
	v_div_fmas_f32 v3, v3, v4, v11
	v_div_fixup_f32 v3, v3, v13, v2
	v_fmac_f32_e32 v13, v2, v3
	v_div_scale_f32 v2, s[12:13], v13, v13, 1.0
	v_rcp_f32_e32 v4, v2
	s_nop 0
	v_fma_f32 v10, -v2, v4, 1.0
	v_fmac_f32_e32 v4, v10, v4
	v_div_scale_f32 v10, vcc, 1.0, v13, 1.0
	v_mul_f32_e32 v11, v10, v4
	v_fma_f32 v12, -v2, v11, v10
	v_fmac_f32_e32 v11, v12, v4
	v_fma_f32 v2, -v2, v11, v10
	v_div_fmas_f32 v2, v2, v4, v11
	v_mul_f32_e32 v4, 0, v3
	v_div_fixup_f32 v2, v2, v13, 1.0
	v_add_f32_e32 v11, 1.0, v4
	v_sub_f32_e32 v10, 0, v3
	v_pk_mul_f32 v[10:11], v[10:11], v[2:3] op_sel_hi:[1,0]
                                        ; implicit-def: $vgpr4
                                        ; implicit-def: $vgpr3
.LBB178_110:
	s_andn2_saveexec_b64 s[0:1], s[0:1]
	s_cbranch_execz .LBB178_112
; %bb.111:
	v_div_scale_f32 v2, s[12:13], v4, v4, 1.0
	v_rcp_f32_e32 v10, v2
	v_div_scale_f32 v11, vcc, 1.0, v4, 1.0
	v_fma_f32 v12, -v2, v10, 1.0
	v_fmac_f32_e32 v10, v12, v10
	v_mul_f32_e32 v12, v11, v10
	v_fma_f32 v13, -v2, v12, v11
	v_fmac_f32_e32 v12, v13, v10
	v_div_scale_f32 v13, s[12:13], v3, v3, 0
	v_rcp_f32_e32 v14, v13
	v_fma_f32 v2, -v2, v12, v11
	v_div_fmas_f32 v2, v2, v10, v12
	v_div_fixup_f32 v11, v2, v4, 1.0
	v_fma_f32 v2, -v13, v14, 1.0
	v_fmac_f32_e32 v14, v2, v14
	v_div_scale_f32 v2, vcc, 0, v3, 0
	v_mul_f32_e32 v4, v2, v14
	v_fma_f32 v10, -v13, v4, v2
	v_fmac_f32_e32 v4, v10, v14
	v_fma_f32 v2, -v13, v4, v2
	v_div_fmas_f32 v2, v2, v14, v4
	v_div_fixup_f32 v10, v2, v3, 0
.LBB178_112:
	s_or_b64 exec, exec, s[0:1]
                                        ; implicit-def: $vgpr2
                                        ; implicit-def: $vgpr13
.LBB178_113:
	s_andn2_saveexec_b64 s[0:1], s[2:3]
	s_cbranch_execz .LBB178_115
; %bb.114:
	v_div_scale_f32 v3, s[2:3], v2, v2, v13
	v_rcp_f32_e32 v4, v3
	v_div_scale_f32 v10, vcc, v13, v2, v13
	v_fma_f32 v11, -v3, v4, 1.0
	v_fmac_f32_e32 v4, v11, v4
	v_mul_f32_e32 v11, v10, v4
	v_fma_f32 v12, -v3, v11, v10
	v_fmac_f32_e32 v11, v12, v4
	v_fma_f32 v3, -v3, v11, v10
	v_div_fmas_f32 v3, v3, v4, v11
	v_div_fixup_f32 v3, v3, v2, v13
	v_fmac_f32_e32 v2, v13, v3
	v_div_scale_f32 v4, s[2:3], v2, v2, 1.0
	v_rcp_f32_e32 v10, v4
	s_mov_b64 s[2:3], 0xbf800000
	v_fma_f32 v11, -v4, v10, 1.0
	v_fmac_f32_e32 v10, v11, v10
	v_div_scale_f32 v11, vcc, 1.0, v2, 1.0
	v_mul_f32_e32 v12, v11, v10
	v_fma_f32 v13, -v4, v12, v11
	v_fmac_f32_e32 v12, v13, v10
	v_fma_f32 v4, -v4, v12, v11
	v_div_fmas_f32 v4, v4, v10, v12
	v_div_fixup_f32 v4, v4, v2, 1.0
	v_mul_f32_e32 v2, 0, v3
	v_pk_add_f32 v[2:3], v[2:3], s[2:3]
	s_nop 0
	v_pk_mul_f32 v[10:11], v[2:3], v[4:5] op_sel_hi:[1,0]
.LBB178_115:
	s_or_b64 exec, exec, s[0:1]
	v_cvt_f32_f16_sdwa v12, v5 dst_sel:DWORD dst_unused:UNUSED_PAD src0_sel:WORD_1
	v_mov_b32_e32 v15, 0
	v_cmp_neq_f16_e32 vcc, 0, v5
	v_cmp_neq_f16_sdwa s[0:1], v5, v15 src0_sel:WORD_1 src1_sel:DWORD
	s_or_b64 s[0:1], vcc, s[0:1]
	s_and_saveexec_b64 s[12:13], s[0:1]
	s_cbranch_execz .LBB178_145
; %bb.116:
	v_cvt_f32_f16_e32 v13, v5
	v_mov_b32_e32 v15, 0x7f800000
	v_cmp_neq_f32_e64 s[0:1], |v12|, v15
	s_and_saveexec_b64 s[14:15], s[0:1]
	s_cbranch_execz .LBB178_144
; %bb.117:
	v_cmp_o_f16_e32 vcc, v5, v5
                                        ; implicit-def: $vgpr15
	s_and_saveexec_b64 s[0:1], vcc
	s_xor_b64 s[16:17], exec, s[0:1]
	s_cbranch_execz .LBB178_141
; %bb.118:
	s_mov_b32 s0, 0x7f800000
	v_cmp_neq_f32_e64 s[0:1], |v13|, s0
                                        ; implicit-def: $vgpr15
	s_and_saveexec_b64 s[2:3], s[0:1]
	s_xor_b64 s[18:19], exec, s[2:3]
	s_cbranch_execz .LBB178_134
; %bb.119:
	v_max_f32_e64 v2, |v12|, |v12|
	v_max_f32_e64 v3, |v13|, |v13|
	v_max_f32_e32 v2, v3, v2
	s_mov_b32 s0, 0x7ed413cb
	v_cmp_nle_f32_e64 s[0:1], s0, v2
                                        ; implicit-def: $sgpr20_sgpr21
	s_and_saveexec_b64 s[2:3], s[0:1]
	s_xor_b64 s[2:3], exec, s[2:3]
	s_cbranch_execz .LBB178_123
; %bb.120:
	s_mov_b32 s7, 0x1000000
	v_cmp_le_f32_e64 s[20:21], |v13|, s7
	v_cmp_le_f32_e64 s[22:23], |v12|, s7
	s_and_b64 s[26:27], s[20:21], s[22:23]
	s_mov_b64 s[20:21], 0
	s_and_saveexec_b64 s[22:23], s[26:27]
; %bb.121:
	s_mov_b64 s[20:21], exec
	v_pk_mul_f32 v[12:13], v[12:13], 4.0 op_sel_hi:[1,0]
; %bb.122:
	s_or_b64 exec, exec, s[22:23]
.LBB178_123:
	s_andn2_saveexec_b64 s[2:3], s[2:3]
; %bb.124:
	s_mov_b32 s22, 0x3e800000
	v_pk_mul_f32 v[12:13], v[12:13], s[22:23] op_sel_hi:[1,0]
	s_andn2_b64 s[20:21], s[20:21], exec
; %bb.125:
	s_or_b64 exec, exec, s[2:3]
	v_max_f32_e64 v2, |v12|, |v12|
	v_max_f32_e64 v3, |v13|, |v13|
	v_max_f32_e32 v4, v3, v2
	v_cvt_f64_f32_e32 v[2:3], v4
	v_frexp_exp_i32_f64_e32 v2, v[2:3]
	v_sub_u32_e32 v3, 0, v2
	v_ldexp_f32 v5, |v13|, v3
	v_ldexp_f32 v3, |v12|, v3
	v_mul_f32_e32 v3, v3, v3
	v_fmac_f32_e32 v3, v5, v5
	v_sqrt_f32_e32 v3, v3
	s_mov_b32 s2, 0x7f800000
	v_cmp_neq_f32_e64 s[2:3], s2, v4
	v_cmp_le_f32_e32 vcc, 0, v13
	v_ldexp_f32 v2, v3, v2
	v_mov_b32_e32 v3, 0x7f800000
	v_cndmask_b32_e64 v4, v3, v2, s[2:3]
                                        ; implicit-def: $vgpr2_vgpr3
	s_and_saveexec_b64 s[2:3], vcc
	s_xor_b64 s[22:23], exec, s[2:3]
	s_cbranch_execz .LBB178_127
; %bb.126:
	v_add_f32_e32 v2, v13, v4
	v_mul_f32_e32 v2, 0.5, v2
	s_mov_b32 s2, 0xf800000
	v_mul_f32_e32 v3, 0x4f800000, v2
	v_cmp_gt_f32_e32 vcc, s2, v2
	s_nop 1
	v_cndmask_b32_e32 v2, v2, v3, vcc
	v_sqrt_f32_e32 v3, v2
	s_nop 0
	v_add_u32_e32 v4, -1, v3
	v_fma_f32 v5, -v4, v3, v2
	v_cmp_ge_f32_e64 s[2:3], 0, v5
	v_add_u32_e32 v5, 1, v3
	s_nop 0
	v_cndmask_b32_e64 v4, v3, v4, s[2:3]
	v_fma_f32 v3, -v5, v3, v2
	v_cmp_lt_f32_e64 s[2:3], 0, v3
	s_nop 1
	v_cndmask_b32_e64 v3, v4, v5, s[2:3]
	v_mul_f32_e32 v4, 0x37800000, v3
	v_cndmask_b32_e32 v3, v3, v4, vcc
	v_mov_b32_e32 v4, 0x260
	v_cmp_class_f32_e32 vcc, v2, v4
	s_nop 1
	v_cndmask_b32_e32 v3, v3, v2, vcc
	v_add_f32_e32 v2, v3, v3
	v_div_scale_f32 v4, s[2:3], v2, v2, v12
	v_rcp_f32_e32 v5, v4
	s_nop 0
	v_fma_f32 v13, -v4, v5, 1.0
	v_fmac_f32_e32 v5, v13, v5
	v_div_scale_f32 v13, vcc, v12, v2, v12
	v_mul_f32_e32 v14, v13, v5
	v_fma_f32 v15, -v4, v14, v13
	v_fmac_f32_e32 v14, v15, v5
	v_fma_f32 v4, -v4, v14, v13
	v_div_fmas_f32 v4, v4, v5, v14
	v_div_fixup_f32 v2, v4, v2, v12
                                        ; implicit-def: $vgpr4
                                        ; implicit-def: $vgpr12_vgpr13
	s_andn2_saveexec_b64 s[22:23], s[22:23]
	s_cbranch_execz .LBB178_129
	s_branch .LBB178_128
.LBB178_127:
	s_andn2_saveexec_b64 s[22:23], s[22:23]
	s_cbranch_execz .LBB178_129
.LBB178_128:
	v_sub_f32_e32 v2, v4, v13
	v_mul_f32_e32 v2, 0.5, v2
	s_mov_b32 s2, 0xf800000
	v_mul_f32_e32 v3, 0x4f800000, v2
	v_cmp_gt_f32_e32 vcc, s2, v2
	s_nop 1
	v_cndmask_b32_e32 v2, v2, v3, vcc
	v_sqrt_f32_e32 v3, v2
	s_nop 0
	v_add_u32_e32 v4, -1, v3
	v_fma_f32 v5, -v4, v3, v2
	v_cmp_ge_f32_e64 s[2:3], 0, v5
	v_add_u32_e32 v5, 1, v3
	s_nop 0
	v_cndmask_b32_e64 v4, v3, v4, s[2:3]
	v_fma_f32 v3, -v5, v3, v2
	v_cmp_lt_f32_e64 s[2:3], 0, v3
	s_nop 1
	v_cndmask_b32_e64 v3, v4, v5, s[2:3]
	v_mul_f32_e32 v4, 0x37800000, v3
	v_cndmask_b32_e32 v3, v3, v4, vcc
	v_mov_b32_e32 v4, 0x260
	v_cmp_class_f32_e32 vcc, v2, v4
	v_and_b32_e32 v4, 0x7fffffff, v12
	s_nop 0
	v_cndmask_b32_e32 v2, v3, v2, vcc
	v_add_f32_e32 v3, v2, v2
	v_div_scale_f32 v5, s[2:3], v3, v3, v4
	v_rcp_f32_e32 v13, v5
	v_div_scale_f32 v4, vcc, v4, v3, v4
	s_brev_b32 s2, -2
	v_fma_f32 v14, -v5, v13, 1.0
	v_fmac_f32_e32 v13, v14, v13
	v_mul_f32_e32 v14, v4, v13
	v_fma_f32 v15, -v5, v14, v4
	v_fmac_f32_e32 v14, v15, v13
	v_fma_f32 v4, -v5, v14, v4
	v_div_fmas_f32 v4, v4, v13, v14
	v_div_fixup_f32 v3, v4, v3, |v12|
	v_bfi_b32 v2, s2, v2, v12
.LBB178_129:
	s_or_b64 exec, exec, s[22:23]
                                        ; implicit-def: $vgpr15
                                        ; implicit-def: $vgpr12
	s_and_saveexec_b64 s[2:3], s[0:1]
	s_xor_b64 s[0:1], exec, s[2:3]
	s_cbranch_execz .LBB178_131
; %bb.130:
	v_pk_mul_f32 v[4:5], v[2:3], 0.5 op_sel_hi:[1,0]
	s_nop 0
	v_cndmask_b32_e64 v12, v2, v4, s[20:21]
	v_cndmask_b32_e64 v15, v3, v5, s[20:21]
                                        ; implicit-def: $vgpr2_vgpr3
	s_andn2_saveexec_b64 s[0:1], s[0:1]
	s_cbranch_execnz .LBB178_132
	s_branch .LBB178_133
.LBB178_131:
	s_andn2_saveexec_b64 s[0:1], s[0:1]
.LBB178_132:
	v_pk_add_f32 v[14:15], v[2:3], v[2:3]
	s_nop 0
	v_mov_b32_e32 v12, v14
.LBB178_133:
	s_or_b64 exec, exec, s[0:1]
                                        ; implicit-def: $vgpr2_vgpr3_vgpr4_vgpr5
.LBB178_134:
	s_andn2_saveexec_b64 s[0:1], s[18:19]
	s_cbranch_execz .LBB178_140
; %bb.135:
	v_and_b32_e32 v2, 0x8000, v5
	v_cmp_ne_u32_e32 vcc, 0, v2
	v_sub_f32_e32 v2, v12, v12
                                        ; implicit-def: $vgpr15
	s_and_saveexec_b64 s[2:3], vcc
	s_xor_b64 s[2:3], exec, s[2:3]
; %bb.136:
	s_brev_b32 s7, -2
	v_and_b32_e32 v15, 0x7fffffff, v2
	v_bfi_b32 v12, s7, v13, v12
                                        ; implicit-def: $vgpr2
; %bb.137:
	s_andn2_saveexec_b64 s[2:3], s[2:3]
; %bb.138:
	s_brev_b32 s7, -2
	v_bfi_b32 v12, s7, v2, v12
	v_mov_b32_e32 v15, v13
; %bb.139:
	s_or_b64 exec, exec, s[2:3]
.LBB178_140:
	s_or_b64 exec, exec, s[0:1]
.LBB178_141:
	s_andn2_saveexec_b64 s[0:1], s[16:17]
	s_cbranch_execz .LBB178_143
; %bb.142:
	v_sub_f32_e32 v2, v12, v12
	v_div_scale_f32 v3, vcc, v2, v2, v2
	v_rcp_f32_e32 v4, v3
	v_mov_b32_e32 v15, v13
	v_fma_f32 v5, -v3, v4, 1.0
	v_fmac_f32_e32 v4, v5, v4
	v_mul_f32_e32 v5, v3, v4
	v_fma_f32 v12, -v3, v5, v3
	v_fmac_f32_e32 v5, v12, v4
	v_fma_f32 v3, -v3, v5, v3
	v_div_fmas_f32 v3, v3, v4, v5
	v_div_fixup_f32 v12, v3, v2, v2
.LBB178_143:
	s_or_b64 exec, exec, s[0:1]
.LBB178_144:
	s_or_b64 exec, exec, s[14:15]
.LBB178_145:
	s_or_b64 exec, exec, s[12:13]
	v_cmp_gt_f32_e32 vcc, 0, v15
                                        ; implicit-def: $vgpr2_vgpr3
	s_nop 1
	v_cndmask_b32_e64 v5, v15, -v15, vcc
	v_cmp_gt_f32_e32 vcc, 0, v12
	s_nop 1
	v_cndmask_b32_e64 v4, v12, -v12, vcc
	v_cmp_ge_f32_e32 vcc, v5, v4
	s_and_saveexec_b64 s[0:1], vcc
	s_xor_b64 s[2:3], exec, s[0:1]
	s_cbranch_execz .LBB178_151
; %bb.146:
	v_cmp_neq_f32_e32 vcc, 0, v15
	v_cmp_neq_f32_e64 s[0:1], 0, v12
	s_or_b64 s[0:1], vcc, s[0:1]
                                        ; implicit-def: $vgpr2_vgpr3
	s_and_saveexec_b64 s[12:13], s[0:1]
	s_xor_b64 s[0:1], exec, s[12:13]
	s_cbranch_execz .LBB178_148
; %bb.147:
	v_div_scale_f32 v2, s[12:13], v15, v15, v12
	v_rcp_f32_e32 v3, v2
	v_div_scale_f32 v4, vcc, v12, v15, v12
	v_fma_f32 v5, -v2, v3, 1.0
	v_fmac_f32_e32 v3, v5, v3
	v_mul_f32_e32 v5, v4, v3
	v_fma_f32 v13, -v2, v5, v4
	v_fmac_f32_e32 v5, v13, v3
	v_fma_f32 v2, -v2, v5, v4
	v_div_fmas_f32 v2, v2, v3, v5
	v_div_fixup_f32 v3, v2, v15, v12
	v_fmac_f32_e32 v15, v12, v3
	v_div_scale_f32 v2, s[12:13], v15, v15, 1.0
	v_rcp_f32_e32 v4, v2
	s_nop 0
	v_fma_f32 v5, -v2, v4, 1.0
	v_fmac_f32_e32 v4, v5, v4
	v_div_scale_f32 v5, vcc, 1.0, v15, 1.0
	v_mul_f32_e32 v12, v5, v4
	v_fma_f32 v13, -v2, v12, v5
	v_fmac_f32_e32 v12, v13, v4
	v_fma_f32 v2, -v2, v12, v5
	v_div_fmas_f32 v2, v2, v4, v12
	v_mul_f32_e32 v4, 0, v3
	v_div_fixup_f32 v2, v2, v15, 1.0
	v_add_f32_e32 v5, 1.0, v4
	v_sub_f32_e32 v4, 0, v3
	v_pk_mul_f32 v[2:3], v[4:5], v[2:3] op_sel_hi:[1,0]
                                        ; implicit-def: $vgpr5
                                        ; implicit-def: $vgpr4
.LBB178_148:
	s_andn2_saveexec_b64 s[0:1], s[0:1]
	s_cbranch_execz .LBB178_150
; %bb.149:
	v_div_scale_f32 v2, s[12:13], v5, v5, 1.0
	v_rcp_f32_e32 v3, v2
	v_div_scale_f32 v12, vcc, 1.0, v5, 1.0
	v_fma_f32 v13, -v2, v3, 1.0
	v_fmac_f32_e32 v3, v13, v3
	v_mul_f32_e32 v13, v12, v3
	v_fma_f32 v14, -v2, v13, v12
	v_fmac_f32_e32 v13, v14, v3
	v_fma_f32 v2, -v2, v13, v12
	v_div_scale_f32 v12, s[12:13], v4, v4, 0
	v_rcp_f32_e32 v14, v12
	v_div_fmas_f32 v2, v2, v3, v13
	v_div_fixup_f32 v3, v2, v5, 1.0
	v_fma_f32 v2, -v12, v14, 1.0
	v_fmac_f32_e32 v14, v2, v14
	v_div_scale_f32 v2, vcc, 0, v4, 0
	v_mul_f32_e32 v5, v2, v14
	v_fma_f32 v13, -v12, v5, v2
	v_fmac_f32_e32 v5, v13, v14
	v_fma_f32 v2, -v12, v5, v2
	v_div_fmas_f32 v2, v2, v14, v5
	v_div_fixup_f32 v2, v2, v4, 0
.LBB178_150:
	s_or_b64 exec, exec, s[0:1]
                                        ; implicit-def: $vgpr12
                                        ; implicit-def: $vgpr15
.LBB178_151:
	s_andn2_saveexec_b64 s[0:1], s[2:3]
	s_cbranch_execz .LBB178_153
; %bb.152:
	v_div_scale_f32 v2, s[2:3], v12, v12, v15
	v_rcp_f32_e32 v3, v2
	v_div_scale_f32 v4, vcc, v15, v12, v15
	v_fma_f32 v5, -v2, v3, 1.0
	v_fmac_f32_e32 v3, v5, v3
	v_mul_f32_e32 v5, v4, v3
	v_fma_f32 v13, -v2, v5, v4
	v_fmac_f32_e32 v5, v13, v3
	v_fma_f32 v2, -v2, v5, v4
	v_div_fmas_f32 v2, v2, v3, v5
	v_div_fixup_f32 v3, v2, v12, v15
	v_fmac_f32_e32 v12, v15, v3
	v_div_scale_f32 v2, s[2:3], v12, v12, 1.0
	v_rcp_f32_e32 v4, v2
	s_mov_b64 s[2:3], 0xbf800000
	v_fma_f32 v5, -v2, v4, 1.0
	v_fmac_f32_e32 v4, v5, v4
	v_div_scale_f32 v5, vcc, 1.0, v12, 1.0
	v_mul_f32_e32 v13, v5, v4
	v_fma_f32 v14, -v2, v13, v5
	v_fmac_f32_e32 v13, v14, v4
	v_fma_f32 v2, -v2, v13, v5
	v_div_fmas_f32 v2, v2, v4, v13
	v_div_fixup_f32 v4, v2, v12, 1.0
	v_mul_f32_e32 v2, 0, v3
	v_pk_add_f32 v[2:3], v[2:3], s[2:3]
	s_nop 0
	v_pk_mul_f32 v[2:3], v[2:3], v[4:5] op_sel_hi:[1,0]
.LBB178_153:
	s_or_b64 exec, exec, s[0:1]
	v_cvt_pk_f16_f32 v4, v10, v2
	v_cvt_pk_f16_f32 v2, v6, v8
	;; [unrolled: 1-line block ×4, first 2 shown]
	v_and_b32_e32 v3, 0xffff0000, v2
	v_lshlrev_b32_e32 v2, 16, v2
	s_add_u32 s0, s8, s4
	v_or_b32_sdwa v3, v3, v5 dst_sel:DWORD dst_unused:UNUSED_PAD src0_sel:DWORD src1_sel:WORD_1
	v_or_b32_sdwa v2, v2, v5 dst_sel:DWORD dst_unused:UNUSED_PAD src0_sel:DWORD src1_sel:WORD_0
	v_and_b32_e32 v5, 0xffff0000, v4
	v_lshlrev_b32_e32 v4, 16, v4
	s_addc_u32 s1, s9, s5
	v_or_b32_sdwa v5, v5, v10 dst_sel:DWORD dst_unused:UNUSED_PAD src0_sel:DWORD src1_sel:WORD_1
	v_or_b32_sdwa v4, v4, v10 dst_sel:DWORD dst_unused:UNUSED_PAD src0_sel:DWORD src1_sel:WORD_0
	global_store_dwordx4 v1, v[2:5], s[0:1]
	s_mov_b64 s[0:1], 0
.LBB178_154:
	s_and_b64 vcc, exec, s[0:1]
	s_cbranch_vccz .LBB178_331
; %bb.155:
	v_cmp_gt_i32_e64 s[0:1], s24, v0
	v_mov_b32_e32 v1, 0
	v_or_b32_e32 v2, s6, v0
	v_mov_b32_e32 v5, 0
	v_mov_b32_e32 v3, 0
	;; [unrolled: 1-line block ×3, first 2 shown]
	s_and_saveexec_b64 s[2:3], s[0:1]
	s_cbranch_execz .LBB178_163
; %bb.156:
	v_mov_b32_e32 v3, 0
	v_lshl_add_u64 v[4:5], v[2:3], 2, s[10:11]
	global_load_dword v9, v[4:5], off
	v_or_b32_e32 v1, 0x100, v0
	v_cmp_gt_u32_e32 vcc, s24, v1
	v_mov_b32_e32 v5, v3
	v_mov_b32_e32 v1, v3
	s_and_saveexec_b64 s[4:5], vcc
	s_cbranch_execz .LBB178_162
; %bb.157:
	v_add_u32_e32 v4, s6, v0
	v_mov_b32_e32 v5, 0
	v_lshl_add_u64 v[6:7], v[4:5], 2, s[10:11]
	global_load_dword v3, v[6:7], off offset:1024
	v_or_b32_e32 v1, 0x200, v0
	v_cmp_gt_u32_e32 vcc, s24, v1
	v_mov_b32_e32 v1, v5
	s_and_saveexec_b64 s[10:11], vcc
	s_cbranch_execz .LBB178_161
; %bb.158:
	global_load_dword v5, v[6:7], off offset:2048
	v_or_b32_e32 v1, 0x300, v0
	v_cmp_gt_u32_e32 vcc, s24, v1
	v_mov_b32_e32 v1, 0
	s_and_saveexec_b64 s[12:13], vcc
	s_cbranch_execz .LBB178_160
; %bb.159:
	global_load_dword v1, v[6:7], off offset:3072
.LBB178_160:
	s_or_b64 exec, exec, s[12:13]
.LBB178_161:
	s_or_b64 exec, exec, s[10:11]
.LBB178_162:
	s_or_b64 exec, exec, s[4:5]
.LBB178_163:
	s_or_b64 exec, exec, s[2:3]
                                        ; implicit-def: $vgpr12
	s_and_saveexec_b64 s[10:11], s[0:1]
	s_cbranch_execz .LBB178_203
; %bb.164:
	s_waitcnt vmcnt(0)
	v_cvt_f32_f16_sdwa v6, v9 dst_sel:DWORD dst_unused:UNUSED_PAD src0_sel:WORD_1
	v_mov_b32_e32 v8, 0
	v_cmp_neq_f16_e32 vcc, 0, v9
	v_cmp_neq_f16_sdwa s[2:3], v9, v8 src0_sel:WORD_1 src1_sel:DWORD
	s_or_b64 s[2:3], vcc, s[2:3]
	s_and_saveexec_b64 s[12:13], s[2:3]
	s_cbranch_execz .LBB178_194
; %bb.165:
	v_cvt_f32_f16_e32 v7, v9
	v_mov_b32_e32 v8, 0x7f800000
	v_cmp_neq_f32_e64 s[2:3], |v6|, v8
	s_and_saveexec_b64 s[14:15], s[2:3]
	s_cbranch_execz .LBB178_193
; %bb.166:
	v_cmp_o_f16_e32 vcc, v9, v9
                                        ; implicit-def: $vgpr8
	s_and_saveexec_b64 s[2:3], vcc
	s_xor_b64 s[16:17], exec, s[2:3]
	s_cbranch_execz .LBB178_190
; %bb.167:
	s_mov_b32 s2, 0x7f800000
	v_cmp_neq_f32_e64 s[2:3], |v7|, s2
                                        ; implicit-def: $vgpr8
	s_and_saveexec_b64 s[4:5], s[2:3]
	s_xor_b64 s[18:19], exec, s[4:5]
	s_cbranch_execz .LBB178_183
; %bb.168:
	v_max_f32_e64 v4, |v6|, |v6|
	v_max_f32_e64 v8, |v7|, |v7|
	v_max_f32_e32 v4, v8, v4
	s_mov_b32 s2, 0x7ed413cb
	v_cmp_nle_f32_e64 s[2:3], s2, v4
                                        ; implicit-def: $sgpr20_sgpr21
	s_and_saveexec_b64 s[4:5], s[2:3]
	s_xor_b64 s[4:5], exec, s[4:5]
	s_cbranch_execz .LBB178_172
; %bb.169:
	s_mov_b32 s7, 0x1000000
	v_cmp_le_f32_e64 s[20:21], |v7|, s7
	v_cmp_le_f32_e64 s[22:23], |v6|, s7
	s_and_b64 s[26:27], s[20:21], s[22:23]
	s_mov_b64 s[20:21], 0
	s_and_saveexec_b64 s[22:23], s[26:27]
; %bb.170:
	s_mov_b64 s[20:21], exec
	v_pk_mul_f32 v[6:7], v[6:7], 4.0 op_sel_hi:[1,0]
; %bb.171:
	s_or_b64 exec, exec, s[22:23]
.LBB178_172:
	s_andn2_saveexec_b64 s[4:5], s[4:5]
; %bb.173:
	s_mov_b32 s22, 0x3e800000
	v_pk_mul_f32 v[6:7], v[6:7], s[22:23] op_sel_hi:[1,0]
	s_andn2_b64 s[20:21], s[20:21], exec
; %bb.174:
	s_or_b64 exec, exec, s[4:5]
	v_max_f32_e64 v4, |v6|, |v6|
	v_max_f32_e64 v8, |v7|, |v7|
	v_max_f32_e32 v4, v8, v4
	v_cvt_f64_f32_e32 v[8:9], v4
	v_frexp_exp_i32_f64_e32 v8, v[8:9]
	v_sub_u32_e32 v9, 0, v8
	v_ldexp_f32 v10, |v7|, v9
	v_ldexp_f32 v9, |v6|, v9
	v_mul_f32_e32 v9, v9, v9
	v_fmac_f32_e32 v9, v10, v10
	v_sqrt_f32_e32 v9, v9
	s_mov_b32 s4, 0x7f800000
	v_cmp_neq_f32_e64 s[4:5], s4, v4
	v_cmp_le_f32_e32 vcc, 0, v7
	v_ldexp_f32 v8, v9, v8
	v_mov_b32_e32 v9, 0x7f800000
	v_cndmask_b32_e64 v4, v9, v8, s[4:5]
                                        ; implicit-def: $vgpr10_vgpr11
	s_and_saveexec_b64 s[4:5], vcc
	s_xor_b64 s[22:23], exec, s[4:5]
	s_cbranch_execz .LBB178_176
; %bb.175:
	v_add_f32_e32 v4, v7, v4
	v_mul_f32_e32 v4, 0.5, v4
	s_mov_b32 s4, 0xf800000
	v_mul_f32_e32 v7, 0x4f800000, v4
	v_cmp_gt_f32_e32 vcc, s4, v4
	s_nop 1
	v_cndmask_b32_e32 v4, v4, v7, vcc
	v_sqrt_f32_e32 v7, v4
	s_nop 0
	v_add_u32_e32 v8, -1, v7
	v_fma_f32 v9, -v8, v7, v4
	v_cmp_ge_f32_e64 s[4:5], 0, v9
	v_add_u32_e32 v9, 1, v7
	s_nop 0
	v_cndmask_b32_e64 v8, v7, v8, s[4:5]
	v_fma_f32 v7, -v9, v7, v4
	v_cmp_lt_f32_e64 s[4:5], 0, v7
	s_nop 1
	v_cndmask_b32_e64 v7, v8, v9, s[4:5]
	v_mul_f32_e32 v8, 0x37800000, v7
	v_cndmask_b32_e32 v7, v7, v8, vcc
	v_mov_b32_e32 v8, 0x260
	v_cmp_class_f32_e32 vcc, v4, v8
	s_nop 1
	v_cndmask_b32_e32 v10, v7, v4, vcc
	v_add_f32_e32 v4, v10, v10
	v_div_scale_f32 v7, s[4:5], v4, v4, v6
	v_rcp_f32_e32 v8, v7
	s_nop 0
	v_fma_f32 v9, -v7, v8, 1.0
	v_fmac_f32_e32 v8, v9, v8
	v_div_scale_f32 v9, vcc, v6, v4, v6
	v_mul_f32_e32 v11, v9, v8
	v_fma_f32 v12, -v7, v11, v9
	v_fmac_f32_e32 v11, v12, v8
	v_fma_f32 v7, -v7, v11, v9
	v_div_fmas_f32 v7, v7, v8, v11
	v_div_fixup_f32 v11, v7, v4, v6
                                        ; implicit-def: $vgpr4
                                        ; implicit-def: $vgpr6_vgpr7
	s_andn2_saveexec_b64 s[22:23], s[22:23]
	s_cbranch_execz .LBB178_178
	s_branch .LBB178_177
.LBB178_176:
	s_andn2_saveexec_b64 s[22:23], s[22:23]
	s_cbranch_execz .LBB178_178
.LBB178_177:
	v_sub_f32_e32 v4, v4, v7
	v_mul_f32_e32 v4, 0.5, v4
	s_mov_b32 s4, 0xf800000
	v_mul_f32_e32 v7, 0x4f800000, v4
	v_cmp_gt_f32_e32 vcc, s4, v4
	s_nop 1
	v_cndmask_b32_e32 v4, v4, v7, vcc
	v_sqrt_f32_e32 v7, v4
	s_nop 0
	v_add_u32_e32 v8, -1, v7
	v_fma_f32 v9, -v8, v7, v4
	v_cmp_ge_f32_e64 s[4:5], 0, v9
	v_add_u32_e32 v9, 1, v7
	s_nop 0
	v_cndmask_b32_e64 v8, v7, v8, s[4:5]
	v_fma_f32 v7, -v9, v7, v4
	v_cmp_lt_f32_e64 s[4:5], 0, v7
	s_nop 1
	v_cndmask_b32_e64 v7, v8, v9, s[4:5]
	v_mul_f32_e32 v8, 0x37800000, v7
	v_cndmask_b32_e32 v7, v7, v8, vcc
	v_mov_b32_e32 v8, 0x260
	v_cmp_class_f32_e32 vcc, v4, v8
	v_and_b32_e32 v8, 0x7fffffff, v6
	s_nop 0
	v_cndmask_b32_e32 v4, v7, v4, vcc
	v_add_f32_e32 v7, v4, v4
	v_div_scale_f32 v9, s[4:5], v7, v7, v8
	v_rcp_f32_e32 v10, v9
	v_div_scale_f32 v8, vcc, v8, v7, v8
	s_brev_b32 s4, -2
	v_fma_f32 v11, -v9, v10, 1.0
	v_fmac_f32_e32 v10, v11, v10
	v_mul_f32_e32 v11, v8, v10
	v_fma_f32 v12, -v9, v11, v8
	v_fmac_f32_e32 v11, v12, v10
	v_fma_f32 v8, -v9, v11, v8
	v_div_fmas_f32 v8, v8, v10, v11
	v_div_fixup_f32 v10, v8, v7, |v6|
	v_bfi_b32 v11, s4, v4, v6
.LBB178_178:
	s_or_b64 exec, exec, s[22:23]
                                        ; implicit-def: $vgpr6
                                        ; implicit-def: $vgpr8
	s_and_saveexec_b64 s[4:5], s[2:3]
	s_xor_b64 s[2:3], exec, s[4:5]
	s_cbranch_execz .LBB178_180
; %bb.179:
	v_pk_mul_f32 v[6:7], v[10:11], 0.5 op_sel_hi:[1,0]
	s_nop 0
	v_cndmask_b32_e64 v8, v10, v6, s[20:21]
	v_cndmask_b32_e64 v6, v11, v7, s[20:21]
                                        ; implicit-def: $vgpr10_vgpr11
	s_andn2_saveexec_b64 s[2:3], s[2:3]
	s_cbranch_execnz .LBB178_181
	s_branch .LBB178_182
.LBB178_180:
	s_andn2_saveexec_b64 s[2:3], s[2:3]
.LBB178_181:
	v_pk_add_f32 v[8:9], v[10:11], v[10:11]
	s_nop 0
	v_mov_b32_e32 v6, v9
.LBB178_182:
	s_or_b64 exec, exec, s[2:3]
                                        ; implicit-def: $vgpr9
.LBB178_183:
	s_andn2_saveexec_b64 s[2:3], s[18:19]
	s_cbranch_execz .LBB178_189
; %bb.184:
	v_and_b32_e32 v4, 0x8000, v9
	v_cmp_ne_u32_e32 vcc, 0, v4
	v_sub_f32_e32 v4, v6, v6
                                        ; implicit-def: $vgpr8
	s_and_saveexec_b64 s[4:5], vcc
	s_xor_b64 s[4:5], exec, s[4:5]
; %bb.185:
	s_brev_b32 s7, -2
	v_and_b32_e32 v8, 0x7fffffff, v4
	v_bfi_b32 v6, s7, v7, v6
                                        ; implicit-def: $vgpr4
; %bb.186:
	s_andn2_saveexec_b64 s[4:5], s[4:5]
; %bb.187:
	s_brev_b32 s7, -2
	v_bfi_b32 v6, s7, v4, v6
	v_mov_b32_e32 v8, v7
; %bb.188:
	s_or_b64 exec, exec, s[4:5]
.LBB178_189:
	s_or_b64 exec, exec, s[2:3]
.LBB178_190:
	s_andn2_saveexec_b64 s[2:3], s[16:17]
	s_cbranch_execz .LBB178_192
; %bb.191:
	v_sub_f32_e32 v4, v6, v6
	v_div_scale_f32 v6, vcc, v4, v4, v4
	v_rcp_f32_e32 v8, v6
	s_nop 0
	v_fma_f32 v9, -v6, v8, 1.0
	v_fmac_f32_e32 v8, v9, v8
	v_mul_f32_e32 v9, v6, v8
	v_fma_f32 v10, -v6, v9, v6
	v_fmac_f32_e32 v9, v10, v8
	v_fma_f32 v6, -v6, v9, v6
	v_div_fmas_f32 v6, v6, v8, v9
	v_div_fixup_f32 v6, v6, v4, v4
	v_mov_b32_e32 v8, v7
.LBB178_192:
	s_or_b64 exec, exec, s[2:3]
.LBB178_193:
	s_or_b64 exec, exec, s[14:15]
.LBB178_194:
	s_or_b64 exec, exec, s[12:13]
	v_cmp_gt_f32_e32 vcc, 0, v6
                                        ; implicit-def: $vgpr10_vgpr11
	s_nop 1
	v_cndmask_b32_e64 v7, v6, -v6, vcc
	v_cmp_gt_f32_e32 vcc, 0, v8
	s_nop 1
	v_cndmask_b32_e64 v4, v8, -v8, vcc
	v_cmp_ge_f32_e32 vcc, v4, v7
	s_and_saveexec_b64 s[2:3], vcc
	s_xor_b64 s[4:5], exec, s[2:3]
	s_cbranch_execz .LBB178_200
; %bb.195:
	v_cmp_neq_f32_e32 vcc, 0, v8
	v_cmp_neq_f32_e64 s[2:3], 0, v6
	s_or_b64 s[2:3], vcc, s[2:3]
                                        ; implicit-def: $vgpr10_vgpr11
	s_and_saveexec_b64 s[12:13], s[2:3]
	s_xor_b64 s[2:3], exec, s[12:13]
	s_cbranch_execz .LBB178_197
; %bb.196:
	v_div_scale_f32 v4, s[12:13], v8, v8, v6
	v_rcp_f32_e32 v7, v4
	v_div_scale_f32 v9, vcc, v6, v8, v6
	v_fma_f32 v10, -v4, v7, 1.0
	v_fmac_f32_e32 v7, v10, v7
	v_mul_f32_e32 v10, v9, v7
	v_fma_f32 v11, -v4, v10, v9
	v_fmac_f32_e32 v10, v11, v7
	v_fma_f32 v4, -v4, v10, v9
	v_div_fmas_f32 v4, v4, v7, v10
	v_div_fixup_f32 v7, v4, v8, v6
	v_fmac_f32_e32 v8, v6, v7
	v_div_scale_f32 v4, s[12:13], v8, v8, 1.0
	v_rcp_f32_e32 v6, v4
	s_nop 0
	v_fma_f32 v9, -v4, v6, 1.0
	v_fmac_f32_e32 v6, v9, v6
	v_div_scale_f32 v9, vcc, 1.0, v8, 1.0
	v_mul_f32_e32 v10, v9, v6
	v_fma_f32 v11, -v4, v10, v9
	v_fmac_f32_e32 v10, v11, v6
	v_fma_f32 v4, -v4, v10, v9
	v_div_fmas_f32 v4, v4, v6, v10
	v_mul_f32_e32 v6, 0, v7
	v_div_fixup_f32 v4, v4, v8, 1.0
	v_add_f32_e32 v6, 1.0, v6
	v_sub_f32_e32 v7, 0, v7
	v_pk_mul_f32 v[10:11], v[6:7], v[4:5] op_sel_hi:[1,0]
                                        ; implicit-def: $vgpr7
                                        ; implicit-def: $vgpr4
.LBB178_197:
	s_andn2_saveexec_b64 s[2:3], s[2:3]
	s_cbranch_execz .LBB178_199
; %bb.198:
	v_div_scale_f32 v6, s[12:13], v7, v7, 0
	v_rcp_f32_e32 v8, v6
	v_div_scale_f32 v9, vcc, 0, v7, 0
	v_fma_f32 v10, -v6, v8, 1.0
	v_fmac_f32_e32 v8, v10, v8
	v_mul_f32_e32 v10, v9, v8
	v_fma_f32 v11, -v6, v10, v9
	v_fmac_f32_e32 v10, v11, v8
	v_fma_f32 v6, -v6, v10, v9
	v_div_scale_f32 v9, s[12:13], v4, v4, 1.0
	v_rcp_f32_e32 v12, v9
	v_div_fmas_f32 v6, v6, v8, v10
	v_div_fixup_f32 v11, v6, v7, 0
	v_fma_f32 v6, -v9, v12, 1.0
	v_fmac_f32_e32 v12, v6, v12
	v_div_scale_f32 v6, vcc, 1.0, v4, 1.0
	v_mul_f32_e32 v7, v6, v12
	v_fma_f32 v8, -v9, v7, v6
	v_fmac_f32_e32 v7, v8, v12
	v_fma_f32 v6, -v9, v7, v6
	v_div_fmas_f32 v6, v6, v12, v7
	v_div_fixup_f32 v10, v6, v4, 1.0
.LBB178_199:
	s_or_b64 exec, exec, s[2:3]
                                        ; implicit-def: $vgpr6
                                        ; implicit-def: $vgpr8
.LBB178_200:
	s_andn2_saveexec_b64 s[2:3], s[4:5]
	s_cbranch_execz .LBB178_202
; %bb.201:
	v_div_scale_f32 v4, s[4:5], v6, v6, v8
	v_rcp_f32_e32 v7, v4
	v_div_scale_f32 v9, vcc, v8, v6, v8
	v_fma_f32 v10, -v4, v7, 1.0
	v_fmac_f32_e32 v7, v10, v7
	v_mul_f32_e32 v10, v9, v7
	v_fma_f32 v11, -v4, v10, v9
	v_fmac_f32_e32 v10, v11, v7
	v_fma_f32 v4, -v4, v10, v9
	v_div_fmas_f32 v4, v4, v7, v10
	v_div_fixup_f32 v10, v4, v6, v8
	v_fmac_f32_e32 v6, v8, v10
	v_div_scale_f32 v4, s[4:5], v6, v6, 1.0
	v_rcp_f32_e32 v7, v4
	s_mov_b32 s4, 0
	s_mov_b32 s5, -1.0
	v_fma_f32 v8, -v4, v7, 1.0
	v_fmac_f32_e32 v7, v8, v7
	v_div_scale_f32 v8, vcc, 1.0, v6, 1.0
	v_mul_f32_e32 v9, v8, v7
	v_fma_f32 v11, -v4, v9, v8
	v_fmac_f32_e32 v9, v11, v7
	v_fma_f32 v4, -v4, v9, v8
	v_div_fmas_f32 v4, v4, v7, v9
	v_mul_f32_e32 v11, 0, v10
	v_div_fixup_f32 v4, v4, v6, 1.0
	v_pk_add_f32 v[6:7], v[10:11], s[4:5]
	s_nop 0
	v_pk_mul_f32 v[10:11], v[6:7], v[4:5] op_sel_hi:[1,0]
.LBB178_202:
	s_or_b64 exec, exec, s[2:3]
	v_cvt_f16_f32_e32 v4, v10
	v_cvt_f16_f32_sdwa v6, v11 dst_sel:WORD_1 dst_unused:UNUSED_PAD src0_sel:DWORD
	s_nop 0
	v_or_b32_e32 v12, v6, v4
.LBB178_203:
	s_or_b64 exec, exec, s[10:11]
	v_or_b32_e32 v13, 0x100, v0
	v_cmp_gt_i32_e32 vcc, s24, v13
                                        ; implicit-def: $vgpr10
	s_and_saveexec_b64 s[10:11], vcc
	s_cbranch_execz .LBB178_243
; %bb.204:
	s_waitcnt vmcnt(0)
	v_cvt_f32_f16_sdwa v6, v3 dst_sel:DWORD dst_unused:UNUSED_PAD src0_sel:WORD_1
	v_mov_b32_e32 v8, 0
	v_cmp_neq_f16_e32 vcc, 0, v3
	v_cmp_neq_f16_sdwa s[2:3], v3, v8 src0_sel:WORD_1 src1_sel:DWORD
	s_or_b64 s[2:3], vcc, s[2:3]
	s_and_saveexec_b64 s[12:13], s[2:3]
	s_cbranch_execz .LBB178_234
; %bb.205:
	v_cvt_f32_f16_e32 v7, v3
	v_mov_b32_e32 v8, 0x7f800000
	v_cmp_neq_f32_e64 s[2:3], |v6|, v8
	s_and_saveexec_b64 s[14:15], s[2:3]
	s_cbranch_execz .LBB178_233
; %bb.206:
	v_cmp_o_f16_e32 vcc, v3, v3
                                        ; implicit-def: $vgpr8
	s_and_saveexec_b64 s[2:3], vcc
	s_xor_b64 s[16:17], exec, s[2:3]
	s_cbranch_execz .LBB178_230
; %bb.207:
	s_mov_b32 s2, 0x7f800000
	v_cmp_neq_f32_e64 s[2:3], |v7|, s2
                                        ; implicit-def: $vgpr8
	s_and_saveexec_b64 s[4:5], s[2:3]
	s_xor_b64 s[18:19], exec, s[4:5]
	s_cbranch_execz .LBB178_223
; %bb.208:
	v_max_f32_e64 v3, |v6|, |v6|
	v_max_f32_e64 v4, |v7|, |v7|
	v_max_f32_e32 v3, v4, v3
	s_mov_b32 s2, 0x7ed413cb
	v_cmp_nle_f32_e64 s[2:3], s2, v3
                                        ; implicit-def: $sgpr20_sgpr21
	s_and_saveexec_b64 s[4:5], s[2:3]
	s_xor_b64 s[4:5], exec, s[4:5]
	s_cbranch_execz .LBB178_212
; %bb.209:
	s_mov_b32 s7, 0x1000000
	v_cmp_le_f32_e64 s[20:21], |v7|, s7
	v_cmp_le_f32_e64 s[22:23], |v6|, s7
	s_and_b64 s[26:27], s[20:21], s[22:23]
	s_mov_b64 s[20:21], 0
	s_and_saveexec_b64 s[22:23], s[26:27]
; %bb.210:
	s_mov_b64 s[20:21], exec
	v_pk_mul_f32 v[6:7], v[6:7], 4.0 op_sel_hi:[1,0]
; %bb.211:
	s_or_b64 exec, exec, s[22:23]
.LBB178_212:
	s_andn2_saveexec_b64 s[4:5], s[4:5]
; %bb.213:
	s_mov_b32 s22, 0x3e800000
	v_pk_mul_f32 v[6:7], v[6:7], s[22:23] op_sel_hi:[1,0]
	s_andn2_b64 s[20:21], s[20:21], exec
; %bb.214:
	s_or_b64 exec, exec, s[4:5]
	v_max_f32_e64 v3, |v6|, |v6|
	v_max_f32_e64 v4, |v7|, |v7|
	v_max_f32_e32 v3, v4, v3
	v_cvt_f64_f32_e32 v[8:9], v3
	v_frexp_exp_i32_f64_e32 v4, v[8:9]
	v_sub_u32_e32 v8, 0, v4
	v_ldexp_f32 v9, |v7|, v8
	v_ldexp_f32 v8, |v6|, v8
	v_mul_f32_e32 v8, v8, v8
	v_fmac_f32_e32 v8, v9, v9
	v_sqrt_f32_e32 v8, v8
	s_mov_b32 s4, 0x7f800000
	v_cmp_neq_f32_e64 s[4:5], s4, v3
	v_cmp_le_f32_e32 vcc, 0, v7
	v_ldexp_f32 v4, v8, v4
	v_mov_b32_e32 v8, 0x7f800000
	v_cndmask_b32_e64 v3, v8, v4, s[4:5]
                                        ; implicit-def: $vgpr10_vgpr11
	s_and_saveexec_b64 s[4:5], vcc
	s_xor_b64 s[22:23], exec, s[4:5]
	s_cbranch_execz .LBB178_216
; %bb.215:
	v_add_f32_e32 v3, v7, v3
	v_mul_f32_e32 v3, 0.5, v3
	s_mov_b32 s4, 0xf800000
	v_mul_f32_e32 v4, 0x4f800000, v3
	v_cmp_gt_f32_e32 vcc, s4, v3
	s_nop 1
	v_cndmask_b32_e32 v3, v3, v4, vcc
	v_sqrt_f32_e32 v4, v3
	s_nop 0
	v_add_u32_e32 v7, -1, v4
	v_fma_f32 v8, -v7, v4, v3
	v_cmp_ge_f32_e64 s[4:5], 0, v8
	v_add_u32_e32 v8, 1, v4
	s_nop 0
	v_cndmask_b32_e64 v7, v4, v7, s[4:5]
	v_fma_f32 v4, -v8, v4, v3
	v_cmp_lt_f32_e64 s[4:5], 0, v4
	s_nop 1
	v_cndmask_b32_e64 v4, v7, v8, s[4:5]
	v_mul_f32_e32 v7, 0x37800000, v4
	v_cndmask_b32_e32 v4, v4, v7, vcc
	v_mov_b32_e32 v7, 0x260
	v_cmp_class_f32_e32 vcc, v3, v7
	s_nop 1
	v_cndmask_b32_e32 v10, v4, v3, vcc
	v_add_f32_e32 v3, v10, v10
	v_div_scale_f32 v4, s[4:5], v3, v3, v6
	v_rcp_f32_e32 v7, v4
	s_nop 0
	v_fma_f32 v8, -v4, v7, 1.0
	v_fmac_f32_e32 v7, v8, v7
	v_div_scale_f32 v8, vcc, v6, v3, v6
	v_mul_f32_e32 v9, v8, v7
	v_fma_f32 v11, -v4, v9, v8
	v_fmac_f32_e32 v9, v11, v7
	v_fma_f32 v4, -v4, v9, v8
	v_div_fmas_f32 v4, v4, v7, v9
	v_div_fixup_f32 v11, v4, v3, v6
                                        ; implicit-def: $vgpr3
                                        ; implicit-def: $vgpr6_vgpr7
	s_andn2_saveexec_b64 s[22:23], s[22:23]
	s_cbranch_execz .LBB178_218
	s_branch .LBB178_217
.LBB178_216:
	s_andn2_saveexec_b64 s[22:23], s[22:23]
	s_cbranch_execz .LBB178_218
.LBB178_217:
	v_sub_f32_e32 v3, v3, v7
	v_mul_f32_e32 v3, 0.5, v3
	s_mov_b32 s4, 0xf800000
	v_mul_f32_e32 v4, 0x4f800000, v3
	v_cmp_gt_f32_e32 vcc, s4, v3
	s_nop 1
	v_cndmask_b32_e32 v3, v3, v4, vcc
	v_sqrt_f32_e32 v4, v3
	s_nop 0
	v_add_u32_e32 v7, -1, v4
	v_fma_f32 v8, -v7, v4, v3
	v_cmp_ge_f32_e64 s[4:5], 0, v8
	v_add_u32_e32 v8, 1, v4
	s_nop 0
	v_cndmask_b32_e64 v7, v4, v7, s[4:5]
	v_fma_f32 v4, -v8, v4, v3
	v_cmp_lt_f32_e64 s[4:5], 0, v4
	s_nop 1
	v_cndmask_b32_e64 v4, v7, v8, s[4:5]
	v_mul_f32_e32 v7, 0x37800000, v4
	v_cndmask_b32_e32 v4, v4, v7, vcc
	v_mov_b32_e32 v7, 0x260
	v_cmp_class_f32_e32 vcc, v3, v7
	v_and_b32_e32 v7, 0x7fffffff, v6
	s_nop 0
	v_cndmask_b32_e32 v3, v4, v3, vcc
	v_add_f32_e32 v4, v3, v3
	v_div_scale_f32 v8, s[4:5], v4, v4, v7
	v_rcp_f32_e32 v9, v8
	v_div_scale_f32 v7, vcc, v7, v4, v7
	s_brev_b32 s4, -2
	v_fma_f32 v10, -v8, v9, 1.0
	v_fmac_f32_e32 v9, v10, v9
	v_mul_f32_e32 v10, v7, v9
	v_fma_f32 v11, -v8, v10, v7
	v_fmac_f32_e32 v10, v11, v9
	v_fma_f32 v7, -v8, v10, v7
	v_div_fmas_f32 v7, v7, v9, v10
	v_div_fixup_f32 v10, v7, v4, |v6|
	v_bfi_b32 v11, s4, v3, v6
.LBB178_218:
	s_or_b64 exec, exec, s[22:23]
                                        ; implicit-def: $vgpr6
                                        ; implicit-def: $vgpr8
	s_and_saveexec_b64 s[4:5], s[2:3]
	s_xor_b64 s[2:3], exec, s[4:5]
	s_cbranch_execz .LBB178_220
; %bb.219:
	v_pk_mul_f32 v[6:7], v[10:11], 0.5 op_sel_hi:[1,0]
	s_nop 0
	v_cndmask_b32_e64 v8, v10, v6, s[20:21]
	v_cndmask_b32_e64 v6, v11, v7, s[20:21]
                                        ; implicit-def: $vgpr10_vgpr11
	s_andn2_saveexec_b64 s[2:3], s[2:3]
	s_cbranch_execnz .LBB178_221
	s_branch .LBB178_222
.LBB178_220:
	s_andn2_saveexec_b64 s[2:3], s[2:3]
.LBB178_221:
	v_pk_add_f32 v[8:9], v[10:11], v[10:11]
	s_nop 0
	v_mov_b32_e32 v6, v9
.LBB178_222:
	s_or_b64 exec, exec, s[2:3]
.LBB178_223:
	s_andn2_saveexec_b64 s[2:3], s[18:19]
	s_cbranch_execz .LBB178_229
; %bb.224:
	v_and_b32_e32 v3, 0x8000, v3
	v_cmp_ne_u32_e32 vcc, 0, v3
	v_sub_f32_e32 v3, v6, v6
                                        ; implicit-def: $vgpr8
	s_and_saveexec_b64 s[4:5], vcc
	s_xor_b64 s[4:5], exec, s[4:5]
; %bb.225:
	s_brev_b32 s7, -2
	v_and_b32_e32 v8, 0x7fffffff, v3
	v_bfi_b32 v6, s7, v7, v6
                                        ; implicit-def: $vgpr3
; %bb.226:
	s_andn2_saveexec_b64 s[4:5], s[4:5]
; %bb.227:
	s_brev_b32 s7, -2
	v_bfi_b32 v6, s7, v3, v6
	v_mov_b32_e32 v8, v7
; %bb.228:
	s_or_b64 exec, exec, s[4:5]
.LBB178_229:
	s_or_b64 exec, exec, s[2:3]
.LBB178_230:
	s_andn2_saveexec_b64 s[2:3], s[16:17]
	s_cbranch_execz .LBB178_232
; %bb.231:
	v_sub_f32_e32 v3, v6, v6
	v_div_scale_f32 v4, vcc, v3, v3, v3
	v_rcp_f32_e32 v6, v4
	s_nop 0
	v_fma_f32 v8, -v4, v6, 1.0
	v_fmac_f32_e32 v6, v8, v6
	v_mul_f32_e32 v8, v4, v6
	v_fma_f32 v9, -v4, v8, v4
	v_fmac_f32_e32 v8, v9, v6
	v_fma_f32 v4, -v4, v8, v4
	v_div_fmas_f32 v4, v4, v6, v8
	v_div_fixup_f32 v6, v4, v3, v3
	v_mov_b32_e32 v8, v7
.LBB178_232:
	s_or_b64 exec, exec, s[2:3]
.LBB178_233:
	s_or_b64 exec, exec, s[14:15]
.LBB178_234:
	s_or_b64 exec, exec, s[12:13]
	v_cmp_gt_f32_e32 vcc, 0, v6
                                        ; implicit-def: $vgpr10_vgpr11
	s_nop 1
	v_cndmask_b32_e64 v4, v6, -v6, vcc
	v_cmp_gt_f32_e32 vcc, 0, v8
	s_nop 1
	v_cndmask_b32_e64 v3, v8, -v8, vcc
	v_cmp_ge_f32_e32 vcc, v3, v4
	s_and_saveexec_b64 s[2:3], vcc
	s_xor_b64 s[4:5], exec, s[2:3]
	s_cbranch_execz .LBB178_240
; %bb.235:
	v_cmp_neq_f32_e32 vcc, 0, v8
	v_cmp_neq_f32_e64 s[2:3], 0, v6
	s_or_b64 s[2:3], vcc, s[2:3]
                                        ; implicit-def: $vgpr10_vgpr11
	s_and_saveexec_b64 s[12:13], s[2:3]
	s_xor_b64 s[2:3], exec, s[12:13]
	s_cbranch_execz .LBB178_237
; %bb.236:
	v_div_scale_f32 v3, s[12:13], v8, v8, v6
	v_rcp_f32_e32 v4, v3
	v_div_scale_f32 v7, vcc, v6, v8, v6
	v_fma_f32 v9, -v3, v4, 1.0
	v_fmac_f32_e32 v4, v9, v4
	v_mul_f32_e32 v9, v7, v4
	v_fma_f32 v10, -v3, v9, v7
	v_fmac_f32_e32 v9, v10, v4
	v_fma_f32 v3, -v3, v9, v7
	v_div_fmas_f32 v3, v3, v4, v9
	v_div_fixup_f32 v3, v3, v8, v6
	v_fmac_f32_e32 v8, v6, v3
	v_div_scale_f32 v4, s[12:13], v8, v8, 1.0
	v_rcp_f32_e32 v6, v4
	s_nop 0
	v_fma_f32 v7, -v4, v6, 1.0
	v_fmac_f32_e32 v6, v7, v6
	v_div_scale_f32 v7, vcc, 1.0, v8, 1.0
	v_mul_f32_e32 v9, v7, v6
	v_fma_f32 v10, -v4, v9, v7
	v_fmac_f32_e32 v9, v10, v6
	v_fma_f32 v4, -v4, v9, v7
	v_div_fmas_f32 v4, v4, v6, v9
	v_mul_f32_e32 v6, 0, v3
	v_div_fixup_f32 v4, v4, v8, 1.0
	v_add_f32_e32 v6, 1.0, v6
	v_sub_f32_e32 v7, 0, v3
	v_pk_mul_f32 v[10:11], v[6:7], v[4:5] op_sel_hi:[1,0]
                                        ; implicit-def: $vgpr4
                                        ; implicit-def: $vgpr3
.LBB178_237:
	s_andn2_saveexec_b64 s[2:3], s[2:3]
	s_cbranch_execz .LBB178_239
; %bb.238:
	v_div_scale_f32 v6, s[12:13], v4, v4, 0
	v_rcp_f32_e32 v7, v6
	v_div_scale_f32 v8, vcc, 0, v4, 0
	v_fma_f32 v9, -v6, v7, 1.0
	v_fmac_f32_e32 v7, v9, v7
	v_mul_f32_e32 v9, v8, v7
	v_fma_f32 v10, -v6, v9, v8
	v_fmac_f32_e32 v9, v10, v7
	v_fma_f32 v6, -v6, v9, v8
	v_div_scale_f32 v8, s[12:13], v3, v3, 1.0
	v_rcp_f32_e32 v10, v8
	v_div_fmas_f32 v6, v6, v7, v9
	v_div_fixup_f32 v11, v6, v4, 0
	v_fma_f32 v4, -v8, v10, 1.0
	v_fmac_f32_e32 v10, v4, v10
	v_div_scale_f32 v4, vcc, 1.0, v3, 1.0
	v_mul_f32_e32 v6, v4, v10
	v_fma_f32 v7, -v8, v6, v4
	v_fmac_f32_e32 v6, v7, v10
	v_fma_f32 v4, -v8, v6, v4
	v_div_fmas_f32 v4, v4, v10, v6
	v_div_fixup_f32 v10, v4, v3, 1.0
.LBB178_239:
	s_or_b64 exec, exec, s[2:3]
                                        ; implicit-def: $vgpr6
                                        ; implicit-def: $vgpr8
.LBB178_240:
	s_andn2_saveexec_b64 s[2:3], s[4:5]
	s_cbranch_execz .LBB178_242
; %bb.241:
	v_div_scale_f32 v3, s[4:5], v6, v6, v8
	v_rcp_f32_e32 v4, v3
	v_div_scale_f32 v7, vcc, v8, v6, v8
	v_fma_f32 v9, -v3, v4, 1.0
	v_fmac_f32_e32 v4, v9, v4
	v_mul_f32_e32 v9, v7, v4
	v_fma_f32 v10, -v3, v9, v7
	v_fmac_f32_e32 v9, v10, v4
	v_fma_f32 v3, -v3, v9, v7
	v_div_fmas_f32 v3, v3, v4, v9
	v_div_fixup_f32 v10, v3, v6, v8
	v_fmac_f32_e32 v6, v8, v10
	v_div_scale_f32 v3, s[4:5], v6, v6, 1.0
	v_rcp_f32_e32 v4, v3
	s_mov_b32 s4, 0
	s_mov_b32 s5, -1.0
	v_mul_f32_e32 v11, 0, v10
	v_fma_f32 v7, -v3, v4, 1.0
	v_fmac_f32_e32 v4, v7, v4
	v_div_scale_f32 v7, vcc, 1.0, v6, 1.0
	v_mul_f32_e32 v8, v7, v4
	v_fma_f32 v9, -v3, v8, v7
	v_fmac_f32_e32 v8, v9, v4
	v_fma_f32 v3, -v3, v8, v7
	v_div_fmas_f32 v3, v3, v4, v8
	v_div_fixup_f32 v4, v3, v6, 1.0
	v_pk_add_f32 v[6:7], v[10:11], s[4:5]
	s_nop 0
	v_pk_mul_f32 v[10:11], v[6:7], v[4:5] op_sel_hi:[1,0]
.LBB178_242:
	s_or_b64 exec, exec, s[2:3]
	v_cvt_f16_f32_e32 v3, v10
	v_cvt_f16_f32_sdwa v4, v11 dst_sel:WORD_1 dst_unused:UNUSED_PAD src0_sel:DWORD
	s_nop 0
	v_or_b32_e32 v10, v4, v3
.LBB178_243:
	s_or_b64 exec, exec, s[10:11]
	s_waitcnt vmcnt(0)
	v_or_b32_e32 v3, 0x200, v0
	v_cmp_gt_i32_e32 vcc, s24, v3
                                        ; implicit-def: $vgpr11
	s_and_saveexec_b64 s[10:11], vcc
	s_cbranch_execz .LBB178_283
; %bb.244:
	v_cvt_f32_f16_sdwa v6, v5 dst_sel:DWORD dst_unused:UNUSED_PAD src0_sel:WORD_1
	v_mov_b32_e32 v4, 0
	v_cmp_neq_f16_e32 vcc, 0, v5
	v_cmp_neq_f16_sdwa s[2:3], v5, v4 src0_sel:WORD_1 src1_sel:DWORD
	s_or_b64 s[2:3], vcc, s[2:3]
	s_and_saveexec_b64 s[12:13], s[2:3]
	s_cbranch_execz .LBB178_274
; %bb.245:
	v_cvt_f32_f16_e32 v7, v5
	v_mov_b32_e32 v4, 0x7f800000
	v_cmp_neq_f32_e64 s[2:3], |v6|, v4
	s_and_saveexec_b64 s[14:15], s[2:3]
	s_cbranch_execz .LBB178_273
; %bb.246:
	v_cmp_o_f16_e32 vcc, v5, v5
                                        ; implicit-def: $vgpr4
	s_and_saveexec_b64 s[2:3], vcc
	s_xor_b64 s[16:17], exec, s[2:3]
	s_cbranch_execz .LBB178_270
; %bb.247:
	s_mov_b32 s2, 0x7f800000
	v_cmp_neq_f32_e64 s[2:3], |v7|, s2
                                        ; implicit-def: $vgpr4
	s_and_saveexec_b64 s[4:5], s[2:3]
	s_xor_b64 s[18:19], exec, s[4:5]
	s_cbranch_execz .LBB178_263
; %bb.248:
	v_max_f32_e64 v3, |v6|, |v6|
	v_max_f32_e64 v4, |v7|, |v7|
	v_max_f32_e32 v3, v4, v3
	s_mov_b32 s2, 0x7ed413cb
	v_cmp_nle_f32_e64 s[2:3], s2, v3
                                        ; implicit-def: $sgpr20_sgpr21
	s_and_saveexec_b64 s[4:5], s[2:3]
	s_xor_b64 s[4:5], exec, s[4:5]
	s_cbranch_execz .LBB178_252
; %bb.249:
	s_mov_b32 s7, 0x1000000
	v_cmp_le_f32_e64 s[20:21], |v7|, s7
	v_cmp_le_f32_e64 s[22:23], |v6|, s7
	s_and_b64 s[26:27], s[20:21], s[22:23]
	s_mov_b64 s[20:21], 0
	s_and_saveexec_b64 s[22:23], s[26:27]
; %bb.250:
	s_mov_b64 s[20:21], exec
	v_pk_mul_f32 v[6:7], v[6:7], 4.0 op_sel_hi:[1,0]
; %bb.251:
	s_or_b64 exec, exec, s[22:23]
.LBB178_252:
	s_andn2_saveexec_b64 s[4:5], s[4:5]
; %bb.253:
	s_mov_b32 s22, 0x3e800000
	v_pk_mul_f32 v[6:7], v[6:7], s[22:23] op_sel_hi:[1,0]
	s_andn2_b64 s[20:21], s[20:21], exec
; %bb.254:
	s_or_b64 exec, exec, s[4:5]
	v_max_f32_e64 v3, |v6|, |v6|
	v_max_f32_e64 v4, |v7|, |v7|
	v_max_f32_e32 v3, v4, v3
	v_cvt_f64_f32_e32 v[4:5], v3
	v_frexp_exp_i32_f64_e32 v4, v[4:5]
	v_sub_u32_e32 v5, 0, v4
	v_ldexp_f32 v8, |v7|, v5
	v_ldexp_f32 v5, |v6|, v5
	v_mul_f32_e32 v5, v5, v5
	v_fmac_f32_e32 v5, v8, v8
	v_sqrt_f32_e32 v5, v5
	s_mov_b32 s4, 0x7f800000
	v_cmp_neq_f32_e64 s[4:5], s4, v3
	v_cmp_le_f32_e32 vcc, 0, v7
	v_ldexp_f32 v4, v5, v4
	v_mov_b32_e32 v5, 0x7f800000
	v_cndmask_b32_e64 v3, v5, v4, s[4:5]
                                        ; implicit-def: $vgpr8_vgpr9
	s_and_saveexec_b64 s[4:5], vcc
	s_xor_b64 s[22:23], exec, s[4:5]
	s_cbranch_execz .LBB178_256
; %bb.255:
	v_add_f32_e32 v3, v7, v3
	v_mul_f32_e32 v3, 0.5, v3
	s_mov_b32 s4, 0xf800000
	v_mul_f32_e32 v4, 0x4f800000, v3
	v_cmp_gt_f32_e32 vcc, s4, v3
	s_nop 1
	v_cndmask_b32_e32 v3, v3, v4, vcc
	v_sqrt_f32_e32 v4, v3
	s_nop 0
	v_add_u32_e32 v5, -1, v4
	v_fma_f32 v7, -v5, v4, v3
	v_cmp_ge_f32_e64 s[4:5], 0, v7
	v_add_u32_e32 v7, 1, v4
	s_nop 0
	v_cndmask_b32_e64 v5, v4, v5, s[4:5]
	v_fma_f32 v4, -v7, v4, v3
	v_cmp_lt_f32_e64 s[4:5], 0, v4
	s_nop 1
	v_cndmask_b32_e64 v4, v5, v7, s[4:5]
	v_mul_f32_e32 v5, 0x37800000, v4
	v_cndmask_b32_e32 v4, v4, v5, vcc
	v_mov_b32_e32 v5, 0x260
	v_cmp_class_f32_e32 vcc, v3, v5
	s_nop 1
	v_cndmask_b32_e32 v8, v4, v3, vcc
	v_add_f32_e32 v3, v8, v8
	v_div_scale_f32 v4, s[4:5], v3, v3, v6
	v_rcp_f32_e32 v5, v4
	s_nop 0
	v_fma_f32 v7, -v4, v5, 1.0
	v_fmac_f32_e32 v5, v7, v5
	v_div_scale_f32 v7, vcc, v6, v3, v6
	v_mul_f32_e32 v9, v7, v5
	v_fma_f32 v11, -v4, v9, v7
	v_fmac_f32_e32 v9, v11, v5
	v_fma_f32 v4, -v4, v9, v7
	v_div_fmas_f32 v4, v4, v5, v9
	v_div_fixup_f32 v9, v4, v3, v6
                                        ; implicit-def: $vgpr3
                                        ; implicit-def: $vgpr6_vgpr7
	s_andn2_saveexec_b64 s[22:23], s[22:23]
	s_cbranch_execz .LBB178_258
	s_branch .LBB178_257
.LBB178_256:
	s_andn2_saveexec_b64 s[22:23], s[22:23]
	s_cbranch_execz .LBB178_258
.LBB178_257:
	v_sub_f32_e32 v3, v3, v7
	v_mul_f32_e32 v3, 0.5, v3
	s_mov_b32 s4, 0xf800000
	v_mul_f32_e32 v4, 0x4f800000, v3
	v_cmp_gt_f32_e32 vcc, s4, v3
	s_nop 1
	v_cndmask_b32_e32 v3, v3, v4, vcc
	v_sqrt_f32_e32 v4, v3
	s_nop 0
	v_add_u32_e32 v5, -1, v4
	v_fma_f32 v7, -v5, v4, v3
	v_cmp_ge_f32_e64 s[4:5], 0, v7
	v_add_u32_e32 v7, 1, v4
	s_nop 0
	v_cndmask_b32_e64 v5, v4, v5, s[4:5]
	v_fma_f32 v4, -v7, v4, v3
	v_cmp_lt_f32_e64 s[4:5], 0, v4
	s_nop 1
	v_cndmask_b32_e64 v4, v5, v7, s[4:5]
	v_mul_f32_e32 v5, 0x37800000, v4
	v_cndmask_b32_e32 v4, v4, v5, vcc
	v_mov_b32_e32 v5, 0x260
	v_cmp_class_f32_e32 vcc, v3, v5
	v_and_b32_e32 v5, 0x7fffffff, v6
	s_nop 0
	v_cndmask_b32_e32 v3, v4, v3, vcc
	v_add_f32_e32 v4, v3, v3
	v_div_scale_f32 v7, s[4:5], v4, v4, v5
	v_rcp_f32_e32 v8, v7
	v_div_scale_f32 v5, vcc, v5, v4, v5
	s_brev_b32 s4, -2
	v_fma_f32 v9, -v7, v8, 1.0
	v_fmac_f32_e32 v8, v9, v8
	v_mul_f32_e32 v9, v5, v8
	v_fma_f32 v11, -v7, v9, v5
	v_fmac_f32_e32 v9, v11, v8
	v_fma_f32 v5, -v7, v9, v5
	v_div_fmas_f32 v5, v5, v8, v9
	v_div_fixup_f32 v8, v5, v4, |v6|
	v_bfi_b32 v9, s4, v3, v6
.LBB178_258:
	s_or_b64 exec, exec, s[22:23]
                                        ; implicit-def: $vgpr6
                                        ; implicit-def: $vgpr4
	s_and_saveexec_b64 s[4:5], s[2:3]
	s_xor_b64 s[2:3], exec, s[4:5]
	s_cbranch_execz .LBB178_260
; %bb.259:
	v_pk_mul_f32 v[4:5], v[8:9], 0.5 op_sel_hi:[1,0]
	s_nop 0
	v_cndmask_b32_e64 v4, v8, v4, s[20:21]
	v_cndmask_b32_e64 v6, v9, v5, s[20:21]
                                        ; implicit-def: $vgpr8_vgpr9
	s_andn2_saveexec_b64 s[2:3], s[2:3]
	s_cbranch_execnz .LBB178_261
	s_branch .LBB178_262
.LBB178_260:
	s_andn2_saveexec_b64 s[2:3], s[2:3]
.LBB178_261:
	v_pk_add_f32 v[4:5], v[8:9], v[8:9]
	s_nop 0
	v_mov_b32_e32 v6, v5
.LBB178_262:
	s_or_b64 exec, exec, s[2:3]
                                        ; implicit-def: $vgpr5
.LBB178_263:
	s_andn2_saveexec_b64 s[2:3], s[18:19]
	s_cbranch_execz .LBB178_269
; %bb.264:
	v_and_b32_e32 v3, 0x8000, v5
	v_cmp_ne_u32_e32 vcc, 0, v3
	v_sub_f32_e32 v3, v6, v6
                                        ; implicit-def: $vgpr4
	s_and_saveexec_b64 s[4:5], vcc
	s_xor_b64 s[4:5], exec, s[4:5]
; %bb.265:
	s_brev_b32 s7, -2
	v_and_b32_e32 v4, 0x7fffffff, v3
	v_bfi_b32 v6, s7, v7, v6
                                        ; implicit-def: $vgpr3
; %bb.266:
	s_andn2_saveexec_b64 s[4:5], s[4:5]
; %bb.267:
	s_brev_b32 s7, -2
	v_bfi_b32 v6, s7, v3, v6
	v_mov_b32_e32 v4, v7
; %bb.268:
	s_or_b64 exec, exec, s[4:5]
.LBB178_269:
	s_or_b64 exec, exec, s[2:3]
.LBB178_270:
	s_andn2_saveexec_b64 s[2:3], s[16:17]
	s_cbranch_execz .LBB178_272
; %bb.271:
	v_sub_f32_e32 v3, v6, v6
	v_div_scale_f32 v4, vcc, v3, v3, v3
	v_rcp_f32_e32 v5, v4
	s_nop 0
	v_fma_f32 v6, -v4, v5, 1.0
	v_fmac_f32_e32 v5, v6, v5
	v_mul_f32_e32 v6, v4, v5
	v_fma_f32 v8, -v4, v6, v4
	v_fmac_f32_e32 v6, v8, v5
	v_fma_f32 v4, -v4, v6, v4
	v_div_fmas_f32 v4, v4, v5, v6
	v_div_fixup_f32 v6, v4, v3, v3
	v_mov_b32_e32 v4, v7
.LBB178_272:
	s_or_b64 exec, exec, s[2:3]
.LBB178_273:
	s_or_b64 exec, exec, s[14:15]
.LBB178_274:
	s_or_b64 exec, exec, s[12:13]
	v_cmp_gt_f32_e32 vcc, 0, v6
                                        ; implicit-def: $vgpr8_vgpr9
	s_nop 1
	v_cndmask_b32_e64 v5, v6, -v6, vcc
	v_cmp_gt_f32_e32 vcc, 0, v4
	s_nop 1
	v_cndmask_b32_e64 v3, v4, -v4, vcc
	v_cmp_ge_f32_e32 vcc, v3, v5
	s_and_saveexec_b64 s[2:3], vcc
	s_xor_b64 s[4:5], exec, s[2:3]
	s_cbranch_execz .LBB178_280
; %bb.275:
	v_cmp_neq_f32_e32 vcc, 0, v4
	v_cmp_neq_f32_e64 s[2:3], 0, v6
	s_or_b64 s[2:3], vcc, s[2:3]
                                        ; implicit-def: $vgpr8_vgpr9
	s_and_saveexec_b64 s[12:13], s[2:3]
	s_xor_b64 s[2:3], exec, s[12:13]
	s_cbranch_execz .LBB178_277
; %bb.276:
	v_div_scale_f32 v3, s[12:13], v4, v4, v6
	v_rcp_f32_e32 v5, v3
	v_div_scale_f32 v7, vcc, v6, v4, v6
	v_fma_f32 v8, -v3, v5, 1.0
	v_fmac_f32_e32 v5, v8, v5
	v_mul_f32_e32 v8, v7, v5
	v_fma_f32 v9, -v3, v8, v7
	v_fmac_f32_e32 v8, v9, v5
	v_fma_f32 v3, -v3, v8, v7
	v_div_fmas_f32 v3, v3, v5, v8
	v_div_fixup_f32 v3, v3, v4, v6
	v_fmac_f32_e32 v4, v6, v3
	v_div_scale_f32 v5, s[12:13], v4, v4, 1.0
	v_rcp_f32_e32 v6, v5
	s_nop 0
	v_fma_f32 v7, -v5, v6, 1.0
	v_fmac_f32_e32 v6, v7, v6
	v_div_scale_f32 v7, vcc, 1.0, v4, 1.0
	v_mul_f32_e32 v8, v7, v6
	v_fma_f32 v9, -v5, v8, v7
	v_fmac_f32_e32 v8, v9, v6
	v_fma_f32 v5, -v5, v8, v7
	v_div_fmas_f32 v5, v5, v6, v8
	v_div_fixup_f32 v4, v5, v4, 1.0
	v_mul_f32_e32 v5, 0, v3
	v_add_f32_e32 v6, 1.0, v5
	v_sub_f32_e32 v7, 0, v3
	v_pk_mul_f32 v[8:9], v[6:7], v[4:5] op_sel_hi:[1,0]
                                        ; implicit-def: $vgpr5
                                        ; implicit-def: $vgpr3
.LBB178_277:
	s_andn2_saveexec_b64 s[2:3], s[2:3]
	s_cbranch_execz .LBB178_279
; %bb.278:
	v_div_scale_f32 v4, s[12:13], v5, v5, 0
	v_rcp_f32_e32 v6, v4
	v_div_scale_f32 v7, vcc, 0, v5, 0
	v_fma_f32 v8, -v4, v6, 1.0
	v_fmac_f32_e32 v6, v8, v6
	v_mul_f32_e32 v8, v7, v6
	v_fma_f32 v9, -v4, v8, v7
	v_fmac_f32_e32 v8, v9, v6
	v_fma_f32 v4, -v4, v8, v7
	v_div_scale_f32 v7, s[12:13], v3, v3, 1.0
	v_rcp_f32_e32 v11, v7
	v_div_fmas_f32 v4, v4, v6, v8
	v_div_fixup_f32 v9, v4, v5, 0
	v_fma_f32 v4, -v7, v11, 1.0
	v_fmac_f32_e32 v11, v4, v11
	v_div_scale_f32 v4, vcc, 1.0, v3, 1.0
	v_mul_f32_e32 v5, v4, v11
	v_fma_f32 v6, -v7, v5, v4
	v_fmac_f32_e32 v5, v6, v11
	v_fma_f32 v4, -v7, v5, v4
	v_div_fmas_f32 v4, v4, v11, v5
	v_div_fixup_f32 v8, v4, v3, 1.0
.LBB178_279:
	s_or_b64 exec, exec, s[2:3]
                                        ; implicit-def: $vgpr6
                                        ; implicit-def: $vgpr4
.LBB178_280:
	s_andn2_saveexec_b64 s[2:3], s[4:5]
	s_cbranch_execz .LBB178_282
; %bb.281:
	v_div_scale_f32 v3, s[4:5], v6, v6, v4
	v_rcp_f32_e32 v5, v3
	v_div_scale_f32 v7, vcc, v4, v6, v4
	v_fma_f32 v8, -v3, v5, 1.0
	v_fmac_f32_e32 v5, v8, v5
	v_mul_f32_e32 v8, v7, v5
	v_fma_f32 v9, -v3, v8, v7
	v_fmac_f32_e32 v8, v9, v5
	v_fma_f32 v3, -v3, v8, v7
	v_div_fmas_f32 v3, v3, v5, v8
	v_div_fixup_f32 v8, v3, v6, v4
	v_fmac_f32_e32 v6, v4, v8
	v_div_scale_f32 v3, s[4:5], v6, v6, 1.0
	v_rcp_f32_e32 v4, v3
	s_mov_b32 s4, 0
	s_mov_b32 s5, -1.0
	v_fma_f32 v5, -v3, v4, 1.0
	v_fmac_f32_e32 v4, v5, v4
	v_div_scale_f32 v5, vcc, 1.0, v6, 1.0
	v_mul_f32_e32 v7, v5, v4
	v_fma_f32 v9, -v3, v7, v5
	v_fmac_f32_e32 v7, v9, v4
	v_fma_f32 v3, -v3, v7, v5
	v_div_fmas_f32 v3, v3, v4, v7
	v_mul_f32_e32 v9, 0, v8
	v_div_fixup_f32 v4, v3, v6, 1.0
	v_pk_add_f32 v[6:7], v[8:9], s[4:5]
	s_nop 0
	v_pk_mul_f32 v[8:9], v[6:7], v[4:5] op_sel_hi:[1,0]
.LBB178_282:
	s_or_b64 exec, exec, s[2:3]
	v_cvt_f16_f32_e32 v3, v8
	v_cvt_f16_f32_sdwa v4, v9 dst_sel:WORD_1 dst_unused:UNUSED_PAD src0_sel:DWORD
	s_nop 0
	v_or_b32_e32 v11, v4, v3
.LBB178_283:
	s_or_b64 exec, exec, s[10:11]
	v_or_b32_e32 v3, 0x300, v0
	v_cmp_gt_i32_e32 vcc, s24, v3
                                        ; implicit-def: $vgpr4
	s_and_saveexec_b64 s[10:11], vcc
	s_cbranch_execz .LBB178_296
; %bb.284:
	v_cvt_f32_f16_sdwa v4, v1 dst_sel:DWORD dst_unused:UNUSED_PAD src0_sel:WORD_1
	v_mov_b32_e32 v6, 0
	v_cmp_neq_f16_e32 vcc, 0, v1
	v_cmp_neq_f16_sdwa s[2:3], v1, v6 src0_sel:WORD_1 src1_sel:DWORD
	s_or_b64 s[2:3], vcc, s[2:3]
	s_and_saveexec_b64 s[12:13], s[2:3]
	s_cbranch_execz .LBB178_318
; %bb.285:
	v_cvt_f32_f16_e32 v5, v1
	v_mov_b32_e32 v6, 0x7f800000
	v_cmp_neq_f32_e64 s[2:3], |v4|, v6
	s_and_saveexec_b64 s[14:15], s[2:3]
	s_cbranch_execz .LBB178_317
; %bb.286:
	v_cmp_o_f16_e32 vcc, v1, v1
                                        ; implicit-def: $vgpr6
	s_and_saveexec_b64 s[2:3], vcc
	s_xor_b64 s[16:17], exec, s[2:3]
	s_cbranch_execz .LBB178_314
; %bb.287:
	s_mov_b32 s2, 0x7f800000
	v_cmp_neq_f32_e64 s[2:3], |v5|, s2
                                        ; implicit-def: $vgpr6
	s_and_saveexec_b64 s[4:5], s[2:3]
	s_xor_b64 s[18:19], exec, s[4:5]
	s_cbranch_execz .LBB178_307
; %bb.288:
	v_max_f32_e64 v1, |v4|, |v4|
	v_max_f32_e64 v3, |v5|, |v5|
	v_max_f32_e32 v1, v3, v1
	s_mov_b32 s2, 0x7ed413cb
	v_cmp_nle_f32_e64 s[2:3], s2, v1
                                        ; implicit-def: $sgpr20_sgpr21
	s_and_saveexec_b64 s[4:5], s[2:3]
	s_xor_b64 s[4:5], exec, s[4:5]
	s_cbranch_execz .LBB178_292
; %bb.289:
	s_mov_b32 s7, 0x1000000
	v_cmp_le_f32_e64 s[20:21], |v5|, s7
	v_cmp_le_f32_e64 s[22:23], |v4|, s7
	s_and_b64 s[26:27], s[20:21], s[22:23]
	s_mov_b64 s[20:21], 0
	s_and_saveexec_b64 s[22:23], s[26:27]
; %bb.290:
	s_mov_b64 s[20:21], exec
	v_pk_mul_f32 v[4:5], v[4:5], 4.0 op_sel_hi:[1,0]
; %bb.291:
	s_or_b64 exec, exec, s[22:23]
.LBB178_292:
	s_andn2_saveexec_b64 s[4:5], s[4:5]
; %bb.293:
	s_mov_b32 s22, 0x3e800000
	v_pk_mul_f32 v[4:5], v[4:5], s[22:23] op_sel_hi:[1,0]
	s_andn2_b64 s[20:21], s[20:21], exec
; %bb.294:
	s_or_b64 exec, exec, s[4:5]
	v_max_f32_e64 v1, |v4|, |v4|
	v_max_f32_e64 v3, |v5|, |v5|
	v_max_f32_e32 v1, v3, v1
	v_cvt_f64_f32_e32 v[6:7], v1
	v_frexp_exp_i32_f64_e32 v3, v[6:7]
	v_sub_u32_e32 v6, 0, v3
	v_ldexp_f32 v7, |v5|, v6
	v_ldexp_f32 v6, |v4|, v6
	v_mul_f32_e32 v6, v6, v6
	v_fmac_f32_e32 v6, v7, v7
	v_sqrt_f32_e32 v6, v6
	s_mov_b32 s4, 0x7f800000
	v_cmp_neq_f32_e64 s[4:5], s4, v1
	v_cmp_le_f32_e32 vcc, 0, v5
	v_ldexp_f32 v3, v6, v3
	v_mov_b32_e32 v6, 0x7f800000
	v_cndmask_b32_e64 v1, v6, v3, s[4:5]
                                        ; implicit-def: $vgpr8_vgpr9
	s_and_saveexec_b64 s[4:5], vcc
	s_xor_b64 s[22:23], exec, s[4:5]
	s_cbranch_execz .LBB178_300
; %bb.295:
	v_add_f32_e32 v1, v5, v1
	v_mul_f32_e32 v1, 0.5, v1
	s_mov_b32 s4, 0xf800000
	v_mul_f32_e32 v3, 0x4f800000, v1
	v_cmp_gt_f32_e32 vcc, s4, v1
	s_nop 1
	v_cndmask_b32_e32 v1, v1, v3, vcc
	v_sqrt_f32_e32 v3, v1
	s_nop 0
	v_add_u32_e32 v5, -1, v3
	v_fma_f32 v6, -v5, v3, v1
	v_cmp_ge_f32_e64 s[4:5], 0, v6
	v_add_u32_e32 v6, 1, v3
	s_nop 0
	v_cndmask_b32_e64 v5, v3, v5, s[4:5]
	v_fma_f32 v3, -v6, v3, v1
	v_cmp_lt_f32_e64 s[4:5], 0, v3
	s_nop 1
	v_cndmask_b32_e64 v3, v5, v6, s[4:5]
	v_mul_f32_e32 v5, 0x37800000, v3
	v_cndmask_b32_e32 v3, v3, v5, vcc
	v_mov_b32_e32 v5, 0x260
	v_cmp_class_f32_e32 vcc, v1, v5
	s_nop 1
	v_cndmask_b32_e32 v8, v3, v1, vcc
	v_add_f32_e32 v1, v8, v8
	v_div_scale_f32 v3, s[4:5], v1, v1, v4
	v_rcp_f32_e32 v5, v3
	s_nop 0
	v_fma_f32 v6, -v3, v5, 1.0
	v_fmac_f32_e32 v5, v6, v5
	v_div_scale_f32 v6, vcc, v4, v1, v4
	v_mul_f32_e32 v7, v6, v5
	v_fma_f32 v9, -v3, v7, v6
	v_fmac_f32_e32 v7, v9, v5
	v_fma_f32 v3, -v3, v7, v6
	v_div_fmas_f32 v3, v3, v5, v7
	v_div_fixup_f32 v9, v3, v1, v4
                                        ; implicit-def: $vgpr1
                                        ; implicit-def: $vgpr4_vgpr5
	s_andn2_saveexec_b64 s[22:23], s[22:23]
	s_cbranch_execz .LBB178_302
	s_branch .LBB178_301
.LBB178_296:
	s_or_b64 exec, exec, s[10:11]
	s_and_saveexec_b64 s[2:3], s[0:1]
	s_xor_b64 s[0:1], exec, s[2:3]
	s_cbranch_execz .LBB178_327
.LBB178_297:
	v_mov_b32_e32 v3, 0
	v_lshl_add_u64 v[0:1], v[2:3], 2, s[8:9]
	global_store_dword v[0:1], v12, off
	v_mov_b32_e32 v0, v13
	s_or_b64 exec, exec, s[0:1]
	v_cmp_gt_i32_e32 vcc, s24, v0
	s_and_saveexec_b64 s[0:1], vcc
	s_cbranch_execnz .LBB178_328
.LBB178_298:
	s_or_b64 exec, exec, s[0:1]
	v_cmp_gt_i32_e32 vcc, s24, v0
	s_and_saveexec_b64 s[0:1], vcc
	s_cbranch_execz .LBB178_329
.LBB178_299:
	v_add_u32_e32 v2, s6, v0
	v_mov_b32_e32 v3, 0
	v_lshl_add_u64 v[2:3], v[2:3], 2, s[8:9]
	v_add_u32_e32 v0, 0x100, v0
	global_store_dword v[2:3], v11, off
	s_or_b64 exec, exec, s[0:1]
	v_cmp_gt_i32_e32 vcc, s24, v0
	s_and_saveexec_b64 s[0:1], vcc
	s_cbranch_execnz .LBB178_330
	s_branch .LBB178_331
.LBB178_300:
	s_andn2_saveexec_b64 s[22:23], s[22:23]
	s_cbranch_execz .LBB178_302
.LBB178_301:
	v_sub_f32_e32 v1, v1, v5
	v_mul_f32_e32 v1, 0.5, v1
	s_mov_b32 s4, 0xf800000
	v_mul_f32_e32 v3, 0x4f800000, v1
	v_cmp_gt_f32_e32 vcc, s4, v1
	s_nop 1
	v_cndmask_b32_e32 v1, v1, v3, vcc
	v_sqrt_f32_e32 v3, v1
	s_nop 0
	v_add_u32_e32 v5, -1, v3
	v_fma_f32 v6, -v5, v3, v1
	v_cmp_ge_f32_e64 s[4:5], 0, v6
	v_add_u32_e32 v6, 1, v3
	s_nop 0
	v_cndmask_b32_e64 v5, v3, v5, s[4:5]
	v_fma_f32 v3, -v6, v3, v1
	v_cmp_lt_f32_e64 s[4:5], 0, v3
	s_nop 1
	v_cndmask_b32_e64 v3, v5, v6, s[4:5]
	v_mul_f32_e32 v5, 0x37800000, v3
	v_cndmask_b32_e32 v3, v3, v5, vcc
	v_mov_b32_e32 v5, 0x260
	v_cmp_class_f32_e32 vcc, v1, v5
	v_and_b32_e32 v5, 0x7fffffff, v4
	s_nop 0
	v_cndmask_b32_e32 v1, v3, v1, vcc
	v_add_f32_e32 v3, v1, v1
	v_div_scale_f32 v6, s[4:5], v3, v3, v5
	v_rcp_f32_e32 v7, v6
	v_div_scale_f32 v5, vcc, v5, v3, v5
	s_brev_b32 s4, -2
	v_fma_f32 v8, -v6, v7, 1.0
	v_fmac_f32_e32 v7, v8, v7
	v_mul_f32_e32 v8, v5, v7
	v_fma_f32 v9, -v6, v8, v5
	v_fmac_f32_e32 v8, v9, v7
	v_fma_f32 v5, -v6, v8, v5
	v_div_fmas_f32 v5, v5, v7, v8
	v_div_fixup_f32 v8, v5, v3, |v4|
	v_bfi_b32 v9, s4, v1, v4
.LBB178_302:
	s_or_b64 exec, exec, s[22:23]
                                        ; implicit-def: $vgpr4
                                        ; implicit-def: $vgpr6
	s_and_saveexec_b64 s[4:5], s[2:3]
	s_xor_b64 s[2:3], exec, s[4:5]
	s_cbranch_execz .LBB178_304
; %bb.303:
	v_pk_mul_f32 v[4:5], v[8:9], 0.5 op_sel_hi:[1,0]
	s_nop 0
	v_cndmask_b32_e64 v6, v8, v4, s[20:21]
	v_cndmask_b32_e64 v4, v9, v5, s[20:21]
                                        ; implicit-def: $vgpr8_vgpr9
	s_andn2_saveexec_b64 s[2:3], s[2:3]
	s_cbranch_execnz .LBB178_305
	s_branch .LBB178_306
.LBB178_304:
	s_andn2_saveexec_b64 s[2:3], s[2:3]
.LBB178_305:
	v_pk_add_f32 v[6:7], v[8:9], v[8:9]
	s_nop 0
	v_mov_b32_e32 v4, v7
.LBB178_306:
	s_or_b64 exec, exec, s[2:3]
                                        ; implicit-def: $vgpr1
.LBB178_307:
	s_andn2_saveexec_b64 s[2:3], s[18:19]
	s_cbranch_execz .LBB178_313
; %bb.308:
	v_and_b32_e32 v1, 0x8000, v1
	v_cmp_ne_u32_e32 vcc, 0, v1
	v_sub_f32_e32 v1, v4, v4
                                        ; implicit-def: $vgpr6
	s_and_saveexec_b64 s[4:5], vcc
	s_xor_b64 s[4:5], exec, s[4:5]
; %bb.309:
	s_brev_b32 s7, -2
	v_and_b32_e32 v6, 0x7fffffff, v1
	v_bfi_b32 v4, s7, v5, v4
                                        ; implicit-def: $vgpr1
; %bb.310:
	s_andn2_saveexec_b64 s[4:5], s[4:5]
; %bb.311:
	s_brev_b32 s7, -2
	v_bfi_b32 v4, s7, v1, v4
	v_mov_b32_e32 v6, v5
; %bb.312:
	s_or_b64 exec, exec, s[4:5]
.LBB178_313:
	s_or_b64 exec, exec, s[2:3]
.LBB178_314:
	s_andn2_saveexec_b64 s[2:3], s[16:17]
	s_cbranch_execz .LBB178_316
; %bb.315:
	v_sub_f32_e32 v1, v4, v4
	v_div_scale_f32 v3, vcc, v1, v1, v1
	v_rcp_f32_e32 v4, v3
	s_nop 0
	v_fma_f32 v6, -v3, v4, 1.0
	v_fmac_f32_e32 v4, v6, v4
	v_mul_f32_e32 v6, v3, v4
	v_fma_f32 v7, -v3, v6, v3
	v_fmac_f32_e32 v6, v7, v4
	v_fma_f32 v3, -v3, v6, v3
	v_div_fmas_f32 v3, v3, v4, v6
	v_div_fixup_f32 v4, v3, v1, v1
	v_mov_b32_e32 v6, v5
.LBB178_316:
	s_or_b64 exec, exec, s[2:3]
.LBB178_317:
	s_or_b64 exec, exec, s[14:15]
.LBB178_318:
	s_or_b64 exec, exec, s[12:13]
	v_cmp_gt_f32_e32 vcc, 0, v4
                                        ; implicit-def: $vgpr8_vgpr9
	s_nop 1
	v_cndmask_b32_e64 v3, v4, -v4, vcc
	v_cmp_gt_f32_e32 vcc, 0, v6
	s_nop 1
	v_cndmask_b32_e64 v1, v6, -v6, vcc
	v_cmp_ge_f32_e32 vcc, v1, v3
	s_and_saveexec_b64 s[2:3], vcc
	s_xor_b64 s[4:5], exec, s[2:3]
	s_cbranch_execz .LBB178_324
; %bb.319:
	v_cmp_neq_f32_e32 vcc, 0, v6
	v_cmp_neq_f32_e64 s[2:3], 0, v4
	s_or_b64 s[2:3], vcc, s[2:3]
                                        ; implicit-def: $vgpr8_vgpr9
	s_and_saveexec_b64 s[12:13], s[2:3]
	s_xor_b64 s[2:3], exec, s[12:13]
	s_cbranch_execz .LBB178_321
; %bb.320:
	v_div_scale_f32 v1, s[12:13], v6, v6, v4
	v_rcp_f32_e32 v3, v1
	v_div_scale_f32 v5, vcc, v4, v6, v4
	v_fma_f32 v7, -v1, v3, 1.0
	v_fmac_f32_e32 v3, v7, v3
	v_mul_f32_e32 v7, v5, v3
	v_fma_f32 v8, -v1, v7, v5
	v_fmac_f32_e32 v7, v8, v3
	v_fma_f32 v1, -v1, v7, v5
	v_div_fmas_f32 v1, v1, v3, v7
	v_div_fixup_f32 v1, v1, v6, v4
	v_fmac_f32_e32 v6, v4, v1
	v_div_scale_f32 v3, s[12:13], v6, v6, 1.0
	v_rcp_f32_e32 v4, v3
	s_nop 0
	v_fma_f32 v5, -v3, v4, 1.0
	v_fmac_f32_e32 v4, v5, v4
	v_div_scale_f32 v5, vcc, 1.0, v6, 1.0
	v_mul_f32_e32 v7, v5, v4
	v_fma_f32 v8, -v3, v7, v5
	v_fmac_f32_e32 v7, v8, v4
	v_fma_f32 v3, -v3, v7, v5
	v_div_fmas_f32 v3, v3, v4, v7
	v_div_fixup_f32 v4, v3, v6, 1.0
	v_mul_f32_e32 v3, 0, v1
	v_add_f32_e32 v6, 1.0, v3
	v_sub_f32_e32 v7, 0, v1
	v_pk_mul_f32 v[8:9], v[6:7], v[4:5] op_sel_hi:[1,0]
                                        ; implicit-def: $vgpr3
                                        ; implicit-def: $vgpr1
.LBB178_321:
	s_andn2_saveexec_b64 s[2:3], s[2:3]
	s_cbranch_execz .LBB178_323
; %bb.322:
	v_div_scale_f32 v4, s[12:13], v3, v3, 0
	v_rcp_f32_e32 v5, v4
	v_div_scale_f32 v6, vcc, 0, v3, 0
	v_fma_f32 v7, -v4, v5, 1.0
	v_fmac_f32_e32 v5, v7, v5
	v_mul_f32_e32 v7, v6, v5
	v_fma_f32 v8, -v4, v7, v6
	v_fmac_f32_e32 v7, v8, v5
	v_fma_f32 v4, -v4, v7, v6
	v_div_scale_f32 v6, s[12:13], v1, v1, 1.0
	v_rcp_f32_e32 v8, v6
	v_div_fmas_f32 v4, v4, v5, v7
	v_div_fixup_f32 v9, v4, v3, 0
	v_fma_f32 v3, -v6, v8, 1.0
	v_fmac_f32_e32 v8, v3, v8
	v_div_scale_f32 v3, vcc, 1.0, v1, 1.0
	v_mul_f32_e32 v4, v3, v8
	v_fma_f32 v5, -v6, v4, v3
	v_fmac_f32_e32 v4, v5, v8
	v_fma_f32 v3, -v6, v4, v3
	v_div_fmas_f32 v3, v3, v8, v4
	v_div_fixup_f32 v8, v3, v1, 1.0
.LBB178_323:
	s_or_b64 exec, exec, s[2:3]
                                        ; implicit-def: $vgpr4
                                        ; implicit-def: $vgpr6
.LBB178_324:
	s_andn2_saveexec_b64 s[2:3], s[4:5]
	s_cbranch_execz .LBB178_326
; %bb.325:
	v_div_scale_f32 v1, s[4:5], v4, v4, v6
	v_rcp_f32_e32 v3, v1
	v_div_scale_f32 v5, vcc, v6, v4, v6
	v_fma_f32 v7, -v1, v3, 1.0
	v_fmac_f32_e32 v3, v7, v3
	v_mul_f32_e32 v7, v5, v3
	v_fma_f32 v8, -v1, v7, v5
	v_fmac_f32_e32 v7, v8, v3
	v_fma_f32 v1, -v1, v7, v5
	v_div_fmas_f32 v1, v1, v3, v7
	v_div_fixup_f32 v8, v1, v4, v6
	v_fmac_f32_e32 v4, v6, v8
	v_div_scale_f32 v1, s[4:5], v4, v4, 1.0
	v_rcp_f32_e32 v3, v1
	s_mov_b32 s4, 0
	s_mov_b32 s5, -1.0
	v_mul_f32_e32 v9, 0, v8
	v_fma_f32 v5, -v1, v3, 1.0
	v_fmac_f32_e32 v3, v5, v3
	v_div_scale_f32 v5, vcc, 1.0, v4, 1.0
	v_mul_f32_e32 v6, v5, v3
	v_fma_f32 v7, -v1, v6, v5
	v_fmac_f32_e32 v6, v7, v3
	v_fma_f32 v1, -v1, v6, v5
	v_div_fmas_f32 v1, v1, v3, v6
	v_div_fixup_f32 v4, v1, v4, 1.0
	v_pk_add_f32 v[6:7], v[8:9], s[4:5]
	s_nop 0
	v_pk_mul_f32 v[8:9], v[6:7], v[4:5] op_sel_hi:[1,0]
.LBB178_326:
	s_or_b64 exec, exec, s[2:3]
	v_cvt_f16_f32_e32 v1, v8
	v_cvt_f16_f32_sdwa v3, v9 dst_sel:WORD_1 dst_unused:UNUSED_PAD src0_sel:DWORD
	s_nop 0
	v_or_b32_e32 v4, v3, v1
	s_or_b64 exec, exec, s[10:11]
	s_and_saveexec_b64 s[2:3], s[0:1]
	s_xor_b64 s[0:1], exec, s[2:3]
	s_cbranch_execnz .LBB178_297
.LBB178_327:
	s_or_b64 exec, exec, s[0:1]
	v_cmp_gt_i32_e32 vcc, s24, v0
	s_and_saveexec_b64 s[0:1], vcc
	s_cbranch_execz .LBB178_298
.LBB178_328:
	v_add_u32_e32 v2, s6, v0
	v_mov_b32_e32 v3, 0
	v_lshl_add_u64 v[2:3], v[2:3], 2, s[8:9]
	v_add_u32_e32 v0, 0x100, v0
	global_store_dword v[2:3], v10, off
	s_or_b64 exec, exec, s[0:1]
	v_cmp_gt_i32_e32 vcc, s24, v0
	s_and_saveexec_b64 s[0:1], vcc
	s_cbranch_execnz .LBB178_299
.LBB178_329:
	s_or_b64 exec, exec, s[0:1]
	v_cmp_gt_i32_e32 vcc, s24, v0
	s_and_saveexec_b64 s[0:1], vcc
	s_cbranch_execz .LBB178_331
.LBB178_330:
	v_add_u32_e32 v0, s6, v0
	v_mov_b32_e32 v1, 0
	v_lshl_add_u64 v[0:1], v[0:1], 2, s[8:9]
	global_store_dword v[0:1], v4, off
.LBB178_331:
	s_endpgm
	.section	.rodata,"a",@progbits
	.p2align	6, 0x0
	.amdhsa_kernel _ZN2at6native29vectorized_elementwise_kernelILi16EZZZNS0_17rsqrt_kernel_cudaERNS_18TensorIteratorBaseEENKUlvE_clEvENKUlvE1_clEvEUlN3c107complexINS6_4HalfEEEE_St5arrayIPcLm2EEEEviT0_T1_
		.amdhsa_group_segment_fixed_size 0
		.amdhsa_private_segment_fixed_size 0
		.amdhsa_kernarg_size 24
		.amdhsa_user_sgpr_count 2
		.amdhsa_user_sgpr_dispatch_ptr 0
		.amdhsa_user_sgpr_queue_ptr 0
		.amdhsa_user_sgpr_kernarg_segment_ptr 1
		.amdhsa_user_sgpr_dispatch_id 0
		.amdhsa_user_sgpr_kernarg_preload_length 0
		.amdhsa_user_sgpr_kernarg_preload_offset 0
		.amdhsa_user_sgpr_private_segment_size 0
		.amdhsa_uses_dynamic_stack 0
		.amdhsa_enable_private_segment 0
		.amdhsa_system_sgpr_workgroup_id_x 1
		.amdhsa_system_sgpr_workgroup_id_y 0
		.amdhsa_system_sgpr_workgroup_id_z 0
		.amdhsa_system_sgpr_workgroup_info 0
		.amdhsa_system_vgpr_workitem_id 0
		.amdhsa_next_free_vgpr 16
		.amdhsa_next_free_sgpr 28
		.amdhsa_accum_offset 16
		.amdhsa_reserve_vcc 1
		.amdhsa_float_round_mode_32 0
		.amdhsa_float_round_mode_16_64 0
		.amdhsa_float_denorm_mode_32 3
		.amdhsa_float_denorm_mode_16_64 3
		.amdhsa_dx10_clamp 1
		.amdhsa_ieee_mode 1
		.amdhsa_fp16_overflow 0
		.amdhsa_tg_split 0
		.amdhsa_exception_fp_ieee_invalid_op 0
		.amdhsa_exception_fp_denorm_src 0
		.amdhsa_exception_fp_ieee_div_zero 0
		.amdhsa_exception_fp_ieee_overflow 0
		.amdhsa_exception_fp_ieee_underflow 0
		.amdhsa_exception_fp_ieee_inexact 0
		.amdhsa_exception_int_div_zero 0
	.end_amdhsa_kernel
	.section	.text._ZN2at6native29vectorized_elementwise_kernelILi16EZZZNS0_17rsqrt_kernel_cudaERNS_18TensorIteratorBaseEENKUlvE_clEvENKUlvE1_clEvEUlN3c107complexINS6_4HalfEEEE_St5arrayIPcLm2EEEEviT0_T1_,"axG",@progbits,_ZN2at6native29vectorized_elementwise_kernelILi16EZZZNS0_17rsqrt_kernel_cudaERNS_18TensorIteratorBaseEENKUlvE_clEvENKUlvE1_clEvEUlN3c107complexINS6_4HalfEEEE_St5arrayIPcLm2EEEEviT0_T1_,comdat
.Lfunc_end178:
	.size	_ZN2at6native29vectorized_elementwise_kernelILi16EZZZNS0_17rsqrt_kernel_cudaERNS_18TensorIteratorBaseEENKUlvE_clEvENKUlvE1_clEvEUlN3c107complexINS6_4HalfEEEE_St5arrayIPcLm2EEEEviT0_T1_, .Lfunc_end178-_ZN2at6native29vectorized_elementwise_kernelILi16EZZZNS0_17rsqrt_kernel_cudaERNS_18TensorIteratorBaseEENKUlvE_clEvENKUlvE1_clEvEUlN3c107complexINS6_4HalfEEEE_St5arrayIPcLm2EEEEviT0_T1_
                                        ; -- End function
	.set _ZN2at6native29vectorized_elementwise_kernelILi16EZZZNS0_17rsqrt_kernel_cudaERNS_18TensorIteratorBaseEENKUlvE_clEvENKUlvE1_clEvEUlN3c107complexINS6_4HalfEEEE_St5arrayIPcLm2EEEEviT0_T1_.num_vgpr, 16
	.set _ZN2at6native29vectorized_elementwise_kernelILi16EZZZNS0_17rsqrt_kernel_cudaERNS_18TensorIteratorBaseEENKUlvE_clEvENKUlvE1_clEvEUlN3c107complexINS6_4HalfEEEE_St5arrayIPcLm2EEEEviT0_T1_.num_agpr, 0
	.set _ZN2at6native29vectorized_elementwise_kernelILi16EZZZNS0_17rsqrt_kernel_cudaERNS_18TensorIteratorBaseEENKUlvE_clEvENKUlvE1_clEvEUlN3c107complexINS6_4HalfEEEE_St5arrayIPcLm2EEEEviT0_T1_.numbered_sgpr, 28
	.set _ZN2at6native29vectorized_elementwise_kernelILi16EZZZNS0_17rsqrt_kernel_cudaERNS_18TensorIteratorBaseEENKUlvE_clEvENKUlvE1_clEvEUlN3c107complexINS6_4HalfEEEE_St5arrayIPcLm2EEEEviT0_T1_.num_named_barrier, 0
	.set _ZN2at6native29vectorized_elementwise_kernelILi16EZZZNS0_17rsqrt_kernel_cudaERNS_18TensorIteratorBaseEENKUlvE_clEvENKUlvE1_clEvEUlN3c107complexINS6_4HalfEEEE_St5arrayIPcLm2EEEEviT0_T1_.private_seg_size, 0
	.set _ZN2at6native29vectorized_elementwise_kernelILi16EZZZNS0_17rsqrt_kernel_cudaERNS_18TensorIteratorBaseEENKUlvE_clEvENKUlvE1_clEvEUlN3c107complexINS6_4HalfEEEE_St5arrayIPcLm2EEEEviT0_T1_.uses_vcc, 1
	.set _ZN2at6native29vectorized_elementwise_kernelILi16EZZZNS0_17rsqrt_kernel_cudaERNS_18TensorIteratorBaseEENKUlvE_clEvENKUlvE1_clEvEUlN3c107complexINS6_4HalfEEEE_St5arrayIPcLm2EEEEviT0_T1_.uses_flat_scratch, 0
	.set _ZN2at6native29vectorized_elementwise_kernelILi16EZZZNS0_17rsqrt_kernel_cudaERNS_18TensorIteratorBaseEENKUlvE_clEvENKUlvE1_clEvEUlN3c107complexINS6_4HalfEEEE_St5arrayIPcLm2EEEEviT0_T1_.has_dyn_sized_stack, 0
	.set _ZN2at6native29vectorized_elementwise_kernelILi16EZZZNS0_17rsqrt_kernel_cudaERNS_18TensorIteratorBaseEENKUlvE_clEvENKUlvE1_clEvEUlN3c107complexINS6_4HalfEEEE_St5arrayIPcLm2EEEEviT0_T1_.has_recursion, 0
	.set _ZN2at6native29vectorized_elementwise_kernelILi16EZZZNS0_17rsqrt_kernel_cudaERNS_18TensorIteratorBaseEENKUlvE_clEvENKUlvE1_clEvEUlN3c107complexINS6_4HalfEEEE_St5arrayIPcLm2EEEEviT0_T1_.has_indirect_call, 0
	.section	.AMDGPU.csdata,"",@progbits
; Kernel info:
; codeLenInByte = 14224
; TotalNumSgprs: 34
; NumVgprs: 16
; NumAgprs: 0
; TotalNumVgprs: 16
; ScratchSize: 0
; MemoryBound: 0
; FloatMode: 240
; IeeeMode: 1
; LDSByteSize: 0 bytes/workgroup (compile time only)
; SGPRBlocks: 4
; VGPRBlocks: 1
; NumSGPRsForWavesPerEU: 34
; NumVGPRsForWavesPerEU: 16
; AccumOffset: 16
; Occupancy: 8
; WaveLimiterHint : 0
; COMPUTE_PGM_RSRC2:SCRATCH_EN: 0
; COMPUTE_PGM_RSRC2:USER_SGPR: 2
; COMPUTE_PGM_RSRC2:TRAP_HANDLER: 0
; COMPUTE_PGM_RSRC2:TGID_X_EN: 1
; COMPUTE_PGM_RSRC2:TGID_Y_EN: 0
; COMPUTE_PGM_RSRC2:TGID_Z_EN: 0
; COMPUTE_PGM_RSRC2:TIDIG_COMP_CNT: 0
; COMPUTE_PGM_RSRC3_GFX90A:ACCUM_OFFSET: 3
; COMPUTE_PGM_RSRC3_GFX90A:TG_SPLIT: 0
	.section	.text._ZN2at6native29vectorized_elementwise_kernelILi8EZZZNS0_17rsqrt_kernel_cudaERNS_18TensorIteratorBaseEENKUlvE_clEvENKUlvE1_clEvEUlN3c107complexINS6_4HalfEEEE_St5arrayIPcLm2EEEEviT0_T1_,"axG",@progbits,_ZN2at6native29vectorized_elementwise_kernelILi8EZZZNS0_17rsqrt_kernel_cudaERNS_18TensorIteratorBaseEENKUlvE_clEvENKUlvE1_clEvEUlN3c107complexINS6_4HalfEEEE_St5arrayIPcLm2EEEEviT0_T1_,comdat
	.globl	_ZN2at6native29vectorized_elementwise_kernelILi8EZZZNS0_17rsqrt_kernel_cudaERNS_18TensorIteratorBaseEENKUlvE_clEvENKUlvE1_clEvEUlN3c107complexINS6_4HalfEEEE_St5arrayIPcLm2EEEEviT0_T1_ ; -- Begin function _ZN2at6native29vectorized_elementwise_kernelILi8EZZZNS0_17rsqrt_kernel_cudaERNS_18TensorIteratorBaseEENKUlvE_clEvENKUlvE1_clEvEUlN3c107complexINS6_4HalfEEEE_St5arrayIPcLm2EEEEviT0_T1_
	.p2align	8
	.type	_ZN2at6native29vectorized_elementwise_kernelILi8EZZZNS0_17rsqrt_kernel_cudaERNS_18TensorIteratorBaseEENKUlvE_clEvENKUlvE1_clEvEUlN3c107complexINS6_4HalfEEEE_St5arrayIPcLm2EEEEviT0_T1_,@function
_ZN2at6native29vectorized_elementwise_kernelILi8EZZZNS0_17rsqrt_kernel_cudaERNS_18TensorIteratorBaseEENKUlvE_clEvENKUlvE1_clEvEUlN3c107complexINS6_4HalfEEEE_St5arrayIPcLm2EEEEviT0_T1_: ; @_ZN2at6native29vectorized_elementwise_kernelILi8EZZZNS0_17rsqrt_kernel_cudaERNS_18TensorIteratorBaseEENKUlvE_clEvENKUlvE1_clEvEUlN3c107complexINS6_4HalfEEEE_St5arrayIPcLm2EEEEviT0_T1_
; %bb.0:
	s_load_dword s3, s[0:1], 0x0
	s_load_dwordx4 s[8:11], s[0:1], 0x8
	s_lshl_b32 s6, s2, 10
	s_mov_b64 s[0:1], -1
	s_waitcnt lgkmcnt(0)
	s_sub_i32 s24, s3, s6
	s_cmpk_gt_i32 s24, 0x3ff
	s_cbranch_scc0 .LBB179_154
; %bb.1:
	s_ashr_i32 s7, s6, 31
	s_lshl_b64 s[4:5], s[6:7], 2
	s_add_u32 s0, s10, s4
	s_addc_u32 s1, s11, s5
	v_lshlrev_b32_e32 v1, 4, v0
	global_load_dwordx4 v[2:5], v1, s[0:1]
	v_mov_b32_e32 v6, 0
	v_mov_b32_e32 v11, 0
	s_waitcnt vmcnt(0)
	v_cvt_f32_f16_sdwa v8, v2 dst_sel:DWORD dst_unused:UNUSED_PAD src0_sel:WORD_1
	v_cmp_neq_f16_e32 vcc, 0, v2
	v_cmp_neq_f16_sdwa s[0:1], v2, v6 src0_sel:WORD_1 src1_sel:DWORD
	s_or_b64 s[0:1], vcc, s[0:1]
	s_and_saveexec_b64 s[12:13], s[0:1]
	s_cbranch_execz .LBB179_31
; %bb.2:
	v_cvt_f32_f16_e32 v9, v2
	v_mov_b32_e32 v11, 0x7f800000
	v_cmp_neq_f32_e64 s[0:1], |v8|, v11
	s_and_saveexec_b64 s[14:15], s[0:1]
	s_cbranch_execz .LBB179_30
; %bb.3:
	v_cmp_o_f16_e32 vcc, v2, v2
                                        ; implicit-def: $vgpr11
	s_and_saveexec_b64 s[0:1], vcc
	s_xor_b64 s[16:17], exec, s[0:1]
	s_cbranch_execz .LBB179_27
; %bb.4:
	s_mov_b32 s0, 0x7f800000
	v_cmp_neq_f32_e64 s[0:1], |v9|, s0
                                        ; implicit-def: $vgpr11
	s_and_saveexec_b64 s[2:3], s[0:1]
	s_xor_b64 s[18:19], exec, s[2:3]
	s_cbranch_execz .LBB179_20
; %bb.5:
	v_max_f32_e64 v6, |v8|, |v8|
	v_max_f32_e64 v7, |v9|, |v9|
	v_max_f32_e32 v6, v7, v6
	s_mov_b32 s0, 0x7ed413cb
	v_cmp_nle_f32_e64 s[0:1], s0, v6
                                        ; implicit-def: $sgpr20_sgpr21
	s_and_saveexec_b64 s[2:3], s[0:1]
	s_xor_b64 s[2:3], exec, s[2:3]
	s_cbranch_execz .LBB179_9
; %bb.6:
	s_mov_b32 s7, 0x1000000
	v_cmp_le_f32_e64 s[20:21], |v9|, s7
	v_cmp_le_f32_e64 s[22:23], |v8|, s7
	s_and_b64 s[26:27], s[20:21], s[22:23]
	s_mov_b64 s[20:21], 0
	s_and_saveexec_b64 s[22:23], s[26:27]
; %bb.7:
	s_mov_b64 s[20:21], exec
	v_pk_mul_f32 v[8:9], v[8:9], 4.0 op_sel_hi:[1,0]
; %bb.8:
	s_or_b64 exec, exec, s[22:23]
.LBB179_9:
	s_andn2_saveexec_b64 s[2:3], s[2:3]
; %bb.10:
	s_mov_b32 s22, 0x3e800000
	v_pk_mul_f32 v[8:9], v[8:9], s[22:23] op_sel_hi:[1,0]
	s_andn2_b64 s[20:21], s[20:21], exec
; %bb.11:
	s_or_b64 exec, exec, s[2:3]
	v_max_f32_e64 v6, |v8|, |v8|
	v_max_f32_e64 v7, |v9|, |v9|
	v_max_f32_e32 v10, v7, v6
	v_cvt_f64_f32_e32 v[6:7], v10
	v_frexp_exp_i32_f64_e32 v6, v[6:7]
	v_sub_u32_e32 v7, 0, v6
	v_ldexp_f32 v11, |v9|, v7
	v_ldexp_f32 v7, |v8|, v7
	v_mul_f32_e32 v7, v7, v7
	v_fmac_f32_e32 v7, v11, v11
	v_sqrt_f32_e32 v7, v7
	s_mov_b32 s2, 0x7f800000
	v_cmp_neq_f32_e64 s[2:3], s2, v10
	v_cmp_le_f32_e32 vcc, 0, v9
	v_ldexp_f32 v6, v7, v6
	v_mov_b32_e32 v7, 0x7f800000
	v_cndmask_b32_e64 v10, v7, v6, s[2:3]
                                        ; implicit-def: $vgpr6_vgpr7
	s_and_saveexec_b64 s[2:3], vcc
	s_xor_b64 s[22:23], exec, s[2:3]
	s_cbranch_execz .LBB179_13
; %bb.12:
	v_add_f32_e32 v6, v9, v10
	v_mul_f32_e32 v6, 0.5, v6
	s_mov_b32 s2, 0xf800000
	v_mul_f32_e32 v7, 0x4f800000, v6
	v_cmp_gt_f32_e32 vcc, s2, v6
	s_nop 1
	v_cndmask_b32_e32 v6, v6, v7, vcc
	v_sqrt_f32_e32 v7, v6
	s_nop 0
	v_add_u32_e32 v9, -1, v7
	v_fma_f32 v10, -v9, v7, v6
	v_cmp_ge_f32_e64 s[2:3], 0, v10
	v_add_u32_e32 v10, 1, v7
	s_nop 0
	v_cndmask_b32_e64 v9, v7, v9, s[2:3]
	v_fma_f32 v7, -v10, v7, v6
	v_cmp_lt_f32_e64 s[2:3], 0, v7
	s_nop 1
	v_cndmask_b32_e64 v7, v9, v10, s[2:3]
	v_mul_f32_e32 v9, 0x37800000, v7
	v_cndmask_b32_e32 v7, v7, v9, vcc
	v_mov_b32_e32 v9, 0x260
	v_cmp_class_f32_e32 vcc, v6, v9
	s_nop 1
	v_cndmask_b32_e32 v7, v7, v6, vcc
	v_add_f32_e32 v6, v7, v7
	v_div_scale_f32 v9, s[2:3], v6, v6, v8
	v_rcp_f32_e32 v10, v9
	s_nop 0
	v_fma_f32 v11, -v9, v10, 1.0
	v_fmac_f32_e32 v10, v11, v10
	v_div_scale_f32 v11, vcc, v8, v6, v8
	v_mul_f32_e32 v12, v11, v10
	v_fma_f32 v13, -v9, v12, v11
	v_fmac_f32_e32 v12, v13, v10
	v_fma_f32 v9, -v9, v12, v11
	v_div_fmas_f32 v9, v9, v10, v12
	v_div_fixup_f32 v6, v9, v6, v8
                                        ; implicit-def: $vgpr10
                                        ; implicit-def: $vgpr8_vgpr9
	s_andn2_saveexec_b64 s[22:23], s[22:23]
	s_cbranch_execz .LBB179_15
	s_branch .LBB179_14
.LBB179_13:
	s_andn2_saveexec_b64 s[22:23], s[22:23]
	s_cbranch_execz .LBB179_15
.LBB179_14:
	v_sub_f32_e32 v6, v10, v9
	v_mul_f32_e32 v6, 0.5, v6
	s_mov_b32 s2, 0xf800000
	v_mul_f32_e32 v7, 0x4f800000, v6
	v_cmp_gt_f32_e32 vcc, s2, v6
	s_nop 1
	v_cndmask_b32_e32 v6, v6, v7, vcc
	v_sqrt_f32_e32 v7, v6
	s_nop 0
	v_add_u32_e32 v9, -1, v7
	v_fma_f32 v10, -v9, v7, v6
	v_cmp_ge_f32_e64 s[2:3], 0, v10
	v_add_u32_e32 v10, 1, v7
	s_nop 0
	v_cndmask_b32_e64 v9, v7, v9, s[2:3]
	v_fma_f32 v7, -v10, v7, v6
	v_cmp_lt_f32_e64 s[2:3], 0, v7
	s_nop 1
	v_cndmask_b32_e64 v7, v9, v10, s[2:3]
	v_mul_f32_e32 v9, 0x37800000, v7
	v_cndmask_b32_e32 v7, v7, v9, vcc
	v_mov_b32_e32 v9, 0x260
	v_cmp_class_f32_e32 vcc, v6, v9
	v_and_b32_e32 v9, 0x7fffffff, v8
	s_nop 0
	v_cndmask_b32_e32 v6, v7, v6, vcc
	v_add_f32_e32 v7, v6, v6
	v_div_scale_f32 v10, s[2:3], v7, v7, v9
	v_rcp_f32_e32 v11, v10
	v_div_scale_f32 v9, vcc, v9, v7, v9
	s_brev_b32 s2, -2
	v_fma_f32 v12, -v10, v11, 1.0
	v_fmac_f32_e32 v11, v12, v11
	v_mul_f32_e32 v12, v9, v11
	v_fma_f32 v13, -v10, v12, v9
	v_fmac_f32_e32 v12, v13, v11
	v_fma_f32 v9, -v10, v12, v9
	v_div_fmas_f32 v9, v9, v11, v12
	v_div_fixup_f32 v7, v9, v7, |v8|
	v_bfi_b32 v6, s2, v6, v8
.LBB179_15:
	s_or_b64 exec, exec, s[22:23]
                                        ; implicit-def: $vgpr11
                                        ; implicit-def: $vgpr8
	s_and_saveexec_b64 s[2:3], s[0:1]
	s_xor_b64 s[0:1], exec, s[2:3]
	s_cbranch_execz .LBB179_17
; %bb.16:
	v_pk_mul_f32 v[8:9], v[6:7], 0.5 op_sel_hi:[1,0]
	s_nop 0
	v_cndmask_b32_e64 v8, v6, v8, s[20:21]
	v_cndmask_b32_e64 v11, v7, v9, s[20:21]
                                        ; implicit-def: $vgpr6_vgpr7
	s_andn2_saveexec_b64 s[0:1], s[0:1]
	s_cbranch_execnz .LBB179_18
	s_branch .LBB179_19
.LBB179_17:
	s_andn2_saveexec_b64 s[0:1], s[0:1]
.LBB179_18:
	v_pk_add_f32 v[10:11], v[6:7], v[6:7]
	s_nop 0
	v_mov_b32_e32 v8, v10
.LBB179_19:
	s_or_b64 exec, exec, s[0:1]
.LBB179_20:
	s_andn2_saveexec_b64 s[0:1], s[18:19]
	s_cbranch_execz .LBB179_26
; %bb.21:
	v_and_b32_e32 v2, 0x8000, v2
	v_cmp_ne_u32_e32 vcc, 0, v2
	v_sub_f32_e32 v2, v8, v8
                                        ; implicit-def: $vgpr11
	s_and_saveexec_b64 s[2:3], vcc
	s_xor_b64 s[2:3], exec, s[2:3]
; %bb.22:
	s_brev_b32 s7, -2
	v_and_b32_e32 v11, 0x7fffffff, v2
	v_bfi_b32 v8, s7, v9, v8
                                        ; implicit-def: $vgpr2
; %bb.23:
	s_andn2_saveexec_b64 s[2:3], s[2:3]
; %bb.24:
	s_brev_b32 s7, -2
	v_bfi_b32 v8, s7, v2, v8
	v_mov_b32_e32 v11, v9
; %bb.25:
	s_or_b64 exec, exec, s[2:3]
.LBB179_26:
	s_or_b64 exec, exec, s[0:1]
.LBB179_27:
	s_andn2_saveexec_b64 s[0:1], s[16:17]
	s_cbranch_execz .LBB179_29
; %bb.28:
	v_sub_f32_e32 v2, v8, v8
	v_div_scale_f32 v6, vcc, v2, v2, v2
	v_rcp_f32_e32 v7, v6
	v_mov_b32_e32 v11, v9
	v_fma_f32 v8, -v6, v7, 1.0
	v_fmac_f32_e32 v7, v8, v7
	v_mul_f32_e32 v8, v6, v7
	v_fma_f32 v10, -v6, v8, v6
	v_fmac_f32_e32 v8, v10, v7
	v_fma_f32 v6, -v6, v8, v6
	v_div_fmas_f32 v6, v6, v7, v8
	v_div_fixup_f32 v8, v6, v2, v2
.LBB179_29:
	s_or_b64 exec, exec, s[0:1]
.LBB179_30:
	s_or_b64 exec, exec, s[14:15]
.LBB179_31:
	s_or_b64 exec, exec, s[12:13]
	v_cmp_gt_f32_e32 vcc, 0, v11
                                        ; implicit-def: $vgpr6_vgpr7
	s_nop 1
	v_cndmask_b32_e64 v9, v11, -v11, vcc
	v_cmp_gt_f32_e32 vcc, 0, v8
	s_nop 1
	v_cndmask_b32_e64 v2, v8, -v8, vcc
	v_cmp_ge_f32_e32 vcc, v9, v2
	s_and_saveexec_b64 s[0:1], vcc
	s_xor_b64 s[2:3], exec, s[0:1]
	s_cbranch_execz .LBB179_37
; %bb.32:
	v_cmp_neq_f32_e32 vcc, 0, v11
	v_cmp_neq_f32_e64 s[0:1], 0, v8
	s_or_b64 s[0:1], vcc, s[0:1]
                                        ; implicit-def: $vgpr6_vgpr7
	s_and_saveexec_b64 s[12:13], s[0:1]
	s_xor_b64 s[0:1], exec, s[12:13]
	s_cbranch_execz .LBB179_34
; %bb.33:
	v_div_scale_f32 v2, s[12:13], v11, v11, v8
	v_rcp_f32_e32 v6, v2
	v_div_scale_f32 v7, vcc, v8, v11, v8
	v_fma_f32 v9, -v2, v6, 1.0
	v_fmac_f32_e32 v6, v9, v6
	v_mul_f32_e32 v9, v7, v6
	v_fma_f32 v10, -v2, v9, v7
	v_fmac_f32_e32 v9, v10, v6
	v_fma_f32 v2, -v2, v9, v7
	v_div_fmas_f32 v2, v2, v6, v9
	v_div_fixup_f32 v6, v2, v11, v8
	v_fmac_f32_e32 v11, v8, v6
	v_div_scale_f32 v2, s[12:13], v11, v11, 1.0
	v_rcp_f32_e32 v7, v2
	s_nop 0
	v_fma_f32 v8, -v2, v7, 1.0
	v_fmac_f32_e32 v7, v8, v7
	v_div_scale_f32 v8, vcc, 1.0, v11, 1.0
	v_mul_f32_e32 v9, v8, v7
	v_fma_f32 v10, -v2, v9, v8
	v_fmac_f32_e32 v9, v10, v7
	v_fma_f32 v2, -v2, v9, v8
	v_div_fmas_f32 v2, v2, v7, v9
	v_mul_f32_e32 v7, 0, v6
	v_div_fixup_f32 v2, v2, v11, 1.0
	v_add_f32_e32 v7, 1.0, v7
	v_sub_f32_e32 v6, 0, v6
	v_pk_mul_f32 v[6:7], v[6:7], v[2:3] op_sel_hi:[1,0]
                                        ; implicit-def: $vgpr9
                                        ; implicit-def: $vgpr2
.LBB179_34:
	s_andn2_saveexec_b64 s[0:1], s[0:1]
	s_cbranch_execz .LBB179_36
; %bb.35:
	v_div_scale_f32 v6, s[12:13], v9, v9, 1.0
	v_rcp_f32_e32 v7, v6
	v_div_scale_f32 v8, vcc, 1.0, v9, 1.0
	v_fma_f32 v10, -v6, v7, 1.0
	v_fmac_f32_e32 v7, v10, v7
	v_mul_f32_e32 v10, v8, v7
	v_fma_f32 v11, -v6, v10, v8
	v_fmac_f32_e32 v10, v11, v7
	v_fma_f32 v6, -v6, v10, v8
	v_div_scale_f32 v8, s[12:13], v2, v2, 0
	v_rcp_f32_e32 v11, v8
	v_div_fmas_f32 v6, v6, v7, v10
	v_div_fixup_f32 v7, v6, v9, 1.0
	v_fma_f32 v6, -v8, v11, 1.0
	v_fmac_f32_e32 v11, v6, v11
	v_div_scale_f32 v6, vcc, 0, v2, 0
	v_mul_f32_e32 v9, v6, v11
	v_fma_f32 v10, -v8, v9, v6
	v_fmac_f32_e32 v9, v10, v11
	v_fma_f32 v6, -v8, v9, v6
	v_div_fmas_f32 v6, v6, v11, v9
	v_div_fixup_f32 v6, v6, v2, 0
.LBB179_36:
	s_or_b64 exec, exec, s[0:1]
                                        ; implicit-def: $vgpr8
                                        ; implicit-def: $vgpr11
.LBB179_37:
	s_andn2_saveexec_b64 s[0:1], s[2:3]
	s_cbranch_execz .LBB179_39
; %bb.38:
	v_div_scale_f32 v2, s[2:3], v8, v8, v11
	v_rcp_f32_e32 v6, v2
	v_div_scale_f32 v7, vcc, v11, v8, v11
	v_fma_f32 v9, -v2, v6, 1.0
	v_fmac_f32_e32 v6, v9, v6
	v_mul_f32_e32 v9, v7, v6
	v_fma_f32 v10, -v2, v9, v7
	v_fmac_f32_e32 v9, v10, v6
	v_fma_f32 v2, -v2, v9, v7
	v_div_fmas_f32 v2, v2, v6, v9
	v_div_fixup_f32 v7, v2, v8, v11
	v_fmac_f32_e32 v8, v11, v7
	v_div_scale_f32 v2, s[2:3], v8, v8, 1.0
	v_rcp_f32_e32 v6, v2
	s_mov_b64 s[2:3], 0xbf800000
	v_fma_f32 v9, -v2, v6, 1.0
	v_fmac_f32_e32 v6, v9, v6
	v_div_scale_f32 v9, vcc, 1.0, v8, 1.0
	v_mul_f32_e32 v10, v9, v6
	v_fma_f32 v11, -v2, v10, v9
	v_fmac_f32_e32 v10, v11, v6
	v_fma_f32 v2, -v2, v10, v9
	v_div_fmas_f32 v2, v2, v6, v10
	v_mul_f32_e32 v6, 0, v7
	v_div_fixup_f32 v2, v2, v8, 1.0
	v_pk_add_f32 v[6:7], v[6:7], s[2:3]
	s_nop 0
	v_pk_mul_f32 v[6:7], v[6:7], v[2:3] op_sel_hi:[1,0]
.LBB179_39:
	s_or_b64 exec, exec, s[0:1]
	v_cvt_f32_f16_sdwa v10, v3 dst_sel:DWORD dst_unused:UNUSED_PAD src0_sel:WORD_1
	v_mov_b32_e32 v13, 0
	v_cmp_neq_f16_e32 vcc, 0, v3
	v_cmp_neq_f16_sdwa s[0:1], v3, v13 src0_sel:WORD_1 src1_sel:DWORD
	s_or_b64 s[0:1], vcc, s[0:1]
	s_and_saveexec_b64 s[12:13], s[0:1]
	s_cbranch_execz .LBB179_69
; %bb.40:
	v_cvt_f32_f16_e32 v11, v3
	v_mov_b32_e32 v13, 0x7f800000
	v_cmp_neq_f32_e64 s[0:1], |v10|, v13
	s_and_saveexec_b64 s[14:15], s[0:1]
	s_cbranch_execz .LBB179_68
; %bb.41:
	v_cmp_o_f16_e32 vcc, v3, v3
                                        ; implicit-def: $vgpr13
	s_and_saveexec_b64 s[0:1], vcc
	s_xor_b64 s[16:17], exec, s[0:1]
	s_cbranch_execz .LBB179_65
; %bb.42:
	s_mov_b32 s0, 0x7f800000
	v_cmp_neq_f32_e64 s[0:1], |v11|, s0
                                        ; implicit-def: $vgpr13
	s_and_saveexec_b64 s[2:3], s[0:1]
	s_xor_b64 s[18:19], exec, s[2:3]
	s_cbranch_execz .LBB179_58
; %bb.43:
	v_max_f32_e64 v2, |v10|, |v10|
	v_max_f32_e64 v8, |v11|, |v11|
	v_max_f32_e32 v2, v8, v2
	s_mov_b32 s0, 0x7ed413cb
	v_cmp_nle_f32_e64 s[0:1], s0, v2
                                        ; implicit-def: $sgpr20_sgpr21
	s_and_saveexec_b64 s[2:3], s[0:1]
	s_xor_b64 s[2:3], exec, s[2:3]
	s_cbranch_execz .LBB179_47
; %bb.44:
	s_mov_b32 s7, 0x1000000
	v_cmp_le_f32_e64 s[20:21], |v11|, s7
	v_cmp_le_f32_e64 s[22:23], |v10|, s7
	s_and_b64 s[26:27], s[20:21], s[22:23]
	s_mov_b64 s[20:21], 0
	s_and_saveexec_b64 s[22:23], s[26:27]
; %bb.45:
	s_mov_b64 s[20:21], exec
	v_pk_mul_f32 v[10:11], v[10:11], 4.0 op_sel_hi:[1,0]
; %bb.46:
	s_or_b64 exec, exec, s[22:23]
.LBB179_47:
	s_andn2_saveexec_b64 s[2:3], s[2:3]
; %bb.48:
	s_mov_b32 s22, 0x3e800000
	v_pk_mul_f32 v[10:11], v[10:11], s[22:23] op_sel_hi:[1,0]
	s_andn2_b64 s[20:21], s[20:21], exec
; %bb.49:
	s_or_b64 exec, exec, s[2:3]
	v_max_f32_e64 v2, |v10|, |v10|
	v_max_f32_e64 v8, |v11|, |v11|
	v_max_f32_e32 v2, v8, v2
	v_cvt_f64_f32_e32 v[8:9], v2
	v_frexp_exp_i32_f64_e32 v8, v[8:9]
	v_sub_u32_e32 v9, 0, v8
	v_ldexp_f32 v12, |v11|, v9
	v_ldexp_f32 v9, |v10|, v9
	v_mul_f32_e32 v9, v9, v9
	v_fmac_f32_e32 v9, v12, v12
	v_sqrt_f32_e32 v9, v9
	s_mov_b32 s2, 0x7f800000
	v_cmp_neq_f32_e64 s[2:3], s2, v2
	v_cmp_le_f32_e32 vcc, 0, v11
	v_ldexp_f32 v8, v9, v8
	v_mov_b32_e32 v9, 0x7f800000
	v_cndmask_b32_e64 v2, v9, v8, s[2:3]
                                        ; implicit-def: $vgpr8_vgpr9
	s_and_saveexec_b64 s[2:3], vcc
	s_xor_b64 s[22:23], exec, s[2:3]
	s_cbranch_execz .LBB179_51
; %bb.50:
	v_add_f32_e32 v2, v11, v2
	v_mul_f32_e32 v2, 0.5, v2
	s_mov_b32 s2, 0xf800000
	v_mul_f32_e32 v8, 0x4f800000, v2
	v_cmp_gt_f32_e32 vcc, s2, v2
	s_nop 1
	v_cndmask_b32_e32 v2, v2, v8, vcc
	v_sqrt_f32_e32 v8, v2
	s_nop 0
	v_add_u32_e32 v9, -1, v8
	v_fma_f32 v11, -v9, v8, v2
	v_cmp_ge_f32_e64 s[2:3], 0, v11
	v_add_u32_e32 v11, 1, v8
	s_nop 0
	v_cndmask_b32_e64 v9, v8, v9, s[2:3]
	v_fma_f32 v8, -v11, v8, v2
	v_cmp_lt_f32_e64 s[2:3], 0, v8
	s_nop 1
	v_cndmask_b32_e64 v8, v9, v11, s[2:3]
	v_mul_f32_e32 v9, 0x37800000, v8
	v_cndmask_b32_e32 v8, v8, v9, vcc
	v_mov_b32_e32 v9, 0x260
	v_cmp_class_f32_e32 vcc, v2, v9
	s_nop 1
	v_cndmask_b32_e32 v9, v8, v2, vcc
	v_add_f32_e32 v2, v9, v9
	v_div_scale_f32 v8, s[2:3], v2, v2, v10
	v_rcp_f32_e32 v11, v8
	s_nop 0
	v_fma_f32 v12, -v8, v11, 1.0
	v_fmac_f32_e32 v11, v12, v11
	v_div_scale_f32 v12, vcc, v10, v2, v10
	v_mul_f32_e32 v13, v12, v11
	v_fma_f32 v14, -v8, v13, v12
	v_fmac_f32_e32 v13, v14, v11
	v_fma_f32 v8, -v8, v13, v12
	v_div_fmas_f32 v8, v8, v11, v13
	v_div_fixup_f32 v8, v8, v2, v10
                                        ; implicit-def: $vgpr2
                                        ; implicit-def: $vgpr10_vgpr11
	s_andn2_saveexec_b64 s[22:23], s[22:23]
	s_cbranch_execz .LBB179_53
	s_branch .LBB179_52
.LBB179_51:
	s_andn2_saveexec_b64 s[22:23], s[22:23]
	s_cbranch_execz .LBB179_53
.LBB179_52:
	v_sub_f32_e32 v2, v2, v11
	v_mul_f32_e32 v2, 0.5, v2
	s_mov_b32 s2, 0xf800000
	v_mul_f32_e32 v8, 0x4f800000, v2
	v_cmp_gt_f32_e32 vcc, s2, v2
	s_nop 1
	v_cndmask_b32_e32 v2, v2, v8, vcc
	v_sqrt_f32_e32 v8, v2
	s_nop 0
	v_add_u32_e32 v9, -1, v8
	v_fma_f32 v11, -v9, v8, v2
	v_cmp_ge_f32_e64 s[2:3], 0, v11
	v_add_u32_e32 v11, 1, v8
	s_nop 0
	v_cndmask_b32_e64 v9, v8, v9, s[2:3]
	v_fma_f32 v8, -v11, v8, v2
	v_cmp_lt_f32_e64 s[2:3], 0, v8
	s_nop 1
	v_cndmask_b32_e64 v8, v9, v11, s[2:3]
	v_mul_f32_e32 v9, 0x37800000, v8
	v_cndmask_b32_e32 v8, v8, v9, vcc
	v_mov_b32_e32 v9, 0x260
	v_cmp_class_f32_e32 vcc, v2, v9
	v_and_b32_e32 v9, 0x7fffffff, v10
	s_nop 0
	v_cndmask_b32_e32 v2, v8, v2, vcc
	v_add_f32_e32 v8, v2, v2
	v_div_scale_f32 v11, s[2:3], v8, v8, v9
	v_rcp_f32_e32 v12, v11
	v_div_scale_f32 v9, vcc, v9, v8, v9
	s_brev_b32 s2, -2
	v_fma_f32 v13, -v11, v12, 1.0
	v_fmac_f32_e32 v12, v13, v12
	v_mul_f32_e32 v13, v9, v12
	v_fma_f32 v14, -v11, v13, v9
	v_fmac_f32_e32 v13, v14, v12
	v_fma_f32 v9, -v11, v13, v9
	v_div_fmas_f32 v9, v9, v12, v13
	v_div_fixup_f32 v9, v9, v8, |v10|
	v_bfi_b32 v8, s2, v2, v10
.LBB179_53:
	s_or_b64 exec, exec, s[22:23]
                                        ; implicit-def: $vgpr13
                                        ; implicit-def: $vgpr10
	s_and_saveexec_b64 s[2:3], s[0:1]
	s_xor_b64 s[0:1], exec, s[2:3]
	s_cbranch_execz .LBB179_55
; %bb.54:
	v_pk_mul_f32 v[10:11], v[8:9], 0.5 op_sel_hi:[1,0]
	s_nop 0
	v_cndmask_b32_e64 v10, v8, v10, s[20:21]
	v_cndmask_b32_e64 v13, v9, v11, s[20:21]
                                        ; implicit-def: $vgpr8_vgpr9
	s_andn2_saveexec_b64 s[0:1], s[0:1]
	s_cbranch_execnz .LBB179_56
	s_branch .LBB179_57
.LBB179_55:
	s_andn2_saveexec_b64 s[0:1], s[0:1]
.LBB179_56:
	v_pk_add_f32 v[12:13], v[8:9], v[8:9]
	s_nop 0
	v_mov_b32_e32 v10, v12
.LBB179_57:
	s_or_b64 exec, exec, s[0:1]
.LBB179_58:
	s_andn2_saveexec_b64 s[0:1], s[18:19]
	s_cbranch_execz .LBB179_64
; %bb.59:
	v_and_b32_e32 v2, 0x8000, v3
	v_cmp_ne_u32_e32 vcc, 0, v2
	v_sub_f32_e32 v2, v10, v10
                                        ; implicit-def: $vgpr13
	s_and_saveexec_b64 s[2:3], vcc
	s_xor_b64 s[2:3], exec, s[2:3]
; %bb.60:
	s_brev_b32 s7, -2
	v_and_b32_e32 v13, 0x7fffffff, v2
	v_bfi_b32 v10, s7, v11, v10
                                        ; implicit-def: $vgpr2
; %bb.61:
	s_andn2_saveexec_b64 s[2:3], s[2:3]
; %bb.62:
	s_brev_b32 s7, -2
	v_bfi_b32 v10, s7, v2, v10
	v_mov_b32_e32 v13, v11
; %bb.63:
	s_or_b64 exec, exec, s[2:3]
.LBB179_64:
	s_or_b64 exec, exec, s[0:1]
.LBB179_65:
	s_andn2_saveexec_b64 s[0:1], s[16:17]
	s_cbranch_execz .LBB179_67
; %bb.66:
	v_sub_f32_e32 v2, v10, v10
	v_div_scale_f32 v3, vcc, v2, v2, v2
	v_rcp_f32_e32 v8, v3
	v_mov_b32_e32 v13, v11
	v_fma_f32 v9, -v3, v8, 1.0
	v_fmac_f32_e32 v8, v9, v8
	v_mul_f32_e32 v9, v3, v8
	v_fma_f32 v10, -v3, v9, v3
	v_fmac_f32_e32 v9, v10, v8
	v_fma_f32 v3, -v3, v9, v3
	v_div_fmas_f32 v3, v3, v8, v9
	v_div_fixup_f32 v10, v3, v2, v2
.LBB179_67:
	s_or_b64 exec, exec, s[0:1]
.LBB179_68:
	s_or_b64 exec, exec, s[14:15]
.LBB179_69:
	s_or_b64 exec, exec, s[12:13]
	v_cmp_gt_f32_e32 vcc, 0, v13
                                        ; implicit-def: $vgpr8_vgpr9
	s_nop 1
	v_cndmask_b32_e64 v3, v13, -v13, vcc
	v_cmp_gt_f32_e32 vcc, 0, v10
	s_nop 1
	v_cndmask_b32_e64 v2, v10, -v10, vcc
	v_cmp_ge_f32_e32 vcc, v3, v2
	s_and_saveexec_b64 s[0:1], vcc
	s_xor_b64 s[2:3], exec, s[0:1]
	s_cbranch_execz .LBB179_75
; %bb.70:
	v_cmp_neq_f32_e32 vcc, 0, v13
	v_cmp_neq_f32_e64 s[0:1], 0, v10
	s_or_b64 s[0:1], vcc, s[0:1]
                                        ; implicit-def: $vgpr8_vgpr9
	s_and_saveexec_b64 s[12:13], s[0:1]
	s_xor_b64 s[0:1], exec, s[12:13]
	s_cbranch_execz .LBB179_72
; %bb.71:
	v_div_scale_f32 v2, s[12:13], v13, v13, v10
	v_rcp_f32_e32 v3, v2
	v_div_scale_f32 v8, vcc, v10, v13, v10
	v_fma_f32 v9, -v2, v3, 1.0
	v_fmac_f32_e32 v3, v9, v3
	v_mul_f32_e32 v9, v8, v3
	v_fma_f32 v11, -v2, v9, v8
	v_fmac_f32_e32 v9, v11, v3
	v_fma_f32 v2, -v2, v9, v8
	v_div_fmas_f32 v2, v2, v3, v9
	v_div_fixup_f32 v3, v2, v13, v10
	v_fmac_f32_e32 v13, v10, v3
	v_div_scale_f32 v2, s[12:13], v13, v13, 1.0
	v_rcp_f32_e32 v8, v2
	s_nop 0
	v_fma_f32 v9, -v2, v8, 1.0
	v_fmac_f32_e32 v8, v9, v8
	v_div_scale_f32 v9, vcc, 1.0, v13, 1.0
	v_mul_f32_e32 v10, v9, v8
	v_fma_f32 v11, -v2, v10, v9
	v_fmac_f32_e32 v10, v11, v8
	v_fma_f32 v2, -v2, v10, v9
	v_div_fmas_f32 v2, v2, v8, v10
	v_mul_f32_e32 v8, 0, v3
	v_div_fixup_f32 v2, v2, v13, 1.0
	v_add_f32_e32 v9, 1.0, v8
	v_sub_f32_e32 v8, 0, v3
	v_pk_mul_f32 v[8:9], v[8:9], v[2:3] op_sel_hi:[1,0]
                                        ; implicit-def: $vgpr3
                                        ; implicit-def: $vgpr2
.LBB179_72:
	s_andn2_saveexec_b64 s[0:1], s[0:1]
	s_cbranch_execz .LBB179_74
; %bb.73:
	v_div_scale_f32 v8, s[12:13], v3, v3, 1.0
	v_rcp_f32_e32 v9, v8
	v_div_scale_f32 v10, vcc, 1.0, v3, 1.0
	v_fma_f32 v11, -v8, v9, 1.0
	v_fmac_f32_e32 v9, v11, v9
	v_mul_f32_e32 v11, v10, v9
	v_fma_f32 v12, -v8, v11, v10
	v_fmac_f32_e32 v11, v12, v9
	v_fma_f32 v8, -v8, v11, v10
	v_div_scale_f32 v10, s[12:13], v2, v2, 0
	v_rcp_f32_e32 v12, v10
	v_div_fmas_f32 v8, v8, v9, v11
	v_div_fixup_f32 v9, v8, v3, 1.0
	v_fma_f32 v3, -v10, v12, 1.0
	v_fmac_f32_e32 v12, v3, v12
	v_div_scale_f32 v3, vcc, 0, v2, 0
	v_mul_f32_e32 v8, v3, v12
	v_fma_f32 v11, -v10, v8, v3
	v_fmac_f32_e32 v8, v11, v12
	v_fma_f32 v3, -v10, v8, v3
	v_div_fmas_f32 v3, v3, v12, v8
	v_div_fixup_f32 v8, v3, v2, 0
.LBB179_74:
	s_or_b64 exec, exec, s[0:1]
                                        ; implicit-def: $vgpr10
                                        ; implicit-def: $vgpr13
.LBB179_75:
	s_andn2_saveexec_b64 s[0:1], s[2:3]
	s_cbranch_execz .LBB179_77
; %bb.76:
	v_div_scale_f32 v2, s[2:3], v10, v10, v13
	v_rcp_f32_e32 v3, v2
	v_div_scale_f32 v8, vcc, v13, v10, v13
	v_fma_f32 v9, -v2, v3, 1.0
	v_fmac_f32_e32 v3, v9, v3
	v_mul_f32_e32 v9, v8, v3
	v_fma_f32 v11, -v2, v9, v8
	v_fmac_f32_e32 v9, v11, v3
	v_fma_f32 v2, -v2, v9, v8
	v_div_fmas_f32 v2, v2, v3, v9
	v_div_fixup_f32 v3, v2, v10, v13
	v_fmac_f32_e32 v10, v13, v3
	v_div_scale_f32 v2, s[2:3], v10, v10, 1.0
	v_rcp_f32_e32 v8, v2
	s_mov_b64 s[2:3], 0xbf800000
	v_fma_f32 v9, -v2, v8, 1.0
	v_fmac_f32_e32 v8, v9, v8
	v_div_scale_f32 v9, vcc, 1.0, v10, 1.0
	v_mul_f32_e32 v11, v9, v8
	v_fma_f32 v12, -v2, v11, v9
	v_fmac_f32_e32 v11, v12, v8
	v_fma_f32 v2, -v2, v11, v9
	v_div_fmas_f32 v2, v2, v8, v11
	v_div_fixup_f32 v8, v2, v10, 1.0
	v_mul_f32_e32 v2, 0, v3
	v_pk_add_f32 v[2:3], v[2:3], s[2:3]
	s_nop 0
	v_pk_mul_f32 v[8:9], v[2:3], v[8:9] op_sel_hi:[1,0]
.LBB179_77:
	s_or_b64 exec, exec, s[0:1]
	v_cvt_f32_f16_sdwa v2, v4 dst_sel:DWORD dst_unused:UNUSED_PAD src0_sel:WORD_1
	v_mov_b32_e32 v13, 0
	v_cmp_neq_f16_e32 vcc, 0, v4
	v_cmp_neq_f16_sdwa s[0:1], v4, v13 src0_sel:WORD_1 src1_sel:DWORD
	s_or_b64 s[0:1], vcc, s[0:1]
	s_and_saveexec_b64 s[12:13], s[0:1]
	s_cbranch_execz .LBB179_107
; %bb.78:
	v_cvt_f32_f16_e32 v3, v4
	v_mov_b32_e32 v13, 0x7f800000
	v_cmp_neq_f32_e64 s[0:1], |v2|, v13
	s_and_saveexec_b64 s[14:15], s[0:1]
	s_cbranch_execz .LBB179_106
; %bb.79:
	v_cmp_o_f16_e32 vcc, v4, v4
                                        ; implicit-def: $vgpr13
	s_and_saveexec_b64 s[0:1], vcc
	s_xor_b64 s[16:17], exec, s[0:1]
	s_cbranch_execz .LBB179_103
; %bb.80:
	s_mov_b32 s0, 0x7f800000
	v_cmp_neq_f32_e64 s[0:1], |v3|, s0
                                        ; implicit-def: $vgpr13
	s_and_saveexec_b64 s[2:3], s[0:1]
	s_xor_b64 s[18:19], exec, s[2:3]
	s_cbranch_execz .LBB179_96
; %bb.81:
	v_max_f32_e64 v10, |v2|, |v2|
	v_max_f32_e64 v11, |v3|, |v3|
	v_max_f32_e32 v10, v11, v10
	s_mov_b32 s0, 0x7ed413cb
	v_cmp_nle_f32_e64 s[0:1], s0, v10
                                        ; implicit-def: $sgpr20_sgpr21
	s_and_saveexec_b64 s[2:3], s[0:1]
	s_xor_b64 s[2:3], exec, s[2:3]
	s_cbranch_execz .LBB179_85
; %bb.82:
	s_mov_b32 s7, 0x1000000
	v_cmp_le_f32_e64 s[20:21], |v3|, s7
	v_cmp_le_f32_e64 s[22:23], |v2|, s7
	s_and_b64 s[26:27], s[20:21], s[22:23]
	s_mov_b64 s[20:21], 0
	s_and_saveexec_b64 s[22:23], s[26:27]
; %bb.83:
	s_mov_b64 s[20:21], exec
	v_pk_mul_f32 v[2:3], v[2:3], 4.0 op_sel_hi:[1,0]
; %bb.84:
	s_or_b64 exec, exec, s[22:23]
.LBB179_85:
	s_andn2_saveexec_b64 s[2:3], s[2:3]
; %bb.86:
	s_mov_b32 s22, 0x3e800000
	v_pk_mul_f32 v[2:3], v[2:3], s[22:23] op_sel_hi:[1,0]
	s_andn2_b64 s[20:21], s[20:21], exec
; %bb.87:
	s_or_b64 exec, exec, s[2:3]
	v_max_f32_e64 v10, |v2|, |v2|
	v_max_f32_e64 v11, |v3|, |v3|
	v_max_f32_e32 v12, v11, v10
	v_cvt_f64_f32_e32 v[10:11], v12
	v_frexp_exp_i32_f64_e32 v10, v[10:11]
	v_sub_u32_e32 v11, 0, v10
	v_ldexp_f32 v13, |v3|, v11
	v_ldexp_f32 v11, |v2|, v11
	v_mul_f32_e32 v11, v11, v11
	v_fmac_f32_e32 v11, v13, v13
	v_sqrt_f32_e32 v11, v11
	s_mov_b32 s2, 0x7f800000
	v_cmp_neq_f32_e64 s[2:3], s2, v12
	v_cmp_le_f32_e32 vcc, 0, v3
	v_ldexp_f32 v10, v11, v10
	v_mov_b32_e32 v11, 0x7f800000
	v_cndmask_b32_e64 v12, v11, v10, s[2:3]
                                        ; implicit-def: $vgpr10_vgpr11
	s_and_saveexec_b64 s[2:3], vcc
	s_xor_b64 s[22:23], exec, s[2:3]
	s_cbranch_execz .LBB179_89
; %bb.88:
	v_add_f32_e32 v3, v3, v12
	v_mul_f32_e32 v3, 0.5, v3
	s_mov_b32 s2, 0xf800000
	v_mul_f32_e32 v10, 0x4f800000, v3
	v_cmp_gt_f32_e32 vcc, s2, v3
	s_nop 1
	v_cndmask_b32_e32 v3, v3, v10, vcc
	v_sqrt_f32_e32 v10, v3
	s_nop 0
	v_add_u32_e32 v11, -1, v10
	v_fma_f32 v12, -v11, v10, v3
	v_cmp_ge_f32_e64 s[2:3], 0, v12
	v_add_u32_e32 v12, 1, v10
	s_nop 0
	v_cndmask_b32_e64 v11, v10, v11, s[2:3]
	v_fma_f32 v10, -v12, v10, v3
	v_cmp_lt_f32_e64 s[2:3], 0, v10
	s_nop 1
	v_cndmask_b32_e64 v10, v11, v12, s[2:3]
	v_mul_f32_e32 v11, 0x37800000, v10
	v_cndmask_b32_e32 v10, v10, v11, vcc
	v_mov_b32_e32 v11, 0x260
	v_cmp_class_f32_e32 vcc, v3, v11
	s_nop 1
	v_cndmask_b32_e32 v11, v10, v3, vcc
	v_add_f32_e32 v3, v11, v11
	v_div_scale_f32 v10, s[2:3], v3, v3, v2
	v_rcp_f32_e32 v12, v10
	s_nop 0
	v_fma_f32 v13, -v10, v12, 1.0
	v_fmac_f32_e32 v12, v13, v12
	v_div_scale_f32 v13, vcc, v2, v3, v2
	v_mul_f32_e32 v14, v13, v12
	v_fma_f32 v15, -v10, v14, v13
	v_fmac_f32_e32 v14, v15, v12
	v_fma_f32 v10, -v10, v14, v13
	v_div_fmas_f32 v10, v10, v12, v14
	v_div_fixup_f32 v10, v10, v3, v2
                                        ; implicit-def: $vgpr12
                                        ; implicit-def: $vgpr2_vgpr3
	s_andn2_saveexec_b64 s[22:23], s[22:23]
	s_cbranch_execz .LBB179_91
	s_branch .LBB179_90
.LBB179_89:
	s_andn2_saveexec_b64 s[22:23], s[22:23]
	s_cbranch_execz .LBB179_91
.LBB179_90:
	v_sub_f32_e32 v3, v12, v3
	v_mul_f32_e32 v3, 0.5, v3
	s_mov_b32 s2, 0xf800000
	v_mul_f32_e32 v10, 0x4f800000, v3
	v_cmp_gt_f32_e32 vcc, s2, v3
	s_nop 1
	v_cndmask_b32_e32 v3, v3, v10, vcc
	v_sqrt_f32_e32 v10, v3
	s_nop 0
	v_add_u32_e32 v11, -1, v10
	v_fma_f32 v12, -v11, v10, v3
	v_cmp_ge_f32_e64 s[2:3], 0, v12
	v_add_u32_e32 v12, 1, v10
	s_nop 0
	v_cndmask_b32_e64 v11, v10, v11, s[2:3]
	v_fma_f32 v10, -v12, v10, v3
	v_cmp_lt_f32_e64 s[2:3], 0, v10
	s_nop 1
	v_cndmask_b32_e64 v10, v11, v12, s[2:3]
	v_mul_f32_e32 v11, 0x37800000, v10
	v_cndmask_b32_e32 v10, v10, v11, vcc
	v_mov_b32_e32 v11, 0x260
	v_cmp_class_f32_e32 vcc, v3, v11
	v_and_b32_e32 v11, 0x7fffffff, v2
	s_nop 0
	v_cndmask_b32_e32 v3, v10, v3, vcc
	v_add_f32_e32 v10, v3, v3
	v_div_scale_f32 v12, s[2:3], v10, v10, v11
	v_rcp_f32_e32 v13, v12
	v_div_scale_f32 v11, vcc, v11, v10, v11
	s_brev_b32 s2, -2
	v_fma_f32 v14, -v12, v13, 1.0
	v_fmac_f32_e32 v13, v14, v13
	v_mul_f32_e32 v14, v11, v13
	v_fma_f32 v15, -v12, v14, v11
	v_fmac_f32_e32 v14, v15, v13
	v_fma_f32 v11, -v12, v14, v11
	v_div_fmas_f32 v11, v11, v13, v14
	v_div_fixup_f32 v11, v11, v10, |v2|
	v_bfi_b32 v10, s2, v3, v2
.LBB179_91:
	s_or_b64 exec, exec, s[22:23]
                                        ; implicit-def: $vgpr13
                                        ; implicit-def: $vgpr2
	s_and_saveexec_b64 s[2:3], s[0:1]
	s_xor_b64 s[0:1], exec, s[2:3]
	s_cbranch_execz .LBB179_93
; %bb.92:
	v_pk_mul_f32 v[2:3], v[10:11], 0.5 op_sel_hi:[1,0]
	s_nop 0
	v_cndmask_b32_e64 v2, v10, v2, s[20:21]
	v_cndmask_b32_e64 v13, v11, v3, s[20:21]
                                        ; implicit-def: $vgpr10_vgpr11
	s_andn2_saveexec_b64 s[0:1], s[0:1]
	s_cbranch_execnz .LBB179_94
	s_branch .LBB179_95
.LBB179_93:
	s_andn2_saveexec_b64 s[0:1], s[0:1]
.LBB179_94:
	v_pk_add_f32 v[12:13], v[10:11], v[10:11]
	s_nop 0
	v_mov_b32_e32 v2, v12
.LBB179_95:
	s_or_b64 exec, exec, s[0:1]
.LBB179_96:
	s_andn2_saveexec_b64 s[0:1], s[18:19]
	s_cbranch_execz .LBB179_102
; %bb.97:
	v_and_b32_e32 v4, 0x8000, v4
	v_cmp_ne_u32_e32 vcc, 0, v4
	v_sub_f32_e32 v4, v2, v2
                                        ; implicit-def: $vgpr13
	s_and_saveexec_b64 s[2:3], vcc
	s_xor_b64 s[2:3], exec, s[2:3]
; %bb.98:
	s_brev_b32 s7, -2
	v_and_b32_e32 v13, 0x7fffffff, v4
	v_bfi_b32 v2, s7, v3, v2
                                        ; implicit-def: $vgpr4
; %bb.99:
	s_andn2_saveexec_b64 s[2:3], s[2:3]
; %bb.100:
	s_brev_b32 s7, -2
	v_bfi_b32 v2, s7, v4, v2
	v_mov_b32_e32 v13, v3
; %bb.101:
	s_or_b64 exec, exec, s[2:3]
.LBB179_102:
	s_or_b64 exec, exec, s[0:1]
.LBB179_103:
	s_andn2_saveexec_b64 s[0:1], s[16:17]
	s_cbranch_execz .LBB179_105
; %bb.104:
	v_sub_f32_e32 v2, v2, v2
	v_div_scale_f32 v4, vcc, v2, v2, v2
	v_rcp_f32_e32 v10, v4
	v_mov_b32_e32 v13, v3
	v_fma_f32 v11, -v4, v10, 1.0
	v_fmac_f32_e32 v10, v11, v10
	v_mul_f32_e32 v11, v4, v10
	v_fma_f32 v12, -v4, v11, v4
	v_fmac_f32_e32 v11, v12, v10
	v_fma_f32 v4, -v4, v11, v4
	v_div_fmas_f32 v4, v4, v10, v11
	v_div_fixup_f32 v2, v4, v2, v2
.LBB179_105:
	s_or_b64 exec, exec, s[0:1]
.LBB179_106:
	s_or_b64 exec, exec, s[14:15]
.LBB179_107:
	s_or_b64 exec, exec, s[12:13]
	v_cmp_gt_f32_e32 vcc, 0, v13
                                        ; implicit-def: $vgpr10_vgpr11
	s_nop 1
	v_cndmask_b32_e64 v4, v13, -v13, vcc
	v_cmp_gt_f32_e32 vcc, 0, v2
	s_nop 1
	v_cndmask_b32_e64 v3, v2, -v2, vcc
	v_cmp_ge_f32_e32 vcc, v4, v3
	s_and_saveexec_b64 s[0:1], vcc
	s_xor_b64 s[2:3], exec, s[0:1]
	s_cbranch_execz .LBB179_113
; %bb.108:
	v_cmp_neq_f32_e32 vcc, 0, v13
	v_cmp_neq_f32_e64 s[0:1], 0, v2
	s_or_b64 s[0:1], vcc, s[0:1]
                                        ; implicit-def: $vgpr10_vgpr11
	s_and_saveexec_b64 s[12:13], s[0:1]
	s_xor_b64 s[0:1], exec, s[12:13]
	s_cbranch_execz .LBB179_110
; %bb.109:
	v_div_scale_f32 v3, s[12:13], v13, v13, v2
	v_rcp_f32_e32 v4, v3
	v_div_scale_f32 v10, vcc, v2, v13, v2
	v_fma_f32 v11, -v3, v4, 1.0
	v_fmac_f32_e32 v4, v11, v4
	v_mul_f32_e32 v11, v10, v4
	v_fma_f32 v12, -v3, v11, v10
	v_fmac_f32_e32 v11, v12, v4
	v_fma_f32 v3, -v3, v11, v10
	v_div_fmas_f32 v3, v3, v4, v11
	v_div_fixup_f32 v3, v3, v13, v2
	v_fmac_f32_e32 v13, v2, v3
	v_div_scale_f32 v2, s[12:13], v13, v13, 1.0
	v_rcp_f32_e32 v4, v2
	s_nop 0
	v_fma_f32 v10, -v2, v4, 1.0
	v_fmac_f32_e32 v4, v10, v4
	v_div_scale_f32 v10, vcc, 1.0, v13, 1.0
	v_mul_f32_e32 v11, v10, v4
	v_fma_f32 v12, -v2, v11, v10
	v_fmac_f32_e32 v11, v12, v4
	v_fma_f32 v2, -v2, v11, v10
	v_div_fmas_f32 v2, v2, v4, v11
	v_mul_f32_e32 v4, 0, v3
	v_div_fixup_f32 v2, v2, v13, 1.0
	v_add_f32_e32 v11, 1.0, v4
	v_sub_f32_e32 v10, 0, v3
	v_pk_mul_f32 v[10:11], v[10:11], v[2:3] op_sel_hi:[1,0]
                                        ; implicit-def: $vgpr4
                                        ; implicit-def: $vgpr3
.LBB179_110:
	s_andn2_saveexec_b64 s[0:1], s[0:1]
	s_cbranch_execz .LBB179_112
; %bb.111:
	v_div_scale_f32 v2, s[12:13], v4, v4, 1.0
	v_rcp_f32_e32 v10, v2
	v_div_scale_f32 v11, vcc, 1.0, v4, 1.0
	v_fma_f32 v12, -v2, v10, 1.0
	v_fmac_f32_e32 v10, v12, v10
	v_mul_f32_e32 v12, v11, v10
	v_fma_f32 v13, -v2, v12, v11
	v_fmac_f32_e32 v12, v13, v10
	v_div_scale_f32 v13, s[12:13], v3, v3, 0
	v_rcp_f32_e32 v14, v13
	v_fma_f32 v2, -v2, v12, v11
	v_div_fmas_f32 v2, v2, v10, v12
	v_div_fixup_f32 v11, v2, v4, 1.0
	v_fma_f32 v2, -v13, v14, 1.0
	v_fmac_f32_e32 v14, v2, v14
	v_div_scale_f32 v2, vcc, 0, v3, 0
	v_mul_f32_e32 v4, v2, v14
	v_fma_f32 v10, -v13, v4, v2
	v_fmac_f32_e32 v4, v10, v14
	v_fma_f32 v2, -v13, v4, v2
	v_div_fmas_f32 v2, v2, v14, v4
	v_div_fixup_f32 v10, v2, v3, 0
.LBB179_112:
	s_or_b64 exec, exec, s[0:1]
                                        ; implicit-def: $vgpr2
                                        ; implicit-def: $vgpr13
.LBB179_113:
	s_andn2_saveexec_b64 s[0:1], s[2:3]
	s_cbranch_execz .LBB179_115
; %bb.114:
	v_div_scale_f32 v3, s[2:3], v2, v2, v13
	v_rcp_f32_e32 v4, v3
	v_div_scale_f32 v10, vcc, v13, v2, v13
	v_fma_f32 v11, -v3, v4, 1.0
	v_fmac_f32_e32 v4, v11, v4
	v_mul_f32_e32 v11, v10, v4
	v_fma_f32 v12, -v3, v11, v10
	v_fmac_f32_e32 v11, v12, v4
	v_fma_f32 v3, -v3, v11, v10
	v_div_fmas_f32 v3, v3, v4, v11
	v_div_fixup_f32 v3, v3, v2, v13
	v_fmac_f32_e32 v2, v13, v3
	v_div_scale_f32 v4, s[2:3], v2, v2, 1.0
	v_rcp_f32_e32 v10, v4
	s_mov_b64 s[2:3], 0xbf800000
	v_fma_f32 v11, -v4, v10, 1.0
	v_fmac_f32_e32 v10, v11, v10
	v_div_scale_f32 v11, vcc, 1.0, v2, 1.0
	v_mul_f32_e32 v12, v11, v10
	v_fma_f32 v13, -v4, v12, v11
	v_fmac_f32_e32 v12, v13, v10
	v_fma_f32 v4, -v4, v12, v11
	v_div_fmas_f32 v4, v4, v10, v12
	v_div_fixup_f32 v4, v4, v2, 1.0
	v_mul_f32_e32 v2, 0, v3
	v_pk_add_f32 v[2:3], v[2:3], s[2:3]
	s_nop 0
	v_pk_mul_f32 v[10:11], v[2:3], v[4:5] op_sel_hi:[1,0]
.LBB179_115:
	s_or_b64 exec, exec, s[0:1]
	v_cvt_f32_f16_sdwa v12, v5 dst_sel:DWORD dst_unused:UNUSED_PAD src0_sel:WORD_1
	v_mov_b32_e32 v15, 0
	v_cmp_neq_f16_e32 vcc, 0, v5
	v_cmp_neq_f16_sdwa s[0:1], v5, v15 src0_sel:WORD_1 src1_sel:DWORD
	s_or_b64 s[0:1], vcc, s[0:1]
	s_and_saveexec_b64 s[12:13], s[0:1]
	s_cbranch_execz .LBB179_145
; %bb.116:
	v_cvt_f32_f16_e32 v13, v5
	v_mov_b32_e32 v15, 0x7f800000
	v_cmp_neq_f32_e64 s[0:1], |v12|, v15
	s_and_saveexec_b64 s[14:15], s[0:1]
	s_cbranch_execz .LBB179_144
; %bb.117:
	v_cmp_o_f16_e32 vcc, v5, v5
                                        ; implicit-def: $vgpr15
	s_and_saveexec_b64 s[0:1], vcc
	s_xor_b64 s[16:17], exec, s[0:1]
	s_cbranch_execz .LBB179_141
; %bb.118:
	s_mov_b32 s0, 0x7f800000
	v_cmp_neq_f32_e64 s[0:1], |v13|, s0
                                        ; implicit-def: $vgpr15
	s_and_saveexec_b64 s[2:3], s[0:1]
	s_xor_b64 s[18:19], exec, s[2:3]
	s_cbranch_execz .LBB179_134
; %bb.119:
	v_max_f32_e64 v2, |v12|, |v12|
	v_max_f32_e64 v3, |v13|, |v13|
	v_max_f32_e32 v2, v3, v2
	s_mov_b32 s0, 0x7ed413cb
	v_cmp_nle_f32_e64 s[0:1], s0, v2
                                        ; implicit-def: $sgpr20_sgpr21
	s_and_saveexec_b64 s[2:3], s[0:1]
	s_xor_b64 s[2:3], exec, s[2:3]
	s_cbranch_execz .LBB179_123
; %bb.120:
	s_mov_b32 s7, 0x1000000
	v_cmp_le_f32_e64 s[20:21], |v13|, s7
	v_cmp_le_f32_e64 s[22:23], |v12|, s7
	s_and_b64 s[26:27], s[20:21], s[22:23]
	s_mov_b64 s[20:21], 0
	s_and_saveexec_b64 s[22:23], s[26:27]
; %bb.121:
	s_mov_b64 s[20:21], exec
	v_pk_mul_f32 v[12:13], v[12:13], 4.0 op_sel_hi:[1,0]
; %bb.122:
	s_or_b64 exec, exec, s[22:23]
.LBB179_123:
	s_andn2_saveexec_b64 s[2:3], s[2:3]
; %bb.124:
	s_mov_b32 s22, 0x3e800000
	v_pk_mul_f32 v[12:13], v[12:13], s[22:23] op_sel_hi:[1,0]
	s_andn2_b64 s[20:21], s[20:21], exec
; %bb.125:
	s_or_b64 exec, exec, s[2:3]
	v_max_f32_e64 v2, |v12|, |v12|
	v_max_f32_e64 v3, |v13|, |v13|
	v_max_f32_e32 v4, v3, v2
	v_cvt_f64_f32_e32 v[2:3], v4
	v_frexp_exp_i32_f64_e32 v2, v[2:3]
	v_sub_u32_e32 v3, 0, v2
	v_ldexp_f32 v5, |v13|, v3
	v_ldexp_f32 v3, |v12|, v3
	v_mul_f32_e32 v3, v3, v3
	v_fmac_f32_e32 v3, v5, v5
	v_sqrt_f32_e32 v3, v3
	s_mov_b32 s2, 0x7f800000
	v_cmp_neq_f32_e64 s[2:3], s2, v4
	v_cmp_le_f32_e32 vcc, 0, v13
	v_ldexp_f32 v2, v3, v2
	v_mov_b32_e32 v3, 0x7f800000
	v_cndmask_b32_e64 v4, v3, v2, s[2:3]
                                        ; implicit-def: $vgpr2_vgpr3
	s_and_saveexec_b64 s[2:3], vcc
	s_xor_b64 s[22:23], exec, s[2:3]
	s_cbranch_execz .LBB179_127
; %bb.126:
	v_add_f32_e32 v2, v13, v4
	v_mul_f32_e32 v2, 0.5, v2
	s_mov_b32 s2, 0xf800000
	v_mul_f32_e32 v3, 0x4f800000, v2
	v_cmp_gt_f32_e32 vcc, s2, v2
	s_nop 1
	v_cndmask_b32_e32 v2, v2, v3, vcc
	v_sqrt_f32_e32 v3, v2
	s_nop 0
	v_add_u32_e32 v4, -1, v3
	v_fma_f32 v5, -v4, v3, v2
	v_cmp_ge_f32_e64 s[2:3], 0, v5
	v_add_u32_e32 v5, 1, v3
	s_nop 0
	v_cndmask_b32_e64 v4, v3, v4, s[2:3]
	v_fma_f32 v3, -v5, v3, v2
	v_cmp_lt_f32_e64 s[2:3], 0, v3
	s_nop 1
	v_cndmask_b32_e64 v3, v4, v5, s[2:3]
	v_mul_f32_e32 v4, 0x37800000, v3
	v_cndmask_b32_e32 v3, v3, v4, vcc
	v_mov_b32_e32 v4, 0x260
	v_cmp_class_f32_e32 vcc, v2, v4
	s_nop 1
	v_cndmask_b32_e32 v3, v3, v2, vcc
	v_add_f32_e32 v2, v3, v3
	v_div_scale_f32 v4, s[2:3], v2, v2, v12
	v_rcp_f32_e32 v5, v4
	s_nop 0
	v_fma_f32 v13, -v4, v5, 1.0
	v_fmac_f32_e32 v5, v13, v5
	v_div_scale_f32 v13, vcc, v12, v2, v12
	v_mul_f32_e32 v14, v13, v5
	v_fma_f32 v15, -v4, v14, v13
	v_fmac_f32_e32 v14, v15, v5
	v_fma_f32 v4, -v4, v14, v13
	v_div_fmas_f32 v4, v4, v5, v14
	v_div_fixup_f32 v2, v4, v2, v12
                                        ; implicit-def: $vgpr4
                                        ; implicit-def: $vgpr12_vgpr13
	s_andn2_saveexec_b64 s[22:23], s[22:23]
	s_cbranch_execz .LBB179_129
	s_branch .LBB179_128
.LBB179_127:
	s_andn2_saveexec_b64 s[22:23], s[22:23]
	s_cbranch_execz .LBB179_129
.LBB179_128:
	v_sub_f32_e32 v2, v4, v13
	v_mul_f32_e32 v2, 0.5, v2
	s_mov_b32 s2, 0xf800000
	v_mul_f32_e32 v3, 0x4f800000, v2
	v_cmp_gt_f32_e32 vcc, s2, v2
	s_nop 1
	v_cndmask_b32_e32 v2, v2, v3, vcc
	v_sqrt_f32_e32 v3, v2
	s_nop 0
	v_add_u32_e32 v4, -1, v3
	v_fma_f32 v5, -v4, v3, v2
	v_cmp_ge_f32_e64 s[2:3], 0, v5
	v_add_u32_e32 v5, 1, v3
	s_nop 0
	v_cndmask_b32_e64 v4, v3, v4, s[2:3]
	v_fma_f32 v3, -v5, v3, v2
	v_cmp_lt_f32_e64 s[2:3], 0, v3
	s_nop 1
	v_cndmask_b32_e64 v3, v4, v5, s[2:3]
	v_mul_f32_e32 v4, 0x37800000, v3
	v_cndmask_b32_e32 v3, v3, v4, vcc
	v_mov_b32_e32 v4, 0x260
	v_cmp_class_f32_e32 vcc, v2, v4
	v_and_b32_e32 v4, 0x7fffffff, v12
	s_nop 0
	v_cndmask_b32_e32 v2, v3, v2, vcc
	v_add_f32_e32 v3, v2, v2
	v_div_scale_f32 v5, s[2:3], v3, v3, v4
	v_rcp_f32_e32 v13, v5
	v_div_scale_f32 v4, vcc, v4, v3, v4
	s_brev_b32 s2, -2
	v_fma_f32 v14, -v5, v13, 1.0
	v_fmac_f32_e32 v13, v14, v13
	v_mul_f32_e32 v14, v4, v13
	v_fma_f32 v15, -v5, v14, v4
	v_fmac_f32_e32 v14, v15, v13
	v_fma_f32 v4, -v5, v14, v4
	v_div_fmas_f32 v4, v4, v13, v14
	v_div_fixup_f32 v3, v4, v3, |v12|
	v_bfi_b32 v2, s2, v2, v12
.LBB179_129:
	s_or_b64 exec, exec, s[22:23]
                                        ; implicit-def: $vgpr15
                                        ; implicit-def: $vgpr12
	s_and_saveexec_b64 s[2:3], s[0:1]
	s_xor_b64 s[0:1], exec, s[2:3]
	s_cbranch_execz .LBB179_131
; %bb.130:
	v_pk_mul_f32 v[4:5], v[2:3], 0.5 op_sel_hi:[1,0]
	s_nop 0
	v_cndmask_b32_e64 v12, v2, v4, s[20:21]
	v_cndmask_b32_e64 v15, v3, v5, s[20:21]
                                        ; implicit-def: $vgpr2_vgpr3
	s_andn2_saveexec_b64 s[0:1], s[0:1]
	s_cbranch_execnz .LBB179_132
	s_branch .LBB179_133
.LBB179_131:
	s_andn2_saveexec_b64 s[0:1], s[0:1]
.LBB179_132:
	v_pk_add_f32 v[14:15], v[2:3], v[2:3]
	s_nop 0
	v_mov_b32_e32 v12, v14
.LBB179_133:
	s_or_b64 exec, exec, s[0:1]
                                        ; implicit-def: $vgpr2_vgpr3_vgpr4_vgpr5
.LBB179_134:
	s_andn2_saveexec_b64 s[0:1], s[18:19]
	s_cbranch_execz .LBB179_140
; %bb.135:
	v_and_b32_e32 v2, 0x8000, v5
	v_cmp_ne_u32_e32 vcc, 0, v2
	v_sub_f32_e32 v2, v12, v12
                                        ; implicit-def: $vgpr15
	s_and_saveexec_b64 s[2:3], vcc
	s_xor_b64 s[2:3], exec, s[2:3]
; %bb.136:
	s_brev_b32 s7, -2
	v_and_b32_e32 v15, 0x7fffffff, v2
	v_bfi_b32 v12, s7, v13, v12
                                        ; implicit-def: $vgpr2
; %bb.137:
	s_andn2_saveexec_b64 s[2:3], s[2:3]
; %bb.138:
	s_brev_b32 s7, -2
	v_bfi_b32 v12, s7, v2, v12
	v_mov_b32_e32 v15, v13
; %bb.139:
	s_or_b64 exec, exec, s[2:3]
.LBB179_140:
	s_or_b64 exec, exec, s[0:1]
.LBB179_141:
	s_andn2_saveexec_b64 s[0:1], s[16:17]
	s_cbranch_execz .LBB179_143
; %bb.142:
	v_sub_f32_e32 v2, v12, v12
	v_div_scale_f32 v3, vcc, v2, v2, v2
	v_rcp_f32_e32 v4, v3
	v_mov_b32_e32 v15, v13
	v_fma_f32 v5, -v3, v4, 1.0
	v_fmac_f32_e32 v4, v5, v4
	v_mul_f32_e32 v5, v3, v4
	v_fma_f32 v12, -v3, v5, v3
	v_fmac_f32_e32 v5, v12, v4
	v_fma_f32 v3, -v3, v5, v3
	v_div_fmas_f32 v3, v3, v4, v5
	v_div_fixup_f32 v12, v3, v2, v2
.LBB179_143:
	s_or_b64 exec, exec, s[0:1]
.LBB179_144:
	s_or_b64 exec, exec, s[14:15]
.LBB179_145:
	s_or_b64 exec, exec, s[12:13]
	v_cmp_gt_f32_e32 vcc, 0, v15
                                        ; implicit-def: $vgpr2_vgpr3
	s_nop 1
	v_cndmask_b32_e64 v5, v15, -v15, vcc
	v_cmp_gt_f32_e32 vcc, 0, v12
	s_nop 1
	v_cndmask_b32_e64 v4, v12, -v12, vcc
	v_cmp_ge_f32_e32 vcc, v5, v4
	s_and_saveexec_b64 s[0:1], vcc
	s_xor_b64 s[2:3], exec, s[0:1]
	s_cbranch_execz .LBB179_151
; %bb.146:
	v_cmp_neq_f32_e32 vcc, 0, v15
	v_cmp_neq_f32_e64 s[0:1], 0, v12
	s_or_b64 s[0:1], vcc, s[0:1]
                                        ; implicit-def: $vgpr2_vgpr3
	s_and_saveexec_b64 s[12:13], s[0:1]
	s_xor_b64 s[0:1], exec, s[12:13]
	s_cbranch_execz .LBB179_148
; %bb.147:
	v_div_scale_f32 v2, s[12:13], v15, v15, v12
	v_rcp_f32_e32 v3, v2
	v_div_scale_f32 v4, vcc, v12, v15, v12
	v_fma_f32 v5, -v2, v3, 1.0
	v_fmac_f32_e32 v3, v5, v3
	v_mul_f32_e32 v5, v4, v3
	v_fma_f32 v13, -v2, v5, v4
	v_fmac_f32_e32 v5, v13, v3
	v_fma_f32 v2, -v2, v5, v4
	v_div_fmas_f32 v2, v2, v3, v5
	v_div_fixup_f32 v3, v2, v15, v12
	v_fmac_f32_e32 v15, v12, v3
	v_div_scale_f32 v2, s[12:13], v15, v15, 1.0
	v_rcp_f32_e32 v4, v2
	s_nop 0
	v_fma_f32 v5, -v2, v4, 1.0
	v_fmac_f32_e32 v4, v5, v4
	v_div_scale_f32 v5, vcc, 1.0, v15, 1.0
	v_mul_f32_e32 v12, v5, v4
	v_fma_f32 v13, -v2, v12, v5
	v_fmac_f32_e32 v12, v13, v4
	v_fma_f32 v2, -v2, v12, v5
	v_div_fmas_f32 v2, v2, v4, v12
	v_mul_f32_e32 v4, 0, v3
	v_div_fixup_f32 v2, v2, v15, 1.0
	v_add_f32_e32 v5, 1.0, v4
	v_sub_f32_e32 v4, 0, v3
	v_pk_mul_f32 v[2:3], v[4:5], v[2:3] op_sel_hi:[1,0]
                                        ; implicit-def: $vgpr5
                                        ; implicit-def: $vgpr4
.LBB179_148:
	s_andn2_saveexec_b64 s[0:1], s[0:1]
	s_cbranch_execz .LBB179_150
; %bb.149:
	v_div_scale_f32 v2, s[12:13], v5, v5, 1.0
	v_rcp_f32_e32 v3, v2
	v_div_scale_f32 v12, vcc, 1.0, v5, 1.0
	v_fma_f32 v13, -v2, v3, 1.0
	v_fmac_f32_e32 v3, v13, v3
	v_mul_f32_e32 v13, v12, v3
	v_fma_f32 v14, -v2, v13, v12
	v_fmac_f32_e32 v13, v14, v3
	v_fma_f32 v2, -v2, v13, v12
	v_div_scale_f32 v12, s[12:13], v4, v4, 0
	v_rcp_f32_e32 v14, v12
	v_div_fmas_f32 v2, v2, v3, v13
	v_div_fixup_f32 v3, v2, v5, 1.0
	v_fma_f32 v2, -v12, v14, 1.0
	v_fmac_f32_e32 v14, v2, v14
	v_div_scale_f32 v2, vcc, 0, v4, 0
	v_mul_f32_e32 v5, v2, v14
	v_fma_f32 v13, -v12, v5, v2
	v_fmac_f32_e32 v5, v13, v14
	v_fma_f32 v2, -v12, v5, v2
	v_div_fmas_f32 v2, v2, v14, v5
	v_div_fixup_f32 v2, v2, v4, 0
.LBB179_150:
	s_or_b64 exec, exec, s[0:1]
                                        ; implicit-def: $vgpr12
                                        ; implicit-def: $vgpr15
.LBB179_151:
	s_andn2_saveexec_b64 s[0:1], s[2:3]
	s_cbranch_execz .LBB179_153
; %bb.152:
	v_div_scale_f32 v2, s[2:3], v12, v12, v15
	v_rcp_f32_e32 v3, v2
	v_div_scale_f32 v4, vcc, v15, v12, v15
	v_fma_f32 v5, -v2, v3, 1.0
	v_fmac_f32_e32 v3, v5, v3
	v_mul_f32_e32 v5, v4, v3
	v_fma_f32 v13, -v2, v5, v4
	v_fmac_f32_e32 v5, v13, v3
	v_fma_f32 v2, -v2, v5, v4
	v_div_fmas_f32 v2, v2, v3, v5
	v_div_fixup_f32 v3, v2, v12, v15
	v_fmac_f32_e32 v12, v15, v3
	v_div_scale_f32 v2, s[2:3], v12, v12, 1.0
	v_rcp_f32_e32 v4, v2
	s_mov_b64 s[2:3], 0xbf800000
	v_fma_f32 v5, -v2, v4, 1.0
	v_fmac_f32_e32 v4, v5, v4
	v_div_scale_f32 v5, vcc, 1.0, v12, 1.0
	v_mul_f32_e32 v13, v5, v4
	v_fma_f32 v14, -v2, v13, v5
	v_fmac_f32_e32 v13, v14, v4
	v_fma_f32 v2, -v2, v13, v5
	v_div_fmas_f32 v2, v2, v4, v13
	v_div_fixup_f32 v4, v2, v12, 1.0
	v_mul_f32_e32 v2, 0, v3
	v_pk_add_f32 v[2:3], v[2:3], s[2:3]
	s_nop 0
	v_pk_mul_f32 v[2:3], v[2:3], v[4:5] op_sel_hi:[1,0]
.LBB179_153:
	s_or_b64 exec, exec, s[0:1]
	v_cvt_pk_f16_f32 v4, v10, v2
	v_cvt_pk_f16_f32 v2, v6, v8
	v_cvt_pk_f16_f32 v10, v11, v3
	v_cvt_pk_f16_f32 v5, v7, v9
	v_and_b32_e32 v3, 0xffff0000, v2
	v_lshlrev_b32_e32 v2, 16, v2
	s_add_u32 s0, s8, s4
	v_or_b32_sdwa v3, v3, v5 dst_sel:DWORD dst_unused:UNUSED_PAD src0_sel:DWORD src1_sel:WORD_1
	v_or_b32_sdwa v2, v2, v5 dst_sel:DWORD dst_unused:UNUSED_PAD src0_sel:DWORD src1_sel:WORD_0
	v_and_b32_e32 v5, 0xffff0000, v4
	v_lshlrev_b32_e32 v4, 16, v4
	s_addc_u32 s1, s9, s5
	v_or_b32_sdwa v5, v5, v10 dst_sel:DWORD dst_unused:UNUSED_PAD src0_sel:DWORD src1_sel:WORD_1
	v_or_b32_sdwa v4, v4, v10 dst_sel:DWORD dst_unused:UNUSED_PAD src0_sel:DWORD src1_sel:WORD_0
	global_store_dwordx4 v1, v[2:5], s[0:1]
	s_mov_b64 s[0:1], 0
.LBB179_154:
	s_and_b64 vcc, exec, s[0:1]
	s_cbranch_vccz .LBB179_331
; %bb.155:
	v_cmp_gt_i32_e64 s[0:1], s24, v0
	v_mov_b32_e32 v1, 0
	v_or_b32_e32 v2, s6, v0
	v_mov_b32_e32 v5, 0
	v_mov_b32_e32 v3, 0
	;; [unrolled: 1-line block ×3, first 2 shown]
	s_and_saveexec_b64 s[2:3], s[0:1]
	s_cbranch_execz .LBB179_163
; %bb.156:
	v_mov_b32_e32 v3, 0
	v_lshl_add_u64 v[4:5], v[2:3], 2, s[10:11]
	global_load_dword v9, v[4:5], off
	v_or_b32_e32 v1, 0x100, v0
	v_cmp_gt_u32_e32 vcc, s24, v1
	v_mov_b32_e32 v5, v3
	v_mov_b32_e32 v1, v3
	s_and_saveexec_b64 s[4:5], vcc
	s_cbranch_execz .LBB179_162
; %bb.157:
	v_add_u32_e32 v4, s6, v0
	v_mov_b32_e32 v5, 0
	v_lshl_add_u64 v[6:7], v[4:5], 2, s[10:11]
	global_load_dword v3, v[6:7], off offset:1024
	v_or_b32_e32 v1, 0x200, v0
	v_cmp_gt_u32_e32 vcc, s24, v1
	v_mov_b32_e32 v1, v5
	s_and_saveexec_b64 s[10:11], vcc
	s_cbranch_execz .LBB179_161
; %bb.158:
	global_load_dword v5, v[6:7], off offset:2048
	v_or_b32_e32 v1, 0x300, v0
	v_cmp_gt_u32_e32 vcc, s24, v1
	v_mov_b32_e32 v1, 0
	s_and_saveexec_b64 s[12:13], vcc
	s_cbranch_execz .LBB179_160
; %bb.159:
	global_load_dword v1, v[6:7], off offset:3072
.LBB179_160:
	s_or_b64 exec, exec, s[12:13]
.LBB179_161:
	s_or_b64 exec, exec, s[10:11]
.LBB179_162:
	s_or_b64 exec, exec, s[4:5]
.LBB179_163:
	s_or_b64 exec, exec, s[2:3]
                                        ; implicit-def: $vgpr12
	s_and_saveexec_b64 s[10:11], s[0:1]
	s_cbranch_execz .LBB179_203
; %bb.164:
	s_waitcnt vmcnt(0)
	v_cvt_f32_f16_sdwa v6, v9 dst_sel:DWORD dst_unused:UNUSED_PAD src0_sel:WORD_1
	v_mov_b32_e32 v8, 0
	v_cmp_neq_f16_e32 vcc, 0, v9
	v_cmp_neq_f16_sdwa s[2:3], v9, v8 src0_sel:WORD_1 src1_sel:DWORD
	s_or_b64 s[2:3], vcc, s[2:3]
	s_and_saveexec_b64 s[12:13], s[2:3]
	s_cbranch_execz .LBB179_194
; %bb.165:
	v_cvt_f32_f16_e32 v7, v9
	v_mov_b32_e32 v8, 0x7f800000
	v_cmp_neq_f32_e64 s[2:3], |v6|, v8
	s_and_saveexec_b64 s[14:15], s[2:3]
	s_cbranch_execz .LBB179_193
; %bb.166:
	v_cmp_o_f16_e32 vcc, v9, v9
                                        ; implicit-def: $vgpr8
	s_and_saveexec_b64 s[2:3], vcc
	s_xor_b64 s[16:17], exec, s[2:3]
	s_cbranch_execz .LBB179_190
; %bb.167:
	s_mov_b32 s2, 0x7f800000
	v_cmp_neq_f32_e64 s[2:3], |v7|, s2
                                        ; implicit-def: $vgpr8
	s_and_saveexec_b64 s[4:5], s[2:3]
	s_xor_b64 s[18:19], exec, s[4:5]
	s_cbranch_execz .LBB179_183
; %bb.168:
	v_max_f32_e64 v4, |v6|, |v6|
	v_max_f32_e64 v8, |v7|, |v7|
	v_max_f32_e32 v4, v8, v4
	s_mov_b32 s2, 0x7ed413cb
	v_cmp_nle_f32_e64 s[2:3], s2, v4
                                        ; implicit-def: $sgpr20_sgpr21
	s_and_saveexec_b64 s[4:5], s[2:3]
	s_xor_b64 s[4:5], exec, s[4:5]
	s_cbranch_execz .LBB179_172
; %bb.169:
	s_mov_b32 s7, 0x1000000
	v_cmp_le_f32_e64 s[20:21], |v7|, s7
	v_cmp_le_f32_e64 s[22:23], |v6|, s7
	s_and_b64 s[26:27], s[20:21], s[22:23]
	s_mov_b64 s[20:21], 0
	s_and_saveexec_b64 s[22:23], s[26:27]
; %bb.170:
	s_mov_b64 s[20:21], exec
	v_pk_mul_f32 v[6:7], v[6:7], 4.0 op_sel_hi:[1,0]
; %bb.171:
	s_or_b64 exec, exec, s[22:23]
.LBB179_172:
	s_andn2_saveexec_b64 s[4:5], s[4:5]
; %bb.173:
	s_mov_b32 s22, 0x3e800000
	v_pk_mul_f32 v[6:7], v[6:7], s[22:23] op_sel_hi:[1,0]
	s_andn2_b64 s[20:21], s[20:21], exec
; %bb.174:
	s_or_b64 exec, exec, s[4:5]
	v_max_f32_e64 v4, |v6|, |v6|
	v_max_f32_e64 v8, |v7|, |v7|
	v_max_f32_e32 v4, v8, v4
	v_cvt_f64_f32_e32 v[8:9], v4
	v_frexp_exp_i32_f64_e32 v8, v[8:9]
	v_sub_u32_e32 v9, 0, v8
	v_ldexp_f32 v10, |v7|, v9
	v_ldexp_f32 v9, |v6|, v9
	v_mul_f32_e32 v9, v9, v9
	v_fmac_f32_e32 v9, v10, v10
	v_sqrt_f32_e32 v9, v9
	s_mov_b32 s4, 0x7f800000
	v_cmp_neq_f32_e64 s[4:5], s4, v4
	v_cmp_le_f32_e32 vcc, 0, v7
	v_ldexp_f32 v8, v9, v8
	v_mov_b32_e32 v9, 0x7f800000
	v_cndmask_b32_e64 v4, v9, v8, s[4:5]
                                        ; implicit-def: $vgpr10_vgpr11
	s_and_saveexec_b64 s[4:5], vcc
	s_xor_b64 s[22:23], exec, s[4:5]
	s_cbranch_execz .LBB179_176
; %bb.175:
	v_add_f32_e32 v4, v7, v4
	v_mul_f32_e32 v4, 0.5, v4
	s_mov_b32 s4, 0xf800000
	v_mul_f32_e32 v7, 0x4f800000, v4
	v_cmp_gt_f32_e32 vcc, s4, v4
	s_nop 1
	v_cndmask_b32_e32 v4, v4, v7, vcc
	v_sqrt_f32_e32 v7, v4
	s_nop 0
	v_add_u32_e32 v8, -1, v7
	v_fma_f32 v9, -v8, v7, v4
	v_cmp_ge_f32_e64 s[4:5], 0, v9
	v_add_u32_e32 v9, 1, v7
	s_nop 0
	v_cndmask_b32_e64 v8, v7, v8, s[4:5]
	v_fma_f32 v7, -v9, v7, v4
	v_cmp_lt_f32_e64 s[4:5], 0, v7
	s_nop 1
	v_cndmask_b32_e64 v7, v8, v9, s[4:5]
	v_mul_f32_e32 v8, 0x37800000, v7
	v_cndmask_b32_e32 v7, v7, v8, vcc
	v_mov_b32_e32 v8, 0x260
	v_cmp_class_f32_e32 vcc, v4, v8
	s_nop 1
	v_cndmask_b32_e32 v10, v7, v4, vcc
	v_add_f32_e32 v4, v10, v10
	v_div_scale_f32 v7, s[4:5], v4, v4, v6
	v_rcp_f32_e32 v8, v7
	s_nop 0
	v_fma_f32 v9, -v7, v8, 1.0
	v_fmac_f32_e32 v8, v9, v8
	v_div_scale_f32 v9, vcc, v6, v4, v6
	v_mul_f32_e32 v11, v9, v8
	v_fma_f32 v12, -v7, v11, v9
	v_fmac_f32_e32 v11, v12, v8
	v_fma_f32 v7, -v7, v11, v9
	v_div_fmas_f32 v7, v7, v8, v11
	v_div_fixup_f32 v11, v7, v4, v6
                                        ; implicit-def: $vgpr4
                                        ; implicit-def: $vgpr6_vgpr7
	s_andn2_saveexec_b64 s[22:23], s[22:23]
	s_cbranch_execz .LBB179_178
	s_branch .LBB179_177
.LBB179_176:
	s_andn2_saveexec_b64 s[22:23], s[22:23]
	s_cbranch_execz .LBB179_178
.LBB179_177:
	v_sub_f32_e32 v4, v4, v7
	v_mul_f32_e32 v4, 0.5, v4
	s_mov_b32 s4, 0xf800000
	v_mul_f32_e32 v7, 0x4f800000, v4
	v_cmp_gt_f32_e32 vcc, s4, v4
	s_nop 1
	v_cndmask_b32_e32 v4, v4, v7, vcc
	v_sqrt_f32_e32 v7, v4
	s_nop 0
	v_add_u32_e32 v8, -1, v7
	v_fma_f32 v9, -v8, v7, v4
	v_cmp_ge_f32_e64 s[4:5], 0, v9
	v_add_u32_e32 v9, 1, v7
	s_nop 0
	v_cndmask_b32_e64 v8, v7, v8, s[4:5]
	v_fma_f32 v7, -v9, v7, v4
	v_cmp_lt_f32_e64 s[4:5], 0, v7
	s_nop 1
	v_cndmask_b32_e64 v7, v8, v9, s[4:5]
	v_mul_f32_e32 v8, 0x37800000, v7
	v_cndmask_b32_e32 v7, v7, v8, vcc
	v_mov_b32_e32 v8, 0x260
	v_cmp_class_f32_e32 vcc, v4, v8
	v_and_b32_e32 v8, 0x7fffffff, v6
	s_nop 0
	v_cndmask_b32_e32 v4, v7, v4, vcc
	v_add_f32_e32 v7, v4, v4
	v_div_scale_f32 v9, s[4:5], v7, v7, v8
	v_rcp_f32_e32 v10, v9
	v_div_scale_f32 v8, vcc, v8, v7, v8
	s_brev_b32 s4, -2
	v_fma_f32 v11, -v9, v10, 1.0
	v_fmac_f32_e32 v10, v11, v10
	v_mul_f32_e32 v11, v8, v10
	v_fma_f32 v12, -v9, v11, v8
	v_fmac_f32_e32 v11, v12, v10
	v_fma_f32 v8, -v9, v11, v8
	v_div_fmas_f32 v8, v8, v10, v11
	v_div_fixup_f32 v10, v8, v7, |v6|
	v_bfi_b32 v11, s4, v4, v6
.LBB179_178:
	s_or_b64 exec, exec, s[22:23]
                                        ; implicit-def: $vgpr6
                                        ; implicit-def: $vgpr8
	s_and_saveexec_b64 s[4:5], s[2:3]
	s_xor_b64 s[2:3], exec, s[4:5]
	s_cbranch_execz .LBB179_180
; %bb.179:
	v_pk_mul_f32 v[6:7], v[10:11], 0.5 op_sel_hi:[1,0]
	s_nop 0
	v_cndmask_b32_e64 v8, v10, v6, s[20:21]
	v_cndmask_b32_e64 v6, v11, v7, s[20:21]
                                        ; implicit-def: $vgpr10_vgpr11
	s_andn2_saveexec_b64 s[2:3], s[2:3]
	s_cbranch_execnz .LBB179_181
	s_branch .LBB179_182
.LBB179_180:
	s_andn2_saveexec_b64 s[2:3], s[2:3]
.LBB179_181:
	v_pk_add_f32 v[8:9], v[10:11], v[10:11]
	s_nop 0
	v_mov_b32_e32 v6, v9
.LBB179_182:
	s_or_b64 exec, exec, s[2:3]
                                        ; implicit-def: $vgpr9
.LBB179_183:
	s_andn2_saveexec_b64 s[2:3], s[18:19]
	s_cbranch_execz .LBB179_189
; %bb.184:
	v_and_b32_e32 v4, 0x8000, v9
	v_cmp_ne_u32_e32 vcc, 0, v4
	v_sub_f32_e32 v4, v6, v6
                                        ; implicit-def: $vgpr8
	s_and_saveexec_b64 s[4:5], vcc
	s_xor_b64 s[4:5], exec, s[4:5]
; %bb.185:
	s_brev_b32 s7, -2
	v_and_b32_e32 v8, 0x7fffffff, v4
	v_bfi_b32 v6, s7, v7, v6
                                        ; implicit-def: $vgpr4
; %bb.186:
	s_andn2_saveexec_b64 s[4:5], s[4:5]
; %bb.187:
	s_brev_b32 s7, -2
	v_bfi_b32 v6, s7, v4, v6
	v_mov_b32_e32 v8, v7
; %bb.188:
	s_or_b64 exec, exec, s[4:5]
.LBB179_189:
	s_or_b64 exec, exec, s[2:3]
.LBB179_190:
	s_andn2_saveexec_b64 s[2:3], s[16:17]
	s_cbranch_execz .LBB179_192
; %bb.191:
	v_sub_f32_e32 v4, v6, v6
	v_div_scale_f32 v6, vcc, v4, v4, v4
	v_rcp_f32_e32 v8, v6
	s_nop 0
	v_fma_f32 v9, -v6, v8, 1.0
	v_fmac_f32_e32 v8, v9, v8
	v_mul_f32_e32 v9, v6, v8
	v_fma_f32 v10, -v6, v9, v6
	v_fmac_f32_e32 v9, v10, v8
	v_fma_f32 v6, -v6, v9, v6
	v_div_fmas_f32 v6, v6, v8, v9
	v_div_fixup_f32 v6, v6, v4, v4
	v_mov_b32_e32 v8, v7
.LBB179_192:
	s_or_b64 exec, exec, s[2:3]
.LBB179_193:
	s_or_b64 exec, exec, s[14:15]
.LBB179_194:
	s_or_b64 exec, exec, s[12:13]
	v_cmp_gt_f32_e32 vcc, 0, v6
                                        ; implicit-def: $vgpr10_vgpr11
	s_nop 1
	v_cndmask_b32_e64 v7, v6, -v6, vcc
	v_cmp_gt_f32_e32 vcc, 0, v8
	s_nop 1
	v_cndmask_b32_e64 v4, v8, -v8, vcc
	v_cmp_ge_f32_e32 vcc, v4, v7
	s_and_saveexec_b64 s[2:3], vcc
	s_xor_b64 s[4:5], exec, s[2:3]
	s_cbranch_execz .LBB179_200
; %bb.195:
	v_cmp_neq_f32_e32 vcc, 0, v8
	v_cmp_neq_f32_e64 s[2:3], 0, v6
	s_or_b64 s[2:3], vcc, s[2:3]
                                        ; implicit-def: $vgpr10_vgpr11
	s_and_saveexec_b64 s[12:13], s[2:3]
	s_xor_b64 s[2:3], exec, s[12:13]
	s_cbranch_execz .LBB179_197
; %bb.196:
	v_div_scale_f32 v4, s[12:13], v8, v8, v6
	v_rcp_f32_e32 v7, v4
	v_div_scale_f32 v9, vcc, v6, v8, v6
	v_fma_f32 v10, -v4, v7, 1.0
	v_fmac_f32_e32 v7, v10, v7
	v_mul_f32_e32 v10, v9, v7
	v_fma_f32 v11, -v4, v10, v9
	v_fmac_f32_e32 v10, v11, v7
	v_fma_f32 v4, -v4, v10, v9
	v_div_fmas_f32 v4, v4, v7, v10
	v_div_fixup_f32 v7, v4, v8, v6
	v_fmac_f32_e32 v8, v6, v7
	v_div_scale_f32 v4, s[12:13], v8, v8, 1.0
	v_rcp_f32_e32 v6, v4
	s_nop 0
	v_fma_f32 v9, -v4, v6, 1.0
	v_fmac_f32_e32 v6, v9, v6
	v_div_scale_f32 v9, vcc, 1.0, v8, 1.0
	v_mul_f32_e32 v10, v9, v6
	v_fma_f32 v11, -v4, v10, v9
	v_fmac_f32_e32 v10, v11, v6
	v_fma_f32 v4, -v4, v10, v9
	v_div_fmas_f32 v4, v4, v6, v10
	v_mul_f32_e32 v6, 0, v7
	v_div_fixup_f32 v4, v4, v8, 1.0
	v_add_f32_e32 v6, 1.0, v6
	v_sub_f32_e32 v7, 0, v7
	v_pk_mul_f32 v[10:11], v[6:7], v[4:5] op_sel_hi:[1,0]
                                        ; implicit-def: $vgpr7
                                        ; implicit-def: $vgpr4
.LBB179_197:
	s_andn2_saveexec_b64 s[2:3], s[2:3]
	s_cbranch_execz .LBB179_199
; %bb.198:
	v_div_scale_f32 v6, s[12:13], v7, v7, 0
	v_rcp_f32_e32 v8, v6
	v_div_scale_f32 v9, vcc, 0, v7, 0
	v_fma_f32 v10, -v6, v8, 1.0
	v_fmac_f32_e32 v8, v10, v8
	v_mul_f32_e32 v10, v9, v8
	v_fma_f32 v11, -v6, v10, v9
	v_fmac_f32_e32 v10, v11, v8
	v_fma_f32 v6, -v6, v10, v9
	v_div_scale_f32 v9, s[12:13], v4, v4, 1.0
	v_rcp_f32_e32 v12, v9
	v_div_fmas_f32 v6, v6, v8, v10
	v_div_fixup_f32 v11, v6, v7, 0
	v_fma_f32 v6, -v9, v12, 1.0
	v_fmac_f32_e32 v12, v6, v12
	v_div_scale_f32 v6, vcc, 1.0, v4, 1.0
	v_mul_f32_e32 v7, v6, v12
	v_fma_f32 v8, -v9, v7, v6
	v_fmac_f32_e32 v7, v8, v12
	v_fma_f32 v6, -v9, v7, v6
	v_div_fmas_f32 v6, v6, v12, v7
	v_div_fixup_f32 v10, v6, v4, 1.0
.LBB179_199:
	s_or_b64 exec, exec, s[2:3]
                                        ; implicit-def: $vgpr6
                                        ; implicit-def: $vgpr8
.LBB179_200:
	s_andn2_saveexec_b64 s[2:3], s[4:5]
	s_cbranch_execz .LBB179_202
; %bb.201:
	v_div_scale_f32 v4, s[4:5], v6, v6, v8
	v_rcp_f32_e32 v7, v4
	v_div_scale_f32 v9, vcc, v8, v6, v8
	v_fma_f32 v10, -v4, v7, 1.0
	v_fmac_f32_e32 v7, v10, v7
	v_mul_f32_e32 v10, v9, v7
	v_fma_f32 v11, -v4, v10, v9
	v_fmac_f32_e32 v10, v11, v7
	v_fma_f32 v4, -v4, v10, v9
	v_div_fmas_f32 v4, v4, v7, v10
	v_div_fixup_f32 v10, v4, v6, v8
	v_fmac_f32_e32 v6, v8, v10
	v_div_scale_f32 v4, s[4:5], v6, v6, 1.0
	v_rcp_f32_e32 v7, v4
	s_mov_b32 s4, 0
	s_mov_b32 s5, -1.0
	v_fma_f32 v8, -v4, v7, 1.0
	v_fmac_f32_e32 v7, v8, v7
	v_div_scale_f32 v8, vcc, 1.0, v6, 1.0
	v_mul_f32_e32 v9, v8, v7
	v_fma_f32 v11, -v4, v9, v8
	v_fmac_f32_e32 v9, v11, v7
	v_fma_f32 v4, -v4, v9, v8
	v_div_fmas_f32 v4, v4, v7, v9
	v_mul_f32_e32 v11, 0, v10
	v_div_fixup_f32 v4, v4, v6, 1.0
	v_pk_add_f32 v[6:7], v[10:11], s[4:5]
	s_nop 0
	v_pk_mul_f32 v[10:11], v[6:7], v[4:5] op_sel_hi:[1,0]
.LBB179_202:
	s_or_b64 exec, exec, s[2:3]
	v_cvt_f16_f32_e32 v4, v10
	v_cvt_f16_f32_sdwa v6, v11 dst_sel:WORD_1 dst_unused:UNUSED_PAD src0_sel:DWORD
	s_nop 0
	v_or_b32_e32 v12, v6, v4
.LBB179_203:
	s_or_b64 exec, exec, s[10:11]
	v_or_b32_e32 v13, 0x100, v0
	v_cmp_gt_i32_e32 vcc, s24, v13
                                        ; implicit-def: $vgpr10
	s_and_saveexec_b64 s[10:11], vcc
	s_cbranch_execz .LBB179_243
; %bb.204:
	s_waitcnt vmcnt(0)
	v_cvt_f32_f16_sdwa v6, v3 dst_sel:DWORD dst_unused:UNUSED_PAD src0_sel:WORD_1
	v_mov_b32_e32 v8, 0
	v_cmp_neq_f16_e32 vcc, 0, v3
	v_cmp_neq_f16_sdwa s[2:3], v3, v8 src0_sel:WORD_1 src1_sel:DWORD
	s_or_b64 s[2:3], vcc, s[2:3]
	s_and_saveexec_b64 s[12:13], s[2:3]
	s_cbranch_execz .LBB179_234
; %bb.205:
	v_cvt_f32_f16_e32 v7, v3
	v_mov_b32_e32 v8, 0x7f800000
	v_cmp_neq_f32_e64 s[2:3], |v6|, v8
	s_and_saveexec_b64 s[14:15], s[2:3]
	s_cbranch_execz .LBB179_233
; %bb.206:
	v_cmp_o_f16_e32 vcc, v3, v3
                                        ; implicit-def: $vgpr8
	s_and_saveexec_b64 s[2:3], vcc
	s_xor_b64 s[16:17], exec, s[2:3]
	s_cbranch_execz .LBB179_230
; %bb.207:
	s_mov_b32 s2, 0x7f800000
	v_cmp_neq_f32_e64 s[2:3], |v7|, s2
                                        ; implicit-def: $vgpr8
	s_and_saveexec_b64 s[4:5], s[2:3]
	s_xor_b64 s[18:19], exec, s[4:5]
	s_cbranch_execz .LBB179_223
; %bb.208:
	v_max_f32_e64 v3, |v6|, |v6|
	v_max_f32_e64 v4, |v7|, |v7|
	v_max_f32_e32 v3, v4, v3
	s_mov_b32 s2, 0x7ed413cb
	v_cmp_nle_f32_e64 s[2:3], s2, v3
                                        ; implicit-def: $sgpr20_sgpr21
	s_and_saveexec_b64 s[4:5], s[2:3]
	s_xor_b64 s[4:5], exec, s[4:5]
	s_cbranch_execz .LBB179_212
; %bb.209:
	s_mov_b32 s7, 0x1000000
	v_cmp_le_f32_e64 s[20:21], |v7|, s7
	v_cmp_le_f32_e64 s[22:23], |v6|, s7
	s_and_b64 s[26:27], s[20:21], s[22:23]
	s_mov_b64 s[20:21], 0
	s_and_saveexec_b64 s[22:23], s[26:27]
; %bb.210:
	s_mov_b64 s[20:21], exec
	v_pk_mul_f32 v[6:7], v[6:7], 4.0 op_sel_hi:[1,0]
; %bb.211:
	s_or_b64 exec, exec, s[22:23]
.LBB179_212:
	s_andn2_saveexec_b64 s[4:5], s[4:5]
; %bb.213:
	s_mov_b32 s22, 0x3e800000
	v_pk_mul_f32 v[6:7], v[6:7], s[22:23] op_sel_hi:[1,0]
	s_andn2_b64 s[20:21], s[20:21], exec
; %bb.214:
	s_or_b64 exec, exec, s[4:5]
	v_max_f32_e64 v3, |v6|, |v6|
	v_max_f32_e64 v4, |v7|, |v7|
	v_max_f32_e32 v3, v4, v3
	v_cvt_f64_f32_e32 v[8:9], v3
	v_frexp_exp_i32_f64_e32 v4, v[8:9]
	v_sub_u32_e32 v8, 0, v4
	v_ldexp_f32 v9, |v7|, v8
	v_ldexp_f32 v8, |v6|, v8
	v_mul_f32_e32 v8, v8, v8
	v_fmac_f32_e32 v8, v9, v9
	v_sqrt_f32_e32 v8, v8
	s_mov_b32 s4, 0x7f800000
	v_cmp_neq_f32_e64 s[4:5], s4, v3
	v_cmp_le_f32_e32 vcc, 0, v7
	v_ldexp_f32 v4, v8, v4
	v_mov_b32_e32 v8, 0x7f800000
	v_cndmask_b32_e64 v3, v8, v4, s[4:5]
                                        ; implicit-def: $vgpr10_vgpr11
	s_and_saveexec_b64 s[4:5], vcc
	s_xor_b64 s[22:23], exec, s[4:5]
	s_cbranch_execz .LBB179_216
; %bb.215:
	v_add_f32_e32 v3, v7, v3
	v_mul_f32_e32 v3, 0.5, v3
	s_mov_b32 s4, 0xf800000
	v_mul_f32_e32 v4, 0x4f800000, v3
	v_cmp_gt_f32_e32 vcc, s4, v3
	s_nop 1
	v_cndmask_b32_e32 v3, v3, v4, vcc
	v_sqrt_f32_e32 v4, v3
	s_nop 0
	v_add_u32_e32 v7, -1, v4
	v_fma_f32 v8, -v7, v4, v3
	v_cmp_ge_f32_e64 s[4:5], 0, v8
	v_add_u32_e32 v8, 1, v4
	s_nop 0
	v_cndmask_b32_e64 v7, v4, v7, s[4:5]
	v_fma_f32 v4, -v8, v4, v3
	v_cmp_lt_f32_e64 s[4:5], 0, v4
	s_nop 1
	v_cndmask_b32_e64 v4, v7, v8, s[4:5]
	v_mul_f32_e32 v7, 0x37800000, v4
	v_cndmask_b32_e32 v4, v4, v7, vcc
	v_mov_b32_e32 v7, 0x260
	v_cmp_class_f32_e32 vcc, v3, v7
	s_nop 1
	v_cndmask_b32_e32 v10, v4, v3, vcc
	v_add_f32_e32 v3, v10, v10
	v_div_scale_f32 v4, s[4:5], v3, v3, v6
	v_rcp_f32_e32 v7, v4
	s_nop 0
	v_fma_f32 v8, -v4, v7, 1.0
	v_fmac_f32_e32 v7, v8, v7
	v_div_scale_f32 v8, vcc, v6, v3, v6
	v_mul_f32_e32 v9, v8, v7
	v_fma_f32 v11, -v4, v9, v8
	v_fmac_f32_e32 v9, v11, v7
	v_fma_f32 v4, -v4, v9, v8
	v_div_fmas_f32 v4, v4, v7, v9
	v_div_fixup_f32 v11, v4, v3, v6
                                        ; implicit-def: $vgpr3
                                        ; implicit-def: $vgpr6_vgpr7
	s_andn2_saveexec_b64 s[22:23], s[22:23]
	s_cbranch_execz .LBB179_218
	s_branch .LBB179_217
.LBB179_216:
	s_andn2_saveexec_b64 s[22:23], s[22:23]
	s_cbranch_execz .LBB179_218
.LBB179_217:
	v_sub_f32_e32 v3, v3, v7
	v_mul_f32_e32 v3, 0.5, v3
	s_mov_b32 s4, 0xf800000
	v_mul_f32_e32 v4, 0x4f800000, v3
	v_cmp_gt_f32_e32 vcc, s4, v3
	s_nop 1
	v_cndmask_b32_e32 v3, v3, v4, vcc
	v_sqrt_f32_e32 v4, v3
	s_nop 0
	v_add_u32_e32 v7, -1, v4
	v_fma_f32 v8, -v7, v4, v3
	v_cmp_ge_f32_e64 s[4:5], 0, v8
	v_add_u32_e32 v8, 1, v4
	s_nop 0
	v_cndmask_b32_e64 v7, v4, v7, s[4:5]
	v_fma_f32 v4, -v8, v4, v3
	v_cmp_lt_f32_e64 s[4:5], 0, v4
	s_nop 1
	v_cndmask_b32_e64 v4, v7, v8, s[4:5]
	v_mul_f32_e32 v7, 0x37800000, v4
	v_cndmask_b32_e32 v4, v4, v7, vcc
	v_mov_b32_e32 v7, 0x260
	v_cmp_class_f32_e32 vcc, v3, v7
	v_and_b32_e32 v7, 0x7fffffff, v6
	s_nop 0
	v_cndmask_b32_e32 v3, v4, v3, vcc
	v_add_f32_e32 v4, v3, v3
	v_div_scale_f32 v8, s[4:5], v4, v4, v7
	v_rcp_f32_e32 v9, v8
	v_div_scale_f32 v7, vcc, v7, v4, v7
	s_brev_b32 s4, -2
	v_fma_f32 v10, -v8, v9, 1.0
	v_fmac_f32_e32 v9, v10, v9
	v_mul_f32_e32 v10, v7, v9
	v_fma_f32 v11, -v8, v10, v7
	v_fmac_f32_e32 v10, v11, v9
	v_fma_f32 v7, -v8, v10, v7
	v_div_fmas_f32 v7, v7, v9, v10
	v_div_fixup_f32 v10, v7, v4, |v6|
	v_bfi_b32 v11, s4, v3, v6
.LBB179_218:
	s_or_b64 exec, exec, s[22:23]
                                        ; implicit-def: $vgpr6
                                        ; implicit-def: $vgpr8
	s_and_saveexec_b64 s[4:5], s[2:3]
	s_xor_b64 s[2:3], exec, s[4:5]
	s_cbranch_execz .LBB179_220
; %bb.219:
	v_pk_mul_f32 v[6:7], v[10:11], 0.5 op_sel_hi:[1,0]
	s_nop 0
	v_cndmask_b32_e64 v8, v10, v6, s[20:21]
	v_cndmask_b32_e64 v6, v11, v7, s[20:21]
                                        ; implicit-def: $vgpr10_vgpr11
	s_andn2_saveexec_b64 s[2:3], s[2:3]
	s_cbranch_execnz .LBB179_221
	s_branch .LBB179_222
.LBB179_220:
	s_andn2_saveexec_b64 s[2:3], s[2:3]
.LBB179_221:
	v_pk_add_f32 v[8:9], v[10:11], v[10:11]
	s_nop 0
	v_mov_b32_e32 v6, v9
.LBB179_222:
	s_or_b64 exec, exec, s[2:3]
.LBB179_223:
	s_andn2_saveexec_b64 s[2:3], s[18:19]
	s_cbranch_execz .LBB179_229
; %bb.224:
	v_and_b32_e32 v3, 0x8000, v3
	v_cmp_ne_u32_e32 vcc, 0, v3
	v_sub_f32_e32 v3, v6, v6
                                        ; implicit-def: $vgpr8
	s_and_saveexec_b64 s[4:5], vcc
	s_xor_b64 s[4:5], exec, s[4:5]
; %bb.225:
	s_brev_b32 s7, -2
	v_and_b32_e32 v8, 0x7fffffff, v3
	v_bfi_b32 v6, s7, v7, v6
                                        ; implicit-def: $vgpr3
; %bb.226:
	s_andn2_saveexec_b64 s[4:5], s[4:5]
; %bb.227:
	s_brev_b32 s7, -2
	v_bfi_b32 v6, s7, v3, v6
	v_mov_b32_e32 v8, v7
; %bb.228:
	s_or_b64 exec, exec, s[4:5]
.LBB179_229:
	s_or_b64 exec, exec, s[2:3]
.LBB179_230:
	s_andn2_saveexec_b64 s[2:3], s[16:17]
	s_cbranch_execz .LBB179_232
; %bb.231:
	v_sub_f32_e32 v3, v6, v6
	v_div_scale_f32 v4, vcc, v3, v3, v3
	v_rcp_f32_e32 v6, v4
	s_nop 0
	v_fma_f32 v8, -v4, v6, 1.0
	v_fmac_f32_e32 v6, v8, v6
	v_mul_f32_e32 v8, v4, v6
	v_fma_f32 v9, -v4, v8, v4
	v_fmac_f32_e32 v8, v9, v6
	v_fma_f32 v4, -v4, v8, v4
	v_div_fmas_f32 v4, v4, v6, v8
	v_div_fixup_f32 v6, v4, v3, v3
	v_mov_b32_e32 v8, v7
.LBB179_232:
	s_or_b64 exec, exec, s[2:3]
.LBB179_233:
	s_or_b64 exec, exec, s[14:15]
.LBB179_234:
	s_or_b64 exec, exec, s[12:13]
	v_cmp_gt_f32_e32 vcc, 0, v6
                                        ; implicit-def: $vgpr10_vgpr11
	s_nop 1
	v_cndmask_b32_e64 v4, v6, -v6, vcc
	v_cmp_gt_f32_e32 vcc, 0, v8
	s_nop 1
	v_cndmask_b32_e64 v3, v8, -v8, vcc
	v_cmp_ge_f32_e32 vcc, v3, v4
	s_and_saveexec_b64 s[2:3], vcc
	s_xor_b64 s[4:5], exec, s[2:3]
	s_cbranch_execz .LBB179_240
; %bb.235:
	v_cmp_neq_f32_e32 vcc, 0, v8
	v_cmp_neq_f32_e64 s[2:3], 0, v6
	s_or_b64 s[2:3], vcc, s[2:3]
                                        ; implicit-def: $vgpr10_vgpr11
	s_and_saveexec_b64 s[12:13], s[2:3]
	s_xor_b64 s[2:3], exec, s[12:13]
	s_cbranch_execz .LBB179_237
; %bb.236:
	v_div_scale_f32 v3, s[12:13], v8, v8, v6
	v_rcp_f32_e32 v4, v3
	v_div_scale_f32 v7, vcc, v6, v8, v6
	v_fma_f32 v9, -v3, v4, 1.0
	v_fmac_f32_e32 v4, v9, v4
	v_mul_f32_e32 v9, v7, v4
	v_fma_f32 v10, -v3, v9, v7
	v_fmac_f32_e32 v9, v10, v4
	v_fma_f32 v3, -v3, v9, v7
	v_div_fmas_f32 v3, v3, v4, v9
	v_div_fixup_f32 v3, v3, v8, v6
	v_fmac_f32_e32 v8, v6, v3
	v_div_scale_f32 v4, s[12:13], v8, v8, 1.0
	v_rcp_f32_e32 v6, v4
	s_nop 0
	v_fma_f32 v7, -v4, v6, 1.0
	v_fmac_f32_e32 v6, v7, v6
	v_div_scale_f32 v7, vcc, 1.0, v8, 1.0
	v_mul_f32_e32 v9, v7, v6
	v_fma_f32 v10, -v4, v9, v7
	v_fmac_f32_e32 v9, v10, v6
	v_fma_f32 v4, -v4, v9, v7
	v_div_fmas_f32 v4, v4, v6, v9
	v_mul_f32_e32 v6, 0, v3
	v_div_fixup_f32 v4, v4, v8, 1.0
	v_add_f32_e32 v6, 1.0, v6
	v_sub_f32_e32 v7, 0, v3
	v_pk_mul_f32 v[10:11], v[6:7], v[4:5] op_sel_hi:[1,0]
                                        ; implicit-def: $vgpr4
                                        ; implicit-def: $vgpr3
.LBB179_237:
	s_andn2_saveexec_b64 s[2:3], s[2:3]
	s_cbranch_execz .LBB179_239
; %bb.238:
	v_div_scale_f32 v6, s[12:13], v4, v4, 0
	v_rcp_f32_e32 v7, v6
	v_div_scale_f32 v8, vcc, 0, v4, 0
	v_fma_f32 v9, -v6, v7, 1.0
	v_fmac_f32_e32 v7, v9, v7
	v_mul_f32_e32 v9, v8, v7
	v_fma_f32 v10, -v6, v9, v8
	v_fmac_f32_e32 v9, v10, v7
	v_fma_f32 v6, -v6, v9, v8
	v_div_scale_f32 v8, s[12:13], v3, v3, 1.0
	v_rcp_f32_e32 v10, v8
	v_div_fmas_f32 v6, v6, v7, v9
	v_div_fixup_f32 v11, v6, v4, 0
	v_fma_f32 v4, -v8, v10, 1.0
	v_fmac_f32_e32 v10, v4, v10
	v_div_scale_f32 v4, vcc, 1.0, v3, 1.0
	v_mul_f32_e32 v6, v4, v10
	v_fma_f32 v7, -v8, v6, v4
	v_fmac_f32_e32 v6, v7, v10
	v_fma_f32 v4, -v8, v6, v4
	v_div_fmas_f32 v4, v4, v10, v6
	v_div_fixup_f32 v10, v4, v3, 1.0
.LBB179_239:
	s_or_b64 exec, exec, s[2:3]
                                        ; implicit-def: $vgpr6
                                        ; implicit-def: $vgpr8
.LBB179_240:
	s_andn2_saveexec_b64 s[2:3], s[4:5]
	s_cbranch_execz .LBB179_242
; %bb.241:
	v_div_scale_f32 v3, s[4:5], v6, v6, v8
	v_rcp_f32_e32 v4, v3
	v_div_scale_f32 v7, vcc, v8, v6, v8
	v_fma_f32 v9, -v3, v4, 1.0
	v_fmac_f32_e32 v4, v9, v4
	v_mul_f32_e32 v9, v7, v4
	v_fma_f32 v10, -v3, v9, v7
	v_fmac_f32_e32 v9, v10, v4
	v_fma_f32 v3, -v3, v9, v7
	v_div_fmas_f32 v3, v3, v4, v9
	v_div_fixup_f32 v10, v3, v6, v8
	v_fmac_f32_e32 v6, v8, v10
	v_div_scale_f32 v3, s[4:5], v6, v6, 1.0
	v_rcp_f32_e32 v4, v3
	s_mov_b32 s4, 0
	s_mov_b32 s5, -1.0
	v_mul_f32_e32 v11, 0, v10
	v_fma_f32 v7, -v3, v4, 1.0
	v_fmac_f32_e32 v4, v7, v4
	v_div_scale_f32 v7, vcc, 1.0, v6, 1.0
	v_mul_f32_e32 v8, v7, v4
	v_fma_f32 v9, -v3, v8, v7
	v_fmac_f32_e32 v8, v9, v4
	v_fma_f32 v3, -v3, v8, v7
	v_div_fmas_f32 v3, v3, v4, v8
	v_div_fixup_f32 v4, v3, v6, 1.0
	v_pk_add_f32 v[6:7], v[10:11], s[4:5]
	s_nop 0
	v_pk_mul_f32 v[10:11], v[6:7], v[4:5] op_sel_hi:[1,0]
.LBB179_242:
	s_or_b64 exec, exec, s[2:3]
	v_cvt_f16_f32_e32 v3, v10
	v_cvt_f16_f32_sdwa v4, v11 dst_sel:WORD_1 dst_unused:UNUSED_PAD src0_sel:DWORD
	s_nop 0
	v_or_b32_e32 v10, v4, v3
.LBB179_243:
	s_or_b64 exec, exec, s[10:11]
	s_waitcnt vmcnt(0)
	v_or_b32_e32 v3, 0x200, v0
	v_cmp_gt_i32_e32 vcc, s24, v3
                                        ; implicit-def: $vgpr11
	s_and_saveexec_b64 s[10:11], vcc
	s_cbranch_execz .LBB179_283
; %bb.244:
	v_cvt_f32_f16_sdwa v6, v5 dst_sel:DWORD dst_unused:UNUSED_PAD src0_sel:WORD_1
	v_mov_b32_e32 v4, 0
	v_cmp_neq_f16_e32 vcc, 0, v5
	v_cmp_neq_f16_sdwa s[2:3], v5, v4 src0_sel:WORD_1 src1_sel:DWORD
	s_or_b64 s[2:3], vcc, s[2:3]
	s_and_saveexec_b64 s[12:13], s[2:3]
	s_cbranch_execz .LBB179_274
; %bb.245:
	v_cvt_f32_f16_e32 v7, v5
	v_mov_b32_e32 v4, 0x7f800000
	v_cmp_neq_f32_e64 s[2:3], |v6|, v4
	s_and_saveexec_b64 s[14:15], s[2:3]
	s_cbranch_execz .LBB179_273
; %bb.246:
	v_cmp_o_f16_e32 vcc, v5, v5
                                        ; implicit-def: $vgpr4
	s_and_saveexec_b64 s[2:3], vcc
	s_xor_b64 s[16:17], exec, s[2:3]
	s_cbranch_execz .LBB179_270
; %bb.247:
	s_mov_b32 s2, 0x7f800000
	v_cmp_neq_f32_e64 s[2:3], |v7|, s2
                                        ; implicit-def: $vgpr4
	s_and_saveexec_b64 s[4:5], s[2:3]
	s_xor_b64 s[18:19], exec, s[4:5]
	s_cbranch_execz .LBB179_263
; %bb.248:
	v_max_f32_e64 v3, |v6|, |v6|
	v_max_f32_e64 v4, |v7|, |v7|
	v_max_f32_e32 v3, v4, v3
	s_mov_b32 s2, 0x7ed413cb
	v_cmp_nle_f32_e64 s[2:3], s2, v3
                                        ; implicit-def: $sgpr20_sgpr21
	s_and_saveexec_b64 s[4:5], s[2:3]
	s_xor_b64 s[4:5], exec, s[4:5]
	s_cbranch_execz .LBB179_252
; %bb.249:
	s_mov_b32 s7, 0x1000000
	v_cmp_le_f32_e64 s[20:21], |v7|, s7
	v_cmp_le_f32_e64 s[22:23], |v6|, s7
	s_and_b64 s[26:27], s[20:21], s[22:23]
	s_mov_b64 s[20:21], 0
	s_and_saveexec_b64 s[22:23], s[26:27]
; %bb.250:
	s_mov_b64 s[20:21], exec
	v_pk_mul_f32 v[6:7], v[6:7], 4.0 op_sel_hi:[1,0]
; %bb.251:
	s_or_b64 exec, exec, s[22:23]
.LBB179_252:
	s_andn2_saveexec_b64 s[4:5], s[4:5]
; %bb.253:
	s_mov_b32 s22, 0x3e800000
	v_pk_mul_f32 v[6:7], v[6:7], s[22:23] op_sel_hi:[1,0]
	s_andn2_b64 s[20:21], s[20:21], exec
; %bb.254:
	s_or_b64 exec, exec, s[4:5]
	v_max_f32_e64 v3, |v6|, |v6|
	v_max_f32_e64 v4, |v7|, |v7|
	v_max_f32_e32 v3, v4, v3
	v_cvt_f64_f32_e32 v[4:5], v3
	v_frexp_exp_i32_f64_e32 v4, v[4:5]
	v_sub_u32_e32 v5, 0, v4
	v_ldexp_f32 v8, |v7|, v5
	v_ldexp_f32 v5, |v6|, v5
	v_mul_f32_e32 v5, v5, v5
	v_fmac_f32_e32 v5, v8, v8
	v_sqrt_f32_e32 v5, v5
	s_mov_b32 s4, 0x7f800000
	v_cmp_neq_f32_e64 s[4:5], s4, v3
	v_cmp_le_f32_e32 vcc, 0, v7
	v_ldexp_f32 v4, v5, v4
	v_mov_b32_e32 v5, 0x7f800000
	v_cndmask_b32_e64 v3, v5, v4, s[4:5]
                                        ; implicit-def: $vgpr8_vgpr9
	s_and_saveexec_b64 s[4:5], vcc
	s_xor_b64 s[22:23], exec, s[4:5]
	s_cbranch_execz .LBB179_256
; %bb.255:
	v_add_f32_e32 v3, v7, v3
	v_mul_f32_e32 v3, 0.5, v3
	s_mov_b32 s4, 0xf800000
	v_mul_f32_e32 v4, 0x4f800000, v3
	v_cmp_gt_f32_e32 vcc, s4, v3
	s_nop 1
	v_cndmask_b32_e32 v3, v3, v4, vcc
	v_sqrt_f32_e32 v4, v3
	s_nop 0
	v_add_u32_e32 v5, -1, v4
	v_fma_f32 v7, -v5, v4, v3
	v_cmp_ge_f32_e64 s[4:5], 0, v7
	v_add_u32_e32 v7, 1, v4
	s_nop 0
	v_cndmask_b32_e64 v5, v4, v5, s[4:5]
	v_fma_f32 v4, -v7, v4, v3
	v_cmp_lt_f32_e64 s[4:5], 0, v4
	s_nop 1
	v_cndmask_b32_e64 v4, v5, v7, s[4:5]
	v_mul_f32_e32 v5, 0x37800000, v4
	v_cndmask_b32_e32 v4, v4, v5, vcc
	v_mov_b32_e32 v5, 0x260
	v_cmp_class_f32_e32 vcc, v3, v5
	s_nop 1
	v_cndmask_b32_e32 v8, v4, v3, vcc
	v_add_f32_e32 v3, v8, v8
	v_div_scale_f32 v4, s[4:5], v3, v3, v6
	v_rcp_f32_e32 v5, v4
	s_nop 0
	v_fma_f32 v7, -v4, v5, 1.0
	v_fmac_f32_e32 v5, v7, v5
	v_div_scale_f32 v7, vcc, v6, v3, v6
	v_mul_f32_e32 v9, v7, v5
	v_fma_f32 v11, -v4, v9, v7
	v_fmac_f32_e32 v9, v11, v5
	v_fma_f32 v4, -v4, v9, v7
	v_div_fmas_f32 v4, v4, v5, v9
	v_div_fixup_f32 v9, v4, v3, v6
                                        ; implicit-def: $vgpr3
                                        ; implicit-def: $vgpr6_vgpr7
	s_andn2_saveexec_b64 s[22:23], s[22:23]
	s_cbranch_execz .LBB179_258
	s_branch .LBB179_257
.LBB179_256:
	s_andn2_saveexec_b64 s[22:23], s[22:23]
	s_cbranch_execz .LBB179_258
.LBB179_257:
	v_sub_f32_e32 v3, v3, v7
	v_mul_f32_e32 v3, 0.5, v3
	s_mov_b32 s4, 0xf800000
	v_mul_f32_e32 v4, 0x4f800000, v3
	v_cmp_gt_f32_e32 vcc, s4, v3
	s_nop 1
	v_cndmask_b32_e32 v3, v3, v4, vcc
	v_sqrt_f32_e32 v4, v3
	s_nop 0
	v_add_u32_e32 v5, -1, v4
	v_fma_f32 v7, -v5, v4, v3
	v_cmp_ge_f32_e64 s[4:5], 0, v7
	v_add_u32_e32 v7, 1, v4
	s_nop 0
	v_cndmask_b32_e64 v5, v4, v5, s[4:5]
	v_fma_f32 v4, -v7, v4, v3
	v_cmp_lt_f32_e64 s[4:5], 0, v4
	s_nop 1
	v_cndmask_b32_e64 v4, v5, v7, s[4:5]
	v_mul_f32_e32 v5, 0x37800000, v4
	v_cndmask_b32_e32 v4, v4, v5, vcc
	v_mov_b32_e32 v5, 0x260
	v_cmp_class_f32_e32 vcc, v3, v5
	v_and_b32_e32 v5, 0x7fffffff, v6
	s_nop 0
	v_cndmask_b32_e32 v3, v4, v3, vcc
	v_add_f32_e32 v4, v3, v3
	v_div_scale_f32 v7, s[4:5], v4, v4, v5
	v_rcp_f32_e32 v8, v7
	v_div_scale_f32 v5, vcc, v5, v4, v5
	s_brev_b32 s4, -2
	v_fma_f32 v9, -v7, v8, 1.0
	v_fmac_f32_e32 v8, v9, v8
	v_mul_f32_e32 v9, v5, v8
	v_fma_f32 v11, -v7, v9, v5
	v_fmac_f32_e32 v9, v11, v8
	v_fma_f32 v5, -v7, v9, v5
	v_div_fmas_f32 v5, v5, v8, v9
	v_div_fixup_f32 v8, v5, v4, |v6|
	v_bfi_b32 v9, s4, v3, v6
.LBB179_258:
	s_or_b64 exec, exec, s[22:23]
                                        ; implicit-def: $vgpr6
                                        ; implicit-def: $vgpr4
	s_and_saveexec_b64 s[4:5], s[2:3]
	s_xor_b64 s[2:3], exec, s[4:5]
	s_cbranch_execz .LBB179_260
; %bb.259:
	v_pk_mul_f32 v[4:5], v[8:9], 0.5 op_sel_hi:[1,0]
	s_nop 0
	v_cndmask_b32_e64 v4, v8, v4, s[20:21]
	v_cndmask_b32_e64 v6, v9, v5, s[20:21]
                                        ; implicit-def: $vgpr8_vgpr9
	s_andn2_saveexec_b64 s[2:3], s[2:3]
	s_cbranch_execnz .LBB179_261
	s_branch .LBB179_262
.LBB179_260:
	s_andn2_saveexec_b64 s[2:3], s[2:3]
.LBB179_261:
	v_pk_add_f32 v[4:5], v[8:9], v[8:9]
	s_nop 0
	v_mov_b32_e32 v6, v5
.LBB179_262:
	s_or_b64 exec, exec, s[2:3]
                                        ; implicit-def: $vgpr5
.LBB179_263:
	s_andn2_saveexec_b64 s[2:3], s[18:19]
	s_cbranch_execz .LBB179_269
; %bb.264:
	v_and_b32_e32 v3, 0x8000, v5
	v_cmp_ne_u32_e32 vcc, 0, v3
	v_sub_f32_e32 v3, v6, v6
                                        ; implicit-def: $vgpr4
	s_and_saveexec_b64 s[4:5], vcc
	s_xor_b64 s[4:5], exec, s[4:5]
; %bb.265:
	s_brev_b32 s7, -2
	v_and_b32_e32 v4, 0x7fffffff, v3
	v_bfi_b32 v6, s7, v7, v6
                                        ; implicit-def: $vgpr3
; %bb.266:
	s_andn2_saveexec_b64 s[4:5], s[4:5]
; %bb.267:
	s_brev_b32 s7, -2
	v_bfi_b32 v6, s7, v3, v6
	v_mov_b32_e32 v4, v7
; %bb.268:
	s_or_b64 exec, exec, s[4:5]
.LBB179_269:
	s_or_b64 exec, exec, s[2:3]
.LBB179_270:
	s_andn2_saveexec_b64 s[2:3], s[16:17]
	s_cbranch_execz .LBB179_272
; %bb.271:
	v_sub_f32_e32 v3, v6, v6
	v_div_scale_f32 v4, vcc, v3, v3, v3
	v_rcp_f32_e32 v5, v4
	s_nop 0
	v_fma_f32 v6, -v4, v5, 1.0
	v_fmac_f32_e32 v5, v6, v5
	v_mul_f32_e32 v6, v4, v5
	v_fma_f32 v8, -v4, v6, v4
	v_fmac_f32_e32 v6, v8, v5
	v_fma_f32 v4, -v4, v6, v4
	v_div_fmas_f32 v4, v4, v5, v6
	v_div_fixup_f32 v6, v4, v3, v3
	v_mov_b32_e32 v4, v7
.LBB179_272:
	s_or_b64 exec, exec, s[2:3]
.LBB179_273:
	s_or_b64 exec, exec, s[14:15]
.LBB179_274:
	s_or_b64 exec, exec, s[12:13]
	v_cmp_gt_f32_e32 vcc, 0, v6
                                        ; implicit-def: $vgpr8_vgpr9
	s_nop 1
	v_cndmask_b32_e64 v5, v6, -v6, vcc
	v_cmp_gt_f32_e32 vcc, 0, v4
	s_nop 1
	v_cndmask_b32_e64 v3, v4, -v4, vcc
	v_cmp_ge_f32_e32 vcc, v3, v5
	s_and_saveexec_b64 s[2:3], vcc
	s_xor_b64 s[4:5], exec, s[2:3]
	s_cbranch_execz .LBB179_280
; %bb.275:
	v_cmp_neq_f32_e32 vcc, 0, v4
	v_cmp_neq_f32_e64 s[2:3], 0, v6
	s_or_b64 s[2:3], vcc, s[2:3]
                                        ; implicit-def: $vgpr8_vgpr9
	s_and_saveexec_b64 s[12:13], s[2:3]
	s_xor_b64 s[2:3], exec, s[12:13]
	s_cbranch_execz .LBB179_277
; %bb.276:
	v_div_scale_f32 v3, s[12:13], v4, v4, v6
	v_rcp_f32_e32 v5, v3
	v_div_scale_f32 v7, vcc, v6, v4, v6
	v_fma_f32 v8, -v3, v5, 1.0
	v_fmac_f32_e32 v5, v8, v5
	v_mul_f32_e32 v8, v7, v5
	v_fma_f32 v9, -v3, v8, v7
	v_fmac_f32_e32 v8, v9, v5
	v_fma_f32 v3, -v3, v8, v7
	v_div_fmas_f32 v3, v3, v5, v8
	v_div_fixup_f32 v3, v3, v4, v6
	v_fmac_f32_e32 v4, v6, v3
	v_div_scale_f32 v5, s[12:13], v4, v4, 1.0
	v_rcp_f32_e32 v6, v5
	s_nop 0
	v_fma_f32 v7, -v5, v6, 1.0
	v_fmac_f32_e32 v6, v7, v6
	v_div_scale_f32 v7, vcc, 1.0, v4, 1.0
	v_mul_f32_e32 v8, v7, v6
	v_fma_f32 v9, -v5, v8, v7
	v_fmac_f32_e32 v8, v9, v6
	v_fma_f32 v5, -v5, v8, v7
	v_div_fmas_f32 v5, v5, v6, v8
	v_div_fixup_f32 v4, v5, v4, 1.0
	v_mul_f32_e32 v5, 0, v3
	v_add_f32_e32 v6, 1.0, v5
	v_sub_f32_e32 v7, 0, v3
	v_pk_mul_f32 v[8:9], v[6:7], v[4:5] op_sel_hi:[1,0]
                                        ; implicit-def: $vgpr5
                                        ; implicit-def: $vgpr3
.LBB179_277:
	s_andn2_saveexec_b64 s[2:3], s[2:3]
	s_cbranch_execz .LBB179_279
; %bb.278:
	v_div_scale_f32 v4, s[12:13], v5, v5, 0
	v_rcp_f32_e32 v6, v4
	v_div_scale_f32 v7, vcc, 0, v5, 0
	v_fma_f32 v8, -v4, v6, 1.0
	v_fmac_f32_e32 v6, v8, v6
	v_mul_f32_e32 v8, v7, v6
	v_fma_f32 v9, -v4, v8, v7
	v_fmac_f32_e32 v8, v9, v6
	v_fma_f32 v4, -v4, v8, v7
	v_div_scale_f32 v7, s[12:13], v3, v3, 1.0
	v_rcp_f32_e32 v11, v7
	v_div_fmas_f32 v4, v4, v6, v8
	v_div_fixup_f32 v9, v4, v5, 0
	v_fma_f32 v4, -v7, v11, 1.0
	v_fmac_f32_e32 v11, v4, v11
	v_div_scale_f32 v4, vcc, 1.0, v3, 1.0
	v_mul_f32_e32 v5, v4, v11
	v_fma_f32 v6, -v7, v5, v4
	v_fmac_f32_e32 v5, v6, v11
	v_fma_f32 v4, -v7, v5, v4
	v_div_fmas_f32 v4, v4, v11, v5
	v_div_fixup_f32 v8, v4, v3, 1.0
.LBB179_279:
	s_or_b64 exec, exec, s[2:3]
                                        ; implicit-def: $vgpr6
                                        ; implicit-def: $vgpr4
.LBB179_280:
	s_andn2_saveexec_b64 s[2:3], s[4:5]
	s_cbranch_execz .LBB179_282
; %bb.281:
	v_div_scale_f32 v3, s[4:5], v6, v6, v4
	v_rcp_f32_e32 v5, v3
	v_div_scale_f32 v7, vcc, v4, v6, v4
	v_fma_f32 v8, -v3, v5, 1.0
	v_fmac_f32_e32 v5, v8, v5
	v_mul_f32_e32 v8, v7, v5
	v_fma_f32 v9, -v3, v8, v7
	v_fmac_f32_e32 v8, v9, v5
	v_fma_f32 v3, -v3, v8, v7
	v_div_fmas_f32 v3, v3, v5, v8
	v_div_fixup_f32 v8, v3, v6, v4
	v_fmac_f32_e32 v6, v4, v8
	v_div_scale_f32 v3, s[4:5], v6, v6, 1.0
	v_rcp_f32_e32 v4, v3
	s_mov_b32 s4, 0
	s_mov_b32 s5, -1.0
	v_fma_f32 v5, -v3, v4, 1.0
	v_fmac_f32_e32 v4, v5, v4
	v_div_scale_f32 v5, vcc, 1.0, v6, 1.0
	v_mul_f32_e32 v7, v5, v4
	v_fma_f32 v9, -v3, v7, v5
	v_fmac_f32_e32 v7, v9, v4
	v_fma_f32 v3, -v3, v7, v5
	v_div_fmas_f32 v3, v3, v4, v7
	v_mul_f32_e32 v9, 0, v8
	v_div_fixup_f32 v4, v3, v6, 1.0
	v_pk_add_f32 v[6:7], v[8:9], s[4:5]
	s_nop 0
	v_pk_mul_f32 v[8:9], v[6:7], v[4:5] op_sel_hi:[1,0]
.LBB179_282:
	s_or_b64 exec, exec, s[2:3]
	v_cvt_f16_f32_e32 v3, v8
	v_cvt_f16_f32_sdwa v4, v9 dst_sel:WORD_1 dst_unused:UNUSED_PAD src0_sel:DWORD
	s_nop 0
	v_or_b32_e32 v11, v4, v3
.LBB179_283:
	s_or_b64 exec, exec, s[10:11]
	v_or_b32_e32 v3, 0x300, v0
	v_cmp_gt_i32_e32 vcc, s24, v3
                                        ; implicit-def: $vgpr4
	s_and_saveexec_b64 s[10:11], vcc
	s_cbranch_execz .LBB179_296
; %bb.284:
	v_cvt_f32_f16_sdwa v4, v1 dst_sel:DWORD dst_unused:UNUSED_PAD src0_sel:WORD_1
	v_mov_b32_e32 v6, 0
	v_cmp_neq_f16_e32 vcc, 0, v1
	v_cmp_neq_f16_sdwa s[2:3], v1, v6 src0_sel:WORD_1 src1_sel:DWORD
	s_or_b64 s[2:3], vcc, s[2:3]
	s_and_saveexec_b64 s[12:13], s[2:3]
	s_cbranch_execz .LBB179_318
; %bb.285:
	v_cvt_f32_f16_e32 v5, v1
	v_mov_b32_e32 v6, 0x7f800000
	v_cmp_neq_f32_e64 s[2:3], |v4|, v6
	s_and_saveexec_b64 s[14:15], s[2:3]
	s_cbranch_execz .LBB179_317
; %bb.286:
	v_cmp_o_f16_e32 vcc, v1, v1
                                        ; implicit-def: $vgpr6
	s_and_saveexec_b64 s[2:3], vcc
	s_xor_b64 s[16:17], exec, s[2:3]
	s_cbranch_execz .LBB179_314
; %bb.287:
	s_mov_b32 s2, 0x7f800000
	v_cmp_neq_f32_e64 s[2:3], |v5|, s2
                                        ; implicit-def: $vgpr6
	s_and_saveexec_b64 s[4:5], s[2:3]
	s_xor_b64 s[18:19], exec, s[4:5]
	s_cbranch_execz .LBB179_307
; %bb.288:
	v_max_f32_e64 v1, |v4|, |v4|
	v_max_f32_e64 v3, |v5|, |v5|
	v_max_f32_e32 v1, v3, v1
	s_mov_b32 s2, 0x7ed413cb
	v_cmp_nle_f32_e64 s[2:3], s2, v1
                                        ; implicit-def: $sgpr20_sgpr21
	s_and_saveexec_b64 s[4:5], s[2:3]
	s_xor_b64 s[4:5], exec, s[4:5]
	s_cbranch_execz .LBB179_292
; %bb.289:
	s_mov_b32 s7, 0x1000000
	v_cmp_le_f32_e64 s[20:21], |v5|, s7
	v_cmp_le_f32_e64 s[22:23], |v4|, s7
	s_and_b64 s[26:27], s[20:21], s[22:23]
	s_mov_b64 s[20:21], 0
	s_and_saveexec_b64 s[22:23], s[26:27]
; %bb.290:
	s_mov_b64 s[20:21], exec
	v_pk_mul_f32 v[4:5], v[4:5], 4.0 op_sel_hi:[1,0]
; %bb.291:
	s_or_b64 exec, exec, s[22:23]
.LBB179_292:
	s_andn2_saveexec_b64 s[4:5], s[4:5]
; %bb.293:
	s_mov_b32 s22, 0x3e800000
	v_pk_mul_f32 v[4:5], v[4:5], s[22:23] op_sel_hi:[1,0]
	s_andn2_b64 s[20:21], s[20:21], exec
; %bb.294:
	s_or_b64 exec, exec, s[4:5]
	v_max_f32_e64 v1, |v4|, |v4|
	v_max_f32_e64 v3, |v5|, |v5|
	v_max_f32_e32 v1, v3, v1
	v_cvt_f64_f32_e32 v[6:7], v1
	v_frexp_exp_i32_f64_e32 v3, v[6:7]
	v_sub_u32_e32 v6, 0, v3
	v_ldexp_f32 v7, |v5|, v6
	v_ldexp_f32 v6, |v4|, v6
	v_mul_f32_e32 v6, v6, v6
	v_fmac_f32_e32 v6, v7, v7
	v_sqrt_f32_e32 v6, v6
	s_mov_b32 s4, 0x7f800000
	v_cmp_neq_f32_e64 s[4:5], s4, v1
	v_cmp_le_f32_e32 vcc, 0, v5
	v_ldexp_f32 v3, v6, v3
	v_mov_b32_e32 v6, 0x7f800000
	v_cndmask_b32_e64 v1, v6, v3, s[4:5]
                                        ; implicit-def: $vgpr8_vgpr9
	s_and_saveexec_b64 s[4:5], vcc
	s_xor_b64 s[22:23], exec, s[4:5]
	s_cbranch_execz .LBB179_300
; %bb.295:
	v_add_f32_e32 v1, v5, v1
	v_mul_f32_e32 v1, 0.5, v1
	s_mov_b32 s4, 0xf800000
	v_mul_f32_e32 v3, 0x4f800000, v1
	v_cmp_gt_f32_e32 vcc, s4, v1
	s_nop 1
	v_cndmask_b32_e32 v1, v1, v3, vcc
	v_sqrt_f32_e32 v3, v1
	s_nop 0
	v_add_u32_e32 v5, -1, v3
	v_fma_f32 v6, -v5, v3, v1
	v_cmp_ge_f32_e64 s[4:5], 0, v6
	v_add_u32_e32 v6, 1, v3
	s_nop 0
	v_cndmask_b32_e64 v5, v3, v5, s[4:5]
	v_fma_f32 v3, -v6, v3, v1
	v_cmp_lt_f32_e64 s[4:5], 0, v3
	s_nop 1
	v_cndmask_b32_e64 v3, v5, v6, s[4:5]
	v_mul_f32_e32 v5, 0x37800000, v3
	v_cndmask_b32_e32 v3, v3, v5, vcc
	v_mov_b32_e32 v5, 0x260
	v_cmp_class_f32_e32 vcc, v1, v5
	s_nop 1
	v_cndmask_b32_e32 v8, v3, v1, vcc
	v_add_f32_e32 v1, v8, v8
	v_div_scale_f32 v3, s[4:5], v1, v1, v4
	v_rcp_f32_e32 v5, v3
	s_nop 0
	v_fma_f32 v6, -v3, v5, 1.0
	v_fmac_f32_e32 v5, v6, v5
	v_div_scale_f32 v6, vcc, v4, v1, v4
	v_mul_f32_e32 v7, v6, v5
	v_fma_f32 v9, -v3, v7, v6
	v_fmac_f32_e32 v7, v9, v5
	v_fma_f32 v3, -v3, v7, v6
	v_div_fmas_f32 v3, v3, v5, v7
	v_div_fixup_f32 v9, v3, v1, v4
                                        ; implicit-def: $vgpr1
                                        ; implicit-def: $vgpr4_vgpr5
	s_andn2_saveexec_b64 s[22:23], s[22:23]
	s_cbranch_execz .LBB179_302
	s_branch .LBB179_301
.LBB179_296:
	s_or_b64 exec, exec, s[10:11]
	s_and_saveexec_b64 s[2:3], s[0:1]
	s_xor_b64 s[0:1], exec, s[2:3]
	s_cbranch_execz .LBB179_327
.LBB179_297:
	v_mov_b32_e32 v3, 0
	v_lshl_add_u64 v[0:1], v[2:3], 2, s[8:9]
	global_store_dword v[0:1], v12, off
	v_mov_b32_e32 v0, v13
	s_or_b64 exec, exec, s[0:1]
	v_cmp_gt_i32_e32 vcc, s24, v0
	s_and_saveexec_b64 s[0:1], vcc
	s_cbranch_execnz .LBB179_328
.LBB179_298:
	s_or_b64 exec, exec, s[0:1]
	v_cmp_gt_i32_e32 vcc, s24, v0
	s_and_saveexec_b64 s[0:1], vcc
	s_cbranch_execz .LBB179_329
.LBB179_299:
	v_add_u32_e32 v2, s6, v0
	v_mov_b32_e32 v3, 0
	v_lshl_add_u64 v[2:3], v[2:3], 2, s[8:9]
	v_add_u32_e32 v0, 0x100, v0
	global_store_dword v[2:3], v11, off
	s_or_b64 exec, exec, s[0:1]
	v_cmp_gt_i32_e32 vcc, s24, v0
	s_and_saveexec_b64 s[0:1], vcc
	s_cbranch_execnz .LBB179_330
	s_branch .LBB179_331
.LBB179_300:
	s_andn2_saveexec_b64 s[22:23], s[22:23]
	s_cbranch_execz .LBB179_302
.LBB179_301:
	v_sub_f32_e32 v1, v1, v5
	v_mul_f32_e32 v1, 0.5, v1
	s_mov_b32 s4, 0xf800000
	v_mul_f32_e32 v3, 0x4f800000, v1
	v_cmp_gt_f32_e32 vcc, s4, v1
	s_nop 1
	v_cndmask_b32_e32 v1, v1, v3, vcc
	v_sqrt_f32_e32 v3, v1
	s_nop 0
	v_add_u32_e32 v5, -1, v3
	v_fma_f32 v6, -v5, v3, v1
	v_cmp_ge_f32_e64 s[4:5], 0, v6
	v_add_u32_e32 v6, 1, v3
	s_nop 0
	v_cndmask_b32_e64 v5, v3, v5, s[4:5]
	v_fma_f32 v3, -v6, v3, v1
	v_cmp_lt_f32_e64 s[4:5], 0, v3
	s_nop 1
	v_cndmask_b32_e64 v3, v5, v6, s[4:5]
	v_mul_f32_e32 v5, 0x37800000, v3
	v_cndmask_b32_e32 v3, v3, v5, vcc
	v_mov_b32_e32 v5, 0x260
	v_cmp_class_f32_e32 vcc, v1, v5
	v_and_b32_e32 v5, 0x7fffffff, v4
	s_nop 0
	v_cndmask_b32_e32 v1, v3, v1, vcc
	v_add_f32_e32 v3, v1, v1
	v_div_scale_f32 v6, s[4:5], v3, v3, v5
	v_rcp_f32_e32 v7, v6
	v_div_scale_f32 v5, vcc, v5, v3, v5
	s_brev_b32 s4, -2
	v_fma_f32 v8, -v6, v7, 1.0
	v_fmac_f32_e32 v7, v8, v7
	v_mul_f32_e32 v8, v5, v7
	v_fma_f32 v9, -v6, v8, v5
	v_fmac_f32_e32 v8, v9, v7
	v_fma_f32 v5, -v6, v8, v5
	v_div_fmas_f32 v5, v5, v7, v8
	v_div_fixup_f32 v8, v5, v3, |v4|
	v_bfi_b32 v9, s4, v1, v4
.LBB179_302:
	s_or_b64 exec, exec, s[22:23]
                                        ; implicit-def: $vgpr4
                                        ; implicit-def: $vgpr6
	s_and_saveexec_b64 s[4:5], s[2:3]
	s_xor_b64 s[2:3], exec, s[4:5]
	s_cbranch_execz .LBB179_304
; %bb.303:
	v_pk_mul_f32 v[4:5], v[8:9], 0.5 op_sel_hi:[1,0]
	s_nop 0
	v_cndmask_b32_e64 v6, v8, v4, s[20:21]
	v_cndmask_b32_e64 v4, v9, v5, s[20:21]
                                        ; implicit-def: $vgpr8_vgpr9
	s_andn2_saveexec_b64 s[2:3], s[2:3]
	s_cbranch_execnz .LBB179_305
	s_branch .LBB179_306
.LBB179_304:
	s_andn2_saveexec_b64 s[2:3], s[2:3]
.LBB179_305:
	v_pk_add_f32 v[6:7], v[8:9], v[8:9]
	s_nop 0
	v_mov_b32_e32 v4, v7
.LBB179_306:
	s_or_b64 exec, exec, s[2:3]
                                        ; implicit-def: $vgpr1
.LBB179_307:
	s_andn2_saveexec_b64 s[2:3], s[18:19]
	s_cbranch_execz .LBB179_313
; %bb.308:
	v_and_b32_e32 v1, 0x8000, v1
	v_cmp_ne_u32_e32 vcc, 0, v1
	v_sub_f32_e32 v1, v4, v4
                                        ; implicit-def: $vgpr6
	s_and_saveexec_b64 s[4:5], vcc
	s_xor_b64 s[4:5], exec, s[4:5]
; %bb.309:
	s_brev_b32 s7, -2
	v_and_b32_e32 v6, 0x7fffffff, v1
	v_bfi_b32 v4, s7, v5, v4
                                        ; implicit-def: $vgpr1
; %bb.310:
	s_andn2_saveexec_b64 s[4:5], s[4:5]
; %bb.311:
	s_brev_b32 s7, -2
	v_bfi_b32 v4, s7, v1, v4
	v_mov_b32_e32 v6, v5
; %bb.312:
	s_or_b64 exec, exec, s[4:5]
.LBB179_313:
	s_or_b64 exec, exec, s[2:3]
.LBB179_314:
	s_andn2_saveexec_b64 s[2:3], s[16:17]
	s_cbranch_execz .LBB179_316
; %bb.315:
	v_sub_f32_e32 v1, v4, v4
	v_div_scale_f32 v3, vcc, v1, v1, v1
	v_rcp_f32_e32 v4, v3
	s_nop 0
	v_fma_f32 v6, -v3, v4, 1.0
	v_fmac_f32_e32 v4, v6, v4
	v_mul_f32_e32 v6, v3, v4
	v_fma_f32 v7, -v3, v6, v3
	v_fmac_f32_e32 v6, v7, v4
	v_fma_f32 v3, -v3, v6, v3
	v_div_fmas_f32 v3, v3, v4, v6
	v_div_fixup_f32 v4, v3, v1, v1
	v_mov_b32_e32 v6, v5
.LBB179_316:
	s_or_b64 exec, exec, s[2:3]
.LBB179_317:
	s_or_b64 exec, exec, s[14:15]
.LBB179_318:
	s_or_b64 exec, exec, s[12:13]
	v_cmp_gt_f32_e32 vcc, 0, v4
                                        ; implicit-def: $vgpr8_vgpr9
	s_nop 1
	v_cndmask_b32_e64 v3, v4, -v4, vcc
	v_cmp_gt_f32_e32 vcc, 0, v6
	s_nop 1
	v_cndmask_b32_e64 v1, v6, -v6, vcc
	v_cmp_ge_f32_e32 vcc, v1, v3
	s_and_saveexec_b64 s[2:3], vcc
	s_xor_b64 s[4:5], exec, s[2:3]
	s_cbranch_execz .LBB179_324
; %bb.319:
	v_cmp_neq_f32_e32 vcc, 0, v6
	v_cmp_neq_f32_e64 s[2:3], 0, v4
	s_or_b64 s[2:3], vcc, s[2:3]
                                        ; implicit-def: $vgpr8_vgpr9
	s_and_saveexec_b64 s[12:13], s[2:3]
	s_xor_b64 s[2:3], exec, s[12:13]
	s_cbranch_execz .LBB179_321
; %bb.320:
	v_div_scale_f32 v1, s[12:13], v6, v6, v4
	v_rcp_f32_e32 v3, v1
	v_div_scale_f32 v5, vcc, v4, v6, v4
	v_fma_f32 v7, -v1, v3, 1.0
	v_fmac_f32_e32 v3, v7, v3
	v_mul_f32_e32 v7, v5, v3
	v_fma_f32 v8, -v1, v7, v5
	v_fmac_f32_e32 v7, v8, v3
	v_fma_f32 v1, -v1, v7, v5
	v_div_fmas_f32 v1, v1, v3, v7
	v_div_fixup_f32 v1, v1, v6, v4
	v_fmac_f32_e32 v6, v4, v1
	v_div_scale_f32 v3, s[12:13], v6, v6, 1.0
	v_rcp_f32_e32 v4, v3
	s_nop 0
	v_fma_f32 v5, -v3, v4, 1.0
	v_fmac_f32_e32 v4, v5, v4
	v_div_scale_f32 v5, vcc, 1.0, v6, 1.0
	v_mul_f32_e32 v7, v5, v4
	v_fma_f32 v8, -v3, v7, v5
	v_fmac_f32_e32 v7, v8, v4
	v_fma_f32 v3, -v3, v7, v5
	v_div_fmas_f32 v3, v3, v4, v7
	v_div_fixup_f32 v4, v3, v6, 1.0
	v_mul_f32_e32 v3, 0, v1
	v_add_f32_e32 v6, 1.0, v3
	v_sub_f32_e32 v7, 0, v1
	v_pk_mul_f32 v[8:9], v[6:7], v[4:5] op_sel_hi:[1,0]
                                        ; implicit-def: $vgpr3
                                        ; implicit-def: $vgpr1
.LBB179_321:
	s_andn2_saveexec_b64 s[2:3], s[2:3]
	s_cbranch_execz .LBB179_323
; %bb.322:
	v_div_scale_f32 v4, s[12:13], v3, v3, 0
	v_rcp_f32_e32 v5, v4
	v_div_scale_f32 v6, vcc, 0, v3, 0
	v_fma_f32 v7, -v4, v5, 1.0
	v_fmac_f32_e32 v5, v7, v5
	v_mul_f32_e32 v7, v6, v5
	v_fma_f32 v8, -v4, v7, v6
	v_fmac_f32_e32 v7, v8, v5
	v_fma_f32 v4, -v4, v7, v6
	v_div_scale_f32 v6, s[12:13], v1, v1, 1.0
	v_rcp_f32_e32 v8, v6
	v_div_fmas_f32 v4, v4, v5, v7
	v_div_fixup_f32 v9, v4, v3, 0
	v_fma_f32 v3, -v6, v8, 1.0
	v_fmac_f32_e32 v8, v3, v8
	v_div_scale_f32 v3, vcc, 1.0, v1, 1.0
	v_mul_f32_e32 v4, v3, v8
	v_fma_f32 v5, -v6, v4, v3
	v_fmac_f32_e32 v4, v5, v8
	v_fma_f32 v3, -v6, v4, v3
	v_div_fmas_f32 v3, v3, v8, v4
	v_div_fixup_f32 v8, v3, v1, 1.0
.LBB179_323:
	s_or_b64 exec, exec, s[2:3]
                                        ; implicit-def: $vgpr4
                                        ; implicit-def: $vgpr6
.LBB179_324:
	s_andn2_saveexec_b64 s[2:3], s[4:5]
	s_cbranch_execz .LBB179_326
; %bb.325:
	v_div_scale_f32 v1, s[4:5], v4, v4, v6
	v_rcp_f32_e32 v3, v1
	v_div_scale_f32 v5, vcc, v6, v4, v6
	v_fma_f32 v7, -v1, v3, 1.0
	v_fmac_f32_e32 v3, v7, v3
	v_mul_f32_e32 v7, v5, v3
	v_fma_f32 v8, -v1, v7, v5
	v_fmac_f32_e32 v7, v8, v3
	v_fma_f32 v1, -v1, v7, v5
	v_div_fmas_f32 v1, v1, v3, v7
	v_div_fixup_f32 v8, v1, v4, v6
	v_fmac_f32_e32 v4, v6, v8
	v_div_scale_f32 v1, s[4:5], v4, v4, 1.0
	v_rcp_f32_e32 v3, v1
	s_mov_b32 s4, 0
	s_mov_b32 s5, -1.0
	v_mul_f32_e32 v9, 0, v8
	v_fma_f32 v5, -v1, v3, 1.0
	v_fmac_f32_e32 v3, v5, v3
	v_div_scale_f32 v5, vcc, 1.0, v4, 1.0
	v_mul_f32_e32 v6, v5, v3
	v_fma_f32 v7, -v1, v6, v5
	v_fmac_f32_e32 v6, v7, v3
	v_fma_f32 v1, -v1, v6, v5
	v_div_fmas_f32 v1, v1, v3, v6
	v_div_fixup_f32 v4, v1, v4, 1.0
	v_pk_add_f32 v[6:7], v[8:9], s[4:5]
	s_nop 0
	v_pk_mul_f32 v[8:9], v[6:7], v[4:5] op_sel_hi:[1,0]
.LBB179_326:
	s_or_b64 exec, exec, s[2:3]
	v_cvt_f16_f32_e32 v1, v8
	v_cvt_f16_f32_sdwa v3, v9 dst_sel:WORD_1 dst_unused:UNUSED_PAD src0_sel:DWORD
	s_nop 0
	v_or_b32_e32 v4, v3, v1
	s_or_b64 exec, exec, s[10:11]
	s_and_saveexec_b64 s[2:3], s[0:1]
	s_xor_b64 s[0:1], exec, s[2:3]
	s_cbranch_execnz .LBB179_297
.LBB179_327:
	s_or_b64 exec, exec, s[0:1]
	v_cmp_gt_i32_e32 vcc, s24, v0
	s_and_saveexec_b64 s[0:1], vcc
	s_cbranch_execz .LBB179_298
.LBB179_328:
	v_add_u32_e32 v2, s6, v0
	v_mov_b32_e32 v3, 0
	v_lshl_add_u64 v[2:3], v[2:3], 2, s[8:9]
	v_add_u32_e32 v0, 0x100, v0
	global_store_dword v[2:3], v10, off
	s_or_b64 exec, exec, s[0:1]
	v_cmp_gt_i32_e32 vcc, s24, v0
	s_and_saveexec_b64 s[0:1], vcc
	s_cbranch_execnz .LBB179_299
.LBB179_329:
	s_or_b64 exec, exec, s[0:1]
	v_cmp_gt_i32_e32 vcc, s24, v0
	s_and_saveexec_b64 s[0:1], vcc
	s_cbranch_execz .LBB179_331
.LBB179_330:
	v_add_u32_e32 v0, s6, v0
	v_mov_b32_e32 v1, 0
	v_lshl_add_u64 v[0:1], v[0:1], 2, s[8:9]
	global_store_dword v[0:1], v4, off
.LBB179_331:
	s_endpgm
	.section	.rodata,"a",@progbits
	.p2align	6, 0x0
	.amdhsa_kernel _ZN2at6native29vectorized_elementwise_kernelILi8EZZZNS0_17rsqrt_kernel_cudaERNS_18TensorIteratorBaseEENKUlvE_clEvENKUlvE1_clEvEUlN3c107complexINS6_4HalfEEEE_St5arrayIPcLm2EEEEviT0_T1_
		.amdhsa_group_segment_fixed_size 0
		.amdhsa_private_segment_fixed_size 0
		.amdhsa_kernarg_size 24
		.amdhsa_user_sgpr_count 2
		.amdhsa_user_sgpr_dispatch_ptr 0
		.amdhsa_user_sgpr_queue_ptr 0
		.amdhsa_user_sgpr_kernarg_segment_ptr 1
		.amdhsa_user_sgpr_dispatch_id 0
		.amdhsa_user_sgpr_kernarg_preload_length 0
		.amdhsa_user_sgpr_kernarg_preload_offset 0
		.amdhsa_user_sgpr_private_segment_size 0
		.amdhsa_uses_dynamic_stack 0
		.amdhsa_enable_private_segment 0
		.amdhsa_system_sgpr_workgroup_id_x 1
		.amdhsa_system_sgpr_workgroup_id_y 0
		.amdhsa_system_sgpr_workgroup_id_z 0
		.amdhsa_system_sgpr_workgroup_info 0
		.amdhsa_system_vgpr_workitem_id 0
		.amdhsa_next_free_vgpr 16
		.amdhsa_next_free_sgpr 28
		.amdhsa_accum_offset 16
		.amdhsa_reserve_vcc 1
		.amdhsa_float_round_mode_32 0
		.amdhsa_float_round_mode_16_64 0
		.amdhsa_float_denorm_mode_32 3
		.amdhsa_float_denorm_mode_16_64 3
		.amdhsa_dx10_clamp 1
		.amdhsa_ieee_mode 1
		.amdhsa_fp16_overflow 0
		.amdhsa_tg_split 0
		.amdhsa_exception_fp_ieee_invalid_op 0
		.amdhsa_exception_fp_denorm_src 0
		.amdhsa_exception_fp_ieee_div_zero 0
		.amdhsa_exception_fp_ieee_overflow 0
		.amdhsa_exception_fp_ieee_underflow 0
		.amdhsa_exception_fp_ieee_inexact 0
		.amdhsa_exception_int_div_zero 0
	.end_amdhsa_kernel
	.section	.text._ZN2at6native29vectorized_elementwise_kernelILi8EZZZNS0_17rsqrt_kernel_cudaERNS_18TensorIteratorBaseEENKUlvE_clEvENKUlvE1_clEvEUlN3c107complexINS6_4HalfEEEE_St5arrayIPcLm2EEEEviT0_T1_,"axG",@progbits,_ZN2at6native29vectorized_elementwise_kernelILi8EZZZNS0_17rsqrt_kernel_cudaERNS_18TensorIteratorBaseEENKUlvE_clEvENKUlvE1_clEvEUlN3c107complexINS6_4HalfEEEE_St5arrayIPcLm2EEEEviT0_T1_,comdat
.Lfunc_end179:
	.size	_ZN2at6native29vectorized_elementwise_kernelILi8EZZZNS0_17rsqrt_kernel_cudaERNS_18TensorIteratorBaseEENKUlvE_clEvENKUlvE1_clEvEUlN3c107complexINS6_4HalfEEEE_St5arrayIPcLm2EEEEviT0_T1_, .Lfunc_end179-_ZN2at6native29vectorized_elementwise_kernelILi8EZZZNS0_17rsqrt_kernel_cudaERNS_18TensorIteratorBaseEENKUlvE_clEvENKUlvE1_clEvEUlN3c107complexINS6_4HalfEEEE_St5arrayIPcLm2EEEEviT0_T1_
                                        ; -- End function
	.set _ZN2at6native29vectorized_elementwise_kernelILi8EZZZNS0_17rsqrt_kernel_cudaERNS_18TensorIteratorBaseEENKUlvE_clEvENKUlvE1_clEvEUlN3c107complexINS6_4HalfEEEE_St5arrayIPcLm2EEEEviT0_T1_.num_vgpr, 16
	.set _ZN2at6native29vectorized_elementwise_kernelILi8EZZZNS0_17rsqrt_kernel_cudaERNS_18TensorIteratorBaseEENKUlvE_clEvENKUlvE1_clEvEUlN3c107complexINS6_4HalfEEEE_St5arrayIPcLm2EEEEviT0_T1_.num_agpr, 0
	.set _ZN2at6native29vectorized_elementwise_kernelILi8EZZZNS0_17rsqrt_kernel_cudaERNS_18TensorIteratorBaseEENKUlvE_clEvENKUlvE1_clEvEUlN3c107complexINS6_4HalfEEEE_St5arrayIPcLm2EEEEviT0_T1_.numbered_sgpr, 28
	.set _ZN2at6native29vectorized_elementwise_kernelILi8EZZZNS0_17rsqrt_kernel_cudaERNS_18TensorIteratorBaseEENKUlvE_clEvENKUlvE1_clEvEUlN3c107complexINS6_4HalfEEEE_St5arrayIPcLm2EEEEviT0_T1_.num_named_barrier, 0
	.set _ZN2at6native29vectorized_elementwise_kernelILi8EZZZNS0_17rsqrt_kernel_cudaERNS_18TensorIteratorBaseEENKUlvE_clEvENKUlvE1_clEvEUlN3c107complexINS6_4HalfEEEE_St5arrayIPcLm2EEEEviT0_T1_.private_seg_size, 0
	.set _ZN2at6native29vectorized_elementwise_kernelILi8EZZZNS0_17rsqrt_kernel_cudaERNS_18TensorIteratorBaseEENKUlvE_clEvENKUlvE1_clEvEUlN3c107complexINS6_4HalfEEEE_St5arrayIPcLm2EEEEviT0_T1_.uses_vcc, 1
	.set _ZN2at6native29vectorized_elementwise_kernelILi8EZZZNS0_17rsqrt_kernel_cudaERNS_18TensorIteratorBaseEENKUlvE_clEvENKUlvE1_clEvEUlN3c107complexINS6_4HalfEEEE_St5arrayIPcLm2EEEEviT0_T1_.uses_flat_scratch, 0
	.set _ZN2at6native29vectorized_elementwise_kernelILi8EZZZNS0_17rsqrt_kernel_cudaERNS_18TensorIteratorBaseEENKUlvE_clEvENKUlvE1_clEvEUlN3c107complexINS6_4HalfEEEE_St5arrayIPcLm2EEEEviT0_T1_.has_dyn_sized_stack, 0
	.set _ZN2at6native29vectorized_elementwise_kernelILi8EZZZNS0_17rsqrt_kernel_cudaERNS_18TensorIteratorBaseEENKUlvE_clEvENKUlvE1_clEvEUlN3c107complexINS6_4HalfEEEE_St5arrayIPcLm2EEEEviT0_T1_.has_recursion, 0
	.set _ZN2at6native29vectorized_elementwise_kernelILi8EZZZNS0_17rsqrt_kernel_cudaERNS_18TensorIteratorBaseEENKUlvE_clEvENKUlvE1_clEvEUlN3c107complexINS6_4HalfEEEE_St5arrayIPcLm2EEEEviT0_T1_.has_indirect_call, 0
	.section	.AMDGPU.csdata,"",@progbits
; Kernel info:
; codeLenInByte = 14224
; TotalNumSgprs: 34
; NumVgprs: 16
; NumAgprs: 0
; TotalNumVgprs: 16
; ScratchSize: 0
; MemoryBound: 0
; FloatMode: 240
; IeeeMode: 1
; LDSByteSize: 0 bytes/workgroup (compile time only)
; SGPRBlocks: 4
; VGPRBlocks: 1
; NumSGPRsForWavesPerEU: 34
; NumVGPRsForWavesPerEU: 16
; AccumOffset: 16
; Occupancy: 8
; WaveLimiterHint : 0
; COMPUTE_PGM_RSRC2:SCRATCH_EN: 0
; COMPUTE_PGM_RSRC2:USER_SGPR: 2
; COMPUTE_PGM_RSRC2:TRAP_HANDLER: 0
; COMPUTE_PGM_RSRC2:TGID_X_EN: 1
; COMPUTE_PGM_RSRC2:TGID_Y_EN: 0
; COMPUTE_PGM_RSRC2:TGID_Z_EN: 0
; COMPUTE_PGM_RSRC2:TIDIG_COMP_CNT: 0
; COMPUTE_PGM_RSRC3_GFX90A:ACCUM_OFFSET: 3
; COMPUTE_PGM_RSRC3_GFX90A:TG_SPLIT: 0
	.section	.text._ZN2at6native29vectorized_elementwise_kernelILi4EZZZNS0_17rsqrt_kernel_cudaERNS_18TensorIteratorBaseEENKUlvE_clEvENKUlvE1_clEvEUlN3c107complexINS6_4HalfEEEE_St5arrayIPcLm2EEEEviT0_T1_,"axG",@progbits,_ZN2at6native29vectorized_elementwise_kernelILi4EZZZNS0_17rsqrt_kernel_cudaERNS_18TensorIteratorBaseEENKUlvE_clEvENKUlvE1_clEvEUlN3c107complexINS6_4HalfEEEE_St5arrayIPcLm2EEEEviT0_T1_,comdat
	.globl	_ZN2at6native29vectorized_elementwise_kernelILi4EZZZNS0_17rsqrt_kernel_cudaERNS_18TensorIteratorBaseEENKUlvE_clEvENKUlvE1_clEvEUlN3c107complexINS6_4HalfEEEE_St5arrayIPcLm2EEEEviT0_T1_ ; -- Begin function _ZN2at6native29vectorized_elementwise_kernelILi4EZZZNS0_17rsqrt_kernel_cudaERNS_18TensorIteratorBaseEENKUlvE_clEvENKUlvE1_clEvEUlN3c107complexINS6_4HalfEEEE_St5arrayIPcLm2EEEEviT0_T1_
	.p2align	8
	.type	_ZN2at6native29vectorized_elementwise_kernelILi4EZZZNS0_17rsqrt_kernel_cudaERNS_18TensorIteratorBaseEENKUlvE_clEvENKUlvE1_clEvEUlN3c107complexINS6_4HalfEEEE_St5arrayIPcLm2EEEEviT0_T1_,@function
_ZN2at6native29vectorized_elementwise_kernelILi4EZZZNS0_17rsqrt_kernel_cudaERNS_18TensorIteratorBaseEENKUlvE_clEvENKUlvE1_clEvEUlN3c107complexINS6_4HalfEEEE_St5arrayIPcLm2EEEEviT0_T1_: ; @_ZN2at6native29vectorized_elementwise_kernelILi4EZZZNS0_17rsqrt_kernel_cudaERNS_18TensorIteratorBaseEENKUlvE_clEvENKUlvE1_clEvEUlN3c107complexINS6_4HalfEEEE_St5arrayIPcLm2EEEEviT0_T1_
; %bb.0:
	s_load_dword s3, s[0:1], 0x0
	s_load_dwordx4 s[8:11], s[0:1], 0x8
	s_lshl_b32 s6, s2, 10
	s_mov_b64 s[0:1], -1
	s_waitcnt lgkmcnt(0)
	s_sub_i32 s24, s3, s6
	s_cmpk_gt_i32 s24, 0x3ff
	s_cbranch_scc0 .LBB180_154
; %bb.1:
	s_ashr_i32 s7, s6, 31
	s_lshl_b64 s[4:5], s[6:7], 2
	s_add_u32 s0, s10, s4
	s_addc_u32 s1, s11, s5
	v_lshlrev_b32_e32 v1, 4, v0
	global_load_dwordx4 v[2:5], v1, s[0:1]
	v_mov_b32_e32 v6, 0
	v_mov_b32_e32 v11, 0
	s_waitcnt vmcnt(0)
	v_cvt_f32_f16_sdwa v8, v2 dst_sel:DWORD dst_unused:UNUSED_PAD src0_sel:WORD_1
	v_cmp_neq_f16_e32 vcc, 0, v2
	v_cmp_neq_f16_sdwa s[0:1], v2, v6 src0_sel:WORD_1 src1_sel:DWORD
	s_or_b64 s[0:1], vcc, s[0:1]
	s_and_saveexec_b64 s[12:13], s[0:1]
	s_cbranch_execz .LBB180_31
; %bb.2:
	v_cvt_f32_f16_e32 v9, v2
	v_mov_b32_e32 v11, 0x7f800000
	v_cmp_neq_f32_e64 s[0:1], |v8|, v11
	s_and_saveexec_b64 s[14:15], s[0:1]
	s_cbranch_execz .LBB180_30
; %bb.3:
	v_cmp_o_f16_e32 vcc, v2, v2
                                        ; implicit-def: $vgpr11
	s_and_saveexec_b64 s[0:1], vcc
	s_xor_b64 s[16:17], exec, s[0:1]
	s_cbranch_execz .LBB180_27
; %bb.4:
	s_mov_b32 s0, 0x7f800000
	v_cmp_neq_f32_e64 s[0:1], |v9|, s0
                                        ; implicit-def: $vgpr11
	s_and_saveexec_b64 s[2:3], s[0:1]
	s_xor_b64 s[18:19], exec, s[2:3]
	s_cbranch_execz .LBB180_20
; %bb.5:
	v_max_f32_e64 v6, |v8|, |v8|
	v_max_f32_e64 v7, |v9|, |v9|
	v_max_f32_e32 v6, v7, v6
	s_mov_b32 s0, 0x7ed413cb
	v_cmp_nle_f32_e64 s[0:1], s0, v6
                                        ; implicit-def: $sgpr20_sgpr21
	s_and_saveexec_b64 s[2:3], s[0:1]
	s_xor_b64 s[2:3], exec, s[2:3]
	s_cbranch_execz .LBB180_9
; %bb.6:
	s_mov_b32 s7, 0x1000000
	v_cmp_le_f32_e64 s[20:21], |v9|, s7
	v_cmp_le_f32_e64 s[22:23], |v8|, s7
	s_and_b64 s[26:27], s[20:21], s[22:23]
	s_mov_b64 s[20:21], 0
	s_and_saveexec_b64 s[22:23], s[26:27]
; %bb.7:
	s_mov_b64 s[20:21], exec
	v_pk_mul_f32 v[8:9], v[8:9], 4.0 op_sel_hi:[1,0]
; %bb.8:
	s_or_b64 exec, exec, s[22:23]
.LBB180_9:
	s_andn2_saveexec_b64 s[2:3], s[2:3]
; %bb.10:
	s_mov_b32 s22, 0x3e800000
	v_pk_mul_f32 v[8:9], v[8:9], s[22:23] op_sel_hi:[1,0]
	s_andn2_b64 s[20:21], s[20:21], exec
; %bb.11:
	s_or_b64 exec, exec, s[2:3]
	v_max_f32_e64 v6, |v8|, |v8|
	v_max_f32_e64 v7, |v9|, |v9|
	v_max_f32_e32 v10, v7, v6
	v_cvt_f64_f32_e32 v[6:7], v10
	v_frexp_exp_i32_f64_e32 v6, v[6:7]
	v_sub_u32_e32 v7, 0, v6
	v_ldexp_f32 v11, |v9|, v7
	v_ldexp_f32 v7, |v8|, v7
	v_mul_f32_e32 v7, v7, v7
	v_fmac_f32_e32 v7, v11, v11
	v_sqrt_f32_e32 v7, v7
	s_mov_b32 s2, 0x7f800000
	v_cmp_neq_f32_e64 s[2:3], s2, v10
	v_cmp_le_f32_e32 vcc, 0, v9
	v_ldexp_f32 v6, v7, v6
	v_mov_b32_e32 v7, 0x7f800000
	v_cndmask_b32_e64 v10, v7, v6, s[2:3]
                                        ; implicit-def: $vgpr6_vgpr7
	s_and_saveexec_b64 s[2:3], vcc
	s_xor_b64 s[22:23], exec, s[2:3]
	s_cbranch_execz .LBB180_13
; %bb.12:
	v_add_f32_e32 v6, v9, v10
	v_mul_f32_e32 v6, 0.5, v6
	s_mov_b32 s2, 0xf800000
	v_mul_f32_e32 v7, 0x4f800000, v6
	v_cmp_gt_f32_e32 vcc, s2, v6
	s_nop 1
	v_cndmask_b32_e32 v6, v6, v7, vcc
	v_sqrt_f32_e32 v7, v6
	s_nop 0
	v_add_u32_e32 v9, -1, v7
	v_fma_f32 v10, -v9, v7, v6
	v_cmp_ge_f32_e64 s[2:3], 0, v10
	v_add_u32_e32 v10, 1, v7
	s_nop 0
	v_cndmask_b32_e64 v9, v7, v9, s[2:3]
	v_fma_f32 v7, -v10, v7, v6
	v_cmp_lt_f32_e64 s[2:3], 0, v7
	s_nop 1
	v_cndmask_b32_e64 v7, v9, v10, s[2:3]
	v_mul_f32_e32 v9, 0x37800000, v7
	v_cndmask_b32_e32 v7, v7, v9, vcc
	v_mov_b32_e32 v9, 0x260
	v_cmp_class_f32_e32 vcc, v6, v9
	s_nop 1
	v_cndmask_b32_e32 v7, v7, v6, vcc
	v_add_f32_e32 v6, v7, v7
	v_div_scale_f32 v9, s[2:3], v6, v6, v8
	v_rcp_f32_e32 v10, v9
	s_nop 0
	v_fma_f32 v11, -v9, v10, 1.0
	v_fmac_f32_e32 v10, v11, v10
	v_div_scale_f32 v11, vcc, v8, v6, v8
	v_mul_f32_e32 v12, v11, v10
	v_fma_f32 v13, -v9, v12, v11
	v_fmac_f32_e32 v12, v13, v10
	v_fma_f32 v9, -v9, v12, v11
	v_div_fmas_f32 v9, v9, v10, v12
	v_div_fixup_f32 v6, v9, v6, v8
                                        ; implicit-def: $vgpr10
                                        ; implicit-def: $vgpr8_vgpr9
	s_andn2_saveexec_b64 s[22:23], s[22:23]
	s_cbranch_execz .LBB180_15
	s_branch .LBB180_14
.LBB180_13:
	s_andn2_saveexec_b64 s[22:23], s[22:23]
	s_cbranch_execz .LBB180_15
.LBB180_14:
	v_sub_f32_e32 v6, v10, v9
	v_mul_f32_e32 v6, 0.5, v6
	s_mov_b32 s2, 0xf800000
	v_mul_f32_e32 v7, 0x4f800000, v6
	v_cmp_gt_f32_e32 vcc, s2, v6
	s_nop 1
	v_cndmask_b32_e32 v6, v6, v7, vcc
	v_sqrt_f32_e32 v7, v6
	s_nop 0
	v_add_u32_e32 v9, -1, v7
	v_fma_f32 v10, -v9, v7, v6
	v_cmp_ge_f32_e64 s[2:3], 0, v10
	v_add_u32_e32 v10, 1, v7
	s_nop 0
	v_cndmask_b32_e64 v9, v7, v9, s[2:3]
	v_fma_f32 v7, -v10, v7, v6
	v_cmp_lt_f32_e64 s[2:3], 0, v7
	s_nop 1
	v_cndmask_b32_e64 v7, v9, v10, s[2:3]
	v_mul_f32_e32 v9, 0x37800000, v7
	v_cndmask_b32_e32 v7, v7, v9, vcc
	v_mov_b32_e32 v9, 0x260
	v_cmp_class_f32_e32 vcc, v6, v9
	v_and_b32_e32 v9, 0x7fffffff, v8
	s_nop 0
	v_cndmask_b32_e32 v6, v7, v6, vcc
	v_add_f32_e32 v7, v6, v6
	v_div_scale_f32 v10, s[2:3], v7, v7, v9
	v_rcp_f32_e32 v11, v10
	v_div_scale_f32 v9, vcc, v9, v7, v9
	s_brev_b32 s2, -2
	v_fma_f32 v12, -v10, v11, 1.0
	v_fmac_f32_e32 v11, v12, v11
	v_mul_f32_e32 v12, v9, v11
	v_fma_f32 v13, -v10, v12, v9
	v_fmac_f32_e32 v12, v13, v11
	v_fma_f32 v9, -v10, v12, v9
	v_div_fmas_f32 v9, v9, v11, v12
	v_div_fixup_f32 v7, v9, v7, |v8|
	v_bfi_b32 v6, s2, v6, v8
.LBB180_15:
	s_or_b64 exec, exec, s[22:23]
                                        ; implicit-def: $vgpr11
                                        ; implicit-def: $vgpr8
	s_and_saveexec_b64 s[2:3], s[0:1]
	s_xor_b64 s[0:1], exec, s[2:3]
	s_cbranch_execz .LBB180_17
; %bb.16:
	v_pk_mul_f32 v[8:9], v[6:7], 0.5 op_sel_hi:[1,0]
	s_nop 0
	v_cndmask_b32_e64 v8, v6, v8, s[20:21]
	v_cndmask_b32_e64 v11, v7, v9, s[20:21]
                                        ; implicit-def: $vgpr6_vgpr7
	s_andn2_saveexec_b64 s[0:1], s[0:1]
	s_cbranch_execnz .LBB180_18
	s_branch .LBB180_19
.LBB180_17:
	s_andn2_saveexec_b64 s[0:1], s[0:1]
.LBB180_18:
	v_pk_add_f32 v[10:11], v[6:7], v[6:7]
	s_nop 0
	v_mov_b32_e32 v8, v10
.LBB180_19:
	s_or_b64 exec, exec, s[0:1]
.LBB180_20:
	s_andn2_saveexec_b64 s[0:1], s[18:19]
	s_cbranch_execz .LBB180_26
; %bb.21:
	v_and_b32_e32 v2, 0x8000, v2
	v_cmp_ne_u32_e32 vcc, 0, v2
	v_sub_f32_e32 v2, v8, v8
                                        ; implicit-def: $vgpr11
	s_and_saveexec_b64 s[2:3], vcc
	s_xor_b64 s[2:3], exec, s[2:3]
; %bb.22:
	s_brev_b32 s7, -2
	v_and_b32_e32 v11, 0x7fffffff, v2
	v_bfi_b32 v8, s7, v9, v8
                                        ; implicit-def: $vgpr2
; %bb.23:
	s_andn2_saveexec_b64 s[2:3], s[2:3]
; %bb.24:
	s_brev_b32 s7, -2
	v_bfi_b32 v8, s7, v2, v8
	v_mov_b32_e32 v11, v9
; %bb.25:
	s_or_b64 exec, exec, s[2:3]
.LBB180_26:
	s_or_b64 exec, exec, s[0:1]
.LBB180_27:
	s_andn2_saveexec_b64 s[0:1], s[16:17]
	s_cbranch_execz .LBB180_29
; %bb.28:
	v_sub_f32_e32 v2, v8, v8
	v_div_scale_f32 v6, vcc, v2, v2, v2
	v_rcp_f32_e32 v7, v6
	v_mov_b32_e32 v11, v9
	v_fma_f32 v8, -v6, v7, 1.0
	v_fmac_f32_e32 v7, v8, v7
	v_mul_f32_e32 v8, v6, v7
	v_fma_f32 v10, -v6, v8, v6
	v_fmac_f32_e32 v8, v10, v7
	v_fma_f32 v6, -v6, v8, v6
	v_div_fmas_f32 v6, v6, v7, v8
	v_div_fixup_f32 v8, v6, v2, v2
.LBB180_29:
	s_or_b64 exec, exec, s[0:1]
.LBB180_30:
	s_or_b64 exec, exec, s[14:15]
.LBB180_31:
	s_or_b64 exec, exec, s[12:13]
	v_cmp_gt_f32_e32 vcc, 0, v11
                                        ; implicit-def: $vgpr6_vgpr7
	s_nop 1
	v_cndmask_b32_e64 v9, v11, -v11, vcc
	v_cmp_gt_f32_e32 vcc, 0, v8
	s_nop 1
	v_cndmask_b32_e64 v2, v8, -v8, vcc
	v_cmp_ge_f32_e32 vcc, v9, v2
	s_and_saveexec_b64 s[0:1], vcc
	s_xor_b64 s[2:3], exec, s[0:1]
	s_cbranch_execz .LBB180_37
; %bb.32:
	v_cmp_neq_f32_e32 vcc, 0, v11
	v_cmp_neq_f32_e64 s[0:1], 0, v8
	s_or_b64 s[0:1], vcc, s[0:1]
                                        ; implicit-def: $vgpr6_vgpr7
	s_and_saveexec_b64 s[12:13], s[0:1]
	s_xor_b64 s[0:1], exec, s[12:13]
	s_cbranch_execz .LBB180_34
; %bb.33:
	v_div_scale_f32 v2, s[12:13], v11, v11, v8
	v_rcp_f32_e32 v6, v2
	v_div_scale_f32 v7, vcc, v8, v11, v8
	v_fma_f32 v9, -v2, v6, 1.0
	v_fmac_f32_e32 v6, v9, v6
	v_mul_f32_e32 v9, v7, v6
	v_fma_f32 v10, -v2, v9, v7
	v_fmac_f32_e32 v9, v10, v6
	v_fma_f32 v2, -v2, v9, v7
	v_div_fmas_f32 v2, v2, v6, v9
	v_div_fixup_f32 v6, v2, v11, v8
	v_fmac_f32_e32 v11, v8, v6
	v_div_scale_f32 v2, s[12:13], v11, v11, 1.0
	v_rcp_f32_e32 v7, v2
	s_nop 0
	v_fma_f32 v8, -v2, v7, 1.0
	v_fmac_f32_e32 v7, v8, v7
	v_div_scale_f32 v8, vcc, 1.0, v11, 1.0
	v_mul_f32_e32 v9, v8, v7
	v_fma_f32 v10, -v2, v9, v8
	v_fmac_f32_e32 v9, v10, v7
	v_fma_f32 v2, -v2, v9, v8
	v_div_fmas_f32 v2, v2, v7, v9
	v_mul_f32_e32 v7, 0, v6
	v_div_fixup_f32 v2, v2, v11, 1.0
	v_add_f32_e32 v7, 1.0, v7
	v_sub_f32_e32 v6, 0, v6
	v_pk_mul_f32 v[6:7], v[6:7], v[2:3] op_sel_hi:[1,0]
                                        ; implicit-def: $vgpr9
                                        ; implicit-def: $vgpr2
.LBB180_34:
	s_andn2_saveexec_b64 s[0:1], s[0:1]
	s_cbranch_execz .LBB180_36
; %bb.35:
	v_div_scale_f32 v6, s[12:13], v9, v9, 1.0
	v_rcp_f32_e32 v7, v6
	v_div_scale_f32 v8, vcc, 1.0, v9, 1.0
	v_fma_f32 v10, -v6, v7, 1.0
	v_fmac_f32_e32 v7, v10, v7
	v_mul_f32_e32 v10, v8, v7
	v_fma_f32 v11, -v6, v10, v8
	v_fmac_f32_e32 v10, v11, v7
	v_fma_f32 v6, -v6, v10, v8
	v_div_scale_f32 v8, s[12:13], v2, v2, 0
	v_rcp_f32_e32 v11, v8
	v_div_fmas_f32 v6, v6, v7, v10
	v_div_fixup_f32 v7, v6, v9, 1.0
	v_fma_f32 v6, -v8, v11, 1.0
	v_fmac_f32_e32 v11, v6, v11
	v_div_scale_f32 v6, vcc, 0, v2, 0
	v_mul_f32_e32 v9, v6, v11
	v_fma_f32 v10, -v8, v9, v6
	v_fmac_f32_e32 v9, v10, v11
	v_fma_f32 v6, -v8, v9, v6
	v_div_fmas_f32 v6, v6, v11, v9
	v_div_fixup_f32 v6, v6, v2, 0
.LBB180_36:
	s_or_b64 exec, exec, s[0:1]
                                        ; implicit-def: $vgpr8
                                        ; implicit-def: $vgpr11
.LBB180_37:
	s_andn2_saveexec_b64 s[0:1], s[2:3]
	s_cbranch_execz .LBB180_39
; %bb.38:
	v_div_scale_f32 v2, s[2:3], v8, v8, v11
	v_rcp_f32_e32 v6, v2
	v_div_scale_f32 v7, vcc, v11, v8, v11
	v_fma_f32 v9, -v2, v6, 1.0
	v_fmac_f32_e32 v6, v9, v6
	v_mul_f32_e32 v9, v7, v6
	v_fma_f32 v10, -v2, v9, v7
	v_fmac_f32_e32 v9, v10, v6
	v_fma_f32 v2, -v2, v9, v7
	v_div_fmas_f32 v2, v2, v6, v9
	v_div_fixup_f32 v7, v2, v8, v11
	v_fmac_f32_e32 v8, v11, v7
	v_div_scale_f32 v2, s[2:3], v8, v8, 1.0
	v_rcp_f32_e32 v6, v2
	s_mov_b64 s[2:3], 0xbf800000
	v_fma_f32 v9, -v2, v6, 1.0
	v_fmac_f32_e32 v6, v9, v6
	v_div_scale_f32 v9, vcc, 1.0, v8, 1.0
	v_mul_f32_e32 v10, v9, v6
	v_fma_f32 v11, -v2, v10, v9
	v_fmac_f32_e32 v10, v11, v6
	v_fma_f32 v2, -v2, v10, v9
	v_div_fmas_f32 v2, v2, v6, v10
	v_mul_f32_e32 v6, 0, v7
	v_div_fixup_f32 v2, v2, v8, 1.0
	v_pk_add_f32 v[6:7], v[6:7], s[2:3]
	s_nop 0
	v_pk_mul_f32 v[6:7], v[6:7], v[2:3] op_sel_hi:[1,0]
.LBB180_39:
	s_or_b64 exec, exec, s[0:1]
	v_cvt_f32_f16_sdwa v10, v3 dst_sel:DWORD dst_unused:UNUSED_PAD src0_sel:WORD_1
	v_mov_b32_e32 v13, 0
	v_cmp_neq_f16_e32 vcc, 0, v3
	v_cmp_neq_f16_sdwa s[0:1], v3, v13 src0_sel:WORD_1 src1_sel:DWORD
	s_or_b64 s[0:1], vcc, s[0:1]
	s_and_saveexec_b64 s[12:13], s[0:1]
	s_cbranch_execz .LBB180_69
; %bb.40:
	v_cvt_f32_f16_e32 v11, v3
	v_mov_b32_e32 v13, 0x7f800000
	v_cmp_neq_f32_e64 s[0:1], |v10|, v13
	s_and_saveexec_b64 s[14:15], s[0:1]
	s_cbranch_execz .LBB180_68
; %bb.41:
	v_cmp_o_f16_e32 vcc, v3, v3
                                        ; implicit-def: $vgpr13
	s_and_saveexec_b64 s[0:1], vcc
	s_xor_b64 s[16:17], exec, s[0:1]
	s_cbranch_execz .LBB180_65
; %bb.42:
	s_mov_b32 s0, 0x7f800000
	v_cmp_neq_f32_e64 s[0:1], |v11|, s0
                                        ; implicit-def: $vgpr13
	s_and_saveexec_b64 s[2:3], s[0:1]
	s_xor_b64 s[18:19], exec, s[2:3]
	s_cbranch_execz .LBB180_58
; %bb.43:
	v_max_f32_e64 v2, |v10|, |v10|
	v_max_f32_e64 v8, |v11|, |v11|
	v_max_f32_e32 v2, v8, v2
	s_mov_b32 s0, 0x7ed413cb
	v_cmp_nle_f32_e64 s[0:1], s0, v2
                                        ; implicit-def: $sgpr20_sgpr21
	s_and_saveexec_b64 s[2:3], s[0:1]
	s_xor_b64 s[2:3], exec, s[2:3]
	s_cbranch_execz .LBB180_47
; %bb.44:
	s_mov_b32 s7, 0x1000000
	v_cmp_le_f32_e64 s[20:21], |v11|, s7
	v_cmp_le_f32_e64 s[22:23], |v10|, s7
	s_and_b64 s[26:27], s[20:21], s[22:23]
	s_mov_b64 s[20:21], 0
	s_and_saveexec_b64 s[22:23], s[26:27]
; %bb.45:
	s_mov_b64 s[20:21], exec
	v_pk_mul_f32 v[10:11], v[10:11], 4.0 op_sel_hi:[1,0]
; %bb.46:
	s_or_b64 exec, exec, s[22:23]
.LBB180_47:
	s_andn2_saveexec_b64 s[2:3], s[2:3]
; %bb.48:
	s_mov_b32 s22, 0x3e800000
	v_pk_mul_f32 v[10:11], v[10:11], s[22:23] op_sel_hi:[1,0]
	s_andn2_b64 s[20:21], s[20:21], exec
; %bb.49:
	s_or_b64 exec, exec, s[2:3]
	v_max_f32_e64 v2, |v10|, |v10|
	v_max_f32_e64 v8, |v11|, |v11|
	v_max_f32_e32 v2, v8, v2
	v_cvt_f64_f32_e32 v[8:9], v2
	v_frexp_exp_i32_f64_e32 v8, v[8:9]
	v_sub_u32_e32 v9, 0, v8
	v_ldexp_f32 v12, |v11|, v9
	v_ldexp_f32 v9, |v10|, v9
	v_mul_f32_e32 v9, v9, v9
	v_fmac_f32_e32 v9, v12, v12
	v_sqrt_f32_e32 v9, v9
	s_mov_b32 s2, 0x7f800000
	v_cmp_neq_f32_e64 s[2:3], s2, v2
	v_cmp_le_f32_e32 vcc, 0, v11
	v_ldexp_f32 v8, v9, v8
	v_mov_b32_e32 v9, 0x7f800000
	v_cndmask_b32_e64 v2, v9, v8, s[2:3]
                                        ; implicit-def: $vgpr8_vgpr9
	s_and_saveexec_b64 s[2:3], vcc
	s_xor_b64 s[22:23], exec, s[2:3]
	s_cbranch_execz .LBB180_51
; %bb.50:
	v_add_f32_e32 v2, v11, v2
	v_mul_f32_e32 v2, 0.5, v2
	s_mov_b32 s2, 0xf800000
	v_mul_f32_e32 v8, 0x4f800000, v2
	v_cmp_gt_f32_e32 vcc, s2, v2
	s_nop 1
	v_cndmask_b32_e32 v2, v2, v8, vcc
	v_sqrt_f32_e32 v8, v2
	s_nop 0
	v_add_u32_e32 v9, -1, v8
	v_fma_f32 v11, -v9, v8, v2
	v_cmp_ge_f32_e64 s[2:3], 0, v11
	v_add_u32_e32 v11, 1, v8
	s_nop 0
	v_cndmask_b32_e64 v9, v8, v9, s[2:3]
	v_fma_f32 v8, -v11, v8, v2
	v_cmp_lt_f32_e64 s[2:3], 0, v8
	s_nop 1
	v_cndmask_b32_e64 v8, v9, v11, s[2:3]
	v_mul_f32_e32 v9, 0x37800000, v8
	v_cndmask_b32_e32 v8, v8, v9, vcc
	v_mov_b32_e32 v9, 0x260
	v_cmp_class_f32_e32 vcc, v2, v9
	s_nop 1
	v_cndmask_b32_e32 v9, v8, v2, vcc
	v_add_f32_e32 v2, v9, v9
	v_div_scale_f32 v8, s[2:3], v2, v2, v10
	v_rcp_f32_e32 v11, v8
	s_nop 0
	v_fma_f32 v12, -v8, v11, 1.0
	v_fmac_f32_e32 v11, v12, v11
	v_div_scale_f32 v12, vcc, v10, v2, v10
	v_mul_f32_e32 v13, v12, v11
	v_fma_f32 v14, -v8, v13, v12
	v_fmac_f32_e32 v13, v14, v11
	v_fma_f32 v8, -v8, v13, v12
	v_div_fmas_f32 v8, v8, v11, v13
	v_div_fixup_f32 v8, v8, v2, v10
                                        ; implicit-def: $vgpr2
                                        ; implicit-def: $vgpr10_vgpr11
	s_andn2_saveexec_b64 s[22:23], s[22:23]
	s_cbranch_execz .LBB180_53
	s_branch .LBB180_52
.LBB180_51:
	s_andn2_saveexec_b64 s[22:23], s[22:23]
	s_cbranch_execz .LBB180_53
.LBB180_52:
	v_sub_f32_e32 v2, v2, v11
	v_mul_f32_e32 v2, 0.5, v2
	s_mov_b32 s2, 0xf800000
	v_mul_f32_e32 v8, 0x4f800000, v2
	v_cmp_gt_f32_e32 vcc, s2, v2
	s_nop 1
	v_cndmask_b32_e32 v2, v2, v8, vcc
	v_sqrt_f32_e32 v8, v2
	s_nop 0
	v_add_u32_e32 v9, -1, v8
	v_fma_f32 v11, -v9, v8, v2
	v_cmp_ge_f32_e64 s[2:3], 0, v11
	v_add_u32_e32 v11, 1, v8
	s_nop 0
	v_cndmask_b32_e64 v9, v8, v9, s[2:3]
	v_fma_f32 v8, -v11, v8, v2
	v_cmp_lt_f32_e64 s[2:3], 0, v8
	s_nop 1
	v_cndmask_b32_e64 v8, v9, v11, s[2:3]
	v_mul_f32_e32 v9, 0x37800000, v8
	v_cndmask_b32_e32 v8, v8, v9, vcc
	v_mov_b32_e32 v9, 0x260
	v_cmp_class_f32_e32 vcc, v2, v9
	v_and_b32_e32 v9, 0x7fffffff, v10
	s_nop 0
	v_cndmask_b32_e32 v2, v8, v2, vcc
	v_add_f32_e32 v8, v2, v2
	v_div_scale_f32 v11, s[2:3], v8, v8, v9
	v_rcp_f32_e32 v12, v11
	v_div_scale_f32 v9, vcc, v9, v8, v9
	s_brev_b32 s2, -2
	v_fma_f32 v13, -v11, v12, 1.0
	v_fmac_f32_e32 v12, v13, v12
	v_mul_f32_e32 v13, v9, v12
	v_fma_f32 v14, -v11, v13, v9
	v_fmac_f32_e32 v13, v14, v12
	v_fma_f32 v9, -v11, v13, v9
	v_div_fmas_f32 v9, v9, v12, v13
	v_div_fixup_f32 v9, v9, v8, |v10|
	v_bfi_b32 v8, s2, v2, v10
.LBB180_53:
	s_or_b64 exec, exec, s[22:23]
                                        ; implicit-def: $vgpr13
                                        ; implicit-def: $vgpr10
	s_and_saveexec_b64 s[2:3], s[0:1]
	s_xor_b64 s[0:1], exec, s[2:3]
	s_cbranch_execz .LBB180_55
; %bb.54:
	v_pk_mul_f32 v[10:11], v[8:9], 0.5 op_sel_hi:[1,0]
	s_nop 0
	v_cndmask_b32_e64 v10, v8, v10, s[20:21]
	v_cndmask_b32_e64 v13, v9, v11, s[20:21]
                                        ; implicit-def: $vgpr8_vgpr9
	s_andn2_saveexec_b64 s[0:1], s[0:1]
	s_cbranch_execnz .LBB180_56
	s_branch .LBB180_57
.LBB180_55:
	s_andn2_saveexec_b64 s[0:1], s[0:1]
.LBB180_56:
	v_pk_add_f32 v[12:13], v[8:9], v[8:9]
	s_nop 0
	v_mov_b32_e32 v10, v12
.LBB180_57:
	s_or_b64 exec, exec, s[0:1]
.LBB180_58:
	s_andn2_saveexec_b64 s[0:1], s[18:19]
	s_cbranch_execz .LBB180_64
; %bb.59:
	v_and_b32_e32 v2, 0x8000, v3
	v_cmp_ne_u32_e32 vcc, 0, v2
	v_sub_f32_e32 v2, v10, v10
                                        ; implicit-def: $vgpr13
	s_and_saveexec_b64 s[2:3], vcc
	s_xor_b64 s[2:3], exec, s[2:3]
; %bb.60:
	s_brev_b32 s7, -2
	v_and_b32_e32 v13, 0x7fffffff, v2
	v_bfi_b32 v10, s7, v11, v10
                                        ; implicit-def: $vgpr2
; %bb.61:
	s_andn2_saveexec_b64 s[2:3], s[2:3]
; %bb.62:
	s_brev_b32 s7, -2
	v_bfi_b32 v10, s7, v2, v10
	v_mov_b32_e32 v13, v11
; %bb.63:
	s_or_b64 exec, exec, s[2:3]
.LBB180_64:
	s_or_b64 exec, exec, s[0:1]
.LBB180_65:
	s_andn2_saveexec_b64 s[0:1], s[16:17]
	s_cbranch_execz .LBB180_67
; %bb.66:
	v_sub_f32_e32 v2, v10, v10
	v_div_scale_f32 v3, vcc, v2, v2, v2
	v_rcp_f32_e32 v8, v3
	v_mov_b32_e32 v13, v11
	v_fma_f32 v9, -v3, v8, 1.0
	v_fmac_f32_e32 v8, v9, v8
	v_mul_f32_e32 v9, v3, v8
	v_fma_f32 v10, -v3, v9, v3
	v_fmac_f32_e32 v9, v10, v8
	v_fma_f32 v3, -v3, v9, v3
	v_div_fmas_f32 v3, v3, v8, v9
	v_div_fixup_f32 v10, v3, v2, v2
.LBB180_67:
	s_or_b64 exec, exec, s[0:1]
.LBB180_68:
	s_or_b64 exec, exec, s[14:15]
.LBB180_69:
	s_or_b64 exec, exec, s[12:13]
	v_cmp_gt_f32_e32 vcc, 0, v13
                                        ; implicit-def: $vgpr8_vgpr9
	s_nop 1
	v_cndmask_b32_e64 v3, v13, -v13, vcc
	v_cmp_gt_f32_e32 vcc, 0, v10
	s_nop 1
	v_cndmask_b32_e64 v2, v10, -v10, vcc
	v_cmp_ge_f32_e32 vcc, v3, v2
	s_and_saveexec_b64 s[0:1], vcc
	s_xor_b64 s[2:3], exec, s[0:1]
	s_cbranch_execz .LBB180_75
; %bb.70:
	v_cmp_neq_f32_e32 vcc, 0, v13
	v_cmp_neq_f32_e64 s[0:1], 0, v10
	s_or_b64 s[0:1], vcc, s[0:1]
                                        ; implicit-def: $vgpr8_vgpr9
	s_and_saveexec_b64 s[12:13], s[0:1]
	s_xor_b64 s[0:1], exec, s[12:13]
	s_cbranch_execz .LBB180_72
; %bb.71:
	v_div_scale_f32 v2, s[12:13], v13, v13, v10
	v_rcp_f32_e32 v3, v2
	v_div_scale_f32 v8, vcc, v10, v13, v10
	v_fma_f32 v9, -v2, v3, 1.0
	v_fmac_f32_e32 v3, v9, v3
	v_mul_f32_e32 v9, v8, v3
	v_fma_f32 v11, -v2, v9, v8
	v_fmac_f32_e32 v9, v11, v3
	v_fma_f32 v2, -v2, v9, v8
	v_div_fmas_f32 v2, v2, v3, v9
	v_div_fixup_f32 v3, v2, v13, v10
	v_fmac_f32_e32 v13, v10, v3
	v_div_scale_f32 v2, s[12:13], v13, v13, 1.0
	v_rcp_f32_e32 v8, v2
	s_nop 0
	v_fma_f32 v9, -v2, v8, 1.0
	v_fmac_f32_e32 v8, v9, v8
	v_div_scale_f32 v9, vcc, 1.0, v13, 1.0
	v_mul_f32_e32 v10, v9, v8
	v_fma_f32 v11, -v2, v10, v9
	v_fmac_f32_e32 v10, v11, v8
	v_fma_f32 v2, -v2, v10, v9
	v_div_fmas_f32 v2, v2, v8, v10
	v_mul_f32_e32 v8, 0, v3
	v_div_fixup_f32 v2, v2, v13, 1.0
	v_add_f32_e32 v9, 1.0, v8
	v_sub_f32_e32 v8, 0, v3
	v_pk_mul_f32 v[8:9], v[8:9], v[2:3] op_sel_hi:[1,0]
                                        ; implicit-def: $vgpr3
                                        ; implicit-def: $vgpr2
.LBB180_72:
	s_andn2_saveexec_b64 s[0:1], s[0:1]
	s_cbranch_execz .LBB180_74
; %bb.73:
	v_div_scale_f32 v8, s[12:13], v3, v3, 1.0
	v_rcp_f32_e32 v9, v8
	v_div_scale_f32 v10, vcc, 1.0, v3, 1.0
	v_fma_f32 v11, -v8, v9, 1.0
	v_fmac_f32_e32 v9, v11, v9
	v_mul_f32_e32 v11, v10, v9
	v_fma_f32 v12, -v8, v11, v10
	v_fmac_f32_e32 v11, v12, v9
	v_fma_f32 v8, -v8, v11, v10
	v_div_scale_f32 v10, s[12:13], v2, v2, 0
	v_rcp_f32_e32 v12, v10
	v_div_fmas_f32 v8, v8, v9, v11
	v_div_fixup_f32 v9, v8, v3, 1.0
	v_fma_f32 v3, -v10, v12, 1.0
	v_fmac_f32_e32 v12, v3, v12
	v_div_scale_f32 v3, vcc, 0, v2, 0
	v_mul_f32_e32 v8, v3, v12
	v_fma_f32 v11, -v10, v8, v3
	v_fmac_f32_e32 v8, v11, v12
	v_fma_f32 v3, -v10, v8, v3
	v_div_fmas_f32 v3, v3, v12, v8
	v_div_fixup_f32 v8, v3, v2, 0
.LBB180_74:
	s_or_b64 exec, exec, s[0:1]
                                        ; implicit-def: $vgpr10
                                        ; implicit-def: $vgpr13
.LBB180_75:
	s_andn2_saveexec_b64 s[0:1], s[2:3]
	s_cbranch_execz .LBB180_77
; %bb.76:
	v_div_scale_f32 v2, s[2:3], v10, v10, v13
	v_rcp_f32_e32 v3, v2
	v_div_scale_f32 v8, vcc, v13, v10, v13
	v_fma_f32 v9, -v2, v3, 1.0
	v_fmac_f32_e32 v3, v9, v3
	v_mul_f32_e32 v9, v8, v3
	v_fma_f32 v11, -v2, v9, v8
	v_fmac_f32_e32 v9, v11, v3
	v_fma_f32 v2, -v2, v9, v8
	v_div_fmas_f32 v2, v2, v3, v9
	v_div_fixup_f32 v3, v2, v10, v13
	v_fmac_f32_e32 v10, v13, v3
	v_div_scale_f32 v2, s[2:3], v10, v10, 1.0
	v_rcp_f32_e32 v8, v2
	s_mov_b64 s[2:3], 0xbf800000
	v_fma_f32 v9, -v2, v8, 1.0
	v_fmac_f32_e32 v8, v9, v8
	v_div_scale_f32 v9, vcc, 1.0, v10, 1.0
	v_mul_f32_e32 v11, v9, v8
	v_fma_f32 v12, -v2, v11, v9
	v_fmac_f32_e32 v11, v12, v8
	v_fma_f32 v2, -v2, v11, v9
	v_div_fmas_f32 v2, v2, v8, v11
	v_div_fixup_f32 v8, v2, v10, 1.0
	v_mul_f32_e32 v2, 0, v3
	v_pk_add_f32 v[2:3], v[2:3], s[2:3]
	s_nop 0
	v_pk_mul_f32 v[8:9], v[2:3], v[8:9] op_sel_hi:[1,0]
.LBB180_77:
	s_or_b64 exec, exec, s[0:1]
	v_cvt_f32_f16_sdwa v2, v4 dst_sel:DWORD dst_unused:UNUSED_PAD src0_sel:WORD_1
	v_mov_b32_e32 v13, 0
	v_cmp_neq_f16_e32 vcc, 0, v4
	v_cmp_neq_f16_sdwa s[0:1], v4, v13 src0_sel:WORD_1 src1_sel:DWORD
	s_or_b64 s[0:1], vcc, s[0:1]
	s_and_saveexec_b64 s[12:13], s[0:1]
	s_cbranch_execz .LBB180_107
; %bb.78:
	v_cvt_f32_f16_e32 v3, v4
	v_mov_b32_e32 v13, 0x7f800000
	v_cmp_neq_f32_e64 s[0:1], |v2|, v13
	s_and_saveexec_b64 s[14:15], s[0:1]
	s_cbranch_execz .LBB180_106
; %bb.79:
	v_cmp_o_f16_e32 vcc, v4, v4
                                        ; implicit-def: $vgpr13
	s_and_saveexec_b64 s[0:1], vcc
	s_xor_b64 s[16:17], exec, s[0:1]
	s_cbranch_execz .LBB180_103
; %bb.80:
	s_mov_b32 s0, 0x7f800000
	v_cmp_neq_f32_e64 s[0:1], |v3|, s0
                                        ; implicit-def: $vgpr13
	s_and_saveexec_b64 s[2:3], s[0:1]
	s_xor_b64 s[18:19], exec, s[2:3]
	s_cbranch_execz .LBB180_96
; %bb.81:
	v_max_f32_e64 v10, |v2|, |v2|
	v_max_f32_e64 v11, |v3|, |v3|
	v_max_f32_e32 v10, v11, v10
	s_mov_b32 s0, 0x7ed413cb
	v_cmp_nle_f32_e64 s[0:1], s0, v10
                                        ; implicit-def: $sgpr20_sgpr21
	s_and_saveexec_b64 s[2:3], s[0:1]
	s_xor_b64 s[2:3], exec, s[2:3]
	s_cbranch_execz .LBB180_85
; %bb.82:
	s_mov_b32 s7, 0x1000000
	v_cmp_le_f32_e64 s[20:21], |v3|, s7
	v_cmp_le_f32_e64 s[22:23], |v2|, s7
	s_and_b64 s[26:27], s[20:21], s[22:23]
	s_mov_b64 s[20:21], 0
	s_and_saveexec_b64 s[22:23], s[26:27]
; %bb.83:
	s_mov_b64 s[20:21], exec
	v_pk_mul_f32 v[2:3], v[2:3], 4.0 op_sel_hi:[1,0]
; %bb.84:
	s_or_b64 exec, exec, s[22:23]
.LBB180_85:
	s_andn2_saveexec_b64 s[2:3], s[2:3]
; %bb.86:
	s_mov_b32 s22, 0x3e800000
	v_pk_mul_f32 v[2:3], v[2:3], s[22:23] op_sel_hi:[1,0]
	s_andn2_b64 s[20:21], s[20:21], exec
; %bb.87:
	s_or_b64 exec, exec, s[2:3]
	v_max_f32_e64 v10, |v2|, |v2|
	v_max_f32_e64 v11, |v3|, |v3|
	v_max_f32_e32 v12, v11, v10
	v_cvt_f64_f32_e32 v[10:11], v12
	v_frexp_exp_i32_f64_e32 v10, v[10:11]
	v_sub_u32_e32 v11, 0, v10
	v_ldexp_f32 v13, |v3|, v11
	v_ldexp_f32 v11, |v2|, v11
	v_mul_f32_e32 v11, v11, v11
	v_fmac_f32_e32 v11, v13, v13
	v_sqrt_f32_e32 v11, v11
	s_mov_b32 s2, 0x7f800000
	v_cmp_neq_f32_e64 s[2:3], s2, v12
	v_cmp_le_f32_e32 vcc, 0, v3
	v_ldexp_f32 v10, v11, v10
	v_mov_b32_e32 v11, 0x7f800000
	v_cndmask_b32_e64 v12, v11, v10, s[2:3]
                                        ; implicit-def: $vgpr10_vgpr11
	s_and_saveexec_b64 s[2:3], vcc
	s_xor_b64 s[22:23], exec, s[2:3]
	s_cbranch_execz .LBB180_89
; %bb.88:
	v_add_f32_e32 v3, v3, v12
	v_mul_f32_e32 v3, 0.5, v3
	s_mov_b32 s2, 0xf800000
	v_mul_f32_e32 v10, 0x4f800000, v3
	v_cmp_gt_f32_e32 vcc, s2, v3
	s_nop 1
	v_cndmask_b32_e32 v3, v3, v10, vcc
	v_sqrt_f32_e32 v10, v3
	s_nop 0
	v_add_u32_e32 v11, -1, v10
	v_fma_f32 v12, -v11, v10, v3
	v_cmp_ge_f32_e64 s[2:3], 0, v12
	v_add_u32_e32 v12, 1, v10
	s_nop 0
	v_cndmask_b32_e64 v11, v10, v11, s[2:3]
	v_fma_f32 v10, -v12, v10, v3
	v_cmp_lt_f32_e64 s[2:3], 0, v10
	s_nop 1
	v_cndmask_b32_e64 v10, v11, v12, s[2:3]
	v_mul_f32_e32 v11, 0x37800000, v10
	v_cndmask_b32_e32 v10, v10, v11, vcc
	v_mov_b32_e32 v11, 0x260
	v_cmp_class_f32_e32 vcc, v3, v11
	s_nop 1
	v_cndmask_b32_e32 v11, v10, v3, vcc
	v_add_f32_e32 v3, v11, v11
	v_div_scale_f32 v10, s[2:3], v3, v3, v2
	v_rcp_f32_e32 v12, v10
	s_nop 0
	v_fma_f32 v13, -v10, v12, 1.0
	v_fmac_f32_e32 v12, v13, v12
	v_div_scale_f32 v13, vcc, v2, v3, v2
	v_mul_f32_e32 v14, v13, v12
	v_fma_f32 v15, -v10, v14, v13
	v_fmac_f32_e32 v14, v15, v12
	v_fma_f32 v10, -v10, v14, v13
	v_div_fmas_f32 v10, v10, v12, v14
	v_div_fixup_f32 v10, v10, v3, v2
                                        ; implicit-def: $vgpr12
                                        ; implicit-def: $vgpr2_vgpr3
	s_andn2_saveexec_b64 s[22:23], s[22:23]
	s_cbranch_execz .LBB180_91
	s_branch .LBB180_90
.LBB180_89:
	s_andn2_saveexec_b64 s[22:23], s[22:23]
	s_cbranch_execz .LBB180_91
.LBB180_90:
	v_sub_f32_e32 v3, v12, v3
	v_mul_f32_e32 v3, 0.5, v3
	s_mov_b32 s2, 0xf800000
	v_mul_f32_e32 v10, 0x4f800000, v3
	v_cmp_gt_f32_e32 vcc, s2, v3
	s_nop 1
	v_cndmask_b32_e32 v3, v3, v10, vcc
	v_sqrt_f32_e32 v10, v3
	s_nop 0
	v_add_u32_e32 v11, -1, v10
	v_fma_f32 v12, -v11, v10, v3
	v_cmp_ge_f32_e64 s[2:3], 0, v12
	v_add_u32_e32 v12, 1, v10
	s_nop 0
	v_cndmask_b32_e64 v11, v10, v11, s[2:3]
	v_fma_f32 v10, -v12, v10, v3
	v_cmp_lt_f32_e64 s[2:3], 0, v10
	s_nop 1
	v_cndmask_b32_e64 v10, v11, v12, s[2:3]
	v_mul_f32_e32 v11, 0x37800000, v10
	v_cndmask_b32_e32 v10, v10, v11, vcc
	v_mov_b32_e32 v11, 0x260
	v_cmp_class_f32_e32 vcc, v3, v11
	v_and_b32_e32 v11, 0x7fffffff, v2
	s_nop 0
	v_cndmask_b32_e32 v3, v10, v3, vcc
	v_add_f32_e32 v10, v3, v3
	v_div_scale_f32 v12, s[2:3], v10, v10, v11
	v_rcp_f32_e32 v13, v12
	v_div_scale_f32 v11, vcc, v11, v10, v11
	s_brev_b32 s2, -2
	v_fma_f32 v14, -v12, v13, 1.0
	v_fmac_f32_e32 v13, v14, v13
	v_mul_f32_e32 v14, v11, v13
	v_fma_f32 v15, -v12, v14, v11
	v_fmac_f32_e32 v14, v15, v13
	v_fma_f32 v11, -v12, v14, v11
	v_div_fmas_f32 v11, v11, v13, v14
	v_div_fixup_f32 v11, v11, v10, |v2|
	v_bfi_b32 v10, s2, v3, v2
.LBB180_91:
	s_or_b64 exec, exec, s[22:23]
                                        ; implicit-def: $vgpr13
                                        ; implicit-def: $vgpr2
	s_and_saveexec_b64 s[2:3], s[0:1]
	s_xor_b64 s[0:1], exec, s[2:3]
	s_cbranch_execz .LBB180_93
; %bb.92:
	v_pk_mul_f32 v[2:3], v[10:11], 0.5 op_sel_hi:[1,0]
	s_nop 0
	v_cndmask_b32_e64 v2, v10, v2, s[20:21]
	v_cndmask_b32_e64 v13, v11, v3, s[20:21]
                                        ; implicit-def: $vgpr10_vgpr11
	s_andn2_saveexec_b64 s[0:1], s[0:1]
	s_cbranch_execnz .LBB180_94
	s_branch .LBB180_95
.LBB180_93:
	s_andn2_saveexec_b64 s[0:1], s[0:1]
.LBB180_94:
	v_pk_add_f32 v[12:13], v[10:11], v[10:11]
	s_nop 0
	v_mov_b32_e32 v2, v12
.LBB180_95:
	s_or_b64 exec, exec, s[0:1]
.LBB180_96:
	s_andn2_saveexec_b64 s[0:1], s[18:19]
	s_cbranch_execz .LBB180_102
; %bb.97:
	v_and_b32_e32 v4, 0x8000, v4
	v_cmp_ne_u32_e32 vcc, 0, v4
	v_sub_f32_e32 v4, v2, v2
                                        ; implicit-def: $vgpr13
	s_and_saveexec_b64 s[2:3], vcc
	s_xor_b64 s[2:3], exec, s[2:3]
; %bb.98:
	s_brev_b32 s7, -2
	v_and_b32_e32 v13, 0x7fffffff, v4
	v_bfi_b32 v2, s7, v3, v2
                                        ; implicit-def: $vgpr4
; %bb.99:
	s_andn2_saveexec_b64 s[2:3], s[2:3]
; %bb.100:
	s_brev_b32 s7, -2
	v_bfi_b32 v2, s7, v4, v2
	v_mov_b32_e32 v13, v3
; %bb.101:
	s_or_b64 exec, exec, s[2:3]
.LBB180_102:
	s_or_b64 exec, exec, s[0:1]
.LBB180_103:
	s_andn2_saveexec_b64 s[0:1], s[16:17]
	s_cbranch_execz .LBB180_105
; %bb.104:
	v_sub_f32_e32 v2, v2, v2
	v_div_scale_f32 v4, vcc, v2, v2, v2
	v_rcp_f32_e32 v10, v4
	v_mov_b32_e32 v13, v3
	v_fma_f32 v11, -v4, v10, 1.0
	v_fmac_f32_e32 v10, v11, v10
	v_mul_f32_e32 v11, v4, v10
	v_fma_f32 v12, -v4, v11, v4
	v_fmac_f32_e32 v11, v12, v10
	v_fma_f32 v4, -v4, v11, v4
	v_div_fmas_f32 v4, v4, v10, v11
	v_div_fixup_f32 v2, v4, v2, v2
.LBB180_105:
	s_or_b64 exec, exec, s[0:1]
.LBB180_106:
	s_or_b64 exec, exec, s[14:15]
.LBB180_107:
	s_or_b64 exec, exec, s[12:13]
	v_cmp_gt_f32_e32 vcc, 0, v13
                                        ; implicit-def: $vgpr10_vgpr11
	s_nop 1
	v_cndmask_b32_e64 v4, v13, -v13, vcc
	v_cmp_gt_f32_e32 vcc, 0, v2
	s_nop 1
	v_cndmask_b32_e64 v3, v2, -v2, vcc
	v_cmp_ge_f32_e32 vcc, v4, v3
	s_and_saveexec_b64 s[0:1], vcc
	s_xor_b64 s[2:3], exec, s[0:1]
	s_cbranch_execz .LBB180_113
; %bb.108:
	v_cmp_neq_f32_e32 vcc, 0, v13
	v_cmp_neq_f32_e64 s[0:1], 0, v2
	s_or_b64 s[0:1], vcc, s[0:1]
                                        ; implicit-def: $vgpr10_vgpr11
	s_and_saveexec_b64 s[12:13], s[0:1]
	s_xor_b64 s[0:1], exec, s[12:13]
	s_cbranch_execz .LBB180_110
; %bb.109:
	v_div_scale_f32 v3, s[12:13], v13, v13, v2
	v_rcp_f32_e32 v4, v3
	v_div_scale_f32 v10, vcc, v2, v13, v2
	v_fma_f32 v11, -v3, v4, 1.0
	v_fmac_f32_e32 v4, v11, v4
	v_mul_f32_e32 v11, v10, v4
	v_fma_f32 v12, -v3, v11, v10
	v_fmac_f32_e32 v11, v12, v4
	v_fma_f32 v3, -v3, v11, v10
	v_div_fmas_f32 v3, v3, v4, v11
	v_div_fixup_f32 v3, v3, v13, v2
	v_fmac_f32_e32 v13, v2, v3
	v_div_scale_f32 v2, s[12:13], v13, v13, 1.0
	v_rcp_f32_e32 v4, v2
	s_nop 0
	v_fma_f32 v10, -v2, v4, 1.0
	v_fmac_f32_e32 v4, v10, v4
	v_div_scale_f32 v10, vcc, 1.0, v13, 1.0
	v_mul_f32_e32 v11, v10, v4
	v_fma_f32 v12, -v2, v11, v10
	v_fmac_f32_e32 v11, v12, v4
	v_fma_f32 v2, -v2, v11, v10
	v_div_fmas_f32 v2, v2, v4, v11
	v_mul_f32_e32 v4, 0, v3
	v_div_fixup_f32 v2, v2, v13, 1.0
	v_add_f32_e32 v11, 1.0, v4
	v_sub_f32_e32 v10, 0, v3
	v_pk_mul_f32 v[10:11], v[10:11], v[2:3] op_sel_hi:[1,0]
                                        ; implicit-def: $vgpr4
                                        ; implicit-def: $vgpr3
.LBB180_110:
	s_andn2_saveexec_b64 s[0:1], s[0:1]
	s_cbranch_execz .LBB180_112
; %bb.111:
	v_div_scale_f32 v2, s[12:13], v4, v4, 1.0
	v_rcp_f32_e32 v10, v2
	v_div_scale_f32 v11, vcc, 1.0, v4, 1.0
	v_fma_f32 v12, -v2, v10, 1.0
	v_fmac_f32_e32 v10, v12, v10
	v_mul_f32_e32 v12, v11, v10
	v_fma_f32 v13, -v2, v12, v11
	v_fmac_f32_e32 v12, v13, v10
	v_div_scale_f32 v13, s[12:13], v3, v3, 0
	v_rcp_f32_e32 v14, v13
	v_fma_f32 v2, -v2, v12, v11
	v_div_fmas_f32 v2, v2, v10, v12
	v_div_fixup_f32 v11, v2, v4, 1.0
	v_fma_f32 v2, -v13, v14, 1.0
	v_fmac_f32_e32 v14, v2, v14
	v_div_scale_f32 v2, vcc, 0, v3, 0
	v_mul_f32_e32 v4, v2, v14
	v_fma_f32 v10, -v13, v4, v2
	v_fmac_f32_e32 v4, v10, v14
	v_fma_f32 v2, -v13, v4, v2
	v_div_fmas_f32 v2, v2, v14, v4
	v_div_fixup_f32 v10, v2, v3, 0
.LBB180_112:
	s_or_b64 exec, exec, s[0:1]
                                        ; implicit-def: $vgpr2
                                        ; implicit-def: $vgpr13
.LBB180_113:
	s_andn2_saveexec_b64 s[0:1], s[2:3]
	s_cbranch_execz .LBB180_115
; %bb.114:
	v_div_scale_f32 v3, s[2:3], v2, v2, v13
	v_rcp_f32_e32 v4, v3
	v_div_scale_f32 v10, vcc, v13, v2, v13
	v_fma_f32 v11, -v3, v4, 1.0
	v_fmac_f32_e32 v4, v11, v4
	v_mul_f32_e32 v11, v10, v4
	v_fma_f32 v12, -v3, v11, v10
	v_fmac_f32_e32 v11, v12, v4
	v_fma_f32 v3, -v3, v11, v10
	v_div_fmas_f32 v3, v3, v4, v11
	v_div_fixup_f32 v3, v3, v2, v13
	v_fmac_f32_e32 v2, v13, v3
	v_div_scale_f32 v4, s[2:3], v2, v2, 1.0
	v_rcp_f32_e32 v10, v4
	s_mov_b64 s[2:3], 0xbf800000
	v_fma_f32 v11, -v4, v10, 1.0
	v_fmac_f32_e32 v10, v11, v10
	v_div_scale_f32 v11, vcc, 1.0, v2, 1.0
	v_mul_f32_e32 v12, v11, v10
	v_fma_f32 v13, -v4, v12, v11
	v_fmac_f32_e32 v12, v13, v10
	v_fma_f32 v4, -v4, v12, v11
	v_div_fmas_f32 v4, v4, v10, v12
	v_div_fixup_f32 v4, v4, v2, 1.0
	v_mul_f32_e32 v2, 0, v3
	v_pk_add_f32 v[2:3], v[2:3], s[2:3]
	s_nop 0
	v_pk_mul_f32 v[10:11], v[2:3], v[4:5] op_sel_hi:[1,0]
.LBB180_115:
	s_or_b64 exec, exec, s[0:1]
	v_cvt_f32_f16_sdwa v12, v5 dst_sel:DWORD dst_unused:UNUSED_PAD src0_sel:WORD_1
	v_mov_b32_e32 v15, 0
	v_cmp_neq_f16_e32 vcc, 0, v5
	v_cmp_neq_f16_sdwa s[0:1], v5, v15 src0_sel:WORD_1 src1_sel:DWORD
	s_or_b64 s[0:1], vcc, s[0:1]
	s_and_saveexec_b64 s[12:13], s[0:1]
	s_cbranch_execz .LBB180_145
; %bb.116:
	v_cvt_f32_f16_e32 v13, v5
	v_mov_b32_e32 v15, 0x7f800000
	v_cmp_neq_f32_e64 s[0:1], |v12|, v15
	s_and_saveexec_b64 s[14:15], s[0:1]
	s_cbranch_execz .LBB180_144
; %bb.117:
	v_cmp_o_f16_e32 vcc, v5, v5
                                        ; implicit-def: $vgpr15
	s_and_saveexec_b64 s[0:1], vcc
	s_xor_b64 s[16:17], exec, s[0:1]
	s_cbranch_execz .LBB180_141
; %bb.118:
	s_mov_b32 s0, 0x7f800000
	v_cmp_neq_f32_e64 s[0:1], |v13|, s0
                                        ; implicit-def: $vgpr15
	s_and_saveexec_b64 s[2:3], s[0:1]
	s_xor_b64 s[18:19], exec, s[2:3]
	s_cbranch_execz .LBB180_134
; %bb.119:
	v_max_f32_e64 v2, |v12|, |v12|
	v_max_f32_e64 v3, |v13|, |v13|
	v_max_f32_e32 v2, v3, v2
	s_mov_b32 s0, 0x7ed413cb
	v_cmp_nle_f32_e64 s[0:1], s0, v2
                                        ; implicit-def: $sgpr20_sgpr21
	s_and_saveexec_b64 s[2:3], s[0:1]
	s_xor_b64 s[2:3], exec, s[2:3]
	s_cbranch_execz .LBB180_123
; %bb.120:
	s_mov_b32 s7, 0x1000000
	v_cmp_le_f32_e64 s[20:21], |v13|, s7
	v_cmp_le_f32_e64 s[22:23], |v12|, s7
	s_and_b64 s[26:27], s[20:21], s[22:23]
	s_mov_b64 s[20:21], 0
	s_and_saveexec_b64 s[22:23], s[26:27]
; %bb.121:
	s_mov_b64 s[20:21], exec
	v_pk_mul_f32 v[12:13], v[12:13], 4.0 op_sel_hi:[1,0]
; %bb.122:
	s_or_b64 exec, exec, s[22:23]
.LBB180_123:
	s_andn2_saveexec_b64 s[2:3], s[2:3]
; %bb.124:
	s_mov_b32 s22, 0x3e800000
	v_pk_mul_f32 v[12:13], v[12:13], s[22:23] op_sel_hi:[1,0]
	s_andn2_b64 s[20:21], s[20:21], exec
; %bb.125:
	s_or_b64 exec, exec, s[2:3]
	v_max_f32_e64 v2, |v12|, |v12|
	v_max_f32_e64 v3, |v13|, |v13|
	v_max_f32_e32 v4, v3, v2
	v_cvt_f64_f32_e32 v[2:3], v4
	v_frexp_exp_i32_f64_e32 v2, v[2:3]
	v_sub_u32_e32 v3, 0, v2
	v_ldexp_f32 v5, |v13|, v3
	v_ldexp_f32 v3, |v12|, v3
	v_mul_f32_e32 v3, v3, v3
	v_fmac_f32_e32 v3, v5, v5
	v_sqrt_f32_e32 v3, v3
	s_mov_b32 s2, 0x7f800000
	v_cmp_neq_f32_e64 s[2:3], s2, v4
	v_cmp_le_f32_e32 vcc, 0, v13
	v_ldexp_f32 v2, v3, v2
	v_mov_b32_e32 v3, 0x7f800000
	v_cndmask_b32_e64 v4, v3, v2, s[2:3]
                                        ; implicit-def: $vgpr2_vgpr3
	s_and_saveexec_b64 s[2:3], vcc
	s_xor_b64 s[22:23], exec, s[2:3]
	s_cbranch_execz .LBB180_127
; %bb.126:
	v_add_f32_e32 v2, v13, v4
	v_mul_f32_e32 v2, 0.5, v2
	s_mov_b32 s2, 0xf800000
	v_mul_f32_e32 v3, 0x4f800000, v2
	v_cmp_gt_f32_e32 vcc, s2, v2
	s_nop 1
	v_cndmask_b32_e32 v2, v2, v3, vcc
	v_sqrt_f32_e32 v3, v2
	s_nop 0
	v_add_u32_e32 v4, -1, v3
	v_fma_f32 v5, -v4, v3, v2
	v_cmp_ge_f32_e64 s[2:3], 0, v5
	v_add_u32_e32 v5, 1, v3
	s_nop 0
	v_cndmask_b32_e64 v4, v3, v4, s[2:3]
	v_fma_f32 v3, -v5, v3, v2
	v_cmp_lt_f32_e64 s[2:3], 0, v3
	s_nop 1
	v_cndmask_b32_e64 v3, v4, v5, s[2:3]
	v_mul_f32_e32 v4, 0x37800000, v3
	v_cndmask_b32_e32 v3, v3, v4, vcc
	v_mov_b32_e32 v4, 0x260
	v_cmp_class_f32_e32 vcc, v2, v4
	s_nop 1
	v_cndmask_b32_e32 v3, v3, v2, vcc
	v_add_f32_e32 v2, v3, v3
	v_div_scale_f32 v4, s[2:3], v2, v2, v12
	v_rcp_f32_e32 v5, v4
	s_nop 0
	v_fma_f32 v13, -v4, v5, 1.0
	v_fmac_f32_e32 v5, v13, v5
	v_div_scale_f32 v13, vcc, v12, v2, v12
	v_mul_f32_e32 v14, v13, v5
	v_fma_f32 v15, -v4, v14, v13
	v_fmac_f32_e32 v14, v15, v5
	v_fma_f32 v4, -v4, v14, v13
	v_div_fmas_f32 v4, v4, v5, v14
	v_div_fixup_f32 v2, v4, v2, v12
                                        ; implicit-def: $vgpr4
                                        ; implicit-def: $vgpr12_vgpr13
	s_andn2_saveexec_b64 s[22:23], s[22:23]
	s_cbranch_execz .LBB180_129
	s_branch .LBB180_128
.LBB180_127:
	s_andn2_saveexec_b64 s[22:23], s[22:23]
	s_cbranch_execz .LBB180_129
.LBB180_128:
	v_sub_f32_e32 v2, v4, v13
	v_mul_f32_e32 v2, 0.5, v2
	s_mov_b32 s2, 0xf800000
	v_mul_f32_e32 v3, 0x4f800000, v2
	v_cmp_gt_f32_e32 vcc, s2, v2
	s_nop 1
	v_cndmask_b32_e32 v2, v2, v3, vcc
	v_sqrt_f32_e32 v3, v2
	s_nop 0
	v_add_u32_e32 v4, -1, v3
	v_fma_f32 v5, -v4, v3, v2
	v_cmp_ge_f32_e64 s[2:3], 0, v5
	v_add_u32_e32 v5, 1, v3
	s_nop 0
	v_cndmask_b32_e64 v4, v3, v4, s[2:3]
	v_fma_f32 v3, -v5, v3, v2
	v_cmp_lt_f32_e64 s[2:3], 0, v3
	s_nop 1
	v_cndmask_b32_e64 v3, v4, v5, s[2:3]
	v_mul_f32_e32 v4, 0x37800000, v3
	v_cndmask_b32_e32 v3, v3, v4, vcc
	v_mov_b32_e32 v4, 0x260
	v_cmp_class_f32_e32 vcc, v2, v4
	v_and_b32_e32 v4, 0x7fffffff, v12
	s_nop 0
	v_cndmask_b32_e32 v2, v3, v2, vcc
	v_add_f32_e32 v3, v2, v2
	v_div_scale_f32 v5, s[2:3], v3, v3, v4
	v_rcp_f32_e32 v13, v5
	v_div_scale_f32 v4, vcc, v4, v3, v4
	s_brev_b32 s2, -2
	v_fma_f32 v14, -v5, v13, 1.0
	v_fmac_f32_e32 v13, v14, v13
	v_mul_f32_e32 v14, v4, v13
	v_fma_f32 v15, -v5, v14, v4
	v_fmac_f32_e32 v14, v15, v13
	v_fma_f32 v4, -v5, v14, v4
	v_div_fmas_f32 v4, v4, v13, v14
	v_div_fixup_f32 v3, v4, v3, |v12|
	v_bfi_b32 v2, s2, v2, v12
.LBB180_129:
	s_or_b64 exec, exec, s[22:23]
                                        ; implicit-def: $vgpr15
                                        ; implicit-def: $vgpr12
	s_and_saveexec_b64 s[2:3], s[0:1]
	s_xor_b64 s[0:1], exec, s[2:3]
	s_cbranch_execz .LBB180_131
; %bb.130:
	v_pk_mul_f32 v[4:5], v[2:3], 0.5 op_sel_hi:[1,0]
	s_nop 0
	v_cndmask_b32_e64 v12, v2, v4, s[20:21]
	v_cndmask_b32_e64 v15, v3, v5, s[20:21]
                                        ; implicit-def: $vgpr2_vgpr3
	s_andn2_saveexec_b64 s[0:1], s[0:1]
	s_cbranch_execnz .LBB180_132
	s_branch .LBB180_133
.LBB180_131:
	s_andn2_saveexec_b64 s[0:1], s[0:1]
.LBB180_132:
	v_pk_add_f32 v[14:15], v[2:3], v[2:3]
	s_nop 0
	v_mov_b32_e32 v12, v14
.LBB180_133:
	s_or_b64 exec, exec, s[0:1]
                                        ; implicit-def: $vgpr2_vgpr3_vgpr4_vgpr5
.LBB180_134:
	s_andn2_saveexec_b64 s[0:1], s[18:19]
	s_cbranch_execz .LBB180_140
; %bb.135:
	v_and_b32_e32 v2, 0x8000, v5
	v_cmp_ne_u32_e32 vcc, 0, v2
	v_sub_f32_e32 v2, v12, v12
                                        ; implicit-def: $vgpr15
	s_and_saveexec_b64 s[2:3], vcc
	s_xor_b64 s[2:3], exec, s[2:3]
; %bb.136:
	s_brev_b32 s7, -2
	v_and_b32_e32 v15, 0x7fffffff, v2
	v_bfi_b32 v12, s7, v13, v12
                                        ; implicit-def: $vgpr2
; %bb.137:
	s_andn2_saveexec_b64 s[2:3], s[2:3]
; %bb.138:
	s_brev_b32 s7, -2
	v_bfi_b32 v12, s7, v2, v12
	v_mov_b32_e32 v15, v13
; %bb.139:
	s_or_b64 exec, exec, s[2:3]
.LBB180_140:
	s_or_b64 exec, exec, s[0:1]
.LBB180_141:
	s_andn2_saveexec_b64 s[0:1], s[16:17]
	s_cbranch_execz .LBB180_143
; %bb.142:
	v_sub_f32_e32 v2, v12, v12
	v_div_scale_f32 v3, vcc, v2, v2, v2
	v_rcp_f32_e32 v4, v3
	v_mov_b32_e32 v15, v13
	v_fma_f32 v5, -v3, v4, 1.0
	v_fmac_f32_e32 v4, v5, v4
	v_mul_f32_e32 v5, v3, v4
	v_fma_f32 v12, -v3, v5, v3
	v_fmac_f32_e32 v5, v12, v4
	v_fma_f32 v3, -v3, v5, v3
	v_div_fmas_f32 v3, v3, v4, v5
	v_div_fixup_f32 v12, v3, v2, v2
.LBB180_143:
	s_or_b64 exec, exec, s[0:1]
.LBB180_144:
	s_or_b64 exec, exec, s[14:15]
.LBB180_145:
	s_or_b64 exec, exec, s[12:13]
	v_cmp_gt_f32_e32 vcc, 0, v15
                                        ; implicit-def: $vgpr2_vgpr3
	s_nop 1
	v_cndmask_b32_e64 v5, v15, -v15, vcc
	v_cmp_gt_f32_e32 vcc, 0, v12
	s_nop 1
	v_cndmask_b32_e64 v4, v12, -v12, vcc
	v_cmp_ge_f32_e32 vcc, v5, v4
	s_and_saveexec_b64 s[0:1], vcc
	s_xor_b64 s[2:3], exec, s[0:1]
	s_cbranch_execz .LBB180_151
; %bb.146:
	v_cmp_neq_f32_e32 vcc, 0, v15
	v_cmp_neq_f32_e64 s[0:1], 0, v12
	s_or_b64 s[0:1], vcc, s[0:1]
                                        ; implicit-def: $vgpr2_vgpr3
	s_and_saveexec_b64 s[12:13], s[0:1]
	s_xor_b64 s[0:1], exec, s[12:13]
	s_cbranch_execz .LBB180_148
; %bb.147:
	v_div_scale_f32 v2, s[12:13], v15, v15, v12
	v_rcp_f32_e32 v3, v2
	v_div_scale_f32 v4, vcc, v12, v15, v12
	v_fma_f32 v5, -v2, v3, 1.0
	v_fmac_f32_e32 v3, v5, v3
	v_mul_f32_e32 v5, v4, v3
	v_fma_f32 v13, -v2, v5, v4
	v_fmac_f32_e32 v5, v13, v3
	v_fma_f32 v2, -v2, v5, v4
	v_div_fmas_f32 v2, v2, v3, v5
	v_div_fixup_f32 v3, v2, v15, v12
	v_fmac_f32_e32 v15, v12, v3
	v_div_scale_f32 v2, s[12:13], v15, v15, 1.0
	v_rcp_f32_e32 v4, v2
	s_nop 0
	v_fma_f32 v5, -v2, v4, 1.0
	v_fmac_f32_e32 v4, v5, v4
	v_div_scale_f32 v5, vcc, 1.0, v15, 1.0
	v_mul_f32_e32 v12, v5, v4
	v_fma_f32 v13, -v2, v12, v5
	v_fmac_f32_e32 v12, v13, v4
	v_fma_f32 v2, -v2, v12, v5
	v_div_fmas_f32 v2, v2, v4, v12
	v_mul_f32_e32 v4, 0, v3
	v_div_fixup_f32 v2, v2, v15, 1.0
	v_add_f32_e32 v5, 1.0, v4
	v_sub_f32_e32 v4, 0, v3
	v_pk_mul_f32 v[2:3], v[4:5], v[2:3] op_sel_hi:[1,0]
                                        ; implicit-def: $vgpr5
                                        ; implicit-def: $vgpr4
.LBB180_148:
	s_andn2_saveexec_b64 s[0:1], s[0:1]
	s_cbranch_execz .LBB180_150
; %bb.149:
	v_div_scale_f32 v2, s[12:13], v5, v5, 1.0
	v_rcp_f32_e32 v3, v2
	v_div_scale_f32 v12, vcc, 1.0, v5, 1.0
	v_fma_f32 v13, -v2, v3, 1.0
	v_fmac_f32_e32 v3, v13, v3
	v_mul_f32_e32 v13, v12, v3
	v_fma_f32 v14, -v2, v13, v12
	v_fmac_f32_e32 v13, v14, v3
	v_fma_f32 v2, -v2, v13, v12
	v_div_scale_f32 v12, s[12:13], v4, v4, 0
	v_rcp_f32_e32 v14, v12
	v_div_fmas_f32 v2, v2, v3, v13
	v_div_fixup_f32 v3, v2, v5, 1.0
	v_fma_f32 v2, -v12, v14, 1.0
	v_fmac_f32_e32 v14, v2, v14
	v_div_scale_f32 v2, vcc, 0, v4, 0
	v_mul_f32_e32 v5, v2, v14
	v_fma_f32 v13, -v12, v5, v2
	v_fmac_f32_e32 v5, v13, v14
	v_fma_f32 v2, -v12, v5, v2
	v_div_fmas_f32 v2, v2, v14, v5
	v_div_fixup_f32 v2, v2, v4, 0
.LBB180_150:
	s_or_b64 exec, exec, s[0:1]
                                        ; implicit-def: $vgpr12
                                        ; implicit-def: $vgpr15
.LBB180_151:
	s_andn2_saveexec_b64 s[0:1], s[2:3]
	s_cbranch_execz .LBB180_153
; %bb.152:
	v_div_scale_f32 v2, s[2:3], v12, v12, v15
	v_rcp_f32_e32 v3, v2
	v_div_scale_f32 v4, vcc, v15, v12, v15
	v_fma_f32 v5, -v2, v3, 1.0
	v_fmac_f32_e32 v3, v5, v3
	v_mul_f32_e32 v5, v4, v3
	v_fma_f32 v13, -v2, v5, v4
	v_fmac_f32_e32 v5, v13, v3
	v_fma_f32 v2, -v2, v5, v4
	v_div_fmas_f32 v2, v2, v3, v5
	v_div_fixup_f32 v3, v2, v12, v15
	v_fmac_f32_e32 v12, v15, v3
	v_div_scale_f32 v2, s[2:3], v12, v12, 1.0
	v_rcp_f32_e32 v4, v2
	s_mov_b64 s[2:3], 0xbf800000
	v_fma_f32 v5, -v2, v4, 1.0
	v_fmac_f32_e32 v4, v5, v4
	v_div_scale_f32 v5, vcc, 1.0, v12, 1.0
	v_mul_f32_e32 v13, v5, v4
	v_fma_f32 v14, -v2, v13, v5
	v_fmac_f32_e32 v13, v14, v4
	v_fma_f32 v2, -v2, v13, v5
	v_div_fmas_f32 v2, v2, v4, v13
	v_div_fixup_f32 v4, v2, v12, 1.0
	v_mul_f32_e32 v2, 0, v3
	v_pk_add_f32 v[2:3], v[2:3], s[2:3]
	s_nop 0
	v_pk_mul_f32 v[2:3], v[2:3], v[4:5] op_sel_hi:[1,0]
.LBB180_153:
	s_or_b64 exec, exec, s[0:1]
	v_cvt_pk_f16_f32 v4, v10, v2
	v_cvt_pk_f16_f32 v2, v6, v8
	;; [unrolled: 1-line block ×4, first 2 shown]
	v_and_b32_e32 v3, 0xffff0000, v2
	v_lshlrev_b32_e32 v2, 16, v2
	s_add_u32 s0, s8, s4
	v_or_b32_sdwa v3, v3, v5 dst_sel:DWORD dst_unused:UNUSED_PAD src0_sel:DWORD src1_sel:WORD_1
	v_or_b32_sdwa v2, v2, v5 dst_sel:DWORD dst_unused:UNUSED_PAD src0_sel:DWORD src1_sel:WORD_0
	v_and_b32_e32 v5, 0xffff0000, v4
	v_lshlrev_b32_e32 v4, 16, v4
	s_addc_u32 s1, s9, s5
	v_or_b32_sdwa v5, v5, v10 dst_sel:DWORD dst_unused:UNUSED_PAD src0_sel:DWORD src1_sel:WORD_1
	v_or_b32_sdwa v4, v4, v10 dst_sel:DWORD dst_unused:UNUSED_PAD src0_sel:DWORD src1_sel:WORD_0
	global_store_dwordx4 v1, v[2:5], s[0:1]
	s_mov_b64 s[0:1], 0
.LBB180_154:
	s_and_b64 vcc, exec, s[0:1]
	s_cbranch_vccz .LBB180_331
; %bb.155:
	v_cmp_gt_i32_e64 s[0:1], s24, v0
	v_mov_b32_e32 v1, 0
	v_or_b32_e32 v2, s6, v0
	v_mov_b32_e32 v5, 0
	v_mov_b32_e32 v3, 0
	;; [unrolled: 1-line block ×3, first 2 shown]
	s_and_saveexec_b64 s[2:3], s[0:1]
	s_cbranch_execz .LBB180_163
; %bb.156:
	v_mov_b32_e32 v3, 0
	v_lshl_add_u64 v[4:5], v[2:3], 2, s[10:11]
	global_load_dword v9, v[4:5], off
	v_or_b32_e32 v1, 0x100, v0
	v_cmp_gt_u32_e32 vcc, s24, v1
	v_mov_b32_e32 v5, v3
	v_mov_b32_e32 v1, v3
	s_and_saveexec_b64 s[4:5], vcc
	s_cbranch_execz .LBB180_162
; %bb.157:
	v_add_u32_e32 v4, s6, v0
	v_mov_b32_e32 v5, 0
	v_lshl_add_u64 v[6:7], v[4:5], 2, s[10:11]
	global_load_dword v3, v[6:7], off offset:1024
	v_or_b32_e32 v1, 0x200, v0
	v_cmp_gt_u32_e32 vcc, s24, v1
	v_mov_b32_e32 v1, v5
	s_and_saveexec_b64 s[10:11], vcc
	s_cbranch_execz .LBB180_161
; %bb.158:
	global_load_dword v5, v[6:7], off offset:2048
	v_or_b32_e32 v1, 0x300, v0
	v_cmp_gt_u32_e32 vcc, s24, v1
	v_mov_b32_e32 v1, 0
	s_and_saveexec_b64 s[12:13], vcc
	s_cbranch_execz .LBB180_160
; %bb.159:
	global_load_dword v1, v[6:7], off offset:3072
.LBB180_160:
	s_or_b64 exec, exec, s[12:13]
.LBB180_161:
	s_or_b64 exec, exec, s[10:11]
.LBB180_162:
	s_or_b64 exec, exec, s[4:5]
.LBB180_163:
	s_or_b64 exec, exec, s[2:3]
                                        ; implicit-def: $vgpr12
	s_and_saveexec_b64 s[10:11], s[0:1]
	s_cbranch_execz .LBB180_203
; %bb.164:
	s_waitcnt vmcnt(0)
	v_cvt_f32_f16_sdwa v6, v9 dst_sel:DWORD dst_unused:UNUSED_PAD src0_sel:WORD_1
	v_mov_b32_e32 v8, 0
	v_cmp_neq_f16_e32 vcc, 0, v9
	v_cmp_neq_f16_sdwa s[2:3], v9, v8 src0_sel:WORD_1 src1_sel:DWORD
	s_or_b64 s[2:3], vcc, s[2:3]
	s_and_saveexec_b64 s[12:13], s[2:3]
	s_cbranch_execz .LBB180_194
; %bb.165:
	v_cvt_f32_f16_e32 v7, v9
	v_mov_b32_e32 v8, 0x7f800000
	v_cmp_neq_f32_e64 s[2:3], |v6|, v8
	s_and_saveexec_b64 s[14:15], s[2:3]
	s_cbranch_execz .LBB180_193
; %bb.166:
	v_cmp_o_f16_e32 vcc, v9, v9
                                        ; implicit-def: $vgpr8
	s_and_saveexec_b64 s[2:3], vcc
	s_xor_b64 s[16:17], exec, s[2:3]
	s_cbranch_execz .LBB180_190
; %bb.167:
	s_mov_b32 s2, 0x7f800000
	v_cmp_neq_f32_e64 s[2:3], |v7|, s2
                                        ; implicit-def: $vgpr8
	s_and_saveexec_b64 s[4:5], s[2:3]
	s_xor_b64 s[18:19], exec, s[4:5]
	s_cbranch_execz .LBB180_183
; %bb.168:
	v_max_f32_e64 v4, |v6|, |v6|
	v_max_f32_e64 v8, |v7|, |v7|
	v_max_f32_e32 v4, v8, v4
	s_mov_b32 s2, 0x7ed413cb
	v_cmp_nle_f32_e64 s[2:3], s2, v4
                                        ; implicit-def: $sgpr20_sgpr21
	s_and_saveexec_b64 s[4:5], s[2:3]
	s_xor_b64 s[4:5], exec, s[4:5]
	s_cbranch_execz .LBB180_172
; %bb.169:
	s_mov_b32 s7, 0x1000000
	v_cmp_le_f32_e64 s[20:21], |v7|, s7
	v_cmp_le_f32_e64 s[22:23], |v6|, s7
	s_and_b64 s[26:27], s[20:21], s[22:23]
	s_mov_b64 s[20:21], 0
	s_and_saveexec_b64 s[22:23], s[26:27]
; %bb.170:
	s_mov_b64 s[20:21], exec
	v_pk_mul_f32 v[6:7], v[6:7], 4.0 op_sel_hi:[1,0]
; %bb.171:
	s_or_b64 exec, exec, s[22:23]
.LBB180_172:
	s_andn2_saveexec_b64 s[4:5], s[4:5]
; %bb.173:
	s_mov_b32 s22, 0x3e800000
	v_pk_mul_f32 v[6:7], v[6:7], s[22:23] op_sel_hi:[1,0]
	s_andn2_b64 s[20:21], s[20:21], exec
; %bb.174:
	s_or_b64 exec, exec, s[4:5]
	v_max_f32_e64 v4, |v6|, |v6|
	v_max_f32_e64 v8, |v7|, |v7|
	v_max_f32_e32 v4, v8, v4
	v_cvt_f64_f32_e32 v[8:9], v4
	v_frexp_exp_i32_f64_e32 v8, v[8:9]
	v_sub_u32_e32 v9, 0, v8
	v_ldexp_f32 v10, |v7|, v9
	v_ldexp_f32 v9, |v6|, v9
	v_mul_f32_e32 v9, v9, v9
	v_fmac_f32_e32 v9, v10, v10
	v_sqrt_f32_e32 v9, v9
	s_mov_b32 s4, 0x7f800000
	v_cmp_neq_f32_e64 s[4:5], s4, v4
	v_cmp_le_f32_e32 vcc, 0, v7
	v_ldexp_f32 v8, v9, v8
	v_mov_b32_e32 v9, 0x7f800000
	v_cndmask_b32_e64 v4, v9, v8, s[4:5]
                                        ; implicit-def: $vgpr10_vgpr11
	s_and_saveexec_b64 s[4:5], vcc
	s_xor_b64 s[22:23], exec, s[4:5]
	s_cbranch_execz .LBB180_176
; %bb.175:
	v_add_f32_e32 v4, v7, v4
	v_mul_f32_e32 v4, 0.5, v4
	s_mov_b32 s4, 0xf800000
	v_mul_f32_e32 v7, 0x4f800000, v4
	v_cmp_gt_f32_e32 vcc, s4, v4
	s_nop 1
	v_cndmask_b32_e32 v4, v4, v7, vcc
	v_sqrt_f32_e32 v7, v4
	s_nop 0
	v_add_u32_e32 v8, -1, v7
	v_fma_f32 v9, -v8, v7, v4
	v_cmp_ge_f32_e64 s[4:5], 0, v9
	v_add_u32_e32 v9, 1, v7
	s_nop 0
	v_cndmask_b32_e64 v8, v7, v8, s[4:5]
	v_fma_f32 v7, -v9, v7, v4
	v_cmp_lt_f32_e64 s[4:5], 0, v7
	s_nop 1
	v_cndmask_b32_e64 v7, v8, v9, s[4:5]
	v_mul_f32_e32 v8, 0x37800000, v7
	v_cndmask_b32_e32 v7, v7, v8, vcc
	v_mov_b32_e32 v8, 0x260
	v_cmp_class_f32_e32 vcc, v4, v8
	s_nop 1
	v_cndmask_b32_e32 v10, v7, v4, vcc
	v_add_f32_e32 v4, v10, v10
	v_div_scale_f32 v7, s[4:5], v4, v4, v6
	v_rcp_f32_e32 v8, v7
	s_nop 0
	v_fma_f32 v9, -v7, v8, 1.0
	v_fmac_f32_e32 v8, v9, v8
	v_div_scale_f32 v9, vcc, v6, v4, v6
	v_mul_f32_e32 v11, v9, v8
	v_fma_f32 v12, -v7, v11, v9
	v_fmac_f32_e32 v11, v12, v8
	v_fma_f32 v7, -v7, v11, v9
	v_div_fmas_f32 v7, v7, v8, v11
	v_div_fixup_f32 v11, v7, v4, v6
                                        ; implicit-def: $vgpr4
                                        ; implicit-def: $vgpr6_vgpr7
	s_andn2_saveexec_b64 s[22:23], s[22:23]
	s_cbranch_execz .LBB180_178
	s_branch .LBB180_177
.LBB180_176:
	s_andn2_saveexec_b64 s[22:23], s[22:23]
	s_cbranch_execz .LBB180_178
.LBB180_177:
	v_sub_f32_e32 v4, v4, v7
	v_mul_f32_e32 v4, 0.5, v4
	s_mov_b32 s4, 0xf800000
	v_mul_f32_e32 v7, 0x4f800000, v4
	v_cmp_gt_f32_e32 vcc, s4, v4
	s_nop 1
	v_cndmask_b32_e32 v4, v4, v7, vcc
	v_sqrt_f32_e32 v7, v4
	s_nop 0
	v_add_u32_e32 v8, -1, v7
	v_fma_f32 v9, -v8, v7, v4
	v_cmp_ge_f32_e64 s[4:5], 0, v9
	v_add_u32_e32 v9, 1, v7
	s_nop 0
	v_cndmask_b32_e64 v8, v7, v8, s[4:5]
	v_fma_f32 v7, -v9, v7, v4
	v_cmp_lt_f32_e64 s[4:5], 0, v7
	s_nop 1
	v_cndmask_b32_e64 v7, v8, v9, s[4:5]
	v_mul_f32_e32 v8, 0x37800000, v7
	v_cndmask_b32_e32 v7, v7, v8, vcc
	v_mov_b32_e32 v8, 0x260
	v_cmp_class_f32_e32 vcc, v4, v8
	v_and_b32_e32 v8, 0x7fffffff, v6
	s_nop 0
	v_cndmask_b32_e32 v4, v7, v4, vcc
	v_add_f32_e32 v7, v4, v4
	v_div_scale_f32 v9, s[4:5], v7, v7, v8
	v_rcp_f32_e32 v10, v9
	v_div_scale_f32 v8, vcc, v8, v7, v8
	s_brev_b32 s4, -2
	v_fma_f32 v11, -v9, v10, 1.0
	v_fmac_f32_e32 v10, v11, v10
	v_mul_f32_e32 v11, v8, v10
	v_fma_f32 v12, -v9, v11, v8
	v_fmac_f32_e32 v11, v12, v10
	v_fma_f32 v8, -v9, v11, v8
	v_div_fmas_f32 v8, v8, v10, v11
	v_div_fixup_f32 v10, v8, v7, |v6|
	v_bfi_b32 v11, s4, v4, v6
.LBB180_178:
	s_or_b64 exec, exec, s[22:23]
                                        ; implicit-def: $vgpr6
                                        ; implicit-def: $vgpr8
	s_and_saveexec_b64 s[4:5], s[2:3]
	s_xor_b64 s[2:3], exec, s[4:5]
	s_cbranch_execz .LBB180_180
; %bb.179:
	v_pk_mul_f32 v[6:7], v[10:11], 0.5 op_sel_hi:[1,0]
	s_nop 0
	v_cndmask_b32_e64 v8, v10, v6, s[20:21]
	v_cndmask_b32_e64 v6, v11, v7, s[20:21]
                                        ; implicit-def: $vgpr10_vgpr11
	s_andn2_saveexec_b64 s[2:3], s[2:3]
	s_cbranch_execnz .LBB180_181
	s_branch .LBB180_182
.LBB180_180:
	s_andn2_saveexec_b64 s[2:3], s[2:3]
.LBB180_181:
	v_pk_add_f32 v[8:9], v[10:11], v[10:11]
	s_nop 0
	v_mov_b32_e32 v6, v9
.LBB180_182:
	s_or_b64 exec, exec, s[2:3]
                                        ; implicit-def: $vgpr9
.LBB180_183:
	s_andn2_saveexec_b64 s[2:3], s[18:19]
	s_cbranch_execz .LBB180_189
; %bb.184:
	v_and_b32_e32 v4, 0x8000, v9
	v_cmp_ne_u32_e32 vcc, 0, v4
	v_sub_f32_e32 v4, v6, v6
                                        ; implicit-def: $vgpr8
	s_and_saveexec_b64 s[4:5], vcc
	s_xor_b64 s[4:5], exec, s[4:5]
; %bb.185:
	s_brev_b32 s7, -2
	v_and_b32_e32 v8, 0x7fffffff, v4
	v_bfi_b32 v6, s7, v7, v6
                                        ; implicit-def: $vgpr4
; %bb.186:
	s_andn2_saveexec_b64 s[4:5], s[4:5]
; %bb.187:
	s_brev_b32 s7, -2
	v_bfi_b32 v6, s7, v4, v6
	v_mov_b32_e32 v8, v7
; %bb.188:
	s_or_b64 exec, exec, s[4:5]
.LBB180_189:
	s_or_b64 exec, exec, s[2:3]
.LBB180_190:
	s_andn2_saveexec_b64 s[2:3], s[16:17]
	s_cbranch_execz .LBB180_192
; %bb.191:
	v_sub_f32_e32 v4, v6, v6
	v_div_scale_f32 v6, vcc, v4, v4, v4
	v_rcp_f32_e32 v8, v6
	s_nop 0
	v_fma_f32 v9, -v6, v8, 1.0
	v_fmac_f32_e32 v8, v9, v8
	v_mul_f32_e32 v9, v6, v8
	v_fma_f32 v10, -v6, v9, v6
	v_fmac_f32_e32 v9, v10, v8
	v_fma_f32 v6, -v6, v9, v6
	v_div_fmas_f32 v6, v6, v8, v9
	v_div_fixup_f32 v6, v6, v4, v4
	v_mov_b32_e32 v8, v7
.LBB180_192:
	s_or_b64 exec, exec, s[2:3]
.LBB180_193:
	s_or_b64 exec, exec, s[14:15]
.LBB180_194:
	s_or_b64 exec, exec, s[12:13]
	v_cmp_gt_f32_e32 vcc, 0, v6
                                        ; implicit-def: $vgpr10_vgpr11
	s_nop 1
	v_cndmask_b32_e64 v7, v6, -v6, vcc
	v_cmp_gt_f32_e32 vcc, 0, v8
	s_nop 1
	v_cndmask_b32_e64 v4, v8, -v8, vcc
	v_cmp_ge_f32_e32 vcc, v4, v7
	s_and_saveexec_b64 s[2:3], vcc
	s_xor_b64 s[4:5], exec, s[2:3]
	s_cbranch_execz .LBB180_200
; %bb.195:
	v_cmp_neq_f32_e32 vcc, 0, v8
	v_cmp_neq_f32_e64 s[2:3], 0, v6
	s_or_b64 s[2:3], vcc, s[2:3]
                                        ; implicit-def: $vgpr10_vgpr11
	s_and_saveexec_b64 s[12:13], s[2:3]
	s_xor_b64 s[2:3], exec, s[12:13]
	s_cbranch_execz .LBB180_197
; %bb.196:
	v_div_scale_f32 v4, s[12:13], v8, v8, v6
	v_rcp_f32_e32 v7, v4
	v_div_scale_f32 v9, vcc, v6, v8, v6
	v_fma_f32 v10, -v4, v7, 1.0
	v_fmac_f32_e32 v7, v10, v7
	v_mul_f32_e32 v10, v9, v7
	v_fma_f32 v11, -v4, v10, v9
	v_fmac_f32_e32 v10, v11, v7
	v_fma_f32 v4, -v4, v10, v9
	v_div_fmas_f32 v4, v4, v7, v10
	v_div_fixup_f32 v7, v4, v8, v6
	v_fmac_f32_e32 v8, v6, v7
	v_div_scale_f32 v4, s[12:13], v8, v8, 1.0
	v_rcp_f32_e32 v6, v4
	s_nop 0
	v_fma_f32 v9, -v4, v6, 1.0
	v_fmac_f32_e32 v6, v9, v6
	v_div_scale_f32 v9, vcc, 1.0, v8, 1.0
	v_mul_f32_e32 v10, v9, v6
	v_fma_f32 v11, -v4, v10, v9
	v_fmac_f32_e32 v10, v11, v6
	v_fma_f32 v4, -v4, v10, v9
	v_div_fmas_f32 v4, v4, v6, v10
	v_mul_f32_e32 v6, 0, v7
	v_div_fixup_f32 v4, v4, v8, 1.0
	v_add_f32_e32 v6, 1.0, v6
	v_sub_f32_e32 v7, 0, v7
	v_pk_mul_f32 v[10:11], v[6:7], v[4:5] op_sel_hi:[1,0]
                                        ; implicit-def: $vgpr7
                                        ; implicit-def: $vgpr4
.LBB180_197:
	s_andn2_saveexec_b64 s[2:3], s[2:3]
	s_cbranch_execz .LBB180_199
; %bb.198:
	v_div_scale_f32 v6, s[12:13], v7, v7, 0
	v_rcp_f32_e32 v8, v6
	v_div_scale_f32 v9, vcc, 0, v7, 0
	v_fma_f32 v10, -v6, v8, 1.0
	v_fmac_f32_e32 v8, v10, v8
	v_mul_f32_e32 v10, v9, v8
	v_fma_f32 v11, -v6, v10, v9
	v_fmac_f32_e32 v10, v11, v8
	v_fma_f32 v6, -v6, v10, v9
	v_div_scale_f32 v9, s[12:13], v4, v4, 1.0
	v_rcp_f32_e32 v12, v9
	v_div_fmas_f32 v6, v6, v8, v10
	v_div_fixup_f32 v11, v6, v7, 0
	v_fma_f32 v6, -v9, v12, 1.0
	v_fmac_f32_e32 v12, v6, v12
	v_div_scale_f32 v6, vcc, 1.0, v4, 1.0
	v_mul_f32_e32 v7, v6, v12
	v_fma_f32 v8, -v9, v7, v6
	v_fmac_f32_e32 v7, v8, v12
	v_fma_f32 v6, -v9, v7, v6
	v_div_fmas_f32 v6, v6, v12, v7
	v_div_fixup_f32 v10, v6, v4, 1.0
.LBB180_199:
	s_or_b64 exec, exec, s[2:3]
                                        ; implicit-def: $vgpr6
                                        ; implicit-def: $vgpr8
.LBB180_200:
	s_andn2_saveexec_b64 s[2:3], s[4:5]
	s_cbranch_execz .LBB180_202
; %bb.201:
	v_div_scale_f32 v4, s[4:5], v6, v6, v8
	v_rcp_f32_e32 v7, v4
	v_div_scale_f32 v9, vcc, v8, v6, v8
	v_fma_f32 v10, -v4, v7, 1.0
	v_fmac_f32_e32 v7, v10, v7
	v_mul_f32_e32 v10, v9, v7
	v_fma_f32 v11, -v4, v10, v9
	v_fmac_f32_e32 v10, v11, v7
	v_fma_f32 v4, -v4, v10, v9
	v_div_fmas_f32 v4, v4, v7, v10
	v_div_fixup_f32 v10, v4, v6, v8
	v_fmac_f32_e32 v6, v8, v10
	v_div_scale_f32 v4, s[4:5], v6, v6, 1.0
	v_rcp_f32_e32 v7, v4
	s_mov_b32 s4, 0
	s_mov_b32 s5, -1.0
	v_fma_f32 v8, -v4, v7, 1.0
	v_fmac_f32_e32 v7, v8, v7
	v_div_scale_f32 v8, vcc, 1.0, v6, 1.0
	v_mul_f32_e32 v9, v8, v7
	v_fma_f32 v11, -v4, v9, v8
	v_fmac_f32_e32 v9, v11, v7
	v_fma_f32 v4, -v4, v9, v8
	v_div_fmas_f32 v4, v4, v7, v9
	v_mul_f32_e32 v11, 0, v10
	v_div_fixup_f32 v4, v4, v6, 1.0
	v_pk_add_f32 v[6:7], v[10:11], s[4:5]
	s_nop 0
	v_pk_mul_f32 v[10:11], v[6:7], v[4:5] op_sel_hi:[1,0]
.LBB180_202:
	s_or_b64 exec, exec, s[2:3]
	v_cvt_f16_f32_e32 v4, v10
	v_cvt_f16_f32_sdwa v6, v11 dst_sel:WORD_1 dst_unused:UNUSED_PAD src0_sel:DWORD
	s_nop 0
	v_or_b32_e32 v12, v6, v4
.LBB180_203:
	s_or_b64 exec, exec, s[10:11]
	v_or_b32_e32 v13, 0x100, v0
	v_cmp_gt_i32_e32 vcc, s24, v13
                                        ; implicit-def: $vgpr10
	s_and_saveexec_b64 s[10:11], vcc
	s_cbranch_execz .LBB180_243
; %bb.204:
	s_waitcnt vmcnt(0)
	v_cvt_f32_f16_sdwa v6, v3 dst_sel:DWORD dst_unused:UNUSED_PAD src0_sel:WORD_1
	v_mov_b32_e32 v8, 0
	v_cmp_neq_f16_e32 vcc, 0, v3
	v_cmp_neq_f16_sdwa s[2:3], v3, v8 src0_sel:WORD_1 src1_sel:DWORD
	s_or_b64 s[2:3], vcc, s[2:3]
	s_and_saveexec_b64 s[12:13], s[2:3]
	s_cbranch_execz .LBB180_234
; %bb.205:
	v_cvt_f32_f16_e32 v7, v3
	v_mov_b32_e32 v8, 0x7f800000
	v_cmp_neq_f32_e64 s[2:3], |v6|, v8
	s_and_saveexec_b64 s[14:15], s[2:3]
	s_cbranch_execz .LBB180_233
; %bb.206:
	v_cmp_o_f16_e32 vcc, v3, v3
                                        ; implicit-def: $vgpr8
	s_and_saveexec_b64 s[2:3], vcc
	s_xor_b64 s[16:17], exec, s[2:3]
	s_cbranch_execz .LBB180_230
; %bb.207:
	s_mov_b32 s2, 0x7f800000
	v_cmp_neq_f32_e64 s[2:3], |v7|, s2
                                        ; implicit-def: $vgpr8
	s_and_saveexec_b64 s[4:5], s[2:3]
	s_xor_b64 s[18:19], exec, s[4:5]
	s_cbranch_execz .LBB180_223
; %bb.208:
	v_max_f32_e64 v3, |v6|, |v6|
	v_max_f32_e64 v4, |v7|, |v7|
	v_max_f32_e32 v3, v4, v3
	s_mov_b32 s2, 0x7ed413cb
	v_cmp_nle_f32_e64 s[2:3], s2, v3
                                        ; implicit-def: $sgpr20_sgpr21
	s_and_saveexec_b64 s[4:5], s[2:3]
	s_xor_b64 s[4:5], exec, s[4:5]
	s_cbranch_execz .LBB180_212
; %bb.209:
	s_mov_b32 s7, 0x1000000
	v_cmp_le_f32_e64 s[20:21], |v7|, s7
	v_cmp_le_f32_e64 s[22:23], |v6|, s7
	s_and_b64 s[26:27], s[20:21], s[22:23]
	s_mov_b64 s[20:21], 0
	s_and_saveexec_b64 s[22:23], s[26:27]
; %bb.210:
	s_mov_b64 s[20:21], exec
	v_pk_mul_f32 v[6:7], v[6:7], 4.0 op_sel_hi:[1,0]
; %bb.211:
	s_or_b64 exec, exec, s[22:23]
.LBB180_212:
	s_andn2_saveexec_b64 s[4:5], s[4:5]
; %bb.213:
	s_mov_b32 s22, 0x3e800000
	v_pk_mul_f32 v[6:7], v[6:7], s[22:23] op_sel_hi:[1,0]
	s_andn2_b64 s[20:21], s[20:21], exec
; %bb.214:
	s_or_b64 exec, exec, s[4:5]
	v_max_f32_e64 v3, |v6|, |v6|
	v_max_f32_e64 v4, |v7|, |v7|
	v_max_f32_e32 v3, v4, v3
	v_cvt_f64_f32_e32 v[8:9], v3
	v_frexp_exp_i32_f64_e32 v4, v[8:9]
	v_sub_u32_e32 v8, 0, v4
	v_ldexp_f32 v9, |v7|, v8
	v_ldexp_f32 v8, |v6|, v8
	v_mul_f32_e32 v8, v8, v8
	v_fmac_f32_e32 v8, v9, v9
	v_sqrt_f32_e32 v8, v8
	s_mov_b32 s4, 0x7f800000
	v_cmp_neq_f32_e64 s[4:5], s4, v3
	v_cmp_le_f32_e32 vcc, 0, v7
	v_ldexp_f32 v4, v8, v4
	v_mov_b32_e32 v8, 0x7f800000
	v_cndmask_b32_e64 v3, v8, v4, s[4:5]
                                        ; implicit-def: $vgpr10_vgpr11
	s_and_saveexec_b64 s[4:5], vcc
	s_xor_b64 s[22:23], exec, s[4:5]
	s_cbranch_execz .LBB180_216
; %bb.215:
	v_add_f32_e32 v3, v7, v3
	v_mul_f32_e32 v3, 0.5, v3
	s_mov_b32 s4, 0xf800000
	v_mul_f32_e32 v4, 0x4f800000, v3
	v_cmp_gt_f32_e32 vcc, s4, v3
	s_nop 1
	v_cndmask_b32_e32 v3, v3, v4, vcc
	v_sqrt_f32_e32 v4, v3
	s_nop 0
	v_add_u32_e32 v7, -1, v4
	v_fma_f32 v8, -v7, v4, v3
	v_cmp_ge_f32_e64 s[4:5], 0, v8
	v_add_u32_e32 v8, 1, v4
	s_nop 0
	v_cndmask_b32_e64 v7, v4, v7, s[4:5]
	v_fma_f32 v4, -v8, v4, v3
	v_cmp_lt_f32_e64 s[4:5], 0, v4
	s_nop 1
	v_cndmask_b32_e64 v4, v7, v8, s[4:5]
	v_mul_f32_e32 v7, 0x37800000, v4
	v_cndmask_b32_e32 v4, v4, v7, vcc
	v_mov_b32_e32 v7, 0x260
	v_cmp_class_f32_e32 vcc, v3, v7
	s_nop 1
	v_cndmask_b32_e32 v10, v4, v3, vcc
	v_add_f32_e32 v3, v10, v10
	v_div_scale_f32 v4, s[4:5], v3, v3, v6
	v_rcp_f32_e32 v7, v4
	s_nop 0
	v_fma_f32 v8, -v4, v7, 1.0
	v_fmac_f32_e32 v7, v8, v7
	v_div_scale_f32 v8, vcc, v6, v3, v6
	v_mul_f32_e32 v9, v8, v7
	v_fma_f32 v11, -v4, v9, v8
	v_fmac_f32_e32 v9, v11, v7
	v_fma_f32 v4, -v4, v9, v8
	v_div_fmas_f32 v4, v4, v7, v9
	v_div_fixup_f32 v11, v4, v3, v6
                                        ; implicit-def: $vgpr3
                                        ; implicit-def: $vgpr6_vgpr7
	s_andn2_saveexec_b64 s[22:23], s[22:23]
	s_cbranch_execz .LBB180_218
	s_branch .LBB180_217
.LBB180_216:
	s_andn2_saveexec_b64 s[22:23], s[22:23]
	s_cbranch_execz .LBB180_218
.LBB180_217:
	v_sub_f32_e32 v3, v3, v7
	v_mul_f32_e32 v3, 0.5, v3
	s_mov_b32 s4, 0xf800000
	v_mul_f32_e32 v4, 0x4f800000, v3
	v_cmp_gt_f32_e32 vcc, s4, v3
	s_nop 1
	v_cndmask_b32_e32 v3, v3, v4, vcc
	v_sqrt_f32_e32 v4, v3
	s_nop 0
	v_add_u32_e32 v7, -1, v4
	v_fma_f32 v8, -v7, v4, v3
	v_cmp_ge_f32_e64 s[4:5], 0, v8
	v_add_u32_e32 v8, 1, v4
	s_nop 0
	v_cndmask_b32_e64 v7, v4, v7, s[4:5]
	v_fma_f32 v4, -v8, v4, v3
	v_cmp_lt_f32_e64 s[4:5], 0, v4
	s_nop 1
	v_cndmask_b32_e64 v4, v7, v8, s[4:5]
	v_mul_f32_e32 v7, 0x37800000, v4
	v_cndmask_b32_e32 v4, v4, v7, vcc
	v_mov_b32_e32 v7, 0x260
	v_cmp_class_f32_e32 vcc, v3, v7
	v_and_b32_e32 v7, 0x7fffffff, v6
	s_nop 0
	v_cndmask_b32_e32 v3, v4, v3, vcc
	v_add_f32_e32 v4, v3, v3
	v_div_scale_f32 v8, s[4:5], v4, v4, v7
	v_rcp_f32_e32 v9, v8
	v_div_scale_f32 v7, vcc, v7, v4, v7
	s_brev_b32 s4, -2
	v_fma_f32 v10, -v8, v9, 1.0
	v_fmac_f32_e32 v9, v10, v9
	v_mul_f32_e32 v10, v7, v9
	v_fma_f32 v11, -v8, v10, v7
	v_fmac_f32_e32 v10, v11, v9
	v_fma_f32 v7, -v8, v10, v7
	v_div_fmas_f32 v7, v7, v9, v10
	v_div_fixup_f32 v10, v7, v4, |v6|
	v_bfi_b32 v11, s4, v3, v6
.LBB180_218:
	s_or_b64 exec, exec, s[22:23]
                                        ; implicit-def: $vgpr6
                                        ; implicit-def: $vgpr8
	s_and_saveexec_b64 s[4:5], s[2:3]
	s_xor_b64 s[2:3], exec, s[4:5]
	s_cbranch_execz .LBB180_220
; %bb.219:
	v_pk_mul_f32 v[6:7], v[10:11], 0.5 op_sel_hi:[1,0]
	s_nop 0
	v_cndmask_b32_e64 v8, v10, v6, s[20:21]
	v_cndmask_b32_e64 v6, v11, v7, s[20:21]
                                        ; implicit-def: $vgpr10_vgpr11
	s_andn2_saveexec_b64 s[2:3], s[2:3]
	s_cbranch_execnz .LBB180_221
	s_branch .LBB180_222
.LBB180_220:
	s_andn2_saveexec_b64 s[2:3], s[2:3]
.LBB180_221:
	v_pk_add_f32 v[8:9], v[10:11], v[10:11]
	s_nop 0
	v_mov_b32_e32 v6, v9
.LBB180_222:
	s_or_b64 exec, exec, s[2:3]
.LBB180_223:
	s_andn2_saveexec_b64 s[2:3], s[18:19]
	s_cbranch_execz .LBB180_229
; %bb.224:
	v_and_b32_e32 v3, 0x8000, v3
	v_cmp_ne_u32_e32 vcc, 0, v3
	v_sub_f32_e32 v3, v6, v6
                                        ; implicit-def: $vgpr8
	s_and_saveexec_b64 s[4:5], vcc
	s_xor_b64 s[4:5], exec, s[4:5]
; %bb.225:
	s_brev_b32 s7, -2
	v_and_b32_e32 v8, 0x7fffffff, v3
	v_bfi_b32 v6, s7, v7, v6
                                        ; implicit-def: $vgpr3
; %bb.226:
	s_andn2_saveexec_b64 s[4:5], s[4:5]
; %bb.227:
	s_brev_b32 s7, -2
	v_bfi_b32 v6, s7, v3, v6
	v_mov_b32_e32 v8, v7
; %bb.228:
	s_or_b64 exec, exec, s[4:5]
.LBB180_229:
	s_or_b64 exec, exec, s[2:3]
.LBB180_230:
	s_andn2_saveexec_b64 s[2:3], s[16:17]
	s_cbranch_execz .LBB180_232
; %bb.231:
	v_sub_f32_e32 v3, v6, v6
	v_div_scale_f32 v4, vcc, v3, v3, v3
	v_rcp_f32_e32 v6, v4
	s_nop 0
	v_fma_f32 v8, -v4, v6, 1.0
	v_fmac_f32_e32 v6, v8, v6
	v_mul_f32_e32 v8, v4, v6
	v_fma_f32 v9, -v4, v8, v4
	v_fmac_f32_e32 v8, v9, v6
	v_fma_f32 v4, -v4, v8, v4
	v_div_fmas_f32 v4, v4, v6, v8
	v_div_fixup_f32 v6, v4, v3, v3
	v_mov_b32_e32 v8, v7
.LBB180_232:
	s_or_b64 exec, exec, s[2:3]
.LBB180_233:
	s_or_b64 exec, exec, s[14:15]
.LBB180_234:
	s_or_b64 exec, exec, s[12:13]
	v_cmp_gt_f32_e32 vcc, 0, v6
                                        ; implicit-def: $vgpr10_vgpr11
	s_nop 1
	v_cndmask_b32_e64 v4, v6, -v6, vcc
	v_cmp_gt_f32_e32 vcc, 0, v8
	s_nop 1
	v_cndmask_b32_e64 v3, v8, -v8, vcc
	v_cmp_ge_f32_e32 vcc, v3, v4
	s_and_saveexec_b64 s[2:3], vcc
	s_xor_b64 s[4:5], exec, s[2:3]
	s_cbranch_execz .LBB180_240
; %bb.235:
	v_cmp_neq_f32_e32 vcc, 0, v8
	v_cmp_neq_f32_e64 s[2:3], 0, v6
	s_or_b64 s[2:3], vcc, s[2:3]
                                        ; implicit-def: $vgpr10_vgpr11
	s_and_saveexec_b64 s[12:13], s[2:3]
	s_xor_b64 s[2:3], exec, s[12:13]
	s_cbranch_execz .LBB180_237
; %bb.236:
	v_div_scale_f32 v3, s[12:13], v8, v8, v6
	v_rcp_f32_e32 v4, v3
	v_div_scale_f32 v7, vcc, v6, v8, v6
	v_fma_f32 v9, -v3, v4, 1.0
	v_fmac_f32_e32 v4, v9, v4
	v_mul_f32_e32 v9, v7, v4
	v_fma_f32 v10, -v3, v9, v7
	v_fmac_f32_e32 v9, v10, v4
	v_fma_f32 v3, -v3, v9, v7
	v_div_fmas_f32 v3, v3, v4, v9
	v_div_fixup_f32 v3, v3, v8, v6
	v_fmac_f32_e32 v8, v6, v3
	v_div_scale_f32 v4, s[12:13], v8, v8, 1.0
	v_rcp_f32_e32 v6, v4
	s_nop 0
	v_fma_f32 v7, -v4, v6, 1.0
	v_fmac_f32_e32 v6, v7, v6
	v_div_scale_f32 v7, vcc, 1.0, v8, 1.0
	v_mul_f32_e32 v9, v7, v6
	v_fma_f32 v10, -v4, v9, v7
	v_fmac_f32_e32 v9, v10, v6
	v_fma_f32 v4, -v4, v9, v7
	v_div_fmas_f32 v4, v4, v6, v9
	v_mul_f32_e32 v6, 0, v3
	v_div_fixup_f32 v4, v4, v8, 1.0
	v_add_f32_e32 v6, 1.0, v6
	v_sub_f32_e32 v7, 0, v3
	v_pk_mul_f32 v[10:11], v[6:7], v[4:5] op_sel_hi:[1,0]
                                        ; implicit-def: $vgpr4
                                        ; implicit-def: $vgpr3
.LBB180_237:
	s_andn2_saveexec_b64 s[2:3], s[2:3]
	s_cbranch_execz .LBB180_239
; %bb.238:
	v_div_scale_f32 v6, s[12:13], v4, v4, 0
	v_rcp_f32_e32 v7, v6
	v_div_scale_f32 v8, vcc, 0, v4, 0
	v_fma_f32 v9, -v6, v7, 1.0
	v_fmac_f32_e32 v7, v9, v7
	v_mul_f32_e32 v9, v8, v7
	v_fma_f32 v10, -v6, v9, v8
	v_fmac_f32_e32 v9, v10, v7
	v_fma_f32 v6, -v6, v9, v8
	v_div_scale_f32 v8, s[12:13], v3, v3, 1.0
	v_rcp_f32_e32 v10, v8
	v_div_fmas_f32 v6, v6, v7, v9
	v_div_fixup_f32 v11, v6, v4, 0
	v_fma_f32 v4, -v8, v10, 1.0
	v_fmac_f32_e32 v10, v4, v10
	v_div_scale_f32 v4, vcc, 1.0, v3, 1.0
	v_mul_f32_e32 v6, v4, v10
	v_fma_f32 v7, -v8, v6, v4
	v_fmac_f32_e32 v6, v7, v10
	v_fma_f32 v4, -v8, v6, v4
	v_div_fmas_f32 v4, v4, v10, v6
	v_div_fixup_f32 v10, v4, v3, 1.0
.LBB180_239:
	s_or_b64 exec, exec, s[2:3]
                                        ; implicit-def: $vgpr6
                                        ; implicit-def: $vgpr8
.LBB180_240:
	s_andn2_saveexec_b64 s[2:3], s[4:5]
	s_cbranch_execz .LBB180_242
; %bb.241:
	v_div_scale_f32 v3, s[4:5], v6, v6, v8
	v_rcp_f32_e32 v4, v3
	v_div_scale_f32 v7, vcc, v8, v6, v8
	v_fma_f32 v9, -v3, v4, 1.0
	v_fmac_f32_e32 v4, v9, v4
	v_mul_f32_e32 v9, v7, v4
	v_fma_f32 v10, -v3, v9, v7
	v_fmac_f32_e32 v9, v10, v4
	v_fma_f32 v3, -v3, v9, v7
	v_div_fmas_f32 v3, v3, v4, v9
	v_div_fixup_f32 v10, v3, v6, v8
	v_fmac_f32_e32 v6, v8, v10
	v_div_scale_f32 v3, s[4:5], v6, v6, 1.0
	v_rcp_f32_e32 v4, v3
	s_mov_b32 s4, 0
	s_mov_b32 s5, -1.0
	v_mul_f32_e32 v11, 0, v10
	v_fma_f32 v7, -v3, v4, 1.0
	v_fmac_f32_e32 v4, v7, v4
	v_div_scale_f32 v7, vcc, 1.0, v6, 1.0
	v_mul_f32_e32 v8, v7, v4
	v_fma_f32 v9, -v3, v8, v7
	v_fmac_f32_e32 v8, v9, v4
	v_fma_f32 v3, -v3, v8, v7
	v_div_fmas_f32 v3, v3, v4, v8
	v_div_fixup_f32 v4, v3, v6, 1.0
	v_pk_add_f32 v[6:7], v[10:11], s[4:5]
	s_nop 0
	v_pk_mul_f32 v[10:11], v[6:7], v[4:5] op_sel_hi:[1,0]
.LBB180_242:
	s_or_b64 exec, exec, s[2:3]
	v_cvt_f16_f32_e32 v3, v10
	v_cvt_f16_f32_sdwa v4, v11 dst_sel:WORD_1 dst_unused:UNUSED_PAD src0_sel:DWORD
	s_nop 0
	v_or_b32_e32 v10, v4, v3
.LBB180_243:
	s_or_b64 exec, exec, s[10:11]
	s_waitcnt vmcnt(0)
	v_or_b32_e32 v3, 0x200, v0
	v_cmp_gt_i32_e32 vcc, s24, v3
                                        ; implicit-def: $vgpr11
	s_and_saveexec_b64 s[10:11], vcc
	s_cbranch_execz .LBB180_283
; %bb.244:
	v_cvt_f32_f16_sdwa v6, v5 dst_sel:DWORD dst_unused:UNUSED_PAD src0_sel:WORD_1
	v_mov_b32_e32 v4, 0
	v_cmp_neq_f16_e32 vcc, 0, v5
	v_cmp_neq_f16_sdwa s[2:3], v5, v4 src0_sel:WORD_1 src1_sel:DWORD
	s_or_b64 s[2:3], vcc, s[2:3]
	s_and_saveexec_b64 s[12:13], s[2:3]
	s_cbranch_execz .LBB180_274
; %bb.245:
	v_cvt_f32_f16_e32 v7, v5
	v_mov_b32_e32 v4, 0x7f800000
	v_cmp_neq_f32_e64 s[2:3], |v6|, v4
	s_and_saveexec_b64 s[14:15], s[2:3]
	s_cbranch_execz .LBB180_273
; %bb.246:
	v_cmp_o_f16_e32 vcc, v5, v5
                                        ; implicit-def: $vgpr4
	s_and_saveexec_b64 s[2:3], vcc
	s_xor_b64 s[16:17], exec, s[2:3]
	s_cbranch_execz .LBB180_270
; %bb.247:
	s_mov_b32 s2, 0x7f800000
	v_cmp_neq_f32_e64 s[2:3], |v7|, s2
                                        ; implicit-def: $vgpr4
	s_and_saveexec_b64 s[4:5], s[2:3]
	s_xor_b64 s[18:19], exec, s[4:5]
	s_cbranch_execz .LBB180_263
; %bb.248:
	v_max_f32_e64 v3, |v6|, |v6|
	v_max_f32_e64 v4, |v7|, |v7|
	v_max_f32_e32 v3, v4, v3
	s_mov_b32 s2, 0x7ed413cb
	v_cmp_nle_f32_e64 s[2:3], s2, v3
                                        ; implicit-def: $sgpr20_sgpr21
	s_and_saveexec_b64 s[4:5], s[2:3]
	s_xor_b64 s[4:5], exec, s[4:5]
	s_cbranch_execz .LBB180_252
; %bb.249:
	s_mov_b32 s7, 0x1000000
	v_cmp_le_f32_e64 s[20:21], |v7|, s7
	v_cmp_le_f32_e64 s[22:23], |v6|, s7
	s_and_b64 s[26:27], s[20:21], s[22:23]
	s_mov_b64 s[20:21], 0
	s_and_saveexec_b64 s[22:23], s[26:27]
; %bb.250:
	s_mov_b64 s[20:21], exec
	v_pk_mul_f32 v[6:7], v[6:7], 4.0 op_sel_hi:[1,0]
; %bb.251:
	s_or_b64 exec, exec, s[22:23]
.LBB180_252:
	s_andn2_saveexec_b64 s[4:5], s[4:5]
; %bb.253:
	s_mov_b32 s22, 0x3e800000
	v_pk_mul_f32 v[6:7], v[6:7], s[22:23] op_sel_hi:[1,0]
	s_andn2_b64 s[20:21], s[20:21], exec
; %bb.254:
	s_or_b64 exec, exec, s[4:5]
	v_max_f32_e64 v3, |v6|, |v6|
	v_max_f32_e64 v4, |v7|, |v7|
	v_max_f32_e32 v3, v4, v3
	v_cvt_f64_f32_e32 v[4:5], v3
	v_frexp_exp_i32_f64_e32 v4, v[4:5]
	v_sub_u32_e32 v5, 0, v4
	v_ldexp_f32 v8, |v7|, v5
	v_ldexp_f32 v5, |v6|, v5
	v_mul_f32_e32 v5, v5, v5
	v_fmac_f32_e32 v5, v8, v8
	v_sqrt_f32_e32 v5, v5
	s_mov_b32 s4, 0x7f800000
	v_cmp_neq_f32_e64 s[4:5], s4, v3
	v_cmp_le_f32_e32 vcc, 0, v7
	v_ldexp_f32 v4, v5, v4
	v_mov_b32_e32 v5, 0x7f800000
	v_cndmask_b32_e64 v3, v5, v4, s[4:5]
                                        ; implicit-def: $vgpr8_vgpr9
	s_and_saveexec_b64 s[4:5], vcc
	s_xor_b64 s[22:23], exec, s[4:5]
	s_cbranch_execz .LBB180_256
; %bb.255:
	v_add_f32_e32 v3, v7, v3
	v_mul_f32_e32 v3, 0.5, v3
	s_mov_b32 s4, 0xf800000
	v_mul_f32_e32 v4, 0x4f800000, v3
	v_cmp_gt_f32_e32 vcc, s4, v3
	s_nop 1
	v_cndmask_b32_e32 v3, v3, v4, vcc
	v_sqrt_f32_e32 v4, v3
	s_nop 0
	v_add_u32_e32 v5, -1, v4
	v_fma_f32 v7, -v5, v4, v3
	v_cmp_ge_f32_e64 s[4:5], 0, v7
	v_add_u32_e32 v7, 1, v4
	s_nop 0
	v_cndmask_b32_e64 v5, v4, v5, s[4:5]
	v_fma_f32 v4, -v7, v4, v3
	v_cmp_lt_f32_e64 s[4:5], 0, v4
	s_nop 1
	v_cndmask_b32_e64 v4, v5, v7, s[4:5]
	v_mul_f32_e32 v5, 0x37800000, v4
	v_cndmask_b32_e32 v4, v4, v5, vcc
	v_mov_b32_e32 v5, 0x260
	v_cmp_class_f32_e32 vcc, v3, v5
	s_nop 1
	v_cndmask_b32_e32 v8, v4, v3, vcc
	v_add_f32_e32 v3, v8, v8
	v_div_scale_f32 v4, s[4:5], v3, v3, v6
	v_rcp_f32_e32 v5, v4
	s_nop 0
	v_fma_f32 v7, -v4, v5, 1.0
	v_fmac_f32_e32 v5, v7, v5
	v_div_scale_f32 v7, vcc, v6, v3, v6
	v_mul_f32_e32 v9, v7, v5
	v_fma_f32 v11, -v4, v9, v7
	v_fmac_f32_e32 v9, v11, v5
	v_fma_f32 v4, -v4, v9, v7
	v_div_fmas_f32 v4, v4, v5, v9
	v_div_fixup_f32 v9, v4, v3, v6
                                        ; implicit-def: $vgpr3
                                        ; implicit-def: $vgpr6_vgpr7
	s_andn2_saveexec_b64 s[22:23], s[22:23]
	s_cbranch_execz .LBB180_258
	s_branch .LBB180_257
.LBB180_256:
	s_andn2_saveexec_b64 s[22:23], s[22:23]
	s_cbranch_execz .LBB180_258
.LBB180_257:
	v_sub_f32_e32 v3, v3, v7
	v_mul_f32_e32 v3, 0.5, v3
	s_mov_b32 s4, 0xf800000
	v_mul_f32_e32 v4, 0x4f800000, v3
	v_cmp_gt_f32_e32 vcc, s4, v3
	s_nop 1
	v_cndmask_b32_e32 v3, v3, v4, vcc
	v_sqrt_f32_e32 v4, v3
	s_nop 0
	v_add_u32_e32 v5, -1, v4
	v_fma_f32 v7, -v5, v4, v3
	v_cmp_ge_f32_e64 s[4:5], 0, v7
	v_add_u32_e32 v7, 1, v4
	s_nop 0
	v_cndmask_b32_e64 v5, v4, v5, s[4:5]
	v_fma_f32 v4, -v7, v4, v3
	v_cmp_lt_f32_e64 s[4:5], 0, v4
	s_nop 1
	v_cndmask_b32_e64 v4, v5, v7, s[4:5]
	v_mul_f32_e32 v5, 0x37800000, v4
	v_cndmask_b32_e32 v4, v4, v5, vcc
	v_mov_b32_e32 v5, 0x260
	v_cmp_class_f32_e32 vcc, v3, v5
	v_and_b32_e32 v5, 0x7fffffff, v6
	s_nop 0
	v_cndmask_b32_e32 v3, v4, v3, vcc
	v_add_f32_e32 v4, v3, v3
	v_div_scale_f32 v7, s[4:5], v4, v4, v5
	v_rcp_f32_e32 v8, v7
	v_div_scale_f32 v5, vcc, v5, v4, v5
	s_brev_b32 s4, -2
	v_fma_f32 v9, -v7, v8, 1.0
	v_fmac_f32_e32 v8, v9, v8
	v_mul_f32_e32 v9, v5, v8
	v_fma_f32 v11, -v7, v9, v5
	v_fmac_f32_e32 v9, v11, v8
	v_fma_f32 v5, -v7, v9, v5
	v_div_fmas_f32 v5, v5, v8, v9
	v_div_fixup_f32 v8, v5, v4, |v6|
	v_bfi_b32 v9, s4, v3, v6
.LBB180_258:
	s_or_b64 exec, exec, s[22:23]
                                        ; implicit-def: $vgpr6
                                        ; implicit-def: $vgpr4
	s_and_saveexec_b64 s[4:5], s[2:3]
	s_xor_b64 s[2:3], exec, s[4:5]
	s_cbranch_execz .LBB180_260
; %bb.259:
	v_pk_mul_f32 v[4:5], v[8:9], 0.5 op_sel_hi:[1,0]
	s_nop 0
	v_cndmask_b32_e64 v4, v8, v4, s[20:21]
	v_cndmask_b32_e64 v6, v9, v5, s[20:21]
                                        ; implicit-def: $vgpr8_vgpr9
	s_andn2_saveexec_b64 s[2:3], s[2:3]
	s_cbranch_execnz .LBB180_261
	s_branch .LBB180_262
.LBB180_260:
	s_andn2_saveexec_b64 s[2:3], s[2:3]
.LBB180_261:
	v_pk_add_f32 v[4:5], v[8:9], v[8:9]
	s_nop 0
	v_mov_b32_e32 v6, v5
.LBB180_262:
	s_or_b64 exec, exec, s[2:3]
                                        ; implicit-def: $vgpr5
.LBB180_263:
	s_andn2_saveexec_b64 s[2:3], s[18:19]
	s_cbranch_execz .LBB180_269
; %bb.264:
	v_and_b32_e32 v3, 0x8000, v5
	v_cmp_ne_u32_e32 vcc, 0, v3
	v_sub_f32_e32 v3, v6, v6
                                        ; implicit-def: $vgpr4
	s_and_saveexec_b64 s[4:5], vcc
	s_xor_b64 s[4:5], exec, s[4:5]
; %bb.265:
	s_brev_b32 s7, -2
	v_and_b32_e32 v4, 0x7fffffff, v3
	v_bfi_b32 v6, s7, v7, v6
                                        ; implicit-def: $vgpr3
; %bb.266:
	s_andn2_saveexec_b64 s[4:5], s[4:5]
; %bb.267:
	s_brev_b32 s7, -2
	v_bfi_b32 v6, s7, v3, v6
	v_mov_b32_e32 v4, v7
; %bb.268:
	s_or_b64 exec, exec, s[4:5]
.LBB180_269:
	s_or_b64 exec, exec, s[2:3]
.LBB180_270:
	s_andn2_saveexec_b64 s[2:3], s[16:17]
	s_cbranch_execz .LBB180_272
; %bb.271:
	v_sub_f32_e32 v3, v6, v6
	v_div_scale_f32 v4, vcc, v3, v3, v3
	v_rcp_f32_e32 v5, v4
	s_nop 0
	v_fma_f32 v6, -v4, v5, 1.0
	v_fmac_f32_e32 v5, v6, v5
	v_mul_f32_e32 v6, v4, v5
	v_fma_f32 v8, -v4, v6, v4
	v_fmac_f32_e32 v6, v8, v5
	v_fma_f32 v4, -v4, v6, v4
	v_div_fmas_f32 v4, v4, v5, v6
	v_div_fixup_f32 v6, v4, v3, v3
	v_mov_b32_e32 v4, v7
.LBB180_272:
	s_or_b64 exec, exec, s[2:3]
.LBB180_273:
	s_or_b64 exec, exec, s[14:15]
.LBB180_274:
	s_or_b64 exec, exec, s[12:13]
	v_cmp_gt_f32_e32 vcc, 0, v6
                                        ; implicit-def: $vgpr8_vgpr9
	s_nop 1
	v_cndmask_b32_e64 v5, v6, -v6, vcc
	v_cmp_gt_f32_e32 vcc, 0, v4
	s_nop 1
	v_cndmask_b32_e64 v3, v4, -v4, vcc
	v_cmp_ge_f32_e32 vcc, v3, v5
	s_and_saveexec_b64 s[2:3], vcc
	s_xor_b64 s[4:5], exec, s[2:3]
	s_cbranch_execz .LBB180_280
; %bb.275:
	v_cmp_neq_f32_e32 vcc, 0, v4
	v_cmp_neq_f32_e64 s[2:3], 0, v6
	s_or_b64 s[2:3], vcc, s[2:3]
                                        ; implicit-def: $vgpr8_vgpr9
	s_and_saveexec_b64 s[12:13], s[2:3]
	s_xor_b64 s[2:3], exec, s[12:13]
	s_cbranch_execz .LBB180_277
; %bb.276:
	v_div_scale_f32 v3, s[12:13], v4, v4, v6
	v_rcp_f32_e32 v5, v3
	v_div_scale_f32 v7, vcc, v6, v4, v6
	v_fma_f32 v8, -v3, v5, 1.0
	v_fmac_f32_e32 v5, v8, v5
	v_mul_f32_e32 v8, v7, v5
	v_fma_f32 v9, -v3, v8, v7
	v_fmac_f32_e32 v8, v9, v5
	v_fma_f32 v3, -v3, v8, v7
	v_div_fmas_f32 v3, v3, v5, v8
	v_div_fixup_f32 v3, v3, v4, v6
	v_fmac_f32_e32 v4, v6, v3
	v_div_scale_f32 v5, s[12:13], v4, v4, 1.0
	v_rcp_f32_e32 v6, v5
	s_nop 0
	v_fma_f32 v7, -v5, v6, 1.0
	v_fmac_f32_e32 v6, v7, v6
	v_div_scale_f32 v7, vcc, 1.0, v4, 1.0
	v_mul_f32_e32 v8, v7, v6
	v_fma_f32 v9, -v5, v8, v7
	v_fmac_f32_e32 v8, v9, v6
	v_fma_f32 v5, -v5, v8, v7
	v_div_fmas_f32 v5, v5, v6, v8
	v_div_fixup_f32 v4, v5, v4, 1.0
	v_mul_f32_e32 v5, 0, v3
	v_add_f32_e32 v6, 1.0, v5
	v_sub_f32_e32 v7, 0, v3
	v_pk_mul_f32 v[8:9], v[6:7], v[4:5] op_sel_hi:[1,0]
                                        ; implicit-def: $vgpr5
                                        ; implicit-def: $vgpr3
.LBB180_277:
	s_andn2_saveexec_b64 s[2:3], s[2:3]
	s_cbranch_execz .LBB180_279
; %bb.278:
	v_div_scale_f32 v4, s[12:13], v5, v5, 0
	v_rcp_f32_e32 v6, v4
	v_div_scale_f32 v7, vcc, 0, v5, 0
	v_fma_f32 v8, -v4, v6, 1.0
	v_fmac_f32_e32 v6, v8, v6
	v_mul_f32_e32 v8, v7, v6
	v_fma_f32 v9, -v4, v8, v7
	v_fmac_f32_e32 v8, v9, v6
	v_fma_f32 v4, -v4, v8, v7
	v_div_scale_f32 v7, s[12:13], v3, v3, 1.0
	v_rcp_f32_e32 v11, v7
	v_div_fmas_f32 v4, v4, v6, v8
	v_div_fixup_f32 v9, v4, v5, 0
	v_fma_f32 v4, -v7, v11, 1.0
	v_fmac_f32_e32 v11, v4, v11
	v_div_scale_f32 v4, vcc, 1.0, v3, 1.0
	v_mul_f32_e32 v5, v4, v11
	v_fma_f32 v6, -v7, v5, v4
	v_fmac_f32_e32 v5, v6, v11
	v_fma_f32 v4, -v7, v5, v4
	v_div_fmas_f32 v4, v4, v11, v5
	v_div_fixup_f32 v8, v4, v3, 1.0
.LBB180_279:
	s_or_b64 exec, exec, s[2:3]
                                        ; implicit-def: $vgpr6
                                        ; implicit-def: $vgpr4
.LBB180_280:
	s_andn2_saveexec_b64 s[2:3], s[4:5]
	s_cbranch_execz .LBB180_282
; %bb.281:
	v_div_scale_f32 v3, s[4:5], v6, v6, v4
	v_rcp_f32_e32 v5, v3
	v_div_scale_f32 v7, vcc, v4, v6, v4
	v_fma_f32 v8, -v3, v5, 1.0
	v_fmac_f32_e32 v5, v8, v5
	v_mul_f32_e32 v8, v7, v5
	v_fma_f32 v9, -v3, v8, v7
	v_fmac_f32_e32 v8, v9, v5
	v_fma_f32 v3, -v3, v8, v7
	v_div_fmas_f32 v3, v3, v5, v8
	v_div_fixup_f32 v8, v3, v6, v4
	v_fmac_f32_e32 v6, v4, v8
	v_div_scale_f32 v3, s[4:5], v6, v6, 1.0
	v_rcp_f32_e32 v4, v3
	s_mov_b32 s4, 0
	s_mov_b32 s5, -1.0
	v_fma_f32 v5, -v3, v4, 1.0
	v_fmac_f32_e32 v4, v5, v4
	v_div_scale_f32 v5, vcc, 1.0, v6, 1.0
	v_mul_f32_e32 v7, v5, v4
	v_fma_f32 v9, -v3, v7, v5
	v_fmac_f32_e32 v7, v9, v4
	v_fma_f32 v3, -v3, v7, v5
	v_div_fmas_f32 v3, v3, v4, v7
	v_mul_f32_e32 v9, 0, v8
	v_div_fixup_f32 v4, v3, v6, 1.0
	v_pk_add_f32 v[6:7], v[8:9], s[4:5]
	s_nop 0
	v_pk_mul_f32 v[8:9], v[6:7], v[4:5] op_sel_hi:[1,0]
.LBB180_282:
	s_or_b64 exec, exec, s[2:3]
	v_cvt_f16_f32_e32 v3, v8
	v_cvt_f16_f32_sdwa v4, v9 dst_sel:WORD_1 dst_unused:UNUSED_PAD src0_sel:DWORD
	s_nop 0
	v_or_b32_e32 v11, v4, v3
.LBB180_283:
	s_or_b64 exec, exec, s[10:11]
	v_or_b32_e32 v3, 0x300, v0
	v_cmp_gt_i32_e32 vcc, s24, v3
                                        ; implicit-def: $vgpr4
	s_and_saveexec_b64 s[10:11], vcc
	s_cbranch_execz .LBB180_296
; %bb.284:
	v_cvt_f32_f16_sdwa v4, v1 dst_sel:DWORD dst_unused:UNUSED_PAD src0_sel:WORD_1
	v_mov_b32_e32 v6, 0
	v_cmp_neq_f16_e32 vcc, 0, v1
	v_cmp_neq_f16_sdwa s[2:3], v1, v6 src0_sel:WORD_1 src1_sel:DWORD
	s_or_b64 s[2:3], vcc, s[2:3]
	s_and_saveexec_b64 s[12:13], s[2:3]
	s_cbranch_execz .LBB180_318
; %bb.285:
	v_cvt_f32_f16_e32 v5, v1
	v_mov_b32_e32 v6, 0x7f800000
	v_cmp_neq_f32_e64 s[2:3], |v4|, v6
	s_and_saveexec_b64 s[14:15], s[2:3]
	s_cbranch_execz .LBB180_317
; %bb.286:
	v_cmp_o_f16_e32 vcc, v1, v1
                                        ; implicit-def: $vgpr6
	s_and_saveexec_b64 s[2:3], vcc
	s_xor_b64 s[16:17], exec, s[2:3]
	s_cbranch_execz .LBB180_314
; %bb.287:
	s_mov_b32 s2, 0x7f800000
	v_cmp_neq_f32_e64 s[2:3], |v5|, s2
                                        ; implicit-def: $vgpr6
	s_and_saveexec_b64 s[4:5], s[2:3]
	s_xor_b64 s[18:19], exec, s[4:5]
	s_cbranch_execz .LBB180_307
; %bb.288:
	v_max_f32_e64 v1, |v4|, |v4|
	v_max_f32_e64 v3, |v5|, |v5|
	v_max_f32_e32 v1, v3, v1
	s_mov_b32 s2, 0x7ed413cb
	v_cmp_nle_f32_e64 s[2:3], s2, v1
                                        ; implicit-def: $sgpr20_sgpr21
	s_and_saveexec_b64 s[4:5], s[2:3]
	s_xor_b64 s[4:5], exec, s[4:5]
	s_cbranch_execz .LBB180_292
; %bb.289:
	s_mov_b32 s7, 0x1000000
	v_cmp_le_f32_e64 s[20:21], |v5|, s7
	v_cmp_le_f32_e64 s[22:23], |v4|, s7
	s_and_b64 s[26:27], s[20:21], s[22:23]
	s_mov_b64 s[20:21], 0
	s_and_saveexec_b64 s[22:23], s[26:27]
; %bb.290:
	s_mov_b64 s[20:21], exec
	v_pk_mul_f32 v[4:5], v[4:5], 4.0 op_sel_hi:[1,0]
; %bb.291:
	s_or_b64 exec, exec, s[22:23]
.LBB180_292:
	s_andn2_saveexec_b64 s[4:5], s[4:5]
; %bb.293:
	s_mov_b32 s22, 0x3e800000
	v_pk_mul_f32 v[4:5], v[4:5], s[22:23] op_sel_hi:[1,0]
	s_andn2_b64 s[20:21], s[20:21], exec
; %bb.294:
	s_or_b64 exec, exec, s[4:5]
	v_max_f32_e64 v1, |v4|, |v4|
	v_max_f32_e64 v3, |v5|, |v5|
	v_max_f32_e32 v1, v3, v1
	v_cvt_f64_f32_e32 v[6:7], v1
	v_frexp_exp_i32_f64_e32 v3, v[6:7]
	v_sub_u32_e32 v6, 0, v3
	v_ldexp_f32 v7, |v5|, v6
	v_ldexp_f32 v6, |v4|, v6
	v_mul_f32_e32 v6, v6, v6
	v_fmac_f32_e32 v6, v7, v7
	v_sqrt_f32_e32 v6, v6
	s_mov_b32 s4, 0x7f800000
	v_cmp_neq_f32_e64 s[4:5], s4, v1
	v_cmp_le_f32_e32 vcc, 0, v5
	v_ldexp_f32 v3, v6, v3
	v_mov_b32_e32 v6, 0x7f800000
	v_cndmask_b32_e64 v1, v6, v3, s[4:5]
                                        ; implicit-def: $vgpr8_vgpr9
	s_and_saveexec_b64 s[4:5], vcc
	s_xor_b64 s[22:23], exec, s[4:5]
	s_cbranch_execz .LBB180_300
; %bb.295:
	v_add_f32_e32 v1, v5, v1
	v_mul_f32_e32 v1, 0.5, v1
	s_mov_b32 s4, 0xf800000
	v_mul_f32_e32 v3, 0x4f800000, v1
	v_cmp_gt_f32_e32 vcc, s4, v1
	s_nop 1
	v_cndmask_b32_e32 v1, v1, v3, vcc
	v_sqrt_f32_e32 v3, v1
	s_nop 0
	v_add_u32_e32 v5, -1, v3
	v_fma_f32 v6, -v5, v3, v1
	v_cmp_ge_f32_e64 s[4:5], 0, v6
	v_add_u32_e32 v6, 1, v3
	s_nop 0
	v_cndmask_b32_e64 v5, v3, v5, s[4:5]
	v_fma_f32 v3, -v6, v3, v1
	v_cmp_lt_f32_e64 s[4:5], 0, v3
	s_nop 1
	v_cndmask_b32_e64 v3, v5, v6, s[4:5]
	v_mul_f32_e32 v5, 0x37800000, v3
	v_cndmask_b32_e32 v3, v3, v5, vcc
	v_mov_b32_e32 v5, 0x260
	v_cmp_class_f32_e32 vcc, v1, v5
	s_nop 1
	v_cndmask_b32_e32 v8, v3, v1, vcc
	v_add_f32_e32 v1, v8, v8
	v_div_scale_f32 v3, s[4:5], v1, v1, v4
	v_rcp_f32_e32 v5, v3
	s_nop 0
	v_fma_f32 v6, -v3, v5, 1.0
	v_fmac_f32_e32 v5, v6, v5
	v_div_scale_f32 v6, vcc, v4, v1, v4
	v_mul_f32_e32 v7, v6, v5
	v_fma_f32 v9, -v3, v7, v6
	v_fmac_f32_e32 v7, v9, v5
	v_fma_f32 v3, -v3, v7, v6
	v_div_fmas_f32 v3, v3, v5, v7
	v_div_fixup_f32 v9, v3, v1, v4
                                        ; implicit-def: $vgpr1
                                        ; implicit-def: $vgpr4_vgpr5
	s_andn2_saveexec_b64 s[22:23], s[22:23]
	s_cbranch_execz .LBB180_302
	s_branch .LBB180_301
.LBB180_296:
	s_or_b64 exec, exec, s[10:11]
	s_and_saveexec_b64 s[2:3], s[0:1]
	s_xor_b64 s[0:1], exec, s[2:3]
	s_cbranch_execz .LBB180_327
.LBB180_297:
	v_mov_b32_e32 v3, 0
	v_lshl_add_u64 v[0:1], v[2:3], 2, s[8:9]
	global_store_dword v[0:1], v12, off
	v_mov_b32_e32 v0, v13
	s_or_b64 exec, exec, s[0:1]
	v_cmp_gt_i32_e32 vcc, s24, v0
	s_and_saveexec_b64 s[0:1], vcc
	s_cbranch_execnz .LBB180_328
.LBB180_298:
	s_or_b64 exec, exec, s[0:1]
	v_cmp_gt_i32_e32 vcc, s24, v0
	s_and_saveexec_b64 s[0:1], vcc
	s_cbranch_execz .LBB180_329
.LBB180_299:
	v_add_u32_e32 v2, s6, v0
	v_mov_b32_e32 v3, 0
	v_lshl_add_u64 v[2:3], v[2:3], 2, s[8:9]
	v_add_u32_e32 v0, 0x100, v0
	global_store_dword v[2:3], v11, off
	s_or_b64 exec, exec, s[0:1]
	v_cmp_gt_i32_e32 vcc, s24, v0
	s_and_saveexec_b64 s[0:1], vcc
	s_cbranch_execnz .LBB180_330
	s_branch .LBB180_331
.LBB180_300:
	s_andn2_saveexec_b64 s[22:23], s[22:23]
	s_cbranch_execz .LBB180_302
.LBB180_301:
	v_sub_f32_e32 v1, v1, v5
	v_mul_f32_e32 v1, 0.5, v1
	s_mov_b32 s4, 0xf800000
	v_mul_f32_e32 v3, 0x4f800000, v1
	v_cmp_gt_f32_e32 vcc, s4, v1
	s_nop 1
	v_cndmask_b32_e32 v1, v1, v3, vcc
	v_sqrt_f32_e32 v3, v1
	s_nop 0
	v_add_u32_e32 v5, -1, v3
	v_fma_f32 v6, -v5, v3, v1
	v_cmp_ge_f32_e64 s[4:5], 0, v6
	v_add_u32_e32 v6, 1, v3
	s_nop 0
	v_cndmask_b32_e64 v5, v3, v5, s[4:5]
	v_fma_f32 v3, -v6, v3, v1
	v_cmp_lt_f32_e64 s[4:5], 0, v3
	s_nop 1
	v_cndmask_b32_e64 v3, v5, v6, s[4:5]
	v_mul_f32_e32 v5, 0x37800000, v3
	v_cndmask_b32_e32 v3, v3, v5, vcc
	v_mov_b32_e32 v5, 0x260
	v_cmp_class_f32_e32 vcc, v1, v5
	v_and_b32_e32 v5, 0x7fffffff, v4
	s_nop 0
	v_cndmask_b32_e32 v1, v3, v1, vcc
	v_add_f32_e32 v3, v1, v1
	v_div_scale_f32 v6, s[4:5], v3, v3, v5
	v_rcp_f32_e32 v7, v6
	v_div_scale_f32 v5, vcc, v5, v3, v5
	s_brev_b32 s4, -2
	v_fma_f32 v8, -v6, v7, 1.0
	v_fmac_f32_e32 v7, v8, v7
	v_mul_f32_e32 v8, v5, v7
	v_fma_f32 v9, -v6, v8, v5
	v_fmac_f32_e32 v8, v9, v7
	v_fma_f32 v5, -v6, v8, v5
	v_div_fmas_f32 v5, v5, v7, v8
	v_div_fixup_f32 v8, v5, v3, |v4|
	v_bfi_b32 v9, s4, v1, v4
.LBB180_302:
	s_or_b64 exec, exec, s[22:23]
                                        ; implicit-def: $vgpr4
                                        ; implicit-def: $vgpr6
	s_and_saveexec_b64 s[4:5], s[2:3]
	s_xor_b64 s[2:3], exec, s[4:5]
	s_cbranch_execz .LBB180_304
; %bb.303:
	v_pk_mul_f32 v[4:5], v[8:9], 0.5 op_sel_hi:[1,0]
	s_nop 0
	v_cndmask_b32_e64 v6, v8, v4, s[20:21]
	v_cndmask_b32_e64 v4, v9, v5, s[20:21]
                                        ; implicit-def: $vgpr8_vgpr9
	s_andn2_saveexec_b64 s[2:3], s[2:3]
	s_cbranch_execnz .LBB180_305
	s_branch .LBB180_306
.LBB180_304:
	s_andn2_saveexec_b64 s[2:3], s[2:3]
.LBB180_305:
	v_pk_add_f32 v[6:7], v[8:9], v[8:9]
	s_nop 0
	v_mov_b32_e32 v4, v7
.LBB180_306:
	s_or_b64 exec, exec, s[2:3]
                                        ; implicit-def: $vgpr1
.LBB180_307:
	s_andn2_saveexec_b64 s[2:3], s[18:19]
	s_cbranch_execz .LBB180_313
; %bb.308:
	v_and_b32_e32 v1, 0x8000, v1
	v_cmp_ne_u32_e32 vcc, 0, v1
	v_sub_f32_e32 v1, v4, v4
                                        ; implicit-def: $vgpr6
	s_and_saveexec_b64 s[4:5], vcc
	s_xor_b64 s[4:5], exec, s[4:5]
; %bb.309:
	s_brev_b32 s7, -2
	v_and_b32_e32 v6, 0x7fffffff, v1
	v_bfi_b32 v4, s7, v5, v4
                                        ; implicit-def: $vgpr1
; %bb.310:
	s_andn2_saveexec_b64 s[4:5], s[4:5]
; %bb.311:
	s_brev_b32 s7, -2
	v_bfi_b32 v4, s7, v1, v4
	v_mov_b32_e32 v6, v5
; %bb.312:
	s_or_b64 exec, exec, s[4:5]
.LBB180_313:
	s_or_b64 exec, exec, s[2:3]
.LBB180_314:
	s_andn2_saveexec_b64 s[2:3], s[16:17]
	s_cbranch_execz .LBB180_316
; %bb.315:
	v_sub_f32_e32 v1, v4, v4
	v_div_scale_f32 v3, vcc, v1, v1, v1
	v_rcp_f32_e32 v4, v3
	s_nop 0
	v_fma_f32 v6, -v3, v4, 1.0
	v_fmac_f32_e32 v4, v6, v4
	v_mul_f32_e32 v6, v3, v4
	v_fma_f32 v7, -v3, v6, v3
	v_fmac_f32_e32 v6, v7, v4
	v_fma_f32 v3, -v3, v6, v3
	v_div_fmas_f32 v3, v3, v4, v6
	v_div_fixup_f32 v4, v3, v1, v1
	v_mov_b32_e32 v6, v5
.LBB180_316:
	s_or_b64 exec, exec, s[2:3]
.LBB180_317:
	s_or_b64 exec, exec, s[14:15]
.LBB180_318:
	s_or_b64 exec, exec, s[12:13]
	v_cmp_gt_f32_e32 vcc, 0, v4
                                        ; implicit-def: $vgpr8_vgpr9
	s_nop 1
	v_cndmask_b32_e64 v3, v4, -v4, vcc
	v_cmp_gt_f32_e32 vcc, 0, v6
	s_nop 1
	v_cndmask_b32_e64 v1, v6, -v6, vcc
	v_cmp_ge_f32_e32 vcc, v1, v3
	s_and_saveexec_b64 s[2:3], vcc
	s_xor_b64 s[4:5], exec, s[2:3]
	s_cbranch_execz .LBB180_324
; %bb.319:
	v_cmp_neq_f32_e32 vcc, 0, v6
	v_cmp_neq_f32_e64 s[2:3], 0, v4
	s_or_b64 s[2:3], vcc, s[2:3]
                                        ; implicit-def: $vgpr8_vgpr9
	s_and_saveexec_b64 s[12:13], s[2:3]
	s_xor_b64 s[2:3], exec, s[12:13]
	s_cbranch_execz .LBB180_321
; %bb.320:
	v_div_scale_f32 v1, s[12:13], v6, v6, v4
	v_rcp_f32_e32 v3, v1
	v_div_scale_f32 v5, vcc, v4, v6, v4
	v_fma_f32 v7, -v1, v3, 1.0
	v_fmac_f32_e32 v3, v7, v3
	v_mul_f32_e32 v7, v5, v3
	v_fma_f32 v8, -v1, v7, v5
	v_fmac_f32_e32 v7, v8, v3
	v_fma_f32 v1, -v1, v7, v5
	v_div_fmas_f32 v1, v1, v3, v7
	v_div_fixup_f32 v1, v1, v6, v4
	v_fmac_f32_e32 v6, v4, v1
	v_div_scale_f32 v3, s[12:13], v6, v6, 1.0
	v_rcp_f32_e32 v4, v3
	s_nop 0
	v_fma_f32 v5, -v3, v4, 1.0
	v_fmac_f32_e32 v4, v5, v4
	v_div_scale_f32 v5, vcc, 1.0, v6, 1.0
	v_mul_f32_e32 v7, v5, v4
	v_fma_f32 v8, -v3, v7, v5
	v_fmac_f32_e32 v7, v8, v4
	v_fma_f32 v3, -v3, v7, v5
	v_div_fmas_f32 v3, v3, v4, v7
	v_div_fixup_f32 v4, v3, v6, 1.0
	v_mul_f32_e32 v3, 0, v1
	v_add_f32_e32 v6, 1.0, v3
	v_sub_f32_e32 v7, 0, v1
	v_pk_mul_f32 v[8:9], v[6:7], v[4:5] op_sel_hi:[1,0]
                                        ; implicit-def: $vgpr3
                                        ; implicit-def: $vgpr1
.LBB180_321:
	s_andn2_saveexec_b64 s[2:3], s[2:3]
	s_cbranch_execz .LBB180_323
; %bb.322:
	v_div_scale_f32 v4, s[12:13], v3, v3, 0
	v_rcp_f32_e32 v5, v4
	v_div_scale_f32 v6, vcc, 0, v3, 0
	v_fma_f32 v7, -v4, v5, 1.0
	v_fmac_f32_e32 v5, v7, v5
	v_mul_f32_e32 v7, v6, v5
	v_fma_f32 v8, -v4, v7, v6
	v_fmac_f32_e32 v7, v8, v5
	v_fma_f32 v4, -v4, v7, v6
	v_div_scale_f32 v6, s[12:13], v1, v1, 1.0
	v_rcp_f32_e32 v8, v6
	v_div_fmas_f32 v4, v4, v5, v7
	v_div_fixup_f32 v9, v4, v3, 0
	v_fma_f32 v3, -v6, v8, 1.0
	v_fmac_f32_e32 v8, v3, v8
	v_div_scale_f32 v3, vcc, 1.0, v1, 1.0
	v_mul_f32_e32 v4, v3, v8
	v_fma_f32 v5, -v6, v4, v3
	v_fmac_f32_e32 v4, v5, v8
	v_fma_f32 v3, -v6, v4, v3
	v_div_fmas_f32 v3, v3, v8, v4
	v_div_fixup_f32 v8, v3, v1, 1.0
.LBB180_323:
	s_or_b64 exec, exec, s[2:3]
                                        ; implicit-def: $vgpr4
                                        ; implicit-def: $vgpr6
.LBB180_324:
	s_andn2_saveexec_b64 s[2:3], s[4:5]
	s_cbranch_execz .LBB180_326
; %bb.325:
	v_div_scale_f32 v1, s[4:5], v4, v4, v6
	v_rcp_f32_e32 v3, v1
	v_div_scale_f32 v5, vcc, v6, v4, v6
	v_fma_f32 v7, -v1, v3, 1.0
	v_fmac_f32_e32 v3, v7, v3
	v_mul_f32_e32 v7, v5, v3
	v_fma_f32 v8, -v1, v7, v5
	v_fmac_f32_e32 v7, v8, v3
	v_fma_f32 v1, -v1, v7, v5
	v_div_fmas_f32 v1, v1, v3, v7
	v_div_fixup_f32 v8, v1, v4, v6
	v_fmac_f32_e32 v4, v6, v8
	v_div_scale_f32 v1, s[4:5], v4, v4, 1.0
	v_rcp_f32_e32 v3, v1
	s_mov_b32 s4, 0
	s_mov_b32 s5, -1.0
	v_mul_f32_e32 v9, 0, v8
	v_fma_f32 v5, -v1, v3, 1.0
	v_fmac_f32_e32 v3, v5, v3
	v_div_scale_f32 v5, vcc, 1.0, v4, 1.0
	v_mul_f32_e32 v6, v5, v3
	v_fma_f32 v7, -v1, v6, v5
	v_fmac_f32_e32 v6, v7, v3
	v_fma_f32 v1, -v1, v6, v5
	v_div_fmas_f32 v1, v1, v3, v6
	v_div_fixup_f32 v4, v1, v4, 1.0
	v_pk_add_f32 v[6:7], v[8:9], s[4:5]
	s_nop 0
	v_pk_mul_f32 v[8:9], v[6:7], v[4:5] op_sel_hi:[1,0]
.LBB180_326:
	s_or_b64 exec, exec, s[2:3]
	v_cvt_f16_f32_e32 v1, v8
	v_cvt_f16_f32_sdwa v3, v9 dst_sel:WORD_1 dst_unused:UNUSED_PAD src0_sel:DWORD
	s_nop 0
	v_or_b32_e32 v4, v3, v1
	s_or_b64 exec, exec, s[10:11]
	s_and_saveexec_b64 s[2:3], s[0:1]
	s_xor_b64 s[0:1], exec, s[2:3]
	s_cbranch_execnz .LBB180_297
.LBB180_327:
	s_or_b64 exec, exec, s[0:1]
	v_cmp_gt_i32_e32 vcc, s24, v0
	s_and_saveexec_b64 s[0:1], vcc
	s_cbranch_execz .LBB180_298
.LBB180_328:
	v_add_u32_e32 v2, s6, v0
	v_mov_b32_e32 v3, 0
	v_lshl_add_u64 v[2:3], v[2:3], 2, s[8:9]
	v_add_u32_e32 v0, 0x100, v0
	global_store_dword v[2:3], v10, off
	s_or_b64 exec, exec, s[0:1]
	v_cmp_gt_i32_e32 vcc, s24, v0
	s_and_saveexec_b64 s[0:1], vcc
	s_cbranch_execnz .LBB180_299
.LBB180_329:
	s_or_b64 exec, exec, s[0:1]
	v_cmp_gt_i32_e32 vcc, s24, v0
	s_and_saveexec_b64 s[0:1], vcc
	s_cbranch_execz .LBB180_331
.LBB180_330:
	v_add_u32_e32 v0, s6, v0
	v_mov_b32_e32 v1, 0
	v_lshl_add_u64 v[0:1], v[0:1], 2, s[8:9]
	global_store_dword v[0:1], v4, off
.LBB180_331:
	s_endpgm
	.section	.rodata,"a",@progbits
	.p2align	6, 0x0
	.amdhsa_kernel _ZN2at6native29vectorized_elementwise_kernelILi4EZZZNS0_17rsqrt_kernel_cudaERNS_18TensorIteratorBaseEENKUlvE_clEvENKUlvE1_clEvEUlN3c107complexINS6_4HalfEEEE_St5arrayIPcLm2EEEEviT0_T1_
		.amdhsa_group_segment_fixed_size 0
		.amdhsa_private_segment_fixed_size 0
		.amdhsa_kernarg_size 24
		.amdhsa_user_sgpr_count 2
		.amdhsa_user_sgpr_dispatch_ptr 0
		.amdhsa_user_sgpr_queue_ptr 0
		.amdhsa_user_sgpr_kernarg_segment_ptr 1
		.amdhsa_user_sgpr_dispatch_id 0
		.amdhsa_user_sgpr_kernarg_preload_length 0
		.amdhsa_user_sgpr_kernarg_preload_offset 0
		.amdhsa_user_sgpr_private_segment_size 0
		.amdhsa_uses_dynamic_stack 0
		.amdhsa_enable_private_segment 0
		.amdhsa_system_sgpr_workgroup_id_x 1
		.amdhsa_system_sgpr_workgroup_id_y 0
		.amdhsa_system_sgpr_workgroup_id_z 0
		.amdhsa_system_sgpr_workgroup_info 0
		.amdhsa_system_vgpr_workitem_id 0
		.amdhsa_next_free_vgpr 16
		.amdhsa_next_free_sgpr 28
		.amdhsa_accum_offset 16
		.amdhsa_reserve_vcc 1
		.amdhsa_float_round_mode_32 0
		.amdhsa_float_round_mode_16_64 0
		.amdhsa_float_denorm_mode_32 3
		.amdhsa_float_denorm_mode_16_64 3
		.amdhsa_dx10_clamp 1
		.amdhsa_ieee_mode 1
		.amdhsa_fp16_overflow 0
		.amdhsa_tg_split 0
		.amdhsa_exception_fp_ieee_invalid_op 0
		.amdhsa_exception_fp_denorm_src 0
		.amdhsa_exception_fp_ieee_div_zero 0
		.amdhsa_exception_fp_ieee_overflow 0
		.amdhsa_exception_fp_ieee_underflow 0
		.amdhsa_exception_fp_ieee_inexact 0
		.amdhsa_exception_int_div_zero 0
	.end_amdhsa_kernel
	.section	.text._ZN2at6native29vectorized_elementwise_kernelILi4EZZZNS0_17rsqrt_kernel_cudaERNS_18TensorIteratorBaseEENKUlvE_clEvENKUlvE1_clEvEUlN3c107complexINS6_4HalfEEEE_St5arrayIPcLm2EEEEviT0_T1_,"axG",@progbits,_ZN2at6native29vectorized_elementwise_kernelILi4EZZZNS0_17rsqrt_kernel_cudaERNS_18TensorIteratorBaseEENKUlvE_clEvENKUlvE1_clEvEUlN3c107complexINS6_4HalfEEEE_St5arrayIPcLm2EEEEviT0_T1_,comdat
.Lfunc_end180:
	.size	_ZN2at6native29vectorized_elementwise_kernelILi4EZZZNS0_17rsqrt_kernel_cudaERNS_18TensorIteratorBaseEENKUlvE_clEvENKUlvE1_clEvEUlN3c107complexINS6_4HalfEEEE_St5arrayIPcLm2EEEEviT0_T1_, .Lfunc_end180-_ZN2at6native29vectorized_elementwise_kernelILi4EZZZNS0_17rsqrt_kernel_cudaERNS_18TensorIteratorBaseEENKUlvE_clEvENKUlvE1_clEvEUlN3c107complexINS6_4HalfEEEE_St5arrayIPcLm2EEEEviT0_T1_
                                        ; -- End function
	.set _ZN2at6native29vectorized_elementwise_kernelILi4EZZZNS0_17rsqrt_kernel_cudaERNS_18TensorIteratorBaseEENKUlvE_clEvENKUlvE1_clEvEUlN3c107complexINS6_4HalfEEEE_St5arrayIPcLm2EEEEviT0_T1_.num_vgpr, 16
	.set _ZN2at6native29vectorized_elementwise_kernelILi4EZZZNS0_17rsqrt_kernel_cudaERNS_18TensorIteratorBaseEENKUlvE_clEvENKUlvE1_clEvEUlN3c107complexINS6_4HalfEEEE_St5arrayIPcLm2EEEEviT0_T1_.num_agpr, 0
	.set _ZN2at6native29vectorized_elementwise_kernelILi4EZZZNS0_17rsqrt_kernel_cudaERNS_18TensorIteratorBaseEENKUlvE_clEvENKUlvE1_clEvEUlN3c107complexINS6_4HalfEEEE_St5arrayIPcLm2EEEEviT0_T1_.numbered_sgpr, 28
	.set _ZN2at6native29vectorized_elementwise_kernelILi4EZZZNS0_17rsqrt_kernel_cudaERNS_18TensorIteratorBaseEENKUlvE_clEvENKUlvE1_clEvEUlN3c107complexINS6_4HalfEEEE_St5arrayIPcLm2EEEEviT0_T1_.num_named_barrier, 0
	.set _ZN2at6native29vectorized_elementwise_kernelILi4EZZZNS0_17rsqrt_kernel_cudaERNS_18TensorIteratorBaseEENKUlvE_clEvENKUlvE1_clEvEUlN3c107complexINS6_4HalfEEEE_St5arrayIPcLm2EEEEviT0_T1_.private_seg_size, 0
	.set _ZN2at6native29vectorized_elementwise_kernelILi4EZZZNS0_17rsqrt_kernel_cudaERNS_18TensorIteratorBaseEENKUlvE_clEvENKUlvE1_clEvEUlN3c107complexINS6_4HalfEEEE_St5arrayIPcLm2EEEEviT0_T1_.uses_vcc, 1
	.set _ZN2at6native29vectorized_elementwise_kernelILi4EZZZNS0_17rsqrt_kernel_cudaERNS_18TensorIteratorBaseEENKUlvE_clEvENKUlvE1_clEvEUlN3c107complexINS6_4HalfEEEE_St5arrayIPcLm2EEEEviT0_T1_.uses_flat_scratch, 0
	.set _ZN2at6native29vectorized_elementwise_kernelILi4EZZZNS0_17rsqrt_kernel_cudaERNS_18TensorIteratorBaseEENKUlvE_clEvENKUlvE1_clEvEUlN3c107complexINS6_4HalfEEEE_St5arrayIPcLm2EEEEviT0_T1_.has_dyn_sized_stack, 0
	.set _ZN2at6native29vectorized_elementwise_kernelILi4EZZZNS0_17rsqrt_kernel_cudaERNS_18TensorIteratorBaseEENKUlvE_clEvENKUlvE1_clEvEUlN3c107complexINS6_4HalfEEEE_St5arrayIPcLm2EEEEviT0_T1_.has_recursion, 0
	.set _ZN2at6native29vectorized_elementwise_kernelILi4EZZZNS0_17rsqrt_kernel_cudaERNS_18TensorIteratorBaseEENKUlvE_clEvENKUlvE1_clEvEUlN3c107complexINS6_4HalfEEEE_St5arrayIPcLm2EEEEviT0_T1_.has_indirect_call, 0
	.section	.AMDGPU.csdata,"",@progbits
; Kernel info:
; codeLenInByte = 14224
; TotalNumSgprs: 34
; NumVgprs: 16
; NumAgprs: 0
; TotalNumVgprs: 16
; ScratchSize: 0
; MemoryBound: 0
; FloatMode: 240
; IeeeMode: 1
; LDSByteSize: 0 bytes/workgroup (compile time only)
; SGPRBlocks: 4
; VGPRBlocks: 1
; NumSGPRsForWavesPerEU: 34
; NumVGPRsForWavesPerEU: 16
; AccumOffset: 16
; Occupancy: 8
; WaveLimiterHint : 0
; COMPUTE_PGM_RSRC2:SCRATCH_EN: 0
; COMPUTE_PGM_RSRC2:USER_SGPR: 2
; COMPUTE_PGM_RSRC2:TRAP_HANDLER: 0
; COMPUTE_PGM_RSRC2:TGID_X_EN: 1
; COMPUTE_PGM_RSRC2:TGID_Y_EN: 0
; COMPUTE_PGM_RSRC2:TGID_Z_EN: 0
; COMPUTE_PGM_RSRC2:TIDIG_COMP_CNT: 0
; COMPUTE_PGM_RSRC3_GFX90A:ACCUM_OFFSET: 3
; COMPUTE_PGM_RSRC3_GFX90A:TG_SPLIT: 0
	.section	.text._ZN2at6native29vectorized_elementwise_kernelILi2EZZZNS0_17rsqrt_kernel_cudaERNS_18TensorIteratorBaseEENKUlvE_clEvENKUlvE1_clEvEUlN3c107complexINS6_4HalfEEEE_St5arrayIPcLm2EEEEviT0_T1_,"axG",@progbits,_ZN2at6native29vectorized_elementwise_kernelILi2EZZZNS0_17rsqrt_kernel_cudaERNS_18TensorIteratorBaseEENKUlvE_clEvENKUlvE1_clEvEUlN3c107complexINS6_4HalfEEEE_St5arrayIPcLm2EEEEviT0_T1_,comdat
	.globl	_ZN2at6native29vectorized_elementwise_kernelILi2EZZZNS0_17rsqrt_kernel_cudaERNS_18TensorIteratorBaseEENKUlvE_clEvENKUlvE1_clEvEUlN3c107complexINS6_4HalfEEEE_St5arrayIPcLm2EEEEviT0_T1_ ; -- Begin function _ZN2at6native29vectorized_elementwise_kernelILi2EZZZNS0_17rsqrt_kernel_cudaERNS_18TensorIteratorBaseEENKUlvE_clEvENKUlvE1_clEvEUlN3c107complexINS6_4HalfEEEE_St5arrayIPcLm2EEEEviT0_T1_
	.p2align	8
	.type	_ZN2at6native29vectorized_elementwise_kernelILi2EZZZNS0_17rsqrt_kernel_cudaERNS_18TensorIteratorBaseEENKUlvE_clEvENKUlvE1_clEvEUlN3c107complexINS6_4HalfEEEE_St5arrayIPcLm2EEEEviT0_T1_,@function
_ZN2at6native29vectorized_elementwise_kernelILi2EZZZNS0_17rsqrt_kernel_cudaERNS_18TensorIteratorBaseEENKUlvE_clEvENKUlvE1_clEvEUlN3c107complexINS6_4HalfEEEE_St5arrayIPcLm2EEEEviT0_T1_: ; @_ZN2at6native29vectorized_elementwise_kernelILi2EZZZNS0_17rsqrt_kernel_cudaERNS_18TensorIteratorBaseEENKUlvE_clEvENKUlvE1_clEvEUlN3c107complexINS6_4HalfEEEE_St5arrayIPcLm2EEEEviT0_T1_
; %bb.0:
	s_load_dword s3, s[0:1], 0x0
	s_load_dwordx4 s[8:11], s[0:1], 0x8
	s_lshl_b32 s6, s2, 10
	s_mov_b64 s[0:1], -1
	s_waitcnt lgkmcnt(0)
	s_sub_i32 s24, s3, s6
	s_cmpk_gt_i32 s24, 0x3ff
	s_cbranch_scc0 .LBB181_154
; %bb.1:
	s_ashr_i32 s7, s6, 31
	s_lshl_b64 s[4:5], s[6:7], 2
	s_add_u32 s0, s10, s4
	s_addc_u32 s1, s11, s5
	v_lshlrev_b32_e32 v1, 3, v0
	global_load_dwordx2 v[6:7], v1, s[0:1]
	global_load_dwordx2 v[4:5], v1, s[0:1] offset:2048
	v_mov_b32_e32 v2, 0
	v_mov_b32_e32 v10, 0
	s_waitcnt vmcnt(1)
	v_cvt_f32_f16_sdwa v8, v6 dst_sel:DWORD dst_unused:UNUSED_PAD src0_sel:WORD_1
	v_cmp_neq_f16_e32 vcc, 0, v6
	v_cmp_neq_f16_sdwa s[0:1], v6, v2 src0_sel:WORD_1 src1_sel:DWORD
	s_or_b64 s[0:1], vcc, s[0:1]
	s_and_saveexec_b64 s[12:13], s[0:1]
	s_cbranch_execz .LBB181_31
; %bb.2:
	v_cvt_f32_f16_e32 v9, v6
	v_mov_b32_e32 v10, 0x7f800000
	v_cmp_neq_f32_e64 s[0:1], |v8|, v10
	s_and_saveexec_b64 s[14:15], s[0:1]
	s_cbranch_execz .LBB181_30
; %bb.3:
	v_cmp_o_f16_e32 vcc, v6, v6
                                        ; implicit-def: $vgpr10
	s_and_saveexec_b64 s[0:1], vcc
	s_xor_b64 s[16:17], exec, s[0:1]
	s_cbranch_execz .LBB181_27
; %bb.4:
	s_mov_b32 s0, 0x7f800000
	v_cmp_neq_f32_e64 s[0:1], |v9|, s0
                                        ; implicit-def: $vgpr10
	s_and_saveexec_b64 s[2:3], s[0:1]
	s_xor_b64 s[18:19], exec, s[2:3]
	s_cbranch_execz .LBB181_20
; %bb.5:
	v_max_f32_e64 v2, |v8|, |v8|
	v_max_f32_e64 v3, |v9|, |v9|
	v_max_f32_e32 v2, v3, v2
	s_mov_b32 s0, 0x7ed413cb
	v_cmp_nle_f32_e64 s[0:1], s0, v2
                                        ; implicit-def: $sgpr20_sgpr21
	s_and_saveexec_b64 s[2:3], s[0:1]
	s_xor_b64 s[2:3], exec, s[2:3]
	s_cbranch_execz .LBB181_9
; %bb.6:
	s_mov_b32 s7, 0x1000000
	v_cmp_le_f32_e64 s[20:21], |v9|, s7
	v_cmp_le_f32_e64 s[22:23], |v8|, s7
	s_and_b64 s[26:27], s[20:21], s[22:23]
	s_mov_b64 s[20:21], 0
	s_and_saveexec_b64 s[22:23], s[26:27]
; %bb.7:
	s_mov_b64 s[20:21], exec
	v_pk_mul_f32 v[8:9], v[8:9], 4.0 op_sel_hi:[1,0]
; %bb.8:
	s_or_b64 exec, exec, s[22:23]
.LBB181_9:
	s_andn2_saveexec_b64 s[2:3], s[2:3]
; %bb.10:
	s_mov_b32 s22, 0x3e800000
	v_pk_mul_f32 v[8:9], v[8:9], s[22:23] op_sel_hi:[1,0]
	s_andn2_b64 s[20:21], s[20:21], exec
; %bb.11:
	s_or_b64 exec, exec, s[2:3]
	v_max_f32_e64 v2, |v8|, |v8|
	v_max_f32_e64 v3, |v9|, |v9|
	v_max_f32_e32 v10, v3, v2
	v_cvt_f64_f32_e32 v[2:3], v10
	v_frexp_exp_i32_f64_e32 v2, v[2:3]
	v_sub_u32_e32 v3, 0, v2
	v_ldexp_f32 v11, |v9|, v3
	v_ldexp_f32 v3, |v8|, v3
	v_mul_f32_e32 v3, v3, v3
	v_fmac_f32_e32 v3, v11, v11
	v_sqrt_f32_e32 v3, v3
	s_mov_b32 s2, 0x7f800000
	v_cmp_neq_f32_e64 s[2:3], s2, v10
	v_cmp_le_f32_e32 vcc, 0, v9
	v_ldexp_f32 v2, v3, v2
	v_mov_b32_e32 v3, 0x7f800000
	v_cndmask_b32_e64 v10, v3, v2, s[2:3]
                                        ; implicit-def: $vgpr2_vgpr3
	s_and_saveexec_b64 s[2:3], vcc
	s_xor_b64 s[22:23], exec, s[2:3]
	s_cbranch_execz .LBB181_13
; %bb.12:
	v_add_f32_e32 v2, v9, v10
	v_mul_f32_e32 v2, 0.5, v2
	s_mov_b32 s2, 0xf800000
	v_mul_f32_e32 v3, 0x4f800000, v2
	v_cmp_gt_f32_e32 vcc, s2, v2
	s_nop 1
	v_cndmask_b32_e32 v2, v2, v3, vcc
	v_sqrt_f32_e32 v3, v2
	s_nop 0
	v_add_u32_e32 v9, -1, v3
	v_fma_f32 v10, -v9, v3, v2
	v_cmp_ge_f32_e64 s[2:3], 0, v10
	v_add_u32_e32 v10, 1, v3
	s_nop 0
	v_cndmask_b32_e64 v9, v3, v9, s[2:3]
	v_fma_f32 v3, -v10, v3, v2
	v_cmp_lt_f32_e64 s[2:3], 0, v3
	s_nop 1
	v_cndmask_b32_e64 v3, v9, v10, s[2:3]
	v_mul_f32_e32 v9, 0x37800000, v3
	v_cndmask_b32_e32 v3, v3, v9, vcc
	v_mov_b32_e32 v9, 0x260
	v_cmp_class_f32_e32 vcc, v2, v9
	s_nop 1
	v_cndmask_b32_e32 v2, v3, v2, vcc
	v_add_f32_e32 v3, v2, v2
	v_div_scale_f32 v9, s[2:3], v3, v3, v8
	v_rcp_f32_e32 v10, v9
	s_nop 0
	v_fma_f32 v11, -v9, v10, 1.0
	v_fmac_f32_e32 v10, v11, v10
	v_div_scale_f32 v11, vcc, v8, v3, v8
	v_mul_f32_e32 v12, v11, v10
	v_fma_f32 v13, -v9, v12, v11
	v_fmac_f32_e32 v12, v13, v10
	v_fma_f32 v9, -v9, v12, v11
	v_div_fmas_f32 v9, v9, v10, v12
	v_div_fixup_f32 v3, v9, v3, v8
                                        ; implicit-def: $vgpr10
                                        ; implicit-def: $vgpr8_vgpr9
	s_andn2_saveexec_b64 s[22:23], s[22:23]
	s_cbranch_execz .LBB181_15
	s_branch .LBB181_14
.LBB181_13:
	s_andn2_saveexec_b64 s[22:23], s[22:23]
	s_cbranch_execz .LBB181_15
.LBB181_14:
	v_sub_f32_e32 v2, v10, v9
	v_mul_f32_e32 v2, 0.5, v2
	s_mov_b32 s2, 0xf800000
	v_mul_f32_e32 v3, 0x4f800000, v2
	v_cmp_gt_f32_e32 vcc, s2, v2
	s_nop 1
	v_cndmask_b32_e32 v2, v2, v3, vcc
	v_sqrt_f32_e32 v3, v2
	s_nop 0
	v_add_u32_e32 v9, -1, v3
	v_fma_f32 v10, -v9, v3, v2
	v_cmp_ge_f32_e64 s[2:3], 0, v10
	v_add_u32_e32 v10, 1, v3
	s_nop 0
	v_cndmask_b32_e64 v9, v3, v9, s[2:3]
	v_fma_f32 v3, -v10, v3, v2
	v_cmp_lt_f32_e64 s[2:3], 0, v3
	s_nop 1
	v_cndmask_b32_e64 v3, v9, v10, s[2:3]
	v_mul_f32_e32 v9, 0x37800000, v3
	v_cndmask_b32_e32 v3, v3, v9, vcc
	v_mov_b32_e32 v9, 0x260
	v_cmp_class_f32_e32 vcc, v2, v9
	v_and_b32_e32 v9, 0x7fffffff, v8
	s_nop 0
	v_cndmask_b32_e32 v3, v3, v2, vcc
	v_add_f32_e32 v2, v3, v3
	v_div_scale_f32 v10, s[2:3], v2, v2, v9
	v_rcp_f32_e32 v11, v10
	v_div_scale_f32 v9, vcc, v9, v2, v9
	s_brev_b32 s2, -2
	v_fma_f32 v12, -v10, v11, 1.0
	v_fmac_f32_e32 v11, v12, v11
	v_mul_f32_e32 v12, v9, v11
	v_fma_f32 v13, -v10, v12, v9
	v_fmac_f32_e32 v12, v13, v11
	v_fma_f32 v9, -v10, v12, v9
	v_div_fmas_f32 v9, v9, v11, v12
	v_div_fixup_f32 v2, v9, v2, |v8|
	v_bfi_b32 v3, s2, v3, v8
.LBB181_15:
	s_or_b64 exec, exec, s[22:23]
                                        ; implicit-def: $vgpr8
                                        ; implicit-def: $vgpr10
	s_and_saveexec_b64 s[2:3], s[0:1]
	s_xor_b64 s[0:1], exec, s[2:3]
	s_cbranch_execz .LBB181_17
; %bb.16:
	v_pk_mul_f32 v[8:9], v[2:3], 0.5 op_sel_hi:[1,0]
	s_nop 0
	v_cndmask_b32_e64 v10, v2, v8, s[20:21]
	v_cndmask_b32_e64 v8, v3, v9, s[20:21]
                                        ; implicit-def: $vgpr2_vgpr3
	s_andn2_saveexec_b64 s[0:1], s[0:1]
	s_cbranch_execnz .LBB181_18
	s_branch .LBB181_19
.LBB181_17:
	s_andn2_saveexec_b64 s[0:1], s[0:1]
.LBB181_18:
	v_pk_add_f32 v[10:11], v[2:3], v[2:3]
	s_nop 0
	v_mov_b32_e32 v8, v11
.LBB181_19:
	s_or_b64 exec, exec, s[0:1]
.LBB181_20:
	s_andn2_saveexec_b64 s[0:1], s[18:19]
	s_cbranch_execz .LBB181_26
; %bb.21:
	v_and_b32_e32 v2, 0x8000, v6
	v_cmp_ne_u32_e32 vcc, 0, v2
	v_sub_f32_e32 v2, v8, v8
                                        ; implicit-def: $vgpr10
	s_and_saveexec_b64 s[2:3], vcc
	s_xor_b64 s[2:3], exec, s[2:3]
; %bb.22:
	s_brev_b32 s7, -2
	v_and_b32_e32 v10, 0x7fffffff, v2
	v_bfi_b32 v8, s7, v9, v8
                                        ; implicit-def: $vgpr2
; %bb.23:
	s_andn2_saveexec_b64 s[2:3], s[2:3]
; %bb.24:
	s_brev_b32 s7, -2
	v_bfi_b32 v8, s7, v2, v8
	v_mov_b32_e32 v10, v9
; %bb.25:
	s_or_b64 exec, exec, s[2:3]
.LBB181_26:
	s_or_b64 exec, exec, s[0:1]
.LBB181_27:
	s_andn2_saveexec_b64 s[0:1], s[16:17]
	s_cbranch_execz .LBB181_29
; %bb.28:
	v_sub_f32_e32 v2, v8, v8
	v_div_scale_f32 v3, vcc, v2, v2, v2
	v_rcp_f32_e32 v6, v3
	s_nop 0
	v_fma_f32 v8, -v3, v6, 1.0
	v_fmac_f32_e32 v6, v8, v6
	v_mul_f32_e32 v8, v3, v6
	v_fma_f32 v10, -v3, v8, v3
	v_fmac_f32_e32 v8, v10, v6
	v_fma_f32 v3, -v3, v8, v3
	v_div_fmas_f32 v3, v3, v6, v8
	v_div_fixup_f32 v8, v3, v2, v2
	v_mov_b32_e32 v10, v9
.LBB181_29:
	s_or_b64 exec, exec, s[0:1]
.LBB181_30:
	s_or_b64 exec, exec, s[14:15]
.LBB181_31:
	s_or_b64 exec, exec, s[12:13]
	v_cmp_gt_f32_e32 vcc, 0, v8
                                        ; implicit-def: $vgpr2_vgpr3
	s_nop 1
	v_cndmask_b32_e64 v9, v8, -v8, vcc
	v_cmp_gt_f32_e32 vcc, 0, v10
	s_nop 1
	v_cndmask_b32_e64 v6, v10, -v10, vcc
	v_cmp_ge_f32_e32 vcc, v6, v9
	s_and_saveexec_b64 s[0:1], vcc
	s_xor_b64 s[2:3], exec, s[0:1]
	s_cbranch_execz .LBB181_37
; %bb.32:
	v_cmp_neq_f32_e32 vcc, 0, v10
	v_cmp_neq_f32_e64 s[0:1], 0, v8
	s_or_b64 s[0:1], vcc, s[0:1]
                                        ; implicit-def: $vgpr2_vgpr3
	s_and_saveexec_b64 s[12:13], s[0:1]
	s_xor_b64 s[0:1], exec, s[12:13]
	s_cbranch_execz .LBB181_34
; %bb.33:
	v_div_scale_f32 v2, s[12:13], v10, v10, v8
	v_rcp_f32_e32 v3, v2
	v_div_scale_f32 v6, vcc, v8, v10, v8
	v_fma_f32 v9, -v2, v3, 1.0
	v_fmac_f32_e32 v3, v9, v3
	v_mul_f32_e32 v9, v6, v3
	v_fma_f32 v11, -v2, v9, v6
	v_fmac_f32_e32 v9, v11, v3
	v_fma_f32 v2, -v2, v9, v6
	v_div_fmas_f32 v2, v2, v3, v9
	v_div_fixup_f32 v3, v2, v10, v8
	v_fmac_f32_e32 v10, v8, v3
	v_div_scale_f32 v2, s[12:13], v10, v10, 1.0
	v_rcp_f32_e32 v6, v2
	s_nop 0
	v_fma_f32 v8, -v2, v6, 1.0
	v_fmac_f32_e32 v6, v8, v6
	v_div_scale_f32 v8, vcc, 1.0, v10, 1.0
	v_mul_f32_e32 v9, v8, v6
	v_fma_f32 v11, -v2, v9, v8
	v_fmac_f32_e32 v9, v11, v6
	v_fma_f32 v2, -v2, v9, v8
	v_div_fmas_f32 v2, v2, v6, v9
	v_mul_f32_e32 v6, 0, v3
	v_div_fixup_f32 v2, v2, v10, 1.0
	v_add_f32_e32 v8, 1.0, v6
	v_sub_f32_e32 v9, 0, v3
	v_pk_mul_f32 v[2:3], v[8:9], v[2:3] op_sel_hi:[1,0]
                                        ; implicit-def: $vgpr9
                                        ; implicit-def: $vgpr6
.LBB181_34:
	s_andn2_saveexec_b64 s[0:1], s[0:1]
	s_cbranch_execz .LBB181_36
; %bb.35:
	v_div_scale_f32 v2, s[12:13], v9, v9, 0
	v_rcp_f32_e32 v3, v2
	v_div_scale_f32 v8, vcc, 0, v9, 0
	v_fma_f32 v10, -v2, v3, 1.0
	v_fmac_f32_e32 v3, v10, v3
	v_mul_f32_e32 v10, v8, v3
	v_fma_f32 v11, -v2, v10, v8
	v_fmac_f32_e32 v10, v11, v3
	v_fma_f32 v2, -v2, v10, v8
	v_div_scale_f32 v8, s[12:13], v6, v6, 1.0
	v_rcp_f32_e32 v11, v8
	v_div_fmas_f32 v2, v2, v3, v10
	v_div_fixup_f32 v3, v2, v9, 0
	v_fma_f32 v2, -v8, v11, 1.0
	v_fmac_f32_e32 v11, v2, v11
	v_div_scale_f32 v2, vcc, 1.0, v6, 1.0
	v_mul_f32_e32 v9, v2, v11
	v_fma_f32 v10, -v8, v9, v2
	v_fmac_f32_e32 v9, v10, v11
	v_fma_f32 v2, -v8, v9, v2
	v_div_fmas_f32 v2, v2, v11, v9
	v_div_fixup_f32 v2, v2, v6, 1.0
.LBB181_36:
	s_or_b64 exec, exec, s[0:1]
                                        ; implicit-def: $vgpr8
                                        ; implicit-def: $vgpr10
.LBB181_37:
	s_andn2_saveexec_b64 s[0:1], s[2:3]
	s_cbranch_execz .LBB181_39
; %bb.38:
	v_div_scale_f32 v2, s[2:3], v8, v8, v10
	v_rcp_f32_e32 v3, v2
	v_div_scale_f32 v6, vcc, v10, v8, v10
	v_fma_f32 v9, -v2, v3, 1.0
	v_fmac_f32_e32 v3, v9, v3
	v_mul_f32_e32 v9, v6, v3
	v_fma_f32 v11, -v2, v9, v6
	v_fmac_f32_e32 v9, v11, v3
	v_fma_f32 v2, -v2, v9, v6
	v_div_fmas_f32 v2, v2, v3, v9
	v_div_fixup_f32 v2, v2, v8, v10
	v_fmac_f32_e32 v8, v10, v2
	v_div_scale_f32 v3, s[2:3], v8, v8, 1.0
	v_rcp_f32_e32 v6, v3
	s_mov_b32 s2, 0
	s_mov_b32 s3, -1.0
	v_fma_f32 v9, -v3, v6, 1.0
	v_fmac_f32_e32 v6, v9, v6
	v_div_scale_f32 v9, vcc, 1.0, v8, 1.0
	v_mul_f32_e32 v10, v9, v6
	v_fma_f32 v11, -v3, v10, v9
	v_fmac_f32_e32 v10, v11, v6
	v_fma_f32 v3, -v3, v10, v9
	v_div_fmas_f32 v3, v3, v6, v10
	v_div_fixup_f32 v6, v3, v8, 1.0
	v_mul_f32_e32 v3, 0, v2
	v_pk_add_f32 v[2:3], v[2:3], s[2:3]
	s_nop 0
	v_pk_mul_f32 v[2:3], v[2:3], v[6:7] op_sel_hi:[1,0]
.LBB181_39:
	s_or_b64 exec, exec, s[0:1]
	v_cvt_f32_f16_sdwa v8, v7 dst_sel:DWORD dst_unused:UNUSED_PAD src0_sel:WORD_1
	v_mov_b32_e32 v10, 0
	v_cmp_neq_f16_e32 vcc, 0, v7
	v_cmp_neq_f16_sdwa s[0:1], v7, v10 src0_sel:WORD_1 src1_sel:DWORD
	s_or_b64 s[0:1], vcc, s[0:1]
	s_and_saveexec_b64 s[12:13], s[0:1]
	s_cbranch_execz .LBB181_69
; %bb.40:
	v_cvt_f32_f16_e32 v9, v7
	v_mov_b32_e32 v10, 0x7f800000
	v_cmp_neq_f32_e64 s[0:1], |v8|, v10
	s_and_saveexec_b64 s[14:15], s[0:1]
	s_cbranch_execz .LBB181_68
; %bb.41:
	v_cmp_o_f16_e32 vcc, v7, v7
                                        ; implicit-def: $vgpr10
	s_and_saveexec_b64 s[0:1], vcc
	s_xor_b64 s[16:17], exec, s[0:1]
	s_cbranch_execz .LBB181_65
; %bb.42:
	s_mov_b32 s0, 0x7f800000
	v_cmp_neq_f32_e64 s[0:1], |v9|, s0
                                        ; implicit-def: $vgpr10
	s_and_saveexec_b64 s[2:3], s[0:1]
	s_xor_b64 s[18:19], exec, s[2:3]
	s_cbranch_execz .LBB181_58
; %bb.43:
	v_max_f32_e64 v6, |v8|, |v8|
	v_max_f32_e64 v7, |v9|, |v9|
	v_max_f32_e32 v6, v7, v6
	s_mov_b32 s0, 0x7ed413cb
	v_cmp_nle_f32_e64 s[0:1], s0, v6
                                        ; implicit-def: $sgpr20_sgpr21
	s_and_saveexec_b64 s[2:3], s[0:1]
	s_xor_b64 s[2:3], exec, s[2:3]
	s_cbranch_execz .LBB181_47
; %bb.44:
	s_mov_b32 s7, 0x1000000
	v_cmp_le_f32_e64 s[20:21], |v9|, s7
	v_cmp_le_f32_e64 s[22:23], |v8|, s7
	s_and_b64 s[26:27], s[20:21], s[22:23]
	s_mov_b64 s[20:21], 0
	s_and_saveexec_b64 s[22:23], s[26:27]
; %bb.45:
	s_mov_b64 s[20:21], exec
	v_pk_mul_f32 v[8:9], v[8:9], 4.0 op_sel_hi:[1,0]
; %bb.46:
	s_or_b64 exec, exec, s[22:23]
.LBB181_47:
	s_andn2_saveexec_b64 s[2:3], s[2:3]
; %bb.48:
	s_mov_b32 s22, 0x3e800000
	v_pk_mul_f32 v[8:9], v[8:9], s[22:23] op_sel_hi:[1,0]
	s_andn2_b64 s[20:21], s[20:21], exec
; %bb.49:
	s_or_b64 exec, exec, s[2:3]
	v_max_f32_e64 v6, |v8|, |v8|
	v_max_f32_e64 v7, |v9|, |v9|
	v_max_f32_e32 v10, v7, v6
	v_cvt_f64_f32_e32 v[6:7], v10
	v_frexp_exp_i32_f64_e32 v6, v[6:7]
	v_sub_u32_e32 v7, 0, v6
	v_ldexp_f32 v11, |v9|, v7
	v_ldexp_f32 v7, |v8|, v7
	v_mul_f32_e32 v7, v7, v7
	v_fmac_f32_e32 v7, v11, v11
	v_sqrt_f32_e32 v7, v7
	s_mov_b32 s2, 0x7f800000
	v_cmp_neq_f32_e64 s[2:3], s2, v10
	v_cmp_le_f32_e32 vcc, 0, v9
	v_ldexp_f32 v6, v7, v6
	v_mov_b32_e32 v7, 0x7f800000
	v_cndmask_b32_e64 v10, v7, v6, s[2:3]
                                        ; implicit-def: $vgpr6_vgpr7
	s_and_saveexec_b64 s[2:3], vcc
	s_xor_b64 s[22:23], exec, s[2:3]
	s_cbranch_execz .LBB181_51
; %bb.50:
	v_add_f32_e32 v6, v9, v10
	v_mul_f32_e32 v6, 0.5, v6
	s_mov_b32 s2, 0xf800000
	v_mul_f32_e32 v7, 0x4f800000, v6
	v_cmp_gt_f32_e32 vcc, s2, v6
	s_nop 1
	v_cndmask_b32_e32 v6, v6, v7, vcc
	v_sqrt_f32_e32 v7, v6
	s_nop 0
	v_add_u32_e32 v9, -1, v7
	v_fma_f32 v10, -v9, v7, v6
	v_cmp_ge_f32_e64 s[2:3], 0, v10
	v_add_u32_e32 v10, 1, v7
	s_nop 0
	v_cndmask_b32_e64 v9, v7, v9, s[2:3]
	v_fma_f32 v7, -v10, v7, v6
	v_cmp_lt_f32_e64 s[2:3], 0, v7
	s_nop 1
	v_cndmask_b32_e64 v7, v9, v10, s[2:3]
	v_mul_f32_e32 v9, 0x37800000, v7
	v_cndmask_b32_e32 v7, v7, v9, vcc
	v_mov_b32_e32 v9, 0x260
	v_cmp_class_f32_e32 vcc, v6, v9
	s_nop 1
	v_cndmask_b32_e32 v6, v7, v6, vcc
	v_add_f32_e32 v7, v6, v6
	v_div_scale_f32 v9, s[2:3], v7, v7, v8
	v_rcp_f32_e32 v10, v9
	s_nop 0
	v_fma_f32 v11, -v9, v10, 1.0
	v_fmac_f32_e32 v10, v11, v10
	v_div_scale_f32 v11, vcc, v8, v7, v8
	v_mul_f32_e32 v12, v11, v10
	v_fma_f32 v13, -v9, v12, v11
	v_fmac_f32_e32 v12, v13, v10
	v_fma_f32 v9, -v9, v12, v11
	v_div_fmas_f32 v9, v9, v10, v12
	v_div_fixup_f32 v7, v9, v7, v8
                                        ; implicit-def: $vgpr10
                                        ; implicit-def: $vgpr8_vgpr9
	s_andn2_saveexec_b64 s[22:23], s[22:23]
	s_cbranch_execz .LBB181_53
	s_branch .LBB181_52
.LBB181_51:
	s_andn2_saveexec_b64 s[22:23], s[22:23]
	s_cbranch_execz .LBB181_53
.LBB181_52:
	v_sub_f32_e32 v6, v10, v9
	v_mul_f32_e32 v6, 0.5, v6
	s_mov_b32 s2, 0xf800000
	v_mul_f32_e32 v7, 0x4f800000, v6
	v_cmp_gt_f32_e32 vcc, s2, v6
	s_nop 1
	v_cndmask_b32_e32 v6, v6, v7, vcc
	v_sqrt_f32_e32 v7, v6
	s_nop 0
	v_add_u32_e32 v9, -1, v7
	v_fma_f32 v10, -v9, v7, v6
	v_cmp_ge_f32_e64 s[2:3], 0, v10
	v_add_u32_e32 v10, 1, v7
	s_nop 0
	v_cndmask_b32_e64 v9, v7, v9, s[2:3]
	v_fma_f32 v7, -v10, v7, v6
	v_cmp_lt_f32_e64 s[2:3], 0, v7
	s_nop 1
	v_cndmask_b32_e64 v7, v9, v10, s[2:3]
	v_mul_f32_e32 v9, 0x37800000, v7
	v_cndmask_b32_e32 v7, v7, v9, vcc
	v_mov_b32_e32 v9, 0x260
	v_cmp_class_f32_e32 vcc, v6, v9
	v_and_b32_e32 v9, 0x7fffffff, v8
	s_nop 0
	v_cndmask_b32_e32 v7, v7, v6, vcc
	v_add_f32_e32 v6, v7, v7
	v_div_scale_f32 v10, s[2:3], v6, v6, v9
	v_rcp_f32_e32 v11, v10
	v_div_scale_f32 v9, vcc, v9, v6, v9
	s_brev_b32 s2, -2
	v_fma_f32 v12, -v10, v11, 1.0
	v_fmac_f32_e32 v11, v12, v11
	v_mul_f32_e32 v12, v9, v11
	v_fma_f32 v13, -v10, v12, v9
	v_fmac_f32_e32 v12, v13, v11
	v_fma_f32 v9, -v10, v12, v9
	v_div_fmas_f32 v9, v9, v11, v12
	v_div_fixup_f32 v6, v9, v6, |v8|
	v_bfi_b32 v7, s2, v7, v8
.LBB181_53:
	s_or_b64 exec, exec, s[22:23]
                                        ; implicit-def: $vgpr8
                                        ; implicit-def: $vgpr10
	s_and_saveexec_b64 s[2:3], s[0:1]
	s_xor_b64 s[0:1], exec, s[2:3]
	s_cbranch_execz .LBB181_55
; %bb.54:
	v_pk_mul_f32 v[8:9], v[6:7], 0.5 op_sel_hi:[1,0]
	s_nop 0
	v_cndmask_b32_e64 v10, v6, v8, s[20:21]
	v_cndmask_b32_e64 v8, v7, v9, s[20:21]
                                        ; implicit-def: $vgpr6_vgpr7
	s_andn2_saveexec_b64 s[0:1], s[0:1]
	s_cbranch_execnz .LBB181_56
	s_branch .LBB181_57
.LBB181_55:
	s_andn2_saveexec_b64 s[0:1], s[0:1]
.LBB181_56:
	v_pk_add_f32 v[10:11], v[6:7], v[6:7]
	s_nop 0
	v_mov_b32_e32 v8, v11
.LBB181_57:
	s_or_b64 exec, exec, s[0:1]
                                        ; implicit-def: $vgpr6_vgpr7
.LBB181_58:
	s_andn2_saveexec_b64 s[0:1], s[18:19]
	s_cbranch_execz .LBB181_64
; %bb.59:
	v_and_b32_e32 v6, 0x8000, v7
	v_cmp_ne_u32_e32 vcc, 0, v6
	v_sub_f32_e32 v6, v8, v8
                                        ; implicit-def: $vgpr10
	s_and_saveexec_b64 s[2:3], vcc
	s_xor_b64 s[2:3], exec, s[2:3]
; %bb.60:
	s_brev_b32 s7, -2
	v_and_b32_e32 v10, 0x7fffffff, v6
	v_bfi_b32 v8, s7, v9, v8
                                        ; implicit-def: $vgpr6
; %bb.61:
	s_andn2_saveexec_b64 s[2:3], s[2:3]
; %bb.62:
	s_brev_b32 s7, -2
	v_bfi_b32 v8, s7, v6, v8
	v_mov_b32_e32 v10, v9
; %bb.63:
	s_or_b64 exec, exec, s[2:3]
.LBB181_64:
	s_or_b64 exec, exec, s[0:1]
.LBB181_65:
	s_andn2_saveexec_b64 s[0:1], s[16:17]
	s_cbranch_execz .LBB181_67
; %bb.66:
	v_sub_f32_e32 v6, v8, v8
	v_div_scale_f32 v7, vcc, v6, v6, v6
	v_rcp_f32_e32 v8, v7
	s_nop 0
	v_fma_f32 v10, -v7, v8, 1.0
	v_fmac_f32_e32 v8, v10, v8
	v_mul_f32_e32 v10, v7, v8
	v_fma_f32 v11, -v7, v10, v7
	v_fmac_f32_e32 v10, v11, v8
	v_fma_f32 v7, -v7, v10, v7
	v_div_fmas_f32 v7, v7, v8, v10
	v_div_fixup_f32 v8, v7, v6, v6
	v_mov_b32_e32 v10, v9
.LBB181_67:
	s_or_b64 exec, exec, s[0:1]
.LBB181_68:
	s_or_b64 exec, exec, s[14:15]
.LBB181_69:
	s_or_b64 exec, exec, s[12:13]
	v_cmp_gt_f32_e32 vcc, 0, v8
                                        ; implicit-def: $vgpr6_vgpr7
	s_nop 1
	v_cndmask_b32_e64 v11, v8, -v8, vcc
	v_cmp_gt_f32_e32 vcc, 0, v10
	s_nop 1
	v_cndmask_b32_e64 v9, v10, -v10, vcc
	v_cmp_ge_f32_e32 vcc, v9, v11
	s_and_saveexec_b64 s[0:1], vcc
	s_xor_b64 s[2:3], exec, s[0:1]
	s_cbranch_execz .LBB181_75
; %bb.70:
	v_cmp_neq_f32_e32 vcc, 0, v10
	v_cmp_neq_f32_e64 s[0:1], 0, v8
	s_or_b64 s[0:1], vcc, s[0:1]
                                        ; implicit-def: $vgpr6_vgpr7
	s_and_saveexec_b64 s[12:13], s[0:1]
	s_xor_b64 s[0:1], exec, s[12:13]
	s_cbranch_execz .LBB181_72
; %bb.71:
	v_div_scale_f32 v6, s[12:13], v10, v10, v8
	v_rcp_f32_e32 v7, v6
	v_div_scale_f32 v9, vcc, v8, v10, v8
	v_fma_f32 v11, -v6, v7, 1.0
	v_fmac_f32_e32 v7, v11, v7
	v_mul_f32_e32 v11, v9, v7
	v_fma_f32 v12, -v6, v11, v9
	v_fmac_f32_e32 v11, v12, v7
	v_fma_f32 v6, -v6, v11, v9
	v_div_fmas_f32 v6, v6, v7, v11
	v_div_fixup_f32 v7, v6, v10, v8
	v_fmac_f32_e32 v10, v8, v7
	v_div_scale_f32 v6, s[12:13], v10, v10, 1.0
	v_rcp_f32_e32 v8, v6
	s_nop 0
	v_fma_f32 v9, -v6, v8, 1.0
	v_fmac_f32_e32 v8, v9, v8
	v_div_scale_f32 v9, vcc, 1.0, v10, 1.0
	v_mul_f32_e32 v11, v9, v8
	v_fma_f32 v12, -v6, v11, v9
	v_fmac_f32_e32 v11, v12, v8
	v_fma_f32 v6, -v6, v11, v9
	v_div_fmas_f32 v6, v6, v8, v11
	v_mul_f32_e32 v8, 0, v7
	v_div_fixup_f32 v6, v6, v10, 1.0
	v_add_f32_e32 v8, 1.0, v8
	v_sub_f32_e32 v9, 0, v7
	v_pk_mul_f32 v[6:7], v[8:9], v[6:7] op_sel_hi:[1,0]
                                        ; implicit-def: $vgpr11
                                        ; implicit-def: $vgpr9
.LBB181_72:
	s_andn2_saveexec_b64 s[0:1], s[0:1]
	s_cbranch_execz .LBB181_74
; %bb.73:
	v_div_scale_f32 v6, s[12:13], v11, v11, 0
	v_rcp_f32_e32 v7, v6
	v_div_scale_f32 v8, vcc, 0, v11, 0
	v_fma_f32 v10, -v6, v7, 1.0
	v_fmac_f32_e32 v7, v10, v7
	v_mul_f32_e32 v10, v8, v7
	v_fma_f32 v12, -v6, v10, v8
	v_fmac_f32_e32 v10, v12, v7
	v_fma_f32 v6, -v6, v10, v8
	v_div_scale_f32 v8, s[12:13], v9, v9, 1.0
	v_rcp_f32_e32 v12, v8
	v_div_fmas_f32 v6, v6, v7, v10
	v_div_fixup_f32 v7, v6, v11, 0
	v_fma_f32 v6, -v8, v12, 1.0
	v_fmac_f32_e32 v12, v6, v12
	v_div_scale_f32 v6, vcc, 1.0, v9, 1.0
	v_mul_f32_e32 v10, v6, v12
	v_fma_f32 v11, -v8, v10, v6
	v_fmac_f32_e32 v10, v11, v12
	v_fma_f32 v6, -v8, v10, v6
	v_div_fmas_f32 v6, v6, v12, v10
	v_div_fixup_f32 v6, v6, v9, 1.0
.LBB181_74:
	s_or_b64 exec, exec, s[0:1]
                                        ; implicit-def: $vgpr8
                                        ; implicit-def: $vgpr10
.LBB181_75:
	s_andn2_saveexec_b64 s[0:1], s[2:3]
	s_cbranch_execz .LBB181_77
; %bb.76:
	v_div_scale_f32 v6, s[2:3], v8, v8, v10
	v_rcp_f32_e32 v7, v6
	v_div_scale_f32 v9, vcc, v10, v8, v10
	v_fma_f32 v11, -v6, v7, 1.0
	v_fmac_f32_e32 v7, v11, v7
	v_mul_f32_e32 v11, v9, v7
	v_fma_f32 v12, -v6, v11, v9
	v_fmac_f32_e32 v11, v12, v7
	v_fma_f32 v6, -v6, v11, v9
	v_div_fmas_f32 v6, v6, v7, v11
	v_div_fixup_f32 v6, v6, v8, v10
	v_fmac_f32_e32 v8, v10, v6
	v_div_scale_f32 v7, s[2:3], v8, v8, 1.0
	v_rcp_f32_e32 v9, v7
	s_mov_b32 s2, 0
	s_mov_b32 s3, -1.0
	v_fma_f32 v10, -v7, v9, 1.0
	v_fmac_f32_e32 v9, v10, v9
	v_div_scale_f32 v10, vcc, 1.0, v8, 1.0
	v_mul_f32_e32 v11, v10, v9
	v_fma_f32 v12, -v7, v11, v10
	v_fmac_f32_e32 v11, v12, v9
	v_fma_f32 v7, -v7, v11, v10
	v_div_fmas_f32 v7, v7, v9, v11
	v_div_fixup_f32 v8, v7, v8, 1.0
	v_mul_f32_e32 v7, 0, v6
	v_pk_add_f32 v[6:7], v[6:7], s[2:3]
	s_nop 0
	v_pk_mul_f32 v[6:7], v[6:7], v[8:9] op_sel_hi:[1,0]
.LBB181_77:
	s_or_b64 exec, exec, s[0:1]
	s_waitcnt vmcnt(0)
	v_cvt_f32_f16_sdwa v10, v4 dst_sel:DWORD dst_unused:UNUSED_PAD src0_sel:WORD_1
	v_mov_b32_e32 v12, 0
	v_cmp_neq_f16_e32 vcc, 0, v4
	v_cmp_neq_f16_sdwa s[0:1], v4, v12 src0_sel:WORD_1 src1_sel:DWORD
	s_or_b64 s[0:1], vcc, s[0:1]
	s_and_saveexec_b64 s[12:13], s[0:1]
	s_cbranch_execz .LBB181_107
; %bb.78:
	v_cvt_f32_f16_e32 v11, v4
	v_mov_b32_e32 v12, 0x7f800000
	v_cmp_neq_f32_e64 s[0:1], |v10|, v12
	s_and_saveexec_b64 s[14:15], s[0:1]
	s_cbranch_execz .LBB181_106
; %bb.79:
	v_cmp_o_f16_e32 vcc, v4, v4
                                        ; implicit-def: $vgpr12
	s_and_saveexec_b64 s[0:1], vcc
	s_xor_b64 s[16:17], exec, s[0:1]
	s_cbranch_execz .LBB181_103
; %bb.80:
	s_mov_b32 s0, 0x7f800000
	v_cmp_neq_f32_e64 s[0:1], |v11|, s0
                                        ; implicit-def: $vgpr12
	s_and_saveexec_b64 s[2:3], s[0:1]
	s_xor_b64 s[18:19], exec, s[2:3]
	s_cbranch_execz .LBB181_96
; %bb.81:
	v_max_f32_e64 v8, |v10|, |v10|
	v_max_f32_e64 v9, |v11|, |v11|
	v_max_f32_e32 v8, v9, v8
	s_mov_b32 s0, 0x7ed413cb
	v_cmp_nle_f32_e64 s[0:1], s0, v8
                                        ; implicit-def: $sgpr20_sgpr21
	s_and_saveexec_b64 s[2:3], s[0:1]
	s_xor_b64 s[2:3], exec, s[2:3]
	s_cbranch_execz .LBB181_85
; %bb.82:
	s_mov_b32 s7, 0x1000000
	v_cmp_le_f32_e64 s[20:21], |v11|, s7
	v_cmp_le_f32_e64 s[22:23], |v10|, s7
	s_and_b64 s[26:27], s[20:21], s[22:23]
	s_mov_b64 s[20:21], 0
	s_and_saveexec_b64 s[22:23], s[26:27]
; %bb.83:
	s_mov_b64 s[20:21], exec
	v_pk_mul_f32 v[10:11], v[10:11], 4.0 op_sel_hi:[1,0]
; %bb.84:
	s_or_b64 exec, exec, s[22:23]
.LBB181_85:
	s_andn2_saveexec_b64 s[2:3], s[2:3]
; %bb.86:
	s_mov_b32 s22, 0x3e800000
	v_pk_mul_f32 v[10:11], v[10:11], s[22:23] op_sel_hi:[1,0]
	s_andn2_b64 s[20:21], s[20:21], exec
; %bb.87:
	s_or_b64 exec, exec, s[2:3]
	v_max_f32_e64 v8, |v10|, |v10|
	v_max_f32_e64 v9, |v11|, |v11|
	v_max_f32_e32 v12, v9, v8
	v_cvt_f64_f32_e32 v[8:9], v12
	v_frexp_exp_i32_f64_e32 v8, v[8:9]
	v_sub_u32_e32 v9, 0, v8
	v_ldexp_f32 v13, |v11|, v9
	v_ldexp_f32 v9, |v10|, v9
	v_mul_f32_e32 v9, v9, v9
	v_fmac_f32_e32 v9, v13, v13
	v_sqrt_f32_e32 v9, v9
	s_mov_b32 s2, 0x7f800000
	v_cmp_neq_f32_e64 s[2:3], s2, v12
	v_cmp_le_f32_e32 vcc, 0, v11
	v_ldexp_f32 v8, v9, v8
	v_mov_b32_e32 v9, 0x7f800000
	v_cndmask_b32_e64 v12, v9, v8, s[2:3]
                                        ; implicit-def: $vgpr8_vgpr9
	s_and_saveexec_b64 s[2:3], vcc
	s_xor_b64 s[22:23], exec, s[2:3]
	s_cbranch_execz .LBB181_89
; %bb.88:
	v_add_f32_e32 v8, v11, v12
	v_mul_f32_e32 v8, 0.5, v8
	s_mov_b32 s2, 0xf800000
	v_mul_f32_e32 v9, 0x4f800000, v8
	v_cmp_gt_f32_e32 vcc, s2, v8
	s_nop 1
	v_cndmask_b32_e32 v8, v8, v9, vcc
	v_sqrt_f32_e32 v9, v8
	s_nop 0
	v_add_u32_e32 v11, -1, v9
	v_fma_f32 v12, -v11, v9, v8
	v_cmp_ge_f32_e64 s[2:3], 0, v12
	v_add_u32_e32 v12, 1, v9
	s_nop 0
	v_cndmask_b32_e64 v11, v9, v11, s[2:3]
	v_fma_f32 v9, -v12, v9, v8
	v_cmp_lt_f32_e64 s[2:3], 0, v9
	s_nop 1
	v_cndmask_b32_e64 v9, v11, v12, s[2:3]
	v_mul_f32_e32 v11, 0x37800000, v9
	v_cndmask_b32_e32 v9, v9, v11, vcc
	v_mov_b32_e32 v11, 0x260
	v_cmp_class_f32_e32 vcc, v8, v11
	s_nop 1
	v_cndmask_b32_e32 v8, v9, v8, vcc
	v_add_f32_e32 v9, v8, v8
	v_div_scale_f32 v11, s[2:3], v9, v9, v10
	v_rcp_f32_e32 v12, v11
	s_nop 0
	v_fma_f32 v13, -v11, v12, 1.0
	v_fmac_f32_e32 v12, v13, v12
	v_div_scale_f32 v13, vcc, v10, v9, v10
	v_mul_f32_e32 v14, v13, v12
	v_fma_f32 v15, -v11, v14, v13
	v_fmac_f32_e32 v14, v15, v12
	v_fma_f32 v11, -v11, v14, v13
	v_div_fmas_f32 v11, v11, v12, v14
	v_div_fixup_f32 v9, v11, v9, v10
                                        ; implicit-def: $vgpr12
                                        ; implicit-def: $vgpr10_vgpr11
	s_andn2_saveexec_b64 s[22:23], s[22:23]
	s_cbranch_execz .LBB181_91
	s_branch .LBB181_90
.LBB181_89:
	s_andn2_saveexec_b64 s[22:23], s[22:23]
	s_cbranch_execz .LBB181_91
.LBB181_90:
	v_sub_f32_e32 v8, v12, v11
	v_mul_f32_e32 v8, 0.5, v8
	s_mov_b32 s2, 0xf800000
	v_mul_f32_e32 v9, 0x4f800000, v8
	v_cmp_gt_f32_e32 vcc, s2, v8
	s_nop 1
	v_cndmask_b32_e32 v8, v8, v9, vcc
	v_sqrt_f32_e32 v9, v8
	s_nop 0
	v_add_u32_e32 v11, -1, v9
	v_fma_f32 v12, -v11, v9, v8
	v_cmp_ge_f32_e64 s[2:3], 0, v12
	v_add_u32_e32 v12, 1, v9
	s_nop 0
	v_cndmask_b32_e64 v11, v9, v11, s[2:3]
	v_fma_f32 v9, -v12, v9, v8
	v_cmp_lt_f32_e64 s[2:3], 0, v9
	s_nop 1
	v_cndmask_b32_e64 v9, v11, v12, s[2:3]
	v_mul_f32_e32 v11, 0x37800000, v9
	v_cndmask_b32_e32 v9, v9, v11, vcc
	v_mov_b32_e32 v11, 0x260
	v_cmp_class_f32_e32 vcc, v8, v11
	v_and_b32_e32 v11, 0x7fffffff, v10
	s_nop 0
	v_cndmask_b32_e32 v9, v9, v8, vcc
	v_add_f32_e32 v8, v9, v9
	v_div_scale_f32 v12, s[2:3], v8, v8, v11
	v_rcp_f32_e32 v13, v12
	v_div_scale_f32 v11, vcc, v11, v8, v11
	s_brev_b32 s2, -2
	v_fma_f32 v14, -v12, v13, 1.0
	v_fmac_f32_e32 v13, v14, v13
	v_mul_f32_e32 v14, v11, v13
	v_fma_f32 v15, -v12, v14, v11
	v_fmac_f32_e32 v14, v15, v13
	v_fma_f32 v11, -v12, v14, v11
	v_div_fmas_f32 v11, v11, v13, v14
	v_div_fixup_f32 v8, v11, v8, |v10|
	v_bfi_b32 v9, s2, v9, v10
.LBB181_91:
	s_or_b64 exec, exec, s[22:23]
                                        ; implicit-def: $vgpr10
                                        ; implicit-def: $vgpr12
	s_and_saveexec_b64 s[2:3], s[0:1]
	s_xor_b64 s[0:1], exec, s[2:3]
	s_cbranch_execz .LBB181_93
; %bb.92:
	v_pk_mul_f32 v[10:11], v[8:9], 0.5 op_sel_hi:[1,0]
	s_nop 0
	v_cndmask_b32_e64 v12, v8, v10, s[20:21]
	v_cndmask_b32_e64 v10, v9, v11, s[20:21]
                                        ; implicit-def: $vgpr8_vgpr9
	s_andn2_saveexec_b64 s[0:1], s[0:1]
	s_cbranch_execnz .LBB181_94
	s_branch .LBB181_95
.LBB181_93:
	s_andn2_saveexec_b64 s[0:1], s[0:1]
.LBB181_94:
	v_pk_add_f32 v[12:13], v[8:9], v[8:9]
	s_nop 0
	v_mov_b32_e32 v10, v13
.LBB181_95:
	s_or_b64 exec, exec, s[0:1]
.LBB181_96:
	s_andn2_saveexec_b64 s[0:1], s[18:19]
	s_cbranch_execz .LBB181_102
; %bb.97:
	v_and_b32_e32 v4, 0x8000, v4
	v_cmp_ne_u32_e32 vcc, 0, v4
	v_sub_f32_e32 v4, v10, v10
                                        ; implicit-def: $vgpr12
	s_and_saveexec_b64 s[2:3], vcc
	s_xor_b64 s[2:3], exec, s[2:3]
; %bb.98:
	s_brev_b32 s7, -2
	v_and_b32_e32 v12, 0x7fffffff, v4
	v_bfi_b32 v10, s7, v11, v10
                                        ; implicit-def: $vgpr4
; %bb.99:
	s_andn2_saveexec_b64 s[2:3], s[2:3]
; %bb.100:
	s_brev_b32 s7, -2
	v_bfi_b32 v10, s7, v4, v10
	v_mov_b32_e32 v12, v11
; %bb.101:
	s_or_b64 exec, exec, s[2:3]
.LBB181_102:
	s_or_b64 exec, exec, s[0:1]
.LBB181_103:
	s_andn2_saveexec_b64 s[0:1], s[16:17]
	s_cbranch_execz .LBB181_105
; %bb.104:
	v_sub_f32_e32 v4, v10, v10
	v_div_scale_f32 v8, vcc, v4, v4, v4
	v_rcp_f32_e32 v9, v8
	s_nop 0
	v_fma_f32 v10, -v8, v9, 1.0
	v_fmac_f32_e32 v9, v10, v9
	v_mul_f32_e32 v10, v8, v9
	v_fma_f32 v12, -v8, v10, v8
	v_fmac_f32_e32 v10, v12, v9
	v_fma_f32 v8, -v8, v10, v8
	v_div_fmas_f32 v8, v8, v9, v10
	v_div_fixup_f32 v10, v8, v4, v4
	v_mov_b32_e32 v12, v11
.LBB181_105:
	s_or_b64 exec, exec, s[0:1]
.LBB181_106:
	s_or_b64 exec, exec, s[14:15]
.LBB181_107:
	s_or_b64 exec, exec, s[12:13]
	v_cmp_gt_f32_e32 vcc, 0, v10
                                        ; implicit-def: $vgpr8_vgpr9
	s_nop 1
	v_cndmask_b32_e64 v11, v10, -v10, vcc
	v_cmp_gt_f32_e32 vcc, 0, v12
	s_nop 1
	v_cndmask_b32_e64 v4, v12, -v12, vcc
	v_cmp_ge_f32_e32 vcc, v4, v11
	s_and_saveexec_b64 s[0:1], vcc
	s_xor_b64 s[2:3], exec, s[0:1]
	s_cbranch_execz .LBB181_113
; %bb.108:
	v_cmp_neq_f32_e32 vcc, 0, v12
	v_cmp_neq_f32_e64 s[0:1], 0, v10
	s_or_b64 s[0:1], vcc, s[0:1]
                                        ; implicit-def: $vgpr8_vgpr9
	s_and_saveexec_b64 s[12:13], s[0:1]
	s_xor_b64 s[0:1], exec, s[12:13]
	s_cbranch_execz .LBB181_110
; %bb.109:
	v_div_scale_f32 v4, s[12:13], v12, v12, v10
	v_rcp_f32_e32 v8, v4
	v_div_scale_f32 v9, vcc, v10, v12, v10
	v_fma_f32 v11, -v4, v8, 1.0
	v_fmac_f32_e32 v8, v11, v8
	v_mul_f32_e32 v11, v9, v8
	v_fma_f32 v13, -v4, v11, v9
	v_fmac_f32_e32 v11, v13, v8
	v_fma_f32 v4, -v4, v11, v9
	v_div_fmas_f32 v4, v4, v8, v11
	v_div_fixup_f32 v9, v4, v12, v10
	v_fmac_f32_e32 v12, v10, v9
	v_div_scale_f32 v4, s[12:13], v12, v12, 1.0
	v_rcp_f32_e32 v8, v4
	s_nop 0
	v_fma_f32 v10, -v4, v8, 1.0
	v_fmac_f32_e32 v8, v10, v8
	v_div_scale_f32 v10, vcc, 1.0, v12, 1.0
	v_mul_f32_e32 v11, v10, v8
	v_fma_f32 v13, -v4, v11, v10
	v_fmac_f32_e32 v11, v13, v8
	v_fma_f32 v4, -v4, v11, v10
	v_div_fmas_f32 v4, v4, v8, v11
	v_mul_f32_e32 v8, 0, v9
	v_div_fixup_f32 v4, v4, v12, 1.0
	v_add_f32_e32 v8, 1.0, v8
	v_sub_f32_e32 v9, 0, v9
	v_pk_mul_f32 v[8:9], v[8:9], v[4:5] op_sel_hi:[1,0]
                                        ; implicit-def: $vgpr11
                                        ; implicit-def: $vgpr4
.LBB181_110:
	s_andn2_saveexec_b64 s[0:1], s[0:1]
	s_cbranch_execz .LBB181_112
; %bb.111:
	v_div_scale_f32 v8, s[12:13], v11, v11, 0
	v_rcp_f32_e32 v9, v8
	v_div_scale_f32 v10, vcc, 0, v11, 0
	v_fma_f32 v12, -v8, v9, 1.0
	v_fmac_f32_e32 v9, v12, v9
	v_mul_f32_e32 v12, v10, v9
	v_fma_f32 v13, -v8, v12, v10
	v_fmac_f32_e32 v12, v13, v9
	v_fma_f32 v8, -v8, v12, v10
	v_div_scale_f32 v10, s[12:13], v4, v4, 1.0
	v_rcp_f32_e32 v13, v10
	v_div_fmas_f32 v8, v8, v9, v12
	v_div_fixup_f32 v9, v8, v11, 0
	v_fma_f32 v8, -v10, v13, 1.0
	v_fmac_f32_e32 v13, v8, v13
	v_div_scale_f32 v8, vcc, 1.0, v4, 1.0
	v_mul_f32_e32 v11, v8, v13
	v_fma_f32 v12, -v10, v11, v8
	v_fmac_f32_e32 v11, v12, v13
	v_fma_f32 v8, -v10, v11, v8
	v_div_fmas_f32 v8, v8, v13, v11
	v_div_fixup_f32 v8, v8, v4, 1.0
.LBB181_112:
	s_or_b64 exec, exec, s[0:1]
                                        ; implicit-def: $vgpr10
                                        ; implicit-def: $vgpr12
.LBB181_113:
	s_andn2_saveexec_b64 s[0:1], s[2:3]
	s_cbranch_execz .LBB181_115
; %bb.114:
	v_div_scale_f32 v4, s[2:3], v10, v10, v12
	v_rcp_f32_e32 v8, v4
	v_div_scale_f32 v9, vcc, v12, v10, v12
	v_fma_f32 v11, -v4, v8, 1.0
	v_fmac_f32_e32 v8, v11, v8
	v_mul_f32_e32 v11, v9, v8
	v_fma_f32 v13, -v4, v11, v9
	v_fmac_f32_e32 v11, v13, v8
	v_fma_f32 v4, -v4, v11, v9
	v_div_fmas_f32 v4, v4, v8, v11
	v_div_fixup_f32 v8, v4, v10, v12
	v_fmac_f32_e32 v10, v12, v8
	v_div_scale_f32 v4, s[2:3], v10, v10, 1.0
	v_rcp_f32_e32 v9, v4
	s_mov_b32 s2, 0
	s_mov_b32 s3, -1.0
	v_fma_f32 v11, -v4, v9, 1.0
	v_fmac_f32_e32 v9, v11, v9
	v_div_scale_f32 v11, vcc, 1.0, v10, 1.0
	v_mul_f32_e32 v12, v11, v9
	v_fma_f32 v13, -v4, v12, v11
	v_fmac_f32_e32 v12, v13, v9
	v_fma_f32 v4, -v4, v12, v11
	v_div_fmas_f32 v4, v4, v9, v12
	v_mul_f32_e32 v9, 0, v8
	v_div_fixup_f32 v4, v4, v10, 1.0
	v_pk_add_f32 v[8:9], v[8:9], s[2:3]
	s_nop 0
	v_pk_mul_f32 v[8:9], v[8:9], v[4:5] op_sel_hi:[1,0]
.LBB181_115:
	s_or_b64 exec, exec, s[0:1]
	v_cvt_f32_f16_sdwa v10, v5 dst_sel:DWORD dst_unused:UNUSED_PAD src0_sel:WORD_1
	v_mov_b32_e32 v12, 0
	v_cmp_neq_f16_e32 vcc, 0, v5
	v_cmp_neq_f16_sdwa s[0:1], v5, v12 src0_sel:WORD_1 src1_sel:DWORD
	s_or_b64 s[0:1], vcc, s[0:1]
	s_and_saveexec_b64 s[12:13], s[0:1]
	s_cbranch_execz .LBB181_145
; %bb.116:
	v_cvt_f32_f16_e32 v11, v5
	v_mov_b32_e32 v12, 0x7f800000
	v_cmp_neq_f32_e64 s[0:1], |v10|, v12
	s_and_saveexec_b64 s[14:15], s[0:1]
	s_cbranch_execz .LBB181_144
; %bb.117:
	v_cmp_o_f16_e32 vcc, v5, v5
                                        ; implicit-def: $vgpr12
	s_and_saveexec_b64 s[0:1], vcc
	s_xor_b64 s[16:17], exec, s[0:1]
	s_cbranch_execz .LBB181_141
; %bb.118:
	s_mov_b32 s0, 0x7f800000
	v_cmp_neq_f32_e64 s[0:1], |v11|, s0
                                        ; implicit-def: $vgpr12
	s_and_saveexec_b64 s[2:3], s[0:1]
	s_xor_b64 s[18:19], exec, s[2:3]
	s_cbranch_execz .LBB181_134
; %bb.119:
	v_max_f32_e64 v4, |v10|, |v10|
	v_max_f32_e64 v5, |v11|, |v11|
	v_max_f32_e32 v4, v5, v4
	s_mov_b32 s0, 0x7ed413cb
	v_cmp_nle_f32_e64 s[0:1], s0, v4
                                        ; implicit-def: $sgpr20_sgpr21
	s_and_saveexec_b64 s[2:3], s[0:1]
	s_xor_b64 s[2:3], exec, s[2:3]
	s_cbranch_execz .LBB181_123
; %bb.120:
	s_mov_b32 s7, 0x1000000
	v_cmp_le_f32_e64 s[20:21], |v11|, s7
	v_cmp_le_f32_e64 s[22:23], |v10|, s7
	s_and_b64 s[26:27], s[20:21], s[22:23]
	s_mov_b64 s[20:21], 0
	s_and_saveexec_b64 s[22:23], s[26:27]
; %bb.121:
	s_mov_b64 s[20:21], exec
	v_pk_mul_f32 v[10:11], v[10:11], 4.0 op_sel_hi:[1,0]
; %bb.122:
	s_or_b64 exec, exec, s[22:23]
.LBB181_123:
	s_andn2_saveexec_b64 s[2:3], s[2:3]
; %bb.124:
	s_mov_b32 s22, 0x3e800000
	v_pk_mul_f32 v[10:11], v[10:11], s[22:23] op_sel_hi:[1,0]
	s_andn2_b64 s[20:21], s[20:21], exec
; %bb.125:
	s_or_b64 exec, exec, s[2:3]
	v_max_f32_e64 v4, |v10|, |v10|
	v_max_f32_e64 v5, |v11|, |v11|
	v_max_f32_e32 v12, v5, v4
	v_cvt_f64_f32_e32 v[4:5], v12
	v_frexp_exp_i32_f64_e32 v4, v[4:5]
	v_sub_u32_e32 v5, 0, v4
	v_ldexp_f32 v13, |v11|, v5
	v_ldexp_f32 v5, |v10|, v5
	v_mul_f32_e32 v5, v5, v5
	v_fmac_f32_e32 v5, v13, v13
	v_sqrt_f32_e32 v5, v5
	s_mov_b32 s2, 0x7f800000
	v_cmp_neq_f32_e64 s[2:3], s2, v12
	v_cmp_le_f32_e32 vcc, 0, v11
	v_ldexp_f32 v4, v5, v4
	v_mov_b32_e32 v5, 0x7f800000
	v_cndmask_b32_e64 v12, v5, v4, s[2:3]
                                        ; implicit-def: $vgpr4_vgpr5
	s_and_saveexec_b64 s[2:3], vcc
	s_xor_b64 s[22:23], exec, s[2:3]
	s_cbranch_execz .LBB181_127
; %bb.126:
	v_add_f32_e32 v4, v11, v12
	v_mul_f32_e32 v4, 0.5, v4
	s_mov_b32 s2, 0xf800000
	v_mul_f32_e32 v5, 0x4f800000, v4
	v_cmp_gt_f32_e32 vcc, s2, v4
	s_nop 1
	v_cndmask_b32_e32 v4, v4, v5, vcc
	v_sqrt_f32_e32 v5, v4
	s_nop 0
	v_add_u32_e32 v11, -1, v5
	v_fma_f32 v12, -v11, v5, v4
	v_cmp_ge_f32_e64 s[2:3], 0, v12
	v_add_u32_e32 v12, 1, v5
	s_nop 0
	v_cndmask_b32_e64 v11, v5, v11, s[2:3]
	v_fma_f32 v5, -v12, v5, v4
	v_cmp_lt_f32_e64 s[2:3], 0, v5
	s_nop 1
	v_cndmask_b32_e64 v5, v11, v12, s[2:3]
	v_mul_f32_e32 v11, 0x37800000, v5
	v_cndmask_b32_e32 v5, v5, v11, vcc
	v_mov_b32_e32 v11, 0x260
	v_cmp_class_f32_e32 vcc, v4, v11
	s_nop 1
	v_cndmask_b32_e32 v4, v5, v4, vcc
	v_add_f32_e32 v5, v4, v4
	v_div_scale_f32 v11, s[2:3], v5, v5, v10
	v_rcp_f32_e32 v12, v11
	s_nop 0
	v_fma_f32 v13, -v11, v12, 1.0
	v_fmac_f32_e32 v12, v13, v12
	v_div_scale_f32 v13, vcc, v10, v5, v10
	v_mul_f32_e32 v14, v13, v12
	v_fma_f32 v15, -v11, v14, v13
	v_fmac_f32_e32 v14, v15, v12
	v_fma_f32 v11, -v11, v14, v13
	v_div_fmas_f32 v11, v11, v12, v14
	v_div_fixup_f32 v5, v11, v5, v10
                                        ; implicit-def: $vgpr12
                                        ; implicit-def: $vgpr10_vgpr11
	s_andn2_saveexec_b64 s[22:23], s[22:23]
	s_cbranch_execz .LBB181_129
	s_branch .LBB181_128
.LBB181_127:
	s_andn2_saveexec_b64 s[22:23], s[22:23]
	s_cbranch_execz .LBB181_129
.LBB181_128:
	v_sub_f32_e32 v4, v12, v11
	v_mul_f32_e32 v4, 0.5, v4
	s_mov_b32 s2, 0xf800000
	v_mul_f32_e32 v5, 0x4f800000, v4
	v_cmp_gt_f32_e32 vcc, s2, v4
	s_nop 1
	v_cndmask_b32_e32 v4, v4, v5, vcc
	v_sqrt_f32_e32 v5, v4
	s_nop 0
	v_add_u32_e32 v11, -1, v5
	v_fma_f32 v12, -v11, v5, v4
	v_cmp_ge_f32_e64 s[2:3], 0, v12
	v_add_u32_e32 v12, 1, v5
	s_nop 0
	v_cndmask_b32_e64 v11, v5, v11, s[2:3]
	v_fma_f32 v5, -v12, v5, v4
	v_cmp_lt_f32_e64 s[2:3], 0, v5
	s_nop 1
	v_cndmask_b32_e64 v5, v11, v12, s[2:3]
	v_mul_f32_e32 v11, 0x37800000, v5
	v_cndmask_b32_e32 v5, v5, v11, vcc
	v_mov_b32_e32 v11, 0x260
	v_cmp_class_f32_e32 vcc, v4, v11
	v_and_b32_e32 v11, 0x7fffffff, v10
	s_nop 0
	v_cndmask_b32_e32 v5, v5, v4, vcc
	v_add_f32_e32 v4, v5, v5
	v_div_scale_f32 v12, s[2:3], v4, v4, v11
	v_rcp_f32_e32 v13, v12
	v_div_scale_f32 v11, vcc, v11, v4, v11
	s_brev_b32 s2, -2
	v_fma_f32 v14, -v12, v13, 1.0
	v_fmac_f32_e32 v13, v14, v13
	v_mul_f32_e32 v14, v11, v13
	v_fma_f32 v15, -v12, v14, v11
	v_fmac_f32_e32 v14, v15, v13
	v_fma_f32 v11, -v12, v14, v11
	v_div_fmas_f32 v11, v11, v13, v14
	v_div_fixup_f32 v4, v11, v4, |v10|
	v_bfi_b32 v5, s2, v5, v10
.LBB181_129:
	s_or_b64 exec, exec, s[22:23]
                                        ; implicit-def: $vgpr10
                                        ; implicit-def: $vgpr12
	s_and_saveexec_b64 s[2:3], s[0:1]
	s_xor_b64 s[0:1], exec, s[2:3]
	s_cbranch_execz .LBB181_131
; %bb.130:
	v_pk_mul_f32 v[10:11], v[4:5], 0.5 op_sel_hi:[1,0]
	s_nop 0
	v_cndmask_b32_e64 v12, v4, v10, s[20:21]
	v_cndmask_b32_e64 v10, v5, v11, s[20:21]
                                        ; implicit-def: $vgpr4_vgpr5
	s_andn2_saveexec_b64 s[0:1], s[0:1]
	s_cbranch_execnz .LBB181_132
	s_branch .LBB181_133
.LBB181_131:
	s_andn2_saveexec_b64 s[0:1], s[0:1]
.LBB181_132:
	v_pk_add_f32 v[12:13], v[4:5], v[4:5]
	s_nop 0
	v_mov_b32_e32 v10, v13
.LBB181_133:
	s_or_b64 exec, exec, s[0:1]
                                        ; implicit-def: $vgpr4_vgpr5
.LBB181_134:
	s_andn2_saveexec_b64 s[0:1], s[18:19]
	s_cbranch_execz .LBB181_140
; %bb.135:
	v_and_b32_e32 v4, 0x8000, v5
	v_cmp_ne_u32_e32 vcc, 0, v4
	v_sub_f32_e32 v4, v10, v10
                                        ; implicit-def: $vgpr12
	s_and_saveexec_b64 s[2:3], vcc
	s_xor_b64 s[2:3], exec, s[2:3]
; %bb.136:
	s_brev_b32 s7, -2
	v_and_b32_e32 v12, 0x7fffffff, v4
	v_bfi_b32 v10, s7, v11, v10
                                        ; implicit-def: $vgpr4
; %bb.137:
	s_andn2_saveexec_b64 s[2:3], s[2:3]
; %bb.138:
	s_brev_b32 s7, -2
	v_bfi_b32 v10, s7, v4, v10
	v_mov_b32_e32 v12, v11
; %bb.139:
	s_or_b64 exec, exec, s[2:3]
.LBB181_140:
	s_or_b64 exec, exec, s[0:1]
.LBB181_141:
	s_andn2_saveexec_b64 s[0:1], s[16:17]
	s_cbranch_execz .LBB181_143
; %bb.142:
	v_sub_f32_e32 v4, v10, v10
	v_div_scale_f32 v5, vcc, v4, v4, v4
	v_rcp_f32_e32 v10, v5
	s_nop 0
	v_fma_f32 v12, -v5, v10, 1.0
	v_fmac_f32_e32 v10, v12, v10
	v_mul_f32_e32 v12, v5, v10
	v_fma_f32 v13, -v5, v12, v5
	v_fmac_f32_e32 v12, v13, v10
	v_fma_f32 v5, -v5, v12, v5
	v_div_fmas_f32 v5, v5, v10, v12
	v_div_fixup_f32 v10, v5, v4, v4
	v_mov_b32_e32 v12, v11
.LBB181_143:
	s_or_b64 exec, exec, s[0:1]
.LBB181_144:
	s_or_b64 exec, exec, s[14:15]
.LBB181_145:
	s_or_b64 exec, exec, s[12:13]
	v_cmp_gt_f32_e32 vcc, 0, v10
                                        ; implicit-def: $vgpr4_vgpr5
	s_nop 1
	v_cndmask_b32_e64 v13, v10, -v10, vcc
	v_cmp_gt_f32_e32 vcc, 0, v12
	s_nop 1
	v_cndmask_b32_e64 v11, v12, -v12, vcc
	v_cmp_ge_f32_e32 vcc, v11, v13
	s_and_saveexec_b64 s[0:1], vcc
	s_xor_b64 s[2:3], exec, s[0:1]
	s_cbranch_execz .LBB181_151
; %bb.146:
	v_cmp_neq_f32_e32 vcc, 0, v12
	v_cmp_neq_f32_e64 s[0:1], 0, v10
	s_or_b64 s[0:1], vcc, s[0:1]
                                        ; implicit-def: $vgpr4_vgpr5
	s_and_saveexec_b64 s[12:13], s[0:1]
	s_xor_b64 s[0:1], exec, s[12:13]
	s_cbranch_execz .LBB181_148
; %bb.147:
	v_div_scale_f32 v4, s[12:13], v12, v12, v10
	v_rcp_f32_e32 v5, v4
	v_div_scale_f32 v11, vcc, v10, v12, v10
	v_fma_f32 v13, -v4, v5, 1.0
	v_fmac_f32_e32 v5, v13, v5
	v_mul_f32_e32 v13, v11, v5
	v_fma_f32 v14, -v4, v13, v11
	v_fmac_f32_e32 v13, v14, v5
	v_fma_f32 v4, -v4, v13, v11
	v_div_fmas_f32 v4, v4, v5, v13
	v_div_fixup_f32 v5, v4, v12, v10
	v_fmac_f32_e32 v12, v10, v5
	v_div_scale_f32 v4, s[12:13], v12, v12, 1.0
	v_rcp_f32_e32 v10, v4
	s_nop 0
	v_fma_f32 v11, -v4, v10, 1.0
	v_fmac_f32_e32 v10, v11, v10
	v_div_scale_f32 v11, vcc, 1.0, v12, 1.0
	v_mul_f32_e32 v13, v11, v10
	v_fma_f32 v14, -v4, v13, v11
	v_fmac_f32_e32 v13, v14, v10
	v_fma_f32 v4, -v4, v13, v11
	v_div_fmas_f32 v4, v4, v10, v13
	v_mul_f32_e32 v10, 0, v5
	v_div_fixup_f32 v4, v4, v12, 1.0
	v_add_f32_e32 v10, 1.0, v10
	v_sub_f32_e32 v11, 0, v5
	v_pk_mul_f32 v[4:5], v[10:11], v[4:5] op_sel_hi:[1,0]
                                        ; implicit-def: $vgpr13
                                        ; implicit-def: $vgpr11
.LBB181_148:
	s_andn2_saveexec_b64 s[0:1], s[0:1]
	s_cbranch_execz .LBB181_150
; %bb.149:
	v_div_scale_f32 v4, s[12:13], v13, v13, 0
	v_rcp_f32_e32 v5, v4
	v_div_scale_f32 v10, vcc, 0, v13, 0
	v_fma_f32 v12, -v4, v5, 1.0
	v_fmac_f32_e32 v5, v12, v5
	v_mul_f32_e32 v12, v10, v5
	v_fma_f32 v14, -v4, v12, v10
	v_fmac_f32_e32 v12, v14, v5
	v_fma_f32 v4, -v4, v12, v10
	v_div_scale_f32 v10, s[12:13], v11, v11, 1.0
	v_rcp_f32_e32 v14, v10
	v_div_fmas_f32 v4, v4, v5, v12
	v_div_fixup_f32 v5, v4, v13, 0
	v_fma_f32 v4, -v10, v14, 1.0
	v_fmac_f32_e32 v14, v4, v14
	v_div_scale_f32 v4, vcc, 1.0, v11, 1.0
	v_mul_f32_e32 v12, v4, v14
	v_fma_f32 v13, -v10, v12, v4
	v_fmac_f32_e32 v12, v13, v14
	v_fma_f32 v4, -v10, v12, v4
	v_div_fmas_f32 v4, v4, v14, v12
	v_div_fixup_f32 v4, v4, v11, 1.0
.LBB181_150:
	s_or_b64 exec, exec, s[0:1]
                                        ; implicit-def: $vgpr10
                                        ; implicit-def: $vgpr12
.LBB181_151:
	s_andn2_saveexec_b64 s[0:1], s[2:3]
	s_cbranch_execz .LBB181_153
; %bb.152:
	v_div_scale_f32 v4, s[2:3], v10, v10, v12
	v_rcp_f32_e32 v5, v4
	v_div_scale_f32 v11, vcc, v12, v10, v12
	v_fma_f32 v13, -v4, v5, 1.0
	v_fmac_f32_e32 v5, v13, v5
	v_mul_f32_e32 v13, v11, v5
	v_fma_f32 v14, -v4, v13, v11
	v_fmac_f32_e32 v13, v14, v5
	v_fma_f32 v4, -v4, v13, v11
	v_div_fmas_f32 v4, v4, v5, v13
	v_div_fixup_f32 v4, v4, v10, v12
	v_fmac_f32_e32 v10, v12, v4
	v_div_scale_f32 v5, s[2:3], v10, v10, 1.0
	v_rcp_f32_e32 v11, v5
	s_mov_b32 s2, 0
	s_mov_b32 s3, -1.0
	v_fma_f32 v12, -v5, v11, 1.0
	v_fmac_f32_e32 v11, v12, v11
	v_div_scale_f32 v12, vcc, 1.0, v10, 1.0
	v_mul_f32_e32 v13, v12, v11
	v_fma_f32 v14, -v5, v13, v12
	v_fmac_f32_e32 v13, v14, v11
	v_fma_f32 v5, -v5, v13, v12
	v_div_fmas_f32 v5, v5, v11, v13
	v_div_fixup_f32 v10, v5, v10, 1.0
	v_mul_f32_e32 v5, 0, v4
	v_pk_add_f32 v[4:5], v[4:5], s[2:3]
	s_nop 0
	v_pk_mul_f32 v[4:5], v[4:5], v[10:11] op_sel_hi:[1,0]
.LBB181_153:
	s_or_b64 exec, exec, s[0:1]
	v_cvt_f16_f32_sdwa v3, v3 dst_sel:WORD_1 dst_unused:UNUSED_PAD src0_sel:DWORD
	v_cvt_f16_f32_e32 v2, v2
	v_cvt_f16_f32_e32 v8, v8
	v_cvt_f16_f32_sdwa v9, v9 dst_sel:WORD_1 dst_unused:UNUSED_PAD src0_sel:DWORD
	v_cvt_f16_f32_sdwa v7, v7 dst_sel:WORD_1 dst_unused:UNUSED_PAD src0_sel:DWORD
	v_cvt_f16_f32_e32 v6, v6
	v_cvt_f16_f32_e32 v4, v4
	v_cvt_f16_f32_sdwa v5, v5 dst_sel:WORD_1 dst_unused:UNUSED_PAD src0_sel:DWORD
	v_or_b32_e32 v2, v3, v2
	s_add_u32 s0, s8, s4
	v_or_b32_e32 v8, v9, v8
	v_or3_b32 v3, v7, v6, 0
	v_or3_b32 v2, 0, 0, v2
	s_addc_u32 s1, s9, s5
	v_or3_b32 v5, v5, v4, 0
	v_or3_b32 v4, 0, 0, v8
	global_store_dwordx2 v1, v[2:3], s[0:1]
	global_store_dwordx2 v1, v[4:5], s[0:1] offset:2048
	s_mov_b64 s[0:1], 0
.LBB181_154:
	s_and_b64 vcc, exec, s[0:1]
	s_cbranch_vccz .LBB181_331
; %bb.155:
	v_cmp_gt_i32_e64 s[0:1], s24, v0
	v_mov_b32_e32 v1, 0
	v_or_b32_e32 v2, s6, v0
	v_mov_b32_e32 v5, 0
	v_mov_b32_e32 v3, 0
	;; [unrolled: 1-line block ×3, first 2 shown]
	s_and_saveexec_b64 s[2:3], s[0:1]
	s_cbranch_execz .LBB181_163
; %bb.156:
	v_mov_b32_e32 v3, 0
	v_lshl_add_u64 v[4:5], v[2:3], 2, s[10:11]
	global_load_dword v9, v[4:5], off
	v_or_b32_e32 v1, 0x100, v0
	v_cmp_gt_u32_e32 vcc, s24, v1
	v_mov_b32_e32 v5, v3
	v_mov_b32_e32 v1, v3
	s_and_saveexec_b64 s[4:5], vcc
	s_cbranch_execz .LBB181_162
; %bb.157:
	v_add_u32_e32 v4, s6, v0
	v_mov_b32_e32 v5, 0
	v_lshl_add_u64 v[6:7], v[4:5], 2, s[10:11]
	global_load_dword v3, v[6:7], off offset:1024
	v_or_b32_e32 v1, 0x200, v0
	v_cmp_gt_u32_e32 vcc, s24, v1
	v_mov_b32_e32 v1, v5
	s_and_saveexec_b64 s[10:11], vcc
	s_cbranch_execz .LBB181_161
; %bb.158:
	global_load_dword v5, v[6:7], off offset:2048
	v_or_b32_e32 v1, 0x300, v0
	v_cmp_gt_u32_e32 vcc, s24, v1
	v_mov_b32_e32 v1, 0
	s_and_saveexec_b64 s[12:13], vcc
	s_cbranch_execz .LBB181_160
; %bb.159:
	global_load_dword v1, v[6:7], off offset:3072
.LBB181_160:
	s_or_b64 exec, exec, s[12:13]
.LBB181_161:
	s_or_b64 exec, exec, s[10:11]
.LBB181_162:
	s_or_b64 exec, exec, s[4:5]
.LBB181_163:
	s_or_b64 exec, exec, s[2:3]
                                        ; implicit-def: $vgpr12
	s_and_saveexec_b64 s[10:11], s[0:1]
	s_cbranch_execz .LBB181_203
; %bb.164:
	s_waitcnt vmcnt(0)
	v_cvt_f32_f16_sdwa v6, v9 dst_sel:DWORD dst_unused:UNUSED_PAD src0_sel:WORD_1
	v_mov_b32_e32 v8, 0
	v_cmp_neq_f16_e32 vcc, 0, v9
	v_cmp_neq_f16_sdwa s[2:3], v9, v8 src0_sel:WORD_1 src1_sel:DWORD
	s_or_b64 s[2:3], vcc, s[2:3]
	s_and_saveexec_b64 s[12:13], s[2:3]
	s_cbranch_execz .LBB181_194
; %bb.165:
	v_cvt_f32_f16_e32 v7, v9
	v_mov_b32_e32 v8, 0x7f800000
	v_cmp_neq_f32_e64 s[2:3], |v6|, v8
	s_and_saveexec_b64 s[14:15], s[2:3]
	s_cbranch_execz .LBB181_193
; %bb.166:
	v_cmp_o_f16_e32 vcc, v9, v9
                                        ; implicit-def: $vgpr8
	s_and_saveexec_b64 s[2:3], vcc
	s_xor_b64 s[16:17], exec, s[2:3]
	s_cbranch_execz .LBB181_190
; %bb.167:
	s_mov_b32 s2, 0x7f800000
	v_cmp_neq_f32_e64 s[2:3], |v7|, s2
                                        ; implicit-def: $vgpr8
	s_and_saveexec_b64 s[4:5], s[2:3]
	s_xor_b64 s[18:19], exec, s[4:5]
	s_cbranch_execz .LBB181_183
; %bb.168:
	v_max_f32_e64 v4, |v6|, |v6|
	v_max_f32_e64 v8, |v7|, |v7|
	v_max_f32_e32 v4, v8, v4
	s_mov_b32 s2, 0x7ed413cb
	v_cmp_nle_f32_e64 s[2:3], s2, v4
                                        ; implicit-def: $sgpr20_sgpr21
	s_and_saveexec_b64 s[4:5], s[2:3]
	s_xor_b64 s[4:5], exec, s[4:5]
	s_cbranch_execz .LBB181_172
; %bb.169:
	s_mov_b32 s7, 0x1000000
	v_cmp_le_f32_e64 s[20:21], |v7|, s7
	v_cmp_le_f32_e64 s[22:23], |v6|, s7
	s_and_b64 s[26:27], s[20:21], s[22:23]
	s_mov_b64 s[20:21], 0
	s_and_saveexec_b64 s[22:23], s[26:27]
; %bb.170:
	s_mov_b64 s[20:21], exec
	v_pk_mul_f32 v[6:7], v[6:7], 4.0 op_sel_hi:[1,0]
; %bb.171:
	s_or_b64 exec, exec, s[22:23]
.LBB181_172:
	s_andn2_saveexec_b64 s[4:5], s[4:5]
; %bb.173:
	s_mov_b32 s22, 0x3e800000
	v_pk_mul_f32 v[6:7], v[6:7], s[22:23] op_sel_hi:[1,0]
	s_andn2_b64 s[20:21], s[20:21], exec
; %bb.174:
	s_or_b64 exec, exec, s[4:5]
	v_max_f32_e64 v4, |v6|, |v6|
	v_max_f32_e64 v8, |v7|, |v7|
	v_max_f32_e32 v4, v8, v4
	v_cvt_f64_f32_e32 v[8:9], v4
	v_frexp_exp_i32_f64_e32 v8, v[8:9]
	v_sub_u32_e32 v9, 0, v8
	v_ldexp_f32 v10, |v7|, v9
	v_ldexp_f32 v9, |v6|, v9
	v_mul_f32_e32 v9, v9, v9
	v_fmac_f32_e32 v9, v10, v10
	v_sqrt_f32_e32 v9, v9
	s_mov_b32 s4, 0x7f800000
	v_cmp_neq_f32_e64 s[4:5], s4, v4
	v_cmp_le_f32_e32 vcc, 0, v7
	v_ldexp_f32 v8, v9, v8
	v_mov_b32_e32 v9, 0x7f800000
	v_cndmask_b32_e64 v4, v9, v8, s[4:5]
                                        ; implicit-def: $vgpr10_vgpr11
	s_and_saveexec_b64 s[4:5], vcc
	s_xor_b64 s[22:23], exec, s[4:5]
	s_cbranch_execz .LBB181_176
; %bb.175:
	v_add_f32_e32 v4, v7, v4
	v_mul_f32_e32 v4, 0.5, v4
	s_mov_b32 s4, 0xf800000
	v_mul_f32_e32 v7, 0x4f800000, v4
	v_cmp_gt_f32_e32 vcc, s4, v4
	s_nop 1
	v_cndmask_b32_e32 v4, v4, v7, vcc
	v_sqrt_f32_e32 v7, v4
	s_nop 0
	v_add_u32_e32 v8, -1, v7
	v_fma_f32 v9, -v8, v7, v4
	v_cmp_ge_f32_e64 s[4:5], 0, v9
	v_add_u32_e32 v9, 1, v7
	s_nop 0
	v_cndmask_b32_e64 v8, v7, v8, s[4:5]
	v_fma_f32 v7, -v9, v7, v4
	v_cmp_lt_f32_e64 s[4:5], 0, v7
	s_nop 1
	v_cndmask_b32_e64 v7, v8, v9, s[4:5]
	v_mul_f32_e32 v8, 0x37800000, v7
	v_cndmask_b32_e32 v7, v7, v8, vcc
	v_mov_b32_e32 v8, 0x260
	v_cmp_class_f32_e32 vcc, v4, v8
	s_nop 1
	v_cndmask_b32_e32 v10, v7, v4, vcc
	v_add_f32_e32 v4, v10, v10
	v_div_scale_f32 v7, s[4:5], v4, v4, v6
	v_rcp_f32_e32 v8, v7
	s_nop 0
	v_fma_f32 v9, -v7, v8, 1.0
	v_fmac_f32_e32 v8, v9, v8
	v_div_scale_f32 v9, vcc, v6, v4, v6
	v_mul_f32_e32 v11, v9, v8
	v_fma_f32 v12, -v7, v11, v9
	v_fmac_f32_e32 v11, v12, v8
	v_fma_f32 v7, -v7, v11, v9
	v_div_fmas_f32 v7, v7, v8, v11
	v_div_fixup_f32 v11, v7, v4, v6
                                        ; implicit-def: $vgpr4
                                        ; implicit-def: $vgpr6_vgpr7
	s_andn2_saveexec_b64 s[22:23], s[22:23]
	s_cbranch_execz .LBB181_178
	s_branch .LBB181_177
.LBB181_176:
	s_andn2_saveexec_b64 s[22:23], s[22:23]
	s_cbranch_execz .LBB181_178
.LBB181_177:
	v_sub_f32_e32 v4, v4, v7
	v_mul_f32_e32 v4, 0.5, v4
	s_mov_b32 s4, 0xf800000
	v_mul_f32_e32 v7, 0x4f800000, v4
	v_cmp_gt_f32_e32 vcc, s4, v4
	s_nop 1
	v_cndmask_b32_e32 v4, v4, v7, vcc
	v_sqrt_f32_e32 v7, v4
	s_nop 0
	v_add_u32_e32 v8, -1, v7
	v_fma_f32 v9, -v8, v7, v4
	v_cmp_ge_f32_e64 s[4:5], 0, v9
	v_add_u32_e32 v9, 1, v7
	s_nop 0
	v_cndmask_b32_e64 v8, v7, v8, s[4:5]
	v_fma_f32 v7, -v9, v7, v4
	v_cmp_lt_f32_e64 s[4:5], 0, v7
	s_nop 1
	v_cndmask_b32_e64 v7, v8, v9, s[4:5]
	v_mul_f32_e32 v8, 0x37800000, v7
	v_cndmask_b32_e32 v7, v7, v8, vcc
	v_mov_b32_e32 v8, 0x260
	v_cmp_class_f32_e32 vcc, v4, v8
	v_and_b32_e32 v8, 0x7fffffff, v6
	s_nop 0
	v_cndmask_b32_e32 v4, v7, v4, vcc
	v_add_f32_e32 v7, v4, v4
	v_div_scale_f32 v9, s[4:5], v7, v7, v8
	v_rcp_f32_e32 v10, v9
	v_div_scale_f32 v8, vcc, v8, v7, v8
	s_brev_b32 s4, -2
	v_fma_f32 v11, -v9, v10, 1.0
	v_fmac_f32_e32 v10, v11, v10
	v_mul_f32_e32 v11, v8, v10
	v_fma_f32 v12, -v9, v11, v8
	v_fmac_f32_e32 v11, v12, v10
	v_fma_f32 v8, -v9, v11, v8
	v_div_fmas_f32 v8, v8, v10, v11
	v_div_fixup_f32 v10, v8, v7, |v6|
	v_bfi_b32 v11, s4, v4, v6
.LBB181_178:
	s_or_b64 exec, exec, s[22:23]
                                        ; implicit-def: $vgpr6
                                        ; implicit-def: $vgpr8
	s_and_saveexec_b64 s[4:5], s[2:3]
	s_xor_b64 s[2:3], exec, s[4:5]
	s_cbranch_execz .LBB181_180
; %bb.179:
	v_pk_mul_f32 v[6:7], v[10:11], 0.5 op_sel_hi:[1,0]
	s_nop 0
	v_cndmask_b32_e64 v8, v10, v6, s[20:21]
	v_cndmask_b32_e64 v6, v11, v7, s[20:21]
                                        ; implicit-def: $vgpr10_vgpr11
	s_andn2_saveexec_b64 s[2:3], s[2:3]
	s_cbranch_execnz .LBB181_181
	s_branch .LBB181_182
.LBB181_180:
	s_andn2_saveexec_b64 s[2:3], s[2:3]
.LBB181_181:
	v_pk_add_f32 v[8:9], v[10:11], v[10:11]
	s_nop 0
	v_mov_b32_e32 v6, v9
.LBB181_182:
	s_or_b64 exec, exec, s[2:3]
                                        ; implicit-def: $vgpr9
.LBB181_183:
	s_andn2_saveexec_b64 s[2:3], s[18:19]
	s_cbranch_execz .LBB181_189
; %bb.184:
	v_and_b32_e32 v4, 0x8000, v9
	v_cmp_ne_u32_e32 vcc, 0, v4
	v_sub_f32_e32 v4, v6, v6
                                        ; implicit-def: $vgpr8
	s_and_saveexec_b64 s[4:5], vcc
	s_xor_b64 s[4:5], exec, s[4:5]
; %bb.185:
	s_brev_b32 s7, -2
	v_and_b32_e32 v8, 0x7fffffff, v4
	v_bfi_b32 v6, s7, v7, v6
                                        ; implicit-def: $vgpr4
; %bb.186:
	s_andn2_saveexec_b64 s[4:5], s[4:5]
; %bb.187:
	s_brev_b32 s7, -2
	v_bfi_b32 v6, s7, v4, v6
	v_mov_b32_e32 v8, v7
; %bb.188:
	s_or_b64 exec, exec, s[4:5]
.LBB181_189:
	s_or_b64 exec, exec, s[2:3]
.LBB181_190:
	s_andn2_saveexec_b64 s[2:3], s[16:17]
	s_cbranch_execz .LBB181_192
; %bb.191:
	v_sub_f32_e32 v4, v6, v6
	v_div_scale_f32 v6, vcc, v4, v4, v4
	v_rcp_f32_e32 v8, v6
	s_nop 0
	v_fma_f32 v9, -v6, v8, 1.0
	v_fmac_f32_e32 v8, v9, v8
	v_mul_f32_e32 v9, v6, v8
	v_fma_f32 v10, -v6, v9, v6
	v_fmac_f32_e32 v9, v10, v8
	v_fma_f32 v6, -v6, v9, v6
	v_div_fmas_f32 v6, v6, v8, v9
	v_div_fixup_f32 v6, v6, v4, v4
	v_mov_b32_e32 v8, v7
.LBB181_192:
	s_or_b64 exec, exec, s[2:3]
.LBB181_193:
	s_or_b64 exec, exec, s[14:15]
.LBB181_194:
	s_or_b64 exec, exec, s[12:13]
	v_cmp_gt_f32_e32 vcc, 0, v6
                                        ; implicit-def: $vgpr10_vgpr11
	s_nop 1
	v_cndmask_b32_e64 v7, v6, -v6, vcc
	v_cmp_gt_f32_e32 vcc, 0, v8
	s_nop 1
	v_cndmask_b32_e64 v4, v8, -v8, vcc
	v_cmp_ge_f32_e32 vcc, v4, v7
	s_and_saveexec_b64 s[2:3], vcc
	s_xor_b64 s[4:5], exec, s[2:3]
	s_cbranch_execz .LBB181_200
; %bb.195:
	v_cmp_neq_f32_e32 vcc, 0, v8
	v_cmp_neq_f32_e64 s[2:3], 0, v6
	s_or_b64 s[2:3], vcc, s[2:3]
                                        ; implicit-def: $vgpr10_vgpr11
	s_and_saveexec_b64 s[12:13], s[2:3]
	s_xor_b64 s[2:3], exec, s[12:13]
	s_cbranch_execz .LBB181_197
; %bb.196:
	v_div_scale_f32 v4, s[12:13], v8, v8, v6
	v_rcp_f32_e32 v7, v4
	v_div_scale_f32 v9, vcc, v6, v8, v6
	v_fma_f32 v10, -v4, v7, 1.0
	v_fmac_f32_e32 v7, v10, v7
	v_mul_f32_e32 v10, v9, v7
	v_fma_f32 v11, -v4, v10, v9
	v_fmac_f32_e32 v10, v11, v7
	v_fma_f32 v4, -v4, v10, v9
	v_div_fmas_f32 v4, v4, v7, v10
	v_div_fixup_f32 v7, v4, v8, v6
	v_fmac_f32_e32 v8, v6, v7
	v_div_scale_f32 v4, s[12:13], v8, v8, 1.0
	v_rcp_f32_e32 v6, v4
	s_nop 0
	v_fma_f32 v9, -v4, v6, 1.0
	v_fmac_f32_e32 v6, v9, v6
	v_div_scale_f32 v9, vcc, 1.0, v8, 1.0
	v_mul_f32_e32 v10, v9, v6
	v_fma_f32 v11, -v4, v10, v9
	v_fmac_f32_e32 v10, v11, v6
	v_fma_f32 v4, -v4, v10, v9
	v_div_fmas_f32 v4, v4, v6, v10
	v_mul_f32_e32 v6, 0, v7
	v_div_fixup_f32 v4, v4, v8, 1.0
	v_add_f32_e32 v6, 1.0, v6
	v_sub_f32_e32 v7, 0, v7
	v_pk_mul_f32 v[10:11], v[6:7], v[4:5] op_sel_hi:[1,0]
                                        ; implicit-def: $vgpr7
                                        ; implicit-def: $vgpr4
.LBB181_197:
	s_andn2_saveexec_b64 s[2:3], s[2:3]
	s_cbranch_execz .LBB181_199
; %bb.198:
	v_div_scale_f32 v6, s[12:13], v7, v7, 0
	v_rcp_f32_e32 v8, v6
	v_div_scale_f32 v9, vcc, 0, v7, 0
	v_fma_f32 v10, -v6, v8, 1.0
	v_fmac_f32_e32 v8, v10, v8
	v_mul_f32_e32 v10, v9, v8
	v_fma_f32 v11, -v6, v10, v9
	v_fmac_f32_e32 v10, v11, v8
	v_fma_f32 v6, -v6, v10, v9
	v_div_scale_f32 v9, s[12:13], v4, v4, 1.0
	v_rcp_f32_e32 v12, v9
	v_div_fmas_f32 v6, v6, v8, v10
	v_div_fixup_f32 v11, v6, v7, 0
	v_fma_f32 v6, -v9, v12, 1.0
	v_fmac_f32_e32 v12, v6, v12
	v_div_scale_f32 v6, vcc, 1.0, v4, 1.0
	v_mul_f32_e32 v7, v6, v12
	v_fma_f32 v8, -v9, v7, v6
	v_fmac_f32_e32 v7, v8, v12
	v_fma_f32 v6, -v9, v7, v6
	v_div_fmas_f32 v6, v6, v12, v7
	v_div_fixup_f32 v10, v6, v4, 1.0
.LBB181_199:
	s_or_b64 exec, exec, s[2:3]
                                        ; implicit-def: $vgpr6
                                        ; implicit-def: $vgpr8
.LBB181_200:
	s_andn2_saveexec_b64 s[2:3], s[4:5]
	s_cbranch_execz .LBB181_202
; %bb.201:
	v_div_scale_f32 v4, s[4:5], v6, v6, v8
	v_rcp_f32_e32 v7, v4
	v_div_scale_f32 v9, vcc, v8, v6, v8
	v_fma_f32 v10, -v4, v7, 1.0
	v_fmac_f32_e32 v7, v10, v7
	v_mul_f32_e32 v10, v9, v7
	v_fma_f32 v11, -v4, v10, v9
	v_fmac_f32_e32 v10, v11, v7
	v_fma_f32 v4, -v4, v10, v9
	v_div_fmas_f32 v4, v4, v7, v10
	v_div_fixup_f32 v10, v4, v6, v8
	v_fmac_f32_e32 v6, v8, v10
	v_div_scale_f32 v4, s[4:5], v6, v6, 1.0
	v_rcp_f32_e32 v7, v4
	s_mov_b32 s4, 0
	s_mov_b32 s5, -1.0
	v_fma_f32 v8, -v4, v7, 1.0
	v_fmac_f32_e32 v7, v8, v7
	v_div_scale_f32 v8, vcc, 1.0, v6, 1.0
	v_mul_f32_e32 v9, v8, v7
	v_fma_f32 v11, -v4, v9, v8
	v_fmac_f32_e32 v9, v11, v7
	v_fma_f32 v4, -v4, v9, v8
	v_div_fmas_f32 v4, v4, v7, v9
	v_mul_f32_e32 v11, 0, v10
	v_div_fixup_f32 v4, v4, v6, 1.0
	v_pk_add_f32 v[6:7], v[10:11], s[4:5]
	s_nop 0
	v_pk_mul_f32 v[10:11], v[6:7], v[4:5] op_sel_hi:[1,0]
.LBB181_202:
	s_or_b64 exec, exec, s[2:3]
	v_cvt_f16_f32_e32 v4, v10
	v_cvt_f16_f32_sdwa v6, v11 dst_sel:WORD_1 dst_unused:UNUSED_PAD src0_sel:DWORD
	s_nop 0
	v_or_b32_e32 v12, v6, v4
.LBB181_203:
	s_or_b64 exec, exec, s[10:11]
	v_or_b32_e32 v13, 0x100, v0
	v_cmp_gt_i32_e32 vcc, s24, v13
                                        ; implicit-def: $vgpr10
	s_and_saveexec_b64 s[10:11], vcc
	s_cbranch_execz .LBB181_243
; %bb.204:
	s_waitcnt vmcnt(0)
	v_cvt_f32_f16_sdwa v6, v3 dst_sel:DWORD dst_unused:UNUSED_PAD src0_sel:WORD_1
	v_mov_b32_e32 v8, 0
	v_cmp_neq_f16_e32 vcc, 0, v3
	v_cmp_neq_f16_sdwa s[2:3], v3, v8 src0_sel:WORD_1 src1_sel:DWORD
	s_or_b64 s[2:3], vcc, s[2:3]
	s_and_saveexec_b64 s[12:13], s[2:3]
	s_cbranch_execz .LBB181_234
; %bb.205:
	v_cvt_f32_f16_e32 v7, v3
	v_mov_b32_e32 v8, 0x7f800000
	v_cmp_neq_f32_e64 s[2:3], |v6|, v8
	s_and_saveexec_b64 s[14:15], s[2:3]
	s_cbranch_execz .LBB181_233
; %bb.206:
	v_cmp_o_f16_e32 vcc, v3, v3
                                        ; implicit-def: $vgpr8
	s_and_saveexec_b64 s[2:3], vcc
	s_xor_b64 s[16:17], exec, s[2:3]
	s_cbranch_execz .LBB181_230
; %bb.207:
	s_mov_b32 s2, 0x7f800000
	v_cmp_neq_f32_e64 s[2:3], |v7|, s2
                                        ; implicit-def: $vgpr8
	s_and_saveexec_b64 s[4:5], s[2:3]
	s_xor_b64 s[18:19], exec, s[4:5]
	s_cbranch_execz .LBB181_223
; %bb.208:
	v_max_f32_e64 v3, |v6|, |v6|
	v_max_f32_e64 v4, |v7|, |v7|
	v_max_f32_e32 v3, v4, v3
	s_mov_b32 s2, 0x7ed413cb
	v_cmp_nle_f32_e64 s[2:3], s2, v3
                                        ; implicit-def: $sgpr20_sgpr21
	s_and_saveexec_b64 s[4:5], s[2:3]
	s_xor_b64 s[4:5], exec, s[4:5]
	s_cbranch_execz .LBB181_212
; %bb.209:
	s_mov_b32 s7, 0x1000000
	v_cmp_le_f32_e64 s[20:21], |v7|, s7
	v_cmp_le_f32_e64 s[22:23], |v6|, s7
	s_and_b64 s[26:27], s[20:21], s[22:23]
	s_mov_b64 s[20:21], 0
	s_and_saveexec_b64 s[22:23], s[26:27]
; %bb.210:
	s_mov_b64 s[20:21], exec
	v_pk_mul_f32 v[6:7], v[6:7], 4.0 op_sel_hi:[1,0]
; %bb.211:
	s_or_b64 exec, exec, s[22:23]
.LBB181_212:
	s_andn2_saveexec_b64 s[4:5], s[4:5]
; %bb.213:
	s_mov_b32 s22, 0x3e800000
	v_pk_mul_f32 v[6:7], v[6:7], s[22:23] op_sel_hi:[1,0]
	s_andn2_b64 s[20:21], s[20:21], exec
; %bb.214:
	s_or_b64 exec, exec, s[4:5]
	v_max_f32_e64 v3, |v6|, |v6|
	v_max_f32_e64 v4, |v7|, |v7|
	v_max_f32_e32 v3, v4, v3
	v_cvt_f64_f32_e32 v[8:9], v3
	v_frexp_exp_i32_f64_e32 v4, v[8:9]
	v_sub_u32_e32 v8, 0, v4
	v_ldexp_f32 v9, |v7|, v8
	v_ldexp_f32 v8, |v6|, v8
	v_mul_f32_e32 v8, v8, v8
	v_fmac_f32_e32 v8, v9, v9
	v_sqrt_f32_e32 v8, v8
	s_mov_b32 s4, 0x7f800000
	v_cmp_neq_f32_e64 s[4:5], s4, v3
	v_cmp_le_f32_e32 vcc, 0, v7
	v_ldexp_f32 v4, v8, v4
	v_mov_b32_e32 v8, 0x7f800000
	v_cndmask_b32_e64 v3, v8, v4, s[4:5]
                                        ; implicit-def: $vgpr10_vgpr11
	s_and_saveexec_b64 s[4:5], vcc
	s_xor_b64 s[22:23], exec, s[4:5]
	s_cbranch_execz .LBB181_216
; %bb.215:
	v_add_f32_e32 v3, v7, v3
	v_mul_f32_e32 v3, 0.5, v3
	s_mov_b32 s4, 0xf800000
	v_mul_f32_e32 v4, 0x4f800000, v3
	v_cmp_gt_f32_e32 vcc, s4, v3
	s_nop 1
	v_cndmask_b32_e32 v3, v3, v4, vcc
	v_sqrt_f32_e32 v4, v3
	s_nop 0
	v_add_u32_e32 v7, -1, v4
	v_fma_f32 v8, -v7, v4, v3
	v_cmp_ge_f32_e64 s[4:5], 0, v8
	v_add_u32_e32 v8, 1, v4
	s_nop 0
	v_cndmask_b32_e64 v7, v4, v7, s[4:5]
	v_fma_f32 v4, -v8, v4, v3
	v_cmp_lt_f32_e64 s[4:5], 0, v4
	s_nop 1
	v_cndmask_b32_e64 v4, v7, v8, s[4:5]
	v_mul_f32_e32 v7, 0x37800000, v4
	v_cndmask_b32_e32 v4, v4, v7, vcc
	v_mov_b32_e32 v7, 0x260
	v_cmp_class_f32_e32 vcc, v3, v7
	s_nop 1
	v_cndmask_b32_e32 v10, v4, v3, vcc
	v_add_f32_e32 v3, v10, v10
	v_div_scale_f32 v4, s[4:5], v3, v3, v6
	v_rcp_f32_e32 v7, v4
	s_nop 0
	v_fma_f32 v8, -v4, v7, 1.0
	v_fmac_f32_e32 v7, v8, v7
	v_div_scale_f32 v8, vcc, v6, v3, v6
	v_mul_f32_e32 v9, v8, v7
	v_fma_f32 v11, -v4, v9, v8
	v_fmac_f32_e32 v9, v11, v7
	v_fma_f32 v4, -v4, v9, v8
	v_div_fmas_f32 v4, v4, v7, v9
	v_div_fixup_f32 v11, v4, v3, v6
                                        ; implicit-def: $vgpr3
                                        ; implicit-def: $vgpr6_vgpr7
	s_andn2_saveexec_b64 s[22:23], s[22:23]
	s_cbranch_execz .LBB181_218
	s_branch .LBB181_217
.LBB181_216:
	s_andn2_saveexec_b64 s[22:23], s[22:23]
	s_cbranch_execz .LBB181_218
.LBB181_217:
	v_sub_f32_e32 v3, v3, v7
	v_mul_f32_e32 v3, 0.5, v3
	s_mov_b32 s4, 0xf800000
	v_mul_f32_e32 v4, 0x4f800000, v3
	v_cmp_gt_f32_e32 vcc, s4, v3
	s_nop 1
	v_cndmask_b32_e32 v3, v3, v4, vcc
	v_sqrt_f32_e32 v4, v3
	s_nop 0
	v_add_u32_e32 v7, -1, v4
	v_fma_f32 v8, -v7, v4, v3
	v_cmp_ge_f32_e64 s[4:5], 0, v8
	v_add_u32_e32 v8, 1, v4
	s_nop 0
	v_cndmask_b32_e64 v7, v4, v7, s[4:5]
	v_fma_f32 v4, -v8, v4, v3
	v_cmp_lt_f32_e64 s[4:5], 0, v4
	s_nop 1
	v_cndmask_b32_e64 v4, v7, v8, s[4:5]
	v_mul_f32_e32 v7, 0x37800000, v4
	v_cndmask_b32_e32 v4, v4, v7, vcc
	v_mov_b32_e32 v7, 0x260
	v_cmp_class_f32_e32 vcc, v3, v7
	v_and_b32_e32 v7, 0x7fffffff, v6
	s_nop 0
	v_cndmask_b32_e32 v3, v4, v3, vcc
	v_add_f32_e32 v4, v3, v3
	v_div_scale_f32 v8, s[4:5], v4, v4, v7
	v_rcp_f32_e32 v9, v8
	v_div_scale_f32 v7, vcc, v7, v4, v7
	s_brev_b32 s4, -2
	v_fma_f32 v10, -v8, v9, 1.0
	v_fmac_f32_e32 v9, v10, v9
	v_mul_f32_e32 v10, v7, v9
	v_fma_f32 v11, -v8, v10, v7
	v_fmac_f32_e32 v10, v11, v9
	v_fma_f32 v7, -v8, v10, v7
	v_div_fmas_f32 v7, v7, v9, v10
	v_div_fixup_f32 v10, v7, v4, |v6|
	v_bfi_b32 v11, s4, v3, v6
.LBB181_218:
	s_or_b64 exec, exec, s[22:23]
                                        ; implicit-def: $vgpr6
                                        ; implicit-def: $vgpr8
	s_and_saveexec_b64 s[4:5], s[2:3]
	s_xor_b64 s[2:3], exec, s[4:5]
	s_cbranch_execz .LBB181_220
; %bb.219:
	v_pk_mul_f32 v[6:7], v[10:11], 0.5 op_sel_hi:[1,0]
	s_nop 0
	v_cndmask_b32_e64 v8, v10, v6, s[20:21]
	v_cndmask_b32_e64 v6, v11, v7, s[20:21]
                                        ; implicit-def: $vgpr10_vgpr11
	s_andn2_saveexec_b64 s[2:3], s[2:3]
	s_cbranch_execnz .LBB181_221
	s_branch .LBB181_222
.LBB181_220:
	s_andn2_saveexec_b64 s[2:3], s[2:3]
.LBB181_221:
	v_pk_add_f32 v[8:9], v[10:11], v[10:11]
	s_nop 0
	v_mov_b32_e32 v6, v9
.LBB181_222:
	s_or_b64 exec, exec, s[2:3]
.LBB181_223:
	s_andn2_saveexec_b64 s[2:3], s[18:19]
	s_cbranch_execz .LBB181_229
; %bb.224:
	v_and_b32_e32 v3, 0x8000, v3
	v_cmp_ne_u32_e32 vcc, 0, v3
	v_sub_f32_e32 v3, v6, v6
                                        ; implicit-def: $vgpr8
	s_and_saveexec_b64 s[4:5], vcc
	s_xor_b64 s[4:5], exec, s[4:5]
; %bb.225:
	s_brev_b32 s7, -2
	v_and_b32_e32 v8, 0x7fffffff, v3
	v_bfi_b32 v6, s7, v7, v6
                                        ; implicit-def: $vgpr3
; %bb.226:
	s_andn2_saveexec_b64 s[4:5], s[4:5]
; %bb.227:
	s_brev_b32 s7, -2
	v_bfi_b32 v6, s7, v3, v6
	v_mov_b32_e32 v8, v7
; %bb.228:
	s_or_b64 exec, exec, s[4:5]
.LBB181_229:
	s_or_b64 exec, exec, s[2:3]
.LBB181_230:
	s_andn2_saveexec_b64 s[2:3], s[16:17]
	s_cbranch_execz .LBB181_232
; %bb.231:
	v_sub_f32_e32 v3, v6, v6
	v_div_scale_f32 v4, vcc, v3, v3, v3
	v_rcp_f32_e32 v6, v4
	s_nop 0
	v_fma_f32 v8, -v4, v6, 1.0
	v_fmac_f32_e32 v6, v8, v6
	v_mul_f32_e32 v8, v4, v6
	v_fma_f32 v9, -v4, v8, v4
	v_fmac_f32_e32 v8, v9, v6
	v_fma_f32 v4, -v4, v8, v4
	v_div_fmas_f32 v4, v4, v6, v8
	v_div_fixup_f32 v6, v4, v3, v3
	v_mov_b32_e32 v8, v7
.LBB181_232:
	s_or_b64 exec, exec, s[2:3]
.LBB181_233:
	s_or_b64 exec, exec, s[14:15]
.LBB181_234:
	s_or_b64 exec, exec, s[12:13]
	v_cmp_gt_f32_e32 vcc, 0, v6
                                        ; implicit-def: $vgpr10_vgpr11
	s_nop 1
	v_cndmask_b32_e64 v4, v6, -v6, vcc
	v_cmp_gt_f32_e32 vcc, 0, v8
	s_nop 1
	v_cndmask_b32_e64 v3, v8, -v8, vcc
	v_cmp_ge_f32_e32 vcc, v3, v4
	s_and_saveexec_b64 s[2:3], vcc
	s_xor_b64 s[4:5], exec, s[2:3]
	s_cbranch_execz .LBB181_240
; %bb.235:
	v_cmp_neq_f32_e32 vcc, 0, v8
	v_cmp_neq_f32_e64 s[2:3], 0, v6
	s_or_b64 s[2:3], vcc, s[2:3]
                                        ; implicit-def: $vgpr10_vgpr11
	s_and_saveexec_b64 s[12:13], s[2:3]
	s_xor_b64 s[2:3], exec, s[12:13]
	s_cbranch_execz .LBB181_237
; %bb.236:
	v_div_scale_f32 v3, s[12:13], v8, v8, v6
	v_rcp_f32_e32 v4, v3
	v_div_scale_f32 v7, vcc, v6, v8, v6
	v_fma_f32 v9, -v3, v4, 1.0
	v_fmac_f32_e32 v4, v9, v4
	v_mul_f32_e32 v9, v7, v4
	v_fma_f32 v10, -v3, v9, v7
	v_fmac_f32_e32 v9, v10, v4
	v_fma_f32 v3, -v3, v9, v7
	v_div_fmas_f32 v3, v3, v4, v9
	v_div_fixup_f32 v3, v3, v8, v6
	v_fmac_f32_e32 v8, v6, v3
	v_div_scale_f32 v4, s[12:13], v8, v8, 1.0
	v_rcp_f32_e32 v6, v4
	s_nop 0
	v_fma_f32 v7, -v4, v6, 1.0
	v_fmac_f32_e32 v6, v7, v6
	v_div_scale_f32 v7, vcc, 1.0, v8, 1.0
	v_mul_f32_e32 v9, v7, v6
	v_fma_f32 v10, -v4, v9, v7
	v_fmac_f32_e32 v9, v10, v6
	v_fma_f32 v4, -v4, v9, v7
	v_div_fmas_f32 v4, v4, v6, v9
	v_mul_f32_e32 v6, 0, v3
	v_div_fixup_f32 v4, v4, v8, 1.0
	v_add_f32_e32 v6, 1.0, v6
	v_sub_f32_e32 v7, 0, v3
	v_pk_mul_f32 v[10:11], v[6:7], v[4:5] op_sel_hi:[1,0]
                                        ; implicit-def: $vgpr4
                                        ; implicit-def: $vgpr3
.LBB181_237:
	s_andn2_saveexec_b64 s[2:3], s[2:3]
	s_cbranch_execz .LBB181_239
; %bb.238:
	v_div_scale_f32 v6, s[12:13], v4, v4, 0
	v_rcp_f32_e32 v7, v6
	v_div_scale_f32 v8, vcc, 0, v4, 0
	v_fma_f32 v9, -v6, v7, 1.0
	v_fmac_f32_e32 v7, v9, v7
	v_mul_f32_e32 v9, v8, v7
	v_fma_f32 v10, -v6, v9, v8
	v_fmac_f32_e32 v9, v10, v7
	v_fma_f32 v6, -v6, v9, v8
	v_div_scale_f32 v8, s[12:13], v3, v3, 1.0
	v_rcp_f32_e32 v10, v8
	v_div_fmas_f32 v6, v6, v7, v9
	v_div_fixup_f32 v11, v6, v4, 0
	v_fma_f32 v4, -v8, v10, 1.0
	v_fmac_f32_e32 v10, v4, v10
	v_div_scale_f32 v4, vcc, 1.0, v3, 1.0
	v_mul_f32_e32 v6, v4, v10
	v_fma_f32 v7, -v8, v6, v4
	v_fmac_f32_e32 v6, v7, v10
	v_fma_f32 v4, -v8, v6, v4
	v_div_fmas_f32 v4, v4, v10, v6
	v_div_fixup_f32 v10, v4, v3, 1.0
.LBB181_239:
	s_or_b64 exec, exec, s[2:3]
                                        ; implicit-def: $vgpr6
                                        ; implicit-def: $vgpr8
.LBB181_240:
	s_andn2_saveexec_b64 s[2:3], s[4:5]
	s_cbranch_execz .LBB181_242
; %bb.241:
	v_div_scale_f32 v3, s[4:5], v6, v6, v8
	v_rcp_f32_e32 v4, v3
	v_div_scale_f32 v7, vcc, v8, v6, v8
	v_fma_f32 v9, -v3, v4, 1.0
	v_fmac_f32_e32 v4, v9, v4
	v_mul_f32_e32 v9, v7, v4
	v_fma_f32 v10, -v3, v9, v7
	v_fmac_f32_e32 v9, v10, v4
	v_fma_f32 v3, -v3, v9, v7
	v_div_fmas_f32 v3, v3, v4, v9
	v_div_fixup_f32 v10, v3, v6, v8
	v_fmac_f32_e32 v6, v8, v10
	v_div_scale_f32 v3, s[4:5], v6, v6, 1.0
	v_rcp_f32_e32 v4, v3
	s_mov_b32 s4, 0
	s_mov_b32 s5, -1.0
	v_mul_f32_e32 v11, 0, v10
	v_fma_f32 v7, -v3, v4, 1.0
	v_fmac_f32_e32 v4, v7, v4
	v_div_scale_f32 v7, vcc, 1.0, v6, 1.0
	v_mul_f32_e32 v8, v7, v4
	v_fma_f32 v9, -v3, v8, v7
	v_fmac_f32_e32 v8, v9, v4
	v_fma_f32 v3, -v3, v8, v7
	v_div_fmas_f32 v3, v3, v4, v8
	v_div_fixup_f32 v4, v3, v6, 1.0
	v_pk_add_f32 v[6:7], v[10:11], s[4:5]
	s_nop 0
	v_pk_mul_f32 v[10:11], v[6:7], v[4:5] op_sel_hi:[1,0]
.LBB181_242:
	s_or_b64 exec, exec, s[2:3]
	v_cvt_f16_f32_e32 v3, v10
	v_cvt_f16_f32_sdwa v4, v11 dst_sel:WORD_1 dst_unused:UNUSED_PAD src0_sel:DWORD
	s_nop 0
	v_or_b32_e32 v10, v4, v3
.LBB181_243:
	s_or_b64 exec, exec, s[10:11]
	s_waitcnt vmcnt(0)
	v_or_b32_e32 v3, 0x200, v0
	v_cmp_gt_i32_e32 vcc, s24, v3
                                        ; implicit-def: $vgpr11
	s_and_saveexec_b64 s[10:11], vcc
	s_cbranch_execz .LBB181_283
; %bb.244:
	v_cvt_f32_f16_sdwa v6, v5 dst_sel:DWORD dst_unused:UNUSED_PAD src0_sel:WORD_1
	v_mov_b32_e32 v4, 0
	v_cmp_neq_f16_e32 vcc, 0, v5
	v_cmp_neq_f16_sdwa s[2:3], v5, v4 src0_sel:WORD_1 src1_sel:DWORD
	s_or_b64 s[2:3], vcc, s[2:3]
	s_and_saveexec_b64 s[12:13], s[2:3]
	s_cbranch_execz .LBB181_274
; %bb.245:
	v_cvt_f32_f16_e32 v7, v5
	v_mov_b32_e32 v4, 0x7f800000
	v_cmp_neq_f32_e64 s[2:3], |v6|, v4
	s_and_saveexec_b64 s[14:15], s[2:3]
	s_cbranch_execz .LBB181_273
; %bb.246:
	v_cmp_o_f16_e32 vcc, v5, v5
                                        ; implicit-def: $vgpr4
	s_and_saveexec_b64 s[2:3], vcc
	s_xor_b64 s[16:17], exec, s[2:3]
	s_cbranch_execz .LBB181_270
; %bb.247:
	s_mov_b32 s2, 0x7f800000
	v_cmp_neq_f32_e64 s[2:3], |v7|, s2
                                        ; implicit-def: $vgpr4
	s_and_saveexec_b64 s[4:5], s[2:3]
	s_xor_b64 s[18:19], exec, s[4:5]
	s_cbranch_execz .LBB181_263
; %bb.248:
	v_max_f32_e64 v3, |v6|, |v6|
	v_max_f32_e64 v4, |v7|, |v7|
	v_max_f32_e32 v3, v4, v3
	s_mov_b32 s2, 0x7ed413cb
	v_cmp_nle_f32_e64 s[2:3], s2, v3
                                        ; implicit-def: $sgpr20_sgpr21
	s_and_saveexec_b64 s[4:5], s[2:3]
	s_xor_b64 s[4:5], exec, s[4:5]
	s_cbranch_execz .LBB181_252
; %bb.249:
	s_mov_b32 s7, 0x1000000
	v_cmp_le_f32_e64 s[20:21], |v7|, s7
	v_cmp_le_f32_e64 s[22:23], |v6|, s7
	s_and_b64 s[26:27], s[20:21], s[22:23]
	s_mov_b64 s[20:21], 0
	s_and_saveexec_b64 s[22:23], s[26:27]
; %bb.250:
	s_mov_b64 s[20:21], exec
	v_pk_mul_f32 v[6:7], v[6:7], 4.0 op_sel_hi:[1,0]
; %bb.251:
	s_or_b64 exec, exec, s[22:23]
.LBB181_252:
	s_andn2_saveexec_b64 s[4:5], s[4:5]
; %bb.253:
	s_mov_b32 s22, 0x3e800000
	v_pk_mul_f32 v[6:7], v[6:7], s[22:23] op_sel_hi:[1,0]
	s_andn2_b64 s[20:21], s[20:21], exec
; %bb.254:
	s_or_b64 exec, exec, s[4:5]
	v_max_f32_e64 v3, |v6|, |v6|
	v_max_f32_e64 v4, |v7|, |v7|
	v_max_f32_e32 v3, v4, v3
	v_cvt_f64_f32_e32 v[4:5], v3
	v_frexp_exp_i32_f64_e32 v4, v[4:5]
	v_sub_u32_e32 v5, 0, v4
	v_ldexp_f32 v8, |v7|, v5
	v_ldexp_f32 v5, |v6|, v5
	v_mul_f32_e32 v5, v5, v5
	v_fmac_f32_e32 v5, v8, v8
	v_sqrt_f32_e32 v5, v5
	s_mov_b32 s4, 0x7f800000
	v_cmp_neq_f32_e64 s[4:5], s4, v3
	v_cmp_le_f32_e32 vcc, 0, v7
	v_ldexp_f32 v4, v5, v4
	v_mov_b32_e32 v5, 0x7f800000
	v_cndmask_b32_e64 v3, v5, v4, s[4:5]
                                        ; implicit-def: $vgpr8_vgpr9
	s_and_saveexec_b64 s[4:5], vcc
	s_xor_b64 s[22:23], exec, s[4:5]
	s_cbranch_execz .LBB181_256
; %bb.255:
	v_add_f32_e32 v3, v7, v3
	v_mul_f32_e32 v3, 0.5, v3
	s_mov_b32 s4, 0xf800000
	v_mul_f32_e32 v4, 0x4f800000, v3
	v_cmp_gt_f32_e32 vcc, s4, v3
	s_nop 1
	v_cndmask_b32_e32 v3, v3, v4, vcc
	v_sqrt_f32_e32 v4, v3
	s_nop 0
	v_add_u32_e32 v5, -1, v4
	v_fma_f32 v7, -v5, v4, v3
	v_cmp_ge_f32_e64 s[4:5], 0, v7
	v_add_u32_e32 v7, 1, v4
	s_nop 0
	v_cndmask_b32_e64 v5, v4, v5, s[4:5]
	v_fma_f32 v4, -v7, v4, v3
	v_cmp_lt_f32_e64 s[4:5], 0, v4
	s_nop 1
	v_cndmask_b32_e64 v4, v5, v7, s[4:5]
	v_mul_f32_e32 v5, 0x37800000, v4
	v_cndmask_b32_e32 v4, v4, v5, vcc
	v_mov_b32_e32 v5, 0x260
	v_cmp_class_f32_e32 vcc, v3, v5
	s_nop 1
	v_cndmask_b32_e32 v8, v4, v3, vcc
	v_add_f32_e32 v3, v8, v8
	v_div_scale_f32 v4, s[4:5], v3, v3, v6
	v_rcp_f32_e32 v5, v4
	s_nop 0
	v_fma_f32 v7, -v4, v5, 1.0
	v_fmac_f32_e32 v5, v7, v5
	v_div_scale_f32 v7, vcc, v6, v3, v6
	v_mul_f32_e32 v9, v7, v5
	v_fma_f32 v11, -v4, v9, v7
	v_fmac_f32_e32 v9, v11, v5
	v_fma_f32 v4, -v4, v9, v7
	v_div_fmas_f32 v4, v4, v5, v9
	v_div_fixup_f32 v9, v4, v3, v6
                                        ; implicit-def: $vgpr3
                                        ; implicit-def: $vgpr6_vgpr7
	s_andn2_saveexec_b64 s[22:23], s[22:23]
	s_cbranch_execz .LBB181_258
	s_branch .LBB181_257
.LBB181_256:
	s_andn2_saveexec_b64 s[22:23], s[22:23]
	s_cbranch_execz .LBB181_258
.LBB181_257:
	v_sub_f32_e32 v3, v3, v7
	v_mul_f32_e32 v3, 0.5, v3
	s_mov_b32 s4, 0xf800000
	v_mul_f32_e32 v4, 0x4f800000, v3
	v_cmp_gt_f32_e32 vcc, s4, v3
	s_nop 1
	v_cndmask_b32_e32 v3, v3, v4, vcc
	v_sqrt_f32_e32 v4, v3
	s_nop 0
	v_add_u32_e32 v5, -1, v4
	v_fma_f32 v7, -v5, v4, v3
	v_cmp_ge_f32_e64 s[4:5], 0, v7
	v_add_u32_e32 v7, 1, v4
	s_nop 0
	v_cndmask_b32_e64 v5, v4, v5, s[4:5]
	v_fma_f32 v4, -v7, v4, v3
	v_cmp_lt_f32_e64 s[4:5], 0, v4
	s_nop 1
	v_cndmask_b32_e64 v4, v5, v7, s[4:5]
	v_mul_f32_e32 v5, 0x37800000, v4
	v_cndmask_b32_e32 v4, v4, v5, vcc
	v_mov_b32_e32 v5, 0x260
	v_cmp_class_f32_e32 vcc, v3, v5
	v_and_b32_e32 v5, 0x7fffffff, v6
	s_nop 0
	v_cndmask_b32_e32 v3, v4, v3, vcc
	v_add_f32_e32 v4, v3, v3
	v_div_scale_f32 v7, s[4:5], v4, v4, v5
	v_rcp_f32_e32 v8, v7
	v_div_scale_f32 v5, vcc, v5, v4, v5
	s_brev_b32 s4, -2
	v_fma_f32 v9, -v7, v8, 1.0
	v_fmac_f32_e32 v8, v9, v8
	v_mul_f32_e32 v9, v5, v8
	v_fma_f32 v11, -v7, v9, v5
	v_fmac_f32_e32 v9, v11, v8
	v_fma_f32 v5, -v7, v9, v5
	v_div_fmas_f32 v5, v5, v8, v9
	v_div_fixup_f32 v8, v5, v4, |v6|
	v_bfi_b32 v9, s4, v3, v6
.LBB181_258:
	s_or_b64 exec, exec, s[22:23]
                                        ; implicit-def: $vgpr6
                                        ; implicit-def: $vgpr4
	s_and_saveexec_b64 s[4:5], s[2:3]
	s_xor_b64 s[2:3], exec, s[4:5]
	s_cbranch_execz .LBB181_260
; %bb.259:
	v_pk_mul_f32 v[4:5], v[8:9], 0.5 op_sel_hi:[1,0]
	s_nop 0
	v_cndmask_b32_e64 v4, v8, v4, s[20:21]
	v_cndmask_b32_e64 v6, v9, v5, s[20:21]
                                        ; implicit-def: $vgpr8_vgpr9
	s_andn2_saveexec_b64 s[2:3], s[2:3]
	s_cbranch_execnz .LBB181_261
	s_branch .LBB181_262
.LBB181_260:
	s_andn2_saveexec_b64 s[2:3], s[2:3]
.LBB181_261:
	v_pk_add_f32 v[4:5], v[8:9], v[8:9]
	s_nop 0
	v_mov_b32_e32 v6, v5
.LBB181_262:
	s_or_b64 exec, exec, s[2:3]
                                        ; implicit-def: $vgpr5
.LBB181_263:
	s_andn2_saveexec_b64 s[2:3], s[18:19]
	s_cbranch_execz .LBB181_269
; %bb.264:
	v_and_b32_e32 v3, 0x8000, v5
	v_cmp_ne_u32_e32 vcc, 0, v3
	v_sub_f32_e32 v3, v6, v6
                                        ; implicit-def: $vgpr4
	s_and_saveexec_b64 s[4:5], vcc
	s_xor_b64 s[4:5], exec, s[4:5]
; %bb.265:
	s_brev_b32 s7, -2
	v_and_b32_e32 v4, 0x7fffffff, v3
	v_bfi_b32 v6, s7, v7, v6
                                        ; implicit-def: $vgpr3
; %bb.266:
	s_andn2_saveexec_b64 s[4:5], s[4:5]
; %bb.267:
	s_brev_b32 s7, -2
	v_bfi_b32 v6, s7, v3, v6
	v_mov_b32_e32 v4, v7
; %bb.268:
	s_or_b64 exec, exec, s[4:5]
.LBB181_269:
	s_or_b64 exec, exec, s[2:3]
.LBB181_270:
	s_andn2_saveexec_b64 s[2:3], s[16:17]
	s_cbranch_execz .LBB181_272
; %bb.271:
	v_sub_f32_e32 v3, v6, v6
	v_div_scale_f32 v4, vcc, v3, v3, v3
	v_rcp_f32_e32 v5, v4
	s_nop 0
	v_fma_f32 v6, -v4, v5, 1.0
	v_fmac_f32_e32 v5, v6, v5
	v_mul_f32_e32 v6, v4, v5
	v_fma_f32 v8, -v4, v6, v4
	v_fmac_f32_e32 v6, v8, v5
	v_fma_f32 v4, -v4, v6, v4
	v_div_fmas_f32 v4, v4, v5, v6
	v_div_fixup_f32 v6, v4, v3, v3
	v_mov_b32_e32 v4, v7
.LBB181_272:
	s_or_b64 exec, exec, s[2:3]
.LBB181_273:
	s_or_b64 exec, exec, s[14:15]
.LBB181_274:
	s_or_b64 exec, exec, s[12:13]
	v_cmp_gt_f32_e32 vcc, 0, v6
                                        ; implicit-def: $vgpr8_vgpr9
	s_nop 1
	v_cndmask_b32_e64 v5, v6, -v6, vcc
	v_cmp_gt_f32_e32 vcc, 0, v4
	s_nop 1
	v_cndmask_b32_e64 v3, v4, -v4, vcc
	v_cmp_ge_f32_e32 vcc, v3, v5
	s_and_saveexec_b64 s[2:3], vcc
	s_xor_b64 s[4:5], exec, s[2:3]
	s_cbranch_execz .LBB181_280
; %bb.275:
	v_cmp_neq_f32_e32 vcc, 0, v4
	v_cmp_neq_f32_e64 s[2:3], 0, v6
	s_or_b64 s[2:3], vcc, s[2:3]
                                        ; implicit-def: $vgpr8_vgpr9
	s_and_saveexec_b64 s[12:13], s[2:3]
	s_xor_b64 s[2:3], exec, s[12:13]
	s_cbranch_execz .LBB181_277
; %bb.276:
	v_div_scale_f32 v3, s[12:13], v4, v4, v6
	v_rcp_f32_e32 v5, v3
	v_div_scale_f32 v7, vcc, v6, v4, v6
	v_fma_f32 v8, -v3, v5, 1.0
	v_fmac_f32_e32 v5, v8, v5
	v_mul_f32_e32 v8, v7, v5
	v_fma_f32 v9, -v3, v8, v7
	v_fmac_f32_e32 v8, v9, v5
	v_fma_f32 v3, -v3, v8, v7
	v_div_fmas_f32 v3, v3, v5, v8
	v_div_fixup_f32 v3, v3, v4, v6
	v_fmac_f32_e32 v4, v6, v3
	v_div_scale_f32 v5, s[12:13], v4, v4, 1.0
	v_rcp_f32_e32 v6, v5
	s_nop 0
	v_fma_f32 v7, -v5, v6, 1.0
	v_fmac_f32_e32 v6, v7, v6
	v_div_scale_f32 v7, vcc, 1.0, v4, 1.0
	v_mul_f32_e32 v8, v7, v6
	v_fma_f32 v9, -v5, v8, v7
	v_fmac_f32_e32 v8, v9, v6
	v_fma_f32 v5, -v5, v8, v7
	v_div_fmas_f32 v5, v5, v6, v8
	v_div_fixup_f32 v4, v5, v4, 1.0
	v_mul_f32_e32 v5, 0, v3
	v_add_f32_e32 v6, 1.0, v5
	v_sub_f32_e32 v7, 0, v3
	v_pk_mul_f32 v[8:9], v[6:7], v[4:5] op_sel_hi:[1,0]
                                        ; implicit-def: $vgpr5
                                        ; implicit-def: $vgpr3
.LBB181_277:
	s_andn2_saveexec_b64 s[2:3], s[2:3]
	s_cbranch_execz .LBB181_279
; %bb.278:
	v_div_scale_f32 v4, s[12:13], v5, v5, 0
	v_rcp_f32_e32 v6, v4
	v_div_scale_f32 v7, vcc, 0, v5, 0
	v_fma_f32 v8, -v4, v6, 1.0
	v_fmac_f32_e32 v6, v8, v6
	v_mul_f32_e32 v8, v7, v6
	v_fma_f32 v9, -v4, v8, v7
	v_fmac_f32_e32 v8, v9, v6
	v_fma_f32 v4, -v4, v8, v7
	v_div_scale_f32 v7, s[12:13], v3, v3, 1.0
	v_rcp_f32_e32 v11, v7
	v_div_fmas_f32 v4, v4, v6, v8
	v_div_fixup_f32 v9, v4, v5, 0
	v_fma_f32 v4, -v7, v11, 1.0
	v_fmac_f32_e32 v11, v4, v11
	v_div_scale_f32 v4, vcc, 1.0, v3, 1.0
	v_mul_f32_e32 v5, v4, v11
	v_fma_f32 v6, -v7, v5, v4
	v_fmac_f32_e32 v5, v6, v11
	v_fma_f32 v4, -v7, v5, v4
	v_div_fmas_f32 v4, v4, v11, v5
	v_div_fixup_f32 v8, v4, v3, 1.0
.LBB181_279:
	s_or_b64 exec, exec, s[2:3]
                                        ; implicit-def: $vgpr6
                                        ; implicit-def: $vgpr4
.LBB181_280:
	s_andn2_saveexec_b64 s[2:3], s[4:5]
	s_cbranch_execz .LBB181_282
; %bb.281:
	v_div_scale_f32 v3, s[4:5], v6, v6, v4
	v_rcp_f32_e32 v5, v3
	v_div_scale_f32 v7, vcc, v4, v6, v4
	v_fma_f32 v8, -v3, v5, 1.0
	v_fmac_f32_e32 v5, v8, v5
	v_mul_f32_e32 v8, v7, v5
	v_fma_f32 v9, -v3, v8, v7
	v_fmac_f32_e32 v8, v9, v5
	v_fma_f32 v3, -v3, v8, v7
	v_div_fmas_f32 v3, v3, v5, v8
	v_div_fixup_f32 v8, v3, v6, v4
	v_fmac_f32_e32 v6, v4, v8
	v_div_scale_f32 v3, s[4:5], v6, v6, 1.0
	v_rcp_f32_e32 v4, v3
	s_mov_b32 s4, 0
	s_mov_b32 s5, -1.0
	v_fma_f32 v5, -v3, v4, 1.0
	v_fmac_f32_e32 v4, v5, v4
	v_div_scale_f32 v5, vcc, 1.0, v6, 1.0
	v_mul_f32_e32 v7, v5, v4
	v_fma_f32 v9, -v3, v7, v5
	v_fmac_f32_e32 v7, v9, v4
	v_fma_f32 v3, -v3, v7, v5
	v_div_fmas_f32 v3, v3, v4, v7
	v_mul_f32_e32 v9, 0, v8
	v_div_fixup_f32 v4, v3, v6, 1.0
	v_pk_add_f32 v[6:7], v[8:9], s[4:5]
	s_nop 0
	v_pk_mul_f32 v[8:9], v[6:7], v[4:5] op_sel_hi:[1,0]
.LBB181_282:
	s_or_b64 exec, exec, s[2:3]
	v_cvt_f16_f32_e32 v3, v8
	v_cvt_f16_f32_sdwa v4, v9 dst_sel:WORD_1 dst_unused:UNUSED_PAD src0_sel:DWORD
	s_nop 0
	v_or_b32_e32 v11, v4, v3
.LBB181_283:
	s_or_b64 exec, exec, s[10:11]
	v_or_b32_e32 v3, 0x300, v0
	v_cmp_gt_i32_e32 vcc, s24, v3
                                        ; implicit-def: $vgpr4
	s_and_saveexec_b64 s[10:11], vcc
	s_cbranch_execz .LBB181_296
; %bb.284:
	v_cvt_f32_f16_sdwa v4, v1 dst_sel:DWORD dst_unused:UNUSED_PAD src0_sel:WORD_1
	v_mov_b32_e32 v6, 0
	v_cmp_neq_f16_e32 vcc, 0, v1
	v_cmp_neq_f16_sdwa s[2:3], v1, v6 src0_sel:WORD_1 src1_sel:DWORD
	s_or_b64 s[2:3], vcc, s[2:3]
	s_and_saveexec_b64 s[12:13], s[2:3]
	s_cbranch_execz .LBB181_318
; %bb.285:
	v_cvt_f32_f16_e32 v5, v1
	v_mov_b32_e32 v6, 0x7f800000
	v_cmp_neq_f32_e64 s[2:3], |v4|, v6
	s_and_saveexec_b64 s[14:15], s[2:3]
	s_cbranch_execz .LBB181_317
; %bb.286:
	v_cmp_o_f16_e32 vcc, v1, v1
                                        ; implicit-def: $vgpr6
	s_and_saveexec_b64 s[2:3], vcc
	s_xor_b64 s[16:17], exec, s[2:3]
	s_cbranch_execz .LBB181_314
; %bb.287:
	s_mov_b32 s2, 0x7f800000
	v_cmp_neq_f32_e64 s[2:3], |v5|, s2
                                        ; implicit-def: $vgpr6
	s_and_saveexec_b64 s[4:5], s[2:3]
	s_xor_b64 s[18:19], exec, s[4:5]
	s_cbranch_execz .LBB181_307
; %bb.288:
	v_max_f32_e64 v1, |v4|, |v4|
	v_max_f32_e64 v3, |v5|, |v5|
	v_max_f32_e32 v1, v3, v1
	s_mov_b32 s2, 0x7ed413cb
	v_cmp_nle_f32_e64 s[2:3], s2, v1
                                        ; implicit-def: $sgpr20_sgpr21
	s_and_saveexec_b64 s[4:5], s[2:3]
	s_xor_b64 s[4:5], exec, s[4:5]
	s_cbranch_execz .LBB181_292
; %bb.289:
	s_mov_b32 s7, 0x1000000
	v_cmp_le_f32_e64 s[20:21], |v5|, s7
	v_cmp_le_f32_e64 s[22:23], |v4|, s7
	s_and_b64 s[26:27], s[20:21], s[22:23]
	s_mov_b64 s[20:21], 0
	s_and_saveexec_b64 s[22:23], s[26:27]
; %bb.290:
	s_mov_b64 s[20:21], exec
	v_pk_mul_f32 v[4:5], v[4:5], 4.0 op_sel_hi:[1,0]
; %bb.291:
	s_or_b64 exec, exec, s[22:23]
.LBB181_292:
	s_andn2_saveexec_b64 s[4:5], s[4:5]
; %bb.293:
	s_mov_b32 s22, 0x3e800000
	v_pk_mul_f32 v[4:5], v[4:5], s[22:23] op_sel_hi:[1,0]
	s_andn2_b64 s[20:21], s[20:21], exec
; %bb.294:
	s_or_b64 exec, exec, s[4:5]
	v_max_f32_e64 v1, |v4|, |v4|
	v_max_f32_e64 v3, |v5|, |v5|
	v_max_f32_e32 v1, v3, v1
	v_cvt_f64_f32_e32 v[6:7], v1
	v_frexp_exp_i32_f64_e32 v3, v[6:7]
	v_sub_u32_e32 v6, 0, v3
	v_ldexp_f32 v7, |v5|, v6
	v_ldexp_f32 v6, |v4|, v6
	v_mul_f32_e32 v6, v6, v6
	v_fmac_f32_e32 v6, v7, v7
	v_sqrt_f32_e32 v6, v6
	s_mov_b32 s4, 0x7f800000
	v_cmp_neq_f32_e64 s[4:5], s4, v1
	v_cmp_le_f32_e32 vcc, 0, v5
	v_ldexp_f32 v3, v6, v3
	v_mov_b32_e32 v6, 0x7f800000
	v_cndmask_b32_e64 v1, v6, v3, s[4:5]
                                        ; implicit-def: $vgpr8_vgpr9
	s_and_saveexec_b64 s[4:5], vcc
	s_xor_b64 s[22:23], exec, s[4:5]
	s_cbranch_execz .LBB181_300
; %bb.295:
	v_add_f32_e32 v1, v5, v1
	v_mul_f32_e32 v1, 0.5, v1
	s_mov_b32 s4, 0xf800000
	v_mul_f32_e32 v3, 0x4f800000, v1
	v_cmp_gt_f32_e32 vcc, s4, v1
	s_nop 1
	v_cndmask_b32_e32 v1, v1, v3, vcc
	v_sqrt_f32_e32 v3, v1
	s_nop 0
	v_add_u32_e32 v5, -1, v3
	v_fma_f32 v6, -v5, v3, v1
	v_cmp_ge_f32_e64 s[4:5], 0, v6
	v_add_u32_e32 v6, 1, v3
	s_nop 0
	v_cndmask_b32_e64 v5, v3, v5, s[4:5]
	v_fma_f32 v3, -v6, v3, v1
	v_cmp_lt_f32_e64 s[4:5], 0, v3
	s_nop 1
	v_cndmask_b32_e64 v3, v5, v6, s[4:5]
	v_mul_f32_e32 v5, 0x37800000, v3
	v_cndmask_b32_e32 v3, v3, v5, vcc
	v_mov_b32_e32 v5, 0x260
	v_cmp_class_f32_e32 vcc, v1, v5
	s_nop 1
	v_cndmask_b32_e32 v8, v3, v1, vcc
	v_add_f32_e32 v1, v8, v8
	v_div_scale_f32 v3, s[4:5], v1, v1, v4
	v_rcp_f32_e32 v5, v3
	s_nop 0
	v_fma_f32 v6, -v3, v5, 1.0
	v_fmac_f32_e32 v5, v6, v5
	v_div_scale_f32 v6, vcc, v4, v1, v4
	v_mul_f32_e32 v7, v6, v5
	v_fma_f32 v9, -v3, v7, v6
	v_fmac_f32_e32 v7, v9, v5
	v_fma_f32 v3, -v3, v7, v6
	v_div_fmas_f32 v3, v3, v5, v7
	v_div_fixup_f32 v9, v3, v1, v4
                                        ; implicit-def: $vgpr1
                                        ; implicit-def: $vgpr4_vgpr5
	s_andn2_saveexec_b64 s[22:23], s[22:23]
	s_cbranch_execz .LBB181_302
	s_branch .LBB181_301
.LBB181_296:
	s_or_b64 exec, exec, s[10:11]
	s_and_saveexec_b64 s[2:3], s[0:1]
	s_xor_b64 s[0:1], exec, s[2:3]
	s_cbranch_execz .LBB181_327
.LBB181_297:
	v_mov_b32_e32 v3, 0
	v_lshl_add_u64 v[0:1], v[2:3], 2, s[8:9]
	global_store_dword v[0:1], v12, off
	v_mov_b32_e32 v0, v13
	s_or_b64 exec, exec, s[0:1]
	v_cmp_gt_i32_e32 vcc, s24, v0
	s_and_saveexec_b64 s[0:1], vcc
	s_cbranch_execnz .LBB181_328
.LBB181_298:
	s_or_b64 exec, exec, s[0:1]
	v_cmp_gt_i32_e32 vcc, s24, v0
	s_and_saveexec_b64 s[0:1], vcc
	s_cbranch_execz .LBB181_329
.LBB181_299:
	v_add_u32_e32 v2, s6, v0
	v_mov_b32_e32 v3, 0
	v_lshl_add_u64 v[2:3], v[2:3], 2, s[8:9]
	v_add_u32_e32 v0, 0x100, v0
	global_store_dword v[2:3], v11, off
	s_or_b64 exec, exec, s[0:1]
	v_cmp_gt_i32_e32 vcc, s24, v0
	s_and_saveexec_b64 s[0:1], vcc
	s_cbranch_execnz .LBB181_330
	s_branch .LBB181_331
.LBB181_300:
	s_andn2_saveexec_b64 s[22:23], s[22:23]
	s_cbranch_execz .LBB181_302
.LBB181_301:
	v_sub_f32_e32 v1, v1, v5
	v_mul_f32_e32 v1, 0.5, v1
	s_mov_b32 s4, 0xf800000
	v_mul_f32_e32 v3, 0x4f800000, v1
	v_cmp_gt_f32_e32 vcc, s4, v1
	s_nop 1
	v_cndmask_b32_e32 v1, v1, v3, vcc
	v_sqrt_f32_e32 v3, v1
	s_nop 0
	v_add_u32_e32 v5, -1, v3
	v_fma_f32 v6, -v5, v3, v1
	v_cmp_ge_f32_e64 s[4:5], 0, v6
	v_add_u32_e32 v6, 1, v3
	s_nop 0
	v_cndmask_b32_e64 v5, v3, v5, s[4:5]
	v_fma_f32 v3, -v6, v3, v1
	v_cmp_lt_f32_e64 s[4:5], 0, v3
	s_nop 1
	v_cndmask_b32_e64 v3, v5, v6, s[4:5]
	v_mul_f32_e32 v5, 0x37800000, v3
	v_cndmask_b32_e32 v3, v3, v5, vcc
	v_mov_b32_e32 v5, 0x260
	v_cmp_class_f32_e32 vcc, v1, v5
	v_and_b32_e32 v5, 0x7fffffff, v4
	s_nop 0
	v_cndmask_b32_e32 v1, v3, v1, vcc
	v_add_f32_e32 v3, v1, v1
	v_div_scale_f32 v6, s[4:5], v3, v3, v5
	v_rcp_f32_e32 v7, v6
	v_div_scale_f32 v5, vcc, v5, v3, v5
	s_brev_b32 s4, -2
	v_fma_f32 v8, -v6, v7, 1.0
	v_fmac_f32_e32 v7, v8, v7
	v_mul_f32_e32 v8, v5, v7
	v_fma_f32 v9, -v6, v8, v5
	v_fmac_f32_e32 v8, v9, v7
	v_fma_f32 v5, -v6, v8, v5
	v_div_fmas_f32 v5, v5, v7, v8
	v_div_fixup_f32 v8, v5, v3, |v4|
	v_bfi_b32 v9, s4, v1, v4
.LBB181_302:
	s_or_b64 exec, exec, s[22:23]
                                        ; implicit-def: $vgpr4
                                        ; implicit-def: $vgpr6
	s_and_saveexec_b64 s[4:5], s[2:3]
	s_xor_b64 s[2:3], exec, s[4:5]
	s_cbranch_execz .LBB181_304
; %bb.303:
	v_pk_mul_f32 v[4:5], v[8:9], 0.5 op_sel_hi:[1,0]
	s_nop 0
	v_cndmask_b32_e64 v6, v8, v4, s[20:21]
	v_cndmask_b32_e64 v4, v9, v5, s[20:21]
                                        ; implicit-def: $vgpr8_vgpr9
	s_andn2_saveexec_b64 s[2:3], s[2:3]
	s_cbranch_execnz .LBB181_305
	s_branch .LBB181_306
.LBB181_304:
	s_andn2_saveexec_b64 s[2:3], s[2:3]
.LBB181_305:
	v_pk_add_f32 v[6:7], v[8:9], v[8:9]
	s_nop 0
	v_mov_b32_e32 v4, v7
.LBB181_306:
	s_or_b64 exec, exec, s[2:3]
                                        ; implicit-def: $vgpr1
.LBB181_307:
	s_andn2_saveexec_b64 s[2:3], s[18:19]
	s_cbranch_execz .LBB181_313
; %bb.308:
	v_and_b32_e32 v1, 0x8000, v1
	v_cmp_ne_u32_e32 vcc, 0, v1
	v_sub_f32_e32 v1, v4, v4
                                        ; implicit-def: $vgpr6
	s_and_saveexec_b64 s[4:5], vcc
	s_xor_b64 s[4:5], exec, s[4:5]
; %bb.309:
	s_brev_b32 s7, -2
	v_and_b32_e32 v6, 0x7fffffff, v1
	v_bfi_b32 v4, s7, v5, v4
                                        ; implicit-def: $vgpr1
; %bb.310:
	s_andn2_saveexec_b64 s[4:5], s[4:5]
; %bb.311:
	s_brev_b32 s7, -2
	v_bfi_b32 v4, s7, v1, v4
	v_mov_b32_e32 v6, v5
; %bb.312:
	s_or_b64 exec, exec, s[4:5]
.LBB181_313:
	s_or_b64 exec, exec, s[2:3]
.LBB181_314:
	s_andn2_saveexec_b64 s[2:3], s[16:17]
	s_cbranch_execz .LBB181_316
; %bb.315:
	v_sub_f32_e32 v1, v4, v4
	v_div_scale_f32 v3, vcc, v1, v1, v1
	v_rcp_f32_e32 v4, v3
	s_nop 0
	v_fma_f32 v6, -v3, v4, 1.0
	v_fmac_f32_e32 v4, v6, v4
	v_mul_f32_e32 v6, v3, v4
	v_fma_f32 v7, -v3, v6, v3
	v_fmac_f32_e32 v6, v7, v4
	v_fma_f32 v3, -v3, v6, v3
	v_div_fmas_f32 v3, v3, v4, v6
	v_div_fixup_f32 v4, v3, v1, v1
	v_mov_b32_e32 v6, v5
.LBB181_316:
	s_or_b64 exec, exec, s[2:3]
.LBB181_317:
	s_or_b64 exec, exec, s[14:15]
.LBB181_318:
	s_or_b64 exec, exec, s[12:13]
	v_cmp_gt_f32_e32 vcc, 0, v4
                                        ; implicit-def: $vgpr8_vgpr9
	s_nop 1
	v_cndmask_b32_e64 v3, v4, -v4, vcc
	v_cmp_gt_f32_e32 vcc, 0, v6
	s_nop 1
	v_cndmask_b32_e64 v1, v6, -v6, vcc
	v_cmp_ge_f32_e32 vcc, v1, v3
	s_and_saveexec_b64 s[2:3], vcc
	s_xor_b64 s[4:5], exec, s[2:3]
	s_cbranch_execz .LBB181_324
; %bb.319:
	v_cmp_neq_f32_e32 vcc, 0, v6
	v_cmp_neq_f32_e64 s[2:3], 0, v4
	s_or_b64 s[2:3], vcc, s[2:3]
                                        ; implicit-def: $vgpr8_vgpr9
	s_and_saveexec_b64 s[12:13], s[2:3]
	s_xor_b64 s[2:3], exec, s[12:13]
	s_cbranch_execz .LBB181_321
; %bb.320:
	v_div_scale_f32 v1, s[12:13], v6, v6, v4
	v_rcp_f32_e32 v3, v1
	v_div_scale_f32 v5, vcc, v4, v6, v4
	v_fma_f32 v7, -v1, v3, 1.0
	v_fmac_f32_e32 v3, v7, v3
	v_mul_f32_e32 v7, v5, v3
	v_fma_f32 v8, -v1, v7, v5
	v_fmac_f32_e32 v7, v8, v3
	v_fma_f32 v1, -v1, v7, v5
	v_div_fmas_f32 v1, v1, v3, v7
	v_div_fixup_f32 v1, v1, v6, v4
	v_fmac_f32_e32 v6, v4, v1
	v_div_scale_f32 v3, s[12:13], v6, v6, 1.0
	v_rcp_f32_e32 v4, v3
	s_nop 0
	v_fma_f32 v5, -v3, v4, 1.0
	v_fmac_f32_e32 v4, v5, v4
	v_div_scale_f32 v5, vcc, 1.0, v6, 1.0
	v_mul_f32_e32 v7, v5, v4
	v_fma_f32 v8, -v3, v7, v5
	v_fmac_f32_e32 v7, v8, v4
	v_fma_f32 v3, -v3, v7, v5
	v_div_fmas_f32 v3, v3, v4, v7
	v_div_fixup_f32 v4, v3, v6, 1.0
	v_mul_f32_e32 v3, 0, v1
	v_add_f32_e32 v6, 1.0, v3
	v_sub_f32_e32 v7, 0, v1
	v_pk_mul_f32 v[8:9], v[6:7], v[4:5] op_sel_hi:[1,0]
                                        ; implicit-def: $vgpr3
                                        ; implicit-def: $vgpr1
.LBB181_321:
	s_andn2_saveexec_b64 s[2:3], s[2:3]
	s_cbranch_execz .LBB181_323
; %bb.322:
	v_div_scale_f32 v4, s[12:13], v3, v3, 0
	v_rcp_f32_e32 v5, v4
	v_div_scale_f32 v6, vcc, 0, v3, 0
	v_fma_f32 v7, -v4, v5, 1.0
	v_fmac_f32_e32 v5, v7, v5
	v_mul_f32_e32 v7, v6, v5
	v_fma_f32 v8, -v4, v7, v6
	v_fmac_f32_e32 v7, v8, v5
	v_fma_f32 v4, -v4, v7, v6
	v_div_scale_f32 v6, s[12:13], v1, v1, 1.0
	v_rcp_f32_e32 v8, v6
	v_div_fmas_f32 v4, v4, v5, v7
	v_div_fixup_f32 v9, v4, v3, 0
	v_fma_f32 v3, -v6, v8, 1.0
	v_fmac_f32_e32 v8, v3, v8
	v_div_scale_f32 v3, vcc, 1.0, v1, 1.0
	v_mul_f32_e32 v4, v3, v8
	v_fma_f32 v5, -v6, v4, v3
	v_fmac_f32_e32 v4, v5, v8
	v_fma_f32 v3, -v6, v4, v3
	v_div_fmas_f32 v3, v3, v8, v4
	v_div_fixup_f32 v8, v3, v1, 1.0
.LBB181_323:
	s_or_b64 exec, exec, s[2:3]
                                        ; implicit-def: $vgpr4
                                        ; implicit-def: $vgpr6
.LBB181_324:
	s_andn2_saveexec_b64 s[2:3], s[4:5]
	s_cbranch_execz .LBB181_326
; %bb.325:
	v_div_scale_f32 v1, s[4:5], v4, v4, v6
	v_rcp_f32_e32 v3, v1
	v_div_scale_f32 v5, vcc, v6, v4, v6
	v_fma_f32 v7, -v1, v3, 1.0
	v_fmac_f32_e32 v3, v7, v3
	v_mul_f32_e32 v7, v5, v3
	v_fma_f32 v8, -v1, v7, v5
	v_fmac_f32_e32 v7, v8, v3
	v_fma_f32 v1, -v1, v7, v5
	v_div_fmas_f32 v1, v1, v3, v7
	v_div_fixup_f32 v8, v1, v4, v6
	v_fmac_f32_e32 v4, v6, v8
	v_div_scale_f32 v1, s[4:5], v4, v4, 1.0
	v_rcp_f32_e32 v3, v1
	s_mov_b32 s4, 0
	s_mov_b32 s5, -1.0
	v_mul_f32_e32 v9, 0, v8
	v_fma_f32 v5, -v1, v3, 1.0
	v_fmac_f32_e32 v3, v5, v3
	v_div_scale_f32 v5, vcc, 1.0, v4, 1.0
	v_mul_f32_e32 v6, v5, v3
	v_fma_f32 v7, -v1, v6, v5
	v_fmac_f32_e32 v6, v7, v3
	v_fma_f32 v1, -v1, v6, v5
	v_div_fmas_f32 v1, v1, v3, v6
	v_div_fixup_f32 v4, v1, v4, 1.0
	v_pk_add_f32 v[6:7], v[8:9], s[4:5]
	s_nop 0
	v_pk_mul_f32 v[8:9], v[6:7], v[4:5] op_sel_hi:[1,0]
.LBB181_326:
	s_or_b64 exec, exec, s[2:3]
	v_cvt_f16_f32_e32 v1, v8
	v_cvt_f16_f32_sdwa v3, v9 dst_sel:WORD_1 dst_unused:UNUSED_PAD src0_sel:DWORD
	s_nop 0
	v_or_b32_e32 v4, v3, v1
	s_or_b64 exec, exec, s[10:11]
	s_and_saveexec_b64 s[2:3], s[0:1]
	s_xor_b64 s[0:1], exec, s[2:3]
	s_cbranch_execnz .LBB181_297
.LBB181_327:
	s_or_b64 exec, exec, s[0:1]
	v_cmp_gt_i32_e32 vcc, s24, v0
	s_and_saveexec_b64 s[0:1], vcc
	s_cbranch_execz .LBB181_298
.LBB181_328:
	v_add_u32_e32 v2, s6, v0
	v_mov_b32_e32 v3, 0
	v_lshl_add_u64 v[2:3], v[2:3], 2, s[8:9]
	v_add_u32_e32 v0, 0x100, v0
	global_store_dword v[2:3], v10, off
	s_or_b64 exec, exec, s[0:1]
	v_cmp_gt_i32_e32 vcc, s24, v0
	s_and_saveexec_b64 s[0:1], vcc
	s_cbranch_execnz .LBB181_299
.LBB181_329:
	s_or_b64 exec, exec, s[0:1]
	v_cmp_gt_i32_e32 vcc, s24, v0
	s_and_saveexec_b64 s[0:1], vcc
	s_cbranch_execz .LBB181_331
.LBB181_330:
	v_add_u32_e32 v0, s6, v0
	v_mov_b32_e32 v1, 0
	v_lshl_add_u64 v[0:1], v[0:1], 2, s[8:9]
	global_store_dword v[0:1], v4, off
.LBB181_331:
	s_endpgm
	.section	.rodata,"a",@progbits
	.p2align	6, 0x0
	.amdhsa_kernel _ZN2at6native29vectorized_elementwise_kernelILi2EZZZNS0_17rsqrt_kernel_cudaERNS_18TensorIteratorBaseEENKUlvE_clEvENKUlvE1_clEvEUlN3c107complexINS6_4HalfEEEE_St5arrayIPcLm2EEEEviT0_T1_
		.amdhsa_group_segment_fixed_size 0
		.amdhsa_private_segment_fixed_size 0
		.amdhsa_kernarg_size 24
		.amdhsa_user_sgpr_count 2
		.amdhsa_user_sgpr_dispatch_ptr 0
		.amdhsa_user_sgpr_queue_ptr 0
		.amdhsa_user_sgpr_kernarg_segment_ptr 1
		.amdhsa_user_sgpr_dispatch_id 0
		.amdhsa_user_sgpr_kernarg_preload_length 0
		.amdhsa_user_sgpr_kernarg_preload_offset 0
		.amdhsa_user_sgpr_private_segment_size 0
		.amdhsa_uses_dynamic_stack 0
		.amdhsa_enable_private_segment 0
		.amdhsa_system_sgpr_workgroup_id_x 1
		.amdhsa_system_sgpr_workgroup_id_y 0
		.amdhsa_system_sgpr_workgroup_id_z 0
		.amdhsa_system_sgpr_workgroup_info 0
		.amdhsa_system_vgpr_workitem_id 0
		.amdhsa_next_free_vgpr 16
		.amdhsa_next_free_sgpr 28
		.amdhsa_accum_offset 16
		.amdhsa_reserve_vcc 1
		.amdhsa_float_round_mode_32 0
		.amdhsa_float_round_mode_16_64 0
		.amdhsa_float_denorm_mode_32 3
		.amdhsa_float_denorm_mode_16_64 3
		.amdhsa_dx10_clamp 1
		.amdhsa_ieee_mode 1
		.amdhsa_fp16_overflow 0
		.amdhsa_tg_split 0
		.amdhsa_exception_fp_ieee_invalid_op 0
		.amdhsa_exception_fp_denorm_src 0
		.amdhsa_exception_fp_ieee_div_zero 0
		.amdhsa_exception_fp_ieee_overflow 0
		.amdhsa_exception_fp_ieee_underflow 0
		.amdhsa_exception_fp_ieee_inexact 0
		.amdhsa_exception_int_div_zero 0
	.end_amdhsa_kernel
	.section	.text._ZN2at6native29vectorized_elementwise_kernelILi2EZZZNS0_17rsqrt_kernel_cudaERNS_18TensorIteratorBaseEENKUlvE_clEvENKUlvE1_clEvEUlN3c107complexINS6_4HalfEEEE_St5arrayIPcLm2EEEEviT0_T1_,"axG",@progbits,_ZN2at6native29vectorized_elementwise_kernelILi2EZZZNS0_17rsqrt_kernel_cudaERNS_18TensorIteratorBaseEENKUlvE_clEvENKUlvE1_clEvEUlN3c107complexINS6_4HalfEEEE_St5arrayIPcLm2EEEEviT0_T1_,comdat
.Lfunc_end181:
	.size	_ZN2at6native29vectorized_elementwise_kernelILi2EZZZNS0_17rsqrt_kernel_cudaERNS_18TensorIteratorBaseEENKUlvE_clEvENKUlvE1_clEvEUlN3c107complexINS6_4HalfEEEE_St5arrayIPcLm2EEEEviT0_T1_, .Lfunc_end181-_ZN2at6native29vectorized_elementwise_kernelILi2EZZZNS0_17rsqrt_kernel_cudaERNS_18TensorIteratorBaseEENKUlvE_clEvENKUlvE1_clEvEUlN3c107complexINS6_4HalfEEEE_St5arrayIPcLm2EEEEviT0_T1_
                                        ; -- End function
	.set _ZN2at6native29vectorized_elementwise_kernelILi2EZZZNS0_17rsqrt_kernel_cudaERNS_18TensorIteratorBaseEENKUlvE_clEvENKUlvE1_clEvEUlN3c107complexINS6_4HalfEEEE_St5arrayIPcLm2EEEEviT0_T1_.num_vgpr, 16
	.set _ZN2at6native29vectorized_elementwise_kernelILi2EZZZNS0_17rsqrt_kernel_cudaERNS_18TensorIteratorBaseEENKUlvE_clEvENKUlvE1_clEvEUlN3c107complexINS6_4HalfEEEE_St5arrayIPcLm2EEEEviT0_T1_.num_agpr, 0
	.set _ZN2at6native29vectorized_elementwise_kernelILi2EZZZNS0_17rsqrt_kernel_cudaERNS_18TensorIteratorBaseEENKUlvE_clEvENKUlvE1_clEvEUlN3c107complexINS6_4HalfEEEE_St5arrayIPcLm2EEEEviT0_T1_.numbered_sgpr, 28
	.set _ZN2at6native29vectorized_elementwise_kernelILi2EZZZNS0_17rsqrt_kernel_cudaERNS_18TensorIteratorBaseEENKUlvE_clEvENKUlvE1_clEvEUlN3c107complexINS6_4HalfEEEE_St5arrayIPcLm2EEEEviT0_T1_.num_named_barrier, 0
	.set _ZN2at6native29vectorized_elementwise_kernelILi2EZZZNS0_17rsqrt_kernel_cudaERNS_18TensorIteratorBaseEENKUlvE_clEvENKUlvE1_clEvEUlN3c107complexINS6_4HalfEEEE_St5arrayIPcLm2EEEEviT0_T1_.private_seg_size, 0
	.set _ZN2at6native29vectorized_elementwise_kernelILi2EZZZNS0_17rsqrt_kernel_cudaERNS_18TensorIteratorBaseEENKUlvE_clEvENKUlvE1_clEvEUlN3c107complexINS6_4HalfEEEE_St5arrayIPcLm2EEEEviT0_T1_.uses_vcc, 1
	.set _ZN2at6native29vectorized_elementwise_kernelILi2EZZZNS0_17rsqrt_kernel_cudaERNS_18TensorIteratorBaseEENKUlvE_clEvENKUlvE1_clEvEUlN3c107complexINS6_4HalfEEEE_St5arrayIPcLm2EEEEviT0_T1_.uses_flat_scratch, 0
	.set _ZN2at6native29vectorized_elementwise_kernelILi2EZZZNS0_17rsqrt_kernel_cudaERNS_18TensorIteratorBaseEENKUlvE_clEvENKUlvE1_clEvEUlN3c107complexINS6_4HalfEEEE_St5arrayIPcLm2EEEEviT0_T1_.has_dyn_sized_stack, 0
	.set _ZN2at6native29vectorized_elementwise_kernelILi2EZZZNS0_17rsqrt_kernel_cudaERNS_18TensorIteratorBaseEENKUlvE_clEvENKUlvE1_clEvEUlN3c107complexINS6_4HalfEEEE_St5arrayIPcLm2EEEEviT0_T1_.has_recursion, 0
	.set _ZN2at6native29vectorized_elementwise_kernelILi2EZZZNS0_17rsqrt_kernel_cudaERNS_18TensorIteratorBaseEENKUlvE_clEvENKUlvE1_clEvEUlN3c107complexINS6_4HalfEEEE_St5arrayIPcLm2EEEEviT0_T1_.has_indirect_call, 0
	.section	.AMDGPU.csdata,"",@progbits
; Kernel info:
; codeLenInByte = 14260
; TotalNumSgprs: 34
; NumVgprs: 16
; NumAgprs: 0
; TotalNumVgprs: 16
; ScratchSize: 0
; MemoryBound: 0
; FloatMode: 240
; IeeeMode: 1
; LDSByteSize: 0 bytes/workgroup (compile time only)
; SGPRBlocks: 4
; VGPRBlocks: 1
; NumSGPRsForWavesPerEU: 34
; NumVGPRsForWavesPerEU: 16
; AccumOffset: 16
; Occupancy: 8
; WaveLimiterHint : 1
; COMPUTE_PGM_RSRC2:SCRATCH_EN: 0
; COMPUTE_PGM_RSRC2:USER_SGPR: 2
; COMPUTE_PGM_RSRC2:TRAP_HANDLER: 0
; COMPUTE_PGM_RSRC2:TGID_X_EN: 1
; COMPUTE_PGM_RSRC2:TGID_Y_EN: 0
; COMPUTE_PGM_RSRC2:TGID_Z_EN: 0
; COMPUTE_PGM_RSRC2:TIDIG_COMP_CNT: 0
; COMPUTE_PGM_RSRC3_GFX90A:ACCUM_OFFSET: 3
; COMPUTE_PGM_RSRC3_GFX90A:TG_SPLIT: 0
	.section	.text._ZN2at6native27unrolled_elementwise_kernelIZZZNS0_17rsqrt_kernel_cudaERNS_18TensorIteratorBaseEENKUlvE_clEvENKUlvE1_clEvEUlN3c107complexINS6_4HalfEEEE_St5arrayIPcLm2EELi4E23TrivialOffsetCalculatorILi1EjESF_NS0_6memory15LoadWithoutCastENSG_16StoreWithoutCastEEEviT_T0_T2_T3_T4_T5_,"axG",@progbits,_ZN2at6native27unrolled_elementwise_kernelIZZZNS0_17rsqrt_kernel_cudaERNS_18TensorIteratorBaseEENKUlvE_clEvENKUlvE1_clEvEUlN3c107complexINS6_4HalfEEEE_St5arrayIPcLm2EELi4E23TrivialOffsetCalculatorILi1EjESF_NS0_6memory15LoadWithoutCastENSG_16StoreWithoutCastEEEviT_T0_T2_T3_T4_T5_,comdat
	.globl	_ZN2at6native27unrolled_elementwise_kernelIZZZNS0_17rsqrt_kernel_cudaERNS_18TensorIteratorBaseEENKUlvE_clEvENKUlvE1_clEvEUlN3c107complexINS6_4HalfEEEE_St5arrayIPcLm2EELi4E23TrivialOffsetCalculatorILi1EjESF_NS0_6memory15LoadWithoutCastENSG_16StoreWithoutCastEEEviT_T0_T2_T3_T4_T5_ ; -- Begin function _ZN2at6native27unrolled_elementwise_kernelIZZZNS0_17rsqrt_kernel_cudaERNS_18TensorIteratorBaseEENKUlvE_clEvENKUlvE1_clEvEUlN3c107complexINS6_4HalfEEEE_St5arrayIPcLm2EELi4E23TrivialOffsetCalculatorILi1EjESF_NS0_6memory15LoadWithoutCastENSG_16StoreWithoutCastEEEviT_T0_T2_T3_T4_T5_
	.p2align	8
	.type	_ZN2at6native27unrolled_elementwise_kernelIZZZNS0_17rsqrt_kernel_cudaERNS_18TensorIteratorBaseEENKUlvE_clEvENKUlvE1_clEvEUlN3c107complexINS6_4HalfEEEE_St5arrayIPcLm2EELi4E23TrivialOffsetCalculatorILi1EjESF_NS0_6memory15LoadWithoutCastENSG_16StoreWithoutCastEEEviT_T0_T2_T3_T4_T5_,@function
_ZN2at6native27unrolled_elementwise_kernelIZZZNS0_17rsqrt_kernel_cudaERNS_18TensorIteratorBaseEENKUlvE_clEvENKUlvE1_clEvEUlN3c107complexINS6_4HalfEEEE_St5arrayIPcLm2EELi4E23TrivialOffsetCalculatorILi1EjESF_NS0_6memory15LoadWithoutCastENSG_16StoreWithoutCastEEEviT_T0_T2_T3_T4_T5_: ; @_ZN2at6native27unrolled_elementwise_kernelIZZZNS0_17rsqrt_kernel_cudaERNS_18TensorIteratorBaseEENKUlvE_clEvENKUlvE1_clEvEUlN3c107complexINS6_4HalfEEEE_St5arrayIPcLm2EELi4E23TrivialOffsetCalculatorILi1EjESF_NS0_6memory15LoadWithoutCastENSG_16StoreWithoutCastEEEviT_T0_T2_T3_T4_T5_
; %bb.0:
	s_load_dword s3, s[0:1], 0x0
	s_load_dwordx4 s[8:11], s[0:1], 0x8
	s_lshl_b32 s22, s2, 10
	v_mov_b32_e32 v5, 0
	v_or_b32_e32 v2, s22, v0
	s_waitcnt lgkmcnt(0)
	s_sub_i32 s23, s3, s22
	v_cmp_gt_i32_e64 s[0:1], s23, v0
	v_mov_b32_e32 v7, 0
	v_mov_b32_e32 v3, v5
	;; [unrolled: 1-line block ×3, first 2 shown]
	s_and_saveexec_b64 s[2:3], s[0:1]
	s_cbranch_execz .LBB182_8
; %bb.1:
	v_mov_b32_e32 v3, 0
	v_lshl_add_u64 v[4:5], v[2:3], 2, s[10:11]
	global_load_dword v11, v[4:5], off
	v_or_b32_e32 v1, 0x100, v0
	v_cmp_gt_u32_e32 vcc, s23, v1
	v_mov_b32_e32 v7, v3
	v_mov_b32_e32 v5, v3
	s_and_saveexec_b64 s[4:5], vcc
	s_cbranch_execz .LBB182_7
; %bb.2:
	v_add_u32_e32 v6, s22, v1
	v_mov_b32_e32 v7, 0
	v_lshl_add_u64 v[4:5], v[6:7], 2, s[10:11]
	global_load_dword v3, v[4:5], off
	v_or_b32_e32 v1, 0x200, v0
	v_cmp_gt_u32_e32 vcc, s23, v1
	v_mov_b32_e32 v5, v7
	s_and_saveexec_b64 s[6:7], vcc
	s_cbranch_execz .LBB182_6
; %bb.3:
	v_add_u32_e32 v4, s22, v1
	v_mov_b32_e32 v5, 0
	v_lshl_add_u64 v[6:7], v[4:5], 2, s[10:11]
	global_load_dword v7, v[6:7], off
	v_or_b32_e32 v1, 0x300, v0
	v_cmp_gt_u32_e32 vcc, s23, v1
	s_and_saveexec_b64 s[12:13], vcc
	s_cbranch_execz .LBB182_5
; %bb.4:
	v_add_u32_e32 v4, s22, v1
	v_mov_b32_e32 v5, 0
	v_lshl_add_u64 v[4:5], v[4:5], 2, s[10:11]
	global_load_dword v5, v[4:5], off
.LBB182_5:
	s_or_b64 exec, exec, s[12:13]
.LBB182_6:
	s_or_b64 exec, exec, s[6:7]
.LBB182_7:
	s_or_b64 exec, exec, s[4:5]
.LBB182_8:
	s_or_b64 exec, exec, s[2:3]
                                        ; implicit-def: $vgpr1
	s_and_saveexec_b64 s[6:7], s[0:1]
	s_cbranch_execz .LBB182_48
; %bb.9:
	s_waitcnt vmcnt(0)
	v_cvt_f32_f16_sdwa v8, v11 dst_sel:DWORD dst_unused:UNUSED_PAD src0_sel:WORD_1
	v_mov_b32_e32 v10, 0
	v_cmp_neq_f16_e32 vcc, 0, v11
	v_cmp_neq_f16_sdwa s[2:3], v11, v10 src0_sel:WORD_1 src1_sel:DWORD
	s_or_b64 s[2:3], vcc, s[2:3]
	s_and_saveexec_b64 s[10:11], s[2:3]
	s_cbranch_execz .LBB182_39
; %bb.10:
	v_cvt_f32_f16_e32 v9, v11
	v_mov_b32_e32 v10, 0x7f800000
	v_cmp_neq_f32_e64 s[2:3], |v8|, v10
	s_and_saveexec_b64 s[12:13], s[2:3]
	s_cbranch_execz .LBB182_38
; %bb.11:
	v_cmp_o_f16_e32 vcc, v11, v11
                                        ; implicit-def: $vgpr10
	s_and_saveexec_b64 s[2:3], vcc
	s_xor_b64 s[14:15], exec, s[2:3]
	s_cbranch_execz .LBB182_35
; %bb.12:
	s_mov_b32 s2, 0x7f800000
	v_cmp_neq_f32_e64 s[2:3], |v9|, s2
                                        ; implicit-def: $vgpr10
	s_and_saveexec_b64 s[4:5], s[2:3]
	s_xor_b64 s[16:17], exec, s[4:5]
	s_cbranch_execz .LBB182_28
; %bb.13:
	v_max_f32_e64 v1, |v8|, |v8|
	v_max_f32_e64 v4, |v9|, |v9|
	v_max_f32_e32 v1, v4, v1
	s_mov_b32 s2, 0x7ed413cb
	v_cmp_nle_f32_e64 s[2:3], s2, v1
                                        ; implicit-def: $sgpr18_sgpr19
	s_and_saveexec_b64 s[4:5], s[2:3]
	s_xor_b64 s[4:5], exec, s[4:5]
	s_cbranch_execz .LBB182_17
; %bb.14:
	s_mov_b32 s20, 0x1000000
	v_cmp_le_f32_e64 s[18:19], |v9|, s20
	v_cmp_le_f32_e64 s[20:21], |v8|, s20
	s_and_b64 s[24:25], s[18:19], s[20:21]
	s_mov_b64 s[18:19], 0
	s_and_saveexec_b64 s[20:21], s[24:25]
; %bb.15:
	s_mov_b64 s[18:19], exec
	v_pk_mul_f32 v[8:9], v[8:9], 4.0 op_sel_hi:[1,0]
; %bb.16:
	s_or_b64 exec, exec, s[20:21]
.LBB182_17:
	s_andn2_saveexec_b64 s[4:5], s[4:5]
; %bb.18:
	s_mov_b32 s20, 0x3e800000
	v_pk_mul_f32 v[8:9], v[8:9], s[20:21] op_sel_hi:[1,0]
	s_andn2_b64 s[18:19], s[18:19], exec
; %bb.19:
	s_or_b64 exec, exec, s[4:5]
	v_max_f32_e64 v1, |v8|, |v8|
	v_max_f32_e64 v4, |v9|, |v9|
	v_max_f32_e32 v1, v4, v1
	v_cvt_f64_f32_e32 v[10:11], v1
	v_frexp_exp_i32_f64_e32 v4, v[10:11]
	v_sub_u32_e32 v6, 0, v4
	v_ldexp_f32 v10, |v9|, v6
	v_ldexp_f32 v6, |v8|, v6
	v_mul_f32_e32 v6, v6, v6
	v_fmac_f32_e32 v6, v10, v10
	v_sqrt_f32_e32 v6, v6
	s_mov_b32 s4, 0x7f800000
	v_cmp_neq_f32_e64 s[4:5], s4, v1
	v_cmp_le_f32_e32 vcc, 0, v9
	v_ldexp_f32 v4, v6, v4
	v_mov_b32_e32 v6, 0x7f800000
	v_cndmask_b32_e64 v1, v6, v4, s[4:5]
                                        ; implicit-def: $vgpr12_vgpr13
	s_and_saveexec_b64 s[4:5], vcc
	s_xor_b64 s[20:21], exec, s[4:5]
	s_cbranch_execz .LBB182_21
; %bb.20:
	v_add_f32_e32 v1, v9, v1
	v_mul_f32_e32 v1, 0.5, v1
	s_mov_b32 s4, 0xf800000
	v_mul_f32_e32 v4, 0x4f800000, v1
	v_cmp_gt_f32_e32 vcc, s4, v1
	s_nop 1
	v_cndmask_b32_e32 v1, v1, v4, vcc
	v_sqrt_f32_e32 v4, v1
	s_nop 0
	v_add_u32_e32 v6, -1, v4
	v_fma_f32 v9, -v6, v4, v1
	v_cmp_ge_f32_e64 s[4:5], 0, v9
	v_add_u32_e32 v9, 1, v4
	s_nop 0
	v_cndmask_b32_e64 v6, v4, v6, s[4:5]
	v_fma_f32 v4, -v9, v4, v1
	v_cmp_lt_f32_e64 s[4:5], 0, v4
	s_nop 1
	v_cndmask_b32_e64 v4, v6, v9, s[4:5]
	v_mul_f32_e32 v6, 0x37800000, v4
	v_cndmask_b32_e32 v4, v4, v6, vcc
	v_mov_b32_e32 v6, 0x260
	v_cmp_class_f32_e32 vcc, v1, v6
	s_nop 1
	v_cndmask_b32_e32 v12, v4, v1, vcc
	v_add_f32_e32 v1, v12, v12
	v_div_scale_f32 v4, s[4:5], v1, v1, v8
	v_rcp_f32_e32 v6, v4
	s_nop 0
	v_fma_f32 v9, -v4, v6, 1.0
	v_fmac_f32_e32 v6, v9, v6
	v_div_scale_f32 v9, vcc, v8, v1, v8
	v_mul_f32_e32 v10, v9, v6
	v_fma_f32 v11, -v4, v10, v9
	v_fmac_f32_e32 v10, v11, v6
	v_fma_f32 v4, -v4, v10, v9
	v_div_fmas_f32 v4, v4, v6, v10
	v_div_fixup_f32 v13, v4, v1, v8
                                        ; implicit-def: $vgpr1
                                        ; implicit-def: $vgpr8_vgpr9
	s_andn2_saveexec_b64 s[20:21], s[20:21]
	s_cbranch_execz .LBB182_23
	s_branch .LBB182_22
.LBB182_21:
	s_andn2_saveexec_b64 s[20:21], s[20:21]
	s_cbranch_execz .LBB182_23
.LBB182_22:
	v_sub_f32_e32 v1, v1, v9
	v_mul_f32_e32 v1, 0.5, v1
	s_mov_b32 s4, 0xf800000
	v_mul_f32_e32 v4, 0x4f800000, v1
	v_cmp_gt_f32_e32 vcc, s4, v1
	s_nop 1
	v_cndmask_b32_e32 v1, v1, v4, vcc
	v_sqrt_f32_e32 v4, v1
	s_nop 0
	v_add_u32_e32 v6, -1, v4
	v_fma_f32 v9, -v6, v4, v1
	v_cmp_ge_f32_e64 s[4:5], 0, v9
	v_add_u32_e32 v9, 1, v4
	s_nop 0
	v_cndmask_b32_e64 v6, v4, v6, s[4:5]
	v_fma_f32 v4, -v9, v4, v1
	v_cmp_lt_f32_e64 s[4:5], 0, v4
	s_nop 1
	v_cndmask_b32_e64 v4, v6, v9, s[4:5]
	v_mul_f32_e32 v6, 0x37800000, v4
	v_cndmask_b32_e32 v4, v4, v6, vcc
	v_mov_b32_e32 v6, 0x260
	v_cmp_class_f32_e32 vcc, v1, v6
	v_and_b32_e32 v6, 0x7fffffff, v8
	s_nop 0
	v_cndmask_b32_e32 v1, v4, v1, vcc
	v_add_f32_e32 v4, v1, v1
	v_div_scale_f32 v9, s[4:5], v4, v4, v6
	v_rcp_f32_e32 v10, v9
	v_div_scale_f32 v6, vcc, v6, v4, v6
	s_brev_b32 s4, -2
	v_fma_f32 v11, -v9, v10, 1.0
	v_fmac_f32_e32 v10, v11, v10
	v_mul_f32_e32 v11, v6, v10
	v_fma_f32 v12, -v9, v11, v6
	v_fmac_f32_e32 v11, v12, v10
	v_fma_f32 v6, -v9, v11, v6
	v_div_fmas_f32 v6, v6, v10, v11
	v_div_fixup_f32 v12, v6, v4, |v8|
	v_bfi_b32 v13, s4, v1, v8
.LBB182_23:
	s_or_b64 exec, exec, s[20:21]
                                        ; implicit-def: $vgpr8
                                        ; implicit-def: $vgpr10
	s_and_saveexec_b64 s[4:5], s[2:3]
	s_xor_b64 s[2:3], exec, s[4:5]
	s_cbranch_execz .LBB182_25
; %bb.24:
	v_pk_mul_f32 v[8:9], v[12:13], 0.5 op_sel_hi:[1,0]
	s_nop 0
	v_cndmask_b32_e64 v10, v12, v8, s[18:19]
	v_cndmask_b32_e64 v8, v13, v9, s[18:19]
                                        ; implicit-def: $vgpr12_vgpr13
	s_andn2_saveexec_b64 s[2:3], s[2:3]
	s_cbranch_execnz .LBB182_26
	s_branch .LBB182_27
.LBB182_25:
	s_andn2_saveexec_b64 s[2:3], s[2:3]
.LBB182_26:
	v_pk_add_f32 v[10:11], v[12:13], v[12:13]
	s_nop 0
	v_mov_b32_e32 v8, v11
.LBB182_27:
	s_or_b64 exec, exec, s[2:3]
                                        ; implicit-def: $vgpr11
.LBB182_28:
	s_andn2_saveexec_b64 s[2:3], s[16:17]
	s_cbranch_execz .LBB182_34
; %bb.29:
	v_and_b32_e32 v1, 0x8000, v11
	v_cmp_ne_u32_e32 vcc, 0, v1
	v_sub_f32_e32 v1, v8, v8
                                        ; implicit-def: $vgpr10
	s_and_saveexec_b64 s[4:5], vcc
	s_xor_b64 s[4:5], exec, s[4:5]
; %bb.30:
	s_brev_b32 s16, -2
	v_and_b32_e32 v10, 0x7fffffff, v1
	v_bfi_b32 v8, s16, v9, v8
                                        ; implicit-def: $vgpr1
; %bb.31:
	s_andn2_saveexec_b64 s[4:5], s[4:5]
; %bb.32:
	s_brev_b32 s16, -2
	v_bfi_b32 v8, s16, v1, v8
	v_mov_b32_e32 v10, v9
; %bb.33:
	s_or_b64 exec, exec, s[4:5]
.LBB182_34:
	s_or_b64 exec, exec, s[2:3]
.LBB182_35:
	s_andn2_saveexec_b64 s[2:3], s[14:15]
	s_cbranch_execz .LBB182_37
; %bb.36:
	v_sub_f32_e32 v1, v8, v8
	v_div_scale_f32 v4, vcc, v1, v1, v1
	v_rcp_f32_e32 v6, v4
	s_nop 0
	v_fma_f32 v8, -v4, v6, 1.0
	v_fmac_f32_e32 v6, v8, v6
	v_mul_f32_e32 v8, v4, v6
	v_fma_f32 v10, -v4, v8, v4
	v_fmac_f32_e32 v8, v10, v6
	v_fma_f32 v4, -v4, v8, v4
	v_div_fmas_f32 v4, v4, v6, v8
	v_div_fixup_f32 v8, v4, v1, v1
	v_mov_b32_e32 v10, v9
.LBB182_37:
	s_or_b64 exec, exec, s[2:3]
.LBB182_38:
	s_or_b64 exec, exec, s[12:13]
.LBB182_39:
	s_or_b64 exec, exec, s[10:11]
	v_cmp_gt_f32_e32 vcc, 0, v8
                                        ; implicit-def: $vgpr12_vgpr13
	s_nop 1
	v_cndmask_b32_e64 v4, v8, -v8, vcc
	v_cmp_gt_f32_e32 vcc, 0, v10
	s_nop 1
	v_cndmask_b32_e64 v1, v10, -v10, vcc
	v_cmp_ge_f32_e32 vcc, v1, v4
	s_and_saveexec_b64 s[2:3], vcc
	s_xor_b64 s[4:5], exec, s[2:3]
	s_cbranch_execz .LBB182_45
; %bb.40:
	v_cmp_neq_f32_e32 vcc, 0, v10
	v_cmp_neq_f32_e64 s[2:3], 0, v8
	s_or_b64 s[2:3], vcc, s[2:3]
                                        ; implicit-def: $vgpr12_vgpr13
	s_and_saveexec_b64 s[10:11], s[2:3]
	s_xor_b64 s[2:3], exec, s[10:11]
	s_cbranch_execz .LBB182_42
; %bb.41:
	v_div_scale_f32 v1, s[10:11], v10, v10, v8
	v_rcp_f32_e32 v4, v1
	v_div_scale_f32 v6, vcc, v8, v10, v8
	v_fma_f32 v9, -v1, v4, 1.0
	v_fmac_f32_e32 v4, v9, v4
	v_mul_f32_e32 v9, v6, v4
	v_fma_f32 v11, -v1, v9, v6
	v_fmac_f32_e32 v9, v11, v4
	v_fma_f32 v1, -v1, v9, v6
	v_div_fmas_f32 v1, v1, v4, v9
	v_div_fixup_f32 v1, v1, v10, v8
	v_fmac_f32_e32 v10, v8, v1
	v_div_scale_f32 v4, s[10:11], v10, v10, 1.0
	v_rcp_f32_e32 v6, v4
	s_nop 0
	v_fma_f32 v8, -v4, v6, 1.0
	v_fmac_f32_e32 v6, v8, v6
	v_div_scale_f32 v8, vcc, 1.0, v10, 1.0
	v_mul_f32_e32 v9, v8, v6
	v_fma_f32 v11, -v4, v9, v8
	v_fmac_f32_e32 v9, v11, v6
	v_fma_f32 v4, -v4, v9, v8
	v_div_fmas_f32 v4, v4, v6, v9
	v_mul_f32_e32 v6, 0, v1
	v_div_fixup_f32 v4, v4, v10, 1.0
	v_add_f32_e32 v8, 1.0, v6
	v_sub_f32_e32 v9, 0, v1
	v_pk_mul_f32 v[12:13], v[8:9], v[4:5] op_sel_hi:[1,0]
                                        ; implicit-def: $vgpr4
                                        ; implicit-def: $vgpr1
.LBB182_42:
	s_andn2_saveexec_b64 s[2:3], s[2:3]
	s_cbranch_execz .LBB182_44
; %bb.43:
	v_div_scale_f32 v6, s[10:11], v4, v4, 0
	v_rcp_f32_e32 v8, v6
	v_div_scale_f32 v9, vcc, 0, v4, 0
	v_fma_f32 v10, -v6, v8, 1.0
	v_fmac_f32_e32 v8, v10, v8
	v_mul_f32_e32 v10, v9, v8
	v_fma_f32 v11, -v6, v10, v9
	v_fmac_f32_e32 v10, v11, v8
	v_fma_f32 v6, -v6, v10, v9
	v_div_scale_f32 v9, s[10:11], v1, v1, 1.0
	v_rcp_f32_e32 v11, v9
	v_div_fmas_f32 v6, v6, v8, v10
	v_div_fixup_f32 v13, v6, v4, 0
	v_fma_f32 v4, -v9, v11, 1.0
	v_fmac_f32_e32 v11, v4, v11
	v_div_scale_f32 v4, vcc, 1.0, v1, 1.0
	v_mul_f32_e32 v6, v4, v11
	v_fma_f32 v8, -v9, v6, v4
	v_fmac_f32_e32 v6, v8, v11
	v_fma_f32 v4, -v9, v6, v4
	v_div_fmas_f32 v4, v4, v11, v6
	v_div_fixup_f32 v12, v4, v1, 1.0
.LBB182_44:
	s_or_b64 exec, exec, s[2:3]
                                        ; implicit-def: $vgpr8
                                        ; implicit-def: $vgpr10
.LBB182_45:
	s_andn2_saveexec_b64 s[2:3], s[4:5]
	s_cbranch_execz .LBB182_47
; %bb.46:
	v_div_scale_f32 v1, s[4:5], v8, v8, v10
	v_rcp_f32_e32 v4, v1
	v_div_scale_f32 v6, vcc, v10, v8, v10
	v_fma_f32 v9, -v1, v4, 1.0
	v_fmac_f32_e32 v4, v9, v4
	v_mul_f32_e32 v9, v6, v4
	v_fma_f32 v11, -v1, v9, v6
	v_fmac_f32_e32 v9, v11, v4
	v_fma_f32 v1, -v1, v9, v6
	v_div_fmas_f32 v1, v1, v4, v9
	v_div_fixup_f32 v12, v1, v8, v10
	v_fmac_f32_e32 v8, v10, v12
	v_div_scale_f32 v1, s[4:5], v8, v8, 1.0
	v_rcp_f32_e32 v4, v1
	s_mov_b32 s4, 0
	s_mov_b32 s5, -1.0
	v_mul_f32_e32 v13, 0, v12
	v_fma_f32 v6, -v1, v4, 1.0
	v_fmac_f32_e32 v4, v6, v4
	v_div_scale_f32 v6, vcc, 1.0, v8, 1.0
	v_mul_f32_e32 v9, v6, v4
	v_fma_f32 v10, -v1, v9, v6
	v_fmac_f32_e32 v9, v10, v4
	v_fma_f32 v1, -v1, v9, v6
	v_div_fmas_f32 v1, v1, v4, v9
	v_div_fixup_f32 v4, v1, v8, 1.0
	v_pk_add_f32 v[8:9], v[12:13], s[4:5]
	s_nop 0
	v_pk_mul_f32 v[12:13], v[8:9], v[4:5] op_sel_hi:[1,0]
.LBB182_47:
	s_or_b64 exec, exec, s[2:3]
	v_cvt_f16_f32_e32 v1, v12
	v_cvt_f16_f32_sdwa v4, v13 dst_sel:WORD_1 dst_unused:UNUSED_PAD src0_sel:DWORD
	s_nop 0
	v_or_b32_e32 v1, v4, v1
.LBB182_48:
	s_or_b64 exec, exec, s[6:7]
	v_or_b32_e32 v14, 0x100, v0
	v_cmp_gt_i32_e32 vcc, s23, v14
                                        ; implicit-def: $vgpr12
	s_and_saveexec_b64 s[6:7], vcc
	s_cbranch_execz .LBB182_88
; %bb.49:
	s_waitcnt vmcnt(0)
	v_cvt_f32_f16_sdwa v8, v3 dst_sel:DWORD dst_unused:UNUSED_PAD src0_sel:WORD_1
	v_mov_b32_e32 v10, 0
	v_cmp_neq_f16_e32 vcc, 0, v3
	v_cmp_neq_f16_sdwa s[2:3], v3, v10 src0_sel:WORD_1 src1_sel:DWORD
	s_or_b64 s[2:3], vcc, s[2:3]
	s_and_saveexec_b64 s[10:11], s[2:3]
	s_cbranch_execz .LBB182_79
; %bb.50:
	v_cvt_f32_f16_e32 v9, v3
	v_mov_b32_e32 v10, 0x7f800000
	v_cmp_neq_f32_e64 s[2:3], |v8|, v10
	s_and_saveexec_b64 s[12:13], s[2:3]
	s_cbranch_execz .LBB182_78
; %bb.51:
	v_cmp_o_f16_e32 vcc, v3, v3
                                        ; implicit-def: $vgpr10
	s_and_saveexec_b64 s[2:3], vcc
	s_xor_b64 s[14:15], exec, s[2:3]
	s_cbranch_execz .LBB182_75
; %bb.52:
	s_mov_b32 s2, 0x7f800000
	v_cmp_neq_f32_e64 s[2:3], |v9|, s2
                                        ; implicit-def: $vgpr10
	s_and_saveexec_b64 s[4:5], s[2:3]
	s_xor_b64 s[16:17], exec, s[4:5]
	s_cbranch_execz .LBB182_68
; %bb.53:
	v_max_f32_e64 v3, |v8|, |v8|
	v_max_f32_e64 v4, |v9|, |v9|
	v_max_f32_e32 v3, v4, v3
	s_mov_b32 s2, 0x7ed413cb
	v_cmp_nle_f32_e64 s[2:3], s2, v3
                                        ; implicit-def: $sgpr18_sgpr19
	s_and_saveexec_b64 s[4:5], s[2:3]
	s_xor_b64 s[4:5], exec, s[4:5]
	s_cbranch_execz .LBB182_57
; %bb.54:
	s_mov_b32 s20, 0x1000000
	v_cmp_le_f32_e64 s[18:19], |v9|, s20
	v_cmp_le_f32_e64 s[20:21], |v8|, s20
	s_and_b64 s[24:25], s[18:19], s[20:21]
	s_mov_b64 s[18:19], 0
	s_and_saveexec_b64 s[20:21], s[24:25]
; %bb.55:
	s_mov_b64 s[18:19], exec
	v_pk_mul_f32 v[8:9], v[8:9], 4.0 op_sel_hi:[1,0]
; %bb.56:
	s_or_b64 exec, exec, s[20:21]
.LBB182_57:
	s_andn2_saveexec_b64 s[4:5], s[4:5]
; %bb.58:
	s_mov_b32 s20, 0x3e800000
	v_pk_mul_f32 v[8:9], v[8:9], s[20:21] op_sel_hi:[1,0]
	s_andn2_b64 s[18:19], s[18:19], exec
; %bb.59:
	s_or_b64 exec, exec, s[4:5]
	v_max_f32_e64 v3, |v8|, |v8|
	v_max_f32_e64 v4, |v9|, |v9|
	v_max_f32_e32 v3, v4, v3
	v_cvt_f64_f32_e32 v[10:11], v3
	v_frexp_exp_i32_f64_e32 v4, v[10:11]
	v_sub_u32_e32 v6, 0, v4
	v_ldexp_f32 v10, |v9|, v6
	v_ldexp_f32 v6, |v8|, v6
	v_mul_f32_e32 v6, v6, v6
	v_fmac_f32_e32 v6, v10, v10
	v_sqrt_f32_e32 v6, v6
	s_mov_b32 s4, 0x7f800000
	v_cmp_neq_f32_e64 s[4:5], s4, v3
	v_cmp_le_f32_e32 vcc, 0, v9
	v_ldexp_f32 v4, v6, v4
	v_mov_b32_e32 v6, 0x7f800000
	v_cndmask_b32_e64 v3, v6, v4, s[4:5]
                                        ; implicit-def: $vgpr12_vgpr13
	s_and_saveexec_b64 s[4:5], vcc
	s_xor_b64 s[20:21], exec, s[4:5]
	s_cbranch_execz .LBB182_61
; %bb.60:
	v_add_f32_e32 v3, v9, v3
	v_mul_f32_e32 v3, 0.5, v3
	s_mov_b32 s4, 0xf800000
	v_mul_f32_e32 v4, 0x4f800000, v3
	v_cmp_gt_f32_e32 vcc, s4, v3
	s_nop 1
	v_cndmask_b32_e32 v3, v3, v4, vcc
	v_sqrt_f32_e32 v4, v3
	s_nop 0
	v_add_u32_e32 v6, -1, v4
	v_fma_f32 v9, -v6, v4, v3
	v_cmp_ge_f32_e64 s[4:5], 0, v9
	v_add_u32_e32 v9, 1, v4
	s_nop 0
	v_cndmask_b32_e64 v6, v4, v6, s[4:5]
	v_fma_f32 v4, -v9, v4, v3
	v_cmp_lt_f32_e64 s[4:5], 0, v4
	s_nop 1
	v_cndmask_b32_e64 v4, v6, v9, s[4:5]
	v_mul_f32_e32 v6, 0x37800000, v4
	v_cndmask_b32_e32 v4, v4, v6, vcc
	v_mov_b32_e32 v6, 0x260
	v_cmp_class_f32_e32 vcc, v3, v6
	s_nop 1
	v_cndmask_b32_e32 v12, v4, v3, vcc
	v_add_f32_e32 v3, v12, v12
	v_div_scale_f32 v4, s[4:5], v3, v3, v8
	v_rcp_f32_e32 v6, v4
	s_nop 0
	v_fma_f32 v9, -v4, v6, 1.0
	v_fmac_f32_e32 v6, v9, v6
	v_div_scale_f32 v9, vcc, v8, v3, v8
	v_mul_f32_e32 v10, v9, v6
	v_fma_f32 v11, -v4, v10, v9
	v_fmac_f32_e32 v10, v11, v6
	v_fma_f32 v4, -v4, v10, v9
	v_div_fmas_f32 v4, v4, v6, v10
	v_div_fixup_f32 v13, v4, v3, v8
                                        ; implicit-def: $vgpr3
                                        ; implicit-def: $vgpr8_vgpr9
	s_andn2_saveexec_b64 s[20:21], s[20:21]
	s_cbranch_execz .LBB182_63
	s_branch .LBB182_62
.LBB182_61:
	s_andn2_saveexec_b64 s[20:21], s[20:21]
	s_cbranch_execz .LBB182_63
.LBB182_62:
	v_sub_f32_e32 v3, v3, v9
	v_mul_f32_e32 v3, 0.5, v3
	s_mov_b32 s4, 0xf800000
	v_mul_f32_e32 v4, 0x4f800000, v3
	v_cmp_gt_f32_e32 vcc, s4, v3
	s_nop 1
	v_cndmask_b32_e32 v3, v3, v4, vcc
	v_sqrt_f32_e32 v4, v3
	s_nop 0
	v_add_u32_e32 v6, -1, v4
	v_fma_f32 v9, -v6, v4, v3
	v_cmp_ge_f32_e64 s[4:5], 0, v9
	v_add_u32_e32 v9, 1, v4
	s_nop 0
	v_cndmask_b32_e64 v6, v4, v6, s[4:5]
	v_fma_f32 v4, -v9, v4, v3
	v_cmp_lt_f32_e64 s[4:5], 0, v4
	s_nop 1
	v_cndmask_b32_e64 v4, v6, v9, s[4:5]
	v_mul_f32_e32 v6, 0x37800000, v4
	v_cndmask_b32_e32 v4, v4, v6, vcc
	v_mov_b32_e32 v6, 0x260
	v_cmp_class_f32_e32 vcc, v3, v6
	v_and_b32_e32 v6, 0x7fffffff, v8
	s_nop 0
	v_cndmask_b32_e32 v3, v4, v3, vcc
	v_add_f32_e32 v4, v3, v3
	v_div_scale_f32 v9, s[4:5], v4, v4, v6
	v_rcp_f32_e32 v10, v9
	v_div_scale_f32 v6, vcc, v6, v4, v6
	s_brev_b32 s4, -2
	v_fma_f32 v11, -v9, v10, 1.0
	v_fmac_f32_e32 v10, v11, v10
	v_mul_f32_e32 v11, v6, v10
	v_fma_f32 v12, -v9, v11, v6
	v_fmac_f32_e32 v11, v12, v10
	v_fma_f32 v6, -v9, v11, v6
	v_div_fmas_f32 v6, v6, v10, v11
	v_div_fixup_f32 v12, v6, v4, |v8|
	v_bfi_b32 v13, s4, v3, v8
.LBB182_63:
	s_or_b64 exec, exec, s[20:21]
                                        ; implicit-def: $vgpr8
                                        ; implicit-def: $vgpr10
	s_and_saveexec_b64 s[4:5], s[2:3]
	s_xor_b64 s[2:3], exec, s[4:5]
	s_cbranch_execz .LBB182_65
; %bb.64:
	v_pk_mul_f32 v[8:9], v[12:13], 0.5 op_sel_hi:[1,0]
	s_nop 0
	v_cndmask_b32_e64 v10, v12, v8, s[18:19]
	v_cndmask_b32_e64 v8, v13, v9, s[18:19]
                                        ; implicit-def: $vgpr12_vgpr13
	s_andn2_saveexec_b64 s[2:3], s[2:3]
	s_cbranch_execnz .LBB182_66
	s_branch .LBB182_67
.LBB182_65:
	s_andn2_saveexec_b64 s[2:3], s[2:3]
.LBB182_66:
	v_pk_add_f32 v[10:11], v[12:13], v[12:13]
	s_nop 0
	v_mov_b32_e32 v8, v11
.LBB182_67:
	s_or_b64 exec, exec, s[2:3]
.LBB182_68:
	s_andn2_saveexec_b64 s[2:3], s[16:17]
	s_cbranch_execz .LBB182_74
; %bb.69:
	v_and_b32_e32 v3, 0x8000, v3
	v_cmp_ne_u32_e32 vcc, 0, v3
	v_sub_f32_e32 v3, v8, v8
                                        ; implicit-def: $vgpr10
	s_and_saveexec_b64 s[4:5], vcc
	s_xor_b64 s[4:5], exec, s[4:5]
; %bb.70:
	s_brev_b32 s16, -2
	v_and_b32_e32 v10, 0x7fffffff, v3
	v_bfi_b32 v8, s16, v9, v8
                                        ; implicit-def: $vgpr3
; %bb.71:
	s_andn2_saveexec_b64 s[4:5], s[4:5]
; %bb.72:
	s_brev_b32 s16, -2
	v_bfi_b32 v8, s16, v3, v8
	v_mov_b32_e32 v10, v9
; %bb.73:
	s_or_b64 exec, exec, s[4:5]
.LBB182_74:
	s_or_b64 exec, exec, s[2:3]
.LBB182_75:
	s_andn2_saveexec_b64 s[2:3], s[14:15]
	s_cbranch_execz .LBB182_77
; %bb.76:
	v_sub_f32_e32 v3, v8, v8
	v_div_scale_f32 v4, vcc, v3, v3, v3
	v_rcp_f32_e32 v6, v4
	s_nop 0
	v_fma_f32 v8, -v4, v6, 1.0
	v_fmac_f32_e32 v6, v8, v6
	v_mul_f32_e32 v8, v4, v6
	v_fma_f32 v10, -v4, v8, v4
	v_fmac_f32_e32 v8, v10, v6
	v_fma_f32 v4, -v4, v8, v4
	v_div_fmas_f32 v4, v4, v6, v8
	v_div_fixup_f32 v8, v4, v3, v3
	v_mov_b32_e32 v10, v9
.LBB182_77:
	s_or_b64 exec, exec, s[2:3]
.LBB182_78:
	s_or_b64 exec, exec, s[12:13]
.LBB182_79:
	s_or_b64 exec, exec, s[10:11]
	v_cmp_gt_f32_e32 vcc, 0, v8
                                        ; implicit-def: $vgpr12_vgpr13
	s_nop 1
	v_cndmask_b32_e64 v4, v8, -v8, vcc
	v_cmp_gt_f32_e32 vcc, 0, v10
	s_nop 1
	v_cndmask_b32_e64 v3, v10, -v10, vcc
	v_cmp_ge_f32_e32 vcc, v3, v4
	s_and_saveexec_b64 s[2:3], vcc
	s_xor_b64 s[4:5], exec, s[2:3]
	s_cbranch_execz .LBB182_85
; %bb.80:
	v_cmp_neq_f32_e32 vcc, 0, v10
	v_cmp_neq_f32_e64 s[2:3], 0, v8
	s_or_b64 s[2:3], vcc, s[2:3]
                                        ; implicit-def: $vgpr12_vgpr13
	s_and_saveexec_b64 s[10:11], s[2:3]
	s_xor_b64 s[2:3], exec, s[10:11]
	s_cbranch_execz .LBB182_82
; %bb.81:
	v_div_scale_f32 v3, s[10:11], v10, v10, v8
	v_rcp_f32_e32 v4, v3
	v_div_scale_f32 v6, vcc, v8, v10, v8
	v_fma_f32 v9, -v3, v4, 1.0
	v_fmac_f32_e32 v4, v9, v4
	v_mul_f32_e32 v9, v6, v4
	v_fma_f32 v11, -v3, v9, v6
	v_fmac_f32_e32 v9, v11, v4
	v_fma_f32 v3, -v3, v9, v6
	v_div_fmas_f32 v3, v3, v4, v9
	v_div_fixup_f32 v3, v3, v10, v8
	v_fmac_f32_e32 v10, v8, v3
	v_div_scale_f32 v4, s[10:11], v10, v10, 1.0
	v_rcp_f32_e32 v6, v4
	s_nop 0
	v_fma_f32 v8, -v4, v6, 1.0
	v_fmac_f32_e32 v6, v8, v6
	v_div_scale_f32 v8, vcc, 1.0, v10, 1.0
	v_mul_f32_e32 v9, v8, v6
	v_fma_f32 v11, -v4, v9, v8
	v_fmac_f32_e32 v9, v11, v6
	v_fma_f32 v4, -v4, v9, v8
	v_div_fmas_f32 v4, v4, v6, v9
	v_mul_f32_e32 v6, 0, v3
	v_div_fixup_f32 v4, v4, v10, 1.0
	v_add_f32_e32 v8, 1.0, v6
	v_sub_f32_e32 v9, 0, v3
	v_pk_mul_f32 v[12:13], v[8:9], v[4:5] op_sel_hi:[1,0]
                                        ; implicit-def: $vgpr4
                                        ; implicit-def: $vgpr3
.LBB182_82:
	s_andn2_saveexec_b64 s[2:3], s[2:3]
	s_cbranch_execz .LBB182_84
; %bb.83:
	v_div_scale_f32 v6, s[10:11], v4, v4, 0
	v_rcp_f32_e32 v8, v6
	v_div_scale_f32 v9, vcc, 0, v4, 0
	v_fma_f32 v10, -v6, v8, 1.0
	v_fmac_f32_e32 v8, v10, v8
	v_mul_f32_e32 v10, v9, v8
	v_fma_f32 v11, -v6, v10, v9
	v_fmac_f32_e32 v10, v11, v8
	v_fma_f32 v6, -v6, v10, v9
	v_div_scale_f32 v9, s[10:11], v3, v3, 1.0
	v_rcp_f32_e32 v11, v9
	v_div_fmas_f32 v6, v6, v8, v10
	v_div_fixup_f32 v13, v6, v4, 0
	v_fma_f32 v4, -v9, v11, 1.0
	v_fmac_f32_e32 v11, v4, v11
	v_div_scale_f32 v4, vcc, 1.0, v3, 1.0
	v_mul_f32_e32 v6, v4, v11
	v_fma_f32 v8, -v9, v6, v4
	v_fmac_f32_e32 v6, v8, v11
	v_fma_f32 v4, -v9, v6, v4
	v_div_fmas_f32 v4, v4, v11, v6
	v_div_fixup_f32 v12, v4, v3, 1.0
.LBB182_84:
	s_or_b64 exec, exec, s[2:3]
                                        ; implicit-def: $vgpr8
                                        ; implicit-def: $vgpr10
.LBB182_85:
	s_andn2_saveexec_b64 s[2:3], s[4:5]
	s_cbranch_execz .LBB182_87
; %bb.86:
	v_div_scale_f32 v3, s[4:5], v8, v8, v10
	v_rcp_f32_e32 v4, v3
	v_div_scale_f32 v6, vcc, v10, v8, v10
	v_fma_f32 v9, -v3, v4, 1.0
	v_fmac_f32_e32 v4, v9, v4
	v_mul_f32_e32 v9, v6, v4
	v_fma_f32 v11, -v3, v9, v6
	v_fmac_f32_e32 v9, v11, v4
	v_fma_f32 v3, -v3, v9, v6
	v_div_fmas_f32 v3, v3, v4, v9
	v_div_fixup_f32 v12, v3, v8, v10
	v_fmac_f32_e32 v8, v10, v12
	v_div_scale_f32 v3, s[4:5], v8, v8, 1.0
	v_rcp_f32_e32 v4, v3
	s_mov_b32 s4, 0
	s_mov_b32 s5, -1.0
	v_mul_f32_e32 v13, 0, v12
	v_fma_f32 v6, -v3, v4, 1.0
	v_fmac_f32_e32 v4, v6, v4
	v_div_scale_f32 v6, vcc, 1.0, v8, 1.0
	v_mul_f32_e32 v9, v6, v4
	v_fma_f32 v10, -v3, v9, v6
	v_fmac_f32_e32 v9, v10, v4
	v_fma_f32 v3, -v3, v9, v6
	v_div_fmas_f32 v3, v3, v4, v9
	v_div_fixup_f32 v4, v3, v8, 1.0
	v_pk_add_f32 v[8:9], v[12:13], s[4:5]
	s_nop 0
	v_pk_mul_f32 v[12:13], v[8:9], v[4:5] op_sel_hi:[1,0]
.LBB182_87:
	s_or_b64 exec, exec, s[2:3]
	v_cvt_f16_f32_e32 v3, v12
	v_cvt_f16_f32_sdwa v4, v13 dst_sel:WORD_1 dst_unused:UNUSED_PAD src0_sel:DWORD
	s_nop 0
	v_or_b32_e32 v12, v4, v3
.LBB182_88:
	s_or_b64 exec, exec, s[6:7]
	s_waitcnt vmcnt(0)
	v_or_b32_e32 v3, 0x200, v0
	v_cmp_gt_i32_e32 vcc, s23, v3
                                        ; implicit-def: $vgpr10
	s_and_saveexec_b64 s[6:7], vcc
	s_cbranch_execz .LBB182_128
; %bb.89:
	v_cvt_f32_f16_sdwa v8, v7 dst_sel:DWORD dst_unused:UNUSED_PAD src0_sel:WORD_1
	v_mov_b32_e32 v6, 0
	v_cmp_neq_f16_e32 vcc, 0, v7
	v_cmp_neq_f16_sdwa s[2:3], v7, v6 src0_sel:WORD_1 src1_sel:DWORD
	s_or_b64 s[2:3], vcc, s[2:3]
	s_and_saveexec_b64 s[10:11], s[2:3]
	s_cbranch_execz .LBB182_119
; %bb.90:
	v_cvt_f32_f16_e32 v9, v7
	v_mov_b32_e32 v6, 0x7f800000
	v_cmp_neq_f32_e64 s[2:3], |v8|, v6
	s_and_saveexec_b64 s[12:13], s[2:3]
	s_cbranch_execz .LBB182_118
; %bb.91:
	v_cmp_o_f16_e32 vcc, v7, v7
                                        ; implicit-def: $vgpr6
	s_and_saveexec_b64 s[2:3], vcc
	s_xor_b64 s[14:15], exec, s[2:3]
	s_cbranch_execz .LBB182_115
; %bb.92:
	s_mov_b32 s2, 0x7f800000
	v_cmp_neq_f32_e64 s[2:3], |v9|, s2
                                        ; implicit-def: $vgpr6
	s_and_saveexec_b64 s[4:5], s[2:3]
	s_xor_b64 s[16:17], exec, s[4:5]
	s_cbranch_execz .LBB182_108
; %bb.93:
	v_max_f32_e64 v3, |v8|, |v8|
	v_max_f32_e64 v4, |v9|, |v9|
	v_max_f32_e32 v3, v4, v3
	s_mov_b32 s2, 0x7ed413cb
	v_cmp_nle_f32_e64 s[2:3], s2, v3
                                        ; implicit-def: $sgpr18_sgpr19
	s_and_saveexec_b64 s[4:5], s[2:3]
	s_xor_b64 s[4:5], exec, s[4:5]
	s_cbranch_execz .LBB182_97
; %bb.94:
	s_mov_b32 s20, 0x1000000
	v_cmp_le_f32_e64 s[18:19], |v9|, s20
	v_cmp_le_f32_e64 s[20:21], |v8|, s20
	s_and_b64 s[24:25], s[18:19], s[20:21]
	s_mov_b64 s[18:19], 0
	s_and_saveexec_b64 s[20:21], s[24:25]
; %bb.95:
	s_mov_b64 s[18:19], exec
	v_pk_mul_f32 v[8:9], v[8:9], 4.0 op_sel_hi:[1,0]
; %bb.96:
	s_or_b64 exec, exec, s[20:21]
.LBB182_97:
	s_andn2_saveexec_b64 s[4:5], s[4:5]
; %bb.98:
	s_mov_b32 s20, 0x3e800000
	v_pk_mul_f32 v[8:9], v[8:9], s[20:21] op_sel_hi:[1,0]
	s_andn2_b64 s[18:19], s[18:19], exec
; %bb.99:
	s_or_b64 exec, exec, s[4:5]
	v_max_f32_e64 v3, |v8|, |v8|
	v_max_f32_e64 v4, |v9|, |v9|
	v_max_f32_e32 v3, v4, v3
	v_cvt_f64_f32_e32 v[6:7], v3
	v_frexp_exp_i32_f64_e32 v4, v[6:7]
	v_sub_u32_e32 v6, 0, v4
	v_ldexp_f32 v7, |v9|, v6
	v_ldexp_f32 v6, |v8|, v6
	v_mul_f32_e32 v6, v6, v6
	v_fmac_f32_e32 v6, v7, v7
	v_sqrt_f32_e32 v6, v6
	s_mov_b32 s4, 0x7f800000
	v_cmp_neq_f32_e64 s[4:5], s4, v3
	v_cmp_le_f32_e32 vcc, 0, v9
	v_ldexp_f32 v4, v6, v4
	v_mov_b32_e32 v6, 0x7f800000
	v_cndmask_b32_e64 v3, v6, v4, s[4:5]
                                        ; implicit-def: $vgpr10_vgpr11
	s_and_saveexec_b64 s[4:5], vcc
	s_xor_b64 s[20:21], exec, s[4:5]
	s_cbranch_execz .LBB182_101
; %bb.100:
	v_add_f32_e32 v3, v9, v3
	v_mul_f32_e32 v3, 0.5, v3
	s_mov_b32 s4, 0xf800000
	v_mul_f32_e32 v4, 0x4f800000, v3
	v_cmp_gt_f32_e32 vcc, s4, v3
	s_nop 1
	v_cndmask_b32_e32 v3, v3, v4, vcc
	v_sqrt_f32_e32 v4, v3
	s_nop 0
	v_add_u32_e32 v6, -1, v4
	v_fma_f32 v7, -v6, v4, v3
	v_cmp_ge_f32_e64 s[4:5], 0, v7
	v_add_u32_e32 v7, 1, v4
	s_nop 0
	v_cndmask_b32_e64 v6, v4, v6, s[4:5]
	v_fma_f32 v4, -v7, v4, v3
	v_cmp_lt_f32_e64 s[4:5], 0, v4
	s_nop 1
	v_cndmask_b32_e64 v4, v6, v7, s[4:5]
	v_mul_f32_e32 v6, 0x37800000, v4
	v_cndmask_b32_e32 v4, v4, v6, vcc
	v_mov_b32_e32 v6, 0x260
	v_cmp_class_f32_e32 vcc, v3, v6
	s_nop 1
	v_cndmask_b32_e32 v10, v4, v3, vcc
	v_add_f32_e32 v3, v10, v10
	v_div_scale_f32 v4, s[4:5], v3, v3, v8
	v_rcp_f32_e32 v6, v4
	s_nop 0
	v_fma_f32 v7, -v4, v6, 1.0
	v_fmac_f32_e32 v6, v7, v6
	v_div_scale_f32 v7, vcc, v8, v3, v8
	v_mul_f32_e32 v9, v7, v6
	v_fma_f32 v11, -v4, v9, v7
	v_fmac_f32_e32 v9, v11, v6
	v_fma_f32 v4, -v4, v9, v7
	v_div_fmas_f32 v4, v4, v6, v9
	v_div_fixup_f32 v11, v4, v3, v8
                                        ; implicit-def: $vgpr3
                                        ; implicit-def: $vgpr8_vgpr9
	s_andn2_saveexec_b64 s[20:21], s[20:21]
	s_cbranch_execz .LBB182_103
	s_branch .LBB182_102
.LBB182_101:
	s_andn2_saveexec_b64 s[20:21], s[20:21]
	s_cbranch_execz .LBB182_103
.LBB182_102:
	v_sub_f32_e32 v3, v3, v9
	v_mul_f32_e32 v3, 0.5, v3
	s_mov_b32 s4, 0xf800000
	v_mul_f32_e32 v4, 0x4f800000, v3
	v_cmp_gt_f32_e32 vcc, s4, v3
	s_nop 1
	v_cndmask_b32_e32 v3, v3, v4, vcc
	v_sqrt_f32_e32 v4, v3
	s_nop 0
	v_add_u32_e32 v6, -1, v4
	v_fma_f32 v7, -v6, v4, v3
	v_cmp_ge_f32_e64 s[4:5], 0, v7
	v_add_u32_e32 v7, 1, v4
	s_nop 0
	v_cndmask_b32_e64 v6, v4, v6, s[4:5]
	v_fma_f32 v4, -v7, v4, v3
	v_cmp_lt_f32_e64 s[4:5], 0, v4
	s_nop 1
	v_cndmask_b32_e64 v4, v6, v7, s[4:5]
	v_mul_f32_e32 v6, 0x37800000, v4
	v_cndmask_b32_e32 v4, v4, v6, vcc
	v_mov_b32_e32 v6, 0x260
	v_cmp_class_f32_e32 vcc, v3, v6
	v_and_b32_e32 v6, 0x7fffffff, v8
	s_nop 0
	v_cndmask_b32_e32 v3, v4, v3, vcc
	v_add_f32_e32 v4, v3, v3
	v_div_scale_f32 v7, s[4:5], v4, v4, v6
	v_rcp_f32_e32 v9, v7
	v_div_scale_f32 v6, vcc, v6, v4, v6
	s_brev_b32 s4, -2
	v_fma_f32 v10, -v7, v9, 1.0
	v_fmac_f32_e32 v9, v10, v9
	v_mul_f32_e32 v10, v6, v9
	v_fma_f32 v11, -v7, v10, v6
	v_fmac_f32_e32 v10, v11, v9
	v_fma_f32 v6, -v7, v10, v6
	v_div_fmas_f32 v6, v6, v9, v10
	v_div_fixup_f32 v10, v6, v4, |v8|
	v_bfi_b32 v11, s4, v3, v8
.LBB182_103:
	s_or_b64 exec, exec, s[20:21]
                                        ; implicit-def: $vgpr8
                                        ; implicit-def: $vgpr6
	s_and_saveexec_b64 s[4:5], s[2:3]
	s_xor_b64 s[2:3], exec, s[4:5]
	s_cbranch_execz .LBB182_105
; %bb.104:
	v_pk_mul_f32 v[6:7], v[10:11], 0.5 op_sel_hi:[1,0]
	s_nop 0
	v_cndmask_b32_e64 v6, v10, v6, s[18:19]
	v_cndmask_b32_e64 v8, v11, v7, s[18:19]
                                        ; implicit-def: $vgpr10_vgpr11
	s_andn2_saveexec_b64 s[2:3], s[2:3]
	s_cbranch_execnz .LBB182_106
	s_branch .LBB182_107
.LBB182_105:
	s_andn2_saveexec_b64 s[2:3], s[2:3]
.LBB182_106:
	v_pk_add_f32 v[6:7], v[10:11], v[10:11]
	s_nop 0
	v_mov_b32_e32 v8, v7
.LBB182_107:
	s_or_b64 exec, exec, s[2:3]
                                        ; implicit-def: $vgpr7
.LBB182_108:
	s_andn2_saveexec_b64 s[2:3], s[16:17]
	s_cbranch_execz .LBB182_114
; %bb.109:
	v_and_b32_e32 v3, 0x8000, v7
	v_cmp_ne_u32_e32 vcc, 0, v3
	v_sub_f32_e32 v3, v8, v8
                                        ; implicit-def: $vgpr6
	s_and_saveexec_b64 s[4:5], vcc
	s_xor_b64 s[4:5], exec, s[4:5]
; %bb.110:
	s_brev_b32 s16, -2
	v_and_b32_e32 v6, 0x7fffffff, v3
	v_bfi_b32 v8, s16, v9, v8
                                        ; implicit-def: $vgpr3
; %bb.111:
	s_andn2_saveexec_b64 s[4:5], s[4:5]
; %bb.112:
	s_brev_b32 s16, -2
	v_bfi_b32 v8, s16, v3, v8
	v_mov_b32_e32 v6, v9
; %bb.113:
	s_or_b64 exec, exec, s[4:5]
.LBB182_114:
	s_or_b64 exec, exec, s[2:3]
.LBB182_115:
	s_andn2_saveexec_b64 s[2:3], s[14:15]
	s_cbranch_execz .LBB182_117
; %bb.116:
	v_sub_f32_e32 v3, v8, v8
	v_div_scale_f32 v4, vcc, v3, v3, v3
	v_rcp_f32_e32 v6, v4
	s_nop 0
	v_fma_f32 v7, -v4, v6, 1.0
	v_fmac_f32_e32 v6, v7, v6
	v_mul_f32_e32 v7, v4, v6
	v_fma_f32 v8, -v4, v7, v4
	v_fmac_f32_e32 v7, v8, v6
	v_fma_f32 v4, -v4, v7, v4
	v_div_fmas_f32 v4, v4, v6, v7
	v_div_fixup_f32 v8, v4, v3, v3
	v_mov_b32_e32 v6, v9
.LBB182_117:
	s_or_b64 exec, exec, s[2:3]
.LBB182_118:
	s_or_b64 exec, exec, s[12:13]
.LBB182_119:
	s_or_b64 exec, exec, s[10:11]
	v_cmp_gt_f32_e32 vcc, 0, v8
                                        ; implicit-def: $vgpr10_vgpr11
	s_nop 1
	v_cndmask_b32_e64 v4, v8, -v8, vcc
	v_cmp_gt_f32_e32 vcc, 0, v6
	s_nop 1
	v_cndmask_b32_e64 v3, v6, -v6, vcc
	v_cmp_ge_f32_e32 vcc, v3, v4
	s_and_saveexec_b64 s[2:3], vcc
	s_xor_b64 s[4:5], exec, s[2:3]
	s_cbranch_execz .LBB182_125
; %bb.120:
	v_cmp_neq_f32_e32 vcc, 0, v6
	v_cmp_neq_f32_e64 s[2:3], 0, v8
	s_or_b64 s[2:3], vcc, s[2:3]
                                        ; implicit-def: $vgpr10_vgpr11
	s_and_saveexec_b64 s[10:11], s[2:3]
	s_xor_b64 s[2:3], exec, s[10:11]
	s_cbranch_execz .LBB182_122
; %bb.121:
	v_div_scale_f32 v3, s[10:11], v6, v6, v8
	v_rcp_f32_e32 v4, v3
	v_div_scale_f32 v7, vcc, v8, v6, v8
	v_fma_f32 v9, -v3, v4, 1.0
	v_fmac_f32_e32 v4, v9, v4
	v_mul_f32_e32 v9, v7, v4
	v_fma_f32 v10, -v3, v9, v7
	v_fmac_f32_e32 v9, v10, v4
	v_fma_f32 v3, -v3, v9, v7
	v_div_fmas_f32 v3, v3, v4, v9
	v_div_fixup_f32 v3, v3, v6, v8
	v_fmac_f32_e32 v6, v8, v3
	v_div_scale_f32 v4, s[10:11], v6, v6, 1.0
	v_rcp_f32_e32 v7, v4
	s_nop 0
	v_fma_f32 v8, -v4, v7, 1.0
	v_fmac_f32_e32 v7, v8, v7
	v_div_scale_f32 v8, vcc, 1.0, v6, 1.0
	v_mul_f32_e32 v9, v8, v7
	v_fma_f32 v10, -v4, v9, v8
	v_fmac_f32_e32 v9, v10, v7
	v_fma_f32 v4, -v4, v9, v8
	v_div_fmas_f32 v4, v4, v7, v9
	v_div_fixup_f32 v4, v4, v6, 1.0
	v_mul_f32_e32 v6, 0, v3
	v_add_f32_e32 v6, 1.0, v6
	v_sub_f32_e32 v7, 0, v3
	v_pk_mul_f32 v[10:11], v[6:7], v[4:5] op_sel_hi:[1,0]
                                        ; implicit-def: $vgpr4
                                        ; implicit-def: $vgpr3
.LBB182_122:
	s_andn2_saveexec_b64 s[2:3], s[2:3]
	s_cbranch_execz .LBB182_124
; %bb.123:
	v_div_scale_f32 v6, s[10:11], v4, v4, 0
	v_rcp_f32_e32 v7, v6
	v_div_scale_f32 v8, vcc, 0, v4, 0
	v_fma_f32 v9, -v6, v7, 1.0
	v_fmac_f32_e32 v7, v9, v7
	v_mul_f32_e32 v9, v8, v7
	v_fma_f32 v10, -v6, v9, v8
	v_fmac_f32_e32 v9, v10, v7
	v_fma_f32 v6, -v6, v9, v8
	v_div_scale_f32 v8, s[10:11], v3, v3, 1.0
	v_rcp_f32_e32 v10, v8
	v_div_fmas_f32 v6, v6, v7, v9
	v_div_fixup_f32 v11, v6, v4, 0
	v_fma_f32 v4, -v8, v10, 1.0
	v_fmac_f32_e32 v10, v4, v10
	v_div_scale_f32 v4, vcc, 1.0, v3, 1.0
	v_mul_f32_e32 v6, v4, v10
	v_fma_f32 v7, -v8, v6, v4
	v_fmac_f32_e32 v6, v7, v10
	v_fma_f32 v4, -v8, v6, v4
	v_div_fmas_f32 v4, v4, v10, v6
	v_div_fixup_f32 v10, v4, v3, 1.0
.LBB182_124:
	s_or_b64 exec, exec, s[2:3]
                                        ; implicit-def: $vgpr8
                                        ; implicit-def: $vgpr6
.LBB182_125:
	s_andn2_saveexec_b64 s[2:3], s[4:5]
	s_cbranch_execz .LBB182_127
; %bb.126:
	v_div_scale_f32 v3, s[4:5], v8, v8, v6
	v_rcp_f32_e32 v4, v3
	v_div_scale_f32 v7, vcc, v6, v8, v6
	v_fma_f32 v9, -v3, v4, 1.0
	v_fmac_f32_e32 v4, v9, v4
	v_mul_f32_e32 v9, v7, v4
	v_fma_f32 v10, -v3, v9, v7
	v_fmac_f32_e32 v9, v10, v4
	v_fma_f32 v3, -v3, v9, v7
	v_div_fmas_f32 v3, v3, v4, v9
	v_div_fixup_f32 v10, v3, v8, v6
	v_fmac_f32_e32 v8, v6, v10
	v_div_scale_f32 v3, s[4:5], v8, v8, 1.0
	v_rcp_f32_e32 v4, v3
	s_mov_b32 s4, 0
	s_mov_b32 s5, -1.0
	v_mul_f32_e32 v11, 0, v10
	v_fma_f32 v6, -v3, v4, 1.0
	v_fmac_f32_e32 v4, v6, v4
	v_div_scale_f32 v6, vcc, 1.0, v8, 1.0
	v_mul_f32_e32 v7, v6, v4
	v_fma_f32 v9, -v3, v7, v6
	v_fmac_f32_e32 v7, v9, v4
	v_fma_f32 v3, -v3, v7, v6
	v_div_fmas_f32 v3, v3, v4, v7
	v_div_fixup_f32 v4, v3, v8, 1.0
	v_pk_add_f32 v[6:7], v[10:11], s[4:5]
	s_nop 0
	v_pk_mul_f32 v[10:11], v[6:7], v[4:5] op_sel_hi:[1,0]
.LBB182_127:
	s_or_b64 exec, exec, s[2:3]
	v_cvt_f16_f32_e32 v3, v10
	v_cvt_f16_f32_sdwa v4, v11 dst_sel:WORD_1 dst_unused:UNUSED_PAD src0_sel:DWORD
	s_nop 0
	v_or_b32_e32 v10, v4, v3
.LBB182_128:
	s_or_b64 exec, exec, s[6:7]
	v_or_b32_e32 v3, 0x300, v0
	v_cmp_gt_i32_e32 vcc, s23, v3
                                        ; implicit-def: $vgpr4
	s_and_saveexec_b64 s[6:7], vcc
	s_cbranch_execz .LBB182_141
; %bb.129:
	v_cvt_f32_f16_sdwa v6, v5 dst_sel:DWORD dst_unused:UNUSED_PAD src0_sel:WORD_1
	v_mov_b32_e32 v4, 0
	v_cmp_neq_f16_e32 vcc, 0, v5
	v_cmp_neq_f16_sdwa s[2:3], v5, v4 src0_sel:WORD_1 src1_sel:DWORD
	s_or_b64 s[2:3], vcc, s[2:3]
	s_and_saveexec_b64 s[10:11], s[2:3]
	s_cbranch_execz .LBB182_164
; %bb.130:
	v_cvt_f32_f16_e32 v7, v5
	v_mov_b32_e32 v4, 0x7f800000
	v_cmp_neq_f32_e64 s[2:3], |v6|, v4
	s_and_saveexec_b64 s[12:13], s[2:3]
	s_cbranch_execz .LBB182_163
; %bb.131:
	v_cmp_o_f16_e32 vcc, v5, v5
                                        ; implicit-def: $vgpr4
	s_and_saveexec_b64 s[2:3], vcc
	s_xor_b64 s[14:15], exec, s[2:3]
	s_cbranch_execz .LBB182_160
; %bb.132:
	s_mov_b32 s2, 0x7f800000
	v_cmp_neq_f32_e64 s[2:3], |v7|, s2
                                        ; implicit-def: $vgpr4
	s_and_saveexec_b64 s[4:5], s[2:3]
	s_xor_b64 s[16:17], exec, s[4:5]
	s_cbranch_execz .LBB182_153
; %bb.133:
	v_max_f32_e64 v3, |v6|, |v6|
	v_max_f32_e64 v4, |v7|, |v7|
	v_max_f32_e32 v3, v4, v3
	s_mov_b32 s2, 0x7ed413cb
	v_cmp_nle_f32_e64 s[2:3], s2, v3
                                        ; implicit-def: $sgpr18_sgpr19
	s_and_saveexec_b64 s[4:5], s[2:3]
	s_xor_b64 s[4:5], exec, s[4:5]
	s_cbranch_execz .LBB182_137
; %bb.134:
	s_mov_b32 s20, 0x1000000
	v_cmp_le_f32_e64 s[18:19], |v7|, s20
	v_cmp_le_f32_e64 s[20:21], |v6|, s20
	s_and_b64 s[24:25], s[18:19], s[20:21]
	s_mov_b64 s[18:19], 0
	s_and_saveexec_b64 s[20:21], s[24:25]
; %bb.135:
	s_mov_b64 s[18:19], exec
	v_pk_mul_f32 v[6:7], v[6:7], 4.0 op_sel_hi:[1,0]
; %bb.136:
	s_or_b64 exec, exec, s[20:21]
.LBB182_137:
	s_andn2_saveexec_b64 s[4:5], s[4:5]
; %bb.138:
	s_mov_b32 s20, 0x3e800000
	v_pk_mul_f32 v[6:7], v[6:7], s[20:21] op_sel_hi:[1,0]
	s_andn2_b64 s[18:19], s[18:19], exec
; %bb.139:
	s_or_b64 exec, exec, s[4:5]
	v_max_f32_e64 v3, |v6|, |v6|
	v_max_f32_e64 v4, |v7|, |v7|
	v_max_f32_e32 v3, v4, v3
	v_cvt_f64_f32_e32 v[4:5], v3
	v_frexp_exp_i32_f64_e32 v4, v[4:5]
	v_sub_u32_e32 v5, 0, v4
	v_ldexp_f32 v8, |v7|, v5
	v_ldexp_f32 v5, |v6|, v5
	v_mul_f32_e32 v5, v5, v5
	v_fmac_f32_e32 v5, v8, v8
	v_sqrt_f32_e32 v5, v5
	s_mov_b32 s4, 0x7f800000
	v_cmp_neq_f32_e64 s[4:5], s4, v3
	v_cmp_le_f32_e32 vcc, 0, v7
	v_ldexp_f32 v4, v5, v4
	v_mov_b32_e32 v5, 0x7f800000
	v_cndmask_b32_e64 v3, v5, v4, s[4:5]
                                        ; implicit-def: $vgpr8_vgpr9
	s_and_saveexec_b64 s[4:5], vcc
	s_xor_b64 s[20:21], exec, s[4:5]
	s_cbranch_execz .LBB182_146
; %bb.140:
	v_add_f32_e32 v3, v7, v3
	v_mul_f32_e32 v3, 0.5, v3
	s_mov_b32 s4, 0xf800000
	v_mul_f32_e32 v4, 0x4f800000, v3
	v_cmp_gt_f32_e32 vcc, s4, v3
	s_nop 1
	v_cndmask_b32_e32 v3, v3, v4, vcc
	v_sqrt_f32_e32 v4, v3
	s_nop 0
	v_add_u32_e32 v5, -1, v4
	v_fma_f32 v7, -v5, v4, v3
	v_cmp_ge_f32_e64 s[4:5], 0, v7
	v_add_u32_e32 v7, 1, v4
	s_nop 0
	v_cndmask_b32_e64 v5, v4, v5, s[4:5]
	v_fma_f32 v4, -v7, v4, v3
	v_cmp_lt_f32_e64 s[4:5], 0, v4
	s_nop 1
	v_cndmask_b32_e64 v4, v5, v7, s[4:5]
	v_mul_f32_e32 v5, 0x37800000, v4
	v_cndmask_b32_e32 v4, v4, v5, vcc
	v_mov_b32_e32 v5, 0x260
	v_cmp_class_f32_e32 vcc, v3, v5
	s_nop 1
	v_cndmask_b32_e32 v8, v4, v3, vcc
	v_add_f32_e32 v3, v8, v8
	v_div_scale_f32 v4, s[4:5], v3, v3, v6
	v_rcp_f32_e32 v5, v4
	s_nop 0
	v_fma_f32 v7, -v4, v5, 1.0
	v_fmac_f32_e32 v5, v7, v5
	v_div_scale_f32 v7, vcc, v6, v3, v6
	v_mul_f32_e32 v9, v7, v5
	v_fma_f32 v11, -v4, v9, v7
	v_fmac_f32_e32 v9, v11, v5
	v_fma_f32 v4, -v4, v9, v7
	v_div_fmas_f32 v4, v4, v5, v9
	v_div_fixup_f32 v9, v4, v3, v6
                                        ; implicit-def: $vgpr3
                                        ; implicit-def: $vgpr6_vgpr7
	s_andn2_saveexec_b64 s[20:21], s[20:21]
	s_cbranch_execz .LBB182_148
	s_branch .LBB182_147
.LBB182_141:
	s_or_b64 exec, exec, s[6:7]
	s_and_saveexec_b64 s[2:3], s[0:1]
	s_xor_b64 s[0:1], exec, s[2:3]
	s_cbranch_execz .LBB182_173
.LBB182_142:
	v_mov_b32_e32 v3, 0
	v_lshl_add_u64 v[2:3], v[2:3], 2, s[8:9]
	v_mov_b32_e32 v0, v14
	global_store_dword v[2:3], v1, off
	s_or_b64 exec, exec, s[0:1]
	v_cmp_gt_i32_e32 vcc, s23, v0
	s_and_saveexec_b64 s[0:1], vcc
	s_cbranch_execnz .LBB182_174
.LBB182_143:
	s_or_b64 exec, exec, s[0:1]
	v_cmp_gt_i32_e32 vcc, s23, v0
	s_and_saveexec_b64 s[0:1], vcc
	s_cbranch_execz .LBB182_175
.LBB182_144:
	v_add_u32_e32 v2, 0x100, v0
	v_add_u32_e32 v0, s22, v0
	v_mov_b32_e32 v1, 0
	v_lshl_add_u64 v[0:1], v[0:1], 2, s[8:9]
	global_store_dword v[0:1], v10, off
	v_mov_b32_e32 v0, v2
	s_or_b64 exec, exec, s[0:1]
	v_cmp_gt_i32_e32 vcc, s23, v0
	s_and_saveexec_b64 s[0:1], vcc
	s_cbranch_execnz .LBB182_176
.LBB182_145:
	s_endpgm
.LBB182_146:
	s_andn2_saveexec_b64 s[20:21], s[20:21]
	s_cbranch_execz .LBB182_148
.LBB182_147:
	v_sub_f32_e32 v3, v3, v7
	v_mul_f32_e32 v3, 0.5, v3
	s_mov_b32 s4, 0xf800000
	v_mul_f32_e32 v4, 0x4f800000, v3
	v_cmp_gt_f32_e32 vcc, s4, v3
	s_nop 1
	v_cndmask_b32_e32 v3, v3, v4, vcc
	v_sqrt_f32_e32 v4, v3
	s_nop 0
	v_add_u32_e32 v5, -1, v4
	v_fma_f32 v7, -v5, v4, v3
	v_cmp_ge_f32_e64 s[4:5], 0, v7
	v_add_u32_e32 v7, 1, v4
	s_nop 0
	v_cndmask_b32_e64 v5, v4, v5, s[4:5]
	v_fma_f32 v4, -v7, v4, v3
	v_cmp_lt_f32_e64 s[4:5], 0, v4
	s_nop 1
	v_cndmask_b32_e64 v4, v5, v7, s[4:5]
	v_mul_f32_e32 v5, 0x37800000, v4
	v_cndmask_b32_e32 v4, v4, v5, vcc
	v_mov_b32_e32 v5, 0x260
	v_cmp_class_f32_e32 vcc, v3, v5
	v_and_b32_e32 v5, 0x7fffffff, v6
	s_nop 0
	v_cndmask_b32_e32 v3, v4, v3, vcc
	v_add_f32_e32 v4, v3, v3
	v_div_scale_f32 v7, s[4:5], v4, v4, v5
	v_rcp_f32_e32 v8, v7
	v_div_scale_f32 v5, vcc, v5, v4, v5
	s_brev_b32 s4, -2
	v_fma_f32 v9, -v7, v8, 1.0
	v_fmac_f32_e32 v8, v9, v8
	v_mul_f32_e32 v9, v5, v8
	v_fma_f32 v11, -v7, v9, v5
	v_fmac_f32_e32 v9, v11, v8
	v_fma_f32 v5, -v7, v9, v5
	v_div_fmas_f32 v5, v5, v8, v9
	v_div_fixup_f32 v8, v5, v4, |v6|
	v_bfi_b32 v9, s4, v3, v6
.LBB182_148:
	s_or_b64 exec, exec, s[20:21]
                                        ; implicit-def: $vgpr6
                                        ; implicit-def: $vgpr4
	s_and_saveexec_b64 s[4:5], s[2:3]
	s_xor_b64 s[2:3], exec, s[4:5]
	s_cbranch_execz .LBB182_150
; %bb.149:
	v_pk_mul_f32 v[4:5], v[8:9], 0.5 op_sel_hi:[1,0]
	s_nop 0
	v_cndmask_b32_e64 v4, v8, v4, s[18:19]
	v_cndmask_b32_e64 v6, v9, v5, s[18:19]
                                        ; implicit-def: $vgpr8_vgpr9
	s_andn2_saveexec_b64 s[2:3], s[2:3]
	s_cbranch_execnz .LBB182_151
	s_branch .LBB182_152
.LBB182_150:
	s_andn2_saveexec_b64 s[2:3], s[2:3]
.LBB182_151:
	v_pk_add_f32 v[4:5], v[8:9], v[8:9]
	s_nop 0
	v_mov_b32_e32 v6, v5
.LBB182_152:
	s_or_b64 exec, exec, s[2:3]
                                        ; implicit-def: $vgpr5
.LBB182_153:
	s_andn2_saveexec_b64 s[2:3], s[16:17]
	s_cbranch_execz .LBB182_159
; %bb.154:
	v_and_b32_e32 v3, 0x8000, v5
	v_cmp_ne_u32_e32 vcc, 0, v3
	v_sub_f32_e32 v3, v6, v6
                                        ; implicit-def: $vgpr4
	s_and_saveexec_b64 s[4:5], vcc
	s_xor_b64 s[4:5], exec, s[4:5]
; %bb.155:
	s_brev_b32 s16, -2
	v_and_b32_e32 v4, 0x7fffffff, v3
	v_bfi_b32 v6, s16, v7, v6
                                        ; implicit-def: $vgpr3
; %bb.156:
	s_andn2_saveexec_b64 s[4:5], s[4:5]
; %bb.157:
	s_brev_b32 s16, -2
	v_bfi_b32 v6, s16, v3, v6
	v_mov_b32_e32 v4, v7
; %bb.158:
	s_or_b64 exec, exec, s[4:5]
.LBB182_159:
	s_or_b64 exec, exec, s[2:3]
.LBB182_160:
	s_andn2_saveexec_b64 s[2:3], s[14:15]
	s_cbranch_execz .LBB182_162
; %bb.161:
	v_sub_f32_e32 v3, v6, v6
	v_div_scale_f32 v4, vcc, v3, v3, v3
	v_rcp_f32_e32 v5, v4
	s_nop 0
	v_fma_f32 v6, -v4, v5, 1.0
	v_fmac_f32_e32 v5, v6, v5
	v_mul_f32_e32 v6, v4, v5
	v_fma_f32 v8, -v4, v6, v4
	v_fmac_f32_e32 v6, v8, v5
	v_fma_f32 v4, -v4, v6, v4
	v_div_fmas_f32 v4, v4, v5, v6
	v_div_fixup_f32 v6, v4, v3, v3
	v_mov_b32_e32 v4, v7
.LBB182_162:
	s_or_b64 exec, exec, s[2:3]
.LBB182_163:
	s_or_b64 exec, exec, s[12:13]
.LBB182_164:
	s_or_b64 exec, exec, s[10:11]
	v_cmp_gt_f32_e32 vcc, 0, v6
                                        ; implicit-def: $vgpr8_vgpr9
	s_nop 1
	v_cndmask_b32_e64 v5, v6, -v6, vcc
	v_cmp_gt_f32_e32 vcc, 0, v4
	s_nop 1
	v_cndmask_b32_e64 v3, v4, -v4, vcc
	v_cmp_ge_f32_e32 vcc, v3, v5
	s_and_saveexec_b64 s[2:3], vcc
	s_xor_b64 s[4:5], exec, s[2:3]
	s_cbranch_execz .LBB182_170
; %bb.165:
	v_cmp_neq_f32_e32 vcc, 0, v4
	v_cmp_neq_f32_e64 s[2:3], 0, v6
	s_or_b64 s[2:3], vcc, s[2:3]
                                        ; implicit-def: $vgpr8_vgpr9
	s_and_saveexec_b64 s[10:11], s[2:3]
	s_xor_b64 s[2:3], exec, s[10:11]
	s_cbranch_execz .LBB182_167
; %bb.166:
	v_div_scale_f32 v3, s[10:11], v4, v4, v6
	v_rcp_f32_e32 v5, v3
	v_div_scale_f32 v7, vcc, v6, v4, v6
	v_fma_f32 v8, -v3, v5, 1.0
	v_fmac_f32_e32 v5, v8, v5
	v_mul_f32_e32 v8, v7, v5
	v_fma_f32 v9, -v3, v8, v7
	v_fmac_f32_e32 v8, v9, v5
	v_fma_f32 v3, -v3, v8, v7
	v_div_fmas_f32 v3, v3, v5, v8
	v_div_fixup_f32 v3, v3, v4, v6
	v_fmac_f32_e32 v4, v6, v3
	v_div_scale_f32 v5, s[10:11], v4, v4, 1.0
	v_rcp_f32_e32 v6, v5
	s_nop 0
	v_fma_f32 v7, -v5, v6, 1.0
	v_fmac_f32_e32 v6, v7, v6
	v_div_scale_f32 v7, vcc, 1.0, v4, 1.0
	v_mul_f32_e32 v8, v7, v6
	v_fma_f32 v9, -v5, v8, v7
	v_fmac_f32_e32 v8, v9, v6
	v_fma_f32 v5, -v5, v8, v7
	v_div_fmas_f32 v5, v5, v6, v8
	v_div_fixup_f32 v4, v5, v4, 1.0
	v_mul_f32_e32 v5, 0, v3
	v_add_f32_e32 v6, 1.0, v5
	v_sub_f32_e32 v7, 0, v3
	v_pk_mul_f32 v[8:9], v[6:7], v[4:5] op_sel_hi:[1,0]
                                        ; implicit-def: $vgpr5
                                        ; implicit-def: $vgpr3
.LBB182_167:
	s_andn2_saveexec_b64 s[2:3], s[2:3]
	s_cbranch_execz .LBB182_169
; %bb.168:
	v_div_scale_f32 v4, s[10:11], v5, v5, 0
	v_rcp_f32_e32 v6, v4
	v_div_scale_f32 v7, vcc, 0, v5, 0
	v_fma_f32 v8, -v4, v6, 1.0
	v_fmac_f32_e32 v6, v8, v6
	v_mul_f32_e32 v8, v7, v6
	v_fma_f32 v9, -v4, v8, v7
	v_fmac_f32_e32 v8, v9, v6
	v_fma_f32 v4, -v4, v8, v7
	v_div_scale_f32 v7, s[10:11], v3, v3, 1.0
	v_rcp_f32_e32 v11, v7
	v_div_fmas_f32 v4, v4, v6, v8
	v_div_fixup_f32 v9, v4, v5, 0
	v_fma_f32 v4, -v7, v11, 1.0
	v_fmac_f32_e32 v11, v4, v11
	v_div_scale_f32 v4, vcc, 1.0, v3, 1.0
	v_mul_f32_e32 v5, v4, v11
	v_fma_f32 v6, -v7, v5, v4
	v_fmac_f32_e32 v5, v6, v11
	v_fma_f32 v4, -v7, v5, v4
	v_div_fmas_f32 v4, v4, v11, v5
	v_div_fixup_f32 v8, v4, v3, 1.0
.LBB182_169:
	s_or_b64 exec, exec, s[2:3]
                                        ; implicit-def: $vgpr6
                                        ; implicit-def: $vgpr4
.LBB182_170:
	s_andn2_saveexec_b64 s[2:3], s[4:5]
	s_cbranch_execz .LBB182_172
; %bb.171:
	v_div_scale_f32 v3, s[4:5], v6, v6, v4
	v_rcp_f32_e32 v5, v3
	v_div_scale_f32 v7, vcc, v4, v6, v4
	v_fma_f32 v8, -v3, v5, 1.0
	v_fmac_f32_e32 v5, v8, v5
	v_mul_f32_e32 v8, v7, v5
	v_fma_f32 v9, -v3, v8, v7
	v_fmac_f32_e32 v8, v9, v5
	v_fma_f32 v3, -v3, v8, v7
	v_div_fmas_f32 v3, v3, v5, v8
	v_div_fixup_f32 v8, v3, v6, v4
	v_fmac_f32_e32 v6, v4, v8
	v_div_scale_f32 v3, s[4:5], v6, v6, 1.0
	v_rcp_f32_e32 v4, v3
	s_mov_b32 s4, 0
	s_mov_b32 s5, -1.0
	v_fma_f32 v5, -v3, v4, 1.0
	v_fmac_f32_e32 v4, v5, v4
	v_div_scale_f32 v5, vcc, 1.0, v6, 1.0
	v_mul_f32_e32 v7, v5, v4
	v_fma_f32 v9, -v3, v7, v5
	v_fmac_f32_e32 v7, v9, v4
	v_fma_f32 v3, -v3, v7, v5
	v_div_fmas_f32 v3, v3, v4, v7
	v_mul_f32_e32 v9, 0, v8
	v_div_fixup_f32 v4, v3, v6, 1.0
	v_pk_add_f32 v[6:7], v[8:9], s[4:5]
	s_nop 0
	v_pk_mul_f32 v[8:9], v[6:7], v[4:5] op_sel_hi:[1,0]
.LBB182_172:
	s_or_b64 exec, exec, s[2:3]
	v_cvt_f16_f32_e32 v3, v8
	v_cvt_f16_f32_sdwa v4, v9 dst_sel:WORD_1 dst_unused:UNUSED_PAD src0_sel:DWORD
	s_nop 0
	v_or_b32_e32 v4, v4, v3
	s_or_b64 exec, exec, s[6:7]
	s_and_saveexec_b64 s[2:3], s[0:1]
	s_xor_b64 s[0:1], exec, s[2:3]
	s_cbranch_execnz .LBB182_142
.LBB182_173:
	s_or_b64 exec, exec, s[0:1]
	v_cmp_gt_i32_e32 vcc, s23, v0
	s_and_saveexec_b64 s[0:1], vcc
	s_cbranch_execz .LBB182_143
.LBB182_174:
	v_add_u32_e32 v2, 0x100, v0
	v_add_u32_e32 v0, s22, v0
	v_mov_b32_e32 v1, 0
	v_lshl_add_u64 v[0:1], v[0:1], 2, s[8:9]
	global_store_dword v[0:1], v12, off
	v_mov_b32_e32 v0, v2
	s_or_b64 exec, exec, s[0:1]
	v_cmp_gt_i32_e32 vcc, s23, v0
	s_and_saveexec_b64 s[0:1], vcc
	s_cbranch_execnz .LBB182_144
.LBB182_175:
	s_or_b64 exec, exec, s[0:1]
	v_cmp_gt_i32_e32 vcc, s23, v0
	s_and_saveexec_b64 s[0:1], vcc
	s_cbranch_execz .LBB182_145
.LBB182_176:
	v_add_u32_e32 v0, s22, v0
	v_mov_b32_e32 v1, 0
	v_lshl_add_u64 v[0:1], v[0:1], 2, s[8:9]
	global_store_dword v[0:1], v4, off
	s_endpgm
	.section	.rodata,"a",@progbits
	.p2align	6, 0x0
	.amdhsa_kernel _ZN2at6native27unrolled_elementwise_kernelIZZZNS0_17rsqrt_kernel_cudaERNS_18TensorIteratorBaseEENKUlvE_clEvENKUlvE1_clEvEUlN3c107complexINS6_4HalfEEEE_St5arrayIPcLm2EELi4E23TrivialOffsetCalculatorILi1EjESF_NS0_6memory15LoadWithoutCastENSG_16StoreWithoutCastEEEviT_T0_T2_T3_T4_T5_
		.amdhsa_group_segment_fixed_size 0
		.amdhsa_private_segment_fixed_size 0
		.amdhsa_kernarg_size 28
		.amdhsa_user_sgpr_count 2
		.amdhsa_user_sgpr_dispatch_ptr 0
		.amdhsa_user_sgpr_queue_ptr 0
		.amdhsa_user_sgpr_kernarg_segment_ptr 1
		.amdhsa_user_sgpr_dispatch_id 0
		.amdhsa_user_sgpr_kernarg_preload_length 0
		.amdhsa_user_sgpr_kernarg_preload_offset 0
		.amdhsa_user_sgpr_private_segment_size 0
		.amdhsa_uses_dynamic_stack 0
		.amdhsa_enable_private_segment 0
		.amdhsa_system_sgpr_workgroup_id_x 1
		.amdhsa_system_sgpr_workgroup_id_y 0
		.amdhsa_system_sgpr_workgroup_id_z 0
		.amdhsa_system_sgpr_workgroup_info 0
		.amdhsa_system_vgpr_workitem_id 0
		.amdhsa_next_free_vgpr 15
		.amdhsa_next_free_sgpr 26
		.amdhsa_accum_offset 16
		.amdhsa_reserve_vcc 1
		.amdhsa_float_round_mode_32 0
		.amdhsa_float_round_mode_16_64 0
		.amdhsa_float_denorm_mode_32 3
		.amdhsa_float_denorm_mode_16_64 3
		.amdhsa_dx10_clamp 1
		.amdhsa_ieee_mode 1
		.amdhsa_fp16_overflow 0
		.amdhsa_tg_split 0
		.amdhsa_exception_fp_ieee_invalid_op 0
		.amdhsa_exception_fp_denorm_src 0
		.amdhsa_exception_fp_ieee_div_zero 0
		.amdhsa_exception_fp_ieee_overflow 0
		.amdhsa_exception_fp_ieee_underflow 0
		.amdhsa_exception_fp_ieee_inexact 0
		.amdhsa_exception_int_div_zero 0
	.end_amdhsa_kernel
	.section	.text._ZN2at6native27unrolled_elementwise_kernelIZZZNS0_17rsqrt_kernel_cudaERNS_18TensorIteratorBaseEENKUlvE_clEvENKUlvE1_clEvEUlN3c107complexINS6_4HalfEEEE_St5arrayIPcLm2EELi4E23TrivialOffsetCalculatorILi1EjESF_NS0_6memory15LoadWithoutCastENSG_16StoreWithoutCastEEEviT_T0_T2_T3_T4_T5_,"axG",@progbits,_ZN2at6native27unrolled_elementwise_kernelIZZZNS0_17rsqrt_kernel_cudaERNS_18TensorIteratorBaseEENKUlvE_clEvENKUlvE1_clEvEUlN3c107complexINS6_4HalfEEEE_St5arrayIPcLm2EELi4E23TrivialOffsetCalculatorILi1EjESF_NS0_6memory15LoadWithoutCastENSG_16StoreWithoutCastEEEviT_T0_T2_T3_T4_T5_,comdat
.Lfunc_end182:
	.size	_ZN2at6native27unrolled_elementwise_kernelIZZZNS0_17rsqrt_kernel_cudaERNS_18TensorIteratorBaseEENKUlvE_clEvENKUlvE1_clEvEUlN3c107complexINS6_4HalfEEEE_St5arrayIPcLm2EELi4E23TrivialOffsetCalculatorILi1EjESF_NS0_6memory15LoadWithoutCastENSG_16StoreWithoutCastEEEviT_T0_T2_T3_T4_T5_, .Lfunc_end182-_ZN2at6native27unrolled_elementwise_kernelIZZZNS0_17rsqrt_kernel_cudaERNS_18TensorIteratorBaseEENKUlvE_clEvENKUlvE1_clEvEUlN3c107complexINS6_4HalfEEEE_St5arrayIPcLm2EELi4E23TrivialOffsetCalculatorILi1EjESF_NS0_6memory15LoadWithoutCastENSG_16StoreWithoutCastEEEviT_T0_T2_T3_T4_T5_
                                        ; -- End function
	.set _ZN2at6native27unrolled_elementwise_kernelIZZZNS0_17rsqrt_kernel_cudaERNS_18TensorIteratorBaseEENKUlvE_clEvENKUlvE1_clEvEUlN3c107complexINS6_4HalfEEEE_St5arrayIPcLm2EELi4E23TrivialOffsetCalculatorILi1EjESF_NS0_6memory15LoadWithoutCastENSG_16StoreWithoutCastEEEviT_T0_T2_T3_T4_T5_.num_vgpr, 15
	.set _ZN2at6native27unrolled_elementwise_kernelIZZZNS0_17rsqrt_kernel_cudaERNS_18TensorIteratorBaseEENKUlvE_clEvENKUlvE1_clEvEUlN3c107complexINS6_4HalfEEEE_St5arrayIPcLm2EELi4E23TrivialOffsetCalculatorILi1EjESF_NS0_6memory15LoadWithoutCastENSG_16StoreWithoutCastEEEviT_T0_T2_T3_T4_T5_.num_agpr, 0
	.set _ZN2at6native27unrolled_elementwise_kernelIZZZNS0_17rsqrt_kernel_cudaERNS_18TensorIteratorBaseEENKUlvE_clEvENKUlvE1_clEvEUlN3c107complexINS6_4HalfEEEE_St5arrayIPcLm2EELi4E23TrivialOffsetCalculatorILi1EjESF_NS0_6memory15LoadWithoutCastENSG_16StoreWithoutCastEEEviT_T0_T2_T3_T4_T5_.numbered_sgpr, 26
	.set _ZN2at6native27unrolled_elementwise_kernelIZZZNS0_17rsqrt_kernel_cudaERNS_18TensorIteratorBaseEENKUlvE_clEvENKUlvE1_clEvEUlN3c107complexINS6_4HalfEEEE_St5arrayIPcLm2EELi4E23TrivialOffsetCalculatorILi1EjESF_NS0_6memory15LoadWithoutCastENSG_16StoreWithoutCastEEEviT_T0_T2_T3_T4_T5_.num_named_barrier, 0
	.set _ZN2at6native27unrolled_elementwise_kernelIZZZNS0_17rsqrt_kernel_cudaERNS_18TensorIteratorBaseEENKUlvE_clEvENKUlvE1_clEvEUlN3c107complexINS6_4HalfEEEE_St5arrayIPcLm2EELi4E23TrivialOffsetCalculatorILi1EjESF_NS0_6memory15LoadWithoutCastENSG_16StoreWithoutCastEEEviT_T0_T2_T3_T4_T5_.private_seg_size, 0
	.set _ZN2at6native27unrolled_elementwise_kernelIZZZNS0_17rsqrt_kernel_cudaERNS_18TensorIteratorBaseEENKUlvE_clEvENKUlvE1_clEvEUlN3c107complexINS6_4HalfEEEE_St5arrayIPcLm2EELi4E23TrivialOffsetCalculatorILi1EjESF_NS0_6memory15LoadWithoutCastENSG_16StoreWithoutCastEEEviT_T0_T2_T3_T4_T5_.uses_vcc, 1
	.set _ZN2at6native27unrolled_elementwise_kernelIZZZNS0_17rsqrt_kernel_cudaERNS_18TensorIteratorBaseEENKUlvE_clEvENKUlvE1_clEvEUlN3c107complexINS6_4HalfEEEE_St5arrayIPcLm2EELi4E23TrivialOffsetCalculatorILi1EjESF_NS0_6memory15LoadWithoutCastENSG_16StoreWithoutCastEEEviT_T0_T2_T3_T4_T5_.uses_flat_scratch, 0
	.set _ZN2at6native27unrolled_elementwise_kernelIZZZNS0_17rsqrt_kernel_cudaERNS_18TensorIteratorBaseEENKUlvE_clEvENKUlvE1_clEvEUlN3c107complexINS6_4HalfEEEE_St5arrayIPcLm2EELi4E23TrivialOffsetCalculatorILi1EjESF_NS0_6memory15LoadWithoutCastENSG_16StoreWithoutCastEEEviT_T0_T2_T3_T4_T5_.has_dyn_sized_stack, 0
	.set _ZN2at6native27unrolled_elementwise_kernelIZZZNS0_17rsqrt_kernel_cudaERNS_18TensorIteratorBaseEENKUlvE_clEvENKUlvE1_clEvEUlN3c107complexINS6_4HalfEEEE_St5arrayIPcLm2EELi4E23TrivialOffsetCalculatorILi1EjESF_NS0_6memory15LoadWithoutCastENSG_16StoreWithoutCastEEEviT_T0_T2_T3_T4_T5_.has_recursion, 0
	.set _ZN2at6native27unrolled_elementwise_kernelIZZZNS0_17rsqrt_kernel_cudaERNS_18TensorIteratorBaseEENKUlvE_clEvENKUlvE1_clEvEUlN3c107complexINS6_4HalfEEEE_St5arrayIPcLm2EELi4E23TrivialOffsetCalculatorILi1EjESF_NS0_6memory15LoadWithoutCastENSG_16StoreWithoutCastEEEviT_T0_T2_T3_T4_T5_.has_indirect_call, 0
	.section	.AMDGPU.csdata,"",@progbits
; Kernel info:
; codeLenInByte = 7392
; TotalNumSgprs: 32
; NumVgprs: 15
; NumAgprs: 0
; TotalNumVgprs: 15
; ScratchSize: 0
; MemoryBound: 0
; FloatMode: 240
; IeeeMode: 1
; LDSByteSize: 0 bytes/workgroup (compile time only)
; SGPRBlocks: 3
; VGPRBlocks: 1
; NumSGPRsForWavesPerEU: 32
; NumVGPRsForWavesPerEU: 15
; AccumOffset: 16
; Occupancy: 8
; WaveLimiterHint : 0
; COMPUTE_PGM_RSRC2:SCRATCH_EN: 0
; COMPUTE_PGM_RSRC2:USER_SGPR: 2
; COMPUTE_PGM_RSRC2:TRAP_HANDLER: 0
; COMPUTE_PGM_RSRC2:TGID_X_EN: 1
; COMPUTE_PGM_RSRC2:TGID_Y_EN: 0
; COMPUTE_PGM_RSRC2:TGID_Z_EN: 0
; COMPUTE_PGM_RSRC2:TIDIG_COMP_CNT: 0
; COMPUTE_PGM_RSRC3_GFX90A:ACCUM_OFFSET: 3
; COMPUTE_PGM_RSRC3_GFX90A:TG_SPLIT: 0
	.section	.text._ZN2at6native32elementwise_kernel_manual_unrollILi128ELi4EZNS0_22gpu_kernel_impl_nocastIZZZNS0_17rsqrt_kernel_cudaERNS_18TensorIteratorBaseEENKUlvE_clEvENKUlvE1_clEvEUlN3c107complexINS7_4HalfEEEE_EEvS4_RKT_EUlibE_EEviT1_,"axG",@progbits,_ZN2at6native32elementwise_kernel_manual_unrollILi128ELi4EZNS0_22gpu_kernel_impl_nocastIZZZNS0_17rsqrt_kernel_cudaERNS_18TensorIteratorBaseEENKUlvE_clEvENKUlvE1_clEvEUlN3c107complexINS7_4HalfEEEE_EEvS4_RKT_EUlibE_EEviT1_,comdat
	.globl	_ZN2at6native32elementwise_kernel_manual_unrollILi128ELi4EZNS0_22gpu_kernel_impl_nocastIZZZNS0_17rsqrt_kernel_cudaERNS_18TensorIteratorBaseEENKUlvE_clEvENKUlvE1_clEvEUlN3c107complexINS7_4HalfEEEE_EEvS4_RKT_EUlibE_EEviT1_ ; -- Begin function _ZN2at6native32elementwise_kernel_manual_unrollILi128ELi4EZNS0_22gpu_kernel_impl_nocastIZZZNS0_17rsqrt_kernel_cudaERNS_18TensorIteratorBaseEENKUlvE_clEvENKUlvE1_clEvEUlN3c107complexINS7_4HalfEEEE_EEvS4_RKT_EUlibE_EEviT1_
	.p2align	8
	.type	_ZN2at6native32elementwise_kernel_manual_unrollILi128ELi4EZNS0_22gpu_kernel_impl_nocastIZZZNS0_17rsqrt_kernel_cudaERNS_18TensorIteratorBaseEENKUlvE_clEvENKUlvE1_clEvEUlN3c107complexINS7_4HalfEEEE_EEvS4_RKT_EUlibE_EEviT1_,@function
_ZN2at6native32elementwise_kernel_manual_unrollILi128ELi4EZNS0_22gpu_kernel_impl_nocastIZZZNS0_17rsqrt_kernel_cudaERNS_18TensorIteratorBaseEENKUlvE_clEvENKUlvE1_clEvEUlN3c107complexINS7_4HalfEEEE_EEvS4_RKT_EUlibE_EEviT1_: ; @_ZN2at6native32elementwise_kernel_manual_unrollILi128ELi4EZNS0_22gpu_kernel_impl_nocastIZZZNS0_17rsqrt_kernel_cudaERNS_18TensorIteratorBaseEENKUlvE_clEvENKUlvE1_clEvEUlN3c107complexINS7_4HalfEEEE_EEvS4_RKT_EUlibE_EEviT1_
; %bb.0:
	s_load_dword s55, s[0:1], 0x0
	s_load_dword s33, s[0:1], 0x8
	s_add_u32 s34, s0, 8
	s_addc_u32 s35, s1, 0
	v_lshl_or_b32 v8, s2, 9, v0
	v_or_b32_e32 v16, 0x180, v8
	s_waitcnt lgkmcnt(0)
	s_add_i32 s54, s33, -1
	s_cmp_gt_u32 s54, 1
	v_cmp_le_i32_e32 vcc, s55, v16
	s_cselect_b64 s[36:37], -1, 0
	s_and_saveexec_b64 s[0:1], vcc
	s_xor_b64 s[38:39], exec, s[0:1]
	s_cbranch_execz .LBB183_8
; %bb.1:
	s_load_dwordx4 s[24:27], s[34:35], 0x4
	s_load_dwordx2 s[40:41], s[34:35], 0x14
	s_load_dwordx4 s[20:23], s[34:35], 0xc4
	s_load_dwordx4 s[16:19], s[34:35], 0x148
	s_cmp_lg_u32 s33, 0
	s_cselect_b64 s[46:47], -1, 0
	s_add_u32 s44, s34, 0xc4
	s_addc_u32 s45, s35, 0
	s_min_u32 s56, s54, 15
	s_cmp_gt_u32 s33, 1
	s_cselect_b64 s[42:43], -1, 0
	v_cmp_gt_i32_e32 vcc, s55, v8
	s_and_saveexec_b64 s[48:49], vcc
	s_cbranch_execz .LBB183_15
; %bb.2:
	s_andn2_b64 vcc, exec, s[36:37]
	s_cbranch_vccnz .LBB183_23
; %bb.3:
	s_andn2_b64 vcc, exec, s[46:47]
	s_cbranch_vccnz .LBB183_86
; %bb.4:
	s_add_i32 s58, s56, 1
	s_cmp_eq_u32 s54, 2
	s_cbranch_scc1 .LBB183_88
; %bb.5:
	s_and_b32 s57, s58, 28
	s_mov_b32 s59, 0
	v_mov_b32_e32 v0, 0
	v_mov_b32_e32 v2, 0
	s_mov_b64 s[50:51], s[34:35]
	s_mov_b64 s[52:53], s[44:45]
	v_mov_b32_e32 v4, v8
.LBB183_6:                              ; =>This Inner Loop Header: Depth=1
	s_load_dwordx8 s[8:15], s[50:51], 0x4
	s_load_dwordx4 s[28:31], s[50:51], 0x24
	s_load_dwordx8 s[0:7], s[52:53], 0x0
	s_add_u32 s50, s50, 48
	s_addc_u32 s51, s51, 0
	s_waitcnt lgkmcnt(0)
	v_mul_hi_u32 v1, s9, v4
	v_add_u32_e32 v1, v4, v1
	v_lshrrev_b32_e32 v1, s10, v1
	v_mul_lo_u32 v3, v1, s8
	v_mul_hi_u32 v5, s12, v1
	v_sub_u32_e32 v3, v4, v3
	v_add_u32_e32 v4, v1, v5
	v_lshrrev_b32_e32 v4, s13, v4
	v_mul_lo_u32 v6, v4, s11
	v_mul_hi_u32 v7, s15, v4
	v_sub_u32_e32 v1, v1, v6
	v_add_u32_e32 v6, v4, v7
	v_mul_lo_u32 v5, v3, s1
	v_mul_lo_u32 v3, v3, s0
	;; [unrolled: 1-line block ×4, first 2 shown]
	v_lshrrev_b32_e32 v6, s28, v6
	v_add3_u32 v0, v3, v0, v1
	v_mul_hi_u32 v3, s30, v6
	v_add3_u32 v1, v5, v2, v7
	v_mul_lo_u32 v2, v6, s14
	v_add_u32_e32 v3, v6, v3
	v_sub_u32_e32 v2, v4, v2
	v_lshrrev_b32_e32 v4, s31, v3
	s_add_i32 s59, s59, 4
	v_mul_lo_u32 v3, v4, s29
	s_add_u32 s52, s52, 32
	v_sub_u32_e32 v3, v6, v3
	s_addc_u32 s53, s53, 0
	v_mul_lo_u32 v5, v2, s4
	v_mul_lo_u32 v2, v2, s5
	;; [unrolled: 1-line block ×4, first 2 shown]
	s_cmp_lg_u32 s57, s59
	v_add3_u32 v2, v2, v1, v3
	v_add3_u32 v0, v5, v0, v6
	s_cbranch_scc1 .LBB183_6
; %bb.7:
	v_mov_b32_e32 v1, v2
	s_branch .LBB183_89
.LBB183_8:
	s_andn2_saveexec_b64 s[0:1], s[38:39]
	s_cbranch_execz .LBB183_351
.LBB183_9:
	v_cndmask_b32_e64 v0, 0, 1, s[36:37]
	v_cmp_ne_u32_e64 s[0:1], 1, v0
	s_andn2_b64 vcc, exec, s[36:37]
	s_cbranch_vccnz .LBB183_22
; %bb.10:
	s_cmp_lg_u32 s33, 0
	s_waitcnt lgkmcnt(0)
	s_mov_b32 s26, 0
	s_cbranch_scc0 .LBB183_25
; %bb.11:
	s_min_u32 s27, s54, 15
	s_add_i32 s27, s27, 1
	s_cmp_eq_u32 s54, 2
	s_cbranch_scc1 .LBB183_26
; %bb.12:
	s_and_b32 s26, s27, 28
	s_add_u32 s2, s34, 0xc4
	s_addc_u32 s3, s35, 0
	s_mov_b32 s28, 0
	v_mov_b32_e32 v0, 0
	v_mov_b32_e32 v10, 0
	s_mov_b64 s[24:25], s[34:35]
	v_mov_b32_e32 v2, v8
.LBB183_13:                             ; =>This Inner Loop Header: Depth=1
	s_load_dwordx8 s[12:19], s[24:25], 0x4
	s_load_dwordx4 s[20:23], s[24:25], 0x24
	s_load_dwordx8 s[4:11], s[2:3], 0x0
	s_add_u32 s24, s24, 48
	s_addc_u32 s25, s25, 0
	s_waitcnt lgkmcnt(0)
	v_mul_hi_u32 v1, s13, v2
	v_add_u32_e32 v1, v2, v1
	v_lshrrev_b32_e32 v1, s14, v1
	v_mul_lo_u32 v3, v1, s12
	v_mul_hi_u32 v4, s16, v1
	v_sub_u32_e32 v2, v2, v3
	v_add_u32_e32 v3, v1, v4
	v_lshrrev_b32_e32 v3, s17, v3
	v_mul_lo_u32 v5, v3, s15
	v_mul_hi_u32 v6, s19, v3
	v_sub_u32_e32 v1, v1, v5
	v_add_u32_e32 v5, v3, v6
	v_mul_lo_u32 v4, v2, s5
	v_mul_lo_u32 v2, v2, s4
	;; [unrolled: 1-line block ×4, first 2 shown]
	v_lshrrev_b32_e32 v5, s20, v5
	v_add3_u32 v0, v2, v0, v1
	v_add3_u32 v1, v4, v10, v6
	v_mul_lo_u32 v2, v5, s18
	v_mul_hi_u32 v4, s22, v5
	v_sub_u32_e32 v2, v3, v2
	v_add_u32_e32 v3, v5, v4
	v_mul_lo_u32 v4, v2, s8
	v_mul_lo_u32 v6, v2, s9
	v_lshrrev_b32_e32 v2, s23, v3
	s_add_i32 s28, s28, 4
	v_mul_lo_u32 v3, v2, s21
	s_add_u32 s2, s2, 32
	v_sub_u32_e32 v3, v5, v3
	s_addc_u32 s3, s3, 0
	v_mul_lo_u32 v5, v3, s10
	v_mul_lo_u32 v3, v3, s11
	s_cmp_lg_u32 s26, s28
	v_add3_u32 v10, v6, v1, v3
	v_add3_u32 v0, v4, v0, v5
	s_cbranch_scc1 .LBB183_13
; %bb.14:
	v_mov_b32_e32 v1, v10
	s_and_b32 s6, s27, 3
	s_cmp_eq_u32 s6, 0
	s_cbranch_scc0 .LBB183_27
	s_branch .LBB183_29
.LBB183_15:
	s_or_b64 exec, exec, s[48:49]
	v_cmp_gt_i32_e32 vcc, s55, v8
	s_and_saveexec_b64 s[48:49], vcc
	s_cbranch_execz .LBB183_298
.LBB183_16:
	s_andn2_b64 vcc, exec, s[36:37]
	s_cbranch_vccnz .LBB183_24
; %bb.17:
	s_andn2_b64 vcc, exec, s[46:47]
	s_cbranch_vccnz .LBB183_87
; %bb.18:
	s_add_i32 s58, s56, 1
	s_cmp_eq_u32 s54, 2
	s_cbranch_scc1 .LBB183_107
; %bb.19:
	s_and_b32 s57, s58, 28
	s_mov_b32 s59, 0
	v_mov_b32_e32 v0, 0
	v_mov_b32_e32 v2, 0
	s_mov_b64 s[50:51], s[34:35]
	s_mov_b64 s[52:53], s[44:45]
	v_mov_b32_e32 v4, v8
.LBB183_20:                             ; =>This Inner Loop Header: Depth=1
	s_load_dwordx8 s[8:15], s[50:51], 0x4
	s_load_dwordx4 s[28:31], s[50:51], 0x24
	s_load_dwordx8 s[0:7], s[52:53], 0x0
	s_add_u32 s50, s50, 48
	s_addc_u32 s51, s51, 0
	s_waitcnt lgkmcnt(0)
	v_mul_hi_u32 v1, s9, v4
	v_add_u32_e32 v1, v4, v1
	v_lshrrev_b32_e32 v1, s10, v1
	v_mul_lo_u32 v3, v1, s8
	v_mul_hi_u32 v5, s12, v1
	v_sub_u32_e32 v3, v4, v3
	v_add_u32_e32 v4, v1, v5
	v_lshrrev_b32_e32 v4, s13, v4
	v_mul_lo_u32 v6, v4, s11
	v_mul_hi_u32 v7, s15, v4
	v_sub_u32_e32 v1, v1, v6
	v_add_u32_e32 v6, v4, v7
	v_mul_lo_u32 v5, v3, s1
	v_mul_lo_u32 v3, v3, s0
	;; [unrolled: 1-line block ×4, first 2 shown]
	v_lshrrev_b32_e32 v6, s28, v6
	v_add3_u32 v0, v3, v0, v1
	v_mul_hi_u32 v3, s30, v6
	v_add3_u32 v1, v5, v2, v7
	v_mul_lo_u32 v2, v6, s14
	v_add_u32_e32 v3, v6, v3
	v_sub_u32_e32 v2, v4, v2
	v_lshrrev_b32_e32 v4, s31, v3
	s_add_i32 s59, s59, 4
	v_mul_lo_u32 v3, v4, s29
	s_add_u32 s52, s52, 32
	v_sub_u32_e32 v3, v6, v3
	s_addc_u32 s53, s53, 0
	v_mul_lo_u32 v5, v2, s4
	v_mul_lo_u32 v2, v2, s5
	;; [unrolled: 1-line block ×4, first 2 shown]
	s_cmp_eq_u32 s57, s59
	v_add3_u32 v2, v2, v1, v3
	v_add3_u32 v0, v5, v0, v6
	s_cbranch_scc0 .LBB183_20
; %bb.21:
	v_mov_b32_e32 v1, v2
	s_branch .LBB183_108
.LBB183_22:
                                        ; implicit-def: $vgpr10
                                        ; implicit-def: $vgpr0
	s_branch .LBB183_30
.LBB183_23:
                                        ; implicit-def: $vgpr2
                                        ; implicit-def: $vgpr0
	s_branch .LBB183_93
.LBB183_24:
                                        ; implicit-def: $vgpr2
                                        ; implicit-def: $vgpr0
	s_branch .LBB183_112
.LBB183_25:
	v_mov_b32_e32 v10, 0
	v_mov_b32_e32 v0, 0
	s_branch .LBB183_29
.LBB183_26:
	v_mov_b32_e32 v0, 0
                                        ; implicit-def: $vgpr10
	v_mov_b32_e32 v1, v0
	v_mov_b32_e32 v2, v8
	s_and_b32 s6, s27, 3
	s_cmp_eq_u32 s6, 0
	s_cbranch_scc1 .LBB183_29
.LBB183_27:
	s_lshl_b32 s2, s26, 3
	s_add_u32 s2, s34, s2
	s_addc_u32 s3, s35, 0
	s_add_u32 s2, s2, 0xc4
	s_addc_u32 s3, s3, 0
	s_mul_i32 s4, s26, 12
	s_add_u32 s4, s34, s4
	s_addc_u32 s5, s35, 0
.LBB183_28:                             ; =>This Inner Loop Header: Depth=1
	s_load_dwordx2 s[8:9], s[4:5], 0x4
	s_load_dword s7, s[4:5], 0xc
	s_load_dwordx2 s[10:11], s[2:3], 0x0
	v_mov_b32_e32 v4, v1
	s_add_u32 s4, s4, 12
	s_waitcnt lgkmcnt(0)
	v_mul_hi_u32 v1, s9, v2
	v_add_u32_e32 v1, v2, v1
	v_lshrrev_b32_e32 v1, s7, v1
	s_addc_u32 s5, s5, 0
	v_mul_lo_u32 v3, v1, s8
	s_add_u32 s2, s2, 8
	v_sub_u32_e32 v3, v2, v3
	s_addc_u32 s3, s3, 0
	s_add_i32 s6, s6, -1
	v_mov_b32_e32 v2, v1
	v_mad_u64_u32 v[10:11], s[8:9], v3, s11, v[4:5]
	v_mad_u64_u32 v[0:1], s[8:9], v3, s10, v[0:1]
	s_cmp_lg_u32 s6, 0
	v_mov_b32_e32 v1, v10
	s_cbranch_scc1 .LBB183_28
.LBB183_29:
	s_cbranch_execnz .LBB183_32
.LBB183_30:
	s_load_dwordx4 s[4:7], s[34:35], 0x4
	s_load_dwordx2 s[2:3], s[34:35], 0xc4
	s_cmp_lt_u32 s33, 2
	s_waitcnt lgkmcnt(0)
	v_mul_hi_u32 v0, s5, v8
	v_add_u32_e32 v0, v8, v0
	v_lshrrev_b32_e32 v1, s6, v0
	v_mul_lo_u32 v0, v1, s4
	v_sub_u32_e32 v0, v8, v0
	v_mul_lo_u32 v10, v0, s3
	v_mul_lo_u32 v0, v0, s2
	s_cbranch_scc1 .LBB183_32
; %bb.31:
	s_load_dwordx4 s[4:7], s[34:35], 0x10
	s_load_dwordx2 s[2:3], s[34:35], 0xcc
	s_waitcnt lgkmcnt(0)
	v_mul_hi_u32 v2, s5, v1
	v_add_u32_e32 v2, v1, v2
	v_lshrrev_b32_e32 v2, s6, v2
	v_mul_lo_u32 v2, v2, s4
	v_sub_u32_e32 v2, v1, v2
	v_mad_u64_u32 v[0:1], s[4:5], v2, s2, v[0:1]
	v_mad_u64_u32 v[10:11], s[2:3], v2, s3, v[10:11]
.LBB183_32:
	s_and_b64 vcc, exec, s[0:1]
	v_add_u32_e32 v4, 0x80, v8
	s_cbranch_vccnz .LBB183_38
; %bb.33:
	s_cmp_lg_u32 s33, 0
	s_waitcnt lgkmcnt(0)
	s_mov_b32 s26, 0
	s_cbranch_scc0 .LBB183_39
; %bb.34:
	s_min_u32 s27, s54, 15
	s_add_i32 s27, s27, 1
	s_cmp_eq_u32 s54, 2
	s_cbranch_scc1 .LBB183_40
; %bb.35:
	s_and_b32 s26, s27, 28
	s_add_u32 s2, s34, 0xc4
	s_addc_u32 s3, s35, 0
	s_mov_b32 s28, 0
	v_mov_b32_e32 v2, 0
	v_mov_b32_e32 v14, 0
	s_mov_b64 s[24:25], s[34:35]
	v_mov_b32_e32 v5, v4
.LBB183_36:                             ; =>This Inner Loop Header: Depth=1
	s_load_dwordx8 s[12:19], s[24:25], 0x4
	s_load_dwordx4 s[20:23], s[24:25], 0x24
	s_load_dwordx8 s[4:11], s[2:3], 0x0
	s_add_u32 s24, s24, 48
	s_addc_u32 s25, s25, 0
	s_waitcnt lgkmcnt(0)
	v_mul_hi_u32 v1, s13, v5
	v_add_u32_e32 v1, v5, v1
	v_lshrrev_b32_e32 v1, s14, v1
	v_mul_lo_u32 v3, v1, s12
	v_mul_hi_u32 v6, s16, v1
	v_sub_u32_e32 v3, v5, v3
	v_add_u32_e32 v5, v1, v6
	v_lshrrev_b32_e32 v5, s17, v5
	v_mul_lo_u32 v7, v5, s15
	v_mul_hi_u32 v9, s19, v5
	v_sub_u32_e32 v1, v1, v7
	v_add_u32_e32 v7, v5, v9
	v_mul_lo_u32 v6, v3, s5
	v_mul_lo_u32 v3, v3, s4
	;; [unrolled: 1-line block ×4, first 2 shown]
	v_lshrrev_b32_e32 v7, s20, v7
	v_add3_u32 v1, v3, v2, v1
	v_add3_u32 v2, v6, v14, v9
	v_mul_lo_u32 v3, v7, s18
	v_mul_hi_u32 v6, s22, v7
	v_sub_u32_e32 v3, v5, v3
	v_add_u32_e32 v5, v7, v6
	v_lshrrev_b32_e32 v5, s23, v5
	s_add_i32 s28, s28, 4
	v_mul_lo_u32 v9, v5, s21
	s_add_u32 s2, s2, 32
	v_sub_u32_e32 v7, v7, v9
	s_addc_u32 s3, s3, 0
	v_mul_lo_u32 v6, v3, s8
	v_mul_lo_u32 v3, v3, s9
	;; [unrolled: 1-line block ×4, first 2 shown]
	s_cmp_lg_u32 s26, s28
	v_add3_u32 v14, v3, v2, v7
	v_add3_u32 v2, v6, v1, v9
	s_cbranch_scc1 .LBB183_36
; %bb.37:
	v_mov_b32_e32 v1, v14
	s_and_b32 s6, s27, 3
	s_cmp_eq_u32 s6, 0
	s_cbranch_scc0 .LBB183_41
	s_branch .LBB183_43
.LBB183_38:
                                        ; implicit-def: $vgpr14
                                        ; implicit-def: $vgpr2
	s_branch .LBB183_44
.LBB183_39:
	v_mov_b32_e32 v14, 0
	v_mov_b32_e32 v2, 0
	s_branch .LBB183_43
.LBB183_40:
	v_mov_b32_e32 v2, 0
                                        ; implicit-def: $vgpr14
	v_mov_b32_e32 v1, v2
	v_mov_b32_e32 v5, v4
	s_and_b32 s6, s27, 3
	s_cmp_eq_u32 s6, 0
	s_cbranch_scc1 .LBB183_43
.LBB183_41:
	s_lshl_b32 s2, s26, 3
	s_add_u32 s2, s34, s2
	s_addc_u32 s3, s35, 0
	s_add_u32 s2, s2, 0xc4
	s_addc_u32 s3, s3, 0
	s_mul_i32 s4, s26, 12
	s_add_u32 s4, s34, s4
	s_addc_u32 s5, s35, 0
.LBB183_42:                             ; =>This Inner Loop Header: Depth=1
	s_load_dwordx2 s[8:9], s[4:5], 0x4
	s_load_dword s7, s[4:5], 0xc
	s_load_dwordx2 s[10:11], s[2:3], 0x0
	v_mov_b32_e32 v6, v1
	s_add_u32 s4, s4, 12
	s_waitcnt lgkmcnt(0)
	v_mul_hi_u32 v1, s9, v5
	v_add_u32_e32 v1, v5, v1
	v_lshrrev_b32_e32 v1, s7, v1
	s_addc_u32 s5, s5, 0
	v_mul_lo_u32 v3, v1, s8
	s_add_u32 s2, s2, 8
	v_sub_u32_e32 v3, v5, v3
	s_addc_u32 s3, s3, 0
	s_add_i32 s6, s6, -1
	v_mad_u64_u32 v[14:15], s[8:9], v3, s11, v[6:7]
	s_cmp_lg_u32 s6, 0
	v_mov_b32_e32 v5, v1
	v_mad_u64_u32 v[2:3], s[8:9], v3, s10, v[2:3]
	v_mov_b32_e32 v1, v14
	s_cbranch_scc1 .LBB183_42
.LBB183_43:
	s_cbranch_execnz .LBB183_46
.LBB183_44:
	s_load_dwordx4 s[4:7], s[34:35], 0x4
	s_load_dwordx2 s[2:3], s[34:35], 0xc4
	s_cmp_lt_u32 s33, 2
	s_waitcnt lgkmcnt(0)
	v_mul_hi_u32 v1, s5, v4
	v_add_u32_e32 v1, v4, v1
	v_lshrrev_b32_e32 v1, s6, v1
	v_mul_lo_u32 v2, v1, s4
	v_sub_u32_e32 v2, v4, v2
	v_mul_lo_u32 v14, v2, s3
	v_mul_lo_u32 v2, v2, s2
	s_cbranch_scc1 .LBB183_46
; %bb.45:
	s_load_dwordx4 s[4:7], s[34:35], 0x10
	s_load_dwordx2 s[2:3], s[34:35], 0xcc
	s_waitcnt lgkmcnt(0)
	v_mul_hi_u32 v3, s5, v1
	v_add_u32_e32 v3, v1, v3
	v_lshrrev_b32_e32 v3, s6, v3
	v_mul_lo_u32 v3, v3, s4
	v_sub_u32_e32 v1, v1, v3
	v_mad_u64_u32 v[2:3], s[4:5], v1, s2, v[2:3]
	v_mad_u64_u32 v[14:15], s[2:3], v1, s3, v[14:15]
.LBB183_46:
	s_and_b64 vcc, exec, s[0:1]
	v_add_u32_e32 v3, 0x100, v8
	s_cbranch_vccnz .LBB183_52
; %bb.47:
	s_cmp_lg_u32 s33, 0
	s_waitcnt lgkmcnt(0)
	s_mov_b32 s26, 0
	s_cbranch_scc0 .LBB183_53
; %bb.48:
	s_min_u32 s27, s54, 15
	s_add_i32 s27, s27, 1
	s_cmp_eq_u32 s54, 2
	s_cbranch_scc1 .LBB183_54
; %bb.49:
	s_and_b32 s26, s27, 28
	s_add_u32 s2, s34, 0xc4
	s_addc_u32 s3, s35, 0
	s_mov_b32 s28, 0
	v_mov_b32_e32 v4, 0
	v_mov_b32_e32 v12, 0
	s_mov_b64 s[24:25], s[34:35]
	v_mov_b32_e32 v6, v3
.LBB183_50:                             ; =>This Inner Loop Header: Depth=1
	s_load_dwordx8 s[12:19], s[24:25], 0x4
	s_load_dwordx4 s[20:23], s[24:25], 0x24
	s_load_dwordx8 s[4:11], s[2:3], 0x0
	s_add_u32 s24, s24, 48
	s_addc_u32 s25, s25, 0
	s_waitcnt lgkmcnt(0)
	v_mul_hi_u32 v1, s13, v6
	v_add_u32_e32 v1, v6, v1
	v_lshrrev_b32_e32 v1, s14, v1
	v_mul_lo_u32 v5, v1, s12
	v_mul_hi_u32 v7, s16, v1
	v_sub_u32_e32 v5, v6, v5
	v_add_u32_e32 v6, v1, v7
	v_lshrrev_b32_e32 v6, s17, v6
	v_mul_lo_u32 v8, v6, s15
	v_mul_hi_u32 v9, s19, v6
	v_sub_u32_e32 v1, v1, v8
	v_add_u32_e32 v8, v6, v9
	v_mul_lo_u32 v7, v5, s5
	v_mul_lo_u32 v5, v5, s4
	;; [unrolled: 1-line block ×4, first 2 shown]
	v_lshrrev_b32_e32 v8, s20, v8
	v_add3_u32 v1, v5, v4, v1
	v_add3_u32 v4, v7, v12, v9
	v_mul_lo_u32 v5, v8, s18
	v_mul_hi_u32 v7, s22, v8
	v_sub_u32_e32 v5, v6, v5
	v_add_u32_e32 v6, v8, v7
	v_lshrrev_b32_e32 v6, s23, v6
	s_add_i32 s28, s28, 4
	v_mul_lo_u32 v9, v6, s21
	s_add_u32 s2, s2, 32
	v_sub_u32_e32 v8, v8, v9
	s_addc_u32 s3, s3, 0
	v_mul_lo_u32 v7, v5, s8
	v_mul_lo_u32 v5, v5, s9
	;; [unrolled: 1-line block ×4, first 2 shown]
	s_cmp_lg_u32 s26, s28
	v_add3_u32 v12, v5, v4, v8
	v_add3_u32 v4, v7, v1, v9
	s_cbranch_scc1 .LBB183_50
; %bb.51:
	v_mov_b32_e32 v1, v12
	s_and_b32 s6, s27, 3
	s_cmp_eq_u32 s6, 0
	s_cbranch_scc0 .LBB183_55
	s_branch .LBB183_57
.LBB183_52:
                                        ; implicit-def: $vgpr12
                                        ; implicit-def: $vgpr4
	s_branch .LBB183_58
.LBB183_53:
	v_mov_b32_e32 v12, 0
	v_mov_b32_e32 v4, 0
	s_branch .LBB183_57
.LBB183_54:
	v_mov_b32_e32 v4, 0
                                        ; implicit-def: $vgpr12
	v_mov_b32_e32 v1, v4
	v_mov_b32_e32 v6, v3
	s_and_b32 s6, s27, 3
	s_cmp_eq_u32 s6, 0
	s_cbranch_scc1 .LBB183_57
.LBB183_55:
	s_lshl_b32 s2, s26, 3
	s_add_u32 s2, s34, s2
	s_addc_u32 s3, s35, 0
	s_add_u32 s2, s2, 0xc4
	s_addc_u32 s3, s3, 0
	s_mul_i32 s4, s26, 12
	s_add_u32 s4, s34, s4
	s_addc_u32 s5, s35, 0
.LBB183_56:                             ; =>This Inner Loop Header: Depth=1
	s_load_dwordx2 s[8:9], s[4:5], 0x4
	s_load_dword s7, s[4:5], 0xc
	s_load_dwordx2 s[10:11], s[2:3], 0x0
	v_mov_b32_e32 v8, v1
	s_add_u32 s4, s4, 12
	s_waitcnt lgkmcnt(0)
	v_mul_hi_u32 v1, s9, v6
	v_add_u32_e32 v1, v6, v1
	v_lshrrev_b32_e32 v1, s7, v1
	s_addc_u32 s5, s5, 0
	v_mul_lo_u32 v5, v1, s8
	s_add_u32 s2, s2, 8
	v_sub_u32_e32 v5, v6, v5
	s_addc_u32 s3, s3, 0
	s_add_i32 s6, s6, -1
	v_mad_u64_u32 v[12:13], s[8:9], v5, s11, v[8:9]
	s_cmp_lg_u32 s6, 0
	v_mov_b32_e32 v6, v1
	v_mad_u64_u32 v[4:5], s[8:9], v5, s10, v[4:5]
	v_mov_b32_e32 v1, v12
	s_cbranch_scc1 .LBB183_56
.LBB183_57:
	s_cbranch_execnz .LBB183_60
.LBB183_58:
	s_load_dwordx4 s[4:7], s[34:35], 0x4
	s_load_dwordx2 s[2:3], s[34:35], 0xc4
	s_cmp_lt_u32 s33, 2
	s_waitcnt lgkmcnt(0)
	v_mul_hi_u32 v1, s5, v3
	v_add_u32_e32 v1, v3, v1
	v_lshrrev_b32_e32 v1, s6, v1
	v_mul_lo_u32 v4, v1, s4
	v_sub_u32_e32 v3, v3, v4
	v_mul_lo_u32 v12, v3, s3
	v_mul_lo_u32 v4, v3, s2
	s_cbranch_scc1 .LBB183_60
; %bb.59:
	s_load_dwordx4 s[4:7], s[34:35], 0x10
	s_load_dwordx2 s[2:3], s[34:35], 0xcc
	s_waitcnt lgkmcnt(0)
	v_mul_hi_u32 v3, s5, v1
	v_add_u32_e32 v3, v1, v3
	v_lshrrev_b32_e32 v3, s6, v3
	v_mul_lo_u32 v3, v3, s4
	v_sub_u32_e32 v1, v1, v3
	v_mad_u64_u32 v[4:5], s[4:5], v1, s2, v[4:5]
	v_mad_u64_u32 v[12:13], s[2:3], v1, s3, v[12:13]
.LBB183_60:
	s_and_b64 vcc, exec, s[0:1]
	s_cbranch_vccnz .LBB183_66
; %bb.61:
	s_cmp_lg_u32 s33, 0
	s_waitcnt lgkmcnt(0)
	s_mov_b32 s24, 0
	s_cbranch_scc0 .LBB183_67
; %bb.62:
	s_min_u32 s25, s54, 15
	s_add_i32 s25, s25, 1
	s_cmp_eq_u32 s54, 2
	s_cbranch_scc1 .LBB183_68
; %bb.63:
	s_and_b32 s24, s25, 28
	s_add_u32 s20, s34, 0xc4
	s_addc_u32 s21, s35, 0
	s_mov_b32 s26, 0
	v_mov_b32_e32 v6, 0
	v_mov_b32_e32 v8, 0
	s_mov_b64 s[22:23], s[34:35]
	v_mov_b32_e32 v3, v16
.LBB183_64:                             ; =>This Inner Loop Header: Depth=1
	s_load_dwordx8 s[8:15], s[22:23], 0x4
	s_load_dwordx4 s[16:19], s[22:23], 0x24
	s_load_dwordx8 s[0:7], s[20:21], 0x0
	s_add_u32 s22, s22, 48
	s_addc_u32 s23, s23, 0
	s_waitcnt lgkmcnt(0)
	v_mul_hi_u32 v1, s9, v3
	v_add_u32_e32 v1, v3, v1
	v_lshrrev_b32_e32 v1, s10, v1
	v_mul_lo_u32 v5, v1, s8
	v_mul_hi_u32 v7, s12, v1
	v_sub_u32_e32 v3, v3, v5
	v_add_u32_e32 v5, v1, v7
	v_lshrrev_b32_e32 v5, s13, v5
	v_mul_lo_u32 v9, v5, s11
	v_mul_hi_u32 v11, s15, v5
	v_sub_u32_e32 v1, v1, v9
	v_add_u32_e32 v9, v5, v11
	v_mul_lo_u32 v7, v3, s1
	v_mul_lo_u32 v3, v3, s0
	v_mul_lo_u32 v11, v1, s3
	v_mul_lo_u32 v1, v1, s2
	v_lshrrev_b32_e32 v9, s16, v9
	v_add3_u32 v1, v3, v6, v1
	v_add3_u32 v6, v7, v8, v11
	v_mul_lo_u32 v3, v9, s14
	v_mul_hi_u32 v7, s18, v9
	v_sub_u32_e32 v3, v5, v3
	v_add_u32_e32 v5, v9, v7
	v_mul_lo_u32 v7, v3, s4
	v_mul_lo_u32 v8, v3, s5
	v_lshrrev_b32_e32 v3, s19, v5
	s_add_i32 s26, s26, 4
	v_mul_lo_u32 v5, v3, s17
	s_add_u32 s20, s20, 32
	v_sub_u32_e32 v5, v9, v5
	s_addc_u32 s21, s21, 0
	v_mul_lo_u32 v9, v5, s6
	v_mul_lo_u32 v5, v5, s7
	s_cmp_lg_u32 s24, s26
	v_add3_u32 v8, v8, v6, v5
	v_add3_u32 v6, v7, v1, v9
	s_cbranch_scc1 .LBB183_64
; %bb.65:
	v_mov_b32_e32 v1, v8
	s_and_b32 s4, s25, 3
	s_cmp_eq_u32 s4, 0
	s_cbranch_scc0 .LBB183_69
	s_branch .LBB183_71
.LBB183_66:
                                        ; implicit-def: $vgpr8
                                        ; implicit-def: $vgpr6
	s_branch .LBB183_72
.LBB183_67:
	v_mov_b32_e32 v8, 0
	v_mov_b32_e32 v6, 0
	s_branch .LBB183_71
.LBB183_68:
	v_mov_b32_e32 v6, 0
                                        ; implicit-def: $vgpr8
	v_mov_b32_e32 v1, v6
	v_mov_b32_e32 v3, v16
	s_and_b32 s4, s25, 3
	s_cmp_eq_u32 s4, 0
	s_cbranch_scc1 .LBB183_71
.LBB183_69:
	s_lshl_b32 s0, s24, 3
	s_add_u32 s0, s34, s0
	s_addc_u32 s1, s35, 0
	s_add_u32 s0, s0, 0xc4
	s_addc_u32 s1, s1, 0
	s_mul_i32 s2, s24, 12
	s_add_u32 s2, s34, s2
	s_addc_u32 s3, s35, 0
.LBB183_70:                             ; =>This Inner Loop Header: Depth=1
	s_load_dwordx2 s[6:7], s[2:3], 0x4
	s_load_dword s5, s[2:3], 0xc
	s_load_dwordx2 s[8:9], s[0:1], 0x0
	v_mov_b32_e32 v8, v1
	s_add_u32 s2, s2, 12
	s_waitcnt lgkmcnt(0)
	v_mul_hi_u32 v1, s7, v3
	v_add_u32_e32 v1, v3, v1
	v_lshrrev_b32_e32 v1, s5, v1
	s_addc_u32 s3, s3, 0
	v_mul_lo_u32 v5, v1, s6
	s_add_u32 s0, s0, 8
	v_sub_u32_e32 v5, v3, v5
	s_addc_u32 s1, s1, 0
	s_add_i32 s4, s4, -1
	v_mad_u64_u32 v[8:9], s[6:7], v5, s9, v[8:9]
	s_cmp_lg_u32 s4, 0
	v_mov_b32_e32 v3, v1
	v_mad_u64_u32 v[6:7], s[6:7], v5, s8, v[6:7]
	v_mov_b32_e32 v1, v8
	s_cbranch_scc1 .LBB183_70
.LBB183_71:
	s_cbranch_execnz .LBB183_74
.LBB183_72:
	s_load_dwordx4 s[0:3], s[34:35], 0x4
	s_load_dwordx2 s[4:5], s[34:35], 0xc4
	s_cmp_lt_u32 s33, 2
	s_waitcnt lgkmcnt(0)
	v_mul_hi_u32 v1, s1, v16
	v_add_u32_e32 v1, v16, v1
	v_lshrrev_b32_e32 v1, s2, v1
	v_mul_lo_u32 v3, v1, s0
	v_sub_u32_e32 v3, v16, v3
	v_mul_lo_u32 v8, v3, s5
	v_mul_lo_u32 v6, v3, s4
	s_cbranch_scc1 .LBB183_74
; %bb.73:
	s_load_dwordx4 s[0:3], s[34:35], 0x10
	s_load_dwordx2 s[4:5], s[34:35], 0xcc
	s_waitcnt lgkmcnt(0)
	v_mul_hi_u32 v3, s1, v1
	v_add_u32_e32 v3, v1, v3
	v_lshrrev_b32_e32 v3, s2, v3
	v_mul_lo_u32 v3, v3, s0
	v_sub_u32_e32 v1, v1, v3
	v_mad_u64_u32 v[6:7], s[0:1], v1, s4, v[6:7]
	v_mad_u64_u32 v[8:9], s[0:1], v1, s5, v[8:9]
.LBB183_74:
	s_load_dwordx4 s[4:7], s[34:35], 0x148
	v_mov_b32_e32 v18, 0
	s_waitcnt lgkmcnt(0)
	global_load_dword v1, v10, s[6:7]
	s_waitcnt vmcnt(0)
	v_cvt_f32_f16_sdwa v16, v1 dst_sel:DWORD dst_unused:UNUSED_PAD src0_sel:WORD_1
	v_cmp_neq_f16_e32 vcc, 0, v1
	v_cmp_neq_f16_sdwa s[0:1], v1, v18 src0_sel:WORD_1 src1_sel:DWORD
	s_or_b64 s[0:1], vcc, s[0:1]
	s_and_saveexec_b64 s[8:9], s[0:1]
	s_cbranch_execz .LBB183_144
; %bb.75:
	v_cvt_f32_f16_e32 v17, v1
	v_mov_b32_e32 v18, 0x7f800000
	v_cmp_neq_f32_e64 s[0:1], |v16|, v18
	s_and_saveexec_b64 s[10:11], s[0:1]
	s_cbranch_execz .LBB183_143
; %bb.76:
	v_cmp_o_f16_e32 vcc, v1, v1
                                        ; implicit-def: $vgpr18
	s_and_saveexec_b64 s[0:1], vcc
	s_xor_b64 s[12:13], exec, s[0:1]
	s_cbranch_execz .LBB183_140
; %bb.77:
	s_mov_b32 s0, 0x7f800000
	v_cmp_neq_f32_e64 s[0:1], |v17|, s0
                                        ; implicit-def: $vgpr18
	s_and_saveexec_b64 s[2:3], s[0:1]
	s_xor_b64 s[14:15], exec, s[2:3]
	s_cbranch_execz .LBB183_133
; %bb.78:
	v_max_f32_e64 v1, |v16|, |v16|
	v_max_f32_e64 v3, |v17|, |v17|
	v_max_f32_e32 v1, v3, v1
	s_mov_b32 s0, 0x7ed413cb
	v_cmp_nle_f32_e64 s[0:1], s0, v1
                                        ; implicit-def: $sgpr16_sgpr17
	s_and_saveexec_b64 s[2:3], s[0:1]
	s_xor_b64 s[2:3], exec, s[2:3]
	s_cbranch_execz .LBB183_82
; %bb.79:
	s_mov_b32 s18, 0x1000000
	v_cmp_le_f32_e64 s[16:17], |v17|, s18
	v_cmp_le_f32_e64 s[18:19], |v16|, s18
	s_and_b64 s[20:21], s[16:17], s[18:19]
	s_mov_b64 s[16:17], 0
	s_and_saveexec_b64 s[18:19], s[20:21]
; %bb.80:
	s_mov_b64 s[16:17], exec
	v_pk_mul_f32 v[16:17], v[16:17], 4.0 op_sel_hi:[1,0]
; %bb.81:
	s_or_b64 exec, exec, s[18:19]
.LBB183_82:
	s_andn2_saveexec_b64 s[2:3], s[2:3]
; %bb.83:
	s_mov_b32 s18, 0x3e800000
	v_pk_mul_f32 v[16:17], v[16:17], s[18:19] op_sel_hi:[1,0]
	s_andn2_b64 s[16:17], s[16:17], exec
; %bb.84:
	s_or_b64 exec, exec, s[2:3]
	v_max_f32_e64 v1, |v16|, |v16|
	v_max_f32_e64 v3, |v17|, |v17|
	v_max_f32_e32 v1, v3, v1
	v_cvt_f64_f32_e32 v[10:11], v1
	v_frexp_exp_i32_f64_e32 v3, v[10:11]
	v_sub_u32_e32 v5, 0, v3
	v_ldexp_f32 v7, |v17|, v5
	v_ldexp_f32 v5, |v16|, v5
	v_mul_f32_e32 v5, v5, v5
	v_fmac_f32_e32 v5, v7, v7
	v_sqrt_f32_e32 v5, v5
	s_mov_b32 s2, 0x7f800000
	v_cmp_neq_f32_e64 s[2:3], s2, v1
	v_cmp_le_f32_e32 vcc, 0, v17
	v_ldexp_f32 v3, v5, v3
	v_mov_b32_e32 v5, 0x7f800000
	v_cndmask_b32_e64 v1, v5, v3, s[2:3]
                                        ; implicit-def: $vgpr10_vgpr11
	s_and_saveexec_b64 s[2:3], vcc
	s_xor_b64 s[18:19], exec, s[2:3]
	s_cbranch_execz .LBB183_126
; %bb.85:
	v_add_f32_e32 v1, v17, v1
	v_mul_f32_e32 v1, 0.5, v1
	s_mov_b32 s2, 0xf800000
	v_mul_f32_e32 v3, 0x4f800000, v1
	v_cmp_gt_f32_e32 vcc, s2, v1
	s_nop 1
	v_cndmask_b32_e32 v1, v1, v3, vcc
	v_sqrt_f32_e32 v3, v1
	s_nop 0
	v_add_u32_e32 v5, -1, v3
	v_fma_f32 v7, -v5, v3, v1
	v_cmp_ge_f32_e64 s[2:3], 0, v7
	v_add_u32_e32 v7, 1, v3
	s_nop 0
	v_cndmask_b32_e64 v5, v3, v5, s[2:3]
	v_fma_f32 v3, -v7, v3, v1
	v_cmp_lt_f32_e64 s[2:3], 0, v3
	s_nop 1
	v_cndmask_b32_e64 v3, v5, v7, s[2:3]
	v_mul_f32_e32 v5, 0x37800000, v3
	v_cndmask_b32_e32 v3, v3, v5, vcc
	v_mov_b32_e32 v5, 0x260
	v_cmp_class_f32_e32 vcc, v1, v5
	s_nop 1
	v_cndmask_b32_e32 v10, v3, v1, vcc
	v_add_f32_e32 v1, v10, v10
	v_div_scale_f32 v3, s[2:3], v1, v1, v16
	v_rcp_f32_e32 v5, v3
	s_nop 0
	v_fma_f32 v7, -v3, v5, 1.0
	v_fmac_f32_e32 v5, v7, v5
	v_div_scale_f32 v7, vcc, v16, v1, v16
	v_mul_f32_e32 v9, v7, v5
	v_fma_f32 v11, -v3, v9, v7
	v_fmac_f32_e32 v9, v11, v5
	v_fma_f32 v3, -v3, v9, v7
	v_div_fmas_f32 v3, v3, v5, v9
	v_div_fixup_f32 v11, v3, v1, v16
                                        ; implicit-def: $vgpr1
                                        ; implicit-def: $vgpr16_vgpr17
	s_andn2_saveexec_b64 s[18:19], s[18:19]
	s_cbranch_execz .LBB183_128
	s_branch .LBB183_127
.LBB183_86:
	v_mov_b32_e32 v2, 0
	v_mov_b32_e32 v0, 0
	s_branch .LBB183_92
.LBB183_87:
	v_mov_b32_e32 v2, 0
	v_mov_b32_e32 v0, 0
	s_branch .LBB183_111
.LBB183_88:
	v_mov_b32_e32 v0, 0
	s_mov_b32 s57, 0
	v_mov_b32_e32 v1, v0
                                        ; implicit-def: $vgpr2
	v_mov_b32_e32 v4, v8
.LBB183_89:
	s_and_b32 s4, s58, 3
	s_cmp_eq_u32 s4, 0
	s_cbranch_scc1 .LBB183_92
; %bb.90:
	s_lshl_b32 s0, s57, 3
	s_add_u32 s0, s34, s0
	s_addc_u32 s1, s35, 0
	s_add_u32 s0, s0, 0xc4
	s_addc_u32 s1, s1, 0
	s_mul_i32 s2, s57, 12
	s_add_u32 s2, s34, s2
	s_addc_u32 s3, s35, 0
.LBB183_91:                             ; =>This Inner Loop Header: Depth=1
	s_load_dwordx2 s[6:7], s[2:3], 0x4
	s_load_dword s5, s[2:3], 0xc
	s_load_dwordx2 s[8:9], s[0:1], 0x0
	v_mov_b32_e32 v2, v1
	s_add_u32 s2, s2, 12
	s_waitcnt lgkmcnt(0)
	v_mul_hi_u32 v1, s7, v4
	v_add_u32_e32 v1, v4, v1
	v_lshrrev_b32_e32 v1, s5, v1
	s_addc_u32 s3, s3, 0
	v_mul_lo_u32 v3, v1, s6
	s_add_u32 s0, s0, 8
	v_sub_u32_e32 v5, v4, v3
	s_addc_u32 s1, s1, 0
	s_add_i32 s4, s4, -1
	v_mov_b32_e32 v4, v1
	v_mad_u64_u32 v[2:3], s[6:7], v5, s9, v[2:3]
	v_mad_u64_u32 v[0:1], s[6:7], v5, s8, v[0:1]
	s_cmp_lg_u32 s4, 0
	v_mov_b32_e32 v1, v2
	s_cbranch_scc1 .LBB183_91
.LBB183_92:
	s_cbranch_execnz .LBB183_95
.LBB183_93:
	s_waitcnt lgkmcnt(0)
	v_mul_hi_u32 v0, s25, v8
	v_add_u32_e32 v0, v8, v0
	v_lshrrev_b32_e32 v1, s26, v0
	v_mul_lo_u32 v0, v1, s24
	v_sub_u32_e32 v0, v8, v0
	v_mul_lo_u32 v2, v0, s21
	s_andn2_b64 vcc, exec, s[42:43]
	v_mul_lo_u32 v0, v0, s20
	s_cbranch_vccnz .LBB183_95
; %bb.94:
	v_mul_hi_u32 v3, s40, v1
	v_add_u32_e32 v3, v1, v3
	v_lshrrev_b32_e32 v3, s41, v3
	v_mul_lo_u32 v3, v3, s27
	v_sub_u32_e32 v3, v1, v3
	v_mad_u64_u32 v[0:1], s[0:1], v3, s22, v[0:1]
	v_mad_u64_u32 v[2:3], s[0:1], v3, s23, v[2:3]
.LBB183_95:
	s_waitcnt lgkmcnt(0)
	global_load_dword v1, v2, s[18:19]
	v_mov_b32_e32 v4, 0
	s_waitcnt vmcnt(0)
	v_cvt_f32_f16_sdwa v2, v1 dst_sel:DWORD dst_unused:UNUSED_PAD src0_sel:WORD_1
	v_cmp_neq_f16_e32 vcc, 0, v1
	v_cmp_neq_f16_sdwa s[0:1], v1, v4 src0_sel:WORD_1 src1_sel:DWORD
	s_or_b64 s[0:1], vcc, s[0:1]
	s_and_saveexec_b64 s[4:5], s[0:1]
	s_cbranch_execz .LBB183_289
; %bb.96:
	v_cvt_f32_f16_e32 v3, v1
	v_mov_b32_e32 v4, 0x7f800000
	v_cmp_neq_f32_e64 s[0:1], |v2|, v4
	s_and_saveexec_b64 s[6:7], s[0:1]
	s_cbranch_execz .LBB183_288
; %bb.97:
	v_cmp_o_f16_e32 vcc, v1, v1
                                        ; implicit-def: $vgpr4
	s_and_saveexec_b64 s[0:1], vcc
	s_xor_b64 s[8:9], exec, s[0:1]
	s_cbranch_execz .LBB183_285
; %bb.98:
	s_mov_b32 s0, 0x7f800000
	v_cmp_neq_f32_e64 s[0:1], |v3|, s0
                                        ; implicit-def: $vgpr4
	s_and_saveexec_b64 s[2:3], s[0:1]
	s_xor_b64 s[10:11], exec, s[2:3]
	s_cbranch_execz .LBB183_278
; %bb.99:
	v_max_f32_e64 v1, |v2|, |v2|
	v_max_f32_e64 v4, |v3|, |v3|
	v_max_f32_e32 v1, v4, v1
	s_mov_b32 s0, 0x7ed413cb
	v_cmp_nle_f32_e64 s[0:1], s0, v1
                                        ; implicit-def: $sgpr12_sgpr13
	s_and_saveexec_b64 s[2:3], s[0:1]
	s_xor_b64 s[2:3], exec, s[2:3]
	s_cbranch_execz .LBB183_103
; %bb.100:
	s_mov_b32 s14, 0x1000000
	v_cmp_le_f32_e64 s[12:13], |v3|, s14
	v_cmp_le_f32_e64 s[14:15], |v2|, s14
	s_and_b64 s[28:29], s[12:13], s[14:15]
	s_mov_b64 s[12:13], 0
	s_and_saveexec_b64 s[14:15], s[28:29]
; %bb.101:
	s_mov_b64 s[12:13], exec
	v_pk_mul_f32 v[2:3], v[2:3], 4.0 op_sel_hi:[1,0]
; %bb.102:
	s_or_b64 exec, exec, s[14:15]
.LBB183_103:
	s_andn2_saveexec_b64 s[2:3], s[2:3]
; %bb.104:
	s_mov_b32 s14, 0x3e800000
	v_pk_mul_f32 v[2:3], v[2:3], s[14:15] op_sel_hi:[1,0]
	s_andn2_b64 s[12:13], s[12:13], exec
; %bb.105:
	s_or_b64 exec, exec, s[2:3]
	v_max_f32_e64 v1, |v2|, |v2|
	v_max_f32_e64 v4, |v3|, |v3|
	v_max_f32_e32 v1, v4, v1
	v_cvt_f64_f32_e32 v[4:5], v1
	v_frexp_exp_i32_f64_e32 v4, v[4:5]
	v_sub_u32_e32 v5, 0, v4
	v_ldexp_f32 v6, |v3|, v5
	v_ldexp_f32 v5, |v2|, v5
	v_mul_f32_e32 v5, v5, v5
	v_fmac_f32_e32 v5, v6, v6
	v_sqrt_f32_e32 v5, v5
	s_mov_b32 s2, 0x7f800000
	v_cmp_neq_f32_e64 s[2:3], s2, v1
	v_cmp_le_f32_e32 vcc, 0, v3
	v_ldexp_f32 v4, v5, v4
	v_mov_b32_e32 v5, 0x7f800000
	v_cndmask_b32_e64 v1, v5, v4, s[2:3]
                                        ; implicit-def: $vgpr6_vgpr7
	s_and_saveexec_b64 s[2:3], vcc
	s_xor_b64 s[14:15], exec, s[2:3]
	s_cbranch_execz .LBB183_267
; %bb.106:
	v_add_f32_e32 v1, v3, v1
	v_mul_f32_e32 v1, 0.5, v1
	s_mov_b32 s2, 0xf800000
	v_mul_f32_e32 v3, 0x4f800000, v1
	v_cmp_gt_f32_e32 vcc, s2, v1
	s_nop 1
	v_cndmask_b32_e32 v1, v1, v3, vcc
	v_sqrt_f32_e32 v3, v1
	s_nop 0
	v_add_u32_e32 v4, -1, v3
	v_fma_f32 v5, -v4, v3, v1
	v_cmp_ge_f32_e64 s[2:3], 0, v5
	v_add_u32_e32 v5, 1, v3
	s_nop 0
	v_cndmask_b32_e64 v4, v3, v4, s[2:3]
	v_fma_f32 v3, -v5, v3, v1
	v_cmp_lt_f32_e64 s[2:3], 0, v3
	s_nop 1
	v_cndmask_b32_e64 v3, v4, v5, s[2:3]
	v_mul_f32_e32 v4, 0x37800000, v3
	v_cndmask_b32_e32 v3, v3, v4, vcc
	v_mov_b32_e32 v4, 0x260
	v_cmp_class_f32_e32 vcc, v1, v4
	s_nop 1
	v_cndmask_b32_e32 v6, v3, v1, vcc
	v_add_f32_e32 v1, v6, v6
	v_div_scale_f32 v3, s[2:3], v1, v1, v2
	v_rcp_f32_e32 v4, v3
	s_nop 0
	v_fma_f32 v5, -v3, v4, 1.0
	v_fmac_f32_e32 v4, v5, v4
	v_div_scale_f32 v5, vcc, v2, v1, v2
	v_mul_f32_e32 v7, v5, v4
	v_fma_f32 v9, -v3, v7, v5
	v_fmac_f32_e32 v7, v9, v4
	v_fma_f32 v3, -v3, v7, v5
	v_div_fmas_f32 v3, v3, v4, v7
	v_div_fixup_f32 v7, v3, v1, v2
                                        ; implicit-def: $vgpr1
                                        ; implicit-def: $vgpr2_vgpr3
	s_andn2_saveexec_b64 s[14:15], s[14:15]
	s_cbranch_execz .LBB183_269
	s_branch .LBB183_268
.LBB183_107:
	v_mov_b32_e32 v0, 0
	s_mov_b32 s57, 0
	v_mov_b32_e32 v1, v0
                                        ; implicit-def: $vgpr2
	v_mov_b32_e32 v4, v8
.LBB183_108:
	s_and_b32 s4, s58, 3
	s_cmp_eq_u32 s4, 0
	s_cbranch_scc1 .LBB183_111
; %bb.109:
	s_lshl_b32 s0, s57, 3
	s_add_u32 s0, s34, s0
	s_addc_u32 s1, s35, 0
	s_add_u32 s0, s0, 0xc4
	s_addc_u32 s1, s1, 0
	s_mul_i32 s2, s57, 12
	s_add_u32 s2, s34, s2
	s_addc_u32 s3, s35, 0
.LBB183_110:                            ; =>This Inner Loop Header: Depth=1
	s_load_dwordx2 s[6:7], s[2:3], 0x4
	s_load_dword s5, s[2:3], 0xc
	s_load_dwordx2 s[8:9], s[0:1], 0x0
	v_mov_b32_e32 v2, v1
	s_add_u32 s2, s2, 12
	s_waitcnt lgkmcnt(0)
	v_mul_hi_u32 v1, s7, v4
	v_add_u32_e32 v1, v4, v1
	v_lshrrev_b32_e32 v1, s5, v1
	s_addc_u32 s3, s3, 0
	v_mul_lo_u32 v3, v1, s6
	s_add_u32 s0, s0, 8
	v_sub_u32_e32 v5, v4, v3
	s_addc_u32 s1, s1, 0
	s_add_i32 s4, s4, -1
	v_mov_b32_e32 v4, v1
	v_mad_u64_u32 v[2:3], s[6:7], v5, s9, v[2:3]
	v_mad_u64_u32 v[0:1], s[6:7], v5, s8, v[0:1]
	s_cmp_lg_u32 s4, 0
	v_mov_b32_e32 v1, v2
	s_cbranch_scc1 .LBB183_110
.LBB183_111:
	s_cbranch_execnz .LBB183_114
.LBB183_112:
	s_waitcnt lgkmcnt(0)
	v_mul_hi_u32 v0, s25, v8
	v_add_u32_e32 v0, v8, v0
	v_lshrrev_b32_e32 v1, s26, v0
	v_mul_lo_u32 v0, v1, s24
	v_sub_u32_e32 v0, v8, v0
	v_mul_lo_u32 v2, v0, s21
	s_andn2_b64 vcc, exec, s[42:43]
	v_mul_lo_u32 v0, v0, s20
	s_cbranch_vccnz .LBB183_114
; %bb.113:
	v_mul_hi_u32 v3, s40, v1
	v_add_u32_e32 v3, v1, v3
	v_lshrrev_b32_e32 v3, s41, v3
	v_mul_lo_u32 v3, v3, s27
	v_sub_u32_e32 v3, v1, v3
	v_mad_u64_u32 v[0:1], s[0:1], v3, s22, v[0:1]
	v_mad_u64_u32 v[2:3], s[0:1], v3, s23, v[2:3]
.LBB183_114:
	s_waitcnt lgkmcnt(0)
	global_load_dword v1, v2, s[18:19]
	v_mov_b32_e32 v4, 0
	s_waitcnt vmcnt(0)
	v_cvt_f32_f16_sdwa v2, v1 dst_sel:DWORD dst_unused:UNUSED_PAD src0_sel:WORD_1
	v_cmp_neq_f16_e32 vcc, 0, v1
	v_cmp_neq_f16_sdwa s[0:1], v1, v4 src0_sel:WORD_1 src1_sel:DWORD
	s_or_b64 s[0:1], vcc, s[0:1]
	s_and_saveexec_b64 s[4:5], s[0:1]
	s_cbranch_execz .LBB183_340
; %bb.115:
	v_cvt_f32_f16_e32 v3, v1
	v_mov_b32_e32 v4, 0x7f800000
	v_cmp_neq_f32_e64 s[0:1], |v2|, v4
	s_and_saveexec_b64 s[6:7], s[0:1]
	s_cbranch_execz .LBB183_339
; %bb.116:
	v_cmp_o_f16_e32 vcc, v1, v1
                                        ; implicit-def: $vgpr4
	s_and_saveexec_b64 s[0:1], vcc
	s_xor_b64 s[8:9], exec, s[0:1]
	s_cbranch_execz .LBB183_336
; %bb.117:
	s_mov_b32 s0, 0x7f800000
	v_cmp_neq_f32_e64 s[0:1], |v3|, s0
                                        ; implicit-def: $vgpr4
	s_and_saveexec_b64 s[2:3], s[0:1]
	s_xor_b64 s[10:11], exec, s[2:3]
	s_cbranch_execz .LBB183_329
; %bb.118:
	v_max_f32_e64 v1, |v2|, |v2|
	v_max_f32_e64 v4, |v3|, |v3|
	v_max_f32_e32 v1, v4, v1
	s_mov_b32 s0, 0x7ed413cb
	v_cmp_nle_f32_e64 s[0:1], s0, v1
                                        ; implicit-def: $sgpr12_sgpr13
	s_and_saveexec_b64 s[2:3], s[0:1]
	s_xor_b64 s[2:3], exec, s[2:3]
	s_cbranch_execz .LBB183_122
; %bb.119:
	s_mov_b32 s14, 0x1000000
	v_cmp_le_f32_e64 s[12:13], |v3|, s14
	v_cmp_le_f32_e64 s[14:15], |v2|, s14
	s_and_b64 s[28:29], s[12:13], s[14:15]
	s_mov_b64 s[12:13], 0
	s_and_saveexec_b64 s[14:15], s[28:29]
; %bb.120:
	s_mov_b64 s[12:13], exec
	v_pk_mul_f32 v[2:3], v[2:3], 4.0 op_sel_hi:[1,0]
; %bb.121:
	s_or_b64 exec, exec, s[14:15]
.LBB183_122:
	s_andn2_saveexec_b64 s[2:3], s[2:3]
; %bb.123:
	s_mov_b32 s14, 0x3e800000
	v_pk_mul_f32 v[2:3], v[2:3], s[14:15] op_sel_hi:[1,0]
	s_andn2_b64 s[12:13], s[12:13], exec
; %bb.124:
	s_or_b64 exec, exec, s[2:3]
	v_max_f32_e64 v1, |v2|, |v2|
	v_max_f32_e64 v4, |v3|, |v3|
	v_max_f32_e32 v1, v4, v1
	v_cvt_f64_f32_e32 v[4:5], v1
	v_frexp_exp_i32_f64_e32 v4, v[4:5]
	v_sub_u32_e32 v5, 0, v4
	v_ldexp_f32 v6, |v3|, v5
	v_ldexp_f32 v5, |v2|, v5
	v_mul_f32_e32 v5, v5, v5
	v_fmac_f32_e32 v5, v6, v6
	v_sqrt_f32_e32 v5, v5
	s_mov_b32 s2, 0x7f800000
	v_cmp_neq_f32_e64 s[2:3], s2, v1
	v_cmp_le_f32_e32 vcc, 0, v3
	v_ldexp_f32 v4, v5, v4
	v_mov_b32_e32 v5, 0x7f800000
	v_cndmask_b32_e64 v1, v5, v4, s[2:3]
                                        ; implicit-def: $vgpr6_vgpr7
	s_and_saveexec_b64 s[2:3], vcc
	s_xor_b64 s[14:15], exec, s[2:3]
	s_cbranch_execz .LBB183_271
; %bb.125:
	v_add_f32_e32 v1, v3, v1
	v_mul_f32_e32 v1, 0.5, v1
	s_mov_b32 s2, 0xf800000
	v_mul_f32_e32 v3, 0x4f800000, v1
	v_cmp_gt_f32_e32 vcc, s2, v1
	s_nop 1
	v_cndmask_b32_e32 v1, v1, v3, vcc
	v_sqrt_f32_e32 v3, v1
	s_nop 0
	v_add_u32_e32 v4, -1, v3
	v_fma_f32 v5, -v4, v3, v1
	v_cmp_ge_f32_e64 s[2:3], 0, v5
	v_add_u32_e32 v5, 1, v3
	s_nop 0
	v_cndmask_b32_e64 v4, v3, v4, s[2:3]
	v_fma_f32 v3, -v5, v3, v1
	v_cmp_lt_f32_e64 s[2:3], 0, v3
	s_nop 1
	v_cndmask_b32_e64 v3, v4, v5, s[2:3]
	v_mul_f32_e32 v4, 0x37800000, v3
	v_cndmask_b32_e32 v3, v3, v4, vcc
	v_mov_b32_e32 v4, 0x260
	v_cmp_class_f32_e32 vcc, v1, v4
	s_nop 1
	v_cndmask_b32_e32 v6, v3, v1, vcc
	v_add_f32_e32 v1, v6, v6
	v_div_scale_f32 v3, s[2:3], v1, v1, v2
	v_rcp_f32_e32 v4, v3
	s_nop 0
	v_fma_f32 v5, -v3, v4, 1.0
	v_fmac_f32_e32 v4, v5, v4
	v_div_scale_f32 v5, vcc, v2, v1, v2
	v_mul_f32_e32 v7, v5, v4
	v_fma_f32 v9, -v3, v7, v5
	v_fmac_f32_e32 v7, v9, v4
	v_fma_f32 v3, -v3, v7, v5
	v_div_fmas_f32 v3, v3, v4, v7
	v_div_fixup_f32 v7, v3, v1, v2
                                        ; implicit-def: $vgpr1
                                        ; implicit-def: $vgpr2_vgpr3
	s_andn2_saveexec_b64 s[14:15], s[14:15]
	s_cbranch_execz .LBB183_273
	s_branch .LBB183_272
.LBB183_126:
	s_andn2_saveexec_b64 s[18:19], s[18:19]
	s_cbranch_execz .LBB183_128
.LBB183_127:
	v_sub_f32_e32 v1, v1, v17
	v_mul_f32_e32 v1, 0.5, v1
	s_mov_b32 s2, 0xf800000
	v_mul_f32_e32 v3, 0x4f800000, v1
	v_cmp_gt_f32_e32 vcc, s2, v1
	s_nop 1
	v_cndmask_b32_e32 v1, v1, v3, vcc
	v_sqrt_f32_e32 v3, v1
	s_nop 0
	v_add_u32_e32 v5, -1, v3
	v_fma_f32 v7, -v5, v3, v1
	v_cmp_ge_f32_e64 s[2:3], 0, v7
	v_add_u32_e32 v7, 1, v3
	s_nop 0
	v_cndmask_b32_e64 v5, v3, v5, s[2:3]
	v_fma_f32 v3, -v7, v3, v1
	v_cmp_lt_f32_e64 s[2:3], 0, v3
	s_nop 1
	v_cndmask_b32_e64 v3, v5, v7, s[2:3]
	v_mul_f32_e32 v5, 0x37800000, v3
	v_cndmask_b32_e32 v3, v3, v5, vcc
	v_mov_b32_e32 v5, 0x260
	v_cmp_class_f32_e32 vcc, v1, v5
	v_and_b32_e32 v5, 0x7fffffff, v16
	s_nop 0
	v_cndmask_b32_e32 v1, v3, v1, vcc
	v_add_f32_e32 v3, v1, v1
	v_div_scale_f32 v7, s[2:3], v3, v3, v5
	v_rcp_f32_e32 v9, v7
	v_div_scale_f32 v5, vcc, v5, v3, v5
	s_brev_b32 s2, -2
	v_fma_f32 v10, -v7, v9, 1.0
	v_fmac_f32_e32 v9, v10, v9
	v_mul_f32_e32 v10, v5, v9
	v_fma_f32 v11, -v7, v10, v5
	v_fmac_f32_e32 v10, v11, v9
	v_fma_f32 v5, -v7, v10, v5
	v_div_fmas_f32 v5, v5, v9, v10
	v_div_fixup_f32 v10, v5, v3, |v16|
	v_bfi_b32 v11, s2, v1, v16
.LBB183_128:
	s_or_b64 exec, exec, s[18:19]
                                        ; implicit-def: $vgpr16
                                        ; implicit-def: $vgpr18
	s_and_saveexec_b64 s[2:3], s[0:1]
	s_xor_b64 s[0:1], exec, s[2:3]
	s_cbranch_execz .LBB183_130
; %bb.129:
	v_pk_mul_f32 v[16:17], v[10:11], 0.5 op_sel_hi:[1,0]
	s_nop 0
	v_cndmask_b32_e64 v18, v10, v16, s[16:17]
	v_cndmask_b32_e64 v16, v11, v17, s[16:17]
                                        ; implicit-def: $vgpr10_vgpr11
	s_andn2_saveexec_b64 s[0:1], s[0:1]
	s_cbranch_execnz .LBB183_131
	s_branch .LBB183_132
.LBB183_130:
	s_andn2_saveexec_b64 s[0:1], s[0:1]
.LBB183_131:
	v_pk_add_f32 v[18:19], v[10:11], v[10:11]
	s_nop 0
	v_mov_b32_e32 v16, v19
.LBB183_132:
	s_or_b64 exec, exec, s[0:1]
                                        ; implicit-def: $vgpr1
.LBB183_133:
	s_andn2_saveexec_b64 s[0:1], s[14:15]
	s_cbranch_execz .LBB183_139
; %bb.134:
	v_and_b32_e32 v1, 0x8000, v1
	v_cmp_ne_u32_e32 vcc, 0, v1
	v_sub_f32_e32 v1, v16, v16
                                        ; implicit-def: $vgpr18
	s_and_saveexec_b64 s[2:3], vcc
	s_xor_b64 s[2:3], exec, s[2:3]
; %bb.135:
	s_brev_b32 s14, -2
	v_and_b32_e32 v18, 0x7fffffff, v1
	v_bfi_b32 v16, s14, v17, v16
                                        ; implicit-def: $vgpr1
; %bb.136:
	s_andn2_saveexec_b64 s[2:3], s[2:3]
; %bb.137:
	s_brev_b32 s14, -2
	v_bfi_b32 v16, s14, v1, v16
	v_mov_b32_e32 v18, v17
; %bb.138:
	s_or_b64 exec, exec, s[2:3]
.LBB183_139:
	s_or_b64 exec, exec, s[0:1]
.LBB183_140:
	s_andn2_saveexec_b64 s[0:1], s[12:13]
	s_cbranch_execz .LBB183_142
; %bb.141:
	v_sub_f32_e32 v1, v16, v16
	v_div_scale_f32 v3, vcc, v1, v1, v1
	v_rcp_f32_e32 v5, v3
	v_mov_b32_e32 v18, v17
	v_fma_f32 v7, -v3, v5, 1.0
	v_fmac_f32_e32 v5, v7, v5
	v_mul_f32_e32 v7, v3, v5
	v_fma_f32 v9, -v3, v7, v3
	v_fmac_f32_e32 v7, v9, v5
	v_fma_f32 v3, -v3, v7, v3
	v_div_fmas_f32 v3, v3, v5, v7
	v_div_fixup_f32 v16, v3, v1, v1
.LBB183_142:
	s_or_b64 exec, exec, s[0:1]
.LBB183_143:
	s_or_b64 exec, exec, s[10:11]
.LBB183_144:
	s_or_b64 exec, exec, s[8:9]
	v_cmp_gt_f32_e32 vcc, 0, v16
                                        ; implicit-def: $vgpr10_vgpr11
	s_nop 1
	v_cndmask_b32_e64 v3, v16, -v16, vcc
	v_cmp_gt_f32_e32 vcc, 0, v18
	s_nop 1
	v_cndmask_b32_e64 v1, v18, -v18, vcc
	v_cmp_ge_f32_e32 vcc, v1, v3
	s_and_saveexec_b64 s[0:1], vcc
	s_xor_b64 s[2:3], exec, s[0:1]
	s_cbranch_execz .LBB183_150
; %bb.145:
	v_cmp_neq_f32_e32 vcc, 0, v18
	v_cmp_neq_f32_e64 s[0:1], 0, v16
	s_or_b64 s[0:1], vcc, s[0:1]
                                        ; implicit-def: $vgpr10_vgpr11
	s_and_saveexec_b64 s[8:9], s[0:1]
	s_xor_b64 s[0:1], exec, s[8:9]
	s_cbranch_execz .LBB183_147
; %bb.146:
	v_div_scale_f32 v1, s[8:9], v18, v18, v16
	v_rcp_f32_e32 v3, v1
	v_div_scale_f32 v5, vcc, v16, v18, v16
	v_fma_f32 v7, -v1, v3, 1.0
	v_fmac_f32_e32 v3, v7, v3
	v_mul_f32_e32 v7, v5, v3
	v_fma_f32 v9, -v1, v7, v5
	v_fmac_f32_e32 v7, v9, v3
	v_fma_f32 v1, -v1, v7, v5
	v_div_fmas_f32 v1, v1, v3, v7
	v_div_fixup_f32 v1, v1, v18, v16
	v_fmac_f32_e32 v18, v16, v1
	v_div_scale_f32 v3, s[8:9], v18, v18, 1.0
	v_rcp_f32_e32 v5, v3
	v_sub_f32_e32 v17, 0, v1
	v_fma_f32 v7, -v3, v5, 1.0
	v_fmac_f32_e32 v5, v7, v5
	v_div_scale_f32 v7, vcc, 1.0, v18, 1.0
	v_mul_f32_e32 v9, v7, v5
	v_fma_f32 v10, -v3, v9, v7
	v_fmac_f32_e32 v9, v10, v5
	v_fma_f32 v3, -v3, v9, v7
	v_div_fmas_f32 v3, v3, v5, v9
	v_div_fixup_f32 v10, v3, v18, 1.0
	v_mul_f32_e32 v3, 0, v1
	v_add_f32_e32 v16, 1.0, v3
	v_pk_mul_f32 v[10:11], v[16:17], v[10:11] op_sel_hi:[1,0]
                                        ; implicit-def: $vgpr3
                                        ; implicit-def: $vgpr1
.LBB183_147:
	s_andn2_saveexec_b64 s[0:1], s[0:1]
	s_cbranch_execz .LBB183_149
; %bb.148:
	v_div_scale_f32 v5, s[8:9], v3, v3, 0
	v_rcp_f32_e32 v7, v5
	v_div_scale_f32 v9, vcc, 0, v3, 0
	v_fma_f32 v10, -v5, v7, 1.0
	v_fmac_f32_e32 v7, v10, v7
	v_mul_f32_e32 v10, v9, v7
	v_fma_f32 v11, -v5, v10, v9
	v_fmac_f32_e32 v10, v11, v7
	v_fma_f32 v5, -v5, v10, v9
	v_div_scale_f32 v9, s[8:9], v1, v1, 1.0
	v_rcp_f32_e32 v13, v9
	v_div_fmas_f32 v5, v5, v7, v10
	v_div_fixup_f32 v11, v5, v3, 0
	v_fma_f32 v3, -v9, v13, 1.0
	v_fmac_f32_e32 v13, v3, v13
	v_div_scale_f32 v3, vcc, 1.0, v1, 1.0
	v_mul_f32_e32 v5, v3, v13
	v_fma_f32 v7, -v9, v5, v3
	v_fmac_f32_e32 v5, v7, v13
	v_fma_f32 v3, -v9, v5, v3
	v_div_fmas_f32 v3, v3, v13, v5
	v_div_fixup_f32 v10, v3, v1, 1.0
.LBB183_149:
	s_or_b64 exec, exec, s[0:1]
                                        ; implicit-def: $vgpr16
                                        ; implicit-def: $vgpr18
.LBB183_150:
	s_andn2_saveexec_b64 s[0:1], s[2:3]
	s_cbranch_execz .LBB183_152
; %bb.151:
	v_div_scale_f32 v1, s[2:3], v16, v16, v18
	v_rcp_f32_e32 v3, v1
	v_div_scale_f32 v5, vcc, v18, v16, v18
	v_fma_f32 v7, -v1, v3, 1.0
	v_fmac_f32_e32 v3, v7, v3
	v_mul_f32_e32 v7, v5, v3
	v_fma_f32 v9, -v1, v7, v5
	v_fmac_f32_e32 v7, v9, v3
	v_fma_f32 v1, -v1, v7, v5
	v_div_fmas_f32 v1, v1, v3, v7
	v_div_fixup_f32 v10, v1, v16, v18
	v_fmac_f32_e32 v16, v18, v10
	v_div_scale_f32 v1, s[2:3], v16, v16, 1.0
	v_rcp_f32_e32 v3, v1
	s_mov_b32 s2, 0
	s_mov_b32 s3, -1.0
	v_mul_f32_e32 v11, 0, v10
	v_fma_f32 v5, -v1, v3, 1.0
	v_fmac_f32_e32 v3, v5, v3
	v_div_scale_f32 v5, vcc, 1.0, v16, 1.0
	v_mul_f32_e32 v7, v5, v3
	v_fma_f32 v9, -v1, v7, v5
	v_fmac_f32_e32 v7, v9, v3
	v_fma_f32 v1, -v1, v7, v5
	v_div_fmas_f32 v1, v1, v3, v7
	v_div_fixup_f32 v16, v1, v16, 1.0
	v_pk_add_f32 v[10:11], v[10:11], s[2:3]
	s_nop 0
	v_pk_mul_f32 v[10:11], v[10:11], v[16:17] op_sel_hi:[1,0]
.LBB183_152:
	s_or_b64 exec, exec, s[0:1]
	global_load_dword v1, v14, s[6:7]
	v_mov_b32_e32 v18, 0
	s_waitcnt vmcnt(0)
	v_cvt_f32_f16_sdwa v16, v1 dst_sel:DWORD dst_unused:UNUSED_PAD src0_sel:WORD_1
	v_cmp_neq_f16_e32 vcc, 0, v1
	v_cmp_neq_f16_sdwa s[0:1], v1, v18 src0_sel:WORD_1 src1_sel:DWORD
	s_or_b64 s[0:1], vcc, s[0:1]
	s_and_saveexec_b64 s[8:9], s[0:1]
	s_cbranch_execz .LBB183_182
; %bb.153:
	v_cvt_f32_f16_e32 v17, v1
	v_mov_b32_e32 v18, 0x7f800000
	v_cmp_neq_f32_e64 s[0:1], |v16|, v18
	s_and_saveexec_b64 s[10:11], s[0:1]
	s_cbranch_execz .LBB183_181
; %bb.154:
	v_cmp_o_f16_e32 vcc, v1, v1
                                        ; implicit-def: $vgpr18
	s_and_saveexec_b64 s[0:1], vcc
	s_xor_b64 s[12:13], exec, s[0:1]
	s_cbranch_execz .LBB183_178
; %bb.155:
	s_mov_b32 s0, 0x7f800000
	v_cmp_neq_f32_e64 s[0:1], |v17|, s0
                                        ; implicit-def: $vgpr18
	s_and_saveexec_b64 s[2:3], s[0:1]
	s_xor_b64 s[14:15], exec, s[2:3]
	s_cbranch_execz .LBB183_171
; %bb.156:
	v_max_f32_e64 v1, |v16|, |v16|
	v_max_f32_e64 v3, |v17|, |v17|
	v_max_f32_e32 v1, v3, v1
	s_mov_b32 s0, 0x7ed413cb
	v_cmp_nle_f32_e64 s[0:1], s0, v1
                                        ; implicit-def: $sgpr16_sgpr17
	s_and_saveexec_b64 s[2:3], s[0:1]
	s_xor_b64 s[2:3], exec, s[2:3]
	s_cbranch_execz .LBB183_160
; %bb.157:
	s_mov_b32 s18, 0x1000000
	v_cmp_le_f32_e64 s[16:17], |v17|, s18
	v_cmp_le_f32_e64 s[18:19], |v16|, s18
	s_and_b64 s[20:21], s[16:17], s[18:19]
	s_mov_b64 s[16:17], 0
	s_and_saveexec_b64 s[18:19], s[20:21]
; %bb.158:
	s_mov_b64 s[16:17], exec
	v_pk_mul_f32 v[16:17], v[16:17], 4.0 op_sel_hi:[1,0]
; %bb.159:
	s_or_b64 exec, exec, s[18:19]
.LBB183_160:
	s_andn2_saveexec_b64 s[2:3], s[2:3]
; %bb.161:
	s_mov_b32 s18, 0x3e800000
	v_pk_mul_f32 v[16:17], v[16:17], s[18:19] op_sel_hi:[1,0]
	s_andn2_b64 s[16:17], s[16:17], exec
; %bb.162:
	s_or_b64 exec, exec, s[2:3]
	v_max_f32_e64 v1, |v16|, |v16|
	v_max_f32_e64 v3, |v17|, |v17|
	v_max_f32_e32 v1, v3, v1
	v_cvt_f64_f32_e32 v[14:15], v1
	v_frexp_exp_i32_f64_e32 v3, v[14:15]
	v_sub_u32_e32 v5, 0, v3
	v_ldexp_f32 v7, |v17|, v5
	v_ldexp_f32 v5, |v16|, v5
	v_mul_f32_e32 v5, v5, v5
	v_fmac_f32_e32 v5, v7, v7
	v_sqrt_f32_e32 v5, v5
	s_mov_b32 s2, 0x7f800000
	v_cmp_neq_f32_e64 s[2:3], s2, v1
	v_cmp_le_f32_e32 vcc, 0, v17
	v_ldexp_f32 v3, v5, v3
	v_mov_b32_e32 v5, 0x7f800000
	v_cndmask_b32_e64 v1, v5, v3, s[2:3]
                                        ; implicit-def: $vgpr14_vgpr15
	s_and_saveexec_b64 s[2:3], vcc
	s_xor_b64 s[18:19], exec, s[2:3]
	s_cbranch_execz .LBB183_164
; %bb.163:
	v_add_f32_e32 v1, v17, v1
	v_mul_f32_e32 v1, 0.5, v1
	s_mov_b32 s2, 0xf800000
	v_mul_f32_e32 v3, 0x4f800000, v1
	v_cmp_gt_f32_e32 vcc, s2, v1
	s_nop 1
	v_cndmask_b32_e32 v1, v1, v3, vcc
	v_sqrt_f32_e32 v3, v1
	s_nop 0
	v_add_u32_e32 v5, -1, v3
	v_fma_f32 v7, -v5, v3, v1
	v_cmp_ge_f32_e64 s[2:3], 0, v7
	v_add_u32_e32 v7, 1, v3
	s_nop 0
	v_cndmask_b32_e64 v5, v3, v5, s[2:3]
	v_fma_f32 v3, -v7, v3, v1
	v_cmp_lt_f32_e64 s[2:3], 0, v3
	s_nop 1
	v_cndmask_b32_e64 v3, v5, v7, s[2:3]
	v_mul_f32_e32 v5, 0x37800000, v3
	v_cndmask_b32_e32 v3, v3, v5, vcc
	v_mov_b32_e32 v5, 0x260
	v_cmp_class_f32_e32 vcc, v1, v5
	s_nop 1
	v_cndmask_b32_e32 v14, v3, v1, vcc
	v_add_f32_e32 v1, v14, v14
	v_div_scale_f32 v3, s[2:3], v1, v1, v16
	v_rcp_f32_e32 v5, v3
	s_nop 0
	v_fma_f32 v7, -v3, v5, 1.0
	v_fmac_f32_e32 v5, v7, v5
	v_div_scale_f32 v7, vcc, v16, v1, v16
	v_mul_f32_e32 v9, v7, v5
	v_fma_f32 v13, -v3, v9, v7
	v_fmac_f32_e32 v9, v13, v5
	v_fma_f32 v3, -v3, v9, v7
	v_div_fmas_f32 v3, v3, v5, v9
	v_div_fixup_f32 v15, v3, v1, v16
                                        ; implicit-def: $vgpr1
                                        ; implicit-def: $vgpr16_vgpr17
	s_andn2_saveexec_b64 s[18:19], s[18:19]
	s_cbranch_execz .LBB183_166
	s_branch .LBB183_165
.LBB183_164:
	s_andn2_saveexec_b64 s[18:19], s[18:19]
	s_cbranch_execz .LBB183_166
.LBB183_165:
	v_sub_f32_e32 v1, v1, v17
	v_mul_f32_e32 v1, 0.5, v1
	s_mov_b32 s2, 0xf800000
	v_mul_f32_e32 v3, 0x4f800000, v1
	v_cmp_gt_f32_e32 vcc, s2, v1
	s_nop 1
	v_cndmask_b32_e32 v1, v1, v3, vcc
	v_sqrt_f32_e32 v3, v1
	s_nop 0
	v_add_u32_e32 v5, -1, v3
	v_fma_f32 v7, -v5, v3, v1
	v_cmp_ge_f32_e64 s[2:3], 0, v7
	v_add_u32_e32 v7, 1, v3
	s_nop 0
	v_cndmask_b32_e64 v5, v3, v5, s[2:3]
	v_fma_f32 v3, -v7, v3, v1
	v_cmp_lt_f32_e64 s[2:3], 0, v3
	s_nop 1
	v_cndmask_b32_e64 v3, v5, v7, s[2:3]
	v_mul_f32_e32 v5, 0x37800000, v3
	v_cndmask_b32_e32 v3, v3, v5, vcc
	v_mov_b32_e32 v5, 0x260
	v_cmp_class_f32_e32 vcc, v1, v5
	v_and_b32_e32 v5, 0x7fffffff, v16
	s_nop 0
	v_cndmask_b32_e32 v1, v3, v1, vcc
	v_add_f32_e32 v3, v1, v1
	v_div_scale_f32 v7, s[2:3], v3, v3, v5
	v_rcp_f32_e32 v9, v7
	v_div_scale_f32 v5, vcc, v5, v3, v5
	s_brev_b32 s2, -2
	v_fma_f32 v13, -v7, v9, 1.0
	v_fmac_f32_e32 v9, v13, v9
	v_mul_f32_e32 v13, v5, v9
	v_fma_f32 v14, -v7, v13, v5
	v_fmac_f32_e32 v13, v14, v9
	v_fma_f32 v5, -v7, v13, v5
	v_div_fmas_f32 v5, v5, v9, v13
	v_div_fixup_f32 v14, v5, v3, |v16|
	v_bfi_b32 v15, s2, v1, v16
.LBB183_166:
	s_or_b64 exec, exec, s[18:19]
                                        ; implicit-def: $vgpr16
                                        ; implicit-def: $vgpr18
	s_and_saveexec_b64 s[2:3], s[0:1]
	s_xor_b64 s[0:1], exec, s[2:3]
	s_cbranch_execz .LBB183_168
; %bb.167:
	v_pk_mul_f32 v[16:17], v[14:15], 0.5 op_sel_hi:[1,0]
	s_nop 0
	v_cndmask_b32_e64 v18, v14, v16, s[16:17]
	v_cndmask_b32_e64 v16, v15, v17, s[16:17]
                                        ; implicit-def: $vgpr14_vgpr15
	s_andn2_saveexec_b64 s[0:1], s[0:1]
	s_cbranch_execnz .LBB183_169
	s_branch .LBB183_170
.LBB183_168:
	s_andn2_saveexec_b64 s[0:1], s[0:1]
.LBB183_169:
	v_pk_add_f32 v[18:19], v[14:15], v[14:15]
	s_nop 0
	v_mov_b32_e32 v16, v19
.LBB183_170:
	s_or_b64 exec, exec, s[0:1]
                                        ; implicit-def: $vgpr1
.LBB183_171:
	s_andn2_saveexec_b64 s[0:1], s[14:15]
	s_cbranch_execz .LBB183_177
; %bb.172:
	v_and_b32_e32 v1, 0x8000, v1
	v_cmp_ne_u32_e32 vcc, 0, v1
	v_sub_f32_e32 v1, v16, v16
                                        ; implicit-def: $vgpr18
	s_and_saveexec_b64 s[2:3], vcc
	s_xor_b64 s[2:3], exec, s[2:3]
; %bb.173:
	s_brev_b32 s14, -2
	v_and_b32_e32 v18, 0x7fffffff, v1
	v_bfi_b32 v16, s14, v17, v16
                                        ; implicit-def: $vgpr1
; %bb.174:
	s_andn2_saveexec_b64 s[2:3], s[2:3]
; %bb.175:
	s_brev_b32 s14, -2
	v_bfi_b32 v16, s14, v1, v16
	v_mov_b32_e32 v18, v17
; %bb.176:
	s_or_b64 exec, exec, s[2:3]
.LBB183_177:
	s_or_b64 exec, exec, s[0:1]
.LBB183_178:
	s_andn2_saveexec_b64 s[0:1], s[12:13]
	s_cbranch_execz .LBB183_180
; %bb.179:
	v_sub_f32_e32 v1, v16, v16
	v_div_scale_f32 v3, vcc, v1, v1, v1
	v_rcp_f32_e32 v5, v3
	v_mov_b32_e32 v18, v17
	v_fma_f32 v7, -v3, v5, 1.0
	v_fmac_f32_e32 v5, v7, v5
	v_mul_f32_e32 v7, v3, v5
	v_fma_f32 v9, -v3, v7, v3
	v_fmac_f32_e32 v7, v9, v5
	v_fma_f32 v3, -v3, v7, v3
	v_div_fmas_f32 v3, v3, v5, v7
	v_div_fixup_f32 v16, v3, v1, v1
.LBB183_180:
	s_or_b64 exec, exec, s[0:1]
.LBB183_181:
	s_or_b64 exec, exec, s[10:11]
.LBB183_182:
	s_or_b64 exec, exec, s[8:9]
	v_cmp_gt_f32_e32 vcc, 0, v16
                                        ; implicit-def: $vgpr14_vgpr15
	s_nop 1
	v_cndmask_b32_e64 v3, v16, -v16, vcc
	v_cmp_gt_f32_e32 vcc, 0, v18
	s_nop 1
	v_cndmask_b32_e64 v1, v18, -v18, vcc
	v_cmp_ge_f32_e32 vcc, v1, v3
	s_and_saveexec_b64 s[0:1], vcc
	s_xor_b64 s[2:3], exec, s[0:1]
	s_cbranch_execz .LBB183_188
; %bb.183:
	v_cmp_neq_f32_e32 vcc, 0, v18
	v_cmp_neq_f32_e64 s[0:1], 0, v16
	s_or_b64 s[0:1], vcc, s[0:1]
                                        ; implicit-def: $vgpr14_vgpr15
	s_and_saveexec_b64 s[8:9], s[0:1]
	s_xor_b64 s[0:1], exec, s[8:9]
	s_cbranch_execz .LBB183_185
; %bb.184:
	v_div_scale_f32 v1, s[8:9], v18, v18, v16
	v_rcp_f32_e32 v3, v1
	v_div_scale_f32 v5, vcc, v16, v18, v16
	v_fma_f32 v7, -v1, v3, 1.0
	v_fmac_f32_e32 v3, v7, v3
	v_mul_f32_e32 v7, v5, v3
	v_fma_f32 v9, -v1, v7, v5
	v_fmac_f32_e32 v7, v9, v3
	v_fma_f32 v1, -v1, v7, v5
	v_div_fmas_f32 v1, v1, v3, v7
	v_div_fixup_f32 v1, v1, v18, v16
	v_fmac_f32_e32 v18, v16, v1
	v_div_scale_f32 v3, s[8:9], v18, v18, 1.0
	v_rcp_f32_e32 v5, v3
	v_sub_f32_e32 v17, 0, v1
	v_fma_f32 v7, -v3, v5, 1.0
	v_fmac_f32_e32 v5, v7, v5
	v_div_scale_f32 v7, vcc, 1.0, v18, 1.0
	v_mul_f32_e32 v9, v7, v5
	v_fma_f32 v13, -v3, v9, v7
	v_fmac_f32_e32 v9, v13, v5
	v_fma_f32 v3, -v3, v9, v7
	v_div_fmas_f32 v3, v3, v5, v9
	v_div_fixup_f32 v14, v3, v18, 1.0
	v_mul_f32_e32 v3, 0, v1
	v_add_f32_e32 v16, 1.0, v3
	v_pk_mul_f32 v[14:15], v[16:17], v[14:15] op_sel_hi:[1,0]
                                        ; implicit-def: $vgpr3
                                        ; implicit-def: $vgpr1
.LBB183_185:
	s_andn2_saveexec_b64 s[0:1], s[0:1]
	s_cbranch_execz .LBB183_187
; %bb.186:
	v_div_scale_f32 v5, s[8:9], v3, v3, 0
	v_rcp_f32_e32 v7, v5
	v_div_scale_f32 v9, vcc, 0, v3, 0
	v_fma_f32 v13, -v5, v7, 1.0
	v_fmac_f32_e32 v7, v13, v7
	v_mul_f32_e32 v13, v9, v7
	v_fma_f32 v14, -v5, v13, v9
	v_fmac_f32_e32 v13, v14, v7
	v_fma_f32 v5, -v5, v13, v9
	v_div_scale_f32 v9, s[8:9], v1, v1, 1.0
	v_rcp_f32_e32 v14, v9
	v_div_fmas_f32 v5, v5, v7, v13
	v_div_fixup_f32 v15, v5, v3, 0
	v_fma_f32 v3, -v9, v14, 1.0
	v_fmac_f32_e32 v14, v3, v14
	v_div_scale_f32 v3, vcc, 1.0, v1, 1.0
	v_mul_f32_e32 v5, v3, v14
	v_fma_f32 v7, -v9, v5, v3
	v_fmac_f32_e32 v5, v7, v14
	v_fma_f32 v3, -v9, v5, v3
	v_div_fmas_f32 v3, v3, v14, v5
	v_div_fixup_f32 v14, v3, v1, 1.0
.LBB183_187:
	s_or_b64 exec, exec, s[0:1]
                                        ; implicit-def: $vgpr16
                                        ; implicit-def: $vgpr18
.LBB183_188:
	s_andn2_saveexec_b64 s[0:1], s[2:3]
	s_cbranch_execz .LBB183_190
; %bb.189:
	v_div_scale_f32 v1, s[2:3], v16, v16, v18
	v_rcp_f32_e32 v3, v1
	v_div_scale_f32 v5, vcc, v18, v16, v18
	v_fma_f32 v7, -v1, v3, 1.0
	v_fmac_f32_e32 v3, v7, v3
	v_mul_f32_e32 v7, v5, v3
	v_fma_f32 v9, -v1, v7, v5
	v_fmac_f32_e32 v7, v9, v3
	v_fma_f32 v1, -v1, v7, v5
	v_div_fmas_f32 v1, v1, v3, v7
	v_div_fixup_f32 v14, v1, v16, v18
	v_fmac_f32_e32 v16, v18, v14
	v_div_scale_f32 v1, s[2:3], v16, v16, 1.0
	v_rcp_f32_e32 v3, v1
	s_mov_b32 s2, 0
	s_mov_b32 s3, -1.0
	v_mul_f32_e32 v15, 0, v14
	v_fma_f32 v5, -v1, v3, 1.0
	v_fmac_f32_e32 v3, v5, v3
	v_div_scale_f32 v5, vcc, 1.0, v16, 1.0
	v_mul_f32_e32 v7, v5, v3
	v_fma_f32 v9, -v1, v7, v5
	v_fmac_f32_e32 v7, v9, v3
	v_fma_f32 v1, -v1, v7, v5
	v_div_fmas_f32 v1, v1, v3, v7
	v_div_fixup_f32 v16, v1, v16, 1.0
	v_pk_add_f32 v[14:15], v[14:15], s[2:3]
	s_nop 0
	v_pk_mul_f32 v[14:15], v[14:15], v[16:17] op_sel_hi:[1,0]
.LBB183_190:
	s_or_b64 exec, exec, s[0:1]
	global_load_dword v1, v12, s[6:7]
	v_mov_b32_e32 v18, 0
	s_waitcnt vmcnt(0)
	v_cvt_f32_f16_sdwa v16, v1 dst_sel:DWORD dst_unused:UNUSED_PAD src0_sel:WORD_1
	v_cmp_neq_f16_e32 vcc, 0, v1
	v_cmp_neq_f16_sdwa s[0:1], v1, v18 src0_sel:WORD_1 src1_sel:DWORD
	s_or_b64 s[0:1], vcc, s[0:1]
	s_and_saveexec_b64 s[8:9], s[0:1]
	s_cbranch_execz .LBB183_220
; %bb.191:
	v_cvt_f32_f16_e32 v17, v1
	v_mov_b32_e32 v18, 0x7f800000
	v_cmp_neq_f32_e64 s[0:1], |v16|, v18
	s_and_saveexec_b64 s[10:11], s[0:1]
	s_cbranch_execz .LBB183_219
; %bb.192:
	v_cmp_o_f16_e32 vcc, v1, v1
                                        ; implicit-def: $vgpr18
	s_and_saveexec_b64 s[0:1], vcc
	s_xor_b64 s[12:13], exec, s[0:1]
	s_cbranch_execz .LBB183_216
; %bb.193:
	s_mov_b32 s0, 0x7f800000
	v_cmp_neq_f32_e64 s[0:1], |v17|, s0
                                        ; implicit-def: $vgpr18
	s_and_saveexec_b64 s[2:3], s[0:1]
	s_xor_b64 s[14:15], exec, s[2:3]
	s_cbranch_execz .LBB183_209
; %bb.194:
	v_max_f32_e64 v1, |v16|, |v16|
	v_max_f32_e64 v3, |v17|, |v17|
	v_max_f32_e32 v1, v3, v1
	s_mov_b32 s0, 0x7ed413cb
	v_cmp_nle_f32_e64 s[0:1], s0, v1
                                        ; implicit-def: $sgpr16_sgpr17
	s_and_saveexec_b64 s[2:3], s[0:1]
	s_xor_b64 s[2:3], exec, s[2:3]
	s_cbranch_execz .LBB183_198
; %bb.195:
	s_mov_b32 s18, 0x1000000
	v_cmp_le_f32_e64 s[16:17], |v17|, s18
	v_cmp_le_f32_e64 s[18:19], |v16|, s18
	s_and_b64 s[20:21], s[16:17], s[18:19]
	s_mov_b64 s[16:17], 0
	s_and_saveexec_b64 s[18:19], s[20:21]
; %bb.196:
	s_mov_b64 s[16:17], exec
	v_pk_mul_f32 v[16:17], v[16:17], 4.0 op_sel_hi:[1,0]
; %bb.197:
	s_or_b64 exec, exec, s[18:19]
.LBB183_198:
	s_andn2_saveexec_b64 s[2:3], s[2:3]
; %bb.199:
	s_mov_b32 s18, 0x3e800000
	v_pk_mul_f32 v[16:17], v[16:17], s[18:19] op_sel_hi:[1,0]
	s_andn2_b64 s[16:17], s[16:17], exec
; %bb.200:
	s_or_b64 exec, exec, s[2:3]
	v_max_f32_e64 v1, |v16|, |v16|
	v_max_f32_e64 v3, |v17|, |v17|
	v_max_f32_e32 v1, v3, v1
	v_cvt_f64_f32_e32 v[12:13], v1
	v_frexp_exp_i32_f64_e32 v3, v[12:13]
	v_sub_u32_e32 v5, 0, v3
	v_ldexp_f32 v7, |v17|, v5
	v_ldexp_f32 v5, |v16|, v5
	v_mul_f32_e32 v5, v5, v5
	v_fmac_f32_e32 v5, v7, v7
	v_sqrt_f32_e32 v5, v5
	s_mov_b32 s2, 0x7f800000
	v_cmp_neq_f32_e64 s[2:3], s2, v1
	v_cmp_le_f32_e32 vcc, 0, v17
	v_ldexp_f32 v3, v5, v3
	v_mov_b32_e32 v5, 0x7f800000
	v_cndmask_b32_e64 v1, v5, v3, s[2:3]
                                        ; implicit-def: $vgpr12_vgpr13
	s_and_saveexec_b64 s[2:3], vcc
	s_xor_b64 s[18:19], exec, s[2:3]
	s_cbranch_execz .LBB183_202
; %bb.201:
	v_add_f32_e32 v1, v17, v1
	v_mul_f32_e32 v1, 0.5, v1
	s_mov_b32 s2, 0xf800000
	v_mul_f32_e32 v3, 0x4f800000, v1
	v_cmp_gt_f32_e32 vcc, s2, v1
	s_nop 1
	v_cndmask_b32_e32 v1, v1, v3, vcc
	v_sqrt_f32_e32 v3, v1
	s_nop 0
	v_add_u32_e32 v5, -1, v3
	v_fma_f32 v7, -v5, v3, v1
	v_cmp_ge_f32_e64 s[2:3], 0, v7
	v_add_u32_e32 v7, 1, v3
	s_nop 0
	v_cndmask_b32_e64 v5, v3, v5, s[2:3]
	v_fma_f32 v3, -v7, v3, v1
	v_cmp_lt_f32_e64 s[2:3], 0, v3
	s_nop 1
	v_cndmask_b32_e64 v3, v5, v7, s[2:3]
	v_mul_f32_e32 v5, 0x37800000, v3
	v_cndmask_b32_e32 v3, v3, v5, vcc
	v_mov_b32_e32 v5, 0x260
	v_cmp_class_f32_e32 vcc, v1, v5
	s_nop 1
	v_cndmask_b32_e32 v12, v3, v1, vcc
	v_add_f32_e32 v1, v12, v12
	v_div_scale_f32 v3, s[2:3], v1, v1, v16
	v_rcp_f32_e32 v5, v3
	s_nop 0
	v_fma_f32 v7, -v3, v5, 1.0
	v_fmac_f32_e32 v5, v7, v5
	v_div_scale_f32 v7, vcc, v16, v1, v16
	v_mul_f32_e32 v9, v7, v5
	v_fma_f32 v13, -v3, v9, v7
	v_fmac_f32_e32 v9, v13, v5
	v_fma_f32 v3, -v3, v9, v7
	v_div_fmas_f32 v3, v3, v5, v9
	v_div_fixup_f32 v13, v3, v1, v16
                                        ; implicit-def: $vgpr1
                                        ; implicit-def: $vgpr16_vgpr17
	s_andn2_saveexec_b64 s[18:19], s[18:19]
	s_cbranch_execz .LBB183_204
	s_branch .LBB183_203
.LBB183_202:
	s_andn2_saveexec_b64 s[18:19], s[18:19]
	s_cbranch_execz .LBB183_204
.LBB183_203:
	v_sub_f32_e32 v1, v1, v17
	v_mul_f32_e32 v1, 0.5, v1
	s_mov_b32 s2, 0xf800000
	v_mul_f32_e32 v3, 0x4f800000, v1
	v_cmp_gt_f32_e32 vcc, s2, v1
	s_nop 1
	v_cndmask_b32_e32 v1, v1, v3, vcc
	v_sqrt_f32_e32 v3, v1
	s_nop 0
	v_add_u32_e32 v5, -1, v3
	v_fma_f32 v7, -v5, v3, v1
	v_cmp_ge_f32_e64 s[2:3], 0, v7
	v_add_u32_e32 v7, 1, v3
	s_nop 0
	v_cndmask_b32_e64 v5, v3, v5, s[2:3]
	v_fma_f32 v3, -v7, v3, v1
	v_cmp_lt_f32_e64 s[2:3], 0, v3
	s_nop 1
	v_cndmask_b32_e64 v3, v5, v7, s[2:3]
	v_mul_f32_e32 v5, 0x37800000, v3
	v_cndmask_b32_e32 v3, v3, v5, vcc
	v_mov_b32_e32 v5, 0x260
	v_cmp_class_f32_e32 vcc, v1, v5
	v_and_b32_e32 v5, 0x7fffffff, v16
	s_nop 0
	v_cndmask_b32_e32 v1, v3, v1, vcc
	v_add_f32_e32 v3, v1, v1
	v_div_scale_f32 v7, s[2:3], v3, v3, v5
	v_rcp_f32_e32 v9, v7
	v_div_scale_f32 v5, vcc, v5, v3, v5
	s_brev_b32 s2, -2
	v_fma_f32 v12, -v7, v9, 1.0
	v_fmac_f32_e32 v9, v12, v9
	v_mul_f32_e32 v12, v5, v9
	v_fma_f32 v13, -v7, v12, v5
	v_fmac_f32_e32 v12, v13, v9
	v_fma_f32 v5, -v7, v12, v5
	v_div_fmas_f32 v5, v5, v9, v12
	v_div_fixup_f32 v12, v5, v3, |v16|
	v_bfi_b32 v13, s2, v1, v16
.LBB183_204:
	s_or_b64 exec, exec, s[18:19]
                                        ; implicit-def: $vgpr16
                                        ; implicit-def: $vgpr18
	s_and_saveexec_b64 s[2:3], s[0:1]
	s_xor_b64 s[0:1], exec, s[2:3]
	s_cbranch_execz .LBB183_206
; %bb.205:
	v_pk_mul_f32 v[16:17], v[12:13], 0.5 op_sel_hi:[1,0]
	s_nop 0
	v_cndmask_b32_e64 v18, v12, v16, s[16:17]
	v_cndmask_b32_e64 v16, v13, v17, s[16:17]
                                        ; implicit-def: $vgpr12_vgpr13
	s_andn2_saveexec_b64 s[0:1], s[0:1]
	s_cbranch_execnz .LBB183_207
	s_branch .LBB183_208
.LBB183_206:
	s_andn2_saveexec_b64 s[0:1], s[0:1]
.LBB183_207:
	v_pk_add_f32 v[18:19], v[12:13], v[12:13]
	s_nop 0
	v_mov_b32_e32 v16, v19
.LBB183_208:
	s_or_b64 exec, exec, s[0:1]
                                        ; implicit-def: $vgpr1
.LBB183_209:
	s_andn2_saveexec_b64 s[0:1], s[14:15]
	s_cbranch_execz .LBB183_215
; %bb.210:
	v_and_b32_e32 v1, 0x8000, v1
	v_cmp_ne_u32_e32 vcc, 0, v1
	v_sub_f32_e32 v1, v16, v16
                                        ; implicit-def: $vgpr18
	s_and_saveexec_b64 s[2:3], vcc
	s_xor_b64 s[2:3], exec, s[2:3]
; %bb.211:
	s_brev_b32 s14, -2
	v_and_b32_e32 v18, 0x7fffffff, v1
	v_bfi_b32 v16, s14, v17, v16
                                        ; implicit-def: $vgpr1
; %bb.212:
	s_andn2_saveexec_b64 s[2:3], s[2:3]
; %bb.213:
	s_brev_b32 s14, -2
	v_bfi_b32 v16, s14, v1, v16
	v_mov_b32_e32 v18, v17
; %bb.214:
	s_or_b64 exec, exec, s[2:3]
.LBB183_215:
	s_or_b64 exec, exec, s[0:1]
.LBB183_216:
	s_andn2_saveexec_b64 s[0:1], s[12:13]
	s_cbranch_execz .LBB183_218
; %bb.217:
	v_sub_f32_e32 v1, v16, v16
	v_div_scale_f32 v3, vcc, v1, v1, v1
	v_rcp_f32_e32 v5, v3
	v_mov_b32_e32 v18, v17
	v_fma_f32 v7, -v3, v5, 1.0
	v_fmac_f32_e32 v5, v7, v5
	v_mul_f32_e32 v7, v3, v5
	v_fma_f32 v9, -v3, v7, v3
	v_fmac_f32_e32 v7, v9, v5
	v_fma_f32 v3, -v3, v7, v3
	v_div_fmas_f32 v3, v3, v5, v7
	v_div_fixup_f32 v16, v3, v1, v1
.LBB183_218:
	s_or_b64 exec, exec, s[0:1]
.LBB183_219:
	s_or_b64 exec, exec, s[10:11]
.LBB183_220:
	s_or_b64 exec, exec, s[8:9]
	v_cmp_gt_f32_e32 vcc, 0, v16
                                        ; implicit-def: $vgpr12_vgpr13
	s_nop 1
	v_cndmask_b32_e64 v3, v16, -v16, vcc
	v_cmp_gt_f32_e32 vcc, 0, v18
	s_nop 1
	v_cndmask_b32_e64 v1, v18, -v18, vcc
	v_cmp_ge_f32_e32 vcc, v1, v3
	s_and_saveexec_b64 s[0:1], vcc
	s_xor_b64 s[2:3], exec, s[0:1]
	s_cbranch_execz .LBB183_226
; %bb.221:
	v_cmp_neq_f32_e32 vcc, 0, v18
	v_cmp_neq_f32_e64 s[0:1], 0, v16
	s_or_b64 s[0:1], vcc, s[0:1]
                                        ; implicit-def: $vgpr12_vgpr13
	s_and_saveexec_b64 s[8:9], s[0:1]
	s_xor_b64 s[0:1], exec, s[8:9]
	s_cbranch_execz .LBB183_223
; %bb.222:
	v_div_scale_f32 v1, s[8:9], v18, v18, v16
	v_rcp_f32_e32 v3, v1
	v_div_scale_f32 v5, vcc, v16, v18, v16
	v_fma_f32 v7, -v1, v3, 1.0
	v_fmac_f32_e32 v3, v7, v3
	v_mul_f32_e32 v7, v5, v3
	v_fma_f32 v9, -v1, v7, v5
	v_fmac_f32_e32 v7, v9, v3
	v_fma_f32 v1, -v1, v7, v5
	v_div_fmas_f32 v1, v1, v3, v7
	v_div_fixup_f32 v1, v1, v18, v16
	v_fmac_f32_e32 v18, v16, v1
	v_div_scale_f32 v3, s[8:9], v18, v18, 1.0
	v_rcp_f32_e32 v5, v3
	v_sub_f32_e32 v17, 0, v1
	v_fma_f32 v7, -v3, v5, 1.0
	v_fmac_f32_e32 v5, v7, v5
	v_div_scale_f32 v7, vcc, 1.0, v18, 1.0
	v_mul_f32_e32 v9, v7, v5
	v_fma_f32 v12, -v3, v9, v7
	v_fmac_f32_e32 v9, v12, v5
	v_fma_f32 v3, -v3, v9, v7
	v_div_fmas_f32 v3, v3, v5, v9
	v_div_fixup_f32 v12, v3, v18, 1.0
	v_mul_f32_e32 v3, 0, v1
	v_add_f32_e32 v16, 1.0, v3
	v_pk_mul_f32 v[12:13], v[16:17], v[12:13] op_sel_hi:[1,0]
                                        ; implicit-def: $vgpr3
                                        ; implicit-def: $vgpr1
.LBB183_223:
	s_andn2_saveexec_b64 s[0:1], s[0:1]
	s_cbranch_execz .LBB183_225
; %bb.224:
	v_div_scale_f32 v5, s[8:9], v3, v3, 0
	v_rcp_f32_e32 v7, v5
	v_div_scale_f32 v9, vcc, 0, v3, 0
	v_fma_f32 v12, -v5, v7, 1.0
	v_fmac_f32_e32 v7, v12, v7
	v_mul_f32_e32 v12, v9, v7
	v_fma_f32 v13, -v5, v12, v9
	v_fmac_f32_e32 v12, v13, v7
	v_fma_f32 v5, -v5, v12, v9
	v_div_scale_f32 v9, s[8:9], v1, v1, 1.0
	v_rcp_f32_e32 v16, v9
	v_div_fmas_f32 v5, v5, v7, v12
	v_div_fixup_f32 v13, v5, v3, 0
	v_fma_f32 v3, -v9, v16, 1.0
	v_fmac_f32_e32 v16, v3, v16
	v_div_scale_f32 v3, vcc, 1.0, v1, 1.0
	v_mul_f32_e32 v5, v3, v16
	v_fma_f32 v7, -v9, v5, v3
	v_fmac_f32_e32 v5, v7, v16
	v_fma_f32 v3, -v9, v5, v3
	v_div_fmas_f32 v3, v3, v16, v5
	v_div_fixup_f32 v12, v3, v1, 1.0
.LBB183_225:
	s_or_b64 exec, exec, s[0:1]
                                        ; implicit-def: $vgpr16
                                        ; implicit-def: $vgpr18
.LBB183_226:
	s_andn2_saveexec_b64 s[0:1], s[2:3]
	s_cbranch_execz .LBB183_228
; %bb.227:
	v_div_scale_f32 v1, s[2:3], v16, v16, v18
	v_rcp_f32_e32 v3, v1
	v_div_scale_f32 v5, vcc, v18, v16, v18
	v_fma_f32 v7, -v1, v3, 1.0
	v_fmac_f32_e32 v3, v7, v3
	v_mul_f32_e32 v7, v5, v3
	v_fma_f32 v9, -v1, v7, v5
	v_fmac_f32_e32 v7, v9, v3
	v_fma_f32 v1, -v1, v7, v5
	v_div_fmas_f32 v1, v1, v3, v7
	v_div_fixup_f32 v12, v1, v16, v18
	v_fmac_f32_e32 v16, v18, v12
	v_div_scale_f32 v1, s[2:3], v16, v16, 1.0
	v_rcp_f32_e32 v3, v1
	s_mov_b32 s2, 0
	s_mov_b32 s3, -1.0
	v_mul_f32_e32 v13, 0, v12
	v_fma_f32 v5, -v1, v3, 1.0
	v_fmac_f32_e32 v3, v5, v3
	v_div_scale_f32 v5, vcc, 1.0, v16, 1.0
	v_mul_f32_e32 v7, v5, v3
	v_fma_f32 v9, -v1, v7, v5
	v_fmac_f32_e32 v7, v9, v3
	v_fma_f32 v1, -v1, v7, v5
	v_div_fmas_f32 v1, v1, v3, v7
	v_div_fixup_f32 v16, v1, v16, 1.0
	v_pk_add_f32 v[12:13], v[12:13], s[2:3]
	s_nop 0
	v_pk_mul_f32 v[12:13], v[12:13], v[16:17] op_sel_hi:[1,0]
.LBB183_228:
	s_or_b64 exec, exec, s[0:1]
	global_load_dword v1, v8, s[6:7]
	v_mov_b32_e32 v16, 0
	s_waitcnt vmcnt(0)
	v_cvt_f32_f16_sdwa v8, v1 dst_sel:DWORD dst_unused:UNUSED_PAD src0_sel:WORD_1
	v_cmp_neq_f16_e32 vcc, 0, v1
	v_cmp_neq_f16_sdwa s[0:1], v1, v16 src0_sel:WORD_1 src1_sel:DWORD
	s_or_b64 s[0:1], vcc, s[0:1]
	s_and_saveexec_b64 s[6:7], s[0:1]
	s_cbranch_execz .LBB183_258
; %bb.229:
	v_cvt_f32_f16_e32 v9, v1
	v_mov_b32_e32 v16, 0x7f800000
	v_cmp_neq_f32_e64 s[0:1], |v8|, v16
	s_and_saveexec_b64 s[8:9], s[0:1]
	s_cbranch_execz .LBB183_257
; %bb.230:
	v_cmp_o_f16_e32 vcc, v1, v1
                                        ; implicit-def: $vgpr16
	s_and_saveexec_b64 s[0:1], vcc
	s_xor_b64 s[10:11], exec, s[0:1]
	s_cbranch_execz .LBB183_254
; %bb.231:
	s_mov_b32 s0, 0x7f800000
	v_cmp_neq_f32_e64 s[0:1], |v9|, s0
                                        ; implicit-def: $vgpr16
	s_and_saveexec_b64 s[2:3], s[0:1]
	s_xor_b64 s[12:13], exec, s[2:3]
	s_cbranch_execz .LBB183_247
; %bb.232:
	v_max_f32_e64 v1, |v8|, |v8|
	v_max_f32_e64 v3, |v9|, |v9|
	v_max_f32_e32 v1, v3, v1
	s_mov_b32 s0, 0x7ed413cb
	v_cmp_nle_f32_e64 s[0:1], s0, v1
                                        ; implicit-def: $sgpr14_sgpr15
	s_and_saveexec_b64 s[2:3], s[0:1]
	s_xor_b64 s[2:3], exec, s[2:3]
	s_cbranch_execz .LBB183_236
; %bb.233:
	s_mov_b32 s16, 0x1000000
	v_cmp_le_f32_e64 s[14:15], |v9|, s16
	v_cmp_le_f32_e64 s[16:17], |v8|, s16
	s_and_b64 s[18:19], s[14:15], s[16:17]
	s_mov_b64 s[14:15], 0
	s_and_saveexec_b64 s[16:17], s[18:19]
; %bb.234:
	s_mov_b64 s[14:15], exec
	v_pk_mul_f32 v[8:9], v[8:9], 4.0 op_sel_hi:[1,0]
; %bb.235:
	s_or_b64 exec, exec, s[16:17]
.LBB183_236:
	s_andn2_saveexec_b64 s[2:3], s[2:3]
; %bb.237:
	s_mov_b32 s16, 0x3e800000
	v_pk_mul_f32 v[8:9], v[8:9], s[16:17] op_sel_hi:[1,0]
	s_andn2_b64 s[14:15], s[14:15], exec
; %bb.238:
	s_or_b64 exec, exec, s[2:3]
	v_max_f32_e64 v1, |v8|, |v8|
	v_max_f32_e64 v3, |v9|, |v9|
	v_max_f32_e32 v1, v3, v1
	v_cvt_f64_f32_e32 v[16:17], v1
	v_frexp_exp_i32_f64_e32 v3, v[16:17]
	v_sub_u32_e32 v5, 0, v3
	v_ldexp_f32 v7, |v9|, v5
	v_ldexp_f32 v5, |v8|, v5
	v_mul_f32_e32 v5, v5, v5
	v_fmac_f32_e32 v5, v7, v7
	v_sqrt_f32_e32 v5, v5
	s_mov_b32 s2, 0x7f800000
	v_cmp_neq_f32_e64 s[2:3], s2, v1
	v_cmp_le_f32_e32 vcc, 0, v9
	v_ldexp_f32 v3, v5, v3
	v_mov_b32_e32 v5, 0x7f800000
	v_cndmask_b32_e64 v1, v5, v3, s[2:3]
                                        ; implicit-def: $vgpr18_vgpr19
	s_and_saveexec_b64 s[2:3], vcc
	s_xor_b64 s[16:17], exec, s[2:3]
	s_cbranch_execz .LBB183_240
; %bb.239:
	v_add_f32_e32 v1, v9, v1
	v_mul_f32_e32 v1, 0.5, v1
	s_mov_b32 s2, 0xf800000
	v_mul_f32_e32 v3, 0x4f800000, v1
	v_cmp_gt_f32_e32 vcc, s2, v1
	s_nop 1
	v_cndmask_b32_e32 v1, v1, v3, vcc
	v_sqrt_f32_e32 v3, v1
	s_nop 0
	v_add_u32_e32 v5, -1, v3
	v_fma_f32 v7, -v5, v3, v1
	v_cmp_ge_f32_e64 s[2:3], 0, v7
	v_add_u32_e32 v7, 1, v3
	s_nop 0
	v_cndmask_b32_e64 v5, v3, v5, s[2:3]
	v_fma_f32 v3, -v7, v3, v1
	v_cmp_lt_f32_e64 s[2:3], 0, v3
	s_nop 1
	v_cndmask_b32_e64 v3, v5, v7, s[2:3]
	v_mul_f32_e32 v5, 0x37800000, v3
	v_cndmask_b32_e32 v3, v3, v5, vcc
	v_mov_b32_e32 v5, 0x260
	v_cmp_class_f32_e32 vcc, v1, v5
	s_nop 1
	v_cndmask_b32_e32 v18, v3, v1, vcc
	v_add_f32_e32 v1, v18, v18
	v_div_scale_f32 v3, s[2:3], v1, v1, v8
	v_rcp_f32_e32 v5, v3
	s_nop 0
	v_fma_f32 v7, -v3, v5, 1.0
	v_fmac_f32_e32 v5, v7, v5
	v_div_scale_f32 v7, vcc, v8, v1, v8
	v_mul_f32_e32 v9, v7, v5
	v_fma_f32 v16, -v3, v9, v7
	v_fmac_f32_e32 v9, v16, v5
	v_fma_f32 v3, -v3, v9, v7
	v_div_fmas_f32 v3, v3, v5, v9
	v_div_fixup_f32 v19, v3, v1, v8
                                        ; implicit-def: $vgpr1
                                        ; implicit-def: $vgpr8_vgpr9
	s_andn2_saveexec_b64 s[16:17], s[16:17]
	s_cbranch_execz .LBB183_242
	s_branch .LBB183_241
.LBB183_240:
	s_andn2_saveexec_b64 s[16:17], s[16:17]
	s_cbranch_execz .LBB183_242
.LBB183_241:
	v_sub_f32_e32 v1, v1, v9
	v_mul_f32_e32 v1, 0.5, v1
	s_mov_b32 s2, 0xf800000
	v_mul_f32_e32 v3, 0x4f800000, v1
	v_cmp_gt_f32_e32 vcc, s2, v1
	s_nop 1
	v_cndmask_b32_e32 v1, v1, v3, vcc
	v_sqrt_f32_e32 v3, v1
	s_nop 0
	v_add_u32_e32 v5, -1, v3
	v_fma_f32 v7, -v5, v3, v1
	v_cmp_ge_f32_e64 s[2:3], 0, v7
	v_add_u32_e32 v7, 1, v3
	s_nop 0
	v_cndmask_b32_e64 v5, v3, v5, s[2:3]
	v_fma_f32 v3, -v7, v3, v1
	v_cmp_lt_f32_e64 s[2:3], 0, v3
	s_nop 1
	v_cndmask_b32_e64 v3, v5, v7, s[2:3]
	v_mul_f32_e32 v5, 0x37800000, v3
	v_cndmask_b32_e32 v3, v3, v5, vcc
	v_mov_b32_e32 v5, 0x260
	v_cmp_class_f32_e32 vcc, v1, v5
	v_and_b32_e32 v5, 0x7fffffff, v8
	s_nop 0
	v_cndmask_b32_e32 v1, v3, v1, vcc
	v_add_f32_e32 v3, v1, v1
	v_div_scale_f32 v7, s[2:3], v3, v3, v5
	v_rcp_f32_e32 v9, v7
	v_div_scale_f32 v5, vcc, v5, v3, v5
	s_brev_b32 s2, -2
	v_fma_f32 v16, -v7, v9, 1.0
	v_fmac_f32_e32 v9, v16, v9
	v_mul_f32_e32 v16, v5, v9
	v_fma_f32 v17, -v7, v16, v5
	v_fmac_f32_e32 v16, v17, v9
	v_fma_f32 v5, -v7, v16, v5
	v_div_fmas_f32 v5, v5, v9, v16
	v_div_fixup_f32 v18, v5, v3, |v8|
	v_bfi_b32 v19, s2, v1, v8
.LBB183_242:
	s_or_b64 exec, exec, s[16:17]
                                        ; implicit-def: $vgpr8
                                        ; implicit-def: $vgpr16
	s_and_saveexec_b64 s[2:3], s[0:1]
	s_xor_b64 s[0:1], exec, s[2:3]
	s_cbranch_execz .LBB183_244
; %bb.243:
	v_pk_mul_f32 v[8:9], v[18:19], 0.5 op_sel_hi:[1,0]
	s_nop 0
	v_cndmask_b32_e64 v16, v18, v8, s[14:15]
	v_cndmask_b32_e64 v8, v19, v9, s[14:15]
                                        ; implicit-def: $vgpr18_vgpr19
	s_andn2_saveexec_b64 s[0:1], s[0:1]
	s_cbranch_execnz .LBB183_245
	s_branch .LBB183_246
.LBB183_244:
	s_andn2_saveexec_b64 s[0:1], s[0:1]
.LBB183_245:
	v_pk_add_f32 v[16:17], v[18:19], v[18:19]
	s_nop 0
	v_mov_b32_e32 v8, v17
.LBB183_246:
	s_or_b64 exec, exec, s[0:1]
                                        ; implicit-def: $vgpr1
.LBB183_247:
	s_andn2_saveexec_b64 s[0:1], s[12:13]
	s_cbranch_execz .LBB183_253
; %bb.248:
	v_and_b32_e32 v1, 0x8000, v1
	v_cmp_ne_u32_e32 vcc, 0, v1
	v_sub_f32_e32 v1, v8, v8
                                        ; implicit-def: $vgpr16
	s_and_saveexec_b64 s[2:3], vcc
	s_xor_b64 s[2:3], exec, s[2:3]
; %bb.249:
	s_brev_b32 s12, -2
	v_and_b32_e32 v16, 0x7fffffff, v1
	v_bfi_b32 v8, s12, v9, v8
                                        ; implicit-def: $vgpr1
; %bb.250:
	s_andn2_saveexec_b64 s[2:3], s[2:3]
; %bb.251:
	s_brev_b32 s12, -2
	v_bfi_b32 v8, s12, v1, v8
	v_mov_b32_e32 v16, v9
; %bb.252:
	s_or_b64 exec, exec, s[2:3]
.LBB183_253:
	s_or_b64 exec, exec, s[0:1]
.LBB183_254:
	s_andn2_saveexec_b64 s[0:1], s[10:11]
	s_cbranch_execz .LBB183_256
; %bb.255:
	v_sub_f32_e32 v1, v8, v8
	v_div_scale_f32 v3, vcc, v1, v1, v1
	v_rcp_f32_e32 v5, v3
	v_mov_b32_e32 v16, v9
	v_fma_f32 v7, -v3, v5, 1.0
	v_fmac_f32_e32 v5, v7, v5
	v_mul_f32_e32 v7, v3, v5
	v_fma_f32 v8, -v3, v7, v3
	v_fmac_f32_e32 v7, v8, v5
	v_fma_f32 v3, -v3, v7, v3
	v_div_fmas_f32 v3, v3, v5, v7
	v_div_fixup_f32 v8, v3, v1, v1
.LBB183_256:
	s_or_b64 exec, exec, s[0:1]
.LBB183_257:
	s_or_b64 exec, exec, s[8:9]
.LBB183_258:
	s_or_b64 exec, exec, s[6:7]
	v_cmp_gt_f32_e32 vcc, 0, v8
                                        ; implicit-def: $vgpr18_vgpr19
	s_nop 1
	v_cndmask_b32_e64 v3, v8, -v8, vcc
	v_cmp_gt_f32_e32 vcc, 0, v16
	s_nop 1
	v_cndmask_b32_e64 v1, v16, -v16, vcc
	v_cmp_ge_f32_e32 vcc, v1, v3
	s_and_saveexec_b64 s[0:1], vcc
	s_xor_b64 s[2:3], exec, s[0:1]
	s_cbranch_execz .LBB183_264
; %bb.259:
	v_cmp_neq_f32_e32 vcc, 0, v16
	v_cmp_neq_f32_e64 s[0:1], 0, v8
	s_or_b64 s[0:1], vcc, s[0:1]
                                        ; implicit-def: $vgpr18_vgpr19
	s_and_saveexec_b64 s[6:7], s[0:1]
	s_xor_b64 s[0:1], exec, s[6:7]
	s_cbranch_execz .LBB183_261
; %bb.260:
	v_div_scale_f32 v1, s[6:7], v16, v16, v8
	v_rcp_f32_e32 v3, v1
	v_div_scale_f32 v5, vcc, v8, v16, v8
	v_fma_f32 v7, -v1, v3, 1.0
	v_fmac_f32_e32 v3, v7, v3
	v_mul_f32_e32 v7, v5, v3
	v_fma_f32 v9, -v1, v7, v5
	v_fmac_f32_e32 v7, v9, v3
	v_fma_f32 v1, -v1, v7, v5
	v_div_fmas_f32 v1, v1, v3, v7
	v_div_fixup_f32 v1, v1, v16, v8
	v_fmac_f32_e32 v16, v8, v1
	v_div_scale_f32 v3, s[6:7], v16, v16, 1.0
	v_rcp_f32_e32 v5, v3
	v_sub_f32_e32 v17, 0, v1
	v_fma_f32 v7, -v3, v5, 1.0
	v_fmac_f32_e32 v5, v7, v5
	v_div_scale_f32 v7, vcc, 1.0, v16, 1.0
	v_mul_f32_e32 v8, v7, v5
	v_fma_f32 v9, -v3, v8, v7
	v_fmac_f32_e32 v8, v9, v5
	v_fma_f32 v3, -v3, v8, v7
	v_div_fmas_f32 v3, v3, v5, v8
	v_div_fixup_f32 v8, v3, v16, 1.0
	v_mul_f32_e32 v3, 0, v1
	v_add_f32_e32 v16, 1.0, v3
	v_pk_mul_f32 v[18:19], v[16:17], v[8:9] op_sel_hi:[1,0]
                                        ; implicit-def: $vgpr3
                                        ; implicit-def: $vgpr1
.LBB183_261:
	s_andn2_saveexec_b64 s[0:1], s[0:1]
	s_cbranch_execz .LBB183_263
; %bb.262:
	v_div_scale_f32 v5, s[6:7], v3, v3, 0
	v_rcp_f32_e32 v7, v5
	v_div_scale_f32 v8, vcc, 0, v3, 0
	v_fma_f32 v9, -v5, v7, 1.0
	v_fmac_f32_e32 v7, v9, v7
	v_mul_f32_e32 v9, v8, v7
	v_fma_f32 v16, -v5, v9, v8
	v_fmac_f32_e32 v9, v16, v7
	v_fma_f32 v5, -v5, v9, v8
	v_div_scale_f32 v8, s[6:7], v1, v1, 1.0
	v_rcp_f32_e32 v16, v8
	v_div_fmas_f32 v5, v5, v7, v9
	v_div_fixup_f32 v19, v5, v3, 0
	v_fma_f32 v3, -v8, v16, 1.0
	v_fmac_f32_e32 v16, v3, v16
	v_div_scale_f32 v3, vcc, 1.0, v1, 1.0
	v_mul_f32_e32 v5, v3, v16
	v_fma_f32 v7, -v8, v5, v3
	v_fmac_f32_e32 v5, v7, v16
	v_fma_f32 v3, -v8, v5, v3
	v_div_fmas_f32 v3, v3, v16, v5
	v_div_fixup_f32 v18, v3, v1, 1.0
.LBB183_263:
	s_or_b64 exec, exec, s[0:1]
                                        ; implicit-def: $vgpr8
                                        ; implicit-def: $vgpr16
.LBB183_264:
	s_andn2_saveexec_b64 s[0:1], s[2:3]
	s_cbranch_execz .LBB183_266
; %bb.265:
	v_div_scale_f32 v1, s[2:3], v8, v8, v16
	v_rcp_f32_e32 v3, v1
	v_div_scale_f32 v5, vcc, v16, v8, v16
	v_fma_f32 v7, -v1, v3, 1.0
	v_fmac_f32_e32 v3, v7, v3
	v_mul_f32_e32 v7, v5, v3
	v_fma_f32 v9, -v1, v7, v5
	v_fmac_f32_e32 v7, v9, v3
	v_fma_f32 v1, -v1, v7, v5
	v_div_fmas_f32 v1, v1, v3, v7
	v_div_fixup_f32 v18, v1, v8, v16
	v_fmac_f32_e32 v8, v16, v18
	v_div_scale_f32 v1, s[2:3], v8, v8, 1.0
	v_rcp_f32_e32 v3, v1
	s_mov_b32 s2, 0
	s_mov_b32 s3, -1.0
	v_mul_f32_e32 v19, 0, v18
	v_fma_f32 v5, -v1, v3, 1.0
	v_fmac_f32_e32 v3, v5, v3
	v_div_scale_f32 v5, vcc, 1.0, v8, 1.0
	v_mul_f32_e32 v7, v5, v3
	v_fma_f32 v9, -v1, v7, v5
	v_fmac_f32_e32 v7, v9, v3
	v_fma_f32 v1, -v1, v7, v5
	v_div_fmas_f32 v1, v1, v3, v7
	v_div_fixup_f32 v8, v1, v8, 1.0
	v_pk_add_f32 v[16:17], v[18:19], s[2:3]
	s_nop 0
	v_pk_mul_f32 v[18:19], v[16:17], v[8:9] op_sel_hi:[1,0]
.LBB183_266:
	s_or_b64 exec, exec, s[0:1]
	v_cvt_f16_f32_e32 v1, v12
	v_cvt_f16_f32_sdwa v3, v13 dst_sel:WORD_1 dst_unused:UNUSED_PAD src0_sel:DWORD
	v_cvt_f16_f32_e32 v5, v14
	v_cvt_f16_f32_sdwa v7, v15 dst_sel:WORD_1 dst_unused:UNUSED_PAD src0_sel:DWORD
	;; [unrolled: 2-line block ×4, first 2 shown]
	v_or_b32_e32 v1, v3, v1
	v_or_b32_e32 v3, v7, v5
	;; [unrolled: 1-line block ×4, first 2 shown]
	global_store_dword v0, v5, s[4:5]
	global_store_dword v2, v3, s[4:5]
	;; [unrolled: 1-line block ×4, first 2 shown]
	s_endpgm
.LBB183_267:
	s_andn2_saveexec_b64 s[14:15], s[14:15]
	s_cbranch_execz .LBB183_269
.LBB183_268:
	v_sub_f32_e32 v1, v1, v3
	v_mul_f32_e32 v1, 0.5, v1
	s_mov_b32 s2, 0xf800000
	v_mul_f32_e32 v3, 0x4f800000, v1
	v_cmp_gt_f32_e32 vcc, s2, v1
	s_nop 1
	v_cndmask_b32_e32 v1, v1, v3, vcc
	v_sqrt_f32_e32 v3, v1
	s_nop 0
	v_add_u32_e32 v4, -1, v3
	v_fma_f32 v5, -v4, v3, v1
	v_cmp_ge_f32_e64 s[2:3], 0, v5
	v_add_u32_e32 v5, 1, v3
	s_nop 0
	v_cndmask_b32_e64 v4, v3, v4, s[2:3]
	v_fma_f32 v3, -v5, v3, v1
	v_cmp_lt_f32_e64 s[2:3], 0, v3
	s_nop 1
	v_cndmask_b32_e64 v3, v4, v5, s[2:3]
	v_mul_f32_e32 v4, 0x37800000, v3
	v_cndmask_b32_e32 v3, v3, v4, vcc
	v_mov_b32_e32 v4, 0x260
	v_cmp_class_f32_e32 vcc, v1, v4
	v_and_b32_e32 v4, 0x7fffffff, v2
	s_nop 0
	v_cndmask_b32_e32 v1, v3, v1, vcc
	v_add_f32_e32 v3, v1, v1
	v_div_scale_f32 v5, s[2:3], v3, v3, v4
	v_rcp_f32_e32 v6, v5
	v_div_scale_f32 v4, vcc, v4, v3, v4
	s_brev_b32 s2, -2
	v_fma_f32 v7, -v5, v6, 1.0
	v_fmac_f32_e32 v6, v7, v6
	v_mul_f32_e32 v7, v4, v6
	v_fma_f32 v9, -v5, v7, v4
	v_fmac_f32_e32 v7, v9, v6
	v_fma_f32 v4, -v5, v7, v4
	v_div_fmas_f32 v4, v4, v6, v7
	v_div_fixup_f32 v6, v4, v3, |v2|
	v_bfi_b32 v7, s2, v1, v2
.LBB183_269:
	s_or_b64 exec, exec, s[14:15]
                                        ; implicit-def: $vgpr2
                                        ; implicit-def: $vgpr4
	s_and_saveexec_b64 s[2:3], s[0:1]
	s_xor_b64 s[0:1], exec, s[2:3]
	s_cbranch_execz .LBB183_275
; %bb.270:
	v_pk_mul_f32 v[2:3], v[6:7], 0.5 op_sel_hi:[1,0]
	s_nop 0
	v_cndmask_b32_e64 v4, v6, v2, s[12:13]
	v_cndmask_b32_e64 v2, v7, v3, s[12:13]
                                        ; implicit-def: $vgpr6_vgpr7
	s_andn2_saveexec_b64 s[0:1], s[0:1]
	s_cbranch_execnz .LBB183_276
	s_branch .LBB183_277
.LBB183_271:
	s_andn2_saveexec_b64 s[14:15], s[14:15]
	s_cbranch_execz .LBB183_273
.LBB183_272:
	v_sub_f32_e32 v1, v1, v3
	v_mul_f32_e32 v1, 0.5, v1
	s_mov_b32 s2, 0xf800000
	v_mul_f32_e32 v3, 0x4f800000, v1
	v_cmp_gt_f32_e32 vcc, s2, v1
	s_nop 1
	v_cndmask_b32_e32 v1, v1, v3, vcc
	v_sqrt_f32_e32 v3, v1
	s_nop 0
	v_add_u32_e32 v4, -1, v3
	v_fma_f32 v5, -v4, v3, v1
	v_cmp_ge_f32_e64 s[2:3], 0, v5
	v_add_u32_e32 v5, 1, v3
	s_nop 0
	v_cndmask_b32_e64 v4, v3, v4, s[2:3]
	v_fma_f32 v3, -v5, v3, v1
	v_cmp_lt_f32_e64 s[2:3], 0, v3
	s_nop 1
	v_cndmask_b32_e64 v3, v4, v5, s[2:3]
	v_mul_f32_e32 v4, 0x37800000, v3
	v_cndmask_b32_e32 v3, v3, v4, vcc
	v_mov_b32_e32 v4, 0x260
	v_cmp_class_f32_e32 vcc, v1, v4
	v_and_b32_e32 v4, 0x7fffffff, v2
	s_nop 0
	v_cndmask_b32_e32 v1, v3, v1, vcc
	v_add_f32_e32 v3, v1, v1
	v_div_scale_f32 v5, s[2:3], v3, v3, v4
	v_rcp_f32_e32 v6, v5
	v_div_scale_f32 v4, vcc, v4, v3, v4
	s_brev_b32 s2, -2
	v_fma_f32 v7, -v5, v6, 1.0
	v_fmac_f32_e32 v6, v7, v6
	v_mul_f32_e32 v7, v4, v6
	v_fma_f32 v9, -v5, v7, v4
	v_fmac_f32_e32 v7, v9, v6
	v_fma_f32 v4, -v5, v7, v4
	v_div_fmas_f32 v4, v4, v6, v7
	v_div_fixup_f32 v6, v4, v3, |v2|
	v_bfi_b32 v7, s2, v1, v2
.LBB183_273:
	s_or_b64 exec, exec, s[14:15]
                                        ; implicit-def: $vgpr2
                                        ; implicit-def: $vgpr4
	s_and_saveexec_b64 s[2:3], s[0:1]
	s_xor_b64 s[0:1], exec, s[2:3]
	s_cbranch_execz .LBB183_326
; %bb.274:
	v_pk_mul_f32 v[2:3], v[6:7], 0.5 op_sel_hi:[1,0]
	s_nop 0
	v_cndmask_b32_e64 v4, v6, v2, s[12:13]
	v_cndmask_b32_e64 v2, v7, v3, s[12:13]
                                        ; implicit-def: $vgpr6_vgpr7
	s_andn2_saveexec_b64 s[0:1], s[0:1]
	s_cbranch_execnz .LBB183_327
	s_branch .LBB183_328
.LBB183_275:
	s_andn2_saveexec_b64 s[0:1], s[0:1]
.LBB183_276:
	v_pk_add_f32 v[4:5], v[6:7], v[6:7]
	s_nop 0
	v_mov_b32_e32 v2, v5
.LBB183_277:
	s_or_b64 exec, exec, s[0:1]
                                        ; implicit-def: $vgpr1
.LBB183_278:
	s_andn2_saveexec_b64 s[0:1], s[10:11]
	s_cbranch_execz .LBB183_284
; %bb.279:
	v_and_b32_e32 v1, 0x8000, v1
	v_cmp_ne_u32_e32 vcc, 0, v1
	v_sub_f32_e32 v1, v2, v2
                                        ; implicit-def: $vgpr4
	s_and_saveexec_b64 s[2:3], vcc
	s_xor_b64 s[2:3], exec, s[2:3]
; %bb.280:
	s_brev_b32 s10, -2
	v_and_b32_e32 v4, 0x7fffffff, v1
	v_bfi_b32 v2, s10, v3, v2
                                        ; implicit-def: $vgpr1
; %bb.281:
	s_andn2_saveexec_b64 s[2:3], s[2:3]
; %bb.282:
	s_brev_b32 s10, -2
	v_bfi_b32 v2, s10, v1, v2
	v_mov_b32_e32 v4, v3
; %bb.283:
	s_or_b64 exec, exec, s[2:3]
.LBB183_284:
	s_or_b64 exec, exec, s[0:1]
.LBB183_285:
	s_andn2_saveexec_b64 s[0:1], s[8:9]
	s_cbranch_execz .LBB183_287
; %bb.286:
	v_sub_f32_e32 v1, v2, v2
	v_div_scale_f32 v2, vcc, v1, v1, v1
	v_rcp_f32_e32 v4, v2
	s_nop 0
	v_fma_f32 v5, -v2, v4, 1.0
	v_fmac_f32_e32 v4, v5, v4
	v_mul_f32_e32 v5, v2, v4
	v_fma_f32 v6, -v2, v5, v2
	v_fmac_f32_e32 v5, v6, v4
	v_fma_f32 v2, -v2, v5, v2
	v_div_fmas_f32 v2, v2, v4, v5
	v_div_fixup_f32 v2, v2, v1, v1
	v_mov_b32_e32 v4, v3
.LBB183_287:
	s_or_b64 exec, exec, s[0:1]
.LBB183_288:
	s_or_b64 exec, exec, s[6:7]
.LBB183_289:
	s_or_b64 exec, exec, s[4:5]
	v_cmp_gt_f32_e32 vcc, 0, v2
                                        ; implicit-def: $vgpr6_vgpr7
	s_nop 1
	v_cndmask_b32_e64 v3, v2, -v2, vcc
	v_cmp_gt_f32_e32 vcc, 0, v4
	s_nop 1
	v_cndmask_b32_e64 v1, v4, -v4, vcc
	v_cmp_ge_f32_e32 vcc, v1, v3
	s_and_saveexec_b64 s[0:1], vcc
	s_xor_b64 s[2:3], exec, s[0:1]
	s_cbranch_execz .LBB183_295
; %bb.290:
	v_cmp_neq_f32_e32 vcc, 0, v4
	v_cmp_neq_f32_e64 s[0:1], 0, v2
	s_or_b64 s[0:1], vcc, s[0:1]
                                        ; implicit-def: $vgpr6_vgpr7
	s_and_saveexec_b64 s[4:5], s[0:1]
	s_xor_b64 s[0:1], exec, s[4:5]
	s_cbranch_execz .LBB183_292
; %bb.291:
	v_div_scale_f32 v1, s[4:5], v4, v4, v2
	v_rcp_f32_e32 v3, v1
	v_div_scale_f32 v5, vcc, v2, v4, v2
	v_fma_f32 v6, -v1, v3, 1.0
	v_fmac_f32_e32 v3, v6, v3
	v_mul_f32_e32 v6, v5, v3
	v_fma_f32 v7, -v1, v6, v5
	v_fmac_f32_e32 v6, v7, v3
	v_fma_f32 v1, -v1, v6, v5
	v_div_fmas_f32 v1, v1, v3, v6
	v_div_fixup_f32 v1, v1, v4, v2
	v_fmac_f32_e32 v4, v2, v1
	v_div_scale_f32 v2, s[4:5], v4, v4, 1.0
	v_rcp_f32_e32 v3, v2
	s_nop 0
	v_fma_f32 v5, -v2, v3, 1.0
	v_fmac_f32_e32 v3, v5, v3
	v_div_scale_f32 v5, vcc, 1.0, v4, 1.0
	v_mul_f32_e32 v6, v5, v3
	v_fma_f32 v7, -v2, v6, v5
	v_fmac_f32_e32 v6, v7, v3
	v_fma_f32 v2, -v2, v6, v5
	v_div_fmas_f32 v2, v2, v3, v6
	v_mul_f32_e32 v3, 0, v1
	v_div_fixup_f32 v2, v2, v4, 1.0
	v_add_f32_e32 v4, 1.0, v3
	v_sub_f32_e32 v5, 0, v1
	v_pk_mul_f32 v[6:7], v[4:5], v[2:3] op_sel_hi:[1,0]
                                        ; implicit-def: $vgpr3
                                        ; implicit-def: $vgpr1
.LBB183_292:
	s_andn2_saveexec_b64 s[0:1], s[0:1]
	s_cbranch_execz .LBB183_294
; %bb.293:
	v_div_scale_f32 v2, s[4:5], v3, v3, 0
	v_rcp_f32_e32 v4, v2
	v_div_scale_f32 v5, vcc, 0, v3, 0
	v_fma_f32 v6, -v2, v4, 1.0
	v_fmac_f32_e32 v4, v6, v4
	v_mul_f32_e32 v6, v5, v4
	v_fma_f32 v7, -v2, v6, v5
	v_fmac_f32_e32 v6, v7, v4
	v_fma_f32 v2, -v2, v6, v5
	v_div_scale_f32 v5, s[4:5], v1, v1, 1.0
	v_rcp_f32_e32 v9, v5
	v_div_fmas_f32 v2, v2, v4, v6
	v_div_fixup_f32 v7, v2, v3, 0
	v_fma_f32 v2, -v5, v9, 1.0
	v_fmac_f32_e32 v9, v2, v9
	v_div_scale_f32 v2, vcc, 1.0, v1, 1.0
	v_mul_f32_e32 v3, v2, v9
	v_fma_f32 v4, -v5, v3, v2
	v_fmac_f32_e32 v3, v4, v9
	v_fma_f32 v2, -v5, v3, v2
	v_div_fmas_f32 v2, v2, v9, v3
	v_div_fixup_f32 v6, v2, v1, 1.0
.LBB183_294:
	s_or_b64 exec, exec, s[0:1]
                                        ; implicit-def: $vgpr2
                                        ; implicit-def: $vgpr4
.LBB183_295:
	s_andn2_saveexec_b64 s[0:1], s[2:3]
	s_cbranch_execz .LBB183_297
; %bb.296:
	v_div_scale_f32 v1, s[2:3], v2, v2, v4
	v_rcp_f32_e32 v3, v1
	v_div_scale_f32 v5, vcc, v4, v2, v4
	v_fma_f32 v6, -v1, v3, 1.0
	v_fmac_f32_e32 v3, v6, v3
	v_mul_f32_e32 v6, v5, v3
	v_fma_f32 v7, -v1, v6, v5
	v_fmac_f32_e32 v6, v7, v3
	v_fma_f32 v1, -v1, v6, v5
	v_div_fmas_f32 v1, v1, v3, v6
	v_div_fixup_f32 v6, v1, v2, v4
	v_fmac_f32_e32 v2, v4, v6
	v_div_scale_f32 v1, s[2:3], v2, v2, 1.0
	v_rcp_f32_e32 v3, v1
	s_mov_b32 s2, 0
	s_mov_b32 s3, -1.0
	v_fma_f32 v4, -v1, v3, 1.0
	v_fmac_f32_e32 v3, v4, v3
	v_div_scale_f32 v4, vcc, 1.0, v2, 1.0
	v_mul_f32_e32 v5, v4, v3
	v_fma_f32 v7, -v1, v5, v4
	v_fmac_f32_e32 v5, v7, v3
	v_fma_f32 v1, -v1, v5, v4
	v_div_fmas_f32 v1, v1, v3, v5
	v_mul_f32_e32 v7, 0, v6
	v_div_fixup_f32 v2, v1, v2, 1.0
	v_pk_add_f32 v[4:5], v[6:7], s[2:3]
	s_nop 0
	v_pk_mul_f32 v[6:7], v[4:5], v[2:3] op_sel_hi:[1,0]
.LBB183_297:
	s_or_b64 exec, exec, s[0:1]
	v_cvt_f16_f32_e32 v1, v6
	v_cvt_f16_f32_sdwa v2, v7 dst_sel:WORD_1 dst_unused:UNUSED_PAD src0_sel:DWORD
	v_add_u32_e32 v8, 0x80, v8
	v_or_b32_e32 v1, v2, v1
	global_store_dword v0, v1, s[16:17]
	s_or_b64 exec, exec, s[48:49]
	v_cmp_gt_i32_e32 vcc, s55, v8
	s_and_saveexec_b64 s[48:49], vcc
	s_cbranch_execnz .LBB183_16
.LBB183_298:
	s_or_b64 exec, exec, s[48:49]
	v_cmp_gt_i32_e32 vcc, s55, v8
	s_and_saveexec_b64 s[48:49], vcc
	s_cbranch_execz .LBB183_349
.LBB183_299:
	s_andn2_b64 vcc, exec, s[36:37]
	s_cbranch_vccnz .LBB183_305
; %bb.300:
	s_andn2_b64 vcc, exec, s[46:47]
	s_cbranch_vccnz .LBB183_306
; %bb.301:
	s_add_i32 s58, s56, 1
	s_cmp_eq_u32 s54, 2
	s_cbranch_scc1 .LBB183_307
; %bb.302:
	s_and_b32 s57, s58, 28
	s_mov_b32 s59, 0
	v_mov_b32_e32 v0, 0
	v_mov_b32_e32 v2, 0
	s_mov_b64 s[50:51], s[34:35]
	s_mov_b64 s[52:53], s[44:45]
	v_mov_b32_e32 v4, v8
.LBB183_303:                            ; =>This Inner Loop Header: Depth=1
	s_load_dwordx8 s[8:15], s[50:51], 0x4
	s_load_dwordx4 s[28:31], s[50:51], 0x24
	s_load_dwordx8 s[0:7], s[52:53], 0x0
	s_add_u32 s50, s50, 48
	s_addc_u32 s51, s51, 0
	s_waitcnt lgkmcnt(0)
	v_mul_hi_u32 v1, s9, v4
	v_add_u32_e32 v1, v4, v1
	v_lshrrev_b32_e32 v1, s10, v1
	v_mul_lo_u32 v3, v1, s8
	v_mul_hi_u32 v5, s12, v1
	v_sub_u32_e32 v3, v4, v3
	v_add_u32_e32 v4, v1, v5
	v_lshrrev_b32_e32 v4, s13, v4
	v_mul_lo_u32 v6, v4, s11
	v_mul_hi_u32 v7, s15, v4
	v_sub_u32_e32 v1, v1, v6
	v_add_u32_e32 v6, v4, v7
	v_mul_lo_u32 v5, v3, s1
	v_mul_lo_u32 v3, v3, s0
	;; [unrolled: 1-line block ×4, first 2 shown]
	v_lshrrev_b32_e32 v6, s28, v6
	v_add3_u32 v0, v3, v0, v1
	v_mul_hi_u32 v3, s30, v6
	v_add3_u32 v1, v5, v2, v7
	v_mul_lo_u32 v2, v6, s14
	v_add_u32_e32 v3, v6, v3
	v_sub_u32_e32 v2, v4, v2
	v_lshrrev_b32_e32 v4, s31, v3
	s_add_i32 s59, s59, 4
	v_mul_lo_u32 v3, v4, s29
	s_add_u32 s52, s52, 32
	v_sub_u32_e32 v3, v6, v3
	s_addc_u32 s53, s53, 0
	v_mul_lo_u32 v5, v2, s4
	v_mul_lo_u32 v2, v2, s5
	;; [unrolled: 1-line block ×4, first 2 shown]
	s_cmp_eq_u32 s57, s59
	v_add3_u32 v2, v2, v1, v3
	v_add3_u32 v0, v5, v0, v6
	s_cbranch_scc0 .LBB183_303
; %bb.304:
	v_mov_b32_e32 v1, v2
	s_branch .LBB183_308
.LBB183_305:
                                        ; implicit-def: $vgpr2
                                        ; implicit-def: $vgpr0
	s_branch .LBB183_312
.LBB183_306:
	v_mov_b32_e32 v2, 0
	v_mov_b32_e32 v0, 0
	s_branch .LBB183_311
.LBB183_307:
	v_mov_b32_e32 v0, 0
	s_mov_b32 s57, 0
	v_mov_b32_e32 v1, v0
                                        ; implicit-def: $vgpr2
	v_mov_b32_e32 v4, v8
.LBB183_308:
	s_and_b32 s4, s58, 3
	s_cmp_eq_u32 s4, 0
	s_cbranch_scc1 .LBB183_311
; %bb.309:
	s_lshl_b32 s0, s57, 3
	s_add_u32 s0, s34, s0
	s_addc_u32 s1, s35, 0
	s_add_u32 s0, s0, 0xc4
	s_addc_u32 s1, s1, 0
	s_mul_i32 s2, s57, 12
	s_add_u32 s2, s34, s2
	s_addc_u32 s3, s35, 0
.LBB183_310:                            ; =>This Inner Loop Header: Depth=1
	s_load_dwordx2 s[6:7], s[2:3], 0x4
	s_load_dword s5, s[2:3], 0xc
	s_load_dwordx2 s[8:9], s[0:1], 0x0
	v_mov_b32_e32 v2, v1
	s_add_u32 s2, s2, 12
	s_waitcnt lgkmcnt(0)
	v_mul_hi_u32 v1, s7, v4
	v_add_u32_e32 v1, v4, v1
	v_lshrrev_b32_e32 v1, s5, v1
	s_addc_u32 s3, s3, 0
	v_mul_lo_u32 v3, v1, s6
	s_add_u32 s0, s0, 8
	v_sub_u32_e32 v5, v4, v3
	s_addc_u32 s1, s1, 0
	s_add_i32 s4, s4, -1
	v_mov_b32_e32 v4, v1
	v_mad_u64_u32 v[2:3], s[6:7], v5, s9, v[2:3]
	v_mad_u64_u32 v[0:1], s[6:7], v5, s8, v[0:1]
	s_cmp_lg_u32 s4, 0
	v_mov_b32_e32 v1, v2
	s_cbranch_scc1 .LBB183_310
.LBB183_311:
	s_cbranch_execnz .LBB183_314
.LBB183_312:
	s_waitcnt lgkmcnt(0)
	v_mul_hi_u32 v0, s25, v8
	v_add_u32_e32 v0, v8, v0
	v_lshrrev_b32_e32 v1, s26, v0
	v_mul_lo_u32 v0, v1, s24
	v_sub_u32_e32 v0, v8, v0
	v_mul_lo_u32 v2, v0, s21
	s_andn2_b64 vcc, exec, s[42:43]
	v_mul_lo_u32 v0, v0, s20
	s_cbranch_vccnz .LBB183_314
; %bb.313:
	v_mul_hi_u32 v3, s40, v1
	v_add_u32_e32 v3, v1, v3
	v_lshrrev_b32_e32 v3, s41, v3
	v_mul_lo_u32 v3, v3, s27
	v_sub_u32_e32 v3, v1, v3
	v_mad_u64_u32 v[0:1], s[0:1], v3, s22, v[0:1]
	v_mad_u64_u32 v[2:3], s[0:1], v3, s23, v[2:3]
.LBB183_314:
	s_waitcnt lgkmcnt(0)
	global_load_dword v1, v2, s[18:19]
	v_mov_b32_e32 v4, 0
	s_waitcnt vmcnt(0)
	v_cvt_f32_f16_sdwa v2, v1 dst_sel:DWORD dst_unused:UNUSED_PAD src0_sel:WORD_1
	v_cmp_neq_f16_e32 vcc, 0, v1
	v_cmp_neq_f16_sdwa s[0:1], v1, v4 src0_sel:WORD_1 src1_sel:DWORD
	s_or_b64 s[0:1], vcc, s[0:1]
	s_and_saveexec_b64 s[4:5], s[0:1]
	s_cbranch_execz .LBB183_370
; %bb.315:
	v_cvt_f32_f16_e32 v3, v1
	v_mov_b32_e32 v4, 0x7f800000
	v_cmp_neq_f32_e64 s[0:1], |v2|, v4
	s_and_saveexec_b64 s[6:7], s[0:1]
	s_cbranch_execz .LBB183_369
; %bb.316:
	v_cmp_o_f16_e32 vcc, v1, v1
                                        ; implicit-def: $vgpr4
	s_and_saveexec_b64 s[0:1], vcc
	s_xor_b64 s[8:9], exec, s[0:1]
	s_cbranch_execz .LBB183_366
; %bb.317:
	s_mov_b32 s0, 0x7f800000
	v_cmp_neq_f32_e64 s[0:1], |v3|, s0
                                        ; implicit-def: $vgpr4
	s_and_saveexec_b64 s[2:3], s[0:1]
	s_xor_b64 s[10:11], exec, s[2:3]
	s_cbranch_execz .LBB183_359
; %bb.318:
	v_max_f32_e64 v1, |v2|, |v2|
	v_max_f32_e64 v4, |v3|, |v3|
	v_max_f32_e32 v1, v4, v1
	s_mov_b32 s0, 0x7ed413cb
	v_cmp_nle_f32_e64 s[0:1], s0, v1
                                        ; implicit-def: $sgpr12_sgpr13
	s_and_saveexec_b64 s[2:3], s[0:1]
	s_xor_b64 s[2:3], exec, s[2:3]
	s_cbranch_execz .LBB183_322
; %bb.319:
	s_mov_b32 s14, 0x1000000
	v_cmp_le_f32_e64 s[12:13], |v3|, s14
	v_cmp_le_f32_e64 s[14:15], |v2|, s14
	s_and_b64 s[28:29], s[12:13], s[14:15]
	s_mov_b64 s[12:13], 0
	s_and_saveexec_b64 s[14:15], s[28:29]
; %bb.320:
	s_mov_b64 s[12:13], exec
	v_pk_mul_f32 v[2:3], v[2:3], 4.0 op_sel_hi:[1,0]
; %bb.321:
	s_or_b64 exec, exec, s[14:15]
.LBB183_322:
	s_andn2_saveexec_b64 s[2:3], s[2:3]
; %bb.323:
	s_mov_b32 s14, 0x3e800000
	v_pk_mul_f32 v[2:3], v[2:3], s[14:15] op_sel_hi:[1,0]
	s_andn2_b64 s[12:13], s[12:13], exec
; %bb.324:
	s_or_b64 exec, exec, s[2:3]
	v_max_f32_e64 v1, |v2|, |v2|
	v_max_f32_e64 v4, |v3|, |v3|
	v_max_f32_e32 v1, v4, v1
	v_cvt_f64_f32_e32 v[4:5], v1
	v_frexp_exp_i32_f64_e32 v4, v[4:5]
	v_sub_u32_e32 v5, 0, v4
	v_ldexp_f32 v6, |v3|, v5
	v_ldexp_f32 v5, |v2|, v5
	v_mul_f32_e32 v5, v5, v5
	v_fmac_f32_e32 v5, v6, v6
	v_sqrt_f32_e32 v5, v5
	s_mov_b32 s2, 0x7f800000
	v_cmp_neq_f32_e64 s[2:3], s2, v1
	v_cmp_le_f32_e32 vcc, 0, v3
	v_ldexp_f32 v4, v5, v4
	v_mov_b32_e32 v5, 0x7f800000
	v_cndmask_b32_e64 v1, v5, v4, s[2:3]
                                        ; implicit-def: $vgpr6_vgpr7
	s_and_saveexec_b64 s[2:3], vcc
	s_xor_b64 s[14:15], exec, s[2:3]
	s_cbranch_execz .LBB183_352
; %bb.325:
	v_add_f32_e32 v1, v3, v1
	v_mul_f32_e32 v1, 0.5, v1
	s_mov_b32 s2, 0xf800000
	v_mul_f32_e32 v3, 0x4f800000, v1
	v_cmp_gt_f32_e32 vcc, s2, v1
	s_nop 1
	v_cndmask_b32_e32 v1, v1, v3, vcc
	v_sqrt_f32_e32 v3, v1
	s_nop 0
	v_add_u32_e32 v4, -1, v3
	v_fma_f32 v5, -v4, v3, v1
	v_cmp_ge_f32_e64 s[2:3], 0, v5
	v_add_u32_e32 v5, 1, v3
	s_nop 0
	v_cndmask_b32_e64 v4, v3, v4, s[2:3]
	v_fma_f32 v3, -v5, v3, v1
	v_cmp_lt_f32_e64 s[2:3], 0, v3
	s_nop 1
	v_cndmask_b32_e64 v3, v4, v5, s[2:3]
	v_mul_f32_e32 v4, 0x37800000, v3
	v_cndmask_b32_e32 v3, v3, v4, vcc
	v_mov_b32_e32 v4, 0x260
	v_cmp_class_f32_e32 vcc, v1, v4
	s_nop 1
	v_cndmask_b32_e32 v6, v3, v1, vcc
	v_add_f32_e32 v1, v6, v6
	v_div_scale_f32 v3, s[2:3], v1, v1, v2
	v_rcp_f32_e32 v4, v3
	s_nop 0
	v_fma_f32 v5, -v3, v4, 1.0
	v_fmac_f32_e32 v4, v5, v4
	v_div_scale_f32 v5, vcc, v2, v1, v2
	v_mul_f32_e32 v7, v5, v4
	v_fma_f32 v9, -v3, v7, v5
	v_fmac_f32_e32 v7, v9, v4
	v_fma_f32 v3, -v3, v7, v5
	v_div_fmas_f32 v3, v3, v4, v7
	v_div_fixup_f32 v7, v3, v1, v2
                                        ; implicit-def: $vgpr1
                                        ; implicit-def: $vgpr2_vgpr3
	s_andn2_saveexec_b64 s[14:15], s[14:15]
	s_cbranch_execz .LBB183_354
	s_branch .LBB183_353
.LBB183_326:
	s_andn2_saveexec_b64 s[0:1], s[0:1]
.LBB183_327:
	v_pk_add_f32 v[4:5], v[6:7], v[6:7]
	s_nop 0
	v_mov_b32_e32 v2, v5
.LBB183_328:
	s_or_b64 exec, exec, s[0:1]
                                        ; implicit-def: $vgpr1
.LBB183_329:
	s_andn2_saveexec_b64 s[0:1], s[10:11]
	s_cbranch_execz .LBB183_335
; %bb.330:
	v_and_b32_e32 v1, 0x8000, v1
	v_cmp_ne_u32_e32 vcc, 0, v1
	v_sub_f32_e32 v1, v2, v2
                                        ; implicit-def: $vgpr4
	s_and_saveexec_b64 s[2:3], vcc
	s_xor_b64 s[2:3], exec, s[2:3]
; %bb.331:
	s_brev_b32 s10, -2
	v_and_b32_e32 v4, 0x7fffffff, v1
	v_bfi_b32 v2, s10, v3, v2
                                        ; implicit-def: $vgpr1
; %bb.332:
	s_andn2_saveexec_b64 s[2:3], s[2:3]
; %bb.333:
	s_brev_b32 s10, -2
	v_bfi_b32 v2, s10, v1, v2
	v_mov_b32_e32 v4, v3
; %bb.334:
	s_or_b64 exec, exec, s[2:3]
.LBB183_335:
	s_or_b64 exec, exec, s[0:1]
.LBB183_336:
	s_andn2_saveexec_b64 s[0:1], s[8:9]
	s_cbranch_execz .LBB183_338
; %bb.337:
	v_sub_f32_e32 v1, v2, v2
	v_div_scale_f32 v2, vcc, v1, v1, v1
	v_rcp_f32_e32 v4, v2
	s_nop 0
	v_fma_f32 v5, -v2, v4, 1.0
	v_fmac_f32_e32 v4, v5, v4
	v_mul_f32_e32 v5, v2, v4
	v_fma_f32 v6, -v2, v5, v2
	v_fmac_f32_e32 v5, v6, v4
	v_fma_f32 v2, -v2, v5, v2
	v_div_fmas_f32 v2, v2, v4, v5
	v_div_fixup_f32 v2, v2, v1, v1
	v_mov_b32_e32 v4, v3
.LBB183_338:
	s_or_b64 exec, exec, s[0:1]
.LBB183_339:
	s_or_b64 exec, exec, s[6:7]
.LBB183_340:
	s_or_b64 exec, exec, s[4:5]
	v_cmp_gt_f32_e32 vcc, 0, v2
                                        ; implicit-def: $vgpr6_vgpr7
	s_nop 1
	v_cndmask_b32_e64 v3, v2, -v2, vcc
	v_cmp_gt_f32_e32 vcc, 0, v4
	s_nop 1
	v_cndmask_b32_e64 v1, v4, -v4, vcc
	v_cmp_ge_f32_e32 vcc, v1, v3
	s_and_saveexec_b64 s[0:1], vcc
	s_xor_b64 s[2:3], exec, s[0:1]
	s_cbranch_execz .LBB183_346
; %bb.341:
	v_cmp_neq_f32_e32 vcc, 0, v4
	v_cmp_neq_f32_e64 s[0:1], 0, v2
	s_or_b64 s[0:1], vcc, s[0:1]
                                        ; implicit-def: $vgpr6_vgpr7
	s_and_saveexec_b64 s[4:5], s[0:1]
	s_xor_b64 s[0:1], exec, s[4:5]
	s_cbranch_execz .LBB183_343
; %bb.342:
	v_div_scale_f32 v1, s[4:5], v4, v4, v2
	v_rcp_f32_e32 v3, v1
	v_div_scale_f32 v5, vcc, v2, v4, v2
	v_fma_f32 v6, -v1, v3, 1.0
	v_fmac_f32_e32 v3, v6, v3
	v_mul_f32_e32 v6, v5, v3
	v_fma_f32 v7, -v1, v6, v5
	v_fmac_f32_e32 v6, v7, v3
	v_fma_f32 v1, -v1, v6, v5
	v_div_fmas_f32 v1, v1, v3, v6
	v_div_fixup_f32 v1, v1, v4, v2
	v_fmac_f32_e32 v4, v2, v1
	v_div_scale_f32 v2, s[4:5], v4, v4, 1.0
	v_rcp_f32_e32 v3, v2
	s_nop 0
	v_fma_f32 v5, -v2, v3, 1.0
	v_fmac_f32_e32 v3, v5, v3
	v_div_scale_f32 v5, vcc, 1.0, v4, 1.0
	v_mul_f32_e32 v6, v5, v3
	v_fma_f32 v7, -v2, v6, v5
	v_fmac_f32_e32 v6, v7, v3
	v_fma_f32 v2, -v2, v6, v5
	v_div_fmas_f32 v2, v2, v3, v6
	v_mul_f32_e32 v3, 0, v1
	v_div_fixup_f32 v2, v2, v4, 1.0
	v_add_f32_e32 v4, 1.0, v3
	v_sub_f32_e32 v5, 0, v1
	v_pk_mul_f32 v[6:7], v[4:5], v[2:3] op_sel_hi:[1,0]
                                        ; implicit-def: $vgpr3
                                        ; implicit-def: $vgpr1
.LBB183_343:
	s_andn2_saveexec_b64 s[0:1], s[0:1]
	s_cbranch_execz .LBB183_345
; %bb.344:
	v_div_scale_f32 v2, s[4:5], v3, v3, 0
	v_rcp_f32_e32 v4, v2
	v_div_scale_f32 v5, vcc, 0, v3, 0
	v_fma_f32 v6, -v2, v4, 1.0
	v_fmac_f32_e32 v4, v6, v4
	v_mul_f32_e32 v6, v5, v4
	v_fma_f32 v7, -v2, v6, v5
	v_fmac_f32_e32 v6, v7, v4
	v_fma_f32 v2, -v2, v6, v5
	v_div_scale_f32 v5, s[4:5], v1, v1, 1.0
	v_rcp_f32_e32 v9, v5
	v_div_fmas_f32 v2, v2, v4, v6
	v_div_fixup_f32 v7, v2, v3, 0
	v_fma_f32 v2, -v5, v9, 1.0
	v_fmac_f32_e32 v9, v2, v9
	v_div_scale_f32 v2, vcc, 1.0, v1, 1.0
	v_mul_f32_e32 v3, v2, v9
	v_fma_f32 v4, -v5, v3, v2
	v_fmac_f32_e32 v3, v4, v9
	v_fma_f32 v2, -v5, v3, v2
	v_div_fmas_f32 v2, v2, v9, v3
	v_div_fixup_f32 v6, v2, v1, 1.0
.LBB183_345:
	s_or_b64 exec, exec, s[0:1]
                                        ; implicit-def: $vgpr2
                                        ; implicit-def: $vgpr4
.LBB183_346:
	s_andn2_saveexec_b64 s[0:1], s[2:3]
	s_cbranch_execz .LBB183_348
; %bb.347:
	v_div_scale_f32 v1, s[2:3], v2, v2, v4
	v_rcp_f32_e32 v3, v1
	v_div_scale_f32 v5, vcc, v4, v2, v4
	v_fma_f32 v6, -v1, v3, 1.0
	v_fmac_f32_e32 v3, v6, v3
	v_mul_f32_e32 v6, v5, v3
	v_fma_f32 v7, -v1, v6, v5
	v_fmac_f32_e32 v6, v7, v3
	v_fma_f32 v1, -v1, v6, v5
	v_div_fmas_f32 v1, v1, v3, v6
	v_div_fixup_f32 v6, v1, v2, v4
	v_fmac_f32_e32 v2, v4, v6
	v_div_scale_f32 v1, s[2:3], v2, v2, 1.0
	v_rcp_f32_e32 v3, v1
	s_mov_b32 s2, 0
	s_mov_b32 s3, -1.0
	v_fma_f32 v4, -v1, v3, 1.0
	v_fmac_f32_e32 v3, v4, v3
	v_div_scale_f32 v4, vcc, 1.0, v2, 1.0
	v_mul_f32_e32 v5, v4, v3
	v_fma_f32 v7, -v1, v5, v4
	v_fmac_f32_e32 v5, v7, v3
	v_fma_f32 v1, -v1, v5, v4
	v_div_fmas_f32 v1, v1, v3, v5
	v_mul_f32_e32 v7, 0, v6
	v_div_fixup_f32 v2, v1, v2, 1.0
	v_pk_add_f32 v[4:5], v[6:7], s[2:3]
	s_nop 0
	v_pk_mul_f32 v[6:7], v[4:5], v[2:3] op_sel_hi:[1,0]
.LBB183_348:
	s_or_b64 exec, exec, s[0:1]
	v_cvt_f16_f32_e32 v1, v6
	v_cvt_f16_f32_sdwa v2, v7 dst_sel:WORD_1 dst_unused:UNUSED_PAD src0_sel:DWORD
	v_add_u32_e32 v8, 0x80, v8
	v_or_b32_e32 v1, v2, v1
	global_store_dword v0, v1, s[16:17]
	s_or_b64 exec, exec, s[48:49]
	v_cmp_gt_i32_e32 vcc, s55, v8
	s_and_saveexec_b64 s[48:49], vcc
	s_cbranch_execnz .LBB183_299
.LBB183_349:
	s_or_b64 exec, exec, s[48:49]
	v_cmp_gt_i32_e32 vcc, s55, v8
	s_and_saveexec_b64 s[48:49], vcc
	s_cbranch_execnz .LBB183_379
.LBB183_350:
	s_or_b64 exec, exec, s[48:49]
                                        ; implicit-def: $vgpr16
                                        ; implicit-def: $vgpr8
	s_andn2_saveexec_b64 s[0:1], s[38:39]
	s_cbranch_execnz .LBB183_9
.LBB183_351:
	s_endpgm
.LBB183_352:
	s_andn2_saveexec_b64 s[14:15], s[14:15]
	s_cbranch_execz .LBB183_354
.LBB183_353:
	v_sub_f32_e32 v1, v1, v3
	v_mul_f32_e32 v1, 0.5, v1
	s_mov_b32 s2, 0xf800000
	v_mul_f32_e32 v3, 0x4f800000, v1
	v_cmp_gt_f32_e32 vcc, s2, v1
	s_nop 1
	v_cndmask_b32_e32 v1, v1, v3, vcc
	v_sqrt_f32_e32 v3, v1
	s_nop 0
	v_add_u32_e32 v4, -1, v3
	v_fma_f32 v5, -v4, v3, v1
	v_cmp_ge_f32_e64 s[2:3], 0, v5
	v_add_u32_e32 v5, 1, v3
	s_nop 0
	v_cndmask_b32_e64 v4, v3, v4, s[2:3]
	v_fma_f32 v3, -v5, v3, v1
	v_cmp_lt_f32_e64 s[2:3], 0, v3
	s_nop 1
	v_cndmask_b32_e64 v3, v4, v5, s[2:3]
	v_mul_f32_e32 v4, 0x37800000, v3
	v_cndmask_b32_e32 v3, v3, v4, vcc
	v_mov_b32_e32 v4, 0x260
	v_cmp_class_f32_e32 vcc, v1, v4
	v_and_b32_e32 v4, 0x7fffffff, v2
	s_nop 0
	v_cndmask_b32_e32 v1, v3, v1, vcc
	v_add_f32_e32 v3, v1, v1
	v_div_scale_f32 v5, s[2:3], v3, v3, v4
	v_rcp_f32_e32 v6, v5
	v_div_scale_f32 v4, vcc, v4, v3, v4
	s_brev_b32 s2, -2
	v_fma_f32 v7, -v5, v6, 1.0
	v_fmac_f32_e32 v6, v7, v6
	v_mul_f32_e32 v7, v4, v6
	v_fma_f32 v9, -v5, v7, v4
	v_fmac_f32_e32 v7, v9, v6
	v_fma_f32 v4, -v5, v7, v4
	v_div_fmas_f32 v4, v4, v6, v7
	v_div_fixup_f32 v6, v4, v3, |v2|
	v_bfi_b32 v7, s2, v1, v2
.LBB183_354:
	s_or_b64 exec, exec, s[14:15]
                                        ; implicit-def: $vgpr2
                                        ; implicit-def: $vgpr4
	s_and_saveexec_b64 s[2:3], s[0:1]
	s_xor_b64 s[0:1], exec, s[2:3]
	s_cbranch_execz .LBB183_356
; %bb.355:
	v_pk_mul_f32 v[2:3], v[6:7], 0.5 op_sel_hi:[1,0]
	s_nop 0
	v_cndmask_b32_e64 v4, v6, v2, s[12:13]
	v_cndmask_b32_e64 v2, v7, v3, s[12:13]
                                        ; implicit-def: $vgpr6_vgpr7
	s_andn2_saveexec_b64 s[0:1], s[0:1]
	s_cbranch_execnz .LBB183_357
	s_branch .LBB183_358
.LBB183_356:
	s_andn2_saveexec_b64 s[0:1], s[0:1]
.LBB183_357:
	v_pk_add_f32 v[4:5], v[6:7], v[6:7]
	s_nop 0
	v_mov_b32_e32 v2, v5
.LBB183_358:
	s_or_b64 exec, exec, s[0:1]
                                        ; implicit-def: $vgpr1
.LBB183_359:
	s_andn2_saveexec_b64 s[0:1], s[10:11]
	s_cbranch_execz .LBB183_365
; %bb.360:
	v_and_b32_e32 v1, 0x8000, v1
	v_cmp_ne_u32_e32 vcc, 0, v1
	v_sub_f32_e32 v1, v2, v2
                                        ; implicit-def: $vgpr4
	s_and_saveexec_b64 s[2:3], vcc
	s_xor_b64 s[2:3], exec, s[2:3]
; %bb.361:
	s_brev_b32 s10, -2
	v_and_b32_e32 v4, 0x7fffffff, v1
	v_bfi_b32 v2, s10, v3, v2
                                        ; implicit-def: $vgpr1
; %bb.362:
	s_andn2_saveexec_b64 s[2:3], s[2:3]
; %bb.363:
	s_brev_b32 s10, -2
	v_bfi_b32 v2, s10, v1, v2
	v_mov_b32_e32 v4, v3
; %bb.364:
	s_or_b64 exec, exec, s[2:3]
.LBB183_365:
	s_or_b64 exec, exec, s[0:1]
.LBB183_366:
	s_andn2_saveexec_b64 s[0:1], s[8:9]
	s_cbranch_execz .LBB183_368
; %bb.367:
	v_sub_f32_e32 v1, v2, v2
	v_div_scale_f32 v2, vcc, v1, v1, v1
	v_rcp_f32_e32 v4, v2
	s_nop 0
	v_fma_f32 v5, -v2, v4, 1.0
	v_fmac_f32_e32 v4, v5, v4
	v_mul_f32_e32 v5, v2, v4
	v_fma_f32 v6, -v2, v5, v2
	v_fmac_f32_e32 v5, v6, v4
	v_fma_f32 v2, -v2, v5, v2
	v_div_fmas_f32 v2, v2, v4, v5
	v_div_fixup_f32 v2, v2, v1, v1
	v_mov_b32_e32 v4, v3
.LBB183_368:
	s_or_b64 exec, exec, s[0:1]
.LBB183_369:
	s_or_b64 exec, exec, s[6:7]
.LBB183_370:
	s_or_b64 exec, exec, s[4:5]
	v_cmp_gt_f32_e32 vcc, 0, v2
                                        ; implicit-def: $vgpr6_vgpr7
	s_nop 1
	v_cndmask_b32_e64 v3, v2, -v2, vcc
	v_cmp_gt_f32_e32 vcc, 0, v4
	s_nop 1
	v_cndmask_b32_e64 v1, v4, -v4, vcc
	v_cmp_ge_f32_e32 vcc, v1, v3
	s_and_saveexec_b64 s[0:1], vcc
	s_xor_b64 s[2:3], exec, s[0:1]
	s_cbranch_execz .LBB183_376
; %bb.371:
	v_cmp_neq_f32_e32 vcc, 0, v4
	v_cmp_neq_f32_e64 s[0:1], 0, v2
	s_or_b64 s[0:1], vcc, s[0:1]
                                        ; implicit-def: $vgpr6_vgpr7
	s_and_saveexec_b64 s[4:5], s[0:1]
	s_xor_b64 s[0:1], exec, s[4:5]
	s_cbranch_execz .LBB183_373
; %bb.372:
	v_div_scale_f32 v1, s[4:5], v4, v4, v2
	v_rcp_f32_e32 v3, v1
	v_div_scale_f32 v5, vcc, v2, v4, v2
	v_fma_f32 v6, -v1, v3, 1.0
	v_fmac_f32_e32 v3, v6, v3
	v_mul_f32_e32 v6, v5, v3
	v_fma_f32 v7, -v1, v6, v5
	v_fmac_f32_e32 v6, v7, v3
	v_fma_f32 v1, -v1, v6, v5
	v_div_fmas_f32 v1, v1, v3, v6
	v_div_fixup_f32 v1, v1, v4, v2
	v_fmac_f32_e32 v4, v2, v1
	v_div_scale_f32 v2, s[4:5], v4, v4, 1.0
	v_rcp_f32_e32 v3, v2
	s_nop 0
	v_fma_f32 v5, -v2, v3, 1.0
	v_fmac_f32_e32 v3, v5, v3
	v_div_scale_f32 v5, vcc, 1.0, v4, 1.0
	v_mul_f32_e32 v6, v5, v3
	v_fma_f32 v7, -v2, v6, v5
	v_fmac_f32_e32 v6, v7, v3
	v_fma_f32 v2, -v2, v6, v5
	v_div_fmas_f32 v2, v2, v3, v6
	v_mul_f32_e32 v3, 0, v1
	v_div_fixup_f32 v2, v2, v4, 1.0
	v_add_f32_e32 v4, 1.0, v3
	v_sub_f32_e32 v5, 0, v1
	v_pk_mul_f32 v[6:7], v[4:5], v[2:3] op_sel_hi:[1,0]
                                        ; implicit-def: $vgpr3
                                        ; implicit-def: $vgpr1
.LBB183_373:
	s_andn2_saveexec_b64 s[0:1], s[0:1]
	s_cbranch_execz .LBB183_375
; %bb.374:
	v_div_scale_f32 v2, s[4:5], v3, v3, 0
	v_rcp_f32_e32 v4, v2
	v_div_scale_f32 v5, vcc, 0, v3, 0
	v_fma_f32 v6, -v2, v4, 1.0
	v_fmac_f32_e32 v4, v6, v4
	v_mul_f32_e32 v6, v5, v4
	v_fma_f32 v7, -v2, v6, v5
	v_fmac_f32_e32 v6, v7, v4
	v_fma_f32 v2, -v2, v6, v5
	v_div_scale_f32 v5, s[4:5], v1, v1, 1.0
	v_rcp_f32_e32 v9, v5
	v_div_fmas_f32 v2, v2, v4, v6
	v_div_fixup_f32 v7, v2, v3, 0
	v_fma_f32 v2, -v5, v9, 1.0
	v_fmac_f32_e32 v9, v2, v9
	v_div_scale_f32 v2, vcc, 1.0, v1, 1.0
	v_mul_f32_e32 v3, v2, v9
	v_fma_f32 v4, -v5, v3, v2
	v_fmac_f32_e32 v3, v4, v9
	v_fma_f32 v2, -v5, v3, v2
	v_div_fmas_f32 v2, v2, v9, v3
	v_div_fixup_f32 v6, v2, v1, 1.0
.LBB183_375:
	s_or_b64 exec, exec, s[0:1]
                                        ; implicit-def: $vgpr2
                                        ; implicit-def: $vgpr4
.LBB183_376:
	s_andn2_saveexec_b64 s[0:1], s[2:3]
	s_cbranch_execz .LBB183_378
; %bb.377:
	v_div_scale_f32 v1, s[2:3], v2, v2, v4
	v_rcp_f32_e32 v3, v1
	v_div_scale_f32 v5, vcc, v4, v2, v4
	v_fma_f32 v6, -v1, v3, 1.0
	v_fmac_f32_e32 v3, v6, v3
	v_mul_f32_e32 v6, v5, v3
	v_fma_f32 v7, -v1, v6, v5
	v_fmac_f32_e32 v6, v7, v3
	v_fma_f32 v1, -v1, v6, v5
	v_div_fmas_f32 v1, v1, v3, v6
	v_div_fixup_f32 v6, v1, v2, v4
	v_fmac_f32_e32 v2, v4, v6
	v_div_scale_f32 v1, s[2:3], v2, v2, 1.0
	v_rcp_f32_e32 v3, v1
	s_mov_b32 s2, 0
	s_mov_b32 s3, -1.0
	v_fma_f32 v4, -v1, v3, 1.0
	v_fmac_f32_e32 v3, v4, v3
	v_div_scale_f32 v4, vcc, 1.0, v2, 1.0
	v_mul_f32_e32 v5, v4, v3
	v_fma_f32 v7, -v1, v5, v4
	v_fmac_f32_e32 v5, v7, v3
	v_fma_f32 v1, -v1, v5, v4
	v_div_fmas_f32 v1, v1, v3, v5
	v_mul_f32_e32 v7, 0, v6
	v_div_fixup_f32 v2, v1, v2, 1.0
	v_pk_add_f32 v[4:5], v[6:7], s[2:3]
	s_nop 0
	v_pk_mul_f32 v[6:7], v[4:5], v[2:3] op_sel_hi:[1,0]
.LBB183_378:
	s_or_b64 exec, exec, s[0:1]
	v_cvt_f16_f32_e32 v1, v6
	v_cvt_f16_f32_sdwa v2, v7 dst_sel:WORD_1 dst_unused:UNUSED_PAD src0_sel:DWORD
	v_add_u32_e32 v8, 0x80, v8
	v_or_b32_e32 v1, v2, v1
	global_store_dword v0, v1, s[16:17]
	s_or_b64 exec, exec, s[48:49]
	v_cmp_gt_i32_e32 vcc, s55, v8
	s_and_saveexec_b64 s[48:49], vcc
	s_cbranch_execz .LBB183_350
.LBB183_379:
	s_andn2_b64 vcc, exec, s[36:37]
	s_cbranch_vccnz .LBB183_385
; %bb.380:
	s_andn2_b64 vcc, exec, s[46:47]
	s_cbranch_vccnz .LBB183_386
; %bb.381:
	s_add_i32 s56, s56, 1
	s_cmp_eq_u32 s54, 2
	s_cbranch_scc1 .LBB183_387
; %bb.382:
	s_and_b32 s50, s56, 28
	s_mov_b32 s51, 0
	v_mov_b32_e32 v0, 0
	v_mov_b32_e32 v2, 0
	s_mov_b64 s[46:47], s[34:35]
	v_mov_b32_e32 v4, v8
.LBB183_383:                            ; =>This Inner Loop Header: Depth=1
	s_load_dwordx8 s[8:15], s[46:47], 0x4
	s_load_dwordx4 s[28:31], s[46:47], 0x24
	s_load_dwordx8 s[0:7], s[44:45], 0x0
	s_add_u32 s46, s46, 48
	s_addc_u32 s47, s47, 0
	s_waitcnt lgkmcnt(0)
	v_mul_hi_u32 v1, s9, v4
	v_add_u32_e32 v1, v4, v1
	v_lshrrev_b32_e32 v1, s10, v1
	v_mul_lo_u32 v3, v1, s8
	v_mul_hi_u32 v5, s12, v1
	v_sub_u32_e32 v3, v4, v3
	v_add_u32_e32 v4, v1, v5
	v_lshrrev_b32_e32 v4, s13, v4
	v_mul_lo_u32 v6, v4, s11
	v_mul_hi_u32 v7, s15, v4
	v_sub_u32_e32 v1, v1, v6
	v_add_u32_e32 v6, v4, v7
	v_mul_lo_u32 v5, v3, s1
	v_mul_lo_u32 v3, v3, s0
	;; [unrolled: 1-line block ×4, first 2 shown]
	v_lshrrev_b32_e32 v6, s28, v6
	v_add3_u32 v0, v3, v0, v1
	v_mul_hi_u32 v3, s30, v6
	v_add3_u32 v1, v5, v2, v7
	v_mul_lo_u32 v2, v6, s14
	v_add_u32_e32 v3, v6, v3
	v_sub_u32_e32 v2, v4, v2
	v_lshrrev_b32_e32 v4, s31, v3
	s_add_i32 s51, s51, 4
	v_mul_lo_u32 v3, v4, s29
	s_add_u32 s44, s44, 32
	v_sub_u32_e32 v3, v6, v3
	s_addc_u32 s45, s45, 0
	v_mul_lo_u32 v5, v2, s4
	v_mul_lo_u32 v2, v2, s5
	v_mul_lo_u32 v6, v3, s6
	v_mul_lo_u32 v3, v3, s7
	s_cmp_eq_u32 s50, s51
	v_add3_u32 v2, v2, v1, v3
	v_add3_u32 v0, v5, v0, v6
	s_cbranch_scc0 .LBB183_383
; %bb.384:
	v_mov_b32_e32 v1, v2
	s_branch .LBB183_388
.LBB183_385:
                                        ; implicit-def: $vgpr2
                                        ; implicit-def: $vgpr0
	s_branch .LBB183_392
.LBB183_386:
	v_mov_b32_e32 v2, 0
	v_mov_b32_e32 v0, 0
	s_branch .LBB183_391
.LBB183_387:
	v_mov_b32_e32 v0, 0
	s_mov_b32 s50, 0
	v_mov_b32_e32 v1, v0
                                        ; implicit-def: $vgpr2
	v_mov_b32_e32 v4, v8
.LBB183_388:
	s_and_b32 s4, s56, 3
	s_cmp_eq_u32 s4, 0
	s_cbranch_scc1 .LBB183_391
; %bb.389:
	s_lshl_b32 s0, s50, 3
	s_add_u32 s0, s34, s0
	s_addc_u32 s1, s35, 0
	s_add_u32 s0, s0, 0xc4
	s_addc_u32 s1, s1, 0
	s_mul_i32 s2, s50, 12
	s_add_u32 s2, s34, s2
	s_addc_u32 s3, s35, 0
.LBB183_390:                            ; =>This Inner Loop Header: Depth=1
	s_load_dwordx2 s[6:7], s[2:3], 0x4
	s_load_dword s5, s[2:3], 0xc
	s_load_dwordx2 s[8:9], s[0:1], 0x0
	v_mov_b32_e32 v2, v1
	s_add_u32 s2, s2, 12
	s_waitcnt lgkmcnt(0)
	v_mul_hi_u32 v1, s7, v4
	v_add_u32_e32 v1, v4, v1
	v_lshrrev_b32_e32 v1, s5, v1
	s_addc_u32 s3, s3, 0
	v_mul_lo_u32 v3, v1, s6
	s_add_u32 s0, s0, 8
	v_sub_u32_e32 v5, v4, v3
	s_addc_u32 s1, s1, 0
	s_add_i32 s4, s4, -1
	v_mov_b32_e32 v4, v1
	v_mad_u64_u32 v[2:3], s[6:7], v5, s9, v[2:3]
	v_mad_u64_u32 v[0:1], s[6:7], v5, s8, v[0:1]
	s_cmp_lg_u32 s4, 0
	v_mov_b32_e32 v1, v2
	s_cbranch_scc1 .LBB183_390
.LBB183_391:
	s_cbranch_execnz .LBB183_394
.LBB183_392:
	s_waitcnt lgkmcnt(0)
	v_mul_hi_u32 v0, s25, v8
	v_add_u32_e32 v0, v8, v0
	v_lshrrev_b32_e32 v1, s26, v0
	v_mul_lo_u32 v0, v1, s24
	v_sub_u32_e32 v0, v8, v0
	v_mul_lo_u32 v2, v0, s21
	s_andn2_b64 vcc, exec, s[42:43]
	v_mul_lo_u32 v0, v0, s20
	s_cbranch_vccnz .LBB183_394
; %bb.393:
	v_mul_hi_u32 v3, s40, v1
	v_add_u32_e32 v3, v1, v3
	v_lshrrev_b32_e32 v3, s41, v3
	v_mul_lo_u32 v3, v3, s27
	v_sub_u32_e32 v3, v1, v3
	v_mad_u64_u32 v[0:1], s[0:1], v3, s22, v[0:1]
	v_mad_u64_u32 v[2:3], s[0:1], v3, s23, v[2:3]
.LBB183_394:
	s_waitcnt lgkmcnt(0)
	global_load_dword v1, v2, s[18:19]
	v_mov_b32_e32 v4, 0
	s_waitcnt vmcnt(0)
	v_cvt_f32_f16_sdwa v2, v1 dst_sel:DWORD dst_unused:UNUSED_PAD src0_sel:WORD_1
	v_cmp_neq_f16_e32 vcc, 0, v1
	v_cmp_neq_f16_sdwa s[0:1], v1, v4 src0_sel:WORD_1 src1_sel:DWORD
	s_or_b64 s[0:1], vcc, s[0:1]
	s_and_saveexec_b64 s[4:5], s[0:1]
	s_cbranch_execz .LBB183_424
; %bb.395:
	v_cvt_f32_f16_e32 v3, v1
	v_mov_b32_e32 v4, 0x7f800000
	v_cmp_neq_f32_e64 s[0:1], |v2|, v4
	s_and_saveexec_b64 s[6:7], s[0:1]
	s_cbranch_execz .LBB183_423
; %bb.396:
	v_cmp_o_f16_e32 vcc, v1, v1
                                        ; implicit-def: $vgpr4
	s_and_saveexec_b64 s[0:1], vcc
	s_xor_b64 s[8:9], exec, s[0:1]
	s_cbranch_execz .LBB183_420
; %bb.397:
	s_mov_b32 s0, 0x7f800000
	v_cmp_neq_f32_e64 s[0:1], |v3|, s0
                                        ; implicit-def: $vgpr4
	s_and_saveexec_b64 s[2:3], s[0:1]
	s_xor_b64 s[10:11], exec, s[2:3]
	s_cbranch_execz .LBB183_413
; %bb.398:
	v_max_f32_e64 v1, |v2|, |v2|
	v_max_f32_e64 v4, |v3|, |v3|
	v_max_f32_e32 v1, v4, v1
	s_mov_b32 s0, 0x7ed413cb
	v_cmp_nle_f32_e64 s[0:1], s0, v1
                                        ; implicit-def: $sgpr12_sgpr13
	s_and_saveexec_b64 s[2:3], s[0:1]
	s_xor_b64 s[2:3], exec, s[2:3]
	s_cbranch_execz .LBB183_402
; %bb.399:
	s_mov_b32 s14, 0x1000000
	v_cmp_le_f32_e64 s[12:13], |v3|, s14
	v_cmp_le_f32_e64 s[14:15], |v2|, s14
	s_and_b64 s[18:19], s[12:13], s[14:15]
	s_mov_b64 s[12:13], 0
	s_and_saveexec_b64 s[14:15], s[18:19]
; %bb.400:
	s_mov_b64 s[12:13], exec
	v_pk_mul_f32 v[2:3], v[2:3], 4.0 op_sel_hi:[1,0]
; %bb.401:
	s_or_b64 exec, exec, s[14:15]
.LBB183_402:
	s_andn2_saveexec_b64 s[2:3], s[2:3]
; %bb.403:
	s_mov_b32 s14, 0x3e800000
	v_pk_mul_f32 v[2:3], v[2:3], s[14:15] op_sel_hi:[1,0]
	s_andn2_b64 s[12:13], s[12:13], exec
; %bb.404:
	s_or_b64 exec, exec, s[2:3]
	v_max_f32_e64 v1, |v2|, |v2|
	v_max_f32_e64 v4, |v3|, |v3|
	v_max_f32_e32 v1, v4, v1
	v_cvt_f64_f32_e32 v[4:5], v1
	v_frexp_exp_i32_f64_e32 v4, v[4:5]
	v_sub_u32_e32 v5, 0, v4
	v_ldexp_f32 v6, |v3|, v5
	v_ldexp_f32 v5, |v2|, v5
	v_mul_f32_e32 v5, v5, v5
	v_fmac_f32_e32 v5, v6, v6
	v_sqrt_f32_e32 v5, v5
	s_mov_b32 s2, 0x7f800000
	v_cmp_neq_f32_e64 s[2:3], s2, v1
	v_cmp_le_f32_e32 vcc, 0, v3
	v_ldexp_f32 v4, v5, v4
	v_mov_b32_e32 v5, 0x7f800000
	v_cndmask_b32_e64 v1, v5, v4, s[2:3]
                                        ; implicit-def: $vgpr6_vgpr7
	s_and_saveexec_b64 s[2:3], vcc
	s_xor_b64 s[14:15], exec, s[2:3]
	s_cbranch_execz .LBB183_406
; %bb.405:
	v_add_f32_e32 v1, v3, v1
	v_mul_f32_e32 v1, 0.5, v1
	s_mov_b32 s2, 0xf800000
	v_mul_f32_e32 v3, 0x4f800000, v1
	v_cmp_gt_f32_e32 vcc, s2, v1
	s_nop 1
	v_cndmask_b32_e32 v1, v1, v3, vcc
	v_sqrt_f32_e32 v3, v1
	s_nop 0
	v_add_u32_e32 v4, -1, v3
	v_fma_f32 v5, -v4, v3, v1
	v_cmp_ge_f32_e64 s[2:3], 0, v5
	v_add_u32_e32 v5, 1, v3
	s_nop 0
	v_cndmask_b32_e64 v4, v3, v4, s[2:3]
	v_fma_f32 v3, -v5, v3, v1
	v_cmp_lt_f32_e64 s[2:3], 0, v3
	s_nop 1
	v_cndmask_b32_e64 v3, v4, v5, s[2:3]
	v_mul_f32_e32 v4, 0x37800000, v3
	v_cndmask_b32_e32 v3, v3, v4, vcc
	v_mov_b32_e32 v4, 0x260
	v_cmp_class_f32_e32 vcc, v1, v4
	s_nop 1
	v_cndmask_b32_e32 v6, v3, v1, vcc
	v_add_f32_e32 v1, v6, v6
	v_div_scale_f32 v3, s[2:3], v1, v1, v2
	v_rcp_f32_e32 v4, v3
	s_nop 0
	v_fma_f32 v5, -v3, v4, 1.0
	v_fmac_f32_e32 v4, v5, v4
	v_div_scale_f32 v5, vcc, v2, v1, v2
	v_mul_f32_e32 v7, v5, v4
	v_fma_f32 v8, -v3, v7, v5
	v_fmac_f32_e32 v7, v8, v4
	v_fma_f32 v3, -v3, v7, v5
	v_div_fmas_f32 v3, v3, v4, v7
	v_div_fixup_f32 v7, v3, v1, v2
                                        ; implicit-def: $vgpr1
                                        ; implicit-def: $vgpr2_vgpr3
	s_andn2_saveexec_b64 s[14:15], s[14:15]
	s_cbranch_execz .LBB183_408
	s_branch .LBB183_407
.LBB183_406:
	s_andn2_saveexec_b64 s[14:15], s[14:15]
	s_cbranch_execz .LBB183_408
.LBB183_407:
	v_sub_f32_e32 v1, v1, v3
	v_mul_f32_e32 v1, 0.5, v1
	s_mov_b32 s2, 0xf800000
	v_mul_f32_e32 v3, 0x4f800000, v1
	v_cmp_gt_f32_e32 vcc, s2, v1
	s_nop 1
	v_cndmask_b32_e32 v1, v1, v3, vcc
	v_sqrt_f32_e32 v3, v1
	s_nop 0
	v_add_u32_e32 v4, -1, v3
	v_fma_f32 v5, -v4, v3, v1
	v_cmp_ge_f32_e64 s[2:3], 0, v5
	v_add_u32_e32 v5, 1, v3
	s_nop 0
	v_cndmask_b32_e64 v4, v3, v4, s[2:3]
	v_fma_f32 v3, -v5, v3, v1
	v_cmp_lt_f32_e64 s[2:3], 0, v3
	s_nop 1
	v_cndmask_b32_e64 v3, v4, v5, s[2:3]
	v_mul_f32_e32 v4, 0x37800000, v3
	v_cndmask_b32_e32 v3, v3, v4, vcc
	v_mov_b32_e32 v4, 0x260
	v_cmp_class_f32_e32 vcc, v1, v4
	v_and_b32_e32 v4, 0x7fffffff, v2
	s_nop 0
	v_cndmask_b32_e32 v1, v3, v1, vcc
	v_add_f32_e32 v3, v1, v1
	v_div_scale_f32 v5, s[2:3], v3, v3, v4
	v_rcp_f32_e32 v6, v5
	v_div_scale_f32 v4, vcc, v4, v3, v4
	s_brev_b32 s2, -2
	v_fma_f32 v7, -v5, v6, 1.0
	v_fmac_f32_e32 v6, v7, v6
	v_mul_f32_e32 v7, v4, v6
	v_fma_f32 v8, -v5, v7, v4
	v_fmac_f32_e32 v7, v8, v6
	v_fma_f32 v4, -v5, v7, v4
	v_div_fmas_f32 v4, v4, v6, v7
	v_div_fixup_f32 v6, v4, v3, |v2|
	v_bfi_b32 v7, s2, v1, v2
.LBB183_408:
	s_or_b64 exec, exec, s[14:15]
                                        ; implicit-def: $vgpr2
                                        ; implicit-def: $vgpr4
	s_and_saveexec_b64 s[2:3], s[0:1]
	s_xor_b64 s[0:1], exec, s[2:3]
	s_cbranch_execz .LBB183_410
; %bb.409:
	v_pk_mul_f32 v[2:3], v[6:7], 0.5 op_sel_hi:[1,0]
	s_nop 0
	v_cndmask_b32_e64 v4, v6, v2, s[12:13]
	v_cndmask_b32_e64 v2, v7, v3, s[12:13]
                                        ; implicit-def: $vgpr6_vgpr7
	s_andn2_saveexec_b64 s[0:1], s[0:1]
	s_cbranch_execnz .LBB183_411
	s_branch .LBB183_412
.LBB183_410:
	s_andn2_saveexec_b64 s[0:1], s[0:1]
.LBB183_411:
	v_pk_add_f32 v[4:5], v[6:7], v[6:7]
	s_nop 0
	v_mov_b32_e32 v2, v5
.LBB183_412:
	s_or_b64 exec, exec, s[0:1]
                                        ; implicit-def: $vgpr1
.LBB183_413:
	s_andn2_saveexec_b64 s[0:1], s[10:11]
	s_cbranch_execz .LBB183_419
; %bb.414:
	v_and_b32_e32 v1, 0x8000, v1
	v_cmp_ne_u32_e32 vcc, 0, v1
	v_sub_f32_e32 v1, v2, v2
                                        ; implicit-def: $vgpr4
	s_and_saveexec_b64 s[2:3], vcc
	s_xor_b64 s[2:3], exec, s[2:3]
; %bb.415:
	s_brev_b32 s10, -2
	v_and_b32_e32 v4, 0x7fffffff, v1
	v_bfi_b32 v2, s10, v3, v2
                                        ; implicit-def: $vgpr1
; %bb.416:
	s_andn2_saveexec_b64 s[2:3], s[2:3]
; %bb.417:
	s_brev_b32 s10, -2
	v_bfi_b32 v2, s10, v1, v2
	v_mov_b32_e32 v4, v3
; %bb.418:
	s_or_b64 exec, exec, s[2:3]
.LBB183_419:
	s_or_b64 exec, exec, s[0:1]
.LBB183_420:
	s_andn2_saveexec_b64 s[0:1], s[8:9]
	s_cbranch_execz .LBB183_422
; %bb.421:
	v_sub_f32_e32 v1, v2, v2
	v_div_scale_f32 v2, vcc, v1, v1, v1
	v_rcp_f32_e32 v4, v2
	s_nop 0
	v_fma_f32 v5, -v2, v4, 1.0
	v_fmac_f32_e32 v4, v5, v4
	v_mul_f32_e32 v5, v2, v4
	v_fma_f32 v6, -v2, v5, v2
	v_fmac_f32_e32 v5, v6, v4
	v_fma_f32 v2, -v2, v5, v2
	v_div_fmas_f32 v2, v2, v4, v5
	v_div_fixup_f32 v2, v2, v1, v1
	v_mov_b32_e32 v4, v3
.LBB183_422:
	s_or_b64 exec, exec, s[0:1]
.LBB183_423:
	s_or_b64 exec, exec, s[6:7]
.LBB183_424:
	s_or_b64 exec, exec, s[4:5]
	v_cmp_gt_f32_e32 vcc, 0, v2
                                        ; implicit-def: $vgpr6_vgpr7
	s_nop 1
	v_cndmask_b32_e64 v3, v2, -v2, vcc
	v_cmp_gt_f32_e32 vcc, 0, v4
	s_nop 1
	v_cndmask_b32_e64 v1, v4, -v4, vcc
	v_cmp_ge_f32_e32 vcc, v1, v3
	s_and_saveexec_b64 s[0:1], vcc
	s_xor_b64 s[2:3], exec, s[0:1]
	s_cbranch_execz .LBB183_430
; %bb.425:
	v_cmp_neq_f32_e32 vcc, 0, v4
	v_cmp_neq_f32_e64 s[0:1], 0, v2
	s_or_b64 s[0:1], vcc, s[0:1]
                                        ; implicit-def: $vgpr6_vgpr7
	s_and_saveexec_b64 s[4:5], s[0:1]
	s_xor_b64 s[0:1], exec, s[4:5]
	s_cbranch_execz .LBB183_427
; %bb.426:
	v_div_scale_f32 v1, s[4:5], v4, v4, v2
	v_rcp_f32_e32 v3, v1
	v_div_scale_f32 v5, vcc, v2, v4, v2
	v_fma_f32 v6, -v1, v3, 1.0
	v_fmac_f32_e32 v3, v6, v3
	v_mul_f32_e32 v6, v5, v3
	v_fma_f32 v7, -v1, v6, v5
	v_fmac_f32_e32 v6, v7, v3
	v_fma_f32 v1, -v1, v6, v5
	v_div_fmas_f32 v1, v1, v3, v6
	v_div_fixup_f32 v1, v1, v4, v2
	v_fmac_f32_e32 v4, v2, v1
	v_div_scale_f32 v2, s[4:5], v4, v4, 1.0
	v_rcp_f32_e32 v3, v2
	s_nop 0
	v_fma_f32 v5, -v2, v3, 1.0
	v_fmac_f32_e32 v3, v5, v3
	v_div_scale_f32 v5, vcc, 1.0, v4, 1.0
	v_mul_f32_e32 v6, v5, v3
	v_fma_f32 v7, -v2, v6, v5
	v_fmac_f32_e32 v6, v7, v3
	v_fma_f32 v2, -v2, v6, v5
	v_div_fmas_f32 v2, v2, v3, v6
	v_mul_f32_e32 v3, 0, v1
	v_div_fixup_f32 v2, v2, v4, 1.0
	v_add_f32_e32 v4, 1.0, v3
	v_sub_f32_e32 v5, 0, v1
	v_pk_mul_f32 v[6:7], v[4:5], v[2:3] op_sel_hi:[1,0]
                                        ; implicit-def: $vgpr3
                                        ; implicit-def: $vgpr1
.LBB183_427:
	s_andn2_saveexec_b64 s[0:1], s[0:1]
	s_cbranch_execz .LBB183_429
; %bb.428:
	v_div_scale_f32 v2, s[4:5], v3, v3, 0
	v_rcp_f32_e32 v4, v2
	v_div_scale_f32 v5, vcc, 0, v3, 0
	v_fma_f32 v6, -v2, v4, 1.0
	v_fmac_f32_e32 v4, v6, v4
	v_mul_f32_e32 v6, v5, v4
	v_fma_f32 v7, -v2, v6, v5
	v_fmac_f32_e32 v6, v7, v4
	v_fma_f32 v2, -v2, v6, v5
	v_div_scale_f32 v5, s[4:5], v1, v1, 1.0
	v_rcp_f32_e32 v8, v5
	v_div_fmas_f32 v2, v2, v4, v6
	v_div_fixup_f32 v7, v2, v3, 0
	v_fma_f32 v2, -v5, v8, 1.0
	v_fmac_f32_e32 v8, v2, v8
	v_div_scale_f32 v2, vcc, 1.0, v1, 1.0
	v_mul_f32_e32 v3, v2, v8
	v_fma_f32 v4, -v5, v3, v2
	v_fmac_f32_e32 v3, v4, v8
	v_fma_f32 v2, -v5, v3, v2
	v_div_fmas_f32 v2, v2, v8, v3
	v_div_fixup_f32 v6, v2, v1, 1.0
.LBB183_429:
	s_or_b64 exec, exec, s[0:1]
                                        ; implicit-def: $vgpr2
                                        ; implicit-def: $vgpr4
.LBB183_430:
	s_andn2_saveexec_b64 s[0:1], s[2:3]
	s_cbranch_execz .LBB183_432
; %bb.431:
	v_div_scale_f32 v1, s[2:3], v2, v2, v4
	v_rcp_f32_e32 v3, v1
	v_div_scale_f32 v5, vcc, v4, v2, v4
	v_fma_f32 v6, -v1, v3, 1.0
	v_fmac_f32_e32 v3, v6, v3
	v_mul_f32_e32 v6, v5, v3
	v_fma_f32 v7, -v1, v6, v5
	v_fmac_f32_e32 v6, v7, v3
	v_fma_f32 v1, -v1, v6, v5
	v_div_fmas_f32 v1, v1, v3, v6
	v_div_fixup_f32 v6, v1, v2, v4
	v_fmac_f32_e32 v2, v4, v6
	v_div_scale_f32 v1, s[2:3], v2, v2, 1.0
	v_rcp_f32_e32 v3, v1
	s_mov_b32 s2, 0
	s_mov_b32 s3, -1.0
	v_fma_f32 v4, -v1, v3, 1.0
	v_fmac_f32_e32 v3, v4, v3
	v_div_scale_f32 v4, vcc, 1.0, v2, 1.0
	v_mul_f32_e32 v5, v4, v3
	v_fma_f32 v7, -v1, v5, v4
	v_fmac_f32_e32 v5, v7, v3
	v_fma_f32 v1, -v1, v5, v4
	v_div_fmas_f32 v1, v1, v3, v5
	v_mul_f32_e32 v7, 0, v6
	v_div_fixup_f32 v2, v1, v2, 1.0
	v_pk_add_f32 v[4:5], v[6:7], s[2:3]
	s_nop 0
	v_pk_mul_f32 v[6:7], v[4:5], v[2:3] op_sel_hi:[1,0]
.LBB183_432:
	s_or_b64 exec, exec, s[0:1]
	v_cvt_f16_f32_e32 v1, v6
	v_cvt_f16_f32_sdwa v2, v7 dst_sel:WORD_1 dst_unused:UNUSED_PAD src0_sel:DWORD
	s_nop 0
	v_or_b32_e32 v1, v2, v1
	global_store_dword v0, v1, s[16:17]
	s_or_b64 exec, exec, s[48:49]
                                        ; implicit-def: $vgpr16
                                        ; implicit-def: $vgpr8
	s_andn2_saveexec_b64 s[0:1], s[38:39]
	s_cbranch_execz .LBB183_351
	s_branch .LBB183_9
	.section	.rodata,"a",@progbits
	.p2align	6, 0x0
	.amdhsa_kernel _ZN2at6native32elementwise_kernel_manual_unrollILi128ELi4EZNS0_22gpu_kernel_impl_nocastIZZZNS0_17rsqrt_kernel_cudaERNS_18TensorIteratorBaseEENKUlvE_clEvENKUlvE1_clEvEUlN3c107complexINS7_4HalfEEEE_EEvS4_RKT_EUlibE_EEviT1_
		.amdhsa_group_segment_fixed_size 0
		.amdhsa_private_segment_fixed_size 0
		.amdhsa_kernarg_size 360
		.amdhsa_user_sgpr_count 2
		.amdhsa_user_sgpr_dispatch_ptr 0
		.amdhsa_user_sgpr_queue_ptr 0
		.amdhsa_user_sgpr_kernarg_segment_ptr 1
		.amdhsa_user_sgpr_dispatch_id 0
		.amdhsa_user_sgpr_kernarg_preload_length 0
		.amdhsa_user_sgpr_kernarg_preload_offset 0
		.amdhsa_user_sgpr_private_segment_size 0
		.amdhsa_uses_dynamic_stack 0
		.amdhsa_enable_private_segment 0
		.amdhsa_system_sgpr_workgroup_id_x 1
		.amdhsa_system_sgpr_workgroup_id_y 0
		.amdhsa_system_sgpr_workgroup_id_z 0
		.amdhsa_system_sgpr_workgroup_info 0
		.amdhsa_system_vgpr_workitem_id 0
		.amdhsa_next_free_vgpr 20
		.amdhsa_next_free_sgpr 60
		.amdhsa_accum_offset 20
		.amdhsa_reserve_vcc 1
		.amdhsa_float_round_mode_32 0
		.amdhsa_float_round_mode_16_64 0
		.amdhsa_float_denorm_mode_32 3
		.amdhsa_float_denorm_mode_16_64 3
		.amdhsa_dx10_clamp 1
		.amdhsa_ieee_mode 1
		.amdhsa_fp16_overflow 0
		.amdhsa_tg_split 0
		.amdhsa_exception_fp_ieee_invalid_op 0
		.amdhsa_exception_fp_denorm_src 0
		.amdhsa_exception_fp_ieee_div_zero 0
		.amdhsa_exception_fp_ieee_overflow 0
		.amdhsa_exception_fp_ieee_underflow 0
		.amdhsa_exception_fp_ieee_inexact 0
		.amdhsa_exception_int_div_zero 0
	.end_amdhsa_kernel
	.section	.text._ZN2at6native32elementwise_kernel_manual_unrollILi128ELi4EZNS0_22gpu_kernel_impl_nocastIZZZNS0_17rsqrt_kernel_cudaERNS_18TensorIteratorBaseEENKUlvE_clEvENKUlvE1_clEvEUlN3c107complexINS7_4HalfEEEE_EEvS4_RKT_EUlibE_EEviT1_,"axG",@progbits,_ZN2at6native32elementwise_kernel_manual_unrollILi128ELi4EZNS0_22gpu_kernel_impl_nocastIZZZNS0_17rsqrt_kernel_cudaERNS_18TensorIteratorBaseEENKUlvE_clEvENKUlvE1_clEvEUlN3c107complexINS7_4HalfEEEE_EEvS4_RKT_EUlibE_EEviT1_,comdat
.Lfunc_end183:
	.size	_ZN2at6native32elementwise_kernel_manual_unrollILi128ELi4EZNS0_22gpu_kernel_impl_nocastIZZZNS0_17rsqrt_kernel_cudaERNS_18TensorIteratorBaseEENKUlvE_clEvENKUlvE1_clEvEUlN3c107complexINS7_4HalfEEEE_EEvS4_RKT_EUlibE_EEviT1_, .Lfunc_end183-_ZN2at6native32elementwise_kernel_manual_unrollILi128ELi4EZNS0_22gpu_kernel_impl_nocastIZZZNS0_17rsqrt_kernel_cudaERNS_18TensorIteratorBaseEENKUlvE_clEvENKUlvE1_clEvEUlN3c107complexINS7_4HalfEEEE_EEvS4_RKT_EUlibE_EEviT1_
                                        ; -- End function
	.set _ZN2at6native32elementwise_kernel_manual_unrollILi128ELi4EZNS0_22gpu_kernel_impl_nocastIZZZNS0_17rsqrt_kernel_cudaERNS_18TensorIteratorBaseEENKUlvE_clEvENKUlvE1_clEvEUlN3c107complexINS7_4HalfEEEE_EEvS4_RKT_EUlibE_EEviT1_.num_vgpr, 20
	.set _ZN2at6native32elementwise_kernel_manual_unrollILi128ELi4EZNS0_22gpu_kernel_impl_nocastIZZZNS0_17rsqrt_kernel_cudaERNS_18TensorIteratorBaseEENKUlvE_clEvENKUlvE1_clEvEUlN3c107complexINS7_4HalfEEEE_EEvS4_RKT_EUlibE_EEviT1_.num_agpr, 0
	.set _ZN2at6native32elementwise_kernel_manual_unrollILi128ELi4EZNS0_22gpu_kernel_impl_nocastIZZZNS0_17rsqrt_kernel_cudaERNS_18TensorIteratorBaseEENKUlvE_clEvENKUlvE1_clEvEUlN3c107complexINS7_4HalfEEEE_EEvS4_RKT_EUlibE_EEviT1_.numbered_sgpr, 60
	.set _ZN2at6native32elementwise_kernel_manual_unrollILi128ELi4EZNS0_22gpu_kernel_impl_nocastIZZZNS0_17rsqrt_kernel_cudaERNS_18TensorIteratorBaseEENKUlvE_clEvENKUlvE1_clEvEUlN3c107complexINS7_4HalfEEEE_EEvS4_RKT_EUlibE_EEviT1_.num_named_barrier, 0
	.set _ZN2at6native32elementwise_kernel_manual_unrollILi128ELi4EZNS0_22gpu_kernel_impl_nocastIZZZNS0_17rsqrt_kernel_cudaERNS_18TensorIteratorBaseEENKUlvE_clEvENKUlvE1_clEvEUlN3c107complexINS7_4HalfEEEE_EEvS4_RKT_EUlibE_EEviT1_.private_seg_size, 0
	.set _ZN2at6native32elementwise_kernel_manual_unrollILi128ELi4EZNS0_22gpu_kernel_impl_nocastIZZZNS0_17rsqrt_kernel_cudaERNS_18TensorIteratorBaseEENKUlvE_clEvENKUlvE1_clEvEUlN3c107complexINS7_4HalfEEEE_EEvS4_RKT_EUlibE_EEviT1_.uses_vcc, 1
	.set _ZN2at6native32elementwise_kernel_manual_unrollILi128ELi4EZNS0_22gpu_kernel_impl_nocastIZZZNS0_17rsqrt_kernel_cudaERNS_18TensorIteratorBaseEENKUlvE_clEvENKUlvE1_clEvEUlN3c107complexINS7_4HalfEEEE_EEvS4_RKT_EUlibE_EEviT1_.uses_flat_scratch, 0
	.set _ZN2at6native32elementwise_kernel_manual_unrollILi128ELi4EZNS0_22gpu_kernel_impl_nocastIZZZNS0_17rsqrt_kernel_cudaERNS_18TensorIteratorBaseEENKUlvE_clEvENKUlvE1_clEvEUlN3c107complexINS7_4HalfEEEE_EEvS4_RKT_EUlibE_EEviT1_.has_dyn_sized_stack, 0
	.set _ZN2at6native32elementwise_kernel_manual_unrollILi128ELi4EZNS0_22gpu_kernel_impl_nocastIZZZNS0_17rsqrt_kernel_cudaERNS_18TensorIteratorBaseEENKUlvE_clEvENKUlvE1_clEvEUlN3c107complexINS7_4HalfEEEE_EEvS4_RKT_EUlibE_EEviT1_.has_recursion, 0
	.set _ZN2at6native32elementwise_kernel_manual_unrollILi128ELi4EZNS0_22gpu_kernel_impl_nocastIZZZNS0_17rsqrt_kernel_cudaERNS_18TensorIteratorBaseEENKUlvE_clEvENKUlvE1_clEvEUlN3c107complexINS7_4HalfEEEE_EEvS4_RKT_EUlibE_EEviT1_.has_indirect_call, 0
	.section	.AMDGPU.csdata,"",@progbits
; Kernel info:
; codeLenInByte = 19316
; TotalNumSgprs: 66
; NumVgprs: 20
; NumAgprs: 0
; TotalNumVgprs: 20
; ScratchSize: 0
; MemoryBound: 0
; FloatMode: 240
; IeeeMode: 1
; LDSByteSize: 0 bytes/workgroup (compile time only)
; SGPRBlocks: 8
; VGPRBlocks: 2
; NumSGPRsForWavesPerEU: 66
; NumVGPRsForWavesPerEU: 20
; AccumOffset: 20
; Occupancy: 8
; WaveLimiterHint : 1
; COMPUTE_PGM_RSRC2:SCRATCH_EN: 0
; COMPUTE_PGM_RSRC2:USER_SGPR: 2
; COMPUTE_PGM_RSRC2:TRAP_HANDLER: 0
; COMPUTE_PGM_RSRC2:TGID_X_EN: 1
; COMPUTE_PGM_RSRC2:TGID_Y_EN: 0
; COMPUTE_PGM_RSRC2:TGID_Z_EN: 0
; COMPUTE_PGM_RSRC2:TIDIG_COMP_CNT: 0
; COMPUTE_PGM_RSRC3_GFX90A:ACCUM_OFFSET: 4
; COMPUTE_PGM_RSRC3_GFX90A:TG_SPLIT: 0
	.section	.text._ZN2at6native32elementwise_kernel_manual_unrollILi128ELi4EZNS0_15gpu_kernel_implIZZZNS0_17rsqrt_kernel_cudaERNS_18TensorIteratorBaseEENKUlvE_clEvENKUlvE1_clEvEUlN3c107complexINS7_4HalfEEEE_EEvS4_RKT_EUlibE_EEviT1_,"axG",@progbits,_ZN2at6native32elementwise_kernel_manual_unrollILi128ELi4EZNS0_15gpu_kernel_implIZZZNS0_17rsqrt_kernel_cudaERNS_18TensorIteratorBaseEENKUlvE_clEvENKUlvE1_clEvEUlN3c107complexINS7_4HalfEEEE_EEvS4_RKT_EUlibE_EEviT1_,comdat
	.globl	_ZN2at6native32elementwise_kernel_manual_unrollILi128ELi4EZNS0_15gpu_kernel_implIZZZNS0_17rsqrt_kernel_cudaERNS_18TensorIteratorBaseEENKUlvE_clEvENKUlvE1_clEvEUlN3c107complexINS7_4HalfEEEE_EEvS4_RKT_EUlibE_EEviT1_ ; -- Begin function _ZN2at6native32elementwise_kernel_manual_unrollILi128ELi4EZNS0_15gpu_kernel_implIZZZNS0_17rsqrt_kernel_cudaERNS_18TensorIteratorBaseEENKUlvE_clEvENKUlvE1_clEvEUlN3c107complexINS7_4HalfEEEE_EEvS4_RKT_EUlibE_EEviT1_
	.p2align	8
	.type	_ZN2at6native32elementwise_kernel_manual_unrollILi128ELi4EZNS0_15gpu_kernel_implIZZZNS0_17rsqrt_kernel_cudaERNS_18TensorIteratorBaseEENKUlvE_clEvENKUlvE1_clEvEUlN3c107complexINS7_4HalfEEEE_EEvS4_RKT_EUlibE_EEviT1_,@function
_ZN2at6native32elementwise_kernel_manual_unrollILi128ELi4EZNS0_15gpu_kernel_implIZZZNS0_17rsqrt_kernel_cudaERNS_18TensorIteratorBaseEENKUlvE_clEvENKUlvE1_clEvEUlN3c107complexINS7_4HalfEEEE_EEvS4_RKT_EUlibE_EEviT1_: ; @_ZN2at6native32elementwise_kernel_manual_unrollILi128ELi4EZNS0_15gpu_kernel_implIZZZNS0_17rsqrt_kernel_cudaERNS_18TensorIteratorBaseEENKUlvE_clEvENKUlvE1_clEvEUlN3c107complexINS7_4HalfEEEE_EEvS4_RKT_EUlibE_EEviT1_
; %bb.0:
	v_mov_b32_e32 v1, 0
	global_load_ushort v1, v1, s[0:1] offset:33
	s_load_dwordx4 s[4:7], s[0:1], 0x8
	s_load_dwordx2 s[8:9], s[0:1], 0x18
	s_load_dword s45, s[0:1], 0x0
	v_lshl_or_b32 v10, s2, 9, v0
	v_or_b32_e32 v0, 0x180, v10
	s_mov_b64 s[10:11], 0
	s_mov_b64 s[14:15], 0
	s_waitcnt lgkmcnt(0)
	v_cmp_le_i32_e32 vcc, s45, v0
	s_waitcnt vmcnt(0)
	v_readfirstlane_b32 s33, v1
	s_and_b32 s0, 0xffff, s33
	s_lshr_b32 s44, s0, 8
	s_and_saveexec_b64 s[0:1], vcc
	s_xor_b64 s[12:13], exec, s[0:1]
	s_cbranch_execz .LBB184_1197
; %bb.1:
	v_cmp_gt_i32_e32 vcc, s45, v10
	s_mov_b64 s[2:3], -1
	s_mov_b64 s[22:23], 0
	s_mov_b64 s[16:17], 0
	s_and_saveexec_b64 s[18:19], vcc
	s_cbranch_execz .LBB184_293
; %bb.2:
	v_mul_lo_u32 v0, v10, s9
	v_ashrrev_i32_e32 v1, 31, v0
	s_and_b32 s20, 0xffff, s44
	s_cmp_lt_i32 s20, 11
	v_lshl_add_u64 v[0:1], s[6:7], 0, v[0:1]
	s_cbranch_scc1 .LBB184_9
; %bb.3:
	s_cmp_gt_i32 s20, 25
	s_cbranch_scc0 .LBB184_23
; %bb.4:
	s_cmp_gt_i32 s20, 28
	s_cbranch_scc0 .LBB184_24
	;; [unrolled: 3-line block ×4, first 2 shown]
; %bb.7:
	s_cmp_eq_u32 s20, 46
	s_mov_b64 s[2:3], 0
	s_cbranch_scc0 .LBB184_65
; %bb.8:
	global_load_dword v2, v[0:1], off
	s_mov_b64 s[0:1], -1
	s_waitcnt vmcnt(0)
	v_and_b32_e32 v3, 0xffff0000, v2
	v_lshlrev_b32_e32 v2, 16, v2
	v_cvt_f16_f32_e32 v2, v2
	v_cvt_f16_f32_e32 v3, v3
	s_branch .LBB184_67
.LBB184_9:
                                        ; implicit-def: $vgpr3
                                        ; implicit-def: $vgpr2
	s_mov_b64 s[0:1], 0
	s_and_b64 vcc, exec, s[2:3]
	s_cbranch_vccnz .LBB184_242
.LBB184_10:
	s_andn2_b64 vcc, exec, s[0:1]
	s_cbranch_vccnz .LBB184_291
.LBB184_11:
	v_cvt_f32_f16_e32 v1, v3
	s_waitcnt vmcnt(0)
	v_cmp_neq_f16_e32 vcc, 0, v2
	v_cmp_neq_f16_e64 s[0:1], 0, v3
	s_or_b64 s[0:1], vcc, s[0:1]
	v_mov_b32_e32 v0, 0
	s_and_saveexec_b64 s[14:15], s[0:1]
	s_cbranch_execz .LBB184_44
; %bb.12:
	v_mov_b32_e32 v0, 0x7f800000
	v_cmp_neq_f32_e64 s[0:1], |v1|, v0
	s_and_saveexec_b64 s[20:21], s[0:1]
	s_cbranch_execz .LBB184_43
; %bb.13:
	v_cvt_f32_f16_e32 v4, v2
	v_cmp_o_f16_e32 vcc, v2, v2
	s_and_saveexec_b64 s[0:1], vcc
	s_xor_b64 s[24:25], exec, s[0:1]
	s_cbranch_execz .LBB184_40
; %bb.14:
	s_mov_b32 s0, 0x7f800000
	v_cmp_neq_f32_e64 s[0:1], |v4|, s0
	s_and_saveexec_b64 s[2:3], s[0:1]
	s_xor_b64 s[26:27], exec, s[2:3]
	s_cbranch_execz .LBB184_33
; %bb.15:
	v_max_f32_e64 v0, |v1|, |v1|
	v_max_f32_e64 v2, |v4|, |v4|
	v_max_f32_e32 v0, v2, v0
	s_mov_b32 s0, 0x7ed413cb
	v_cmp_nle_f32_e64 s[0:1], s0, v0
                                        ; implicit-def: $sgpr28_sgpr29
	s_and_saveexec_b64 s[2:3], s[0:1]
	s_xor_b64 s[2:3], exec, s[2:3]
	s_cbranch_execz .LBB184_19
; %bb.16:
	s_mov_b32 s30, 0x1000000
	v_cmp_le_f32_e64 s[28:29], |v4|, s30
	v_cmp_le_f32_e64 s[30:31], |v1|, s30
	s_and_b64 s[34:35], s[28:29], s[30:31]
	s_mov_b64 s[28:29], 0
	s_and_saveexec_b64 s[30:31], s[34:35]
; %bb.17:
	s_mov_b64 s[28:29], exec
	v_mul_f32_e32 v1, 4.0, v1
	v_mul_f32_e32 v4, 4.0, v4
; %bb.18:
	s_or_b64 exec, exec, s[30:31]
.LBB184_19:
	s_andn2_saveexec_b64 s[2:3], s[2:3]
; %bb.20:
	v_mul_f32_e32 v4, 0x3e800000, v4
	v_mul_f32_e32 v1, 0x3e800000, v1
	s_andn2_b64 s[28:29], s[28:29], exec
; %bb.21:
	s_or_b64 exec, exec, s[2:3]
	v_max_f32_e64 v0, |v1|, |v1|
	v_max_f32_e64 v2, |v4|, |v4|
	v_max_f32_e32 v0, v2, v0
	v_cvt_f64_f32_e32 v[2:3], v0
	v_frexp_exp_i32_f64_e32 v2, v[2:3]
	v_sub_u32_e32 v3, 0, v2
	v_ldexp_f32 v5, |v4|, v3
	v_ldexp_f32 v3, |v1|, v3
	v_mul_f32_e32 v3, v3, v3
	v_fmac_f32_e32 v3, v5, v5
	v_sqrt_f32_e32 v3, v3
	s_mov_b32 s2, 0x7f800000
	v_cmp_neq_f32_e64 s[2:3], s2, v0
	v_cmp_le_f32_e32 vcc, 0, v4
	v_ldexp_f32 v2, v3, v2
	v_mov_b32_e32 v3, 0x7f800000
	v_cndmask_b32_e64 v0, v3, v2, s[2:3]
                                        ; implicit-def: $vgpr2_vgpr3
	s_and_saveexec_b64 s[2:3], vcc
	s_xor_b64 s[30:31], exec, s[2:3]
	s_cbranch_execz .LBB184_26
; %bb.22:
	v_add_f32_e32 v0, v4, v0
	v_mul_f32_e32 v0, 0.5, v0
	s_mov_b32 s2, 0xf800000
	v_mul_f32_e32 v2, 0x4f800000, v0
	v_cmp_gt_f32_e32 vcc, s2, v0
	s_nop 1
	v_cndmask_b32_e32 v0, v0, v2, vcc
	v_sqrt_f32_e32 v2, v0
	s_nop 0
	v_add_u32_e32 v3, -1, v2
	v_fma_f32 v4, -v3, v2, v0
	v_cmp_ge_f32_e64 s[2:3], 0, v4
	v_add_u32_e32 v4, 1, v2
	s_nop 0
	v_cndmask_b32_e64 v3, v2, v3, s[2:3]
	v_fma_f32 v2, -v4, v2, v0
	v_cmp_lt_f32_e64 s[2:3], 0, v2
	s_nop 1
	v_cndmask_b32_e64 v2, v3, v4, s[2:3]
	v_mul_f32_e32 v3, 0x37800000, v2
	v_cndmask_b32_e32 v2, v2, v3, vcc
	v_mov_b32_e32 v3, 0x260
	v_cmp_class_f32_e32 vcc, v0, v3
	s_nop 1
	v_cndmask_b32_e32 v2, v2, v0, vcc
	v_add_f32_e32 v0, v2, v2
	v_div_scale_f32 v3, s[2:3], v0, v0, v1
	v_rcp_f32_e32 v4, v3
	s_nop 0
	v_fma_f32 v5, -v3, v4, 1.0
	v_fmac_f32_e32 v4, v5, v4
	v_div_scale_f32 v5, vcc, v1, v0, v1
	v_mul_f32_e32 v6, v5, v4
	v_fma_f32 v7, -v3, v6, v5
	v_fmac_f32_e32 v6, v7, v4
	v_fma_f32 v3, -v3, v6, v5
	v_div_fmas_f32 v3, v3, v4, v6
	v_div_fixup_f32 v3, v3, v0, v1
                                        ; implicit-def: $vgpr0
                                        ; implicit-def: $vgpr4
                                        ; implicit-def: $vgpr1
	s_andn2_saveexec_b64 s[30:31], s[30:31]
	s_cbranch_execz .LBB184_28
	s_branch .LBB184_27
.LBB184_23:
	s_mov_b64 s[0:1], 0
                                        ; implicit-def: $vgpr3
                                        ; implicit-def: $vgpr2
	s_and_b64 vcc, exec, s[2:3]
	s_cbranch_vccnz .LBB184_207
	s_branch .LBB184_241
.LBB184_24:
	s_mov_b64 s[0:1], 0
                                        ; implicit-def: $vgpr3
                                        ; implicit-def: $vgpr2
	s_branch .LBB184_188
.LBB184_25:
	s_mov_b64 s[0:1], 0
                                        ; implicit-def: $vgpr3
                                        ; implicit-def: $vgpr2
	s_branch .LBB184_182
.LBB184_26:
	s_andn2_saveexec_b64 s[30:31], s[30:31]
	s_cbranch_execz .LBB184_28
.LBB184_27:
	v_sub_f32_e32 v0, v0, v4
	v_mul_f32_e32 v0, 0.5, v0
	s_mov_b32 s2, 0xf800000
	v_mul_f32_e32 v2, 0x4f800000, v0
	v_cmp_gt_f32_e32 vcc, s2, v0
	s_nop 1
	v_cndmask_b32_e32 v0, v0, v2, vcc
	v_sqrt_f32_e32 v2, v0
	s_nop 0
	v_add_u32_e32 v3, -1, v2
	v_fma_f32 v4, -v3, v2, v0
	v_cmp_ge_f32_e64 s[2:3], 0, v4
	v_add_u32_e32 v4, 1, v2
	s_nop 0
	v_cndmask_b32_e64 v3, v2, v3, s[2:3]
	v_fma_f32 v2, -v4, v2, v0
	v_cmp_lt_f32_e64 s[2:3], 0, v2
	s_nop 1
	v_cndmask_b32_e64 v2, v3, v4, s[2:3]
	v_mul_f32_e32 v3, 0x37800000, v2
	v_cndmask_b32_e32 v2, v2, v3, vcc
	v_mov_b32_e32 v3, 0x260
	v_cmp_class_f32_e32 vcc, v0, v3
	v_and_b32_e32 v3, 0x7fffffff, v1
	s_nop 0
	v_cndmask_b32_e32 v0, v2, v0, vcc
	v_add_f32_e32 v2, v0, v0
	v_div_scale_f32 v4, s[2:3], v2, v2, v3
	v_rcp_f32_e32 v5, v4
	v_div_scale_f32 v3, vcc, v3, v2, v3
	s_brev_b32 s2, -2
	v_fma_f32 v6, -v4, v5, 1.0
	v_fmac_f32_e32 v5, v6, v5
	v_mul_f32_e32 v6, v3, v5
	v_fma_f32 v7, -v4, v6, v3
	v_fmac_f32_e32 v6, v7, v5
	v_fma_f32 v3, -v4, v6, v3
	v_div_fmas_f32 v3, v3, v5, v6
	v_div_fixup_f32 v2, v3, v2, |v1|
	v_bfi_b32 v3, s2, v0, v1
.LBB184_28:
	s_or_b64 exec, exec, s[30:31]
                                        ; implicit-def: $vgpr1
	s_and_saveexec_b64 s[2:3], s[0:1]
	s_xor_b64 s[0:1], exec, s[2:3]
	s_cbranch_execz .LBB184_30
; %bb.29:
	v_pk_mul_f32 v[0:1], v[2:3], 0.5 op_sel_hi:[1,0]
	s_nop 0
	v_cndmask_b32_e64 v0, v2, v0, s[28:29]
	v_cndmask_b32_e64 v1, v3, v1, s[28:29]
                                        ; implicit-def: $vgpr2_vgpr3
	s_andn2_saveexec_b64 s[0:1], s[0:1]
	s_cbranch_execnz .LBB184_31
	s_branch .LBB184_32
.LBB184_30:
	s_andn2_saveexec_b64 s[0:1], s[0:1]
.LBB184_31:
	v_pk_add_f32 v[0:1], v[2:3], v[2:3]
.LBB184_32:
	s_or_b64 exec, exec, s[0:1]
                                        ; implicit-def: $vgpr4
                                        ; implicit-def: $vgpr2
.LBB184_33:
	s_andn2_saveexec_b64 s[0:1], s[26:27]
	s_cbranch_execz .LBB184_39
; %bb.34:
	v_cmp_lt_i16_e32 vcc, -1, v2
	v_sub_f32_e32 v2, v1, v1
	s_brev_b32 s26, -2
	v_and_b32_e32 v0, 0x7fffffff, v2
	s_and_saveexec_b64 s[2:3], vcc
	s_xor_b64 s[2:3], exec, s[2:3]
; %bb.35:
	v_bfi_b32 v1, s26, v2, v1
	v_mov_b32_e32 v0, v4
; %bb.36:
	s_andn2_saveexec_b64 s[2:3], s[2:3]
; %bb.37:
	v_bfi_b32 v1, s26, v4, v1
; %bb.38:
	s_or_b64 exec, exec, s[2:3]
.LBB184_39:
	s_or_b64 exec, exec, s[0:1]
                                        ; implicit-def: $vgpr4
.LBB184_40:
	s_andn2_saveexec_b64 s[0:1], s[24:25]
	s_cbranch_execz .LBB184_42
; %bb.41:
	v_sub_f32_e32 v0, v1, v1
	v_div_scale_f32 v1, vcc, v0, v0, v0
	v_rcp_f32_e32 v2, v1
	s_nop 0
	v_fma_f32 v3, -v1, v2, 1.0
	v_fmac_f32_e32 v2, v3, v2
	v_mul_f32_e32 v3, v1, v2
	v_fma_f32 v5, -v1, v3, v1
	v_fmac_f32_e32 v3, v5, v2
	v_fma_f32 v1, -v1, v3, v1
	v_div_fmas_f32 v1, v1, v2, v3
	v_div_fixup_f32 v1, v1, v0, v0
	v_mov_b32_e32 v0, v4
.LBB184_42:
	s_or_b64 exec, exec, s[0:1]
.LBB184_43:
	s_or_b64 exec, exec, s[20:21]
.LBB184_44:
	s_or_b64 exec, exec, s[14:15]
	v_cmp_gt_f32_e32 vcc, 0, v1
                                        ; implicit-def: $vgpr2_vgpr3
	s_nop 1
	v_cndmask_b32_e64 v5, v1, -v1, vcc
	v_cmp_gt_f32_e32 vcc, 0, v0
	s_nop 1
	v_cndmask_b32_e64 v4, v0, -v0, vcc
	v_cmp_ge_f32_e32 vcc, v4, v5
	s_and_saveexec_b64 s[0:1], vcc
	s_xor_b64 s[2:3], exec, s[0:1]
	s_cbranch_execz .LBB184_50
; %bb.45:
	v_cmp_neq_f32_e32 vcc, 0, v0
	v_cmp_neq_f32_e64 s[0:1], 0, v1
	s_or_b64 s[0:1], vcc, s[0:1]
                                        ; implicit-def: $vgpr2_vgpr3
	s_and_saveexec_b64 s[14:15], s[0:1]
	s_xor_b64 s[0:1], exec, s[14:15]
	s_cbranch_execz .LBB184_47
; %bb.46:
	v_div_scale_f32 v2, s[14:15], v0, v0, v1
	v_rcp_f32_e32 v3, v2
	v_div_scale_f32 v4, vcc, v1, v0, v1
	v_fma_f32 v5, -v2, v3, 1.0
	v_fmac_f32_e32 v3, v5, v3
	v_mul_f32_e32 v5, v4, v3
	v_fma_f32 v6, -v2, v5, v4
	v_fmac_f32_e32 v5, v6, v3
	v_fma_f32 v2, -v2, v5, v4
	v_div_fmas_f32 v2, v2, v3, v5
	v_div_fixup_f32 v3, v2, v0, v1
	v_fmac_f32_e32 v0, v1, v3
	v_div_scale_f32 v1, s[14:15], v0, v0, 1.0
	v_rcp_f32_e32 v2, v1
	s_nop 0
	v_fma_f32 v4, -v1, v2, 1.0
	v_fmac_f32_e32 v2, v4, v2
	v_div_scale_f32 v4, vcc, 1.0, v0, 1.0
	v_mul_f32_e32 v5, v4, v2
	v_fma_f32 v6, -v1, v5, v4
	v_fmac_f32_e32 v5, v6, v2
	v_fma_f32 v1, -v1, v5, v4
	v_div_fmas_f32 v1, v1, v2, v5
	v_div_fixup_f32 v0, v1, v0, 1.0
	v_mul_f32_e32 v1, 0, v3
	v_add_f32_e32 v2, 1.0, v1
	v_sub_f32_e32 v3, 0, v3
	v_pk_mul_f32 v[2:3], v[2:3], v[0:1] op_sel_hi:[1,0]
                                        ; implicit-def: $vgpr5
                                        ; implicit-def: $vgpr4
.LBB184_47:
	s_andn2_saveexec_b64 s[0:1], s[0:1]
	s_cbranch_execz .LBB184_49
; %bb.48:
	v_div_scale_f32 v0, s[14:15], v5, v5, 0
	v_rcp_f32_e32 v1, v0
	v_div_scale_f32 v2, vcc, 0, v5, 0
	v_fma_f32 v3, -v0, v1, 1.0
	v_fmac_f32_e32 v1, v3, v1
	v_mul_f32_e32 v3, v2, v1
	v_fma_f32 v6, -v0, v3, v2
	v_fmac_f32_e32 v3, v6, v1
	v_fma_f32 v0, -v0, v3, v2
	v_div_scale_f32 v2, s[14:15], v4, v4, 1.0
	v_rcp_f32_e32 v6, v2
	v_div_fmas_f32 v0, v0, v1, v3
	v_div_fixup_f32 v3, v0, v5, 0
	v_fma_f32 v0, -v2, v6, 1.0
	v_fmac_f32_e32 v6, v0, v6
	v_div_scale_f32 v0, vcc, 1.0, v4, 1.0
	v_mul_f32_e32 v1, v0, v6
	v_fma_f32 v5, -v2, v1, v0
	v_fmac_f32_e32 v1, v5, v6
	v_fma_f32 v0, -v2, v1, v0
	v_div_fmas_f32 v0, v0, v6, v1
	v_div_fixup_f32 v2, v0, v4, 1.0
.LBB184_49:
	s_or_b64 exec, exec, s[0:1]
                                        ; implicit-def: $vgpr1
.LBB184_50:
	s_andn2_saveexec_b64 s[0:1], s[2:3]
	s_cbranch_execz .LBB184_52
; %bb.51:
	v_div_scale_f32 v2, s[2:3], v1, v1, v0
	v_rcp_f32_e32 v3, v2
	v_div_scale_f32 v4, vcc, v0, v1, v0
	v_fma_f32 v5, -v2, v3, 1.0
	v_fmac_f32_e32 v3, v5, v3
	v_mul_f32_e32 v5, v4, v3
	v_fma_f32 v6, -v2, v5, v4
	v_fmac_f32_e32 v5, v6, v3
	v_fma_f32 v2, -v2, v5, v4
	v_div_fmas_f32 v2, v2, v3, v5
	v_div_fixup_f32 v2, v2, v1, v0
	v_fmac_f32_e32 v1, v0, v2
	v_div_scale_f32 v0, s[2:3], v1, v1, 1.0
	v_rcp_f32_e32 v3, v0
	s_mov_b32 s2, 0
	s_mov_b32 s3, -1.0
	v_fma_f32 v4, -v0, v3, 1.0
	v_fmac_f32_e32 v3, v4, v3
	v_div_scale_f32 v4, vcc, 1.0, v1, 1.0
	v_mul_f32_e32 v5, v4, v3
	v_fma_f32 v6, -v0, v5, v4
	v_fmac_f32_e32 v5, v6, v3
	v_fma_f32 v0, -v0, v5, v4
	v_div_fmas_f32 v0, v0, v3, v5
	v_mul_f32_e32 v3, 0, v2
	v_div_fixup_f32 v0, v0, v1, 1.0
	v_pk_add_f32 v[2:3], v[2:3], s[2:3]
	s_nop 0
	v_pk_mul_f32 v[2:3], v[2:3], v[0:1] op_sel_hi:[1,0]
.LBB184_52:
	s_or_b64 exec, exec, s[0:1]
	v_cvt_f16_f32_e32 v3, v3
	v_cvt_f16_f32_e32 v4, v2
	v_mul_lo_u32 v0, v10, s8
	v_ashrrev_i32_e32 v1, 31, v0
	v_lshlrev_b32_e32 v2, 16, v3
	s_and_b32 s24, s33, 0xff
	v_or_b32_e32 v5, v2, v4
	s_cmp_lt_i32 s24, 11
	v_lshl_add_u64 v[0:1], s[4:5], 0, v[0:1]
	s_cbranch_scc1 .LBB184_59
; %bb.53:
	s_and_b32 s25, 0xffff, s24
	s_cmp_gt_i32 s25, 25
	s_cbranch_scc0 .LBB184_62
; %bb.54:
	s_cmp_gt_i32 s25, 28
	s_cbranch_scc0 .LBB184_63
; %bb.55:
	;; [unrolled: 3-line block ×4, first 2 shown]
	s_mov_b64 s[14:15], 0
	s_mov_b64 s[0:1], -1
	s_cmp_eq_u32 s25, 46
	s_mov_b64 s[2:3], 0
	s_cbranch_scc0 .LBB184_71
; %bb.58:
	v_cvt_f32_f16_e32 v6, v3
	v_cvt_f32_f16_e32 v2, v4
	s_movk_i32 s0, 0x7fff
	v_cmp_o_f16_e32 vcc, v3, v3
	v_bfe_u32 v8, v6, 16, 1
	v_bfe_u32 v7, v2, 16, 1
	v_add3_u32 v6, v6, v8, s0
	v_add3_u32 v2, v2, v7, s0
	v_and_b32_e32 v6, 0xffff0000, v6
	v_mov_b32_e32 v7, 0x7fc00000
	v_cndmask_b32_e32 v6, v7, v6, vcc
	v_cmp_o_f16_e32 vcc, v4, v4
	v_mov_b32_e32 v7, 0x7fc0
	s_mov_b64 s[2:3], -1
	v_cndmask_b32_sdwa v2, v7, v2, vcc dst_sel:DWORD dst_unused:UNUSED_PAD src0_sel:DWORD src1_sel:WORD_1
	v_or_b32_e32 v2, v6, v2
	global_store_dword v[0:1], v2, off
	s_mov_b64 s[0:1], 0
	s_branch .LBB184_71
.LBB184_59:
	s_mov_b64 s[0:1], 0
	s_mov_b64 s[2:3], 0
	s_cbranch_execnz .LBB184_140
.LBB184_60:
	s_andn2_b64 vcc, exec, s[2:3]
	s_cbranch_vccnz .LBB184_178
.LBB184_61:
	v_add_u32_e32 v10, 0x80, v10
	s_mov_b64 s[2:3], -1
	s_branch .LBB184_292
.LBB184_62:
	s_mov_b64 s[14:15], -1
	s_mov_b64 s[0:1], 0
	s_mov_b64 s[2:3], 0
	s_branch .LBB184_98
.LBB184_63:
	s_mov_b64 s[14:15], -1
	s_mov_b64 s[0:1], 0
	s_mov_b64 s[2:3], 0
	s_branch .LBB184_81
.LBB184_64:
	s_mov_b64 s[14:15], -1
	s_mov_b64 s[0:1], 0
	s_mov_b64 s[2:3], 0
	s_branch .LBB184_77
.LBB184_65:
	s_mov_b64 s[16:17], -1
.LBB184_66:
	s_mov_b64 s[0:1], 0
                                        ; implicit-def: $vgpr3
                                        ; implicit-def: $vgpr2
.LBB184_67:
	s_and_b64 vcc, exec, s[2:3]
	s_cbranch_vccz .LBB184_181
; %bb.68:
	s_cmp_eq_u32 s20, 44
	s_cbranch_scc0 .LBB184_179
; %bb.69:
	global_load_ubyte v2, v[0:1], off
	s_movk_i32 s2, 0xff
	v_mov_b32_e32 v4, 0x7e00
	s_mov_b64 s[0:1], -1
	s_mov_b64 s[16:17], 0
	s_waitcnt vmcnt(0)
	v_lshlrev_b32_e32 v3, 23, v2
	v_cvt_f16_f32_e32 v3, v3
	v_cmp_ne_u32_e32 vcc, s2, v2
	s_nop 1
	v_cndmask_b32_e32 v3, v4, v3, vcc
	v_cmp_ne_u32_e32 vcc, 0, v2
	s_nop 1
	v_cndmask_b32_e32 v2, 0, v3, vcc
	s_branch .LBB184_180
.LBB184_70:
	s_mov_b64 s[14:15], -1
	s_mov_b64 s[0:1], 0
	s_mov_b64 s[2:3], 0
.LBB184_71:
	s_and_b64 vcc, exec, s[14:15]
	s_cbranch_vccz .LBB184_76
; %bb.72:
	s_cmp_eq_u32 s25, 44
	s_mov_b64 s[0:1], -1
	s_cbranch_scc0 .LBB184_76
; %bb.73:
	v_cvt_f32_f16_e32 v2, v4
	s_movk_i32 s0, 0xff
	v_mov_b32_e32 v7, 0xff
	v_bfe_u32 v6, v2, 23, 8
	v_cmp_ne_u32_e32 vcc, s0, v6
	s_and_saveexec_b64 s[2:3], vcc
; %bb.74:
	s_mov_b32 s0, 0x3fffff
	v_lshrrev_b32_e32 v7, 23, v2
	v_and_b32_e32 v8, 0x400000, v2
	v_and_or_b32 v2, v2, s0, v6
	v_cmp_ne_u32_e32 vcc, 0, v8
	v_cmp_ne_u32_e64 s[0:1], 0, v2
	s_and_b64 s[0:1], vcc, s[0:1]
	s_nop 0
	v_cndmask_b32_e64 v2, 0, 1, s[0:1]
	v_add_u32_e32 v7, v7, v2
; %bb.75:
	s_or_b64 exec, exec, s[2:3]
	s_mov_b64 s[2:3], -1
	s_mov_b64 s[0:1], 0
	global_store_byte v[0:1], v7, off
.LBB184_76:
	s_mov_b64 s[14:15], 0
.LBB184_77:
	s_and_b64 vcc, exec, s[14:15]
	s_cbranch_vccz .LBB184_80
; %bb.78:
	s_cmp_eq_u32 s25, 29
	s_mov_b64 s[0:1], -1
	s_cbranch_scc0 .LBB184_80
; %bb.79:
	v_cvt_f32_f16_e32 v2, v4
	v_mov_b32_e32 v7, 0
	s_mov_b64 s[2:3], -1
	s_mov_b64 s[0:1], 0
	v_cvt_u32_f32_e32 v6, v2
	s_mov_b64 s[14:15], 0
	global_store_dwordx2 v[0:1], v[6:7], off
	s_branch .LBB184_81
.LBB184_80:
	s_mov_b64 s[14:15], 0
.LBB184_81:
	s_and_b64 vcc, exec, s[14:15]
	s_cbranch_vccz .LBB184_97
; %bb.82:
	s_cmp_lt_i32 s25, 27
	s_mov_b64 s[2:3], -1
	s_cbranch_scc1 .LBB184_88
; %bb.83:
	s_cmp_gt_i32 s25, 27
	s_cbranch_scc0 .LBB184_85
; %bb.84:
	v_cvt_f32_f16_e32 v2, v4
	s_mov_b64 s[2:3], 0
	v_cvt_u32_f32_e32 v2, v2
	global_store_dword v[0:1], v2, off
.LBB184_85:
	s_andn2_b64 vcc, exec, s[2:3]
	s_cbranch_vccnz .LBB184_87
; %bb.86:
	v_cvt_u16_f16_e32 v2, v4
	global_store_short v[0:1], v2, off
.LBB184_87:
	s_mov_b64 s[2:3], 0
.LBB184_88:
	s_andn2_b64 vcc, exec, s[2:3]
	s_cbranch_vccnz .LBB184_96
; %bb.89:
	v_cvt_f32_f16_e32 v2, v4
	s_mov_b32 s2, 0x43800000
	v_mov_b32_e32 v7, 0x80
	v_and_b32_e32 v6, 0x7fffffff, v2
	v_cmp_gt_u32_e32 vcc, s2, v6
	s_and_saveexec_b64 s[2:3], vcc
	s_cbranch_execz .LBB184_95
; %bb.90:
	s_mov_b32 s14, 0x3bffffff
	v_cmp_lt_u32_e32 vcc, s14, v6
	s_mov_b64 s[14:15], 0
                                        ; implicit-def: $vgpr6
	s_and_saveexec_b64 s[20:21], vcc
	s_xor_b64 s[20:21], exec, s[20:21]
	s_cbranch_execz .LBB184_322
; %bb.91:
	v_bfe_u32 v6, v2, 20, 1
	s_mov_b32 s26, 0x487ffff
	v_add3_u32 v6, v2, v6, s26
	s_mov_b64 s[14:15], exec
	v_lshrrev_b32_e32 v6, 20, v6
	s_andn2_saveexec_b64 s[20:21], s[20:21]
	s_cbranch_execnz .LBB184_323
.LBB184_92:
	s_or_b64 exec, exec, s[20:21]
	v_mov_b32_e32 v7, 0
	s_and_saveexec_b64 s[20:21], s[14:15]
.LBB184_93:
	v_lshrrev_b32_e32 v2, 24, v2
	s_movk_i32 s14, 0x80
	v_and_or_b32 v7, v2, s14, v6
.LBB184_94:
	s_or_b64 exec, exec, s[20:21]
.LBB184_95:
	s_or_b64 exec, exec, s[2:3]
	global_store_byte v[0:1], v7, off
.LBB184_96:
	s_mov_b64 s[2:3], -1
.LBB184_97:
	s_mov_b64 s[14:15], 0
.LBB184_98:
	s_and_b64 vcc, exec, s[14:15]
	s_cbranch_vccz .LBB184_139
; %bb.99:
	s_cmp_gt_i32 s25, 22
	s_mov_b64 s[14:15], -1
	s_cbranch_scc0 .LBB184_131
; %bb.100:
	s_cmp_lt_i32 s25, 24
	s_mov_b64 s[2:3], -1
	s_cbranch_scc1 .LBB184_120
; %bb.101:
	s_cmp_gt_i32 s25, 24
	s_cbranch_scc0 .LBB184_109
; %bb.102:
	v_cvt_f32_f16_e32 v2, v4
	s_mov_b32 s2, 0x47800000
	v_mov_b32_e32 v7, 0x80
	v_and_b32_e32 v6, 0x7fffffff, v2
	v_cmp_gt_u32_e32 vcc, s2, v6
	s_and_saveexec_b64 s[2:3], vcc
	s_cbranch_execz .LBB184_108
; %bb.103:
	s_mov_b32 s14, 0x37ffffff
	v_cmp_lt_u32_e32 vcc, s14, v6
	s_mov_b64 s[14:15], 0
                                        ; implicit-def: $vgpr6
	s_and_saveexec_b64 s[20:21], vcc
	s_xor_b64 s[20:21], exec, s[20:21]
	s_cbranch_execz .LBB184_362
; %bb.104:
	v_bfe_u32 v6, v2, 21, 1
	s_mov_b32 s26, 0x88fffff
	v_add3_u32 v6, v2, v6, s26
	s_mov_b64 s[14:15], exec
	v_lshrrev_b32_e32 v6, 21, v6
	s_andn2_saveexec_b64 s[20:21], s[20:21]
	s_cbranch_execnz .LBB184_363
.LBB184_105:
	s_or_b64 exec, exec, s[20:21]
	v_mov_b32_e32 v7, 0
	s_and_saveexec_b64 s[20:21], s[14:15]
.LBB184_106:
	v_lshrrev_b32_e32 v2, 24, v2
	s_movk_i32 s14, 0x80
	v_and_or_b32 v7, v2, s14, v6
.LBB184_107:
	s_or_b64 exec, exec, s[20:21]
.LBB184_108:
	s_or_b64 exec, exec, s[2:3]
	s_mov_b64 s[2:3], 0
	global_store_byte v[0:1], v7, off
.LBB184_109:
	s_and_b64 vcc, exec, s[2:3]
	s_cbranch_vccz .LBB184_119
; %bb.110:
	v_cvt_f32_f16_e32 v2, v4
	s_mov_b32 s2, 0x43f00000
                                        ; implicit-def: $vgpr6
	v_and_b32_e32 v7, 0x7fffffff, v2
	v_cmp_gt_u32_e32 vcc, s2, v7
	s_and_saveexec_b64 s[2:3], vcc
	s_xor_b64 s[2:3], exec, s[2:3]
	s_cbranch_execz .LBB184_116
; %bb.111:
	s_mov_b32 s14, 0x3c7fffff
	v_cmp_lt_u32_e32 vcc, s14, v7
                                        ; implicit-def: $vgpr6
	s_and_saveexec_b64 s[14:15], vcc
	s_xor_b64 s[14:15], exec, s[14:15]
; %bb.112:
	v_bfe_u32 v6, v2, 20, 1
	s_mov_b32 s20, 0x407ffff
	v_add3_u32 v6, v2, v6, s20
	v_lshrrev_b32_e32 v7, 20, v6
	v_and_b32_e32 v6, 0xff00000, v6
	s_mov_b32 s20, 0x7f00000
	v_mov_b32_e32 v8, 0x7e
	v_cmp_ne_u32_e32 vcc, s20, v6
	s_nop 1
	v_cndmask_b32_e32 v6, v8, v7, vcc
; %bb.113:
	s_andn2_saveexec_b64 s[14:15], s[14:15]
; %bb.114:
	s_mov_b32 s20, 0x46800000
	v_add_f32_e64 v6, |v2|, s20
; %bb.115:
	s_or_b64 exec, exec, s[14:15]
                                        ; implicit-def: $vgpr7
.LBB184_116:
	s_andn2_saveexec_b64 s[2:3], s[2:3]
; %bb.117:
	s_mov_b32 s14, 0x7f800000
	v_mov_b32_e32 v6, 0x7e
	v_mov_b32_e32 v8, 0x7f
	v_cmp_lt_u32_e32 vcc, s14, v7
	s_nop 1
	v_cndmask_b32_e32 v6, v6, v8, vcc
; %bb.118:
	s_or_b64 exec, exec, s[2:3]
	v_lshrrev_b32_e32 v2, 24, v2
	s_movk_i32 s2, 0x80
	v_and_or_b32 v2, v2, s2, v6
	global_store_byte v[0:1], v2, off
.LBB184_119:
	s_mov_b64 s[2:3], 0
.LBB184_120:
	s_andn2_b64 vcc, exec, s[2:3]
	s_cbranch_vccnz .LBB184_130
; %bb.121:
	v_cvt_f32_f16_e32 v2, v4
	s_mov_b32 s2, 0x47800000
                                        ; implicit-def: $vgpr6
	v_and_b32_e32 v7, 0x7fffffff, v2
	v_cmp_gt_u32_e32 vcc, s2, v7
	s_and_saveexec_b64 s[2:3], vcc
	s_xor_b64 s[2:3], exec, s[2:3]
	s_cbranch_execz .LBB184_127
; %bb.122:
	s_mov_b32 s14, 0x387fffff
	v_cmp_lt_u32_e32 vcc, s14, v7
                                        ; implicit-def: $vgpr6
	s_and_saveexec_b64 s[14:15], vcc
	s_xor_b64 s[14:15], exec, s[14:15]
; %bb.123:
	v_bfe_u32 v6, v2, 21, 1
	s_mov_b32 s20, 0x80fffff
	v_add3_u32 v6, v2, v6, s20
	v_lshrrev_b32_e32 v6, 21, v6
; %bb.124:
	s_andn2_saveexec_b64 s[14:15], s[14:15]
; %bb.125:
	s_mov_b32 s20, 0x43000000
	v_add_f32_e64 v6, |v2|, s20
; %bb.126:
	s_or_b64 exec, exec, s[14:15]
                                        ; implicit-def: $vgpr7
.LBB184_127:
	s_andn2_saveexec_b64 s[2:3], s[2:3]
; %bb.128:
	s_mov_b32 s14, 0x7f800000
	v_mov_b32_e32 v6, 0x7c
	v_mov_b32_e32 v8, 0x7f
	v_cmp_lt_u32_e32 vcc, s14, v7
	s_nop 1
	v_cndmask_b32_e32 v6, v6, v8, vcc
; %bb.129:
	s_or_b64 exec, exec, s[2:3]
	v_lshrrev_b32_e32 v2, 24, v2
	s_movk_i32 s2, 0x80
	v_and_or_b32 v2, v2, s2, v6
	global_store_byte v[0:1], v2, off
.LBB184_130:
	s_mov_b64 s[14:15], 0
	s_mov_b64 s[2:3], -1
.LBB184_131:
	s_andn2_b64 vcc, exec, s[14:15]
	s_cbranch_vccnz .LBB184_139
; %bb.132:
	s_cmp_gt_i32 s25, 14
	s_mov_b64 s[14:15], -1
	s_cbranch_scc0 .LBB184_136
; %bb.133:
	s_cmp_eq_u32 s25, 15
	s_mov_b64 s[0:1], -1
	s_cbranch_scc0 .LBB184_135
; %bb.134:
	v_cvt_f32_f16_e32 v2, v4
	s_movk_i32 s0, 0x7fff
	v_cmp_o_f16_e32 vcc, v4, v4
	v_mov_b32_e32 v6, 0x7fc0
	v_bfe_u32 v7, v2, 16, 1
	v_add3_u32 v2, v2, v7, s0
	v_cndmask_b32_sdwa v2, v6, v2, vcc dst_sel:DWORD dst_unused:UNUSED_PAD src0_sel:DWORD src1_sel:WORD_1
	global_store_short v[0:1], v2, off
	s_mov_b64 s[2:3], -1
	s_mov_b64 s[0:1], 0
.LBB184_135:
	s_mov_b64 s[14:15], 0
.LBB184_136:
	s_and_b64 vcc, exec, s[14:15]
	s_cbranch_vccz .LBB184_139
; %bb.137:
	s_cmp_eq_u32 s25, 11
	s_mov_b64 s[0:1], -1
	s_cbranch_scc0 .LBB184_139
; %bb.138:
	v_and_b32_e32 v2, 0x7fff7fff, v5
	v_cmp_ne_u32_e32 vcc, 0, v2
	s_mov_b64 s[2:3], -1
	s_mov_b64 s[0:1], 0
	v_cndmask_b32_e64 v2, 0, 1, vcc
	global_store_byte v[0:1], v2, off
.LBB184_139:
	s_branch .LBB184_60
.LBB184_140:
	s_and_b32 s14, 0xffff, s24
	s_cmp_lt_i32 s14, 5
	s_mov_b64 s[2:3], -1
	s_cbranch_scc1 .LBB184_161
; %bb.141:
	s_cmp_lt_i32 s14, 8
	s_cbranch_scc1 .LBB184_151
; %bb.142:
	s_cmp_lt_i32 s14, 9
	s_cbranch_scc1 .LBB184_148
; %bb.143:
	v_cvt_f32_f16_e32 v3, v3
	s_cmp_gt_i32 s14, 9
	s_cbranch_scc0 .LBB184_145
; %bb.144:
	v_cvt_f32_f16_e32 v2, v4
	v_cvt_f64_f32_e32 v[8:9], v3
	s_mov_b64 s[2:3], 0
	v_cvt_f64_f32_e32 v[6:7], v2
	global_store_dwordx4 v[0:1], v[6:9], off
.LBB184_145:
	s_andn2_b64 vcc, exec, s[2:3]
	s_cbranch_vccnz .LBB184_147
; %bb.146:
	v_cvt_f32_f16_e32 v2, v4
	global_store_dwordx2 v[0:1], v[2:3], off
.LBB184_147:
	s_mov_b64 s[2:3], 0
.LBB184_148:
	s_andn2_b64 vcc, exec, s[2:3]
	s_cbranch_vccnz .LBB184_150
; %bb.149:
	global_store_dword v[0:1], v5, off
.LBB184_150:
	s_mov_b64 s[2:3], 0
.LBB184_151:
	s_andn2_b64 vcc, exec, s[2:3]
	s_cbranch_vccnz .LBB184_160
; %bb.152:
	s_cmp_lt_i32 s14, 6
	s_mov_b64 s[2:3], -1
	s_cbranch_scc1 .LBB184_158
; %bb.153:
	s_cmp_gt_i32 s14, 6
	s_cbranch_scc0 .LBB184_155
; %bb.154:
	v_cvt_f32_f16_e32 v2, v4
	s_mov_b64 s[2:3], 0
	v_cvt_f64_f32_e32 v[2:3], v2
	global_store_dwordx2 v[0:1], v[2:3], off
.LBB184_155:
	s_andn2_b64 vcc, exec, s[2:3]
	s_cbranch_vccnz .LBB184_157
; %bb.156:
	v_cvt_f32_f16_e32 v2, v4
	global_store_dword v[0:1], v2, off
.LBB184_157:
	s_mov_b64 s[2:3], 0
.LBB184_158:
	s_andn2_b64 vcc, exec, s[2:3]
	s_cbranch_vccnz .LBB184_160
; %bb.159:
	global_store_short v[0:1], v4, off
.LBB184_160:
	s_mov_b64 s[2:3], 0
.LBB184_161:
	s_andn2_b64 vcc, exec, s[2:3]
	s_cbranch_vccnz .LBB184_177
; %bb.162:
	s_cmp_lt_i32 s14, 2
	s_mov_b64 s[2:3], -1
	s_cbranch_scc1 .LBB184_172
; %bb.163:
	s_cmp_lt_i32 s14, 3
	s_cbranch_scc1 .LBB184_169
; %bb.164:
	s_cmp_gt_i32 s14, 3
	s_cbranch_scc0 .LBB184_166
; %bb.165:
	v_cvt_f32_f16_e32 v2, v4
	s_mov_b64 s[2:3], 0
	v_cvt_i32_f32_e32 v2, v2
	v_ashrrev_i32_e32 v3, 31, v2
	global_store_dwordx2 v[0:1], v[2:3], off
.LBB184_166:
	s_andn2_b64 vcc, exec, s[2:3]
	s_cbranch_vccnz .LBB184_168
; %bb.167:
	v_cvt_f32_f16_e32 v2, v4
	v_cvt_i32_f32_e32 v2, v2
	global_store_dword v[0:1], v2, off
.LBB184_168:
	s_mov_b64 s[2:3], 0
.LBB184_169:
	s_andn2_b64 vcc, exec, s[2:3]
	s_cbranch_vccnz .LBB184_171
; %bb.170:
	v_cvt_i16_f16_e32 v2, v4
	global_store_short v[0:1], v2, off
.LBB184_171:
	s_mov_b64 s[2:3], 0
.LBB184_172:
	s_andn2_b64 vcc, exec, s[2:3]
	s_cbranch_vccnz .LBB184_177
; %bb.173:
	s_cmp_gt_i32 s14, 0
	s_mov_b64 s[2:3], -1
	s_cbranch_scc0 .LBB184_175
; %bb.174:
	v_cvt_i16_f16_e32 v2, v4
	global_store_byte v[0:1], v2, off
	s_mov_b64 s[2:3], 0
.LBB184_175:
	s_andn2_b64 vcc, exec, s[2:3]
	s_cbranch_vccnz .LBB184_177
; %bb.176:
	v_cvt_f32_f16_e32 v2, v4
	v_cvt_i32_f32_e32 v2, v2
	global_store_byte v[0:1], v2, off
.LBB184_177:
	s_branch .LBB184_61
.LBB184_178:
	s_mov_b64 s[2:3], 0
                                        ; implicit-def: $vgpr10
	s_branch .LBB184_292
.LBB184_179:
	s_mov_b64 s[16:17], -1
                                        ; implicit-def: $vgpr2
.LBB184_180:
	v_mov_b32_e32 v3, 0
.LBB184_181:
	s_mov_b64 s[2:3], 0
.LBB184_182:
	s_and_b64 vcc, exec, s[2:3]
	s_cbranch_vccz .LBB184_187
; %bb.183:
	s_cmp_eq_u32 s20, 29
	s_cbranch_scc0 .LBB184_185
; %bb.184:
	global_load_dwordx2 v[2:3], v[0:1], off
	s_mov_b64 s[0:1], -1
	s_mov_b64 s[16:17], 0
	s_waitcnt vmcnt(0)
	v_ffbh_u32_e32 v4, v3
	v_min_u32_e32 v4, 32, v4
	v_lshlrev_b64 v[2:3], v4, v[2:3]
	v_min_u32_e32 v2, 1, v2
	v_or_b32_e32 v2, v3, v2
	v_cvt_f32_u32_e32 v2, v2
	v_sub_u32_e32 v3, 32, v4
	v_ldexp_f32 v2, v2, v3
	v_cvt_f16_f32_e32 v2, v2
	s_branch .LBB184_186
.LBB184_185:
	s_mov_b64 s[16:17], -1
                                        ; implicit-def: $vgpr2
.LBB184_186:
	v_mov_b32_e32 v3, 0
.LBB184_187:
	s_mov_b64 s[2:3], 0
.LBB184_188:
	s_and_b64 vcc, exec, s[2:3]
	s_cbranch_vccz .LBB184_206
; %bb.189:
	s_cmp_lt_i32 s20, 27
	s_cbranch_scc1 .LBB184_192
; %bb.190:
	s_cmp_gt_i32 s20, 27
	s_cbranch_scc0 .LBB184_193
; %bb.191:
	global_load_dword v2, v[0:1], off
	s_mov_b64 s[0:1], 0
	s_waitcnt vmcnt(0)
	v_cvt_f32_u32_e32 v2, v2
	v_cvt_f16_f32_e32 v2, v2
	s_branch .LBB184_194
.LBB184_192:
	s_mov_b64 s[0:1], -1
                                        ; implicit-def: $vgpr2
	s_branch .LBB184_197
.LBB184_193:
	s_mov_b64 s[0:1], -1
                                        ; implicit-def: $vgpr2
.LBB184_194:
	s_andn2_b64 vcc, exec, s[0:1]
	s_cbranch_vccnz .LBB184_196
; %bb.195:
	global_load_ushort v2, v[0:1], off
	s_waitcnt vmcnt(0)
	v_cvt_f16_u16_e32 v2, v2
.LBB184_196:
	s_mov_b64 s[0:1], 0
.LBB184_197:
	s_andn2_b64 vcc, exec, s[0:1]
	s_cbranch_vccnz .LBB184_205
; %bb.198:
	global_load_ubyte v3, v[0:1], off
	s_movk_i32 s0, 0x7f
	s_waitcnt vmcnt(0)
	v_cmp_lt_i16_e32 vcc, s0, v3
	s_mov_b64 s[0:1], 0
	s_and_saveexec_b64 s[2:3], vcc
	s_xor_b64 s[2:3], exec, s[2:3]
	s_cbranch_execz .LBB184_218
; %bb.199:
	s_movk_i32 s0, 0x80
	v_cmp_eq_u16_e32 vcc, s0, v3
	s_mov_b64 s[0:1], -1
	s_and_saveexec_b64 s[14:15], vcc
; %bb.200:
	s_xor_b64 s[0:1], exec, -1
; %bb.201:
	s_or_b64 exec, exec, s[14:15]
	s_and_b64 s[0:1], s[0:1], exec
	s_or_saveexec_b64 s[2:3], s[2:3]
	v_mov_b32_e32 v2, 0x7e00
	s_xor_b64 exec, exec, s[2:3]
	s_cbranch_execnz .LBB184_219
.LBB184_202:
	s_or_b64 exec, exec, s[2:3]
	s_and_saveexec_b64 s[2:3], s[0:1]
	s_cbranch_execz .LBB184_204
.LBB184_203:
	v_lshlrev_b32_e32 v2, 24, v3
	v_and_b32_e32 v3, 0xffff, v3
	v_and_b32_e32 v4, 7, v3
	v_ffbh_u32_e32 v6, v4
	v_min_u32_e32 v6, 32, v6
	v_subrev_u32_e32 v7, 28, v6
	v_bfe_u32 v5, v3, 3, 4
	v_lshlrev_b32_e32 v3, v7, v3
	v_sub_u32_e32 v6, 29, v6
	v_and_b32_e32 v3, 7, v3
	v_cmp_eq_u32_e32 vcc, 0, v5
	v_and_b32_e32 v2, 0x80000000, v2
	s_nop 0
	v_cndmask_b32_e32 v5, v5, v6, vcc
	v_cndmask_b32_e32 v3, v4, v3, vcc
	v_mov_b32_e32 v4, 0x3b800000
	v_lshlrev_b32_e32 v3, 20, v3
	v_lshl_add_u32 v4, v5, 23, v4
	v_or3_b32 v2, v2, v4, v3
	v_cvt_f16_f32_e32 v2, v2
.LBB184_204:
	s_or_b64 exec, exec, s[2:3]
.LBB184_205:
	s_mov_b64 s[0:1], -1
	v_mov_b32_e32 v3, 0
.LBB184_206:
	s_branch .LBB184_241
.LBB184_207:
	s_cmp_gt_i32 s20, 22
	s_cbranch_scc0 .LBB184_217
; %bb.208:
	s_cmp_lt_i32 s20, 24
	s_cbranch_scc1 .LBB184_220
; %bb.209:
	s_cmp_gt_i32 s20, 24
	s_cbranch_scc0 .LBB184_221
; %bb.210:
	global_load_ubyte v3, v[0:1], off
	s_movk_i32 s0, 0x7f
	s_waitcnt vmcnt(0)
	v_cmp_lt_i16_e32 vcc, s0, v3
	s_mov_b64 s[0:1], 0
	s_and_saveexec_b64 s[2:3], vcc
	s_xor_b64 s[2:3], exec, s[2:3]
	s_cbranch_execz .LBB184_232
; %bb.211:
	s_movk_i32 s0, 0x80
	v_cmp_eq_u16_e32 vcc, s0, v3
	s_mov_b64 s[0:1], -1
	s_and_saveexec_b64 s[14:15], vcc
; %bb.212:
	s_xor_b64 s[0:1], exec, -1
; %bb.213:
	s_or_b64 exec, exec, s[14:15]
	s_and_b64 s[0:1], s[0:1], exec
	s_or_saveexec_b64 s[2:3], s[2:3]
	v_mov_b32_e32 v2, 0x7e00
	s_xor_b64 exec, exec, s[2:3]
	s_cbranch_execnz .LBB184_233
.LBB184_214:
	s_or_b64 exec, exec, s[2:3]
	s_and_saveexec_b64 s[2:3], s[0:1]
	s_cbranch_execz .LBB184_216
.LBB184_215:
	v_lshlrev_b32_e32 v2, 24, v3
	v_and_b32_e32 v3, 0xffff, v3
	v_and_b32_e32 v4, 3, v3
	v_ffbh_u32_e32 v6, v4
	v_min_u32_e32 v6, 32, v6
	v_subrev_u32_e32 v7, 29, v6
	v_bfe_u32 v5, v3, 2, 5
	v_lshlrev_b32_e32 v3, v7, v3
	v_sub_u32_e32 v6, 30, v6
	v_and_b32_e32 v3, 3, v3
	v_cmp_eq_u32_e32 vcc, 0, v5
	v_and_b32_e32 v2, 0x80000000, v2
	s_nop 0
	v_cndmask_b32_e32 v5, v5, v6, vcc
	v_cndmask_b32_e32 v3, v4, v3, vcc
	v_mov_b32_e32 v4, 0x37800000
	v_lshlrev_b32_e32 v3, 21, v3
	v_lshl_add_u32 v4, v5, 23, v4
	v_or3_b32 v2, v2, v4, v3
	v_cvt_f16_f32_e32 v2, v2
.LBB184_216:
	s_or_b64 exec, exec, s[2:3]
	s_mov_b64 s[0:1], 0
	s_branch .LBB184_222
.LBB184_217:
                                        ; implicit-def: $vgpr2
	s_branch .LBB184_228
.LBB184_218:
	s_or_saveexec_b64 s[2:3], s[2:3]
	v_mov_b32_e32 v2, 0x7e00
	s_xor_b64 exec, exec, s[2:3]
	s_cbranch_execz .LBB184_202
.LBB184_219:
	v_cmp_ne_u16_e32 vcc, 0, v3
	s_andn2_b64 s[0:1], s[0:1], exec
	s_and_b64 s[14:15], vcc, exec
	s_or_b64 s[0:1], s[0:1], s[14:15]
	v_mov_b32_e32 v2, v3
	s_or_b64 exec, exec, s[2:3]
	s_and_saveexec_b64 s[2:3], s[0:1]
	s_cbranch_execnz .LBB184_203
	s_branch .LBB184_204
.LBB184_220:
	s_mov_b64 s[0:1], -1
                                        ; implicit-def: $vgpr2
	s_branch .LBB184_225
.LBB184_221:
	s_mov_b64 s[0:1], -1
                                        ; implicit-def: $vgpr2
.LBB184_222:
	s_and_b64 vcc, exec, s[0:1]
	s_cbranch_vccz .LBB184_224
; %bb.223:
	global_load_ubyte v2, v[0:1], off
	s_mov_b32 s0, 0x7f800000
	s_waitcnt vmcnt(0)
	v_lshlrev_b32_e32 v2, 24, v2
	v_and_b32_e32 v3, 0x7f000000, v2
	v_ffbh_u32_e32 v4, v3
	v_min_u32_e32 v4, 32, v4
	v_sub_u32_e64 v4, v4, 4 clamp
	v_lshlrev_b32_e32 v6, v4, v3
	v_lshlrev_b32_e32 v4, 23, v4
	v_lshrrev_b32_e32 v6, 4, v6
	v_add_u32_e32 v5, 0x1000000, v3
	v_sub_u32_e32 v4, v6, v4
	v_ashrrev_i32_e32 v5, 8, v5
	v_add_u32_e32 v4, 0x3c000000, v4
	v_and_or_b32 v4, v5, s0, v4
	v_cmp_ne_u32_e32 vcc, 0, v3
	s_brev_b32 s0, 1
	s_nop 0
	v_cndmask_b32_e32 v3, 0, v4, vcc
	v_and_or_b32 v2, v2, s0, v3
	v_cvt_f16_f32_e32 v2, v2
.LBB184_224:
	s_mov_b64 s[0:1], 0
.LBB184_225:
	s_andn2_b64 vcc, exec, s[0:1]
	s_cbranch_vccnz .LBB184_227
; %bb.226:
	global_load_ubyte v2, v[0:1], off
	s_movk_i32 s0, 0x7f00
	s_brev_b32 s1, 16
	s_waitcnt vmcnt(0)
	v_lshlrev_b16_e32 v3, 8, v2
	v_lshlrev_b32_e32 v2, 25, v2
	v_lshrrev_b32_e32 v4, 4, v2
	v_and_or_b32 v5, v3, s0, 0.5
	v_or_b32_e32 v4, 0x70000000, v4
	v_add_f32_e32 v5, -0.5, v5
	v_mul_f32_e32 v4, 0x7800000, v4
	v_cmp_gt_u32_e32 vcc, s1, v2
	v_bfe_i32 v3, v3, 0, 16
	s_brev_b32 s0, 1
	v_cndmask_b32_e32 v2, v4, v5, vcc
	v_and_or_b32 v2, v3, s0, v2
	v_cvt_f16_f32_e32 v2, v2
.LBB184_227:
	s_mov_b64 s[0:1], -1
	s_cbranch_execnz .LBB184_240
.LBB184_228:
	s_cmp_gt_i32 s20, 14
	s_cbranch_scc0 .LBB184_231
; %bb.229:
	s_cmp_eq_u32 s20, 15
	s_cbranch_scc0 .LBB184_234
; %bb.230:
	global_load_ushort v2, v[0:1], off
	s_mov_b64 s[0:1], -1
	s_mov_b64 s[16:17], 0
	s_waitcnt vmcnt(0)
	v_lshlrev_b32_e32 v2, 16, v2
	v_cvt_f16_f32_e32 v2, v2
	s_branch .LBB184_235
.LBB184_231:
	s_mov_b64 s[2:3], -1
                                        ; implicit-def: $vgpr2
	s_branch .LBB184_236
.LBB184_232:
	s_or_saveexec_b64 s[2:3], s[2:3]
	v_mov_b32_e32 v2, 0x7e00
	s_xor_b64 exec, exec, s[2:3]
	s_cbranch_execz .LBB184_214
.LBB184_233:
	v_cmp_ne_u16_e32 vcc, 0, v3
	s_andn2_b64 s[0:1], s[0:1], exec
	s_and_b64 s[14:15], vcc, exec
	s_or_b64 s[0:1], s[0:1], s[14:15]
	v_mov_b32_e32 v2, v3
	s_or_b64 exec, exec, s[2:3]
	s_and_saveexec_b64 s[2:3], s[0:1]
	s_cbranch_execnz .LBB184_215
	s_branch .LBB184_216
.LBB184_234:
	s_mov_b64 s[16:17], -1
                                        ; implicit-def: $vgpr2
.LBB184_235:
	s_mov_b64 s[2:3], 0
.LBB184_236:
	s_and_b64 vcc, exec, s[2:3]
	s_cbranch_vccz .LBB184_240
; %bb.237:
	s_cmp_eq_u32 s20, 11
	s_cbranch_scc0 .LBB184_239
; %bb.238:
	global_load_ubyte v2, v[0:1], off
	v_mov_b32_e32 v3, 0x3c00
	s_mov_b64 s[0:1], -1
	s_mov_b64 s[16:17], 0
	s_waitcnt vmcnt(0)
	v_cmp_ne_u16_e32 vcc, 0, v2
	s_nop 1
	v_cndmask_b32_e32 v2, 0, v3, vcc
	s_branch .LBB184_240
.LBB184_239:
	s_mov_b64 s[16:17], -1
                                        ; implicit-def: $vgpr2
.LBB184_240:
	v_mov_b32_e32 v3, 0
.LBB184_241:
	s_branch .LBB184_10
.LBB184_242:
	s_cmp_lt_i32 s20, 5
	s_cbranch_scc1 .LBB184_247
; %bb.243:
	s_cmp_lt_i32 s20, 8
	s_cbranch_scc1 .LBB184_248
; %bb.244:
	;; [unrolled: 3-line block ×3, first 2 shown]
	s_cmp_gt_i32 s20, 9
	s_cbranch_scc0 .LBB184_250
; %bb.246:
	global_load_dwordx4 v[2:5], v[0:1], off
	s_movk_i32 s0, 0x1ff
	s_movk_i32 s1, 0xffe
	v_mov_b32_e32 v6, 0x7c00
	v_mov_b32_e32 v7, 0x7e00
	s_movk_i32 s2, 0x40f
	s_mov_b32 s3, 0x8000
	s_waitcnt vmcnt(0)
	v_and_or_b32 v2, v3, s0, v2
	v_and_or_b32 v4, v5, s0, v4
	v_cmp_ne_u32_e32 vcc, 0, v2
	v_lshrrev_b32_e32 v8, 8, v3
	v_bfe_u32 v9, v3, 20, 11
	v_cndmask_b32_e64 v2, 0, 1, vcc
	v_cmp_ne_u32_e32 vcc, 0, v4
	v_lshrrev_b32_e32 v11, 8, v5
	v_bfe_u32 v12, v5, 20, 11
	v_cndmask_b32_e64 v4, 0, 1, vcc
	v_and_or_b32 v2, v8, s1, v2
	v_sub_u32_e32 v13, 0x3f1, v9
	v_add_u32_e32 v9, 0xfffffc10, v9
	v_sub_u32_e32 v14, 0x3f1, v12
	v_and_or_b32 v4, v11, s1, v4
	v_cmp_ne_u32_e32 vcc, 0, v2
	v_add_u32_e32 v12, 0xfffffc10, v12
	v_med3_i32 v8, v13, 0, 13
	v_med3_i32 v11, v14, 0, 13
	v_or_b32_e32 v13, 0x1000, v2
	v_lshl_or_b32 v14, v9, 12, v2
	v_cndmask_b32_e32 v2, v6, v7, vcc
	v_cmp_ne_u32_e32 vcc, 0, v4
	v_or_b32_e32 v15, 0x1000, v4
	v_lshl_or_b32 v16, v12, 12, v4
	v_cndmask_b32_e32 v4, v6, v7, vcc
	v_lshrrev_b32_e32 v7, v8, v13
	v_lshrrev_b32_e32 v17, v11, v15
	v_lshlrev_b32_e32 v8, v8, v7
	v_lshlrev_b32_e32 v11, v11, v17
	v_cmp_ne_u32_e32 vcc, v8, v13
	v_lshrrev_b32_e32 v3, 16, v3
	v_lshrrev_b32_e32 v5, 16, v5
	v_cndmask_b32_e64 v8, 0, 1, vcc
	v_cmp_ne_u32_e32 vcc, v11, v15
	v_or_b32_e32 v7, v7, v8
	s_mov_b64 s[0:1], 0
	v_cndmask_b32_e64 v11, 0, 1, vcc
	v_cmp_gt_i32_e32 vcc, 1, v9
	v_or_b32_e32 v8, v17, v11
	s_nop 0
	v_cndmask_b32_e32 v7, v14, v7, vcc
	v_cmp_gt_i32_e32 vcc, 1, v12
	v_and_b32_e32 v11, 7, v7
	v_lshrrev_b32_e32 v7, 2, v7
	v_cndmask_b32_e32 v8, v16, v8, vcc
	v_cmp_lt_i32_e32 vcc, 5, v11
	v_and_b32_e32 v13, 7, v8
	v_lshrrev_b32_e32 v8, 2, v8
	v_cndmask_b32_e64 v14, 0, 1, vcc
	v_cmp_eq_u32_e32 vcc, 3, v11
	s_nop 1
	v_cndmask_b32_e64 v11, 0, 1, vcc
	v_cmp_lt_i32_e32 vcc, 5, v13
	v_or_b32_e32 v11, v11, v14
	v_add_u32_e32 v7, v7, v11
	v_cndmask_b32_e64 v15, 0, 1, vcc
	v_cmp_eq_u32_e32 vcc, 3, v13
	s_nop 1
	v_cndmask_b32_e64 v13, 0, 1, vcc
	v_or_b32_e32 v13, v13, v15
	v_cmp_gt_i32_e32 vcc, 31, v9
	v_add_u32_e32 v8, v8, v13
	s_nop 0
	v_cndmask_b32_e32 v7, v6, v7, vcc
	v_cmp_gt_i32_e32 vcc, 31, v12
	s_nop 1
	v_cndmask_b32_e32 v6, v6, v8, vcc
	v_cmp_eq_u32_e32 vcc, s2, v9
	s_nop 1
	v_cndmask_b32_e32 v2, v7, v2, vcc
	v_cmp_eq_u32_e32 vcc, s2, v12
	v_and_or_b32 v2, v3, s3, v2
	s_nop 0
	v_cndmask_b32_e32 v4, v6, v4, vcc
	v_and_or_b32 v3, v5, s3, v4
	s_branch .LBB184_251
.LBB184_247:
                                        ; implicit-def: $vgpr3
                                        ; implicit-def: $vgpr2
	s_branch .LBB184_270
.LBB184_248:
	s_mov_b64 s[0:1], -1
                                        ; implicit-def: $vgpr3
                                        ; implicit-def: $vgpr2
	s_branch .LBB184_257
.LBB184_249:
	s_mov_b64 s[0:1], -1
                                        ; implicit-def: $vgpr3
                                        ; implicit-def: $vgpr2
	s_branch .LBB184_254
.LBB184_250:
	s_mov_b64 s[0:1], -1
                                        ; implicit-def: $vgpr3
                                        ; implicit-def: $vgpr2
.LBB184_251:
	s_andn2_b64 vcc, exec, s[0:1]
	s_cbranch_vccnz .LBB184_253
; %bb.252:
	global_load_dwordx2 v[2:3], v[0:1], off
	s_waitcnt vmcnt(0)
	v_cvt_f16_f32_e32 v2, v2
	v_cvt_f16_f32_e32 v3, v3
.LBB184_253:
	s_mov_b64 s[0:1], 0
.LBB184_254:
	s_andn2_b64 vcc, exec, s[0:1]
	s_cbranch_vccnz .LBB184_256
; %bb.255:
	global_load_dword v2, v[0:1], off
	s_waitcnt vmcnt(0)
	v_lshrrev_b32_e32 v3, 16, v2
.LBB184_256:
	s_mov_b64 s[0:1], 0
.LBB184_257:
	s_andn2_b64 vcc, exec, s[0:1]
	s_cbranch_vccnz .LBB184_269
; %bb.258:
	s_cmp_lt_i32 s20, 6
	s_cbranch_scc1 .LBB184_261
; %bb.259:
	s_cmp_gt_i32 s20, 6
	s_cbranch_scc0 .LBB184_262
; %bb.260:
	global_load_dwordx2 v[2:3], v[0:1], off
	s_movk_i32 s0, 0x1ff
	s_movk_i32 s1, 0xffe
	v_mov_b32_e32 v4, 0x7c00
	v_mov_b32_e32 v5, 0x7e00
	s_movk_i32 s2, 0x40f
	s_mov_b32 s3, 0x8000
	s_waitcnt vmcnt(0)
	v_and_or_b32 v2, v3, s0, v2
	v_cmp_ne_u32_e32 vcc, 0, v2
	v_lshrrev_b32_e32 v6, 8, v3
	v_bfe_u32 v7, v3, 20, 11
	v_cndmask_b32_e64 v2, 0, 1, vcc
	v_sub_u32_e32 v8, 0x3f1, v7
	v_and_or_b32 v2, v6, s1, v2
	v_add_u32_e32 v7, 0xfffffc10, v7
	v_med3_i32 v6, v8, 0, 13
	v_or_b32_e32 v8, 0x1000, v2
	v_cmp_ne_u32_e32 vcc, 0, v2
	v_lshl_or_b32 v9, v7, 12, v2
	v_lshrrev_b32_e32 v3, 16, v3
	v_cndmask_b32_e32 v2, v4, v5, vcc
	v_lshrrev_b32_e32 v5, v6, v8
	v_lshlrev_b32_e32 v6, v6, v5
	v_cmp_ne_u32_e32 vcc, v6, v8
	s_mov_b64 s[0:1], 0
	s_nop 0
	v_cndmask_b32_e64 v6, 0, 1, vcc
	v_or_b32_e32 v5, v5, v6
	v_cmp_gt_i32_e32 vcc, 1, v7
	s_nop 1
	v_cndmask_b32_e32 v5, v9, v5, vcc
	v_and_b32_e32 v6, 7, v5
	v_cmp_lt_i32_e32 vcc, 5, v6
	v_lshrrev_b32_e32 v5, 2, v5
	s_nop 0
	v_cndmask_b32_e64 v8, 0, 1, vcc
	v_cmp_eq_u32_e32 vcc, 3, v6
	s_nop 1
	v_cndmask_b32_e64 v6, 0, 1, vcc
	v_or_b32_e32 v6, v6, v8
	v_add_u32_e32 v5, v5, v6
	v_cmp_gt_i32_e32 vcc, 31, v7
	s_nop 1
	v_cndmask_b32_e32 v4, v4, v5, vcc
	v_cmp_eq_u32_e32 vcc, s2, v7
	s_nop 1
	v_cndmask_b32_e32 v2, v4, v2, vcc
	v_and_or_b32 v2, v3, s3, v2
	s_branch .LBB184_263
.LBB184_261:
	s_mov_b64 s[0:1], -1
                                        ; implicit-def: $vgpr2
	s_branch .LBB184_266
.LBB184_262:
	s_mov_b64 s[0:1], -1
                                        ; implicit-def: $vgpr2
.LBB184_263:
	s_andn2_b64 vcc, exec, s[0:1]
	s_cbranch_vccnz .LBB184_265
; %bb.264:
	global_load_dword v2, v[0:1], off
	s_waitcnt vmcnt(0)
	v_cvt_f16_f32_e32 v2, v2
.LBB184_265:
	s_mov_b64 s[0:1], 0
.LBB184_266:
	s_andn2_b64 vcc, exec, s[0:1]
	s_cbranch_vccnz .LBB184_268
; %bb.267:
	global_load_ushort v2, v[0:1], off
.LBB184_268:
	v_mov_b32_e32 v3, 0
.LBB184_269:
	s_cbranch_execnz .LBB184_290
.LBB184_270:
	s_cmp_lt_i32 s20, 2
	s_cbranch_scc1 .LBB184_274
; %bb.271:
	s_cmp_lt_i32 s20, 3
	s_cbranch_scc1 .LBB184_275
; %bb.272:
	s_cmp_gt_i32 s20, 3
	s_cbranch_scc0 .LBB184_276
; %bb.273:
	global_load_dwordx2 v[2:3], v[0:1], off
	s_mov_b64 s[0:1], 0
	s_waitcnt vmcnt(0)
	v_xor_b32_e32 v5, v2, v3
	v_ffbh_i32_e32 v4, v3
	v_ashrrev_i32_e32 v5, 31, v5
	v_add_u32_e32 v4, -1, v4
	v_add_u32_e32 v5, 32, v5
	v_min_u32_e32 v4, v4, v5
	v_lshlrev_b64 v[2:3], v4, v[2:3]
	v_min_u32_e32 v2, 1, v2
	v_or_b32_e32 v2, v3, v2
	v_cvt_f32_i32_e32 v2, v2
	v_sub_u32_e32 v3, 32, v4
	v_ldexp_f32 v2, v2, v3
	v_cvt_f16_f32_e32 v2, v2
	s_branch .LBB184_277
.LBB184_274:
	s_mov_b64 s[0:1], -1
                                        ; implicit-def: $vgpr2
	s_branch .LBB184_283
.LBB184_275:
	s_mov_b64 s[0:1], -1
                                        ; implicit-def: $vgpr2
	s_branch .LBB184_280
.LBB184_276:
	s_mov_b64 s[0:1], -1
                                        ; implicit-def: $vgpr2
.LBB184_277:
	s_andn2_b64 vcc, exec, s[0:1]
	s_cbranch_vccnz .LBB184_279
; %bb.278:
	global_load_dword v2, v[0:1], off
	s_waitcnt vmcnt(0)
	v_cvt_f32_i32_e32 v2, v2
	v_cvt_f16_f32_e32 v2, v2
.LBB184_279:
	s_mov_b64 s[0:1], 0
.LBB184_280:
	s_andn2_b64 vcc, exec, s[0:1]
	s_cbranch_vccnz .LBB184_282
; %bb.281:
	global_load_ushort v2, v[0:1], off
	s_waitcnt vmcnt(0)
	v_cvt_f16_i16_e32 v2, v2
.LBB184_282:
	s_mov_b64 s[0:1], 0
.LBB184_283:
	s_andn2_b64 vcc, exec, s[0:1]
	s_cbranch_vccnz .LBB184_289
; %bb.284:
	s_cmp_gt_i32 s20, 0
	s_cbranch_scc0 .LBB184_286
; %bb.285:
	global_load_sbyte v2, v[0:1], off
	s_mov_b64 s[0:1], 0
	s_waitcnt vmcnt(0)
	v_cvt_f16_i16_e32 v2, v2
	s_branch .LBB184_287
.LBB184_286:
	s_mov_b64 s[0:1], -1
                                        ; implicit-def: $vgpr2
.LBB184_287:
	s_andn2_b64 vcc, exec, s[0:1]
	s_cbranch_vccnz .LBB184_289
; %bb.288:
	global_load_ubyte v0, v[0:1], off
	s_waitcnt vmcnt(0)
	v_cvt_f16_u16_e32 v2, v0
.LBB184_289:
	v_mov_b32_e32 v3, 0
.LBB184_290:
	s_branch .LBB184_11
.LBB184_291:
	s_mov_b64 s[0:1], 0
                                        ; implicit-def: $vgpr10
	s_mov_b64 s[2:3], 0
.LBB184_292:
	s_and_b64 s[14:15], s[0:1], exec
	s_and_b64 s[16:17], s[16:17], exec
	s_orn2_b64 s[2:3], s[2:3], exec
.LBB184_293:
	s_or_b64 exec, exec, s[18:19]
	s_mov_b64 s[24:25], 0
	s_mov_b64 s[0:1], 0
                                        ; implicit-def: $vgpr0_vgpr1
                                        ; implicit-def: $vgpr5
                                        ; implicit-def: $vgpr2
	s_and_saveexec_b64 s[18:19], s[2:3]
	s_cbranch_execz .LBB184_302
; %bb.294:
	v_cmp_gt_i32_e32 vcc, s45, v10
	s_mov_b64 s[0:1], -1
	s_mov_b64 s[20:21], s[16:17]
	s_mov_b64 s[22:23], s[14:15]
	s_and_saveexec_b64 s[24:25], vcc
	s_cbranch_execz .LBB184_597
; %bb.295:
	v_mul_lo_u32 v0, v10, s9
	v_ashrrev_i32_e32 v1, 31, v0
	s_and_b32 s26, 0xffff, s44
	s_cmp_lt_i32 s26, 11
	v_lshl_add_u64 v[0:1], s[6:7], 0, v[0:1]
	s_cbranch_scc1 .LBB184_305
; %bb.296:
	s_cmp_gt_i32 s26, 25
	s_cbranch_scc0 .LBB184_319
; %bb.297:
	s_cmp_gt_i32 s26, 28
	s_cbranch_scc0 .LBB184_320
	;; [unrolled: 3-line block ×4, first 2 shown]
; %bb.300:
	s_cmp_eq_u32 s26, 46
	s_mov_b64 s[2:3], 0
	s_cbranch_scc0 .LBB184_364
; %bb.301:
	global_load_dword v2, v[0:1], off
	s_mov_b64 s[20:21], 0
	s_waitcnt vmcnt(0)
	v_and_b32_e32 v3, 0xffff0000, v2
	v_lshlrev_b32_e32 v2, 16, v2
	v_cvt_f16_f32_e32 v2, v2
	v_cvt_f16_f32_e32 v3, v3
	s_branch .LBB184_365
.LBB184_302:
	s_or_b64 exec, exec, s[18:19]
	s_mov_b64 s[18:19], 0
	s_and_saveexec_b64 s[2:3], s[16:17]
	s_cbranch_execnz .LBB184_989
.LBB184_303:
	s_or_b64 exec, exec, s[2:3]
	s_and_saveexec_b64 s[2:3], s[22:23]
	s_xor_b64 s[2:3], exec, s[2:3]
	s_cbranch_execz .LBB184_990
.LBB184_304:
	global_load_ubyte v2, v[0:1], off
	v_mov_b32_e32 v3, 0x3c00
	v_mov_b32_e32 v5, 0
	s_or_b64 s[0:1], s[0:1], exec
	s_waitcnt vmcnt(0)
	v_cmp_ne_u16_e32 vcc, 0, v2
	s_nop 1
	v_cndmask_b32_e32 v2, 0, v3, vcc
	s_or_b64 exec, exec, s[2:3]
	s_and_saveexec_b64 s[2:3], s[24:25]
	s_cbranch_execz .LBB184_1038
	s_branch .LBB184_991
.LBB184_305:
	s_mov_b64 s[0:1], 0
                                        ; implicit-def: $vgpr3
                                        ; implicit-def: $vgpr2
	s_mov_b64 s[20:21], s[16:17]
	s_cbranch_execnz .LBB184_545
.LBB184_306:
	s_andn2_b64 vcc, exec, s[0:1]
	s_cbranch_vccnz .LBB184_595
.LBB184_307:
	v_cvt_f32_f16_e32 v1, v3
	s_waitcnt vmcnt(0)
	v_cmp_neq_f16_e32 vcc, 0, v2
	v_cmp_neq_f16_e64 s[0:1], 0, v3
	s_or_b64 s[0:1], vcc, s[0:1]
	v_mov_b32_e32 v0, 0
	s_and_saveexec_b64 s[22:23], s[0:1]
	s_cbranch_execz .LBB184_343
; %bb.308:
	v_mov_b32_e32 v0, 0x7f800000
	v_cmp_neq_f32_e64 s[0:1], |v1|, v0
	s_and_saveexec_b64 s[26:27], s[0:1]
	s_cbranch_execz .LBB184_342
; %bb.309:
	v_cvt_f32_f16_e32 v4, v2
	v_cmp_o_f16_e32 vcc, v2, v2
	s_and_saveexec_b64 s[0:1], vcc
	s_xor_b64 s[28:29], exec, s[0:1]
	s_cbranch_execz .LBB184_339
; %bb.310:
	s_mov_b32 s0, 0x7f800000
	v_cmp_neq_f32_e64 s[0:1], |v4|, s0
	s_and_saveexec_b64 s[2:3], s[0:1]
	s_xor_b64 s[30:31], exec, s[2:3]
	s_cbranch_execz .LBB184_332
; %bb.311:
	v_max_f32_e64 v0, |v1|, |v1|
	v_max_f32_e64 v2, |v4|, |v4|
	v_max_f32_e32 v0, v2, v0
	s_mov_b32 s0, 0x7ed413cb
	v_cmp_nle_f32_e64 s[0:1], s0, v0
                                        ; implicit-def: $sgpr34_sgpr35
	s_and_saveexec_b64 s[2:3], s[0:1]
	s_xor_b64 s[2:3], exec, s[2:3]
	s_cbranch_execz .LBB184_315
; %bb.312:
	s_mov_b32 s36, 0x1000000
	v_cmp_le_f32_e64 s[34:35], |v4|, s36
	v_cmp_le_f32_e64 s[36:37], |v1|, s36
	s_and_b64 s[38:39], s[34:35], s[36:37]
	s_mov_b64 s[34:35], 0
	s_and_saveexec_b64 s[36:37], s[38:39]
; %bb.313:
	s_mov_b64 s[34:35], exec
	v_mul_f32_e32 v1, 4.0, v1
	v_mul_f32_e32 v4, 4.0, v4
; %bb.314:
	s_or_b64 exec, exec, s[36:37]
.LBB184_315:
	s_andn2_saveexec_b64 s[2:3], s[2:3]
; %bb.316:
	v_mul_f32_e32 v4, 0x3e800000, v4
	v_mul_f32_e32 v1, 0x3e800000, v1
	s_andn2_b64 s[34:35], s[34:35], exec
; %bb.317:
	s_or_b64 exec, exec, s[2:3]
	v_max_f32_e64 v0, |v1|, |v1|
	v_max_f32_e64 v2, |v4|, |v4|
	v_max_f32_e32 v0, v2, v0
	v_cvt_f64_f32_e32 v[2:3], v0
	v_frexp_exp_i32_f64_e32 v2, v[2:3]
	v_sub_u32_e32 v3, 0, v2
	v_ldexp_f32 v5, |v4|, v3
	v_ldexp_f32 v3, |v1|, v3
	v_mul_f32_e32 v3, v3, v3
	v_fmac_f32_e32 v3, v5, v5
	v_sqrt_f32_e32 v3, v3
	s_mov_b32 s2, 0x7f800000
	v_cmp_neq_f32_e64 s[2:3], s2, v0
	v_cmp_le_f32_e32 vcc, 0, v4
	v_ldexp_f32 v2, v3, v2
	v_mov_b32_e32 v3, 0x7f800000
	v_cndmask_b32_e64 v0, v3, v2, s[2:3]
                                        ; implicit-def: $vgpr2_vgpr3
	s_and_saveexec_b64 s[2:3], vcc
	s_xor_b64 s[36:37], exec, s[2:3]
	s_cbranch_execz .LBB184_325
; %bb.318:
	v_add_f32_e32 v0, v4, v0
	v_mul_f32_e32 v0, 0.5, v0
	s_mov_b32 s2, 0xf800000
	v_mul_f32_e32 v2, 0x4f800000, v0
	v_cmp_gt_f32_e32 vcc, s2, v0
	s_nop 1
	v_cndmask_b32_e32 v0, v0, v2, vcc
	v_sqrt_f32_e32 v2, v0
	s_nop 0
	v_add_u32_e32 v3, -1, v2
	v_fma_f32 v4, -v3, v2, v0
	v_cmp_ge_f32_e64 s[2:3], 0, v4
	v_add_u32_e32 v4, 1, v2
	s_nop 0
	v_cndmask_b32_e64 v3, v2, v3, s[2:3]
	v_fma_f32 v2, -v4, v2, v0
	v_cmp_lt_f32_e64 s[2:3], 0, v2
	s_nop 1
	v_cndmask_b32_e64 v2, v3, v4, s[2:3]
	v_mul_f32_e32 v3, 0x37800000, v2
	v_cndmask_b32_e32 v2, v2, v3, vcc
	v_mov_b32_e32 v3, 0x260
	v_cmp_class_f32_e32 vcc, v0, v3
	s_nop 1
	v_cndmask_b32_e32 v2, v2, v0, vcc
	v_add_f32_e32 v0, v2, v2
	v_div_scale_f32 v3, s[2:3], v0, v0, v1
	v_rcp_f32_e32 v4, v3
	s_nop 0
	v_fma_f32 v5, -v3, v4, 1.0
	v_fmac_f32_e32 v4, v5, v4
	v_div_scale_f32 v5, vcc, v1, v0, v1
	v_mul_f32_e32 v6, v5, v4
	v_fma_f32 v7, -v3, v6, v5
	v_fmac_f32_e32 v6, v7, v4
	v_fma_f32 v3, -v3, v6, v5
	v_div_fmas_f32 v3, v3, v4, v6
	v_div_fixup_f32 v3, v3, v0, v1
                                        ; implicit-def: $vgpr0
                                        ; implicit-def: $vgpr4
                                        ; implicit-def: $vgpr1
	s_andn2_saveexec_b64 s[36:37], s[36:37]
	s_cbranch_execz .LBB184_327
	s_branch .LBB184_326
.LBB184_319:
	s_mov_b64 s[2:3], -1
	s_mov_b64 s[0:1], 0
	s_mov_b64 s[20:21], s[16:17]
                                        ; implicit-def: $vgpr3
                                        ; implicit-def: $vgpr2
	s_branch .LBB184_508
.LBB184_320:
	s_mov_b64 s[2:3], -1
	s_mov_b64 s[0:1], 0
	s_mov_b64 s[20:21], s[16:17]
                                        ; implicit-def: $vgpr3
                                        ; implicit-def: $vgpr2
	s_branch .LBB184_489
.LBB184_321:
	s_mov_b64 s[2:3], -1
	s_mov_b64 s[0:1], 0
	s_mov_b64 s[20:21], s[16:17]
                                        ; implicit-def: $vgpr3
                                        ; implicit-def: $vgpr2
	s_branch .LBB184_483
.LBB184_322:
	s_andn2_saveexec_b64 s[20:21], s[20:21]
	s_cbranch_execz .LBB184_92
.LBB184_323:
	s_mov_b32 s26, 0x46000000
	v_add_f32_e64 v6, |v2|, s26
	v_and_b32_e32 v6, 0xff, v6
	v_cmp_ne_u32_e32 vcc, 0, v6
	s_andn2_b64 s[14:15], s[14:15], exec
	s_and_b64 s[26:27], vcc, exec
	s_or_b64 s[14:15], s[14:15], s[26:27]
	s_or_b64 exec, exec, s[20:21]
	v_mov_b32_e32 v7, 0
	s_and_saveexec_b64 s[20:21], s[14:15]
	s_cbranch_execnz .LBB184_93
	s_branch .LBB184_94
.LBB184_324:
	s_mov_b64 s[2:3], -1
	s_mov_b64 s[0:1], 0
	s_mov_b64 s[20:21], s[16:17]
                                        ; implicit-def: $vgpr3
                                        ; implicit-def: $vgpr2
	s_branch .LBB184_365
.LBB184_325:
	s_andn2_saveexec_b64 s[36:37], s[36:37]
	s_cbranch_execz .LBB184_327
.LBB184_326:
	v_sub_f32_e32 v0, v0, v4
	v_mul_f32_e32 v0, 0.5, v0
	s_mov_b32 s2, 0xf800000
	v_mul_f32_e32 v2, 0x4f800000, v0
	v_cmp_gt_f32_e32 vcc, s2, v0
	s_nop 1
	v_cndmask_b32_e32 v0, v0, v2, vcc
	v_sqrt_f32_e32 v2, v0
	s_nop 0
	v_add_u32_e32 v3, -1, v2
	v_fma_f32 v4, -v3, v2, v0
	v_cmp_ge_f32_e64 s[2:3], 0, v4
	v_add_u32_e32 v4, 1, v2
	s_nop 0
	v_cndmask_b32_e64 v3, v2, v3, s[2:3]
	v_fma_f32 v2, -v4, v2, v0
	v_cmp_lt_f32_e64 s[2:3], 0, v2
	s_nop 1
	v_cndmask_b32_e64 v2, v3, v4, s[2:3]
	v_mul_f32_e32 v3, 0x37800000, v2
	v_cndmask_b32_e32 v2, v2, v3, vcc
	v_mov_b32_e32 v3, 0x260
	v_cmp_class_f32_e32 vcc, v0, v3
	v_and_b32_e32 v3, 0x7fffffff, v1
	s_nop 0
	v_cndmask_b32_e32 v0, v2, v0, vcc
	v_add_f32_e32 v2, v0, v0
	v_div_scale_f32 v4, s[2:3], v2, v2, v3
	v_rcp_f32_e32 v5, v4
	v_div_scale_f32 v3, vcc, v3, v2, v3
	s_brev_b32 s2, -2
	v_fma_f32 v6, -v4, v5, 1.0
	v_fmac_f32_e32 v5, v6, v5
	v_mul_f32_e32 v6, v3, v5
	v_fma_f32 v7, -v4, v6, v3
	v_fmac_f32_e32 v6, v7, v5
	v_fma_f32 v3, -v4, v6, v3
	v_div_fmas_f32 v3, v3, v5, v6
	v_div_fixup_f32 v2, v3, v2, |v1|
	v_bfi_b32 v3, s2, v0, v1
.LBB184_327:
	s_or_b64 exec, exec, s[36:37]
                                        ; implicit-def: $vgpr1
	s_and_saveexec_b64 s[2:3], s[0:1]
	s_xor_b64 s[0:1], exec, s[2:3]
	s_cbranch_execz .LBB184_329
; %bb.328:
	v_pk_mul_f32 v[0:1], v[2:3], 0.5 op_sel_hi:[1,0]
	s_nop 0
	v_cndmask_b32_e64 v0, v2, v0, s[34:35]
	v_cndmask_b32_e64 v1, v3, v1, s[34:35]
                                        ; implicit-def: $vgpr2_vgpr3
	s_andn2_saveexec_b64 s[0:1], s[0:1]
	s_cbranch_execnz .LBB184_330
	s_branch .LBB184_331
.LBB184_329:
	s_andn2_saveexec_b64 s[0:1], s[0:1]
.LBB184_330:
	v_pk_add_f32 v[0:1], v[2:3], v[2:3]
.LBB184_331:
	s_or_b64 exec, exec, s[0:1]
                                        ; implicit-def: $vgpr4
                                        ; implicit-def: $vgpr2
.LBB184_332:
	s_andn2_saveexec_b64 s[0:1], s[30:31]
	s_cbranch_execz .LBB184_338
; %bb.333:
	v_cmp_lt_i16_e32 vcc, -1, v2
	v_sub_f32_e32 v2, v1, v1
	s_brev_b32 s30, -2
	v_and_b32_e32 v0, 0x7fffffff, v2
	s_and_saveexec_b64 s[2:3], vcc
	s_xor_b64 s[2:3], exec, s[2:3]
; %bb.334:
	v_bfi_b32 v1, s30, v2, v1
	v_mov_b32_e32 v0, v4
; %bb.335:
	s_andn2_saveexec_b64 s[2:3], s[2:3]
; %bb.336:
	v_bfi_b32 v1, s30, v4, v1
; %bb.337:
	s_or_b64 exec, exec, s[2:3]
.LBB184_338:
	s_or_b64 exec, exec, s[0:1]
                                        ; implicit-def: $vgpr4
.LBB184_339:
	s_andn2_saveexec_b64 s[0:1], s[28:29]
	s_cbranch_execz .LBB184_341
; %bb.340:
	v_sub_f32_e32 v0, v1, v1
	v_div_scale_f32 v1, vcc, v0, v0, v0
	v_rcp_f32_e32 v2, v1
	s_nop 0
	v_fma_f32 v3, -v1, v2, 1.0
	v_fmac_f32_e32 v2, v3, v2
	v_mul_f32_e32 v3, v1, v2
	v_fma_f32 v5, -v1, v3, v1
	v_fmac_f32_e32 v3, v5, v2
	v_fma_f32 v1, -v1, v3, v1
	v_div_fmas_f32 v1, v1, v2, v3
	v_div_fixup_f32 v1, v1, v0, v0
	v_mov_b32_e32 v0, v4
.LBB184_341:
	s_or_b64 exec, exec, s[0:1]
.LBB184_342:
	s_or_b64 exec, exec, s[26:27]
.LBB184_343:
	s_or_b64 exec, exec, s[22:23]
	v_cmp_gt_f32_e32 vcc, 0, v1
                                        ; implicit-def: $vgpr2_vgpr3
	s_nop 1
	v_cndmask_b32_e64 v5, v1, -v1, vcc
	v_cmp_gt_f32_e32 vcc, 0, v0
	s_nop 1
	v_cndmask_b32_e64 v4, v0, -v0, vcc
	v_cmp_ge_f32_e32 vcc, v4, v5
	s_and_saveexec_b64 s[0:1], vcc
	s_xor_b64 s[2:3], exec, s[0:1]
	s_cbranch_execz .LBB184_349
; %bb.344:
	v_cmp_neq_f32_e32 vcc, 0, v0
	v_cmp_neq_f32_e64 s[0:1], 0, v1
	s_or_b64 s[0:1], vcc, s[0:1]
                                        ; implicit-def: $vgpr2_vgpr3
	s_and_saveexec_b64 s[22:23], s[0:1]
	s_xor_b64 s[0:1], exec, s[22:23]
	s_cbranch_execz .LBB184_346
; %bb.345:
	v_div_scale_f32 v2, s[22:23], v0, v0, v1
	v_rcp_f32_e32 v3, v2
	v_div_scale_f32 v4, vcc, v1, v0, v1
	v_fma_f32 v5, -v2, v3, 1.0
	v_fmac_f32_e32 v3, v5, v3
	v_mul_f32_e32 v5, v4, v3
	v_fma_f32 v6, -v2, v5, v4
	v_fmac_f32_e32 v5, v6, v3
	v_fma_f32 v2, -v2, v5, v4
	v_div_fmas_f32 v2, v2, v3, v5
	v_div_fixup_f32 v3, v2, v0, v1
	v_fmac_f32_e32 v0, v1, v3
	v_div_scale_f32 v1, s[22:23], v0, v0, 1.0
	v_rcp_f32_e32 v2, v1
	s_nop 0
	v_fma_f32 v4, -v1, v2, 1.0
	v_fmac_f32_e32 v2, v4, v2
	v_div_scale_f32 v4, vcc, 1.0, v0, 1.0
	v_mul_f32_e32 v5, v4, v2
	v_fma_f32 v6, -v1, v5, v4
	v_fmac_f32_e32 v5, v6, v2
	v_fma_f32 v1, -v1, v5, v4
	v_div_fmas_f32 v1, v1, v2, v5
	v_div_fixup_f32 v0, v1, v0, 1.0
	v_mul_f32_e32 v1, 0, v3
	v_add_f32_e32 v2, 1.0, v1
	v_sub_f32_e32 v3, 0, v3
	v_pk_mul_f32 v[2:3], v[2:3], v[0:1] op_sel_hi:[1,0]
                                        ; implicit-def: $vgpr5
                                        ; implicit-def: $vgpr4
.LBB184_346:
	s_andn2_saveexec_b64 s[0:1], s[0:1]
	s_cbranch_execz .LBB184_348
; %bb.347:
	v_div_scale_f32 v0, s[22:23], v5, v5, 0
	v_rcp_f32_e32 v1, v0
	v_div_scale_f32 v2, vcc, 0, v5, 0
	v_fma_f32 v3, -v0, v1, 1.0
	v_fmac_f32_e32 v1, v3, v1
	v_mul_f32_e32 v3, v2, v1
	v_fma_f32 v6, -v0, v3, v2
	v_fmac_f32_e32 v3, v6, v1
	v_fma_f32 v0, -v0, v3, v2
	v_div_scale_f32 v2, s[22:23], v4, v4, 1.0
	v_rcp_f32_e32 v6, v2
	v_div_fmas_f32 v0, v0, v1, v3
	v_div_fixup_f32 v3, v0, v5, 0
	v_fma_f32 v0, -v2, v6, 1.0
	v_fmac_f32_e32 v6, v0, v6
	v_div_scale_f32 v0, vcc, 1.0, v4, 1.0
	v_mul_f32_e32 v1, v0, v6
	v_fma_f32 v5, -v2, v1, v0
	v_fmac_f32_e32 v1, v5, v6
	v_fma_f32 v0, -v2, v1, v0
	v_div_fmas_f32 v0, v0, v6, v1
	v_div_fixup_f32 v2, v0, v4, 1.0
.LBB184_348:
	s_or_b64 exec, exec, s[0:1]
                                        ; implicit-def: $vgpr1
.LBB184_349:
	s_andn2_saveexec_b64 s[0:1], s[2:3]
	s_cbranch_execz .LBB184_351
; %bb.350:
	v_div_scale_f32 v2, s[2:3], v1, v1, v0
	v_rcp_f32_e32 v3, v2
	v_div_scale_f32 v4, vcc, v0, v1, v0
	v_fma_f32 v5, -v2, v3, 1.0
	v_fmac_f32_e32 v3, v5, v3
	v_mul_f32_e32 v5, v4, v3
	v_fma_f32 v6, -v2, v5, v4
	v_fmac_f32_e32 v5, v6, v3
	v_fma_f32 v2, -v2, v5, v4
	v_div_fmas_f32 v2, v2, v3, v5
	v_div_fixup_f32 v2, v2, v1, v0
	v_fmac_f32_e32 v1, v0, v2
	v_div_scale_f32 v0, s[2:3], v1, v1, 1.0
	v_rcp_f32_e32 v3, v0
	s_mov_b32 s2, 0
	s_mov_b32 s3, -1.0
	v_fma_f32 v4, -v0, v3, 1.0
	v_fmac_f32_e32 v3, v4, v3
	v_div_scale_f32 v4, vcc, 1.0, v1, 1.0
	v_mul_f32_e32 v5, v4, v3
	v_fma_f32 v6, -v0, v5, v4
	v_fmac_f32_e32 v5, v6, v3
	v_fma_f32 v0, -v0, v5, v4
	v_div_fmas_f32 v0, v0, v3, v5
	v_mul_f32_e32 v3, 0, v2
	v_div_fixup_f32 v0, v0, v1, 1.0
	v_pk_add_f32 v[2:3], v[2:3], s[2:3]
	s_nop 0
	v_pk_mul_f32 v[2:3], v[2:3], v[0:1] op_sel_hi:[1,0]
.LBB184_351:
	s_or_b64 exec, exec, s[0:1]
	v_cvt_f16_f32_e32 v3, v3
	v_cvt_f16_f32_e32 v4, v2
	v_mul_lo_u32 v0, v10, s8
	v_ashrrev_i32_e32 v1, 31, v0
	v_lshlrev_b32_e32 v2, 16, v3
	s_and_b32 s28, s33, 0xff
	v_or_b32_e32 v5, v2, v4
	s_cmp_lt_i32 s28, 11
	v_lshl_add_u64 v[0:1], s[4:5], 0, v[0:1]
	s_cbranch_scc1 .LBB184_358
; %bb.352:
	s_and_b32 s29, 0xffff, s28
	s_cmp_gt_i32 s29, 25
	s_cbranch_scc0 .LBB184_359
; %bb.353:
	s_cmp_gt_i32 s29, 28
	s_cbranch_scc0 .LBB184_360
; %bb.354:
	;; [unrolled: 3-line block ×4, first 2 shown]
	s_mov_b64 s[22:23], 0
	s_mov_b64 s[0:1], -1
	s_cmp_eq_u32 s29, 46
	s_mov_b64 s[2:3], 0
	s_cbranch_scc0 .LBB184_369
; %bb.357:
	v_cvt_f32_f16_e32 v6, v3
	v_cvt_f32_f16_e32 v2, v4
	s_movk_i32 s0, 0x7fff
	v_cmp_o_f16_e32 vcc, v3, v3
	v_bfe_u32 v8, v6, 16, 1
	v_bfe_u32 v7, v2, 16, 1
	v_add3_u32 v6, v6, v8, s0
	v_add3_u32 v2, v2, v7, s0
	v_and_b32_e32 v6, 0xffff0000, v6
	v_mov_b32_e32 v7, 0x7fc00000
	v_cndmask_b32_e32 v6, v7, v6, vcc
	v_cmp_o_f16_e32 vcc, v4, v4
	v_mov_b32_e32 v7, 0x7fc0
	s_mov_b64 s[2:3], -1
	v_cndmask_b32_sdwa v2, v7, v2, vcc dst_sel:DWORD dst_unused:UNUSED_PAD src0_sel:DWORD src1_sel:WORD_1
	v_or_b32_e32 v2, v6, v2
	global_store_dword v[0:1], v2, off
	s_mov_b64 s[0:1], 0
	s_branch .LBB184_369
.LBB184_358:
	s_mov_b64 s[22:23], -1
	s_mov_b64 s[2:3], 0
	s_mov_b64 s[0:1], s[14:15]
	s_branch .LBB184_438
.LBB184_359:
	s_mov_b64 s[22:23], -1
	s_mov_b64 s[2:3], 0
	s_mov_b64 s[0:1], s[14:15]
	s_branch .LBB184_396
.LBB184_360:
	s_mov_b64 s[22:23], -1
	s_mov_b64 s[2:3], 0
	s_mov_b64 s[0:1], s[14:15]
	s_branch .LBB184_379
.LBB184_361:
	s_mov_b64 s[22:23], -1
	s_mov_b64 s[2:3], 0
	s_mov_b64 s[0:1], s[14:15]
	s_branch .LBB184_375
.LBB184_362:
	s_andn2_saveexec_b64 s[20:21], s[20:21]
	s_cbranch_execz .LBB184_105
.LBB184_363:
	s_mov_b32 s26, 0x42800000
	v_add_f32_e64 v6, |v2|, s26
	v_and_b32_e32 v6, 0xff, v6
	v_cmp_ne_u32_e32 vcc, 0, v6
	s_andn2_b64 s[14:15], s[14:15], exec
	s_and_b64 s[26:27], vcc, exec
	s_or_b64 s[14:15], s[14:15], s[26:27]
	s_or_b64 exec, exec, s[20:21]
	v_mov_b32_e32 v7, 0
	s_and_saveexec_b64 s[20:21], s[14:15]
	s_cbranch_execnz .LBB184_106
	s_branch .LBB184_107
.LBB184_364:
	s_mov_b64 s[20:21], -1
                                        ; implicit-def: $vgpr3
                                        ; implicit-def: $vgpr2
	s_mov_b64 s[0:1], 0
.LBB184_365:
	s_and_b64 vcc, exec, s[2:3]
	s_cbranch_vccz .LBB184_482
; %bb.366:
	s_cmp_eq_u32 s26, 44
	s_cbranch_scc0 .LBB184_480
; %bb.367:
	global_load_ubyte v2, v[0:1], off
	s_movk_i32 s2, 0xff
	v_mov_b32_e32 v4, 0x7e00
	s_mov_b64 s[0:1], -1
	s_mov_b64 s[20:21], 0
	s_waitcnt vmcnt(0)
	v_lshlrev_b32_e32 v3, 23, v2
	v_cvt_f16_f32_e32 v3, v3
	v_cmp_ne_u32_e32 vcc, s2, v2
	s_nop 1
	v_cndmask_b32_e32 v3, v4, v3, vcc
	v_cmp_ne_u32_e32 vcc, 0, v2
	s_nop 1
	v_cndmask_b32_e32 v2, 0, v3, vcc
	s_branch .LBB184_481
.LBB184_368:
	s_mov_b64 s[22:23], -1
	s_mov_b64 s[2:3], 0
	s_mov_b64 s[0:1], s[14:15]
.LBB184_369:
	s_and_b64 vcc, exec, s[22:23]
	s_cbranch_vccz .LBB184_374
; %bb.370:
	s_cmp_eq_u32 s29, 44
	s_mov_b64 s[0:1], -1
	s_cbranch_scc0 .LBB184_374
; %bb.371:
	v_cvt_f32_f16_e32 v2, v4
	s_movk_i32 s0, 0xff
	v_mov_b32_e32 v7, 0xff
	v_bfe_u32 v6, v2, 23, 8
	v_cmp_ne_u32_e32 vcc, s0, v6
	s_and_saveexec_b64 s[2:3], vcc
; %bb.372:
	s_mov_b32 s0, 0x3fffff
	v_lshrrev_b32_e32 v7, 23, v2
	v_and_b32_e32 v8, 0x400000, v2
	v_and_or_b32 v2, v2, s0, v6
	v_cmp_ne_u32_e32 vcc, 0, v8
	v_cmp_ne_u32_e64 s[0:1], 0, v2
	s_and_b64 s[0:1], vcc, s[0:1]
	s_nop 0
	v_cndmask_b32_e64 v2, 0, 1, s[0:1]
	v_add_u32_e32 v7, v7, v2
; %bb.373:
	s_or_b64 exec, exec, s[2:3]
	s_mov_b64 s[2:3], -1
	s_mov_b64 s[0:1], 0
	global_store_byte v[0:1], v7, off
.LBB184_374:
	s_mov_b64 s[22:23], 0
.LBB184_375:
	s_and_b64 vcc, exec, s[22:23]
	s_cbranch_vccz .LBB184_378
; %bb.376:
	s_cmp_eq_u32 s29, 29
	s_mov_b64 s[0:1], -1
	s_cbranch_scc0 .LBB184_378
; %bb.377:
	v_cvt_f32_f16_e32 v2, v4
	v_mov_b32_e32 v7, 0
	s_mov_b64 s[2:3], -1
	s_mov_b64 s[0:1], 0
	v_cvt_u32_f32_e32 v6, v2
	s_mov_b64 s[22:23], 0
	global_store_dwordx2 v[0:1], v[6:7], off
	s_branch .LBB184_379
.LBB184_378:
	s_mov_b64 s[22:23], 0
.LBB184_379:
	s_and_b64 vcc, exec, s[22:23]
	s_cbranch_vccz .LBB184_395
; %bb.380:
	s_cmp_lt_i32 s29, 27
	s_mov_b64 s[2:3], -1
	s_cbranch_scc1 .LBB184_386
; %bb.381:
	s_cmp_gt_i32 s29, 27
	s_cbranch_scc0 .LBB184_383
; %bb.382:
	v_cvt_f32_f16_e32 v2, v4
	s_mov_b64 s[2:3], 0
	v_cvt_u32_f32_e32 v2, v2
	global_store_dword v[0:1], v2, off
.LBB184_383:
	s_andn2_b64 vcc, exec, s[2:3]
	s_cbranch_vccnz .LBB184_385
; %bb.384:
	v_cvt_u16_f16_e32 v2, v4
	global_store_short v[0:1], v2, off
.LBB184_385:
	s_mov_b64 s[2:3], 0
.LBB184_386:
	s_andn2_b64 vcc, exec, s[2:3]
	s_cbranch_vccnz .LBB184_394
; %bb.387:
	v_cvt_f32_f16_e32 v2, v4
	s_mov_b32 s2, 0x43800000
	v_mov_b32_e32 v7, 0x80
	v_and_b32_e32 v6, 0x7fffffff, v2
	v_cmp_gt_u32_e32 vcc, s2, v6
	s_and_saveexec_b64 s[2:3], vcc
	s_cbranch_execz .LBB184_393
; %bb.388:
	s_mov_b32 s22, 0x3bffffff
	v_cmp_lt_u32_e32 vcc, s22, v6
	s_mov_b64 s[22:23], 0
                                        ; implicit-def: $vgpr6
	s_and_saveexec_b64 s[26:27], vcc
	s_xor_b64 s[26:27], exec, s[26:27]
	s_cbranch_execz .LBB184_610
; %bb.389:
	v_bfe_u32 v6, v2, 20, 1
	s_mov_b32 s30, 0x487ffff
	v_add3_u32 v6, v2, v6, s30
	s_mov_b64 s[22:23], exec
	v_lshrrev_b32_e32 v6, 20, v6
	s_andn2_saveexec_b64 s[26:27], s[26:27]
	s_cbranch_execnz .LBB184_611
.LBB184_390:
	s_or_b64 exec, exec, s[26:27]
	v_mov_b32_e32 v7, 0
	s_and_saveexec_b64 s[26:27], s[22:23]
.LBB184_391:
	v_lshrrev_b32_e32 v2, 24, v2
	s_movk_i32 s22, 0x80
	v_and_or_b32 v7, v2, s22, v6
.LBB184_392:
	s_or_b64 exec, exec, s[26:27]
.LBB184_393:
	s_or_b64 exec, exec, s[2:3]
	global_store_byte v[0:1], v7, off
.LBB184_394:
	s_mov_b64 s[2:3], -1
.LBB184_395:
	s_mov_b64 s[22:23], 0
.LBB184_396:
	s_and_b64 vcc, exec, s[22:23]
	s_cbranch_vccz .LBB184_437
; %bb.397:
	s_cmp_gt_i32 s29, 22
	s_mov_b64 s[22:23], -1
	s_cbranch_scc0 .LBB184_429
; %bb.398:
	s_cmp_lt_i32 s29, 24
	s_mov_b64 s[2:3], -1
	s_cbranch_scc1 .LBB184_418
; %bb.399:
	s_cmp_gt_i32 s29, 24
	s_cbranch_scc0 .LBB184_407
; %bb.400:
	v_cvt_f32_f16_e32 v2, v4
	s_mov_b32 s2, 0x47800000
	v_mov_b32_e32 v7, 0x80
	v_and_b32_e32 v6, 0x7fffffff, v2
	v_cmp_gt_u32_e32 vcc, s2, v6
	s_and_saveexec_b64 s[2:3], vcc
	s_cbranch_execz .LBB184_406
; %bb.401:
	s_mov_b32 s22, 0x37ffffff
	v_cmp_lt_u32_e32 vcc, s22, v6
	s_mov_b64 s[22:23], 0
                                        ; implicit-def: $vgpr6
	s_and_saveexec_b64 s[26:27], vcc
	s_xor_b64 s[26:27], exec, s[26:27]
	s_cbranch_execz .LBB184_613
; %bb.402:
	v_bfe_u32 v6, v2, 21, 1
	s_mov_b32 s30, 0x88fffff
	v_add3_u32 v6, v2, v6, s30
	s_mov_b64 s[22:23], exec
	v_lshrrev_b32_e32 v6, 21, v6
	s_andn2_saveexec_b64 s[26:27], s[26:27]
	s_cbranch_execnz .LBB184_614
.LBB184_403:
	s_or_b64 exec, exec, s[26:27]
	v_mov_b32_e32 v7, 0
	s_and_saveexec_b64 s[26:27], s[22:23]
.LBB184_404:
	v_lshrrev_b32_e32 v2, 24, v2
	s_movk_i32 s22, 0x80
	v_and_or_b32 v7, v2, s22, v6
.LBB184_405:
	s_or_b64 exec, exec, s[26:27]
.LBB184_406:
	s_or_b64 exec, exec, s[2:3]
	s_mov_b64 s[2:3], 0
	global_store_byte v[0:1], v7, off
.LBB184_407:
	s_and_b64 vcc, exec, s[2:3]
	s_cbranch_vccz .LBB184_417
; %bb.408:
	v_cvt_f32_f16_e32 v2, v4
	s_mov_b32 s2, 0x43f00000
                                        ; implicit-def: $vgpr6
	v_and_b32_e32 v7, 0x7fffffff, v2
	v_cmp_gt_u32_e32 vcc, s2, v7
	s_and_saveexec_b64 s[2:3], vcc
	s_xor_b64 s[2:3], exec, s[2:3]
	s_cbranch_execz .LBB184_414
; %bb.409:
	s_mov_b32 s22, 0x3c7fffff
	v_cmp_lt_u32_e32 vcc, s22, v7
                                        ; implicit-def: $vgpr6
	s_and_saveexec_b64 s[22:23], vcc
	s_xor_b64 s[22:23], exec, s[22:23]
; %bb.410:
	v_bfe_u32 v6, v2, 20, 1
	s_mov_b32 s26, 0x407ffff
	v_add3_u32 v6, v2, v6, s26
	v_lshrrev_b32_e32 v7, 20, v6
	v_and_b32_e32 v6, 0xff00000, v6
	s_mov_b32 s26, 0x7f00000
	v_mov_b32_e32 v8, 0x7e
	v_cmp_ne_u32_e32 vcc, s26, v6
	s_nop 1
	v_cndmask_b32_e32 v6, v8, v7, vcc
; %bb.411:
	s_andn2_saveexec_b64 s[22:23], s[22:23]
; %bb.412:
	s_mov_b32 s26, 0x46800000
	v_add_f32_e64 v6, |v2|, s26
; %bb.413:
	s_or_b64 exec, exec, s[22:23]
                                        ; implicit-def: $vgpr7
.LBB184_414:
	s_andn2_saveexec_b64 s[2:3], s[2:3]
; %bb.415:
	s_mov_b32 s22, 0x7f800000
	v_mov_b32_e32 v6, 0x7e
	v_mov_b32_e32 v8, 0x7f
	v_cmp_lt_u32_e32 vcc, s22, v7
	s_nop 1
	v_cndmask_b32_e32 v6, v6, v8, vcc
; %bb.416:
	s_or_b64 exec, exec, s[2:3]
	v_lshrrev_b32_e32 v2, 24, v2
	s_movk_i32 s2, 0x80
	v_and_or_b32 v2, v2, s2, v6
	global_store_byte v[0:1], v2, off
.LBB184_417:
	s_mov_b64 s[2:3], 0
.LBB184_418:
	s_andn2_b64 vcc, exec, s[2:3]
	s_cbranch_vccnz .LBB184_428
; %bb.419:
	v_cvt_f32_f16_e32 v2, v4
	s_mov_b32 s2, 0x47800000
                                        ; implicit-def: $vgpr6
	v_and_b32_e32 v7, 0x7fffffff, v2
	v_cmp_gt_u32_e32 vcc, s2, v7
	s_and_saveexec_b64 s[2:3], vcc
	s_xor_b64 s[2:3], exec, s[2:3]
	s_cbranch_execz .LBB184_425
; %bb.420:
	s_mov_b32 s22, 0x387fffff
	v_cmp_lt_u32_e32 vcc, s22, v7
                                        ; implicit-def: $vgpr6
	s_and_saveexec_b64 s[22:23], vcc
	s_xor_b64 s[22:23], exec, s[22:23]
; %bb.421:
	v_bfe_u32 v6, v2, 21, 1
	s_mov_b32 s26, 0x80fffff
	v_add3_u32 v6, v2, v6, s26
	v_lshrrev_b32_e32 v6, 21, v6
; %bb.422:
	s_andn2_saveexec_b64 s[22:23], s[22:23]
; %bb.423:
	s_mov_b32 s26, 0x43000000
	v_add_f32_e64 v6, |v2|, s26
; %bb.424:
	s_or_b64 exec, exec, s[22:23]
                                        ; implicit-def: $vgpr7
.LBB184_425:
	s_andn2_saveexec_b64 s[2:3], s[2:3]
; %bb.426:
	s_mov_b32 s22, 0x7f800000
	v_mov_b32_e32 v6, 0x7c
	v_mov_b32_e32 v8, 0x7f
	v_cmp_lt_u32_e32 vcc, s22, v7
	s_nop 1
	v_cndmask_b32_e32 v6, v6, v8, vcc
; %bb.427:
	s_or_b64 exec, exec, s[2:3]
	v_lshrrev_b32_e32 v2, 24, v2
	s_movk_i32 s2, 0x80
	v_and_or_b32 v2, v2, s2, v6
	global_store_byte v[0:1], v2, off
.LBB184_428:
	s_mov_b64 s[22:23], 0
	s_mov_b64 s[2:3], -1
.LBB184_429:
	s_andn2_b64 vcc, exec, s[22:23]
	s_cbranch_vccnz .LBB184_437
; %bb.430:
	s_cmp_gt_i32 s29, 14
	s_mov_b64 s[22:23], -1
	s_cbranch_scc0 .LBB184_434
; %bb.431:
	s_cmp_eq_u32 s29, 15
	s_mov_b64 s[0:1], -1
	s_cbranch_scc0 .LBB184_433
; %bb.432:
	v_cvt_f32_f16_e32 v2, v4
	s_movk_i32 s0, 0x7fff
	v_cmp_o_f16_e32 vcc, v4, v4
	v_mov_b32_e32 v6, 0x7fc0
	v_bfe_u32 v7, v2, 16, 1
	v_add3_u32 v2, v2, v7, s0
	v_cndmask_b32_sdwa v2, v6, v2, vcc dst_sel:DWORD dst_unused:UNUSED_PAD src0_sel:DWORD src1_sel:WORD_1
	global_store_short v[0:1], v2, off
	s_mov_b64 s[2:3], -1
	s_mov_b64 s[0:1], 0
.LBB184_433:
	s_mov_b64 s[22:23], 0
.LBB184_434:
	s_and_b64 vcc, exec, s[22:23]
	s_cbranch_vccz .LBB184_437
; %bb.435:
	s_cmp_eq_u32 s29, 11
	s_mov_b64 s[0:1], -1
	s_cbranch_scc0 .LBB184_437
; %bb.436:
	v_and_b32_e32 v2, 0x7fff7fff, v5
	v_cmp_ne_u32_e32 vcc, 0, v2
	s_mov_b64 s[2:3], -1
	s_mov_b64 s[0:1], 0
	v_cndmask_b32_e64 v2, 0, 1, vcc
	global_store_byte v[0:1], v2, off
.LBB184_437:
	s_mov_b64 s[22:23], 0
.LBB184_438:
	s_and_b64 vcc, exec, s[22:23]
	s_cbranch_vccz .LBB184_477
; %bb.439:
	s_and_b32 s22, 0xffff, s28
	s_cmp_lt_i32 s22, 5
	s_mov_b64 s[2:3], -1
	s_cbranch_scc1 .LBB184_460
; %bb.440:
	s_cmp_lt_i32 s22, 8
	s_cbranch_scc1 .LBB184_450
; %bb.441:
	s_cmp_lt_i32 s22, 9
	s_cbranch_scc1 .LBB184_447
; %bb.442:
	v_cvt_f32_f16_e32 v3, v3
	s_cmp_gt_i32 s22, 9
	s_cbranch_scc0 .LBB184_444
; %bb.443:
	v_cvt_f32_f16_e32 v2, v4
	v_cvt_f64_f32_e32 v[8:9], v3
	s_mov_b64 s[2:3], 0
	v_cvt_f64_f32_e32 v[6:7], v2
	global_store_dwordx4 v[0:1], v[6:9], off
.LBB184_444:
	s_andn2_b64 vcc, exec, s[2:3]
	s_cbranch_vccnz .LBB184_446
; %bb.445:
	v_cvt_f32_f16_e32 v2, v4
	global_store_dwordx2 v[0:1], v[2:3], off
.LBB184_446:
	s_mov_b64 s[2:3], 0
.LBB184_447:
	s_andn2_b64 vcc, exec, s[2:3]
	s_cbranch_vccnz .LBB184_449
; %bb.448:
	global_store_dword v[0:1], v5, off
.LBB184_449:
	s_mov_b64 s[2:3], 0
.LBB184_450:
	s_andn2_b64 vcc, exec, s[2:3]
	s_cbranch_vccnz .LBB184_459
; %bb.451:
	s_cmp_lt_i32 s22, 6
	s_mov_b64 s[2:3], -1
	s_cbranch_scc1 .LBB184_457
; %bb.452:
	s_cmp_gt_i32 s22, 6
	s_cbranch_scc0 .LBB184_454
; %bb.453:
	v_cvt_f32_f16_e32 v2, v4
	s_mov_b64 s[2:3], 0
	v_cvt_f64_f32_e32 v[2:3], v2
	global_store_dwordx2 v[0:1], v[2:3], off
.LBB184_454:
	s_andn2_b64 vcc, exec, s[2:3]
	s_cbranch_vccnz .LBB184_456
; %bb.455:
	v_cvt_f32_f16_e32 v2, v4
	global_store_dword v[0:1], v2, off
.LBB184_456:
	s_mov_b64 s[2:3], 0
.LBB184_457:
	s_andn2_b64 vcc, exec, s[2:3]
	s_cbranch_vccnz .LBB184_459
; %bb.458:
	global_store_short v[0:1], v4, off
.LBB184_459:
	s_mov_b64 s[2:3], 0
.LBB184_460:
	s_andn2_b64 vcc, exec, s[2:3]
	s_cbranch_vccnz .LBB184_476
; %bb.461:
	s_cmp_lt_i32 s22, 2
	s_mov_b64 s[2:3], -1
	s_cbranch_scc1 .LBB184_471
; %bb.462:
	s_cmp_lt_i32 s22, 3
	s_cbranch_scc1 .LBB184_468
; %bb.463:
	s_cmp_gt_i32 s22, 3
	s_cbranch_scc0 .LBB184_465
; %bb.464:
	v_cvt_f32_f16_e32 v2, v4
	s_mov_b64 s[2:3], 0
	v_cvt_i32_f32_e32 v2, v2
	v_ashrrev_i32_e32 v3, 31, v2
	global_store_dwordx2 v[0:1], v[2:3], off
.LBB184_465:
	s_andn2_b64 vcc, exec, s[2:3]
	s_cbranch_vccnz .LBB184_467
; %bb.466:
	v_cvt_f32_f16_e32 v2, v4
	v_cvt_i32_f32_e32 v2, v2
	global_store_dword v[0:1], v2, off
.LBB184_467:
	s_mov_b64 s[2:3], 0
.LBB184_468:
	s_andn2_b64 vcc, exec, s[2:3]
	s_cbranch_vccnz .LBB184_470
; %bb.469:
	v_cvt_i16_f16_e32 v2, v4
	global_store_short v[0:1], v2, off
.LBB184_470:
	s_mov_b64 s[2:3], 0
.LBB184_471:
	s_andn2_b64 vcc, exec, s[2:3]
	s_cbranch_vccnz .LBB184_476
; %bb.472:
	s_cmp_gt_i32 s22, 0
	s_mov_b64 s[2:3], -1
	s_cbranch_scc0 .LBB184_474
; %bb.473:
	v_cvt_i16_f16_e32 v2, v4
	s_mov_b64 s[2:3], 0
	global_store_byte v[0:1], v2, off
.LBB184_474:
	s_andn2_b64 vcc, exec, s[2:3]
	s_cbranch_vccnz .LBB184_476
; %bb.475:
	v_cvt_f32_f16_e32 v2, v4
	v_cvt_i32_f32_e32 v2, v2
	global_store_byte v[0:1], v2, off
.LBB184_476:
	s_mov_b64 s[2:3], -1
.LBB184_477:
	s_andn2_b64 vcc, exec, s[2:3]
	s_cbranch_vccnz .LBB184_479
; %bb.478:
	v_add_u32_e32 v10, 0x80, v10
	s_mov_b64 s[2:3], -1
	s_branch .LBB184_596
.LBB184_479:
	s_mov_b64 s[2:3], 0
                                        ; implicit-def: $vgpr10
	s_branch .LBB184_596
.LBB184_480:
	s_mov_b64 s[20:21], -1
                                        ; implicit-def: $vgpr2
.LBB184_481:
	v_mov_b32_e32 v3, 0
.LBB184_482:
	s_mov_b64 s[2:3], 0
.LBB184_483:
	s_and_b64 vcc, exec, s[2:3]
	s_cbranch_vccz .LBB184_488
; %bb.484:
	s_cmp_eq_u32 s26, 29
	s_cbranch_scc0 .LBB184_486
; %bb.485:
	global_load_dwordx2 v[2:3], v[0:1], off
	s_mov_b64 s[0:1], -1
	s_mov_b64 s[20:21], 0
	s_waitcnt vmcnt(0)
	v_ffbh_u32_e32 v4, v3
	v_min_u32_e32 v4, 32, v4
	v_lshlrev_b64 v[2:3], v4, v[2:3]
	v_min_u32_e32 v2, 1, v2
	v_or_b32_e32 v2, v3, v2
	v_cvt_f32_u32_e32 v2, v2
	v_sub_u32_e32 v3, 32, v4
	v_ldexp_f32 v2, v2, v3
	v_cvt_f16_f32_e32 v2, v2
	s_branch .LBB184_487
.LBB184_486:
	s_mov_b64 s[20:21], -1
                                        ; implicit-def: $vgpr2
.LBB184_487:
	v_mov_b32_e32 v3, 0
.LBB184_488:
	s_mov_b64 s[2:3], 0
.LBB184_489:
	s_and_b64 vcc, exec, s[2:3]
	s_cbranch_vccz .LBB184_507
; %bb.490:
	s_cmp_lt_i32 s26, 27
	s_cbranch_scc1 .LBB184_493
; %bb.491:
	s_cmp_gt_i32 s26, 27
	s_cbranch_scc0 .LBB184_494
; %bb.492:
	global_load_dword v2, v[0:1], off
	s_mov_b64 s[0:1], 0
	s_waitcnt vmcnt(0)
	v_cvt_f32_u32_e32 v2, v2
	v_cvt_f16_f32_e32 v2, v2
	s_branch .LBB184_495
.LBB184_493:
	s_mov_b64 s[0:1], -1
                                        ; implicit-def: $vgpr2
	s_branch .LBB184_498
.LBB184_494:
	s_mov_b64 s[0:1], -1
                                        ; implicit-def: $vgpr2
.LBB184_495:
	s_andn2_b64 vcc, exec, s[0:1]
	s_cbranch_vccnz .LBB184_497
; %bb.496:
	global_load_ushort v2, v[0:1], off
	s_waitcnt vmcnt(0)
	v_cvt_f16_u16_e32 v2, v2
.LBB184_497:
	s_mov_b64 s[0:1], 0
.LBB184_498:
	s_andn2_b64 vcc, exec, s[0:1]
	s_cbranch_vccnz .LBB184_506
; %bb.499:
	global_load_ubyte v3, v[0:1], off
	s_movk_i32 s0, 0x7f
	s_waitcnt vmcnt(0)
	v_cmp_lt_i16_e32 vcc, s0, v3
	s_mov_b64 s[0:1], 0
	s_and_saveexec_b64 s[2:3], vcc
	s_xor_b64 s[2:3], exec, s[2:3]
	s_cbranch_execz .LBB184_520
; %bb.500:
	s_movk_i32 s0, 0x80
	v_cmp_eq_u16_e32 vcc, s0, v3
	s_mov_b64 s[0:1], -1
	s_and_saveexec_b64 s[22:23], vcc
; %bb.501:
	s_xor_b64 s[0:1], exec, -1
; %bb.502:
	s_or_b64 exec, exec, s[22:23]
	s_and_b64 s[0:1], s[0:1], exec
	s_or_saveexec_b64 s[2:3], s[2:3]
	v_mov_b32_e32 v2, 0x7e00
	s_xor_b64 exec, exec, s[2:3]
	s_cbranch_execnz .LBB184_521
.LBB184_503:
	s_or_b64 exec, exec, s[2:3]
	s_and_saveexec_b64 s[2:3], s[0:1]
	s_cbranch_execz .LBB184_505
.LBB184_504:
	v_lshlrev_b32_e32 v2, 24, v3
	v_and_b32_e32 v3, 0xffff, v3
	v_and_b32_e32 v4, 7, v3
	v_ffbh_u32_e32 v6, v4
	v_min_u32_e32 v6, 32, v6
	v_subrev_u32_e32 v7, 28, v6
	v_bfe_u32 v5, v3, 3, 4
	v_lshlrev_b32_e32 v3, v7, v3
	v_sub_u32_e32 v6, 29, v6
	v_and_b32_e32 v3, 7, v3
	v_cmp_eq_u32_e32 vcc, 0, v5
	v_and_b32_e32 v2, 0x80000000, v2
	s_nop 0
	v_cndmask_b32_e32 v5, v5, v6, vcc
	v_cndmask_b32_e32 v3, v4, v3, vcc
	v_mov_b32_e32 v4, 0x3b800000
	v_lshlrev_b32_e32 v3, 20, v3
	v_lshl_add_u32 v4, v5, 23, v4
	v_or3_b32 v2, v2, v4, v3
	v_cvt_f16_f32_e32 v2, v2
.LBB184_505:
	s_or_b64 exec, exec, s[2:3]
.LBB184_506:
	s_mov_b64 s[0:1], -1
	v_mov_b32_e32 v3, 0
.LBB184_507:
	s_mov_b64 s[2:3], 0
.LBB184_508:
	s_and_b64 vcc, exec, s[2:3]
	s_cbranch_vccz .LBB184_544
; %bb.509:
	s_cmp_gt_i32 s26, 22
	s_cbranch_scc0 .LBB184_519
; %bb.510:
	s_cmp_lt_i32 s26, 24
	s_cbranch_scc1 .LBB184_522
; %bb.511:
	s_cmp_gt_i32 s26, 24
	s_cbranch_scc0 .LBB184_523
; %bb.512:
	global_load_ubyte v3, v[0:1], off
	s_movk_i32 s0, 0x7f
	s_waitcnt vmcnt(0)
	v_cmp_lt_i16_e32 vcc, s0, v3
	s_mov_b64 s[0:1], 0
	s_and_saveexec_b64 s[2:3], vcc
	s_xor_b64 s[2:3], exec, s[2:3]
	s_cbranch_execz .LBB184_535
; %bb.513:
	s_movk_i32 s0, 0x80
	v_cmp_eq_u16_e32 vcc, s0, v3
	s_mov_b64 s[0:1], -1
	s_and_saveexec_b64 s[22:23], vcc
; %bb.514:
	s_xor_b64 s[0:1], exec, -1
; %bb.515:
	s_or_b64 exec, exec, s[22:23]
	s_and_b64 s[0:1], s[0:1], exec
	s_or_saveexec_b64 s[2:3], s[2:3]
	v_mov_b32_e32 v2, 0x7e00
	s_xor_b64 exec, exec, s[2:3]
	s_cbranch_execnz .LBB184_536
.LBB184_516:
	s_or_b64 exec, exec, s[2:3]
	s_and_saveexec_b64 s[2:3], s[0:1]
	s_cbranch_execz .LBB184_518
.LBB184_517:
	v_lshlrev_b32_e32 v2, 24, v3
	v_and_b32_e32 v3, 0xffff, v3
	v_and_b32_e32 v4, 3, v3
	v_ffbh_u32_e32 v6, v4
	v_min_u32_e32 v6, 32, v6
	v_subrev_u32_e32 v7, 29, v6
	v_bfe_u32 v5, v3, 2, 5
	v_lshlrev_b32_e32 v3, v7, v3
	v_sub_u32_e32 v6, 30, v6
	v_and_b32_e32 v3, 3, v3
	v_cmp_eq_u32_e32 vcc, 0, v5
	v_and_b32_e32 v2, 0x80000000, v2
	s_nop 0
	v_cndmask_b32_e32 v5, v5, v6, vcc
	v_cndmask_b32_e32 v3, v4, v3, vcc
	v_mov_b32_e32 v4, 0x37800000
	v_lshlrev_b32_e32 v3, 21, v3
	v_lshl_add_u32 v4, v5, 23, v4
	v_or3_b32 v2, v2, v4, v3
	v_cvt_f16_f32_e32 v2, v2
.LBB184_518:
	s_or_b64 exec, exec, s[2:3]
	s_mov_b64 s[0:1], 0
	s_branch .LBB184_524
.LBB184_519:
	s_mov_b64 s[2:3], -1
                                        ; implicit-def: $vgpr2
	s_branch .LBB184_530
.LBB184_520:
	s_or_saveexec_b64 s[2:3], s[2:3]
	v_mov_b32_e32 v2, 0x7e00
	s_xor_b64 exec, exec, s[2:3]
	s_cbranch_execz .LBB184_503
.LBB184_521:
	v_cmp_ne_u16_e32 vcc, 0, v3
	s_andn2_b64 s[0:1], s[0:1], exec
	s_and_b64 s[22:23], vcc, exec
	s_or_b64 s[0:1], s[0:1], s[22:23]
	v_mov_b32_e32 v2, v3
	s_or_b64 exec, exec, s[2:3]
	s_and_saveexec_b64 s[2:3], s[0:1]
	s_cbranch_execnz .LBB184_504
	s_branch .LBB184_505
.LBB184_522:
	s_mov_b64 s[0:1], -1
                                        ; implicit-def: $vgpr2
	s_branch .LBB184_527
.LBB184_523:
	s_mov_b64 s[0:1], -1
                                        ; implicit-def: $vgpr2
.LBB184_524:
	s_and_b64 vcc, exec, s[0:1]
	s_cbranch_vccz .LBB184_526
; %bb.525:
	global_load_ubyte v2, v[0:1], off
	s_mov_b32 s0, 0x7f800000
	s_waitcnt vmcnt(0)
	v_lshlrev_b32_e32 v2, 24, v2
	v_and_b32_e32 v3, 0x7f000000, v2
	v_ffbh_u32_e32 v4, v3
	v_min_u32_e32 v4, 32, v4
	v_sub_u32_e64 v4, v4, 4 clamp
	v_lshlrev_b32_e32 v6, v4, v3
	v_lshlrev_b32_e32 v4, 23, v4
	v_lshrrev_b32_e32 v6, 4, v6
	v_add_u32_e32 v5, 0x1000000, v3
	v_sub_u32_e32 v4, v6, v4
	v_ashrrev_i32_e32 v5, 8, v5
	v_add_u32_e32 v4, 0x3c000000, v4
	v_and_or_b32 v4, v5, s0, v4
	v_cmp_ne_u32_e32 vcc, 0, v3
	s_brev_b32 s0, 1
	s_nop 0
	v_cndmask_b32_e32 v3, 0, v4, vcc
	v_and_or_b32 v2, v2, s0, v3
	v_cvt_f16_f32_e32 v2, v2
.LBB184_526:
	s_mov_b64 s[0:1], 0
.LBB184_527:
	s_andn2_b64 vcc, exec, s[0:1]
	s_cbranch_vccnz .LBB184_529
; %bb.528:
	global_load_ubyte v2, v[0:1], off
	s_movk_i32 s0, 0x7f00
	s_brev_b32 s1, 16
	s_waitcnt vmcnt(0)
	v_lshlrev_b16_e32 v3, 8, v2
	v_lshlrev_b32_e32 v2, 25, v2
	v_lshrrev_b32_e32 v4, 4, v2
	v_and_or_b32 v5, v3, s0, 0.5
	v_or_b32_e32 v4, 0x70000000, v4
	v_add_f32_e32 v5, -0.5, v5
	v_mul_f32_e32 v4, 0x7800000, v4
	v_cmp_gt_u32_e32 vcc, s1, v2
	v_bfe_i32 v3, v3, 0, 16
	s_brev_b32 s0, 1
	v_cndmask_b32_e32 v2, v4, v5, vcc
	v_and_or_b32 v2, v3, s0, v2
	v_cvt_f16_f32_e32 v2, v2
.LBB184_529:
	s_mov_b64 s[2:3], 0
	s_mov_b64 s[0:1], -1
.LBB184_530:
	s_andn2_b64 vcc, exec, s[2:3]
	s_cbranch_vccnz .LBB184_543
; %bb.531:
	s_cmp_gt_i32 s26, 14
	s_cbranch_scc0 .LBB184_534
; %bb.532:
	s_cmp_eq_u32 s26, 15
	s_cbranch_scc0 .LBB184_537
; %bb.533:
	global_load_ushort v2, v[0:1], off
	s_mov_b64 s[0:1], -1
	s_mov_b64 s[20:21], 0
	s_waitcnt vmcnt(0)
	v_lshlrev_b32_e32 v2, 16, v2
	v_cvt_f16_f32_e32 v2, v2
	s_branch .LBB184_538
.LBB184_534:
	s_mov_b64 s[2:3], -1
                                        ; implicit-def: $vgpr2
	s_branch .LBB184_539
.LBB184_535:
	s_or_saveexec_b64 s[2:3], s[2:3]
	v_mov_b32_e32 v2, 0x7e00
	s_xor_b64 exec, exec, s[2:3]
	s_cbranch_execz .LBB184_516
.LBB184_536:
	v_cmp_ne_u16_e32 vcc, 0, v3
	s_andn2_b64 s[0:1], s[0:1], exec
	s_and_b64 s[22:23], vcc, exec
	s_or_b64 s[0:1], s[0:1], s[22:23]
	v_mov_b32_e32 v2, v3
	s_or_b64 exec, exec, s[2:3]
	s_and_saveexec_b64 s[2:3], s[0:1]
	s_cbranch_execnz .LBB184_517
	s_branch .LBB184_518
.LBB184_537:
	s_mov_b64 s[20:21], -1
                                        ; implicit-def: $vgpr2
.LBB184_538:
	s_mov_b64 s[2:3], 0
.LBB184_539:
	s_and_b64 vcc, exec, s[2:3]
	s_cbranch_vccz .LBB184_543
; %bb.540:
	s_cmp_eq_u32 s26, 11
	s_cbranch_scc0 .LBB184_542
; %bb.541:
	global_load_ubyte v2, v[0:1], off
	v_mov_b32_e32 v3, 0x3c00
	s_mov_b64 s[0:1], -1
	s_mov_b64 s[20:21], 0
	s_waitcnt vmcnt(0)
	v_cmp_ne_u16_e32 vcc, 0, v2
	s_nop 1
	v_cndmask_b32_e32 v2, 0, v3, vcc
	s_branch .LBB184_543
.LBB184_542:
	s_mov_b64 s[20:21], -1
                                        ; implicit-def: $vgpr2
.LBB184_543:
	v_mov_b32_e32 v3, 0
.LBB184_544:
	s_branch .LBB184_306
.LBB184_545:
	s_cmp_lt_i32 s26, 5
	s_cbranch_scc1 .LBB184_550
; %bb.546:
	s_cmp_lt_i32 s26, 8
	s_cbranch_scc1 .LBB184_551
; %bb.547:
	;; [unrolled: 3-line block ×3, first 2 shown]
	s_cmp_gt_i32 s26, 9
	s_cbranch_scc0 .LBB184_553
; %bb.549:
	global_load_dwordx4 v[2:5], v[0:1], off
	s_movk_i32 s0, 0x1ff
	s_movk_i32 s1, 0xffe
	v_mov_b32_e32 v6, 0x7c00
	v_mov_b32_e32 v7, 0x7e00
	s_movk_i32 s2, 0x40f
	s_mov_b32 s3, 0x8000
	s_waitcnt vmcnt(0)
	v_and_or_b32 v2, v3, s0, v2
	v_and_or_b32 v4, v5, s0, v4
	v_cmp_ne_u32_e32 vcc, 0, v2
	v_lshrrev_b32_e32 v8, 8, v3
	v_bfe_u32 v9, v3, 20, 11
	v_cndmask_b32_e64 v2, 0, 1, vcc
	v_cmp_ne_u32_e32 vcc, 0, v4
	v_lshrrev_b32_e32 v11, 8, v5
	v_bfe_u32 v12, v5, 20, 11
	v_cndmask_b32_e64 v4, 0, 1, vcc
	v_and_or_b32 v2, v8, s1, v2
	v_sub_u32_e32 v13, 0x3f1, v9
	v_add_u32_e32 v9, 0xfffffc10, v9
	v_sub_u32_e32 v14, 0x3f1, v12
	v_and_or_b32 v4, v11, s1, v4
	v_cmp_ne_u32_e32 vcc, 0, v2
	v_add_u32_e32 v12, 0xfffffc10, v12
	v_med3_i32 v8, v13, 0, 13
	v_med3_i32 v11, v14, 0, 13
	v_or_b32_e32 v13, 0x1000, v2
	v_lshl_or_b32 v14, v9, 12, v2
	v_cndmask_b32_e32 v2, v6, v7, vcc
	v_cmp_ne_u32_e32 vcc, 0, v4
	v_or_b32_e32 v15, 0x1000, v4
	v_lshl_or_b32 v16, v12, 12, v4
	v_cndmask_b32_e32 v4, v6, v7, vcc
	v_lshrrev_b32_e32 v7, v8, v13
	v_lshrrev_b32_e32 v17, v11, v15
	v_lshlrev_b32_e32 v8, v8, v7
	v_lshlrev_b32_e32 v11, v11, v17
	v_cmp_ne_u32_e32 vcc, v8, v13
	v_lshrrev_b32_e32 v3, 16, v3
	v_lshrrev_b32_e32 v5, 16, v5
	v_cndmask_b32_e64 v8, 0, 1, vcc
	v_cmp_ne_u32_e32 vcc, v11, v15
	v_or_b32_e32 v7, v7, v8
	s_mov_b64 s[0:1], 0
	v_cndmask_b32_e64 v11, 0, 1, vcc
	v_cmp_gt_i32_e32 vcc, 1, v9
	v_or_b32_e32 v8, v17, v11
	s_nop 0
	v_cndmask_b32_e32 v7, v14, v7, vcc
	v_cmp_gt_i32_e32 vcc, 1, v12
	v_and_b32_e32 v11, 7, v7
	v_lshrrev_b32_e32 v7, 2, v7
	v_cndmask_b32_e32 v8, v16, v8, vcc
	v_cmp_lt_i32_e32 vcc, 5, v11
	v_and_b32_e32 v13, 7, v8
	v_lshrrev_b32_e32 v8, 2, v8
	v_cndmask_b32_e64 v14, 0, 1, vcc
	v_cmp_eq_u32_e32 vcc, 3, v11
	s_nop 1
	v_cndmask_b32_e64 v11, 0, 1, vcc
	v_cmp_lt_i32_e32 vcc, 5, v13
	v_or_b32_e32 v11, v11, v14
	v_add_u32_e32 v7, v7, v11
	v_cndmask_b32_e64 v15, 0, 1, vcc
	v_cmp_eq_u32_e32 vcc, 3, v13
	s_nop 1
	v_cndmask_b32_e64 v13, 0, 1, vcc
	v_or_b32_e32 v13, v13, v15
	v_cmp_gt_i32_e32 vcc, 31, v9
	v_add_u32_e32 v8, v8, v13
	s_nop 0
	v_cndmask_b32_e32 v7, v6, v7, vcc
	v_cmp_gt_i32_e32 vcc, 31, v12
	s_nop 1
	v_cndmask_b32_e32 v6, v6, v8, vcc
	v_cmp_eq_u32_e32 vcc, s2, v9
	s_nop 1
	v_cndmask_b32_e32 v2, v7, v2, vcc
	v_cmp_eq_u32_e32 vcc, s2, v12
	v_and_or_b32 v2, v3, s3, v2
	s_nop 0
	v_cndmask_b32_e32 v4, v6, v4, vcc
	v_and_or_b32 v3, v5, s3, v4
	s_branch .LBB184_554
.LBB184_550:
	s_mov_b64 s[0:1], -1
                                        ; implicit-def: $vgpr3
                                        ; implicit-def: $vgpr2
	s_branch .LBB184_573
.LBB184_551:
	s_mov_b64 s[0:1], -1
                                        ; implicit-def: $vgpr3
                                        ; implicit-def: $vgpr2
	s_branch .LBB184_560
.LBB184_552:
	s_mov_b64 s[0:1], -1
                                        ; implicit-def: $vgpr3
                                        ; implicit-def: $vgpr2
	s_branch .LBB184_557
.LBB184_553:
	s_mov_b64 s[0:1], -1
                                        ; implicit-def: $vgpr3
                                        ; implicit-def: $vgpr2
.LBB184_554:
	s_andn2_b64 vcc, exec, s[0:1]
	s_cbranch_vccnz .LBB184_556
; %bb.555:
	global_load_dwordx2 v[2:3], v[0:1], off
	s_waitcnt vmcnt(0)
	v_cvt_f16_f32_e32 v2, v2
	v_cvt_f16_f32_e32 v3, v3
.LBB184_556:
	s_mov_b64 s[0:1], 0
.LBB184_557:
	s_andn2_b64 vcc, exec, s[0:1]
	s_cbranch_vccnz .LBB184_559
; %bb.558:
	global_load_dword v2, v[0:1], off
	s_waitcnt vmcnt(0)
	v_lshrrev_b32_e32 v3, 16, v2
.LBB184_559:
	s_mov_b64 s[0:1], 0
.LBB184_560:
	s_andn2_b64 vcc, exec, s[0:1]
	s_cbranch_vccnz .LBB184_572
; %bb.561:
	s_cmp_lt_i32 s26, 6
	s_cbranch_scc1 .LBB184_564
; %bb.562:
	s_cmp_gt_i32 s26, 6
	s_cbranch_scc0 .LBB184_565
; %bb.563:
	global_load_dwordx2 v[2:3], v[0:1], off
	s_movk_i32 s0, 0x1ff
	s_movk_i32 s1, 0xffe
	v_mov_b32_e32 v4, 0x7c00
	v_mov_b32_e32 v5, 0x7e00
	s_movk_i32 s2, 0x40f
	s_mov_b32 s3, 0x8000
	s_waitcnt vmcnt(0)
	v_and_or_b32 v2, v3, s0, v2
	v_cmp_ne_u32_e32 vcc, 0, v2
	v_lshrrev_b32_e32 v6, 8, v3
	v_bfe_u32 v7, v3, 20, 11
	v_cndmask_b32_e64 v2, 0, 1, vcc
	v_sub_u32_e32 v8, 0x3f1, v7
	v_and_or_b32 v2, v6, s1, v2
	v_add_u32_e32 v7, 0xfffffc10, v7
	v_med3_i32 v6, v8, 0, 13
	v_or_b32_e32 v8, 0x1000, v2
	v_cmp_ne_u32_e32 vcc, 0, v2
	v_lshl_or_b32 v9, v7, 12, v2
	v_lshrrev_b32_e32 v3, 16, v3
	v_cndmask_b32_e32 v2, v4, v5, vcc
	v_lshrrev_b32_e32 v5, v6, v8
	v_lshlrev_b32_e32 v6, v6, v5
	v_cmp_ne_u32_e32 vcc, v6, v8
	s_mov_b64 s[0:1], 0
	s_nop 0
	v_cndmask_b32_e64 v6, 0, 1, vcc
	v_or_b32_e32 v5, v5, v6
	v_cmp_gt_i32_e32 vcc, 1, v7
	s_nop 1
	v_cndmask_b32_e32 v5, v9, v5, vcc
	v_and_b32_e32 v6, 7, v5
	v_cmp_lt_i32_e32 vcc, 5, v6
	v_lshrrev_b32_e32 v5, 2, v5
	s_nop 0
	v_cndmask_b32_e64 v8, 0, 1, vcc
	v_cmp_eq_u32_e32 vcc, 3, v6
	s_nop 1
	v_cndmask_b32_e64 v6, 0, 1, vcc
	v_or_b32_e32 v6, v6, v8
	v_add_u32_e32 v5, v5, v6
	v_cmp_gt_i32_e32 vcc, 31, v7
	s_nop 1
	v_cndmask_b32_e32 v4, v4, v5, vcc
	v_cmp_eq_u32_e32 vcc, s2, v7
	s_nop 1
	v_cndmask_b32_e32 v2, v4, v2, vcc
	v_and_or_b32 v2, v3, s3, v2
	s_branch .LBB184_566
.LBB184_564:
	s_mov_b64 s[0:1], -1
                                        ; implicit-def: $vgpr2
	s_branch .LBB184_569
.LBB184_565:
	s_mov_b64 s[0:1], -1
                                        ; implicit-def: $vgpr2
.LBB184_566:
	s_andn2_b64 vcc, exec, s[0:1]
	s_cbranch_vccnz .LBB184_568
; %bb.567:
	global_load_dword v2, v[0:1], off
	s_waitcnt vmcnt(0)
	v_cvt_f16_f32_e32 v2, v2
.LBB184_568:
	s_mov_b64 s[0:1], 0
.LBB184_569:
	s_andn2_b64 vcc, exec, s[0:1]
	s_cbranch_vccnz .LBB184_571
; %bb.570:
	global_load_ushort v2, v[0:1], off
.LBB184_571:
	v_mov_b32_e32 v3, 0
.LBB184_572:
	s_mov_b64 s[0:1], 0
.LBB184_573:
	s_andn2_b64 vcc, exec, s[0:1]
	s_cbranch_vccnz .LBB184_594
; %bb.574:
	s_cmp_lt_i32 s26, 2
	s_cbranch_scc1 .LBB184_578
; %bb.575:
	s_cmp_lt_i32 s26, 3
	s_cbranch_scc1 .LBB184_579
; %bb.576:
	s_cmp_gt_i32 s26, 3
	s_cbranch_scc0 .LBB184_580
; %bb.577:
	global_load_dwordx2 v[2:3], v[0:1], off
	s_mov_b64 s[0:1], 0
	s_waitcnt vmcnt(0)
	v_xor_b32_e32 v5, v2, v3
	v_ffbh_i32_e32 v4, v3
	v_ashrrev_i32_e32 v5, 31, v5
	v_add_u32_e32 v4, -1, v4
	v_add_u32_e32 v5, 32, v5
	v_min_u32_e32 v4, v4, v5
	v_lshlrev_b64 v[2:3], v4, v[2:3]
	v_min_u32_e32 v2, 1, v2
	v_or_b32_e32 v2, v3, v2
	v_cvt_f32_i32_e32 v2, v2
	v_sub_u32_e32 v3, 32, v4
	v_ldexp_f32 v2, v2, v3
	v_cvt_f16_f32_e32 v2, v2
	s_branch .LBB184_581
.LBB184_578:
	s_mov_b64 s[0:1], -1
                                        ; implicit-def: $vgpr2
	s_branch .LBB184_587
.LBB184_579:
	s_mov_b64 s[0:1], -1
                                        ; implicit-def: $vgpr2
	s_branch .LBB184_584
.LBB184_580:
	s_mov_b64 s[0:1], -1
                                        ; implicit-def: $vgpr2
.LBB184_581:
	s_andn2_b64 vcc, exec, s[0:1]
	s_cbranch_vccnz .LBB184_583
; %bb.582:
	global_load_dword v2, v[0:1], off
	s_waitcnt vmcnt(0)
	v_cvt_f32_i32_e32 v2, v2
	v_cvt_f16_f32_e32 v2, v2
.LBB184_583:
	s_mov_b64 s[0:1], 0
.LBB184_584:
	s_andn2_b64 vcc, exec, s[0:1]
	s_cbranch_vccnz .LBB184_586
; %bb.585:
	global_load_ushort v2, v[0:1], off
	s_waitcnt vmcnt(0)
	v_cvt_f16_i16_e32 v2, v2
.LBB184_586:
	s_mov_b64 s[0:1], 0
.LBB184_587:
	s_andn2_b64 vcc, exec, s[0:1]
	s_cbranch_vccnz .LBB184_593
; %bb.588:
	s_cmp_gt_i32 s26, 0
	s_cbranch_scc0 .LBB184_590
; %bb.589:
	global_load_sbyte v2, v[0:1], off
	s_mov_b64 s[0:1], 0
	s_waitcnt vmcnt(0)
	v_cvt_f16_i16_e32 v2, v2
	s_branch .LBB184_591
.LBB184_590:
	s_mov_b64 s[0:1], -1
                                        ; implicit-def: $vgpr2
.LBB184_591:
	s_andn2_b64 vcc, exec, s[0:1]
	s_cbranch_vccnz .LBB184_593
; %bb.592:
	global_load_ubyte v0, v[0:1], off
	s_waitcnt vmcnt(0)
	v_cvt_f16_u16_e32 v2, v0
.LBB184_593:
	v_mov_b32_e32 v3, 0
.LBB184_594:
	s_branch .LBB184_307
.LBB184_595:
	s_mov_b64 s[2:3], 0
                                        ; implicit-def: $vgpr10
	s_mov_b64 s[0:1], s[14:15]
.LBB184_596:
	s_andn2_b64 s[22:23], s[14:15], exec
	s_and_b64 s[0:1], s[0:1], exec
	s_or_b64 s[22:23], s[22:23], s[0:1]
	s_andn2_b64 s[0:1], s[16:17], exec
	s_and_b64 s[20:21], s[20:21], exec
	s_or_b64 s[20:21], s[0:1], s[20:21]
	s_orn2_b64 s[0:1], s[2:3], exec
.LBB184_597:
	s_or_b64 exec, exec, s[24:25]
	s_mov_b64 s[2:3], 0
	s_mov_b64 s[26:27], 0
	;; [unrolled: 1-line block ×3, first 2 shown]
                                        ; implicit-def: $vgpr0_vgpr1
                                        ; implicit-def: $vgpr5
                                        ; implicit-def: $vgpr2
	s_and_saveexec_b64 s[24:25], s[0:1]
	s_cbranch_execz .LBB184_988
; %bb.598:
	v_cmp_gt_i32_e32 vcc, s45, v10
	s_mov_b64 s[34:35], -1
	s_mov_b64 s[0:1], s[20:21]
	s_mov_b64 s[2:3], s[22:23]
	s_and_saveexec_b64 s[26:27], vcc
	s_cbranch_execz .LBB184_899
; %bb.599:
	v_mul_lo_u32 v0, v10, s9
	v_ashrrev_i32_e32 v1, 31, v0
	s_and_b32 s34, 0xffff, s44
	s_cmp_lt_i32 s34, 11
	v_lshl_add_u64 v[0:1], s[6:7], 0, v[0:1]
	s_cbranch_scc1 .LBB184_606
; %bb.600:
	s_cmp_gt_i32 s34, 25
	s_cbranch_scc0 .LBB184_607
; %bb.601:
	s_cmp_gt_i32 s34, 28
	s_cbranch_scc0 .LBB184_608
	;; [unrolled: 3-line block ×4, first 2 shown]
; %bb.604:
	s_cmp_eq_u32 s34, 46
	s_mov_b64 s[2:3], 0
	s_cbranch_scc0 .LBB184_615
; %bb.605:
	global_load_dword v2, v[0:1], off
	s_mov_b64 s[0:1], -1
	s_waitcnt vmcnt(0)
	v_and_b32_e32 v3, 0xffff0000, v2
	v_lshlrev_b32_e32 v2, 16, v2
	v_cvt_f16_f32_e32 v2, v2
	v_cvt_f16_f32_e32 v3, v3
	s_branch .LBB184_616
.LBB184_606:
	s_mov_b64 s[2:3], -1
	s_mov_b64 s[0:1], 0
                                        ; implicit-def: $vgpr3
                                        ; implicit-def: $vgpr2
	s_mov_b64 s[28:29], s[20:21]
	s_branch .LBB184_684
.LBB184_607:
	s_mov_b64 s[2:3], -1
	s_mov_b64 s[0:1], 0
	s_mov_b64 s[28:29], s[20:21]
                                        ; implicit-def: $vgpr3
                                        ; implicit-def: $vgpr2
	s_branch .LBB184_647
.LBB184_608:
	s_mov_b64 s[2:3], -1
	s_mov_b64 s[0:1], 0
	s_mov_b64 s[28:29], s[20:21]
                                        ; implicit-def: $vgpr3
                                        ; implicit-def: $vgpr2
	s_branch .LBB184_628
.LBB184_609:
	s_mov_b64 s[2:3], -1
	s_mov_b64 s[0:1], 0
	s_mov_b64 s[28:29], s[20:21]
                                        ; implicit-def: $vgpr3
                                        ; implicit-def: $vgpr2
	s_branch .LBB184_622
.LBB184_610:
	s_andn2_saveexec_b64 s[26:27], s[26:27]
	s_cbranch_execz .LBB184_390
.LBB184_611:
	s_mov_b32 s30, 0x46000000
	v_add_f32_e64 v6, |v2|, s30
	v_and_b32_e32 v6, 0xff, v6
	v_cmp_ne_u32_e32 vcc, 0, v6
	s_andn2_b64 s[22:23], s[22:23], exec
	s_and_b64 s[30:31], vcc, exec
	s_or_b64 s[22:23], s[22:23], s[30:31]
	s_or_b64 exec, exec, s[26:27]
	v_mov_b32_e32 v7, 0
	s_and_saveexec_b64 s[26:27], s[22:23]
	s_cbranch_execnz .LBB184_391
	s_branch .LBB184_392
.LBB184_612:
	s_mov_b64 s[2:3], -1
	s_mov_b64 s[0:1], 0
	s_mov_b64 s[28:29], s[20:21]
                                        ; implicit-def: $vgpr3
                                        ; implicit-def: $vgpr2
	s_branch .LBB184_616
.LBB184_613:
	s_andn2_saveexec_b64 s[26:27], s[26:27]
	s_cbranch_execz .LBB184_403
.LBB184_614:
	s_mov_b32 s30, 0x42800000
	v_add_f32_e64 v6, |v2|, s30
	v_and_b32_e32 v6, 0xff, v6
	v_cmp_ne_u32_e32 vcc, 0, v6
	s_andn2_b64 s[22:23], s[22:23], exec
	s_and_b64 s[30:31], vcc, exec
	s_or_b64 s[22:23], s[22:23], s[30:31]
	s_or_b64 exec, exec, s[26:27]
	v_mov_b32_e32 v7, 0
	s_and_saveexec_b64 s[26:27], s[22:23]
	s_cbranch_execnz .LBB184_404
	s_branch .LBB184_405
.LBB184_615:
	s_mov_b64 s[28:29], -1
                                        ; implicit-def: $vgpr3
                                        ; implicit-def: $vgpr2
	s_mov_b64 s[0:1], 0
.LBB184_616:
	s_and_b64 vcc, exec, s[2:3]
	s_cbranch_vccz .LBB184_621
; %bb.617:
	s_cmp_eq_u32 s34, 44
	s_cbranch_scc0 .LBB184_619
; %bb.618:
	global_load_ubyte v2, v[0:1], off
	s_movk_i32 s2, 0xff
	v_mov_b32_e32 v4, 0x7e00
	s_mov_b64 s[0:1], -1
	s_mov_b64 s[28:29], 0
	s_waitcnt vmcnt(0)
	v_lshlrev_b32_e32 v3, 23, v2
	v_cvt_f16_f32_e32 v3, v3
	v_cmp_ne_u32_e32 vcc, s2, v2
	s_nop 1
	v_cndmask_b32_e32 v3, v4, v3, vcc
	v_cmp_ne_u32_e32 vcc, 0, v2
	s_nop 1
	v_cndmask_b32_e32 v2, 0, v3, vcc
	s_branch .LBB184_620
.LBB184_619:
	s_mov_b64 s[28:29], -1
                                        ; implicit-def: $vgpr2
.LBB184_620:
	v_mov_b32_e32 v3, 0
.LBB184_621:
	s_mov_b64 s[2:3], 0
.LBB184_622:
	s_and_b64 vcc, exec, s[2:3]
	s_cbranch_vccz .LBB184_627
; %bb.623:
	s_cmp_eq_u32 s34, 29
	s_cbranch_scc0 .LBB184_625
; %bb.624:
	global_load_dwordx2 v[2:3], v[0:1], off
	s_mov_b64 s[0:1], -1
	s_mov_b64 s[28:29], 0
	s_waitcnt vmcnt(0)
	v_ffbh_u32_e32 v4, v3
	v_min_u32_e32 v4, 32, v4
	v_lshlrev_b64 v[2:3], v4, v[2:3]
	v_min_u32_e32 v2, 1, v2
	v_or_b32_e32 v2, v3, v2
	v_cvt_f32_u32_e32 v2, v2
	v_sub_u32_e32 v3, 32, v4
	v_ldexp_f32 v2, v2, v3
	v_cvt_f16_f32_e32 v2, v2
	s_branch .LBB184_626
.LBB184_625:
	s_mov_b64 s[28:29], -1
                                        ; implicit-def: $vgpr2
.LBB184_626:
	v_mov_b32_e32 v3, 0
.LBB184_627:
	s_mov_b64 s[2:3], 0
.LBB184_628:
	s_and_b64 vcc, exec, s[2:3]
	s_cbranch_vccz .LBB184_646
; %bb.629:
	s_cmp_lt_i32 s34, 27
	s_cbranch_scc1 .LBB184_632
; %bb.630:
	s_cmp_gt_i32 s34, 27
	s_cbranch_scc0 .LBB184_633
; %bb.631:
	global_load_dword v2, v[0:1], off
	s_mov_b64 s[0:1], 0
	s_waitcnt vmcnt(0)
	v_cvt_f32_u32_e32 v2, v2
	v_cvt_f16_f32_e32 v2, v2
	s_branch .LBB184_634
.LBB184_632:
	s_mov_b64 s[0:1], -1
                                        ; implicit-def: $vgpr2
	s_branch .LBB184_637
.LBB184_633:
	s_mov_b64 s[0:1], -1
                                        ; implicit-def: $vgpr2
.LBB184_634:
	s_andn2_b64 vcc, exec, s[0:1]
	s_cbranch_vccnz .LBB184_636
; %bb.635:
	global_load_ushort v2, v[0:1], off
	s_waitcnt vmcnt(0)
	v_cvt_f16_u16_e32 v2, v2
.LBB184_636:
	s_mov_b64 s[0:1], 0
.LBB184_637:
	s_andn2_b64 vcc, exec, s[0:1]
	s_cbranch_vccnz .LBB184_645
; %bb.638:
	global_load_ubyte v3, v[0:1], off
	s_movk_i32 s0, 0x7f
	s_waitcnt vmcnt(0)
	v_cmp_lt_i16_e32 vcc, s0, v3
	s_mov_b64 s[0:1], 0
	s_and_saveexec_b64 s[2:3], vcc
	s_xor_b64 s[2:3], exec, s[2:3]
	s_cbranch_execz .LBB184_659
; %bb.639:
	s_movk_i32 s0, 0x80
	v_cmp_eq_u16_e32 vcc, s0, v3
	s_mov_b64 s[0:1], -1
	s_and_saveexec_b64 s[30:31], vcc
; %bb.640:
	s_xor_b64 s[0:1], exec, -1
; %bb.641:
	s_or_b64 exec, exec, s[30:31]
	s_and_b64 s[0:1], s[0:1], exec
	s_or_saveexec_b64 s[2:3], s[2:3]
	v_mov_b32_e32 v2, 0x7e00
	s_xor_b64 exec, exec, s[2:3]
	s_cbranch_execnz .LBB184_660
.LBB184_642:
	s_or_b64 exec, exec, s[2:3]
	s_and_saveexec_b64 s[2:3], s[0:1]
	s_cbranch_execz .LBB184_644
.LBB184_643:
	v_lshlrev_b32_e32 v2, 24, v3
	v_and_b32_e32 v3, 0xffff, v3
	v_and_b32_e32 v4, 7, v3
	v_ffbh_u32_e32 v6, v4
	v_min_u32_e32 v6, 32, v6
	v_subrev_u32_e32 v7, 28, v6
	v_bfe_u32 v5, v3, 3, 4
	v_lshlrev_b32_e32 v3, v7, v3
	v_sub_u32_e32 v6, 29, v6
	v_and_b32_e32 v3, 7, v3
	v_cmp_eq_u32_e32 vcc, 0, v5
	v_and_b32_e32 v2, 0x80000000, v2
	s_nop 0
	v_cndmask_b32_e32 v5, v5, v6, vcc
	v_cndmask_b32_e32 v3, v4, v3, vcc
	v_mov_b32_e32 v4, 0x3b800000
	v_lshlrev_b32_e32 v3, 20, v3
	v_lshl_add_u32 v4, v5, 23, v4
	v_or3_b32 v2, v2, v4, v3
	v_cvt_f16_f32_e32 v2, v2
.LBB184_644:
	s_or_b64 exec, exec, s[2:3]
.LBB184_645:
	s_mov_b64 s[0:1], -1
	v_mov_b32_e32 v3, 0
.LBB184_646:
	s_mov_b64 s[2:3], 0
.LBB184_647:
	s_and_b64 vcc, exec, s[2:3]
	s_cbranch_vccz .LBB184_683
; %bb.648:
	s_cmp_gt_i32 s34, 22
	s_cbranch_scc0 .LBB184_658
; %bb.649:
	s_cmp_lt_i32 s34, 24
	s_cbranch_scc1 .LBB184_661
; %bb.650:
	s_cmp_gt_i32 s34, 24
	s_cbranch_scc0 .LBB184_662
; %bb.651:
	global_load_ubyte v3, v[0:1], off
	s_movk_i32 s0, 0x7f
	s_waitcnt vmcnt(0)
	v_cmp_lt_i16_e32 vcc, s0, v3
	s_mov_b64 s[0:1], 0
	s_and_saveexec_b64 s[2:3], vcc
	s_xor_b64 s[2:3], exec, s[2:3]
	s_cbranch_execz .LBB184_674
; %bb.652:
	s_movk_i32 s0, 0x80
	v_cmp_eq_u16_e32 vcc, s0, v3
	s_mov_b64 s[0:1], -1
	s_and_saveexec_b64 s[30:31], vcc
; %bb.653:
	s_xor_b64 s[0:1], exec, -1
; %bb.654:
	s_or_b64 exec, exec, s[30:31]
	s_and_b64 s[0:1], s[0:1], exec
	s_or_saveexec_b64 s[2:3], s[2:3]
	v_mov_b32_e32 v2, 0x7e00
	s_xor_b64 exec, exec, s[2:3]
	s_cbranch_execnz .LBB184_675
.LBB184_655:
	s_or_b64 exec, exec, s[2:3]
	s_and_saveexec_b64 s[2:3], s[0:1]
	s_cbranch_execz .LBB184_657
.LBB184_656:
	v_lshlrev_b32_e32 v2, 24, v3
	v_and_b32_e32 v3, 0xffff, v3
	v_and_b32_e32 v4, 3, v3
	v_ffbh_u32_e32 v6, v4
	v_min_u32_e32 v6, 32, v6
	v_subrev_u32_e32 v7, 29, v6
	v_bfe_u32 v5, v3, 2, 5
	v_lshlrev_b32_e32 v3, v7, v3
	v_sub_u32_e32 v6, 30, v6
	v_and_b32_e32 v3, 3, v3
	v_cmp_eq_u32_e32 vcc, 0, v5
	v_and_b32_e32 v2, 0x80000000, v2
	s_nop 0
	v_cndmask_b32_e32 v5, v5, v6, vcc
	v_cndmask_b32_e32 v3, v4, v3, vcc
	v_mov_b32_e32 v4, 0x37800000
	v_lshlrev_b32_e32 v3, 21, v3
	v_lshl_add_u32 v4, v5, 23, v4
	v_or3_b32 v2, v2, v4, v3
	v_cvt_f16_f32_e32 v2, v2
.LBB184_657:
	s_or_b64 exec, exec, s[2:3]
	s_mov_b64 s[0:1], 0
	s_branch .LBB184_663
.LBB184_658:
	s_mov_b64 s[2:3], -1
                                        ; implicit-def: $vgpr2
	s_branch .LBB184_669
.LBB184_659:
	s_or_saveexec_b64 s[2:3], s[2:3]
	v_mov_b32_e32 v2, 0x7e00
	s_xor_b64 exec, exec, s[2:3]
	s_cbranch_execz .LBB184_642
.LBB184_660:
	v_cmp_ne_u16_e32 vcc, 0, v3
	s_andn2_b64 s[0:1], s[0:1], exec
	s_and_b64 s[30:31], vcc, exec
	s_or_b64 s[0:1], s[0:1], s[30:31]
	v_mov_b32_e32 v2, v3
	s_or_b64 exec, exec, s[2:3]
	s_and_saveexec_b64 s[2:3], s[0:1]
	s_cbranch_execnz .LBB184_643
	s_branch .LBB184_644
.LBB184_661:
	s_mov_b64 s[0:1], -1
                                        ; implicit-def: $vgpr2
	s_branch .LBB184_666
.LBB184_662:
	s_mov_b64 s[0:1], -1
                                        ; implicit-def: $vgpr2
.LBB184_663:
	s_and_b64 vcc, exec, s[0:1]
	s_cbranch_vccz .LBB184_665
; %bb.664:
	global_load_ubyte v2, v[0:1], off
	s_mov_b32 s0, 0x7f800000
	s_waitcnt vmcnt(0)
	v_lshlrev_b32_e32 v2, 24, v2
	v_and_b32_e32 v3, 0x7f000000, v2
	v_ffbh_u32_e32 v4, v3
	v_min_u32_e32 v4, 32, v4
	v_sub_u32_e64 v4, v4, 4 clamp
	v_lshlrev_b32_e32 v6, v4, v3
	v_lshlrev_b32_e32 v4, 23, v4
	v_lshrrev_b32_e32 v6, 4, v6
	v_add_u32_e32 v5, 0x1000000, v3
	v_sub_u32_e32 v4, v6, v4
	v_ashrrev_i32_e32 v5, 8, v5
	v_add_u32_e32 v4, 0x3c000000, v4
	v_and_or_b32 v4, v5, s0, v4
	v_cmp_ne_u32_e32 vcc, 0, v3
	s_brev_b32 s0, 1
	s_nop 0
	v_cndmask_b32_e32 v3, 0, v4, vcc
	v_and_or_b32 v2, v2, s0, v3
	v_cvt_f16_f32_e32 v2, v2
.LBB184_665:
	s_mov_b64 s[0:1], 0
.LBB184_666:
	s_andn2_b64 vcc, exec, s[0:1]
	s_cbranch_vccnz .LBB184_668
; %bb.667:
	global_load_ubyte v2, v[0:1], off
	s_movk_i32 s0, 0x7f00
	s_brev_b32 s1, 16
	s_waitcnt vmcnt(0)
	v_lshlrev_b16_e32 v3, 8, v2
	v_lshlrev_b32_e32 v2, 25, v2
	v_lshrrev_b32_e32 v4, 4, v2
	v_and_or_b32 v5, v3, s0, 0.5
	v_or_b32_e32 v4, 0x70000000, v4
	v_add_f32_e32 v5, -0.5, v5
	v_mul_f32_e32 v4, 0x7800000, v4
	v_cmp_gt_u32_e32 vcc, s1, v2
	v_bfe_i32 v3, v3, 0, 16
	s_brev_b32 s0, 1
	v_cndmask_b32_e32 v2, v4, v5, vcc
	v_and_or_b32 v2, v3, s0, v2
	v_cvt_f16_f32_e32 v2, v2
.LBB184_668:
	s_mov_b64 s[2:3], 0
	s_mov_b64 s[0:1], -1
.LBB184_669:
	s_andn2_b64 vcc, exec, s[2:3]
	s_cbranch_vccnz .LBB184_682
; %bb.670:
	s_cmp_gt_i32 s34, 14
	s_cbranch_scc0 .LBB184_673
; %bb.671:
	s_cmp_eq_u32 s34, 15
	s_cbranch_scc0 .LBB184_676
; %bb.672:
	global_load_ushort v2, v[0:1], off
	s_mov_b64 s[0:1], -1
	s_mov_b64 s[28:29], 0
	s_waitcnt vmcnt(0)
	v_lshlrev_b32_e32 v2, 16, v2
	v_cvt_f16_f32_e32 v2, v2
	s_branch .LBB184_677
.LBB184_673:
	s_mov_b64 s[2:3], -1
                                        ; implicit-def: $vgpr2
	s_branch .LBB184_678
.LBB184_674:
	s_or_saveexec_b64 s[2:3], s[2:3]
	v_mov_b32_e32 v2, 0x7e00
	s_xor_b64 exec, exec, s[2:3]
	s_cbranch_execz .LBB184_655
.LBB184_675:
	v_cmp_ne_u16_e32 vcc, 0, v3
	s_andn2_b64 s[0:1], s[0:1], exec
	s_and_b64 s[30:31], vcc, exec
	s_or_b64 s[0:1], s[0:1], s[30:31]
	v_mov_b32_e32 v2, v3
	s_or_b64 exec, exec, s[2:3]
	s_and_saveexec_b64 s[2:3], s[0:1]
	s_cbranch_execnz .LBB184_656
	s_branch .LBB184_657
.LBB184_676:
	s_mov_b64 s[28:29], -1
                                        ; implicit-def: $vgpr2
.LBB184_677:
	s_mov_b64 s[2:3], 0
.LBB184_678:
	s_and_b64 vcc, exec, s[2:3]
	s_cbranch_vccz .LBB184_682
; %bb.679:
	s_cmp_eq_u32 s34, 11
	s_cbranch_scc0 .LBB184_681
; %bb.680:
	global_load_ubyte v2, v[0:1], off
	v_mov_b32_e32 v3, 0x3c00
	s_mov_b64 s[0:1], -1
	s_mov_b64 s[28:29], 0
	s_waitcnt vmcnt(0)
	v_cmp_ne_u16_e32 vcc, 0, v2
	s_nop 1
	v_cndmask_b32_e32 v2, 0, v3, vcc
	s_branch .LBB184_682
.LBB184_681:
	s_mov_b64 s[28:29], -1
                                        ; implicit-def: $vgpr2
.LBB184_682:
	v_mov_b32_e32 v3, 0
.LBB184_683:
	s_mov_b64 s[2:3], 0
.LBB184_684:
	s_and_b64 vcc, exec, s[2:3]
	s_cbranch_vccz .LBB184_735
; %bb.685:
	s_cmp_lt_i32 s34, 5
	s_cbranch_scc1 .LBB184_690
; %bb.686:
	s_cmp_lt_i32 s34, 8
	s_cbranch_scc1 .LBB184_691
	;; [unrolled: 3-line block ×3, first 2 shown]
; %bb.688:
	s_cmp_gt_i32 s34, 9
	s_cbranch_scc0 .LBB184_693
; %bb.689:
	global_load_dwordx4 v[2:5], v[0:1], off
	s_movk_i32 s0, 0x1ff
	s_movk_i32 s1, 0xffe
	v_mov_b32_e32 v6, 0x7c00
	v_mov_b32_e32 v7, 0x7e00
	s_movk_i32 s2, 0x40f
	s_mov_b32 s3, 0x8000
	s_waitcnt vmcnt(0)
	v_and_or_b32 v2, v3, s0, v2
	v_and_or_b32 v4, v5, s0, v4
	v_cmp_ne_u32_e32 vcc, 0, v2
	v_lshrrev_b32_e32 v8, 8, v3
	v_bfe_u32 v9, v3, 20, 11
	v_cndmask_b32_e64 v2, 0, 1, vcc
	v_cmp_ne_u32_e32 vcc, 0, v4
	v_lshrrev_b32_e32 v11, 8, v5
	v_bfe_u32 v12, v5, 20, 11
	v_cndmask_b32_e64 v4, 0, 1, vcc
	v_and_or_b32 v2, v8, s1, v2
	v_sub_u32_e32 v13, 0x3f1, v9
	v_add_u32_e32 v9, 0xfffffc10, v9
	v_sub_u32_e32 v14, 0x3f1, v12
	v_and_or_b32 v4, v11, s1, v4
	v_cmp_ne_u32_e32 vcc, 0, v2
	v_add_u32_e32 v12, 0xfffffc10, v12
	v_med3_i32 v8, v13, 0, 13
	v_med3_i32 v11, v14, 0, 13
	v_or_b32_e32 v13, 0x1000, v2
	v_lshl_or_b32 v14, v9, 12, v2
	v_cndmask_b32_e32 v2, v6, v7, vcc
	v_cmp_ne_u32_e32 vcc, 0, v4
	v_or_b32_e32 v15, 0x1000, v4
	v_lshl_or_b32 v16, v12, 12, v4
	v_cndmask_b32_e32 v4, v6, v7, vcc
	v_lshrrev_b32_e32 v7, v8, v13
	v_lshrrev_b32_e32 v17, v11, v15
	v_lshlrev_b32_e32 v8, v8, v7
	v_lshlrev_b32_e32 v11, v11, v17
	v_cmp_ne_u32_e32 vcc, v8, v13
	v_lshrrev_b32_e32 v3, 16, v3
	v_lshrrev_b32_e32 v5, 16, v5
	v_cndmask_b32_e64 v8, 0, 1, vcc
	v_cmp_ne_u32_e32 vcc, v11, v15
	v_or_b32_e32 v7, v7, v8
	s_mov_b64 s[0:1], 0
	v_cndmask_b32_e64 v11, 0, 1, vcc
	v_cmp_gt_i32_e32 vcc, 1, v9
	v_or_b32_e32 v8, v17, v11
	s_nop 0
	v_cndmask_b32_e32 v7, v14, v7, vcc
	v_cmp_gt_i32_e32 vcc, 1, v12
	v_and_b32_e32 v11, 7, v7
	v_lshrrev_b32_e32 v7, 2, v7
	v_cndmask_b32_e32 v8, v16, v8, vcc
	v_cmp_lt_i32_e32 vcc, 5, v11
	v_and_b32_e32 v13, 7, v8
	v_lshrrev_b32_e32 v8, 2, v8
	v_cndmask_b32_e64 v14, 0, 1, vcc
	v_cmp_eq_u32_e32 vcc, 3, v11
	s_nop 1
	v_cndmask_b32_e64 v11, 0, 1, vcc
	v_cmp_lt_i32_e32 vcc, 5, v13
	v_or_b32_e32 v11, v11, v14
	v_add_u32_e32 v7, v7, v11
	v_cndmask_b32_e64 v15, 0, 1, vcc
	v_cmp_eq_u32_e32 vcc, 3, v13
	s_nop 1
	v_cndmask_b32_e64 v13, 0, 1, vcc
	v_or_b32_e32 v13, v13, v15
	v_cmp_gt_i32_e32 vcc, 31, v9
	v_add_u32_e32 v8, v8, v13
	s_nop 0
	v_cndmask_b32_e32 v7, v6, v7, vcc
	v_cmp_gt_i32_e32 vcc, 31, v12
	s_nop 1
	v_cndmask_b32_e32 v6, v6, v8, vcc
	v_cmp_eq_u32_e32 vcc, s2, v9
	s_nop 1
	v_cndmask_b32_e32 v2, v7, v2, vcc
	v_cmp_eq_u32_e32 vcc, s2, v12
	v_and_or_b32 v2, v3, s3, v2
	s_nop 0
	v_cndmask_b32_e32 v4, v6, v4, vcc
	v_and_or_b32 v3, v5, s3, v4
	s_branch .LBB184_694
.LBB184_690:
	s_mov_b64 s[0:1], -1
                                        ; implicit-def: $vgpr3
                                        ; implicit-def: $vgpr2
	s_branch .LBB184_713
.LBB184_691:
	s_mov_b64 s[0:1], -1
                                        ; implicit-def: $vgpr3
                                        ; implicit-def: $vgpr2
	s_branch .LBB184_700
.LBB184_692:
	s_mov_b64 s[0:1], -1
                                        ; implicit-def: $vgpr3
                                        ; implicit-def: $vgpr2
	s_branch .LBB184_697
.LBB184_693:
	s_mov_b64 s[0:1], -1
                                        ; implicit-def: $vgpr3
                                        ; implicit-def: $vgpr2
.LBB184_694:
	s_andn2_b64 vcc, exec, s[0:1]
	s_cbranch_vccnz .LBB184_696
; %bb.695:
	global_load_dwordx2 v[2:3], v[0:1], off
	s_waitcnt vmcnt(0)
	v_cvt_f16_f32_e32 v2, v2
	v_cvt_f16_f32_e32 v3, v3
.LBB184_696:
	s_mov_b64 s[0:1], 0
.LBB184_697:
	s_andn2_b64 vcc, exec, s[0:1]
	s_cbranch_vccnz .LBB184_699
; %bb.698:
	global_load_dword v2, v[0:1], off
	s_waitcnt vmcnt(0)
	v_lshrrev_b32_e32 v3, 16, v2
.LBB184_699:
	s_mov_b64 s[0:1], 0
.LBB184_700:
	s_andn2_b64 vcc, exec, s[0:1]
	s_cbranch_vccnz .LBB184_712
; %bb.701:
	s_cmp_lt_i32 s34, 6
	s_cbranch_scc1 .LBB184_704
; %bb.702:
	s_cmp_gt_i32 s34, 6
	s_cbranch_scc0 .LBB184_705
; %bb.703:
	global_load_dwordx2 v[2:3], v[0:1], off
	s_movk_i32 s0, 0x1ff
	s_movk_i32 s1, 0xffe
	v_mov_b32_e32 v4, 0x7c00
	v_mov_b32_e32 v5, 0x7e00
	s_movk_i32 s2, 0x40f
	s_mov_b32 s3, 0x8000
	s_waitcnt vmcnt(0)
	v_and_or_b32 v2, v3, s0, v2
	v_cmp_ne_u32_e32 vcc, 0, v2
	v_lshrrev_b32_e32 v6, 8, v3
	v_bfe_u32 v7, v3, 20, 11
	v_cndmask_b32_e64 v2, 0, 1, vcc
	v_sub_u32_e32 v8, 0x3f1, v7
	v_and_or_b32 v2, v6, s1, v2
	v_add_u32_e32 v7, 0xfffffc10, v7
	v_med3_i32 v6, v8, 0, 13
	v_or_b32_e32 v8, 0x1000, v2
	v_cmp_ne_u32_e32 vcc, 0, v2
	v_lshl_or_b32 v9, v7, 12, v2
	v_lshrrev_b32_e32 v3, 16, v3
	v_cndmask_b32_e32 v2, v4, v5, vcc
	v_lshrrev_b32_e32 v5, v6, v8
	v_lshlrev_b32_e32 v6, v6, v5
	v_cmp_ne_u32_e32 vcc, v6, v8
	s_mov_b64 s[0:1], 0
	s_nop 0
	v_cndmask_b32_e64 v6, 0, 1, vcc
	v_or_b32_e32 v5, v5, v6
	v_cmp_gt_i32_e32 vcc, 1, v7
	s_nop 1
	v_cndmask_b32_e32 v5, v9, v5, vcc
	v_and_b32_e32 v6, 7, v5
	v_cmp_lt_i32_e32 vcc, 5, v6
	v_lshrrev_b32_e32 v5, 2, v5
	s_nop 0
	v_cndmask_b32_e64 v8, 0, 1, vcc
	v_cmp_eq_u32_e32 vcc, 3, v6
	s_nop 1
	v_cndmask_b32_e64 v6, 0, 1, vcc
	v_or_b32_e32 v6, v6, v8
	v_add_u32_e32 v5, v5, v6
	v_cmp_gt_i32_e32 vcc, 31, v7
	s_nop 1
	v_cndmask_b32_e32 v4, v4, v5, vcc
	v_cmp_eq_u32_e32 vcc, s2, v7
	s_nop 1
	v_cndmask_b32_e32 v2, v4, v2, vcc
	v_and_or_b32 v2, v3, s3, v2
	s_branch .LBB184_706
.LBB184_704:
	s_mov_b64 s[0:1], -1
                                        ; implicit-def: $vgpr2
	s_branch .LBB184_709
.LBB184_705:
	s_mov_b64 s[0:1], -1
                                        ; implicit-def: $vgpr2
.LBB184_706:
	s_andn2_b64 vcc, exec, s[0:1]
	s_cbranch_vccnz .LBB184_708
; %bb.707:
	global_load_dword v2, v[0:1], off
	s_waitcnt vmcnt(0)
	v_cvt_f16_f32_e32 v2, v2
.LBB184_708:
	s_mov_b64 s[0:1], 0
.LBB184_709:
	s_andn2_b64 vcc, exec, s[0:1]
	s_cbranch_vccnz .LBB184_711
; %bb.710:
	global_load_ushort v2, v[0:1], off
.LBB184_711:
	v_mov_b32_e32 v3, 0
.LBB184_712:
	s_mov_b64 s[0:1], 0
.LBB184_713:
	s_andn2_b64 vcc, exec, s[0:1]
	s_cbranch_vccnz .LBB184_734
; %bb.714:
	s_cmp_lt_i32 s34, 2
	s_cbranch_scc1 .LBB184_718
; %bb.715:
	s_cmp_lt_i32 s34, 3
	s_cbranch_scc1 .LBB184_719
; %bb.716:
	s_cmp_gt_i32 s34, 3
	s_cbranch_scc0 .LBB184_720
; %bb.717:
	global_load_dwordx2 v[2:3], v[0:1], off
	s_mov_b64 s[0:1], 0
	s_waitcnt vmcnt(0)
	v_xor_b32_e32 v5, v2, v3
	v_ffbh_i32_e32 v4, v3
	v_ashrrev_i32_e32 v5, 31, v5
	v_add_u32_e32 v4, -1, v4
	v_add_u32_e32 v5, 32, v5
	v_min_u32_e32 v4, v4, v5
	v_lshlrev_b64 v[2:3], v4, v[2:3]
	v_min_u32_e32 v2, 1, v2
	v_or_b32_e32 v2, v3, v2
	v_cvt_f32_i32_e32 v2, v2
	v_sub_u32_e32 v3, 32, v4
	v_ldexp_f32 v2, v2, v3
	v_cvt_f16_f32_e32 v2, v2
	s_branch .LBB184_721
.LBB184_718:
	s_mov_b64 s[0:1], -1
                                        ; implicit-def: $vgpr2
	s_branch .LBB184_727
.LBB184_719:
	s_mov_b64 s[0:1], -1
                                        ; implicit-def: $vgpr2
	s_branch .LBB184_724
.LBB184_720:
	s_mov_b64 s[0:1], -1
                                        ; implicit-def: $vgpr2
.LBB184_721:
	s_andn2_b64 vcc, exec, s[0:1]
	s_cbranch_vccnz .LBB184_723
; %bb.722:
	global_load_dword v2, v[0:1], off
	s_waitcnt vmcnt(0)
	v_cvt_f32_i32_e32 v2, v2
	v_cvt_f16_f32_e32 v2, v2
.LBB184_723:
	s_mov_b64 s[0:1], 0
.LBB184_724:
	s_andn2_b64 vcc, exec, s[0:1]
	s_cbranch_vccnz .LBB184_726
; %bb.725:
	global_load_ushort v2, v[0:1], off
	s_waitcnt vmcnt(0)
	v_cvt_f16_i16_e32 v2, v2
.LBB184_726:
	s_mov_b64 s[0:1], 0
.LBB184_727:
	s_andn2_b64 vcc, exec, s[0:1]
	s_cbranch_vccnz .LBB184_733
; %bb.728:
	s_cmp_gt_i32 s34, 0
	s_cbranch_scc0 .LBB184_730
; %bb.729:
	global_load_sbyte v2, v[0:1], off
	s_mov_b64 s[0:1], 0
	s_waitcnt vmcnt(0)
	v_cvt_f16_i16_e32 v2, v2
	s_branch .LBB184_731
.LBB184_730:
	s_mov_b64 s[0:1], -1
                                        ; implicit-def: $vgpr2
.LBB184_731:
	s_andn2_b64 vcc, exec, s[0:1]
	s_cbranch_vccnz .LBB184_733
; %bb.732:
	global_load_ubyte v0, v[0:1], off
	s_waitcnt vmcnt(0)
	v_cvt_f16_u16_e32 v2, v0
.LBB184_733:
	v_mov_b32_e32 v3, 0
.LBB184_734:
	s_mov_b64 s[0:1], -1
.LBB184_735:
	s_andn2_b64 vcc, exec, s[0:1]
	s_cbranch_vccnz .LBB184_748
; %bb.736:
	v_cvt_f32_f16_e32 v1, v3
	s_waitcnt vmcnt(0)
	v_cmp_neq_f16_e32 vcc, 0, v2
	v_cmp_neq_f16_e64 s[0:1], 0, v3
	s_or_b64 s[0:1], vcc, s[0:1]
	v_mov_b32_e32 v0, 0
	s_and_saveexec_b64 s[30:31], s[0:1]
	s_cbranch_execz .LBB184_767
; %bb.737:
	v_mov_b32_e32 v0, 0x7f800000
	v_cmp_neq_f32_e64 s[0:1], |v1|, v0
	s_and_saveexec_b64 s[34:35], s[0:1]
	s_cbranch_execz .LBB184_766
; %bb.738:
	v_cvt_f32_f16_e32 v4, v2
	v_cmp_o_f16_e32 vcc, v2, v2
	s_and_saveexec_b64 s[0:1], vcc
	s_xor_b64 s[36:37], exec, s[0:1]
	s_cbranch_execz .LBB184_763
; %bb.739:
	s_mov_b32 s0, 0x7f800000
	v_cmp_neq_f32_e64 s[0:1], |v4|, s0
	s_and_saveexec_b64 s[2:3], s[0:1]
	s_xor_b64 s[38:39], exec, s[2:3]
	s_cbranch_execz .LBB184_756
; %bb.740:
	v_max_f32_e64 v0, |v1|, |v1|
	v_max_f32_e64 v2, |v4|, |v4|
	v_max_f32_e32 v0, v2, v0
	s_mov_b32 s0, 0x7ed413cb
	v_cmp_nle_f32_e64 s[0:1], s0, v0
                                        ; implicit-def: $sgpr40_sgpr41
	s_and_saveexec_b64 s[2:3], s[0:1]
	s_xor_b64 s[2:3], exec, s[2:3]
	s_cbranch_execz .LBB184_744
; %bb.741:
	s_mov_b32 s42, 0x1000000
	v_cmp_le_f32_e64 s[40:41], |v4|, s42
	v_cmp_le_f32_e64 s[42:43], |v1|, s42
	s_and_b64 s[46:47], s[40:41], s[42:43]
	s_mov_b64 s[40:41], 0
	s_and_saveexec_b64 s[42:43], s[46:47]
; %bb.742:
	s_mov_b64 s[40:41], exec
	v_mul_f32_e32 v1, 4.0, v1
	v_mul_f32_e32 v4, 4.0, v4
; %bb.743:
	s_or_b64 exec, exec, s[42:43]
.LBB184_744:
	s_andn2_saveexec_b64 s[2:3], s[2:3]
; %bb.745:
	v_mul_f32_e32 v4, 0x3e800000, v4
	v_mul_f32_e32 v1, 0x3e800000, v1
	s_andn2_b64 s[40:41], s[40:41], exec
; %bb.746:
	s_or_b64 exec, exec, s[2:3]
	v_max_f32_e64 v0, |v1|, |v1|
	v_max_f32_e64 v2, |v4|, |v4|
	v_max_f32_e32 v0, v2, v0
	v_cvt_f64_f32_e32 v[2:3], v0
	v_frexp_exp_i32_f64_e32 v2, v[2:3]
	v_sub_u32_e32 v3, 0, v2
	v_ldexp_f32 v5, |v4|, v3
	v_ldexp_f32 v3, |v1|, v3
	v_mul_f32_e32 v3, v3, v3
	v_fmac_f32_e32 v3, v5, v5
	v_sqrt_f32_e32 v3, v3
	s_mov_b32 s2, 0x7f800000
	v_cmp_neq_f32_e64 s[2:3], s2, v0
	v_cmp_le_f32_e32 vcc, 0, v4
	v_ldexp_f32 v2, v3, v2
	v_mov_b32_e32 v3, 0x7f800000
	v_cndmask_b32_e64 v0, v3, v2, s[2:3]
                                        ; implicit-def: $vgpr2_vgpr3
	s_and_saveexec_b64 s[2:3], vcc
	s_xor_b64 s[42:43], exec, s[2:3]
	s_cbranch_execz .LBB184_749
; %bb.747:
	v_add_f32_e32 v0, v4, v0
	v_mul_f32_e32 v0, 0.5, v0
	s_mov_b32 s2, 0xf800000
	v_mul_f32_e32 v2, 0x4f800000, v0
	v_cmp_gt_f32_e32 vcc, s2, v0
	s_nop 1
	v_cndmask_b32_e32 v0, v0, v2, vcc
	v_sqrt_f32_e32 v2, v0
	s_nop 0
	v_add_u32_e32 v3, -1, v2
	v_fma_f32 v4, -v3, v2, v0
	v_cmp_ge_f32_e64 s[2:3], 0, v4
	v_add_u32_e32 v4, 1, v2
	s_nop 0
	v_cndmask_b32_e64 v3, v2, v3, s[2:3]
	v_fma_f32 v2, -v4, v2, v0
	v_cmp_lt_f32_e64 s[2:3], 0, v2
	s_nop 1
	v_cndmask_b32_e64 v2, v3, v4, s[2:3]
	v_mul_f32_e32 v3, 0x37800000, v2
	v_cndmask_b32_e32 v2, v2, v3, vcc
	v_mov_b32_e32 v3, 0x260
	v_cmp_class_f32_e32 vcc, v0, v3
	s_nop 1
	v_cndmask_b32_e32 v2, v2, v0, vcc
	v_add_f32_e32 v0, v2, v2
	v_div_scale_f32 v3, s[2:3], v0, v0, v1
	v_rcp_f32_e32 v4, v3
	s_nop 0
	v_fma_f32 v5, -v3, v4, 1.0
	v_fmac_f32_e32 v4, v5, v4
	v_div_scale_f32 v5, vcc, v1, v0, v1
	v_mul_f32_e32 v6, v5, v4
	v_fma_f32 v7, -v3, v6, v5
	v_fmac_f32_e32 v6, v7, v4
	v_fma_f32 v3, -v3, v6, v5
	v_div_fmas_f32 v3, v3, v4, v6
	v_div_fixup_f32 v3, v3, v0, v1
                                        ; implicit-def: $vgpr0
                                        ; implicit-def: $vgpr4
                                        ; implicit-def: $vgpr1
	s_andn2_saveexec_b64 s[42:43], s[42:43]
	s_cbranch_execz .LBB184_751
	s_branch .LBB184_750
.LBB184_748:
	s_mov_b64 s[30:31], 0
                                        ; implicit-def: $vgpr10
	s_mov_b64 s[0:1], s[22:23]
	s_branch .LBB184_898
.LBB184_749:
	s_andn2_saveexec_b64 s[42:43], s[42:43]
	s_cbranch_execz .LBB184_751
.LBB184_750:
	v_sub_f32_e32 v0, v0, v4
	v_mul_f32_e32 v0, 0.5, v0
	s_mov_b32 s2, 0xf800000
	v_mul_f32_e32 v2, 0x4f800000, v0
	v_cmp_gt_f32_e32 vcc, s2, v0
	s_nop 1
	v_cndmask_b32_e32 v0, v0, v2, vcc
	v_sqrt_f32_e32 v2, v0
	s_nop 0
	v_add_u32_e32 v3, -1, v2
	v_fma_f32 v4, -v3, v2, v0
	v_cmp_ge_f32_e64 s[2:3], 0, v4
	v_add_u32_e32 v4, 1, v2
	s_nop 0
	v_cndmask_b32_e64 v3, v2, v3, s[2:3]
	v_fma_f32 v2, -v4, v2, v0
	v_cmp_lt_f32_e64 s[2:3], 0, v2
	s_nop 1
	v_cndmask_b32_e64 v2, v3, v4, s[2:3]
	v_mul_f32_e32 v3, 0x37800000, v2
	v_cndmask_b32_e32 v2, v2, v3, vcc
	v_mov_b32_e32 v3, 0x260
	v_cmp_class_f32_e32 vcc, v0, v3
	v_and_b32_e32 v3, 0x7fffffff, v1
	s_nop 0
	v_cndmask_b32_e32 v0, v2, v0, vcc
	v_add_f32_e32 v2, v0, v0
	v_div_scale_f32 v4, s[2:3], v2, v2, v3
	v_rcp_f32_e32 v5, v4
	v_div_scale_f32 v3, vcc, v3, v2, v3
	s_brev_b32 s2, -2
	v_fma_f32 v6, -v4, v5, 1.0
	v_fmac_f32_e32 v5, v6, v5
	v_mul_f32_e32 v6, v3, v5
	v_fma_f32 v7, -v4, v6, v3
	v_fmac_f32_e32 v6, v7, v5
	v_fma_f32 v3, -v4, v6, v3
	v_div_fmas_f32 v3, v3, v5, v6
	v_div_fixup_f32 v2, v3, v2, |v1|
	v_bfi_b32 v3, s2, v0, v1
.LBB184_751:
	s_or_b64 exec, exec, s[42:43]
                                        ; implicit-def: $vgpr1
	s_and_saveexec_b64 s[2:3], s[0:1]
	s_xor_b64 s[0:1], exec, s[2:3]
	s_cbranch_execz .LBB184_753
; %bb.752:
	v_pk_mul_f32 v[0:1], v[2:3], 0.5 op_sel_hi:[1,0]
	s_nop 0
	v_cndmask_b32_e64 v0, v2, v0, s[40:41]
	v_cndmask_b32_e64 v1, v3, v1, s[40:41]
                                        ; implicit-def: $vgpr2_vgpr3
	s_andn2_saveexec_b64 s[0:1], s[0:1]
	s_cbranch_execnz .LBB184_754
	s_branch .LBB184_755
.LBB184_753:
	s_andn2_saveexec_b64 s[0:1], s[0:1]
.LBB184_754:
	v_pk_add_f32 v[0:1], v[2:3], v[2:3]
.LBB184_755:
	s_or_b64 exec, exec, s[0:1]
                                        ; implicit-def: $vgpr4
                                        ; implicit-def: $vgpr2
.LBB184_756:
	s_andn2_saveexec_b64 s[0:1], s[38:39]
	s_cbranch_execz .LBB184_762
; %bb.757:
	v_cmp_lt_i16_e32 vcc, -1, v2
	v_sub_f32_e32 v2, v1, v1
	s_brev_b32 s38, -2
	v_and_b32_e32 v0, 0x7fffffff, v2
	s_and_saveexec_b64 s[2:3], vcc
	s_xor_b64 s[2:3], exec, s[2:3]
; %bb.758:
	v_bfi_b32 v1, s38, v2, v1
	v_mov_b32_e32 v0, v4
; %bb.759:
	s_andn2_saveexec_b64 s[2:3], s[2:3]
; %bb.760:
	v_bfi_b32 v1, s38, v4, v1
; %bb.761:
	s_or_b64 exec, exec, s[2:3]
.LBB184_762:
	s_or_b64 exec, exec, s[0:1]
                                        ; implicit-def: $vgpr4
.LBB184_763:
	s_andn2_saveexec_b64 s[0:1], s[36:37]
	s_cbranch_execz .LBB184_765
; %bb.764:
	v_sub_f32_e32 v0, v1, v1
	v_div_scale_f32 v1, vcc, v0, v0, v0
	v_rcp_f32_e32 v2, v1
	s_nop 0
	v_fma_f32 v3, -v1, v2, 1.0
	v_fmac_f32_e32 v2, v3, v2
	v_mul_f32_e32 v3, v1, v2
	v_fma_f32 v5, -v1, v3, v1
	v_fmac_f32_e32 v3, v5, v2
	v_fma_f32 v1, -v1, v3, v1
	v_div_fmas_f32 v1, v1, v2, v3
	v_div_fixup_f32 v1, v1, v0, v0
	v_mov_b32_e32 v0, v4
.LBB184_765:
	s_or_b64 exec, exec, s[0:1]
.LBB184_766:
	s_or_b64 exec, exec, s[34:35]
.LBB184_767:
	s_or_b64 exec, exec, s[30:31]
	v_cmp_gt_f32_e32 vcc, 0, v1
                                        ; implicit-def: $vgpr2_vgpr3
	s_nop 1
	v_cndmask_b32_e64 v5, v1, -v1, vcc
	v_cmp_gt_f32_e32 vcc, 0, v0
	s_nop 1
	v_cndmask_b32_e64 v4, v0, -v0, vcc
	v_cmp_ge_f32_e32 vcc, v4, v5
	s_and_saveexec_b64 s[0:1], vcc
	s_xor_b64 s[2:3], exec, s[0:1]
	s_cbranch_execz .LBB184_773
; %bb.768:
	v_cmp_neq_f32_e32 vcc, 0, v0
	v_cmp_neq_f32_e64 s[0:1], 0, v1
	s_or_b64 s[0:1], vcc, s[0:1]
                                        ; implicit-def: $vgpr2_vgpr3
	s_and_saveexec_b64 s[30:31], s[0:1]
	s_xor_b64 s[0:1], exec, s[30:31]
	s_cbranch_execz .LBB184_770
; %bb.769:
	v_div_scale_f32 v2, s[30:31], v0, v0, v1
	v_rcp_f32_e32 v3, v2
	v_div_scale_f32 v4, vcc, v1, v0, v1
	v_fma_f32 v5, -v2, v3, 1.0
	v_fmac_f32_e32 v3, v5, v3
	v_mul_f32_e32 v5, v4, v3
	v_fma_f32 v6, -v2, v5, v4
	v_fmac_f32_e32 v5, v6, v3
	v_fma_f32 v2, -v2, v5, v4
	v_div_fmas_f32 v2, v2, v3, v5
	v_div_fixup_f32 v3, v2, v0, v1
	v_fmac_f32_e32 v0, v1, v3
	v_div_scale_f32 v1, s[30:31], v0, v0, 1.0
	v_rcp_f32_e32 v2, v1
	s_nop 0
	v_fma_f32 v4, -v1, v2, 1.0
	v_fmac_f32_e32 v2, v4, v2
	v_div_scale_f32 v4, vcc, 1.0, v0, 1.0
	v_mul_f32_e32 v5, v4, v2
	v_fma_f32 v6, -v1, v5, v4
	v_fmac_f32_e32 v5, v6, v2
	v_fma_f32 v1, -v1, v5, v4
	v_div_fmas_f32 v1, v1, v2, v5
	v_div_fixup_f32 v0, v1, v0, 1.0
	v_mul_f32_e32 v1, 0, v3
	v_add_f32_e32 v2, 1.0, v1
	v_sub_f32_e32 v3, 0, v3
	v_pk_mul_f32 v[2:3], v[2:3], v[0:1] op_sel_hi:[1,0]
                                        ; implicit-def: $vgpr5
                                        ; implicit-def: $vgpr4
.LBB184_770:
	s_andn2_saveexec_b64 s[0:1], s[0:1]
	s_cbranch_execz .LBB184_772
; %bb.771:
	v_div_scale_f32 v0, s[30:31], v5, v5, 0
	v_rcp_f32_e32 v1, v0
	v_div_scale_f32 v2, vcc, 0, v5, 0
	v_fma_f32 v3, -v0, v1, 1.0
	v_fmac_f32_e32 v1, v3, v1
	v_mul_f32_e32 v3, v2, v1
	v_fma_f32 v6, -v0, v3, v2
	v_fmac_f32_e32 v3, v6, v1
	v_fma_f32 v0, -v0, v3, v2
	v_div_scale_f32 v2, s[30:31], v4, v4, 1.0
	v_rcp_f32_e32 v6, v2
	v_div_fmas_f32 v0, v0, v1, v3
	v_div_fixup_f32 v3, v0, v5, 0
	v_fma_f32 v0, -v2, v6, 1.0
	v_fmac_f32_e32 v6, v0, v6
	v_div_scale_f32 v0, vcc, 1.0, v4, 1.0
	v_mul_f32_e32 v1, v0, v6
	v_fma_f32 v5, -v2, v1, v0
	v_fmac_f32_e32 v1, v5, v6
	v_fma_f32 v0, -v2, v1, v0
	v_div_fmas_f32 v0, v0, v6, v1
	v_div_fixup_f32 v2, v0, v4, 1.0
.LBB184_772:
	s_or_b64 exec, exec, s[0:1]
                                        ; implicit-def: $vgpr1
.LBB184_773:
	s_andn2_saveexec_b64 s[0:1], s[2:3]
	s_cbranch_execz .LBB184_775
; %bb.774:
	v_div_scale_f32 v2, s[2:3], v1, v1, v0
	v_rcp_f32_e32 v3, v2
	v_div_scale_f32 v4, vcc, v0, v1, v0
	v_fma_f32 v5, -v2, v3, 1.0
	v_fmac_f32_e32 v3, v5, v3
	v_mul_f32_e32 v5, v4, v3
	v_fma_f32 v6, -v2, v5, v4
	v_fmac_f32_e32 v5, v6, v3
	v_fma_f32 v2, -v2, v5, v4
	v_div_fmas_f32 v2, v2, v3, v5
	v_div_fixup_f32 v2, v2, v1, v0
	v_fmac_f32_e32 v1, v0, v2
	v_div_scale_f32 v0, s[2:3], v1, v1, 1.0
	v_rcp_f32_e32 v3, v0
	s_mov_b32 s2, 0
	s_mov_b32 s3, -1.0
	v_fma_f32 v4, -v0, v3, 1.0
	v_fmac_f32_e32 v3, v4, v3
	v_div_scale_f32 v4, vcc, 1.0, v1, 1.0
	v_mul_f32_e32 v5, v4, v3
	v_fma_f32 v6, -v0, v5, v4
	v_fmac_f32_e32 v5, v6, v3
	v_fma_f32 v0, -v0, v5, v4
	v_div_fmas_f32 v0, v0, v3, v5
	v_mul_f32_e32 v3, 0, v2
	v_div_fixup_f32 v0, v0, v1, 1.0
	v_pk_add_f32 v[2:3], v[2:3], s[2:3]
	s_nop 0
	v_pk_mul_f32 v[2:3], v[2:3], v[0:1] op_sel_hi:[1,0]
.LBB184_775:
	s_or_b64 exec, exec, s[0:1]
	v_cvt_f16_f32_e32 v3, v3
	v_cvt_f16_f32_e32 v4, v2
	v_mul_lo_u32 v0, v10, s8
	v_ashrrev_i32_e32 v1, 31, v0
	v_lshlrev_b32_e32 v2, 16, v3
	s_and_b32 s36, s33, 0xff
	v_or_b32_e32 v5, v2, v4
	s_cmp_lt_i32 s36, 11
	v_lshl_add_u64 v[0:1], s[4:5], 0, v[0:1]
	s_cbranch_scc1 .LBB184_782
; %bb.776:
	s_and_b32 s37, 0xffff, s36
	s_cmp_gt_i32 s37, 25
	s_cbranch_scc0 .LBB184_783
; %bb.777:
	s_cmp_gt_i32 s37, 28
	s_cbranch_scc0 .LBB184_784
; %bb.778:
	;; [unrolled: 3-line block ×4, first 2 shown]
	s_mov_b64 s[30:31], 0
	s_mov_b64 s[0:1], -1
	s_cmp_eq_u32 s37, 46
	s_mov_b64 s[2:3], 0
	s_cbranch_scc0 .LBB184_787
; %bb.781:
	v_cvt_f32_f16_e32 v6, v3
	v_cvt_f32_f16_e32 v2, v4
	s_movk_i32 s0, 0x7fff
	v_cmp_o_f16_e32 vcc, v3, v3
	v_bfe_u32 v8, v6, 16, 1
	v_bfe_u32 v7, v2, 16, 1
	v_add3_u32 v6, v6, v8, s0
	v_add3_u32 v2, v2, v7, s0
	v_and_b32_e32 v6, 0xffff0000, v6
	v_mov_b32_e32 v7, 0x7fc00000
	v_cndmask_b32_e32 v6, v7, v6, vcc
	v_cmp_o_f16_e32 vcc, v4, v4
	v_mov_b32_e32 v7, 0x7fc0
	s_mov_b64 s[2:3], -1
	v_cndmask_b32_sdwa v2, v7, v2, vcc dst_sel:DWORD dst_unused:UNUSED_PAD src0_sel:DWORD src1_sel:WORD_1
	v_or_b32_e32 v2, v6, v2
	global_store_dword v[0:1], v2, off
	s_mov_b64 s[0:1], 0
	s_branch .LBB184_787
.LBB184_782:
	s_mov_b64 s[30:31], -1
	s_mov_b64 s[2:3], 0
	s_mov_b64 s[0:1], s[22:23]
	s_branch .LBB184_856
.LBB184_783:
	s_mov_b64 s[30:31], -1
	s_mov_b64 s[2:3], 0
	s_mov_b64 s[0:1], s[22:23]
	s_branch .LBB184_814
.LBB184_784:
	s_mov_b64 s[30:31], -1
	s_mov_b64 s[2:3], 0
	s_mov_b64 s[0:1], s[22:23]
	s_branch .LBB184_797
.LBB184_785:
	s_mov_b64 s[30:31], -1
	s_mov_b64 s[2:3], 0
	s_mov_b64 s[0:1], s[22:23]
	s_branch .LBB184_793
.LBB184_786:
	s_mov_b64 s[30:31], -1
	s_mov_b64 s[2:3], 0
	s_mov_b64 s[0:1], s[22:23]
.LBB184_787:
	s_and_b64 vcc, exec, s[30:31]
	s_cbranch_vccz .LBB184_792
; %bb.788:
	s_cmp_eq_u32 s37, 44
	s_mov_b64 s[0:1], -1
	s_cbranch_scc0 .LBB184_792
; %bb.789:
	v_cvt_f32_f16_e32 v2, v4
	s_movk_i32 s0, 0xff
	v_mov_b32_e32 v7, 0xff
	v_bfe_u32 v6, v2, 23, 8
	v_cmp_ne_u32_e32 vcc, s0, v6
	s_and_saveexec_b64 s[2:3], vcc
; %bb.790:
	s_mov_b32 s0, 0x3fffff
	v_lshrrev_b32_e32 v7, 23, v2
	v_and_b32_e32 v8, 0x400000, v2
	v_and_or_b32 v2, v2, s0, v6
	v_cmp_ne_u32_e32 vcc, 0, v8
	v_cmp_ne_u32_e64 s[0:1], 0, v2
	s_and_b64 s[0:1], vcc, s[0:1]
	s_nop 0
	v_cndmask_b32_e64 v2, 0, 1, s[0:1]
	v_add_u32_e32 v7, v7, v2
; %bb.791:
	s_or_b64 exec, exec, s[2:3]
	s_mov_b64 s[2:3], -1
	s_mov_b64 s[0:1], 0
	global_store_byte v[0:1], v7, off
.LBB184_792:
	s_mov_b64 s[30:31], 0
.LBB184_793:
	s_and_b64 vcc, exec, s[30:31]
	s_cbranch_vccz .LBB184_796
; %bb.794:
	s_cmp_eq_u32 s37, 29
	s_mov_b64 s[0:1], -1
	s_cbranch_scc0 .LBB184_796
; %bb.795:
	v_cvt_f32_f16_e32 v2, v4
	v_mov_b32_e32 v7, 0
	s_mov_b64 s[2:3], -1
	s_mov_b64 s[0:1], 0
	v_cvt_u32_f32_e32 v6, v2
	s_mov_b64 s[30:31], 0
	global_store_dwordx2 v[0:1], v[6:7], off
	s_branch .LBB184_797
.LBB184_796:
	s_mov_b64 s[30:31], 0
.LBB184_797:
	s_and_b64 vcc, exec, s[30:31]
	s_cbranch_vccz .LBB184_813
; %bb.798:
	s_cmp_lt_i32 s37, 27
	s_mov_b64 s[2:3], -1
	s_cbranch_scc1 .LBB184_804
; %bb.799:
	s_cmp_gt_i32 s37, 27
	s_cbranch_scc0 .LBB184_801
; %bb.800:
	v_cvt_f32_f16_e32 v2, v4
	s_mov_b64 s[2:3], 0
	v_cvt_u32_f32_e32 v2, v2
	global_store_dword v[0:1], v2, off
.LBB184_801:
	s_andn2_b64 vcc, exec, s[2:3]
	s_cbranch_vccnz .LBB184_803
; %bb.802:
	v_cvt_u16_f16_e32 v2, v4
	global_store_short v[0:1], v2, off
.LBB184_803:
	s_mov_b64 s[2:3], 0
.LBB184_804:
	s_andn2_b64 vcc, exec, s[2:3]
	s_cbranch_vccnz .LBB184_812
; %bb.805:
	v_cvt_f32_f16_e32 v2, v4
	s_mov_b32 s2, 0x43800000
	v_mov_b32_e32 v7, 0x80
	v_and_b32_e32 v6, 0x7fffffff, v2
	v_cmp_gt_u32_e32 vcc, s2, v6
	s_and_saveexec_b64 s[2:3], vcc
	s_cbranch_execz .LBB184_811
; %bb.806:
	s_mov_b32 s30, 0x3bffffff
	v_cmp_lt_u32_e32 vcc, s30, v6
	s_mov_b64 s[30:31], 0
                                        ; implicit-def: $vgpr6
	s_and_saveexec_b64 s[34:35], vcc
	s_xor_b64 s[34:35], exec, s[34:35]
	s_cbranch_execz .LBB184_912
; %bb.807:
	v_bfe_u32 v6, v2, 20, 1
	s_mov_b32 s38, 0x487ffff
	v_add3_u32 v6, v2, v6, s38
	s_mov_b64 s[30:31], exec
	v_lshrrev_b32_e32 v6, 20, v6
	s_andn2_saveexec_b64 s[34:35], s[34:35]
	s_cbranch_execnz .LBB184_913
.LBB184_808:
	s_or_b64 exec, exec, s[34:35]
	v_mov_b32_e32 v7, 0
	s_and_saveexec_b64 s[34:35], s[30:31]
.LBB184_809:
	v_lshrrev_b32_e32 v2, 24, v2
	s_movk_i32 s30, 0x80
	v_and_or_b32 v7, v2, s30, v6
.LBB184_810:
	s_or_b64 exec, exec, s[34:35]
.LBB184_811:
	s_or_b64 exec, exec, s[2:3]
	global_store_byte v[0:1], v7, off
.LBB184_812:
	s_mov_b64 s[2:3], -1
.LBB184_813:
	s_mov_b64 s[30:31], 0
.LBB184_814:
	s_and_b64 vcc, exec, s[30:31]
	s_cbranch_vccz .LBB184_855
; %bb.815:
	s_cmp_gt_i32 s37, 22
	s_mov_b64 s[30:31], -1
	s_cbranch_scc0 .LBB184_847
; %bb.816:
	s_cmp_lt_i32 s37, 24
	s_mov_b64 s[2:3], -1
	s_cbranch_scc1 .LBB184_836
; %bb.817:
	s_cmp_gt_i32 s37, 24
	s_cbranch_scc0 .LBB184_825
; %bb.818:
	v_cvt_f32_f16_e32 v2, v4
	s_mov_b32 s2, 0x47800000
	v_mov_b32_e32 v7, 0x80
	v_and_b32_e32 v6, 0x7fffffff, v2
	v_cmp_gt_u32_e32 vcc, s2, v6
	s_and_saveexec_b64 s[2:3], vcc
	s_cbranch_execz .LBB184_824
; %bb.819:
	s_mov_b32 s30, 0x37ffffff
	v_cmp_lt_u32_e32 vcc, s30, v6
	s_mov_b64 s[30:31], 0
                                        ; implicit-def: $vgpr6
	s_and_saveexec_b64 s[34:35], vcc
	s_xor_b64 s[34:35], exec, s[34:35]
	s_cbranch_execz .LBB184_915
; %bb.820:
	v_bfe_u32 v6, v2, 21, 1
	s_mov_b32 s38, 0x88fffff
	v_add3_u32 v6, v2, v6, s38
	s_mov_b64 s[30:31], exec
	v_lshrrev_b32_e32 v6, 21, v6
	s_andn2_saveexec_b64 s[34:35], s[34:35]
	s_cbranch_execnz .LBB184_916
.LBB184_821:
	s_or_b64 exec, exec, s[34:35]
	v_mov_b32_e32 v7, 0
	s_and_saveexec_b64 s[34:35], s[30:31]
.LBB184_822:
	v_lshrrev_b32_e32 v2, 24, v2
	s_movk_i32 s30, 0x80
	v_and_or_b32 v7, v2, s30, v6
.LBB184_823:
	s_or_b64 exec, exec, s[34:35]
.LBB184_824:
	s_or_b64 exec, exec, s[2:3]
	s_mov_b64 s[2:3], 0
	global_store_byte v[0:1], v7, off
.LBB184_825:
	s_and_b64 vcc, exec, s[2:3]
	s_cbranch_vccz .LBB184_835
; %bb.826:
	v_cvt_f32_f16_e32 v2, v4
	s_mov_b32 s2, 0x43f00000
                                        ; implicit-def: $vgpr6
	v_and_b32_e32 v7, 0x7fffffff, v2
	v_cmp_gt_u32_e32 vcc, s2, v7
	s_and_saveexec_b64 s[2:3], vcc
	s_xor_b64 s[2:3], exec, s[2:3]
	s_cbranch_execz .LBB184_832
; %bb.827:
	s_mov_b32 s30, 0x3c7fffff
	v_cmp_lt_u32_e32 vcc, s30, v7
                                        ; implicit-def: $vgpr6
	s_and_saveexec_b64 s[30:31], vcc
	s_xor_b64 s[30:31], exec, s[30:31]
; %bb.828:
	v_bfe_u32 v6, v2, 20, 1
	s_mov_b32 s34, 0x407ffff
	v_add3_u32 v6, v2, v6, s34
	v_lshrrev_b32_e32 v7, 20, v6
	v_and_b32_e32 v6, 0xff00000, v6
	s_mov_b32 s34, 0x7f00000
	v_mov_b32_e32 v8, 0x7e
	v_cmp_ne_u32_e32 vcc, s34, v6
	s_nop 1
	v_cndmask_b32_e32 v6, v8, v7, vcc
; %bb.829:
	s_andn2_saveexec_b64 s[30:31], s[30:31]
; %bb.830:
	s_mov_b32 s34, 0x46800000
	v_add_f32_e64 v6, |v2|, s34
; %bb.831:
	s_or_b64 exec, exec, s[30:31]
                                        ; implicit-def: $vgpr7
.LBB184_832:
	s_andn2_saveexec_b64 s[2:3], s[2:3]
; %bb.833:
	s_mov_b32 s30, 0x7f800000
	v_mov_b32_e32 v6, 0x7e
	v_mov_b32_e32 v8, 0x7f
	v_cmp_lt_u32_e32 vcc, s30, v7
	s_nop 1
	v_cndmask_b32_e32 v6, v6, v8, vcc
; %bb.834:
	s_or_b64 exec, exec, s[2:3]
	v_lshrrev_b32_e32 v2, 24, v2
	s_movk_i32 s2, 0x80
	v_and_or_b32 v2, v2, s2, v6
	global_store_byte v[0:1], v2, off
.LBB184_835:
	s_mov_b64 s[2:3], 0
.LBB184_836:
	s_andn2_b64 vcc, exec, s[2:3]
	s_cbranch_vccnz .LBB184_846
; %bb.837:
	v_cvt_f32_f16_e32 v2, v4
	s_mov_b32 s2, 0x47800000
                                        ; implicit-def: $vgpr6
	v_and_b32_e32 v7, 0x7fffffff, v2
	v_cmp_gt_u32_e32 vcc, s2, v7
	s_and_saveexec_b64 s[2:3], vcc
	s_xor_b64 s[2:3], exec, s[2:3]
	s_cbranch_execz .LBB184_843
; %bb.838:
	s_mov_b32 s30, 0x387fffff
	v_cmp_lt_u32_e32 vcc, s30, v7
                                        ; implicit-def: $vgpr6
	s_and_saveexec_b64 s[30:31], vcc
	s_xor_b64 s[30:31], exec, s[30:31]
; %bb.839:
	v_bfe_u32 v6, v2, 21, 1
	s_mov_b32 s34, 0x80fffff
	v_add3_u32 v6, v2, v6, s34
	v_lshrrev_b32_e32 v6, 21, v6
; %bb.840:
	s_andn2_saveexec_b64 s[30:31], s[30:31]
; %bb.841:
	s_mov_b32 s34, 0x43000000
	v_add_f32_e64 v6, |v2|, s34
; %bb.842:
	s_or_b64 exec, exec, s[30:31]
                                        ; implicit-def: $vgpr7
.LBB184_843:
	s_andn2_saveexec_b64 s[2:3], s[2:3]
; %bb.844:
	s_mov_b32 s30, 0x7f800000
	v_mov_b32_e32 v6, 0x7c
	v_mov_b32_e32 v8, 0x7f
	v_cmp_lt_u32_e32 vcc, s30, v7
	s_nop 1
	v_cndmask_b32_e32 v6, v6, v8, vcc
; %bb.845:
	s_or_b64 exec, exec, s[2:3]
	v_lshrrev_b32_e32 v2, 24, v2
	s_movk_i32 s2, 0x80
	v_and_or_b32 v2, v2, s2, v6
	global_store_byte v[0:1], v2, off
.LBB184_846:
	s_mov_b64 s[30:31], 0
	s_mov_b64 s[2:3], -1
.LBB184_847:
	s_andn2_b64 vcc, exec, s[30:31]
	s_cbranch_vccnz .LBB184_855
; %bb.848:
	s_cmp_gt_i32 s37, 14
	s_mov_b64 s[30:31], -1
	s_cbranch_scc0 .LBB184_852
; %bb.849:
	s_cmp_eq_u32 s37, 15
	s_mov_b64 s[0:1], -1
	s_cbranch_scc0 .LBB184_851
; %bb.850:
	v_cvt_f32_f16_e32 v2, v4
	s_movk_i32 s0, 0x7fff
	v_cmp_o_f16_e32 vcc, v4, v4
	v_mov_b32_e32 v6, 0x7fc0
	v_bfe_u32 v7, v2, 16, 1
	v_add3_u32 v2, v2, v7, s0
	v_cndmask_b32_sdwa v2, v6, v2, vcc dst_sel:DWORD dst_unused:UNUSED_PAD src0_sel:DWORD src1_sel:WORD_1
	global_store_short v[0:1], v2, off
	s_mov_b64 s[2:3], -1
	s_mov_b64 s[0:1], 0
.LBB184_851:
	s_mov_b64 s[30:31], 0
.LBB184_852:
	s_and_b64 vcc, exec, s[30:31]
	s_cbranch_vccz .LBB184_855
; %bb.853:
	s_cmp_eq_u32 s37, 11
	s_mov_b64 s[0:1], -1
	s_cbranch_scc0 .LBB184_855
; %bb.854:
	v_and_b32_e32 v2, 0x7fff7fff, v5
	v_cmp_ne_u32_e32 vcc, 0, v2
	s_mov_b64 s[2:3], -1
	s_mov_b64 s[0:1], 0
	v_cndmask_b32_e64 v2, 0, 1, vcc
	global_store_byte v[0:1], v2, off
.LBB184_855:
	s_mov_b64 s[30:31], 0
.LBB184_856:
	s_and_b64 vcc, exec, s[30:31]
	s_cbranch_vccz .LBB184_895
; %bb.857:
	s_and_b32 s30, 0xffff, s36
	s_cmp_lt_i32 s30, 5
	s_mov_b64 s[2:3], -1
	s_cbranch_scc1 .LBB184_878
; %bb.858:
	s_cmp_lt_i32 s30, 8
	s_cbranch_scc1 .LBB184_868
; %bb.859:
	s_cmp_lt_i32 s30, 9
	s_cbranch_scc1 .LBB184_865
; %bb.860:
	v_cvt_f32_f16_e32 v3, v3
	s_cmp_gt_i32 s30, 9
	s_cbranch_scc0 .LBB184_862
; %bb.861:
	v_cvt_f32_f16_e32 v2, v4
	v_cvt_f64_f32_e32 v[8:9], v3
	s_mov_b64 s[2:3], 0
	v_cvt_f64_f32_e32 v[6:7], v2
	global_store_dwordx4 v[0:1], v[6:9], off
.LBB184_862:
	s_andn2_b64 vcc, exec, s[2:3]
	s_cbranch_vccnz .LBB184_864
; %bb.863:
	v_cvt_f32_f16_e32 v2, v4
	global_store_dwordx2 v[0:1], v[2:3], off
.LBB184_864:
	s_mov_b64 s[2:3], 0
.LBB184_865:
	s_andn2_b64 vcc, exec, s[2:3]
	s_cbranch_vccnz .LBB184_867
; %bb.866:
	global_store_dword v[0:1], v5, off
.LBB184_867:
	s_mov_b64 s[2:3], 0
.LBB184_868:
	s_andn2_b64 vcc, exec, s[2:3]
	s_cbranch_vccnz .LBB184_877
; %bb.869:
	s_cmp_lt_i32 s30, 6
	s_mov_b64 s[2:3], -1
	s_cbranch_scc1 .LBB184_875
; %bb.870:
	s_cmp_gt_i32 s30, 6
	s_cbranch_scc0 .LBB184_872
; %bb.871:
	v_cvt_f32_f16_e32 v2, v4
	s_mov_b64 s[2:3], 0
	v_cvt_f64_f32_e32 v[2:3], v2
	global_store_dwordx2 v[0:1], v[2:3], off
.LBB184_872:
	s_andn2_b64 vcc, exec, s[2:3]
	s_cbranch_vccnz .LBB184_874
; %bb.873:
	v_cvt_f32_f16_e32 v2, v4
	global_store_dword v[0:1], v2, off
.LBB184_874:
	s_mov_b64 s[2:3], 0
.LBB184_875:
	s_andn2_b64 vcc, exec, s[2:3]
	s_cbranch_vccnz .LBB184_877
; %bb.876:
	global_store_short v[0:1], v4, off
.LBB184_877:
	s_mov_b64 s[2:3], 0
.LBB184_878:
	s_andn2_b64 vcc, exec, s[2:3]
	s_cbranch_vccnz .LBB184_894
; %bb.879:
	s_cmp_lt_i32 s30, 2
	s_mov_b64 s[2:3], -1
	s_cbranch_scc1 .LBB184_889
; %bb.880:
	s_cmp_lt_i32 s30, 3
	s_cbranch_scc1 .LBB184_886
; %bb.881:
	s_cmp_gt_i32 s30, 3
	s_cbranch_scc0 .LBB184_883
; %bb.882:
	v_cvt_f32_f16_e32 v2, v4
	s_mov_b64 s[2:3], 0
	v_cvt_i32_f32_e32 v2, v2
	v_ashrrev_i32_e32 v3, 31, v2
	global_store_dwordx2 v[0:1], v[2:3], off
.LBB184_883:
	s_andn2_b64 vcc, exec, s[2:3]
	s_cbranch_vccnz .LBB184_885
; %bb.884:
	v_cvt_f32_f16_e32 v2, v4
	v_cvt_i32_f32_e32 v2, v2
	global_store_dword v[0:1], v2, off
.LBB184_885:
	s_mov_b64 s[2:3], 0
.LBB184_886:
	s_andn2_b64 vcc, exec, s[2:3]
	s_cbranch_vccnz .LBB184_888
; %bb.887:
	v_cvt_i16_f16_e32 v2, v4
	global_store_short v[0:1], v2, off
.LBB184_888:
	s_mov_b64 s[2:3], 0
.LBB184_889:
	s_andn2_b64 vcc, exec, s[2:3]
	s_cbranch_vccnz .LBB184_894
; %bb.890:
	s_cmp_gt_i32 s30, 0
	s_mov_b64 s[2:3], -1
	s_cbranch_scc0 .LBB184_892
; %bb.891:
	v_cvt_i16_f16_e32 v2, v4
	s_mov_b64 s[2:3], 0
	global_store_byte v[0:1], v2, off
.LBB184_892:
	s_andn2_b64 vcc, exec, s[2:3]
	s_cbranch_vccnz .LBB184_894
; %bb.893:
	v_cvt_f32_f16_e32 v2, v4
	v_cvt_i32_f32_e32 v2, v2
	global_store_byte v[0:1], v2, off
.LBB184_894:
	s_mov_b64 s[2:3], -1
.LBB184_895:
	s_andn2_b64 vcc, exec, s[2:3]
	s_cbranch_vccnz .LBB184_897
; %bb.896:
	v_add_u32_e32 v10, 0x80, v10
	s_mov_b64 s[30:31], -1
	s_branch .LBB184_898
.LBB184_897:
	s_mov_b64 s[30:31], 0
                                        ; implicit-def: $vgpr10
.LBB184_898:
	s_andn2_b64 s[2:3], s[22:23], exec
	s_and_b64 s[0:1], s[0:1], exec
	s_or_b64 s[2:3], s[2:3], s[0:1]
	s_andn2_b64 s[0:1], s[20:21], exec
	s_and_b64 s[28:29], s[28:29], exec
	s_or_b64 s[0:1], s[0:1], s[28:29]
	s_orn2_b64 s[34:35], s[30:31], exec
.LBB184_899:
	s_or_b64 exec, exec, s[26:27]
	s_mov_b64 s[30:31], 0
	s_mov_b64 s[36:37], 0
	;; [unrolled: 1-line block ×3, first 2 shown]
                                        ; implicit-def: $vgpr0_vgpr1
                                        ; implicit-def: $vgpr5
                                        ; implicit-def: $vgpr2
	s_and_saveexec_b64 s[26:27], s[34:35]
	s_cbranch_execz .LBB184_987
; %bb.900:
	v_cmp_gt_i32_e32 vcc, s45, v10
	s_mov_b64 s[34:35], 0
	s_mov_b64 s[38:39], s[0:1]
	;; [unrolled: 1-line block ×3, first 2 shown]
                                        ; implicit-def: $vgpr0_vgpr1
                                        ; implicit-def: $vgpr5
                                        ; implicit-def: $vgpr2
	s_and_saveexec_b64 s[28:29], vcc
	s_cbranch_execz .LBB184_986
; %bb.901:
	v_mul_lo_u32 v0, v10, s9
	v_ashrrev_i32_e32 v1, 31, v0
	s_and_b32 s42, 0xffff, s44
	s_cmp_lt_i32 s42, 11
	v_lshl_add_u64 v[0:1], s[6:7], 0, v[0:1]
	s_cbranch_scc1 .LBB184_908
; %bb.902:
	s_cmp_gt_i32 s42, 25
	s_cbranch_scc0 .LBB184_909
; %bb.903:
	s_cmp_gt_i32 s42, 28
	s_cbranch_scc0 .LBB184_910
	;; [unrolled: 3-line block ×4, first 2 shown]
; %bb.906:
	s_cmp_eq_u32 s42, 46
	s_mov_b64 s[38:39], 0
	s_cbranch_scc0 .LBB184_917
; %bb.907:
	global_load_dword v2, v[0:1], off
	s_mov_b64 s[36:37], -1
	s_waitcnt vmcnt(0)
	v_and_b32_e32 v3, 0xffff0000, v2
	v_lshlrev_b32_e32 v2, 16, v2
	v_cvt_f16_f32_e32 v2, v2
	v_cvt_f16_f32_e32 v5, v3
	s_branch .LBB184_919
.LBB184_908:
	s_mov_b64 s[38:39], -1
                                        ; implicit-def: $vgpr5
                                        ; implicit-def: $vgpr2
	s_mov_b64 s[30:31], s[0:1]
	s_branch .LBB184_985
.LBB184_909:
	s_mov_b64 s[38:39], -1
	s_mov_b64 s[30:31], s[0:1]
                                        ; implicit-def: $vgpr5
                                        ; implicit-def: $vgpr2
	s_branch .LBB184_950
.LBB184_910:
	s_mov_b64 s[38:39], -1
	s_mov_b64 s[30:31], s[0:1]
                                        ; implicit-def: $vgpr5
                                        ; implicit-def: $vgpr2
	s_branch .LBB184_931
.LBB184_911:
	s_mov_b64 s[38:39], -1
	s_mov_b64 s[30:31], s[0:1]
                                        ; implicit-def: $vgpr5
                                        ; implicit-def: $vgpr2
	s_branch .LBB184_925
.LBB184_912:
	s_andn2_saveexec_b64 s[34:35], s[34:35]
	s_cbranch_execz .LBB184_808
.LBB184_913:
	s_mov_b32 s38, 0x46000000
	v_add_f32_e64 v6, |v2|, s38
	v_and_b32_e32 v6, 0xff, v6
	v_cmp_ne_u32_e32 vcc, 0, v6
	s_andn2_b64 s[30:31], s[30:31], exec
	s_and_b64 s[38:39], vcc, exec
	s_or_b64 s[30:31], s[30:31], s[38:39]
	s_or_b64 exec, exec, s[34:35]
	v_mov_b32_e32 v7, 0
	s_and_saveexec_b64 s[34:35], s[30:31]
	s_cbranch_execnz .LBB184_809
	s_branch .LBB184_810
.LBB184_914:
	s_mov_b64 s[38:39], -1
	s_mov_b64 s[30:31], s[0:1]
	s_branch .LBB184_918
.LBB184_915:
	s_andn2_saveexec_b64 s[34:35], s[34:35]
	s_cbranch_execz .LBB184_821
.LBB184_916:
	s_mov_b32 s38, 0x42800000
	v_add_f32_e64 v6, |v2|, s38
	v_and_b32_e32 v6, 0xff, v6
	v_cmp_ne_u32_e32 vcc, 0, v6
	s_andn2_b64 s[30:31], s[30:31], exec
	s_and_b64 s[38:39], vcc, exec
	s_or_b64 s[30:31], s[30:31], s[38:39]
	s_or_b64 exec, exec, s[34:35]
	v_mov_b32_e32 v7, 0
	s_and_saveexec_b64 s[34:35], s[30:31]
	s_cbranch_execnz .LBB184_822
	s_branch .LBB184_823
.LBB184_917:
	s_mov_b64 s[30:31], -1
.LBB184_918:
                                        ; implicit-def: $vgpr5
                                        ; implicit-def: $vgpr2
.LBB184_919:
	s_and_b64 vcc, exec, s[38:39]
	s_cbranch_vccz .LBB184_924
; %bb.920:
	s_cmp_eq_u32 s42, 44
	s_cbranch_scc0 .LBB184_922
; %bb.921:
	global_load_ubyte v2, v[0:1], off
	s_movk_i32 s36, 0xff
	v_mov_b32_e32 v4, 0x7e00
	s_mov_b64 s[30:31], 0
	s_waitcnt vmcnt(0)
	v_lshlrev_b32_e32 v3, 23, v2
	v_cvt_f16_f32_e32 v3, v3
	v_cmp_ne_u32_e32 vcc, s36, v2
	s_mov_b64 s[36:37], -1
	s_nop 0
	v_cndmask_b32_e32 v3, v4, v3, vcc
	v_cmp_ne_u32_e32 vcc, 0, v2
	s_nop 1
	v_cndmask_b32_e32 v2, 0, v3, vcc
	s_branch .LBB184_923
.LBB184_922:
	s_mov_b64 s[30:31], -1
                                        ; implicit-def: $vgpr2
.LBB184_923:
	v_mov_b32_e32 v5, 0
.LBB184_924:
	s_mov_b64 s[38:39], 0
.LBB184_925:
	s_and_b64 vcc, exec, s[38:39]
	s_cbranch_vccz .LBB184_930
; %bb.926:
	s_cmp_eq_u32 s42, 29
	s_cbranch_scc0 .LBB184_928
; %bb.927:
	global_load_dwordx2 v[2:3], v[0:1], off
	s_mov_b64 s[30:31], 0
	s_mov_b64 s[36:37], -1
	s_waitcnt vmcnt(0)
	v_ffbh_u32_e32 v4, v3
	v_min_u32_e32 v4, 32, v4
	v_lshlrev_b64 v[2:3], v4, v[2:3]
	v_min_u32_e32 v2, 1, v2
	v_or_b32_e32 v2, v3, v2
	v_cvt_f32_u32_e32 v2, v2
	v_sub_u32_e32 v3, 32, v4
	v_ldexp_f32 v2, v2, v3
	v_cvt_f16_f32_e32 v2, v2
	s_branch .LBB184_929
.LBB184_928:
	s_mov_b64 s[30:31], -1
                                        ; implicit-def: $vgpr2
.LBB184_929:
	v_mov_b32_e32 v5, 0
.LBB184_930:
	s_mov_b64 s[38:39], 0
.LBB184_931:
	s_and_b64 vcc, exec, s[38:39]
	s_cbranch_vccz .LBB184_949
; %bb.932:
	s_cmp_lt_i32 s42, 27
	s_cbranch_scc1 .LBB184_935
; %bb.933:
	s_cmp_gt_i32 s42, 27
	s_cbranch_scc0 .LBB184_936
; %bb.934:
	global_load_dword v2, v[0:1], off
	s_mov_b64 s[36:37], 0
	s_waitcnt vmcnt(0)
	v_cvt_f32_u32_e32 v2, v2
	v_cvt_f16_f32_e32 v2, v2
	s_branch .LBB184_937
.LBB184_935:
	s_mov_b64 s[36:37], -1
                                        ; implicit-def: $vgpr2
	s_branch .LBB184_940
.LBB184_936:
	s_mov_b64 s[36:37], -1
                                        ; implicit-def: $vgpr2
.LBB184_937:
	s_andn2_b64 vcc, exec, s[36:37]
	s_cbranch_vccnz .LBB184_939
; %bb.938:
	global_load_ushort v2, v[0:1], off
	s_waitcnt vmcnt(0)
	v_cvt_f16_u16_e32 v2, v2
.LBB184_939:
	s_mov_b64 s[36:37], 0
.LBB184_940:
	s_andn2_b64 vcc, exec, s[36:37]
	s_cbranch_vccnz .LBB184_948
; %bb.941:
	global_load_ubyte v3, v[0:1], off
	s_movk_i32 s36, 0x7f
	s_waitcnt vmcnt(0)
	v_cmp_lt_i16_e32 vcc, s36, v3
	s_mov_b64 s[36:37], 0
	s_and_saveexec_b64 s[38:39], vcc
	s_xor_b64 s[38:39], exec, s[38:39]
	s_cbranch_execz .LBB184_962
; %bb.942:
	s_movk_i32 s36, 0x80
	v_cmp_eq_u16_e32 vcc, s36, v3
	s_mov_b64 s[36:37], -1
	s_and_saveexec_b64 s[40:41], vcc
; %bb.943:
	s_xor_b64 s[36:37], exec, -1
; %bb.944:
	s_or_b64 exec, exec, s[40:41]
	s_and_b64 s[36:37], s[36:37], exec
	s_or_saveexec_b64 s[38:39], s[38:39]
	v_mov_b32_e32 v2, 0x7e00
	s_xor_b64 exec, exec, s[38:39]
	s_cbranch_execnz .LBB184_963
.LBB184_945:
	s_or_b64 exec, exec, s[38:39]
	s_and_saveexec_b64 s[38:39], s[36:37]
	s_cbranch_execz .LBB184_947
.LBB184_946:
	v_lshlrev_b32_e32 v2, 24, v3
	v_and_b32_e32 v3, 0xffff, v3
	v_and_b32_e32 v4, 7, v3
	v_ffbh_u32_e32 v6, v4
	v_min_u32_e32 v6, 32, v6
	v_subrev_u32_e32 v7, 28, v6
	v_bfe_u32 v5, v3, 3, 4
	v_lshlrev_b32_e32 v3, v7, v3
	v_sub_u32_e32 v6, 29, v6
	v_and_b32_e32 v3, 7, v3
	v_cmp_eq_u32_e32 vcc, 0, v5
	v_and_b32_e32 v2, 0x80000000, v2
	s_nop 0
	v_cndmask_b32_e32 v5, v5, v6, vcc
	v_cndmask_b32_e32 v3, v4, v3, vcc
	v_mov_b32_e32 v4, 0x3b800000
	v_lshlrev_b32_e32 v3, 20, v3
	v_lshl_add_u32 v4, v5, 23, v4
	v_or3_b32 v2, v2, v4, v3
	v_cvt_f16_f32_e32 v2, v2
.LBB184_947:
	s_or_b64 exec, exec, s[38:39]
.LBB184_948:
	s_mov_b64 s[36:37], -1
	v_mov_b32_e32 v5, 0
.LBB184_949:
	s_mov_b64 s[38:39], 0
.LBB184_950:
	s_and_b64 vcc, exec, s[38:39]
	s_cbranch_vccz .LBB184_984
; %bb.951:
	s_cmp_gt_i32 s42, 22
	s_cbranch_scc0 .LBB184_961
; %bb.952:
	s_cmp_lt_i32 s42, 24
	s_cbranch_scc1 .LBB184_964
; %bb.953:
	s_cmp_gt_i32 s42, 24
	s_cbranch_scc0 .LBB184_965
; %bb.954:
	global_load_ubyte v3, v[0:1], off
	s_movk_i32 s34, 0x7f
	s_waitcnt vmcnt(0)
	v_cmp_lt_i16_e32 vcc, s34, v3
	s_mov_b64 s[34:35], 0
	s_and_saveexec_b64 s[36:37], vcc
	s_xor_b64 s[36:37], exec, s[36:37]
	s_cbranch_execz .LBB184_977
; %bb.955:
	s_movk_i32 s34, 0x80
	v_cmp_eq_u16_e32 vcc, s34, v3
	s_mov_b64 s[34:35], -1
	s_and_saveexec_b64 s[38:39], vcc
; %bb.956:
	s_xor_b64 s[34:35], exec, -1
; %bb.957:
	s_or_b64 exec, exec, s[38:39]
	s_and_b64 s[34:35], s[34:35], exec
	s_or_saveexec_b64 s[36:37], s[36:37]
	v_mov_b32_e32 v2, 0x7e00
	s_xor_b64 exec, exec, s[36:37]
	s_cbranch_execnz .LBB184_978
.LBB184_958:
	s_or_b64 exec, exec, s[36:37]
	s_and_saveexec_b64 s[36:37], s[34:35]
	s_cbranch_execz .LBB184_960
.LBB184_959:
	v_lshlrev_b32_e32 v2, 24, v3
	v_and_b32_e32 v3, 0xffff, v3
	v_and_b32_e32 v4, 3, v3
	v_ffbh_u32_e32 v6, v4
	v_min_u32_e32 v6, 32, v6
	v_subrev_u32_e32 v7, 29, v6
	v_bfe_u32 v5, v3, 2, 5
	v_lshlrev_b32_e32 v3, v7, v3
	v_sub_u32_e32 v6, 30, v6
	v_and_b32_e32 v3, 3, v3
	v_cmp_eq_u32_e32 vcc, 0, v5
	v_and_b32_e32 v2, 0x80000000, v2
	s_nop 0
	v_cndmask_b32_e32 v5, v5, v6, vcc
	v_cndmask_b32_e32 v3, v4, v3, vcc
	v_mov_b32_e32 v4, 0x37800000
	v_lshlrev_b32_e32 v3, 21, v3
	v_lshl_add_u32 v4, v5, 23, v4
	v_or3_b32 v2, v2, v4, v3
	v_cvt_f16_f32_e32 v2, v2
.LBB184_960:
	s_or_b64 exec, exec, s[36:37]
	s_mov_b64 s[34:35], 0
	s_branch .LBB184_966
.LBB184_961:
	s_mov_b64 s[34:35], -1
                                        ; implicit-def: $vgpr2
	s_branch .LBB184_972
.LBB184_962:
	s_or_saveexec_b64 s[38:39], s[38:39]
	v_mov_b32_e32 v2, 0x7e00
	s_xor_b64 exec, exec, s[38:39]
	s_cbranch_execz .LBB184_945
.LBB184_963:
	v_cmp_ne_u16_e32 vcc, 0, v3
	s_andn2_b64 s[36:37], s[36:37], exec
	s_and_b64 s[40:41], vcc, exec
	s_or_b64 s[36:37], s[36:37], s[40:41]
	v_mov_b32_e32 v2, v3
	s_or_b64 exec, exec, s[38:39]
	s_and_saveexec_b64 s[38:39], s[36:37]
	s_cbranch_execnz .LBB184_946
	s_branch .LBB184_947
.LBB184_964:
	s_mov_b64 s[34:35], -1
                                        ; implicit-def: $vgpr2
	s_branch .LBB184_969
.LBB184_965:
	s_mov_b64 s[34:35], -1
                                        ; implicit-def: $vgpr2
.LBB184_966:
	s_and_b64 vcc, exec, s[34:35]
	s_cbranch_vccz .LBB184_968
; %bb.967:
	global_load_ubyte v2, v[0:1], off
	s_mov_b32 s34, 0x7f800000
	s_waitcnt vmcnt(0)
	v_lshlrev_b32_e32 v2, 24, v2
	v_and_b32_e32 v3, 0x7f000000, v2
	v_ffbh_u32_e32 v4, v3
	v_min_u32_e32 v4, 32, v4
	v_sub_u32_e64 v4, v4, 4 clamp
	v_lshlrev_b32_e32 v6, v4, v3
	v_lshlrev_b32_e32 v4, 23, v4
	v_lshrrev_b32_e32 v6, 4, v6
	v_add_u32_e32 v5, 0x1000000, v3
	v_sub_u32_e32 v4, v6, v4
	v_ashrrev_i32_e32 v5, 8, v5
	v_add_u32_e32 v4, 0x3c000000, v4
	v_and_or_b32 v4, v5, s34, v4
	v_cmp_ne_u32_e32 vcc, 0, v3
	s_brev_b32 s34, 1
	s_nop 0
	v_cndmask_b32_e32 v3, 0, v4, vcc
	v_and_or_b32 v2, v2, s34, v3
	v_cvt_f16_f32_e32 v2, v2
.LBB184_968:
	s_mov_b64 s[34:35], 0
.LBB184_969:
	s_andn2_b64 vcc, exec, s[34:35]
	s_cbranch_vccnz .LBB184_971
; %bb.970:
	global_load_ubyte v2, v[0:1], off
	s_movk_i32 s34, 0x7f00
	s_brev_b32 s35, 16
	s_waitcnt vmcnt(0)
	v_lshlrev_b16_e32 v3, 8, v2
	v_lshlrev_b32_e32 v2, 25, v2
	v_lshrrev_b32_e32 v4, 4, v2
	v_and_or_b32 v5, v3, s34, 0.5
	v_or_b32_e32 v4, 0x70000000, v4
	v_add_f32_e32 v5, -0.5, v5
	v_mul_f32_e32 v4, 0x7800000, v4
	v_cmp_gt_u32_e32 vcc, s35, v2
	v_bfe_i32 v3, v3, 0, 16
	s_brev_b32 s34, 1
	v_cndmask_b32_e32 v2, v4, v5, vcc
	v_and_or_b32 v2, v3, s34, v2
	v_cvt_f16_f32_e32 v2, v2
.LBB184_971:
	s_mov_b64 s[34:35], 0
	s_mov_b64 s[36:37], -1
.LBB184_972:
	s_andn2_b64 vcc, exec, s[34:35]
	s_mov_b64 s[34:35], 0
	s_cbranch_vccnz .LBB184_983
; %bb.973:
	s_cmp_gt_i32 s42, 14
	s_cbranch_scc0 .LBB184_976
; %bb.974:
	s_cmp_eq_u32 s42, 15
	s_cbranch_scc0 .LBB184_979
; %bb.975:
	global_load_ushort v2, v[0:1], off
	s_mov_b64 s[30:31], 0
	s_mov_b64 s[36:37], -1
	s_waitcnt vmcnt(0)
	v_lshlrev_b32_e32 v2, 16, v2
	v_cvt_f16_f32_e32 v2, v2
	s_branch .LBB184_980
.LBB184_976:
	s_mov_b64 s[38:39], -1
                                        ; implicit-def: $vgpr2
	s_branch .LBB184_981
.LBB184_977:
	s_or_saveexec_b64 s[36:37], s[36:37]
	v_mov_b32_e32 v2, 0x7e00
	s_xor_b64 exec, exec, s[36:37]
	s_cbranch_execz .LBB184_958
.LBB184_978:
	v_cmp_ne_u16_e32 vcc, 0, v3
	s_andn2_b64 s[34:35], s[34:35], exec
	s_and_b64 s[38:39], vcc, exec
	s_or_b64 s[34:35], s[34:35], s[38:39]
	v_mov_b32_e32 v2, v3
	s_or_b64 exec, exec, s[36:37]
	s_and_saveexec_b64 s[36:37], s[34:35]
	s_cbranch_execnz .LBB184_959
	s_branch .LBB184_960
.LBB184_979:
	s_mov_b64 s[30:31], -1
                                        ; implicit-def: $vgpr2
.LBB184_980:
	s_mov_b64 s[38:39], 0
.LBB184_981:
	s_and_b64 vcc, exec, s[38:39]
	s_cbranch_vccz .LBB184_983
; %bb.982:
	s_cmp_lg_u32 s42, 11
	s_cselect_b64 s[38:39], -1, 0
	s_andn2_b64 s[30:31], s[30:31], exec
	s_and_b64 s[38:39], s[38:39], exec
	s_mov_b64 s[34:35], -1
	s_or_b64 s[30:31], s[30:31], s[38:39]
.LBB184_983:
	v_mov_b32_e32 v5, 0
.LBB184_984:
	s_mov_b64 s[38:39], 0
.LBB184_985:
	s_and_b64 s[40:41], s[36:37], exec
	s_and_b64 s[36:37], s[38:39], exec
	s_andn2_b64 s[38:39], s[0:1], exec
	s_and_b64 s[30:31], s[30:31], exec
	s_and_b64 s[34:35], s[34:35], exec
	s_or_b64 s[38:39], s[38:39], s[30:31]
.LBB184_986:
	s_or_b64 exec, exec, s[28:29]
	s_and_b64 s[30:31], s[34:35], exec
	s_andn2_b64 s[0:1], s[0:1], exec
	s_and_b64 s[34:35], s[38:39], exec
	s_and_b64 s[28:29], s[40:41], exec
	;; [unrolled: 1-line block ×3, first 2 shown]
	s_or_b64 s[0:1], s[0:1], s[34:35]
.LBB184_987:
	s_or_b64 exec, exec, s[26:27]
	s_andn2_b64 s[22:23], s[22:23], exec
	s_and_b64 s[2:3], s[2:3], exec
	s_andn2_b64 s[20:21], s[20:21], exec
	s_and_b64 s[0:1], s[0:1], exec
	s_or_b64 s[22:23], s[22:23], s[2:3]
	s_and_b64 s[28:29], s[28:29], exec
	s_and_b64 s[26:27], s[36:37], exec
	;; [unrolled: 1-line block ×3, first 2 shown]
	s_or_b64 s[20:21], s[20:21], s[0:1]
.LBB184_988:
	s_or_b64 exec, exec, s[24:25]
	s_andn2_b64 s[0:1], s[14:15], exec
	s_and_b64 s[14:15], s[22:23], exec
	s_and_b64 s[22:23], s[2:3], exec
	s_andn2_b64 s[2:3], s[16:17], exec
	s_and_b64 s[16:17], s[20:21], exec
	s_or_b64 s[14:15], s[0:1], s[14:15]
	s_and_b64 s[0:1], s[28:29], exec
	s_and_b64 s[24:25], s[26:27], exec
	s_or_b64 s[16:17], s[2:3], s[16:17]
	s_or_b64 exec, exec, s[18:19]
	s_mov_b64 s[18:19], 0
	s_and_saveexec_b64 s[2:3], s[16:17]
	s_cbranch_execz .LBB184_303
.LBB184_989:
	s_mov_b64 s[18:19], exec
	s_andn2_b64 s[22:23], s[22:23], exec
	s_trap 2
	s_or_b64 exec, exec, s[2:3]
	s_and_saveexec_b64 s[2:3], s[22:23]
	s_xor_b64 s[2:3], exec, s[2:3]
	s_cbranch_execnz .LBB184_304
.LBB184_990:
	s_or_b64 exec, exec, s[2:3]
	s_and_saveexec_b64 s[2:3], s[24:25]
	s_cbranch_execz .LBB184_1038
.LBB184_991:
	s_sext_i32_i16 s16, s44
	s_cmp_lt_i32 s16, 5
	s_cbranch_scc1 .LBB184_996
; %bb.992:
	s_cmp_lt_i32 s16, 8
	s_cbranch_scc1 .LBB184_997
; %bb.993:
	s_cmp_lt_i32 s16, 9
	s_cbranch_scc1 .LBB184_998
; %bb.994:
	s_cmp_gt_i32 s16, 9
	s_cbranch_scc0 .LBB184_999
; %bb.995:
	global_load_dwordx4 v[2:5], v[0:1], off
	s_movk_i32 s16, 0x1ff
	s_movk_i32 s17, 0xffe
	v_mov_b32_e32 v6, 0x7c00
	v_mov_b32_e32 v7, 0x7e00
	s_movk_i32 s20, 0x40f
	s_mov_b32 s21, 0x8000
	s_waitcnt vmcnt(0)
	v_and_or_b32 v2, v3, s16, v2
	v_and_or_b32 v4, v5, s16, v4
	v_cmp_ne_u32_e32 vcc, 0, v2
	v_lshrrev_b32_e32 v8, 8, v3
	v_bfe_u32 v9, v3, 20, 11
	v_cndmask_b32_e64 v2, 0, 1, vcc
	v_cmp_ne_u32_e32 vcc, 0, v4
	v_lshrrev_b32_e32 v11, 8, v5
	v_bfe_u32 v12, v5, 20, 11
	v_cndmask_b32_e64 v4, 0, 1, vcc
	v_and_or_b32 v2, v8, s17, v2
	v_sub_u32_e32 v13, 0x3f1, v9
	v_add_u32_e32 v9, 0xfffffc10, v9
	v_sub_u32_e32 v14, 0x3f1, v12
	v_and_or_b32 v4, v11, s17, v4
	v_cmp_ne_u32_e32 vcc, 0, v2
	v_add_u32_e32 v12, 0xfffffc10, v12
	v_med3_i32 v8, v13, 0, 13
	v_med3_i32 v11, v14, 0, 13
	v_or_b32_e32 v13, 0x1000, v2
	v_lshl_or_b32 v14, v9, 12, v2
	v_cndmask_b32_e32 v2, v6, v7, vcc
	v_cmp_ne_u32_e32 vcc, 0, v4
	v_or_b32_e32 v15, 0x1000, v4
	v_lshl_or_b32 v16, v12, 12, v4
	v_cndmask_b32_e32 v4, v6, v7, vcc
	v_lshrrev_b32_e32 v7, v8, v13
	v_lshrrev_b32_e32 v17, v11, v15
	v_lshlrev_b32_e32 v8, v8, v7
	v_lshlrev_b32_e32 v11, v11, v17
	v_cmp_ne_u32_e32 vcc, v8, v13
	v_lshrrev_b32_e32 v3, 16, v3
	v_lshrrev_b32_e32 v5, 16, v5
	v_cndmask_b32_e64 v8, 0, 1, vcc
	v_cmp_ne_u32_e32 vcc, v11, v15
	v_or_b32_e32 v7, v7, v8
	s_mov_b64 s[16:17], 0
	v_cndmask_b32_e64 v11, 0, 1, vcc
	v_cmp_gt_i32_e32 vcc, 1, v9
	v_or_b32_e32 v8, v17, v11
	s_nop 0
	v_cndmask_b32_e32 v7, v14, v7, vcc
	v_cmp_gt_i32_e32 vcc, 1, v12
	v_and_b32_e32 v11, 7, v7
	v_lshrrev_b32_e32 v7, 2, v7
	v_cndmask_b32_e32 v8, v16, v8, vcc
	v_cmp_lt_i32_e32 vcc, 5, v11
	v_and_b32_e32 v13, 7, v8
	v_lshrrev_b32_e32 v8, 2, v8
	v_cndmask_b32_e64 v14, 0, 1, vcc
	v_cmp_eq_u32_e32 vcc, 3, v11
	s_nop 1
	v_cndmask_b32_e64 v11, 0, 1, vcc
	v_cmp_lt_i32_e32 vcc, 5, v13
	v_or_b32_e32 v11, v11, v14
	v_add_u32_e32 v7, v7, v11
	v_cndmask_b32_e64 v15, 0, 1, vcc
	v_cmp_eq_u32_e32 vcc, 3, v13
	s_nop 1
	v_cndmask_b32_e64 v13, 0, 1, vcc
	v_or_b32_e32 v13, v13, v15
	v_cmp_gt_i32_e32 vcc, 31, v9
	v_add_u32_e32 v8, v8, v13
	s_nop 0
	v_cndmask_b32_e32 v7, v6, v7, vcc
	v_cmp_gt_i32_e32 vcc, 31, v12
	s_nop 1
	v_cndmask_b32_e32 v6, v6, v8, vcc
	v_cmp_eq_u32_e32 vcc, s20, v9
	s_nop 1
	v_cndmask_b32_e32 v2, v7, v2, vcc
	v_cmp_eq_u32_e32 vcc, s20, v12
	v_and_or_b32 v2, v3, s21, v2
	s_nop 0
	v_cndmask_b32_e32 v4, v6, v4, vcc
	v_and_or_b32 v5, v5, s21, v4
	s_branch .LBB184_1000
.LBB184_996:
                                        ; implicit-def: $vgpr5
                                        ; implicit-def: $vgpr2
	s_branch .LBB184_1018
.LBB184_997:
                                        ; implicit-def: $vgpr5
                                        ; implicit-def: $vgpr2
	s_branch .LBB184_1006
.LBB184_998:
	s_mov_b64 s[16:17], -1
                                        ; implicit-def: $vgpr5
                                        ; implicit-def: $vgpr2
	s_branch .LBB184_1003
.LBB184_999:
	s_mov_b64 s[16:17], -1
                                        ; implicit-def: $vgpr5
                                        ; implicit-def: $vgpr2
.LBB184_1000:
	s_andn2_b64 vcc, exec, s[16:17]
	s_cbranch_vccnz .LBB184_1002
; %bb.1001:
	global_load_dwordx2 v[2:3], v[0:1], off
	s_waitcnt vmcnt(0)
	v_cvt_f16_f32_e32 v2, v2
	v_cvt_f16_f32_e32 v5, v3
.LBB184_1002:
	s_mov_b64 s[16:17], 0
.LBB184_1003:
	s_andn2_b64 vcc, exec, s[16:17]
	s_cbranch_vccnz .LBB184_1005
; %bb.1004:
	global_load_dword v2, v[0:1], off
	s_waitcnt vmcnt(0)
	v_lshrrev_b32_e32 v5, 16, v2
.LBB184_1005:
	s_cbranch_execnz .LBB184_1017
.LBB184_1006:
	s_sext_i32_i16 s16, s44
	s_cmp_lt_i32 s16, 6
	s_cbranch_scc1 .LBB184_1009
; %bb.1007:
	s_cmp_gt_i32 s16, 6
	s_cbranch_scc0 .LBB184_1010
; %bb.1008:
	global_load_dwordx2 v[2:3], v[0:1], off
	s_movk_i32 s16, 0x1ff
	s_movk_i32 s17, 0xffe
	v_mov_b32_e32 v4, 0x7c00
	v_mov_b32_e32 v5, 0x7e00
	s_movk_i32 s20, 0x40f
	s_mov_b32 s21, 0x8000
	s_waitcnt vmcnt(0)
	v_and_or_b32 v2, v3, s16, v2
	v_cmp_ne_u32_e32 vcc, 0, v2
	v_lshrrev_b32_e32 v6, 8, v3
	v_bfe_u32 v7, v3, 20, 11
	v_cndmask_b32_e64 v2, 0, 1, vcc
	v_sub_u32_e32 v8, 0x3f1, v7
	v_and_or_b32 v2, v6, s17, v2
	v_add_u32_e32 v7, 0xfffffc10, v7
	v_med3_i32 v6, v8, 0, 13
	v_or_b32_e32 v8, 0x1000, v2
	v_cmp_ne_u32_e32 vcc, 0, v2
	v_lshl_or_b32 v9, v7, 12, v2
	v_lshrrev_b32_e32 v3, 16, v3
	v_cndmask_b32_e32 v2, v4, v5, vcc
	v_lshrrev_b32_e32 v5, v6, v8
	v_lshlrev_b32_e32 v6, v6, v5
	v_cmp_ne_u32_e32 vcc, v6, v8
	s_mov_b64 s[16:17], 0
	s_nop 0
	v_cndmask_b32_e64 v6, 0, 1, vcc
	v_or_b32_e32 v5, v5, v6
	v_cmp_gt_i32_e32 vcc, 1, v7
	s_nop 1
	v_cndmask_b32_e32 v5, v9, v5, vcc
	v_and_b32_e32 v6, 7, v5
	v_cmp_lt_i32_e32 vcc, 5, v6
	v_lshrrev_b32_e32 v5, 2, v5
	s_nop 0
	v_cndmask_b32_e64 v8, 0, 1, vcc
	v_cmp_eq_u32_e32 vcc, 3, v6
	s_nop 1
	v_cndmask_b32_e64 v6, 0, 1, vcc
	v_or_b32_e32 v6, v6, v8
	v_add_u32_e32 v5, v5, v6
	v_cmp_gt_i32_e32 vcc, 31, v7
	s_nop 1
	v_cndmask_b32_e32 v4, v4, v5, vcc
	v_cmp_eq_u32_e32 vcc, s20, v7
	s_nop 1
	v_cndmask_b32_e32 v2, v4, v2, vcc
	v_and_or_b32 v2, v3, s21, v2
	s_branch .LBB184_1011
.LBB184_1009:
	s_mov_b64 s[16:17], -1
                                        ; implicit-def: $vgpr2
	s_branch .LBB184_1014
.LBB184_1010:
	s_mov_b64 s[16:17], -1
                                        ; implicit-def: $vgpr2
.LBB184_1011:
	s_andn2_b64 vcc, exec, s[16:17]
	s_cbranch_vccnz .LBB184_1013
; %bb.1012:
	global_load_dword v2, v[0:1], off
	s_waitcnt vmcnt(0)
	v_cvt_f16_f32_e32 v2, v2
.LBB184_1013:
	s_mov_b64 s[16:17], 0
.LBB184_1014:
	s_andn2_b64 vcc, exec, s[16:17]
	s_cbranch_vccnz .LBB184_1016
; %bb.1015:
	global_load_ushort v2, v[0:1], off
.LBB184_1016:
	v_mov_b32_e32 v5, 0
.LBB184_1017:
	s_cbranch_execnz .LBB184_1037
.LBB184_1018:
	s_sext_i32_i16 s16, s44
	s_cmp_lt_i32 s16, 2
	s_cbranch_scc1 .LBB184_1022
; %bb.1019:
	s_cmp_lt_i32 s16, 3
	s_cbranch_scc1 .LBB184_1023
; %bb.1020:
	s_cmp_gt_i32 s16, 3
	s_cbranch_scc0 .LBB184_1024
; %bb.1021:
	global_load_dwordx2 v[2:3], v[0:1], off
	s_mov_b64 s[16:17], 0
	s_waitcnt vmcnt(0)
	v_xor_b32_e32 v5, v2, v3
	v_ffbh_i32_e32 v4, v3
	v_ashrrev_i32_e32 v5, 31, v5
	v_add_u32_e32 v4, -1, v4
	v_add_u32_e32 v5, 32, v5
	v_min_u32_e32 v4, v4, v5
	v_lshlrev_b64 v[2:3], v4, v[2:3]
	v_min_u32_e32 v2, 1, v2
	v_or_b32_e32 v2, v3, v2
	v_cvt_f32_i32_e32 v2, v2
	v_sub_u32_e32 v3, 32, v4
	v_ldexp_f32 v2, v2, v3
	v_cvt_f16_f32_e32 v2, v2
	s_branch .LBB184_1025
.LBB184_1022:
                                        ; implicit-def: $vgpr2
	s_branch .LBB184_1031
.LBB184_1023:
	s_mov_b64 s[16:17], -1
                                        ; implicit-def: $vgpr2
	s_branch .LBB184_1028
.LBB184_1024:
	s_mov_b64 s[16:17], -1
                                        ; implicit-def: $vgpr2
.LBB184_1025:
	s_andn2_b64 vcc, exec, s[16:17]
	s_cbranch_vccnz .LBB184_1027
; %bb.1026:
	global_load_dword v2, v[0:1], off
	s_waitcnt vmcnt(0)
	v_cvt_f32_i32_e32 v2, v2
	v_cvt_f16_f32_e32 v2, v2
.LBB184_1027:
	s_mov_b64 s[16:17], 0
.LBB184_1028:
	s_andn2_b64 vcc, exec, s[16:17]
	s_cbranch_vccnz .LBB184_1030
; %bb.1029:
	global_load_ushort v2, v[0:1], off
	s_waitcnt vmcnt(0)
	v_cvt_f16_i16_e32 v2, v2
.LBB184_1030:
	s_cbranch_execnz .LBB184_1036
.LBB184_1031:
	s_sext_i32_i16 s16, s44
	s_cmp_gt_i32 s16, 0
	s_cbranch_scc0 .LBB184_1033
; %bb.1032:
	global_load_sbyte v2, v[0:1], off
	s_mov_b64 s[16:17], 0
	s_waitcnt vmcnt(0)
	v_cvt_f16_i16_e32 v2, v2
	s_branch .LBB184_1034
.LBB184_1033:
	s_mov_b64 s[16:17], -1
                                        ; implicit-def: $vgpr2
.LBB184_1034:
	s_andn2_b64 vcc, exec, s[16:17]
	s_cbranch_vccnz .LBB184_1036
; %bb.1035:
	global_load_ubyte v0, v[0:1], off
	s_waitcnt vmcnt(0)
	v_cvt_f16_u16_e32 v2, v0
.LBB184_1036:
	v_mov_b32_e32 v5, 0
.LBB184_1037:
	s_or_b64 s[0:1], s[0:1], exec
.LBB184_1038:
	s_or_b64 exec, exec, s[2:3]
	s_mov_b64 s[20:21], 0
	s_mov_b64 s[2:3], 0
                                        ; implicit-def: $sgpr26
                                        ; implicit-def: $vgpr0_vgpr1
                                        ; implicit-def: $vgpr6
                                        ; implicit-def: $vgpr3
                                        ; implicit-def: $vgpr4
	s_and_saveexec_b64 s[16:17], s[0:1]
	s_cbranch_execz .LBB184_1051
; %bb.1039:
	v_cvt_f32_f16_e32 v1, v5
	s_waitcnt vmcnt(0)
	v_cmp_neq_f16_e32 vcc, 0, v2
	v_cmp_neq_f16_e64 s[0:1], 0, v5
	s_or_b64 s[0:1], vcc, s[0:1]
	v_mov_b32_e32 v0, 0
	s_and_saveexec_b64 s[20:21], s[0:1]
	s_cbranch_execz .LBB184_1072
; %bb.1040:
	v_mov_b32_e32 v0, 0x7f800000
	v_cmp_neq_f32_e64 s[0:1], |v1|, v0
	s_and_saveexec_b64 s[22:23], s[0:1]
	s_cbranch_execz .LBB184_1071
; %bb.1041:
	v_cvt_f32_f16_e32 v4, v2
	v_cmp_o_f16_e32 vcc, v2, v2
	s_and_saveexec_b64 s[0:1], vcc
	s_xor_b64 s[24:25], exec, s[0:1]
	s_cbranch_execz .LBB184_1068
; %bb.1042:
	s_mov_b32 s0, 0x7f800000
	v_cmp_neq_f32_e64 s[0:1], |v4|, s0
	s_and_saveexec_b64 s[2:3], s[0:1]
	s_xor_b64 s[26:27], exec, s[2:3]
	s_cbranch_execz .LBB184_1061
; %bb.1043:
	v_max_f32_e64 v0, |v1|, |v1|
	v_max_f32_e64 v2, |v4|, |v4|
	v_max_f32_e32 v0, v2, v0
	s_mov_b32 s0, 0x7ed413cb
	v_cmp_nle_f32_e64 s[0:1], s0, v0
                                        ; implicit-def: $sgpr28_sgpr29
	s_and_saveexec_b64 s[2:3], s[0:1]
	s_xor_b64 s[2:3], exec, s[2:3]
	s_cbranch_execz .LBB184_1047
; %bb.1044:
	s_mov_b32 s30, 0x1000000
	v_cmp_le_f32_e64 s[28:29], |v4|, s30
	v_cmp_le_f32_e64 s[30:31], |v1|, s30
	s_and_b64 s[34:35], s[28:29], s[30:31]
	s_mov_b64 s[28:29], 0
	s_and_saveexec_b64 s[30:31], s[34:35]
; %bb.1045:
	s_mov_b64 s[28:29], exec
	v_mul_f32_e32 v1, 4.0, v1
	v_mul_f32_e32 v4, 4.0, v4
; %bb.1046:
	s_or_b64 exec, exec, s[30:31]
.LBB184_1047:
	s_andn2_saveexec_b64 s[2:3], s[2:3]
; %bb.1048:
	v_mul_f32_e32 v4, 0x3e800000, v4
	v_mul_f32_e32 v1, 0x3e800000, v1
	s_andn2_b64 s[28:29], s[28:29], exec
; %bb.1049:
	s_or_b64 exec, exec, s[2:3]
	v_max_f32_e64 v0, |v1|, |v1|
	v_max_f32_e64 v2, |v4|, |v4|
	v_max_f32_e32 v0, v2, v0
	v_cvt_f64_f32_e32 v[2:3], v0
	v_frexp_exp_i32_f64_e32 v2, v[2:3]
	v_sub_u32_e32 v3, 0, v2
	v_ldexp_f32 v5, |v4|, v3
	v_ldexp_f32 v3, |v1|, v3
	v_mul_f32_e32 v3, v3, v3
	v_fmac_f32_e32 v3, v5, v5
	v_sqrt_f32_e32 v3, v3
	s_mov_b32 s2, 0x7f800000
	v_cmp_neq_f32_e64 s[2:3], s2, v0
	v_cmp_le_f32_e32 vcc, 0, v4
	v_ldexp_f32 v2, v3, v2
	v_mov_b32_e32 v3, 0x7f800000
	v_cndmask_b32_e64 v0, v3, v2, s[2:3]
                                        ; implicit-def: $vgpr2_vgpr3
	s_and_saveexec_b64 s[2:3], vcc
	s_xor_b64 s[30:31], exec, s[2:3]
	s_cbranch_execz .LBB184_1054
; %bb.1050:
	v_add_f32_e32 v0, v4, v0
	v_mul_f32_e32 v0, 0.5, v0
	s_mov_b32 s2, 0xf800000
	v_mul_f32_e32 v2, 0x4f800000, v0
	v_cmp_gt_f32_e32 vcc, s2, v0
	s_nop 1
	v_cndmask_b32_e32 v0, v0, v2, vcc
	v_sqrt_f32_e32 v2, v0
	s_nop 0
	v_add_u32_e32 v3, -1, v2
	v_fma_f32 v4, -v3, v2, v0
	v_cmp_ge_f32_e64 s[2:3], 0, v4
	v_add_u32_e32 v4, 1, v2
	s_nop 0
	v_cndmask_b32_e64 v3, v2, v3, s[2:3]
	v_fma_f32 v2, -v4, v2, v0
	v_cmp_lt_f32_e64 s[2:3], 0, v2
	s_nop 1
	v_cndmask_b32_e64 v2, v3, v4, s[2:3]
	v_mul_f32_e32 v3, 0x37800000, v2
	v_cndmask_b32_e32 v2, v2, v3, vcc
	v_mov_b32_e32 v3, 0x260
	v_cmp_class_f32_e32 vcc, v0, v3
	s_nop 1
	v_cndmask_b32_e32 v2, v2, v0, vcc
	v_add_f32_e32 v0, v2, v2
	v_div_scale_f32 v3, s[2:3], v0, v0, v1
	v_rcp_f32_e32 v4, v3
	s_nop 0
	v_fma_f32 v5, -v3, v4, 1.0
	v_fmac_f32_e32 v4, v5, v4
	v_div_scale_f32 v5, vcc, v1, v0, v1
	v_mul_f32_e32 v6, v5, v4
	v_fma_f32 v7, -v3, v6, v5
	v_fmac_f32_e32 v6, v7, v4
	v_fma_f32 v3, -v3, v6, v5
	v_div_fmas_f32 v3, v3, v4, v6
	v_div_fixup_f32 v3, v3, v0, v1
                                        ; implicit-def: $vgpr0
                                        ; implicit-def: $vgpr4
                                        ; implicit-def: $vgpr1
	s_andn2_saveexec_b64 s[30:31], s[30:31]
	s_cbranch_execz .LBB184_1056
	s_branch .LBB184_1055
.LBB184_1051:
	s_or_b64 exec, exec, s[16:17]
	s_and_saveexec_b64 s[0:1], s[14:15]
	s_cbranch_execnz .LBB184_1157
.LBB184_1052:
	s_or_b64 exec, exec, s[0:1]
	s_and_saveexec_b64 s[0:1], s[20:21]
	s_xor_b64 s[0:1], exec, s[0:1]
	s_cbranch_execz .LBB184_1158
.LBB184_1053:
	s_waitcnt vmcnt(0)
	v_and_b32_e32 v2, 0x7fff7fff, v6
	v_cmp_ne_u32_e32 vcc, 0, v2
	s_nop 1
	v_cndmask_b32_e64 v2, 0, 1, vcc
	global_store_byte v[0:1], v2, off
	s_or_b64 exec, exec, s[0:1]
	s_and_saveexec_b64 s[0:1], s[2:3]
	s_xor_b64 s[0:1], exec, s[0:1]
	s_cbranch_execz .LBB184_1196
	s_branch .LBB184_1159
.LBB184_1054:
	s_andn2_saveexec_b64 s[30:31], s[30:31]
	s_cbranch_execz .LBB184_1056
.LBB184_1055:
	v_sub_f32_e32 v0, v0, v4
	v_mul_f32_e32 v0, 0.5, v0
	s_mov_b32 s2, 0xf800000
	v_mul_f32_e32 v2, 0x4f800000, v0
	v_cmp_gt_f32_e32 vcc, s2, v0
	s_nop 1
	v_cndmask_b32_e32 v0, v0, v2, vcc
	v_sqrt_f32_e32 v2, v0
	s_nop 0
	v_add_u32_e32 v3, -1, v2
	v_fma_f32 v4, -v3, v2, v0
	v_cmp_ge_f32_e64 s[2:3], 0, v4
	v_add_u32_e32 v4, 1, v2
	s_nop 0
	v_cndmask_b32_e64 v3, v2, v3, s[2:3]
	v_fma_f32 v2, -v4, v2, v0
	v_cmp_lt_f32_e64 s[2:3], 0, v2
	s_nop 1
	v_cndmask_b32_e64 v2, v3, v4, s[2:3]
	v_mul_f32_e32 v3, 0x37800000, v2
	v_cndmask_b32_e32 v2, v2, v3, vcc
	v_mov_b32_e32 v3, 0x260
	v_cmp_class_f32_e32 vcc, v0, v3
	v_and_b32_e32 v3, 0x7fffffff, v1
	s_nop 0
	v_cndmask_b32_e32 v0, v2, v0, vcc
	v_add_f32_e32 v2, v0, v0
	v_div_scale_f32 v4, s[2:3], v2, v2, v3
	v_rcp_f32_e32 v5, v4
	v_div_scale_f32 v3, vcc, v3, v2, v3
	s_brev_b32 s2, -2
	v_fma_f32 v6, -v4, v5, 1.0
	v_fmac_f32_e32 v5, v6, v5
	v_mul_f32_e32 v6, v3, v5
	v_fma_f32 v7, -v4, v6, v3
	v_fmac_f32_e32 v6, v7, v5
	v_fma_f32 v3, -v4, v6, v3
	v_div_fmas_f32 v3, v3, v5, v6
	v_div_fixup_f32 v2, v3, v2, |v1|
	v_bfi_b32 v3, s2, v0, v1
.LBB184_1056:
	s_or_b64 exec, exec, s[30:31]
                                        ; implicit-def: $vgpr1
	s_and_saveexec_b64 s[2:3], s[0:1]
	s_xor_b64 s[0:1], exec, s[2:3]
	s_cbranch_execz .LBB184_1058
; %bb.1057:
	v_pk_mul_f32 v[0:1], v[2:3], 0.5 op_sel_hi:[1,0]
	s_nop 0
	v_cndmask_b32_e64 v0, v2, v0, s[28:29]
	v_cndmask_b32_e64 v1, v3, v1, s[28:29]
                                        ; implicit-def: $vgpr2_vgpr3
	s_andn2_saveexec_b64 s[0:1], s[0:1]
	s_cbranch_execnz .LBB184_1059
	s_branch .LBB184_1060
.LBB184_1058:
	s_andn2_saveexec_b64 s[0:1], s[0:1]
.LBB184_1059:
	v_pk_add_f32 v[0:1], v[2:3], v[2:3]
.LBB184_1060:
	s_or_b64 exec, exec, s[0:1]
                                        ; implicit-def: $vgpr4
                                        ; implicit-def: $vgpr2
.LBB184_1061:
	s_andn2_saveexec_b64 s[0:1], s[26:27]
	s_cbranch_execz .LBB184_1067
; %bb.1062:
	v_cmp_lt_i16_e32 vcc, -1, v2
	v_sub_f32_e32 v2, v1, v1
	s_brev_b32 s26, -2
	v_and_b32_e32 v0, 0x7fffffff, v2
	s_and_saveexec_b64 s[2:3], vcc
	s_xor_b64 s[2:3], exec, s[2:3]
; %bb.1063:
	v_bfi_b32 v1, s26, v2, v1
	v_mov_b32_e32 v0, v4
; %bb.1064:
	s_andn2_saveexec_b64 s[2:3], s[2:3]
; %bb.1065:
	v_bfi_b32 v1, s26, v4, v1
; %bb.1066:
	s_or_b64 exec, exec, s[2:3]
.LBB184_1067:
	s_or_b64 exec, exec, s[0:1]
                                        ; implicit-def: $vgpr4
.LBB184_1068:
	s_andn2_saveexec_b64 s[0:1], s[24:25]
	s_cbranch_execz .LBB184_1070
; %bb.1069:
	v_sub_f32_e32 v0, v1, v1
	v_div_scale_f32 v1, vcc, v0, v0, v0
	v_rcp_f32_e32 v2, v1
	s_nop 0
	v_fma_f32 v3, -v1, v2, 1.0
	v_fmac_f32_e32 v2, v3, v2
	v_mul_f32_e32 v3, v1, v2
	v_fma_f32 v5, -v1, v3, v1
	v_fmac_f32_e32 v3, v5, v2
	v_fma_f32 v1, -v1, v3, v1
	v_div_fmas_f32 v1, v1, v2, v3
	v_div_fixup_f32 v1, v1, v0, v0
	v_mov_b32_e32 v0, v4
.LBB184_1070:
	s_or_b64 exec, exec, s[0:1]
.LBB184_1071:
	s_or_b64 exec, exec, s[22:23]
.LBB184_1072:
	s_or_b64 exec, exec, s[20:21]
	v_cmp_gt_f32_e32 vcc, 0, v1
                                        ; implicit-def: $vgpr2_vgpr3
	s_nop 1
	v_cndmask_b32_e64 v5, v1, -v1, vcc
	v_cmp_gt_f32_e32 vcc, 0, v0
	s_nop 1
	v_cndmask_b32_e64 v4, v0, -v0, vcc
	v_cmp_ge_f32_e32 vcc, v4, v5
	s_and_saveexec_b64 s[0:1], vcc
	s_xor_b64 s[2:3], exec, s[0:1]
	s_cbranch_execz .LBB184_1078
; %bb.1073:
	v_cmp_neq_f32_e32 vcc, 0, v0
	v_cmp_neq_f32_e64 s[0:1], 0, v1
	s_or_b64 s[0:1], vcc, s[0:1]
                                        ; implicit-def: $vgpr2_vgpr3
	s_and_saveexec_b64 s[20:21], s[0:1]
	s_xor_b64 s[0:1], exec, s[20:21]
	s_cbranch_execz .LBB184_1075
; %bb.1074:
	v_div_scale_f32 v2, s[20:21], v0, v0, v1
	v_rcp_f32_e32 v3, v2
	v_div_scale_f32 v4, vcc, v1, v0, v1
	v_fma_f32 v5, -v2, v3, 1.0
	v_fmac_f32_e32 v3, v5, v3
	v_mul_f32_e32 v5, v4, v3
	v_fma_f32 v6, -v2, v5, v4
	v_fmac_f32_e32 v5, v6, v3
	v_fma_f32 v2, -v2, v5, v4
	v_div_fmas_f32 v2, v2, v3, v5
	v_div_fixup_f32 v3, v2, v0, v1
	v_fmac_f32_e32 v0, v1, v3
	v_div_scale_f32 v1, s[20:21], v0, v0, 1.0
	v_rcp_f32_e32 v2, v1
	s_nop 0
	v_fma_f32 v4, -v1, v2, 1.0
	v_fmac_f32_e32 v2, v4, v2
	v_div_scale_f32 v4, vcc, 1.0, v0, 1.0
	v_mul_f32_e32 v5, v4, v2
	v_fma_f32 v6, -v1, v5, v4
	v_fmac_f32_e32 v5, v6, v2
	v_fma_f32 v1, -v1, v5, v4
	v_div_fmas_f32 v1, v1, v2, v5
	v_div_fixup_f32 v0, v1, v0, 1.0
	v_mul_f32_e32 v1, 0, v3
	v_add_f32_e32 v2, 1.0, v1
	v_sub_f32_e32 v3, 0, v3
	v_pk_mul_f32 v[2:3], v[2:3], v[0:1] op_sel_hi:[1,0]
                                        ; implicit-def: $vgpr5
                                        ; implicit-def: $vgpr4
.LBB184_1075:
	s_andn2_saveexec_b64 s[0:1], s[0:1]
	s_cbranch_execz .LBB184_1077
; %bb.1076:
	v_div_scale_f32 v0, s[20:21], v5, v5, 0
	v_rcp_f32_e32 v1, v0
	v_div_scale_f32 v2, vcc, 0, v5, 0
	v_fma_f32 v3, -v0, v1, 1.0
	v_fmac_f32_e32 v1, v3, v1
	v_mul_f32_e32 v3, v2, v1
	v_fma_f32 v6, -v0, v3, v2
	v_fmac_f32_e32 v3, v6, v1
	v_fma_f32 v0, -v0, v3, v2
	v_div_scale_f32 v2, s[20:21], v4, v4, 1.0
	v_rcp_f32_e32 v6, v2
	v_div_fmas_f32 v0, v0, v1, v3
	v_div_fixup_f32 v3, v0, v5, 0
	v_fma_f32 v0, -v2, v6, 1.0
	v_fmac_f32_e32 v6, v0, v6
	v_div_scale_f32 v0, vcc, 1.0, v4, 1.0
	v_mul_f32_e32 v1, v0, v6
	v_fma_f32 v5, -v2, v1, v0
	v_fmac_f32_e32 v1, v5, v6
	v_fma_f32 v0, -v2, v1, v0
	v_div_fmas_f32 v0, v0, v6, v1
	v_div_fixup_f32 v2, v0, v4, 1.0
.LBB184_1077:
	s_or_b64 exec, exec, s[0:1]
                                        ; implicit-def: $vgpr1
.LBB184_1078:
	s_andn2_saveexec_b64 s[0:1], s[2:3]
	s_cbranch_execz .LBB184_1080
; %bb.1079:
	v_div_scale_f32 v2, s[2:3], v1, v1, v0
	v_rcp_f32_e32 v3, v2
	v_div_scale_f32 v4, vcc, v0, v1, v0
	v_fma_f32 v5, -v2, v3, 1.0
	v_fmac_f32_e32 v3, v5, v3
	v_mul_f32_e32 v5, v4, v3
	v_fma_f32 v6, -v2, v5, v4
	v_fmac_f32_e32 v5, v6, v3
	v_fma_f32 v2, -v2, v5, v4
	v_div_fmas_f32 v2, v2, v3, v5
	v_div_fixup_f32 v2, v2, v1, v0
	v_fmac_f32_e32 v1, v0, v2
	v_div_scale_f32 v0, s[2:3], v1, v1, 1.0
	v_rcp_f32_e32 v3, v0
	s_mov_b32 s2, 0
	s_mov_b32 s3, -1.0
	v_fma_f32 v4, -v0, v3, 1.0
	v_fmac_f32_e32 v3, v4, v3
	v_div_scale_f32 v4, vcc, 1.0, v1, 1.0
	v_mul_f32_e32 v5, v4, v3
	v_fma_f32 v6, -v0, v5, v4
	v_fmac_f32_e32 v5, v6, v3
	v_fma_f32 v0, -v0, v5, v4
	v_div_fmas_f32 v0, v0, v3, v5
	v_mul_f32_e32 v3, 0, v2
	v_div_fixup_f32 v0, v0, v1, 1.0
	v_pk_add_f32 v[2:3], v[2:3], s[2:3]
	s_nop 0
	v_pk_mul_f32 v[2:3], v[2:3], v[0:1] op_sel_hi:[1,0]
.LBB184_1080:
	s_or_b64 exec, exec, s[0:1]
	v_cvt_f16_f32_e32 v3, v3
	v_cvt_f16_f32_e32 v4, v2
	v_mul_lo_u32 v0, v10, s8
	v_ashrrev_i32_e32 v1, 31, v0
	s_and_b32 s26, s33, 0xff
	v_lshlrev_b32_e32 v2, 16, v3
	s_cmp_lt_i32 s26, 11
	v_lshl_add_u64 v[0:1], s[4:5], 0, v[0:1]
	s_cbranch_scc1 .LBB184_1097
; %bb.1081:
	s_and_b32 s27, 0xffff, s26
	s_mov_b64 s[20:21], -1
	s_cmp_gt_i32 s27, 25
	s_mov_b64 s[0:1], s[14:15]
	s_cbranch_scc0 .LBB184_1115
; %bb.1082:
	s_mov_b64 s[2:3], -1
	s_cmp_gt_i32 s27, 28
	s_mov_b64 s[0:1], s[14:15]
	s_cbranch_scc0 .LBB184_1099
; %bb.1083:
	s_cmp_gt_i32 s27, 43
	s_mov_b64 s[0:1], s[14:15]
	s_cbranch_scc0 .LBB184_1094
; %bb.1084:
	;; [unrolled: 4-line block ×3, first 2 shown]
	s_cmp_eq_u32 s27, 46
	s_mov_b64 s[0:1], -1
	s_cbranch_scc0 .LBB184_1087
; %bb.1086:
	v_cvt_f32_f16_e32 v6, v3
	v_cvt_f32_f16_e32 v5, v4
	s_movk_i32 s0, 0x7fff
	v_cmp_o_f16_e32 vcc, v3, v3
	v_bfe_u32 v8, v6, 16, 1
	v_bfe_u32 v7, v5, 16, 1
	v_add3_u32 v6, v6, v8, s0
	v_add3_u32 v5, v5, v7, s0
	v_and_b32_e32 v6, 0xffff0000, v6
	v_mov_b32_e32 v7, 0x7fc00000
	v_cndmask_b32_e32 v6, v7, v6, vcc
	v_cmp_o_f16_e32 vcc, v4, v4
	v_mov_b32_e32 v7, 0x7fc0
	s_mov_b64 s[0:1], 0
	v_cndmask_b32_sdwa v5, v7, v5, vcc dst_sel:DWORD dst_unused:UNUSED_PAD src0_sel:DWORD src1_sel:WORD_1
	v_or_b32_e32 v5, v6, v5
	global_store_dword v[0:1], v5, off
.LBB184_1087:
	s_mov_b64 s[2:3], 0
.LBB184_1088:
	s_and_b64 vcc, exec, s[2:3]
	s_cbranch_vccz .LBB184_1093
; %bb.1089:
	s_cmp_eq_u32 s27, 44
	s_mov_b64 s[0:1], -1
	s_cbranch_scc0 .LBB184_1093
; %bb.1090:
	v_cvt_f32_f16_e32 v5, v4
	s_movk_i32 s0, 0xff
	v_mov_b32_e32 v7, 0xff
	v_bfe_u32 v6, v5, 23, 8
	v_cmp_ne_u32_e32 vcc, s0, v6
	s_and_saveexec_b64 s[2:3], vcc
; %bb.1091:
	s_mov_b32 s0, 0x3fffff
	v_lshrrev_b32_e32 v7, 23, v5
	v_and_b32_e32 v8, 0x400000, v5
	v_and_or_b32 v5, v5, s0, v6
	v_cmp_ne_u32_e32 vcc, 0, v8
	v_cmp_ne_u32_e64 s[0:1], 0, v5
	s_and_b64 s[0:1], vcc, s[0:1]
	s_nop 0
	v_cndmask_b32_e64 v5, 0, 1, s[0:1]
	v_add_u32_e32 v7, v7, v5
; %bb.1092:
	s_or_b64 exec, exec, s[2:3]
	s_mov_b64 s[0:1], 0
	global_store_byte v[0:1], v7, off
.LBB184_1093:
	s_mov_b64 s[2:3], 0
.LBB184_1094:
	s_and_b64 vcc, exec, s[2:3]
	s_cbranch_vccz .LBB184_1098
; %bb.1095:
	s_cmp_eq_u32 s27, 29
	s_mov_b64 s[0:1], -1
	s_cbranch_scc0 .LBB184_1098
; %bb.1096:
	v_cvt_f32_f16_e32 v5, v4
	v_mov_b32_e32 v7, 0
	s_mov_b64 s[0:1], 0
	s_mov_b64 s[2:3], 0
	v_cvt_u32_f32_e32 v6, v5
	global_store_dwordx2 v[0:1], v[6:7], off
	s_branch .LBB184_1099
.LBB184_1097:
	s_mov_b64 s[20:21], 0
	s_mov_b64 s[2:3], -1
	s_mov_b64 s[0:1], s[14:15]
	s_branch .LBB184_1156
.LBB184_1098:
	s_mov_b64 s[2:3], 0
.LBB184_1099:
	s_and_b64 vcc, exec, s[2:3]
	s_cbranch_vccz .LBB184_1114
; %bb.1100:
	s_cmp_lt_i32 s27, 27
	s_mov_b64 s[2:3], -1
	s_cbranch_scc1 .LBB184_1106
; %bb.1101:
	s_cmp_gt_i32 s27, 27
	s_cbranch_scc0 .LBB184_1103
; %bb.1102:
	v_cvt_f32_f16_e32 v5, v4
	s_mov_b64 s[2:3], 0
	v_cvt_u32_f32_e32 v5, v5
	global_store_dword v[0:1], v5, off
.LBB184_1103:
	s_andn2_b64 vcc, exec, s[2:3]
	s_cbranch_vccnz .LBB184_1105
; %bb.1104:
	v_cvt_u16_f16_e32 v5, v4
	global_store_short v[0:1], v5, off
.LBB184_1105:
	s_mov_b64 s[2:3], 0
.LBB184_1106:
	s_andn2_b64 vcc, exec, s[2:3]
	s_cbranch_vccnz .LBB184_1114
; %bb.1107:
	v_cvt_f32_f16_e32 v5, v4
	s_mov_b32 s2, 0x43800000
	v_mov_b32_e32 v7, 0x80
	v_and_b32_e32 v6, 0x7fffffff, v5
	v_cmp_gt_u32_e32 vcc, s2, v6
	s_and_saveexec_b64 s[2:3], vcc
	s_cbranch_execz .LBB184_1113
; %bb.1108:
	s_mov_b32 s20, 0x3bffffff
	v_cmp_lt_u32_e32 vcc, s20, v6
	s_mov_b64 s[20:21], 0
                                        ; implicit-def: $vgpr6
	s_and_saveexec_b64 s[22:23], vcc
	s_xor_b64 s[22:23], exec, s[22:23]
	s_cbranch_execz .LBB184_1211
; %bb.1109:
	v_bfe_u32 v6, v5, 20, 1
	s_mov_b32 s24, 0x487ffff
	v_add3_u32 v6, v5, v6, s24
	s_mov_b64 s[20:21], exec
	v_lshrrev_b32_e32 v6, 20, v6
	s_andn2_saveexec_b64 s[22:23], s[22:23]
	s_cbranch_execnz .LBB184_1212
.LBB184_1110:
	s_or_b64 exec, exec, s[22:23]
	v_mov_b32_e32 v7, 0
	s_and_saveexec_b64 s[22:23], s[20:21]
.LBB184_1111:
	v_lshrrev_b32_e32 v5, 24, v5
	s_movk_i32 s20, 0x80
	v_and_or_b32 v7, v5, s20, v6
.LBB184_1112:
	s_or_b64 exec, exec, s[22:23]
.LBB184_1113:
	s_or_b64 exec, exec, s[2:3]
	global_store_byte v[0:1], v7, off
.LBB184_1114:
	s_mov_b64 s[20:21], 0
.LBB184_1115:
	s_mov_b64 s[2:3], 0
	s_and_b64 vcc, exec, s[20:21]
	s_cbranch_vccz .LBB184_1155
; %bb.1116:
	s_cmp_gt_i32 s27, 22
	s_mov_b64 s[20:21], -1
	s_cbranch_scc0 .LBB184_1148
; %bb.1117:
	s_cmp_lt_i32 s27, 24
	s_cbranch_scc1 .LBB184_1137
; %bb.1118:
	s_cmp_gt_i32 s27, 24
	s_cbranch_scc0 .LBB184_1126
; %bb.1119:
	v_cvt_f32_f16_e32 v5, v4
	s_mov_b32 s20, 0x47800000
	v_mov_b32_e32 v7, 0x80
	v_and_b32_e32 v6, 0x7fffffff, v5
	v_cmp_gt_u32_e32 vcc, s20, v6
	s_and_saveexec_b64 s[20:21], vcc
	s_cbranch_execz .LBB184_1125
; %bb.1120:
	s_mov_b32 s22, 0x37ffffff
	v_cmp_lt_u32_e32 vcc, s22, v6
	s_mov_b64 s[22:23], 0
                                        ; implicit-def: $vgpr6
	s_and_saveexec_b64 s[24:25], vcc
	s_xor_b64 s[24:25], exec, s[24:25]
	s_cbranch_execz .LBB184_1380
; %bb.1121:
	v_bfe_u32 v6, v5, 21, 1
	s_mov_b32 s28, 0x88fffff
	v_add3_u32 v6, v5, v6, s28
	s_mov_b64 s[22:23], exec
	v_lshrrev_b32_e32 v6, 21, v6
	s_andn2_saveexec_b64 s[24:25], s[24:25]
	s_cbranch_execnz .LBB184_1381
.LBB184_1122:
	s_or_b64 exec, exec, s[24:25]
	v_mov_b32_e32 v7, 0
	s_and_saveexec_b64 s[24:25], s[22:23]
.LBB184_1123:
	v_lshrrev_b32_e32 v5, 24, v5
	s_movk_i32 s22, 0x80
	v_and_or_b32 v7, v5, s22, v6
.LBB184_1124:
	s_or_b64 exec, exec, s[24:25]
.LBB184_1125:
	s_or_b64 exec, exec, s[20:21]
	s_mov_b64 s[20:21], 0
	global_store_byte v[0:1], v7, off
.LBB184_1126:
	s_and_b64 vcc, exec, s[20:21]
	s_cbranch_vccz .LBB184_1136
; %bb.1127:
	v_cvt_f32_f16_e32 v5, v4
	s_mov_b32 s20, 0x43f00000
                                        ; implicit-def: $vgpr6
	v_and_b32_e32 v7, 0x7fffffff, v5
	v_cmp_gt_u32_e32 vcc, s20, v7
	s_and_saveexec_b64 s[20:21], vcc
	s_xor_b64 s[20:21], exec, s[20:21]
	s_cbranch_execz .LBB184_1133
; %bb.1128:
	s_mov_b32 s22, 0x3c7fffff
	v_cmp_lt_u32_e32 vcc, s22, v7
                                        ; implicit-def: $vgpr6
	s_and_saveexec_b64 s[22:23], vcc
	s_xor_b64 s[22:23], exec, s[22:23]
; %bb.1129:
	v_bfe_u32 v6, v5, 20, 1
	s_mov_b32 s24, 0x407ffff
	v_add3_u32 v6, v5, v6, s24
	v_lshrrev_b32_e32 v7, 20, v6
	v_and_b32_e32 v6, 0xff00000, v6
	s_mov_b32 s24, 0x7f00000
	v_mov_b32_e32 v8, 0x7e
	v_cmp_ne_u32_e32 vcc, s24, v6
	s_nop 1
	v_cndmask_b32_e32 v6, v8, v7, vcc
; %bb.1130:
	s_andn2_saveexec_b64 s[22:23], s[22:23]
; %bb.1131:
	s_mov_b32 s24, 0x46800000
	v_add_f32_e64 v6, |v5|, s24
; %bb.1132:
	s_or_b64 exec, exec, s[22:23]
                                        ; implicit-def: $vgpr7
.LBB184_1133:
	s_andn2_saveexec_b64 s[20:21], s[20:21]
; %bb.1134:
	s_mov_b32 s22, 0x7f800000
	v_mov_b32_e32 v6, 0x7e
	v_mov_b32_e32 v8, 0x7f
	v_cmp_lt_u32_e32 vcc, s22, v7
	s_nop 1
	v_cndmask_b32_e32 v6, v6, v8, vcc
; %bb.1135:
	s_or_b64 exec, exec, s[20:21]
	v_lshrrev_b32_e32 v5, 24, v5
	s_movk_i32 s20, 0x80
	v_and_or_b32 v5, v5, s20, v6
	global_store_byte v[0:1], v5, off
.LBB184_1136:
	s_mov_b64 s[20:21], 0
.LBB184_1137:
	s_andn2_b64 vcc, exec, s[20:21]
	s_cbranch_vccnz .LBB184_1147
; %bb.1138:
	v_cvt_f32_f16_e32 v5, v4
	s_mov_b32 s20, 0x47800000
                                        ; implicit-def: $vgpr6
	v_and_b32_e32 v7, 0x7fffffff, v5
	v_cmp_gt_u32_e32 vcc, s20, v7
	s_and_saveexec_b64 s[20:21], vcc
	s_xor_b64 s[20:21], exec, s[20:21]
	s_cbranch_execz .LBB184_1144
; %bb.1139:
	s_mov_b32 s22, 0x387fffff
	v_cmp_lt_u32_e32 vcc, s22, v7
                                        ; implicit-def: $vgpr6
	s_and_saveexec_b64 s[22:23], vcc
	s_xor_b64 s[22:23], exec, s[22:23]
; %bb.1140:
	v_bfe_u32 v6, v5, 21, 1
	s_mov_b32 s24, 0x80fffff
	v_add3_u32 v6, v5, v6, s24
	v_lshrrev_b32_e32 v6, 21, v6
; %bb.1141:
	s_andn2_saveexec_b64 s[22:23], s[22:23]
; %bb.1142:
	s_mov_b32 s24, 0x43000000
	v_add_f32_e64 v6, |v5|, s24
; %bb.1143:
	s_or_b64 exec, exec, s[22:23]
                                        ; implicit-def: $vgpr7
.LBB184_1144:
	s_andn2_saveexec_b64 s[20:21], s[20:21]
; %bb.1145:
	s_mov_b32 s22, 0x7f800000
	v_mov_b32_e32 v6, 0x7c
	v_mov_b32_e32 v8, 0x7f
	v_cmp_lt_u32_e32 vcc, s22, v7
	s_nop 1
	v_cndmask_b32_e32 v6, v6, v8, vcc
; %bb.1146:
	s_or_b64 exec, exec, s[20:21]
	v_lshrrev_b32_e32 v5, 24, v5
	s_movk_i32 s20, 0x80
	v_and_or_b32 v5, v5, s20, v6
	global_store_byte v[0:1], v5, off
.LBB184_1147:
	s_mov_b64 s[20:21], 0
.LBB184_1148:
	s_andn2_b64 vcc, exec, s[20:21]
	s_mov_b64 s[20:21], 0
	s_cbranch_vccnz .LBB184_1156
; %bb.1149:
	s_cmp_gt_i32 s27, 14
	s_mov_b64 s[22:23], -1
	s_cbranch_scc0 .LBB184_1153
; %bb.1150:
	s_cmp_eq_u32 s27, 15
	s_mov_b64 s[0:1], -1
	s_cbranch_scc0 .LBB184_1152
; %bb.1151:
	v_cvt_f32_f16_e32 v5, v4
	s_movk_i32 s0, 0x7fff
	v_cmp_o_f16_e32 vcc, v4, v4
	v_mov_b32_e32 v6, 0x7fc0
	v_bfe_u32 v7, v5, 16, 1
	v_add3_u32 v5, v5, v7, s0
	v_cndmask_b32_sdwa v5, v6, v5, vcc dst_sel:DWORD dst_unused:UNUSED_PAD src0_sel:DWORD src1_sel:WORD_1
	global_store_short v[0:1], v5, off
	s_mov_b64 s[0:1], 0
.LBB184_1152:
	s_mov_b64 s[22:23], 0
.LBB184_1153:
	s_and_b64 vcc, exec, s[22:23]
	s_cbranch_vccz .LBB184_1156
; %bb.1154:
	s_cmp_lg_u32 s27, 11
	s_cselect_b64 s[22:23], -1, 0
	s_andn2_b64 s[0:1], s[0:1], exec
	s_and_b64 s[22:23], s[22:23], exec
	s_mov_b64 s[20:21], -1
	s_or_b64 s[0:1], s[0:1], s[22:23]
	s_branch .LBB184_1156
.LBB184_1155:
	s_mov_b64 s[20:21], 0
.LBB184_1156:
	s_andn2_b64 s[14:15], s[14:15], exec
	s_and_b64 s[0:1], s[0:1], exec
	v_or_b32_e32 v6, v2, v4
	s_and_b64 s[2:3], s[2:3], exec
	s_and_b64 s[20:21], s[20:21], exec
	s_or_b64 s[14:15], s[14:15], s[0:1]
	s_or_b64 exec, exec, s[16:17]
	s_and_saveexec_b64 s[0:1], s[14:15]
	s_cbranch_execz .LBB184_1052
.LBB184_1157:
	s_or_b64 s[18:19], s[18:19], exec
	s_andn2_b64 s[20:21], s[20:21], exec
	s_trap 2
	s_or_b64 exec, exec, s[0:1]
	s_and_saveexec_b64 s[0:1], s[20:21]
	s_xor_b64 s[0:1], exec, s[0:1]
	s_cbranch_execnz .LBB184_1053
.LBB184_1158:
	s_or_b64 exec, exec, s[0:1]
	s_and_saveexec_b64 s[0:1], s[2:3]
	s_xor_b64 s[0:1], exec, s[0:1]
	s_cbranch_execz .LBB184_1196
.LBB184_1159:
	s_sext_i32_i16 s14, s26
	s_cmp_lt_i32 s14, 5
	s_mov_b64 s[2:3], -1
	s_cbranch_scc1 .LBB184_1180
; %bb.1160:
	s_cmp_lt_i32 s14, 8
	s_cbranch_scc1 .LBB184_1170
; %bb.1161:
	s_cmp_lt_i32 s14, 9
	s_cbranch_scc1 .LBB184_1167
; %bb.1162:
	v_cvt_f32_f16_e32 v3, v3
	s_cmp_gt_i32 s14, 9
	s_cbranch_scc0 .LBB184_1164
; %bb.1163:
	s_waitcnt vmcnt(0)
	v_cvt_f32_f16_e32 v2, v4
	v_cvt_f64_f32_e32 v[10:11], v3
	s_mov_b64 s[2:3], 0
	v_cvt_f64_f32_e32 v[8:9], v2
	global_store_dwordx4 v[0:1], v[8:11], off
.LBB184_1164:
	s_andn2_b64 vcc, exec, s[2:3]
	s_cbranch_vccnz .LBB184_1166
; %bb.1165:
	s_waitcnt vmcnt(0)
	v_cvt_f32_f16_e32 v2, v4
	global_store_dwordx2 v[0:1], v[2:3], off
.LBB184_1166:
	s_mov_b64 s[2:3], 0
.LBB184_1167:
	s_andn2_b64 vcc, exec, s[2:3]
	s_cbranch_vccnz .LBB184_1169
; %bb.1168:
	global_store_dword v[0:1], v6, off
.LBB184_1169:
	s_mov_b64 s[2:3], 0
.LBB184_1170:
	s_andn2_b64 vcc, exec, s[2:3]
	s_cbranch_vccnz .LBB184_1179
; %bb.1171:
	s_sext_i32_i16 s14, s26
	s_cmp_lt_i32 s14, 6
	s_mov_b64 s[2:3], -1
	s_cbranch_scc1 .LBB184_1177
; %bb.1172:
	s_cmp_gt_i32 s14, 6
	s_cbranch_scc0 .LBB184_1174
; %bb.1173:
	s_waitcnt vmcnt(0)
	v_cvt_f32_f16_e32 v2, v4
	s_mov_b64 s[2:3], 0
	v_cvt_f64_f32_e32 v[2:3], v2
	global_store_dwordx2 v[0:1], v[2:3], off
.LBB184_1174:
	s_andn2_b64 vcc, exec, s[2:3]
	s_cbranch_vccnz .LBB184_1176
; %bb.1175:
	s_waitcnt vmcnt(0)
	v_cvt_f32_f16_e32 v2, v4
	global_store_dword v[0:1], v2, off
.LBB184_1176:
	s_mov_b64 s[2:3], 0
.LBB184_1177:
	s_andn2_b64 vcc, exec, s[2:3]
	s_cbranch_vccnz .LBB184_1179
; %bb.1178:
	global_store_short v[0:1], v4, off
.LBB184_1179:
	s_mov_b64 s[2:3], 0
.LBB184_1180:
	s_andn2_b64 vcc, exec, s[2:3]
	s_cbranch_vccnz .LBB184_1196
; %bb.1181:
	s_sext_i32_i16 s14, s26
	s_cmp_lt_i32 s14, 2
	s_mov_b64 s[2:3], -1
	s_cbranch_scc1 .LBB184_1191
; %bb.1182:
	s_cmp_lt_i32 s14, 3
	s_cbranch_scc1 .LBB184_1188
; %bb.1183:
	s_cmp_gt_i32 s14, 3
	s_cbranch_scc0 .LBB184_1185
; %bb.1184:
	s_waitcnt vmcnt(0)
	v_cvt_f32_f16_e32 v2, v4
	s_mov_b64 s[2:3], 0
	v_cvt_i32_f32_e32 v2, v2
	v_ashrrev_i32_e32 v3, 31, v2
	global_store_dwordx2 v[0:1], v[2:3], off
.LBB184_1185:
	s_andn2_b64 vcc, exec, s[2:3]
	s_cbranch_vccnz .LBB184_1187
; %bb.1186:
	s_waitcnt vmcnt(0)
	v_cvt_f32_f16_e32 v2, v4
	v_cvt_i32_f32_e32 v2, v2
	global_store_dword v[0:1], v2, off
.LBB184_1187:
	s_mov_b64 s[2:3], 0
.LBB184_1188:
	s_andn2_b64 vcc, exec, s[2:3]
	s_cbranch_vccnz .LBB184_1190
; %bb.1189:
	s_waitcnt vmcnt(0)
	v_cvt_i16_f16_e32 v2, v4
	global_store_short v[0:1], v2, off
.LBB184_1190:
	s_mov_b64 s[2:3], 0
.LBB184_1191:
	s_andn2_b64 vcc, exec, s[2:3]
	s_cbranch_vccnz .LBB184_1196
; %bb.1192:
	s_sext_i32_i16 s2, s26
	s_cmp_gt_i32 s2, 0
	s_mov_b64 s[2:3], -1
	s_cbranch_scc0 .LBB184_1194
; %bb.1193:
	s_waitcnt vmcnt(0)
	v_cvt_i16_f16_e32 v2, v4
	s_mov_b64 s[2:3], 0
	global_store_byte v[0:1], v2, off
.LBB184_1194:
	s_andn2_b64 vcc, exec, s[2:3]
	s_cbranch_vccnz .LBB184_1196
; %bb.1195:
	s_waitcnt vmcnt(0)
	v_cvt_f32_f16_e32 v2, v4
	v_cvt_i32_f32_e32 v2, v2
	global_store_byte v[0:1], v2, off
.LBB184_1196:
	s_or_b64 exec, exec, s[0:1]
	s_and_b64 s[14:15], s[18:19], exec
                                        ; implicit-def: $vgpr10
.LBB184_1197:
	s_or_saveexec_b64 s[12:13], s[12:13]
	s_mov_b64 s[0:1], 0
                                        ; implicit-def: $sgpr20
                                        ; implicit-def: $vgpr0_vgpr1
                                        ; implicit-def: $vgpr5
                                        ; implicit-def: $vgpr2
                                        ; implicit-def: $vgpr4
	s_xor_b64 exec, exec, s[12:13]
	s_cbranch_execz .LBB184_2318
; %bb.1198:
	s_waitcnt vmcnt(0)
	v_mul_lo_u32 v2, s9, v10
	v_ashrrev_i32_e32 v3, 31, v2
	s_and_b32 s28, 0xffff, s44
	s_cmp_lt_i32 s28, 11
	v_lshl_add_u64 v[0:1], s[6:7], 0, v[2:3]
	s_cbranch_scc1 .LBB184_1205
; %bb.1199:
	s_cmp_gt_i32 s28, 25
	s_mov_b64 s[2:3], 0
	s_cbranch_scc0 .LBB184_1207
; %bb.1200:
	s_cmp_gt_i32 s28, 28
	s_cbranch_scc0 .LBB184_1208
; %bb.1201:
	s_cmp_gt_i32 s28, 43
	;; [unrolled: 3-line block ×3, first 2 shown]
	s_cbranch_scc0 .LBB184_1210
; %bb.1203:
	s_cmp_eq_u32 s28, 46
	s_mov_b64 s[16:17], 0
	s_cbranch_scc0 .LBB184_1213
; %bb.1204:
	global_load_dword v3, v[0:1], off
	s_mov_b64 s[10:11], -1
	s_waitcnt vmcnt(0)
	v_and_b32_e32 v4, 0xffff0000, v3
	v_lshlrev_b32_e32 v3, 16, v3
	v_cvt_f16_f32_e32 v3, v3
	v_cvt_f16_f32_e32 v4, v4
	s_branch .LBB184_1215
.LBB184_1205:
                                        ; implicit-def: $vgpr4
                                        ; implicit-def: $vgpr3
	s_mov_b64 s[16:17], s[14:15]
	s_cbranch_execnz .LBB184_1281
.LBB184_1206:
	s_andn2_b64 vcc, exec, s[10:11]
	s_cbranch_vccz .LBB184_1328
	s_branch .LBB184_2316
.LBB184_1207:
                                        ; implicit-def: $vgpr4
                                        ; implicit-def: $vgpr3
	s_cbranch_execnz .LBB184_1245
	s_branch .LBB184_1277
.LBB184_1208:
                                        ; implicit-def: $vgpr4
                                        ; implicit-def: $vgpr3
	s_cbranch_execnz .LBB184_1227
	s_branch .LBB184_1244
.LBB184_1209:
	s_mov_b64 s[16:17], -1
                                        ; implicit-def: $vgpr4
                                        ; implicit-def: $vgpr3
	s_branch .LBB184_1221
.LBB184_1210:
	s_mov_b64 s[16:17], -1
	s_branch .LBB184_1214
.LBB184_1211:
	s_andn2_saveexec_b64 s[22:23], s[22:23]
	s_cbranch_execz .LBB184_1110
.LBB184_1212:
	s_mov_b32 s24, 0x46000000
	v_add_f32_e64 v6, |v5|, s24
	v_and_b32_e32 v6, 0xff, v6
	v_cmp_ne_u32_e32 vcc, 0, v6
	s_andn2_b64 s[20:21], s[20:21], exec
	s_and_b64 s[24:25], vcc, exec
	s_or_b64 s[20:21], s[20:21], s[24:25]
	s_or_b64 exec, exec, s[22:23]
	v_mov_b32_e32 v7, 0
	s_and_saveexec_b64 s[22:23], s[20:21]
	s_cbranch_execnz .LBB184_1111
	s_branch .LBB184_1112
.LBB184_1213:
	s_mov_b64 s[0:1], -1
.LBB184_1214:
                                        ; implicit-def: $vgpr4
                                        ; implicit-def: $vgpr3
.LBB184_1215:
	s_and_b64 vcc, exec, s[16:17]
	s_cbranch_vccz .LBB184_1220
; %bb.1216:
	s_cmp_eq_u32 s28, 44
	s_cbranch_scc0 .LBB184_1218
; %bb.1217:
	global_load_ubyte v3, v[0:1], off
	s_movk_i32 s10, 0xff
	v_mov_b32_e32 v5, 0x7e00
	s_mov_b64 s[0:1], 0
	s_waitcnt vmcnt(0)
	v_lshlrev_b32_e32 v4, 23, v3
	v_cvt_f16_f32_e32 v4, v4
	v_cmp_ne_u32_e32 vcc, s10, v3
	s_mov_b64 s[10:11], -1
	s_nop 0
	v_cndmask_b32_e32 v4, v5, v4, vcc
	v_cmp_ne_u32_e32 vcc, 0, v3
	s_nop 1
	v_cndmask_b32_e32 v3, 0, v4, vcc
	s_branch .LBB184_1219
.LBB184_1218:
	s_mov_b64 s[0:1], -1
                                        ; implicit-def: $vgpr3
.LBB184_1219:
	v_mov_b32_e32 v4, 0
.LBB184_1220:
	s_mov_b64 s[16:17], 0
.LBB184_1221:
	s_and_b64 vcc, exec, s[16:17]
	s_cbranch_vccz .LBB184_1226
; %bb.1222:
	s_cmp_eq_u32 s28, 29
	s_cbranch_scc0 .LBB184_1224
; %bb.1223:
	global_load_dwordx2 v[4:5], v[0:1], off
	s_mov_b64 s[0:1], 0
	s_mov_b64 s[10:11], -1
	s_waitcnt vmcnt(0)
	v_ffbh_u32_e32 v3, v5
	v_min_u32_e32 v3, 32, v3
	v_lshlrev_b64 v[4:5], v3, v[4:5]
	v_min_u32_e32 v4, 1, v4
	v_or_b32_e32 v4, v5, v4
	v_cvt_f32_u32_e32 v4, v4
	v_sub_u32_e32 v3, 32, v3
	v_ldexp_f32 v3, v4, v3
	v_cvt_f16_f32_e32 v3, v3
	s_branch .LBB184_1225
.LBB184_1224:
	s_mov_b64 s[0:1], -1
                                        ; implicit-def: $vgpr3
.LBB184_1225:
	v_mov_b32_e32 v4, 0
.LBB184_1226:
	s_branch .LBB184_1244
.LBB184_1227:
	s_cmp_lt_i32 s28, 27
	s_cbranch_scc1 .LBB184_1230
; %bb.1228:
	s_cmp_gt_i32 s28, 27
	s_cbranch_scc0 .LBB184_1231
; %bb.1229:
	global_load_dword v3, v[0:1], off
	s_mov_b64 s[10:11], 0
	s_waitcnt vmcnt(0)
	v_cvt_f32_u32_e32 v3, v3
	v_cvt_f16_f32_e32 v3, v3
	s_branch .LBB184_1232
.LBB184_1230:
	s_mov_b64 s[10:11], -1
                                        ; implicit-def: $vgpr3
	s_branch .LBB184_1235
.LBB184_1231:
	s_mov_b64 s[10:11], -1
                                        ; implicit-def: $vgpr3
.LBB184_1232:
	s_andn2_b64 vcc, exec, s[10:11]
	s_cbranch_vccnz .LBB184_1234
; %bb.1233:
	global_load_ushort v3, v[0:1], off
	s_waitcnt vmcnt(0)
	v_cvt_f16_u16_e32 v3, v3
.LBB184_1234:
	s_mov_b64 s[10:11], 0
.LBB184_1235:
	s_andn2_b64 vcc, exec, s[10:11]
	s_cbranch_vccnz .LBB184_1243
; %bb.1236:
	global_load_ubyte v4, v[0:1], off
	s_movk_i32 s10, 0x7f
	s_waitcnt vmcnt(0)
	v_cmp_lt_i16_e32 vcc, s10, v4
	s_mov_b64 s[10:11], 0
	s_and_saveexec_b64 s[16:17], vcc
	s_xor_b64 s[16:17], exec, s[16:17]
	s_cbranch_execz .LBB184_1256
; %bb.1237:
	s_movk_i32 s10, 0x80
	v_cmp_eq_u16_e32 vcc, s10, v4
	s_mov_b64 s[10:11], -1
	s_and_saveexec_b64 s[18:19], vcc
; %bb.1238:
	s_xor_b64 s[10:11], exec, -1
; %bb.1239:
	s_or_b64 exec, exec, s[18:19]
	s_and_b64 s[10:11], s[10:11], exec
	s_or_saveexec_b64 s[16:17], s[16:17]
	v_mov_b32_e32 v3, 0x7e00
	s_xor_b64 exec, exec, s[16:17]
	s_cbranch_execnz .LBB184_1257
.LBB184_1240:
	s_or_b64 exec, exec, s[16:17]
	s_and_saveexec_b64 s[16:17], s[10:11]
	s_cbranch_execz .LBB184_1242
.LBB184_1241:
	v_lshlrev_b32_e32 v3, 24, v4
	v_and_b32_e32 v4, 0xffff, v4
	v_and_b32_e32 v5, 7, v4
	v_ffbh_u32_e32 v7, v5
	v_min_u32_e32 v7, 32, v7
	v_subrev_u32_e32 v8, 28, v7
	v_bfe_u32 v6, v4, 3, 4
	v_lshlrev_b32_e32 v4, v8, v4
	v_sub_u32_e32 v7, 29, v7
	v_and_b32_e32 v4, 7, v4
	v_cmp_eq_u32_e32 vcc, 0, v6
	v_and_b32_e32 v3, 0x80000000, v3
	s_nop 0
	v_cndmask_b32_e32 v6, v6, v7, vcc
	v_cndmask_b32_e32 v4, v5, v4, vcc
	v_mov_b32_e32 v5, 0x3b800000
	v_lshlrev_b32_e32 v4, 20, v4
	v_lshl_add_u32 v5, v6, 23, v5
	v_or3_b32 v3, v3, v5, v4
	v_cvt_f16_f32_e32 v3, v3
.LBB184_1242:
	s_or_b64 exec, exec, s[16:17]
.LBB184_1243:
	s_mov_b64 s[10:11], -1
	v_mov_b32_e32 v4, 0
.LBB184_1244:
	s_branch .LBB184_1277
.LBB184_1245:
	s_cmp_gt_i32 s28, 22
	s_cbranch_scc0 .LBB184_1255
; %bb.1246:
	s_cmp_lt_i32 s28, 24
	s_cbranch_scc1 .LBB184_1258
; %bb.1247:
	s_cmp_gt_i32 s28, 24
	s_cbranch_scc0 .LBB184_1259
; %bb.1248:
	global_load_ubyte v4, v[0:1], off
	s_movk_i32 s2, 0x7f
	s_waitcnt vmcnt(0)
	v_cmp_lt_i16_e32 vcc, s2, v4
	s_mov_b64 s[2:3], 0
	s_and_saveexec_b64 s[10:11], vcc
	s_xor_b64 s[10:11], exec, s[10:11]
	s_cbranch_execz .LBB184_1270
; %bb.1249:
	s_movk_i32 s2, 0x80
	v_cmp_eq_u16_e32 vcc, s2, v4
	s_mov_b64 s[2:3], -1
	s_and_saveexec_b64 s[16:17], vcc
; %bb.1250:
	s_xor_b64 s[2:3], exec, -1
; %bb.1251:
	s_or_b64 exec, exec, s[16:17]
	s_and_b64 s[2:3], s[2:3], exec
	s_or_saveexec_b64 s[10:11], s[10:11]
	v_mov_b32_e32 v3, 0x7e00
	s_xor_b64 exec, exec, s[10:11]
	s_cbranch_execnz .LBB184_1271
.LBB184_1252:
	s_or_b64 exec, exec, s[10:11]
	s_and_saveexec_b64 s[10:11], s[2:3]
	s_cbranch_execz .LBB184_1254
.LBB184_1253:
	v_lshlrev_b32_e32 v3, 24, v4
	v_and_b32_e32 v4, 0xffff, v4
	v_and_b32_e32 v5, 3, v4
	v_ffbh_u32_e32 v7, v5
	v_min_u32_e32 v7, 32, v7
	v_subrev_u32_e32 v8, 29, v7
	v_bfe_u32 v6, v4, 2, 5
	v_lshlrev_b32_e32 v4, v8, v4
	v_sub_u32_e32 v7, 30, v7
	v_and_b32_e32 v4, 3, v4
	v_cmp_eq_u32_e32 vcc, 0, v6
	v_and_b32_e32 v3, 0x80000000, v3
	s_nop 0
	v_cndmask_b32_e32 v6, v6, v7, vcc
	v_cndmask_b32_e32 v4, v5, v4, vcc
	v_mov_b32_e32 v5, 0x37800000
	v_lshlrev_b32_e32 v4, 21, v4
	v_lshl_add_u32 v5, v6, 23, v5
	v_or3_b32 v3, v3, v5, v4
	v_cvt_f16_f32_e32 v3, v3
.LBB184_1254:
	s_or_b64 exec, exec, s[10:11]
	s_mov_b64 s[2:3], 0
	s_branch .LBB184_1260
.LBB184_1255:
                                        ; implicit-def: $vgpr3
	s_mov_b64 s[2:3], 0
	s_branch .LBB184_1266
.LBB184_1256:
	s_or_saveexec_b64 s[16:17], s[16:17]
	v_mov_b32_e32 v3, 0x7e00
	s_xor_b64 exec, exec, s[16:17]
	s_cbranch_execz .LBB184_1240
.LBB184_1257:
	v_cmp_ne_u16_e32 vcc, 0, v4
	s_andn2_b64 s[10:11], s[10:11], exec
	s_and_b64 s[18:19], vcc, exec
	s_or_b64 s[10:11], s[10:11], s[18:19]
	v_mov_b32_e32 v3, v4
	s_or_b64 exec, exec, s[16:17]
	s_and_saveexec_b64 s[16:17], s[10:11]
	s_cbranch_execnz .LBB184_1241
	s_branch .LBB184_1242
.LBB184_1258:
	s_mov_b64 s[2:3], -1
                                        ; implicit-def: $vgpr3
	s_branch .LBB184_1263
.LBB184_1259:
	s_mov_b64 s[2:3], -1
                                        ; implicit-def: $vgpr3
.LBB184_1260:
	s_and_b64 vcc, exec, s[2:3]
	s_cbranch_vccz .LBB184_1262
; %bb.1261:
	global_load_ubyte v3, v[0:1], off
	s_mov_b32 s2, 0x7f800000
	s_waitcnt vmcnt(0)
	v_lshlrev_b32_e32 v3, 24, v3
	v_and_b32_e32 v4, 0x7f000000, v3
	v_ffbh_u32_e32 v5, v4
	v_min_u32_e32 v5, 32, v5
	v_sub_u32_e64 v5, v5, 4 clamp
	v_lshlrev_b32_e32 v7, v5, v4
	v_lshlrev_b32_e32 v5, 23, v5
	v_lshrrev_b32_e32 v7, 4, v7
	v_add_u32_e32 v6, 0x1000000, v4
	v_sub_u32_e32 v5, v7, v5
	v_ashrrev_i32_e32 v6, 8, v6
	v_add_u32_e32 v5, 0x3c000000, v5
	v_and_or_b32 v5, v6, s2, v5
	v_cmp_ne_u32_e32 vcc, 0, v4
	s_brev_b32 s2, 1
	s_nop 0
	v_cndmask_b32_e32 v4, 0, v5, vcc
	v_and_or_b32 v3, v3, s2, v4
	v_cvt_f16_f32_e32 v3, v3
.LBB184_1262:
	s_mov_b64 s[2:3], 0
.LBB184_1263:
	s_andn2_b64 vcc, exec, s[2:3]
	s_cbranch_vccnz .LBB184_1265
; %bb.1264:
	global_load_ubyte v3, v[0:1], off
	s_movk_i32 s2, 0x7f00
	s_brev_b32 s3, 16
	s_waitcnt vmcnt(0)
	v_lshlrev_b16_e32 v4, 8, v3
	v_lshlrev_b32_e32 v3, 25, v3
	v_lshrrev_b32_e32 v5, 4, v3
	v_and_or_b32 v6, v4, s2, 0.5
	v_or_b32_e32 v5, 0x70000000, v5
	v_add_f32_e32 v6, -0.5, v6
	v_mul_f32_e32 v5, 0x7800000, v5
	v_cmp_gt_u32_e32 vcc, s3, v3
	v_bfe_i32 v4, v4, 0, 16
	s_brev_b32 s2, 1
	v_cndmask_b32_e32 v3, v5, v6, vcc
	v_and_or_b32 v3, v4, s2, v3
	v_cvt_f16_f32_e32 v3, v3
.LBB184_1265:
	s_mov_b64 s[10:11], -1
	s_mov_b64 s[2:3], 0
	s_cbranch_execnz .LBB184_1276
.LBB184_1266:
	s_cmp_gt_i32 s28, 14
	s_cbranch_scc0 .LBB184_1269
; %bb.1267:
	s_cmp_eq_u32 s28, 15
	s_cbranch_scc0 .LBB184_1272
; %bb.1268:
	global_load_ushort v3, v[0:1], off
	s_mov_b64 s[0:1], 0
	s_mov_b64 s[10:11], -1
	s_waitcnt vmcnt(0)
	v_lshlrev_b32_e32 v3, 16, v3
	v_cvt_f16_f32_e32 v3, v3
	s_branch .LBB184_1273
.LBB184_1269:
	s_mov_b64 s[16:17], -1
                                        ; implicit-def: $vgpr3
	s_branch .LBB184_1274
.LBB184_1270:
	s_or_saveexec_b64 s[10:11], s[10:11]
	v_mov_b32_e32 v3, 0x7e00
	s_xor_b64 exec, exec, s[10:11]
	s_cbranch_execz .LBB184_1252
.LBB184_1271:
	v_cmp_ne_u16_e32 vcc, 0, v4
	s_andn2_b64 s[2:3], s[2:3], exec
	s_and_b64 s[16:17], vcc, exec
	s_or_b64 s[2:3], s[2:3], s[16:17]
	v_mov_b32_e32 v3, v4
	s_or_b64 exec, exec, s[10:11]
	s_and_saveexec_b64 s[10:11], s[2:3]
	s_cbranch_execnz .LBB184_1253
	s_branch .LBB184_1254
.LBB184_1272:
	s_mov_b64 s[0:1], -1
                                        ; implicit-def: $vgpr3
.LBB184_1273:
	s_mov_b64 s[16:17], 0
.LBB184_1274:
	s_and_b64 vcc, exec, s[16:17]
	s_cbranch_vccz .LBB184_1276
; %bb.1275:
	s_cmp_lg_u32 s28, 11
	s_mov_b64 s[2:3], -1
	s_cselect_b64 s[0:1], -1, 0
.LBB184_1276:
	v_mov_b32_e32 v4, 0
.LBB184_1277:
	s_and_b64 vcc, exec, s[0:1]
	s_mov_b64 s[16:17], s[14:15]
	s_cbranch_vccnz .LBB184_1378
; %bb.1278:
	s_andn2_b64 vcc, exec, s[2:3]
	s_cbranch_vccnz .LBB184_1280
.LBB184_1279:
	global_load_ubyte v3, v[0:1], off
	v_mov_b32_e32 v5, 0x3c00
	v_mov_b32_e32 v4, 0
	s_mov_b64 s[10:11], -1
	s_waitcnt vmcnt(0)
	v_cmp_ne_u16_e32 vcc, 0, v3
	s_nop 1
	v_cndmask_b32_e32 v3, 0, v5, vcc
.LBB184_1280:
	s_branch .LBB184_1206
.LBB184_1281:
	s_cmp_lt_i32 s28, 5
	s_cbranch_scc1 .LBB184_1286
; %bb.1282:
	s_cmp_lt_i32 s28, 8
	s_cbranch_scc1 .LBB184_1288
; %bb.1283:
	s_cmp_lt_i32 s28, 9
	s_cbranch_scc1 .LBB184_1289
; %bb.1284:
	s_cmp_gt_i32 s28, 9
	s_cbranch_scc0 .LBB184_1290
; %bb.1285:
	global_load_dwordx4 v[4:7], v[0:1], off
	s_movk_i32 s0, 0x1ff
	s_movk_i32 s1, 0xffe
	v_mov_b32_e32 v3, 0x7c00
	v_mov_b32_e32 v8, 0x7e00
	s_movk_i32 s2, 0x40f
	s_mov_b32 s3, 0x8000
	s_waitcnt vmcnt(0)
	v_and_or_b32 v4, v5, s0, v4
	v_and_or_b32 v6, v7, s0, v6
	v_cmp_ne_u32_e32 vcc, 0, v4
	v_lshrrev_b32_e32 v9, 8, v5
	v_bfe_u32 v11, v5, 20, 11
	v_cndmask_b32_e64 v4, 0, 1, vcc
	v_cmp_ne_u32_e32 vcc, 0, v6
	v_lshrrev_b32_e32 v12, 8, v7
	v_bfe_u32 v13, v7, 20, 11
	v_cndmask_b32_e64 v6, 0, 1, vcc
	v_and_or_b32 v4, v9, s1, v4
	v_sub_u32_e32 v14, 0x3f1, v11
	v_add_u32_e32 v11, 0xfffffc10, v11
	v_sub_u32_e32 v15, 0x3f1, v13
	v_and_or_b32 v6, v12, s1, v6
	v_cmp_ne_u32_e32 vcc, 0, v4
	v_add_u32_e32 v13, 0xfffffc10, v13
	v_med3_i32 v9, v14, 0, 13
	v_med3_i32 v12, v15, 0, 13
	v_or_b32_e32 v14, 0x1000, v4
	v_lshl_or_b32 v15, v11, 12, v4
	v_cndmask_b32_e32 v4, v3, v8, vcc
	v_cmp_ne_u32_e32 vcc, 0, v6
	v_or_b32_e32 v16, 0x1000, v6
	v_lshl_or_b32 v17, v13, 12, v6
	v_cndmask_b32_e32 v6, v3, v8, vcc
	v_lshrrev_b32_e32 v8, v9, v14
	v_lshrrev_b32_e32 v18, v12, v16
	v_lshlrev_b32_e32 v9, v9, v8
	v_lshlrev_b32_e32 v12, v12, v18
	v_cmp_ne_u32_e32 vcc, v9, v14
	v_lshrrev_b32_e32 v5, 16, v5
	v_lshrrev_b32_e32 v7, 16, v7
	v_cndmask_b32_e64 v9, 0, 1, vcc
	v_cmp_ne_u32_e32 vcc, v12, v16
	v_or_b32_e32 v8, v8, v9
	s_mov_b64 s[0:1], 0
	v_cndmask_b32_e64 v12, 0, 1, vcc
	v_cmp_gt_i32_e32 vcc, 1, v11
	v_or_b32_e32 v9, v18, v12
	s_nop 0
	v_cndmask_b32_e32 v8, v15, v8, vcc
	v_cmp_gt_i32_e32 vcc, 1, v13
	v_and_b32_e32 v12, 7, v8
	v_lshrrev_b32_e32 v8, 2, v8
	v_cndmask_b32_e32 v9, v17, v9, vcc
	v_cmp_lt_i32_e32 vcc, 5, v12
	v_and_b32_e32 v14, 7, v9
	v_lshrrev_b32_e32 v9, 2, v9
	v_cndmask_b32_e64 v15, 0, 1, vcc
	v_cmp_eq_u32_e32 vcc, 3, v12
	s_nop 1
	v_cndmask_b32_e64 v12, 0, 1, vcc
	v_cmp_lt_i32_e32 vcc, 5, v14
	v_or_b32_e32 v12, v12, v15
	v_add_u32_e32 v8, v8, v12
	v_cndmask_b32_e64 v16, 0, 1, vcc
	v_cmp_eq_u32_e32 vcc, 3, v14
	s_nop 1
	v_cndmask_b32_e64 v14, 0, 1, vcc
	v_or_b32_e32 v14, v14, v16
	v_cmp_gt_i32_e32 vcc, 31, v11
	v_add_u32_e32 v9, v9, v14
	s_nop 0
	v_cndmask_b32_e32 v8, v3, v8, vcc
	v_cmp_gt_i32_e32 vcc, 31, v13
	s_nop 1
	v_cndmask_b32_e32 v3, v3, v9, vcc
	v_cmp_eq_u32_e32 vcc, s2, v11
	s_nop 1
	v_cndmask_b32_e32 v4, v8, v4, vcc
	v_cmp_eq_u32_e32 vcc, s2, v13
	s_nop 1
	v_cndmask_b32_e32 v6, v3, v6, vcc
	v_and_or_b32 v3, v5, s3, v4
	v_and_or_b32 v4, v7, s3, v6
	s_branch .LBB184_1291
.LBB184_1286:
                                        ; implicit-def: $vgpr4
                                        ; implicit-def: $vgpr3
	s_branch .LBB184_1309
.LBB184_1287:
	s_branch .LBB184_1328
.LBB184_1288:
                                        ; implicit-def: $vgpr4
                                        ; implicit-def: $vgpr3
	s_branch .LBB184_1297
.LBB184_1289:
	s_mov_b64 s[0:1], -1
                                        ; implicit-def: $vgpr4
                                        ; implicit-def: $vgpr3
	s_branch .LBB184_1294
.LBB184_1290:
	s_mov_b64 s[0:1], -1
                                        ; implicit-def: $vgpr4
                                        ; implicit-def: $vgpr3
.LBB184_1291:
	s_andn2_b64 vcc, exec, s[0:1]
	s_cbranch_vccnz .LBB184_1293
; %bb.1292:
	global_load_dwordx2 v[4:5], v[0:1], off
	s_waitcnt vmcnt(0)
	v_cvt_f16_f32_e32 v3, v4
	v_cvt_f16_f32_e32 v4, v5
.LBB184_1293:
	s_mov_b64 s[0:1], 0
.LBB184_1294:
	s_andn2_b64 vcc, exec, s[0:1]
	s_cbranch_vccnz .LBB184_1296
; %bb.1295:
	global_load_dword v3, v[0:1], off
	s_waitcnt vmcnt(0)
	v_lshrrev_b32_e32 v4, 16, v3
.LBB184_1296:
	s_cbranch_execnz .LBB184_1308
.LBB184_1297:
	s_cmp_lt_i32 s28, 6
	s_cbranch_scc1 .LBB184_1300
; %bb.1298:
	s_cmp_gt_i32 s28, 6
	s_cbranch_scc0 .LBB184_1301
; %bb.1299:
	global_load_dwordx2 v[4:5], v[0:1], off
	s_movk_i32 s0, 0x1ff
	s_movk_i32 s1, 0xffe
	v_mov_b32_e32 v3, 0x7c00
	v_mov_b32_e32 v6, 0x7e00
	s_movk_i32 s2, 0x40f
	s_mov_b32 s3, 0x8000
	s_waitcnt vmcnt(0)
	v_and_or_b32 v4, v5, s0, v4
	v_cmp_ne_u32_e32 vcc, 0, v4
	v_lshrrev_b32_e32 v7, 8, v5
	v_bfe_u32 v8, v5, 20, 11
	v_cndmask_b32_e64 v4, 0, 1, vcc
	v_sub_u32_e32 v9, 0x3f1, v8
	v_and_or_b32 v4, v7, s1, v4
	v_add_u32_e32 v8, 0xfffffc10, v8
	v_med3_i32 v7, v9, 0, 13
	v_or_b32_e32 v9, 0x1000, v4
	v_cmp_ne_u32_e32 vcc, 0, v4
	v_lshl_or_b32 v11, v8, 12, v4
	v_lshrrev_b32_e32 v5, 16, v5
	v_cndmask_b32_e32 v4, v3, v6, vcc
	v_lshrrev_b32_e32 v6, v7, v9
	v_lshlrev_b32_e32 v7, v7, v6
	v_cmp_ne_u32_e32 vcc, v7, v9
	s_mov_b64 s[0:1], 0
	s_nop 0
	v_cndmask_b32_e64 v7, 0, 1, vcc
	v_or_b32_e32 v6, v6, v7
	v_cmp_gt_i32_e32 vcc, 1, v8
	s_nop 1
	v_cndmask_b32_e32 v6, v11, v6, vcc
	v_and_b32_e32 v7, 7, v6
	v_cmp_lt_i32_e32 vcc, 5, v7
	v_lshrrev_b32_e32 v6, 2, v6
	s_nop 0
	v_cndmask_b32_e64 v9, 0, 1, vcc
	v_cmp_eq_u32_e32 vcc, 3, v7
	s_nop 1
	v_cndmask_b32_e64 v7, 0, 1, vcc
	v_or_b32_e32 v7, v7, v9
	v_add_u32_e32 v6, v6, v7
	v_cmp_gt_i32_e32 vcc, 31, v8
	s_nop 1
	v_cndmask_b32_e32 v3, v3, v6, vcc
	v_cmp_eq_u32_e32 vcc, s2, v8
	s_nop 1
	v_cndmask_b32_e32 v3, v3, v4, vcc
	v_and_or_b32 v3, v5, s3, v3
	s_branch .LBB184_1302
.LBB184_1300:
	s_mov_b64 s[0:1], -1
                                        ; implicit-def: $vgpr3
	s_branch .LBB184_1305
.LBB184_1301:
	s_mov_b64 s[0:1], -1
                                        ; implicit-def: $vgpr3
.LBB184_1302:
	s_andn2_b64 vcc, exec, s[0:1]
	s_cbranch_vccnz .LBB184_1304
; %bb.1303:
	global_load_dword v3, v[0:1], off
	s_waitcnt vmcnt(0)
	v_cvt_f16_f32_e32 v3, v3
.LBB184_1304:
	s_mov_b64 s[0:1], 0
.LBB184_1305:
	s_andn2_b64 vcc, exec, s[0:1]
	s_cbranch_vccnz .LBB184_1307
; %bb.1306:
	global_load_ushort v3, v[0:1], off
.LBB184_1307:
	v_mov_b32_e32 v4, 0
.LBB184_1308:
	s_cbranch_execnz .LBB184_1287
.LBB184_1309:
	s_cmp_lt_i32 s28, 2
	s_cbranch_scc1 .LBB184_1313
; %bb.1310:
	s_cmp_lt_i32 s28, 3
	s_cbranch_scc1 .LBB184_1314
; %bb.1311:
	s_cmp_gt_i32 s28, 3
	s_cbranch_scc0 .LBB184_1315
; %bb.1312:
	global_load_dwordx2 v[4:5], v[0:1], off
	s_mov_b64 s[0:1], 0
	s_waitcnt vmcnt(0)
	v_xor_b32_e32 v6, v4, v5
	v_ffbh_i32_e32 v3, v5
	v_ashrrev_i32_e32 v6, 31, v6
	v_add_u32_e32 v3, -1, v3
	v_add_u32_e32 v6, 32, v6
	v_min_u32_e32 v3, v3, v6
	v_lshlrev_b64 v[4:5], v3, v[4:5]
	v_min_u32_e32 v4, 1, v4
	v_or_b32_e32 v4, v5, v4
	v_cvt_f32_i32_e32 v4, v4
	v_sub_u32_e32 v3, 32, v3
	v_ldexp_f32 v3, v4, v3
	v_cvt_f16_f32_e32 v3, v3
	s_branch .LBB184_1316
.LBB184_1313:
                                        ; implicit-def: $vgpr3
	s_branch .LBB184_1322
.LBB184_1314:
	s_mov_b64 s[0:1], -1
                                        ; implicit-def: $vgpr3
	s_branch .LBB184_1319
.LBB184_1315:
	s_mov_b64 s[0:1], -1
                                        ; implicit-def: $vgpr3
.LBB184_1316:
	s_andn2_b64 vcc, exec, s[0:1]
	s_cbranch_vccnz .LBB184_1318
; %bb.1317:
	global_load_dword v3, v[0:1], off
	s_waitcnt vmcnt(0)
	v_cvt_f32_i32_e32 v3, v3
	v_cvt_f16_f32_e32 v3, v3
.LBB184_1318:
	s_mov_b64 s[0:1], 0
.LBB184_1319:
	s_andn2_b64 vcc, exec, s[0:1]
	s_cbranch_vccnz .LBB184_1321
; %bb.1320:
	global_load_ushort v3, v[0:1], off
	s_waitcnt vmcnt(0)
	v_cvt_f16_i16_e32 v3, v3
.LBB184_1321:
	s_cbranch_execnz .LBB184_1327
.LBB184_1322:
	s_cmp_gt_i32 s28, 0
	s_cbranch_scc0 .LBB184_1324
; %bb.1323:
	global_load_sbyte v3, v[0:1], off
	s_mov_b64 s[0:1], 0
	s_waitcnt vmcnt(0)
	v_cvt_f16_i16_e32 v3, v3
	s_branch .LBB184_1325
.LBB184_1324:
	s_mov_b64 s[0:1], -1
                                        ; implicit-def: $vgpr3
.LBB184_1325:
	s_andn2_b64 vcc, exec, s[0:1]
	s_cbranch_vccnz .LBB184_1327
; %bb.1326:
	global_load_ubyte v0, v[0:1], off
	s_waitcnt vmcnt(0)
	v_cvt_f16_u16_e32 v3, v0
.LBB184_1327:
	v_mov_b32_e32 v4, 0
.LBB184_1328:
	v_cvt_f32_f16_e32 v5, v4
	s_waitcnt vmcnt(0)
	v_cmp_neq_f16_e32 vcc, 0, v3
	v_cmp_neq_f16_e64 s[0:1], 0, v4
	s_or_b64 s[0:1], vcc, s[0:1]
	v_mov_b32_e32 v4, 0
	s_and_saveexec_b64 s[10:11], s[0:1]
	s_cbranch_execz .LBB184_1358
; %bb.1329:
	v_mov_b32_e32 v4, 0x7f800000
	v_cmp_neq_f32_e64 s[0:1], |v5|, v4
	s_and_saveexec_b64 s[18:19], s[0:1]
	s_cbranch_execz .LBB184_1357
; %bb.1330:
	v_cvt_f32_f16_e32 v6, v3
	v_cmp_o_f16_e32 vcc, v3, v3
	s_and_saveexec_b64 s[0:1], vcc
	s_xor_b64 s[20:21], exec, s[0:1]
	s_cbranch_execz .LBB184_1354
; %bb.1331:
	s_mov_b32 s0, 0x7f800000
	v_cmp_neq_f32_e64 s[0:1], |v6|, s0
	s_and_saveexec_b64 s[2:3], s[0:1]
	s_xor_b64 s[22:23], exec, s[2:3]
	s_cbranch_execz .LBB184_1347
; %bb.1332:
	v_max_f32_e64 v0, |v5|, |v5|
	v_max_f32_e64 v1, |v6|, |v6|
	v_max_f32_e32 v0, v1, v0
	s_mov_b32 s0, 0x7ed413cb
	v_cmp_nle_f32_e64 s[0:1], s0, v0
                                        ; implicit-def: $sgpr24_sgpr25
	s_and_saveexec_b64 s[2:3], s[0:1]
	s_xor_b64 s[2:3], exec, s[2:3]
	s_cbranch_execz .LBB184_1336
; %bb.1333:
	s_mov_b32 s26, 0x1000000
	v_cmp_le_f32_e64 s[24:25], |v6|, s26
	v_cmp_le_f32_e64 s[26:27], |v5|, s26
	s_and_b64 s[30:31], s[24:25], s[26:27]
	s_mov_b64 s[24:25], 0
	s_and_saveexec_b64 s[26:27], s[30:31]
; %bb.1334:
	s_mov_b64 s[24:25], exec
	v_mul_f32_e32 v5, 4.0, v5
	v_mul_f32_e32 v6, 4.0, v6
; %bb.1335:
	s_or_b64 exec, exec, s[26:27]
.LBB184_1336:
	s_andn2_saveexec_b64 s[2:3], s[2:3]
; %bb.1337:
	v_mul_f32_e32 v6, 0x3e800000, v6
	v_mul_f32_e32 v5, 0x3e800000, v5
	s_andn2_b64 s[24:25], s[24:25], exec
; %bb.1338:
	s_or_b64 exec, exec, s[2:3]
	v_max_f32_e64 v0, |v5|, |v5|
	v_max_f32_e64 v1, |v6|, |v6|
	v_max_f32_e32 v3, v1, v0
	v_cvt_f64_f32_e32 v[0:1], v3
	v_frexp_exp_i32_f64_e32 v0, v[0:1]
	v_sub_u32_e32 v1, 0, v0
	v_ldexp_f32 v4, |v6|, v1
	v_ldexp_f32 v1, |v5|, v1
	v_mul_f32_e32 v1, v1, v1
	v_fmac_f32_e32 v1, v4, v4
	v_sqrt_f32_e32 v1, v1
	s_mov_b32 s2, 0x7f800000
	v_cmp_neq_f32_e64 s[2:3], s2, v3
	v_cmp_le_f32_e32 vcc, 0, v6
	v_ldexp_f32 v0, v1, v0
	v_mov_b32_e32 v1, 0x7f800000
	v_cndmask_b32_e64 v3, v1, v0, s[2:3]
                                        ; implicit-def: $vgpr0_vgpr1
	s_and_saveexec_b64 s[2:3], vcc
	s_xor_b64 s[26:27], exec, s[2:3]
	s_cbranch_execz .LBB184_1340
; %bb.1339:
	v_add_f32_e32 v0, v6, v3
	v_mul_f32_e32 v0, 0.5, v0
	s_mov_b32 s2, 0xf800000
	v_mul_f32_e32 v1, 0x4f800000, v0
	v_cmp_gt_f32_e32 vcc, s2, v0
	s_nop 1
	v_cndmask_b32_e32 v0, v0, v1, vcc
	v_sqrt_f32_e32 v1, v0
	s_nop 0
	v_add_u32_e32 v3, -1, v1
	v_fma_f32 v4, -v3, v1, v0
	v_cmp_ge_f32_e64 s[2:3], 0, v4
	v_add_u32_e32 v4, 1, v1
	s_nop 0
	v_cndmask_b32_e64 v3, v1, v3, s[2:3]
	v_fma_f32 v1, -v4, v1, v0
	v_cmp_lt_f32_e64 s[2:3], 0, v1
	s_nop 1
	v_cndmask_b32_e64 v1, v3, v4, s[2:3]
	v_mul_f32_e32 v3, 0x37800000, v1
	v_cndmask_b32_e32 v1, v1, v3, vcc
	v_mov_b32_e32 v3, 0x260
	v_cmp_class_f32_e32 vcc, v0, v3
	s_nop 1
	v_cndmask_b32_e32 v0, v1, v0, vcc
	v_add_f32_e32 v1, v0, v0
	v_div_scale_f32 v3, s[2:3], v1, v1, v5
	v_rcp_f32_e32 v4, v3
	s_nop 0
	v_fma_f32 v6, -v3, v4, 1.0
	v_fmac_f32_e32 v4, v6, v4
	v_div_scale_f32 v6, vcc, v5, v1, v5
	v_mul_f32_e32 v7, v6, v4
	v_fma_f32 v8, -v3, v7, v6
	v_fmac_f32_e32 v7, v8, v4
	v_fma_f32 v3, -v3, v7, v6
	v_div_fmas_f32 v3, v3, v4, v7
	v_div_fixup_f32 v1, v3, v1, v5
                                        ; implicit-def: $vgpr3
                                        ; implicit-def: $vgpr6
                                        ; implicit-def: $vgpr5
	s_andn2_saveexec_b64 s[26:27], s[26:27]
	s_cbranch_execz .LBB184_1342
	s_branch .LBB184_1341
.LBB184_1340:
	s_andn2_saveexec_b64 s[26:27], s[26:27]
	s_cbranch_execz .LBB184_1342
.LBB184_1341:
	v_sub_f32_e32 v0, v3, v6
	v_mul_f32_e32 v0, 0.5, v0
	s_mov_b32 s2, 0xf800000
	v_mul_f32_e32 v1, 0x4f800000, v0
	v_cmp_gt_f32_e32 vcc, s2, v0
	s_nop 1
	v_cndmask_b32_e32 v0, v0, v1, vcc
	v_sqrt_f32_e32 v1, v0
	s_nop 0
	v_add_u32_e32 v3, -1, v1
	v_fma_f32 v4, -v3, v1, v0
	v_cmp_ge_f32_e64 s[2:3], 0, v4
	v_add_u32_e32 v4, 1, v1
	s_nop 0
	v_cndmask_b32_e64 v3, v1, v3, s[2:3]
	v_fma_f32 v1, -v4, v1, v0
	v_cmp_lt_f32_e64 s[2:3], 0, v1
	s_nop 1
	v_cndmask_b32_e64 v1, v3, v4, s[2:3]
	v_mul_f32_e32 v3, 0x37800000, v1
	v_cndmask_b32_e32 v1, v1, v3, vcc
	v_mov_b32_e32 v3, 0x260
	v_cmp_class_f32_e32 vcc, v0, v3
	v_and_b32_e32 v3, 0x7fffffff, v5
	s_nop 0
	v_cndmask_b32_e32 v1, v1, v0, vcc
	v_add_f32_e32 v0, v1, v1
	v_div_scale_f32 v4, s[2:3], v0, v0, v3
	v_rcp_f32_e32 v6, v4
	v_div_scale_f32 v3, vcc, v3, v0, v3
	s_brev_b32 s2, -2
	v_fma_f32 v7, -v4, v6, 1.0
	v_fmac_f32_e32 v6, v7, v6
	v_mul_f32_e32 v7, v3, v6
	v_fma_f32 v8, -v4, v7, v3
	v_fmac_f32_e32 v7, v8, v6
	v_fma_f32 v3, -v4, v7, v3
	v_div_fmas_f32 v3, v3, v6, v7
	v_div_fixup_f32 v0, v3, v0, |v5|
	v_bfi_b32 v1, s2, v1, v5
.LBB184_1342:
	s_or_b64 exec, exec, s[26:27]
                                        ; implicit-def: $vgpr5
	s_and_saveexec_b64 s[2:3], s[0:1]
	s_xor_b64 s[0:1], exec, s[2:3]
	s_cbranch_execz .LBB184_1344
; %bb.1343:
	v_pk_mul_f32 v[4:5], v[0:1], 0.5 op_sel_hi:[1,0]
	s_nop 0
	v_cndmask_b32_e64 v4, v0, v4, s[24:25]
	v_cndmask_b32_e64 v5, v1, v5, s[24:25]
                                        ; implicit-def: $vgpr0_vgpr1
	s_andn2_saveexec_b64 s[0:1], s[0:1]
	s_cbranch_execnz .LBB184_1345
	s_branch .LBB184_1346
.LBB184_1344:
	s_andn2_saveexec_b64 s[0:1], s[0:1]
.LBB184_1345:
	v_pk_add_f32 v[4:5], v[0:1], v[0:1]
.LBB184_1346:
	s_or_b64 exec, exec, s[0:1]
                                        ; implicit-def: $vgpr6
                                        ; implicit-def: $vgpr3
.LBB184_1347:
	s_andn2_saveexec_b64 s[0:1], s[22:23]
	s_cbranch_execz .LBB184_1353
; %bb.1348:
	v_sub_f32_e32 v0, v5, v5
	v_cmp_lt_i16_e32 vcc, -1, v3
	s_brev_b32 s22, -2
	v_and_b32_e32 v4, 0x7fffffff, v0
	s_and_saveexec_b64 s[2:3], vcc
	s_xor_b64 s[2:3], exec, s[2:3]
; %bb.1349:
	v_bfi_b32 v5, s22, v0, v5
	v_mov_b32_e32 v4, v6
; %bb.1350:
	s_andn2_saveexec_b64 s[2:3], s[2:3]
; %bb.1351:
	v_bfi_b32 v5, s22, v6, v5
; %bb.1352:
	s_or_b64 exec, exec, s[2:3]
.LBB184_1353:
	s_or_b64 exec, exec, s[0:1]
                                        ; implicit-def: $vgpr6
.LBB184_1354:
	s_andn2_saveexec_b64 s[0:1], s[20:21]
	s_cbranch_execz .LBB184_1356
; %bb.1355:
	v_sub_f32_e32 v0, v5, v5
	v_div_scale_f32 v1, vcc, v0, v0, v0
	v_rcp_f32_e32 v3, v1
	s_nop 0
	v_fma_f32 v4, -v1, v3, 1.0
	v_fmac_f32_e32 v3, v4, v3
	v_mul_f32_e32 v4, v1, v3
	v_fma_f32 v5, -v1, v4, v1
	v_fmac_f32_e32 v4, v5, v3
	v_fma_f32 v1, -v1, v4, v1
	v_div_fmas_f32 v1, v1, v3, v4
	v_div_fixup_f32 v5, v1, v0, v0
	v_mov_b32_e32 v4, v6
.LBB184_1356:
	s_or_b64 exec, exec, s[0:1]
.LBB184_1357:
	s_or_b64 exec, exec, s[18:19]
.LBB184_1358:
	s_or_b64 exec, exec, s[10:11]
	v_cmp_gt_f32_e32 vcc, 0, v5
                                        ; implicit-def: $vgpr0_vgpr1
	s_nop 1
	v_cndmask_b32_e64 v6, v5, -v5, vcc
	v_cmp_gt_f32_e32 vcc, 0, v4
	s_nop 1
	v_cndmask_b32_e64 v3, v4, -v4, vcc
	v_cmp_ge_f32_e32 vcc, v3, v6
	s_and_saveexec_b64 s[0:1], vcc
	s_xor_b64 s[2:3], exec, s[0:1]
	s_cbranch_execz .LBB184_1364
; %bb.1359:
	v_cmp_neq_f32_e32 vcc, 0, v4
	v_cmp_neq_f32_e64 s[0:1], 0, v5
	s_or_b64 s[0:1], vcc, s[0:1]
                                        ; implicit-def: $vgpr0_vgpr1
	s_and_saveexec_b64 s[10:11], s[0:1]
	s_xor_b64 s[0:1], exec, s[10:11]
	s_cbranch_execz .LBB184_1361
; %bb.1360:
	v_div_scale_f32 v0, s[10:11], v4, v4, v5
	v_rcp_f32_e32 v1, v0
	v_div_scale_f32 v3, vcc, v5, v4, v5
	v_fma_f32 v6, -v0, v1, 1.0
	v_fmac_f32_e32 v1, v6, v1
	v_mul_f32_e32 v6, v3, v1
	v_fma_f32 v7, -v0, v6, v3
	v_fmac_f32_e32 v6, v7, v1
	v_fma_f32 v0, -v0, v6, v3
	v_div_fmas_f32 v0, v0, v1, v6
	v_div_fixup_f32 v1, v0, v4, v5
	v_fmac_f32_e32 v4, v5, v1
	v_div_scale_f32 v0, s[10:11], v4, v4, 1.0
	v_rcp_f32_e32 v3, v0
	s_nop 0
	v_fma_f32 v5, -v0, v3, 1.0
	v_fmac_f32_e32 v3, v5, v3
	v_div_scale_f32 v5, vcc, 1.0, v4, 1.0
	v_mul_f32_e32 v6, v5, v3
	v_fma_f32 v7, -v0, v6, v5
	v_fmac_f32_e32 v6, v7, v3
	v_fma_f32 v0, -v0, v6, v5
	v_div_fmas_f32 v0, v0, v3, v6
	v_mul_f32_e32 v3, 0, v1
	v_div_fixup_f32 v0, v0, v4, 1.0
	v_add_f32_e32 v4, 1.0, v3
	v_sub_f32_e32 v5, 0, v1
	v_pk_mul_f32 v[0:1], v[4:5], v[0:1] op_sel_hi:[1,0]
                                        ; implicit-def: $vgpr6
                                        ; implicit-def: $vgpr3
.LBB184_1361:
	s_andn2_saveexec_b64 s[0:1], s[0:1]
	s_cbranch_execz .LBB184_1363
; %bb.1362:
	v_div_scale_f32 v0, s[10:11], v6, v6, 0
	v_rcp_f32_e32 v1, v0
	v_div_scale_f32 v4, vcc, 0, v6, 0
	v_fma_f32 v5, -v0, v1, 1.0
	v_fmac_f32_e32 v1, v5, v1
	v_mul_f32_e32 v5, v4, v1
	v_fma_f32 v7, -v0, v5, v4
	v_fmac_f32_e32 v5, v7, v1
	v_fma_f32 v0, -v0, v5, v4
	v_div_scale_f32 v4, s[10:11], v3, v3, 1.0
	v_rcp_f32_e32 v7, v4
	v_div_fmas_f32 v0, v0, v1, v5
	v_div_fixup_f32 v1, v0, v6, 0
	v_fma_f32 v0, -v4, v7, 1.0
	v_fmac_f32_e32 v7, v0, v7
	v_div_scale_f32 v0, vcc, 1.0, v3, 1.0
	v_mul_f32_e32 v5, v0, v7
	v_fma_f32 v6, -v4, v5, v0
	v_fmac_f32_e32 v5, v6, v7
	v_fma_f32 v0, -v4, v5, v0
	v_div_fmas_f32 v0, v0, v7, v5
	v_div_fixup_f32 v0, v0, v3, 1.0
.LBB184_1363:
	s_or_b64 exec, exec, s[0:1]
                                        ; implicit-def: $vgpr5
.LBB184_1364:
	s_andn2_saveexec_b64 s[0:1], s[2:3]
	s_cbranch_execz .LBB184_1366
; %bb.1365:
	v_div_scale_f32 v0, s[2:3], v5, v5, v4
	v_rcp_f32_e32 v1, v0
	v_div_scale_f32 v3, vcc, v4, v5, v4
	v_fma_f32 v6, -v0, v1, 1.0
	v_fmac_f32_e32 v1, v6, v1
	v_mul_f32_e32 v6, v3, v1
	v_fma_f32 v7, -v0, v6, v3
	v_fmac_f32_e32 v6, v7, v1
	v_fma_f32 v0, -v0, v6, v3
	v_div_fmas_f32 v0, v0, v1, v6
	v_div_fixup_f32 v0, v0, v5, v4
	v_fmac_f32_e32 v5, v4, v0
	v_div_scale_f32 v1, s[2:3], v5, v5, 1.0
	v_rcp_f32_e32 v3, v1
	s_mov_b32 s2, 0
	s_mov_b32 s3, -1.0
	v_fma_f32 v4, -v1, v3, 1.0
	v_fmac_f32_e32 v3, v4, v3
	v_div_scale_f32 v4, vcc, 1.0, v5, 1.0
	v_mul_f32_e32 v6, v4, v3
	v_fma_f32 v7, -v1, v6, v4
	v_fmac_f32_e32 v6, v7, v3
	v_fma_f32 v1, -v1, v6, v4
	v_div_fmas_f32 v1, v1, v3, v6
	v_div_fixup_f32 v4, v1, v5, 1.0
	v_mul_f32_e32 v1, 0, v0
	v_pk_add_f32 v[0:1], v[0:1], s[2:3]
	s_nop 0
	v_pk_mul_f32 v[0:1], v[0:1], v[4:5] op_sel_hi:[1,0]
.LBB184_1366:
	s_or_b64 exec, exec, s[0:1]
	s_lshl_b32 s9, s9, 7
	v_add_u32_e32 v4, s9, v2
	v_ashrrev_i32_e32 v5, 31, v4
	s_cmp_lt_i32 s28, 11
	v_lshl_add_u64 v[2:3], s[6:7], 0, v[4:5]
	s_cbranch_scc1 .LBB184_1373
; %bb.1367:
	s_cmp_gt_i32 s28, 25
	s_mov_b64 s[2:3], 0
	s_cbranch_scc0 .LBB184_1375
; %bb.1368:
	s_cmp_gt_i32 s28, 28
	s_cbranch_scc0 .LBB184_1376
; %bb.1369:
	s_cmp_gt_i32 s28, 43
	;; [unrolled: 3-line block ×3, first 2 shown]
	s_cbranch_scc0 .LBB184_1379
; %bb.1371:
	s_cmp_eq_u32 s28, 46
	s_mov_b64 s[18:19], 0
	s_cbranch_scc0 .LBB184_1382
; %bb.1372:
	global_load_dword v5, v[2:3], off
	s_mov_b64 s[0:1], 0
	s_mov_b64 s[10:11], -1
	s_waitcnt vmcnt(0)
	v_and_b32_e32 v6, 0xffff0000, v5
	v_lshlrev_b32_e32 v5, 16, v5
	v_cvt_f16_f32_e32 v5, v5
	v_cvt_f16_f32_e32 v6, v6
	s_branch .LBB184_1383
.LBB184_1373:
	s_mov_b64 s[10:11], 0
                                        ; implicit-def: $vgpr6
                                        ; implicit-def: $vgpr5
	s_cbranch_execnz .LBB184_1451
.LBB184_1374:
	s_andn2_b64 vcc, exec, s[10:11]
	s_cbranch_vccnz .LBB184_2316
	s_branch .LBB184_1500
.LBB184_1375:
	s_mov_b64 s[10:11], 0
	s_mov_b64 s[0:1], 0
                                        ; implicit-def: $vgpr6
                                        ; implicit-def: $vgpr5
	s_cbranch_execnz .LBB184_1414
	s_branch .LBB184_1447
.LBB184_1376:
	s_mov_b64 s[18:19], -1
	s_mov_b64 s[10:11], 0
	s_mov_b64 s[0:1], 0
                                        ; implicit-def: $vgpr6
                                        ; implicit-def: $vgpr5
	s_branch .LBB184_1395
.LBB184_1377:
	s_mov_b64 s[18:19], -1
	s_mov_b64 s[10:11], 0
	s_mov_b64 s[0:1], 0
                                        ; implicit-def: $vgpr6
                                        ; implicit-def: $vgpr5
	s_branch .LBB184_1389
.LBB184_1378:
	s_trap 2
	s_or_b64 s[16:17], s[14:15], exec
	s_cbranch_execz .LBB184_1279
	s_branch .LBB184_1280
.LBB184_1379:
	s_mov_b64 s[18:19], -1
	s_mov_b64 s[10:11], 0
	s_mov_b64 s[0:1], 0
                                        ; implicit-def: $vgpr6
                                        ; implicit-def: $vgpr5
	s_branch .LBB184_1383
.LBB184_1380:
	s_andn2_saveexec_b64 s[24:25], s[24:25]
	s_cbranch_execz .LBB184_1122
.LBB184_1381:
	s_mov_b32 s28, 0x42800000
	v_add_f32_e64 v6, |v5|, s28
	v_and_b32_e32 v6, 0xff, v6
	v_cmp_ne_u32_e32 vcc, 0, v6
	s_andn2_b64 s[22:23], s[22:23], exec
	s_and_b64 s[28:29], vcc, exec
	s_or_b64 s[22:23], s[22:23], s[28:29]
	s_or_b64 exec, exec, s[24:25]
	v_mov_b32_e32 v7, 0
	s_and_saveexec_b64 s[24:25], s[22:23]
	s_cbranch_execnz .LBB184_1123
	s_branch .LBB184_1124
.LBB184_1382:
	s_mov_b64 s[0:1], -1
                                        ; implicit-def: $vgpr6
                                        ; implicit-def: $vgpr5
	s_mov_b64 s[10:11], 0
.LBB184_1383:
	s_and_b64 vcc, exec, s[18:19]
	s_cbranch_vccz .LBB184_1388
; %bb.1384:
	s_cmp_eq_u32 s28, 44
	s_cbranch_scc0 .LBB184_1386
; %bb.1385:
	global_load_ubyte v5, v[2:3], off
	s_movk_i32 s10, 0xff
	v_mov_b32_e32 v7, 0x7e00
	s_mov_b64 s[0:1], 0
	s_waitcnt vmcnt(0)
	v_lshlrev_b32_e32 v6, 23, v5
	v_cvt_f16_f32_e32 v6, v6
	v_cmp_ne_u32_e32 vcc, s10, v5
	s_mov_b64 s[10:11], -1
	s_nop 0
	v_cndmask_b32_e32 v6, v7, v6, vcc
	v_cmp_ne_u32_e32 vcc, 0, v5
	s_nop 1
	v_cndmask_b32_e32 v5, 0, v6, vcc
	s_branch .LBB184_1387
.LBB184_1386:
	s_mov_b64 s[0:1], -1
                                        ; implicit-def: $vgpr5
.LBB184_1387:
	v_mov_b32_e32 v6, 0
.LBB184_1388:
	s_mov_b64 s[18:19], 0
.LBB184_1389:
	s_and_b64 vcc, exec, s[18:19]
	s_cbranch_vccz .LBB184_1394
; %bb.1390:
	s_cmp_eq_u32 s28, 29
	s_cbranch_scc0 .LBB184_1392
; %bb.1391:
	global_load_dwordx2 v[6:7], v[2:3], off
	s_mov_b64 s[0:1], 0
	s_mov_b64 s[10:11], -1
	s_waitcnt vmcnt(0)
	v_ffbh_u32_e32 v5, v7
	v_min_u32_e32 v5, 32, v5
	v_lshlrev_b64 v[6:7], v5, v[6:7]
	v_min_u32_e32 v6, 1, v6
	v_or_b32_e32 v6, v7, v6
	v_cvt_f32_u32_e32 v6, v6
	v_sub_u32_e32 v5, 32, v5
	v_ldexp_f32 v5, v6, v5
	v_cvt_f16_f32_e32 v5, v5
	s_branch .LBB184_1393
.LBB184_1392:
	s_mov_b64 s[0:1], -1
                                        ; implicit-def: $vgpr5
.LBB184_1393:
	v_mov_b32_e32 v6, 0
.LBB184_1394:
	s_mov_b64 s[18:19], 0
.LBB184_1395:
	s_and_b64 vcc, exec, s[18:19]
	s_cbranch_vccz .LBB184_1413
; %bb.1396:
	s_cmp_lt_i32 s28, 27
	s_cbranch_scc1 .LBB184_1399
; %bb.1397:
	s_cmp_gt_i32 s28, 27
	s_cbranch_scc0 .LBB184_1400
; %bb.1398:
	global_load_dword v5, v[2:3], off
	s_mov_b64 s[10:11], 0
	s_waitcnt vmcnt(0)
	v_cvt_f32_u32_e32 v5, v5
	v_cvt_f16_f32_e32 v5, v5
	s_branch .LBB184_1401
.LBB184_1399:
	s_mov_b64 s[10:11], -1
                                        ; implicit-def: $vgpr5
	s_branch .LBB184_1404
.LBB184_1400:
	s_mov_b64 s[10:11], -1
                                        ; implicit-def: $vgpr5
.LBB184_1401:
	s_andn2_b64 vcc, exec, s[10:11]
	s_cbranch_vccnz .LBB184_1403
; %bb.1402:
	global_load_ushort v5, v[2:3], off
	s_waitcnt vmcnt(0)
	v_cvt_f16_u16_e32 v5, v5
.LBB184_1403:
	s_mov_b64 s[10:11], 0
.LBB184_1404:
	s_andn2_b64 vcc, exec, s[10:11]
	s_cbranch_vccnz .LBB184_1412
; %bb.1405:
	global_load_ubyte v6, v[2:3], off
	s_movk_i32 s10, 0x7f
	s_waitcnt vmcnt(0)
	v_cmp_lt_i16_e32 vcc, s10, v6
	s_mov_b64 s[10:11], 0
	s_and_saveexec_b64 s[18:19], vcc
	s_xor_b64 s[18:19], exec, s[18:19]
	s_cbranch_execz .LBB184_1425
; %bb.1406:
	s_movk_i32 s10, 0x80
	v_cmp_eq_u16_e32 vcc, s10, v6
	s_mov_b64 s[10:11], -1
	s_and_saveexec_b64 s[20:21], vcc
; %bb.1407:
	s_xor_b64 s[10:11], exec, -1
; %bb.1408:
	s_or_b64 exec, exec, s[20:21]
	s_and_b64 s[10:11], s[10:11], exec
	s_or_saveexec_b64 s[18:19], s[18:19]
	v_mov_b32_e32 v5, 0x7e00
	s_xor_b64 exec, exec, s[18:19]
	s_cbranch_execnz .LBB184_1426
.LBB184_1409:
	s_or_b64 exec, exec, s[18:19]
	s_and_saveexec_b64 s[18:19], s[10:11]
	s_cbranch_execz .LBB184_1411
.LBB184_1410:
	v_lshlrev_b32_e32 v5, 24, v6
	v_and_b32_e32 v6, 0xffff, v6
	v_and_b32_e32 v7, 7, v6
	v_ffbh_u32_e32 v9, v7
	v_min_u32_e32 v9, 32, v9
	v_subrev_u32_e32 v11, 28, v9
	v_bfe_u32 v8, v6, 3, 4
	v_lshlrev_b32_e32 v6, v11, v6
	v_sub_u32_e32 v9, 29, v9
	v_and_b32_e32 v6, 7, v6
	v_cmp_eq_u32_e32 vcc, 0, v8
	v_and_b32_e32 v5, 0x80000000, v5
	s_nop 0
	v_cndmask_b32_e32 v8, v8, v9, vcc
	v_cndmask_b32_e32 v6, v7, v6, vcc
	v_mov_b32_e32 v7, 0x3b800000
	v_lshlrev_b32_e32 v6, 20, v6
	v_lshl_add_u32 v7, v8, 23, v7
	v_or3_b32 v5, v5, v7, v6
	v_cvt_f16_f32_e32 v5, v5
.LBB184_1411:
	s_or_b64 exec, exec, s[18:19]
.LBB184_1412:
	s_mov_b64 s[10:11], -1
	v_mov_b32_e32 v6, 0
.LBB184_1413:
	s_branch .LBB184_1447
.LBB184_1414:
	s_cmp_gt_i32 s28, 22
	s_cbranch_scc0 .LBB184_1424
; %bb.1415:
	s_cmp_lt_i32 s28, 24
	s_cbranch_scc1 .LBB184_1427
; %bb.1416:
	s_cmp_gt_i32 s28, 24
	s_cbranch_scc0 .LBB184_1428
; %bb.1417:
	global_load_ubyte v6, v[2:3], off
	s_movk_i32 s2, 0x7f
	s_waitcnt vmcnt(0)
	v_cmp_lt_i16_e32 vcc, s2, v6
	s_mov_b64 s[2:3], 0
	s_and_saveexec_b64 s[10:11], vcc
	s_xor_b64 s[10:11], exec, s[10:11]
	s_cbranch_execz .LBB184_1440
; %bb.1418:
	s_movk_i32 s2, 0x80
	v_cmp_eq_u16_e32 vcc, s2, v6
	s_mov_b64 s[2:3], -1
	s_and_saveexec_b64 s[18:19], vcc
; %bb.1419:
	s_xor_b64 s[2:3], exec, -1
; %bb.1420:
	s_or_b64 exec, exec, s[18:19]
	s_and_b64 s[2:3], s[2:3], exec
	s_or_saveexec_b64 s[10:11], s[10:11]
	v_mov_b32_e32 v5, 0x7e00
	s_xor_b64 exec, exec, s[10:11]
	s_cbranch_execnz .LBB184_1441
.LBB184_1421:
	s_or_b64 exec, exec, s[10:11]
	s_and_saveexec_b64 s[10:11], s[2:3]
	s_cbranch_execz .LBB184_1423
.LBB184_1422:
	v_lshlrev_b32_e32 v5, 24, v6
	v_and_b32_e32 v6, 0xffff, v6
	v_and_b32_e32 v7, 3, v6
	v_ffbh_u32_e32 v9, v7
	v_min_u32_e32 v9, 32, v9
	v_subrev_u32_e32 v11, 29, v9
	v_bfe_u32 v8, v6, 2, 5
	v_lshlrev_b32_e32 v6, v11, v6
	v_sub_u32_e32 v9, 30, v9
	v_and_b32_e32 v6, 3, v6
	v_cmp_eq_u32_e32 vcc, 0, v8
	v_and_b32_e32 v5, 0x80000000, v5
	s_nop 0
	v_cndmask_b32_e32 v8, v8, v9, vcc
	v_cndmask_b32_e32 v6, v7, v6, vcc
	v_mov_b32_e32 v7, 0x37800000
	v_lshlrev_b32_e32 v6, 21, v6
	v_lshl_add_u32 v7, v8, 23, v7
	v_or3_b32 v5, v5, v7, v6
	v_cvt_f16_f32_e32 v5, v5
.LBB184_1423:
	s_or_b64 exec, exec, s[10:11]
	s_mov_b64 s[2:3], 0
	s_branch .LBB184_1429
.LBB184_1424:
	s_mov_b64 s[2:3], -1
                                        ; implicit-def: $vgpr5
	s_branch .LBB184_1435
.LBB184_1425:
	s_or_saveexec_b64 s[18:19], s[18:19]
	v_mov_b32_e32 v5, 0x7e00
	s_xor_b64 exec, exec, s[18:19]
	s_cbranch_execz .LBB184_1409
.LBB184_1426:
	v_cmp_ne_u16_e32 vcc, 0, v6
	s_andn2_b64 s[10:11], s[10:11], exec
	s_and_b64 s[20:21], vcc, exec
	s_or_b64 s[10:11], s[10:11], s[20:21]
	v_mov_b32_e32 v5, v6
	s_or_b64 exec, exec, s[18:19]
	s_and_saveexec_b64 s[18:19], s[10:11]
	s_cbranch_execnz .LBB184_1410
	s_branch .LBB184_1411
.LBB184_1427:
	s_mov_b64 s[2:3], -1
                                        ; implicit-def: $vgpr5
	s_branch .LBB184_1432
.LBB184_1428:
	s_mov_b64 s[2:3], -1
                                        ; implicit-def: $vgpr5
.LBB184_1429:
	s_and_b64 vcc, exec, s[2:3]
	s_cbranch_vccz .LBB184_1431
; %bb.1430:
	global_load_ubyte v5, v[2:3], off
	s_mov_b32 s2, 0x7f800000
	s_waitcnt vmcnt(0)
	v_lshlrev_b32_e32 v5, 24, v5
	v_and_b32_e32 v6, 0x7f000000, v5
	v_ffbh_u32_e32 v7, v6
	v_min_u32_e32 v7, 32, v7
	v_sub_u32_e64 v7, v7, 4 clamp
	v_lshlrev_b32_e32 v9, v7, v6
	v_lshlrev_b32_e32 v7, 23, v7
	v_lshrrev_b32_e32 v9, 4, v9
	v_add_u32_e32 v8, 0x1000000, v6
	v_sub_u32_e32 v7, v9, v7
	v_ashrrev_i32_e32 v8, 8, v8
	v_add_u32_e32 v7, 0x3c000000, v7
	v_and_or_b32 v7, v8, s2, v7
	v_cmp_ne_u32_e32 vcc, 0, v6
	s_brev_b32 s2, 1
	s_nop 0
	v_cndmask_b32_e32 v6, 0, v7, vcc
	v_and_or_b32 v5, v5, s2, v6
	v_cvt_f16_f32_e32 v5, v5
.LBB184_1431:
	s_mov_b64 s[2:3], 0
.LBB184_1432:
	s_andn2_b64 vcc, exec, s[2:3]
	s_cbranch_vccnz .LBB184_1434
; %bb.1433:
	global_load_ubyte v5, v[2:3], off
	s_movk_i32 s2, 0x7f00
	s_brev_b32 s3, 16
	s_waitcnt vmcnt(0)
	v_lshlrev_b16_e32 v6, 8, v5
	v_lshlrev_b32_e32 v5, 25, v5
	v_lshrrev_b32_e32 v7, 4, v5
	v_and_or_b32 v8, v6, s2, 0.5
	v_or_b32_e32 v7, 0x70000000, v7
	v_add_f32_e32 v8, -0.5, v8
	v_mul_f32_e32 v7, 0x7800000, v7
	v_cmp_gt_u32_e32 vcc, s3, v5
	v_bfe_i32 v6, v6, 0, 16
	s_brev_b32 s2, 1
	v_cndmask_b32_e32 v5, v7, v8, vcc
	v_and_or_b32 v5, v6, s2, v5
	v_cvt_f16_f32_e32 v5, v5
.LBB184_1434:
	s_mov_b64 s[2:3], 0
	s_mov_b64 s[10:11], -1
.LBB184_1435:
	s_andn2_b64 vcc, exec, s[2:3]
	s_mov_b64 s[2:3], 0
	s_cbranch_vccnz .LBB184_1446
; %bb.1436:
	s_cmp_gt_i32 s28, 14
	s_cbranch_scc0 .LBB184_1439
; %bb.1437:
	s_cmp_eq_u32 s28, 15
	s_cbranch_scc0 .LBB184_1442
; %bb.1438:
	global_load_ushort v5, v[2:3], off
	s_mov_b64 s[0:1], 0
	s_mov_b64 s[10:11], -1
	s_waitcnt vmcnt(0)
	v_lshlrev_b32_e32 v5, 16, v5
	v_cvt_f16_f32_e32 v5, v5
	s_branch .LBB184_1443
.LBB184_1439:
	s_mov_b64 s[18:19], -1
                                        ; implicit-def: $vgpr5
	s_branch .LBB184_1444
.LBB184_1440:
	s_or_saveexec_b64 s[10:11], s[10:11]
	v_mov_b32_e32 v5, 0x7e00
	s_xor_b64 exec, exec, s[10:11]
	s_cbranch_execz .LBB184_1421
.LBB184_1441:
	v_cmp_ne_u16_e32 vcc, 0, v6
	s_andn2_b64 s[2:3], s[2:3], exec
	s_and_b64 s[18:19], vcc, exec
	s_or_b64 s[2:3], s[2:3], s[18:19]
	v_mov_b32_e32 v5, v6
	s_or_b64 exec, exec, s[10:11]
	s_and_saveexec_b64 s[10:11], s[2:3]
	s_cbranch_execnz .LBB184_1422
	s_branch .LBB184_1423
.LBB184_1442:
	s_mov_b64 s[0:1], -1
                                        ; implicit-def: $vgpr5
.LBB184_1443:
	s_mov_b64 s[18:19], 0
.LBB184_1444:
	s_and_b64 vcc, exec, s[18:19]
	s_cbranch_vccz .LBB184_1446
; %bb.1445:
	s_cmp_lg_u32 s28, 11
	s_mov_b64 s[2:3], -1
	s_cselect_b64 s[0:1], -1, 0
.LBB184_1446:
	v_mov_b32_e32 v6, 0
.LBB184_1447:
	s_and_b64 vcc, exec, s[0:1]
	s_cbranch_vccnz .LBB184_1562
; %bb.1448:
	s_andn2_b64 vcc, exec, s[2:3]
	s_cbranch_vccnz .LBB184_1450
.LBB184_1449:
	global_load_ubyte v5, v[2:3], off
	v_mov_b32_e32 v7, 0x3c00
	v_mov_b32_e32 v6, 0
	s_mov_b64 s[10:11], -1
	s_waitcnt vmcnt(0)
	v_cmp_ne_u16_e32 vcc, 0, v5
	s_nop 1
	v_cndmask_b32_e32 v5, 0, v7, vcc
.LBB184_1450:
	s_branch .LBB184_1374
.LBB184_1451:
	s_cmp_lt_i32 s28, 5
	s_cbranch_scc1 .LBB184_1456
; %bb.1452:
	s_cmp_lt_i32 s28, 8
	s_cbranch_scc1 .LBB184_1458
; %bb.1453:
	s_cmp_lt_i32 s28, 9
	s_cbranch_scc1 .LBB184_1459
; %bb.1454:
	s_cmp_gt_i32 s28, 9
	s_cbranch_scc0 .LBB184_1460
; %bb.1455:
	global_load_dwordx4 v[6:9], v[2:3], off
	s_movk_i32 s0, 0x1ff
	s_movk_i32 s1, 0xffe
	v_mov_b32_e32 v5, 0x7c00
	v_mov_b32_e32 v11, 0x7e00
	s_movk_i32 s2, 0x40f
	s_mov_b32 s3, 0x8000
	s_waitcnt vmcnt(0)
	v_and_or_b32 v6, v7, s0, v6
	v_and_or_b32 v8, v9, s0, v8
	v_cmp_ne_u32_e32 vcc, 0, v6
	v_lshrrev_b32_e32 v12, 8, v7
	v_bfe_u32 v13, v7, 20, 11
	v_cndmask_b32_e64 v6, 0, 1, vcc
	v_cmp_ne_u32_e32 vcc, 0, v8
	v_lshrrev_b32_e32 v14, 8, v9
	v_bfe_u32 v15, v9, 20, 11
	v_cndmask_b32_e64 v8, 0, 1, vcc
	v_and_or_b32 v6, v12, s1, v6
	v_sub_u32_e32 v16, 0x3f1, v13
	v_add_u32_e32 v13, 0xfffffc10, v13
	v_sub_u32_e32 v17, 0x3f1, v15
	v_and_or_b32 v8, v14, s1, v8
	v_cmp_ne_u32_e32 vcc, 0, v6
	v_add_u32_e32 v15, 0xfffffc10, v15
	v_med3_i32 v12, v16, 0, 13
	v_med3_i32 v14, v17, 0, 13
	v_or_b32_e32 v16, 0x1000, v6
	v_lshl_or_b32 v17, v13, 12, v6
	v_cndmask_b32_e32 v6, v5, v11, vcc
	v_cmp_ne_u32_e32 vcc, 0, v8
	v_or_b32_e32 v18, 0x1000, v8
	v_lshl_or_b32 v19, v15, 12, v8
	v_cndmask_b32_e32 v8, v5, v11, vcc
	v_lshrrev_b32_e32 v11, v12, v16
	v_lshrrev_b32_e32 v20, v14, v18
	v_lshlrev_b32_e32 v12, v12, v11
	v_lshlrev_b32_e32 v14, v14, v20
	v_cmp_ne_u32_e32 vcc, v12, v16
	v_lshrrev_b32_e32 v7, 16, v7
	v_lshrrev_b32_e32 v9, 16, v9
	v_cndmask_b32_e64 v12, 0, 1, vcc
	v_cmp_ne_u32_e32 vcc, v14, v18
	v_or_b32_e32 v11, v11, v12
	s_mov_b64 s[0:1], 0
	v_cndmask_b32_e64 v14, 0, 1, vcc
	v_cmp_gt_i32_e32 vcc, 1, v13
	v_or_b32_e32 v12, v20, v14
	s_nop 0
	v_cndmask_b32_e32 v11, v17, v11, vcc
	v_cmp_gt_i32_e32 vcc, 1, v15
	v_and_b32_e32 v14, 7, v11
	v_lshrrev_b32_e32 v11, 2, v11
	v_cndmask_b32_e32 v12, v19, v12, vcc
	v_cmp_lt_i32_e32 vcc, 5, v14
	v_and_b32_e32 v16, 7, v12
	v_lshrrev_b32_e32 v12, 2, v12
	v_cndmask_b32_e64 v17, 0, 1, vcc
	v_cmp_eq_u32_e32 vcc, 3, v14
	s_nop 1
	v_cndmask_b32_e64 v14, 0, 1, vcc
	v_cmp_lt_i32_e32 vcc, 5, v16
	v_or_b32_e32 v14, v14, v17
	v_add_u32_e32 v11, v11, v14
	v_cndmask_b32_e64 v18, 0, 1, vcc
	v_cmp_eq_u32_e32 vcc, 3, v16
	s_nop 1
	v_cndmask_b32_e64 v16, 0, 1, vcc
	v_or_b32_e32 v16, v16, v18
	v_cmp_gt_i32_e32 vcc, 31, v13
	v_add_u32_e32 v12, v12, v16
	s_nop 0
	v_cndmask_b32_e32 v11, v5, v11, vcc
	v_cmp_gt_i32_e32 vcc, 31, v15
	s_nop 1
	v_cndmask_b32_e32 v5, v5, v12, vcc
	v_cmp_eq_u32_e32 vcc, s2, v13
	s_nop 1
	v_cndmask_b32_e32 v6, v11, v6, vcc
	v_cmp_eq_u32_e32 vcc, s2, v15
	s_nop 1
	v_cndmask_b32_e32 v8, v5, v8, vcc
	v_and_or_b32 v5, v7, s3, v6
	v_and_or_b32 v6, v9, s3, v8
	s_branch .LBB184_1461
.LBB184_1456:
                                        ; implicit-def: $vgpr6
                                        ; implicit-def: $vgpr5
	s_branch .LBB184_1480
.LBB184_1457:
	s_branch .LBB184_1500
.LBB184_1458:
	s_mov_b64 s[0:1], -1
                                        ; implicit-def: $vgpr6
                                        ; implicit-def: $vgpr5
	s_branch .LBB184_1467
.LBB184_1459:
	s_mov_b64 s[0:1], -1
                                        ; implicit-def: $vgpr6
                                        ; implicit-def: $vgpr5
	s_branch .LBB184_1464
.LBB184_1460:
	s_mov_b64 s[0:1], -1
                                        ; implicit-def: $vgpr6
                                        ; implicit-def: $vgpr5
.LBB184_1461:
	s_andn2_b64 vcc, exec, s[0:1]
	s_cbranch_vccnz .LBB184_1463
; %bb.1462:
	global_load_dwordx2 v[6:7], v[2:3], off
	s_waitcnt vmcnt(0)
	v_cvt_f16_f32_e32 v5, v6
	v_cvt_f16_f32_e32 v6, v7
.LBB184_1463:
	s_mov_b64 s[0:1], 0
.LBB184_1464:
	s_andn2_b64 vcc, exec, s[0:1]
	s_cbranch_vccnz .LBB184_1466
; %bb.1465:
	global_load_dword v5, v[2:3], off
	s_waitcnt vmcnt(0)
	v_lshrrev_b32_e32 v6, 16, v5
.LBB184_1466:
	s_mov_b64 s[0:1], 0
.LBB184_1467:
	s_andn2_b64 vcc, exec, s[0:1]
	s_cbranch_vccnz .LBB184_1479
; %bb.1468:
	s_cmp_lt_i32 s28, 6
	s_cbranch_scc1 .LBB184_1471
; %bb.1469:
	s_cmp_gt_i32 s28, 6
	s_cbranch_scc0 .LBB184_1472
; %bb.1470:
	global_load_dwordx2 v[6:7], v[2:3], off
	s_movk_i32 s0, 0x1ff
	s_movk_i32 s1, 0xffe
	v_mov_b32_e32 v5, 0x7c00
	v_mov_b32_e32 v8, 0x7e00
	s_movk_i32 s2, 0x40f
	s_mov_b32 s3, 0x8000
	s_waitcnt vmcnt(0)
	v_and_or_b32 v6, v7, s0, v6
	v_cmp_ne_u32_e32 vcc, 0, v6
	v_lshrrev_b32_e32 v9, 8, v7
	v_bfe_u32 v11, v7, 20, 11
	v_cndmask_b32_e64 v6, 0, 1, vcc
	v_sub_u32_e32 v12, 0x3f1, v11
	v_and_or_b32 v6, v9, s1, v6
	v_add_u32_e32 v11, 0xfffffc10, v11
	v_med3_i32 v9, v12, 0, 13
	v_or_b32_e32 v12, 0x1000, v6
	v_cmp_ne_u32_e32 vcc, 0, v6
	v_lshl_or_b32 v13, v11, 12, v6
	v_lshrrev_b32_e32 v7, 16, v7
	v_cndmask_b32_e32 v6, v5, v8, vcc
	v_lshrrev_b32_e32 v8, v9, v12
	v_lshlrev_b32_e32 v9, v9, v8
	v_cmp_ne_u32_e32 vcc, v9, v12
	s_mov_b64 s[0:1], 0
	s_nop 0
	v_cndmask_b32_e64 v9, 0, 1, vcc
	v_or_b32_e32 v8, v8, v9
	v_cmp_gt_i32_e32 vcc, 1, v11
	s_nop 1
	v_cndmask_b32_e32 v8, v13, v8, vcc
	v_and_b32_e32 v9, 7, v8
	v_cmp_lt_i32_e32 vcc, 5, v9
	v_lshrrev_b32_e32 v8, 2, v8
	s_nop 0
	v_cndmask_b32_e64 v12, 0, 1, vcc
	v_cmp_eq_u32_e32 vcc, 3, v9
	s_nop 1
	v_cndmask_b32_e64 v9, 0, 1, vcc
	v_or_b32_e32 v9, v9, v12
	v_add_u32_e32 v8, v8, v9
	v_cmp_gt_i32_e32 vcc, 31, v11
	s_nop 1
	v_cndmask_b32_e32 v5, v5, v8, vcc
	v_cmp_eq_u32_e32 vcc, s2, v11
	s_nop 1
	v_cndmask_b32_e32 v5, v5, v6, vcc
	v_and_or_b32 v5, v7, s3, v5
	s_branch .LBB184_1473
.LBB184_1471:
	s_mov_b64 s[0:1], -1
                                        ; implicit-def: $vgpr5
	s_branch .LBB184_1476
.LBB184_1472:
	s_mov_b64 s[0:1], -1
                                        ; implicit-def: $vgpr5
.LBB184_1473:
	s_andn2_b64 vcc, exec, s[0:1]
	s_cbranch_vccnz .LBB184_1475
; %bb.1474:
	global_load_dword v5, v[2:3], off
	s_waitcnt vmcnt(0)
	v_cvt_f16_f32_e32 v5, v5
.LBB184_1475:
	s_mov_b64 s[0:1], 0
.LBB184_1476:
	s_andn2_b64 vcc, exec, s[0:1]
	s_cbranch_vccnz .LBB184_1478
; %bb.1477:
	global_load_ushort v5, v[2:3], off
.LBB184_1478:
	v_mov_b32_e32 v6, 0
.LBB184_1479:
	s_cbranch_execnz .LBB184_1457
.LBB184_1480:
	s_cmp_lt_i32 s28, 2
	s_cbranch_scc1 .LBB184_1484
; %bb.1481:
	s_cmp_lt_i32 s28, 3
	s_cbranch_scc1 .LBB184_1485
; %bb.1482:
	s_cmp_gt_i32 s28, 3
	s_cbranch_scc0 .LBB184_1486
; %bb.1483:
	global_load_dwordx2 v[6:7], v[2:3], off
	s_mov_b64 s[0:1], 0
	s_waitcnt vmcnt(0)
	v_xor_b32_e32 v8, v6, v7
	v_ffbh_i32_e32 v5, v7
	v_ashrrev_i32_e32 v8, 31, v8
	v_add_u32_e32 v5, -1, v5
	v_add_u32_e32 v8, 32, v8
	v_min_u32_e32 v5, v5, v8
	v_lshlrev_b64 v[6:7], v5, v[6:7]
	v_min_u32_e32 v6, 1, v6
	v_or_b32_e32 v6, v7, v6
	v_cvt_f32_i32_e32 v6, v6
	v_sub_u32_e32 v5, 32, v5
	v_ldexp_f32 v5, v6, v5
	v_cvt_f16_f32_e32 v5, v5
	s_branch .LBB184_1487
.LBB184_1484:
	s_mov_b64 s[0:1], -1
                                        ; implicit-def: $vgpr5
	s_branch .LBB184_1493
.LBB184_1485:
	s_mov_b64 s[0:1], -1
                                        ; implicit-def: $vgpr5
	s_branch .LBB184_1490
.LBB184_1486:
	s_mov_b64 s[0:1], -1
                                        ; implicit-def: $vgpr5
.LBB184_1487:
	s_andn2_b64 vcc, exec, s[0:1]
	s_cbranch_vccnz .LBB184_1489
; %bb.1488:
	global_load_dword v5, v[2:3], off
	s_waitcnt vmcnt(0)
	v_cvt_f32_i32_e32 v5, v5
	v_cvt_f16_f32_e32 v5, v5
.LBB184_1489:
	s_mov_b64 s[0:1], 0
.LBB184_1490:
	s_andn2_b64 vcc, exec, s[0:1]
	s_cbranch_vccnz .LBB184_1492
; %bb.1491:
	global_load_ushort v5, v[2:3], off
	s_waitcnt vmcnt(0)
	v_cvt_f16_i16_e32 v5, v5
.LBB184_1492:
	s_mov_b64 s[0:1], 0
.LBB184_1493:
	s_andn2_b64 vcc, exec, s[0:1]
	s_cbranch_vccnz .LBB184_1499
; %bb.1494:
	s_cmp_gt_i32 s28, 0
	s_cbranch_scc0 .LBB184_1496
; %bb.1495:
	global_load_sbyte v5, v[2:3], off
	s_mov_b64 s[0:1], 0
	s_waitcnt vmcnt(0)
	v_cvt_f16_i16_e32 v5, v5
	s_branch .LBB184_1497
.LBB184_1496:
	s_mov_b64 s[0:1], -1
                                        ; implicit-def: $vgpr5
.LBB184_1497:
	s_andn2_b64 vcc, exec, s[0:1]
	s_cbranch_vccnz .LBB184_1499
; %bb.1498:
	global_load_ubyte v2, v[2:3], off
	s_waitcnt vmcnt(0)
	v_cvt_f16_u16_e32 v5, v2
.LBB184_1499:
	v_mov_b32_e32 v6, 0
.LBB184_1500:
	v_cvt_f32_f16_e32 v7, v6
	s_waitcnt vmcnt(0)
	v_cmp_neq_f16_e32 vcc, 0, v5
	v_cmp_neq_f16_e64 s[0:1], 0, v6
	s_or_b64 s[0:1], vcc, s[0:1]
	v_mov_b32_e32 v6, 0
	s_and_saveexec_b64 s[10:11], s[0:1]
	s_cbranch_execz .LBB184_1530
; %bb.1501:
	v_mov_b32_e32 v6, 0x7f800000
	v_cmp_neq_f32_e64 s[0:1], |v7|, v6
	s_and_saveexec_b64 s[18:19], s[0:1]
	s_cbranch_execz .LBB184_1529
; %bb.1502:
	v_cvt_f32_f16_e32 v8, v5
	v_cmp_o_f16_e32 vcc, v5, v5
	s_and_saveexec_b64 s[0:1], vcc
	s_xor_b64 s[20:21], exec, s[0:1]
	s_cbranch_execz .LBB184_1526
; %bb.1503:
	s_mov_b32 s0, 0x7f800000
	v_cmp_neq_f32_e64 s[0:1], |v8|, s0
	s_and_saveexec_b64 s[2:3], s[0:1]
	s_xor_b64 s[22:23], exec, s[2:3]
	s_cbranch_execz .LBB184_1519
; %bb.1504:
	v_max_f32_e64 v2, |v7|, |v7|
	v_max_f32_e64 v3, |v8|, |v8|
	v_max_f32_e32 v2, v3, v2
	s_mov_b32 s0, 0x7ed413cb
	v_cmp_nle_f32_e64 s[0:1], s0, v2
                                        ; implicit-def: $sgpr24_sgpr25
	s_and_saveexec_b64 s[2:3], s[0:1]
	s_xor_b64 s[2:3], exec, s[2:3]
	s_cbranch_execz .LBB184_1508
; %bb.1505:
	s_mov_b32 s26, 0x1000000
	v_cmp_le_f32_e64 s[24:25], |v8|, s26
	v_cmp_le_f32_e64 s[26:27], |v7|, s26
	s_and_b64 s[30:31], s[24:25], s[26:27]
	s_mov_b64 s[24:25], 0
	s_and_saveexec_b64 s[26:27], s[30:31]
; %bb.1506:
	s_mov_b64 s[24:25], exec
	v_mul_f32_e32 v7, 4.0, v7
	v_mul_f32_e32 v8, 4.0, v8
; %bb.1507:
	s_or_b64 exec, exec, s[26:27]
.LBB184_1508:
	s_andn2_saveexec_b64 s[2:3], s[2:3]
; %bb.1509:
	v_mul_f32_e32 v8, 0x3e800000, v8
	v_mul_f32_e32 v7, 0x3e800000, v7
	s_andn2_b64 s[24:25], s[24:25], exec
; %bb.1510:
	s_or_b64 exec, exec, s[2:3]
	v_max_f32_e64 v2, |v7|, |v7|
	v_max_f32_e64 v3, |v8|, |v8|
	v_max_f32_e32 v5, v3, v2
	v_cvt_f64_f32_e32 v[2:3], v5
	v_frexp_exp_i32_f64_e32 v2, v[2:3]
	v_sub_u32_e32 v3, 0, v2
	v_ldexp_f32 v6, |v8|, v3
	v_ldexp_f32 v3, |v7|, v3
	v_mul_f32_e32 v3, v3, v3
	v_fmac_f32_e32 v3, v6, v6
	v_sqrt_f32_e32 v3, v3
	s_mov_b32 s2, 0x7f800000
	v_cmp_neq_f32_e64 s[2:3], s2, v5
	v_cmp_le_f32_e32 vcc, 0, v8
	v_ldexp_f32 v2, v3, v2
	v_mov_b32_e32 v3, 0x7f800000
	v_cndmask_b32_e64 v5, v3, v2, s[2:3]
                                        ; implicit-def: $vgpr2_vgpr3
	s_and_saveexec_b64 s[2:3], vcc
	s_xor_b64 s[26:27], exec, s[2:3]
	s_cbranch_execz .LBB184_1512
; %bb.1511:
	v_add_f32_e32 v2, v8, v5
	v_mul_f32_e32 v2, 0.5, v2
	s_mov_b32 s2, 0xf800000
	v_mul_f32_e32 v3, 0x4f800000, v2
	v_cmp_gt_f32_e32 vcc, s2, v2
	s_nop 1
	v_cndmask_b32_e32 v2, v2, v3, vcc
	v_sqrt_f32_e32 v3, v2
	s_nop 0
	v_add_u32_e32 v5, -1, v3
	v_fma_f32 v6, -v5, v3, v2
	v_cmp_ge_f32_e64 s[2:3], 0, v6
	v_add_u32_e32 v6, 1, v3
	s_nop 0
	v_cndmask_b32_e64 v5, v3, v5, s[2:3]
	v_fma_f32 v3, -v6, v3, v2
	v_cmp_lt_f32_e64 s[2:3], 0, v3
	s_nop 1
	v_cndmask_b32_e64 v3, v5, v6, s[2:3]
	v_mul_f32_e32 v5, 0x37800000, v3
	v_cndmask_b32_e32 v3, v3, v5, vcc
	v_mov_b32_e32 v5, 0x260
	v_cmp_class_f32_e32 vcc, v2, v5
	s_nop 1
	v_cndmask_b32_e32 v2, v3, v2, vcc
	v_add_f32_e32 v3, v2, v2
	v_div_scale_f32 v5, s[2:3], v3, v3, v7
	v_rcp_f32_e32 v6, v5
	s_nop 0
	v_fma_f32 v8, -v5, v6, 1.0
	v_fmac_f32_e32 v6, v8, v6
	v_div_scale_f32 v8, vcc, v7, v3, v7
	v_mul_f32_e32 v9, v8, v6
	v_fma_f32 v11, -v5, v9, v8
	v_fmac_f32_e32 v9, v11, v6
	v_fma_f32 v5, -v5, v9, v8
	v_div_fmas_f32 v5, v5, v6, v9
	v_div_fixup_f32 v3, v5, v3, v7
                                        ; implicit-def: $vgpr5
                                        ; implicit-def: $vgpr8
                                        ; implicit-def: $vgpr7
	s_andn2_saveexec_b64 s[26:27], s[26:27]
	s_cbranch_execz .LBB184_1514
	s_branch .LBB184_1513
.LBB184_1512:
	s_andn2_saveexec_b64 s[26:27], s[26:27]
	s_cbranch_execz .LBB184_1514
.LBB184_1513:
	v_sub_f32_e32 v2, v5, v8
	v_mul_f32_e32 v2, 0.5, v2
	s_mov_b32 s2, 0xf800000
	v_mul_f32_e32 v3, 0x4f800000, v2
	v_cmp_gt_f32_e32 vcc, s2, v2
	s_nop 1
	v_cndmask_b32_e32 v2, v2, v3, vcc
	v_sqrt_f32_e32 v3, v2
	s_nop 0
	v_add_u32_e32 v5, -1, v3
	v_fma_f32 v6, -v5, v3, v2
	v_cmp_ge_f32_e64 s[2:3], 0, v6
	v_add_u32_e32 v6, 1, v3
	s_nop 0
	v_cndmask_b32_e64 v5, v3, v5, s[2:3]
	v_fma_f32 v3, -v6, v3, v2
	v_cmp_lt_f32_e64 s[2:3], 0, v3
	s_nop 1
	v_cndmask_b32_e64 v3, v5, v6, s[2:3]
	v_mul_f32_e32 v5, 0x37800000, v3
	v_cndmask_b32_e32 v3, v3, v5, vcc
	v_mov_b32_e32 v5, 0x260
	v_cmp_class_f32_e32 vcc, v2, v5
	v_and_b32_e32 v5, 0x7fffffff, v7
	s_nop 0
	v_cndmask_b32_e32 v3, v3, v2, vcc
	v_add_f32_e32 v2, v3, v3
	v_div_scale_f32 v6, s[2:3], v2, v2, v5
	v_rcp_f32_e32 v8, v6
	v_div_scale_f32 v5, vcc, v5, v2, v5
	s_brev_b32 s2, -2
	v_fma_f32 v9, -v6, v8, 1.0
	v_fmac_f32_e32 v8, v9, v8
	v_mul_f32_e32 v9, v5, v8
	v_fma_f32 v11, -v6, v9, v5
	v_fmac_f32_e32 v9, v11, v8
	v_fma_f32 v5, -v6, v9, v5
	v_div_fmas_f32 v5, v5, v8, v9
	v_div_fixup_f32 v2, v5, v2, |v7|
	v_bfi_b32 v3, s2, v3, v7
.LBB184_1514:
	s_or_b64 exec, exec, s[26:27]
                                        ; implicit-def: $vgpr7
	s_and_saveexec_b64 s[2:3], s[0:1]
	s_xor_b64 s[0:1], exec, s[2:3]
	s_cbranch_execz .LBB184_1516
; %bb.1515:
	v_pk_mul_f32 v[6:7], v[2:3], 0.5 op_sel_hi:[1,0]
	s_nop 0
	v_cndmask_b32_e64 v6, v2, v6, s[24:25]
	v_cndmask_b32_e64 v7, v3, v7, s[24:25]
                                        ; implicit-def: $vgpr2_vgpr3
	s_andn2_saveexec_b64 s[0:1], s[0:1]
	s_cbranch_execnz .LBB184_1517
	s_branch .LBB184_1518
.LBB184_1516:
	s_andn2_saveexec_b64 s[0:1], s[0:1]
.LBB184_1517:
	v_pk_add_f32 v[6:7], v[2:3], v[2:3]
.LBB184_1518:
	s_or_b64 exec, exec, s[0:1]
                                        ; implicit-def: $vgpr8
                                        ; implicit-def: $vgpr5
.LBB184_1519:
	s_andn2_saveexec_b64 s[0:1], s[22:23]
	s_cbranch_execz .LBB184_1525
; %bb.1520:
	v_sub_f32_e32 v2, v7, v7
	v_cmp_lt_i16_e32 vcc, -1, v5
	s_brev_b32 s22, -2
	v_and_b32_e32 v6, 0x7fffffff, v2
	s_and_saveexec_b64 s[2:3], vcc
	s_xor_b64 s[2:3], exec, s[2:3]
; %bb.1521:
	v_bfi_b32 v7, s22, v2, v7
	v_mov_b32_e32 v6, v8
; %bb.1522:
	s_andn2_saveexec_b64 s[2:3], s[2:3]
; %bb.1523:
	v_bfi_b32 v7, s22, v8, v7
; %bb.1524:
	s_or_b64 exec, exec, s[2:3]
.LBB184_1525:
	s_or_b64 exec, exec, s[0:1]
                                        ; implicit-def: $vgpr8
.LBB184_1526:
	s_andn2_saveexec_b64 s[0:1], s[20:21]
	s_cbranch_execz .LBB184_1528
; %bb.1527:
	v_sub_f32_e32 v2, v7, v7
	v_div_scale_f32 v3, vcc, v2, v2, v2
	v_rcp_f32_e32 v5, v3
	s_nop 0
	v_fma_f32 v6, -v3, v5, 1.0
	v_fmac_f32_e32 v5, v6, v5
	v_mul_f32_e32 v6, v3, v5
	v_fma_f32 v7, -v3, v6, v3
	v_fmac_f32_e32 v6, v7, v5
	v_fma_f32 v3, -v3, v6, v3
	v_div_fmas_f32 v3, v3, v5, v6
	v_div_fixup_f32 v7, v3, v2, v2
	v_mov_b32_e32 v6, v8
.LBB184_1528:
	s_or_b64 exec, exec, s[0:1]
.LBB184_1529:
	s_or_b64 exec, exec, s[18:19]
.LBB184_1530:
	s_or_b64 exec, exec, s[10:11]
	v_cmp_gt_f32_e32 vcc, 0, v7
                                        ; implicit-def: $vgpr2_vgpr3
	s_nop 1
	v_cndmask_b32_e64 v8, v7, -v7, vcc
	v_cmp_gt_f32_e32 vcc, 0, v6
	s_nop 1
	v_cndmask_b32_e64 v5, v6, -v6, vcc
	v_cmp_ge_f32_e32 vcc, v5, v8
	s_and_saveexec_b64 s[0:1], vcc
	s_xor_b64 s[2:3], exec, s[0:1]
	s_cbranch_execz .LBB184_1536
; %bb.1531:
	v_cmp_neq_f32_e32 vcc, 0, v6
	v_cmp_neq_f32_e64 s[0:1], 0, v7
	s_or_b64 s[0:1], vcc, s[0:1]
                                        ; implicit-def: $vgpr2_vgpr3
	s_and_saveexec_b64 s[10:11], s[0:1]
	s_xor_b64 s[0:1], exec, s[10:11]
	s_cbranch_execz .LBB184_1533
; %bb.1532:
	v_div_scale_f32 v2, s[10:11], v6, v6, v7
	v_rcp_f32_e32 v3, v2
	v_div_scale_f32 v5, vcc, v7, v6, v7
	v_fma_f32 v8, -v2, v3, 1.0
	v_fmac_f32_e32 v3, v8, v3
	v_mul_f32_e32 v8, v5, v3
	v_fma_f32 v9, -v2, v8, v5
	v_fmac_f32_e32 v8, v9, v3
	v_fma_f32 v2, -v2, v8, v5
	v_div_fmas_f32 v2, v2, v3, v8
	v_div_fixup_f32 v3, v2, v6, v7
	v_fmac_f32_e32 v6, v7, v3
	v_div_scale_f32 v2, s[10:11], v6, v6, 1.0
	v_rcp_f32_e32 v5, v2
	s_nop 0
	v_fma_f32 v7, -v2, v5, 1.0
	v_fmac_f32_e32 v5, v7, v5
	v_div_scale_f32 v7, vcc, 1.0, v6, 1.0
	v_mul_f32_e32 v8, v7, v5
	v_fma_f32 v9, -v2, v8, v7
	v_fmac_f32_e32 v8, v9, v5
	v_fma_f32 v2, -v2, v8, v7
	v_div_fmas_f32 v2, v2, v5, v8
	v_mul_f32_e32 v5, 0, v3
	v_div_fixup_f32 v2, v2, v6, 1.0
	v_add_f32_e32 v6, 1.0, v5
	v_sub_f32_e32 v7, 0, v3
	v_pk_mul_f32 v[2:3], v[6:7], v[2:3] op_sel_hi:[1,0]
                                        ; implicit-def: $vgpr8
                                        ; implicit-def: $vgpr5
.LBB184_1533:
	s_andn2_saveexec_b64 s[0:1], s[0:1]
	s_cbranch_execz .LBB184_1535
; %bb.1534:
	v_div_scale_f32 v2, s[10:11], v8, v8, 0
	v_rcp_f32_e32 v3, v2
	v_div_scale_f32 v6, vcc, 0, v8, 0
	v_fma_f32 v7, -v2, v3, 1.0
	v_fmac_f32_e32 v3, v7, v3
	v_mul_f32_e32 v7, v6, v3
	v_fma_f32 v9, -v2, v7, v6
	v_fmac_f32_e32 v7, v9, v3
	v_fma_f32 v2, -v2, v7, v6
	v_div_scale_f32 v6, s[10:11], v5, v5, 1.0
	v_rcp_f32_e32 v9, v6
	v_div_fmas_f32 v2, v2, v3, v7
	v_div_fixup_f32 v3, v2, v8, 0
	v_fma_f32 v2, -v6, v9, 1.0
	v_fmac_f32_e32 v9, v2, v9
	v_div_scale_f32 v2, vcc, 1.0, v5, 1.0
	v_mul_f32_e32 v7, v2, v9
	v_fma_f32 v8, -v6, v7, v2
	v_fmac_f32_e32 v7, v8, v9
	v_fma_f32 v2, -v6, v7, v2
	v_div_fmas_f32 v2, v2, v9, v7
	v_div_fixup_f32 v2, v2, v5, 1.0
.LBB184_1535:
	s_or_b64 exec, exec, s[0:1]
                                        ; implicit-def: $vgpr7
.LBB184_1536:
	s_andn2_saveexec_b64 s[0:1], s[2:3]
	s_cbranch_execz .LBB184_1538
; %bb.1537:
	v_div_scale_f32 v2, s[2:3], v7, v7, v6
	v_rcp_f32_e32 v3, v2
	v_div_scale_f32 v5, vcc, v6, v7, v6
	v_fma_f32 v8, -v2, v3, 1.0
	v_fmac_f32_e32 v3, v8, v3
	v_mul_f32_e32 v8, v5, v3
	v_fma_f32 v9, -v2, v8, v5
	v_fmac_f32_e32 v8, v9, v3
	v_fma_f32 v2, -v2, v8, v5
	v_div_fmas_f32 v2, v2, v3, v8
	v_div_fixup_f32 v2, v2, v7, v6
	v_fmac_f32_e32 v7, v6, v2
	v_div_scale_f32 v3, s[2:3], v7, v7, 1.0
	v_rcp_f32_e32 v5, v3
	s_mov_b32 s2, 0
	s_mov_b32 s3, -1.0
	v_fma_f32 v6, -v3, v5, 1.0
	v_fmac_f32_e32 v5, v6, v5
	v_div_scale_f32 v6, vcc, 1.0, v7, 1.0
	v_mul_f32_e32 v8, v6, v5
	v_fma_f32 v9, -v3, v8, v6
	v_fmac_f32_e32 v8, v9, v5
	v_fma_f32 v3, -v3, v8, v6
	v_div_fmas_f32 v3, v3, v5, v8
	v_div_fixup_f32 v6, v3, v7, 1.0
	v_mul_f32_e32 v3, 0, v2
	v_pk_add_f32 v[2:3], v[2:3], s[2:3]
	s_nop 0
	v_pk_mul_f32 v[2:3], v[2:3], v[6:7] op_sel_hi:[1,0]
.LBB184_1538:
	s_or_b64 exec, exec, s[0:1]
	v_add_u32_e32 v6, s9, v4
	v_ashrrev_i32_e32 v7, 31, v6
	s_cmp_lt_i32 s28, 11
	v_lshl_add_u64 v[4:5], s[6:7], 0, v[6:7]
	s_cbranch_scc1 .LBB184_1545
; %bb.1539:
	s_cmp_gt_i32 s28, 25
	s_mov_b64 s[2:3], 0
	s_cbranch_scc0 .LBB184_1547
; %bb.1540:
	s_cmp_gt_i32 s28, 28
	s_cbranch_scc0 .LBB184_1558
; %bb.1541:
	s_cmp_gt_i32 s28, 43
	;; [unrolled: 3-line block ×3, first 2 shown]
	s_cbranch_scc0 .LBB184_1563
; %bb.1543:
	s_cmp_eq_u32 s28, 46
	s_mov_b64 s[18:19], 0
	s_cbranch_scc0 .LBB184_1655
; %bb.1544:
	global_load_dword v7, v[4:5], off
	s_mov_b64 s[0:1], 0
	s_mov_b64 s[10:11], -1
	s_waitcnt vmcnt(0)
	v_and_b32_e32 v8, 0xffff0000, v7
	v_lshlrev_b32_e32 v7, 16, v7
	v_cvt_f16_f32_e32 v7, v7
	v_cvt_f16_f32_e32 v8, v8
	s_branch .LBB184_1656
.LBB184_1545:
	s_mov_b64 s[10:11], 0
                                        ; implicit-def: $vgpr8
                                        ; implicit-def: $vgpr7
	s_cbranch_execnz .LBB184_1552
.LBB184_1546:
	s_andn2_b64 vcc, exec, s[10:11]
	s_cbranch_vccnz .LBB184_2316
	s_branch .LBB184_1606
.LBB184_1547:
	s_mov_b64 s[10:11], 0
	s_mov_b64 s[0:1], 0
                                        ; implicit-def: $vgpr8
                                        ; implicit-def: $vgpr7
	s_cbranch_execnz .LBB184_1688
.LBB184_1548:
	s_and_b64 vcc, exec, s[0:1]
	s_cbranch_vccnz .LBB184_1721
.LBB184_1549:
	s_andn2_b64 vcc, exec, s[2:3]
	s_cbranch_vccnz .LBB184_1551
.LBB184_1550:
	global_load_ubyte v7, v[4:5], off
	v_mov_b32_e32 v9, 0x3c00
	v_mov_b32_e32 v8, 0
	s_mov_b64 s[10:11], -1
	s_waitcnt vmcnt(0)
	v_cmp_ne_u16_e32 vcc, 0, v7
	s_nop 1
	v_cndmask_b32_e32 v7, 0, v9, vcc
.LBB184_1551:
	s_branch .LBB184_1546
.LBB184_1552:
	s_cmp_lt_i32 s28, 5
	s_cbranch_scc1 .LBB184_1557
; %bb.1553:
	s_cmp_lt_i32 s28, 8
	s_cbranch_scc1 .LBB184_1559
; %bb.1554:
	;; [unrolled: 3-line block ×3, first 2 shown]
	s_cmp_gt_i32 s28, 9
	s_cbranch_scc0 .LBB184_1564
; %bb.1556:
	global_load_dwordx4 v[12:15], v[4:5], off
	s_movk_i32 s0, 0x1ff
	s_movk_i32 s1, 0xffe
	v_mov_b32_e32 v7, 0x7c00
	v_mov_b32_e32 v8, 0x7e00
	s_movk_i32 s2, 0x40f
	s_mov_b32 s3, 0x8000
	s_waitcnt vmcnt(0)
	v_and_or_b32 v9, v13, s0, v12
	v_and_or_b32 v14, v15, s0, v14
	v_cmp_ne_u32_e32 vcc, 0, v9
	v_lshrrev_b32_e32 v11, 8, v13
	v_bfe_u32 v12, v13, 20, 11
	v_cndmask_b32_e64 v9, 0, 1, vcc
	v_cmp_ne_u32_e32 vcc, 0, v14
	v_lshrrev_b32_e32 v16, 8, v15
	v_bfe_u32 v17, v15, 20, 11
	v_sub_u32_e32 v18, 0x3f1, v12
	v_cndmask_b32_e64 v14, 0, 1, vcc
	v_and_or_b32 v9, v11, s1, v9
	v_add_u32_e32 v12, 0xfffffc10, v12
	v_sub_u32_e32 v19, 0x3f1, v17
	v_add_u32_e32 v17, 0xfffffc10, v17
	v_med3_i32 v11, v18, 0, 13
	v_and_or_b32 v14, v16, s1, v14
	v_or_b32_e32 v18, 0x1000, v9
	v_cmp_ne_u32_e32 vcc, 0, v9
	v_med3_i32 v16, v19, 0, 13
	v_lshl_or_b32 v19, v12, 12, v9
	v_cndmask_b32_e32 v9, v7, v8, vcc
	v_or_b32_e32 v20, 0x1000, v14
	v_lshl_or_b32 v21, v17, 12, v14
	v_cmp_ne_u32_e32 vcc, 0, v14
	v_lshrrev_b32_e32 v14, v11, v18
	v_lshrrev_b32_e32 v22, v16, v20
	v_lshlrev_b32_e32 v11, v11, v14
	v_cndmask_b32_e32 v8, v7, v8, vcc
	v_lshlrev_b32_e32 v16, v16, v22
	v_cmp_ne_u32_e32 vcc, v11, v18
	v_lshrrev_b32_e32 v13, 16, v13
	v_lshrrev_b32_e32 v15, 16, v15
	v_cndmask_b32_e64 v11, 0, 1, vcc
	v_cmp_ne_u32_e32 vcc, v16, v20
	v_or_b32_e32 v11, v14, v11
	s_mov_b64 s[0:1], 0
	v_cndmask_b32_e64 v16, 0, 1, vcc
	v_cmp_gt_i32_e32 vcc, 1, v12
	v_or_b32_e32 v14, v22, v16
	s_nop 0
	v_cndmask_b32_e32 v11, v19, v11, vcc
	v_cmp_gt_i32_e32 vcc, 1, v17
	v_and_b32_e32 v16, 7, v11
	v_lshrrev_b32_e32 v11, 2, v11
	v_cndmask_b32_e32 v14, v21, v14, vcc
	v_cmp_lt_i32_e32 vcc, 5, v16
	v_and_b32_e32 v18, 7, v14
	v_lshrrev_b32_e32 v14, 2, v14
	v_cndmask_b32_e64 v19, 0, 1, vcc
	v_cmp_eq_u32_e32 vcc, 3, v16
	s_nop 1
	v_cndmask_b32_e64 v16, 0, 1, vcc
	v_cmp_lt_i32_e32 vcc, 5, v18
	v_or_b32_e32 v16, v16, v19
	v_add_u32_e32 v11, v11, v16
	v_cndmask_b32_e64 v20, 0, 1, vcc
	v_cmp_eq_u32_e32 vcc, 3, v18
	s_nop 1
	v_cndmask_b32_e64 v18, 0, 1, vcc
	v_or_b32_e32 v18, v18, v20
	v_cmp_gt_i32_e32 vcc, 31, v12
	v_add_u32_e32 v14, v14, v18
	s_nop 0
	v_cndmask_b32_e32 v11, v7, v11, vcc
	v_cmp_gt_i32_e32 vcc, 31, v17
	s_nop 1
	v_cndmask_b32_e32 v7, v7, v14, vcc
	v_cmp_eq_u32_e32 vcc, s2, v12
	s_nop 1
	v_cndmask_b32_e32 v9, v11, v9, vcc
	v_cmp_eq_u32_e32 vcc, s2, v17
	s_nop 1
	v_cndmask_b32_e32 v8, v7, v8, vcc
	v_and_or_b32 v7, v13, s3, v9
	v_and_or_b32 v8, v15, s3, v8
	s_branch .LBB184_1565
.LBB184_1557:
	s_mov_b64 s[0:1], -1
                                        ; implicit-def: $vgpr8
                                        ; implicit-def: $vgpr7
	s_branch .LBB184_1584
.LBB184_1558:
	s_mov_b64 s[18:19], -1
	s_mov_b64 s[10:11], 0
	s_mov_b64 s[0:1], 0
                                        ; implicit-def: $vgpr8
                                        ; implicit-def: $vgpr7
	s_branch .LBB184_1669
.LBB184_1559:
	s_mov_b64 s[0:1], -1
                                        ; implicit-def: $vgpr8
                                        ; implicit-def: $vgpr7
	s_branch .LBB184_1571
.LBB184_1560:
	s_mov_b64 s[18:19], -1
	s_mov_b64 s[10:11], 0
	s_mov_b64 s[0:1], 0
                                        ; implicit-def: $vgpr8
                                        ; implicit-def: $vgpr7
	s_branch .LBB184_1663
.LBB184_1561:
	s_mov_b64 s[0:1], -1
                                        ; implicit-def: $vgpr8
                                        ; implicit-def: $vgpr7
	s_branch .LBB184_1568
.LBB184_1562:
	s_trap 2
	s_or_b64 s[16:17], s[16:17], exec
	s_cbranch_execz .LBB184_1449
	s_branch .LBB184_1450
.LBB184_1563:
	s_mov_b64 s[18:19], -1
	s_mov_b64 s[10:11], 0
	s_mov_b64 s[0:1], 0
                                        ; implicit-def: $vgpr8
                                        ; implicit-def: $vgpr7
	s_branch .LBB184_1656
.LBB184_1564:
	s_mov_b64 s[0:1], -1
                                        ; implicit-def: $vgpr8
                                        ; implicit-def: $vgpr7
.LBB184_1565:
	s_andn2_b64 vcc, exec, s[0:1]
	s_cbranch_vccnz .LBB184_1567
; %bb.1566:
	global_load_dwordx2 v[8:9], v[4:5], off
	s_waitcnt vmcnt(0)
	v_cvt_f16_f32_e32 v7, v8
	v_cvt_f16_f32_e32 v8, v9
.LBB184_1567:
	s_mov_b64 s[0:1], 0
.LBB184_1568:
	s_andn2_b64 vcc, exec, s[0:1]
	s_cbranch_vccnz .LBB184_1570
; %bb.1569:
	global_load_dword v7, v[4:5], off
	s_waitcnt vmcnt(0)
	v_lshrrev_b32_e32 v8, 16, v7
.LBB184_1570:
	s_mov_b64 s[0:1], 0
.LBB184_1571:
	s_andn2_b64 vcc, exec, s[0:1]
	s_cbranch_vccnz .LBB184_1583
; %bb.1572:
	s_cmp_lt_i32 s28, 6
	s_cbranch_scc1 .LBB184_1575
; %bb.1573:
	s_cmp_gt_i32 s28, 6
	s_cbranch_scc0 .LBB184_1576
; %bb.1574:
	global_load_dwordx2 v[8:9], v[4:5], off
	s_movk_i32 s0, 0x1ff
	s_movk_i32 s1, 0xffe
	v_mov_b32_e32 v7, 0x7c00
	v_mov_b32_e32 v11, 0x7e00
	s_movk_i32 s2, 0x40f
	s_mov_b32 s3, 0x8000
	s_waitcnt vmcnt(0)
	v_and_or_b32 v8, v9, s0, v8
	v_cmp_ne_u32_e32 vcc, 0, v8
	v_lshrrev_b32_e32 v12, 8, v9
	v_bfe_u32 v13, v9, 20, 11
	v_cndmask_b32_e64 v8, 0, 1, vcc
	v_sub_u32_e32 v14, 0x3f1, v13
	v_and_or_b32 v8, v12, s1, v8
	v_add_u32_e32 v13, 0xfffffc10, v13
	v_med3_i32 v12, v14, 0, 13
	v_or_b32_e32 v14, 0x1000, v8
	v_cmp_ne_u32_e32 vcc, 0, v8
	v_lshl_or_b32 v15, v13, 12, v8
	v_lshrrev_b32_e32 v9, 16, v9
	v_cndmask_b32_e32 v8, v7, v11, vcc
	v_lshrrev_b32_e32 v11, v12, v14
	v_lshlrev_b32_e32 v12, v12, v11
	v_cmp_ne_u32_e32 vcc, v12, v14
	s_mov_b64 s[0:1], 0
	s_nop 0
	v_cndmask_b32_e64 v12, 0, 1, vcc
	v_or_b32_e32 v11, v11, v12
	v_cmp_gt_i32_e32 vcc, 1, v13
	s_nop 1
	v_cndmask_b32_e32 v11, v15, v11, vcc
	v_and_b32_e32 v12, 7, v11
	v_cmp_lt_i32_e32 vcc, 5, v12
	v_lshrrev_b32_e32 v11, 2, v11
	s_nop 0
	v_cndmask_b32_e64 v14, 0, 1, vcc
	v_cmp_eq_u32_e32 vcc, 3, v12
	s_nop 1
	v_cndmask_b32_e64 v12, 0, 1, vcc
	v_or_b32_e32 v12, v12, v14
	v_add_u32_e32 v11, v11, v12
	v_cmp_gt_i32_e32 vcc, 31, v13
	s_nop 1
	v_cndmask_b32_e32 v7, v7, v11, vcc
	v_cmp_eq_u32_e32 vcc, s2, v13
	s_nop 1
	v_cndmask_b32_e32 v7, v7, v8, vcc
	v_and_or_b32 v7, v9, s3, v7
	s_branch .LBB184_1577
.LBB184_1575:
	s_mov_b64 s[0:1], -1
                                        ; implicit-def: $vgpr7
	s_branch .LBB184_1580
.LBB184_1576:
	s_mov_b64 s[0:1], -1
                                        ; implicit-def: $vgpr7
.LBB184_1577:
	s_andn2_b64 vcc, exec, s[0:1]
	s_cbranch_vccnz .LBB184_1579
; %bb.1578:
	global_load_dword v7, v[4:5], off
	s_waitcnt vmcnt(0)
	v_cvt_f16_f32_e32 v7, v7
.LBB184_1579:
	s_mov_b64 s[0:1], 0
.LBB184_1580:
	s_andn2_b64 vcc, exec, s[0:1]
	s_cbranch_vccnz .LBB184_1582
; %bb.1581:
	global_load_ushort v7, v[4:5], off
.LBB184_1582:
	v_mov_b32_e32 v8, 0
.LBB184_1583:
	s_mov_b64 s[0:1], 0
.LBB184_1584:
	s_andn2_b64 vcc, exec, s[0:1]
	s_cbranch_vccnz .LBB184_1605
; %bb.1585:
	s_cmp_lt_i32 s28, 2
	s_cbranch_scc1 .LBB184_1589
; %bb.1586:
	s_cmp_lt_i32 s28, 3
	s_cbranch_scc1 .LBB184_1590
; %bb.1587:
	s_cmp_gt_i32 s28, 3
	s_cbranch_scc0 .LBB184_1591
; %bb.1588:
	global_load_dwordx2 v[8:9], v[4:5], off
	s_mov_b64 s[0:1], 0
	s_waitcnt vmcnt(0)
	v_xor_b32_e32 v11, v8, v9
	v_ffbh_i32_e32 v7, v9
	v_ashrrev_i32_e32 v11, 31, v11
	v_add_u32_e32 v7, -1, v7
	v_add_u32_e32 v11, 32, v11
	v_min_u32_e32 v7, v7, v11
	v_lshlrev_b64 v[8:9], v7, v[8:9]
	v_min_u32_e32 v8, 1, v8
	v_or_b32_e32 v8, v9, v8
	v_cvt_f32_i32_e32 v8, v8
	v_sub_u32_e32 v7, 32, v7
	v_ldexp_f32 v7, v8, v7
	v_cvt_f16_f32_e32 v7, v7
	s_branch .LBB184_1592
.LBB184_1589:
	s_mov_b64 s[0:1], -1
                                        ; implicit-def: $vgpr7
	s_branch .LBB184_1598
.LBB184_1590:
	s_mov_b64 s[0:1], -1
                                        ; implicit-def: $vgpr7
	s_branch .LBB184_1595
.LBB184_1591:
	s_mov_b64 s[0:1], -1
                                        ; implicit-def: $vgpr7
.LBB184_1592:
	s_andn2_b64 vcc, exec, s[0:1]
	s_cbranch_vccnz .LBB184_1594
; %bb.1593:
	global_load_dword v7, v[4:5], off
	s_waitcnt vmcnt(0)
	v_cvt_f32_i32_e32 v7, v7
	v_cvt_f16_f32_e32 v7, v7
.LBB184_1594:
	s_mov_b64 s[0:1], 0
.LBB184_1595:
	s_andn2_b64 vcc, exec, s[0:1]
	s_cbranch_vccnz .LBB184_1597
; %bb.1596:
	global_load_ushort v7, v[4:5], off
	s_waitcnt vmcnt(0)
	v_cvt_f16_i16_e32 v7, v7
.LBB184_1597:
	s_mov_b64 s[0:1], 0
.LBB184_1598:
	s_andn2_b64 vcc, exec, s[0:1]
	s_cbranch_vccnz .LBB184_1604
; %bb.1599:
	s_cmp_gt_i32 s28, 0
	s_cbranch_scc0 .LBB184_1601
; %bb.1600:
	global_load_sbyte v7, v[4:5], off
	s_mov_b64 s[0:1], 0
	s_waitcnt vmcnt(0)
	v_cvt_f16_i16_e32 v7, v7
	s_branch .LBB184_1602
.LBB184_1601:
	s_mov_b64 s[0:1], -1
                                        ; implicit-def: $vgpr7
.LBB184_1602:
	s_andn2_b64 vcc, exec, s[0:1]
	s_cbranch_vccnz .LBB184_1604
; %bb.1603:
	global_load_ubyte v4, v[4:5], off
	s_waitcnt vmcnt(0)
	v_cvt_f16_u16_e32 v7, v4
.LBB184_1604:
	v_mov_b32_e32 v8, 0
.LBB184_1605:
.LBB184_1606:
	v_cvt_f32_f16_e32 v9, v8
	s_waitcnt vmcnt(0)
	v_cmp_neq_f16_e32 vcc, 0, v7
	v_cmp_neq_f16_e64 s[0:1], 0, v8
	s_or_b64 s[0:1], vcc, s[0:1]
	v_mov_b32_e32 v8, 0
	s_and_saveexec_b64 s[10:11], s[0:1]
	s_cbranch_execz .LBB184_1636
; %bb.1607:
	v_mov_b32_e32 v8, 0x7f800000
	v_cmp_neq_f32_e64 s[0:1], |v9|, v8
	s_and_saveexec_b64 s[18:19], s[0:1]
	s_cbranch_execz .LBB184_1635
; %bb.1608:
	v_cvt_f32_f16_e32 v11, v7
	v_cmp_o_f16_e32 vcc, v7, v7
	s_and_saveexec_b64 s[0:1], vcc
	s_xor_b64 s[20:21], exec, s[0:1]
	s_cbranch_execz .LBB184_1632
; %bb.1609:
	s_mov_b32 s0, 0x7f800000
	v_cmp_neq_f32_e64 s[0:1], |v11|, s0
	s_and_saveexec_b64 s[2:3], s[0:1]
	s_xor_b64 s[22:23], exec, s[2:3]
	s_cbranch_execz .LBB184_1625
; %bb.1610:
	v_max_f32_e64 v4, |v9|, |v9|
	v_max_f32_e64 v5, |v11|, |v11|
	v_max_f32_e32 v4, v5, v4
	s_mov_b32 s0, 0x7ed413cb
	v_cmp_nle_f32_e64 s[0:1], s0, v4
                                        ; implicit-def: $sgpr24_sgpr25
	s_and_saveexec_b64 s[2:3], s[0:1]
	s_xor_b64 s[2:3], exec, s[2:3]
	s_cbranch_execz .LBB184_1614
; %bb.1611:
	s_mov_b32 s26, 0x1000000
	v_cmp_le_f32_e64 s[24:25], |v11|, s26
	v_cmp_le_f32_e64 s[26:27], |v9|, s26
	s_and_b64 s[30:31], s[24:25], s[26:27]
	s_mov_b64 s[24:25], 0
	s_and_saveexec_b64 s[26:27], s[30:31]
; %bb.1612:
	s_mov_b64 s[24:25], exec
	v_mul_f32_e32 v9, 4.0, v9
	v_mul_f32_e32 v11, 4.0, v11
; %bb.1613:
	s_or_b64 exec, exec, s[26:27]
.LBB184_1614:
	s_andn2_saveexec_b64 s[2:3], s[2:3]
; %bb.1615:
	v_mul_f32_e32 v11, 0x3e800000, v11
	v_mul_f32_e32 v9, 0x3e800000, v9
	s_andn2_b64 s[24:25], s[24:25], exec
; %bb.1616:
	s_or_b64 exec, exec, s[2:3]
	v_max_f32_e64 v4, |v9|, |v9|
	v_max_f32_e64 v5, |v11|, |v11|
	v_max_f32_e32 v7, v5, v4
	v_cvt_f64_f32_e32 v[4:5], v7
	v_frexp_exp_i32_f64_e32 v4, v[4:5]
	v_sub_u32_e32 v5, 0, v4
	v_ldexp_f32 v8, |v11|, v5
	v_ldexp_f32 v5, |v9|, v5
	v_mul_f32_e32 v5, v5, v5
	v_fmac_f32_e32 v5, v8, v8
	v_sqrt_f32_e32 v5, v5
	s_mov_b32 s2, 0x7f800000
	v_cmp_neq_f32_e64 s[2:3], s2, v7
	v_cmp_le_f32_e32 vcc, 0, v11
	v_ldexp_f32 v4, v5, v4
	v_mov_b32_e32 v5, 0x7f800000
	v_cndmask_b32_e64 v7, v5, v4, s[2:3]
                                        ; implicit-def: $vgpr4_vgpr5
	s_and_saveexec_b64 s[2:3], vcc
	s_xor_b64 s[26:27], exec, s[2:3]
	s_cbranch_execz .LBB184_1618
; %bb.1617:
	v_add_f32_e32 v4, v11, v7
	v_mul_f32_e32 v4, 0.5, v4
	s_mov_b32 s2, 0xf800000
	v_mul_f32_e32 v5, 0x4f800000, v4
	v_cmp_gt_f32_e32 vcc, s2, v4
	s_nop 1
	v_cndmask_b32_e32 v4, v4, v5, vcc
	v_sqrt_f32_e32 v5, v4
	s_nop 0
	v_add_u32_e32 v7, -1, v5
	v_fma_f32 v8, -v7, v5, v4
	v_cmp_ge_f32_e64 s[2:3], 0, v8
	v_add_u32_e32 v8, 1, v5
	s_nop 0
	v_cndmask_b32_e64 v7, v5, v7, s[2:3]
	v_fma_f32 v5, -v8, v5, v4
	v_cmp_lt_f32_e64 s[2:3], 0, v5
	s_nop 1
	v_cndmask_b32_e64 v5, v7, v8, s[2:3]
	v_mul_f32_e32 v7, 0x37800000, v5
	v_cndmask_b32_e32 v5, v5, v7, vcc
	v_mov_b32_e32 v7, 0x260
	v_cmp_class_f32_e32 vcc, v4, v7
	s_nop 1
	v_cndmask_b32_e32 v4, v5, v4, vcc
	v_add_f32_e32 v5, v4, v4
	v_div_scale_f32 v7, s[2:3], v5, v5, v9
	v_rcp_f32_e32 v8, v7
	s_nop 0
	v_fma_f32 v11, -v7, v8, 1.0
	v_fmac_f32_e32 v8, v11, v8
	v_div_scale_f32 v11, vcc, v9, v5, v9
	v_mul_f32_e32 v12, v11, v8
	v_fma_f32 v13, -v7, v12, v11
	v_fmac_f32_e32 v12, v13, v8
	v_fma_f32 v7, -v7, v12, v11
	v_div_fmas_f32 v7, v7, v8, v12
	v_div_fixup_f32 v5, v7, v5, v9
                                        ; implicit-def: $vgpr7
                                        ; implicit-def: $vgpr11
                                        ; implicit-def: $vgpr9
	s_andn2_saveexec_b64 s[26:27], s[26:27]
	s_cbranch_execz .LBB184_1620
	s_branch .LBB184_1619
.LBB184_1618:
	s_andn2_saveexec_b64 s[26:27], s[26:27]
	s_cbranch_execz .LBB184_1620
.LBB184_1619:
	v_sub_f32_e32 v4, v7, v11
	v_mul_f32_e32 v4, 0.5, v4
	s_mov_b32 s2, 0xf800000
	v_mul_f32_e32 v5, 0x4f800000, v4
	v_cmp_gt_f32_e32 vcc, s2, v4
	s_nop 1
	v_cndmask_b32_e32 v4, v4, v5, vcc
	v_sqrt_f32_e32 v5, v4
	s_nop 0
	v_add_u32_e32 v7, -1, v5
	v_fma_f32 v8, -v7, v5, v4
	v_cmp_ge_f32_e64 s[2:3], 0, v8
	v_add_u32_e32 v8, 1, v5
	s_nop 0
	v_cndmask_b32_e64 v7, v5, v7, s[2:3]
	v_fma_f32 v5, -v8, v5, v4
	v_cmp_lt_f32_e64 s[2:3], 0, v5
	s_nop 1
	v_cndmask_b32_e64 v5, v7, v8, s[2:3]
	v_mul_f32_e32 v7, 0x37800000, v5
	v_cndmask_b32_e32 v5, v5, v7, vcc
	v_mov_b32_e32 v7, 0x260
	v_cmp_class_f32_e32 vcc, v4, v7
	v_and_b32_e32 v7, 0x7fffffff, v9
	s_nop 0
	v_cndmask_b32_e32 v5, v5, v4, vcc
	v_add_f32_e32 v4, v5, v5
	v_div_scale_f32 v8, s[2:3], v4, v4, v7
	v_rcp_f32_e32 v11, v8
	v_div_scale_f32 v7, vcc, v7, v4, v7
	s_brev_b32 s2, -2
	v_fma_f32 v12, -v8, v11, 1.0
	v_fmac_f32_e32 v11, v12, v11
	v_mul_f32_e32 v12, v7, v11
	v_fma_f32 v13, -v8, v12, v7
	v_fmac_f32_e32 v12, v13, v11
	v_fma_f32 v7, -v8, v12, v7
	v_div_fmas_f32 v7, v7, v11, v12
	v_div_fixup_f32 v4, v7, v4, |v9|
	v_bfi_b32 v5, s2, v5, v9
.LBB184_1620:
	s_or_b64 exec, exec, s[26:27]
                                        ; implicit-def: $vgpr9
	s_and_saveexec_b64 s[2:3], s[0:1]
	s_xor_b64 s[0:1], exec, s[2:3]
	s_cbranch_execz .LBB184_1622
; %bb.1621:
	v_pk_mul_f32 v[8:9], v[4:5], 0.5 op_sel_hi:[1,0]
	s_nop 0
	v_cndmask_b32_e64 v8, v4, v8, s[24:25]
	v_cndmask_b32_e64 v9, v5, v9, s[24:25]
                                        ; implicit-def: $vgpr4_vgpr5
	s_andn2_saveexec_b64 s[0:1], s[0:1]
	s_cbranch_execnz .LBB184_1623
	s_branch .LBB184_1624
.LBB184_1622:
	s_andn2_saveexec_b64 s[0:1], s[0:1]
.LBB184_1623:
	v_pk_add_f32 v[8:9], v[4:5], v[4:5]
.LBB184_1624:
	s_or_b64 exec, exec, s[0:1]
                                        ; implicit-def: $vgpr11
                                        ; implicit-def: $vgpr7
.LBB184_1625:
	s_andn2_saveexec_b64 s[0:1], s[22:23]
	s_cbranch_execz .LBB184_1631
; %bb.1626:
	v_sub_f32_e32 v4, v9, v9
	v_cmp_lt_i16_e32 vcc, -1, v7
	s_brev_b32 s22, -2
	v_and_b32_e32 v8, 0x7fffffff, v4
	s_and_saveexec_b64 s[2:3], vcc
	s_xor_b64 s[2:3], exec, s[2:3]
; %bb.1627:
	v_bfi_b32 v9, s22, v4, v9
	v_mov_b32_e32 v8, v11
; %bb.1628:
	s_andn2_saveexec_b64 s[2:3], s[2:3]
; %bb.1629:
	v_bfi_b32 v9, s22, v11, v9
; %bb.1630:
	s_or_b64 exec, exec, s[2:3]
.LBB184_1631:
	s_or_b64 exec, exec, s[0:1]
                                        ; implicit-def: $vgpr11
.LBB184_1632:
	s_andn2_saveexec_b64 s[0:1], s[20:21]
	s_cbranch_execz .LBB184_1634
; %bb.1633:
	v_sub_f32_e32 v4, v9, v9
	v_div_scale_f32 v5, vcc, v4, v4, v4
	v_rcp_f32_e32 v7, v5
	s_nop 0
	v_fma_f32 v8, -v5, v7, 1.0
	v_fmac_f32_e32 v7, v8, v7
	v_mul_f32_e32 v8, v5, v7
	v_fma_f32 v9, -v5, v8, v5
	v_fmac_f32_e32 v8, v9, v7
	v_fma_f32 v5, -v5, v8, v5
	v_div_fmas_f32 v5, v5, v7, v8
	v_div_fixup_f32 v9, v5, v4, v4
	v_mov_b32_e32 v8, v11
.LBB184_1634:
	s_or_b64 exec, exec, s[0:1]
.LBB184_1635:
	s_or_b64 exec, exec, s[18:19]
.LBB184_1636:
	s_or_b64 exec, exec, s[10:11]
	v_cmp_gt_f32_e32 vcc, 0, v9
                                        ; implicit-def: $vgpr4_vgpr5
	s_nop 1
	v_cndmask_b32_e64 v11, v9, -v9, vcc
	v_cmp_gt_f32_e32 vcc, 0, v8
	s_nop 1
	v_cndmask_b32_e64 v7, v8, -v8, vcc
	v_cmp_ge_f32_e32 vcc, v7, v11
	s_and_saveexec_b64 s[0:1], vcc
	s_xor_b64 s[2:3], exec, s[0:1]
	s_cbranch_execz .LBB184_1642
; %bb.1637:
	v_cmp_neq_f32_e32 vcc, 0, v8
	v_cmp_neq_f32_e64 s[0:1], 0, v9
	s_or_b64 s[0:1], vcc, s[0:1]
                                        ; implicit-def: $vgpr4_vgpr5
	s_and_saveexec_b64 s[10:11], s[0:1]
	s_xor_b64 s[0:1], exec, s[10:11]
	s_cbranch_execz .LBB184_1639
; %bb.1638:
	v_div_scale_f32 v4, s[10:11], v8, v8, v9
	v_rcp_f32_e32 v5, v4
	v_div_scale_f32 v7, vcc, v9, v8, v9
	v_fma_f32 v11, -v4, v5, 1.0
	v_fmac_f32_e32 v5, v11, v5
	v_mul_f32_e32 v11, v7, v5
	v_fma_f32 v12, -v4, v11, v7
	v_fmac_f32_e32 v11, v12, v5
	v_fma_f32 v4, -v4, v11, v7
	v_div_fmas_f32 v4, v4, v5, v11
	v_div_fixup_f32 v5, v4, v8, v9
	v_fmac_f32_e32 v8, v9, v5
	v_div_scale_f32 v4, s[10:11], v8, v8, 1.0
	v_rcp_f32_e32 v7, v4
	s_nop 0
	v_fma_f32 v9, -v4, v7, 1.0
	v_fmac_f32_e32 v7, v9, v7
	v_div_scale_f32 v9, vcc, 1.0, v8, 1.0
	v_mul_f32_e32 v11, v9, v7
	v_fma_f32 v12, -v4, v11, v9
	v_fmac_f32_e32 v11, v12, v7
	v_fma_f32 v4, -v4, v11, v9
	v_div_fmas_f32 v4, v4, v7, v11
	v_mul_f32_e32 v7, 0, v5
	v_div_fixup_f32 v4, v4, v8, 1.0
	v_add_f32_e32 v8, 1.0, v7
	v_sub_f32_e32 v9, 0, v5
	v_pk_mul_f32 v[4:5], v[8:9], v[4:5] op_sel_hi:[1,0]
                                        ; implicit-def: $vgpr11
                                        ; implicit-def: $vgpr7
.LBB184_1639:
	s_andn2_saveexec_b64 s[0:1], s[0:1]
	s_cbranch_execz .LBB184_1641
; %bb.1640:
	v_div_scale_f32 v4, s[10:11], v11, v11, 0
	v_rcp_f32_e32 v5, v4
	v_div_scale_f32 v8, vcc, 0, v11, 0
	v_fma_f32 v9, -v4, v5, 1.0
	v_fmac_f32_e32 v5, v9, v5
	v_mul_f32_e32 v9, v8, v5
	v_fma_f32 v12, -v4, v9, v8
	v_fmac_f32_e32 v9, v12, v5
	v_fma_f32 v4, -v4, v9, v8
	v_div_scale_f32 v8, s[10:11], v7, v7, 1.0
	v_rcp_f32_e32 v12, v8
	v_div_fmas_f32 v4, v4, v5, v9
	v_div_fixup_f32 v5, v4, v11, 0
	v_fma_f32 v4, -v8, v12, 1.0
	v_fmac_f32_e32 v12, v4, v12
	v_div_scale_f32 v4, vcc, 1.0, v7, 1.0
	v_mul_f32_e32 v9, v4, v12
	v_fma_f32 v11, -v8, v9, v4
	v_fmac_f32_e32 v9, v11, v12
	v_fma_f32 v4, -v8, v9, v4
	v_div_fmas_f32 v4, v4, v12, v9
	v_div_fixup_f32 v4, v4, v7, 1.0
.LBB184_1641:
	s_or_b64 exec, exec, s[0:1]
                                        ; implicit-def: $vgpr9
.LBB184_1642:
	s_andn2_saveexec_b64 s[0:1], s[2:3]
	s_cbranch_execz .LBB184_1644
; %bb.1643:
	v_div_scale_f32 v4, s[2:3], v9, v9, v8
	v_rcp_f32_e32 v5, v4
	v_div_scale_f32 v7, vcc, v8, v9, v8
	v_fma_f32 v11, -v4, v5, 1.0
	v_fmac_f32_e32 v5, v11, v5
	v_mul_f32_e32 v11, v7, v5
	v_fma_f32 v12, -v4, v11, v7
	v_fmac_f32_e32 v11, v12, v5
	v_fma_f32 v4, -v4, v11, v7
	v_div_fmas_f32 v4, v4, v5, v11
	v_div_fixup_f32 v4, v4, v9, v8
	v_fmac_f32_e32 v9, v8, v4
	v_div_scale_f32 v5, s[2:3], v9, v9, 1.0
	v_rcp_f32_e32 v7, v5
	s_mov_b32 s2, 0
	s_mov_b32 s3, -1.0
	v_fma_f32 v8, -v5, v7, 1.0
	v_fmac_f32_e32 v7, v8, v7
	v_div_scale_f32 v8, vcc, 1.0, v9, 1.0
	v_mul_f32_e32 v11, v8, v7
	v_fma_f32 v12, -v5, v11, v8
	v_fmac_f32_e32 v11, v12, v7
	v_fma_f32 v5, -v5, v11, v8
	v_div_fmas_f32 v5, v5, v7, v11
	v_div_fixup_f32 v8, v5, v9, 1.0
	v_mul_f32_e32 v5, 0, v4
	v_pk_add_f32 v[4:5], v[4:5], s[2:3]
	s_nop 0
	v_pk_mul_f32 v[4:5], v[4:5], v[8:9] op_sel_hi:[1,0]
.LBB184_1644:
	s_or_b64 exec, exec, s[0:1]
	v_add_u32_e32 v6, s9, v6
	v_ashrrev_i32_e32 v7, 31, v6
	s_cmp_lt_i32 s28, 11
	v_lshl_add_u64 v[6:7], s[6:7], 0, v[6:7]
	s_cbranch_scc1 .LBB184_1651
; %bb.1645:
	s_cmp_gt_i32 s28, 25
	s_mov_b64 s[2:3], 0
	s_cbranch_scc0 .LBB184_1652
; %bb.1646:
	s_cmp_gt_i32 s28, 28
	s_cbranch_scc0 .LBB184_1653
; %bb.1647:
	s_cmp_gt_i32 s28, 43
	;; [unrolled: 3-line block ×3, first 2 shown]
	s_cbranch_scc0 .LBB184_1659
; %bb.1649:
	s_cmp_eq_u32 s28, 46
	s_mov_b64 s[10:11], 0
	s_cbranch_scc0 .LBB184_1722
; %bb.1650:
	global_load_dword v8, v[6:7], off
	s_mov_b64 s[0:1], 0
	s_mov_b64 s[6:7], -1
	s_waitcnt vmcnt(0)
	v_and_b32_e32 v9, 0xffff0000, v8
	v_lshlrev_b32_e32 v8, 16, v8
	v_cvt_f16_f32_e32 v11, v8
	v_cvt_f16_f32_e32 v8, v9
	s_branch .LBB184_1723
.LBB184_1651:
	s_mov_b64 s[0:1], -1
	s_mov_b64 s[6:7], 0
                                        ; implicit-def: $vgpr8
                                        ; implicit-def: $vgpr11
	s_branch .LBB184_1769
.LBB184_1652:
	s_mov_b64 s[10:11], -1
	s_mov_b64 s[6:7], 0
	s_mov_b64 s[0:1], 0
                                        ; implicit-def: $vgpr8
                                        ; implicit-def: $vgpr11
	s_branch .LBB184_1754
.LBB184_1653:
	s_mov_b64 s[10:11], -1
	s_mov_b64 s[6:7], 0
	s_mov_b64 s[0:1], 0
                                        ; implicit-def: $vgpr8
                                        ; implicit-def: $vgpr11
	s_branch .LBB184_1735
.LBB184_1654:
	s_mov_b64 s[10:11], -1
	s_mov_b64 s[6:7], 0
	s_mov_b64 s[0:1], 0
                                        ; implicit-def: $vgpr8
                                        ; implicit-def: $vgpr11
	s_branch .LBB184_1729
.LBB184_1655:
	s_mov_b64 s[0:1], -1
                                        ; implicit-def: $vgpr8
                                        ; implicit-def: $vgpr7
	s_mov_b64 s[10:11], 0
.LBB184_1656:
	s_and_b64 vcc, exec, s[18:19]
	s_cbranch_vccz .LBB184_1662
; %bb.1657:
	s_cmp_eq_u32 s28, 44
	s_cbranch_scc0 .LBB184_1660
; %bb.1658:
	global_load_ubyte v7, v[4:5], off
	s_movk_i32 s10, 0xff
	v_mov_b32_e32 v9, 0x7e00
	s_mov_b64 s[0:1], 0
	s_waitcnt vmcnt(0)
	v_lshlrev_b32_e32 v8, 23, v7
	v_cvt_f16_f32_e32 v8, v8
	v_cmp_ne_u32_e32 vcc, s10, v7
	s_mov_b64 s[10:11], -1
	s_nop 0
	v_cndmask_b32_e32 v8, v9, v8, vcc
	v_cmp_ne_u32_e32 vcc, 0, v7
	s_nop 1
	v_cndmask_b32_e32 v7, 0, v8, vcc
	s_branch .LBB184_1661
.LBB184_1659:
	s_mov_b64 s[10:11], -1
	s_mov_b64 s[6:7], 0
	s_mov_b64 s[0:1], 0
                                        ; implicit-def: $vgpr8
                                        ; implicit-def: $vgpr11
	s_branch .LBB184_1723
.LBB184_1660:
	s_mov_b64 s[0:1], -1
                                        ; implicit-def: $vgpr7
.LBB184_1661:
	v_mov_b32_e32 v8, 0
.LBB184_1662:
	s_mov_b64 s[18:19], 0
.LBB184_1663:
	s_and_b64 vcc, exec, s[18:19]
	s_cbranch_vccz .LBB184_1668
; %bb.1664:
	s_cmp_eq_u32 s28, 29
	s_cbranch_scc0 .LBB184_1666
; %bb.1665:
	global_load_dwordx2 v[8:9], v[4:5], off
	s_mov_b64 s[0:1], 0
	s_mov_b64 s[10:11], -1
	s_waitcnt vmcnt(0)
	v_ffbh_u32_e32 v7, v9
	v_min_u32_e32 v7, 32, v7
	v_lshlrev_b64 v[8:9], v7, v[8:9]
	v_min_u32_e32 v8, 1, v8
	v_or_b32_e32 v8, v9, v8
	v_cvt_f32_u32_e32 v8, v8
	v_sub_u32_e32 v7, 32, v7
	v_ldexp_f32 v7, v8, v7
	v_cvt_f16_f32_e32 v7, v7
	s_branch .LBB184_1667
.LBB184_1666:
	s_mov_b64 s[0:1], -1
                                        ; implicit-def: $vgpr7
.LBB184_1667:
	v_mov_b32_e32 v8, 0
.LBB184_1668:
	s_mov_b64 s[18:19], 0
.LBB184_1669:
	s_and_b64 vcc, exec, s[18:19]
	s_cbranch_vccz .LBB184_1687
; %bb.1670:
	s_cmp_lt_i32 s28, 27
	s_cbranch_scc1 .LBB184_1673
; %bb.1671:
	s_cmp_gt_i32 s28, 27
	s_cbranch_scc0 .LBB184_1674
; %bb.1672:
	global_load_dword v7, v[4:5], off
	s_mov_b64 s[10:11], 0
	s_waitcnt vmcnt(0)
	v_cvt_f32_u32_e32 v7, v7
	v_cvt_f16_f32_e32 v7, v7
	s_branch .LBB184_1675
.LBB184_1673:
	s_mov_b64 s[10:11], -1
                                        ; implicit-def: $vgpr7
	s_branch .LBB184_1678
.LBB184_1674:
	s_mov_b64 s[10:11], -1
                                        ; implicit-def: $vgpr7
.LBB184_1675:
	s_andn2_b64 vcc, exec, s[10:11]
	s_cbranch_vccnz .LBB184_1677
; %bb.1676:
	global_load_ushort v7, v[4:5], off
	s_waitcnt vmcnt(0)
	v_cvt_f16_u16_e32 v7, v7
.LBB184_1677:
	s_mov_b64 s[10:11], 0
.LBB184_1678:
	s_andn2_b64 vcc, exec, s[10:11]
	s_cbranch_vccnz .LBB184_1686
; %bb.1679:
	global_load_ubyte v8, v[4:5], off
	s_movk_i32 s10, 0x7f
	s_waitcnt vmcnt(0)
	v_cmp_lt_i16_e32 vcc, s10, v8
	s_mov_b64 s[10:11], 0
	s_and_saveexec_b64 s[18:19], vcc
	s_xor_b64 s[18:19], exec, s[18:19]
	s_cbranch_execz .LBB184_1699
; %bb.1680:
	s_movk_i32 s10, 0x80
	v_cmp_eq_u16_e32 vcc, s10, v8
	s_mov_b64 s[10:11], -1
	s_and_saveexec_b64 s[20:21], vcc
; %bb.1681:
	s_xor_b64 s[10:11], exec, -1
; %bb.1682:
	s_or_b64 exec, exec, s[20:21]
	s_and_b64 s[10:11], s[10:11], exec
	s_or_saveexec_b64 s[18:19], s[18:19]
	v_mov_b32_e32 v7, 0x7e00
	s_xor_b64 exec, exec, s[18:19]
	s_cbranch_execnz .LBB184_1700
.LBB184_1683:
	s_or_b64 exec, exec, s[18:19]
	s_and_saveexec_b64 s[18:19], s[10:11]
	s_cbranch_execz .LBB184_1685
.LBB184_1684:
	v_lshlrev_b32_e32 v7, 24, v8
	v_and_b32_e32 v8, 0xffff, v8
	v_and_b32_e32 v9, 7, v8
	v_ffbh_u32_e32 v12, v9
	v_min_u32_e32 v12, 32, v12
	v_subrev_u32_e32 v13, 28, v12
	v_bfe_u32 v11, v8, 3, 4
	v_lshlrev_b32_e32 v8, v13, v8
	v_sub_u32_e32 v12, 29, v12
	v_and_b32_e32 v8, 7, v8
	v_cmp_eq_u32_e32 vcc, 0, v11
	v_and_b32_e32 v7, 0x80000000, v7
	s_nop 0
	v_cndmask_b32_e32 v11, v11, v12, vcc
	v_cndmask_b32_e32 v8, v9, v8, vcc
	v_mov_b32_e32 v9, 0x3b800000
	v_lshlrev_b32_e32 v8, 20, v8
	v_lshl_add_u32 v9, v11, 23, v9
	v_or3_b32 v7, v7, v9, v8
	v_cvt_f16_f32_e32 v7, v7
.LBB184_1685:
	s_or_b64 exec, exec, s[18:19]
.LBB184_1686:
	s_mov_b64 s[10:11], -1
	v_mov_b32_e32 v8, 0
.LBB184_1687:
	s_branch .LBB184_1548
.LBB184_1688:
	s_cmp_gt_i32 s28, 22
	s_cbranch_scc0 .LBB184_1698
; %bb.1689:
	s_cmp_lt_i32 s28, 24
	s_cbranch_scc1 .LBB184_1701
; %bb.1690:
	s_cmp_gt_i32 s28, 24
	s_cbranch_scc0 .LBB184_1702
; %bb.1691:
	global_load_ubyte v8, v[4:5], off
	s_movk_i32 s2, 0x7f
	s_waitcnt vmcnt(0)
	v_cmp_lt_i16_e32 vcc, s2, v8
	s_mov_b64 s[2:3], 0
	s_and_saveexec_b64 s[10:11], vcc
	s_xor_b64 s[10:11], exec, s[10:11]
	s_cbranch_execz .LBB184_1714
; %bb.1692:
	s_movk_i32 s2, 0x80
	v_cmp_eq_u16_e32 vcc, s2, v8
	s_mov_b64 s[2:3], -1
	s_and_saveexec_b64 s[18:19], vcc
; %bb.1693:
	s_xor_b64 s[2:3], exec, -1
; %bb.1694:
	s_or_b64 exec, exec, s[18:19]
	s_and_b64 s[2:3], s[2:3], exec
	s_or_saveexec_b64 s[10:11], s[10:11]
	v_mov_b32_e32 v7, 0x7e00
	s_xor_b64 exec, exec, s[10:11]
	s_cbranch_execnz .LBB184_1715
.LBB184_1695:
	s_or_b64 exec, exec, s[10:11]
	s_and_saveexec_b64 s[10:11], s[2:3]
	s_cbranch_execz .LBB184_1697
.LBB184_1696:
	v_lshlrev_b32_e32 v7, 24, v8
	v_and_b32_e32 v8, 0xffff, v8
	v_and_b32_e32 v9, 3, v8
	v_ffbh_u32_e32 v12, v9
	v_min_u32_e32 v12, 32, v12
	v_subrev_u32_e32 v13, 29, v12
	v_bfe_u32 v11, v8, 2, 5
	v_lshlrev_b32_e32 v8, v13, v8
	v_sub_u32_e32 v12, 30, v12
	v_and_b32_e32 v8, 3, v8
	v_cmp_eq_u32_e32 vcc, 0, v11
	v_and_b32_e32 v7, 0x80000000, v7
	s_nop 0
	v_cndmask_b32_e32 v11, v11, v12, vcc
	v_cndmask_b32_e32 v8, v9, v8, vcc
	v_mov_b32_e32 v9, 0x37800000
	v_lshlrev_b32_e32 v8, 21, v8
	v_lshl_add_u32 v9, v11, 23, v9
	v_or3_b32 v7, v7, v9, v8
	v_cvt_f16_f32_e32 v7, v7
.LBB184_1697:
	s_or_b64 exec, exec, s[10:11]
	s_mov_b64 s[2:3], 0
	s_branch .LBB184_1703
.LBB184_1698:
	s_mov_b64 s[2:3], -1
                                        ; implicit-def: $vgpr7
	s_branch .LBB184_1709
.LBB184_1699:
	s_or_saveexec_b64 s[18:19], s[18:19]
	v_mov_b32_e32 v7, 0x7e00
	s_xor_b64 exec, exec, s[18:19]
	s_cbranch_execz .LBB184_1683
.LBB184_1700:
	v_cmp_ne_u16_e32 vcc, 0, v8
	s_andn2_b64 s[10:11], s[10:11], exec
	s_and_b64 s[20:21], vcc, exec
	s_or_b64 s[10:11], s[10:11], s[20:21]
	v_mov_b32_e32 v7, v8
	s_or_b64 exec, exec, s[18:19]
	s_and_saveexec_b64 s[18:19], s[10:11]
	s_cbranch_execnz .LBB184_1684
	s_branch .LBB184_1685
.LBB184_1701:
	s_mov_b64 s[2:3], -1
                                        ; implicit-def: $vgpr7
	s_branch .LBB184_1706
.LBB184_1702:
	s_mov_b64 s[2:3], -1
                                        ; implicit-def: $vgpr7
.LBB184_1703:
	s_and_b64 vcc, exec, s[2:3]
	s_cbranch_vccz .LBB184_1705
; %bb.1704:
	global_load_ubyte v7, v[4:5], off
	s_mov_b32 s2, 0x7f800000
	s_waitcnt vmcnt(0)
	v_lshlrev_b32_e32 v7, 24, v7
	v_and_b32_e32 v8, 0x7f000000, v7
	v_ffbh_u32_e32 v9, v8
	v_min_u32_e32 v9, 32, v9
	v_sub_u32_e64 v9, v9, 4 clamp
	v_lshlrev_b32_e32 v12, v9, v8
	v_lshlrev_b32_e32 v9, 23, v9
	v_lshrrev_b32_e32 v12, 4, v12
	v_add_u32_e32 v11, 0x1000000, v8
	v_sub_u32_e32 v9, v12, v9
	v_ashrrev_i32_e32 v11, 8, v11
	v_add_u32_e32 v9, 0x3c000000, v9
	v_and_or_b32 v9, v11, s2, v9
	v_cmp_ne_u32_e32 vcc, 0, v8
	s_brev_b32 s2, 1
	s_nop 0
	v_cndmask_b32_e32 v8, 0, v9, vcc
	v_and_or_b32 v7, v7, s2, v8
	v_cvt_f16_f32_e32 v7, v7
.LBB184_1705:
	s_mov_b64 s[2:3], 0
.LBB184_1706:
	s_andn2_b64 vcc, exec, s[2:3]
	s_cbranch_vccnz .LBB184_1708
; %bb.1707:
	global_load_ubyte v7, v[4:5], off
	s_movk_i32 s2, 0x7f00
	s_brev_b32 s3, 16
	s_waitcnt vmcnt(0)
	v_lshlrev_b16_e32 v8, 8, v7
	v_lshlrev_b32_e32 v7, 25, v7
	v_lshrrev_b32_e32 v9, 4, v7
	v_and_or_b32 v11, v8, s2, 0.5
	v_or_b32_e32 v9, 0x70000000, v9
	v_add_f32_e32 v11, -0.5, v11
	v_mul_f32_e32 v9, 0x7800000, v9
	v_cmp_gt_u32_e32 vcc, s3, v7
	v_bfe_i32 v8, v8, 0, 16
	s_brev_b32 s2, 1
	v_cndmask_b32_e32 v7, v9, v11, vcc
	v_and_or_b32 v7, v8, s2, v7
	v_cvt_f16_f32_e32 v7, v7
.LBB184_1708:
	s_mov_b64 s[2:3], 0
	s_mov_b64 s[10:11], -1
.LBB184_1709:
	s_andn2_b64 vcc, exec, s[2:3]
	s_mov_b64 s[2:3], 0
	s_cbranch_vccnz .LBB184_1720
; %bb.1710:
	s_cmp_gt_i32 s28, 14
	s_cbranch_scc0 .LBB184_1713
; %bb.1711:
	s_cmp_eq_u32 s28, 15
	s_cbranch_scc0 .LBB184_1716
; %bb.1712:
	global_load_ushort v7, v[4:5], off
	s_mov_b64 s[0:1], 0
	s_mov_b64 s[10:11], -1
	s_waitcnt vmcnt(0)
	v_lshlrev_b32_e32 v7, 16, v7
	v_cvt_f16_f32_e32 v7, v7
	s_branch .LBB184_1717
.LBB184_1713:
	s_mov_b64 s[18:19], -1
                                        ; implicit-def: $vgpr7
	s_branch .LBB184_1718
.LBB184_1714:
	s_or_saveexec_b64 s[10:11], s[10:11]
	v_mov_b32_e32 v7, 0x7e00
	s_xor_b64 exec, exec, s[10:11]
	s_cbranch_execz .LBB184_1695
.LBB184_1715:
	v_cmp_ne_u16_e32 vcc, 0, v8
	s_andn2_b64 s[2:3], s[2:3], exec
	s_and_b64 s[18:19], vcc, exec
	s_or_b64 s[2:3], s[2:3], s[18:19]
	v_mov_b32_e32 v7, v8
	s_or_b64 exec, exec, s[10:11]
	s_and_saveexec_b64 s[10:11], s[2:3]
	s_cbranch_execnz .LBB184_1696
	s_branch .LBB184_1697
.LBB184_1716:
	s_mov_b64 s[0:1], -1
                                        ; implicit-def: $vgpr7
.LBB184_1717:
	s_mov_b64 s[18:19], 0
.LBB184_1718:
	s_and_b64 vcc, exec, s[18:19]
	s_cbranch_vccz .LBB184_1720
; %bb.1719:
	s_cmp_lg_u32 s28, 11
	s_mov_b64 s[2:3], -1
	s_cselect_b64 s[0:1], -1, 0
.LBB184_1720:
	v_mov_b32_e32 v8, 0
	s_and_b64 vcc, exec, s[0:1]
	s_cbranch_vccz .LBB184_1549
.LBB184_1721:
	s_trap 2
	s_or_b64 s[16:17], s[16:17], exec
	s_cbranch_execz .LBB184_1550
	s_branch .LBB184_1551
.LBB184_1722:
	s_mov_b64 s[0:1], -1
                                        ; implicit-def: $vgpr8
                                        ; implicit-def: $vgpr11
	s_mov_b64 s[6:7], 0
.LBB184_1723:
	s_and_b64 vcc, exec, s[10:11]
	s_cbranch_vccz .LBB184_1728
; %bb.1724:
	s_cmp_eq_u32 s28, 44
	s_cbranch_scc0 .LBB184_1726
; %bb.1725:
	global_load_ubyte v8, v[6:7], off
	s_movk_i32 s6, 0xff
	v_mov_b32_e32 v11, 0x7e00
	s_mov_b64 s[0:1], 0
	s_waitcnt vmcnt(0)
	v_lshlrev_b32_e32 v9, 23, v8
	v_cvt_f16_f32_e32 v9, v9
	v_cmp_ne_u32_e32 vcc, s6, v8
	s_mov_b64 s[6:7], -1
	s_nop 0
	v_cndmask_b32_e32 v9, v11, v9, vcc
	v_cmp_ne_u32_e32 vcc, 0, v8
	s_nop 1
	v_cndmask_b32_e32 v11, 0, v9, vcc
	s_branch .LBB184_1727
.LBB184_1726:
	s_mov_b64 s[0:1], -1
                                        ; implicit-def: $vgpr11
.LBB184_1727:
	v_mov_b32_e32 v8, 0
.LBB184_1728:
	s_mov_b64 s[10:11], 0
.LBB184_1729:
	s_and_b64 vcc, exec, s[10:11]
	s_cbranch_vccz .LBB184_1734
; %bb.1730:
	s_cmp_eq_u32 s28, 29
	s_cbranch_scc0 .LBB184_1732
; %bb.1731:
	global_load_dwordx2 v[8:9], v[6:7], off
	s_mov_b64 s[0:1], 0
	s_mov_b64 s[6:7], -1
	s_waitcnt vmcnt(0)
	v_ffbh_u32_e32 v11, v9
	v_min_u32_e32 v11, 32, v11
	v_lshlrev_b64 v[8:9], v11, v[8:9]
	v_min_u32_e32 v8, 1, v8
	v_or_b32_e32 v8, v9, v8
	v_cvt_f32_u32_e32 v8, v8
	v_sub_u32_e32 v9, 32, v11
	v_ldexp_f32 v8, v8, v9
	v_cvt_f16_f32_e32 v11, v8
	s_branch .LBB184_1733
.LBB184_1732:
	s_mov_b64 s[0:1], -1
                                        ; implicit-def: $vgpr11
.LBB184_1733:
	v_mov_b32_e32 v8, 0
.LBB184_1734:
	s_mov_b64 s[10:11], 0
.LBB184_1735:
	s_and_b64 vcc, exec, s[10:11]
	s_cbranch_vccz .LBB184_1753
; %bb.1736:
	s_cmp_lt_i32 s28, 27
	s_cbranch_scc1 .LBB184_1739
; %bb.1737:
	s_cmp_gt_i32 s28, 27
	s_cbranch_scc0 .LBB184_1740
; %bb.1738:
	global_load_dword v8, v[6:7], off
	s_mov_b64 s[6:7], 0
	s_waitcnt vmcnt(0)
	v_cvt_f32_u32_e32 v8, v8
	v_cvt_f16_f32_e32 v11, v8
	s_branch .LBB184_1741
.LBB184_1739:
	s_mov_b64 s[6:7], -1
                                        ; implicit-def: $vgpr11
	s_branch .LBB184_1744
.LBB184_1740:
	s_mov_b64 s[6:7], -1
                                        ; implicit-def: $vgpr11
.LBB184_1741:
	s_andn2_b64 vcc, exec, s[6:7]
	s_cbranch_vccnz .LBB184_1743
; %bb.1742:
	global_load_ushort v8, v[6:7], off
	s_waitcnt vmcnt(0)
	v_cvt_f16_u16_e32 v11, v8
.LBB184_1743:
	s_mov_b64 s[6:7], 0
.LBB184_1744:
	s_andn2_b64 vcc, exec, s[6:7]
	s_cbranch_vccnz .LBB184_1752
; %bb.1745:
	global_load_ubyte v8, v[6:7], off
	s_movk_i32 s6, 0x7f
	s_waitcnt vmcnt(0)
	v_cmp_lt_i16_e32 vcc, s6, v8
	s_mov_b64 s[6:7], 0
	s_and_saveexec_b64 s[10:11], vcc
	s_xor_b64 s[10:11], exec, s[10:11]
	s_cbranch_execz .LBB184_1778
; %bb.1746:
	s_movk_i32 s6, 0x80
	v_cmp_eq_u16_e32 vcc, s6, v8
	s_mov_b64 s[6:7], -1
	s_and_saveexec_b64 s[18:19], vcc
; %bb.1747:
	s_xor_b64 s[6:7], exec, -1
; %bb.1748:
	s_or_b64 exec, exec, s[18:19]
	s_and_b64 s[6:7], s[6:7], exec
	s_or_saveexec_b64 s[10:11], s[10:11]
	v_mov_b32_e32 v11, 0x7e00
	s_xor_b64 exec, exec, s[10:11]
	s_cbranch_execnz .LBB184_1779
.LBB184_1749:
	s_or_b64 exec, exec, s[10:11]
	s_and_saveexec_b64 s[10:11], s[6:7]
	s_cbranch_execz .LBB184_1751
.LBB184_1750:
	v_lshlrev_b32_e32 v9, 24, v8
	v_and_b32_e32 v8, 0xffff, v8
	v_and_b32_e32 v11, 7, v8
	v_ffbh_u32_e32 v13, v11
	v_min_u32_e32 v13, 32, v13
	v_subrev_u32_e32 v14, 28, v13
	v_bfe_u32 v12, v8, 3, 4
	v_lshlrev_b32_e32 v8, v14, v8
	v_sub_u32_e32 v13, 29, v13
	v_and_b32_e32 v8, 7, v8
	v_cmp_eq_u32_e32 vcc, 0, v12
	v_and_b32_e32 v9, 0x80000000, v9
	s_nop 0
	v_cndmask_b32_e32 v12, v12, v13, vcc
	v_cndmask_b32_e32 v8, v11, v8, vcc
	v_mov_b32_e32 v11, 0x3b800000
	v_lshlrev_b32_e32 v8, 20, v8
	v_lshl_add_u32 v11, v12, 23, v11
	v_or3_b32 v8, v9, v11, v8
	v_cvt_f16_f32_e32 v11, v8
.LBB184_1751:
	s_or_b64 exec, exec, s[10:11]
.LBB184_1752:
	s_mov_b64 s[6:7], -1
	v_mov_b32_e32 v8, 0
.LBB184_1753:
	s_mov_b64 s[10:11], 0
.LBB184_1754:
	s_and_b64 vcc, exec, s[10:11]
	s_cbranch_vccz .LBB184_1765
; %bb.1755:
	s_cmp_gt_i32 s28, 22
	s_cbranch_scc0 .LBB184_1776
; %bb.1756:
	s_cmp_lt_i32 s28, 24
	s_cbranch_scc1 .LBB184_1780
; %bb.1757:
	s_cmp_gt_i32 s28, 24
	s_cbranch_scc0 .LBB184_1782
; %bb.1758:
	global_load_ubyte v8, v[6:7], off
	s_movk_i32 s2, 0x7f
	s_waitcnt vmcnt(0)
	v_cmp_lt_i16_e32 vcc, s2, v8
	s_mov_b64 s[2:3], 0
	s_and_saveexec_b64 s[6:7], vcc
	s_xor_b64 s[6:7], exec, s[6:7]
	s_cbranch_execz .LBB184_1794
; %bb.1759:
	s_movk_i32 s2, 0x80
	v_cmp_eq_u16_e32 vcc, s2, v8
	s_mov_b64 s[2:3], -1
	s_and_saveexec_b64 s[10:11], vcc
; %bb.1760:
	s_xor_b64 s[2:3], exec, -1
; %bb.1761:
	s_or_b64 exec, exec, s[10:11]
	s_and_b64 s[2:3], s[2:3], exec
	s_or_saveexec_b64 s[6:7], s[6:7]
	v_mov_b32_e32 v11, 0x7e00
	s_xor_b64 exec, exec, s[6:7]
	s_cbranch_execnz .LBB184_1795
.LBB184_1762:
	s_or_b64 exec, exec, s[6:7]
	s_and_saveexec_b64 s[6:7], s[2:3]
	s_cbranch_execz .LBB184_1764
.LBB184_1763:
	v_lshlrev_b32_e32 v9, 24, v8
	v_and_b32_e32 v8, 0xffff, v8
	v_and_b32_e32 v11, 3, v8
	v_ffbh_u32_e32 v13, v11
	v_min_u32_e32 v13, 32, v13
	v_subrev_u32_e32 v14, 29, v13
	v_bfe_u32 v12, v8, 2, 5
	v_lshlrev_b32_e32 v8, v14, v8
	v_sub_u32_e32 v13, 30, v13
	v_and_b32_e32 v8, 3, v8
	v_cmp_eq_u32_e32 vcc, 0, v12
	v_and_b32_e32 v9, 0x80000000, v9
	s_nop 0
	v_cndmask_b32_e32 v12, v12, v13, vcc
	v_cndmask_b32_e32 v8, v11, v8, vcc
	v_mov_b32_e32 v11, 0x37800000
	v_lshlrev_b32_e32 v8, 21, v8
	v_lshl_add_u32 v11, v12, 23, v11
	v_or3_b32 v8, v9, v11, v8
	v_cvt_f16_f32_e32 v11, v8
.LBB184_1764:
	s_or_b64 exec, exec, s[6:7]
	s_mov_b64 s[2:3], 0
	s_branch .LBB184_1783
.LBB184_1765:
	s_and_b64 vcc, exec, s[0:1]
	s_cbranch_vccnz .LBB184_1813
.LBB184_1766:
	s_andn2_b64 vcc, exec, s[2:3]
	s_cbranch_vccnz .LBB184_1768
.LBB184_1767:
	global_load_ubyte v9, v[6:7], off
	v_mov_b32_e32 v11, 0x3c00
	v_mov_b32_e32 v8, 0
	s_mov_b64 s[6:7], -1
	s_waitcnt vmcnt(0)
	v_cmp_ne_u16_e32 vcc, 0, v9
	s_nop 1
	v_cndmask_b32_e32 v11, 0, v11, vcc
.LBB184_1768:
	s_mov_b64 s[0:1], 0
.LBB184_1769:
	s_and_b64 vcc, exec, s[0:1]
	s_cbranch_vccz .LBB184_1844
; %bb.1770:
	s_cmp_lt_i32 s28, 5
	s_cbranch_scc1 .LBB184_1775
; %bb.1771:
	s_cmp_lt_i32 s28, 8
	s_cbranch_scc1 .LBB184_1777
	;; [unrolled: 3-line block ×3, first 2 shown]
; %bb.1773:
	s_cmp_gt_i32 s28, 9
	s_cbranch_scc0 .LBB184_1796
; %bb.1774:
	global_load_dwordx4 v[12:15], v[6:7], off
	s_movk_i32 s0, 0x1ff
	s_movk_i32 s1, 0xffe
	v_mov_b32_e32 v8, 0x7c00
	v_mov_b32_e32 v9, 0x7e00
	s_movk_i32 s2, 0x40f
	s_mov_b32 s3, 0x8000
	s_waitcnt vmcnt(0)
	v_and_or_b32 v11, v13, s0, v12
	v_and_or_b32 v14, v15, s0, v14
	v_cmp_ne_u32_e32 vcc, 0, v11
	v_lshrrev_b32_e32 v12, 8, v13
	v_bfe_u32 v16, v13, 20, 11
	v_cndmask_b32_e64 v11, 0, 1, vcc
	v_cmp_ne_u32_e32 vcc, 0, v14
	v_lshrrev_b32_e32 v17, 8, v15
	v_bfe_u32 v18, v15, 20, 11
	v_sub_u32_e32 v19, 0x3f1, v16
	v_cndmask_b32_e64 v14, 0, 1, vcc
	v_and_or_b32 v11, v12, s1, v11
	v_add_u32_e32 v16, 0xfffffc10, v16
	v_sub_u32_e32 v20, 0x3f1, v18
	v_add_u32_e32 v18, 0xfffffc10, v18
	v_med3_i32 v12, v19, 0, 13
	v_and_or_b32 v14, v17, s1, v14
	v_or_b32_e32 v19, 0x1000, v11
	v_cmp_ne_u32_e32 vcc, 0, v11
	v_med3_i32 v17, v20, 0, 13
	v_lshl_or_b32 v20, v16, 12, v11
	v_cndmask_b32_e32 v11, v8, v9, vcc
	v_or_b32_e32 v21, 0x1000, v14
	v_lshl_or_b32 v22, v18, 12, v14
	v_cmp_ne_u32_e32 vcc, 0, v14
	v_lshrrev_b32_e32 v14, v12, v19
	v_lshrrev_b32_e32 v23, v17, v21
	v_lshlrev_b32_e32 v12, v12, v14
	v_cndmask_b32_e32 v9, v8, v9, vcc
	v_lshlrev_b32_e32 v17, v17, v23
	v_cmp_ne_u32_e32 vcc, v12, v19
	v_lshrrev_b32_e32 v13, 16, v13
	v_lshrrev_b32_e32 v15, 16, v15
	v_cndmask_b32_e64 v12, 0, 1, vcc
	v_cmp_ne_u32_e32 vcc, v17, v21
	v_or_b32_e32 v12, v14, v12
	s_mov_b64 s[0:1], 0
	v_cndmask_b32_e64 v17, 0, 1, vcc
	v_cmp_gt_i32_e32 vcc, 1, v16
	v_or_b32_e32 v14, v23, v17
	s_nop 0
	v_cndmask_b32_e32 v12, v20, v12, vcc
	v_cmp_gt_i32_e32 vcc, 1, v18
	v_and_b32_e32 v17, 7, v12
	v_lshrrev_b32_e32 v12, 2, v12
	v_cndmask_b32_e32 v14, v22, v14, vcc
	v_cmp_lt_i32_e32 vcc, 5, v17
	v_and_b32_e32 v19, 7, v14
	v_lshrrev_b32_e32 v14, 2, v14
	v_cndmask_b32_e64 v20, 0, 1, vcc
	v_cmp_eq_u32_e32 vcc, 3, v17
	s_nop 1
	v_cndmask_b32_e64 v17, 0, 1, vcc
	v_cmp_lt_i32_e32 vcc, 5, v19
	v_or_b32_e32 v17, v17, v20
	v_add_u32_e32 v12, v12, v17
	v_cndmask_b32_e64 v21, 0, 1, vcc
	v_cmp_eq_u32_e32 vcc, 3, v19
	s_nop 1
	v_cndmask_b32_e64 v19, 0, 1, vcc
	v_or_b32_e32 v19, v19, v21
	v_cmp_gt_i32_e32 vcc, 31, v16
	v_add_u32_e32 v14, v14, v19
	s_nop 0
	v_cndmask_b32_e32 v12, v8, v12, vcc
	v_cmp_gt_i32_e32 vcc, 31, v18
	s_nop 1
	v_cndmask_b32_e32 v8, v8, v14, vcc
	v_cmp_eq_u32_e32 vcc, s2, v16
	s_nop 1
	v_cndmask_b32_e32 v11, v12, v11, vcc
	v_cmp_eq_u32_e32 vcc, s2, v18
	v_and_or_b32 v11, v13, s3, v11
	s_nop 0
	v_cndmask_b32_e32 v8, v8, v9, vcc
	v_and_or_b32 v8, v15, s3, v8
	s_branch .LBB184_1797
.LBB184_1775:
	s_mov_b64 s[0:1], -1
                                        ; implicit-def: $vgpr8
                                        ; implicit-def: $vgpr11
	s_branch .LBB184_1822
.LBB184_1776:
	s_mov_b64 s[2:3], -1
                                        ; implicit-def: $vgpr11
	s_branch .LBB184_1789
.LBB184_1777:
	s_mov_b64 s[0:1], -1
                                        ; implicit-def: $vgpr8
                                        ; implicit-def: $vgpr11
	s_branch .LBB184_1803
.LBB184_1778:
	s_or_saveexec_b64 s[10:11], s[10:11]
	v_mov_b32_e32 v11, 0x7e00
	s_xor_b64 exec, exec, s[10:11]
	s_cbranch_execz .LBB184_1749
.LBB184_1779:
	v_cmp_ne_u16_e32 vcc, 0, v8
	s_andn2_b64 s[6:7], s[6:7], exec
	s_and_b64 s[18:19], vcc, exec
	s_or_b64 s[6:7], s[6:7], s[18:19]
	v_mov_b32_e32 v11, v8
	s_or_b64 exec, exec, s[10:11]
	s_and_saveexec_b64 s[10:11], s[6:7]
	s_cbranch_execnz .LBB184_1750
	s_branch .LBB184_1751
.LBB184_1780:
	s_mov_b64 s[2:3], -1
                                        ; implicit-def: $vgpr11
	s_branch .LBB184_1786
.LBB184_1781:
	s_mov_b64 s[0:1], -1
                                        ; implicit-def: $vgpr8
                                        ; implicit-def: $vgpr11
	s_branch .LBB184_1800
.LBB184_1782:
	s_mov_b64 s[2:3], -1
                                        ; implicit-def: $vgpr11
.LBB184_1783:
	s_and_b64 vcc, exec, s[2:3]
	s_cbranch_vccz .LBB184_1785
; %bb.1784:
	global_load_ubyte v8, v[6:7], off
	s_mov_b32 s2, 0x7f800000
	s_waitcnt vmcnt(0)
	v_lshlrev_b32_e32 v8, 24, v8
	v_and_b32_e32 v9, 0x7f000000, v8
	v_ffbh_u32_e32 v11, v9
	v_min_u32_e32 v11, 32, v11
	v_sub_u32_e64 v11, v11, 4 clamp
	v_lshlrev_b32_e32 v13, v11, v9
	v_lshlrev_b32_e32 v11, 23, v11
	v_lshrrev_b32_e32 v13, 4, v13
	v_add_u32_e32 v12, 0x1000000, v9
	v_sub_u32_e32 v11, v13, v11
	v_ashrrev_i32_e32 v12, 8, v12
	v_add_u32_e32 v11, 0x3c000000, v11
	v_and_or_b32 v11, v12, s2, v11
	v_cmp_ne_u32_e32 vcc, 0, v9
	s_brev_b32 s2, 1
	s_nop 0
	v_cndmask_b32_e32 v9, 0, v11, vcc
	v_and_or_b32 v8, v8, s2, v9
	v_cvt_f16_f32_e32 v11, v8
.LBB184_1785:
	s_mov_b64 s[2:3], 0
.LBB184_1786:
	s_andn2_b64 vcc, exec, s[2:3]
	s_cbranch_vccnz .LBB184_1788
; %bb.1787:
	global_load_ubyte v8, v[6:7], off
	s_movk_i32 s2, 0x7f00
	s_brev_b32 s3, 16
	s_waitcnt vmcnt(0)
	v_lshlrev_b16_e32 v9, 8, v8
	v_lshlrev_b32_e32 v8, 25, v8
	v_lshrrev_b32_e32 v11, 4, v8
	v_and_or_b32 v12, v9, s2, 0.5
	v_or_b32_e32 v11, 0x70000000, v11
	v_add_f32_e32 v12, -0.5, v12
	v_mul_f32_e32 v11, 0x7800000, v11
	v_cmp_gt_u32_e32 vcc, s3, v8
	v_bfe_i32 v9, v9, 0, 16
	s_brev_b32 s2, 1
	v_cndmask_b32_e32 v8, v11, v12, vcc
	v_and_or_b32 v8, v9, s2, v8
	v_cvt_f16_f32_e32 v11, v8
.LBB184_1788:
	s_mov_b64 s[2:3], 0
	s_mov_b64 s[6:7], -1
.LBB184_1789:
	s_andn2_b64 vcc, exec, s[2:3]
	s_mov_b64 s[2:3], 0
	s_cbranch_vccnz .LBB184_1812
; %bb.1790:
	s_cmp_gt_i32 s28, 14
	s_cbranch_scc0 .LBB184_1793
; %bb.1791:
	s_cmp_eq_u32 s28, 15
	s_cbranch_scc0 .LBB184_1808
; %bb.1792:
	global_load_ushort v8, v[6:7], off
	s_mov_b64 s[0:1], 0
	s_mov_b64 s[6:7], -1
	s_waitcnt vmcnt(0)
	v_lshlrev_b32_e32 v8, 16, v8
	v_cvt_f16_f32_e32 v11, v8
	s_branch .LBB184_1809
.LBB184_1793:
	s_mov_b64 s[10:11], -1
                                        ; implicit-def: $vgpr11
	s_branch .LBB184_1810
.LBB184_1794:
	s_or_saveexec_b64 s[6:7], s[6:7]
	v_mov_b32_e32 v11, 0x7e00
	s_xor_b64 exec, exec, s[6:7]
	s_cbranch_execz .LBB184_1762
.LBB184_1795:
	v_cmp_ne_u16_e32 vcc, 0, v8
	s_andn2_b64 s[2:3], s[2:3], exec
	s_and_b64 s[10:11], vcc, exec
	s_or_b64 s[2:3], s[2:3], s[10:11]
	v_mov_b32_e32 v11, v8
	s_or_b64 exec, exec, s[6:7]
	s_and_saveexec_b64 s[6:7], s[2:3]
	s_cbranch_execnz .LBB184_1763
	s_branch .LBB184_1764
.LBB184_1796:
	s_mov_b64 s[0:1], -1
                                        ; implicit-def: $vgpr8
                                        ; implicit-def: $vgpr11
.LBB184_1797:
	s_andn2_b64 vcc, exec, s[0:1]
	s_cbranch_vccnz .LBB184_1799
; %bb.1798:
	global_load_dwordx2 v[8:9], v[6:7], off
	s_waitcnt vmcnt(0)
	v_cvt_f16_f32_e32 v11, v8
	v_cvt_f16_f32_e32 v8, v9
.LBB184_1799:
	s_mov_b64 s[0:1], 0
.LBB184_1800:
	s_andn2_b64 vcc, exec, s[0:1]
	s_cbranch_vccnz .LBB184_1802
; %bb.1801:
	global_load_dword v11, v[6:7], off
	s_waitcnt vmcnt(0)
	v_lshrrev_b32_e32 v8, 16, v11
.LBB184_1802:
	s_mov_b64 s[0:1], 0
.LBB184_1803:
	s_andn2_b64 vcc, exec, s[0:1]
	s_cbranch_vccnz .LBB184_1821
; %bb.1804:
	s_cmp_lt_i32 s28, 6
	s_cbranch_scc1 .LBB184_1807
; %bb.1805:
	s_cmp_gt_i32 s28, 6
	s_cbranch_scc0 .LBB184_1814
; %bb.1806:
	global_load_dwordx2 v[8:9], v[6:7], off
	s_movk_i32 s0, 0x1ff
	s_movk_i32 s1, 0xffe
	v_mov_b32_e32 v11, 0x7c00
	v_mov_b32_e32 v12, 0x7e00
	s_movk_i32 s2, 0x40f
	s_mov_b32 s3, 0x8000
	s_waitcnt vmcnt(0)
	v_and_or_b32 v8, v9, s0, v8
	v_cmp_ne_u32_e32 vcc, 0, v8
	v_lshrrev_b32_e32 v13, 8, v9
	v_bfe_u32 v14, v9, 20, 11
	v_cndmask_b32_e64 v8, 0, 1, vcc
	v_sub_u32_e32 v15, 0x3f1, v14
	v_and_or_b32 v8, v13, s1, v8
	v_add_u32_e32 v14, 0xfffffc10, v14
	v_med3_i32 v13, v15, 0, 13
	v_or_b32_e32 v15, 0x1000, v8
	v_cmp_ne_u32_e32 vcc, 0, v8
	v_lshl_or_b32 v16, v14, 12, v8
	v_lshrrev_b32_e32 v9, 16, v9
	v_cndmask_b32_e32 v8, v11, v12, vcc
	v_lshrrev_b32_e32 v12, v13, v15
	v_lshlrev_b32_e32 v13, v13, v12
	v_cmp_ne_u32_e32 vcc, v13, v15
	s_mov_b64 s[0:1], 0
	s_nop 0
	v_cndmask_b32_e64 v13, 0, 1, vcc
	v_or_b32_e32 v12, v12, v13
	v_cmp_gt_i32_e32 vcc, 1, v14
	s_nop 1
	v_cndmask_b32_e32 v12, v16, v12, vcc
	v_and_b32_e32 v13, 7, v12
	v_cmp_lt_i32_e32 vcc, 5, v13
	v_lshrrev_b32_e32 v12, 2, v12
	s_nop 0
	v_cndmask_b32_e64 v15, 0, 1, vcc
	v_cmp_eq_u32_e32 vcc, 3, v13
	s_nop 1
	v_cndmask_b32_e64 v13, 0, 1, vcc
	v_or_b32_e32 v13, v13, v15
	v_add_u32_e32 v12, v12, v13
	v_cmp_gt_i32_e32 vcc, 31, v14
	s_nop 1
	v_cndmask_b32_e32 v11, v11, v12, vcc
	v_cmp_eq_u32_e32 vcc, s2, v14
	s_nop 1
	v_cndmask_b32_e32 v8, v11, v8, vcc
	v_and_or_b32 v11, v9, s3, v8
	s_branch .LBB184_1815
.LBB184_1807:
	s_mov_b64 s[0:1], -1
                                        ; implicit-def: $vgpr11
	s_branch .LBB184_1818
.LBB184_1808:
	s_mov_b64 s[0:1], -1
                                        ; implicit-def: $vgpr11
.LBB184_1809:
	s_mov_b64 s[10:11], 0
.LBB184_1810:
	s_and_b64 vcc, exec, s[10:11]
	s_cbranch_vccz .LBB184_1812
; %bb.1811:
	s_cmp_lg_u32 s28, 11
	s_mov_b64 s[2:3], -1
	s_cselect_b64 s[0:1], -1, 0
.LBB184_1812:
	v_mov_b32_e32 v8, 0
	s_and_b64 vcc, exec, s[0:1]
	s_cbranch_vccz .LBB184_1766
.LBB184_1813:
	s_trap 2
	s_or_b64 s[16:17], s[16:17], exec
	s_cbranch_execz .LBB184_1767
	s_branch .LBB184_1768
.LBB184_1814:
	s_mov_b64 s[0:1], -1
                                        ; implicit-def: $vgpr11
.LBB184_1815:
	s_andn2_b64 vcc, exec, s[0:1]
	s_cbranch_vccnz .LBB184_1817
; %bb.1816:
	global_load_dword v8, v[6:7], off
	s_waitcnt vmcnt(0)
	v_cvt_f16_f32_e32 v11, v8
.LBB184_1817:
	s_mov_b64 s[0:1], 0
.LBB184_1818:
	s_andn2_b64 vcc, exec, s[0:1]
	s_cbranch_vccnz .LBB184_1820
; %bb.1819:
	global_load_ushort v11, v[6:7], off
.LBB184_1820:
	v_mov_b32_e32 v8, 0
.LBB184_1821:
	s_mov_b64 s[0:1], 0
.LBB184_1822:
	s_andn2_b64 vcc, exec, s[0:1]
	s_cbranch_vccnz .LBB184_1843
; %bb.1823:
	s_cmp_lt_i32 s28, 2
	s_cbranch_scc1 .LBB184_1827
; %bb.1824:
	s_cmp_lt_i32 s28, 3
	s_cbranch_scc1 .LBB184_1828
; %bb.1825:
	s_cmp_gt_i32 s28, 3
	s_cbranch_scc0 .LBB184_1829
; %bb.1826:
	global_load_dwordx2 v[8:9], v[6:7], off
	s_mov_b64 s[0:1], 0
	s_waitcnt vmcnt(0)
	v_xor_b32_e32 v12, v8, v9
	v_ffbh_i32_e32 v11, v9
	v_ashrrev_i32_e32 v12, 31, v12
	v_add_u32_e32 v11, -1, v11
	v_add_u32_e32 v12, 32, v12
	v_min_u32_e32 v11, v11, v12
	v_lshlrev_b64 v[8:9], v11, v[8:9]
	v_min_u32_e32 v8, 1, v8
	v_or_b32_e32 v8, v9, v8
	v_cvt_f32_i32_e32 v8, v8
	v_sub_u32_e32 v9, 32, v11
	v_ldexp_f32 v8, v8, v9
	v_cvt_f16_f32_e32 v11, v8
	s_branch .LBB184_1830
.LBB184_1827:
	s_mov_b64 s[0:1], -1
                                        ; implicit-def: $vgpr11
	s_branch .LBB184_1836
.LBB184_1828:
	s_mov_b64 s[0:1], -1
                                        ; implicit-def: $vgpr11
	s_branch .LBB184_1833
.LBB184_1829:
	s_mov_b64 s[0:1], -1
                                        ; implicit-def: $vgpr11
.LBB184_1830:
	s_andn2_b64 vcc, exec, s[0:1]
	s_cbranch_vccnz .LBB184_1832
; %bb.1831:
	global_load_dword v8, v[6:7], off
	s_waitcnt vmcnt(0)
	v_cvt_f32_i32_e32 v8, v8
	v_cvt_f16_f32_e32 v11, v8
.LBB184_1832:
	s_mov_b64 s[0:1], 0
.LBB184_1833:
	s_andn2_b64 vcc, exec, s[0:1]
	s_cbranch_vccnz .LBB184_1835
; %bb.1834:
	global_load_ushort v8, v[6:7], off
	s_waitcnt vmcnt(0)
	v_cvt_f16_i16_e32 v11, v8
.LBB184_1835:
	s_mov_b64 s[0:1], 0
.LBB184_1836:
	s_andn2_b64 vcc, exec, s[0:1]
	s_cbranch_vccnz .LBB184_1842
; %bb.1837:
	s_cmp_gt_i32 s28, 0
	s_cbranch_scc0 .LBB184_1839
; %bb.1838:
	global_load_sbyte v8, v[6:7], off
	s_mov_b64 s[0:1], 0
	s_waitcnt vmcnt(0)
	v_cvt_f16_i16_e32 v11, v8
	s_branch .LBB184_1840
.LBB184_1839:
	s_mov_b64 s[0:1], -1
                                        ; implicit-def: $vgpr11
.LBB184_1840:
	s_andn2_b64 vcc, exec, s[0:1]
	s_cbranch_vccnz .LBB184_1842
; %bb.1841:
	global_load_ubyte v6, v[6:7], off
	s_waitcnt vmcnt(0)
	v_cvt_f16_u16_e32 v11, v6
.LBB184_1842:
	v_mov_b32_e32 v8, 0
.LBB184_1843:
	s_mov_b64 s[6:7], -1
.LBB184_1844:
	s_andn2_b64 vcc, exec, s[6:7]
	s_cbranch_vccnz .LBB184_2316
; %bb.1845:
	v_cvt_f32_f16_e32 v9, v8
	s_waitcnt vmcnt(0)
	v_cmp_neq_f16_e32 vcc, 0, v11
	v_cmp_neq_f16_e64 s[0:1], 0, v8
	s_or_b64 s[0:1], vcc, s[0:1]
	v_mov_b32_e32 v8, 0
	s_and_saveexec_b64 s[6:7], s[0:1]
	s_cbranch_execz .LBB184_1875
; %bb.1846:
	v_mov_b32_e32 v8, 0x7f800000
	v_cmp_neq_f32_e64 s[0:1], |v9|, v8
	s_and_saveexec_b64 s[10:11], s[0:1]
	s_cbranch_execz .LBB184_1874
; %bb.1847:
	v_cvt_f32_f16_e32 v12, v11
	v_cmp_o_f16_e32 vcc, v11, v11
	s_and_saveexec_b64 s[0:1], vcc
	s_xor_b64 s[18:19], exec, s[0:1]
	s_cbranch_execz .LBB184_1871
; %bb.1848:
	s_mov_b32 s0, 0x7f800000
	v_cmp_neq_f32_e64 s[0:1], |v12|, s0
	s_and_saveexec_b64 s[2:3], s[0:1]
	s_xor_b64 s[20:21], exec, s[2:3]
	s_cbranch_execz .LBB184_1864
; %bb.1849:
	v_max_f32_e64 v6, |v9|, |v9|
	v_max_f32_e64 v7, |v12|, |v12|
	v_max_f32_e32 v6, v7, v6
	s_mov_b32 s0, 0x7ed413cb
	v_cmp_nle_f32_e64 s[0:1], s0, v6
                                        ; implicit-def: $sgpr22_sgpr23
	s_and_saveexec_b64 s[2:3], s[0:1]
	s_xor_b64 s[2:3], exec, s[2:3]
	s_cbranch_execz .LBB184_1853
; %bb.1850:
	s_mov_b32 s9, 0x1000000
	v_cmp_le_f32_e64 s[22:23], |v12|, s9
	v_cmp_le_f32_e64 s[24:25], |v9|, s9
	s_and_b64 s[26:27], s[22:23], s[24:25]
	s_mov_b64 s[22:23], 0
	s_and_saveexec_b64 s[24:25], s[26:27]
; %bb.1851:
	s_mov_b64 s[22:23], exec
	v_mul_f32_e32 v9, 4.0, v9
	v_mul_f32_e32 v12, 4.0, v12
; %bb.1852:
	s_or_b64 exec, exec, s[24:25]
.LBB184_1853:
	s_andn2_saveexec_b64 s[2:3], s[2:3]
; %bb.1854:
	v_mul_f32_e32 v12, 0x3e800000, v12
	v_mul_f32_e32 v9, 0x3e800000, v9
	s_andn2_b64 s[22:23], s[22:23], exec
; %bb.1855:
	s_or_b64 exec, exec, s[2:3]
	v_max_f32_e64 v6, |v9|, |v9|
	v_max_f32_e64 v7, |v12|, |v12|
	v_max_f32_e32 v8, v7, v6
	v_cvt_f64_f32_e32 v[6:7], v8
	v_frexp_exp_i32_f64_e32 v6, v[6:7]
	v_sub_u32_e32 v7, 0, v6
	v_ldexp_f32 v11, |v12|, v7
	v_ldexp_f32 v7, |v9|, v7
	v_mul_f32_e32 v7, v7, v7
	v_fmac_f32_e32 v7, v11, v11
	v_sqrt_f32_e32 v7, v7
	s_mov_b32 s2, 0x7f800000
	v_cmp_neq_f32_e64 s[2:3], s2, v8
	v_cmp_le_f32_e32 vcc, 0, v12
	v_ldexp_f32 v6, v7, v6
	v_mov_b32_e32 v7, 0x7f800000
	v_cndmask_b32_e64 v8, v7, v6, s[2:3]
                                        ; implicit-def: $vgpr6_vgpr7
	s_and_saveexec_b64 s[2:3], vcc
	s_xor_b64 s[24:25], exec, s[2:3]
	s_cbranch_execz .LBB184_1857
; %bb.1856:
	v_add_f32_e32 v6, v12, v8
	v_mul_f32_e32 v6, 0.5, v6
	s_mov_b32 s2, 0xf800000
	v_mul_f32_e32 v7, 0x4f800000, v6
	v_cmp_gt_f32_e32 vcc, s2, v6
	s_nop 1
	v_cndmask_b32_e32 v6, v6, v7, vcc
	v_sqrt_f32_e32 v7, v6
	s_nop 0
	v_add_u32_e32 v8, -1, v7
	v_fma_f32 v11, -v8, v7, v6
	v_cmp_ge_f32_e64 s[2:3], 0, v11
	v_add_u32_e32 v11, 1, v7
	s_nop 0
	v_cndmask_b32_e64 v8, v7, v8, s[2:3]
	v_fma_f32 v7, -v11, v7, v6
	v_cmp_lt_f32_e64 s[2:3], 0, v7
	s_nop 1
	v_cndmask_b32_e64 v7, v8, v11, s[2:3]
	v_mul_f32_e32 v8, 0x37800000, v7
	v_cndmask_b32_e32 v7, v7, v8, vcc
	v_mov_b32_e32 v8, 0x260
	v_cmp_class_f32_e32 vcc, v6, v8
	s_nop 1
	v_cndmask_b32_e32 v6, v7, v6, vcc
	v_add_f32_e32 v7, v6, v6
	v_div_scale_f32 v8, s[2:3], v7, v7, v9
	v_rcp_f32_e32 v11, v8
	s_nop 0
	v_fma_f32 v12, -v8, v11, 1.0
	v_fmac_f32_e32 v11, v12, v11
	v_div_scale_f32 v12, vcc, v9, v7, v9
	v_mul_f32_e32 v13, v12, v11
	v_fma_f32 v14, -v8, v13, v12
	v_fmac_f32_e32 v13, v14, v11
	v_fma_f32 v8, -v8, v13, v12
	v_div_fmas_f32 v8, v8, v11, v13
	v_div_fixup_f32 v7, v8, v7, v9
                                        ; implicit-def: $vgpr8
                                        ; implicit-def: $vgpr12
                                        ; implicit-def: $vgpr9
	s_andn2_saveexec_b64 s[24:25], s[24:25]
	s_cbranch_execz .LBB184_1859
	s_branch .LBB184_1858
.LBB184_1857:
	s_andn2_saveexec_b64 s[24:25], s[24:25]
	s_cbranch_execz .LBB184_1859
.LBB184_1858:
	v_sub_f32_e32 v6, v8, v12
	v_mul_f32_e32 v6, 0.5, v6
	s_mov_b32 s2, 0xf800000
	v_mul_f32_e32 v7, 0x4f800000, v6
	v_cmp_gt_f32_e32 vcc, s2, v6
	s_nop 1
	v_cndmask_b32_e32 v6, v6, v7, vcc
	v_sqrt_f32_e32 v7, v6
	s_nop 0
	v_add_u32_e32 v8, -1, v7
	v_fma_f32 v11, -v8, v7, v6
	v_cmp_ge_f32_e64 s[2:3], 0, v11
	v_add_u32_e32 v11, 1, v7
	s_nop 0
	v_cndmask_b32_e64 v8, v7, v8, s[2:3]
	v_fma_f32 v7, -v11, v7, v6
	v_cmp_lt_f32_e64 s[2:3], 0, v7
	s_nop 1
	v_cndmask_b32_e64 v7, v8, v11, s[2:3]
	v_mul_f32_e32 v8, 0x37800000, v7
	v_cndmask_b32_e32 v7, v7, v8, vcc
	v_mov_b32_e32 v8, 0x260
	v_cmp_class_f32_e32 vcc, v6, v8
	v_and_b32_e32 v8, 0x7fffffff, v9
	s_nop 0
	v_cndmask_b32_e32 v7, v7, v6, vcc
	v_add_f32_e32 v6, v7, v7
	v_div_scale_f32 v11, s[2:3], v6, v6, v8
	v_rcp_f32_e32 v12, v11
	v_div_scale_f32 v8, vcc, v8, v6, v8
	s_brev_b32 s2, -2
	v_fma_f32 v13, -v11, v12, 1.0
	v_fmac_f32_e32 v12, v13, v12
	v_mul_f32_e32 v13, v8, v12
	v_fma_f32 v14, -v11, v13, v8
	v_fmac_f32_e32 v13, v14, v12
	v_fma_f32 v8, -v11, v13, v8
	v_div_fmas_f32 v8, v8, v12, v13
	v_div_fixup_f32 v6, v8, v6, |v9|
	v_bfi_b32 v7, s2, v7, v9
.LBB184_1859:
	s_or_b64 exec, exec, s[24:25]
                                        ; implicit-def: $vgpr9
	s_and_saveexec_b64 s[2:3], s[0:1]
	s_xor_b64 s[0:1], exec, s[2:3]
	s_cbranch_execz .LBB184_1861
; %bb.1860:
	v_pk_mul_f32 v[8:9], v[6:7], 0.5 op_sel_hi:[1,0]
	s_nop 0
	v_cndmask_b32_e64 v8, v6, v8, s[22:23]
	v_cndmask_b32_e64 v9, v7, v9, s[22:23]
                                        ; implicit-def: $vgpr6_vgpr7
	s_andn2_saveexec_b64 s[0:1], s[0:1]
	s_cbranch_execnz .LBB184_1862
	s_branch .LBB184_1863
.LBB184_1861:
	s_andn2_saveexec_b64 s[0:1], s[0:1]
.LBB184_1862:
	v_pk_add_f32 v[8:9], v[6:7], v[6:7]
.LBB184_1863:
	s_or_b64 exec, exec, s[0:1]
                                        ; implicit-def: $vgpr12
                                        ; implicit-def: $vgpr11
.LBB184_1864:
	s_andn2_saveexec_b64 s[0:1], s[20:21]
	s_cbranch_execz .LBB184_1870
; %bb.1865:
	v_sub_f32_e32 v6, v9, v9
	v_cmp_lt_i16_e32 vcc, -1, v11
	s_brev_b32 s9, -2
	v_and_b32_e32 v8, 0x7fffffff, v6
	s_and_saveexec_b64 s[2:3], vcc
	s_xor_b64 s[2:3], exec, s[2:3]
; %bb.1866:
	v_bfi_b32 v9, s9, v6, v9
	v_mov_b32_e32 v8, v12
; %bb.1867:
	s_andn2_saveexec_b64 s[2:3], s[2:3]
; %bb.1868:
	v_bfi_b32 v9, s9, v12, v9
; %bb.1869:
	s_or_b64 exec, exec, s[2:3]
.LBB184_1870:
	s_or_b64 exec, exec, s[0:1]
                                        ; implicit-def: $vgpr12
.LBB184_1871:
	s_andn2_saveexec_b64 s[0:1], s[18:19]
	s_cbranch_execz .LBB184_1873
; %bb.1872:
	v_sub_f32_e32 v6, v9, v9
	v_div_scale_f32 v7, vcc, v6, v6, v6
	v_rcp_f32_e32 v8, v7
	s_nop 0
	v_fma_f32 v9, -v7, v8, 1.0
	v_fmac_f32_e32 v8, v9, v8
	v_mul_f32_e32 v9, v7, v8
	v_fma_f32 v11, -v7, v9, v7
	v_fmac_f32_e32 v9, v11, v8
	v_fma_f32 v7, -v7, v9, v7
	v_div_fmas_f32 v7, v7, v8, v9
	v_div_fixup_f32 v9, v7, v6, v6
	v_mov_b32_e32 v8, v12
.LBB184_1873:
	s_or_b64 exec, exec, s[0:1]
.LBB184_1874:
	s_or_b64 exec, exec, s[10:11]
.LBB184_1875:
	s_or_b64 exec, exec, s[6:7]
	v_cmp_gt_f32_e32 vcc, 0, v9
                                        ; implicit-def: $vgpr6_vgpr7
	s_nop 1
	v_cndmask_b32_e64 v12, v9, -v9, vcc
	v_cmp_gt_f32_e32 vcc, 0, v8
	s_nop 1
	v_cndmask_b32_e64 v11, v8, -v8, vcc
	v_cmp_ge_f32_e32 vcc, v11, v12
	s_and_saveexec_b64 s[0:1], vcc
	s_xor_b64 s[2:3], exec, s[0:1]
	s_cbranch_execz .LBB184_1881
; %bb.1876:
	v_cmp_neq_f32_e32 vcc, 0, v8
	v_cmp_neq_f32_e64 s[0:1], 0, v9
	s_or_b64 s[0:1], vcc, s[0:1]
                                        ; implicit-def: $vgpr6_vgpr7
	s_and_saveexec_b64 s[6:7], s[0:1]
	s_xor_b64 s[0:1], exec, s[6:7]
	s_cbranch_execz .LBB184_1878
; %bb.1877:
	v_div_scale_f32 v6, s[6:7], v8, v8, v9
	v_rcp_f32_e32 v7, v6
	v_div_scale_f32 v11, vcc, v9, v8, v9
	v_fma_f32 v12, -v6, v7, 1.0
	v_fmac_f32_e32 v7, v12, v7
	v_mul_f32_e32 v12, v11, v7
	v_fma_f32 v13, -v6, v12, v11
	v_fmac_f32_e32 v12, v13, v7
	v_fma_f32 v6, -v6, v12, v11
	v_div_fmas_f32 v6, v6, v7, v12
	v_div_fixup_f32 v7, v6, v8, v9
	v_fmac_f32_e32 v8, v9, v7
	v_div_scale_f32 v6, s[6:7], v8, v8, 1.0
	v_rcp_f32_e32 v9, v6
	s_nop 0
	v_fma_f32 v11, -v6, v9, 1.0
	v_fmac_f32_e32 v9, v11, v9
	v_div_scale_f32 v11, vcc, 1.0, v8, 1.0
	v_mul_f32_e32 v12, v11, v9
	v_fma_f32 v13, -v6, v12, v11
	v_fmac_f32_e32 v12, v13, v9
	v_fma_f32 v6, -v6, v12, v11
	v_div_fmas_f32 v6, v6, v9, v12
	v_div_fixup_f32 v6, v6, v8, 1.0
	v_mul_f32_e32 v8, 0, v7
	v_add_f32_e32 v8, 1.0, v8
	v_sub_f32_e32 v9, 0, v7
	v_pk_mul_f32 v[6:7], v[8:9], v[6:7] op_sel_hi:[1,0]
                                        ; implicit-def: $vgpr12
                                        ; implicit-def: $vgpr11
.LBB184_1878:
	s_andn2_saveexec_b64 s[0:1], s[0:1]
	s_cbranch_execz .LBB184_1880
; %bb.1879:
	v_div_scale_f32 v6, s[6:7], v12, v12, 0
	v_rcp_f32_e32 v7, v6
	v_div_scale_f32 v8, vcc, 0, v12, 0
	v_fma_f32 v9, -v6, v7, 1.0
	v_fmac_f32_e32 v7, v9, v7
	v_mul_f32_e32 v9, v8, v7
	v_fma_f32 v13, -v6, v9, v8
	v_fmac_f32_e32 v9, v13, v7
	v_fma_f32 v6, -v6, v9, v8
	v_div_scale_f32 v8, s[6:7], v11, v11, 1.0
	v_rcp_f32_e32 v13, v8
	v_div_fmas_f32 v6, v6, v7, v9
	v_div_fixup_f32 v7, v6, v12, 0
	v_fma_f32 v6, -v8, v13, 1.0
	v_fmac_f32_e32 v13, v6, v13
	v_div_scale_f32 v6, vcc, 1.0, v11, 1.0
	v_mul_f32_e32 v9, v6, v13
	v_fma_f32 v12, -v8, v9, v6
	v_fmac_f32_e32 v9, v12, v13
	v_fma_f32 v6, -v8, v9, v6
	v_div_fmas_f32 v6, v6, v13, v9
	v_div_fixup_f32 v6, v6, v11, 1.0
.LBB184_1880:
	s_or_b64 exec, exec, s[0:1]
                                        ; implicit-def: $vgpr9
.LBB184_1881:
	s_andn2_saveexec_b64 s[0:1], s[2:3]
	s_cbranch_execz .LBB184_1883
; %bb.1882:
	v_div_scale_f32 v6, s[2:3], v9, v9, v8
	v_rcp_f32_e32 v7, v6
	v_div_scale_f32 v11, vcc, v8, v9, v8
	v_fma_f32 v12, -v6, v7, 1.0
	v_fmac_f32_e32 v7, v12, v7
	v_mul_f32_e32 v12, v11, v7
	v_fma_f32 v13, -v6, v12, v11
	v_fmac_f32_e32 v12, v13, v7
	v_fma_f32 v6, -v6, v12, v11
	v_div_fmas_f32 v6, v6, v7, v12
	v_div_fixup_f32 v6, v6, v9, v8
	v_fmac_f32_e32 v9, v8, v6
	v_div_scale_f32 v7, s[2:3], v9, v9, 1.0
	v_rcp_f32_e32 v8, v7
	s_mov_b32 s2, 0
	s_mov_b32 s3, -1.0
	v_fma_f32 v11, -v7, v8, 1.0
	v_fmac_f32_e32 v8, v11, v8
	v_div_scale_f32 v11, vcc, 1.0, v9, 1.0
	v_mul_f32_e32 v12, v11, v8
	v_fma_f32 v13, -v7, v12, v11
	v_fmac_f32_e32 v12, v13, v8
	v_fma_f32 v7, -v7, v12, v11
	v_div_fmas_f32 v7, v7, v8, v12
	v_div_fixup_f32 v8, v7, v9, 1.0
	v_mul_f32_e32 v7, 0, v6
	v_pk_add_f32 v[6:7], v[6:7], s[2:3]
	s_nop 0
	v_pk_mul_f32 v[6:7], v[6:7], v[8:9] op_sel_hi:[1,0]
.LBB184_1883:
	s_or_b64 exec, exec, s[0:1]
	v_cvt_f16_f32_e32 v11, v1
	v_cvt_f16_f32_e32 v12, v0
	v_mul_lo_u32 v0, s8, v10
	v_ashrrev_i32_e32 v1, 31, v0
	v_lshlrev_b32_e32 v8, 16, v11
	s_and_b32 s20, s33, 0xff
	v_or_b32_e32 v13, v8, v12
	s_cmp_lt_i32 s20, 11
	v_lshl_add_u64 v[8:9], s[4:5], 0, v[0:1]
	s_cbranch_scc1 .LBB184_1961
; %bb.1884:
	s_and_b32 s9, 0xffff, s20
	s_mov_b64 s[10:11], -1
	s_mov_b64 s[2:3], 0
	s_cmp_gt_i32 s9, 25
	s_mov_b64 s[6:7], 0
	s_mov_b64 s[0:1], 0
	s_cbranch_scc0 .LBB184_1917
; %bb.1885:
	s_cmp_gt_i32 s9, 28
	s_cbranch_scc0 .LBB184_1900
; %bb.1886:
	s_cmp_gt_i32 s9, 43
	;; [unrolled: 3-line block ×3, first 2 shown]
	s_cbranch_scc0 .LBB184_1890
; %bb.1888:
	s_mov_b64 s[0:1], -1
	s_mov_b64 s[10:11], 0
	s_cmp_eq_u32 s9, 46
	s_cbranch_scc0 .LBB184_1890
; %bb.1889:
	v_cvt_f32_f16_e32 v10, v11
	v_cvt_f32_f16_e32 v1, v12
	s_movk_i32 s0, 0x7fff
	v_cmp_o_f16_e32 vcc, v11, v11
	v_bfe_u32 v15, v10, 16, 1
	v_bfe_u32 v14, v1, 16, 1
	v_add3_u32 v10, v10, v15, s0
	v_add3_u32 v1, v1, v14, s0
	v_and_b32_e32 v10, 0xffff0000, v10
	v_mov_b32_e32 v14, 0x7fc00000
	v_cndmask_b32_e32 v10, v14, v10, vcc
	v_cmp_o_f16_e32 vcc, v12, v12
	v_mov_b32_e32 v14, 0x7fc0
	s_mov_b64 s[0:1], 0
	v_cndmask_b32_sdwa v1, v14, v1, vcc dst_sel:DWORD dst_unused:UNUSED_PAD src0_sel:DWORD src1_sel:WORD_1
	v_or_b32_e32 v1, v10, v1
	global_store_dword v[8:9], v1, off
	s_mov_b64 s[6:7], -1
.LBB184_1890:
	s_and_b64 vcc, exec, s[10:11]
	s_cbranch_vccz .LBB184_1895
; %bb.1891:
	s_cmp_eq_u32 s9, 44
	s_mov_b64 s[0:1], -1
	s_cbranch_scc0 .LBB184_1895
; %bb.1892:
	v_cvt_f32_f16_e32 v1, v12
	s_movk_i32 s0, 0xff
	v_mov_b32_e32 v14, 0xff
	v_bfe_u32 v10, v1, 23, 8
	v_cmp_ne_u32_e32 vcc, s0, v10
	s_and_saveexec_b64 s[6:7], vcc
; %bb.1893:
	s_mov_b32 s0, 0x3fffff
	v_lshrrev_b32_e32 v14, 23, v1
	v_and_b32_e32 v15, 0x400000, v1
	v_and_or_b32 v1, v1, s0, v10
	v_cmp_ne_u32_e32 vcc, 0, v15
	v_cmp_ne_u32_e64 s[0:1], 0, v1
	s_and_b64 s[0:1], vcc, s[0:1]
	s_nop 0
	v_cndmask_b32_e64 v1, 0, 1, s[0:1]
	v_add_u32_e32 v14, v14, v1
; %bb.1894:
	s_or_b64 exec, exec, s[6:7]
	s_mov_b64 s[0:1], 0
	s_mov_b64 s[6:7], -1
	global_store_byte v[8:9], v14, off
.LBB184_1895:
	s_mov_b64 s[10:11], 0
.LBB184_1896:
	s_and_b64 vcc, exec, s[10:11]
	s_cbranch_vccz .LBB184_1899
; %bb.1897:
	s_cmp_eq_u32 s9, 29
	s_mov_b64 s[0:1], -1
	s_cbranch_scc0 .LBB184_1899
; %bb.1898:
	v_cvt_f32_f16_e32 v1, v12
	v_mov_b32_e32 v15, 0
	s_mov_b64 s[0:1], 0
	s_mov_b64 s[6:7], -1
	v_cvt_u32_f32_e32 v14, v1
	global_store_dwordx2 v[8:9], v[14:15], off
.LBB184_1899:
	s_mov_b64 s[10:11], 0
.LBB184_1900:
	s_and_b64 vcc, exec, s[10:11]
	s_cbranch_vccz .LBB184_1916
; %bb.1901:
	s_cmp_lt_i32 s9, 27
	s_mov_b64 s[6:7], -1
	s_cbranch_scc1 .LBB184_1907
; %bb.1902:
	s_cmp_gt_i32 s9, 27
	s_cbranch_scc0 .LBB184_1904
; %bb.1903:
	v_cvt_f32_f16_e32 v1, v12
	s_mov_b64 s[6:7], 0
	v_cvt_u32_f32_e32 v1, v1
	global_store_dword v[8:9], v1, off
.LBB184_1904:
	s_andn2_b64 vcc, exec, s[6:7]
	s_cbranch_vccnz .LBB184_1906
; %bb.1905:
	v_cvt_u16_f16_e32 v1, v12
	global_store_short v[8:9], v1, off
.LBB184_1906:
	s_mov_b64 s[6:7], 0
.LBB184_1907:
	s_andn2_b64 vcc, exec, s[6:7]
	s_cbranch_vccnz .LBB184_1915
; %bb.1908:
	v_cvt_f32_f16_e32 v1, v12
	s_mov_b32 s6, 0x43800000
	v_mov_b32_e32 v14, 0x80
	v_and_b32_e32 v10, 0x7fffffff, v1
	v_cmp_gt_u32_e32 vcc, s6, v10
	s_and_saveexec_b64 s[6:7], vcc
	s_cbranch_execz .LBB184_1914
; %bb.1909:
	s_mov_b32 s10, 0x3bffffff
	v_cmp_lt_u32_e32 vcc, s10, v10
	s_mov_b64 s[10:11], 0
                                        ; implicit-def: $vgpr10
	s_and_saveexec_b64 s[18:19], vcc
	s_xor_b64 s[18:19], exec, s[18:19]
	s_cbranch_execz .LBB184_2363
; %bb.1910:
	v_bfe_u32 v10, v1, 20, 1
	s_mov_b32 s21, 0x487ffff
	v_add3_u32 v10, v1, v10, s21
	s_mov_b64 s[10:11], exec
	v_lshrrev_b32_e32 v10, 20, v10
	s_andn2_saveexec_b64 s[18:19], s[18:19]
	s_cbranch_execnz .LBB184_2364
.LBB184_1911:
	s_or_b64 exec, exec, s[18:19]
	v_mov_b32_e32 v14, 0
	s_and_saveexec_b64 s[18:19], s[10:11]
.LBB184_1912:
	v_lshrrev_b32_e32 v1, 24, v1
	s_movk_i32 s10, 0x80
	v_and_or_b32 v14, v1, s10, v10
.LBB184_1913:
	s_or_b64 exec, exec, s[18:19]
.LBB184_1914:
	s_or_b64 exec, exec, s[6:7]
	global_store_byte v[8:9], v14, off
.LBB184_1915:
	s_mov_b64 s[6:7], -1
.LBB184_1916:
	s_mov_b64 s[10:11], 0
.LBB184_1917:
	s_and_b64 vcc, exec, s[10:11]
	s_cbranch_vccz .LBB184_1957
; %bb.1918:
	s_cmp_gt_i32 s9, 22
	s_mov_b64 s[2:3], -1
	s_cbranch_scc0 .LBB184_1950
; %bb.1919:
	s_cmp_lt_i32 s9, 24
	s_cbranch_scc1 .LBB184_1939
; %bb.1920:
	s_cmp_gt_i32 s9, 24
	s_cbranch_scc0 .LBB184_1928
; %bb.1921:
	v_cvt_f32_f16_e32 v1, v12
	s_mov_b32 s2, 0x47800000
	v_mov_b32_e32 v14, 0x80
	v_and_b32_e32 v10, 0x7fffffff, v1
	v_cmp_gt_u32_e32 vcc, s2, v10
	s_and_saveexec_b64 s[2:3], vcc
	s_cbranch_execz .LBB184_1927
; %bb.1922:
	s_mov_b32 s6, 0x37ffffff
	v_cmp_lt_u32_e32 vcc, s6, v10
	s_mov_b64 s[6:7], 0
                                        ; implicit-def: $vgpr10
	s_and_saveexec_b64 s[10:11], vcc
	s_xor_b64 s[10:11], exec, s[10:11]
	s_cbranch_execz .LBB184_2366
; %bb.1923:
	v_bfe_u32 v10, v1, 21, 1
	s_mov_b32 s18, 0x88fffff
	v_add3_u32 v10, v1, v10, s18
	s_mov_b64 s[6:7], exec
	v_lshrrev_b32_e32 v10, 21, v10
	s_andn2_saveexec_b64 s[10:11], s[10:11]
	s_cbranch_execnz .LBB184_2367
.LBB184_1924:
	s_or_b64 exec, exec, s[10:11]
	v_mov_b32_e32 v14, 0
	s_and_saveexec_b64 s[10:11], s[6:7]
.LBB184_1925:
	v_lshrrev_b32_e32 v1, 24, v1
	s_movk_i32 s6, 0x80
	v_and_or_b32 v14, v1, s6, v10
.LBB184_1926:
	s_or_b64 exec, exec, s[10:11]
.LBB184_1927:
	s_or_b64 exec, exec, s[2:3]
	s_mov_b64 s[2:3], 0
	global_store_byte v[8:9], v14, off
.LBB184_1928:
	s_and_b64 vcc, exec, s[2:3]
	s_cbranch_vccz .LBB184_1938
; %bb.1929:
	v_cvt_f32_f16_e32 v1, v12
	s_mov_b32 s2, 0x43f00000
                                        ; implicit-def: $vgpr10
	v_and_b32_e32 v14, 0x7fffffff, v1
	v_cmp_gt_u32_e32 vcc, s2, v14
	s_and_saveexec_b64 s[2:3], vcc
	s_xor_b64 s[2:3], exec, s[2:3]
	s_cbranch_execz .LBB184_1935
; %bb.1930:
	s_mov_b32 s6, 0x3c7fffff
	v_cmp_lt_u32_e32 vcc, s6, v14
                                        ; implicit-def: $vgpr10
	s_and_saveexec_b64 s[6:7], vcc
	s_xor_b64 s[6:7], exec, s[6:7]
; %bb.1931:
	v_bfe_u32 v10, v1, 20, 1
	s_mov_b32 s10, 0x407ffff
	v_add3_u32 v10, v1, v10, s10
	v_lshrrev_b32_e32 v14, 20, v10
	v_and_b32_e32 v10, 0xff00000, v10
	s_mov_b32 s10, 0x7f00000
	v_mov_b32_e32 v15, 0x7e
	v_cmp_ne_u32_e32 vcc, s10, v10
	s_nop 1
	v_cndmask_b32_e32 v10, v15, v14, vcc
; %bb.1932:
	s_andn2_saveexec_b64 s[6:7], s[6:7]
; %bb.1933:
	s_mov_b32 s10, 0x46800000
	v_add_f32_e64 v10, |v1|, s10
; %bb.1934:
	s_or_b64 exec, exec, s[6:7]
                                        ; implicit-def: $vgpr14
.LBB184_1935:
	s_andn2_saveexec_b64 s[2:3], s[2:3]
; %bb.1936:
	s_mov_b32 s6, 0x7f800000
	v_mov_b32_e32 v10, 0x7e
	v_mov_b32_e32 v15, 0x7f
	v_cmp_lt_u32_e32 vcc, s6, v14
	s_nop 1
	v_cndmask_b32_e32 v10, v10, v15, vcc
; %bb.1937:
	s_or_b64 exec, exec, s[2:3]
	v_lshrrev_b32_e32 v1, 24, v1
	s_movk_i32 s2, 0x80
	v_and_or_b32 v1, v1, s2, v10
	global_store_byte v[8:9], v1, off
.LBB184_1938:
	s_mov_b64 s[2:3], 0
.LBB184_1939:
	s_andn2_b64 vcc, exec, s[2:3]
	s_cbranch_vccnz .LBB184_1949
; %bb.1940:
	v_cvt_f32_f16_e32 v1, v12
	s_mov_b32 s2, 0x47800000
                                        ; implicit-def: $vgpr10
	v_and_b32_e32 v14, 0x7fffffff, v1
	v_cmp_gt_u32_e32 vcc, s2, v14
	s_and_saveexec_b64 s[2:3], vcc
	s_xor_b64 s[2:3], exec, s[2:3]
	s_cbranch_execz .LBB184_1946
; %bb.1941:
	s_mov_b32 s6, 0x387fffff
	v_cmp_lt_u32_e32 vcc, s6, v14
                                        ; implicit-def: $vgpr10
	s_and_saveexec_b64 s[6:7], vcc
	s_xor_b64 s[6:7], exec, s[6:7]
; %bb.1942:
	v_bfe_u32 v10, v1, 21, 1
	s_mov_b32 s10, 0x80fffff
	v_add3_u32 v10, v1, v10, s10
	v_lshrrev_b32_e32 v10, 21, v10
; %bb.1943:
	s_andn2_saveexec_b64 s[6:7], s[6:7]
; %bb.1944:
	s_mov_b32 s10, 0x43000000
	v_add_f32_e64 v10, |v1|, s10
; %bb.1945:
	s_or_b64 exec, exec, s[6:7]
                                        ; implicit-def: $vgpr14
.LBB184_1946:
	s_andn2_saveexec_b64 s[2:3], s[2:3]
; %bb.1947:
	s_mov_b32 s6, 0x7f800000
	v_mov_b32_e32 v10, 0x7c
	v_mov_b32_e32 v15, 0x7f
	v_cmp_lt_u32_e32 vcc, s6, v14
	s_nop 1
	v_cndmask_b32_e32 v10, v10, v15, vcc
; %bb.1948:
	s_or_b64 exec, exec, s[2:3]
	v_lshrrev_b32_e32 v1, 24, v1
	s_movk_i32 s2, 0x80
	v_and_or_b32 v1, v1, s2, v10
	global_store_byte v[8:9], v1, off
.LBB184_1949:
	s_mov_b64 s[2:3], 0
	s_mov_b64 s[6:7], -1
.LBB184_1950:
	s_andn2_b64 vcc, exec, s[2:3]
	s_mov_b64 s[2:3], 0
	s_cbranch_vccnz .LBB184_1957
; %bb.1951:
	s_cmp_gt_i32 s9, 14
	s_mov_b64 s[10:11], -1
	s_cbranch_scc0 .LBB184_1955
; %bb.1952:
	s_cmp_eq_u32 s9, 15
	s_mov_b64 s[0:1], -1
	s_cbranch_scc0 .LBB184_1954
; %bb.1953:
	v_cvt_f32_f16_e32 v1, v12
	s_movk_i32 s0, 0x7fff
	v_cmp_o_f16_e32 vcc, v12, v12
	v_mov_b32_e32 v10, 0x7fc0
	v_bfe_u32 v14, v1, 16, 1
	v_add3_u32 v1, v1, v14, s0
	v_cndmask_b32_sdwa v1, v10, v1, vcc dst_sel:DWORD dst_unused:UNUSED_PAD src0_sel:DWORD src1_sel:WORD_1
	global_store_short v[8:9], v1, off
	s_mov_b64 s[0:1], 0
	s_mov_b64 s[6:7], -1
.LBB184_1954:
	s_mov_b64 s[10:11], 0
.LBB184_1955:
	s_and_b64 vcc, exec, s[10:11]
	s_cbranch_vccz .LBB184_1957
; %bb.1956:
	s_cmp_lg_u32 s9, 11
	s_mov_b64 s[2:3], -1
	s_cselect_b64 s[0:1], -1, 0
.LBB184_1957:
	s_and_b64 vcc, exec, s[0:1]
	s_cbranch_vccnz .LBB184_2365
; %bb.1958:
	s_andn2_b64 vcc, exec, s[2:3]
	s_cbranch_vccnz .LBB184_1960
.LBB184_1959:
	v_and_b32_e32 v1, 0x7fff7fff, v13
	v_cmp_ne_u32_e32 vcc, 0, v1
	s_mov_b64 s[6:7], -1
	s_nop 0
	v_cndmask_b32_e64 v1, 0, 1, vcc
	global_store_byte v[8:9], v1, off
.LBB184_1960:
	s_mov_b64 s[0:1], 0
	s_branch .LBB184_1962
.LBB184_1961:
	s_mov_b64 s[0:1], -1
	s_mov_b64 s[6:7], 0
.LBB184_1962:
	s_and_b64 vcc, exec, s[0:1]
	s_cbranch_vccz .LBB184_2001
; %bb.1963:
	s_and_b32 s2, 0xffff, s20
	s_cmp_lt_i32 s2, 5
	s_mov_b64 s[0:1], -1
	s_cbranch_scc1 .LBB184_1984
; %bb.1964:
	s_cmp_lt_i32 s2, 8
	s_cbranch_scc1 .LBB184_1974
; %bb.1965:
	s_cmp_lt_i32 s2, 9
	s_cbranch_scc1 .LBB184_1971
; %bb.1966:
	v_cvt_f32_f16_e32 v11, v11
	s_cmp_gt_i32 s2, 9
	s_cbranch_scc0 .LBB184_1968
; %bb.1967:
	v_cvt_f32_f16_e32 v1, v12
	v_cvt_f64_f32_e32 v[16:17], v11
	s_mov_b64 s[0:1], 0
	v_cvt_f64_f32_e32 v[14:15], v1
	global_store_dwordx4 v[8:9], v[14:17], off
.LBB184_1968:
	s_andn2_b64 vcc, exec, s[0:1]
	s_cbranch_vccnz .LBB184_1970
; %bb.1969:
	v_cvt_f32_f16_e32 v10, v12
	global_store_dwordx2 v[8:9], v[10:11], off
.LBB184_1970:
	s_mov_b64 s[0:1], 0
.LBB184_1971:
	s_andn2_b64 vcc, exec, s[0:1]
	s_cbranch_vccnz .LBB184_1973
; %bb.1972:
	global_store_dword v[8:9], v13, off
.LBB184_1973:
	s_mov_b64 s[0:1], 0
.LBB184_1974:
	s_andn2_b64 vcc, exec, s[0:1]
	s_cbranch_vccnz .LBB184_1983
; %bb.1975:
	s_cmp_lt_i32 s2, 6
	s_mov_b64 s[0:1], -1
	s_cbranch_scc1 .LBB184_1981
; %bb.1976:
	s_cmp_gt_i32 s2, 6
	s_cbranch_scc0 .LBB184_1978
; %bb.1977:
	v_cvt_f32_f16_e32 v1, v12
	s_mov_b64 s[0:1], 0
	v_cvt_f64_f32_e32 v[10:11], v1
	global_store_dwordx2 v[8:9], v[10:11], off
.LBB184_1978:
	s_andn2_b64 vcc, exec, s[0:1]
	s_cbranch_vccnz .LBB184_1980
; %bb.1979:
	v_cvt_f32_f16_e32 v1, v12
	global_store_dword v[8:9], v1, off
.LBB184_1980:
	s_mov_b64 s[0:1], 0
.LBB184_1981:
	s_andn2_b64 vcc, exec, s[0:1]
	s_cbranch_vccnz .LBB184_1983
; %bb.1982:
	global_store_short v[8:9], v12, off
.LBB184_1983:
	s_mov_b64 s[0:1], 0
.LBB184_1984:
	s_andn2_b64 vcc, exec, s[0:1]
	s_cbranch_vccnz .LBB184_2000
; %bb.1985:
	s_cmp_lt_i32 s2, 2
	s_mov_b64 s[0:1], -1
	s_cbranch_scc1 .LBB184_1995
; %bb.1986:
	s_cmp_lt_i32 s2, 3
	s_cbranch_scc1 .LBB184_1992
; %bb.1987:
	s_cmp_gt_i32 s2, 3
	s_cbranch_scc0 .LBB184_1989
; %bb.1988:
	v_cvt_f32_f16_e32 v1, v12
	s_mov_b64 s[0:1], 0
	v_cvt_i32_f32_e32 v10, v1
	v_ashrrev_i32_e32 v11, 31, v10
	global_store_dwordx2 v[8:9], v[10:11], off
.LBB184_1989:
	s_andn2_b64 vcc, exec, s[0:1]
	s_cbranch_vccnz .LBB184_1991
; %bb.1990:
	v_cvt_f32_f16_e32 v1, v12
	v_cvt_i32_f32_e32 v1, v1
	global_store_dword v[8:9], v1, off
.LBB184_1991:
	s_mov_b64 s[0:1], 0
.LBB184_1992:
	s_andn2_b64 vcc, exec, s[0:1]
	s_cbranch_vccnz .LBB184_1994
; %bb.1993:
	v_cvt_i16_f16_e32 v1, v12
	global_store_short v[8:9], v1, off
.LBB184_1994:
	s_mov_b64 s[0:1], 0
.LBB184_1995:
	s_andn2_b64 vcc, exec, s[0:1]
	s_cbranch_vccnz .LBB184_2000
; %bb.1996:
	s_cmp_gt_i32 s2, 0
	s_mov_b64 s[0:1], -1
	s_cbranch_scc0 .LBB184_1998
; %bb.1997:
	v_cvt_i16_f16_e32 v1, v12
	global_store_byte v[8:9], v1, off
	s_mov_b64 s[0:1], 0
.LBB184_1998:
	s_andn2_b64 vcc, exec, s[0:1]
	s_cbranch_vccnz .LBB184_2000
; %bb.1999:
	v_cvt_f32_f16_e32 v1, v12
	v_cvt_i32_f32_e32 v1, v1
	global_store_byte v[8:9], v1, off
.LBB184_2000:
	s_mov_b64 s[6:7], -1
.LBB184_2001:
	s_andn2_b64 vcc, exec, s[6:7]
	s_cbranch_vccnz .LBB184_2316
; %bb.2002:
	v_cvt_f16_f32_e32 v8, v3
	v_cvt_f16_f32_e32 v10, v2
	s_lshl_b32 s18, s8, 7
	v_add_u32_e32 v0, s18, v0
	v_lshlrev_b32_e32 v1, 16, v8
	v_or_b32_e32 v11, v1, v10
	v_ashrrev_i32_e32 v1, 31, v0
	s_cmp_lt_i32 s20, 11
	v_lshl_add_u64 v[2:3], s[4:5], 0, v[0:1]
	s_cbranch_scc1 .LBB184_2080
; %bb.2003:
	s_and_b32 s19, 0xffff, s20
	s_mov_b64 s[8:9], -1
	s_mov_b64 s[2:3], 0
	s_cmp_gt_i32 s19, 25
	s_mov_b64 s[6:7], 0
	s_mov_b64 s[0:1], 0
	s_cbranch_scc0 .LBB184_2036
; %bb.2004:
	s_cmp_gt_i32 s19, 28
	s_cbranch_scc0 .LBB184_2019
; %bb.2005:
	s_cmp_gt_i32 s19, 43
	;; [unrolled: 3-line block ×3, first 2 shown]
	s_cbranch_scc0 .LBB184_2009
; %bb.2007:
	s_mov_b64 s[0:1], -1
	s_mov_b64 s[8:9], 0
	s_cmp_eq_u32 s19, 46
	s_cbranch_scc0 .LBB184_2009
; %bb.2008:
	v_cvt_f32_f16_e32 v9, v8
	v_cvt_f32_f16_e32 v1, v10
	s_movk_i32 s0, 0x7fff
	v_cmp_o_f16_e32 vcc, v8, v8
	v_bfe_u32 v13, v9, 16, 1
	v_bfe_u32 v12, v1, 16, 1
	v_add3_u32 v9, v9, v13, s0
	v_add3_u32 v1, v1, v12, s0
	v_and_b32_e32 v9, 0xffff0000, v9
	v_mov_b32_e32 v12, 0x7fc00000
	v_cndmask_b32_e32 v9, v12, v9, vcc
	v_cmp_o_f16_e32 vcc, v10, v10
	v_mov_b32_e32 v12, 0x7fc0
	s_mov_b64 s[0:1], 0
	v_cndmask_b32_sdwa v1, v12, v1, vcc dst_sel:DWORD dst_unused:UNUSED_PAD src0_sel:DWORD src1_sel:WORD_1
	v_or_b32_e32 v1, v9, v1
	global_store_dword v[2:3], v1, off
	s_mov_b64 s[6:7], -1
.LBB184_2009:
	s_and_b64 vcc, exec, s[8:9]
	s_cbranch_vccz .LBB184_2014
; %bb.2010:
	s_cmp_eq_u32 s19, 44
	s_mov_b64 s[0:1], -1
	s_cbranch_scc0 .LBB184_2014
; %bb.2011:
	v_cvt_f32_f16_e32 v1, v10
	s_movk_i32 s0, 0xff
	v_mov_b32_e32 v12, 0xff
	v_bfe_u32 v9, v1, 23, 8
	v_cmp_ne_u32_e32 vcc, s0, v9
	s_and_saveexec_b64 s[6:7], vcc
; %bb.2012:
	s_mov_b32 s0, 0x3fffff
	v_lshrrev_b32_e32 v12, 23, v1
	v_and_b32_e32 v13, 0x400000, v1
	v_and_or_b32 v1, v1, s0, v9
	v_cmp_ne_u32_e32 vcc, 0, v13
	v_cmp_ne_u32_e64 s[0:1], 0, v1
	s_and_b64 s[0:1], vcc, s[0:1]
	s_nop 0
	v_cndmask_b32_e64 v1, 0, 1, s[0:1]
	v_add_u32_e32 v12, v12, v1
; %bb.2013:
	s_or_b64 exec, exec, s[6:7]
	s_mov_b64 s[0:1], 0
	s_mov_b64 s[6:7], -1
	global_store_byte v[2:3], v12, off
.LBB184_2014:
	s_mov_b64 s[8:9], 0
.LBB184_2015:
	s_and_b64 vcc, exec, s[8:9]
	s_cbranch_vccz .LBB184_2018
; %bb.2016:
	s_cmp_eq_u32 s19, 29
	s_mov_b64 s[0:1], -1
	s_cbranch_scc0 .LBB184_2018
; %bb.2017:
	v_cvt_f32_f16_e32 v1, v10
	v_mov_b32_e32 v13, 0
	s_mov_b64 s[0:1], 0
	s_mov_b64 s[6:7], -1
	v_cvt_u32_f32_e32 v12, v1
	global_store_dwordx2 v[2:3], v[12:13], off
.LBB184_2018:
	s_mov_b64 s[8:9], 0
.LBB184_2019:
	s_and_b64 vcc, exec, s[8:9]
	s_cbranch_vccz .LBB184_2035
; %bb.2020:
	s_cmp_lt_i32 s19, 27
	s_mov_b64 s[6:7], -1
	s_cbranch_scc1 .LBB184_2026
; %bb.2021:
	s_cmp_gt_i32 s19, 27
	s_cbranch_scc0 .LBB184_2023
; %bb.2022:
	v_cvt_f32_f16_e32 v1, v10
	s_mov_b64 s[6:7], 0
	v_cvt_u32_f32_e32 v1, v1
	global_store_dword v[2:3], v1, off
.LBB184_2023:
	s_andn2_b64 vcc, exec, s[6:7]
	s_cbranch_vccnz .LBB184_2025
; %bb.2024:
	v_cvt_u16_f16_e32 v1, v10
	global_store_short v[2:3], v1, off
.LBB184_2025:
	s_mov_b64 s[6:7], 0
.LBB184_2026:
	s_andn2_b64 vcc, exec, s[6:7]
	s_cbranch_vccnz .LBB184_2034
; %bb.2027:
	v_cvt_f32_f16_e32 v1, v10
	s_mov_b32 s6, 0x43800000
	v_mov_b32_e32 v12, 0x80
	v_and_b32_e32 v9, 0x7fffffff, v1
	v_cmp_gt_u32_e32 vcc, s6, v9
	s_and_saveexec_b64 s[6:7], vcc
	s_cbranch_execz .LBB184_2033
; %bb.2028:
	s_mov_b32 s8, 0x3bffffff
	v_cmp_lt_u32_e32 vcc, s8, v9
	s_mov_b64 s[8:9], 0
                                        ; implicit-def: $vgpr9
	s_and_saveexec_b64 s[10:11], vcc
	s_xor_b64 s[10:11], exec, s[10:11]
	s_cbranch_execz .LBB184_2368
; %bb.2029:
	v_bfe_u32 v9, v1, 20, 1
	s_mov_b32 s21, 0x487ffff
	v_add3_u32 v9, v1, v9, s21
	s_mov_b64 s[8:9], exec
	v_lshrrev_b32_e32 v9, 20, v9
	s_andn2_saveexec_b64 s[10:11], s[10:11]
	s_cbranch_execnz .LBB184_2369
.LBB184_2030:
	s_or_b64 exec, exec, s[10:11]
	v_mov_b32_e32 v12, 0
	s_and_saveexec_b64 s[10:11], s[8:9]
.LBB184_2031:
	v_lshrrev_b32_e32 v1, 24, v1
	s_movk_i32 s8, 0x80
	v_and_or_b32 v12, v1, s8, v9
.LBB184_2032:
	s_or_b64 exec, exec, s[10:11]
.LBB184_2033:
	s_or_b64 exec, exec, s[6:7]
	global_store_byte v[2:3], v12, off
.LBB184_2034:
	s_mov_b64 s[6:7], -1
.LBB184_2035:
	s_mov_b64 s[8:9], 0
.LBB184_2036:
	s_and_b64 vcc, exec, s[8:9]
	s_cbranch_vccz .LBB184_2076
; %bb.2037:
	s_cmp_gt_i32 s19, 22
	s_mov_b64 s[2:3], -1
	s_cbranch_scc0 .LBB184_2069
; %bb.2038:
	s_cmp_lt_i32 s19, 24
	s_cbranch_scc1 .LBB184_2058
; %bb.2039:
	s_cmp_gt_i32 s19, 24
	s_cbranch_scc0 .LBB184_2047
; %bb.2040:
	v_cvt_f32_f16_e32 v1, v10
	s_mov_b32 s2, 0x47800000
	v_mov_b32_e32 v12, 0x80
	v_and_b32_e32 v9, 0x7fffffff, v1
	v_cmp_gt_u32_e32 vcc, s2, v9
	s_and_saveexec_b64 s[2:3], vcc
	s_cbranch_execz .LBB184_2046
; %bb.2041:
	s_mov_b32 s6, 0x37ffffff
	v_cmp_lt_u32_e32 vcc, s6, v9
	s_mov_b64 s[6:7], 0
                                        ; implicit-def: $vgpr9
	s_and_saveexec_b64 s[8:9], vcc
	s_xor_b64 s[8:9], exec, s[8:9]
	s_cbranch_execz .LBB184_2371
; %bb.2042:
	v_bfe_u32 v9, v1, 21, 1
	s_mov_b32 s10, 0x88fffff
	v_add3_u32 v9, v1, v9, s10
	s_mov_b64 s[6:7], exec
	v_lshrrev_b32_e32 v9, 21, v9
	s_andn2_saveexec_b64 s[8:9], s[8:9]
	s_cbranch_execnz .LBB184_2372
.LBB184_2043:
	s_or_b64 exec, exec, s[8:9]
	v_mov_b32_e32 v12, 0
	s_and_saveexec_b64 s[8:9], s[6:7]
.LBB184_2044:
	v_lshrrev_b32_e32 v1, 24, v1
	s_movk_i32 s6, 0x80
	v_and_or_b32 v12, v1, s6, v9
.LBB184_2045:
	s_or_b64 exec, exec, s[8:9]
.LBB184_2046:
	s_or_b64 exec, exec, s[2:3]
	s_mov_b64 s[2:3], 0
	global_store_byte v[2:3], v12, off
.LBB184_2047:
	s_and_b64 vcc, exec, s[2:3]
	s_cbranch_vccz .LBB184_2057
; %bb.2048:
	v_cvt_f32_f16_e32 v1, v10
	s_mov_b32 s2, 0x43f00000
                                        ; implicit-def: $vgpr9
	v_and_b32_e32 v12, 0x7fffffff, v1
	v_cmp_gt_u32_e32 vcc, s2, v12
	s_and_saveexec_b64 s[2:3], vcc
	s_xor_b64 s[2:3], exec, s[2:3]
	s_cbranch_execz .LBB184_2054
; %bb.2049:
	s_mov_b32 s6, 0x3c7fffff
	v_cmp_lt_u32_e32 vcc, s6, v12
                                        ; implicit-def: $vgpr9
	s_and_saveexec_b64 s[6:7], vcc
	s_xor_b64 s[6:7], exec, s[6:7]
; %bb.2050:
	v_bfe_u32 v9, v1, 20, 1
	s_mov_b32 s8, 0x407ffff
	v_add3_u32 v9, v1, v9, s8
	v_lshrrev_b32_e32 v12, 20, v9
	v_and_b32_e32 v9, 0xff00000, v9
	s_mov_b32 s8, 0x7f00000
	v_mov_b32_e32 v13, 0x7e
	v_cmp_ne_u32_e32 vcc, s8, v9
	s_nop 1
	v_cndmask_b32_e32 v9, v13, v12, vcc
; %bb.2051:
	s_andn2_saveexec_b64 s[6:7], s[6:7]
; %bb.2052:
	s_mov_b32 s8, 0x46800000
	v_add_f32_e64 v9, |v1|, s8
; %bb.2053:
	s_or_b64 exec, exec, s[6:7]
                                        ; implicit-def: $vgpr12
.LBB184_2054:
	s_andn2_saveexec_b64 s[2:3], s[2:3]
; %bb.2055:
	s_mov_b32 s6, 0x7f800000
	v_mov_b32_e32 v9, 0x7e
	v_mov_b32_e32 v13, 0x7f
	v_cmp_lt_u32_e32 vcc, s6, v12
	s_nop 1
	v_cndmask_b32_e32 v9, v9, v13, vcc
; %bb.2056:
	s_or_b64 exec, exec, s[2:3]
	v_lshrrev_b32_e32 v1, 24, v1
	s_movk_i32 s2, 0x80
	v_and_or_b32 v1, v1, s2, v9
	global_store_byte v[2:3], v1, off
.LBB184_2057:
	s_mov_b64 s[2:3], 0
.LBB184_2058:
	s_andn2_b64 vcc, exec, s[2:3]
	s_cbranch_vccnz .LBB184_2068
; %bb.2059:
	v_cvt_f32_f16_e32 v1, v10
	s_mov_b32 s2, 0x47800000
                                        ; implicit-def: $vgpr9
	v_and_b32_e32 v12, 0x7fffffff, v1
	v_cmp_gt_u32_e32 vcc, s2, v12
	s_and_saveexec_b64 s[2:3], vcc
	s_xor_b64 s[2:3], exec, s[2:3]
	s_cbranch_execz .LBB184_2065
; %bb.2060:
	s_mov_b32 s6, 0x387fffff
	v_cmp_lt_u32_e32 vcc, s6, v12
                                        ; implicit-def: $vgpr9
	s_and_saveexec_b64 s[6:7], vcc
	s_xor_b64 s[6:7], exec, s[6:7]
; %bb.2061:
	v_bfe_u32 v9, v1, 21, 1
	s_mov_b32 s8, 0x80fffff
	v_add3_u32 v9, v1, v9, s8
	v_lshrrev_b32_e32 v9, 21, v9
; %bb.2062:
	s_andn2_saveexec_b64 s[6:7], s[6:7]
; %bb.2063:
	s_mov_b32 s8, 0x43000000
	v_add_f32_e64 v9, |v1|, s8
; %bb.2064:
	s_or_b64 exec, exec, s[6:7]
                                        ; implicit-def: $vgpr12
.LBB184_2065:
	s_andn2_saveexec_b64 s[2:3], s[2:3]
; %bb.2066:
	s_mov_b32 s6, 0x7f800000
	v_mov_b32_e32 v9, 0x7c
	v_mov_b32_e32 v13, 0x7f
	v_cmp_lt_u32_e32 vcc, s6, v12
	s_nop 1
	v_cndmask_b32_e32 v9, v9, v13, vcc
; %bb.2067:
	s_or_b64 exec, exec, s[2:3]
	v_lshrrev_b32_e32 v1, 24, v1
	s_movk_i32 s2, 0x80
	v_and_or_b32 v1, v1, s2, v9
	global_store_byte v[2:3], v1, off
.LBB184_2068:
	s_mov_b64 s[2:3], 0
	s_mov_b64 s[6:7], -1
.LBB184_2069:
	s_andn2_b64 vcc, exec, s[2:3]
	s_mov_b64 s[2:3], 0
	s_cbranch_vccnz .LBB184_2076
; %bb.2070:
	s_cmp_gt_i32 s19, 14
	s_mov_b64 s[8:9], -1
	s_cbranch_scc0 .LBB184_2074
; %bb.2071:
	s_cmp_eq_u32 s19, 15
	s_mov_b64 s[0:1], -1
	s_cbranch_scc0 .LBB184_2073
; %bb.2072:
	v_cvt_f32_f16_e32 v1, v10
	s_movk_i32 s0, 0x7fff
	v_cmp_o_f16_e32 vcc, v10, v10
	v_mov_b32_e32 v9, 0x7fc0
	v_bfe_u32 v12, v1, 16, 1
	v_add3_u32 v1, v1, v12, s0
	v_cndmask_b32_sdwa v1, v9, v1, vcc dst_sel:DWORD dst_unused:UNUSED_PAD src0_sel:DWORD src1_sel:WORD_1
	global_store_short v[2:3], v1, off
	s_mov_b64 s[0:1], 0
	s_mov_b64 s[6:7], -1
.LBB184_2073:
	s_mov_b64 s[8:9], 0
.LBB184_2074:
	s_and_b64 vcc, exec, s[8:9]
	s_cbranch_vccz .LBB184_2076
; %bb.2075:
	s_cmp_lg_u32 s19, 11
	s_mov_b64 s[2:3], -1
	s_cselect_b64 s[0:1], -1, 0
.LBB184_2076:
	s_and_b64 vcc, exec, s[0:1]
	s_cbranch_vccnz .LBB184_2370
; %bb.2077:
	s_andn2_b64 vcc, exec, s[2:3]
	s_cbranch_vccnz .LBB184_2079
.LBB184_2078:
	v_and_b32_e32 v1, 0x7fff7fff, v11
	v_cmp_ne_u32_e32 vcc, 0, v1
	s_mov_b64 s[6:7], -1
	s_nop 0
	v_cndmask_b32_e64 v1, 0, 1, vcc
	global_store_byte v[2:3], v1, off
.LBB184_2079:
	s_mov_b64 s[0:1], 0
	s_branch .LBB184_2081
.LBB184_2080:
	s_mov_b64 s[0:1], -1
	s_mov_b64 s[6:7], 0
.LBB184_2081:
	s_and_b64 vcc, exec, s[0:1]
	s_cbranch_vccz .LBB184_2120
; %bb.2082:
	s_and_b32 s2, 0xffff, s20
	s_cmp_lt_i32 s2, 5
	s_mov_b64 s[0:1], -1
	s_cbranch_scc1 .LBB184_2103
; %bb.2083:
	s_cmp_lt_i32 s2, 8
	s_cbranch_scc1 .LBB184_2093
; %bb.2084:
	s_cmp_lt_i32 s2, 9
	s_cbranch_scc1 .LBB184_2090
; %bb.2085:
	v_cvt_f32_f16_e32 v9, v8
	s_cmp_gt_i32 s2, 9
	s_cbranch_scc0 .LBB184_2087
; %bb.2086:
	v_cvt_f32_f16_e32 v1, v10
	v_cvt_f64_f32_e32 v[14:15], v9
	s_mov_b64 s[0:1], 0
	v_cvt_f64_f32_e32 v[12:13], v1
	global_store_dwordx4 v[2:3], v[12:15], off
.LBB184_2087:
	s_andn2_b64 vcc, exec, s[0:1]
	s_cbranch_vccnz .LBB184_2089
; %bb.2088:
	v_cvt_f32_f16_e32 v8, v10
	global_store_dwordx2 v[2:3], v[8:9], off
.LBB184_2089:
	s_mov_b64 s[0:1], 0
.LBB184_2090:
	s_andn2_b64 vcc, exec, s[0:1]
	s_cbranch_vccnz .LBB184_2092
; %bb.2091:
	global_store_dword v[2:3], v11, off
.LBB184_2092:
	s_mov_b64 s[0:1], 0
.LBB184_2093:
	s_andn2_b64 vcc, exec, s[0:1]
	s_cbranch_vccnz .LBB184_2102
; %bb.2094:
	s_cmp_lt_i32 s2, 6
	s_mov_b64 s[0:1], -1
	s_cbranch_scc1 .LBB184_2100
; %bb.2095:
	s_cmp_gt_i32 s2, 6
	s_cbranch_scc0 .LBB184_2097
; %bb.2096:
	v_cvt_f32_f16_e32 v1, v10
	s_mov_b64 s[0:1], 0
	v_cvt_f64_f32_e32 v[8:9], v1
	global_store_dwordx2 v[2:3], v[8:9], off
.LBB184_2097:
	s_andn2_b64 vcc, exec, s[0:1]
	s_cbranch_vccnz .LBB184_2099
; %bb.2098:
	v_cvt_f32_f16_e32 v1, v10
	global_store_dword v[2:3], v1, off
.LBB184_2099:
	s_mov_b64 s[0:1], 0
.LBB184_2100:
	s_andn2_b64 vcc, exec, s[0:1]
	s_cbranch_vccnz .LBB184_2102
; %bb.2101:
	global_store_short v[2:3], v10, off
.LBB184_2102:
	s_mov_b64 s[0:1], 0
.LBB184_2103:
	s_andn2_b64 vcc, exec, s[0:1]
	s_cbranch_vccnz .LBB184_2119
; %bb.2104:
	s_cmp_lt_i32 s2, 2
	s_mov_b64 s[0:1], -1
	s_cbranch_scc1 .LBB184_2114
; %bb.2105:
	s_cmp_lt_i32 s2, 3
	s_cbranch_scc1 .LBB184_2111
; %bb.2106:
	s_cmp_gt_i32 s2, 3
	s_cbranch_scc0 .LBB184_2108
; %bb.2107:
	v_cvt_f32_f16_e32 v1, v10
	s_mov_b64 s[0:1], 0
	v_cvt_i32_f32_e32 v8, v1
	v_ashrrev_i32_e32 v9, 31, v8
	global_store_dwordx2 v[2:3], v[8:9], off
.LBB184_2108:
	s_andn2_b64 vcc, exec, s[0:1]
	s_cbranch_vccnz .LBB184_2110
; %bb.2109:
	v_cvt_f32_f16_e32 v1, v10
	v_cvt_i32_f32_e32 v1, v1
	global_store_dword v[2:3], v1, off
.LBB184_2110:
	s_mov_b64 s[0:1], 0
.LBB184_2111:
	s_andn2_b64 vcc, exec, s[0:1]
	s_cbranch_vccnz .LBB184_2113
; %bb.2112:
	v_cvt_i16_f16_e32 v1, v10
	global_store_short v[2:3], v1, off
.LBB184_2113:
	s_mov_b64 s[0:1], 0
.LBB184_2114:
	s_andn2_b64 vcc, exec, s[0:1]
	s_cbranch_vccnz .LBB184_2119
; %bb.2115:
	s_cmp_gt_i32 s2, 0
	s_mov_b64 s[0:1], -1
	s_cbranch_scc0 .LBB184_2117
; %bb.2116:
	v_cvt_i16_f16_e32 v1, v10
	global_store_byte v[2:3], v1, off
	s_mov_b64 s[0:1], 0
.LBB184_2117:
	s_andn2_b64 vcc, exec, s[0:1]
	s_cbranch_vccnz .LBB184_2119
; %bb.2118:
	v_cvt_f32_f16_e32 v1, v10
	v_cvt_i32_f32_e32 v1, v1
	global_store_byte v[2:3], v1, off
.LBB184_2119:
	s_mov_b64 s[6:7], -1
.LBB184_2120:
	s_andn2_b64 vcc, exec, s[6:7]
	s_cbranch_vccnz .LBB184_2316
; %bb.2121:
	v_cvt_f16_f32_e32 v5, v5
	v_cvt_f16_f32_e32 v8, v4
	v_add_u32_e32 v0, s18, v0
	v_ashrrev_i32_e32 v1, 31, v0
	v_lshlrev_b32_e32 v2, 16, v5
	v_or_b32_e32 v9, v2, v8
	s_cmp_lt_i32 s20, 11
	v_lshl_add_u64 v[2:3], s[4:5], 0, v[0:1]
	s_cbranch_scc1 .LBB184_2199
; %bb.2122:
	s_and_b32 s19, 0xffff, s20
	s_mov_b64 s[8:9], -1
	s_mov_b64 s[2:3], 0
	s_cmp_gt_i32 s19, 25
	s_mov_b64 s[6:7], 0
	s_mov_b64 s[0:1], 0
	s_cbranch_scc0 .LBB184_2155
; %bb.2123:
	s_cmp_gt_i32 s19, 28
	s_cbranch_scc0 .LBB184_2138
; %bb.2124:
	s_cmp_gt_i32 s19, 43
	;; [unrolled: 3-line block ×3, first 2 shown]
	s_cbranch_scc0 .LBB184_2128
; %bb.2126:
	s_mov_b64 s[0:1], -1
	s_mov_b64 s[8:9], 0
	s_cmp_eq_u32 s19, 46
	s_cbranch_scc0 .LBB184_2128
; %bb.2127:
	v_cvt_f32_f16_e32 v4, v5
	v_cvt_f32_f16_e32 v1, v8
	s_movk_i32 s0, 0x7fff
	v_cmp_o_f16_e32 vcc, v5, v5
	v_bfe_u32 v11, v4, 16, 1
	v_bfe_u32 v10, v1, 16, 1
	v_add3_u32 v4, v4, v11, s0
	v_add3_u32 v1, v1, v10, s0
	v_and_b32_e32 v4, 0xffff0000, v4
	v_mov_b32_e32 v10, 0x7fc00000
	v_cndmask_b32_e32 v4, v10, v4, vcc
	v_cmp_o_f16_e32 vcc, v8, v8
	v_mov_b32_e32 v10, 0x7fc0
	s_mov_b64 s[0:1], 0
	v_cndmask_b32_sdwa v1, v10, v1, vcc dst_sel:DWORD dst_unused:UNUSED_PAD src0_sel:DWORD src1_sel:WORD_1
	v_or_b32_e32 v1, v4, v1
	global_store_dword v[2:3], v1, off
	s_mov_b64 s[6:7], -1
.LBB184_2128:
	s_and_b64 vcc, exec, s[8:9]
	s_cbranch_vccz .LBB184_2133
; %bb.2129:
	s_cmp_eq_u32 s19, 44
	s_mov_b64 s[0:1], -1
	s_cbranch_scc0 .LBB184_2133
; %bb.2130:
	v_cvt_f32_f16_e32 v1, v8
	s_movk_i32 s0, 0xff
	v_mov_b32_e32 v10, 0xff
	v_bfe_u32 v4, v1, 23, 8
	v_cmp_ne_u32_e32 vcc, s0, v4
	s_and_saveexec_b64 s[6:7], vcc
; %bb.2131:
	s_mov_b32 s0, 0x3fffff
	v_lshrrev_b32_e32 v10, 23, v1
	v_and_b32_e32 v11, 0x400000, v1
	v_and_or_b32 v1, v1, s0, v4
	v_cmp_ne_u32_e32 vcc, 0, v11
	v_cmp_ne_u32_e64 s[0:1], 0, v1
	s_and_b64 s[0:1], vcc, s[0:1]
	s_nop 0
	v_cndmask_b32_e64 v1, 0, 1, s[0:1]
	v_add_u32_e32 v10, v10, v1
; %bb.2132:
	s_or_b64 exec, exec, s[6:7]
	s_mov_b64 s[0:1], 0
	s_mov_b64 s[6:7], -1
	global_store_byte v[2:3], v10, off
.LBB184_2133:
	s_mov_b64 s[8:9], 0
.LBB184_2134:
	s_and_b64 vcc, exec, s[8:9]
	s_cbranch_vccz .LBB184_2137
; %bb.2135:
	s_cmp_eq_u32 s19, 29
	s_mov_b64 s[0:1], -1
	s_cbranch_scc0 .LBB184_2137
; %bb.2136:
	v_cvt_f32_f16_e32 v1, v8
	v_mov_b32_e32 v11, 0
	s_mov_b64 s[0:1], 0
	s_mov_b64 s[6:7], -1
	v_cvt_u32_f32_e32 v10, v1
	global_store_dwordx2 v[2:3], v[10:11], off
.LBB184_2137:
	s_mov_b64 s[8:9], 0
.LBB184_2138:
	s_and_b64 vcc, exec, s[8:9]
	s_cbranch_vccz .LBB184_2154
; %bb.2139:
	s_cmp_lt_i32 s19, 27
	s_mov_b64 s[6:7], -1
	s_cbranch_scc1 .LBB184_2145
; %bb.2140:
	s_cmp_gt_i32 s19, 27
	s_cbranch_scc0 .LBB184_2142
; %bb.2141:
	v_cvt_f32_f16_e32 v1, v8
	s_mov_b64 s[6:7], 0
	v_cvt_u32_f32_e32 v1, v1
	global_store_dword v[2:3], v1, off
.LBB184_2142:
	s_andn2_b64 vcc, exec, s[6:7]
	s_cbranch_vccnz .LBB184_2144
; %bb.2143:
	v_cvt_u16_f16_e32 v1, v8
	global_store_short v[2:3], v1, off
.LBB184_2144:
	s_mov_b64 s[6:7], 0
.LBB184_2145:
	s_andn2_b64 vcc, exec, s[6:7]
	s_cbranch_vccnz .LBB184_2153
; %bb.2146:
	v_cvt_f32_f16_e32 v1, v8
	s_mov_b32 s6, 0x43800000
	v_mov_b32_e32 v10, 0x80
	v_and_b32_e32 v4, 0x7fffffff, v1
	v_cmp_gt_u32_e32 vcc, s6, v4
	s_and_saveexec_b64 s[6:7], vcc
	s_cbranch_execz .LBB184_2152
; %bb.2147:
	s_mov_b32 s8, 0x3bffffff
	v_cmp_lt_u32_e32 vcc, s8, v4
	s_mov_b64 s[8:9], 0
                                        ; implicit-def: $vgpr4
	s_and_saveexec_b64 s[10:11], vcc
	s_xor_b64 s[10:11], exec, s[10:11]
	s_cbranch_execz .LBB184_2373
; %bb.2148:
	v_bfe_u32 v4, v1, 20, 1
	s_mov_b32 s21, 0x487ffff
	v_add3_u32 v4, v1, v4, s21
	s_mov_b64 s[8:9], exec
	v_lshrrev_b32_e32 v4, 20, v4
	s_andn2_saveexec_b64 s[10:11], s[10:11]
	s_cbranch_execnz .LBB184_2374
.LBB184_2149:
	s_or_b64 exec, exec, s[10:11]
	v_mov_b32_e32 v10, 0
	s_and_saveexec_b64 s[10:11], s[8:9]
.LBB184_2150:
	v_lshrrev_b32_e32 v1, 24, v1
	s_movk_i32 s8, 0x80
	v_and_or_b32 v10, v1, s8, v4
.LBB184_2151:
	s_or_b64 exec, exec, s[10:11]
.LBB184_2152:
	s_or_b64 exec, exec, s[6:7]
	global_store_byte v[2:3], v10, off
.LBB184_2153:
	s_mov_b64 s[6:7], -1
.LBB184_2154:
	s_mov_b64 s[8:9], 0
.LBB184_2155:
	s_and_b64 vcc, exec, s[8:9]
	s_cbranch_vccz .LBB184_2195
; %bb.2156:
	s_cmp_gt_i32 s19, 22
	s_mov_b64 s[2:3], -1
	s_cbranch_scc0 .LBB184_2188
; %bb.2157:
	s_cmp_lt_i32 s19, 24
	s_cbranch_scc1 .LBB184_2177
; %bb.2158:
	s_cmp_gt_i32 s19, 24
	s_cbranch_scc0 .LBB184_2166
; %bb.2159:
	v_cvt_f32_f16_e32 v1, v8
	s_mov_b32 s2, 0x47800000
	v_mov_b32_e32 v10, 0x80
	v_and_b32_e32 v4, 0x7fffffff, v1
	v_cmp_gt_u32_e32 vcc, s2, v4
	s_and_saveexec_b64 s[2:3], vcc
	s_cbranch_execz .LBB184_2165
; %bb.2160:
	s_mov_b32 s6, 0x37ffffff
	v_cmp_lt_u32_e32 vcc, s6, v4
	s_mov_b64 s[6:7], 0
                                        ; implicit-def: $vgpr4
	s_and_saveexec_b64 s[8:9], vcc
	s_xor_b64 s[8:9], exec, s[8:9]
	s_cbranch_execz .LBB184_2376
; %bb.2161:
	v_bfe_u32 v4, v1, 21, 1
	s_mov_b32 s10, 0x88fffff
	v_add3_u32 v4, v1, v4, s10
	s_mov_b64 s[6:7], exec
	v_lshrrev_b32_e32 v4, 21, v4
	s_andn2_saveexec_b64 s[8:9], s[8:9]
	s_cbranch_execnz .LBB184_2377
.LBB184_2162:
	s_or_b64 exec, exec, s[8:9]
	v_mov_b32_e32 v10, 0
	s_and_saveexec_b64 s[8:9], s[6:7]
.LBB184_2163:
	v_lshrrev_b32_e32 v1, 24, v1
	s_movk_i32 s6, 0x80
	v_and_or_b32 v10, v1, s6, v4
.LBB184_2164:
	s_or_b64 exec, exec, s[8:9]
.LBB184_2165:
	s_or_b64 exec, exec, s[2:3]
	s_mov_b64 s[2:3], 0
	global_store_byte v[2:3], v10, off
.LBB184_2166:
	s_and_b64 vcc, exec, s[2:3]
	s_cbranch_vccz .LBB184_2176
; %bb.2167:
	v_cvt_f32_f16_e32 v1, v8
	s_mov_b32 s2, 0x43f00000
                                        ; implicit-def: $vgpr4
	v_and_b32_e32 v10, 0x7fffffff, v1
	v_cmp_gt_u32_e32 vcc, s2, v10
	s_and_saveexec_b64 s[2:3], vcc
	s_xor_b64 s[2:3], exec, s[2:3]
	s_cbranch_execz .LBB184_2173
; %bb.2168:
	s_mov_b32 s6, 0x3c7fffff
	v_cmp_lt_u32_e32 vcc, s6, v10
                                        ; implicit-def: $vgpr4
	s_and_saveexec_b64 s[6:7], vcc
	s_xor_b64 s[6:7], exec, s[6:7]
; %bb.2169:
	v_bfe_u32 v4, v1, 20, 1
	s_mov_b32 s8, 0x407ffff
	v_add3_u32 v4, v1, v4, s8
	v_lshrrev_b32_e32 v10, 20, v4
	v_and_b32_e32 v4, 0xff00000, v4
	s_mov_b32 s8, 0x7f00000
	v_mov_b32_e32 v11, 0x7e
	v_cmp_ne_u32_e32 vcc, s8, v4
	s_nop 1
	v_cndmask_b32_e32 v4, v11, v10, vcc
; %bb.2170:
	s_andn2_saveexec_b64 s[6:7], s[6:7]
; %bb.2171:
	s_mov_b32 s8, 0x46800000
	v_add_f32_e64 v4, |v1|, s8
; %bb.2172:
	s_or_b64 exec, exec, s[6:7]
                                        ; implicit-def: $vgpr10
.LBB184_2173:
	s_andn2_saveexec_b64 s[2:3], s[2:3]
; %bb.2174:
	s_mov_b32 s6, 0x7f800000
	v_mov_b32_e32 v4, 0x7e
	v_mov_b32_e32 v11, 0x7f
	v_cmp_lt_u32_e32 vcc, s6, v10
	s_nop 1
	v_cndmask_b32_e32 v4, v4, v11, vcc
; %bb.2175:
	s_or_b64 exec, exec, s[2:3]
	v_lshrrev_b32_e32 v1, 24, v1
	s_movk_i32 s2, 0x80
	v_and_or_b32 v1, v1, s2, v4
	global_store_byte v[2:3], v1, off
.LBB184_2176:
	s_mov_b64 s[2:3], 0
.LBB184_2177:
	s_andn2_b64 vcc, exec, s[2:3]
	s_cbranch_vccnz .LBB184_2187
; %bb.2178:
	v_cvt_f32_f16_e32 v1, v8
	s_mov_b32 s2, 0x47800000
                                        ; implicit-def: $vgpr4
	v_and_b32_e32 v10, 0x7fffffff, v1
	v_cmp_gt_u32_e32 vcc, s2, v10
	s_and_saveexec_b64 s[2:3], vcc
	s_xor_b64 s[2:3], exec, s[2:3]
	s_cbranch_execz .LBB184_2184
; %bb.2179:
	s_mov_b32 s6, 0x387fffff
	v_cmp_lt_u32_e32 vcc, s6, v10
                                        ; implicit-def: $vgpr4
	s_and_saveexec_b64 s[6:7], vcc
	s_xor_b64 s[6:7], exec, s[6:7]
; %bb.2180:
	v_bfe_u32 v4, v1, 21, 1
	s_mov_b32 s8, 0x80fffff
	v_add3_u32 v4, v1, v4, s8
	v_lshrrev_b32_e32 v4, 21, v4
; %bb.2181:
	s_andn2_saveexec_b64 s[6:7], s[6:7]
; %bb.2182:
	s_mov_b32 s8, 0x43000000
	v_add_f32_e64 v4, |v1|, s8
; %bb.2183:
	s_or_b64 exec, exec, s[6:7]
                                        ; implicit-def: $vgpr10
.LBB184_2184:
	s_andn2_saveexec_b64 s[2:3], s[2:3]
; %bb.2185:
	s_mov_b32 s6, 0x7f800000
	v_mov_b32_e32 v4, 0x7c
	v_mov_b32_e32 v11, 0x7f
	v_cmp_lt_u32_e32 vcc, s6, v10
	s_nop 1
	v_cndmask_b32_e32 v4, v4, v11, vcc
; %bb.2186:
	s_or_b64 exec, exec, s[2:3]
	v_lshrrev_b32_e32 v1, 24, v1
	s_movk_i32 s2, 0x80
	v_and_or_b32 v1, v1, s2, v4
	global_store_byte v[2:3], v1, off
.LBB184_2187:
	s_mov_b64 s[2:3], 0
	s_mov_b64 s[6:7], -1
.LBB184_2188:
	s_andn2_b64 vcc, exec, s[2:3]
	s_mov_b64 s[2:3], 0
	s_cbranch_vccnz .LBB184_2195
; %bb.2189:
	s_cmp_gt_i32 s19, 14
	s_mov_b64 s[8:9], -1
	s_cbranch_scc0 .LBB184_2193
; %bb.2190:
	s_cmp_eq_u32 s19, 15
	s_mov_b64 s[0:1], -1
	s_cbranch_scc0 .LBB184_2192
; %bb.2191:
	v_cvt_f32_f16_e32 v1, v8
	s_movk_i32 s0, 0x7fff
	v_cmp_o_f16_e32 vcc, v8, v8
	v_mov_b32_e32 v4, 0x7fc0
	v_bfe_u32 v10, v1, 16, 1
	v_add3_u32 v1, v1, v10, s0
	v_cndmask_b32_sdwa v1, v4, v1, vcc dst_sel:DWORD dst_unused:UNUSED_PAD src0_sel:DWORD src1_sel:WORD_1
	global_store_short v[2:3], v1, off
	s_mov_b64 s[0:1], 0
	s_mov_b64 s[6:7], -1
.LBB184_2192:
	s_mov_b64 s[8:9], 0
.LBB184_2193:
	s_and_b64 vcc, exec, s[8:9]
	s_cbranch_vccz .LBB184_2195
; %bb.2194:
	s_cmp_lg_u32 s19, 11
	s_mov_b64 s[2:3], -1
	s_cselect_b64 s[0:1], -1, 0
.LBB184_2195:
	s_and_b64 vcc, exec, s[0:1]
	s_cbranch_vccnz .LBB184_2375
; %bb.2196:
	s_andn2_b64 vcc, exec, s[2:3]
	s_cbranch_vccnz .LBB184_2198
.LBB184_2197:
	v_and_b32_e32 v1, 0x7fff7fff, v9
	v_cmp_ne_u32_e32 vcc, 0, v1
	s_mov_b64 s[6:7], -1
	s_nop 0
	v_cndmask_b32_e64 v1, 0, 1, vcc
	global_store_byte v[2:3], v1, off
.LBB184_2198:
	s_mov_b64 s[0:1], 0
	s_branch .LBB184_2200
.LBB184_2199:
	s_mov_b64 s[0:1], -1
	s_mov_b64 s[6:7], 0
.LBB184_2200:
	s_and_b64 vcc, exec, s[0:1]
	s_cbranch_vccz .LBB184_2239
; %bb.2201:
	s_and_b32 s2, 0xffff, s20
	s_cmp_lt_i32 s2, 5
	s_mov_b64 s[0:1], -1
	s_cbranch_scc1 .LBB184_2222
; %bb.2202:
	s_cmp_lt_i32 s2, 8
	s_cbranch_scc1 .LBB184_2212
; %bb.2203:
	s_cmp_lt_i32 s2, 9
	s_cbranch_scc1 .LBB184_2209
; %bb.2204:
	v_cvt_f32_f16_e32 v5, v5
	s_cmp_gt_i32 s2, 9
	s_cbranch_scc0 .LBB184_2206
; %bb.2205:
	v_cvt_f32_f16_e32 v1, v8
	v_cvt_f64_f32_e32 v[12:13], v5
	s_mov_b64 s[0:1], 0
	v_cvt_f64_f32_e32 v[10:11], v1
	global_store_dwordx4 v[2:3], v[10:13], off
.LBB184_2206:
	s_andn2_b64 vcc, exec, s[0:1]
	s_cbranch_vccnz .LBB184_2208
; %bb.2207:
	v_cvt_f32_f16_e32 v4, v8
	global_store_dwordx2 v[2:3], v[4:5], off
.LBB184_2208:
	s_mov_b64 s[0:1], 0
.LBB184_2209:
	s_andn2_b64 vcc, exec, s[0:1]
	s_cbranch_vccnz .LBB184_2211
; %bb.2210:
	global_store_dword v[2:3], v9, off
.LBB184_2211:
	s_mov_b64 s[0:1], 0
.LBB184_2212:
	s_andn2_b64 vcc, exec, s[0:1]
	s_cbranch_vccnz .LBB184_2221
; %bb.2213:
	s_cmp_lt_i32 s2, 6
	s_mov_b64 s[0:1], -1
	s_cbranch_scc1 .LBB184_2219
; %bb.2214:
	s_cmp_gt_i32 s2, 6
	s_cbranch_scc0 .LBB184_2216
; %bb.2215:
	v_cvt_f32_f16_e32 v1, v8
	s_mov_b64 s[0:1], 0
	v_cvt_f64_f32_e32 v[4:5], v1
	global_store_dwordx2 v[2:3], v[4:5], off
.LBB184_2216:
	s_andn2_b64 vcc, exec, s[0:1]
	s_cbranch_vccnz .LBB184_2218
; %bb.2217:
	v_cvt_f32_f16_e32 v1, v8
	global_store_dword v[2:3], v1, off
.LBB184_2218:
	s_mov_b64 s[0:1], 0
.LBB184_2219:
	s_andn2_b64 vcc, exec, s[0:1]
	s_cbranch_vccnz .LBB184_2221
; %bb.2220:
	global_store_short v[2:3], v8, off
.LBB184_2221:
	s_mov_b64 s[0:1], 0
.LBB184_2222:
	s_andn2_b64 vcc, exec, s[0:1]
	s_cbranch_vccnz .LBB184_2238
; %bb.2223:
	s_cmp_lt_i32 s2, 2
	s_mov_b64 s[0:1], -1
	s_cbranch_scc1 .LBB184_2233
; %bb.2224:
	s_cmp_lt_i32 s2, 3
	s_cbranch_scc1 .LBB184_2230
; %bb.2225:
	s_cmp_gt_i32 s2, 3
	s_cbranch_scc0 .LBB184_2227
; %bb.2226:
	v_cvt_f32_f16_e32 v1, v8
	s_mov_b64 s[0:1], 0
	v_cvt_i32_f32_e32 v4, v1
	v_ashrrev_i32_e32 v5, 31, v4
	global_store_dwordx2 v[2:3], v[4:5], off
.LBB184_2227:
	s_andn2_b64 vcc, exec, s[0:1]
	s_cbranch_vccnz .LBB184_2229
; %bb.2228:
	v_cvt_f32_f16_e32 v1, v8
	v_cvt_i32_f32_e32 v1, v1
	global_store_dword v[2:3], v1, off
.LBB184_2229:
	s_mov_b64 s[0:1], 0
.LBB184_2230:
	s_andn2_b64 vcc, exec, s[0:1]
	s_cbranch_vccnz .LBB184_2232
; %bb.2231:
	v_cvt_i16_f16_e32 v1, v8
	global_store_short v[2:3], v1, off
.LBB184_2232:
	s_mov_b64 s[0:1], 0
.LBB184_2233:
	s_andn2_b64 vcc, exec, s[0:1]
	s_cbranch_vccnz .LBB184_2238
; %bb.2234:
	s_cmp_gt_i32 s2, 0
	s_mov_b64 s[0:1], -1
	s_cbranch_scc0 .LBB184_2236
; %bb.2235:
	v_cvt_i16_f16_e32 v1, v8
	global_store_byte v[2:3], v1, off
	s_mov_b64 s[0:1], 0
.LBB184_2236:
	s_andn2_b64 vcc, exec, s[0:1]
	s_cbranch_vccnz .LBB184_2238
; %bb.2237:
	v_cvt_f32_f16_e32 v1, v8
	v_cvt_i32_f32_e32 v1, v1
	global_store_byte v[2:3], v1, off
.LBB184_2238:
	s_mov_b64 s[6:7], -1
.LBB184_2239:
	s_andn2_b64 vcc, exec, s[6:7]
	s_cbranch_vccnz .LBB184_2316
; %bb.2240:
	v_cvt_f16_f32_e32 v2, v7
	v_cvt_f16_f32_e32 v4, v6
	v_add_u32_e32 v0, s18, v0
	v_ashrrev_i32_e32 v1, 31, v0
	v_lshlrev_b32_e32 v3, 16, v2
	s_cmp_lt_i32 s20, 11
	v_lshl_add_u64 v[0:1], s[4:5], 0, v[0:1]
	s_cbranch_scc1 .LBB184_2361
; %bb.2241:
	s_and_b32 s10, 0xffff, s20
	s_mov_b64 s[4:5], -1
	s_mov_b64 s[2:3], 0
	s_cmp_gt_i32 s10, 25
	s_mov_b64 s[0:1], 0
	s_cbranch_scc0 .LBB184_2274
; %bb.2242:
	s_cmp_gt_i32 s10, 28
	s_cbranch_scc0 .LBB184_2258
; %bb.2243:
	s_cmp_gt_i32 s10, 43
	;; [unrolled: 3-line block ×3, first 2 shown]
	s_cbranch_scc0 .LBB184_2248
; %bb.2245:
	s_cmp_eq_u32 s10, 46
	s_mov_b64 s[0:1], -1
	s_cbranch_scc0 .LBB184_2247
; %bb.2246:
	v_cvt_f32_f16_e32 v6, v2
	v_cvt_f32_f16_e32 v5, v4
	s_movk_i32 s0, 0x7fff
	v_cmp_o_f16_e32 vcc, v2, v2
	v_bfe_u32 v8, v6, 16, 1
	v_bfe_u32 v7, v5, 16, 1
	v_add3_u32 v6, v6, v8, s0
	v_add3_u32 v5, v5, v7, s0
	v_and_b32_e32 v6, 0xffff0000, v6
	v_mov_b32_e32 v7, 0x7fc00000
	v_cndmask_b32_e32 v6, v7, v6, vcc
	v_cmp_o_f16_e32 vcc, v4, v4
	v_mov_b32_e32 v7, 0x7fc0
	s_mov_b64 s[0:1], 0
	v_cndmask_b32_sdwa v5, v7, v5, vcc dst_sel:DWORD dst_unused:UNUSED_PAD src0_sel:DWORD src1_sel:WORD_1
	v_or_b32_e32 v5, v6, v5
	global_store_dword v[0:1], v5, off
.LBB184_2247:
	s_mov_b64 s[4:5], 0
.LBB184_2248:
	s_and_b64 vcc, exec, s[4:5]
	s_cbranch_vccz .LBB184_2253
; %bb.2249:
	s_cmp_eq_u32 s10, 44
	s_mov_b64 s[0:1], -1
	s_cbranch_scc0 .LBB184_2253
; %bb.2250:
	v_cvt_f32_f16_e32 v5, v4
	s_movk_i32 s0, 0xff
	v_mov_b32_e32 v7, 0xff
	v_bfe_u32 v6, v5, 23, 8
	v_cmp_ne_u32_e32 vcc, s0, v6
	s_and_saveexec_b64 s[4:5], vcc
; %bb.2251:
	s_mov_b32 s0, 0x3fffff
	v_lshrrev_b32_e32 v7, 23, v5
	v_and_b32_e32 v8, 0x400000, v5
	v_and_or_b32 v5, v5, s0, v6
	v_cmp_ne_u32_e32 vcc, 0, v8
	v_cmp_ne_u32_e64 s[0:1], 0, v5
	s_and_b64 s[0:1], vcc, s[0:1]
	s_nop 0
	v_cndmask_b32_e64 v5, 0, 1, s[0:1]
	v_add_u32_e32 v7, v7, v5
; %bb.2252:
	s_or_b64 exec, exec, s[4:5]
	s_mov_b64 s[0:1], 0
	global_store_byte v[0:1], v7, off
.LBB184_2253:
	s_mov_b64 s[4:5], 0
.LBB184_2254:
	s_and_b64 vcc, exec, s[4:5]
	s_cbranch_vccz .LBB184_2257
; %bb.2255:
	s_cmp_eq_u32 s10, 29
	s_mov_b64 s[0:1], -1
	s_cbranch_scc0 .LBB184_2257
; %bb.2256:
	v_cvt_f32_f16_e32 v5, v4
	v_mov_b32_e32 v7, 0
	s_mov_b64 s[0:1], 0
	v_cvt_u32_f32_e32 v6, v5
	global_store_dwordx2 v[0:1], v[6:7], off
.LBB184_2257:
	s_mov_b64 s[4:5], 0
.LBB184_2258:
	s_and_b64 vcc, exec, s[4:5]
	s_cbranch_vccz .LBB184_2273
; %bb.2259:
	s_cmp_lt_i32 s10, 27
	s_mov_b64 s[4:5], -1
	s_cbranch_scc1 .LBB184_2265
; %bb.2260:
	s_cmp_gt_i32 s10, 27
	s_cbranch_scc0 .LBB184_2262
; %bb.2261:
	v_cvt_f32_f16_e32 v5, v4
	s_mov_b64 s[4:5], 0
	v_cvt_u32_f32_e32 v5, v5
	global_store_dword v[0:1], v5, off
.LBB184_2262:
	s_andn2_b64 vcc, exec, s[4:5]
	s_cbranch_vccnz .LBB184_2264
; %bb.2263:
	v_cvt_u16_f16_e32 v5, v4
	global_store_short v[0:1], v5, off
.LBB184_2264:
	s_mov_b64 s[4:5], 0
.LBB184_2265:
	s_andn2_b64 vcc, exec, s[4:5]
	s_cbranch_vccnz .LBB184_2273
; %bb.2266:
	v_cvt_f32_f16_e32 v5, v4
	s_mov_b32 s4, 0x43800000
	v_mov_b32_e32 v7, 0x80
	v_and_b32_e32 v6, 0x7fffffff, v5
	v_cmp_gt_u32_e32 vcc, s4, v6
	s_and_saveexec_b64 s[4:5], vcc
	s_cbranch_execz .LBB184_2272
; %bb.2267:
	s_mov_b32 s6, 0x3bffffff
	v_cmp_lt_u32_e32 vcc, s6, v6
	s_mov_b64 s[6:7], 0
                                        ; implicit-def: $vgpr6
	s_and_saveexec_b64 s[8:9], vcc
	s_xor_b64 s[8:9], exec, s[8:9]
	s_cbranch_execz .LBB184_2378
; %bb.2268:
	v_bfe_u32 v6, v5, 20, 1
	s_mov_b32 s11, 0x487ffff
	v_add3_u32 v6, v5, v6, s11
	s_mov_b64 s[6:7], exec
	v_lshrrev_b32_e32 v6, 20, v6
	s_andn2_saveexec_b64 s[8:9], s[8:9]
	s_cbranch_execnz .LBB184_2379
.LBB184_2269:
	s_or_b64 exec, exec, s[8:9]
	v_mov_b32_e32 v7, 0
	s_and_saveexec_b64 s[8:9], s[6:7]
.LBB184_2270:
	v_lshrrev_b32_e32 v5, 24, v5
	s_movk_i32 s6, 0x80
	v_and_or_b32 v7, v5, s6, v6
.LBB184_2271:
	s_or_b64 exec, exec, s[8:9]
.LBB184_2272:
	s_or_b64 exec, exec, s[4:5]
	global_store_byte v[0:1], v7, off
.LBB184_2273:
	s_mov_b64 s[4:5], 0
.LBB184_2274:
	s_and_b64 vcc, exec, s[4:5]
	s_cbranch_vccz .LBB184_2314
; %bb.2275:
	s_cmp_gt_i32 s10, 22
	s_mov_b64 s[2:3], -1
	s_cbranch_scc0 .LBB184_2307
; %bb.2276:
	s_cmp_lt_i32 s10, 24
	s_cbranch_scc1 .LBB184_2296
; %bb.2277:
	s_cmp_gt_i32 s10, 24
	s_cbranch_scc0 .LBB184_2285
; %bb.2278:
	v_cvt_f32_f16_e32 v5, v4
	s_mov_b32 s2, 0x47800000
	v_mov_b32_e32 v7, 0x80
	v_and_b32_e32 v6, 0x7fffffff, v5
	v_cmp_gt_u32_e32 vcc, s2, v6
	s_and_saveexec_b64 s[2:3], vcc
	s_cbranch_execz .LBB184_2284
; %bb.2279:
	s_mov_b32 s4, 0x37ffffff
	v_cmp_lt_u32_e32 vcc, s4, v6
	s_mov_b64 s[4:5], 0
                                        ; implicit-def: $vgpr6
	s_and_saveexec_b64 s[6:7], vcc
	s_xor_b64 s[6:7], exec, s[6:7]
	s_cbranch_execz .LBB184_2381
; %bb.2280:
	v_bfe_u32 v6, v5, 21, 1
	s_mov_b32 s8, 0x88fffff
	v_add3_u32 v6, v5, v6, s8
	s_mov_b64 s[4:5], exec
	v_lshrrev_b32_e32 v6, 21, v6
	s_andn2_saveexec_b64 s[6:7], s[6:7]
	s_cbranch_execnz .LBB184_2382
.LBB184_2281:
	s_or_b64 exec, exec, s[6:7]
	v_mov_b32_e32 v7, 0
	s_and_saveexec_b64 s[6:7], s[4:5]
.LBB184_2282:
	v_lshrrev_b32_e32 v5, 24, v5
	s_movk_i32 s4, 0x80
	v_and_or_b32 v7, v5, s4, v6
.LBB184_2283:
	s_or_b64 exec, exec, s[6:7]
.LBB184_2284:
	s_or_b64 exec, exec, s[2:3]
	s_mov_b64 s[2:3], 0
	global_store_byte v[0:1], v7, off
.LBB184_2285:
	s_and_b64 vcc, exec, s[2:3]
	s_cbranch_vccz .LBB184_2295
; %bb.2286:
	v_cvt_f32_f16_e32 v5, v4
	s_mov_b32 s2, 0x43f00000
                                        ; implicit-def: $vgpr6
	v_and_b32_e32 v7, 0x7fffffff, v5
	v_cmp_gt_u32_e32 vcc, s2, v7
	s_and_saveexec_b64 s[2:3], vcc
	s_xor_b64 s[2:3], exec, s[2:3]
	s_cbranch_execz .LBB184_2292
; %bb.2287:
	s_mov_b32 s4, 0x3c7fffff
	v_cmp_lt_u32_e32 vcc, s4, v7
                                        ; implicit-def: $vgpr6
	s_and_saveexec_b64 s[4:5], vcc
	s_xor_b64 s[4:5], exec, s[4:5]
; %bb.2288:
	v_bfe_u32 v6, v5, 20, 1
	s_mov_b32 s6, 0x407ffff
	v_add3_u32 v6, v5, v6, s6
	v_lshrrev_b32_e32 v7, 20, v6
	v_and_b32_e32 v6, 0xff00000, v6
	s_mov_b32 s6, 0x7f00000
	v_mov_b32_e32 v8, 0x7e
	v_cmp_ne_u32_e32 vcc, s6, v6
	s_nop 1
	v_cndmask_b32_e32 v6, v8, v7, vcc
; %bb.2289:
	s_andn2_saveexec_b64 s[4:5], s[4:5]
; %bb.2290:
	s_mov_b32 s6, 0x46800000
	v_add_f32_e64 v6, |v5|, s6
; %bb.2291:
	s_or_b64 exec, exec, s[4:5]
                                        ; implicit-def: $vgpr7
.LBB184_2292:
	s_andn2_saveexec_b64 s[2:3], s[2:3]
; %bb.2293:
	s_mov_b32 s4, 0x7f800000
	v_mov_b32_e32 v6, 0x7e
	v_mov_b32_e32 v8, 0x7f
	v_cmp_lt_u32_e32 vcc, s4, v7
	s_nop 1
	v_cndmask_b32_e32 v6, v6, v8, vcc
; %bb.2294:
	s_or_b64 exec, exec, s[2:3]
	v_lshrrev_b32_e32 v5, 24, v5
	s_movk_i32 s2, 0x80
	v_and_or_b32 v5, v5, s2, v6
	global_store_byte v[0:1], v5, off
.LBB184_2295:
	s_mov_b64 s[2:3], 0
.LBB184_2296:
	s_andn2_b64 vcc, exec, s[2:3]
	s_cbranch_vccnz .LBB184_2306
; %bb.2297:
	v_cvt_f32_f16_e32 v5, v4
	s_mov_b32 s2, 0x47800000
                                        ; implicit-def: $vgpr6
	v_and_b32_e32 v7, 0x7fffffff, v5
	v_cmp_gt_u32_e32 vcc, s2, v7
	s_and_saveexec_b64 s[2:3], vcc
	s_xor_b64 s[2:3], exec, s[2:3]
	s_cbranch_execz .LBB184_2303
; %bb.2298:
	s_mov_b32 s4, 0x387fffff
	v_cmp_lt_u32_e32 vcc, s4, v7
                                        ; implicit-def: $vgpr6
	s_and_saveexec_b64 s[4:5], vcc
	s_xor_b64 s[4:5], exec, s[4:5]
; %bb.2299:
	v_bfe_u32 v6, v5, 21, 1
	s_mov_b32 s6, 0x80fffff
	v_add3_u32 v6, v5, v6, s6
	v_lshrrev_b32_e32 v6, 21, v6
; %bb.2300:
	s_andn2_saveexec_b64 s[4:5], s[4:5]
; %bb.2301:
	s_mov_b32 s6, 0x43000000
	v_add_f32_e64 v6, |v5|, s6
; %bb.2302:
	s_or_b64 exec, exec, s[4:5]
                                        ; implicit-def: $vgpr7
.LBB184_2303:
	s_andn2_saveexec_b64 s[2:3], s[2:3]
; %bb.2304:
	s_mov_b32 s4, 0x7f800000
	v_mov_b32_e32 v6, 0x7c
	v_mov_b32_e32 v8, 0x7f
	v_cmp_lt_u32_e32 vcc, s4, v7
	s_nop 1
	v_cndmask_b32_e32 v6, v6, v8, vcc
; %bb.2305:
	s_or_b64 exec, exec, s[2:3]
	v_lshrrev_b32_e32 v5, 24, v5
	s_movk_i32 s2, 0x80
	v_and_or_b32 v5, v5, s2, v6
	global_store_byte v[0:1], v5, off
.LBB184_2306:
	s_mov_b64 s[2:3], 0
.LBB184_2307:
	s_andn2_b64 vcc, exec, s[2:3]
	s_mov_b64 s[2:3], 0
	s_cbranch_vccnz .LBB184_2314
; %bb.2308:
	s_cmp_gt_i32 s10, 14
	s_mov_b64 s[4:5], -1
	s_cbranch_scc0 .LBB184_2312
; %bb.2309:
	s_cmp_eq_u32 s10, 15
	s_mov_b64 s[0:1], -1
	s_cbranch_scc0 .LBB184_2311
; %bb.2310:
	v_cvt_f32_f16_e32 v5, v4
	s_movk_i32 s0, 0x7fff
	v_cmp_o_f16_e32 vcc, v4, v4
	v_mov_b32_e32 v6, 0x7fc0
	v_bfe_u32 v7, v5, 16, 1
	v_add3_u32 v5, v5, v7, s0
	v_cndmask_b32_sdwa v5, v6, v5, vcc dst_sel:DWORD dst_unused:UNUSED_PAD src0_sel:DWORD src1_sel:WORD_1
	global_store_short v[0:1], v5, off
	s_mov_b64 s[0:1], 0
.LBB184_2311:
	s_mov_b64 s[4:5], 0
.LBB184_2312:
	s_and_b64 vcc, exec, s[4:5]
	s_cbranch_vccz .LBB184_2314
; %bb.2313:
	s_cmp_lg_u32 s10, 11
	s_mov_b64 s[2:3], -1
	s_cselect_b64 s[0:1], -1, 0
.LBB184_2314:
	s_and_b64 vcc, exec, s[0:1]
	s_cbranch_vccnz .LBB184_2380
.LBB184_2315:
	s_mov_b64 s[0:1], 0
	s_branch .LBB184_2362
.LBB184_2316:
	s_mov_b64 s[0:1], 0
	s_mov_b64 s[2:3], 0
                                        ; implicit-def: $sgpr20
                                        ; implicit-def: $vgpr0_vgpr1
                                        ; implicit-def: $vgpr5
                                        ; implicit-def: $vgpr2
                                        ; implicit-def: $vgpr4
.LBB184_2317:
	s_and_b64 s[10:11], s[2:3], exec
	s_andn2_b64 s[2:3], s[14:15], exec
	s_and_b64 s[4:5], s[16:17], exec
	s_and_b64 s[0:1], s[0:1], exec
	s_or_b64 s[14:15], s[2:3], s[4:5]
.LBB184_2318:
	s_or_b64 exec, exec, s[12:13]
	s_and_saveexec_b64 s[2:3], s[14:15]
	s_cbranch_execz .LBB184_2321
; %bb.2319:
	; divergent unreachable
	s_or_b64 exec, exec, s[2:3]
	s_and_saveexec_b64 s[2:3], s[10:11]
	s_xor_b64 s[2:3], exec, s[2:3]
	s_cbranch_execnz .LBB184_2322
.LBB184_2320:
	s_or_b64 exec, exec, s[2:3]
	s_and_saveexec_b64 s[2:3], s[0:1]
	s_cbranch_execnz .LBB184_2323
	s_branch .LBB184_2360
.LBB184_2321:
	s_or_b64 exec, exec, s[2:3]
	s_and_saveexec_b64 s[2:3], s[10:11]
	s_xor_b64 s[2:3], exec, s[2:3]
	s_cbranch_execz .LBB184_2320
.LBB184_2322:
	s_waitcnt vmcnt(0)
	v_and_b32_e32 v3, 0x7fff7fff, v5
	v_cmp_ne_u32_e32 vcc, 0, v3
	s_nop 1
	v_cndmask_b32_e64 v3, 0, 1, vcc
	global_store_byte v[0:1], v3, off
	s_or_b64 exec, exec, s[2:3]
	s_and_saveexec_b64 s[2:3], s[0:1]
	s_cbranch_execz .LBB184_2360
.LBB184_2323:
	s_sext_i32_i16 s2, s20
	s_cmp_lt_i32 s2, 5
	s_mov_b64 s[0:1], -1
	s_cbranch_scc1 .LBB184_2344
; %bb.2324:
	s_cmp_lt_i32 s2, 8
	s_cbranch_scc1 .LBB184_2334
; %bb.2325:
	s_cmp_lt_i32 s2, 9
	s_cbranch_scc1 .LBB184_2331
; %bb.2326:
	s_waitcnt vmcnt(0)
	v_cvt_f32_f16_e32 v3, v2
	s_cmp_gt_i32 s2, 9
	s_cbranch_scc0 .LBB184_2328
; %bb.2327:
	v_cvt_f32_f16_e32 v2, v4
	v_cvt_f64_f32_e32 v[8:9], v3
	s_mov_b64 s[0:1], 0
	v_cvt_f64_f32_e32 v[6:7], v2
	global_store_dwordx4 v[0:1], v[6:9], off
.LBB184_2328:
	s_andn2_b64 vcc, exec, s[0:1]
	s_cbranch_vccnz .LBB184_2330
; %bb.2329:
	v_cvt_f32_f16_e32 v2, v4
	global_store_dwordx2 v[0:1], v[2:3], off
.LBB184_2330:
	s_mov_b64 s[0:1], 0
.LBB184_2331:
	s_andn2_b64 vcc, exec, s[0:1]
	s_cbranch_vccnz .LBB184_2333
; %bb.2332:
	s_waitcnt vmcnt(0)
	global_store_dword v[0:1], v5, off
.LBB184_2333:
	s_mov_b64 s[0:1], 0
.LBB184_2334:
	s_andn2_b64 vcc, exec, s[0:1]
	s_cbranch_vccnz .LBB184_2343
; %bb.2335:
	s_sext_i32_i16 s2, s20
	s_cmp_lt_i32 s2, 6
	s_mov_b64 s[0:1], -1
	s_cbranch_scc1 .LBB184_2341
; %bb.2336:
	s_cmp_gt_i32 s2, 6
	s_cbranch_scc0 .LBB184_2338
; %bb.2337:
	s_waitcnt vmcnt(0)
	v_cvt_f32_f16_e32 v2, v4
	s_mov_b64 s[0:1], 0
	v_cvt_f64_f32_e32 v[2:3], v2
	global_store_dwordx2 v[0:1], v[2:3], off
.LBB184_2338:
	s_andn2_b64 vcc, exec, s[0:1]
	s_cbranch_vccnz .LBB184_2340
; %bb.2339:
	s_waitcnt vmcnt(0)
	v_cvt_f32_f16_e32 v2, v4
	global_store_dword v[0:1], v2, off
.LBB184_2340:
	s_mov_b64 s[0:1], 0
.LBB184_2341:
	s_andn2_b64 vcc, exec, s[0:1]
	s_cbranch_vccnz .LBB184_2343
; %bb.2342:
	global_store_short v[0:1], v4, off
.LBB184_2343:
	s_mov_b64 s[0:1], 0
.LBB184_2344:
	s_andn2_b64 vcc, exec, s[0:1]
	s_cbranch_vccnz .LBB184_2360
; %bb.2345:
	s_sext_i32_i16 s2, s20
	s_cmp_lt_i32 s2, 2
	s_mov_b64 s[0:1], -1
	s_cbranch_scc1 .LBB184_2355
; %bb.2346:
	s_cmp_lt_i32 s2, 3
	s_cbranch_scc1 .LBB184_2352
; %bb.2347:
	s_cmp_gt_i32 s2, 3
	s_cbranch_scc0 .LBB184_2349
; %bb.2348:
	s_waitcnt vmcnt(0)
	v_cvt_f32_f16_e32 v2, v4
	s_mov_b64 s[0:1], 0
	v_cvt_i32_f32_e32 v2, v2
	v_ashrrev_i32_e32 v3, 31, v2
	global_store_dwordx2 v[0:1], v[2:3], off
.LBB184_2349:
	s_andn2_b64 vcc, exec, s[0:1]
	s_cbranch_vccnz .LBB184_2351
; %bb.2350:
	s_waitcnt vmcnt(0)
	v_cvt_f32_f16_e32 v2, v4
	v_cvt_i32_f32_e32 v2, v2
	global_store_dword v[0:1], v2, off
.LBB184_2351:
	s_mov_b64 s[0:1], 0
.LBB184_2352:
	s_andn2_b64 vcc, exec, s[0:1]
	s_cbranch_vccnz .LBB184_2354
; %bb.2353:
	s_waitcnt vmcnt(0)
	v_cvt_i16_f16_e32 v2, v4
	global_store_short v[0:1], v2, off
.LBB184_2354:
	s_mov_b64 s[0:1], 0
.LBB184_2355:
	s_andn2_b64 vcc, exec, s[0:1]
	s_cbranch_vccnz .LBB184_2360
; %bb.2356:
	s_sext_i32_i16 s0, s20
	s_cmp_gt_i32 s0, 0
	s_mov_b64 s[0:1], -1
	s_cbranch_scc0 .LBB184_2358
; %bb.2357:
	s_waitcnt vmcnt(0)
	v_cvt_i16_f16_e32 v2, v4
	global_store_byte v[0:1], v2, off
	s_mov_b64 s[0:1], 0
.LBB184_2358:
	s_andn2_b64 vcc, exec, s[0:1]
	s_cbranch_vccnz .LBB184_2360
; %bb.2359:
	s_waitcnt vmcnt(0)
	v_cvt_f32_f16_e32 v2, v4
	v_cvt_i32_f32_e32 v2, v2
	global_store_byte v[0:1], v2, off
	s_endpgm
.LBB184_2360:
	s_endpgm
.LBB184_2361:
	s_mov_b64 s[2:3], 0
	s_mov_b64 s[0:1], -1
.LBB184_2362:
	v_or_b32_e32 v5, v3, v4
	s_branch .LBB184_2317
.LBB184_2363:
	s_andn2_saveexec_b64 s[18:19], s[18:19]
	s_cbranch_execz .LBB184_1911
.LBB184_2364:
	s_mov_b32 s21, 0x46000000
	v_add_f32_e64 v10, |v1|, s21
	v_and_b32_e32 v10, 0xff, v10
	v_cmp_ne_u32_e32 vcc, 0, v10
	s_andn2_b64 s[10:11], s[10:11], exec
	s_and_b64 s[22:23], vcc, exec
	s_or_b64 s[10:11], s[10:11], s[22:23]
	s_or_b64 exec, exec, s[18:19]
	v_mov_b32_e32 v14, 0
	s_and_saveexec_b64 s[18:19], s[10:11]
	s_cbranch_execnz .LBB184_1912
	s_branch .LBB184_1913
.LBB184_2365:
	s_trap 2
	s_or_b64 s[16:17], s[16:17], exec
	s_cbranch_execz .LBB184_1959
	s_branch .LBB184_1960
.LBB184_2366:
	s_andn2_saveexec_b64 s[10:11], s[10:11]
	s_cbranch_execz .LBB184_1924
.LBB184_2367:
	s_mov_b32 s18, 0x42800000
	v_add_f32_e64 v10, |v1|, s18
	v_and_b32_e32 v10, 0xff, v10
	v_cmp_ne_u32_e32 vcc, 0, v10
	s_andn2_b64 s[6:7], s[6:7], exec
	s_and_b64 s[18:19], vcc, exec
	s_or_b64 s[6:7], s[6:7], s[18:19]
	s_or_b64 exec, exec, s[10:11]
	v_mov_b32_e32 v14, 0
	s_and_saveexec_b64 s[10:11], s[6:7]
	s_cbranch_execnz .LBB184_1925
	s_branch .LBB184_1926
.LBB184_2368:
	s_andn2_saveexec_b64 s[10:11], s[10:11]
	s_cbranch_execz .LBB184_2030
.LBB184_2369:
	s_mov_b32 s21, 0x46000000
	v_add_f32_e64 v9, |v1|, s21
	v_and_b32_e32 v9, 0xff, v9
	v_cmp_ne_u32_e32 vcc, 0, v9
	s_andn2_b64 s[8:9], s[8:9], exec
	s_and_b64 s[22:23], vcc, exec
	s_or_b64 s[8:9], s[8:9], s[22:23]
	s_or_b64 exec, exec, s[10:11]
	v_mov_b32_e32 v12, 0
	s_and_saveexec_b64 s[10:11], s[8:9]
	s_cbranch_execnz .LBB184_2031
	s_branch .LBB184_2032
.LBB184_2370:
	s_trap 2
	s_or_b64 s[16:17], s[16:17], exec
	s_cbranch_execz .LBB184_2078
	s_branch .LBB184_2079
.LBB184_2371:
	s_andn2_saveexec_b64 s[8:9], s[8:9]
	s_cbranch_execz .LBB184_2043
.LBB184_2372:
	s_mov_b32 s10, 0x42800000
	v_add_f32_e64 v9, |v1|, s10
	v_and_b32_e32 v9, 0xff, v9
	v_cmp_ne_u32_e32 vcc, 0, v9
	s_andn2_b64 s[6:7], s[6:7], exec
	s_and_b64 s[10:11], vcc, exec
	s_or_b64 s[6:7], s[6:7], s[10:11]
	s_or_b64 exec, exec, s[8:9]
	v_mov_b32_e32 v12, 0
	s_and_saveexec_b64 s[8:9], s[6:7]
	s_cbranch_execnz .LBB184_2044
	s_branch .LBB184_2045
.LBB184_2373:
	s_andn2_saveexec_b64 s[10:11], s[10:11]
	s_cbranch_execz .LBB184_2149
.LBB184_2374:
	s_mov_b32 s21, 0x46000000
	v_add_f32_e64 v4, |v1|, s21
	v_and_b32_e32 v4, 0xff, v4
	v_cmp_ne_u32_e32 vcc, 0, v4
	s_andn2_b64 s[8:9], s[8:9], exec
	s_and_b64 s[22:23], vcc, exec
	s_or_b64 s[8:9], s[8:9], s[22:23]
	s_or_b64 exec, exec, s[10:11]
	v_mov_b32_e32 v10, 0
	s_and_saveexec_b64 s[10:11], s[8:9]
	s_cbranch_execnz .LBB184_2150
	s_branch .LBB184_2151
.LBB184_2375:
	s_trap 2
	s_or_b64 s[16:17], s[16:17], exec
	s_cbranch_execz .LBB184_2197
	s_branch .LBB184_2198
.LBB184_2376:
	s_andn2_saveexec_b64 s[8:9], s[8:9]
	s_cbranch_execz .LBB184_2162
.LBB184_2377:
	s_mov_b32 s10, 0x42800000
	v_add_f32_e64 v4, |v1|, s10
	v_and_b32_e32 v4, 0xff, v4
	v_cmp_ne_u32_e32 vcc, 0, v4
	s_andn2_b64 s[6:7], s[6:7], exec
	s_and_b64 s[10:11], vcc, exec
	s_or_b64 s[6:7], s[6:7], s[10:11]
	s_or_b64 exec, exec, s[8:9]
	v_mov_b32_e32 v10, 0
	s_and_saveexec_b64 s[8:9], s[6:7]
	s_cbranch_execnz .LBB184_2163
	s_branch .LBB184_2164
.LBB184_2378:
	s_andn2_saveexec_b64 s[8:9], s[8:9]
	s_cbranch_execz .LBB184_2269
.LBB184_2379:
	s_mov_b32 s11, 0x46000000
	v_add_f32_e64 v6, |v5|, s11
	v_and_b32_e32 v6, 0xff, v6
	v_cmp_ne_u32_e32 vcc, 0, v6
	s_andn2_b64 s[6:7], s[6:7], exec
	s_and_b64 s[18:19], vcc, exec
	s_or_b64 s[6:7], s[6:7], s[18:19]
	s_or_b64 exec, exec, s[8:9]
	v_mov_b32_e32 v7, 0
	s_and_saveexec_b64 s[8:9], s[6:7]
	s_cbranch_execnz .LBB184_2270
	s_branch .LBB184_2271
.LBB184_2380:
	s_mov_b64 s[2:3], 0
	s_or_b64 s[16:17], s[16:17], exec
	s_trap 2
	s_branch .LBB184_2315
.LBB184_2381:
	s_andn2_saveexec_b64 s[6:7], s[6:7]
	s_cbranch_execz .LBB184_2281
.LBB184_2382:
	s_mov_b32 s8, 0x42800000
	v_add_f32_e64 v6, |v5|, s8
	v_and_b32_e32 v6, 0xff, v6
	v_cmp_ne_u32_e32 vcc, 0, v6
	s_andn2_b64 s[4:5], s[4:5], exec
	s_and_b64 s[8:9], vcc, exec
	s_or_b64 s[4:5], s[4:5], s[8:9]
	s_or_b64 exec, exec, s[6:7]
	v_mov_b32_e32 v7, 0
	s_and_saveexec_b64 s[6:7], s[4:5]
	s_cbranch_execnz .LBB184_2282
	s_branch .LBB184_2283
	.section	.rodata,"a",@progbits
	.p2align	6, 0x0
	.amdhsa_kernel _ZN2at6native32elementwise_kernel_manual_unrollILi128ELi4EZNS0_15gpu_kernel_implIZZZNS0_17rsqrt_kernel_cudaERNS_18TensorIteratorBaseEENKUlvE_clEvENKUlvE1_clEvEUlN3c107complexINS7_4HalfEEEE_EEvS4_RKT_EUlibE_EEviT1_
		.amdhsa_group_segment_fixed_size 0
		.amdhsa_private_segment_fixed_size 0
		.amdhsa_kernarg_size 40
		.amdhsa_user_sgpr_count 2
		.amdhsa_user_sgpr_dispatch_ptr 0
		.amdhsa_user_sgpr_queue_ptr 0
		.amdhsa_user_sgpr_kernarg_segment_ptr 1
		.amdhsa_user_sgpr_dispatch_id 0
		.amdhsa_user_sgpr_kernarg_preload_length 0
		.amdhsa_user_sgpr_kernarg_preload_offset 0
		.amdhsa_user_sgpr_private_segment_size 0
		.amdhsa_uses_dynamic_stack 0
		.amdhsa_enable_private_segment 0
		.amdhsa_system_sgpr_workgroup_id_x 1
		.amdhsa_system_sgpr_workgroup_id_y 0
		.amdhsa_system_sgpr_workgroup_id_z 0
		.amdhsa_system_sgpr_workgroup_info 0
		.amdhsa_system_vgpr_workitem_id 0
		.amdhsa_next_free_vgpr 24
		.amdhsa_next_free_sgpr 48
		.amdhsa_accum_offset 24
		.amdhsa_reserve_vcc 1
		.amdhsa_float_round_mode_32 0
		.amdhsa_float_round_mode_16_64 0
		.amdhsa_float_denorm_mode_32 3
		.amdhsa_float_denorm_mode_16_64 3
		.amdhsa_dx10_clamp 1
		.amdhsa_ieee_mode 1
		.amdhsa_fp16_overflow 0
		.amdhsa_tg_split 0
		.amdhsa_exception_fp_ieee_invalid_op 0
		.amdhsa_exception_fp_denorm_src 0
		.amdhsa_exception_fp_ieee_div_zero 0
		.amdhsa_exception_fp_ieee_overflow 0
		.amdhsa_exception_fp_ieee_underflow 0
		.amdhsa_exception_fp_ieee_inexact 0
		.amdhsa_exception_int_div_zero 0
	.end_amdhsa_kernel
	.section	.text._ZN2at6native32elementwise_kernel_manual_unrollILi128ELi4EZNS0_15gpu_kernel_implIZZZNS0_17rsqrt_kernel_cudaERNS_18TensorIteratorBaseEENKUlvE_clEvENKUlvE1_clEvEUlN3c107complexINS7_4HalfEEEE_EEvS4_RKT_EUlibE_EEviT1_,"axG",@progbits,_ZN2at6native32elementwise_kernel_manual_unrollILi128ELi4EZNS0_15gpu_kernel_implIZZZNS0_17rsqrt_kernel_cudaERNS_18TensorIteratorBaseEENKUlvE_clEvENKUlvE1_clEvEUlN3c107complexINS7_4HalfEEEE_EEvS4_RKT_EUlibE_EEviT1_,comdat
.Lfunc_end184:
	.size	_ZN2at6native32elementwise_kernel_manual_unrollILi128ELi4EZNS0_15gpu_kernel_implIZZZNS0_17rsqrt_kernel_cudaERNS_18TensorIteratorBaseEENKUlvE_clEvENKUlvE1_clEvEUlN3c107complexINS7_4HalfEEEE_EEvS4_RKT_EUlibE_EEviT1_, .Lfunc_end184-_ZN2at6native32elementwise_kernel_manual_unrollILi128ELi4EZNS0_15gpu_kernel_implIZZZNS0_17rsqrt_kernel_cudaERNS_18TensorIteratorBaseEENKUlvE_clEvENKUlvE1_clEvEUlN3c107complexINS7_4HalfEEEE_EEvS4_RKT_EUlibE_EEviT1_
                                        ; -- End function
	.set _ZN2at6native32elementwise_kernel_manual_unrollILi128ELi4EZNS0_15gpu_kernel_implIZZZNS0_17rsqrt_kernel_cudaERNS_18TensorIteratorBaseEENKUlvE_clEvENKUlvE1_clEvEUlN3c107complexINS7_4HalfEEEE_EEvS4_RKT_EUlibE_EEviT1_.num_vgpr, 24
	.set _ZN2at6native32elementwise_kernel_manual_unrollILi128ELi4EZNS0_15gpu_kernel_implIZZZNS0_17rsqrt_kernel_cudaERNS_18TensorIteratorBaseEENKUlvE_clEvENKUlvE1_clEvEUlN3c107complexINS7_4HalfEEEE_EEvS4_RKT_EUlibE_EEviT1_.num_agpr, 0
	.set _ZN2at6native32elementwise_kernel_manual_unrollILi128ELi4EZNS0_15gpu_kernel_implIZZZNS0_17rsqrt_kernel_cudaERNS_18TensorIteratorBaseEENKUlvE_clEvENKUlvE1_clEvEUlN3c107complexINS7_4HalfEEEE_EEvS4_RKT_EUlibE_EEviT1_.numbered_sgpr, 48
	.set _ZN2at6native32elementwise_kernel_manual_unrollILi128ELi4EZNS0_15gpu_kernel_implIZZZNS0_17rsqrt_kernel_cudaERNS_18TensorIteratorBaseEENKUlvE_clEvENKUlvE1_clEvEUlN3c107complexINS7_4HalfEEEE_EEvS4_RKT_EUlibE_EEviT1_.num_named_barrier, 0
	.set _ZN2at6native32elementwise_kernel_manual_unrollILi128ELi4EZNS0_15gpu_kernel_implIZZZNS0_17rsqrt_kernel_cudaERNS_18TensorIteratorBaseEENKUlvE_clEvENKUlvE1_clEvEUlN3c107complexINS7_4HalfEEEE_EEvS4_RKT_EUlibE_EEviT1_.private_seg_size, 0
	.set _ZN2at6native32elementwise_kernel_manual_unrollILi128ELi4EZNS0_15gpu_kernel_implIZZZNS0_17rsqrt_kernel_cudaERNS_18TensorIteratorBaseEENKUlvE_clEvENKUlvE1_clEvEUlN3c107complexINS7_4HalfEEEE_EEvS4_RKT_EUlibE_EEviT1_.uses_vcc, 1
	.set _ZN2at6native32elementwise_kernel_manual_unrollILi128ELi4EZNS0_15gpu_kernel_implIZZZNS0_17rsqrt_kernel_cudaERNS_18TensorIteratorBaseEENKUlvE_clEvENKUlvE1_clEvEUlN3c107complexINS7_4HalfEEEE_EEvS4_RKT_EUlibE_EEviT1_.uses_flat_scratch, 0
	.set _ZN2at6native32elementwise_kernel_manual_unrollILi128ELi4EZNS0_15gpu_kernel_implIZZZNS0_17rsqrt_kernel_cudaERNS_18TensorIteratorBaseEENKUlvE_clEvENKUlvE1_clEvEUlN3c107complexINS7_4HalfEEEE_EEvS4_RKT_EUlibE_EEviT1_.has_dyn_sized_stack, 0
	.set _ZN2at6native32elementwise_kernel_manual_unrollILi128ELi4EZNS0_15gpu_kernel_implIZZZNS0_17rsqrt_kernel_cudaERNS_18TensorIteratorBaseEENKUlvE_clEvENKUlvE1_clEvEUlN3c107complexINS7_4HalfEEEE_EEvS4_RKT_EUlibE_EEviT1_.has_recursion, 0
	.set _ZN2at6native32elementwise_kernel_manual_unrollILi128ELi4EZNS0_15gpu_kernel_implIZZZNS0_17rsqrt_kernel_cudaERNS_18TensorIteratorBaseEENKUlvE_clEvENKUlvE1_clEvEUlN3c107complexINS7_4HalfEEEE_EEvS4_RKT_EUlibE_EEviT1_.has_indirect_call, 0
	.section	.AMDGPU.csdata,"",@progbits
; Kernel info:
; codeLenInByte = 51744
; TotalNumSgprs: 54
; NumVgprs: 24
; NumAgprs: 0
; TotalNumVgprs: 24
; ScratchSize: 0
; MemoryBound: 0
; FloatMode: 240
; IeeeMode: 1
; LDSByteSize: 0 bytes/workgroup (compile time only)
; SGPRBlocks: 6
; VGPRBlocks: 2
; NumSGPRsForWavesPerEU: 54
; NumVGPRsForWavesPerEU: 24
; AccumOffset: 24
; Occupancy: 8
; WaveLimiterHint : 0
; COMPUTE_PGM_RSRC2:SCRATCH_EN: 0
; COMPUTE_PGM_RSRC2:USER_SGPR: 2
; COMPUTE_PGM_RSRC2:TRAP_HANDLER: 0
; COMPUTE_PGM_RSRC2:TGID_X_EN: 1
; COMPUTE_PGM_RSRC2:TGID_Y_EN: 0
; COMPUTE_PGM_RSRC2:TGID_Z_EN: 0
; COMPUTE_PGM_RSRC2:TIDIG_COMP_CNT: 0
; COMPUTE_PGM_RSRC3_GFX90A:ACCUM_OFFSET: 5
; COMPUTE_PGM_RSRC3_GFX90A:TG_SPLIT: 0
	.section	.text._ZN2at6native32elementwise_kernel_manual_unrollILi128ELi4EZNS0_15gpu_kernel_implIZZZNS0_17rsqrt_kernel_cudaERNS_18TensorIteratorBaseEENKUlvE_clEvENKUlvE1_clEvEUlN3c107complexINS7_4HalfEEEE_EEvS4_RKT_EUlibE0_EEviT1_,"axG",@progbits,_ZN2at6native32elementwise_kernel_manual_unrollILi128ELi4EZNS0_15gpu_kernel_implIZZZNS0_17rsqrt_kernel_cudaERNS_18TensorIteratorBaseEENKUlvE_clEvENKUlvE1_clEvEUlN3c107complexINS7_4HalfEEEE_EEvS4_RKT_EUlibE0_EEviT1_,comdat
	.globl	_ZN2at6native32elementwise_kernel_manual_unrollILi128ELi4EZNS0_15gpu_kernel_implIZZZNS0_17rsqrt_kernel_cudaERNS_18TensorIteratorBaseEENKUlvE_clEvENKUlvE1_clEvEUlN3c107complexINS7_4HalfEEEE_EEvS4_RKT_EUlibE0_EEviT1_ ; -- Begin function _ZN2at6native32elementwise_kernel_manual_unrollILi128ELi4EZNS0_15gpu_kernel_implIZZZNS0_17rsqrt_kernel_cudaERNS_18TensorIteratorBaseEENKUlvE_clEvENKUlvE1_clEvEUlN3c107complexINS7_4HalfEEEE_EEvS4_RKT_EUlibE0_EEviT1_
	.p2align	8
	.type	_ZN2at6native32elementwise_kernel_manual_unrollILi128ELi4EZNS0_15gpu_kernel_implIZZZNS0_17rsqrt_kernel_cudaERNS_18TensorIteratorBaseEENKUlvE_clEvENKUlvE1_clEvEUlN3c107complexINS7_4HalfEEEE_EEvS4_RKT_EUlibE0_EEviT1_,@function
_ZN2at6native32elementwise_kernel_manual_unrollILi128ELi4EZNS0_15gpu_kernel_implIZZZNS0_17rsqrt_kernel_cudaERNS_18TensorIteratorBaseEENKUlvE_clEvENKUlvE1_clEvEUlN3c107complexINS7_4HalfEEEE_EEvS4_RKT_EUlibE0_EEviT1_: ; @_ZN2at6native32elementwise_kernel_manual_unrollILi128ELi4EZNS0_15gpu_kernel_implIZZZNS0_17rsqrt_kernel_cudaERNS_18TensorIteratorBaseEENKUlvE_clEvENKUlvE1_clEvEUlN3c107complexINS7_4HalfEEEE_EEvS4_RKT_EUlibE0_EEviT1_
; %bb.0:
	s_load_dword s70, s[0:1], 0x0
	s_load_dword s33, s[0:1], 0x8
	s_add_u32 s34, s0, 8
	s_addc_u32 s35, s1, 0
	v_lshl_or_b32 v8, s2, 9, v0
	v_or_b32_e32 v16, 0x180, v8
	s_waitcnt lgkmcnt(0)
	s_add_i32 s72, s33, -1
	s_cmp_gt_u32 s72, 1
	v_cmp_le_i32_e32 vcc, s70, v16
	s_cselect_b64 s[42:43], -1, 0
	s_mov_b64 s[40:41], 0
	s_mov_b64 s[24:25], 0
	s_and_saveexec_b64 s[2:3], vcc
	s_xor_b64 s[44:45], exec, s[2:3]
	s_cbranch_execz .LBB185_1261
; %bb.1:
	v_mov_b32_e32 v0, 0
	global_load_ushort v0, v0, s[34:35] offset:345
	s_load_dwordx4 s[28:31], s[34:35], 0x4
	s_load_dwordx2 s[46:47], s[34:35], 0x14
	s_load_dwordx4 s[24:27], s[34:35], 0xc4
	s_load_dwordx4 s[20:23], s[34:35], 0x148
	s_cmp_lg_u32 s33, 0
	s_cselect_b64 s[52:53], -1, 0
	s_add_u32 s50, s34, 0xc4
	s_addc_u32 s51, s35, 0
	s_min_u32 s75, s72, 15
	s_cmp_gt_u32 s33, 1
	s_cselect_b64 s[48:49], -1, 0
	v_cmp_gt_i32_e32 vcc, s70, v8
	s_mov_b64 s[4:5], -1
	s_mov_b64 s[62:63], 0
	s_mov_b64 s[56:57], 0
	s_mov_b64 s[54:55], 0
	s_waitcnt vmcnt(0)
	v_readfirstlane_b32 s73, v0
	s_and_b32 s2, 0xffff, s73
	s_lshr_b32 s74, s2, 8
	s_and_saveexec_b64 s[58:59], vcc
	s_cbranch_execz .LBB185_309
; %bb.2:
	s_andn2_b64 vcc, exec, s[42:43]
	s_cbranch_vccnz .LBB185_8
; %bb.3:
	s_andn2_b64 vcc, exec, s[52:53]
	s_cbranch_vccnz .LBB185_9
; %bb.4:
	s_add_i32 s57, s75, 1
	s_cmp_eq_u32 s72, 2
	s_cbranch_scc1 .LBB185_10
; %bb.5:
	s_and_b32 s56, s57, 28
	s_mov_b32 s60, 0
	v_mov_b32_e32 v0, 0
	v_mov_b32_e32 v2, 0
	s_mov_b64 s[2:3], s[34:35]
	s_mov_b64 s[54:55], s[50:51]
	v_mov_b32_e32 v4, v8
.LBB185_6:                              ; =>This Inner Loop Header: Depth=1
	s_load_dwordx8 s[12:19], s[2:3], 0x4
	s_load_dwordx4 s[36:39], s[2:3], 0x24
	s_load_dwordx8 s[4:11], s[54:55], 0x0
	s_add_u32 s2, s2, 48
	s_addc_u32 s3, s3, 0
	s_waitcnt lgkmcnt(0)
	v_mul_hi_u32 v1, s13, v4
	v_add_u32_e32 v1, v4, v1
	v_lshrrev_b32_e32 v1, s14, v1
	v_mul_lo_u32 v3, v1, s12
	v_mul_hi_u32 v5, s16, v1
	v_sub_u32_e32 v3, v4, v3
	v_add_u32_e32 v4, v1, v5
	v_lshrrev_b32_e32 v4, s17, v4
	v_mul_lo_u32 v6, v4, s15
	v_mul_hi_u32 v7, s19, v4
	v_sub_u32_e32 v1, v1, v6
	v_add_u32_e32 v6, v4, v7
	v_mul_lo_u32 v5, v3, s5
	v_mul_lo_u32 v3, v3, s4
	;; [unrolled: 1-line block ×4, first 2 shown]
	v_lshrrev_b32_e32 v6, s36, v6
	v_add3_u32 v0, v3, v0, v1
	v_mul_hi_u32 v3, s38, v6
	v_add3_u32 v1, v5, v2, v7
	v_mul_lo_u32 v2, v6, s18
	v_add_u32_e32 v3, v6, v3
	v_sub_u32_e32 v2, v4, v2
	v_lshrrev_b32_e32 v4, s39, v3
	s_add_i32 s60, s60, 4
	v_mul_lo_u32 v3, v4, s37
	s_add_u32 s54, s54, 32
	v_sub_u32_e32 v3, v6, v3
	s_addc_u32 s55, s55, 0
	v_mul_lo_u32 v5, v2, s8
	v_mul_lo_u32 v2, v2, s9
	;; [unrolled: 1-line block ×4, first 2 shown]
	s_cmp_lg_u32 s56, s60
	v_add3_u32 v2, v2, v1, v3
	v_add3_u32 v0, v5, v0, v6
	s_cbranch_scc1 .LBB185_6
; %bb.7:
	v_mov_b32_e32 v1, v2
	s_branch .LBB185_11
.LBB185_8:
                                        ; implicit-def: $vgpr2
                                        ; implicit-def: $vgpr0
	s_branch .LBB185_15
.LBB185_9:
	v_mov_b32_e32 v2, 0
	v_mov_b32_e32 v0, 0
	s_branch .LBB185_14
.LBB185_10:
	v_mov_b32_e32 v0, 0
	s_mov_b32 s56, 0
	v_mov_b32_e32 v1, v0
                                        ; implicit-def: $vgpr2
	v_mov_b32_e32 v4, v8
.LBB185_11:
	s_and_b32 s6, s57, 3
	s_cmp_eq_u32 s6, 0
	s_cbranch_scc1 .LBB185_14
; %bb.12:
	s_lshl_b32 s2, s56, 3
	s_add_u32 s2, s34, s2
	s_addc_u32 s3, s35, 0
	s_add_u32 s2, s2, 0xc4
	s_addc_u32 s3, s3, 0
	s_mul_i32 s4, s56, 12
	s_add_u32 s4, s34, s4
	s_addc_u32 s5, s35, 0
.LBB185_13:                             ; =>This Inner Loop Header: Depth=1
	s_load_dwordx2 s[8:9], s[4:5], 0x4
	s_load_dword s7, s[4:5], 0xc
	s_load_dwordx2 s[10:11], s[2:3], 0x0
	v_mov_b32_e32 v2, v1
	s_add_u32 s4, s4, 12
	s_waitcnt lgkmcnt(0)
	v_mul_hi_u32 v1, s9, v4
	v_add_u32_e32 v1, v4, v1
	v_lshrrev_b32_e32 v1, s7, v1
	s_addc_u32 s5, s5, 0
	v_mul_lo_u32 v3, v1, s8
	s_add_u32 s2, s2, 8
	v_sub_u32_e32 v5, v4, v3
	s_addc_u32 s3, s3, 0
	s_add_i32 s6, s6, -1
	v_mov_b32_e32 v4, v1
	v_mad_u64_u32 v[2:3], s[8:9], v5, s11, v[2:3]
	v_mad_u64_u32 v[0:1], s[8:9], v5, s10, v[0:1]
	s_cmp_lg_u32 s6, 0
	v_mov_b32_e32 v1, v2
	s_cbranch_scc1 .LBB185_13
.LBB185_14:
	s_cbranch_execnz .LBB185_17
.LBB185_15:
	s_waitcnt lgkmcnt(0)
	v_mul_hi_u32 v0, s29, v8
	v_add_u32_e32 v0, v8, v0
	v_lshrrev_b32_e32 v1, s30, v0
	v_mul_lo_u32 v0, v1, s28
	v_sub_u32_e32 v0, v8, v0
	v_mul_lo_u32 v2, v0, s25
	s_andn2_b64 vcc, exec, s[48:49]
	v_mul_lo_u32 v0, v0, s24
	s_cbranch_vccnz .LBB185_17
; %bb.16:
	v_mul_hi_u32 v3, s46, v1
	v_add_u32_e32 v3, v1, v3
	v_lshrrev_b32_e32 v3, s47, v3
	v_mul_lo_u32 v3, v3, s31
	v_sub_u32_e32 v3, v1, v3
	v_mad_u64_u32 v[0:1], s[2:3], v3, s26, v[0:1]
	v_mad_u64_u32 v[2:3], s[2:3], v3, s27, v[2:3]
.LBB185_17:
	v_mov_b32_e32 v3, 0
	s_and_b32 s10, 0xffff, s74
	s_cmp_lt_i32 s10, 11
	s_waitcnt lgkmcnt(0)
	v_lshl_add_u64 v[2:3], s[22:23], 0, v[2:3]
	s_cbranch_scc1 .LBB185_24
; %bb.18:
	s_cmp_gt_i32 s10, 25
	s_cbranch_scc0 .LBB185_38
; %bb.19:
	s_cmp_gt_i32 s10, 28
	s_cbranch_scc0 .LBB185_39
	;; [unrolled: 3-line block ×4, first 2 shown]
; %bb.22:
	s_cmp_eq_u32 s10, 46
	s_mov_b64 s[4:5], 0
	s_cbranch_scc0 .LBB185_80
; %bb.23:
	global_load_dword v1, v[2:3], off
	s_mov_b64 s[2:3], -1
	s_mov_b64 s[6:7], 0
	s_waitcnt vmcnt(0)
	v_and_b32_e32 v4, 0xffff0000, v1
	v_lshlrev_b32_e32 v1, 16, v1
	v_cvt_f16_f32_e32 v1, v1
	v_cvt_f16_f32_e32 v4, v4
	s_branch .LBB185_82
.LBB185_24:
	s_mov_b64 s[6:7], 0
                                        ; implicit-def: $vgpr4
                                        ; implicit-def: $vgpr1
	s_mov_b64 s[2:3], 0
	s_cbranch_execnz .LBB185_257
.LBB185_25:
	s_andn2_b64 vcc, exec, s[2:3]
	s_cbranch_vccnz .LBB185_306
.LBB185_26:
	v_cvt_f32_f16_e32 v3, v4
	s_waitcnt vmcnt(0)
	v_cmp_neq_f16_e32 vcc, 0, v1
	v_cmp_neq_f16_e64 s[2:3], 0, v4
	s_or_b64 s[2:3], vcc, s[2:3]
	v_mov_b32_e32 v2, 0
	s_and_saveexec_b64 s[8:9], s[2:3]
	s_cbranch_execz .LBB185_60
; %bb.27:
	v_mov_b32_e32 v2, 0x7f800000
	v_cmp_neq_f32_e64 s[2:3], |v3|, v2
	s_and_saveexec_b64 s[10:11], s[2:3]
	s_cbranch_execz .LBB185_59
; %bb.28:
	v_cvt_f32_f16_e32 v6, v1
	v_cmp_o_f16_e32 vcc, v1, v1
	s_and_saveexec_b64 s[2:3], vcc
	s_xor_b64 s[12:13], exec, s[2:3]
	s_cbranch_execz .LBB185_56
; %bb.29:
	s_mov_b32 s2, 0x7f800000
	v_cmp_neq_f32_e64 s[2:3], |v6|, s2
	s_and_saveexec_b64 s[4:5], s[2:3]
	s_xor_b64 s[14:15], exec, s[4:5]
	s_cbranch_execz .LBB185_49
; %bb.30:
	v_max_f32_e64 v1, |v3|, |v3|
	v_max_f32_e64 v2, |v6|, |v6|
	v_max_f32_e32 v1, v2, v1
	s_mov_b32 s2, 0x7ed413cb
	v_cmp_nle_f32_e64 s[2:3], s2, v1
                                        ; implicit-def: $sgpr16_sgpr17
	s_and_saveexec_b64 s[4:5], s[2:3]
	s_xor_b64 s[4:5], exec, s[4:5]
	s_cbranch_execz .LBB185_34
; %bb.31:
	s_mov_b32 s18, 0x1000000
	v_cmp_le_f32_e64 s[16:17], |v6|, s18
	v_cmp_le_f32_e64 s[18:19], |v3|, s18
	s_and_b64 s[36:37], s[16:17], s[18:19]
	s_mov_b64 s[16:17], 0
	s_and_saveexec_b64 s[18:19], s[36:37]
; %bb.32:
	s_mov_b64 s[16:17], exec
	v_mul_f32_e32 v3, 4.0, v3
	v_mul_f32_e32 v6, 4.0, v6
; %bb.33:
	s_or_b64 exec, exec, s[18:19]
.LBB185_34:
	s_andn2_saveexec_b64 s[4:5], s[4:5]
; %bb.35:
	v_mul_f32_e32 v6, 0x3e800000, v6
	v_mul_f32_e32 v3, 0x3e800000, v3
	s_andn2_b64 s[16:17], s[16:17], exec
; %bb.36:
	s_or_b64 exec, exec, s[4:5]
	v_max_f32_e64 v1, |v3|, |v3|
	v_max_f32_e64 v2, |v6|, |v6|
	v_max_f32_e32 v1, v2, v1
	v_cvt_f64_f32_e32 v[4:5], v1
	v_frexp_exp_i32_f64_e32 v2, v[4:5]
	v_sub_u32_e32 v4, 0, v2
	v_ldexp_f32 v5, |v6|, v4
	v_ldexp_f32 v4, |v3|, v4
	v_mul_f32_e32 v4, v4, v4
	v_fmac_f32_e32 v4, v5, v5
	v_sqrt_f32_e32 v4, v4
	s_mov_b32 s4, 0x7f800000
	v_cmp_neq_f32_e64 s[4:5], s4, v1
	v_cmp_le_f32_e32 vcc, 0, v6
	v_ldexp_f32 v2, v4, v2
	v_mov_b32_e32 v4, 0x7f800000
	v_cndmask_b32_e64 v1, v4, v2, s[4:5]
                                        ; implicit-def: $vgpr4_vgpr5
	s_and_saveexec_b64 s[4:5], vcc
	s_xor_b64 s[18:19], exec, s[4:5]
	s_cbranch_execz .LBB185_42
; %bb.37:
	v_add_f32_e32 v1, v6, v1
	v_mul_f32_e32 v1, 0.5, v1
	s_mov_b32 s4, 0xf800000
	v_mul_f32_e32 v2, 0x4f800000, v1
	v_cmp_gt_f32_e32 vcc, s4, v1
	s_nop 1
	v_cndmask_b32_e32 v1, v1, v2, vcc
	v_sqrt_f32_e32 v2, v1
	s_nop 0
	v_add_u32_e32 v4, -1, v2
	v_fma_f32 v5, -v4, v2, v1
	v_cmp_ge_f32_e64 s[4:5], 0, v5
	v_add_u32_e32 v5, 1, v2
	s_nop 0
	v_cndmask_b32_e64 v4, v2, v4, s[4:5]
	v_fma_f32 v2, -v5, v2, v1
	v_cmp_lt_f32_e64 s[4:5], 0, v2
	s_nop 1
	v_cndmask_b32_e64 v2, v4, v5, s[4:5]
	v_mul_f32_e32 v4, 0x37800000, v2
	v_cndmask_b32_e32 v2, v2, v4, vcc
	v_mov_b32_e32 v4, 0x260
	v_cmp_class_f32_e32 vcc, v1, v4
	s_nop 1
	v_cndmask_b32_e32 v4, v2, v1, vcc
	v_add_f32_e32 v1, v4, v4
	v_div_scale_f32 v2, s[4:5], v1, v1, v3
	v_rcp_f32_e32 v5, v2
	s_nop 0
	v_fma_f32 v6, -v2, v5, 1.0
	v_fmac_f32_e32 v5, v6, v5
	v_div_scale_f32 v6, vcc, v3, v1, v3
	v_mul_f32_e32 v7, v6, v5
	v_fma_f32 v9, -v2, v7, v6
	v_fmac_f32_e32 v7, v9, v5
	v_fma_f32 v2, -v2, v7, v6
	v_div_fmas_f32 v2, v2, v5, v7
	v_div_fixup_f32 v5, v2, v1, v3
                                        ; implicit-def: $vgpr1
                                        ; implicit-def: $vgpr6
                                        ; implicit-def: $vgpr3
	s_andn2_saveexec_b64 s[18:19], s[18:19]
	s_cbranch_execz .LBB185_44
	s_branch .LBB185_43
.LBB185_38:
	s_mov_b64 s[6:7], 0
	s_mov_b64 s[2:3], 0
                                        ; implicit-def: $vgpr4
                                        ; implicit-def: $vgpr1
	s_cbranch_execnz .LBB185_222
	s_branch .LBB185_256
.LBB185_39:
	s_mov_b64 s[4:5], -1
	s_mov_b64 s[6:7], 0
	s_mov_b64 s[2:3], 0
                                        ; implicit-def: $vgpr4
                                        ; implicit-def: $vgpr1
	s_branch .LBB185_203
.LBB185_40:
	s_mov_b64 s[4:5], -1
	s_mov_b64 s[6:7], 0
	s_mov_b64 s[2:3], 0
                                        ; implicit-def: $vgpr4
                                        ; implicit-def: $vgpr1
	s_branch .LBB185_197
.LBB185_41:
	s_mov_b64 s[4:5], -1
	s_mov_b64 s[6:7], 0
	s_branch .LBB185_81
.LBB185_42:
	s_andn2_saveexec_b64 s[18:19], s[18:19]
	s_cbranch_execz .LBB185_44
.LBB185_43:
	v_sub_f32_e32 v1, v1, v6
	v_mul_f32_e32 v1, 0.5, v1
	s_mov_b32 s4, 0xf800000
	v_mul_f32_e32 v2, 0x4f800000, v1
	v_cmp_gt_f32_e32 vcc, s4, v1
	s_nop 1
	v_cndmask_b32_e32 v1, v1, v2, vcc
	v_sqrt_f32_e32 v2, v1
	s_nop 0
	v_add_u32_e32 v4, -1, v2
	v_fma_f32 v5, -v4, v2, v1
	v_cmp_ge_f32_e64 s[4:5], 0, v5
	v_add_u32_e32 v5, 1, v2
	s_nop 0
	v_cndmask_b32_e64 v4, v2, v4, s[4:5]
	v_fma_f32 v2, -v5, v2, v1
	v_cmp_lt_f32_e64 s[4:5], 0, v2
	s_nop 1
	v_cndmask_b32_e64 v2, v4, v5, s[4:5]
	v_mul_f32_e32 v4, 0x37800000, v2
	v_cndmask_b32_e32 v2, v2, v4, vcc
	v_mov_b32_e32 v4, 0x260
	v_cmp_class_f32_e32 vcc, v1, v4
	v_and_b32_e32 v4, 0x7fffffff, v3
	s_nop 0
	v_cndmask_b32_e32 v1, v2, v1, vcc
	v_add_f32_e32 v2, v1, v1
	v_div_scale_f32 v5, s[4:5], v2, v2, v4
	v_rcp_f32_e32 v6, v5
	v_div_scale_f32 v4, vcc, v4, v2, v4
	s_brev_b32 s4, -2
	v_fma_f32 v7, -v5, v6, 1.0
	v_fmac_f32_e32 v6, v7, v6
	v_mul_f32_e32 v7, v4, v6
	v_fma_f32 v9, -v5, v7, v4
	v_fmac_f32_e32 v7, v9, v6
	v_fma_f32 v4, -v5, v7, v4
	v_div_fmas_f32 v4, v4, v6, v7
	v_div_fixup_f32 v4, v4, v2, |v3|
	v_bfi_b32 v5, s4, v1, v3
.LBB185_44:
	s_or_b64 exec, exec, s[18:19]
                                        ; implicit-def: $vgpr3
	s_and_saveexec_b64 s[4:5], s[2:3]
	s_xor_b64 s[2:3], exec, s[4:5]
	s_cbranch_execz .LBB185_46
; %bb.45:
	v_pk_mul_f32 v[2:3], v[4:5], 0.5 op_sel_hi:[1,0]
	s_nop 0
	v_cndmask_b32_e64 v2, v4, v2, s[16:17]
	v_cndmask_b32_e64 v3, v5, v3, s[16:17]
                                        ; implicit-def: $vgpr4_vgpr5
	s_andn2_saveexec_b64 s[2:3], s[2:3]
	s_cbranch_execnz .LBB185_47
	s_branch .LBB185_48
.LBB185_46:
	s_andn2_saveexec_b64 s[2:3], s[2:3]
.LBB185_47:
	v_pk_add_f32 v[2:3], v[4:5], v[4:5]
.LBB185_48:
	s_or_b64 exec, exec, s[2:3]
                                        ; implicit-def: $vgpr6
                                        ; implicit-def: $vgpr1
.LBB185_49:
	s_andn2_saveexec_b64 s[2:3], s[14:15]
	s_cbranch_execz .LBB185_55
; %bb.50:
	v_cmp_lt_i16_e32 vcc, -1, v1
	v_sub_f32_e32 v1, v3, v3
	s_brev_b32 s14, -2
	v_and_b32_e32 v2, 0x7fffffff, v1
	s_and_saveexec_b64 s[4:5], vcc
	s_xor_b64 s[4:5], exec, s[4:5]
; %bb.51:
	v_bfi_b32 v3, s14, v1, v3
	v_mov_b32_e32 v2, v6
; %bb.52:
	s_andn2_saveexec_b64 s[4:5], s[4:5]
; %bb.53:
	v_bfi_b32 v3, s14, v6, v3
; %bb.54:
	s_or_b64 exec, exec, s[4:5]
.LBB185_55:
	s_or_b64 exec, exec, s[2:3]
                                        ; implicit-def: $vgpr6
.LBB185_56:
	s_andn2_saveexec_b64 s[2:3], s[12:13]
	s_cbranch_execz .LBB185_58
; %bb.57:
	v_sub_f32_e32 v1, v3, v3
	v_div_scale_f32 v2, vcc, v1, v1, v1
	v_rcp_f32_e32 v3, v2
	s_nop 0
	v_fma_f32 v4, -v2, v3, 1.0
	v_fmac_f32_e32 v3, v4, v3
	v_mul_f32_e32 v4, v2, v3
	v_fma_f32 v5, -v2, v4, v2
	v_fmac_f32_e32 v4, v5, v3
	v_fma_f32 v2, -v2, v4, v2
	v_div_fmas_f32 v2, v2, v3, v4
	v_div_fixup_f32 v3, v2, v1, v1
	v_mov_b32_e32 v2, v6
.LBB185_58:
	s_or_b64 exec, exec, s[2:3]
.LBB185_59:
	s_or_b64 exec, exec, s[10:11]
.LBB185_60:
	s_or_b64 exec, exec, s[8:9]
	v_cmp_gt_f32_e32 vcc, 0, v3
                                        ; implicit-def: $vgpr4_vgpr5
	s_nop 1
	v_cndmask_b32_e64 v6, v3, -v3, vcc
	v_cmp_gt_f32_e32 vcc, 0, v2
	s_nop 1
	v_cndmask_b32_e64 v1, v2, -v2, vcc
	v_cmp_ge_f32_e32 vcc, v1, v6
	s_and_saveexec_b64 s[2:3], vcc
	s_xor_b64 s[4:5], exec, s[2:3]
	s_cbranch_execz .LBB185_66
; %bb.61:
	v_cmp_neq_f32_e32 vcc, 0, v2
	v_cmp_neq_f32_e64 s[2:3], 0, v3
	s_or_b64 s[2:3], vcc, s[2:3]
                                        ; implicit-def: $vgpr4_vgpr5
	s_and_saveexec_b64 s[8:9], s[2:3]
	s_xor_b64 s[2:3], exec, s[8:9]
	s_cbranch_execz .LBB185_63
; %bb.62:
	v_div_scale_f32 v1, s[8:9], v2, v2, v3
	v_rcp_f32_e32 v4, v1
	v_div_scale_f32 v5, vcc, v3, v2, v3
	v_fma_f32 v6, -v1, v4, 1.0
	v_fmac_f32_e32 v4, v6, v4
	v_mul_f32_e32 v6, v5, v4
	v_fma_f32 v7, -v1, v6, v5
	v_fmac_f32_e32 v6, v7, v4
	v_fma_f32 v1, -v1, v6, v5
	v_div_fmas_f32 v1, v1, v4, v6
	v_div_fixup_f32 v1, v1, v2, v3
	v_fmac_f32_e32 v2, v3, v1
	v_div_scale_f32 v3, s[8:9], v2, v2, 1.0
	v_rcp_f32_e32 v4, v3
	s_nop 0
	v_fma_f32 v5, -v3, v4, 1.0
	v_fmac_f32_e32 v4, v5, v4
	v_div_scale_f32 v5, vcc, 1.0, v2, 1.0
	v_mul_f32_e32 v6, v5, v4
	v_fma_f32 v7, -v3, v6, v5
	v_fmac_f32_e32 v6, v7, v4
	v_fma_f32 v3, -v3, v6, v5
	v_div_fmas_f32 v3, v3, v4, v6
	v_div_fixup_f32 v2, v3, v2, 1.0
	v_mul_f32_e32 v3, 0, v1
	v_add_f32_e32 v4, 1.0, v3
	v_sub_f32_e32 v5, 0, v1
	v_pk_mul_f32 v[4:5], v[4:5], v[2:3] op_sel_hi:[1,0]
                                        ; implicit-def: $vgpr6
                                        ; implicit-def: $vgpr1
.LBB185_63:
	s_andn2_saveexec_b64 s[2:3], s[2:3]
	s_cbranch_execz .LBB185_65
; %bb.64:
	v_div_scale_f32 v2, s[8:9], v6, v6, 0
	v_rcp_f32_e32 v3, v2
	v_div_scale_f32 v4, vcc, 0, v6, 0
	v_fma_f32 v5, -v2, v3, 1.0
	v_fmac_f32_e32 v3, v5, v3
	v_mul_f32_e32 v5, v4, v3
	v_fma_f32 v7, -v2, v5, v4
	v_fmac_f32_e32 v5, v7, v3
	v_fma_f32 v2, -v2, v5, v4
	v_div_scale_f32 v4, s[8:9], v1, v1, 1.0
	v_rcp_f32_e32 v7, v4
	v_div_fmas_f32 v2, v2, v3, v5
	v_div_fixup_f32 v5, v2, v6, 0
	v_fma_f32 v2, -v4, v7, 1.0
	v_fmac_f32_e32 v7, v2, v7
	v_div_scale_f32 v2, vcc, 1.0, v1, 1.0
	v_mul_f32_e32 v3, v2, v7
	v_fma_f32 v6, -v4, v3, v2
	v_fmac_f32_e32 v3, v6, v7
	v_fma_f32 v2, -v4, v3, v2
	v_div_fmas_f32 v2, v2, v7, v3
	v_div_fixup_f32 v4, v2, v1, 1.0
.LBB185_65:
	s_or_b64 exec, exec, s[2:3]
                                        ; implicit-def: $vgpr3
.LBB185_66:
	s_andn2_saveexec_b64 s[2:3], s[4:5]
	s_cbranch_execz .LBB185_68
; %bb.67:
	v_div_scale_f32 v1, s[4:5], v3, v3, v2
	v_rcp_f32_e32 v4, v1
	v_div_scale_f32 v5, vcc, v2, v3, v2
	v_fma_f32 v6, -v1, v4, 1.0
	v_fmac_f32_e32 v4, v6, v4
	v_mul_f32_e32 v6, v5, v4
	v_fma_f32 v7, -v1, v6, v5
	v_fmac_f32_e32 v6, v7, v4
	v_fma_f32 v1, -v1, v6, v5
	v_div_fmas_f32 v1, v1, v4, v6
	v_div_fixup_f32 v4, v1, v3, v2
	v_fmac_f32_e32 v3, v2, v4
	v_div_scale_f32 v1, s[4:5], v3, v3, 1.0
	v_rcp_f32_e32 v2, v1
	s_mov_b32 s4, 0
	s_mov_b32 s5, -1.0
	v_fma_f32 v5, -v1, v2, 1.0
	v_fmac_f32_e32 v2, v5, v2
	v_div_scale_f32 v5, vcc, 1.0, v3, 1.0
	v_mul_f32_e32 v6, v5, v2
	v_fma_f32 v7, -v1, v6, v5
	v_fmac_f32_e32 v6, v7, v2
	v_fma_f32 v1, -v1, v6, v5
	v_div_fmas_f32 v1, v1, v2, v6
	v_mul_f32_e32 v5, 0, v4
	v_div_fixup_f32 v2, v1, v3, 1.0
	v_pk_add_f32 v[4:5], v[4:5], s[4:5]
	s_nop 0
	v_pk_mul_f32 v[4:5], v[4:5], v[2:3] op_sel_hi:[1,0]
.LBB185_68:
	s_or_b64 exec, exec, s[2:3]
	v_cvt_f16_f32_e32 v2, v5
	v_cvt_f16_f32_e32 v4, v4
	v_mov_b32_e32 v1, 0
	s_and_b32 s12, s73, 0xff
	v_lshlrev_b32_e32 v3, 16, v2
	v_or_b32_e32 v5, v3, v4
	s_cmp_lt_i32 s12, 11
	v_lshl_add_u64 v[0:1], s[20:21], 0, v[0:1]
	s_cbranch_scc1 .LBB185_75
; %bb.69:
	s_and_b32 s13, 0xffff, s12
	s_cmp_gt_i32 s13, 25
	s_cbranch_scc0 .LBB185_77
; %bb.70:
	s_cmp_gt_i32 s13, 28
	s_cbranch_scc0 .LBB185_78
; %bb.71:
	;; [unrolled: 3-line block ×4, first 2 shown]
	s_mov_b64 s[8:9], 0
	s_mov_b64 s[2:3], -1
	s_cmp_eq_u32 s13, 46
	s_mov_b64 s[4:5], 0
	s_cbranch_scc0 .LBB185_86
; %bb.74:
	v_cvt_f32_f16_e32 v6, v2
	v_cvt_f32_f16_e32 v3, v4
	s_movk_i32 s2, 0x7fff
	v_cmp_o_f16_e32 vcc, v2, v2
	v_bfe_u32 v9, v6, 16, 1
	v_bfe_u32 v7, v3, 16, 1
	v_add3_u32 v6, v6, v9, s2
	v_add3_u32 v3, v3, v7, s2
	v_and_b32_e32 v6, 0xffff0000, v6
	v_mov_b32_e32 v7, 0x7fc00000
	v_cndmask_b32_e32 v6, v7, v6, vcc
	v_cmp_o_f16_e32 vcc, v4, v4
	v_mov_b32_e32 v7, 0x7fc0
	s_mov_b64 s[4:5], -1
	v_cndmask_b32_sdwa v3, v7, v3, vcc dst_sel:DWORD dst_unused:UNUSED_PAD src0_sel:DWORD src1_sel:WORD_1
	v_or_b32_e32 v3, v6, v3
	global_store_dword v[0:1], v3, off
	s_mov_b64 s[2:3], 0
	s_branch .LBB185_86
.LBB185_75:
	s_mov_b64 s[2:3], 0
	s_mov_b64 s[4:5], 0
	s_cbranch_execnz .LBB185_155
.LBB185_76:
	s_andn2_b64 vcc, exec, s[4:5]
	s_cbranch_vccnz .LBB185_307
	s_branch .LBB185_193
.LBB185_77:
	s_mov_b64 s[8:9], -1
	s_mov_b64 s[2:3], 0
	s_mov_b64 s[4:5], 0
	s_branch .LBB185_113
.LBB185_78:
	s_mov_b64 s[8:9], -1
	s_mov_b64 s[2:3], 0
	s_mov_b64 s[4:5], 0
	s_branch .LBB185_96
.LBB185_79:
	s_mov_b64 s[8:9], -1
	s_mov_b64 s[2:3], 0
	s_mov_b64 s[4:5], 0
	s_branch .LBB185_92
.LBB185_80:
	s_mov_b64 s[6:7], -1
.LBB185_81:
	s_mov_b64 s[2:3], 0
                                        ; implicit-def: $vgpr4
                                        ; implicit-def: $vgpr1
.LBB185_82:
	s_and_b64 vcc, exec, s[4:5]
	s_cbranch_vccz .LBB185_196
; %bb.83:
	s_cmp_eq_u32 s10, 44
	s_cbranch_scc0 .LBB185_194
; %bb.84:
	global_load_ubyte v1, v[2:3], off
	s_movk_i32 s4, 0xff
	v_mov_b32_e32 v5, 0x7e00
	s_mov_b64 s[2:3], -1
	s_mov_b64 s[6:7], 0
	s_waitcnt vmcnt(0)
	v_lshlrev_b32_e32 v4, 23, v1
	v_cvt_f16_f32_e32 v4, v4
	v_cmp_ne_u32_e32 vcc, s4, v1
	s_nop 1
	v_cndmask_b32_e32 v4, v5, v4, vcc
	v_cmp_ne_u32_e32 vcc, 0, v1
	s_nop 1
	v_cndmask_b32_e32 v1, 0, v4, vcc
	s_branch .LBB185_195
.LBB185_85:
	s_mov_b64 s[8:9], -1
	s_mov_b64 s[2:3], 0
	s_mov_b64 s[4:5], 0
.LBB185_86:
	s_and_b64 vcc, exec, s[8:9]
	s_cbranch_vccz .LBB185_91
; %bb.87:
	s_cmp_eq_u32 s13, 44
	s_mov_b64 s[2:3], -1
	s_cbranch_scc0 .LBB185_91
; %bb.88:
	v_cvt_f32_f16_e32 v3, v4
	s_movk_i32 s2, 0xff
	v_mov_b32_e32 v7, 0xff
	v_bfe_u32 v6, v3, 23, 8
	v_cmp_ne_u32_e32 vcc, s2, v6
	s_and_saveexec_b64 s[4:5], vcc
; %bb.89:
	s_mov_b32 s2, 0x3fffff
	v_lshrrev_b32_e32 v7, 23, v3
	v_and_b32_e32 v9, 0x400000, v3
	v_and_or_b32 v3, v3, s2, v6
	v_cmp_ne_u32_e32 vcc, 0, v9
	v_cmp_ne_u32_e64 s[2:3], 0, v3
	s_and_b64 s[2:3], vcc, s[2:3]
	s_nop 0
	v_cndmask_b32_e64 v3, 0, 1, s[2:3]
	v_add_u32_e32 v7, v7, v3
; %bb.90:
	s_or_b64 exec, exec, s[4:5]
	s_mov_b64 s[4:5], -1
	s_mov_b64 s[2:3], 0
	global_store_byte v[0:1], v7, off
.LBB185_91:
	s_mov_b64 s[8:9], 0
.LBB185_92:
	s_and_b64 vcc, exec, s[8:9]
	s_cbranch_vccz .LBB185_95
; %bb.93:
	s_cmp_eq_u32 s13, 29
	s_mov_b64 s[2:3], -1
	s_cbranch_scc0 .LBB185_95
; %bb.94:
	v_cvt_f32_f16_e32 v3, v4
	v_mov_b32_e32 v7, 0
	s_mov_b64 s[4:5], -1
	s_mov_b64 s[2:3], 0
	v_cvt_u32_f32_e32 v6, v3
	s_mov_b64 s[8:9], 0
	global_store_dwordx2 v[0:1], v[6:7], off
	s_branch .LBB185_96
.LBB185_95:
	s_mov_b64 s[8:9], 0
.LBB185_96:
	s_and_b64 vcc, exec, s[8:9]
	s_cbranch_vccz .LBB185_112
; %bb.97:
	s_cmp_lt_i32 s13, 27
	s_mov_b64 s[4:5], -1
	s_cbranch_scc1 .LBB185_103
; %bb.98:
	s_cmp_gt_i32 s13, 27
	s_cbranch_scc0 .LBB185_100
; %bb.99:
	v_cvt_f32_f16_e32 v3, v4
	s_mov_b64 s[4:5], 0
	v_cvt_u32_f32_e32 v3, v3
	global_store_dword v[0:1], v3, off
.LBB185_100:
	s_andn2_b64 vcc, exec, s[4:5]
	s_cbranch_vccnz .LBB185_102
; %bb.101:
	v_cvt_u16_f16_e32 v3, v4
	global_store_short v[0:1], v3, off
.LBB185_102:
	s_mov_b64 s[4:5], 0
.LBB185_103:
	s_andn2_b64 vcc, exec, s[4:5]
	s_cbranch_vccnz .LBB185_111
; %bb.104:
	v_cvt_f32_f16_e32 v3, v4
	s_mov_b32 s4, 0x43800000
	v_mov_b32_e32 v7, 0x80
	v_and_b32_e32 v6, 0x7fffffff, v3
	v_cmp_gt_u32_e32 vcc, s4, v6
	s_and_saveexec_b64 s[4:5], vcc
	s_cbranch_execz .LBB185_110
; %bb.105:
	s_mov_b32 s8, 0x3bffffff
	v_cmp_lt_u32_e32 vcc, s8, v6
	s_mov_b64 s[8:9], 0
                                        ; implicit-def: $vgpr6
	s_and_saveexec_b64 s[10:11], vcc
	s_xor_b64 s[10:11], exec, s[10:11]
	s_cbranch_execz .LBB185_353
; %bb.106:
	v_bfe_u32 v6, v3, 20, 1
	s_mov_b32 s14, 0x487ffff
	v_add3_u32 v6, v3, v6, s14
	s_mov_b64 s[8:9], exec
	v_lshrrev_b32_e32 v6, 20, v6
	s_andn2_saveexec_b64 s[10:11], s[10:11]
	s_cbranch_execnz .LBB185_354
.LBB185_107:
	s_or_b64 exec, exec, s[10:11]
	v_mov_b32_e32 v7, 0
	s_and_saveexec_b64 s[10:11], s[8:9]
.LBB185_108:
	v_lshrrev_b32_e32 v3, 24, v3
	s_movk_i32 s8, 0x80
	v_and_or_b32 v7, v3, s8, v6
.LBB185_109:
	s_or_b64 exec, exec, s[10:11]
.LBB185_110:
	s_or_b64 exec, exec, s[4:5]
	global_store_byte v[0:1], v7, off
.LBB185_111:
	s_mov_b64 s[4:5], -1
.LBB185_112:
	s_mov_b64 s[8:9], 0
.LBB185_113:
	s_and_b64 vcc, exec, s[8:9]
	s_cbranch_vccz .LBB185_154
; %bb.114:
	s_cmp_gt_i32 s13, 22
	s_mov_b64 s[8:9], -1
	s_cbranch_scc0 .LBB185_146
; %bb.115:
	s_cmp_lt_i32 s13, 24
	s_mov_b64 s[4:5], -1
	s_cbranch_scc1 .LBB185_135
; %bb.116:
	s_cmp_gt_i32 s13, 24
	s_cbranch_scc0 .LBB185_124
; %bb.117:
	v_cvt_f32_f16_e32 v3, v4
	s_mov_b32 s4, 0x47800000
	v_mov_b32_e32 v7, 0x80
	v_and_b32_e32 v6, 0x7fffffff, v3
	v_cmp_gt_u32_e32 vcc, s4, v6
	s_and_saveexec_b64 s[4:5], vcc
	s_cbranch_execz .LBB185_123
; %bb.118:
	s_mov_b32 s8, 0x37ffffff
	v_cmp_lt_u32_e32 vcc, s8, v6
	s_mov_b64 s[8:9], 0
                                        ; implicit-def: $vgpr6
	s_and_saveexec_b64 s[10:11], vcc
	s_xor_b64 s[10:11], exec, s[10:11]
	s_cbranch_execz .LBB185_393
; %bb.119:
	v_bfe_u32 v6, v3, 21, 1
	s_mov_b32 s14, 0x88fffff
	v_add3_u32 v6, v3, v6, s14
	s_mov_b64 s[8:9], exec
	v_lshrrev_b32_e32 v6, 21, v6
	s_andn2_saveexec_b64 s[10:11], s[10:11]
	s_cbranch_execnz .LBB185_394
.LBB185_120:
	s_or_b64 exec, exec, s[10:11]
	v_mov_b32_e32 v7, 0
	s_and_saveexec_b64 s[10:11], s[8:9]
.LBB185_121:
	v_lshrrev_b32_e32 v3, 24, v3
	s_movk_i32 s8, 0x80
	v_and_or_b32 v7, v3, s8, v6
.LBB185_122:
	s_or_b64 exec, exec, s[10:11]
.LBB185_123:
	s_or_b64 exec, exec, s[4:5]
	s_mov_b64 s[4:5], 0
	global_store_byte v[0:1], v7, off
.LBB185_124:
	s_and_b64 vcc, exec, s[4:5]
	s_cbranch_vccz .LBB185_134
; %bb.125:
	v_cvt_f32_f16_e32 v3, v4
	s_mov_b32 s4, 0x43f00000
                                        ; implicit-def: $vgpr6
	v_and_b32_e32 v7, 0x7fffffff, v3
	v_cmp_gt_u32_e32 vcc, s4, v7
	s_and_saveexec_b64 s[4:5], vcc
	s_xor_b64 s[4:5], exec, s[4:5]
	s_cbranch_execz .LBB185_131
; %bb.126:
	s_mov_b32 s8, 0x3c7fffff
	v_cmp_lt_u32_e32 vcc, s8, v7
                                        ; implicit-def: $vgpr6
	s_and_saveexec_b64 s[8:9], vcc
	s_xor_b64 s[8:9], exec, s[8:9]
; %bb.127:
	v_bfe_u32 v6, v3, 20, 1
	s_mov_b32 s10, 0x407ffff
	v_add3_u32 v6, v3, v6, s10
	v_lshrrev_b32_e32 v7, 20, v6
	v_and_b32_e32 v6, 0xff00000, v6
	s_mov_b32 s10, 0x7f00000
	v_mov_b32_e32 v9, 0x7e
	v_cmp_ne_u32_e32 vcc, s10, v6
	s_nop 1
	v_cndmask_b32_e32 v6, v9, v7, vcc
; %bb.128:
	s_andn2_saveexec_b64 s[8:9], s[8:9]
; %bb.129:
	s_mov_b32 s10, 0x46800000
	v_add_f32_e64 v6, |v3|, s10
; %bb.130:
	s_or_b64 exec, exec, s[8:9]
                                        ; implicit-def: $vgpr7
.LBB185_131:
	s_andn2_saveexec_b64 s[4:5], s[4:5]
; %bb.132:
	s_mov_b32 s8, 0x7f800000
	v_mov_b32_e32 v6, 0x7e
	v_mov_b32_e32 v9, 0x7f
	v_cmp_lt_u32_e32 vcc, s8, v7
	s_nop 1
	v_cndmask_b32_e32 v6, v6, v9, vcc
; %bb.133:
	s_or_b64 exec, exec, s[4:5]
	v_lshrrev_b32_e32 v3, 24, v3
	s_movk_i32 s4, 0x80
	v_and_or_b32 v3, v3, s4, v6
	global_store_byte v[0:1], v3, off
.LBB185_134:
	s_mov_b64 s[4:5], 0
.LBB185_135:
	s_andn2_b64 vcc, exec, s[4:5]
	s_cbranch_vccnz .LBB185_145
; %bb.136:
	v_cvt_f32_f16_e32 v3, v4
	s_mov_b32 s4, 0x47800000
                                        ; implicit-def: $vgpr6
	v_and_b32_e32 v7, 0x7fffffff, v3
	v_cmp_gt_u32_e32 vcc, s4, v7
	s_and_saveexec_b64 s[4:5], vcc
	s_xor_b64 s[4:5], exec, s[4:5]
	s_cbranch_execz .LBB185_142
; %bb.137:
	s_mov_b32 s8, 0x387fffff
	v_cmp_lt_u32_e32 vcc, s8, v7
                                        ; implicit-def: $vgpr6
	s_and_saveexec_b64 s[8:9], vcc
	s_xor_b64 s[8:9], exec, s[8:9]
; %bb.138:
	v_bfe_u32 v6, v3, 21, 1
	s_mov_b32 s10, 0x80fffff
	v_add3_u32 v6, v3, v6, s10
	v_lshrrev_b32_e32 v6, 21, v6
; %bb.139:
	s_andn2_saveexec_b64 s[8:9], s[8:9]
; %bb.140:
	s_mov_b32 s10, 0x43000000
	v_add_f32_e64 v6, |v3|, s10
; %bb.141:
	s_or_b64 exec, exec, s[8:9]
                                        ; implicit-def: $vgpr7
.LBB185_142:
	s_andn2_saveexec_b64 s[4:5], s[4:5]
; %bb.143:
	s_mov_b32 s8, 0x7f800000
	v_mov_b32_e32 v6, 0x7c
	v_mov_b32_e32 v9, 0x7f
	v_cmp_lt_u32_e32 vcc, s8, v7
	s_nop 1
	v_cndmask_b32_e32 v6, v6, v9, vcc
; %bb.144:
	s_or_b64 exec, exec, s[4:5]
	v_lshrrev_b32_e32 v3, 24, v3
	s_movk_i32 s4, 0x80
	v_and_or_b32 v3, v3, s4, v6
	global_store_byte v[0:1], v3, off
.LBB185_145:
	s_mov_b64 s[8:9], 0
	s_mov_b64 s[4:5], -1
.LBB185_146:
	s_andn2_b64 vcc, exec, s[8:9]
	s_cbranch_vccnz .LBB185_154
; %bb.147:
	s_cmp_gt_i32 s13, 14
	s_mov_b64 s[8:9], -1
	s_cbranch_scc0 .LBB185_151
; %bb.148:
	s_cmp_eq_u32 s13, 15
	s_mov_b64 s[2:3], -1
	s_cbranch_scc0 .LBB185_150
; %bb.149:
	v_cvt_f32_f16_e32 v3, v4
	s_movk_i32 s2, 0x7fff
	v_cmp_o_f16_e32 vcc, v4, v4
	v_mov_b32_e32 v6, 0x7fc0
	v_bfe_u32 v7, v3, 16, 1
	v_add3_u32 v3, v3, v7, s2
	v_cndmask_b32_sdwa v3, v6, v3, vcc dst_sel:DWORD dst_unused:UNUSED_PAD src0_sel:DWORD src1_sel:WORD_1
	global_store_short v[0:1], v3, off
	s_mov_b64 s[4:5], -1
	s_mov_b64 s[2:3], 0
.LBB185_150:
	s_mov_b64 s[8:9], 0
.LBB185_151:
	s_and_b64 vcc, exec, s[8:9]
	s_cbranch_vccz .LBB185_154
; %bb.152:
	s_cmp_eq_u32 s13, 11
	s_mov_b64 s[2:3], -1
	s_cbranch_scc0 .LBB185_154
; %bb.153:
	v_and_b32_e32 v3, 0x7fff7fff, v5
	v_cmp_ne_u32_e32 vcc, 0, v3
	s_mov_b64 s[4:5], -1
	s_mov_b64 s[2:3], 0
	v_cndmask_b32_e64 v3, 0, 1, vcc
	global_store_byte v[0:1], v3, off
.LBB185_154:
	s_branch .LBB185_76
.LBB185_155:
	s_and_b32 s8, 0xffff, s12
	s_cmp_lt_i32 s8, 5
	s_mov_b64 s[4:5], -1
	s_cbranch_scc1 .LBB185_176
; %bb.156:
	s_cmp_lt_i32 s8, 8
	s_cbranch_scc1 .LBB185_166
; %bb.157:
	s_cmp_lt_i32 s8, 9
	s_cbranch_scc1 .LBB185_163
; %bb.158:
	v_cvt_f32_f16_e32 v3, v2
	s_cmp_gt_i32 s8, 9
	s_cbranch_scc0 .LBB185_160
; %bb.159:
	v_cvt_f32_f16_e32 v2, v4
	v_cvt_f64_f32_e32 v[12:13], v3
	s_mov_b64 s[4:5], 0
	v_cvt_f64_f32_e32 v[10:11], v2
	global_store_dwordx4 v[0:1], v[10:13], off
.LBB185_160:
	s_andn2_b64 vcc, exec, s[4:5]
	s_cbranch_vccnz .LBB185_162
; %bb.161:
	v_cvt_f32_f16_e32 v2, v4
	global_store_dwordx2 v[0:1], v[2:3], off
.LBB185_162:
	s_mov_b64 s[4:5], 0
.LBB185_163:
	s_andn2_b64 vcc, exec, s[4:5]
	s_cbranch_vccnz .LBB185_165
; %bb.164:
	global_store_dword v[0:1], v5, off
.LBB185_165:
	s_mov_b64 s[4:5], 0
.LBB185_166:
	s_andn2_b64 vcc, exec, s[4:5]
	s_cbranch_vccnz .LBB185_175
; %bb.167:
	s_cmp_lt_i32 s8, 6
	s_mov_b64 s[4:5], -1
	s_cbranch_scc1 .LBB185_173
; %bb.168:
	s_cmp_gt_i32 s8, 6
	s_cbranch_scc0 .LBB185_170
; %bb.169:
	v_cvt_f32_f16_e32 v2, v4
	s_mov_b64 s[4:5], 0
	v_cvt_f64_f32_e32 v[2:3], v2
	global_store_dwordx2 v[0:1], v[2:3], off
.LBB185_170:
	s_andn2_b64 vcc, exec, s[4:5]
	s_cbranch_vccnz .LBB185_172
; %bb.171:
	v_cvt_f32_f16_e32 v2, v4
	global_store_dword v[0:1], v2, off
.LBB185_172:
	s_mov_b64 s[4:5], 0
.LBB185_173:
	s_andn2_b64 vcc, exec, s[4:5]
	s_cbranch_vccnz .LBB185_175
; %bb.174:
	global_store_short v[0:1], v4, off
.LBB185_175:
	s_mov_b64 s[4:5], 0
.LBB185_176:
	s_andn2_b64 vcc, exec, s[4:5]
	s_cbranch_vccnz .LBB185_192
; %bb.177:
	s_cmp_lt_i32 s8, 2
	s_mov_b64 s[4:5], -1
	s_cbranch_scc1 .LBB185_187
; %bb.178:
	s_cmp_lt_i32 s8, 3
	s_cbranch_scc1 .LBB185_184
; %bb.179:
	s_cmp_gt_i32 s8, 3
	s_cbranch_scc0 .LBB185_181
; %bb.180:
	v_cvt_f32_f16_e32 v2, v4
	s_mov_b64 s[4:5], 0
	v_cvt_i32_f32_e32 v2, v2
	v_ashrrev_i32_e32 v3, 31, v2
	global_store_dwordx2 v[0:1], v[2:3], off
.LBB185_181:
	s_andn2_b64 vcc, exec, s[4:5]
	s_cbranch_vccnz .LBB185_183
; %bb.182:
	v_cvt_f32_f16_e32 v2, v4
	v_cvt_i32_f32_e32 v2, v2
	global_store_dword v[0:1], v2, off
.LBB185_183:
	s_mov_b64 s[4:5], 0
.LBB185_184:
	s_andn2_b64 vcc, exec, s[4:5]
	s_cbranch_vccnz .LBB185_186
; %bb.185:
	v_cvt_i16_f16_e32 v2, v4
	global_store_short v[0:1], v2, off
.LBB185_186:
	s_mov_b64 s[4:5], 0
.LBB185_187:
	s_andn2_b64 vcc, exec, s[4:5]
	s_cbranch_vccnz .LBB185_192
; %bb.188:
	s_cmp_gt_i32 s8, 0
	s_mov_b64 s[4:5], -1
	s_cbranch_scc0 .LBB185_190
; %bb.189:
	v_cvt_i16_f16_e32 v2, v4
	global_store_byte v[0:1], v2, off
	s_mov_b64 s[4:5], 0
.LBB185_190:
	s_andn2_b64 vcc, exec, s[4:5]
	s_cbranch_vccnz .LBB185_192
; %bb.191:
	v_cvt_f32_f16_e32 v2, v4
	v_cvt_i32_f32_e32 v2, v2
	global_store_byte v[0:1], v2, off
.LBB185_192:
.LBB185_193:
	v_add_u32_e32 v8, 0x80, v8
	s_mov_b64 s[4:5], -1
	s_branch .LBB185_308
.LBB185_194:
	s_mov_b64 s[6:7], -1
                                        ; implicit-def: $vgpr1
.LBB185_195:
	v_mov_b32_e32 v4, 0
.LBB185_196:
	s_mov_b64 s[4:5], 0
.LBB185_197:
	s_and_b64 vcc, exec, s[4:5]
	s_cbranch_vccz .LBB185_202
; %bb.198:
	s_cmp_eq_u32 s10, 29
	s_cbranch_scc0 .LBB185_200
; %bb.199:
	global_load_dwordx2 v[4:5], v[2:3], off
	s_mov_b64 s[2:3], -1
	s_mov_b64 s[6:7], 0
	s_waitcnt vmcnt(0)
	v_ffbh_u32_e32 v1, v5
	v_min_u32_e32 v1, 32, v1
	v_lshlrev_b64 v[4:5], v1, v[4:5]
	v_min_u32_e32 v4, 1, v4
	v_or_b32_e32 v4, v5, v4
	v_cvt_f32_u32_e32 v4, v4
	v_sub_u32_e32 v1, 32, v1
	v_ldexp_f32 v1, v4, v1
	v_cvt_f16_f32_e32 v1, v1
	s_branch .LBB185_201
.LBB185_200:
	s_mov_b64 s[6:7], -1
                                        ; implicit-def: $vgpr1
.LBB185_201:
	v_mov_b32_e32 v4, 0
.LBB185_202:
	s_mov_b64 s[4:5], 0
.LBB185_203:
	s_and_b64 vcc, exec, s[4:5]
	s_cbranch_vccz .LBB185_221
; %bb.204:
	s_cmp_lt_i32 s10, 27
	s_cbranch_scc1 .LBB185_207
; %bb.205:
	s_cmp_gt_i32 s10, 27
	s_cbranch_scc0 .LBB185_208
; %bb.206:
	global_load_dword v1, v[2:3], off
	s_mov_b64 s[2:3], 0
	s_waitcnt vmcnt(0)
	v_cvt_f32_u32_e32 v1, v1
	v_cvt_f16_f32_e32 v1, v1
	s_branch .LBB185_209
.LBB185_207:
	s_mov_b64 s[2:3], -1
                                        ; implicit-def: $vgpr1
	s_branch .LBB185_212
.LBB185_208:
	s_mov_b64 s[2:3], -1
                                        ; implicit-def: $vgpr1
.LBB185_209:
	s_andn2_b64 vcc, exec, s[2:3]
	s_cbranch_vccnz .LBB185_211
; %bb.210:
	global_load_ushort v1, v[2:3], off
	s_waitcnt vmcnt(0)
	v_cvt_f16_u16_e32 v1, v1
.LBB185_211:
	s_mov_b64 s[2:3], 0
.LBB185_212:
	s_andn2_b64 vcc, exec, s[2:3]
	s_cbranch_vccnz .LBB185_220
; %bb.213:
	global_load_ubyte v4, v[2:3], off
	s_movk_i32 s2, 0x7f
	s_waitcnt vmcnt(0)
	v_cmp_lt_i16_e32 vcc, s2, v4
	s_mov_b64 s[2:3], 0
	s_and_saveexec_b64 s[4:5], vcc
	s_xor_b64 s[4:5], exec, s[4:5]
	s_cbranch_execz .LBB185_233
; %bb.214:
	s_movk_i32 s2, 0x80
	v_cmp_eq_u16_e32 vcc, s2, v4
	s_mov_b64 s[2:3], -1
	s_and_saveexec_b64 s[8:9], vcc
; %bb.215:
	s_xor_b64 s[2:3], exec, -1
; %bb.216:
	s_or_b64 exec, exec, s[8:9]
	s_and_b64 s[2:3], s[2:3], exec
	s_or_saveexec_b64 s[4:5], s[4:5]
	v_mov_b32_e32 v1, 0x7e00
	s_xor_b64 exec, exec, s[4:5]
	s_cbranch_execnz .LBB185_234
.LBB185_217:
	s_or_b64 exec, exec, s[4:5]
	s_and_saveexec_b64 s[4:5], s[2:3]
	s_cbranch_execz .LBB185_219
.LBB185_218:
	v_lshlrev_b32_e32 v1, 24, v4
	v_and_b32_e32 v4, 0xffff, v4
	v_and_b32_e32 v5, 7, v4
	v_ffbh_u32_e32 v7, v5
	v_min_u32_e32 v7, 32, v7
	v_subrev_u32_e32 v9, 28, v7
	v_bfe_u32 v6, v4, 3, 4
	v_lshlrev_b32_e32 v4, v9, v4
	v_sub_u32_e32 v7, 29, v7
	v_and_b32_e32 v4, 7, v4
	v_cmp_eq_u32_e32 vcc, 0, v6
	v_and_b32_e32 v1, 0x80000000, v1
	s_nop 0
	v_cndmask_b32_e32 v6, v6, v7, vcc
	v_cndmask_b32_e32 v4, v5, v4, vcc
	v_mov_b32_e32 v5, 0x3b800000
	v_lshlrev_b32_e32 v4, 20, v4
	v_lshl_add_u32 v5, v6, 23, v5
	v_or3_b32 v1, v1, v5, v4
	v_cvt_f16_f32_e32 v1, v1
.LBB185_219:
	s_or_b64 exec, exec, s[4:5]
.LBB185_220:
	s_mov_b64 s[2:3], -1
	v_mov_b32_e32 v4, 0
.LBB185_221:
	s_branch .LBB185_256
.LBB185_222:
	s_cmp_gt_i32 s10, 22
	s_cbranch_scc0 .LBB185_232
; %bb.223:
	s_cmp_lt_i32 s10, 24
	s_cbranch_scc1 .LBB185_235
; %bb.224:
	s_cmp_gt_i32 s10, 24
	s_cbranch_scc0 .LBB185_236
; %bb.225:
	global_load_ubyte v4, v[2:3], off
	s_movk_i32 s2, 0x7f
	s_waitcnt vmcnt(0)
	v_cmp_lt_i16_e32 vcc, s2, v4
	s_mov_b64 s[2:3], 0
	s_and_saveexec_b64 s[4:5], vcc
	s_xor_b64 s[4:5], exec, s[4:5]
	s_cbranch_execz .LBB185_247
; %bb.226:
	s_movk_i32 s2, 0x80
	v_cmp_eq_u16_e32 vcc, s2, v4
	s_mov_b64 s[2:3], -1
	s_and_saveexec_b64 s[8:9], vcc
; %bb.227:
	s_xor_b64 s[2:3], exec, -1
; %bb.228:
	s_or_b64 exec, exec, s[8:9]
	s_and_b64 s[2:3], s[2:3], exec
	s_or_saveexec_b64 s[4:5], s[4:5]
	v_mov_b32_e32 v1, 0x7e00
	s_xor_b64 exec, exec, s[4:5]
	s_cbranch_execnz .LBB185_248
.LBB185_229:
	s_or_b64 exec, exec, s[4:5]
	s_and_saveexec_b64 s[4:5], s[2:3]
	s_cbranch_execz .LBB185_231
.LBB185_230:
	v_lshlrev_b32_e32 v1, 24, v4
	v_and_b32_e32 v4, 0xffff, v4
	v_and_b32_e32 v5, 3, v4
	v_ffbh_u32_e32 v7, v5
	v_min_u32_e32 v7, 32, v7
	v_subrev_u32_e32 v9, 29, v7
	v_bfe_u32 v6, v4, 2, 5
	v_lshlrev_b32_e32 v4, v9, v4
	v_sub_u32_e32 v7, 30, v7
	v_and_b32_e32 v4, 3, v4
	v_cmp_eq_u32_e32 vcc, 0, v6
	v_and_b32_e32 v1, 0x80000000, v1
	s_nop 0
	v_cndmask_b32_e32 v6, v6, v7, vcc
	v_cndmask_b32_e32 v4, v5, v4, vcc
	v_mov_b32_e32 v5, 0x37800000
	v_lshlrev_b32_e32 v4, 21, v4
	v_lshl_add_u32 v5, v6, 23, v5
	v_or3_b32 v1, v1, v5, v4
	v_cvt_f16_f32_e32 v1, v1
.LBB185_231:
	s_or_b64 exec, exec, s[4:5]
	s_mov_b64 s[2:3], 0
	s_branch .LBB185_237
.LBB185_232:
                                        ; implicit-def: $vgpr1
	s_branch .LBB185_243
.LBB185_233:
	s_or_saveexec_b64 s[4:5], s[4:5]
	v_mov_b32_e32 v1, 0x7e00
	s_xor_b64 exec, exec, s[4:5]
	s_cbranch_execz .LBB185_217
.LBB185_234:
	v_cmp_ne_u16_e32 vcc, 0, v4
	s_andn2_b64 s[2:3], s[2:3], exec
	s_and_b64 s[8:9], vcc, exec
	s_or_b64 s[2:3], s[2:3], s[8:9]
	v_mov_b32_e32 v1, v4
	s_or_b64 exec, exec, s[4:5]
	s_and_saveexec_b64 s[4:5], s[2:3]
	s_cbranch_execnz .LBB185_218
	s_branch .LBB185_219
.LBB185_235:
	s_mov_b64 s[2:3], -1
                                        ; implicit-def: $vgpr1
	s_branch .LBB185_240
.LBB185_236:
	s_mov_b64 s[2:3], -1
                                        ; implicit-def: $vgpr1
.LBB185_237:
	s_and_b64 vcc, exec, s[2:3]
	s_cbranch_vccz .LBB185_239
; %bb.238:
	global_load_ubyte v1, v[2:3], off
	s_mov_b32 s2, 0x7f800000
	s_waitcnt vmcnt(0)
	v_lshlrev_b32_e32 v1, 24, v1
	v_and_b32_e32 v4, 0x7f000000, v1
	v_ffbh_u32_e32 v5, v4
	v_min_u32_e32 v5, 32, v5
	v_sub_u32_e64 v5, v5, 4 clamp
	v_lshlrev_b32_e32 v7, v5, v4
	v_lshlrev_b32_e32 v5, 23, v5
	v_lshrrev_b32_e32 v7, 4, v7
	v_add_u32_e32 v6, 0x1000000, v4
	v_sub_u32_e32 v5, v7, v5
	v_ashrrev_i32_e32 v6, 8, v6
	v_add_u32_e32 v5, 0x3c000000, v5
	v_and_or_b32 v5, v6, s2, v5
	v_cmp_ne_u32_e32 vcc, 0, v4
	s_brev_b32 s2, 1
	s_nop 0
	v_cndmask_b32_e32 v4, 0, v5, vcc
	v_and_or_b32 v1, v1, s2, v4
	v_cvt_f16_f32_e32 v1, v1
.LBB185_239:
	s_mov_b64 s[2:3], 0
.LBB185_240:
	s_andn2_b64 vcc, exec, s[2:3]
	s_cbranch_vccnz .LBB185_242
; %bb.241:
	global_load_ubyte v1, v[2:3], off
	s_movk_i32 s2, 0x7f00
	s_brev_b32 s3, 16
	s_waitcnt vmcnt(0)
	v_lshlrev_b16_e32 v4, 8, v1
	v_lshlrev_b32_e32 v1, 25, v1
	v_lshrrev_b32_e32 v5, 4, v1
	v_and_or_b32 v6, v4, s2, 0.5
	v_or_b32_e32 v5, 0x70000000, v5
	v_add_f32_e32 v6, -0.5, v6
	v_mul_f32_e32 v5, 0x7800000, v5
	v_cmp_gt_u32_e32 vcc, s3, v1
	v_bfe_i32 v4, v4, 0, 16
	s_brev_b32 s2, 1
	v_cndmask_b32_e32 v1, v5, v6, vcc
	v_and_or_b32 v1, v4, s2, v1
	v_cvt_f16_f32_e32 v1, v1
.LBB185_242:
	s_mov_b64 s[2:3], -1
	s_cbranch_execnz .LBB185_255
.LBB185_243:
	s_cmp_gt_i32 s10, 14
	s_cbranch_scc0 .LBB185_246
; %bb.244:
	s_cmp_eq_u32 s10, 15
	s_cbranch_scc0 .LBB185_249
; %bb.245:
	global_load_ushort v1, v[2:3], off
	s_mov_b64 s[2:3], -1
	s_mov_b64 s[6:7], 0
	s_waitcnt vmcnt(0)
	v_lshlrev_b32_e32 v1, 16, v1
	v_cvt_f16_f32_e32 v1, v1
	s_branch .LBB185_250
.LBB185_246:
	s_mov_b64 s[4:5], -1
                                        ; implicit-def: $vgpr1
	s_branch .LBB185_251
.LBB185_247:
	s_or_saveexec_b64 s[4:5], s[4:5]
	v_mov_b32_e32 v1, 0x7e00
	s_xor_b64 exec, exec, s[4:5]
	s_cbranch_execz .LBB185_229
.LBB185_248:
	v_cmp_ne_u16_e32 vcc, 0, v4
	s_andn2_b64 s[2:3], s[2:3], exec
	s_and_b64 s[8:9], vcc, exec
	s_or_b64 s[2:3], s[2:3], s[8:9]
	v_mov_b32_e32 v1, v4
	s_or_b64 exec, exec, s[4:5]
	s_and_saveexec_b64 s[4:5], s[2:3]
	s_cbranch_execnz .LBB185_230
	s_branch .LBB185_231
.LBB185_249:
	s_mov_b64 s[6:7], -1
                                        ; implicit-def: $vgpr1
.LBB185_250:
	s_mov_b64 s[4:5], 0
.LBB185_251:
	s_and_b64 vcc, exec, s[4:5]
	s_cbranch_vccz .LBB185_255
; %bb.252:
	s_cmp_eq_u32 s10, 11
	s_cbranch_scc0 .LBB185_254
; %bb.253:
	global_load_ubyte v1, v[2:3], off
	v_mov_b32_e32 v4, 0x3c00
	s_mov_b64 s[2:3], -1
	s_mov_b64 s[6:7], 0
	s_waitcnt vmcnt(0)
	v_cmp_ne_u16_e32 vcc, 0, v1
	s_nop 1
	v_cndmask_b32_e32 v1, 0, v4, vcc
	s_branch .LBB185_255
.LBB185_254:
	s_mov_b64 s[6:7], -1
                                        ; implicit-def: $vgpr1
.LBB185_255:
	v_mov_b32_e32 v4, 0
.LBB185_256:
	s_branch .LBB185_25
.LBB185_257:
	s_cmp_lt_i32 s10, 5
	s_cbranch_scc1 .LBB185_262
; %bb.258:
	s_cmp_lt_i32 s10, 8
	s_cbranch_scc1 .LBB185_263
; %bb.259:
	;; [unrolled: 3-line block ×3, first 2 shown]
	s_cmp_gt_i32 s10, 9
	s_cbranch_scc0 .LBB185_265
; %bb.261:
	global_load_dwordx4 v[4:7], v[2:3], off
	s_movk_i32 s2, 0x1ff
	s_movk_i32 s3, 0xffe
	v_mov_b32_e32 v1, 0x7c00
	v_mov_b32_e32 v9, 0x7e00
	s_movk_i32 s4, 0x40f
	s_mov_b32 s5, 0x8000
	s_waitcnt vmcnt(0)
	v_and_or_b32 v4, v5, s2, v4
	v_and_or_b32 v6, v7, s2, v6
	v_cmp_ne_u32_e32 vcc, 0, v4
	v_lshrrev_b32_e32 v10, 8, v5
	v_bfe_u32 v11, v5, 20, 11
	v_cndmask_b32_e64 v4, 0, 1, vcc
	v_cmp_ne_u32_e32 vcc, 0, v6
	v_lshrrev_b32_e32 v12, 8, v7
	v_bfe_u32 v13, v7, 20, 11
	v_cndmask_b32_e64 v6, 0, 1, vcc
	v_and_or_b32 v4, v10, s3, v4
	v_sub_u32_e32 v14, 0x3f1, v11
	v_add_u32_e32 v11, 0xfffffc10, v11
	v_sub_u32_e32 v15, 0x3f1, v13
	v_and_or_b32 v6, v12, s3, v6
	v_cmp_ne_u32_e32 vcc, 0, v4
	v_add_u32_e32 v13, 0xfffffc10, v13
	v_med3_i32 v10, v14, 0, 13
	v_med3_i32 v12, v15, 0, 13
	v_or_b32_e32 v14, 0x1000, v4
	v_lshl_or_b32 v15, v11, 12, v4
	v_cndmask_b32_e32 v4, v1, v9, vcc
	v_cmp_ne_u32_e32 vcc, 0, v6
	v_or_b32_e32 v16, 0x1000, v6
	v_lshl_or_b32 v17, v13, 12, v6
	v_cndmask_b32_e32 v6, v1, v9, vcc
	v_lshrrev_b32_e32 v9, v10, v14
	v_lshrrev_b32_e32 v18, v12, v16
	v_lshlrev_b32_e32 v10, v10, v9
	v_lshlrev_b32_e32 v12, v12, v18
	v_cmp_ne_u32_e32 vcc, v10, v14
	v_lshrrev_b32_e32 v5, 16, v5
	v_lshrrev_b32_e32 v7, 16, v7
	v_cndmask_b32_e64 v10, 0, 1, vcc
	v_cmp_ne_u32_e32 vcc, v12, v16
	v_or_b32_e32 v9, v9, v10
	s_mov_b64 s[2:3], 0
	v_cndmask_b32_e64 v12, 0, 1, vcc
	v_cmp_gt_i32_e32 vcc, 1, v11
	v_or_b32_e32 v10, v18, v12
	s_nop 0
	v_cndmask_b32_e32 v9, v15, v9, vcc
	v_cmp_gt_i32_e32 vcc, 1, v13
	v_and_b32_e32 v12, 7, v9
	v_lshrrev_b32_e32 v9, 2, v9
	v_cndmask_b32_e32 v10, v17, v10, vcc
	v_cmp_lt_i32_e32 vcc, 5, v12
	v_and_b32_e32 v14, 7, v10
	v_lshrrev_b32_e32 v10, 2, v10
	v_cndmask_b32_e64 v15, 0, 1, vcc
	v_cmp_eq_u32_e32 vcc, 3, v12
	s_nop 1
	v_cndmask_b32_e64 v12, 0, 1, vcc
	v_cmp_lt_i32_e32 vcc, 5, v14
	v_or_b32_e32 v12, v12, v15
	v_add_u32_e32 v9, v9, v12
	v_cndmask_b32_e64 v16, 0, 1, vcc
	v_cmp_eq_u32_e32 vcc, 3, v14
	s_nop 1
	v_cndmask_b32_e64 v14, 0, 1, vcc
	v_or_b32_e32 v14, v14, v16
	v_cmp_gt_i32_e32 vcc, 31, v11
	v_add_u32_e32 v10, v10, v14
	s_nop 0
	v_cndmask_b32_e32 v9, v1, v9, vcc
	v_cmp_gt_i32_e32 vcc, 31, v13
	s_nop 1
	v_cndmask_b32_e32 v1, v1, v10, vcc
	v_cmp_eq_u32_e32 vcc, s4, v11
	s_nop 1
	v_cndmask_b32_e32 v4, v9, v4, vcc
	v_cmp_eq_u32_e32 vcc, s4, v13
	s_nop 1
	v_cndmask_b32_e32 v6, v1, v6, vcc
	v_and_or_b32 v1, v5, s5, v4
	v_and_or_b32 v4, v7, s5, v6
	s_branch .LBB185_266
.LBB185_262:
                                        ; implicit-def: $vgpr4
                                        ; implicit-def: $vgpr1
	s_branch .LBB185_285
.LBB185_263:
	s_mov_b64 s[2:3], -1
                                        ; implicit-def: $vgpr4
                                        ; implicit-def: $vgpr1
	s_branch .LBB185_272
.LBB185_264:
	s_mov_b64 s[2:3], -1
                                        ; implicit-def: $vgpr4
                                        ; implicit-def: $vgpr1
	s_branch .LBB185_269
.LBB185_265:
	s_mov_b64 s[2:3], -1
                                        ; implicit-def: $vgpr4
                                        ; implicit-def: $vgpr1
.LBB185_266:
	s_andn2_b64 vcc, exec, s[2:3]
	s_cbranch_vccnz .LBB185_268
; %bb.267:
	global_load_dwordx2 v[4:5], v[2:3], off
	s_waitcnt vmcnt(0)
	v_cvt_f16_f32_e32 v1, v4
	v_cvt_f16_f32_e32 v4, v5
.LBB185_268:
	s_mov_b64 s[2:3], 0
.LBB185_269:
	s_andn2_b64 vcc, exec, s[2:3]
	s_cbranch_vccnz .LBB185_271
; %bb.270:
	global_load_dword v1, v[2:3], off
	s_waitcnt vmcnt(0)
	v_lshrrev_b32_e32 v4, 16, v1
.LBB185_271:
	s_mov_b64 s[2:3], 0
.LBB185_272:
	s_andn2_b64 vcc, exec, s[2:3]
	s_cbranch_vccnz .LBB185_284
; %bb.273:
	s_cmp_lt_i32 s10, 6
	s_cbranch_scc1 .LBB185_276
; %bb.274:
	s_cmp_gt_i32 s10, 6
	s_cbranch_scc0 .LBB185_277
; %bb.275:
	global_load_dwordx2 v[4:5], v[2:3], off
	s_movk_i32 s2, 0x1ff
	s_movk_i32 s3, 0xffe
	v_mov_b32_e32 v1, 0x7c00
	v_mov_b32_e32 v6, 0x7e00
	s_movk_i32 s4, 0x40f
	s_mov_b32 s5, 0x8000
	s_waitcnt vmcnt(0)
	v_and_or_b32 v4, v5, s2, v4
	v_cmp_ne_u32_e32 vcc, 0, v4
	v_lshrrev_b32_e32 v7, 8, v5
	v_bfe_u32 v9, v5, 20, 11
	v_cndmask_b32_e64 v4, 0, 1, vcc
	v_sub_u32_e32 v10, 0x3f1, v9
	v_and_or_b32 v4, v7, s3, v4
	v_add_u32_e32 v9, 0xfffffc10, v9
	v_med3_i32 v7, v10, 0, 13
	v_or_b32_e32 v10, 0x1000, v4
	v_cmp_ne_u32_e32 vcc, 0, v4
	v_lshl_or_b32 v11, v9, 12, v4
	v_lshrrev_b32_e32 v5, 16, v5
	v_cndmask_b32_e32 v4, v1, v6, vcc
	v_lshrrev_b32_e32 v6, v7, v10
	v_lshlrev_b32_e32 v7, v7, v6
	v_cmp_ne_u32_e32 vcc, v7, v10
	s_mov_b64 s[2:3], 0
	s_nop 0
	v_cndmask_b32_e64 v7, 0, 1, vcc
	v_or_b32_e32 v6, v6, v7
	v_cmp_gt_i32_e32 vcc, 1, v9
	s_nop 1
	v_cndmask_b32_e32 v6, v11, v6, vcc
	v_and_b32_e32 v7, 7, v6
	v_cmp_lt_i32_e32 vcc, 5, v7
	v_lshrrev_b32_e32 v6, 2, v6
	s_nop 0
	v_cndmask_b32_e64 v10, 0, 1, vcc
	v_cmp_eq_u32_e32 vcc, 3, v7
	s_nop 1
	v_cndmask_b32_e64 v7, 0, 1, vcc
	v_or_b32_e32 v7, v7, v10
	v_add_u32_e32 v6, v6, v7
	v_cmp_gt_i32_e32 vcc, 31, v9
	s_nop 1
	v_cndmask_b32_e32 v1, v1, v6, vcc
	v_cmp_eq_u32_e32 vcc, s4, v9
	s_nop 1
	v_cndmask_b32_e32 v1, v1, v4, vcc
	v_and_or_b32 v1, v5, s5, v1
	s_branch .LBB185_278
.LBB185_276:
	s_mov_b64 s[2:3], -1
                                        ; implicit-def: $vgpr1
	s_branch .LBB185_281
.LBB185_277:
	s_mov_b64 s[2:3], -1
                                        ; implicit-def: $vgpr1
.LBB185_278:
	s_andn2_b64 vcc, exec, s[2:3]
	s_cbranch_vccnz .LBB185_280
; %bb.279:
	global_load_dword v1, v[2:3], off
	s_waitcnt vmcnt(0)
	v_cvt_f16_f32_e32 v1, v1
.LBB185_280:
	s_mov_b64 s[2:3], 0
.LBB185_281:
	s_andn2_b64 vcc, exec, s[2:3]
	s_cbranch_vccnz .LBB185_283
; %bb.282:
	global_load_ushort v1, v[2:3], off
.LBB185_283:
	v_mov_b32_e32 v4, 0
.LBB185_284:
	s_cbranch_execnz .LBB185_305
.LBB185_285:
	s_cmp_lt_i32 s10, 2
	s_cbranch_scc1 .LBB185_289
; %bb.286:
	s_cmp_lt_i32 s10, 3
	s_cbranch_scc1 .LBB185_290
; %bb.287:
	s_cmp_gt_i32 s10, 3
	s_cbranch_scc0 .LBB185_291
; %bb.288:
	global_load_dwordx2 v[4:5], v[2:3], off
	s_mov_b64 s[2:3], 0
	s_waitcnt vmcnt(0)
	v_xor_b32_e32 v6, v4, v5
	v_ffbh_i32_e32 v1, v5
	v_ashrrev_i32_e32 v6, 31, v6
	v_add_u32_e32 v1, -1, v1
	v_add_u32_e32 v6, 32, v6
	v_min_u32_e32 v1, v1, v6
	v_lshlrev_b64 v[4:5], v1, v[4:5]
	v_min_u32_e32 v4, 1, v4
	v_or_b32_e32 v4, v5, v4
	v_cvt_f32_i32_e32 v4, v4
	v_sub_u32_e32 v1, 32, v1
	v_ldexp_f32 v1, v4, v1
	v_cvt_f16_f32_e32 v1, v1
	s_branch .LBB185_292
.LBB185_289:
	s_mov_b64 s[2:3], -1
                                        ; implicit-def: $vgpr1
	s_branch .LBB185_298
.LBB185_290:
	s_mov_b64 s[2:3], -1
                                        ; implicit-def: $vgpr1
	s_branch .LBB185_295
.LBB185_291:
	s_mov_b64 s[2:3], -1
                                        ; implicit-def: $vgpr1
.LBB185_292:
	s_andn2_b64 vcc, exec, s[2:3]
	s_cbranch_vccnz .LBB185_294
; %bb.293:
	global_load_dword v1, v[2:3], off
	s_waitcnt vmcnt(0)
	v_cvt_f32_i32_e32 v1, v1
	v_cvt_f16_f32_e32 v1, v1
.LBB185_294:
	s_mov_b64 s[2:3], 0
.LBB185_295:
	s_andn2_b64 vcc, exec, s[2:3]
	s_cbranch_vccnz .LBB185_297
; %bb.296:
	global_load_ushort v1, v[2:3], off
	s_waitcnt vmcnt(0)
	v_cvt_f16_i16_e32 v1, v1
.LBB185_297:
	s_mov_b64 s[2:3], 0
.LBB185_298:
	s_andn2_b64 vcc, exec, s[2:3]
	s_cbranch_vccnz .LBB185_304
; %bb.299:
	s_cmp_gt_i32 s10, 0
	s_cbranch_scc0 .LBB185_301
; %bb.300:
	global_load_sbyte v1, v[2:3], off
	s_mov_b64 s[2:3], 0
	s_waitcnt vmcnt(0)
	v_cvt_f16_i16_e32 v1, v1
	s_branch .LBB185_302
.LBB185_301:
	s_mov_b64 s[2:3], -1
                                        ; implicit-def: $vgpr1
.LBB185_302:
	s_andn2_b64 vcc, exec, s[2:3]
	s_cbranch_vccnz .LBB185_304
; %bb.303:
	global_load_ubyte v1, v[2:3], off
	s_waitcnt vmcnt(0)
	v_cvt_f16_u16_e32 v1, v1
.LBB185_304:
	v_mov_b32_e32 v4, 0
.LBB185_305:
	s_branch .LBB185_26
.LBB185_306:
	s_mov_b64 s[2:3], 0
.LBB185_307:
	s_mov_b64 s[4:5], 0
                                        ; implicit-def: $vgpr8
.LBB185_308:
	s_and_b64 s[54:55], s[2:3], exec
	s_and_b64 s[56:57], s[6:7], exec
	s_orn2_b64 s[4:5], s[4:5], exec
.LBB185_309:
	s_or_b64 exec, exec, s[58:59]
	s_mov_b64 s[8:9], 0
	s_mov_b64 s[2:3], 0
                                        ; implicit-def: $vgpr2_vgpr3
                                        ; implicit-def: $vgpr0
                                        ; implicit-def: $vgpr6
                                        ; implicit-def: $vgpr1
	s_and_saveexec_b64 s[58:59], s[4:5]
	s_cbranch_execz .LBB185_317
; %bb.310:
	v_cmp_gt_i32_e32 vcc, s70, v8
	s_mov_b64 s[2:3], -1
	s_mov_b64 s[60:61], s[56:57]
	s_mov_b64 s[62:63], s[54:55]
	s_and_saveexec_b64 s[64:65], vcc
	s_cbranch_execz .LBB185_629
; %bb.311:
	s_andn2_b64 vcc, exec, s[42:43]
	s_cbranch_vccnz .LBB185_320
; %bb.312:
	s_andn2_b64 vcc, exec, s[52:53]
	s_cbranch_vccnz .LBB185_321
; %bb.313:
	s_add_i32 s63, s75, 1
	s_cmp_eq_u32 s72, 2
	s_cbranch_scc1 .LBB185_322
; %bb.314:
	s_and_b32 s62, s63, 28
	s_mov_b32 s66, 0
	v_mov_b32_e32 v0, 0
	v_mov_b32_e32 v2, 0
	s_mov_b64 s[2:3], s[34:35]
	s_mov_b64 s[60:61], s[50:51]
	v_mov_b32_e32 v4, v8
.LBB185_315:                            ; =>This Inner Loop Header: Depth=1
	s_load_dwordx8 s[12:19], s[2:3], 0x4
	s_load_dwordx4 s[36:39], s[2:3], 0x24
	s_load_dwordx8 s[4:11], s[60:61], 0x0
	s_add_u32 s2, s2, 48
	s_addc_u32 s3, s3, 0
	s_waitcnt vmcnt(0) lgkmcnt(0)
	v_mul_hi_u32 v1, s13, v4
	v_add_u32_e32 v1, v4, v1
	v_lshrrev_b32_e32 v1, s14, v1
	v_mul_lo_u32 v3, v1, s12
	v_mul_hi_u32 v5, s16, v1
	v_sub_u32_e32 v3, v4, v3
	v_add_u32_e32 v4, v1, v5
	v_lshrrev_b32_e32 v4, s17, v4
	v_mul_lo_u32 v6, v4, s15
	v_mul_hi_u32 v7, s19, v4
	v_sub_u32_e32 v1, v1, v6
	v_add_u32_e32 v6, v4, v7
	v_mul_lo_u32 v5, v3, s5
	v_mul_lo_u32 v3, v3, s4
	;; [unrolled: 1-line block ×4, first 2 shown]
	v_lshrrev_b32_e32 v6, s36, v6
	v_add3_u32 v0, v3, v0, v1
	v_mul_hi_u32 v3, s38, v6
	v_add3_u32 v1, v5, v2, v7
	v_mul_lo_u32 v2, v6, s18
	v_add_u32_e32 v3, v6, v3
	v_sub_u32_e32 v2, v4, v2
	v_lshrrev_b32_e32 v4, s39, v3
	s_add_i32 s66, s66, 4
	v_mul_lo_u32 v3, v4, s37
	s_add_u32 s60, s60, 32
	v_sub_u32_e32 v3, v6, v3
	s_addc_u32 s61, s61, 0
	v_mul_lo_u32 v5, v2, s8
	v_mul_lo_u32 v2, v2, s9
	;; [unrolled: 1-line block ×4, first 2 shown]
	s_cmp_eq_u32 s62, s66
	v_add3_u32 v2, v2, v1, v3
	v_add3_u32 v0, v5, v0, v6
	s_cbranch_scc0 .LBB185_315
; %bb.316:
	v_mov_b32_e32 v1, v2
	s_branch .LBB185_323
.LBB185_317:
	s_or_b64 exec, exec, s[58:59]
	s_mov_b64 s[6:7], 0
	s_and_saveexec_b64 s[4:5], s[56:57]
	s_cbranch_execnz .LBB185_1053
.LBB185_318:
	s_or_b64 exec, exec, s[4:5]
	s_and_saveexec_b64 s[4:5], s[62:63]
	s_xor_b64 s[4:5], exec, s[4:5]
	s_cbranch_execz .LBB185_1054
.LBB185_319:
	global_load_ubyte v1, v[2:3], off
	v_mov_b32_e32 v4, 0x3c00
	v_mov_b32_e32 v6, 0
	s_or_b64 s[2:3], s[2:3], exec
	s_waitcnt vmcnt(0)
	v_cmp_ne_u16_e32 vcc, 0, v1
	s_nop 1
	v_cndmask_b32_e32 v1, 0, v4, vcc
	s_or_b64 exec, exec, s[4:5]
	s_and_saveexec_b64 s[4:5], s[8:9]
	s_cbranch_execz .LBB185_1102
	s_branch .LBB185_1055
.LBB185_320:
                                        ; implicit-def: $vgpr2
                                        ; implicit-def: $vgpr0
	s_andn2_b64 vcc, exec, s[2:3]
	s_cbranch_vccz .LBB185_327
	s_branch .LBB185_329
.LBB185_321:
	v_mov_b32_e32 v2, 0
	v_mov_b32_e32 v0, 0
	s_branch .LBB185_326
.LBB185_322:
	v_mov_b32_e32 v0, 0
	s_mov_b32 s62, 0
	s_waitcnt vmcnt(0)
	v_mov_b32_e32 v1, v0
                                        ; implicit-def: $vgpr2
	v_mov_b32_e32 v4, v8
.LBB185_323:
	s_and_b32 s6, s63, 3
	s_cmp_eq_u32 s6, 0
	s_cbranch_scc1 .LBB185_326
; %bb.324:
	s_lshl_b32 s2, s62, 3
	s_add_u32 s2, s34, s2
	s_addc_u32 s3, s35, 0
	s_add_u32 s2, s2, 0xc4
	s_addc_u32 s3, s3, 0
	s_mul_i32 s4, s62, 12
	s_add_u32 s4, s34, s4
	s_addc_u32 s5, s35, 0
.LBB185_325:                            ; =>This Inner Loop Header: Depth=1
	s_load_dwordx2 s[8:9], s[4:5], 0x4
	s_load_dword s7, s[4:5], 0xc
	s_load_dwordx2 s[10:11], s[2:3], 0x0
	v_mov_b32_e32 v2, v1
	s_add_u32 s4, s4, 12
	s_waitcnt lgkmcnt(0)
	v_mul_hi_u32 v1, s9, v4
	v_add_u32_e32 v1, v4, v1
	v_lshrrev_b32_e32 v1, s7, v1
	s_addc_u32 s5, s5, 0
	v_mul_lo_u32 v3, v1, s8
	s_add_u32 s2, s2, 8
	v_sub_u32_e32 v5, v4, v3
	s_addc_u32 s3, s3, 0
	s_add_i32 s6, s6, -1
	v_mov_b32_e32 v4, v1
	v_mad_u64_u32 v[2:3], s[8:9], v5, s11, v[2:3]
	v_mad_u64_u32 v[0:1], s[8:9], v5, s10, v[0:1]
	s_cmp_lg_u32 s6, 0
	v_mov_b32_e32 v1, v2
	s_cbranch_scc1 .LBB185_325
.LBB185_326:
	s_cbranch_execnz .LBB185_329
.LBB185_327:
	s_waitcnt lgkmcnt(0)
	v_mul_hi_u32 v0, s29, v8
	v_add_u32_e32 v0, v8, v0
	s_waitcnt vmcnt(0)
	v_lshrrev_b32_e32 v1, s30, v0
	v_mul_lo_u32 v0, v1, s28
	v_sub_u32_e32 v0, v8, v0
	v_mul_lo_u32 v2, v0, s25
	s_andn2_b64 vcc, exec, s[48:49]
	v_mul_lo_u32 v0, v0, s24
	s_cbranch_vccnz .LBB185_329
; %bb.328:
	v_mul_hi_u32 v3, s46, v1
	v_add_u32_e32 v3, v1, v3
	v_lshrrev_b32_e32 v3, s47, v3
	v_mul_lo_u32 v3, v3, s31
	v_sub_u32_e32 v3, v1, v3
	v_mad_u64_u32 v[0:1], s[2:3], v3, s26, v[0:1]
	v_mad_u64_u32 v[2:3], s[2:3], v3, s27, v[2:3]
.LBB185_329:
	v_mov_b32_e32 v3, 0
	s_and_b32 s10, 0xffff, s74
	s_cmp_lt_i32 s10, 11
	s_waitcnt lgkmcnt(0)
	v_lshl_add_u64 v[2:3], s[22:23], 0, v[2:3]
	s_cbranch_scc1 .LBB185_336
; %bb.330:
	s_cmp_gt_i32 s10, 25
	s_cbranch_scc0 .LBB185_350
; %bb.331:
	s_cmp_gt_i32 s10, 28
	s_cbranch_scc0 .LBB185_351
	;; [unrolled: 3-line block ×4, first 2 shown]
; %bb.334:
	s_cmp_eq_u32 s10, 46
	s_mov_b64 s[4:5], 0
	s_cbranch_scc0 .LBB185_395
; %bb.335:
	global_load_dword v1, v[2:3], off
	s_mov_b64 s[2:3], -1
	s_mov_b64 s[6:7], 0
	s_waitcnt vmcnt(0)
	v_and_b32_e32 v4, 0xffff0000, v1
	v_lshlrev_b32_e32 v1, 16, v1
	v_cvt_f16_f32_e32 v1, v1
	v_cvt_f16_f32_e32 v4, v4
	s_branch .LBB185_396
.LBB185_336:
	s_mov_b64 s[2:3], 0
                                        ; implicit-def: $vgpr4
                                        ; implicit-def: $vgpr1
	s_mov_b64 s[6:7], s[56:57]
	s_cbranch_execnz .LBB185_576
.LBB185_337:
	s_andn2_b64 vcc, exec, s[2:3]
	s_cbranch_vccnz .LBB185_626
.LBB185_338:
	v_cvt_f32_f16_e32 v3, v4
	s_waitcnt vmcnt(0)
	v_cmp_neq_f16_e32 vcc, 0, v1
	v_cmp_neq_f16_e64 s[2:3], 0, v4
	s_or_b64 s[2:3], vcc, s[2:3]
	v_mov_b32_e32 v2, 0
	s_and_saveexec_b64 s[8:9], s[2:3]
	s_cbranch_execz .LBB185_374
; %bb.339:
	v_mov_b32_e32 v2, 0x7f800000
	v_cmp_neq_f32_e64 s[2:3], |v3|, v2
	s_and_saveexec_b64 s[10:11], s[2:3]
	s_cbranch_execz .LBB185_373
; %bb.340:
	v_cvt_f32_f16_e32 v6, v1
	v_cmp_o_f16_e32 vcc, v1, v1
	s_and_saveexec_b64 s[2:3], vcc
	s_xor_b64 s[12:13], exec, s[2:3]
	s_cbranch_execz .LBB185_370
; %bb.341:
	s_mov_b32 s2, 0x7f800000
	v_cmp_neq_f32_e64 s[2:3], |v6|, s2
	s_and_saveexec_b64 s[4:5], s[2:3]
	s_xor_b64 s[14:15], exec, s[4:5]
	s_cbranch_execz .LBB185_363
; %bb.342:
	v_max_f32_e64 v1, |v3|, |v3|
	v_max_f32_e64 v2, |v6|, |v6|
	v_max_f32_e32 v1, v2, v1
	s_mov_b32 s2, 0x7ed413cb
	v_cmp_nle_f32_e64 s[2:3], s2, v1
                                        ; implicit-def: $sgpr16_sgpr17
	s_and_saveexec_b64 s[4:5], s[2:3]
	s_xor_b64 s[4:5], exec, s[4:5]
	s_cbranch_execz .LBB185_346
; %bb.343:
	s_mov_b32 s18, 0x1000000
	v_cmp_le_f32_e64 s[16:17], |v6|, s18
	v_cmp_le_f32_e64 s[18:19], |v3|, s18
	s_and_b64 s[36:37], s[16:17], s[18:19]
	s_mov_b64 s[16:17], 0
	s_and_saveexec_b64 s[18:19], s[36:37]
; %bb.344:
	s_mov_b64 s[16:17], exec
	v_mul_f32_e32 v3, 4.0, v3
	v_mul_f32_e32 v6, 4.0, v6
; %bb.345:
	s_or_b64 exec, exec, s[18:19]
.LBB185_346:
	s_andn2_saveexec_b64 s[4:5], s[4:5]
; %bb.347:
	v_mul_f32_e32 v6, 0x3e800000, v6
	v_mul_f32_e32 v3, 0x3e800000, v3
	s_andn2_b64 s[16:17], s[16:17], exec
; %bb.348:
	s_or_b64 exec, exec, s[4:5]
	v_max_f32_e64 v1, |v3|, |v3|
	v_max_f32_e64 v2, |v6|, |v6|
	v_max_f32_e32 v1, v2, v1
	v_cvt_f64_f32_e32 v[4:5], v1
	v_frexp_exp_i32_f64_e32 v2, v[4:5]
	v_sub_u32_e32 v4, 0, v2
	v_ldexp_f32 v5, |v6|, v4
	v_ldexp_f32 v4, |v3|, v4
	v_mul_f32_e32 v4, v4, v4
	v_fmac_f32_e32 v4, v5, v5
	v_sqrt_f32_e32 v4, v4
	s_mov_b32 s4, 0x7f800000
	v_cmp_neq_f32_e64 s[4:5], s4, v1
	v_cmp_le_f32_e32 vcc, 0, v6
	v_ldexp_f32 v2, v4, v2
	v_mov_b32_e32 v4, 0x7f800000
	v_cndmask_b32_e64 v1, v4, v2, s[4:5]
                                        ; implicit-def: $vgpr4_vgpr5
	s_and_saveexec_b64 s[4:5], vcc
	s_xor_b64 s[18:19], exec, s[4:5]
	s_cbranch_execz .LBB185_356
; %bb.349:
	v_add_f32_e32 v1, v6, v1
	v_mul_f32_e32 v1, 0.5, v1
	s_mov_b32 s4, 0xf800000
	v_mul_f32_e32 v2, 0x4f800000, v1
	v_cmp_gt_f32_e32 vcc, s4, v1
	s_nop 1
	v_cndmask_b32_e32 v1, v1, v2, vcc
	v_sqrt_f32_e32 v2, v1
	s_nop 0
	v_add_u32_e32 v4, -1, v2
	v_fma_f32 v5, -v4, v2, v1
	v_cmp_ge_f32_e64 s[4:5], 0, v5
	v_add_u32_e32 v5, 1, v2
	s_nop 0
	v_cndmask_b32_e64 v4, v2, v4, s[4:5]
	v_fma_f32 v2, -v5, v2, v1
	v_cmp_lt_f32_e64 s[4:5], 0, v2
	s_nop 1
	v_cndmask_b32_e64 v2, v4, v5, s[4:5]
	v_mul_f32_e32 v4, 0x37800000, v2
	v_cndmask_b32_e32 v2, v2, v4, vcc
	v_mov_b32_e32 v4, 0x260
	v_cmp_class_f32_e32 vcc, v1, v4
	s_nop 1
	v_cndmask_b32_e32 v4, v2, v1, vcc
	v_add_f32_e32 v1, v4, v4
	v_div_scale_f32 v2, s[4:5], v1, v1, v3
	v_rcp_f32_e32 v5, v2
	s_nop 0
	v_fma_f32 v6, -v2, v5, 1.0
	v_fmac_f32_e32 v5, v6, v5
	v_div_scale_f32 v6, vcc, v3, v1, v3
	v_mul_f32_e32 v7, v6, v5
	v_fma_f32 v9, -v2, v7, v6
	v_fmac_f32_e32 v7, v9, v5
	v_fma_f32 v2, -v2, v7, v6
	v_div_fmas_f32 v2, v2, v5, v7
	v_div_fixup_f32 v5, v2, v1, v3
                                        ; implicit-def: $vgpr1
                                        ; implicit-def: $vgpr6
                                        ; implicit-def: $vgpr3
	s_andn2_saveexec_b64 s[18:19], s[18:19]
	s_cbranch_execz .LBB185_358
	s_branch .LBB185_357
.LBB185_350:
	s_mov_b64 s[4:5], -1
	s_mov_b64 s[2:3], 0
	s_mov_b64 s[6:7], s[56:57]
                                        ; implicit-def: $vgpr4
                                        ; implicit-def: $vgpr1
	s_branch .LBB185_539
.LBB185_351:
	s_mov_b64 s[4:5], -1
	s_mov_b64 s[2:3], 0
	s_mov_b64 s[6:7], s[56:57]
                                        ; implicit-def: $vgpr4
                                        ; implicit-def: $vgpr1
	s_branch .LBB185_520
.LBB185_352:
	s_mov_b64 s[4:5], -1
	s_mov_b64 s[2:3], 0
	s_mov_b64 s[6:7], s[56:57]
                                        ; implicit-def: $vgpr4
                                        ; implicit-def: $vgpr1
	s_branch .LBB185_514
.LBB185_353:
	s_andn2_saveexec_b64 s[10:11], s[10:11]
	s_cbranch_execz .LBB185_107
.LBB185_354:
	s_mov_b32 s14, 0x46000000
	v_add_f32_e64 v6, |v3|, s14
	v_and_b32_e32 v6, 0xff, v6
	v_cmp_ne_u32_e32 vcc, 0, v6
	s_andn2_b64 s[8:9], s[8:9], exec
	s_and_b64 s[14:15], vcc, exec
	s_or_b64 s[8:9], s[8:9], s[14:15]
	s_or_b64 exec, exec, s[10:11]
	v_mov_b32_e32 v7, 0
	s_and_saveexec_b64 s[10:11], s[8:9]
	s_cbranch_execnz .LBB185_108
	s_branch .LBB185_109
.LBB185_355:
	s_mov_b64 s[4:5], -1
	s_mov_b64 s[2:3], 0
	s_mov_b64 s[6:7], s[56:57]
                                        ; implicit-def: $vgpr4
                                        ; implicit-def: $vgpr1
	s_branch .LBB185_396
.LBB185_356:
	s_andn2_saveexec_b64 s[18:19], s[18:19]
	s_cbranch_execz .LBB185_358
.LBB185_357:
	v_sub_f32_e32 v1, v1, v6
	v_mul_f32_e32 v1, 0.5, v1
	s_mov_b32 s4, 0xf800000
	v_mul_f32_e32 v2, 0x4f800000, v1
	v_cmp_gt_f32_e32 vcc, s4, v1
	s_nop 1
	v_cndmask_b32_e32 v1, v1, v2, vcc
	v_sqrt_f32_e32 v2, v1
	s_nop 0
	v_add_u32_e32 v4, -1, v2
	v_fma_f32 v5, -v4, v2, v1
	v_cmp_ge_f32_e64 s[4:5], 0, v5
	v_add_u32_e32 v5, 1, v2
	s_nop 0
	v_cndmask_b32_e64 v4, v2, v4, s[4:5]
	v_fma_f32 v2, -v5, v2, v1
	v_cmp_lt_f32_e64 s[4:5], 0, v2
	s_nop 1
	v_cndmask_b32_e64 v2, v4, v5, s[4:5]
	v_mul_f32_e32 v4, 0x37800000, v2
	v_cndmask_b32_e32 v2, v2, v4, vcc
	v_mov_b32_e32 v4, 0x260
	v_cmp_class_f32_e32 vcc, v1, v4
	v_and_b32_e32 v4, 0x7fffffff, v3
	s_nop 0
	v_cndmask_b32_e32 v1, v2, v1, vcc
	v_add_f32_e32 v2, v1, v1
	v_div_scale_f32 v5, s[4:5], v2, v2, v4
	v_rcp_f32_e32 v6, v5
	v_div_scale_f32 v4, vcc, v4, v2, v4
	s_brev_b32 s4, -2
	v_fma_f32 v7, -v5, v6, 1.0
	v_fmac_f32_e32 v6, v7, v6
	v_mul_f32_e32 v7, v4, v6
	v_fma_f32 v9, -v5, v7, v4
	v_fmac_f32_e32 v7, v9, v6
	v_fma_f32 v4, -v5, v7, v4
	v_div_fmas_f32 v4, v4, v6, v7
	v_div_fixup_f32 v4, v4, v2, |v3|
	v_bfi_b32 v5, s4, v1, v3
.LBB185_358:
	s_or_b64 exec, exec, s[18:19]
                                        ; implicit-def: $vgpr3
	s_and_saveexec_b64 s[4:5], s[2:3]
	s_xor_b64 s[2:3], exec, s[4:5]
	s_cbranch_execz .LBB185_360
; %bb.359:
	v_pk_mul_f32 v[2:3], v[4:5], 0.5 op_sel_hi:[1,0]
	s_nop 0
	v_cndmask_b32_e64 v2, v4, v2, s[16:17]
	v_cndmask_b32_e64 v3, v5, v3, s[16:17]
                                        ; implicit-def: $vgpr4_vgpr5
	s_andn2_saveexec_b64 s[2:3], s[2:3]
	s_cbranch_execnz .LBB185_361
	s_branch .LBB185_362
.LBB185_360:
	s_andn2_saveexec_b64 s[2:3], s[2:3]
.LBB185_361:
	v_pk_add_f32 v[2:3], v[4:5], v[4:5]
.LBB185_362:
	s_or_b64 exec, exec, s[2:3]
                                        ; implicit-def: $vgpr6
                                        ; implicit-def: $vgpr1
.LBB185_363:
	s_andn2_saveexec_b64 s[2:3], s[14:15]
	s_cbranch_execz .LBB185_369
; %bb.364:
	v_cmp_lt_i16_e32 vcc, -1, v1
	v_sub_f32_e32 v1, v3, v3
	s_brev_b32 s14, -2
	v_and_b32_e32 v2, 0x7fffffff, v1
	s_and_saveexec_b64 s[4:5], vcc
	s_xor_b64 s[4:5], exec, s[4:5]
; %bb.365:
	v_bfi_b32 v3, s14, v1, v3
	v_mov_b32_e32 v2, v6
; %bb.366:
	s_andn2_saveexec_b64 s[4:5], s[4:5]
; %bb.367:
	v_bfi_b32 v3, s14, v6, v3
; %bb.368:
	s_or_b64 exec, exec, s[4:5]
.LBB185_369:
	s_or_b64 exec, exec, s[2:3]
                                        ; implicit-def: $vgpr6
.LBB185_370:
	s_andn2_saveexec_b64 s[2:3], s[12:13]
	s_cbranch_execz .LBB185_372
; %bb.371:
	v_sub_f32_e32 v1, v3, v3
	v_div_scale_f32 v2, vcc, v1, v1, v1
	v_rcp_f32_e32 v3, v2
	s_nop 0
	v_fma_f32 v4, -v2, v3, 1.0
	v_fmac_f32_e32 v3, v4, v3
	v_mul_f32_e32 v4, v2, v3
	v_fma_f32 v5, -v2, v4, v2
	v_fmac_f32_e32 v4, v5, v3
	v_fma_f32 v2, -v2, v4, v2
	v_div_fmas_f32 v2, v2, v3, v4
	v_div_fixup_f32 v3, v2, v1, v1
	v_mov_b32_e32 v2, v6
.LBB185_372:
	s_or_b64 exec, exec, s[2:3]
.LBB185_373:
	s_or_b64 exec, exec, s[10:11]
.LBB185_374:
	s_or_b64 exec, exec, s[8:9]
	v_cmp_gt_f32_e32 vcc, 0, v3
                                        ; implicit-def: $vgpr4_vgpr5
	s_nop 1
	v_cndmask_b32_e64 v6, v3, -v3, vcc
	v_cmp_gt_f32_e32 vcc, 0, v2
	s_nop 1
	v_cndmask_b32_e64 v1, v2, -v2, vcc
	v_cmp_ge_f32_e32 vcc, v1, v6
	s_and_saveexec_b64 s[2:3], vcc
	s_xor_b64 s[4:5], exec, s[2:3]
	s_cbranch_execz .LBB185_380
; %bb.375:
	v_cmp_neq_f32_e32 vcc, 0, v2
	v_cmp_neq_f32_e64 s[2:3], 0, v3
	s_or_b64 s[2:3], vcc, s[2:3]
                                        ; implicit-def: $vgpr4_vgpr5
	s_and_saveexec_b64 s[8:9], s[2:3]
	s_xor_b64 s[2:3], exec, s[8:9]
	s_cbranch_execz .LBB185_377
; %bb.376:
	v_div_scale_f32 v1, s[8:9], v2, v2, v3
	v_rcp_f32_e32 v4, v1
	v_div_scale_f32 v5, vcc, v3, v2, v3
	v_fma_f32 v6, -v1, v4, 1.0
	v_fmac_f32_e32 v4, v6, v4
	v_mul_f32_e32 v6, v5, v4
	v_fma_f32 v7, -v1, v6, v5
	v_fmac_f32_e32 v6, v7, v4
	v_fma_f32 v1, -v1, v6, v5
	v_div_fmas_f32 v1, v1, v4, v6
	v_div_fixup_f32 v1, v1, v2, v3
	v_fmac_f32_e32 v2, v3, v1
	v_div_scale_f32 v3, s[8:9], v2, v2, 1.0
	v_rcp_f32_e32 v4, v3
	s_nop 0
	v_fma_f32 v5, -v3, v4, 1.0
	v_fmac_f32_e32 v4, v5, v4
	v_div_scale_f32 v5, vcc, 1.0, v2, 1.0
	v_mul_f32_e32 v6, v5, v4
	v_fma_f32 v7, -v3, v6, v5
	v_fmac_f32_e32 v6, v7, v4
	v_fma_f32 v3, -v3, v6, v5
	v_div_fmas_f32 v3, v3, v4, v6
	v_div_fixup_f32 v2, v3, v2, 1.0
	v_mul_f32_e32 v3, 0, v1
	v_add_f32_e32 v4, 1.0, v3
	v_sub_f32_e32 v5, 0, v1
	v_pk_mul_f32 v[4:5], v[4:5], v[2:3] op_sel_hi:[1,0]
                                        ; implicit-def: $vgpr6
                                        ; implicit-def: $vgpr1
.LBB185_377:
	s_andn2_saveexec_b64 s[2:3], s[2:3]
	s_cbranch_execz .LBB185_379
; %bb.378:
	v_div_scale_f32 v2, s[8:9], v6, v6, 0
	v_rcp_f32_e32 v3, v2
	v_div_scale_f32 v4, vcc, 0, v6, 0
	v_fma_f32 v5, -v2, v3, 1.0
	v_fmac_f32_e32 v3, v5, v3
	v_mul_f32_e32 v5, v4, v3
	v_fma_f32 v7, -v2, v5, v4
	v_fmac_f32_e32 v5, v7, v3
	v_fma_f32 v2, -v2, v5, v4
	v_div_scale_f32 v4, s[8:9], v1, v1, 1.0
	v_rcp_f32_e32 v7, v4
	v_div_fmas_f32 v2, v2, v3, v5
	v_div_fixup_f32 v5, v2, v6, 0
	v_fma_f32 v2, -v4, v7, 1.0
	v_fmac_f32_e32 v7, v2, v7
	v_div_scale_f32 v2, vcc, 1.0, v1, 1.0
	v_mul_f32_e32 v3, v2, v7
	v_fma_f32 v6, -v4, v3, v2
	v_fmac_f32_e32 v3, v6, v7
	v_fma_f32 v2, -v4, v3, v2
	v_div_fmas_f32 v2, v2, v7, v3
	v_div_fixup_f32 v4, v2, v1, 1.0
.LBB185_379:
	s_or_b64 exec, exec, s[2:3]
                                        ; implicit-def: $vgpr3
.LBB185_380:
	s_andn2_saveexec_b64 s[2:3], s[4:5]
	s_cbranch_execz .LBB185_382
; %bb.381:
	v_div_scale_f32 v1, s[4:5], v3, v3, v2
	v_rcp_f32_e32 v4, v1
	v_div_scale_f32 v5, vcc, v2, v3, v2
	v_fma_f32 v6, -v1, v4, 1.0
	v_fmac_f32_e32 v4, v6, v4
	v_mul_f32_e32 v6, v5, v4
	v_fma_f32 v7, -v1, v6, v5
	v_fmac_f32_e32 v6, v7, v4
	v_fma_f32 v1, -v1, v6, v5
	v_div_fmas_f32 v1, v1, v4, v6
	v_div_fixup_f32 v4, v1, v3, v2
	v_fmac_f32_e32 v3, v2, v4
	v_div_scale_f32 v1, s[4:5], v3, v3, 1.0
	v_rcp_f32_e32 v2, v1
	s_mov_b32 s4, 0
	s_mov_b32 s5, -1.0
	v_fma_f32 v5, -v1, v2, 1.0
	v_fmac_f32_e32 v2, v5, v2
	v_div_scale_f32 v5, vcc, 1.0, v3, 1.0
	v_mul_f32_e32 v6, v5, v2
	v_fma_f32 v7, -v1, v6, v5
	v_fmac_f32_e32 v6, v7, v2
	v_fma_f32 v1, -v1, v6, v5
	v_div_fmas_f32 v1, v1, v2, v6
	v_mul_f32_e32 v5, 0, v4
	v_div_fixup_f32 v2, v1, v3, 1.0
	v_pk_add_f32 v[4:5], v[4:5], s[4:5]
	s_nop 0
	v_pk_mul_f32 v[4:5], v[4:5], v[2:3] op_sel_hi:[1,0]
.LBB185_382:
	s_or_b64 exec, exec, s[2:3]
	v_cvt_f16_f32_e32 v2, v5
	v_cvt_f16_f32_e32 v4, v4
	v_mov_b32_e32 v1, 0
	s_and_b32 s12, s73, 0xff
	v_lshlrev_b32_e32 v3, 16, v2
	v_or_b32_e32 v5, v3, v4
	s_cmp_lt_i32 s12, 11
	v_lshl_add_u64 v[0:1], s[20:21], 0, v[0:1]
	s_cbranch_scc1 .LBB185_389
; %bb.383:
	s_and_b32 s13, 0xffff, s12
	s_cmp_gt_i32 s13, 25
	s_cbranch_scc0 .LBB185_390
; %bb.384:
	s_cmp_gt_i32 s13, 28
	s_cbranch_scc0 .LBB185_391
; %bb.385:
	;; [unrolled: 3-line block ×4, first 2 shown]
	s_mov_b64 s[8:9], 0
	s_mov_b64 s[2:3], -1
	s_cmp_eq_u32 s13, 46
	s_mov_b64 s[4:5], 0
	s_cbranch_scc0 .LBB185_400
; %bb.388:
	v_cvt_f32_f16_e32 v6, v2
	v_cvt_f32_f16_e32 v3, v4
	s_movk_i32 s2, 0x7fff
	v_cmp_o_f16_e32 vcc, v2, v2
	v_bfe_u32 v9, v6, 16, 1
	v_bfe_u32 v7, v3, 16, 1
	v_add3_u32 v6, v6, v9, s2
	v_add3_u32 v3, v3, v7, s2
	v_and_b32_e32 v6, 0xffff0000, v6
	v_mov_b32_e32 v7, 0x7fc00000
	v_cndmask_b32_e32 v6, v7, v6, vcc
	v_cmp_o_f16_e32 vcc, v4, v4
	v_mov_b32_e32 v7, 0x7fc0
	s_mov_b64 s[4:5], -1
	v_cndmask_b32_sdwa v3, v7, v3, vcc dst_sel:DWORD dst_unused:UNUSED_PAD src0_sel:DWORD src1_sel:WORD_1
	v_or_b32_e32 v3, v6, v3
	global_store_dword v[0:1], v3, off
	s_mov_b64 s[2:3], 0
	s_branch .LBB185_400
.LBB185_389:
	s_mov_b64 s[8:9], -1
	s_mov_b64 s[4:5], 0
	s_mov_b64 s[2:3], s[54:55]
	s_branch .LBB185_469
.LBB185_390:
	s_mov_b64 s[8:9], -1
	s_mov_b64 s[4:5], 0
	s_mov_b64 s[2:3], s[54:55]
	s_branch .LBB185_427
.LBB185_391:
	s_mov_b64 s[8:9], -1
	s_mov_b64 s[4:5], 0
	s_mov_b64 s[2:3], s[54:55]
	s_branch .LBB185_410
.LBB185_392:
	s_mov_b64 s[8:9], -1
	s_mov_b64 s[4:5], 0
	s_mov_b64 s[2:3], s[54:55]
	s_branch .LBB185_406
.LBB185_393:
	s_andn2_saveexec_b64 s[10:11], s[10:11]
	s_cbranch_execz .LBB185_120
.LBB185_394:
	s_mov_b32 s14, 0x42800000
	v_add_f32_e64 v6, |v3|, s14
	v_and_b32_e32 v6, 0xff, v6
	v_cmp_ne_u32_e32 vcc, 0, v6
	s_andn2_b64 s[8:9], s[8:9], exec
	s_and_b64 s[14:15], vcc, exec
	s_or_b64 s[8:9], s[8:9], s[14:15]
	s_or_b64 exec, exec, s[10:11]
	v_mov_b32_e32 v7, 0
	s_and_saveexec_b64 s[10:11], s[8:9]
	s_cbranch_execnz .LBB185_121
	s_branch .LBB185_122
.LBB185_395:
	s_mov_b64 s[6:7], -1
                                        ; implicit-def: $vgpr4
                                        ; implicit-def: $vgpr1
	s_mov_b64 s[2:3], 0
.LBB185_396:
	s_and_b64 vcc, exec, s[4:5]
	s_cbranch_vccz .LBB185_513
; %bb.397:
	s_cmp_eq_u32 s10, 44
	s_cbranch_scc0 .LBB185_511
; %bb.398:
	global_load_ubyte v1, v[2:3], off
	s_movk_i32 s4, 0xff
	v_mov_b32_e32 v5, 0x7e00
	s_mov_b64 s[2:3], -1
	s_mov_b64 s[6:7], 0
	s_waitcnt vmcnt(0)
	v_lshlrev_b32_e32 v4, 23, v1
	v_cvt_f16_f32_e32 v4, v4
	v_cmp_ne_u32_e32 vcc, s4, v1
	s_nop 1
	v_cndmask_b32_e32 v4, v5, v4, vcc
	v_cmp_ne_u32_e32 vcc, 0, v1
	s_nop 1
	v_cndmask_b32_e32 v1, 0, v4, vcc
	s_branch .LBB185_512
.LBB185_399:
	s_mov_b64 s[8:9], -1
	s_mov_b64 s[4:5], 0
	s_mov_b64 s[2:3], s[54:55]
.LBB185_400:
	s_and_b64 vcc, exec, s[8:9]
	s_cbranch_vccz .LBB185_405
; %bb.401:
	s_cmp_eq_u32 s13, 44
	s_mov_b64 s[2:3], -1
	s_cbranch_scc0 .LBB185_405
; %bb.402:
	v_cvt_f32_f16_e32 v3, v4
	s_movk_i32 s2, 0xff
	v_mov_b32_e32 v7, 0xff
	v_bfe_u32 v6, v3, 23, 8
	v_cmp_ne_u32_e32 vcc, s2, v6
	s_and_saveexec_b64 s[4:5], vcc
; %bb.403:
	s_mov_b32 s2, 0x3fffff
	v_lshrrev_b32_e32 v7, 23, v3
	v_and_b32_e32 v9, 0x400000, v3
	v_and_or_b32 v3, v3, s2, v6
	v_cmp_ne_u32_e32 vcc, 0, v9
	v_cmp_ne_u32_e64 s[2:3], 0, v3
	s_and_b64 s[2:3], vcc, s[2:3]
	s_nop 0
	v_cndmask_b32_e64 v3, 0, 1, s[2:3]
	v_add_u32_e32 v7, v7, v3
; %bb.404:
	s_or_b64 exec, exec, s[4:5]
	s_mov_b64 s[4:5], -1
	s_mov_b64 s[2:3], 0
	global_store_byte v[0:1], v7, off
.LBB185_405:
	s_mov_b64 s[8:9], 0
.LBB185_406:
	s_and_b64 vcc, exec, s[8:9]
	s_cbranch_vccz .LBB185_409
; %bb.407:
	s_cmp_eq_u32 s13, 29
	s_mov_b64 s[2:3], -1
	s_cbranch_scc0 .LBB185_409
; %bb.408:
	v_cvt_f32_f16_e32 v3, v4
	v_mov_b32_e32 v7, 0
	s_mov_b64 s[4:5], -1
	s_mov_b64 s[2:3], 0
	v_cvt_u32_f32_e32 v6, v3
	s_mov_b64 s[8:9], 0
	global_store_dwordx2 v[0:1], v[6:7], off
	s_branch .LBB185_410
.LBB185_409:
	s_mov_b64 s[8:9], 0
.LBB185_410:
	s_and_b64 vcc, exec, s[8:9]
	s_cbranch_vccz .LBB185_426
; %bb.411:
	s_cmp_lt_i32 s13, 27
	s_mov_b64 s[4:5], -1
	s_cbranch_scc1 .LBB185_417
; %bb.412:
	s_cmp_gt_i32 s13, 27
	s_cbranch_scc0 .LBB185_414
; %bb.413:
	v_cvt_f32_f16_e32 v3, v4
	s_mov_b64 s[4:5], 0
	v_cvt_u32_f32_e32 v3, v3
	global_store_dword v[0:1], v3, off
.LBB185_414:
	s_andn2_b64 vcc, exec, s[4:5]
	s_cbranch_vccnz .LBB185_416
; %bb.415:
	v_cvt_u16_f16_e32 v3, v4
	global_store_short v[0:1], v3, off
.LBB185_416:
	s_mov_b64 s[4:5], 0
.LBB185_417:
	s_andn2_b64 vcc, exec, s[4:5]
	s_cbranch_vccnz .LBB185_425
; %bb.418:
	v_cvt_f32_f16_e32 v3, v4
	s_mov_b32 s4, 0x43800000
	v_mov_b32_e32 v7, 0x80
	v_and_b32_e32 v6, 0x7fffffff, v3
	v_cmp_gt_u32_e32 vcc, s4, v6
	s_and_saveexec_b64 s[4:5], vcc
	s_cbranch_execz .LBB185_424
; %bb.419:
	s_mov_b32 s8, 0x3bffffff
	v_cmp_lt_u32_e32 vcc, s8, v6
	s_mov_b64 s[8:9], 0
                                        ; implicit-def: $vgpr6
	s_and_saveexec_b64 s[10:11], vcc
	s_xor_b64 s[10:11], exec, s[10:11]
	s_cbranch_execz .LBB185_658
; %bb.420:
	v_bfe_u32 v6, v3, 20, 1
	s_mov_b32 s14, 0x487ffff
	v_add3_u32 v6, v3, v6, s14
	s_mov_b64 s[8:9], exec
	v_lshrrev_b32_e32 v6, 20, v6
	s_andn2_saveexec_b64 s[10:11], s[10:11]
	s_cbranch_execnz .LBB185_659
.LBB185_421:
	s_or_b64 exec, exec, s[10:11]
	v_mov_b32_e32 v7, 0
	s_and_saveexec_b64 s[10:11], s[8:9]
.LBB185_422:
	v_lshrrev_b32_e32 v3, 24, v3
	s_movk_i32 s8, 0x80
	v_and_or_b32 v7, v3, s8, v6
.LBB185_423:
	s_or_b64 exec, exec, s[10:11]
.LBB185_424:
	s_or_b64 exec, exec, s[4:5]
	global_store_byte v[0:1], v7, off
.LBB185_425:
	s_mov_b64 s[4:5], -1
.LBB185_426:
	s_mov_b64 s[8:9], 0
.LBB185_427:
	s_and_b64 vcc, exec, s[8:9]
	s_cbranch_vccz .LBB185_468
; %bb.428:
	s_cmp_gt_i32 s13, 22
	s_mov_b64 s[8:9], -1
	s_cbranch_scc0 .LBB185_460
; %bb.429:
	s_cmp_lt_i32 s13, 24
	s_mov_b64 s[4:5], -1
	s_cbranch_scc1 .LBB185_449
; %bb.430:
	s_cmp_gt_i32 s13, 24
	s_cbranch_scc0 .LBB185_438
; %bb.431:
	v_cvt_f32_f16_e32 v3, v4
	s_mov_b32 s4, 0x47800000
	v_mov_b32_e32 v7, 0x80
	v_and_b32_e32 v6, 0x7fffffff, v3
	v_cmp_gt_u32_e32 vcc, s4, v6
	s_and_saveexec_b64 s[4:5], vcc
	s_cbranch_execz .LBB185_437
; %bb.432:
	s_mov_b32 s8, 0x37ffffff
	v_cmp_lt_u32_e32 vcc, s8, v6
	s_mov_b64 s[8:9], 0
                                        ; implicit-def: $vgpr6
	s_and_saveexec_b64 s[10:11], vcc
	s_xor_b64 s[10:11], exec, s[10:11]
	s_cbranch_execz .LBB185_661
; %bb.433:
	v_bfe_u32 v6, v3, 21, 1
	s_mov_b32 s14, 0x88fffff
	v_add3_u32 v6, v3, v6, s14
	s_mov_b64 s[8:9], exec
	v_lshrrev_b32_e32 v6, 21, v6
	s_andn2_saveexec_b64 s[10:11], s[10:11]
	s_cbranch_execnz .LBB185_662
.LBB185_434:
	s_or_b64 exec, exec, s[10:11]
	v_mov_b32_e32 v7, 0
	s_and_saveexec_b64 s[10:11], s[8:9]
.LBB185_435:
	v_lshrrev_b32_e32 v3, 24, v3
	s_movk_i32 s8, 0x80
	v_and_or_b32 v7, v3, s8, v6
.LBB185_436:
	s_or_b64 exec, exec, s[10:11]
.LBB185_437:
	s_or_b64 exec, exec, s[4:5]
	s_mov_b64 s[4:5], 0
	global_store_byte v[0:1], v7, off
.LBB185_438:
	s_and_b64 vcc, exec, s[4:5]
	s_cbranch_vccz .LBB185_448
; %bb.439:
	v_cvt_f32_f16_e32 v3, v4
	s_mov_b32 s4, 0x43f00000
                                        ; implicit-def: $vgpr6
	v_and_b32_e32 v7, 0x7fffffff, v3
	v_cmp_gt_u32_e32 vcc, s4, v7
	s_and_saveexec_b64 s[4:5], vcc
	s_xor_b64 s[4:5], exec, s[4:5]
	s_cbranch_execz .LBB185_445
; %bb.440:
	s_mov_b32 s8, 0x3c7fffff
	v_cmp_lt_u32_e32 vcc, s8, v7
                                        ; implicit-def: $vgpr6
	s_and_saveexec_b64 s[8:9], vcc
	s_xor_b64 s[8:9], exec, s[8:9]
; %bb.441:
	v_bfe_u32 v6, v3, 20, 1
	s_mov_b32 s10, 0x407ffff
	v_add3_u32 v6, v3, v6, s10
	v_lshrrev_b32_e32 v7, 20, v6
	v_and_b32_e32 v6, 0xff00000, v6
	s_mov_b32 s10, 0x7f00000
	v_mov_b32_e32 v9, 0x7e
	v_cmp_ne_u32_e32 vcc, s10, v6
	s_nop 1
	v_cndmask_b32_e32 v6, v9, v7, vcc
; %bb.442:
	s_andn2_saveexec_b64 s[8:9], s[8:9]
; %bb.443:
	s_mov_b32 s10, 0x46800000
	v_add_f32_e64 v6, |v3|, s10
; %bb.444:
	s_or_b64 exec, exec, s[8:9]
                                        ; implicit-def: $vgpr7
.LBB185_445:
	s_andn2_saveexec_b64 s[4:5], s[4:5]
; %bb.446:
	s_mov_b32 s8, 0x7f800000
	v_mov_b32_e32 v6, 0x7e
	v_mov_b32_e32 v9, 0x7f
	v_cmp_lt_u32_e32 vcc, s8, v7
	s_nop 1
	v_cndmask_b32_e32 v6, v6, v9, vcc
; %bb.447:
	s_or_b64 exec, exec, s[4:5]
	v_lshrrev_b32_e32 v3, 24, v3
	s_movk_i32 s4, 0x80
	v_and_or_b32 v3, v3, s4, v6
	global_store_byte v[0:1], v3, off
.LBB185_448:
	s_mov_b64 s[4:5], 0
.LBB185_449:
	s_andn2_b64 vcc, exec, s[4:5]
	s_cbranch_vccnz .LBB185_459
; %bb.450:
	v_cvt_f32_f16_e32 v3, v4
	s_mov_b32 s4, 0x47800000
                                        ; implicit-def: $vgpr6
	v_and_b32_e32 v7, 0x7fffffff, v3
	v_cmp_gt_u32_e32 vcc, s4, v7
	s_and_saveexec_b64 s[4:5], vcc
	s_xor_b64 s[4:5], exec, s[4:5]
	s_cbranch_execz .LBB185_456
; %bb.451:
	s_mov_b32 s8, 0x387fffff
	v_cmp_lt_u32_e32 vcc, s8, v7
                                        ; implicit-def: $vgpr6
	s_and_saveexec_b64 s[8:9], vcc
	s_xor_b64 s[8:9], exec, s[8:9]
; %bb.452:
	v_bfe_u32 v6, v3, 21, 1
	s_mov_b32 s10, 0x80fffff
	v_add3_u32 v6, v3, v6, s10
	v_lshrrev_b32_e32 v6, 21, v6
; %bb.453:
	s_andn2_saveexec_b64 s[8:9], s[8:9]
; %bb.454:
	s_mov_b32 s10, 0x43000000
	v_add_f32_e64 v6, |v3|, s10
; %bb.455:
	s_or_b64 exec, exec, s[8:9]
                                        ; implicit-def: $vgpr7
.LBB185_456:
	s_andn2_saveexec_b64 s[4:5], s[4:5]
; %bb.457:
	s_mov_b32 s8, 0x7f800000
	v_mov_b32_e32 v6, 0x7c
	v_mov_b32_e32 v9, 0x7f
	v_cmp_lt_u32_e32 vcc, s8, v7
	s_nop 1
	v_cndmask_b32_e32 v6, v6, v9, vcc
; %bb.458:
	s_or_b64 exec, exec, s[4:5]
	v_lshrrev_b32_e32 v3, 24, v3
	s_movk_i32 s4, 0x80
	v_and_or_b32 v3, v3, s4, v6
	global_store_byte v[0:1], v3, off
.LBB185_459:
	s_mov_b64 s[8:9], 0
	s_mov_b64 s[4:5], -1
.LBB185_460:
	s_andn2_b64 vcc, exec, s[8:9]
	s_cbranch_vccnz .LBB185_468
; %bb.461:
	s_cmp_gt_i32 s13, 14
	s_mov_b64 s[8:9], -1
	s_cbranch_scc0 .LBB185_465
; %bb.462:
	s_cmp_eq_u32 s13, 15
	s_mov_b64 s[2:3], -1
	s_cbranch_scc0 .LBB185_464
; %bb.463:
	v_cvt_f32_f16_e32 v3, v4
	s_movk_i32 s2, 0x7fff
	v_cmp_o_f16_e32 vcc, v4, v4
	v_mov_b32_e32 v6, 0x7fc0
	v_bfe_u32 v7, v3, 16, 1
	v_add3_u32 v3, v3, v7, s2
	v_cndmask_b32_sdwa v3, v6, v3, vcc dst_sel:DWORD dst_unused:UNUSED_PAD src0_sel:DWORD src1_sel:WORD_1
	global_store_short v[0:1], v3, off
	s_mov_b64 s[4:5], -1
	s_mov_b64 s[2:3], 0
.LBB185_464:
	s_mov_b64 s[8:9], 0
.LBB185_465:
	s_and_b64 vcc, exec, s[8:9]
	s_cbranch_vccz .LBB185_468
; %bb.466:
	s_cmp_eq_u32 s13, 11
	s_mov_b64 s[2:3], -1
	s_cbranch_scc0 .LBB185_468
; %bb.467:
	v_and_b32_e32 v3, 0x7fff7fff, v5
	v_cmp_ne_u32_e32 vcc, 0, v3
	s_mov_b64 s[4:5], -1
	s_mov_b64 s[2:3], 0
	v_cndmask_b32_e64 v3, 0, 1, vcc
	global_store_byte v[0:1], v3, off
.LBB185_468:
	s_mov_b64 s[8:9], 0
.LBB185_469:
	s_and_b64 vcc, exec, s[8:9]
	s_cbranch_vccz .LBB185_508
; %bb.470:
	s_and_b32 s8, 0xffff, s12
	s_cmp_lt_i32 s8, 5
	s_mov_b64 s[4:5], -1
	s_cbranch_scc1 .LBB185_491
; %bb.471:
	s_cmp_lt_i32 s8, 8
	s_cbranch_scc1 .LBB185_481
; %bb.472:
	s_cmp_lt_i32 s8, 9
	s_cbranch_scc1 .LBB185_478
; %bb.473:
	v_cvt_f32_f16_e32 v3, v2
	s_cmp_gt_i32 s8, 9
	s_cbranch_scc0 .LBB185_475
; %bb.474:
	v_cvt_f32_f16_e32 v2, v4
	v_cvt_f64_f32_e32 v[12:13], v3
	s_mov_b64 s[4:5], 0
	v_cvt_f64_f32_e32 v[10:11], v2
	global_store_dwordx4 v[0:1], v[10:13], off
.LBB185_475:
	s_andn2_b64 vcc, exec, s[4:5]
	s_cbranch_vccnz .LBB185_477
; %bb.476:
	v_cvt_f32_f16_e32 v2, v4
	global_store_dwordx2 v[0:1], v[2:3], off
.LBB185_477:
	s_mov_b64 s[4:5], 0
.LBB185_478:
	s_andn2_b64 vcc, exec, s[4:5]
	s_cbranch_vccnz .LBB185_480
; %bb.479:
	global_store_dword v[0:1], v5, off
.LBB185_480:
	s_mov_b64 s[4:5], 0
.LBB185_481:
	s_andn2_b64 vcc, exec, s[4:5]
	s_cbranch_vccnz .LBB185_490
; %bb.482:
	s_cmp_lt_i32 s8, 6
	s_mov_b64 s[4:5], -1
	s_cbranch_scc1 .LBB185_488
; %bb.483:
	s_cmp_gt_i32 s8, 6
	s_cbranch_scc0 .LBB185_485
; %bb.484:
	v_cvt_f32_f16_e32 v2, v4
	s_mov_b64 s[4:5], 0
	v_cvt_f64_f32_e32 v[2:3], v2
	global_store_dwordx2 v[0:1], v[2:3], off
.LBB185_485:
	s_andn2_b64 vcc, exec, s[4:5]
	s_cbranch_vccnz .LBB185_487
; %bb.486:
	v_cvt_f32_f16_e32 v2, v4
	global_store_dword v[0:1], v2, off
.LBB185_487:
	s_mov_b64 s[4:5], 0
.LBB185_488:
	s_andn2_b64 vcc, exec, s[4:5]
	s_cbranch_vccnz .LBB185_490
; %bb.489:
	global_store_short v[0:1], v4, off
.LBB185_490:
	s_mov_b64 s[4:5], 0
.LBB185_491:
	s_andn2_b64 vcc, exec, s[4:5]
	s_cbranch_vccnz .LBB185_507
; %bb.492:
	s_cmp_lt_i32 s8, 2
	s_mov_b64 s[4:5], -1
	s_cbranch_scc1 .LBB185_502
; %bb.493:
	s_cmp_lt_i32 s8, 3
	s_cbranch_scc1 .LBB185_499
; %bb.494:
	s_cmp_gt_i32 s8, 3
	s_cbranch_scc0 .LBB185_496
; %bb.495:
	v_cvt_f32_f16_e32 v2, v4
	s_mov_b64 s[4:5], 0
	v_cvt_i32_f32_e32 v2, v2
	v_ashrrev_i32_e32 v3, 31, v2
	global_store_dwordx2 v[0:1], v[2:3], off
.LBB185_496:
	s_andn2_b64 vcc, exec, s[4:5]
	s_cbranch_vccnz .LBB185_498
; %bb.497:
	v_cvt_f32_f16_e32 v2, v4
	v_cvt_i32_f32_e32 v2, v2
	global_store_dword v[0:1], v2, off
.LBB185_498:
	s_mov_b64 s[4:5], 0
.LBB185_499:
	s_andn2_b64 vcc, exec, s[4:5]
	s_cbranch_vccnz .LBB185_501
; %bb.500:
	v_cvt_i16_f16_e32 v2, v4
	global_store_short v[0:1], v2, off
.LBB185_501:
	s_mov_b64 s[4:5], 0
.LBB185_502:
	s_andn2_b64 vcc, exec, s[4:5]
	s_cbranch_vccnz .LBB185_507
; %bb.503:
	s_cmp_gt_i32 s8, 0
	s_mov_b64 s[4:5], -1
	s_cbranch_scc0 .LBB185_505
; %bb.504:
	v_cvt_i16_f16_e32 v2, v4
	s_mov_b64 s[4:5], 0
	global_store_byte v[0:1], v2, off
.LBB185_505:
	s_andn2_b64 vcc, exec, s[4:5]
	s_cbranch_vccnz .LBB185_507
; %bb.506:
	v_cvt_f32_f16_e32 v2, v4
	v_cvt_i32_f32_e32 v2, v2
	global_store_byte v[0:1], v2, off
.LBB185_507:
	s_mov_b64 s[4:5], -1
.LBB185_508:
	s_andn2_b64 vcc, exec, s[4:5]
	s_cbranch_vccnz .LBB185_510
; %bb.509:
	v_add_u32_e32 v8, 0x80, v8
	s_mov_b64 s[4:5], -1
	s_branch .LBB185_628
.LBB185_510:
	s_mov_b64 s[4:5], 0
	s_branch .LBB185_627
.LBB185_511:
	s_mov_b64 s[6:7], -1
                                        ; implicit-def: $vgpr1
.LBB185_512:
	v_mov_b32_e32 v4, 0
.LBB185_513:
	s_mov_b64 s[4:5], 0
.LBB185_514:
	s_and_b64 vcc, exec, s[4:5]
	s_cbranch_vccz .LBB185_519
; %bb.515:
	s_cmp_eq_u32 s10, 29
	s_cbranch_scc0 .LBB185_517
; %bb.516:
	global_load_dwordx2 v[4:5], v[2:3], off
	s_mov_b64 s[2:3], -1
	s_mov_b64 s[6:7], 0
	s_waitcnt vmcnt(0)
	v_ffbh_u32_e32 v1, v5
	v_min_u32_e32 v1, 32, v1
	v_lshlrev_b64 v[4:5], v1, v[4:5]
	v_min_u32_e32 v4, 1, v4
	v_or_b32_e32 v4, v5, v4
	v_cvt_f32_u32_e32 v4, v4
	v_sub_u32_e32 v1, 32, v1
	v_ldexp_f32 v1, v4, v1
	v_cvt_f16_f32_e32 v1, v1
	s_branch .LBB185_518
.LBB185_517:
	s_mov_b64 s[6:7], -1
                                        ; implicit-def: $vgpr1
.LBB185_518:
	v_mov_b32_e32 v4, 0
.LBB185_519:
	s_mov_b64 s[4:5], 0
.LBB185_520:
	s_and_b64 vcc, exec, s[4:5]
	s_cbranch_vccz .LBB185_538
; %bb.521:
	s_cmp_lt_i32 s10, 27
	s_cbranch_scc1 .LBB185_524
; %bb.522:
	s_cmp_gt_i32 s10, 27
	s_cbranch_scc0 .LBB185_525
; %bb.523:
	global_load_dword v1, v[2:3], off
	s_mov_b64 s[2:3], 0
	s_waitcnt vmcnt(0)
	v_cvt_f32_u32_e32 v1, v1
	v_cvt_f16_f32_e32 v1, v1
	s_branch .LBB185_526
.LBB185_524:
	s_mov_b64 s[2:3], -1
                                        ; implicit-def: $vgpr1
	s_branch .LBB185_529
.LBB185_525:
	s_mov_b64 s[2:3], -1
                                        ; implicit-def: $vgpr1
.LBB185_526:
	s_andn2_b64 vcc, exec, s[2:3]
	s_cbranch_vccnz .LBB185_528
; %bb.527:
	global_load_ushort v1, v[2:3], off
	s_waitcnt vmcnt(0)
	v_cvt_f16_u16_e32 v1, v1
.LBB185_528:
	s_mov_b64 s[2:3], 0
.LBB185_529:
	s_andn2_b64 vcc, exec, s[2:3]
	s_cbranch_vccnz .LBB185_537
; %bb.530:
	global_load_ubyte v4, v[2:3], off
	s_movk_i32 s2, 0x7f
	s_waitcnt vmcnt(0)
	v_cmp_lt_i16_e32 vcc, s2, v4
	s_mov_b64 s[2:3], 0
	s_and_saveexec_b64 s[4:5], vcc
	s_xor_b64 s[4:5], exec, s[4:5]
	s_cbranch_execz .LBB185_551
; %bb.531:
	s_movk_i32 s2, 0x80
	v_cmp_eq_u16_e32 vcc, s2, v4
	s_mov_b64 s[2:3], -1
	s_and_saveexec_b64 s[8:9], vcc
; %bb.532:
	s_xor_b64 s[2:3], exec, -1
; %bb.533:
	s_or_b64 exec, exec, s[8:9]
	s_and_b64 s[2:3], s[2:3], exec
	s_or_saveexec_b64 s[4:5], s[4:5]
	v_mov_b32_e32 v1, 0x7e00
	s_xor_b64 exec, exec, s[4:5]
	s_cbranch_execnz .LBB185_552
.LBB185_534:
	s_or_b64 exec, exec, s[4:5]
	s_and_saveexec_b64 s[4:5], s[2:3]
	s_cbranch_execz .LBB185_536
.LBB185_535:
	v_lshlrev_b32_e32 v1, 24, v4
	v_and_b32_e32 v4, 0xffff, v4
	v_and_b32_e32 v5, 7, v4
	v_ffbh_u32_e32 v7, v5
	v_min_u32_e32 v7, 32, v7
	v_subrev_u32_e32 v9, 28, v7
	v_bfe_u32 v6, v4, 3, 4
	v_lshlrev_b32_e32 v4, v9, v4
	v_sub_u32_e32 v7, 29, v7
	v_and_b32_e32 v4, 7, v4
	v_cmp_eq_u32_e32 vcc, 0, v6
	v_and_b32_e32 v1, 0x80000000, v1
	s_nop 0
	v_cndmask_b32_e32 v6, v6, v7, vcc
	v_cndmask_b32_e32 v4, v5, v4, vcc
	v_mov_b32_e32 v5, 0x3b800000
	v_lshlrev_b32_e32 v4, 20, v4
	v_lshl_add_u32 v5, v6, 23, v5
	v_or3_b32 v1, v1, v5, v4
	v_cvt_f16_f32_e32 v1, v1
.LBB185_536:
	s_or_b64 exec, exec, s[4:5]
.LBB185_537:
	s_mov_b64 s[2:3], -1
	v_mov_b32_e32 v4, 0
.LBB185_538:
	s_mov_b64 s[4:5], 0
.LBB185_539:
	s_and_b64 vcc, exec, s[4:5]
	s_cbranch_vccz .LBB185_575
; %bb.540:
	s_cmp_gt_i32 s10, 22
	s_cbranch_scc0 .LBB185_550
; %bb.541:
	s_cmp_lt_i32 s10, 24
	s_cbranch_scc1 .LBB185_553
; %bb.542:
	s_cmp_gt_i32 s10, 24
	s_cbranch_scc0 .LBB185_554
; %bb.543:
	global_load_ubyte v4, v[2:3], off
	s_movk_i32 s2, 0x7f
	s_waitcnt vmcnt(0)
	v_cmp_lt_i16_e32 vcc, s2, v4
	s_mov_b64 s[2:3], 0
	s_and_saveexec_b64 s[4:5], vcc
	s_xor_b64 s[4:5], exec, s[4:5]
	s_cbranch_execz .LBB185_566
; %bb.544:
	s_movk_i32 s2, 0x80
	v_cmp_eq_u16_e32 vcc, s2, v4
	s_mov_b64 s[2:3], -1
	s_and_saveexec_b64 s[8:9], vcc
; %bb.545:
	s_xor_b64 s[2:3], exec, -1
; %bb.546:
	s_or_b64 exec, exec, s[8:9]
	s_and_b64 s[2:3], s[2:3], exec
	s_or_saveexec_b64 s[4:5], s[4:5]
	v_mov_b32_e32 v1, 0x7e00
	s_xor_b64 exec, exec, s[4:5]
	s_cbranch_execnz .LBB185_567
.LBB185_547:
	s_or_b64 exec, exec, s[4:5]
	s_and_saveexec_b64 s[4:5], s[2:3]
	s_cbranch_execz .LBB185_549
.LBB185_548:
	v_lshlrev_b32_e32 v1, 24, v4
	v_and_b32_e32 v4, 0xffff, v4
	v_and_b32_e32 v5, 3, v4
	v_ffbh_u32_e32 v7, v5
	v_min_u32_e32 v7, 32, v7
	v_subrev_u32_e32 v9, 29, v7
	v_bfe_u32 v6, v4, 2, 5
	v_lshlrev_b32_e32 v4, v9, v4
	v_sub_u32_e32 v7, 30, v7
	v_and_b32_e32 v4, 3, v4
	v_cmp_eq_u32_e32 vcc, 0, v6
	v_and_b32_e32 v1, 0x80000000, v1
	s_nop 0
	v_cndmask_b32_e32 v6, v6, v7, vcc
	v_cndmask_b32_e32 v4, v5, v4, vcc
	v_mov_b32_e32 v5, 0x37800000
	v_lshlrev_b32_e32 v4, 21, v4
	v_lshl_add_u32 v5, v6, 23, v5
	v_or3_b32 v1, v1, v5, v4
	v_cvt_f16_f32_e32 v1, v1
.LBB185_549:
	s_or_b64 exec, exec, s[4:5]
	s_mov_b64 s[2:3], 0
	s_branch .LBB185_555
.LBB185_550:
	s_mov_b64 s[4:5], -1
                                        ; implicit-def: $vgpr1
	s_branch .LBB185_561
.LBB185_551:
	s_or_saveexec_b64 s[4:5], s[4:5]
	v_mov_b32_e32 v1, 0x7e00
	s_xor_b64 exec, exec, s[4:5]
	s_cbranch_execz .LBB185_534
.LBB185_552:
	v_cmp_ne_u16_e32 vcc, 0, v4
	s_andn2_b64 s[2:3], s[2:3], exec
	s_and_b64 s[8:9], vcc, exec
	s_or_b64 s[2:3], s[2:3], s[8:9]
	v_mov_b32_e32 v1, v4
	s_or_b64 exec, exec, s[4:5]
	s_and_saveexec_b64 s[4:5], s[2:3]
	s_cbranch_execnz .LBB185_535
	s_branch .LBB185_536
.LBB185_553:
	s_mov_b64 s[2:3], -1
                                        ; implicit-def: $vgpr1
	s_branch .LBB185_558
.LBB185_554:
	s_mov_b64 s[2:3], -1
                                        ; implicit-def: $vgpr1
.LBB185_555:
	s_and_b64 vcc, exec, s[2:3]
	s_cbranch_vccz .LBB185_557
; %bb.556:
	global_load_ubyte v1, v[2:3], off
	s_mov_b32 s2, 0x7f800000
	s_waitcnt vmcnt(0)
	v_lshlrev_b32_e32 v1, 24, v1
	v_and_b32_e32 v4, 0x7f000000, v1
	v_ffbh_u32_e32 v5, v4
	v_min_u32_e32 v5, 32, v5
	v_sub_u32_e64 v5, v5, 4 clamp
	v_lshlrev_b32_e32 v7, v5, v4
	v_lshlrev_b32_e32 v5, 23, v5
	v_lshrrev_b32_e32 v7, 4, v7
	v_add_u32_e32 v6, 0x1000000, v4
	v_sub_u32_e32 v5, v7, v5
	v_ashrrev_i32_e32 v6, 8, v6
	v_add_u32_e32 v5, 0x3c000000, v5
	v_and_or_b32 v5, v6, s2, v5
	v_cmp_ne_u32_e32 vcc, 0, v4
	s_brev_b32 s2, 1
	s_nop 0
	v_cndmask_b32_e32 v4, 0, v5, vcc
	v_and_or_b32 v1, v1, s2, v4
	v_cvt_f16_f32_e32 v1, v1
.LBB185_557:
	s_mov_b64 s[2:3], 0
.LBB185_558:
	s_andn2_b64 vcc, exec, s[2:3]
	s_cbranch_vccnz .LBB185_560
; %bb.559:
	global_load_ubyte v1, v[2:3], off
	s_movk_i32 s2, 0x7f00
	s_brev_b32 s3, 16
	s_waitcnt vmcnt(0)
	v_lshlrev_b16_e32 v4, 8, v1
	v_lshlrev_b32_e32 v1, 25, v1
	v_lshrrev_b32_e32 v5, 4, v1
	v_and_or_b32 v6, v4, s2, 0.5
	v_or_b32_e32 v5, 0x70000000, v5
	v_add_f32_e32 v6, -0.5, v6
	v_mul_f32_e32 v5, 0x7800000, v5
	v_cmp_gt_u32_e32 vcc, s3, v1
	v_bfe_i32 v4, v4, 0, 16
	s_brev_b32 s2, 1
	v_cndmask_b32_e32 v1, v5, v6, vcc
	v_and_or_b32 v1, v4, s2, v1
	v_cvt_f16_f32_e32 v1, v1
.LBB185_560:
	s_mov_b64 s[4:5], 0
	s_mov_b64 s[2:3], -1
.LBB185_561:
	s_andn2_b64 vcc, exec, s[4:5]
	s_cbranch_vccnz .LBB185_574
; %bb.562:
	s_cmp_gt_i32 s10, 14
	s_cbranch_scc0 .LBB185_565
; %bb.563:
	s_cmp_eq_u32 s10, 15
	s_cbranch_scc0 .LBB185_568
; %bb.564:
	global_load_ushort v1, v[2:3], off
	s_mov_b64 s[2:3], -1
	s_mov_b64 s[6:7], 0
	s_waitcnt vmcnt(0)
	v_lshlrev_b32_e32 v1, 16, v1
	v_cvt_f16_f32_e32 v1, v1
	s_branch .LBB185_569
.LBB185_565:
	s_mov_b64 s[4:5], -1
                                        ; implicit-def: $vgpr1
	s_branch .LBB185_570
.LBB185_566:
	s_or_saveexec_b64 s[4:5], s[4:5]
	v_mov_b32_e32 v1, 0x7e00
	s_xor_b64 exec, exec, s[4:5]
	s_cbranch_execz .LBB185_547
.LBB185_567:
	v_cmp_ne_u16_e32 vcc, 0, v4
	s_andn2_b64 s[2:3], s[2:3], exec
	s_and_b64 s[8:9], vcc, exec
	s_or_b64 s[2:3], s[2:3], s[8:9]
	v_mov_b32_e32 v1, v4
	s_or_b64 exec, exec, s[4:5]
	s_and_saveexec_b64 s[4:5], s[2:3]
	s_cbranch_execnz .LBB185_548
	s_branch .LBB185_549
.LBB185_568:
	s_mov_b64 s[6:7], -1
                                        ; implicit-def: $vgpr1
.LBB185_569:
	s_mov_b64 s[4:5], 0
.LBB185_570:
	s_and_b64 vcc, exec, s[4:5]
	s_cbranch_vccz .LBB185_574
; %bb.571:
	s_cmp_eq_u32 s10, 11
	s_cbranch_scc0 .LBB185_573
; %bb.572:
	global_load_ubyte v1, v[2:3], off
	v_mov_b32_e32 v4, 0x3c00
	s_mov_b64 s[2:3], -1
	s_mov_b64 s[6:7], 0
	s_waitcnt vmcnt(0)
	v_cmp_ne_u16_e32 vcc, 0, v1
	s_nop 1
	v_cndmask_b32_e32 v1, 0, v4, vcc
	s_branch .LBB185_574
.LBB185_573:
	s_mov_b64 s[6:7], -1
                                        ; implicit-def: $vgpr1
.LBB185_574:
	v_mov_b32_e32 v4, 0
.LBB185_575:
	s_branch .LBB185_337
.LBB185_576:
	s_cmp_lt_i32 s10, 5
	s_cbranch_scc1 .LBB185_581
; %bb.577:
	s_cmp_lt_i32 s10, 8
	s_cbranch_scc1 .LBB185_582
; %bb.578:
	;; [unrolled: 3-line block ×3, first 2 shown]
	s_cmp_gt_i32 s10, 9
	s_cbranch_scc0 .LBB185_584
; %bb.580:
	global_load_dwordx4 v[4:7], v[2:3], off
	s_movk_i32 s2, 0x1ff
	s_movk_i32 s3, 0xffe
	s_waitcnt vmcnt(1)
	v_mov_b32_e32 v1, 0x7c00
	v_mov_b32_e32 v9, 0x7e00
	s_movk_i32 s4, 0x40f
	s_mov_b32 s5, 0x8000
	s_waitcnt vmcnt(0)
	v_and_or_b32 v4, v5, s2, v4
	v_and_or_b32 v6, v7, s2, v6
	v_cmp_ne_u32_e32 vcc, 0, v4
	v_lshrrev_b32_e32 v10, 8, v5
	v_bfe_u32 v11, v5, 20, 11
	v_cndmask_b32_e64 v4, 0, 1, vcc
	v_cmp_ne_u32_e32 vcc, 0, v6
	v_lshrrev_b32_e32 v12, 8, v7
	v_bfe_u32 v13, v7, 20, 11
	v_cndmask_b32_e64 v6, 0, 1, vcc
	v_and_or_b32 v4, v10, s3, v4
	v_sub_u32_e32 v14, 0x3f1, v11
	v_add_u32_e32 v11, 0xfffffc10, v11
	v_sub_u32_e32 v15, 0x3f1, v13
	v_and_or_b32 v6, v12, s3, v6
	v_cmp_ne_u32_e32 vcc, 0, v4
	v_add_u32_e32 v13, 0xfffffc10, v13
	v_med3_i32 v10, v14, 0, 13
	v_med3_i32 v12, v15, 0, 13
	v_or_b32_e32 v14, 0x1000, v4
	v_lshl_or_b32 v15, v11, 12, v4
	v_cndmask_b32_e32 v4, v1, v9, vcc
	v_cmp_ne_u32_e32 vcc, 0, v6
	v_or_b32_e32 v16, 0x1000, v6
	v_lshl_or_b32 v17, v13, 12, v6
	v_cndmask_b32_e32 v6, v1, v9, vcc
	v_lshrrev_b32_e32 v9, v10, v14
	v_lshrrev_b32_e32 v18, v12, v16
	v_lshlrev_b32_e32 v10, v10, v9
	v_lshlrev_b32_e32 v12, v12, v18
	v_cmp_ne_u32_e32 vcc, v10, v14
	v_lshrrev_b32_e32 v5, 16, v5
	v_lshrrev_b32_e32 v7, 16, v7
	v_cndmask_b32_e64 v10, 0, 1, vcc
	v_cmp_ne_u32_e32 vcc, v12, v16
	v_or_b32_e32 v9, v9, v10
	s_mov_b64 s[2:3], 0
	v_cndmask_b32_e64 v12, 0, 1, vcc
	v_cmp_gt_i32_e32 vcc, 1, v11
	v_or_b32_e32 v10, v18, v12
	s_nop 0
	v_cndmask_b32_e32 v9, v15, v9, vcc
	v_cmp_gt_i32_e32 vcc, 1, v13
	v_and_b32_e32 v12, 7, v9
	v_lshrrev_b32_e32 v9, 2, v9
	v_cndmask_b32_e32 v10, v17, v10, vcc
	v_cmp_lt_i32_e32 vcc, 5, v12
	v_and_b32_e32 v14, 7, v10
	v_lshrrev_b32_e32 v10, 2, v10
	v_cndmask_b32_e64 v15, 0, 1, vcc
	v_cmp_eq_u32_e32 vcc, 3, v12
	s_nop 1
	v_cndmask_b32_e64 v12, 0, 1, vcc
	v_cmp_lt_i32_e32 vcc, 5, v14
	v_or_b32_e32 v12, v12, v15
	v_add_u32_e32 v9, v9, v12
	v_cndmask_b32_e64 v16, 0, 1, vcc
	v_cmp_eq_u32_e32 vcc, 3, v14
	s_nop 1
	v_cndmask_b32_e64 v14, 0, 1, vcc
	v_or_b32_e32 v14, v14, v16
	v_cmp_gt_i32_e32 vcc, 31, v11
	v_add_u32_e32 v10, v10, v14
	s_nop 0
	v_cndmask_b32_e32 v9, v1, v9, vcc
	v_cmp_gt_i32_e32 vcc, 31, v13
	s_nop 1
	v_cndmask_b32_e32 v1, v1, v10, vcc
	v_cmp_eq_u32_e32 vcc, s4, v11
	s_nop 1
	v_cndmask_b32_e32 v4, v9, v4, vcc
	v_cmp_eq_u32_e32 vcc, s4, v13
	s_nop 1
	v_cndmask_b32_e32 v6, v1, v6, vcc
	v_and_or_b32 v1, v5, s5, v4
	v_and_or_b32 v4, v7, s5, v6
	s_branch .LBB185_585
.LBB185_581:
	s_mov_b64 s[2:3], -1
                                        ; implicit-def: $vgpr4
                                        ; implicit-def: $vgpr1
	s_branch .LBB185_604
.LBB185_582:
	s_mov_b64 s[2:3], -1
                                        ; implicit-def: $vgpr4
                                        ; implicit-def: $vgpr1
	s_branch .LBB185_591
.LBB185_583:
	s_mov_b64 s[2:3], -1
                                        ; implicit-def: $vgpr4
                                        ; implicit-def: $vgpr1
	s_branch .LBB185_588
.LBB185_584:
	s_mov_b64 s[2:3], -1
                                        ; implicit-def: $vgpr4
                                        ; implicit-def: $vgpr1
.LBB185_585:
	s_andn2_b64 vcc, exec, s[2:3]
	s_cbranch_vccnz .LBB185_587
; %bb.586:
	global_load_dwordx2 v[4:5], v[2:3], off
	s_waitcnt vmcnt(0)
	v_cvt_f16_f32_e32 v1, v4
	v_cvt_f16_f32_e32 v4, v5
.LBB185_587:
	s_mov_b64 s[2:3], 0
.LBB185_588:
	s_andn2_b64 vcc, exec, s[2:3]
	s_cbranch_vccnz .LBB185_590
; %bb.589:
	global_load_dword v1, v[2:3], off
	s_waitcnt vmcnt(0)
	v_lshrrev_b32_e32 v4, 16, v1
.LBB185_590:
	s_mov_b64 s[2:3], 0
.LBB185_591:
	s_andn2_b64 vcc, exec, s[2:3]
	s_cbranch_vccnz .LBB185_603
; %bb.592:
	s_cmp_lt_i32 s10, 6
	s_cbranch_scc1 .LBB185_595
; %bb.593:
	s_cmp_gt_i32 s10, 6
	s_cbranch_scc0 .LBB185_596
; %bb.594:
	global_load_dwordx2 v[4:5], v[2:3], off
	s_movk_i32 s2, 0x1ff
	s_movk_i32 s3, 0xffe
	s_waitcnt vmcnt(1)
	v_mov_b32_e32 v1, 0x7c00
	v_mov_b32_e32 v6, 0x7e00
	s_movk_i32 s4, 0x40f
	s_mov_b32 s5, 0x8000
	s_waitcnt vmcnt(0)
	v_and_or_b32 v4, v5, s2, v4
	v_cmp_ne_u32_e32 vcc, 0, v4
	v_lshrrev_b32_e32 v7, 8, v5
	v_bfe_u32 v9, v5, 20, 11
	v_cndmask_b32_e64 v4, 0, 1, vcc
	v_sub_u32_e32 v10, 0x3f1, v9
	v_and_or_b32 v4, v7, s3, v4
	v_add_u32_e32 v9, 0xfffffc10, v9
	v_med3_i32 v7, v10, 0, 13
	v_or_b32_e32 v10, 0x1000, v4
	v_cmp_ne_u32_e32 vcc, 0, v4
	v_lshl_or_b32 v11, v9, 12, v4
	v_lshrrev_b32_e32 v5, 16, v5
	v_cndmask_b32_e32 v4, v1, v6, vcc
	v_lshrrev_b32_e32 v6, v7, v10
	v_lshlrev_b32_e32 v7, v7, v6
	v_cmp_ne_u32_e32 vcc, v7, v10
	s_mov_b64 s[2:3], 0
	s_nop 0
	v_cndmask_b32_e64 v7, 0, 1, vcc
	v_or_b32_e32 v6, v6, v7
	v_cmp_gt_i32_e32 vcc, 1, v9
	s_nop 1
	v_cndmask_b32_e32 v6, v11, v6, vcc
	v_and_b32_e32 v7, 7, v6
	v_cmp_lt_i32_e32 vcc, 5, v7
	v_lshrrev_b32_e32 v6, 2, v6
	s_nop 0
	v_cndmask_b32_e64 v10, 0, 1, vcc
	v_cmp_eq_u32_e32 vcc, 3, v7
	s_nop 1
	v_cndmask_b32_e64 v7, 0, 1, vcc
	v_or_b32_e32 v7, v7, v10
	v_add_u32_e32 v6, v6, v7
	v_cmp_gt_i32_e32 vcc, 31, v9
	s_nop 1
	v_cndmask_b32_e32 v1, v1, v6, vcc
	v_cmp_eq_u32_e32 vcc, s4, v9
	s_nop 1
	v_cndmask_b32_e32 v1, v1, v4, vcc
	v_and_or_b32 v1, v5, s5, v1
	s_branch .LBB185_597
.LBB185_595:
	s_mov_b64 s[2:3], -1
                                        ; implicit-def: $vgpr1
	s_branch .LBB185_600
.LBB185_596:
	s_mov_b64 s[2:3], -1
                                        ; implicit-def: $vgpr1
.LBB185_597:
	s_andn2_b64 vcc, exec, s[2:3]
	s_cbranch_vccnz .LBB185_599
; %bb.598:
	global_load_dword v1, v[2:3], off
	s_waitcnt vmcnt(0)
	v_cvt_f16_f32_e32 v1, v1
.LBB185_599:
	s_mov_b64 s[2:3], 0
.LBB185_600:
	s_andn2_b64 vcc, exec, s[2:3]
	s_cbranch_vccnz .LBB185_602
; %bb.601:
	global_load_ushort v1, v[2:3], off
.LBB185_602:
	v_mov_b32_e32 v4, 0
.LBB185_603:
	s_mov_b64 s[2:3], 0
.LBB185_604:
	s_andn2_b64 vcc, exec, s[2:3]
	s_cbranch_vccnz .LBB185_625
; %bb.605:
	s_cmp_lt_i32 s10, 2
	s_cbranch_scc1 .LBB185_609
; %bb.606:
	s_cmp_lt_i32 s10, 3
	s_cbranch_scc1 .LBB185_610
; %bb.607:
	s_cmp_gt_i32 s10, 3
	s_cbranch_scc0 .LBB185_611
; %bb.608:
	global_load_dwordx2 v[4:5], v[2:3], off
	s_mov_b64 s[2:3], 0
	s_waitcnt vmcnt(0)
	v_xor_b32_e32 v6, v4, v5
	v_ffbh_i32_e32 v1, v5
	v_ashrrev_i32_e32 v6, 31, v6
	v_add_u32_e32 v1, -1, v1
	v_add_u32_e32 v6, 32, v6
	v_min_u32_e32 v1, v1, v6
	v_lshlrev_b64 v[4:5], v1, v[4:5]
	v_min_u32_e32 v4, 1, v4
	v_or_b32_e32 v4, v5, v4
	v_cvt_f32_i32_e32 v4, v4
	v_sub_u32_e32 v1, 32, v1
	v_ldexp_f32 v1, v4, v1
	v_cvt_f16_f32_e32 v1, v1
	s_branch .LBB185_612
.LBB185_609:
	s_mov_b64 s[2:3], -1
                                        ; implicit-def: $vgpr1
	s_branch .LBB185_618
.LBB185_610:
	s_mov_b64 s[2:3], -1
                                        ; implicit-def: $vgpr1
	s_branch .LBB185_615
.LBB185_611:
	s_mov_b64 s[2:3], -1
                                        ; implicit-def: $vgpr1
.LBB185_612:
	s_andn2_b64 vcc, exec, s[2:3]
	s_cbranch_vccnz .LBB185_614
; %bb.613:
	global_load_dword v1, v[2:3], off
	s_waitcnt vmcnt(0)
	v_cvt_f32_i32_e32 v1, v1
	v_cvt_f16_f32_e32 v1, v1
.LBB185_614:
	s_mov_b64 s[2:3], 0
.LBB185_615:
	s_andn2_b64 vcc, exec, s[2:3]
	s_cbranch_vccnz .LBB185_617
; %bb.616:
	global_load_ushort v1, v[2:3], off
	s_waitcnt vmcnt(0)
	v_cvt_f16_i16_e32 v1, v1
.LBB185_617:
	s_mov_b64 s[2:3], 0
.LBB185_618:
	s_andn2_b64 vcc, exec, s[2:3]
	s_cbranch_vccnz .LBB185_624
; %bb.619:
	s_cmp_gt_i32 s10, 0
	s_cbranch_scc0 .LBB185_621
; %bb.620:
	global_load_sbyte v1, v[2:3], off
	s_mov_b64 s[2:3], 0
	s_waitcnt vmcnt(0)
	v_cvt_f16_i16_e32 v1, v1
	s_branch .LBB185_622
.LBB185_621:
	s_mov_b64 s[2:3], -1
                                        ; implicit-def: $vgpr1
.LBB185_622:
	s_andn2_b64 vcc, exec, s[2:3]
	s_cbranch_vccnz .LBB185_624
; %bb.623:
	global_load_ubyte v1, v[2:3], off
	s_waitcnt vmcnt(0)
	v_cvt_f16_u16_e32 v1, v1
.LBB185_624:
	v_mov_b32_e32 v4, 0
.LBB185_625:
	s_branch .LBB185_338
.LBB185_626:
	s_mov_b64 s[4:5], 0
	s_mov_b64 s[2:3], s[54:55]
.LBB185_627:
                                        ; implicit-def: $vgpr8
.LBB185_628:
	s_andn2_b64 s[8:9], s[54:55], exec
	s_and_b64 s[2:3], s[2:3], exec
	s_or_b64 s[62:63], s[8:9], s[2:3]
	s_andn2_b64 s[2:3], s[56:57], exec
	s_and_b64 s[6:7], s[6:7], exec
	s_or_b64 s[60:61], s[2:3], s[6:7]
	s_orn2_b64 s[2:3], s[4:5], exec
.LBB185_629:
	s_or_b64 exec, exec, s[64:65]
	s_mov_b64 s[4:5], 0
	s_mov_b64 s[6:7], 0
	;; [unrolled: 1-line block ×3, first 2 shown]
                                        ; implicit-def: $vgpr2_vgpr3
                                        ; implicit-def: $vgpr0
                                        ; implicit-def: $vgpr6
                                        ; implicit-def: $vgpr1
	s_and_saveexec_b64 s[64:65], s[2:3]
	s_cbranch_execz .LBB185_1052
; %bb.630:
	v_cmp_gt_i32_e32 vcc, s70, v8
	s_mov_b64 s[6:7], -1
	s_mov_b64 s[2:3], s[60:61]
	s_mov_b64 s[68:69], s[62:63]
	s_and_saveexec_b64 s[66:67], vcc
	s_cbranch_execz .LBB185_948
; %bb.631:
	s_andn2_b64 vcc, exec, s[42:43]
	s_cbranch_vccnz .LBB185_637
; %bb.632:
	s_andn2_b64 vcc, exec, s[52:53]
	s_cbranch_vccnz .LBB185_638
; %bb.633:
	s_add_i32 s76, s75, 1
	s_cmp_eq_u32 s72, 2
	s_cbranch_scc1 .LBB185_639
; %bb.634:
	s_and_b32 s71, s76, 28
	s_mov_b32 s77, 0
	v_mov_b32_e32 v0, 0
	v_mov_b32_e32 v2, 0
	s_mov_b64 s[2:3], s[34:35]
	s_mov_b64 s[68:69], s[50:51]
	v_mov_b32_e32 v4, v8
.LBB185_635:                            ; =>This Inner Loop Header: Depth=1
	s_load_dwordx8 s[12:19], s[2:3], 0x4
	s_load_dwordx4 s[36:39], s[2:3], 0x24
	s_load_dwordx8 s[4:11], s[68:69], 0x0
	s_add_u32 s2, s2, 48
	s_addc_u32 s3, s3, 0
	s_waitcnt vmcnt(0) lgkmcnt(0)
	v_mul_hi_u32 v1, s13, v4
	v_add_u32_e32 v1, v4, v1
	v_lshrrev_b32_e32 v1, s14, v1
	v_mul_lo_u32 v3, v1, s12
	v_mul_hi_u32 v5, s16, v1
	v_sub_u32_e32 v3, v4, v3
	v_add_u32_e32 v4, v1, v5
	v_lshrrev_b32_e32 v4, s17, v4
	v_mul_lo_u32 v6, v4, s15
	v_mul_hi_u32 v7, s19, v4
	v_sub_u32_e32 v1, v1, v6
	v_add_u32_e32 v6, v4, v7
	v_mul_lo_u32 v5, v3, s5
	v_mul_lo_u32 v3, v3, s4
	;; [unrolled: 1-line block ×4, first 2 shown]
	v_lshrrev_b32_e32 v6, s36, v6
	v_add3_u32 v0, v3, v0, v1
	v_mul_hi_u32 v3, s38, v6
	v_add3_u32 v1, v5, v2, v7
	v_mul_lo_u32 v2, v6, s18
	v_add_u32_e32 v3, v6, v3
	v_sub_u32_e32 v2, v4, v2
	v_lshrrev_b32_e32 v4, s39, v3
	s_add_i32 s77, s77, 4
	v_mul_lo_u32 v3, v4, s37
	s_add_u32 s68, s68, 32
	v_sub_u32_e32 v3, v6, v3
	s_addc_u32 s69, s69, 0
	v_mul_lo_u32 v5, v2, s8
	v_mul_lo_u32 v2, v2, s9
	;; [unrolled: 1-line block ×4, first 2 shown]
	s_cmp_eq_u32 s71, s77
	v_add3_u32 v2, v2, v1, v3
	v_add3_u32 v0, v5, v0, v6
	s_cbranch_scc0 .LBB185_635
; %bb.636:
	v_mov_b32_e32 v1, v2
	s_branch .LBB185_640
.LBB185_637:
	s_mov_b64 s[2:3], -1
                                        ; implicit-def: $vgpr2
                                        ; implicit-def: $vgpr0
	s_branch .LBB185_644
.LBB185_638:
	v_mov_b32_e32 v2, 0
	v_mov_b32_e32 v0, 0
	s_branch .LBB185_643
.LBB185_639:
	v_mov_b32_e32 v0, 0
	s_mov_b32 s71, 0
	s_waitcnt vmcnt(0)
	v_mov_b32_e32 v1, v0
                                        ; implicit-def: $vgpr2
	v_mov_b32_e32 v4, v8
.LBB185_640:
	s_and_b32 s6, s76, 3
	s_cmp_eq_u32 s6, 0
	s_cbranch_scc1 .LBB185_643
; %bb.641:
	s_lshl_b32 s2, s71, 3
	s_add_u32 s2, s34, s2
	s_addc_u32 s3, s35, 0
	s_add_u32 s2, s2, 0xc4
	s_addc_u32 s3, s3, 0
	s_mul_i32 s4, s71, 12
	s_add_u32 s4, s34, s4
	s_addc_u32 s5, s35, 0
.LBB185_642:                            ; =>This Inner Loop Header: Depth=1
	s_load_dwordx2 s[8:9], s[4:5], 0x4
	s_load_dword s7, s[4:5], 0xc
	s_load_dwordx2 s[10:11], s[2:3], 0x0
	v_mov_b32_e32 v2, v1
	s_add_u32 s4, s4, 12
	s_waitcnt lgkmcnt(0)
	v_mul_hi_u32 v1, s9, v4
	v_add_u32_e32 v1, v4, v1
	v_lshrrev_b32_e32 v1, s7, v1
	s_addc_u32 s5, s5, 0
	v_mul_lo_u32 v3, v1, s8
	s_add_u32 s2, s2, 8
	v_sub_u32_e32 v5, v4, v3
	s_addc_u32 s3, s3, 0
	s_add_i32 s6, s6, -1
	v_mov_b32_e32 v4, v1
	v_mad_u64_u32 v[2:3], s[8:9], v5, s11, v[2:3]
	v_mad_u64_u32 v[0:1], s[8:9], v5, s10, v[0:1]
	s_cmp_lg_u32 s6, 0
	v_mov_b32_e32 v1, v2
	s_cbranch_scc1 .LBB185_642
.LBB185_643:
	s_mov_b64 s[2:3], 0
.LBB185_644:
	s_andn2_b64 vcc, exec, s[2:3]
	s_cbranch_vccnz .LBB185_647
; %bb.645:
	s_waitcnt lgkmcnt(0)
	v_mul_hi_u32 v0, s29, v8
	v_add_u32_e32 v0, v8, v0
	s_waitcnt vmcnt(0)
	v_lshrrev_b32_e32 v1, s30, v0
	v_mul_lo_u32 v0, v1, s28
	v_sub_u32_e32 v0, v8, v0
	v_mul_lo_u32 v2, v0, s25
	s_andn2_b64 vcc, exec, s[48:49]
	v_mul_lo_u32 v0, v0, s24
	s_cbranch_vccnz .LBB185_647
; %bb.646:
	v_mul_hi_u32 v3, s46, v1
	v_add_u32_e32 v3, v1, v3
	v_lshrrev_b32_e32 v3, s47, v3
	v_mul_lo_u32 v3, v3, s31
	v_sub_u32_e32 v3, v1, v3
	v_mad_u64_u32 v[0:1], s[2:3], v3, s26, v[0:1]
	v_mad_u64_u32 v[2:3], s[2:3], v3, s27, v[2:3]
.LBB185_647:
	v_mov_b32_e32 v3, 0
	s_and_b32 s10, 0xffff, s74
	s_cmp_lt_i32 s10, 11
	s_waitcnt lgkmcnt(0)
	v_lshl_add_u64 v[2:3], s[22:23], 0, v[2:3]
	s_cbranch_scc1 .LBB185_654
; %bb.648:
	s_cmp_gt_i32 s10, 25
	s_cbranch_scc0 .LBB185_655
; %bb.649:
	s_cmp_gt_i32 s10, 28
	s_cbranch_scc0 .LBB185_656
	;; [unrolled: 3-line block ×4, first 2 shown]
; %bb.652:
	s_cmp_eq_u32 s10, 46
	s_mov_b64 s[4:5], 0
	s_cbranch_scc0 .LBB185_663
; %bb.653:
	global_load_dword v1, v[2:3], off
	s_mov_b64 s[2:3], -1
	s_mov_b64 s[6:7], 0
	s_waitcnt vmcnt(0)
	v_and_b32_e32 v4, 0xffff0000, v1
	v_lshlrev_b32_e32 v1, 16, v1
	v_cvt_f16_f32_e32 v1, v1
	v_cvt_f16_f32_e32 v4, v4
	s_branch .LBB185_664
.LBB185_654:
	s_mov_b64 s[4:5], -1
	s_mov_b64 s[2:3], 0
                                        ; implicit-def: $vgpr4
                                        ; implicit-def: $vgpr1
	s_mov_b64 s[6:7], s[60:61]
	s_branch .LBB185_732
.LBB185_655:
	s_mov_b64 s[4:5], -1
	s_mov_b64 s[2:3], 0
	s_mov_b64 s[6:7], s[60:61]
                                        ; implicit-def: $vgpr4
                                        ; implicit-def: $vgpr1
	s_branch .LBB185_695
.LBB185_656:
	s_mov_b64 s[4:5], -1
	s_mov_b64 s[2:3], 0
	s_mov_b64 s[6:7], s[60:61]
                                        ; implicit-def: $vgpr4
                                        ; implicit-def: $vgpr1
	s_branch .LBB185_676
.LBB185_657:
	s_mov_b64 s[4:5], -1
	s_mov_b64 s[2:3], 0
	s_mov_b64 s[6:7], s[60:61]
                                        ; implicit-def: $vgpr4
                                        ; implicit-def: $vgpr1
	s_branch .LBB185_670
.LBB185_658:
	s_andn2_saveexec_b64 s[10:11], s[10:11]
	s_cbranch_execz .LBB185_421
.LBB185_659:
	s_mov_b32 s14, 0x46000000
	v_add_f32_e64 v6, |v3|, s14
	v_and_b32_e32 v6, 0xff, v6
	v_cmp_ne_u32_e32 vcc, 0, v6
	s_andn2_b64 s[8:9], s[8:9], exec
	s_and_b64 s[14:15], vcc, exec
	s_or_b64 s[8:9], s[8:9], s[14:15]
	s_or_b64 exec, exec, s[10:11]
	v_mov_b32_e32 v7, 0
	s_and_saveexec_b64 s[10:11], s[8:9]
	s_cbranch_execnz .LBB185_422
	s_branch .LBB185_423
.LBB185_660:
	s_mov_b64 s[4:5], -1
	s_mov_b64 s[2:3], 0
	s_mov_b64 s[6:7], s[60:61]
                                        ; implicit-def: $vgpr4
                                        ; implicit-def: $vgpr1
	s_branch .LBB185_664
.LBB185_661:
	s_andn2_saveexec_b64 s[10:11], s[10:11]
	s_cbranch_execz .LBB185_434
.LBB185_662:
	s_mov_b32 s14, 0x42800000
	v_add_f32_e64 v6, |v3|, s14
	v_and_b32_e32 v6, 0xff, v6
	v_cmp_ne_u32_e32 vcc, 0, v6
	s_andn2_b64 s[8:9], s[8:9], exec
	s_and_b64 s[14:15], vcc, exec
	s_or_b64 s[8:9], s[8:9], s[14:15]
	s_or_b64 exec, exec, s[10:11]
	v_mov_b32_e32 v7, 0
	s_and_saveexec_b64 s[10:11], s[8:9]
	s_cbranch_execnz .LBB185_435
	s_branch .LBB185_436
.LBB185_663:
	s_mov_b64 s[6:7], -1
                                        ; implicit-def: $vgpr4
                                        ; implicit-def: $vgpr1
	s_mov_b64 s[2:3], 0
.LBB185_664:
	s_and_b64 vcc, exec, s[4:5]
	s_cbranch_vccz .LBB185_669
; %bb.665:
	s_cmp_eq_u32 s10, 44
	s_cbranch_scc0 .LBB185_667
; %bb.666:
	global_load_ubyte v1, v[2:3], off
	s_movk_i32 s4, 0xff
	v_mov_b32_e32 v5, 0x7e00
	s_mov_b64 s[2:3], -1
	s_mov_b64 s[6:7], 0
	s_waitcnt vmcnt(0)
	v_lshlrev_b32_e32 v4, 23, v1
	v_cvt_f16_f32_e32 v4, v4
	v_cmp_ne_u32_e32 vcc, s4, v1
	s_nop 1
	v_cndmask_b32_e32 v4, v5, v4, vcc
	v_cmp_ne_u32_e32 vcc, 0, v1
	s_nop 1
	v_cndmask_b32_e32 v1, 0, v4, vcc
	s_branch .LBB185_668
.LBB185_667:
	s_mov_b64 s[6:7], -1
                                        ; implicit-def: $vgpr1
.LBB185_668:
	v_mov_b32_e32 v4, 0
.LBB185_669:
	s_mov_b64 s[4:5], 0
.LBB185_670:
	s_and_b64 vcc, exec, s[4:5]
	s_cbranch_vccz .LBB185_675
; %bb.671:
	s_cmp_eq_u32 s10, 29
	s_cbranch_scc0 .LBB185_673
; %bb.672:
	global_load_dwordx2 v[4:5], v[2:3], off
	s_mov_b64 s[2:3], -1
	s_mov_b64 s[6:7], 0
	s_waitcnt vmcnt(0)
	v_ffbh_u32_e32 v1, v5
	v_min_u32_e32 v1, 32, v1
	v_lshlrev_b64 v[4:5], v1, v[4:5]
	v_min_u32_e32 v4, 1, v4
	v_or_b32_e32 v4, v5, v4
	v_cvt_f32_u32_e32 v4, v4
	v_sub_u32_e32 v1, 32, v1
	v_ldexp_f32 v1, v4, v1
	v_cvt_f16_f32_e32 v1, v1
	s_branch .LBB185_674
.LBB185_673:
	s_mov_b64 s[6:7], -1
                                        ; implicit-def: $vgpr1
.LBB185_674:
	v_mov_b32_e32 v4, 0
.LBB185_675:
	s_mov_b64 s[4:5], 0
.LBB185_676:
	s_and_b64 vcc, exec, s[4:5]
	s_cbranch_vccz .LBB185_694
; %bb.677:
	s_cmp_lt_i32 s10, 27
	s_cbranch_scc1 .LBB185_680
; %bb.678:
	s_cmp_gt_i32 s10, 27
	s_cbranch_scc0 .LBB185_681
; %bb.679:
	global_load_dword v1, v[2:3], off
	s_mov_b64 s[2:3], 0
	s_waitcnt vmcnt(0)
	v_cvt_f32_u32_e32 v1, v1
	v_cvt_f16_f32_e32 v1, v1
	s_branch .LBB185_682
.LBB185_680:
	s_mov_b64 s[2:3], -1
                                        ; implicit-def: $vgpr1
	s_branch .LBB185_685
.LBB185_681:
	s_mov_b64 s[2:3], -1
                                        ; implicit-def: $vgpr1
.LBB185_682:
	s_andn2_b64 vcc, exec, s[2:3]
	s_cbranch_vccnz .LBB185_684
; %bb.683:
	global_load_ushort v1, v[2:3], off
	s_waitcnt vmcnt(0)
	v_cvt_f16_u16_e32 v1, v1
.LBB185_684:
	s_mov_b64 s[2:3], 0
.LBB185_685:
	s_andn2_b64 vcc, exec, s[2:3]
	s_cbranch_vccnz .LBB185_693
; %bb.686:
	global_load_ubyte v4, v[2:3], off
	s_movk_i32 s2, 0x7f
	s_waitcnt vmcnt(0)
	v_cmp_lt_i16_e32 vcc, s2, v4
	s_mov_b64 s[2:3], 0
	s_and_saveexec_b64 s[4:5], vcc
	s_xor_b64 s[4:5], exec, s[4:5]
	s_cbranch_execz .LBB185_707
; %bb.687:
	s_movk_i32 s2, 0x80
	v_cmp_eq_u16_e32 vcc, s2, v4
	s_mov_b64 s[2:3], -1
	s_and_saveexec_b64 s[8:9], vcc
; %bb.688:
	s_xor_b64 s[2:3], exec, -1
; %bb.689:
	s_or_b64 exec, exec, s[8:9]
	s_and_b64 s[2:3], s[2:3], exec
	s_or_saveexec_b64 s[4:5], s[4:5]
	v_mov_b32_e32 v1, 0x7e00
	s_xor_b64 exec, exec, s[4:5]
	s_cbranch_execnz .LBB185_708
.LBB185_690:
	s_or_b64 exec, exec, s[4:5]
	s_and_saveexec_b64 s[4:5], s[2:3]
	s_cbranch_execz .LBB185_692
.LBB185_691:
	v_lshlrev_b32_e32 v1, 24, v4
	v_and_b32_e32 v4, 0xffff, v4
	v_and_b32_e32 v5, 7, v4
	v_ffbh_u32_e32 v7, v5
	v_min_u32_e32 v7, 32, v7
	v_subrev_u32_e32 v9, 28, v7
	v_bfe_u32 v6, v4, 3, 4
	v_lshlrev_b32_e32 v4, v9, v4
	v_sub_u32_e32 v7, 29, v7
	v_and_b32_e32 v4, 7, v4
	v_cmp_eq_u32_e32 vcc, 0, v6
	v_and_b32_e32 v1, 0x80000000, v1
	s_nop 0
	v_cndmask_b32_e32 v6, v6, v7, vcc
	v_cndmask_b32_e32 v4, v5, v4, vcc
	v_mov_b32_e32 v5, 0x3b800000
	v_lshlrev_b32_e32 v4, 20, v4
	v_lshl_add_u32 v5, v6, 23, v5
	v_or3_b32 v1, v1, v5, v4
	v_cvt_f16_f32_e32 v1, v1
.LBB185_692:
	s_or_b64 exec, exec, s[4:5]
.LBB185_693:
	s_mov_b64 s[2:3], -1
	v_mov_b32_e32 v4, 0
.LBB185_694:
	s_mov_b64 s[4:5], 0
.LBB185_695:
	s_and_b64 vcc, exec, s[4:5]
	s_cbranch_vccz .LBB185_731
; %bb.696:
	s_cmp_gt_i32 s10, 22
	s_cbranch_scc0 .LBB185_706
; %bb.697:
	s_cmp_lt_i32 s10, 24
	s_cbranch_scc1 .LBB185_709
; %bb.698:
	s_cmp_gt_i32 s10, 24
	s_cbranch_scc0 .LBB185_710
; %bb.699:
	global_load_ubyte v4, v[2:3], off
	s_movk_i32 s2, 0x7f
	s_waitcnt vmcnt(0)
	v_cmp_lt_i16_e32 vcc, s2, v4
	s_mov_b64 s[2:3], 0
	s_and_saveexec_b64 s[4:5], vcc
	s_xor_b64 s[4:5], exec, s[4:5]
	s_cbranch_execz .LBB185_722
; %bb.700:
	s_movk_i32 s2, 0x80
	v_cmp_eq_u16_e32 vcc, s2, v4
	s_mov_b64 s[2:3], -1
	s_and_saveexec_b64 s[8:9], vcc
; %bb.701:
	s_xor_b64 s[2:3], exec, -1
; %bb.702:
	s_or_b64 exec, exec, s[8:9]
	s_and_b64 s[2:3], s[2:3], exec
	s_or_saveexec_b64 s[4:5], s[4:5]
	v_mov_b32_e32 v1, 0x7e00
	s_xor_b64 exec, exec, s[4:5]
	s_cbranch_execnz .LBB185_723
.LBB185_703:
	s_or_b64 exec, exec, s[4:5]
	s_and_saveexec_b64 s[4:5], s[2:3]
	s_cbranch_execz .LBB185_705
.LBB185_704:
	v_lshlrev_b32_e32 v1, 24, v4
	v_and_b32_e32 v4, 0xffff, v4
	v_and_b32_e32 v5, 3, v4
	v_ffbh_u32_e32 v7, v5
	v_min_u32_e32 v7, 32, v7
	v_subrev_u32_e32 v9, 29, v7
	v_bfe_u32 v6, v4, 2, 5
	v_lshlrev_b32_e32 v4, v9, v4
	v_sub_u32_e32 v7, 30, v7
	v_and_b32_e32 v4, 3, v4
	v_cmp_eq_u32_e32 vcc, 0, v6
	v_and_b32_e32 v1, 0x80000000, v1
	s_nop 0
	v_cndmask_b32_e32 v6, v6, v7, vcc
	v_cndmask_b32_e32 v4, v5, v4, vcc
	v_mov_b32_e32 v5, 0x37800000
	v_lshlrev_b32_e32 v4, 21, v4
	v_lshl_add_u32 v5, v6, 23, v5
	v_or3_b32 v1, v1, v5, v4
	v_cvt_f16_f32_e32 v1, v1
.LBB185_705:
	s_or_b64 exec, exec, s[4:5]
	s_mov_b64 s[2:3], 0
	s_branch .LBB185_711
.LBB185_706:
	s_mov_b64 s[4:5], -1
                                        ; implicit-def: $vgpr1
	s_branch .LBB185_717
.LBB185_707:
	s_or_saveexec_b64 s[4:5], s[4:5]
	v_mov_b32_e32 v1, 0x7e00
	s_xor_b64 exec, exec, s[4:5]
	s_cbranch_execz .LBB185_690
.LBB185_708:
	v_cmp_ne_u16_e32 vcc, 0, v4
	s_andn2_b64 s[2:3], s[2:3], exec
	s_and_b64 s[8:9], vcc, exec
	s_or_b64 s[2:3], s[2:3], s[8:9]
	v_mov_b32_e32 v1, v4
	s_or_b64 exec, exec, s[4:5]
	s_and_saveexec_b64 s[4:5], s[2:3]
	s_cbranch_execnz .LBB185_691
	s_branch .LBB185_692
.LBB185_709:
	s_mov_b64 s[2:3], -1
                                        ; implicit-def: $vgpr1
	s_branch .LBB185_714
.LBB185_710:
	s_mov_b64 s[2:3], -1
                                        ; implicit-def: $vgpr1
.LBB185_711:
	s_and_b64 vcc, exec, s[2:3]
	s_cbranch_vccz .LBB185_713
; %bb.712:
	global_load_ubyte v1, v[2:3], off
	s_mov_b32 s2, 0x7f800000
	s_waitcnt vmcnt(0)
	v_lshlrev_b32_e32 v1, 24, v1
	v_and_b32_e32 v4, 0x7f000000, v1
	v_ffbh_u32_e32 v5, v4
	v_min_u32_e32 v5, 32, v5
	v_sub_u32_e64 v5, v5, 4 clamp
	v_lshlrev_b32_e32 v7, v5, v4
	v_lshlrev_b32_e32 v5, 23, v5
	v_lshrrev_b32_e32 v7, 4, v7
	v_add_u32_e32 v6, 0x1000000, v4
	v_sub_u32_e32 v5, v7, v5
	v_ashrrev_i32_e32 v6, 8, v6
	v_add_u32_e32 v5, 0x3c000000, v5
	v_and_or_b32 v5, v6, s2, v5
	v_cmp_ne_u32_e32 vcc, 0, v4
	s_brev_b32 s2, 1
	s_nop 0
	v_cndmask_b32_e32 v4, 0, v5, vcc
	v_and_or_b32 v1, v1, s2, v4
	v_cvt_f16_f32_e32 v1, v1
.LBB185_713:
	s_mov_b64 s[2:3], 0
.LBB185_714:
	s_andn2_b64 vcc, exec, s[2:3]
	s_cbranch_vccnz .LBB185_716
; %bb.715:
	global_load_ubyte v1, v[2:3], off
	s_movk_i32 s2, 0x7f00
	s_brev_b32 s3, 16
	s_waitcnt vmcnt(0)
	v_lshlrev_b16_e32 v4, 8, v1
	v_lshlrev_b32_e32 v1, 25, v1
	v_lshrrev_b32_e32 v5, 4, v1
	v_and_or_b32 v6, v4, s2, 0.5
	v_or_b32_e32 v5, 0x70000000, v5
	v_add_f32_e32 v6, -0.5, v6
	v_mul_f32_e32 v5, 0x7800000, v5
	v_cmp_gt_u32_e32 vcc, s3, v1
	v_bfe_i32 v4, v4, 0, 16
	s_brev_b32 s2, 1
	v_cndmask_b32_e32 v1, v5, v6, vcc
	v_and_or_b32 v1, v4, s2, v1
	v_cvt_f16_f32_e32 v1, v1
.LBB185_716:
	s_mov_b64 s[4:5], 0
	s_mov_b64 s[2:3], -1
.LBB185_717:
	s_andn2_b64 vcc, exec, s[4:5]
	s_cbranch_vccnz .LBB185_730
; %bb.718:
	s_cmp_gt_i32 s10, 14
	s_cbranch_scc0 .LBB185_721
; %bb.719:
	s_cmp_eq_u32 s10, 15
	s_cbranch_scc0 .LBB185_724
; %bb.720:
	global_load_ushort v1, v[2:3], off
	s_mov_b64 s[2:3], -1
	s_mov_b64 s[6:7], 0
	s_waitcnt vmcnt(0)
	v_lshlrev_b32_e32 v1, 16, v1
	v_cvt_f16_f32_e32 v1, v1
	s_branch .LBB185_725
.LBB185_721:
	s_mov_b64 s[4:5], -1
                                        ; implicit-def: $vgpr1
	s_branch .LBB185_726
.LBB185_722:
	s_or_saveexec_b64 s[4:5], s[4:5]
	v_mov_b32_e32 v1, 0x7e00
	s_xor_b64 exec, exec, s[4:5]
	s_cbranch_execz .LBB185_703
.LBB185_723:
	v_cmp_ne_u16_e32 vcc, 0, v4
	s_andn2_b64 s[2:3], s[2:3], exec
	s_and_b64 s[8:9], vcc, exec
	s_or_b64 s[2:3], s[2:3], s[8:9]
	v_mov_b32_e32 v1, v4
	s_or_b64 exec, exec, s[4:5]
	s_and_saveexec_b64 s[4:5], s[2:3]
	s_cbranch_execnz .LBB185_704
	s_branch .LBB185_705
.LBB185_724:
	s_mov_b64 s[6:7], -1
                                        ; implicit-def: $vgpr1
.LBB185_725:
	s_mov_b64 s[4:5], 0
.LBB185_726:
	s_and_b64 vcc, exec, s[4:5]
	s_cbranch_vccz .LBB185_730
; %bb.727:
	s_cmp_eq_u32 s10, 11
	s_cbranch_scc0 .LBB185_729
; %bb.728:
	global_load_ubyte v1, v[2:3], off
	v_mov_b32_e32 v4, 0x3c00
	s_mov_b64 s[2:3], -1
	s_mov_b64 s[6:7], 0
	s_waitcnt vmcnt(0)
	v_cmp_ne_u16_e32 vcc, 0, v1
	s_nop 1
	v_cndmask_b32_e32 v1, 0, v4, vcc
	s_branch .LBB185_730
.LBB185_729:
	s_mov_b64 s[6:7], -1
                                        ; implicit-def: $vgpr1
.LBB185_730:
	v_mov_b32_e32 v4, 0
.LBB185_731:
	s_mov_b64 s[4:5], 0
.LBB185_732:
	s_and_b64 vcc, exec, s[4:5]
	s_cbranch_vccz .LBB185_783
; %bb.733:
	s_cmp_lt_i32 s10, 5
	s_cbranch_scc1 .LBB185_738
; %bb.734:
	s_cmp_lt_i32 s10, 8
	s_cbranch_scc1 .LBB185_739
	;; [unrolled: 3-line block ×3, first 2 shown]
; %bb.736:
	s_cmp_gt_i32 s10, 9
	s_cbranch_scc0 .LBB185_741
; %bb.737:
	global_load_dwordx4 v[4:7], v[2:3], off
	s_movk_i32 s2, 0x1ff
	s_movk_i32 s3, 0xffe
	s_waitcnt vmcnt(1)
	v_mov_b32_e32 v1, 0x7c00
	v_mov_b32_e32 v9, 0x7e00
	s_movk_i32 s4, 0x40f
	s_mov_b32 s5, 0x8000
	s_waitcnt vmcnt(0)
	v_and_or_b32 v4, v5, s2, v4
	v_and_or_b32 v6, v7, s2, v6
	v_cmp_ne_u32_e32 vcc, 0, v4
	v_lshrrev_b32_e32 v10, 8, v5
	v_bfe_u32 v11, v5, 20, 11
	v_cndmask_b32_e64 v4, 0, 1, vcc
	v_cmp_ne_u32_e32 vcc, 0, v6
	v_lshrrev_b32_e32 v12, 8, v7
	v_bfe_u32 v13, v7, 20, 11
	v_cndmask_b32_e64 v6, 0, 1, vcc
	v_and_or_b32 v4, v10, s3, v4
	v_sub_u32_e32 v14, 0x3f1, v11
	v_add_u32_e32 v11, 0xfffffc10, v11
	v_sub_u32_e32 v15, 0x3f1, v13
	v_and_or_b32 v6, v12, s3, v6
	v_cmp_ne_u32_e32 vcc, 0, v4
	v_add_u32_e32 v13, 0xfffffc10, v13
	v_med3_i32 v10, v14, 0, 13
	v_med3_i32 v12, v15, 0, 13
	v_or_b32_e32 v14, 0x1000, v4
	v_lshl_or_b32 v15, v11, 12, v4
	v_cndmask_b32_e32 v4, v1, v9, vcc
	v_cmp_ne_u32_e32 vcc, 0, v6
	v_or_b32_e32 v16, 0x1000, v6
	v_lshl_or_b32 v17, v13, 12, v6
	v_cndmask_b32_e32 v6, v1, v9, vcc
	v_lshrrev_b32_e32 v9, v10, v14
	v_lshrrev_b32_e32 v18, v12, v16
	v_lshlrev_b32_e32 v10, v10, v9
	v_lshlrev_b32_e32 v12, v12, v18
	v_cmp_ne_u32_e32 vcc, v10, v14
	v_lshrrev_b32_e32 v5, 16, v5
	v_lshrrev_b32_e32 v7, 16, v7
	v_cndmask_b32_e64 v10, 0, 1, vcc
	v_cmp_ne_u32_e32 vcc, v12, v16
	v_or_b32_e32 v9, v9, v10
	s_mov_b64 s[2:3], 0
	v_cndmask_b32_e64 v12, 0, 1, vcc
	v_cmp_gt_i32_e32 vcc, 1, v11
	v_or_b32_e32 v10, v18, v12
	s_nop 0
	v_cndmask_b32_e32 v9, v15, v9, vcc
	v_cmp_gt_i32_e32 vcc, 1, v13
	v_and_b32_e32 v12, 7, v9
	v_lshrrev_b32_e32 v9, 2, v9
	v_cndmask_b32_e32 v10, v17, v10, vcc
	v_cmp_lt_i32_e32 vcc, 5, v12
	v_and_b32_e32 v14, 7, v10
	v_lshrrev_b32_e32 v10, 2, v10
	v_cndmask_b32_e64 v15, 0, 1, vcc
	v_cmp_eq_u32_e32 vcc, 3, v12
	s_nop 1
	v_cndmask_b32_e64 v12, 0, 1, vcc
	v_cmp_lt_i32_e32 vcc, 5, v14
	v_or_b32_e32 v12, v12, v15
	v_add_u32_e32 v9, v9, v12
	v_cndmask_b32_e64 v16, 0, 1, vcc
	v_cmp_eq_u32_e32 vcc, 3, v14
	s_nop 1
	v_cndmask_b32_e64 v14, 0, 1, vcc
	v_or_b32_e32 v14, v14, v16
	v_cmp_gt_i32_e32 vcc, 31, v11
	v_add_u32_e32 v10, v10, v14
	s_nop 0
	v_cndmask_b32_e32 v9, v1, v9, vcc
	v_cmp_gt_i32_e32 vcc, 31, v13
	s_nop 1
	v_cndmask_b32_e32 v1, v1, v10, vcc
	v_cmp_eq_u32_e32 vcc, s4, v11
	s_nop 1
	v_cndmask_b32_e32 v4, v9, v4, vcc
	v_cmp_eq_u32_e32 vcc, s4, v13
	s_nop 1
	v_cndmask_b32_e32 v6, v1, v6, vcc
	v_and_or_b32 v1, v5, s5, v4
	v_and_or_b32 v4, v7, s5, v6
	s_branch .LBB185_742
.LBB185_738:
	s_mov_b64 s[2:3], -1
                                        ; implicit-def: $vgpr4
                                        ; implicit-def: $vgpr1
	s_branch .LBB185_761
.LBB185_739:
	s_mov_b64 s[2:3], -1
                                        ; implicit-def: $vgpr4
                                        ; implicit-def: $vgpr1
	s_branch .LBB185_748
.LBB185_740:
	s_mov_b64 s[2:3], -1
                                        ; implicit-def: $vgpr4
                                        ; implicit-def: $vgpr1
	s_branch .LBB185_745
.LBB185_741:
	s_mov_b64 s[2:3], -1
                                        ; implicit-def: $vgpr4
                                        ; implicit-def: $vgpr1
.LBB185_742:
	s_andn2_b64 vcc, exec, s[2:3]
	s_cbranch_vccnz .LBB185_744
; %bb.743:
	global_load_dwordx2 v[4:5], v[2:3], off
	s_waitcnt vmcnt(0)
	v_cvt_f16_f32_e32 v1, v4
	v_cvt_f16_f32_e32 v4, v5
.LBB185_744:
	s_mov_b64 s[2:3], 0
.LBB185_745:
	s_andn2_b64 vcc, exec, s[2:3]
	s_cbranch_vccnz .LBB185_747
; %bb.746:
	global_load_dword v1, v[2:3], off
	s_waitcnt vmcnt(0)
	v_lshrrev_b32_e32 v4, 16, v1
.LBB185_747:
	s_mov_b64 s[2:3], 0
.LBB185_748:
	s_andn2_b64 vcc, exec, s[2:3]
	s_cbranch_vccnz .LBB185_760
; %bb.749:
	s_cmp_lt_i32 s10, 6
	s_cbranch_scc1 .LBB185_752
; %bb.750:
	s_cmp_gt_i32 s10, 6
	s_cbranch_scc0 .LBB185_753
; %bb.751:
	global_load_dwordx2 v[4:5], v[2:3], off
	s_movk_i32 s2, 0x1ff
	s_movk_i32 s3, 0xffe
	s_waitcnt vmcnt(1)
	v_mov_b32_e32 v1, 0x7c00
	v_mov_b32_e32 v6, 0x7e00
	s_movk_i32 s4, 0x40f
	s_mov_b32 s5, 0x8000
	s_waitcnt vmcnt(0)
	v_and_or_b32 v4, v5, s2, v4
	v_cmp_ne_u32_e32 vcc, 0, v4
	v_lshrrev_b32_e32 v7, 8, v5
	v_bfe_u32 v9, v5, 20, 11
	v_cndmask_b32_e64 v4, 0, 1, vcc
	v_sub_u32_e32 v10, 0x3f1, v9
	v_and_or_b32 v4, v7, s3, v4
	v_add_u32_e32 v9, 0xfffffc10, v9
	v_med3_i32 v7, v10, 0, 13
	v_or_b32_e32 v10, 0x1000, v4
	v_cmp_ne_u32_e32 vcc, 0, v4
	v_lshl_or_b32 v11, v9, 12, v4
	v_lshrrev_b32_e32 v5, 16, v5
	v_cndmask_b32_e32 v4, v1, v6, vcc
	v_lshrrev_b32_e32 v6, v7, v10
	v_lshlrev_b32_e32 v7, v7, v6
	v_cmp_ne_u32_e32 vcc, v7, v10
	s_mov_b64 s[2:3], 0
	s_nop 0
	v_cndmask_b32_e64 v7, 0, 1, vcc
	v_or_b32_e32 v6, v6, v7
	v_cmp_gt_i32_e32 vcc, 1, v9
	s_nop 1
	v_cndmask_b32_e32 v6, v11, v6, vcc
	v_and_b32_e32 v7, 7, v6
	v_cmp_lt_i32_e32 vcc, 5, v7
	v_lshrrev_b32_e32 v6, 2, v6
	s_nop 0
	v_cndmask_b32_e64 v10, 0, 1, vcc
	v_cmp_eq_u32_e32 vcc, 3, v7
	s_nop 1
	v_cndmask_b32_e64 v7, 0, 1, vcc
	v_or_b32_e32 v7, v7, v10
	v_add_u32_e32 v6, v6, v7
	v_cmp_gt_i32_e32 vcc, 31, v9
	s_nop 1
	v_cndmask_b32_e32 v1, v1, v6, vcc
	v_cmp_eq_u32_e32 vcc, s4, v9
	s_nop 1
	v_cndmask_b32_e32 v1, v1, v4, vcc
	v_and_or_b32 v1, v5, s5, v1
	s_branch .LBB185_754
.LBB185_752:
	s_mov_b64 s[2:3], -1
                                        ; implicit-def: $vgpr1
	s_branch .LBB185_757
.LBB185_753:
	s_mov_b64 s[2:3], -1
                                        ; implicit-def: $vgpr1
.LBB185_754:
	s_andn2_b64 vcc, exec, s[2:3]
	s_cbranch_vccnz .LBB185_756
; %bb.755:
	global_load_dword v1, v[2:3], off
	s_waitcnt vmcnt(0)
	v_cvt_f16_f32_e32 v1, v1
.LBB185_756:
	s_mov_b64 s[2:3], 0
.LBB185_757:
	s_andn2_b64 vcc, exec, s[2:3]
	s_cbranch_vccnz .LBB185_759
; %bb.758:
	global_load_ushort v1, v[2:3], off
.LBB185_759:
	v_mov_b32_e32 v4, 0
.LBB185_760:
	s_mov_b64 s[2:3], 0
.LBB185_761:
	s_andn2_b64 vcc, exec, s[2:3]
	s_cbranch_vccnz .LBB185_782
; %bb.762:
	s_cmp_lt_i32 s10, 2
	s_cbranch_scc1 .LBB185_766
; %bb.763:
	s_cmp_lt_i32 s10, 3
	s_cbranch_scc1 .LBB185_767
; %bb.764:
	s_cmp_gt_i32 s10, 3
	s_cbranch_scc0 .LBB185_768
; %bb.765:
	global_load_dwordx2 v[4:5], v[2:3], off
	s_mov_b64 s[2:3], 0
	s_waitcnt vmcnt(0)
	v_xor_b32_e32 v6, v4, v5
	v_ffbh_i32_e32 v1, v5
	v_ashrrev_i32_e32 v6, 31, v6
	v_add_u32_e32 v1, -1, v1
	v_add_u32_e32 v6, 32, v6
	v_min_u32_e32 v1, v1, v6
	v_lshlrev_b64 v[4:5], v1, v[4:5]
	v_min_u32_e32 v4, 1, v4
	v_or_b32_e32 v4, v5, v4
	v_cvt_f32_i32_e32 v4, v4
	v_sub_u32_e32 v1, 32, v1
	v_ldexp_f32 v1, v4, v1
	v_cvt_f16_f32_e32 v1, v1
	s_branch .LBB185_769
.LBB185_766:
	s_mov_b64 s[2:3], -1
                                        ; implicit-def: $vgpr1
	s_branch .LBB185_775
.LBB185_767:
	s_mov_b64 s[2:3], -1
                                        ; implicit-def: $vgpr1
	s_branch .LBB185_772
.LBB185_768:
	s_mov_b64 s[2:3], -1
                                        ; implicit-def: $vgpr1
.LBB185_769:
	s_andn2_b64 vcc, exec, s[2:3]
	s_cbranch_vccnz .LBB185_771
; %bb.770:
	global_load_dword v1, v[2:3], off
	s_waitcnt vmcnt(0)
	v_cvt_f32_i32_e32 v1, v1
	v_cvt_f16_f32_e32 v1, v1
.LBB185_771:
	s_mov_b64 s[2:3], 0
.LBB185_772:
	s_andn2_b64 vcc, exec, s[2:3]
	s_cbranch_vccnz .LBB185_774
; %bb.773:
	global_load_ushort v1, v[2:3], off
	s_waitcnt vmcnt(0)
	v_cvt_f16_i16_e32 v1, v1
.LBB185_774:
	s_mov_b64 s[2:3], 0
.LBB185_775:
	s_andn2_b64 vcc, exec, s[2:3]
	s_cbranch_vccnz .LBB185_781
; %bb.776:
	s_cmp_gt_i32 s10, 0
	s_cbranch_scc0 .LBB185_778
; %bb.777:
	global_load_sbyte v1, v[2:3], off
	s_mov_b64 s[2:3], 0
	s_waitcnt vmcnt(0)
	v_cvt_f16_i16_e32 v1, v1
	s_branch .LBB185_779
.LBB185_778:
	s_mov_b64 s[2:3], -1
                                        ; implicit-def: $vgpr1
.LBB185_779:
	s_andn2_b64 vcc, exec, s[2:3]
	s_cbranch_vccnz .LBB185_781
; %bb.780:
	global_load_ubyte v1, v[2:3], off
	s_waitcnt vmcnt(0)
	v_cvt_f16_u16_e32 v1, v1
.LBB185_781:
	v_mov_b32_e32 v4, 0
.LBB185_782:
	s_mov_b64 s[2:3], -1
.LBB185_783:
	s_andn2_b64 vcc, exec, s[2:3]
	s_cbranch_vccnz .LBB185_796
; %bb.784:
	v_cvt_f32_f16_e32 v3, v4
	s_waitcnt vmcnt(0)
	v_cmp_neq_f16_e32 vcc, 0, v1
	v_cmp_neq_f16_e64 s[2:3], 0, v4
	s_or_b64 s[2:3], vcc, s[2:3]
	v_mov_b32_e32 v2, 0
	s_and_saveexec_b64 s[8:9], s[2:3]
	s_cbranch_execz .LBB185_815
; %bb.785:
	v_mov_b32_e32 v2, 0x7f800000
	v_cmp_neq_f32_e64 s[2:3], |v3|, v2
	s_and_saveexec_b64 s[10:11], s[2:3]
	s_cbranch_execz .LBB185_814
; %bb.786:
	v_cvt_f32_f16_e32 v6, v1
	v_cmp_o_f16_e32 vcc, v1, v1
	s_and_saveexec_b64 s[2:3], vcc
	s_xor_b64 s[12:13], exec, s[2:3]
	s_cbranch_execz .LBB185_811
; %bb.787:
	s_mov_b32 s2, 0x7f800000
	v_cmp_neq_f32_e64 s[2:3], |v6|, s2
	s_and_saveexec_b64 s[4:5], s[2:3]
	s_xor_b64 s[14:15], exec, s[4:5]
	s_cbranch_execz .LBB185_804
; %bb.788:
	v_max_f32_e64 v1, |v3|, |v3|
	v_max_f32_e64 v2, |v6|, |v6|
	v_max_f32_e32 v1, v2, v1
	s_mov_b32 s2, 0x7ed413cb
	v_cmp_nle_f32_e64 s[2:3], s2, v1
                                        ; implicit-def: $sgpr16_sgpr17
	s_and_saveexec_b64 s[4:5], s[2:3]
	s_xor_b64 s[4:5], exec, s[4:5]
	s_cbranch_execz .LBB185_792
; %bb.789:
	s_mov_b32 s18, 0x1000000
	v_cmp_le_f32_e64 s[16:17], |v6|, s18
	v_cmp_le_f32_e64 s[18:19], |v3|, s18
	s_and_b64 s[36:37], s[16:17], s[18:19]
	s_mov_b64 s[16:17], 0
	s_and_saveexec_b64 s[18:19], s[36:37]
; %bb.790:
	s_mov_b64 s[16:17], exec
	v_mul_f32_e32 v3, 4.0, v3
	v_mul_f32_e32 v6, 4.0, v6
; %bb.791:
	s_or_b64 exec, exec, s[18:19]
.LBB185_792:
	s_andn2_saveexec_b64 s[4:5], s[4:5]
; %bb.793:
	v_mul_f32_e32 v6, 0x3e800000, v6
	v_mul_f32_e32 v3, 0x3e800000, v3
	s_andn2_b64 s[16:17], s[16:17], exec
; %bb.794:
	s_or_b64 exec, exec, s[4:5]
	v_max_f32_e64 v1, |v3|, |v3|
	v_max_f32_e64 v2, |v6|, |v6|
	v_max_f32_e32 v1, v2, v1
	v_cvt_f64_f32_e32 v[4:5], v1
	v_frexp_exp_i32_f64_e32 v2, v[4:5]
	v_sub_u32_e32 v4, 0, v2
	v_ldexp_f32 v5, |v6|, v4
	v_ldexp_f32 v4, |v3|, v4
	v_mul_f32_e32 v4, v4, v4
	v_fmac_f32_e32 v4, v5, v5
	v_sqrt_f32_e32 v4, v4
	s_mov_b32 s4, 0x7f800000
	v_cmp_neq_f32_e64 s[4:5], s4, v1
	v_cmp_le_f32_e32 vcc, 0, v6
	v_ldexp_f32 v2, v4, v2
	v_mov_b32_e32 v4, 0x7f800000
	v_cndmask_b32_e64 v1, v4, v2, s[4:5]
                                        ; implicit-def: $vgpr4_vgpr5
	s_and_saveexec_b64 s[4:5], vcc
	s_xor_b64 s[18:19], exec, s[4:5]
	s_cbranch_execz .LBB185_797
; %bb.795:
	v_add_f32_e32 v1, v6, v1
	v_mul_f32_e32 v1, 0.5, v1
	s_mov_b32 s4, 0xf800000
	v_mul_f32_e32 v2, 0x4f800000, v1
	v_cmp_gt_f32_e32 vcc, s4, v1
	s_nop 1
	v_cndmask_b32_e32 v1, v1, v2, vcc
	v_sqrt_f32_e32 v2, v1
	s_nop 0
	v_add_u32_e32 v4, -1, v2
	v_fma_f32 v5, -v4, v2, v1
	v_cmp_ge_f32_e64 s[4:5], 0, v5
	v_add_u32_e32 v5, 1, v2
	s_nop 0
	v_cndmask_b32_e64 v4, v2, v4, s[4:5]
	v_fma_f32 v2, -v5, v2, v1
	v_cmp_lt_f32_e64 s[4:5], 0, v2
	s_nop 1
	v_cndmask_b32_e64 v2, v4, v5, s[4:5]
	v_mul_f32_e32 v4, 0x37800000, v2
	v_cndmask_b32_e32 v2, v2, v4, vcc
	v_mov_b32_e32 v4, 0x260
	v_cmp_class_f32_e32 vcc, v1, v4
	s_nop 1
	v_cndmask_b32_e32 v4, v2, v1, vcc
	v_add_f32_e32 v1, v4, v4
	v_div_scale_f32 v2, s[4:5], v1, v1, v3
	v_rcp_f32_e32 v5, v2
	s_nop 0
	v_fma_f32 v6, -v2, v5, 1.0
	v_fmac_f32_e32 v5, v6, v5
	v_div_scale_f32 v6, vcc, v3, v1, v3
	v_mul_f32_e32 v7, v6, v5
	v_fma_f32 v9, -v2, v7, v6
	v_fmac_f32_e32 v7, v9, v5
	v_fma_f32 v2, -v2, v7, v6
	v_div_fmas_f32 v2, v2, v5, v7
	v_div_fixup_f32 v5, v2, v1, v3
                                        ; implicit-def: $vgpr1
                                        ; implicit-def: $vgpr6
                                        ; implicit-def: $vgpr3
	s_andn2_saveexec_b64 s[18:19], s[18:19]
	s_cbranch_execz .LBB185_799
	s_branch .LBB185_798
.LBB185_796:
	s_mov_b64 s[4:5], 0
	s_mov_b64 s[2:3], s[62:63]
	s_branch .LBB185_946
.LBB185_797:
	s_andn2_saveexec_b64 s[18:19], s[18:19]
	s_cbranch_execz .LBB185_799
.LBB185_798:
	v_sub_f32_e32 v1, v1, v6
	v_mul_f32_e32 v1, 0.5, v1
	s_mov_b32 s4, 0xf800000
	v_mul_f32_e32 v2, 0x4f800000, v1
	v_cmp_gt_f32_e32 vcc, s4, v1
	s_nop 1
	v_cndmask_b32_e32 v1, v1, v2, vcc
	v_sqrt_f32_e32 v2, v1
	s_nop 0
	v_add_u32_e32 v4, -1, v2
	v_fma_f32 v5, -v4, v2, v1
	v_cmp_ge_f32_e64 s[4:5], 0, v5
	v_add_u32_e32 v5, 1, v2
	s_nop 0
	v_cndmask_b32_e64 v4, v2, v4, s[4:5]
	v_fma_f32 v2, -v5, v2, v1
	v_cmp_lt_f32_e64 s[4:5], 0, v2
	s_nop 1
	v_cndmask_b32_e64 v2, v4, v5, s[4:5]
	v_mul_f32_e32 v4, 0x37800000, v2
	v_cndmask_b32_e32 v2, v2, v4, vcc
	v_mov_b32_e32 v4, 0x260
	v_cmp_class_f32_e32 vcc, v1, v4
	v_and_b32_e32 v4, 0x7fffffff, v3
	s_nop 0
	v_cndmask_b32_e32 v1, v2, v1, vcc
	v_add_f32_e32 v2, v1, v1
	v_div_scale_f32 v5, s[4:5], v2, v2, v4
	v_rcp_f32_e32 v6, v5
	v_div_scale_f32 v4, vcc, v4, v2, v4
	s_brev_b32 s4, -2
	v_fma_f32 v7, -v5, v6, 1.0
	v_fmac_f32_e32 v6, v7, v6
	v_mul_f32_e32 v7, v4, v6
	v_fma_f32 v9, -v5, v7, v4
	v_fmac_f32_e32 v7, v9, v6
	v_fma_f32 v4, -v5, v7, v4
	v_div_fmas_f32 v4, v4, v6, v7
	v_div_fixup_f32 v4, v4, v2, |v3|
	v_bfi_b32 v5, s4, v1, v3
.LBB185_799:
	s_or_b64 exec, exec, s[18:19]
                                        ; implicit-def: $vgpr3
	s_and_saveexec_b64 s[4:5], s[2:3]
	s_xor_b64 s[2:3], exec, s[4:5]
	s_cbranch_execz .LBB185_801
; %bb.800:
	v_pk_mul_f32 v[2:3], v[4:5], 0.5 op_sel_hi:[1,0]
	s_nop 0
	v_cndmask_b32_e64 v2, v4, v2, s[16:17]
	v_cndmask_b32_e64 v3, v5, v3, s[16:17]
                                        ; implicit-def: $vgpr4_vgpr5
	s_andn2_saveexec_b64 s[2:3], s[2:3]
	s_cbranch_execnz .LBB185_802
	s_branch .LBB185_803
.LBB185_801:
	s_andn2_saveexec_b64 s[2:3], s[2:3]
.LBB185_802:
	v_pk_add_f32 v[2:3], v[4:5], v[4:5]
.LBB185_803:
	s_or_b64 exec, exec, s[2:3]
                                        ; implicit-def: $vgpr6
                                        ; implicit-def: $vgpr1
.LBB185_804:
	s_andn2_saveexec_b64 s[2:3], s[14:15]
	s_cbranch_execz .LBB185_810
; %bb.805:
	v_cmp_lt_i16_e32 vcc, -1, v1
	v_sub_f32_e32 v1, v3, v3
	s_brev_b32 s14, -2
	v_and_b32_e32 v2, 0x7fffffff, v1
	s_and_saveexec_b64 s[4:5], vcc
	s_xor_b64 s[4:5], exec, s[4:5]
; %bb.806:
	v_bfi_b32 v3, s14, v1, v3
	v_mov_b32_e32 v2, v6
; %bb.807:
	s_andn2_saveexec_b64 s[4:5], s[4:5]
; %bb.808:
	v_bfi_b32 v3, s14, v6, v3
; %bb.809:
	s_or_b64 exec, exec, s[4:5]
.LBB185_810:
	s_or_b64 exec, exec, s[2:3]
                                        ; implicit-def: $vgpr6
.LBB185_811:
	s_andn2_saveexec_b64 s[2:3], s[12:13]
	s_cbranch_execz .LBB185_813
; %bb.812:
	v_sub_f32_e32 v1, v3, v3
	v_div_scale_f32 v2, vcc, v1, v1, v1
	v_rcp_f32_e32 v3, v2
	s_nop 0
	v_fma_f32 v4, -v2, v3, 1.0
	v_fmac_f32_e32 v3, v4, v3
	v_mul_f32_e32 v4, v2, v3
	v_fma_f32 v5, -v2, v4, v2
	v_fmac_f32_e32 v4, v5, v3
	v_fma_f32 v2, -v2, v4, v2
	v_div_fmas_f32 v2, v2, v3, v4
	v_div_fixup_f32 v3, v2, v1, v1
	v_mov_b32_e32 v2, v6
.LBB185_813:
	s_or_b64 exec, exec, s[2:3]
.LBB185_814:
	s_or_b64 exec, exec, s[10:11]
.LBB185_815:
	s_or_b64 exec, exec, s[8:9]
	v_cmp_gt_f32_e32 vcc, 0, v3
                                        ; implicit-def: $vgpr4_vgpr5
	s_nop 1
	v_cndmask_b32_e64 v6, v3, -v3, vcc
	v_cmp_gt_f32_e32 vcc, 0, v2
	s_nop 1
	v_cndmask_b32_e64 v1, v2, -v2, vcc
	v_cmp_ge_f32_e32 vcc, v1, v6
	s_and_saveexec_b64 s[2:3], vcc
	s_xor_b64 s[4:5], exec, s[2:3]
	s_cbranch_execz .LBB185_821
; %bb.816:
	v_cmp_neq_f32_e32 vcc, 0, v2
	v_cmp_neq_f32_e64 s[2:3], 0, v3
	s_or_b64 s[2:3], vcc, s[2:3]
                                        ; implicit-def: $vgpr4_vgpr5
	s_and_saveexec_b64 s[8:9], s[2:3]
	s_xor_b64 s[2:3], exec, s[8:9]
	s_cbranch_execz .LBB185_818
; %bb.817:
	v_div_scale_f32 v1, s[8:9], v2, v2, v3
	v_rcp_f32_e32 v4, v1
	v_div_scale_f32 v5, vcc, v3, v2, v3
	v_fma_f32 v6, -v1, v4, 1.0
	v_fmac_f32_e32 v4, v6, v4
	v_mul_f32_e32 v6, v5, v4
	v_fma_f32 v7, -v1, v6, v5
	v_fmac_f32_e32 v6, v7, v4
	v_fma_f32 v1, -v1, v6, v5
	v_div_fmas_f32 v1, v1, v4, v6
	v_div_fixup_f32 v1, v1, v2, v3
	v_fmac_f32_e32 v2, v3, v1
	v_div_scale_f32 v3, s[8:9], v2, v2, 1.0
	v_rcp_f32_e32 v4, v3
	s_nop 0
	v_fma_f32 v5, -v3, v4, 1.0
	v_fmac_f32_e32 v4, v5, v4
	v_div_scale_f32 v5, vcc, 1.0, v2, 1.0
	v_mul_f32_e32 v6, v5, v4
	v_fma_f32 v7, -v3, v6, v5
	v_fmac_f32_e32 v6, v7, v4
	v_fma_f32 v3, -v3, v6, v5
	v_div_fmas_f32 v3, v3, v4, v6
	v_div_fixup_f32 v2, v3, v2, 1.0
	v_mul_f32_e32 v3, 0, v1
	v_add_f32_e32 v4, 1.0, v3
	v_sub_f32_e32 v5, 0, v1
	v_pk_mul_f32 v[4:5], v[4:5], v[2:3] op_sel_hi:[1,0]
                                        ; implicit-def: $vgpr6
                                        ; implicit-def: $vgpr1
.LBB185_818:
	s_andn2_saveexec_b64 s[2:3], s[2:3]
	s_cbranch_execz .LBB185_820
; %bb.819:
	v_div_scale_f32 v2, s[8:9], v6, v6, 0
	v_rcp_f32_e32 v3, v2
	v_div_scale_f32 v4, vcc, 0, v6, 0
	v_fma_f32 v5, -v2, v3, 1.0
	v_fmac_f32_e32 v3, v5, v3
	v_mul_f32_e32 v5, v4, v3
	v_fma_f32 v7, -v2, v5, v4
	v_fmac_f32_e32 v5, v7, v3
	v_fma_f32 v2, -v2, v5, v4
	v_div_scale_f32 v4, s[8:9], v1, v1, 1.0
	v_rcp_f32_e32 v7, v4
	v_div_fmas_f32 v2, v2, v3, v5
	v_div_fixup_f32 v5, v2, v6, 0
	v_fma_f32 v2, -v4, v7, 1.0
	v_fmac_f32_e32 v7, v2, v7
	v_div_scale_f32 v2, vcc, 1.0, v1, 1.0
	v_mul_f32_e32 v3, v2, v7
	v_fma_f32 v6, -v4, v3, v2
	v_fmac_f32_e32 v3, v6, v7
	v_fma_f32 v2, -v4, v3, v2
	v_div_fmas_f32 v2, v2, v7, v3
	v_div_fixup_f32 v4, v2, v1, 1.0
.LBB185_820:
	s_or_b64 exec, exec, s[2:3]
                                        ; implicit-def: $vgpr3
.LBB185_821:
	s_andn2_saveexec_b64 s[2:3], s[4:5]
	s_cbranch_execz .LBB185_823
; %bb.822:
	v_div_scale_f32 v1, s[4:5], v3, v3, v2
	v_rcp_f32_e32 v4, v1
	v_div_scale_f32 v5, vcc, v2, v3, v2
	v_fma_f32 v6, -v1, v4, 1.0
	v_fmac_f32_e32 v4, v6, v4
	v_mul_f32_e32 v6, v5, v4
	v_fma_f32 v7, -v1, v6, v5
	v_fmac_f32_e32 v6, v7, v4
	v_fma_f32 v1, -v1, v6, v5
	v_div_fmas_f32 v1, v1, v4, v6
	v_div_fixup_f32 v4, v1, v3, v2
	v_fmac_f32_e32 v3, v2, v4
	v_div_scale_f32 v1, s[4:5], v3, v3, 1.0
	v_rcp_f32_e32 v2, v1
	s_mov_b32 s4, 0
	s_mov_b32 s5, -1.0
	v_fma_f32 v5, -v1, v2, 1.0
	v_fmac_f32_e32 v2, v5, v2
	v_div_scale_f32 v5, vcc, 1.0, v3, 1.0
	v_mul_f32_e32 v6, v5, v2
	v_fma_f32 v7, -v1, v6, v5
	v_fmac_f32_e32 v6, v7, v2
	v_fma_f32 v1, -v1, v6, v5
	v_div_fmas_f32 v1, v1, v2, v6
	v_mul_f32_e32 v5, 0, v4
	v_div_fixup_f32 v2, v1, v3, 1.0
	v_pk_add_f32 v[4:5], v[4:5], s[4:5]
	s_nop 0
	v_pk_mul_f32 v[4:5], v[4:5], v[2:3] op_sel_hi:[1,0]
.LBB185_823:
	s_or_b64 exec, exec, s[2:3]
	v_cvt_f16_f32_e32 v2, v5
	v_cvt_f16_f32_e32 v4, v4
	v_mov_b32_e32 v1, 0
	s_and_b32 s12, s73, 0xff
	v_lshlrev_b32_e32 v3, 16, v2
	v_or_b32_e32 v5, v3, v4
	s_cmp_lt_i32 s12, 11
	v_lshl_add_u64 v[0:1], s[20:21], 0, v[0:1]
	s_cbranch_scc1 .LBB185_830
; %bb.824:
	s_and_b32 s13, 0xffff, s12
	s_cmp_gt_i32 s13, 25
	s_cbranch_scc0 .LBB185_831
; %bb.825:
	s_cmp_gt_i32 s13, 28
	s_cbranch_scc0 .LBB185_832
; %bb.826:
	;; [unrolled: 3-line block ×4, first 2 shown]
	s_mov_b64 s[8:9], 0
	s_mov_b64 s[2:3], -1
	s_cmp_eq_u32 s13, 46
	s_mov_b64 s[4:5], 0
	s_cbranch_scc0 .LBB185_835
; %bb.829:
	v_cvt_f32_f16_e32 v6, v2
	v_cvt_f32_f16_e32 v3, v4
	s_movk_i32 s2, 0x7fff
	v_cmp_o_f16_e32 vcc, v2, v2
	v_bfe_u32 v9, v6, 16, 1
	v_bfe_u32 v7, v3, 16, 1
	v_add3_u32 v6, v6, v9, s2
	v_add3_u32 v3, v3, v7, s2
	v_and_b32_e32 v6, 0xffff0000, v6
	v_mov_b32_e32 v7, 0x7fc00000
	v_cndmask_b32_e32 v6, v7, v6, vcc
	v_cmp_o_f16_e32 vcc, v4, v4
	v_mov_b32_e32 v7, 0x7fc0
	s_mov_b64 s[4:5], -1
	v_cndmask_b32_sdwa v3, v7, v3, vcc dst_sel:DWORD dst_unused:UNUSED_PAD src0_sel:DWORD src1_sel:WORD_1
	v_or_b32_e32 v3, v6, v3
	global_store_dword v[0:1], v3, off
	s_mov_b64 s[2:3], 0
	s_branch .LBB185_835
.LBB185_830:
	s_mov_b64 s[8:9], -1
	s_mov_b64 s[4:5], 0
	s_mov_b64 s[2:3], s[62:63]
	s_branch .LBB185_904
.LBB185_831:
	s_mov_b64 s[8:9], -1
	s_mov_b64 s[4:5], 0
	s_mov_b64 s[2:3], s[62:63]
	s_branch .LBB185_862
.LBB185_832:
	s_mov_b64 s[8:9], -1
	s_mov_b64 s[4:5], 0
	s_mov_b64 s[2:3], s[62:63]
	s_branch .LBB185_845
.LBB185_833:
	s_mov_b64 s[8:9], -1
	s_mov_b64 s[4:5], 0
	s_mov_b64 s[2:3], s[62:63]
	s_branch .LBB185_841
.LBB185_834:
	s_mov_b64 s[8:9], -1
	s_mov_b64 s[4:5], 0
	s_mov_b64 s[2:3], s[62:63]
.LBB185_835:
	s_and_b64 vcc, exec, s[8:9]
	s_cbranch_vccz .LBB185_840
; %bb.836:
	s_cmp_eq_u32 s13, 44
	s_mov_b64 s[2:3], -1
	s_cbranch_scc0 .LBB185_840
; %bb.837:
	v_cvt_f32_f16_e32 v3, v4
	s_movk_i32 s2, 0xff
	v_mov_b32_e32 v7, 0xff
	v_bfe_u32 v6, v3, 23, 8
	v_cmp_ne_u32_e32 vcc, s2, v6
	s_and_saveexec_b64 s[4:5], vcc
; %bb.838:
	s_mov_b32 s2, 0x3fffff
	v_lshrrev_b32_e32 v7, 23, v3
	v_and_b32_e32 v9, 0x400000, v3
	v_and_or_b32 v3, v3, s2, v6
	v_cmp_ne_u32_e32 vcc, 0, v9
	v_cmp_ne_u32_e64 s[2:3], 0, v3
	s_and_b64 s[2:3], vcc, s[2:3]
	s_nop 0
	v_cndmask_b32_e64 v3, 0, 1, s[2:3]
	v_add_u32_e32 v7, v7, v3
; %bb.839:
	s_or_b64 exec, exec, s[4:5]
	s_mov_b64 s[4:5], -1
	s_mov_b64 s[2:3], 0
	global_store_byte v[0:1], v7, off
.LBB185_840:
	s_mov_b64 s[8:9], 0
.LBB185_841:
	s_and_b64 vcc, exec, s[8:9]
	s_cbranch_vccz .LBB185_844
; %bb.842:
	s_cmp_eq_u32 s13, 29
	s_mov_b64 s[2:3], -1
	s_cbranch_scc0 .LBB185_844
; %bb.843:
	v_cvt_f32_f16_e32 v3, v4
	v_mov_b32_e32 v7, 0
	s_mov_b64 s[4:5], -1
	s_mov_b64 s[2:3], 0
	v_cvt_u32_f32_e32 v6, v3
	s_mov_b64 s[8:9], 0
	global_store_dwordx2 v[0:1], v[6:7], off
	s_branch .LBB185_845
.LBB185_844:
	s_mov_b64 s[8:9], 0
.LBB185_845:
	s_and_b64 vcc, exec, s[8:9]
	s_cbranch_vccz .LBB185_861
; %bb.846:
	s_cmp_lt_i32 s13, 27
	s_mov_b64 s[4:5], -1
	s_cbranch_scc1 .LBB185_852
; %bb.847:
	s_cmp_gt_i32 s13, 27
	s_cbranch_scc0 .LBB185_849
; %bb.848:
	v_cvt_f32_f16_e32 v3, v4
	s_mov_b64 s[4:5], 0
	v_cvt_u32_f32_e32 v3, v3
	global_store_dword v[0:1], v3, off
.LBB185_849:
	s_andn2_b64 vcc, exec, s[4:5]
	s_cbranch_vccnz .LBB185_851
; %bb.850:
	v_cvt_u16_f16_e32 v3, v4
	global_store_short v[0:1], v3, off
.LBB185_851:
	s_mov_b64 s[4:5], 0
.LBB185_852:
	s_andn2_b64 vcc, exec, s[4:5]
	s_cbranch_vccnz .LBB185_860
; %bb.853:
	v_cvt_f32_f16_e32 v3, v4
	s_mov_b32 s4, 0x43800000
	v_mov_b32_e32 v7, 0x80
	v_and_b32_e32 v6, 0x7fffffff, v3
	v_cmp_gt_u32_e32 vcc, s4, v6
	s_and_saveexec_b64 s[4:5], vcc
	s_cbranch_execz .LBB185_859
; %bb.854:
	s_mov_b32 s8, 0x3bffffff
	v_cmp_lt_u32_e32 vcc, s8, v6
	s_mov_b64 s[8:9], 0
                                        ; implicit-def: $vgpr6
	s_and_saveexec_b64 s[10:11], vcc
	s_xor_b64 s[10:11], exec, s[10:11]
	s_cbranch_execz .LBB185_977
; %bb.855:
	v_bfe_u32 v6, v3, 20, 1
	s_mov_b32 s14, 0x487ffff
	v_add3_u32 v6, v3, v6, s14
	s_mov_b64 s[8:9], exec
	v_lshrrev_b32_e32 v6, 20, v6
	s_andn2_saveexec_b64 s[10:11], s[10:11]
	s_cbranch_execnz .LBB185_978
.LBB185_856:
	s_or_b64 exec, exec, s[10:11]
	v_mov_b32_e32 v7, 0
	s_and_saveexec_b64 s[10:11], s[8:9]
.LBB185_857:
	v_lshrrev_b32_e32 v3, 24, v3
	s_movk_i32 s8, 0x80
	v_and_or_b32 v7, v3, s8, v6
.LBB185_858:
	s_or_b64 exec, exec, s[10:11]
.LBB185_859:
	s_or_b64 exec, exec, s[4:5]
	global_store_byte v[0:1], v7, off
.LBB185_860:
	s_mov_b64 s[4:5], -1
.LBB185_861:
	s_mov_b64 s[8:9], 0
.LBB185_862:
	s_and_b64 vcc, exec, s[8:9]
	s_cbranch_vccz .LBB185_903
; %bb.863:
	s_cmp_gt_i32 s13, 22
	s_mov_b64 s[8:9], -1
	s_cbranch_scc0 .LBB185_895
; %bb.864:
	s_cmp_lt_i32 s13, 24
	s_mov_b64 s[4:5], -1
	s_cbranch_scc1 .LBB185_884
; %bb.865:
	s_cmp_gt_i32 s13, 24
	s_cbranch_scc0 .LBB185_873
; %bb.866:
	v_cvt_f32_f16_e32 v3, v4
	s_mov_b32 s4, 0x47800000
	v_mov_b32_e32 v7, 0x80
	v_and_b32_e32 v6, 0x7fffffff, v3
	v_cmp_gt_u32_e32 vcc, s4, v6
	s_and_saveexec_b64 s[4:5], vcc
	s_cbranch_execz .LBB185_872
; %bb.867:
	s_mov_b32 s8, 0x37ffffff
	v_cmp_lt_u32_e32 vcc, s8, v6
	s_mov_b64 s[8:9], 0
                                        ; implicit-def: $vgpr6
	s_and_saveexec_b64 s[10:11], vcc
	s_xor_b64 s[10:11], exec, s[10:11]
	s_cbranch_execz .LBB185_980
; %bb.868:
	v_bfe_u32 v6, v3, 21, 1
	s_mov_b32 s14, 0x88fffff
	v_add3_u32 v6, v3, v6, s14
	s_mov_b64 s[8:9], exec
	v_lshrrev_b32_e32 v6, 21, v6
	s_andn2_saveexec_b64 s[10:11], s[10:11]
	s_cbranch_execnz .LBB185_981
.LBB185_869:
	s_or_b64 exec, exec, s[10:11]
	v_mov_b32_e32 v7, 0
	s_and_saveexec_b64 s[10:11], s[8:9]
.LBB185_870:
	v_lshrrev_b32_e32 v3, 24, v3
	s_movk_i32 s8, 0x80
	v_and_or_b32 v7, v3, s8, v6
.LBB185_871:
	s_or_b64 exec, exec, s[10:11]
.LBB185_872:
	s_or_b64 exec, exec, s[4:5]
	s_mov_b64 s[4:5], 0
	global_store_byte v[0:1], v7, off
.LBB185_873:
	s_and_b64 vcc, exec, s[4:5]
	s_cbranch_vccz .LBB185_883
; %bb.874:
	v_cvt_f32_f16_e32 v3, v4
	s_mov_b32 s4, 0x43f00000
                                        ; implicit-def: $vgpr6
	v_and_b32_e32 v7, 0x7fffffff, v3
	v_cmp_gt_u32_e32 vcc, s4, v7
	s_and_saveexec_b64 s[4:5], vcc
	s_xor_b64 s[4:5], exec, s[4:5]
	s_cbranch_execz .LBB185_880
; %bb.875:
	s_mov_b32 s8, 0x3c7fffff
	v_cmp_lt_u32_e32 vcc, s8, v7
                                        ; implicit-def: $vgpr6
	s_and_saveexec_b64 s[8:9], vcc
	s_xor_b64 s[8:9], exec, s[8:9]
; %bb.876:
	v_bfe_u32 v6, v3, 20, 1
	s_mov_b32 s10, 0x407ffff
	v_add3_u32 v6, v3, v6, s10
	v_lshrrev_b32_e32 v7, 20, v6
	v_and_b32_e32 v6, 0xff00000, v6
	s_mov_b32 s10, 0x7f00000
	v_mov_b32_e32 v9, 0x7e
	v_cmp_ne_u32_e32 vcc, s10, v6
	s_nop 1
	v_cndmask_b32_e32 v6, v9, v7, vcc
; %bb.877:
	s_andn2_saveexec_b64 s[8:9], s[8:9]
; %bb.878:
	s_mov_b32 s10, 0x46800000
	v_add_f32_e64 v6, |v3|, s10
; %bb.879:
	s_or_b64 exec, exec, s[8:9]
                                        ; implicit-def: $vgpr7
.LBB185_880:
	s_andn2_saveexec_b64 s[4:5], s[4:5]
; %bb.881:
	s_mov_b32 s8, 0x7f800000
	v_mov_b32_e32 v6, 0x7e
	v_mov_b32_e32 v9, 0x7f
	v_cmp_lt_u32_e32 vcc, s8, v7
	s_nop 1
	v_cndmask_b32_e32 v6, v6, v9, vcc
; %bb.882:
	s_or_b64 exec, exec, s[4:5]
	v_lshrrev_b32_e32 v3, 24, v3
	s_movk_i32 s4, 0x80
	v_and_or_b32 v3, v3, s4, v6
	global_store_byte v[0:1], v3, off
.LBB185_883:
	s_mov_b64 s[4:5], 0
.LBB185_884:
	s_andn2_b64 vcc, exec, s[4:5]
	s_cbranch_vccnz .LBB185_894
; %bb.885:
	v_cvt_f32_f16_e32 v3, v4
	s_mov_b32 s4, 0x47800000
                                        ; implicit-def: $vgpr6
	v_and_b32_e32 v7, 0x7fffffff, v3
	v_cmp_gt_u32_e32 vcc, s4, v7
	s_and_saveexec_b64 s[4:5], vcc
	s_xor_b64 s[4:5], exec, s[4:5]
	s_cbranch_execz .LBB185_891
; %bb.886:
	s_mov_b32 s8, 0x387fffff
	v_cmp_lt_u32_e32 vcc, s8, v7
                                        ; implicit-def: $vgpr6
	s_and_saveexec_b64 s[8:9], vcc
	s_xor_b64 s[8:9], exec, s[8:9]
; %bb.887:
	v_bfe_u32 v6, v3, 21, 1
	s_mov_b32 s10, 0x80fffff
	v_add3_u32 v6, v3, v6, s10
	v_lshrrev_b32_e32 v6, 21, v6
; %bb.888:
	s_andn2_saveexec_b64 s[8:9], s[8:9]
; %bb.889:
	s_mov_b32 s10, 0x43000000
	v_add_f32_e64 v6, |v3|, s10
; %bb.890:
	s_or_b64 exec, exec, s[8:9]
                                        ; implicit-def: $vgpr7
.LBB185_891:
	s_andn2_saveexec_b64 s[4:5], s[4:5]
; %bb.892:
	s_mov_b32 s8, 0x7f800000
	v_mov_b32_e32 v6, 0x7c
	v_mov_b32_e32 v9, 0x7f
	v_cmp_lt_u32_e32 vcc, s8, v7
	s_nop 1
	v_cndmask_b32_e32 v6, v6, v9, vcc
; %bb.893:
	s_or_b64 exec, exec, s[4:5]
	v_lshrrev_b32_e32 v3, 24, v3
	s_movk_i32 s4, 0x80
	v_and_or_b32 v3, v3, s4, v6
	global_store_byte v[0:1], v3, off
.LBB185_894:
	s_mov_b64 s[8:9], 0
	s_mov_b64 s[4:5], -1
.LBB185_895:
	s_andn2_b64 vcc, exec, s[8:9]
	s_cbranch_vccnz .LBB185_903
; %bb.896:
	s_cmp_gt_i32 s13, 14
	s_mov_b64 s[8:9], -1
	s_cbranch_scc0 .LBB185_900
; %bb.897:
	s_cmp_eq_u32 s13, 15
	s_mov_b64 s[2:3], -1
	s_cbranch_scc0 .LBB185_899
; %bb.898:
	v_cvt_f32_f16_e32 v3, v4
	s_movk_i32 s2, 0x7fff
	v_cmp_o_f16_e32 vcc, v4, v4
	v_mov_b32_e32 v6, 0x7fc0
	v_bfe_u32 v7, v3, 16, 1
	v_add3_u32 v3, v3, v7, s2
	v_cndmask_b32_sdwa v3, v6, v3, vcc dst_sel:DWORD dst_unused:UNUSED_PAD src0_sel:DWORD src1_sel:WORD_1
	global_store_short v[0:1], v3, off
	s_mov_b64 s[4:5], -1
	s_mov_b64 s[2:3], 0
.LBB185_899:
	s_mov_b64 s[8:9], 0
.LBB185_900:
	s_and_b64 vcc, exec, s[8:9]
	s_cbranch_vccz .LBB185_903
; %bb.901:
	s_cmp_eq_u32 s13, 11
	s_mov_b64 s[2:3], -1
	s_cbranch_scc0 .LBB185_903
; %bb.902:
	v_and_b32_e32 v3, 0x7fff7fff, v5
	v_cmp_ne_u32_e32 vcc, 0, v3
	s_mov_b64 s[4:5], -1
	s_mov_b64 s[2:3], 0
	v_cndmask_b32_e64 v3, 0, 1, vcc
	global_store_byte v[0:1], v3, off
.LBB185_903:
	s_mov_b64 s[8:9], 0
.LBB185_904:
	s_and_b64 vcc, exec, s[8:9]
	s_cbranch_vccz .LBB185_943
; %bb.905:
	s_and_b32 s8, 0xffff, s12
	s_cmp_lt_i32 s8, 5
	s_mov_b64 s[4:5], -1
	s_cbranch_scc1 .LBB185_926
; %bb.906:
	s_cmp_lt_i32 s8, 8
	s_cbranch_scc1 .LBB185_916
; %bb.907:
	s_cmp_lt_i32 s8, 9
	s_cbranch_scc1 .LBB185_913
; %bb.908:
	v_cvt_f32_f16_e32 v3, v2
	s_cmp_gt_i32 s8, 9
	s_cbranch_scc0 .LBB185_910
; %bb.909:
	v_cvt_f32_f16_e32 v2, v4
	v_cvt_f64_f32_e32 v[12:13], v3
	s_mov_b64 s[4:5], 0
	v_cvt_f64_f32_e32 v[10:11], v2
	global_store_dwordx4 v[0:1], v[10:13], off
.LBB185_910:
	s_andn2_b64 vcc, exec, s[4:5]
	s_cbranch_vccnz .LBB185_912
; %bb.911:
	v_cvt_f32_f16_e32 v2, v4
	global_store_dwordx2 v[0:1], v[2:3], off
.LBB185_912:
	s_mov_b64 s[4:5], 0
.LBB185_913:
	s_andn2_b64 vcc, exec, s[4:5]
	s_cbranch_vccnz .LBB185_915
; %bb.914:
	global_store_dword v[0:1], v5, off
.LBB185_915:
	s_mov_b64 s[4:5], 0
.LBB185_916:
	s_andn2_b64 vcc, exec, s[4:5]
	s_cbranch_vccnz .LBB185_925
; %bb.917:
	s_cmp_lt_i32 s8, 6
	s_mov_b64 s[4:5], -1
	s_cbranch_scc1 .LBB185_923
; %bb.918:
	s_cmp_gt_i32 s8, 6
	s_cbranch_scc0 .LBB185_920
; %bb.919:
	v_cvt_f32_f16_e32 v2, v4
	s_mov_b64 s[4:5], 0
	v_cvt_f64_f32_e32 v[2:3], v2
	global_store_dwordx2 v[0:1], v[2:3], off
.LBB185_920:
	s_andn2_b64 vcc, exec, s[4:5]
	s_cbranch_vccnz .LBB185_922
; %bb.921:
	v_cvt_f32_f16_e32 v2, v4
	global_store_dword v[0:1], v2, off
.LBB185_922:
	s_mov_b64 s[4:5], 0
.LBB185_923:
	s_andn2_b64 vcc, exec, s[4:5]
	s_cbranch_vccnz .LBB185_925
; %bb.924:
	global_store_short v[0:1], v4, off
.LBB185_925:
	s_mov_b64 s[4:5], 0
.LBB185_926:
	s_andn2_b64 vcc, exec, s[4:5]
	s_cbranch_vccnz .LBB185_942
; %bb.927:
	s_cmp_lt_i32 s8, 2
	s_mov_b64 s[4:5], -1
	s_cbranch_scc1 .LBB185_937
; %bb.928:
	s_cmp_lt_i32 s8, 3
	s_cbranch_scc1 .LBB185_934
; %bb.929:
	s_cmp_gt_i32 s8, 3
	s_cbranch_scc0 .LBB185_931
; %bb.930:
	v_cvt_f32_f16_e32 v2, v4
	s_mov_b64 s[4:5], 0
	v_cvt_i32_f32_e32 v2, v2
	v_ashrrev_i32_e32 v3, 31, v2
	global_store_dwordx2 v[0:1], v[2:3], off
.LBB185_931:
	s_andn2_b64 vcc, exec, s[4:5]
	s_cbranch_vccnz .LBB185_933
; %bb.932:
	v_cvt_f32_f16_e32 v2, v4
	v_cvt_i32_f32_e32 v2, v2
	global_store_dword v[0:1], v2, off
.LBB185_933:
	s_mov_b64 s[4:5], 0
.LBB185_934:
	s_andn2_b64 vcc, exec, s[4:5]
	s_cbranch_vccnz .LBB185_936
; %bb.935:
	v_cvt_i16_f16_e32 v2, v4
	global_store_short v[0:1], v2, off
.LBB185_936:
	s_mov_b64 s[4:5], 0
.LBB185_937:
	s_andn2_b64 vcc, exec, s[4:5]
	s_cbranch_vccnz .LBB185_942
; %bb.938:
	s_cmp_gt_i32 s8, 0
	s_mov_b64 s[4:5], -1
	s_cbranch_scc0 .LBB185_940
; %bb.939:
	v_cvt_i16_f16_e32 v2, v4
	s_mov_b64 s[4:5], 0
	global_store_byte v[0:1], v2, off
.LBB185_940:
	s_andn2_b64 vcc, exec, s[4:5]
	s_cbranch_vccnz .LBB185_942
; %bb.941:
	v_cvt_f32_f16_e32 v2, v4
	v_cvt_i32_f32_e32 v2, v2
	global_store_byte v[0:1], v2, off
.LBB185_942:
	s_mov_b64 s[4:5], -1
.LBB185_943:
	s_andn2_b64 vcc, exec, s[4:5]
	s_cbranch_vccnz .LBB185_945
; %bb.944:
	v_add_u32_e32 v8, 0x80, v8
	s_mov_b64 s[4:5], -1
	s_branch .LBB185_947
.LBB185_945:
	s_mov_b64 s[4:5], 0
.LBB185_946:
                                        ; implicit-def: $vgpr8
.LBB185_947:
	s_andn2_b64 s[8:9], s[62:63], exec
	s_and_b64 s[2:3], s[2:3], exec
	s_or_b64 s[68:69], s[8:9], s[2:3]
	s_andn2_b64 s[2:3], s[60:61], exec
	s_and_b64 s[6:7], s[6:7], exec
	s_or_b64 s[2:3], s[2:3], s[6:7]
	s_orn2_b64 s[6:7], s[4:5], exec
.LBB185_948:
	s_or_b64 exec, exec, s[66:67]
	s_mov_b64 s[4:5], 0
	s_mov_b64 s[10:11], 0
	;; [unrolled: 1-line block ×3, first 2 shown]
                                        ; implicit-def: $vgpr2_vgpr3
                                        ; implicit-def: $vgpr0
                                        ; implicit-def: $vgpr6
                                        ; implicit-def: $vgpr1
	s_and_saveexec_b64 s[66:67], s[6:7]
	s_cbranch_execz .LBB185_1051
; %bb.949:
	v_cmp_gt_i32_e32 vcc, s70, v8
	s_mov_b64 s[6:7], 0
	s_mov_b64 s[12:13], s[2:3]
                                        ; implicit-def: $vgpr2_vgpr3
                                        ; implicit-def: $vgpr0
                                        ; implicit-def: $vgpr6
                                        ; implicit-def: $vgpr1
	s_and_saveexec_b64 s[70:71], vcc
	s_cbranch_execz .LBB185_1050
; %bb.950:
	s_andn2_b64 vcc, exec, s[42:43]
	s_cbranch_vccnz .LBB185_956
; %bb.951:
	s_andn2_b64 vcc, exec, s[52:53]
	s_cbranch_vccnz .LBB185_957
; %bb.952:
	s_add_i32 s76, s75, 1
	s_cmp_eq_u32 s72, 2
	s_cbranch_scc1 .LBB185_958
; %bb.953:
	s_and_b32 s75, s76, 28
	s_mov_b32 s77, 0
	v_mov_b32_e32 v0, 0
	v_mov_b32_e32 v2, 0
	s_mov_b64 s[52:53], s[34:35]
	v_mov_b32_e32 v4, v8
.LBB185_954:                            ; =>This Inner Loop Header: Depth=1
	s_load_dwordx8 s[12:19], s[52:53], 0x4
	s_load_dwordx4 s[36:39], s[52:53], 0x24
	s_load_dwordx8 s[4:11], s[50:51], 0x0
	s_add_u32 s52, s52, 48
	s_addc_u32 s53, s53, 0
	s_waitcnt vmcnt(0) lgkmcnt(0)
	v_mul_hi_u32 v1, s13, v4
	v_add_u32_e32 v1, v4, v1
	v_lshrrev_b32_e32 v1, s14, v1
	v_mul_lo_u32 v3, v1, s12
	v_mul_hi_u32 v5, s16, v1
	v_sub_u32_e32 v3, v4, v3
	v_add_u32_e32 v4, v1, v5
	v_lshrrev_b32_e32 v4, s17, v4
	v_mul_lo_u32 v6, v4, s15
	v_mul_hi_u32 v7, s19, v4
	v_sub_u32_e32 v1, v1, v6
	v_add_u32_e32 v6, v4, v7
	v_mul_lo_u32 v5, v3, s5
	v_mul_lo_u32 v3, v3, s4
	;; [unrolled: 1-line block ×4, first 2 shown]
	v_lshrrev_b32_e32 v6, s36, v6
	v_add3_u32 v0, v3, v0, v1
	v_mul_hi_u32 v3, s38, v6
	v_add3_u32 v1, v5, v2, v7
	v_mul_lo_u32 v2, v6, s18
	v_add_u32_e32 v3, v6, v3
	v_sub_u32_e32 v2, v4, v2
	v_lshrrev_b32_e32 v4, s39, v3
	s_add_i32 s77, s77, 4
	v_mul_lo_u32 v3, v4, s37
	s_add_u32 s50, s50, 32
	v_sub_u32_e32 v3, v6, v3
	s_addc_u32 s51, s51, 0
	v_mul_lo_u32 v5, v2, s8
	v_mul_lo_u32 v2, v2, s9
	v_mul_lo_u32 v6, v3, s10
	v_mul_lo_u32 v3, v3, s11
	s_cmp_eq_u32 s75, s77
	v_add3_u32 v2, v2, v1, v3
	v_add3_u32 v0, v5, v0, v6
	s_cbranch_scc0 .LBB185_954
; %bb.955:
	v_mov_b32_e32 v1, v2
	s_branch .LBB185_959
.LBB185_956:
	s_mov_b64 s[4:5], -1
                                        ; implicit-def: $vgpr2
                                        ; implicit-def: $vgpr0
	s_branch .LBB185_963
.LBB185_957:
	v_mov_b32_e32 v2, 0
	v_mov_b32_e32 v0, 0
	s_branch .LBB185_962
.LBB185_958:
	v_mov_b32_e32 v0, 0
	s_mov_b32 s75, 0
	s_waitcnt vmcnt(0)
	v_mov_b32_e32 v1, v0
                                        ; implicit-def: $vgpr2
	v_mov_b32_e32 v4, v8
.LBB185_959:
	s_and_b32 s8, s76, 3
	s_cmp_eq_u32 s8, 0
	s_cbranch_scc1 .LBB185_962
; %bb.960:
	s_lshl_b32 s4, s75, 3
	s_add_u32 s4, s34, s4
	s_addc_u32 s5, s35, 0
	s_add_u32 s4, s4, 0xc4
	s_addc_u32 s5, s5, 0
	s_mul_i32 s6, s75, 12
	s_add_u32 s6, s34, s6
	s_addc_u32 s7, s35, 0
.LBB185_961:                            ; =>This Inner Loop Header: Depth=1
	s_load_dwordx2 s[10:11], s[6:7], 0x4
	s_load_dword s9, s[6:7], 0xc
	s_load_dwordx2 s[12:13], s[4:5], 0x0
	v_mov_b32_e32 v2, v1
	s_add_u32 s6, s6, 12
	s_waitcnt lgkmcnt(0)
	v_mul_hi_u32 v1, s11, v4
	v_add_u32_e32 v1, v4, v1
	v_lshrrev_b32_e32 v1, s9, v1
	s_addc_u32 s7, s7, 0
	v_mul_lo_u32 v3, v1, s10
	s_add_u32 s4, s4, 8
	v_sub_u32_e32 v5, v4, v3
	s_addc_u32 s5, s5, 0
	s_add_i32 s8, s8, -1
	v_mov_b32_e32 v4, v1
	v_mad_u64_u32 v[2:3], s[10:11], v5, s13, v[2:3]
	v_mad_u64_u32 v[0:1], s[10:11], v5, s12, v[0:1]
	s_cmp_lg_u32 s8, 0
	v_mov_b32_e32 v1, v2
	s_cbranch_scc1 .LBB185_961
.LBB185_962:
	s_mov_b64 s[4:5], 0
.LBB185_963:
	s_andn2_b64 vcc, exec, s[4:5]
	s_cbranch_vccnz .LBB185_966
; %bb.964:
	s_waitcnt lgkmcnt(0)
	v_mul_hi_u32 v0, s29, v8
	v_add_u32_e32 v0, v8, v0
	s_waitcnt vmcnt(0)
	v_lshrrev_b32_e32 v1, s30, v0
	v_mul_lo_u32 v0, v1, s28
	v_sub_u32_e32 v0, v8, v0
	v_mul_lo_u32 v2, v0, s25
	s_andn2_b64 vcc, exec, s[48:49]
	v_mul_lo_u32 v0, v0, s24
	s_cbranch_vccnz .LBB185_966
; %bb.965:
	v_mul_hi_u32 v3, s46, v1
	v_add_u32_e32 v3, v1, v3
	v_lshrrev_b32_e32 v3, s47, v3
	v_mul_lo_u32 v3, v3, s31
	v_sub_u32_e32 v3, v1, v3
	v_mad_u64_u32 v[0:1], s[4:5], v3, s26, v[0:1]
	v_mad_u64_u32 v[2:3], s[4:5], v3, s27, v[2:3]
.LBB185_966:
	v_mov_b32_e32 v3, 0
	s_and_b32 s14, 0xffff, s74
	s_cmp_lt_i32 s14, 11
	s_waitcnt lgkmcnt(0)
	v_lshl_add_u64 v[2:3], s[22:23], 0, v[2:3]
	s_cbranch_scc1 .LBB185_973
; %bb.967:
	s_cmp_gt_i32 s14, 25
	s_mov_b64 s[6:7], 0
	s_cbranch_scc0 .LBB185_974
; %bb.968:
	s_cmp_gt_i32 s14, 28
	s_cbranch_scc0 .LBB185_975
; %bb.969:
	s_cmp_gt_i32 s14, 43
	;; [unrolled: 3-line block ×3, first 2 shown]
	s_cbranch_scc0 .LBB185_979
; %bb.971:
	s_cmp_eq_u32 s14, 46
	s_mov_b64 s[10:11], 0
	s_cbranch_scc0 .LBB185_982
; %bb.972:
	global_load_dword v1, v[2:3], off
	s_mov_b64 s[4:5], 0
	s_mov_b64 s[8:9], -1
	s_waitcnt vmcnt(0)
	v_and_b32_e32 v4, 0xffff0000, v1
	v_lshlrev_b32_e32 v1, 16, v1
	v_cvt_f16_f32_e32 v1, v1
	v_cvt_f16_f32_e32 v6, v4
	s_branch .LBB185_983
.LBB185_973:
	s_mov_b64 s[10:11], -1
	s_mov_b64 s[8:9], 0
	s_mov_b64 s[6:7], 0
	;; [unrolled: 1-line block ×3, first 2 shown]
                                        ; implicit-def: $vgpr6
                                        ; implicit-def: $vgpr1
	s_branch .LBB185_1049
.LBB185_974:
	s_mov_b64 s[10:11], -1
	s_mov_b64 s[8:9], 0
	s_mov_b64 s[4:5], s[2:3]
                                        ; implicit-def: $vgpr6
                                        ; implicit-def: $vgpr1
	s_branch .LBB185_1014
.LBB185_975:
	s_mov_b64 s[10:11], -1
	s_mov_b64 s[8:9], 0
	s_mov_b64 s[4:5], s[2:3]
                                        ; implicit-def: $vgpr6
                                        ; implicit-def: $vgpr1
	s_branch .LBB185_995
.LBB185_976:
	s_mov_b64 s[10:11], -1
	s_mov_b64 s[8:9], 0
	s_mov_b64 s[4:5], s[2:3]
                                        ; implicit-def: $vgpr6
                                        ; implicit-def: $vgpr1
	s_branch .LBB185_989
.LBB185_977:
	s_andn2_saveexec_b64 s[10:11], s[10:11]
	s_cbranch_execz .LBB185_856
.LBB185_978:
	s_mov_b32 s14, 0x46000000
	v_add_f32_e64 v6, |v3|, s14
	v_and_b32_e32 v6, 0xff, v6
	v_cmp_ne_u32_e32 vcc, 0, v6
	s_andn2_b64 s[8:9], s[8:9], exec
	s_and_b64 s[14:15], vcc, exec
	s_or_b64 s[8:9], s[8:9], s[14:15]
	s_or_b64 exec, exec, s[10:11]
	v_mov_b32_e32 v7, 0
	s_and_saveexec_b64 s[10:11], s[8:9]
	s_cbranch_execnz .LBB185_857
	s_branch .LBB185_858
.LBB185_979:
	s_mov_b64 s[10:11], -1
	s_mov_b64 s[8:9], 0
	s_mov_b64 s[4:5], s[2:3]
                                        ; implicit-def: $vgpr6
                                        ; implicit-def: $vgpr1
	s_branch .LBB185_983
.LBB185_980:
	s_andn2_saveexec_b64 s[10:11], s[10:11]
	s_cbranch_execz .LBB185_869
.LBB185_981:
	s_mov_b32 s14, 0x42800000
	v_add_f32_e64 v6, |v3|, s14
	v_and_b32_e32 v6, 0xff, v6
	v_cmp_ne_u32_e32 vcc, 0, v6
	s_andn2_b64 s[8:9], s[8:9], exec
	s_and_b64 s[14:15], vcc, exec
	s_or_b64 s[8:9], s[8:9], s[14:15]
	s_or_b64 exec, exec, s[10:11]
	v_mov_b32_e32 v7, 0
	s_and_saveexec_b64 s[10:11], s[8:9]
	s_cbranch_execnz .LBB185_870
	s_branch .LBB185_871
.LBB185_982:
	s_mov_b64 s[4:5], -1
                                        ; implicit-def: $vgpr6
                                        ; implicit-def: $vgpr1
	s_mov_b64 s[8:9], 0
.LBB185_983:
	s_and_b64 vcc, exec, s[10:11]
	s_cbranch_vccz .LBB185_988
; %bb.984:
	s_cmp_eq_u32 s14, 44
	s_cbranch_scc0 .LBB185_986
; %bb.985:
	global_load_ubyte v1, v[2:3], off
	s_movk_i32 s8, 0xff
	v_mov_b32_e32 v5, 0x7e00
	s_mov_b64 s[4:5], 0
	s_waitcnt vmcnt(0)
	v_lshlrev_b32_e32 v4, 23, v1
	v_cvt_f16_f32_e32 v4, v4
	v_cmp_ne_u32_e32 vcc, s8, v1
	s_mov_b64 s[8:9], -1
	s_nop 0
	v_cndmask_b32_e32 v4, v5, v4, vcc
	v_cmp_ne_u32_e32 vcc, 0, v1
	s_nop 1
	v_cndmask_b32_e32 v1, 0, v4, vcc
	s_branch .LBB185_987
.LBB185_986:
	s_mov_b64 s[4:5], -1
                                        ; implicit-def: $vgpr1
.LBB185_987:
	v_mov_b32_e32 v6, 0
.LBB185_988:
	s_mov_b64 s[10:11], 0
.LBB185_989:
	s_and_b64 vcc, exec, s[10:11]
	s_cbranch_vccz .LBB185_994
; %bb.990:
	s_cmp_eq_u32 s14, 29
	s_cbranch_scc0 .LBB185_992
; %bb.991:
	global_load_dwordx2 v[4:5], v[2:3], off
	s_mov_b64 s[4:5], 0
	s_mov_b64 s[8:9], -1
	s_waitcnt vmcnt(0)
	v_ffbh_u32_e32 v1, v5
	v_min_u32_e32 v1, 32, v1
	v_lshlrev_b64 v[4:5], v1, v[4:5]
	v_min_u32_e32 v4, 1, v4
	v_or_b32_e32 v4, v5, v4
	v_cvt_f32_u32_e32 v4, v4
	v_sub_u32_e32 v1, 32, v1
	v_ldexp_f32 v1, v4, v1
	v_cvt_f16_f32_e32 v1, v1
	s_branch .LBB185_993
.LBB185_992:
	s_mov_b64 s[4:5], -1
                                        ; implicit-def: $vgpr1
.LBB185_993:
	v_mov_b32_e32 v6, 0
.LBB185_994:
	s_mov_b64 s[10:11], 0
.LBB185_995:
	s_and_b64 vcc, exec, s[10:11]
	s_cbranch_vccz .LBB185_1013
; %bb.996:
	s_cmp_lt_i32 s14, 27
	s_cbranch_scc1 .LBB185_999
; %bb.997:
	s_cmp_gt_i32 s14, 27
	s_cbranch_scc0 .LBB185_1000
; %bb.998:
	global_load_dword v1, v[2:3], off
	s_mov_b64 s[8:9], 0
	s_waitcnt vmcnt(0)
	v_cvt_f32_u32_e32 v1, v1
	v_cvt_f16_f32_e32 v1, v1
	s_branch .LBB185_1001
.LBB185_999:
	s_mov_b64 s[8:9], -1
                                        ; implicit-def: $vgpr1
	s_branch .LBB185_1004
.LBB185_1000:
	s_mov_b64 s[8:9], -1
                                        ; implicit-def: $vgpr1
.LBB185_1001:
	s_andn2_b64 vcc, exec, s[8:9]
	s_cbranch_vccnz .LBB185_1003
; %bb.1002:
	global_load_ushort v1, v[2:3], off
	s_waitcnt vmcnt(0)
	v_cvt_f16_u16_e32 v1, v1
.LBB185_1003:
	s_mov_b64 s[8:9], 0
.LBB185_1004:
	s_andn2_b64 vcc, exec, s[8:9]
	s_cbranch_vccnz .LBB185_1012
; %bb.1005:
	global_load_ubyte v4, v[2:3], off
	s_movk_i32 s8, 0x7f
	s_waitcnt vmcnt(0)
	v_cmp_lt_i16_e32 vcc, s8, v4
	s_mov_b64 s[8:9], 0
	s_and_saveexec_b64 s[10:11], vcc
	s_xor_b64 s[10:11], exec, s[10:11]
	s_cbranch_execz .LBB185_1026
; %bb.1006:
	s_movk_i32 s8, 0x80
	v_cmp_eq_u16_e32 vcc, s8, v4
	s_mov_b64 s[8:9], -1
	s_and_saveexec_b64 s[12:13], vcc
; %bb.1007:
	s_xor_b64 s[8:9], exec, -1
; %bb.1008:
	s_or_b64 exec, exec, s[12:13]
	s_and_b64 s[8:9], s[8:9], exec
	s_or_saveexec_b64 s[10:11], s[10:11]
	v_mov_b32_e32 v1, 0x7e00
	s_xor_b64 exec, exec, s[10:11]
	s_cbranch_execnz .LBB185_1027
.LBB185_1009:
	s_or_b64 exec, exec, s[10:11]
	s_and_saveexec_b64 s[10:11], s[8:9]
	s_cbranch_execz .LBB185_1011
.LBB185_1010:
	v_lshlrev_b32_e32 v1, 24, v4
	v_and_b32_e32 v4, 0xffff, v4
	v_and_b32_e32 v5, 7, v4
	v_ffbh_u32_e32 v7, v5
	v_min_u32_e32 v7, 32, v7
	v_subrev_u32_e32 v8, 28, v7
	v_bfe_u32 v6, v4, 3, 4
	v_lshlrev_b32_e32 v4, v8, v4
	v_sub_u32_e32 v7, 29, v7
	v_and_b32_e32 v4, 7, v4
	v_cmp_eq_u32_e32 vcc, 0, v6
	v_and_b32_e32 v1, 0x80000000, v1
	s_nop 0
	v_cndmask_b32_e32 v6, v6, v7, vcc
	v_cndmask_b32_e32 v4, v5, v4, vcc
	v_mov_b32_e32 v5, 0x3b800000
	v_lshlrev_b32_e32 v4, 20, v4
	v_lshl_add_u32 v5, v6, 23, v5
	v_or3_b32 v1, v1, v5, v4
	v_cvt_f16_f32_e32 v1, v1
.LBB185_1011:
	s_or_b64 exec, exec, s[10:11]
.LBB185_1012:
	s_mov_b64 s[8:9], -1
	v_mov_b32_e32 v6, 0
.LBB185_1013:
	s_mov_b64 s[10:11], 0
.LBB185_1014:
	s_and_b64 vcc, exec, s[10:11]
	s_cbranch_vccz .LBB185_1048
; %bb.1015:
	s_cmp_gt_i32 s14, 22
	s_cbranch_scc0 .LBB185_1025
; %bb.1016:
	s_cmp_lt_i32 s14, 24
	s_cbranch_scc1 .LBB185_1028
; %bb.1017:
	s_cmp_gt_i32 s14, 24
	s_cbranch_scc0 .LBB185_1029
; %bb.1018:
	global_load_ubyte v4, v[2:3], off
	s_movk_i32 s6, 0x7f
	s_waitcnt vmcnt(0)
	v_cmp_lt_i16_e32 vcc, s6, v4
	s_mov_b64 s[6:7], 0
	s_and_saveexec_b64 s[8:9], vcc
	s_xor_b64 s[8:9], exec, s[8:9]
	s_cbranch_execz .LBB185_1041
; %bb.1019:
	s_movk_i32 s6, 0x80
	v_cmp_eq_u16_e32 vcc, s6, v4
	s_mov_b64 s[6:7], -1
	s_and_saveexec_b64 s[10:11], vcc
; %bb.1020:
	s_xor_b64 s[6:7], exec, -1
; %bb.1021:
	s_or_b64 exec, exec, s[10:11]
	s_and_b64 s[6:7], s[6:7], exec
	s_or_saveexec_b64 s[8:9], s[8:9]
	v_mov_b32_e32 v1, 0x7e00
	s_xor_b64 exec, exec, s[8:9]
	s_cbranch_execnz .LBB185_1042
.LBB185_1022:
	s_or_b64 exec, exec, s[8:9]
	s_and_saveexec_b64 s[8:9], s[6:7]
	s_cbranch_execz .LBB185_1024
.LBB185_1023:
	v_lshlrev_b32_e32 v1, 24, v4
	v_and_b32_e32 v4, 0xffff, v4
	v_and_b32_e32 v5, 3, v4
	v_ffbh_u32_e32 v7, v5
	v_min_u32_e32 v7, 32, v7
	v_subrev_u32_e32 v8, 29, v7
	v_bfe_u32 v6, v4, 2, 5
	v_lshlrev_b32_e32 v4, v8, v4
	v_sub_u32_e32 v7, 30, v7
	v_and_b32_e32 v4, 3, v4
	v_cmp_eq_u32_e32 vcc, 0, v6
	v_and_b32_e32 v1, 0x80000000, v1
	s_nop 0
	v_cndmask_b32_e32 v6, v6, v7, vcc
	v_cndmask_b32_e32 v4, v5, v4, vcc
	v_mov_b32_e32 v5, 0x37800000
	v_lshlrev_b32_e32 v4, 21, v4
	v_lshl_add_u32 v5, v6, 23, v5
	v_or3_b32 v1, v1, v5, v4
	v_cvt_f16_f32_e32 v1, v1
.LBB185_1024:
	s_or_b64 exec, exec, s[8:9]
	s_mov_b64 s[6:7], 0
	s_branch .LBB185_1030
.LBB185_1025:
	s_mov_b64 s[6:7], -1
                                        ; implicit-def: $vgpr1
	s_branch .LBB185_1036
.LBB185_1026:
	s_or_saveexec_b64 s[10:11], s[10:11]
	v_mov_b32_e32 v1, 0x7e00
	s_xor_b64 exec, exec, s[10:11]
	s_cbranch_execz .LBB185_1009
.LBB185_1027:
	v_cmp_ne_u16_e32 vcc, 0, v4
	s_andn2_b64 s[8:9], s[8:9], exec
	s_and_b64 s[12:13], vcc, exec
	s_or_b64 s[8:9], s[8:9], s[12:13]
	v_mov_b32_e32 v1, v4
	s_or_b64 exec, exec, s[10:11]
	s_and_saveexec_b64 s[10:11], s[8:9]
	s_cbranch_execnz .LBB185_1010
	s_branch .LBB185_1011
.LBB185_1028:
	s_mov_b64 s[6:7], -1
                                        ; implicit-def: $vgpr1
	s_branch .LBB185_1033
.LBB185_1029:
	s_mov_b64 s[6:7], -1
                                        ; implicit-def: $vgpr1
.LBB185_1030:
	s_and_b64 vcc, exec, s[6:7]
	s_cbranch_vccz .LBB185_1032
; %bb.1031:
	global_load_ubyte v1, v[2:3], off
	s_mov_b32 s6, 0x7f800000
	s_waitcnt vmcnt(0)
	v_lshlrev_b32_e32 v1, 24, v1
	v_and_b32_e32 v4, 0x7f000000, v1
	v_ffbh_u32_e32 v5, v4
	v_min_u32_e32 v5, 32, v5
	v_sub_u32_e64 v5, v5, 4 clamp
	v_lshlrev_b32_e32 v7, v5, v4
	v_lshlrev_b32_e32 v5, 23, v5
	v_lshrrev_b32_e32 v7, 4, v7
	v_add_u32_e32 v6, 0x1000000, v4
	v_sub_u32_e32 v5, v7, v5
	v_ashrrev_i32_e32 v6, 8, v6
	v_add_u32_e32 v5, 0x3c000000, v5
	v_and_or_b32 v5, v6, s6, v5
	v_cmp_ne_u32_e32 vcc, 0, v4
	s_brev_b32 s6, 1
	s_nop 0
	v_cndmask_b32_e32 v4, 0, v5, vcc
	v_and_or_b32 v1, v1, s6, v4
	v_cvt_f16_f32_e32 v1, v1
.LBB185_1032:
	s_mov_b64 s[6:7], 0
.LBB185_1033:
	s_andn2_b64 vcc, exec, s[6:7]
	s_cbranch_vccnz .LBB185_1035
; %bb.1034:
	global_load_ubyte v1, v[2:3], off
	s_movk_i32 s6, 0x7f00
	s_brev_b32 s7, 16
	s_waitcnt vmcnt(0)
	v_lshlrev_b16_e32 v4, 8, v1
	v_lshlrev_b32_e32 v1, 25, v1
	v_lshrrev_b32_e32 v5, 4, v1
	v_and_or_b32 v6, v4, s6, 0.5
	v_or_b32_e32 v5, 0x70000000, v5
	v_add_f32_e32 v6, -0.5, v6
	v_mul_f32_e32 v5, 0x7800000, v5
	v_cmp_gt_u32_e32 vcc, s7, v1
	v_bfe_i32 v4, v4, 0, 16
	s_brev_b32 s6, 1
	v_cndmask_b32_e32 v1, v5, v6, vcc
	v_and_or_b32 v1, v4, s6, v1
	v_cvt_f16_f32_e32 v1, v1
.LBB185_1035:
	s_mov_b64 s[6:7], 0
	s_mov_b64 s[8:9], -1
.LBB185_1036:
	s_andn2_b64 vcc, exec, s[6:7]
	s_mov_b64 s[6:7], 0
	s_cbranch_vccnz .LBB185_1047
; %bb.1037:
	s_cmp_gt_i32 s14, 14
	s_cbranch_scc0 .LBB185_1040
; %bb.1038:
	s_cmp_eq_u32 s14, 15
	s_cbranch_scc0 .LBB185_1043
; %bb.1039:
	global_load_ushort v1, v[2:3], off
	s_mov_b64 s[4:5], 0
	s_mov_b64 s[8:9], -1
	s_waitcnt vmcnt(0)
	v_lshlrev_b32_e32 v1, 16, v1
	v_cvt_f16_f32_e32 v1, v1
	s_branch .LBB185_1044
.LBB185_1040:
	s_mov_b64 s[10:11], -1
                                        ; implicit-def: $vgpr1
	s_branch .LBB185_1045
.LBB185_1041:
	s_or_saveexec_b64 s[8:9], s[8:9]
	v_mov_b32_e32 v1, 0x7e00
	s_xor_b64 exec, exec, s[8:9]
	s_cbranch_execz .LBB185_1022
.LBB185_1042:
	v_cmp_ne_u16_e32 vcc, 0, v4
	s_andn2_b64 s[6:7], s[6:7], exec
	s_and_b64 s[10:11], vcc, exec
	s_or_b64 s[6:7], s[6:7], s[10:11]
	v_mov_b32_e32 v1, v4
	s_or_b64 exec, exec, s[8:9]
	s_and_saveexec_b64 s[8:9], s[6:7]
	s_cbranch_execnz .LBB185_1023
	s_branch .LBB185_1024
.LBB185_1043:
	s_mov_b64 s[4:5], -1
                                        ; implicit-def: $vgpr1
.LBB185_1044:
	s_mov_b64 s[10:11], 0
.LBB185_1045:
	s_and_b64 vcc, exec, s[10:11]
	s_cbranch_vccz .LBB185_1047
; %bb.1046:
	s_cmp_lg_u32 s14, 11
	s_cselect_b64 s[10:11], -1, 0
	s_andn2_b64 s[4:5], s[4:5], exec
	s_and_b64 s[10:11], s[10:11], exec
	s_mov_b64 s[6:7], -1
	s_or_b64 s[4:5], s[4:5], s[10:11]
.LBB185_1047:
	v_mov_b32_e32 v6, 0
.LBB185_1048:
	s_mov_b64 s[10:11], 0
.LBB185_1049:
	s_andn2_b64 s[12:13], s[2:3], exec
	s_and_b64 s[4:5], s[4:5], exec
	s_and_b64 s[8:9], s[8:9], exec
	;; [unrolled: 1-line block ×4, first 2 shown]
	s_or_b64 s[12:13], s[12:13], s[4:5]
.LBB185_1050:
	s_or_b64 exec, exec, s[70:71]
	s_and_b64 s[4:5], s[6:7], exec
	s_andn2_b64 s[2:3], s[2:3], exec
	s_and_b64 s[6:7], s[12:13], exec
	s_and_b64 s[8:9], s[8:9], exec
	;; [unrolled: 1-line block ×3, first 2 shown]
	s_or_b64 s[2:3], s[2:3], s[6:7]
.LBB185_1051:
	s_or_b64 exec, exec, s[66:67]
	s_andn2_b64 s[6:7], s[62:63], exec
	s_and_b64 s[12:13], s[68:69], exec
	s_or_b64 s[62:63], s[6:7], s[12:13]
	s_and_b64 s[6:7], s[10:11], exec
	s_andn2_b64 s[10:11], s[60:61], exec
	s_and_b64 s[2:3], s[2:3], exec
	s_and_b64 s[8:9], s[8:9], exec
	;; [unrolled: 1-line block ×3, first 2 shown]
	s_or_b64 s[60:61], s[10:11], s[2:3]
.LBB185_1052:
	s_or_b64 exec, exec, s[64:65]
	s_andn2_b64 s[2:3], s[54:55], exec
	s_and_b64 s[10:11], s[62:63], exec
	s_or_b64 s[54:55], s[2:3], s[10:11]
	s_and_b64 s[2:3], s[8:9], exec
	s_and_b64 s[8:9], s[6:7], exec
	;; [unrolled: 1-line block ×3, first 2 shown]
	s_andn2_b64 s[4:5], s[56:57], exec
	s_and_b64 s[6:7], s[60:61], exec
	s_or_b64 s[56:57], s[4:5], s[6:7]
	s_or_b64 exec, exec, s[58:59]
	s_mov_b64 s[6:7], 0
	s_and_saveexec_b64 s[4:5], s[56:57]
	s_cbranch_execz .LBB185_318
.LBB185_1053:
	s_mov_b64 s[6:7], exec
	s_andn2_b64 s[62:63], s[62:63], exec
	s_trap 2
	s_or_b64 exec, exec, s[4:5]
	s_and_saveexec_b64 s[4:5], s[62:63]
	s_xor_b64 s[4:5], exec, s[4:5]
	s_cbranch_execnz .LBB185_319
.LBB185_1054:
	s_or_b64 exec, exec, s[4:5]
	s_and_saveexec_b64 s[4:5], s[8:9]
	s_cbranch_execz .LBB185_1102
.LBB185_1055:
	s_sext_i32_i16 s8, s74
	s_cmp_lt_i32 s8, 5
	s_cbranch_scc1 .LBB185_1060
; %bb.1056:
	s_cmp_lt_i32 s8, 8
	s_cbranch_scc1 .LBB185_1061
; %bb.1057:
	;; [unrolled: 3-line block ×3, first 2 shown]
	s_cmp_gt_i32 s8, 9
	s_cbranch_scc0 .LBB185_1063
; %bb.1059:
	global_load_dwordx4 v[4:7], v[2:3], off
	s_movk_i32 s8, 0x1ff
	s_movk_i32 s9, 0xffe
	s_waitcnt vmcnt(1)
	v_mov_b32_e32 v1, 0x7c00
	v_mov_b32_e32 v8, 0x7e00
	s_movk_i32 s10, 0x40f
	s_mov_b32 s11, 0x8000
	s_waitcnt vmcnt(0)
	v_and_or_b32 v4, v5, s8, v4
	v_and_or_b32 v6, v7, s8, v6
	v_cmp_ne_u32_e32 vcc, 0, v4
	v_lshrrev_b32_e32 v9, 8, v5
	v_bfe_u32 v10, v5, 20, 11
	v_cndmask_b32_e64 v4, 0, 1, vcc
	v_cmp_ne_u32_e32 vcc, 0, v6
	v_lshrrev_b32_e32 v11, 8, v7
	v_bfe_u32 v12, v7, 20, 11
	v_cndmask_b32_e64 v6, 0, 1, vcc
	v_and_or_b32 v4, v9, s9, v4
	v_sub_u32_e32 v13, 0x3f1, v10
	v_add_u32_e32 v10, 0xfffffc10, v10
	v_sub_u32_e32 v14, 0x3f1, v12
	v_and_or_b32 v6, v11, s9, v6
	v_cmp_ne_u32_e32 vcc, 0, v4
	v_add_u32_e32 v12, 0xfffffc10, v12
	v_med3_i32 v9, v13, 0, 13
	v_med3_i32 v11, v14, 0, 13
	v_or_b32_e32 v13, 0x1000, v4
	v_lshl_or_b32 v14, v10, 12, v4
	v_cndmask_b32_e32 v4, v1, v8, vcc
	v_cmp_ne_u32_e32 vcc, 0, v6
	v_or_b32_e32 v15, 0x1000, v6
	v_lshl_or_b32 v16, v12, 12, v6
	v_cndmask_b32_e32 v6, v1, v8, vcc
	v_lshrrev_b32_e32 v8, v9, v13
	v_lshrrev_b32_e32 v17, v11, v15
	v_lshlrev_b32_e32 v9, v9, v8
	v_lshlrev_b32_e32 v11, v11, v17
	v_cmp_ne_u32_e32 vcc, v9, v13
	v_lshrrev_b32_e32 v5, 16, v5
	v_lshrrev_b32_e32 v7, 16, v7
	v_cndmask_b32_e64 v9, 0, 1, vcc
	v_cmp_ne_u32_e32 vcc, v11, v15
	v_or_b32_e32 v8, v8, v9
	s_mov_b64 s[8:9], 0
	v_cndmask_b32_e64 v11, 0, 1, vcc
	v_cmp_gt_i32_e32 vcc, 1, v10
	v_or_b32_e32 v9, v17, v11
	s_nop 0
	v_cndmask_b32_e32 v8, v14, v8, vcc
	v_cmp_gt_i32_e32 vcc, 1, v12
	v_and_b32_e32 v11, 7, v8
	v_lshrrev_b32_e32 v8, 2, v8
	v_cndmask_b32_e32 v9, v16, v9, vcc
	v_cmp_lt_i32_e32 vcc, 5, v11
	v_and_b32_e32 v13, 7, v9
	v_lshrrev_b32_e32 v9, 2, v9
	v_cndmask_b32_e64 v14, 0, 1, vcc
	v_cmp_eq_u32_e32 vcc, 3, v11
	s_nop 1
	v_cndmask_b32_e64 v11, 0, 1, vcc
	v_cmp_lt_i32_e32 vcc, 5, v13
	v_or_b32_e32 v11, v11, v14
	v_add_u32_e32 v8, v8, v11
	v_cndmask_b32_e64 v15, 0, 1, vcc
	v_cmp_eq_u32_e32 vcc, 3, v13
	s_nop 1
	v_cndmask_b32_e64 v13, 0, 1, vcc
	v_or_b32_e32 v13, v13, v15
	v_cmp_gt_i32_e32 vcc, 31, v10
	v_add_u32_e32 v9, v9, v13
	s_nop 0
	v_cndmask_b32_e32 v8, v1, v8, vcc
	v_cmp_gt_i32_e32 vcc, 31, v12
	s_nop 1
	v_cndmask_b32_e32 v1, v1, v9, vcc
	v_cmp_eq_u32_e32 vcc, s10, v10
	s_nop 1
	v_cndmask_b32_e32 v4, v8, v4, vcc
	v_cmp_eq_u32_e32 vcc, s10, v12
	s_nop 1
	v_cndmask_b32_e32 v6, v1, v6, vcc
	v_and_or_b32 v1, v5, s11, v4
	v_and_or_b32 v6, v7, s11, v6
	s_branch .LBB185_1064
.LBB185_1060:
                                        ; implicit-def: $vgpr6
                                        ; implicit-def: $vgpr1
	s_branch .LBB185_1082
.LBB185_1061:
                                        ; implicit-def: $vgpr6
                                        ; implicit-def: $vgpr1
	s_branch .LBB185_1070
.LBB185_1062:
	s_mov_b64 s[8:9], -1
                                        ; implicit-def: $vgpr6
                                        ; implicit-def: $vgpr1
	s_branch .LBB185_1067
.LBB185_1063:
	s_mov_b64 s[8:9], -1
                                        ; implicit-def: $vgpr6
                                        ; implicit-def: $vgpr1
.LBB185_1064:
	s_andn2_b64 vcc, exec, s[8:9]
	s_cbranch_vccnz .LBB185_1066
; %bb.1065:
	global_load_dwordx2 v[4:5], v[2:3], off
	s_waitcnt vmcnt(0)
	v_cvt_f16_f32_e32 v1, v4
	v_cvt_f16_f32_e32 v6, v5
.LBB185_1066:
	s_mov_b64 s[8:9], 0
.LBB185_1067:
	s_andn2_b64 vcc, exec, s[8:9]
	s_cbranch_vccnz .LBB185_1069
; %bb.1068:
	global_load_dword v1, v[2:3], off
	s_waitcnt vmcnt(0)
	v_lshrrev_b32_e32 v6, 16, v1
.LBB185_1069:
	s_cbranch_execnz .LBB185_1081
.LBB185_1070:
	s_sext_i32_i16 s8, s74
	s_cmp_lt_i32 s8, 6
	s_cbranch_scc1 .LBB185_1073
; %bb.1071:
	s_cmp_gt_i32 s8, 6
	s_cbranch_scc0 .LBB185_1074
; %bb.1072:
	global_load_dwordx2 v[4:5], v[2:3], off
	s_movk_i32 s8, 0x1ff
	s_movk_i32 s9, 0xffe
	s_waitcnt vmcnt(1)
	v_mov_b32_e32 v1, 0x7c00
	v_mov_b32_e32 v6, 0x7e00
	s_movk_i32 s10, 0x40f
	s_mov_b32 s11, 0x8000
	s_waitcnt vmcnt(0)
	v_and_or_b32 v4, v5, s8, v4
	v_cmp_ne_u32_e32 vcc, 0, v4
	v_lshrrev_b32_e32 v7, 8, v5
	v_bfe_u32 v8, v5, 20, 11
	v_cndmask_b32_e64 v4, 0, 1, vcc
	v_sub_u32_e32 v9, 0x3f1, v8
	v_and_or_b32 v4, v7, s9, v4
	v_add_u32_e32 v8, 0xfffffc10, v8
	v_med3_i32 v7, v9, 0, 13
	v_or_b32_e32 v9, 0x1000, v4
	v_cmp_ne_u32_e32 vcc, 0, v4
	v_lshl_or_b32 v10, v8, 12, v4
	v_lshrrev_b32_e32 v5, 16, v5
	v_cndmask_b32_e32 v4, v1, v6, vcc
	v_lshrrev_b32_e32 v6, v7, v9
	v_lshlrev_b32_e32 v7, v7, v6
	v_cmp_ne_u32_e32 vcc, v7, v9
	s_mov_b64 s[8:9], 0
	s_nop 0
	v_cndmask_b32_e64 v7, 0, 1, vcc
	v_or_b32_e32 v6, v6, v7
	v_cmp_gt_i32_e32 vcc, 1, v8
	s_nop 1
	v_cndmask_b32_e32 v6, v10, v6, vcc
	v_and_b32_e32 v7, 7, v6
	v_cmp_lt_i32_e32 vcc, 5, v7
	v_lshrrev_b32_e32 v6, 2, v6
	s_nop 0
	v_cndmask_b32_e64 v9, 0, 1, vcc
	v_cmp_eq_u32_e32 vcc, 3, v7
	s_nop 1
	v_cndmask_b32_e64 v7, 0, 1, vcc
	v_or_b32_e32 v7, v7, v9
	v_add_u32_e32 v6, v6, v7
	v_cmp_gt_i32_e32 vcc, 31, v8
	s_nop 1
	v_cndmask_b32_e32 v1, v1, v6, vcc
	v_cmp_eq_u32_e32 vcc, s10, v8
	s_nop 1
	v_cndmask_b32_e32 v1, v1, v4, vcc
	v_and_or_b32 v1, v5, s11, v1
	s_branch .LBB185_1075
.LBB185_1073:
	s_mov_b64 s[8:9], -1
                                        ; implicit-def: $vgpr1
	s_branch .LBB185_1078
.LBB185_1074:
	s_mov_b64 s[8:9], -1
                                        ; implicit-def: $vgpr1
.LBB185_1075:
	s_andn2_b64 vcc, exec, s[8:9]
	s_cbranch_vccnz .LBB185_1077
; %bb.1076:
	global_load_dword v1, v[2:3], off
	s_waitcnt vmcnt(0)
	v_cvt_f16_f32_e32 v1, v1
.LBB185_1077:
	s_mov_b64 s[8:9], 0
.LBB185_1078:
	s_andn2_b64 vcc, exec, s[8:9]
	s_cbranch_vccnz .LBB185_1080
; %bb.1079:
	global_load_ushort v1, v[2:3], off
.LBB185_1080:
	v_mov_b32_e32 v6, 0
.LBB185_1081:
	s_cbranch_execnz .LBB185_1101
.LBB185_1082:
	s_sext_i32_i16 s8, s74
	s_cmp_lt_i32 s8, 2
	s_cbranch_scc1 .LBB185_1086
; %bb.1083:
	s_cmp_lt_i32 s8, 3
	s_cbranch_scc1 .LBB185_1087
; %bb.1084:
	s_cmp_gt_i32 s8, 3
	s_cbranch_scc0 .LBB185_1088
; %bb.1085:
	global_load_dwordx2 v[4:5], v[2:3], off
	s_mov_b64 s[8:9], 0
	s_waitcnt vmcnt(0)
	v_xor_b32_e32 v6, v4, v5
	v_ffbh_i32_e32 v1, v5
	v_ashrrev_i32_e32 v6, 31, v6
	v_add_u32_e32 v1, -1, v1
	v_add_u32_e32 v6, 32, v6
	v_min_u32_e32 v1, v1, v6
	v_lshlrev_b64 v[4:5], v1, v[4:5]
	v_min_u32_e32 v4, 1, v4
	v_or_b32_e32 v4, v5, v4
	v_cvt_f32_i32_e32 v4, v4
	v_sub_u32_e32 v1, 32, v1
	v_ldexp_f32 v1, v4, v1
	v_cvt_f16_f32_e32 v1, v1
	s_branch .LBB185_1089
.LBB185_1086:
                                        ; implicit-def: $vgpr1
	s_branch .LBB185_1095
.LBB185_1087:
	s_mov_b64 s[8:9], -1
                                        ; implicit-def: $vgpr1
	s_branch .LBB185_1092
.LBB185_1088:
	s_mov_b64 s[8:9], -1
                                        ; implicit-def: $vgpr1
.LBB185_1089:
	s_andn2_b64 vcc, exec, s[8:9]
	s_cbranch_vccnz .LBB185_1091
; %bb.1090:
	global_load_dword v1, v[2:3], off
	s_waitcnt vmcnt(0)
	v_cvt_f32_i32_e32 v1, v1
	v_cvt_f16_f32_e32 v1, v1
.LBB185_1091:
	s_mov_b64 s[8:9], 0
.LBB185_1092:
	s_andn2_b64 vcc, exec, s[8:9]
	s_cbranch_vccnz .LBB185_1094
; %bb.1093:
	global_load_ushort v1, v[2:3], off
	s_waitcnt vmcnt(0)
	v_cvt_f16_i16_e32 v1, v1
.LBB185_1094:
	s_cbranch_execnz .LBB185_1100
.LBB185_1095:
	s_sext_i32_i16 s8, s74
	s_cmp_gt_i32 s8, 0
	s_cbranch_scc0 .LBB185_1097
; %bb.1096:
	global_load_sbyte v1, v[2:3], off
	s_mov_b64 s[8:9], 0
	s_waitcnt vmcnt(0)
	v_cvt_f16_i16_e32 v1, v1
	s_branch .LBB185_1098
.LBB185_1097:
	s_mov_b64 s[8:9], -1
                                        ; implicit-def: $vgpr1
.LBB185_1098:
	s_andn2_b64 vcc, exec, s[8:9]
	s_cbranch_vccnz .LBB185_1100
; %bb.1099:
	global_load_ubyte v1, v[2:3], off
	s_waitcnt vmcnt(0)
	v_cvt_f16_u16_e32 v1, v1
.LBB185_1100:
	v_mov_b32_e32 v6, 0
.LBB185_1101:
	s_or_b64 s[2:3], s[2:3], exec
.LBB185_1102:
	s_or_b64 exec, exec, s[4:5]
	s_mov_b64 s[10:11], 0
	s_mov_b64 s[4:5], 0
                                        ; implicit-def: $sgpr16
                                        ; implicit-def: $vgpr2_vgpr3
                                        ; implicit-def: $vgpr7
                                        ; implicit-def: $vgpr5
                                        ; implicit-def: $vgpr4
	s_and_saveexec_b64 s[8:9], s[2:3]
	s_cbranch_execz .LBB185_1115
; %bb.1103:
	v_cvt_f32_f16_e32 v3, v6
	s_waitcnt vmcnt(0)
	v_cmp_neq_f16_e32 vcc, 0, v1
	v_cmp_neq_f16_e64 s[2:3], 0, v6
	s_or_b64 s[2:3], vcc, s[2:3]
	v_mov_b32_e32 v2, 0
	s_and_saveexec_b64 s[10:11], s[2:3]
	s_cbranch_execz .LBB185_1136
; %bb.1104:
	v_mov_b32_e32 v2, 0x7f800000
	v_cmp_neq_f32_e64 s[2:3], |v3|, v2
	s_and_saveexec_b64 s[12:13], s[2:3]
	s_cbranch_execz .LBB185_1135
; %bb.1105:
	v_cvt_f32_f16_e32 v6, v1
	v_cmp_o_f16_e32 vcc, v1, v1
	s_and_saveexec_b64 s[2:3], vcc
	s_xor_b64 s[14:15], exec, s[2:3]
	s_cbranch_execz .LBB185_1132
; %bb.1106:
	s_mov_b32 s2, 0x7f800000
	v_cmp_neq_f32_e64 s[2:3], |v6|, s2
	s_and_saveexec_b64 s[4:5], s[2:3]
	s_xor_b64 s[16:17], exec, s[4:5]
	s_cbranch_execz .LBB185_1125
; %bb.1107:
	v_max_f32_e64 v1, |v3|, |v3|
	v_max_f32_e64 v2, |v6|, |v6|
	v_max_f32_e32 v1, v2, v1
	s_mov_b32 s2, 0x7ed413cb
	v_cmp_nle_f32_e64 s[2:3], s2, v1
                                        ; implicit-def: $sgpr18_sgpr19
	s_and_saveexec_b64 s[4:5], s[2:3]
	s_xor_b64 s[4:5], exec, s[4:5]
	s_cbranch_execz .LBB185_1111
; %bb.1108:
	s_waitcnt lgkmcnt(0)
	s_mov_b32 s22, 0x1000000
	v_cmp_le_f32_e64 s[18:19], |v6|, s22
	v_cmp_le_f32_e64 s[22:23], |v3|, s22
	s_and_b64 s[24:25], s[18:19], s[22:23]
	s_mov_b64 s[18:19], 0
	s_and_saveexec_b64 s[22:23], s[24:25]
; %bb.1109:
	s_mov_b64 s[18:19], exec
	v_mul_f32_e32 v3, 4.0, v3
	v_mul_f32_e32 v6, 4.0, v6
; %bb.1110:
	s_or_b64 exec, exec, s[22:23]
.LBB185_1111:
	s_andn2_saveexec_b64 s[4:5], s[4:5]
; %bb.1112:
	v_mul_f32_e32 v6, 0x3e800000, v6
	v_mul_f32_e32 v3, 0x3e800000, v3
	s_andn2_b64 s[18:19], s[18:19], exec
; %bb.1113:
	s_or_b64 exec, exec, s[4:5]
	v_max_f32_e64 v1, |v3|, |v3|
	v_max_f32_e64 v2, |v6|, |v6|
	v_max_f32_e32 v1, v2, v1
	v_cvt_f64_f32_e32 v[4:5], v1
	v_frexp_exp_i32_f64_e32 v2, v[4:5]
	v_sub_u32_e32 v4, 0, v2
	v_ldexp_f32 v5, |v6|, v4
	v_ldexp_f32 v4, |v3|, v4
	v_mul_f32_e32 v4, v4, v4
	v_fmac_f32_e32 v4, v5, v5
	v_sqrt_f32_e32 v4, v4
	s_mov_b32 s4, 0x7f800000
	v_cmp_neq_f32_e64 s[4:5], s4, v1
	v_cmp_le_f32_e32 vcc, 0, v6
	v_ldexp_f32 v2, v4, v2
	v_mov_b32_e32 v4, 0x7f800000
	v_cndmask_b32_e64 v1, v4, v2, s[4:5]
                                        ; implicit-def: $vgpr4_vgpr5
	s_and_saveexec_b64 s[4:5], vcc
	s_waitcnt lgkmcnt(0)
	s_xor_b64 s[22:23], exec, s[4:5]
	s_cbranch_execz .LBB185_1118
; %bb.1114:
	v_add_f32_e32 v1, v6, v1
	v_mul_f32_e32 v1, 0.5, v1
	s_mov_b32 s4, 0xf800000
	v_mul_f32_e32 v2, 0x4f800000, v1
	v_cmp_gt_f32_e32 vcc, s4, v1
	s_nop 1
	v_cndmask_b32_e32 v1, v1, v2, vcc
	v_sqrt_f32_e32 v2, v1
	s_nop 0
	v_add_u32_e32 v4, -1, v2
	v_fma_f32 v5, -v4, v2, v1
	v_cmp_ge_f32_e64 s[4:5], 0, v5
	v_add_u32_e32 v5, 1, v2
	s_nop 0
	v_cndmask_b32_e64 v4, v2, v4, s[4:5]
	v_fma_f32 v2, -v5, v2, v1
	v_cmp_lt_f32_e64 s[4:5], 0, v2
	s_nop 1
	v_cndmask_b32_e64 v2, v4, v5, s[4:5]
	v_mul_f32_e32 v4, 0x37800000, v2
	v_cndmask_b32_e32 v2, v2, v4, vcc
	v_mov_b32_e32 v4, 0x260
	v_cmp_class_f32_e32 vcc, v1, v4
	s_nop 1
	v_cndmask_b32_e32 v4, v2, v1, vcc
	v_add_f32_e32 v1, v4, v4
	v_div_scale_f32 v2, s[4:5], v1, v1, v3
	v_rcp_f32_e32 v5, v2
	s_nop 0
	v_fma_f32 v6, -v2, v5, 1.0
	v_fmac_f32_e32 v5, v6, v5
	v_div_scale_f32 v6, vcc, v3, v1, v3
	v_mul_f32_e32 v7, v6, v5
	v_fma_f32 v8, -v2, v7, v6
	v_fmac_f32_e32 v7, v8, v5
	v_fma_f32 v2, -v2, v7, v6
	v_div_fmas_f32 v2, v2, v5, v7
	v_div_fixup_f32 v5, v2, v1, v3
                                        ; implicit-def: $vgpr1
                                        ; implicit-def: $vgpr6
                                        ; implicit-def: $vgpr3
	s_andn2_saveexec_b64 s[22:23], s[22:23]
	s_cbranch_execz .LBB185_1120
	s_branch .LBB185_1119
.LBB185_1115:
	s_or_b64 exec, exec, s[8:9]
	s_and_saveexec_b64 s[2:3], s[54:55]
	s_cbranch_execnz .LBB185_1221
.LBB185_1116:
	s_or_b64 exec, exec, s[2:3]
	s_and_saveexec_b64 s[2:3], s[10:11]
	s_xor_b64 s[2:3], exec, s[2:3]
	s_cbranch_execz .LBB185_1222
.LBB185_1117:
	v_and_b32_e32 v0, 0x7fff7fff, v7
	v_cmp_ne_u32_e32 vcc, 0, v0
	s_nop 1
	v_cndmask_b32_e64 v0, 0, 1, vcc
	global_store_byte v[2:3], v0, off
	s_or_b64 exec, exec, s[2:3]
	s_and_saveexec_b64 s[2:3], s[4:5]
	s_xor_b64 s[2:3], exec, s[2:3]
	s_cbranch_execz .LBB185_1260
	s_branch .LBB185_1223
.LBB185_1118:
	s_andn2_saveexec_b64 s[22:23], s[22:23]
	s_cbranch_execz .LBB185_1120
.LBB185_1119:
	v_sub_f32_e32 v1, v1, v6
	v_mul_f32_e32 v1, 0.5, v1
	s_mov_b32 s4, 0xf800000
	v_mul_f32_e32 v2, 0x4f800000, v1
	v_cmp_gt_f32_e32 vcc, s4, v1
	s_nop 1
	v_cndmask_b32_e32 v1, v1, v2, vcc
	v_sqrt_f32_e32 v2, v1
	s_nop 0
	v_add_u32_e32 v4, -1, v2
	v_fma_f32 v5, -v4, v2, v1
	v_cmp_ge_f32_e64 s[4:5], 0, v5
	v_add_u32_e32 v5, 1, v2
	s_nop 0
	v_cndmask_b32_e64 v4, v2, v4, s[4:5]
	v_fma_f32 v2, -v5, v2, v1
	v_cmp_lt_f32_e64 s[4:5], 0, v2
	s_nop 1
	v_cndmask_b32_e64 v2, v4, v5, s[4:5]
	v_mul_f32_e32 v4, 0x37800000, v2
	v_cndmask_b32_e32 v2, v2, v4, vcc
	v_mov_b32_e32 v4, 0x260
	v_cmp_class_f32_e32 vcc, v1, v4
	v_and_b32_e32 v4, 0x7fffffff, v3
	s_nop 0
	v_cndmask_b32_e32 v1, v2, v1, vcc
	v_add_f32_e32 v2, v1, v1
	v_div_scale_f32 v5, s[4:5], v2, v2, v4
	v_rcp_f32_e32 v6, v5
	v_div_scale_f32 v4, vcc, v4, v2, v4
	s_brev_b32 s4, -2
	v_fma_f32 v7, -v5, v6, 1.0
	v_fmac_f32_e32 v6, v7, v6
	v_mul_f32_e32 v7, v4, v6
	v_fma_f32 v8, -v5, v7, v4
	v_fmac_f32_e32 v7, v8, v6
	v_fma_f32 v4, -v5, v7, v4
	v_div_fmas_f32 v4, v4, v6, v7
	v_div_fixup_f32 v4, v4, v2, |v3|
	v_bfi_b32 v5, s4, v1, v3
.LBB185_1120:
	s_or_b64 exec, exec, s[22:23]
                                        ; implicit-def: $vgpr3
	s_and_saveexec_b64 s[4:5], s[2:3]
	s_xor_b64 s[2:3], exec, s[4:5]
	s_cbranch_execz .LBB185_1122
; %bb.1121:
	v_pk_mul_f32 v[2:3], v[4:5], 0.5 op_sel_hi:[1,0]
	s_nop 0
	v_cndmask_b32_e64 v2, v4, v2, s[18:19]
	v_cndmask_b32_e64 v3, v5, v3, s[18:19]
                                        ; implicit-def: $vgpr4_vgpr5
	s_andn2_saveexec_b64 s[2:3], s[2:3]
	s_cbranch_execnz .LBB185_1123
	s_branch .LBB185_1124
.LBB185_1122:
	s_andn2_saveexec_b64 s[2:3], s[2:3]
.LBB185_1123:
	v_pk_add_f32 v[2:3], v[4:5], v[4:5]
.LBB185_1124:
	s_or_b64 exec, exec, s[2:3]
                                        ; implicit-def: $vgpr6
                                        ; implicit-def: $vgpr1
.LBB185_1125:
	s_andn2_saveexec_b64 s[2:3], s[16:17]
	s_cbranch_execz .LBB185_1131
; %bb.1126:
	v_cmp_lt_i16_e32 vcc, -1, v1
	v_sub_f32_e32 v1, v3, v3
	s_brev_b32 s16, -2
	v_and_b32_e32 v2, 0x7fffffff, v1
	s_and_saveexec_b64 s[4:5], vcc
	s_xor_b64 s[4:5], exec, s[4:5]
; %bb.1127:
	v_bfi_b32 v3, s16, v1, v3
	v_mov_b32_e32 v2, v6
; %bb.1128:
	s_andn2_saveexec_b64 s[4:5], s[4:5]
; %bb.1129:
	v_bfi_b32 v3, s16, v6, v3
; %bb.1130:
	s_or_b64 exec, exec, s[4:5]
.LBB185_1131:
	s_or_b64 exec, exec, s[2:3]
                                        ; implicit-def: $vgpr6
.LBB185_1132:
	s_andn2_saveexec_b64 s[2:3], s[14:15]
	s_cbranch_execz .LBB185_1134
; %bb.1133:
	v_sub_f32_e32 v1, v3, v3
	v_div_scale_f32 v2, vcc, v1, v1, v1
	v_rcp_f32_e32 v3, v2
	s_nop 0
	v_fma_f32 v4, -v2, v3, 1.0
	v_fmac_f32_e32 v3, v4, v3
	v_mul_f32_e32 v4, v2, v3
	v_fma_f32 v5, -v2, v4, v2
	v_fmac_f32_e32 v4, v5, v3
	v_fma_f32 v2, -v2, v4, v2
	v_div_fmas_f32 v2, v2, v3, v4
	v_div_fixup_f32 v3, v2, v1, v1
	v_mov_b32_e32 v2, v6
.LBB185_1134:
	s_or_b64 exec, exec, s[2:3]
.LBB185_1135:
	s_or_b64 exec, exec, s[12:13]
.LBB185_1136:
	s_or_b64 exec, exec, s[10:11]
	v_cmp_gt_f32_e32 vcc, 0, v3
                                        ; implicit-def: $vgpr4_vgpr5
	s_nop 1
	v_cndmask_b32_e64 v6, v3, -v3, vcc
	v_cmp_gt_f32_e32 vcc, 0, v2
	s_nop 1
	v_cndmask_b32_e64 v1, v2, -v2, vcc
	v_cmp_ge_f32_e32 vcc, v1, v6
	s_and_saveexec_b64 s[2:3], vcc
	s_xor_b64 s[4:5], exec, s[2:3]
	s_cbranch_execz .LBB185_1142
; %bb.1137:
	v_cmp_neq_f32_e32 vcc, 0, v2
	v_cmp_neq_f32_e64 s[2:3], 0, v3
	s_or_b64 s[2:3], vcc, s[2:3]
                                        ; implicit-def: $vgpr4_vgpr5
	s_and_saveexec_b64 s[10:11], s[2:3]
	s_xor_b64 s[2:3], exec, s[10:11]
	s_cbranch_execz .LBB185_1139
; %bb.1138:
	v_div_scale_f32 v1, s[10:11], v2, v2, v3
	v_rcp_f32_e32 v4, v1
	v_div_scale_f32 v5, vcc, v3, v2, v3
	v_fma_f32 v6, -v1, v4, 1.0
	v_fmac_f32_e32 v4, v6, v4
	v_mul_f32_e32 v6, v5, v4
	v_fma_f32 v7, -v1, v6, v5
	v_fmac_f32_e32 v6, v7, v4
	v_fma_f32 v1, -v1, v6, v5
	v_div_fmas_f32 v1, v1, v4, v6
	v_div_fixup_f32 v1, v1, v2, v3
	v_fmac_f32_e32 v2, v3, v1
	v_div_scale_f32 v3, s[10:11], v2, v2, 1.0
	v_rcp_f32_e32 v4, v3
	s_nop 0
	v_fma_f32 v5, -v3, v4, 1.0
	v_fmac_f32_e32 v4, v5, v4
	v_div_scale_f32 v5, vcc, 1.0, v2, 1.0
	v_mul_f32_e32 v6, v5, v4
	v_fma_f32 v7, -v3, v6, v5
	v_fmac_f32_e32 v6, v7, v4
	v_fma_f32 v3, -v3, v6, v5
	v_div_fmas_f32 v3, v3, v4, v6
	v_div_fixup_f32 v2, v3, v2, 1.0
	v_mul_f32_e32 v3, 0, v1
	v_add_f32_e32 v4, 1.0, v3
	v_sub_f32_e32 v5, 0, v1
	v_pk_mul_f32 v[4:5], v[4:5], v[2:3] op_sel_hi:[1,0]
                                        ; implicit-def: $vgpr6
                                        ; implicit-def: $vgpr1
.LBB185_1139:
	s_andn2_saveexec_b64 s[2:3], s[2:3]
	s_cbranch_execz .LBB185_1141
; %bb.1140:
	v_div_scale_f32 v2, s[10:11], v6, v6, 0
	v_rcp_f32_e32 v3, v2
	v_div_scale_f32 v4, vcc, 0, v6, 0
	v_fma_f32 v5, -v2, v3, 1.0
	v_fmac_f32_e32 v3, v5, v3
	v_mul_f32_e32 v5, v4, v3
	v_fma_f32 v7, -v2, v5, v4
	v_fmac_f32_e32 v5, v7, v3
	v_fma_f32 v2, -v2, v5, v4
	v_div_scale_f32 v4, s[10:11], v1, v1, 1.0
	v_rcp_f32_e32 v7, v4
	v_div_fmas_f32 v2, v2, v3, v5
	v_div_fixup_f32 v5, v2, v6, 0
	v_fma_f32 v2, -v4, v7, 1.0
	v_fmac_f32_e32 v7, v2, v7
	v_div_scale_f32 v2, vcc, 1.0, v1, 1.0
	v_mul_f32_e32 v3, v2, v7
	v_fma_f32 v6, -v4, v3, v2
	v_fmac_f32_e32 v3, v6, v7
	v_fma_f32 v2, -v4, v3, v2
	v_div_fmas_f32 v2, v2, v7, v3
	v_div_fixup_f32 v4, v2, v1, 1.0
.LBB185_1141:
	s_or_b64 exec, exec, s[2:3]
                                        ; implicit-def: $vgpr3
.LBB185_1142:
	s_andn2_saveexec_b64 s[2:3], s[4:5]
	s_cbranch_execz .LBB185_1144
; %bb.1143:
	v_div_scale_f32 v1, s[4:5], v3, v3, v2
	v_rcp_f32_e32 v4, v1
	v_div_scale_f32 v5, vcc, v2, v3, v2
	v_fma_f32 v6, -v1, v4, 1.0
	v_fmac_f32_e32 v4, v6, v4
	v_mul_f32_e32 v6, v5, v4
	v_fma_f32 v7, -v1, v6, v5
	v_fmac_f32_e32 v6, v7, v4
	v_fma_f32 v1, -v1, v6, v5
	v_div_fmas_f32 v1, v1, v4, v6
	v_div_fixup_f32 v4, v1, v3, v2
	v_fmac_f32_e32 v3, v2, v4
	v_div_scale_f32 v1, s[4:5], v3, v3, 1.0
	v_rcp_f32_e32 v2, v1
	s_mov_b32 s4, 0
	s_mov_b32 s5, -1.0
	v_fma_f32 v5, -v1, v2, 1.0
	v_fmac_f32_e32 v2, v5, v2
	v_div_scale_f32 v5, vcc, 1.0, v3, 1.0
	v_mul_f32_e32 v6, v5, v2
	v_fma_f32 v7, -v1, v6, v5
	v_fmac_f32_e32 v6, v7, v2
	v_fma_f32 v1, -v1, v6, v5
	v_div_fmas_f32 v1, v1, v2, v6
	v_mul_f32_e32 v5, 0, v4
	v_div_fixup_f32 v2, v1, v3, 1.0
	v_pk_add_f32 v[4:5], v[4:5], s[4:5]
	s_nop 0
	v_pk_mul_f32 v[4:5], v[4:5], v[2:3] op_sel_hi:[1,0]
.LBB185_1144:
	s_or_b64 exec, exec, s[2:3]
	v_cvt_f16_f32_e32 v5, v5
	v_cvt_f16_f32_e32 v4, v4
	v_mov_b32_e32 v1, 0
	s_and_b32 s16, s73, 0xff
	v_lshlrev_b32_e32 v6, 16, v5
	s_cmp_lt_i32 s16, 11
	s_waitcnt lgkmcnt(0)
	v_lshl_add_u64 v[2:3], s[20:21], 0, v[0:1]
	s_cbranch_scc1 .LBB185_1161
; %bb.1145:
	s_and_b32 s17, 0xffff, s16
	s_mov_b64 s[10:11], -1
	s_cmp_gt_i32 s17, 25
	s_mov_b64 s[2:3], s[54:55]
	s_cbranch_scc0 .LBB185_1179
; %bb.1146:
	s_mov_b64 s[4:5], -1
	s_cmp_gt_i32 s17, 28
	s_mov_b64 s[2:3], s[54:55]
	s_cbranch_scc0 .LBB185_1163
; %bb.1147:
	s_cmp_gt_i32 s17, 43
	s_mov_b64 s[2:3], s[54:55]
	s_cbranch_scc0 .LBB185_1158
; %bb.1148:
	;; [unrolled: 4-line block ×3, first 2 shown]
	s_cmp_eq_u32 s17, 46
	s_mov_b64 s[2:3], -1
	s_cbranch_scc0 .LBB185_1151
; %bb.1150:
	v_cvt_f32_f16_e32 v1, v5
	v_cvt_f32_f16_e32 v0, v4
	s_movk_i32 s2, 0x7fff
	v_cmp_o_f16_e32 vcc, v5, v5
	v_bfe_u32 v8, v1, 16, 1
	v_bfe_u32 v7, v0, 16, 1
	v_add3_u32 v1, v1, v8, s2
	v_add3_u32 v0, v0, v7, s2
	v_and_b32_e32 v1, 0xffff0000, v1
	v_mov_b32_e32 v7, 0x7fc00000
	v_cndmask_b32_e32 v1, v7, v1, vcc
	v_cmp_o_f16_e32 vcc, v4, v4
	v_mov_b32_e32 v7, 0x7fc0
	s_mov_b64 s[2:3], 0
	v_cndmask_b32_sdwa v0, v7, v0, vcc dst_sel:DWORD dst_unused:UNUSED_PAD src0_sel:DWORD src1_sel:WORD_1
	v_or_b32_e32 v0, v1, v0
	global_store_dword v[2:3], v0, off
.LBB185_1151:
	s_mov_b64 s[4:5], 0
.LBB185_1152:
	s_and_b64 vcc, exec, s[4:5]
	s_cbranch_vccz .LBB185_1157
; %bb.1153:
	s_cmp_eq_u32 s17, 44
	s_mov_b64 s[2:3], -1
	s_cbranch_scc0 .LBB185_1157
; %bb.1154:
	v_cvt_f32_f16_e32 v0, v4
	s_movk_i32 s2, 0xff
	v_mov_b32_e32 v7, 0xff
	v_bfe_u32 v1, v0, 23, 8
	v_cmp_ne_u32_e32 vcc, s2, v1
	s_and_saveexec_b64 s[4:5], vcc
; %bb.1155:
	s_mov_b32 s2, 0x3fffff
	v_lshrrev_b32_e32 v7, 23, v0
	v_and_b32_e32 v8, 0x400000, v0
	v_and_or_b32 v0, v0, s2, v1
	v_cmp_ne_u32_e32 vcc, 0, v8
	v_cmp_ne_u32_e64 s[2:3], 0, v0
	s_and_b64 s[2:3], vcc, s[2:3]
	s_nop 0
	v_cndmask_b32_e64 v0, 0, 1, s[2:3]
	v_add_u32_e32 v7, v7, v0
; %bb.1156:
	s_or_b64 exec, exec, s[4:5]
	s_mov_b64 s[2:3], 0
	global_store_byte v[2:3], v7, off
.LBB185_1157:
	s_mov_b64 s[4:5], 0
.LBB185_1158:
	s_and_b64 vcc, exec, s[4:5]
	s_cbranch_vccz .LBB185_1162
; %bb.1159:
	s_cmp_eq_u32 s17, 29
	s_mov_b64 s[2:3], -1
	s_cbranch_scc0 .LBB185_1162
; %bb.1160:
	v_cvt_f32_f16_e32 v0, v4
	v_mov_b32_e32 v1, 0
	s_mov_b64 s[2:3], 0
	s_mov_b64 s[4:5], 0
	v_cvt_u32_f32_e32 v0, v0
	global_store_dwordx2 v[2:3], v[0:1], off
	s_branch .LBB185_1163
.LBB185_1161:
	s_mov_b64 s[10:11], 0
	s_mov_b64 s[4:5], -1
	s_mov_b64 s[2:3], s[54:55]
	s_branch .LBB185_1220
.LBB185_1162:
	s_mov_b64 s[4:5], 0
.LBB185_1163:
	s_and_b64 vcc, exec, s[4:5]
	s_cbranch_vccz .LBB185_1178
; %bb.1164:
	s_cmp_lt_i32 s17, 27
	s_mov_b64 s[4:5], -1
	s_cbranch_scc1 .LBB185_1170
; %bb.1165:
	s_cmp_gt_i32 s17, 27
	s_cbranch_scc0 .LBB185_1167
; %bb.1166:
	v_cvt_f32_f16_e32 v0, v4
	s_mov_b64 s[4:5], 0
	v_cvt_u32_f32_e32 v0, v0
	global_store_dword v[2:3], v0, off
.LBB185_1167:
	s_andn2_b64 vcc, exec, s[4:5]
	s_cbranch_vccnz .LBB185_1169
; %bb.1168:
	v_cvt_u16_f16_e32 v0, v4
	global_store_short v[2:3], v0, off
.LBB185_1169:
	s_mov_b64 s[4:5], 0
.LBB185_1170:
	s_andn2_b64 vcc, exec, s[4:5]
	s_cbranch_vccnz .LBB185_1178
; %bb.1171:
	v_cvt_f32_f16_e32 v0, v4
	s_mov_b32 s4, 0x43800000
	v_mov_b32_e32 v7, 0x80
	v_and_b32_e32 v1, 0x7fffffff, v0
	v_cmp_gt_u32_e32 vcc, s4, v1
	s_and_saveexec_b64 s[4:5], vcc
	s_cbranch_execz .LBB185_1177
; %bb.1172:
	s_mov_b32 s10, 0x3bffffff
	v_cmp_lt_u32_e32 vcc, s10, v1
	s_mov_b64 s[10:11], 0
                                        ; implicit-def: $vgpr1
	s_and_saveexec_b64 s[12:13], vcc
	s_xor_b64 s[12:13], exec, s[12:13]
	s_cbranch_execz .LBB185_1331
; %bb.1173:
	v_bfe_u32 v1, v0, 20, 1
	s_mov_b32 s14, 0x487ffff
	v_add3_u32 v1, v0, v1, s14
	s_mov_b64 s[10:11], exec
	v_lshrrev_b32_e32 v1, 20, v1
	s_andn2_saveexec_b64 s[12:13], s[12:13]
	s_cbranch_execnz .LBB185_1332
.LBB185_1174:
	s_or_b64 exec, exec, s[12:13]
	v_mov_b32_e32 v7, 0
	s_and_saveexec_b64 s[12:13], s[10:11]
.LBB185_1175:
	v_lshrrev_b32_e32 v0, 24, v0
	s_movk_i32 s10, 0x80
	v_and_or_b32 v7, v0, s10, v1
.LBB185_1176:
	s_or_b64 exec, exec, s[12:13]
.LBB185_1177:
	s_or_b64 exec, exec, s[4:5]
	global_store_byte v[2:3], v7, off
.LBB185_1178:
	s_mov_b64 s[10:11], 0
.LBB185_1179:
	s_mov_b64 s[4:5], 0
	s_and_b64 vcc, exec, s[10:11]
	s_cbranch_vccz .LBB185_1219
; %bb.1180:
	s_cmp_gt_i32 s17, 22
	s_mov_b64 s[10:11], -1
	s_cbranch_scc0 .LBB185_1212
; %bb.1181:
	s_cmp_lt_i32 s17, 24
	s_cbranch_scc1 .LBB185_1201
; %bb.1182:
	s_cmp_gt_i32 s17, 24
	s_cbranch_scc0 .LBB185_1190
; %bb.1183:
	v_cvt_f32_f16_e32 v0, v4
	s_mov_b32 s10, 0x47800000
	v_mov_b32_e32 v7, 0x80
	v_and_b32_e32 v1, 0x7fffffff, v0
	v_cmp_gt_u32_e32 vcc, s10, v1
	s_and_saveexec_b64 s[10:11], vcc
	s_cbranch_execz .LBB185_1189
; %bb.1184:
	s_mov_b32 s12, 0x37ffffff
	v_cmp_lt_u32_e32 vcc, s12, v1
	s_mov_b64 s[12:13], 0
                                        ; implicit-def: $vgpr1
	s_and_saveexec_b64 s[14:15], vcc
	s_xor_b64 s[14:15], exec, s[14:15]
	s_cbranch_execz .LBB185_1499
; %bb.1185:
	v_bfe_u32 v1, v0, 21, 1
	s_mov_b32 s18, 0x88fffff
	v_add3_u32 v1, v0, v1, s18
	s_mov_b64 s[12:13], exec
	v_lshrrev_b32_e32 v1, 21, v1
	s_andn2_saveexec_b64 s[14:15], s[14:15]
	s_cbranch_execnz .LBB185_1500
.LBB185_1186:
	s_or_b64 exec, exec, s[14:15]
	v_mov_b32_e32 v7, 0
	s_and_saveexec_b64 s[14:15], s[12:13]
.LBB185_1187:
	v_lshrrev_b32_e32 v0, 24, v0
	s_movk_i32 s12, 0x80
	v_and_or_b32 v7, v0, s12, v1
.LBB185_1188:
	s_or_b64 exec, exec, s[14:15]
.LBB185_1189:
	s_or_b64 exec, exec, s[10:11]
	s_mov_b64 s[10:11], 0
	global_store_byte v[2:3], v7, off
.LBB185_1190:
	s_and_b64 vcc, exec, s[10:11]
	s_cbranch_vccz .LBB185_1200
; %bb.1191:
	v_cvt_f32_f16_e32 v0, v4
	s_mov_b32 s10, 0x43f00000
                                        ; implicit-def: $vgpr1
	v_and_b32_e32 v7, 0x7fffffff, v0
	v_cmp_gt_u32_e32 vcc, s10, v7
	s_and_saveexec_b64 s[10:11], vcc
	s_xor_b64 s[10:11], exec, s[10:11]
	s_cbranch_execz .LBB185_1197
; %bb.1192:
	s_mov_b32 s12, 0x3c7fffff
	v_cmp_lt_u32_e32 vcc, s12, v7
                                        ; implicit-def: $vgpr1
	s_and_saveexec_b64 s[12:13], vcc
	s_xor_b64 s[12:13], exec, s[12:13]
; %bb.1193:
	v_bfe_u32 v1, v0, 20, 1
	s_mov_b32 s14, 0x407ffff
	v_add3_u32 v1, v0, v1, s14
	v_lshrrev_b32_e32 v7, 20, v1
	v_and_b32_e32 v1, 0xff00000, v1
	s_mov_b32 s14, 0x7f00000
	v_mov_b32_e32 v8, 0x7e
	v_cmp_ne_u32_e32 vcc, s14, v1
	s_nop 1
	v_cndmask_b32_e32 v1, v8, v7, vcc
; %bb.1194:
	s_andn2_saveexec_b64 s[12:13], s[12:13]
; %bb.1195:
	s_mov_b32 s14, 0x46800000
	v_add_f32_e64 v1, |v0|, s14
; %bb.1196:
	s_or_b64 exec, exec, s[12:13]
                                        ; implicit-def: $vgpr7
.LBB185_1197:
	s_andn2_saveexec_b64 s[10:11], s[10:11]
; %bb.1198:
	s_mov_b32 s12, 0x7f800000
	v_mov_b32_e32 v1, 0x7e
	v_mov_b32_e32 v8, 0x7f
	v_cmp_lt_u32_e32 vcc, s12, v7
	s_nop 1
	v_cndmask_b32_e32 v1, v1, v8, vcc
; %bb.1199:
	s_or_b64 exec, exec, s[10:11]
	v_lshrrev_b32_e32 v0, 24, v0
	s_movk_i32 s10, 0x80
	v_and_or_b32 v0, v0, s10, v1
	global_store_byte v[2:3], v0, off
.LBB185_1200:
	s_mov_b64 s[10:11], 0
.LBB185_1201:
	s_andn2_b64 vcc, exec, s[10:11]
	s_cbranch_vccnz .LBB185_1211
; %bb.1202:
	v_cvt_f32_f16_e32 v0, v4
	s_mov_b32 s10, 0x47800000
                                        ; implicit-def: $vgpr1
	v_and_b32_e32 v7, 0x7fffffff, v0
	v_cmp_gt_u32_e32 vcc, s10, v7
	s_and_saveexec_b64 s[10:11], vcc
	s_xor_b64 s[10:11], exec, s[10:11]
	s_cbranch_execz .LBB185_1208
; %bb.1203:
	s_mov_b32 s12, 0x387fffff
	v_cmp_lt_u32_e32 vcc, s12, v7
                                        ; implicit-def: $vgpr1
	s_and_saveexec_b64 s[12:13], vcc
	s_xor_b64 s[12:13], exec, s[12:13]
; %bb.1204:
	v_bfe_u32 v1, v0, 21, 1
	s_mov_b32 s14, 0x80fffff
	v_add3_u32 v1, v0, v1, s14
	v_lshrrev_b32_e32 v1, 21, v1
; %bb.1205:
	s_andn2_saveexec_b64 s[12:13], s[12:13]
; %bb.1206:
	s_mov_b32 s14, 0x43000000
	v_add_f32_e64 v1, |v0|, s14
; %bb.1207:
	s_or_b64 exec, exec, s[12:13]
                                        ; implicit-def: $vgpr7
.LBB185_1208:
	s_andn2_saveexec_b64 s[10:11], s[10:11]
; %bb.1209:
	s_mov_b32 s12, 0x7f800000
	v_mov_b32_e32 v1, 0x7c
	v_mov_b32_e32 v8, 0x7f
	v_cmp_lt_u32_e32 vcc, s12, v7
	s_nop 1
	v_cndmask_b32_e32 v1, v1, v8, vcc
; %bb.1210:
	s_or_b64 exec, exec, s[10:11]
	v_lshrrev_b32_e32 v0, 24, v0
	s_movk_i32 s10, 0x80
	v_and_or_b32 v0, v0, s10, v1
	global_store_byte v[2:3], v0, off
.LBB185_1211:
	s_mov_b64 s[10:11], 0
.LBB185_1212:
	s_andn2_b64 vcc, exec, s[10:11]
	s_mov_b64 s[10:11], 0
	s_cbranch_vccnz .LBB185_1220
; %bb.1213:
	s_cmp_gt_i32 s17, 14
	s_mov_b64 s[12:13], -1
	s_cbranch_scc0 .LBB185_1217
; %bb.1214:
	s_cmp_eq_u32 s17, 15
	s_mov_b64 s[2:3], -1
	s_cbranch_scc0 .LBB185_1216
; %bb.1215:
	v_cvt_f32_f16_e32 v0, v4
	s_movk_i32 s2, 0x7fff
	v_cmp_o_f16_e32 vcc, v4, v4
	v_mov_b32_e32 v1, 0x7fc0
	v_bfe_u32 v7, v0, 16, 1
	v_add3_u32 v0, v0, v7, s2
	v_cndmask_b32_sdwa v0, v1, v0, vcc dst_sel:DWORD dst_unused:UNUSED_PAD src0_sel:DWORD src1_sel:WORD_1
	global_store_short v[2:3], v0, off
	s_mov_b64 s[2:3], 0
.LBB185_1216:
	s_mov_b64 s[12:13], 0
.LBB185_1217:
	s_and_b64 vcc, exec, s[12:13]
	s_cbranch_vccz .LBB185_1220
; %bb.1218:
	s_cmp_lg_u32 s17, 11
	s_cselect_b64 s[12:13], -1, 0
	s_andn2_b64 s[2:3], s[2:3], exec
	s_and_b64 s[12:13], s[12:13], exec
	s_mov_b64 s[10:11], -1
	s_or_b64 s[2:3], s[2:3], s[12:13]
	s_branch .LBB185_1220
.LBB185_1219:
	s_mov_b64 s[10:11], 0
.LBB185_1220:
	s_andn2_b64 s[12:13], s[54:55], exec
	s_and_b64 s[2:3], s[2:3], exec
	v_or_b32_e32 v7, v6, v4
	s_and_b64 s[4:5], s[4:5], exec
	s_and_b64 s[10:11], s[10:11], exec
	s_or_b64 s[54:55], s[12:13], s[2:3]
	s_or_b64 exec, exec, s[8:9]
	s_and_saveexec_b64 s[2:3], s[54:55]
	s_cbranch_execz .LBB185_1116
.LBB185_1221:
	s_or_b64 s[6:7], s[6:7], exec
	s_andn2_b64 s[10:11], s[10:11], exec
	s_trap 2
	s_or_b64 exec, exec, s[2:3]
	s_and_saveexec_b64 s[2:3], s[10:11]
	s_xor_b64 s[2:3], exec, s[2:3]
	s_cbranch_execnz .LBB185_1117
.LBB185_1222:
	s_or_b64 exec, exec, s[2:3]
	s_and_saveexec_b64 s[2:3], s[4:5]
	s_xor_b64 s[2:3], exec, s[2:3]
	s_cbranch_execz .LBB185_1260
.LBB185_1223:
	s_sext_i32_i16 s8, s16
	s_cmp_lt_i32 s8, 5
	s_mov_b64 s[4:5], -1
	s_cbranch_scc1 .LBB185_1244
; %bb.1224:
	s_cmp_lt_i32 s8, 8
	s_cbranch_scc1 .LBB185_1234
; %bb.1225:
	s_cmp_lt_i32 s8, 9
	s_cbranch_scc1 .LBB185_1231
; %bb.1226:
	s_cmp_gt_i32 s8, 9
	s_cbranch_scc0 .LBB185_1228
; %bb.1227:
	v_cvt_f32_f16_e32 v0, v4
	s_waitcnt vmcnt(0)
	v_cvt_f32_f16_e32 v1, v5
	s_mov_b64 s[4:5], 0
	v_cvt_f64_f32_e32 v[8:9], v0
	v_cvt_f64_f32_e32 v[10:11], v1
	global_store_dwordx4 v[2:3], v[8:11], off
.LBB185_1228:
	s_andn2_b64 vcc, exec, s[4:5]
	s_cbranch_vccnz .LBB185_1230
; %bb.1229:
	v_cvt_f32_f16_e32 v0, v4
	s_waitcnt vmcnt(0)
	v_cvt_f32_f16_e32 v1, v5
	global_store_dwordx2 v[2:3], v[0:1], off
.LBB185_1230:
	s_mov_b64 s[4:5], 0
.LBB185_1231:
	s_andn2_b64 vcc, exec, s[4:5]
	s_cbranch_vccnz .LBB185_1233
; %bb.1232:
	global_store_dword v[2:3], v7, off
.LBB185_1233:
	s_mov_b64 s[4:5], 0
.LBB185_1234:
	s_andn2_b64 vcc, exec, s[4:5]
	s_cbranch_vccnz .LBB185_1243
; %bb.1235:
	s_sext_i32_i16 s8, s16
	s_cmp_lt_i32 s8, 6
	s_mov_b64 s[4:5], -1
	s_cbranch_scc1 .LBB185_1241
; %bb.1236:
	s_cmp_gt_i32 s8, 6
	s_cbranch_scc0 .LBB185_1238
; %bb.1237:
	v_cvt_f32_f16_e32 v0, v4
	s_mov_b64 s[4:5], 0
	s_waitcnt vmcnt(0)
	v_cvt_f64_f32_e32 v[0:1], v0
	global_store_dwordx2 v[2:3], v[0:1], off
.LBB185_1238:
	s_andn2_b64 vcc, exec, s[4:5]
	s_cbranch_vccnz .LBB185_1240
; %bb.1239:
	v_cvt_f32_f16_e32 v0, v4
	global_store_dword v[2:3], v0, off
.LBB185_1240:
	s_mov_b64 s[4:5], 0
.LBB185_1241:
	s_andn2_b64 vcc, exec, s[4:5]
	s_cbranch_vccnz .LBB185_1243
; %bb.1242:
	global_store_short v[2:3], v4, off
.LBB185_1243:
	s_mov_b64 s[4:5], 0
.LBB185_1244:
	s_andn2_b64 vcc, exec, s[4:5]
	s_cbranch_vccnz .LBB185_1260
; %bb.1245:
	s_sext_i32_i16 s8, s16
	s_cmp_lt_i32 s8, 2
	s_mov_b64 s[4:5], -1
	s_cbranch_scc1 .LBB185_1255
; %bb.1246:
	s_cmp_lt_i32 s8, 3
	s_cbranch_scc1 .LBB185_1252
; %bb.1247:
	s_cmp_gt_i32 s8, 3
	s_cbranch_scc0 .LBB185_1249
; %bb.1248:
	v_cvt_f32_f16_e32 v0, v4
	s_mov_b64 s[4:5], 0
	v_cvt_i32_f32_e32 v0, v0
	s_waitcnt vmcnt(0)
	v_ashrrev_i32_e32 v1, 31, v0
	global_store_dwordx2 v[2:3], v[0:1], off
.LBB185_1249:
	s_andn2_b64 vcc, exec, s[4:5]
	s_cbranch_vccnz .LBB185_1251
; %bb.1250:
	v_cvt_f32_f16_e32 v0, v4
	v_cvt_i32_f32_e32 v0, v0
	global_store_dword v[2:3], v0, off
.LBB185_1251:
	s_mov_b64 s[4:5], 0
.LBB185_1252:
	s_andn2_b64 vcc, exec, s[4:5]
	s_cbranch_vccnz .LBB185_1254
; %bb.1253:
	v_cvt_i16_f16_e32 v0, v4
	global_store_short v[2:3], v0, off
.LBB185_1254:
	s_mov_b64 s[4:5], 0
.LBB185_1255:
	s_andn2_b64 vcc, exec, s[4:5]
	s_cbranch_vccnz .LBB185_1260
; %bb.1256:
	s_sext_i32_i16 s4, s16
	s_cmp_gt_i32 s4, 0
	s_mov_b64 s[4:5], -1
	s_cbranch_scc0 .LBB185_1258
; %bb.1257:
	v_cvt_i16_f16_e32 v0, v4
	s_mov_b64 s[4:5], 0
	global_store_byte v[2:3], v0, off
.LBB185_1258:
	s_andn2_b64 vcc, exec, s[4:5]
	s_cbranch_vccnz .LBB185_1260
; %bb.1259:
	v_cvt_f32_f16_e32 v0, v4
	v_cvt_i32_f32_e32 v0, v0
	global_store_byte v[2:3], v0, off
.LBB185_1260:
	s_or_b64 exec, exec, s[2:3]
	s_waitcnt lgkmcnt(0)
	s_and_b64 s[24:25], s[6:7], exec
                                        ; implicit-def: $vgpr16
                                        ; implicit-def: $vgpr8
.LBB185_1261:
	s_or_saveexec_b64 s[26:27], s[44:45]
	s_mov_b64 s[4:5], 0
                                        ; implicit-def: $vgpr0_vgpr1
                                        ; implicit-def: $sgpr14
                                        ; implicit-def: $vgpr4
                                        ; implicit-def: $vgpr3
                                        ; implicit-def: $vgpr2
	s_xor_b64 exec, exec, s[26:27]
	s_cbranch_execz .LBB185_2437
; %bb.1262:
	v_cndmask_b32_e64 v0, 0, 1, s[42:43]
	v_cmp_ne_u32_e64 s[2:3], 1, v0
	s_andn2_b64 vcc, exec, s[42:43]
	s_cbranch_vccnz .LBB185_1268
; %bb.1263:
	s_cmp_lg_u32 s33, 0
	s_mov_b32 s36, 0
	s_cbranch_scc0 .LBB185_1269
; %bb.1264:
	s_min_u32 s37, s72, 15
	s_add_i32 s37, s37, 1
	s_cmp_eq_u32 s72, 2
	s_cbranch_scc1 .LBB185_1270
; %bb.1265:
	s_and_b32 s36, s37, 28
	s_add_u32 s28, s34, 0xc4
	s_addc_u32 s29, s35, 0
	s_mov_b32 s38, 0
	v_mov_b32_e32 v6, 0
	v_mov_b32_e32 v10, 0
	s_mov_b64 s[30:31], s[34:35]
	v_mov_b32_e32 v0, v8
.LBB185_1266:                           ; =>This Inner Loop Header: Depth=1
	s_load_dwordx8 s[12:19], s[30:31], 0x4
	s_load_dwordx4 s[20:23], s[30:31], 0x24
	s_load_dwordx8 s[4:11], s[28:29], 0x0
	s_add_u32 s30, s30, 48
	s_addc_u32 s31, s31, 0
	s_waitcnt vmcnt(0) lgkmcnt(0)
	v_mul_hi_u32 v1, s13, v0
	v_add_u32_e32 v1, v0, v1
	v_lshrrev_b32_e32 v1, s14, v1
	v_mul_lo_u32 v2, v1, s12
	v_mul_hi_u32 v3, s16, v1
	v_sub_u32_e32 v0, v0, v2
	v_add_u32_e32 v2, v1, v3
	v_lshrrev_b32_e32 v2, s17, v2
	v_mul_lo_u32 v4, v2, s15
	v_mul_hi_u32 v5, s19, v2
	v_sub_u32_e32 v1, v1, v4
	v_add_u32_e32 v4, v2, v5
	v_mul_lo_u32 v3, v0, s5
	v_mul_lo_u32 v0, v0, s4
	;; [unrolled: 1-line block ×4, first 2 shown]
	v_lshrrev_b32_e32 v4, s20, v4
	v_add3_u32 v1, v0, v6, v1
	v_add3_u32 v3, v3, v10, v5
	v_mul_lo_u32 v0, v4, s18
	v_mul_hi_u32 v5, s22, v4
	v_sub_u32_e32 v0, v2, v0
	v_add_u32_e32 v2, v4, v5
	v_mul_lo_u32 v5, v0, s8
	v_mul_lo_u32 v6, v0, s9
	v_lshrrev_b32_e32 v0, s23, v2
	s_add_i32 s38, s38, 4
	v_mul_lo_u32 v2, v0, s21
	s_add_u32 s28, s28, 32
	v_sub_u32_e32 v2, v4, v2
	s_addc_u32 s29, s29, 0
	v_mul_lo_u32 v4, v2, s10
	v_mul_lo_u32 v2, v2, s11
	s_cmp_lg_u32 s36, s38
	v_add3_u32 v10, v6, v3, v2
	v_add3_u32 v6, v5, v1, v4
	s_cbranch_scc1 .LBB185_1266
; %bb.1267:
	v_mov_b32_e32 v1, v10
	s_and_b32 s8, s37, 3
	s_cmp_eq_u32 s8, 0
	s_cbranch_scc0 .LBB185_1271
	s_branch .LBB185_1273
.LBB185_1268:
                                        ; implicit-def: $vgpr10
                                        ; implicit-def: $vgpr6
	s_branch .LBB185_1274
.LBB185_1269:
	v_mov_b32_e32 v10, 0
	v_mov_b32_e32 v6, 0
	s_branch .LBB185_1273
.LBB185_1270:
	v_mov_b32_e32 v6, 0
                                        ; implicit-def: $vgpr10
	s_waitcnt vmcnt(0)
	v_mov_b32_e32 v1, v6
	v_mov_b32_e32 v0, v8
	s_and_b32 s8, s37, 3
	s_cmp_eq_u32 s8, 0
	s_cbranch_scc1 .LBB185_1273
.LBB185_1271:
	s_lshl_b32 s4, s36, 3
	s_add_u32 s4, s34, s4
	s_addc_u32 s5, s35, 0
	s_add_u32 s4, s4, 0xc4
	s_addc_u32 s5, s5, 0
	s_mul_i32 s6, s36, 12
	s_add_u32 s6, s34, s6
	s_addc_u32 s7, s35, 0
.LBB185_1272:                           ; =>This Inner Loop Header: Depth=1
	s_load_dwordx2 s[10:11], s[6:7], 0x4
	s_load_dword s9, s[6:7], 0xc
	s_load_dwordx2 s[12:13], s[4:5], 0x0
	v_mov_b32_e32 v2, v1
	s_add_u32 s6, s6, 12
	s_waitcnt lgkmcnt(0)
	v_mul_hi_u32 v1, s11, v0
	v_add_u32_e32 v1, v0, v1
	v_lshrrev_b32_e32 v1, s9, v1
	s_addc_u32 s7, s7, 0
	v_mul_lo_u32 v3, v1, s10
	s_add_u32 s4, s4, 8
	v_sub_u32_e32 v3, v0, v3
	s_addc_u32 s5, s5, 0
	s_add_i32 s8, s8, -1
	v_mad_u64_u32 v[10:11], s[10:11], v3, s13, v[2:3]
	s_cmp_lg_u32 s8, 0
	v_mov_b32_e32 v0, v1
	v_mad_u64_u32 v[6:7], s[10:11], v3, s12, v[6:7]
	v_mov_b32_e32 v1, v10
	s_cbranch_scc1 .LBB185_1272
.LBB185_1273:
	s_cbranch_execnz .LBB185_1276
.LBB185_1274:
	s_load_dwordx4 s[4:7], s[34:35], 0x4
	s_load_dwordx2 s[8:9], s[34:35], 0xc4
	s_cmp_lt_u32 s33, 2
	s_waitcnt lgkmcnt(0)
	v_mul_hi_u32 v0, s5, v8
	v_add_u32_e32 v0, v8, v0
	v_lshrrev_b32_e32 v0, s6, v0
	s_waitcnt vmcnt(0)
	v_mul_lo_u32 v1, v0, s4
	v_sub_u32_e32 v1, v8, v1
	v_mul_lo_u32 v10, v1, s9
	v_mul_lo_u32 v6, v1, s8
	s_cbranch_scc1 .LBB185_1276
; %bb.1275:
	s_load_dwordx4 s[4:7], s[34:35], 0x10
	s_load_dwordx2 s[8:9], s[34:35], 0xcc
	s_waitcnt lgkmcnt(0)
	v_mul_hi_u32 v1, s5, v0
	v_add_u32_e32 v1, v0, v1
	v_lshrrev_b32_e32 v1, s6, v1
	v_mul_lo_u32 v1, v1, s4
	v_sub_u32_e32 v0, v0, v1
	v_mad_u64_u32 v[6:7], s[4:5], v0, s8, v[6:7]
	v_mad_u64_u32 v[10:11], s[4:5], v0, s9, v[10:11]
.LBB185_1276:
	s_and_b64 vcc, exec, s[2:3]
	v_add_u32_e32 v0, 0x80, v8
	s_cbranch_vccnz .LBB185_1282
; %bb.1277:
	s_cmp_lg_u32 s33, 0
	s_mov_b32 s36, 0
	s_cbranch_scc0 .LBB185_1283
; %bb.1278:
	s_min_u32 s37, s72, 15
	s_add_i32 s37, s37, 1
	s_cmp_eq_u32 s72, 2
	s_cbranch_scc1 .LBB185_1284
; %bb.1279:
	s_and_b32 s36, s37, 28
	s_add_u32 s28, s34, 0xc4
	s_addc_u32 s29, s35, 0
	s_mov_b32 s38, 0
	v_mov_b32_e32 v4, 0
	v_mov_b32_e32 v12, 0
	s_mov_b64 s[30:31], s[34:35]
	v_mov_b32_e32 v2, v0
.LBB185_1280:                           ; =>This Inner Loop Header: Depth=1
	s_load_dwordx8 s[12:19], s[30:31], 0x4
	s_load_dwordx4 s[20:23], s[30:31], 0x24
	s_load_dwordx8 s[4:11], s[28:29], 0x0
	s_add_u32 s30, s30, 48
	s_addc_u32 s31, s31, 0
	s_waitcnt vmcnt(0) lgkmcnt(0)
	v_mul_hi_u32 v1, s13, v2
	v_add_u32_e32 v1, v2, v1
	v_lshrrev_b32_e32 v1, s14, v1
	v_mul_lo_u32 v3, v1, s12
	v_mul_hi_u32 v5, s16, v1
	v_sub_u32_e32 v2, v2, v3
	v_add_u32_e32 v3, v1, v5
	v_lshrrev_b32_e32 v3, s17, v3
	v_mul_lo_u32 v7, v3, s15
	v_mul_hi_u32 v9, s19, v3
	v_sub_u32_e32 v1, v1, v7
	v_add_u32_e32 v7, v3, v9
	v_mul_lo_u32 v5, v2, s5
	v_mul_lo_u32 v2, v2, s4
	;; [unrolled: 1-line block ×4, first 2 shown]
	v_lshrrev_b32_e32 v7, s20, v7
	v_add3_u32 v1, v2, v4, v1
	v_add3_u32 v4, v5, v12, v9
	v_mul_lo_u32 v2, v7, s18
	v_mul_hi_u32 v5, s22, v7
	v_sub_u32_e32 v2, v3, v2
	v_add_u32_e32 v3, v7, v5
	v_mul_lo_u32 v5, v2, s8
	v_mul_lo_u32 v9, v2, s9
	v_lshrrev_b32_e32 v2, s23, v3
	s_add_i32 s38, s38, 4
	v_mul_lo_u32 v3, v2, s21
	s_add_u32 s28, s28, 32
	v_sub_u32_e32 v3, v7, v3
	s_addc_u32 s29, s29, 0
	v_mul_lo_u32 v7, v3, s10
	v_mul_lo_u32 v3, v3, s11
	s_cmp_lg_u32 s36, s38
	v_add3_u32 v12, v9, v4, v3
	v_add3_u32 v4, v5, v1, v7
	s_cbranch_scc1 .LBB185_1280
; %bb.1281:
	v_mov_b32_e32 v1, v12
	s_and_b32 s8, s37, 3
	s_cmp_eq_u32 s8, 0
	s_cbranch_scc0 .LBB185_1285
	s_branch .LBB185_1287
.LBB185_1282:
                                        ; implicit-def: $vgpr12
                                        ; implicit-def: $vgpr4
	s_branch .LBB185_1288
.LBB185_1283:
	v_mov_b32_e32 v12, 0
	v_mov_b32_e32 v4, 0
	s_branch .LBB185_1287
.LBB185_1284:
	v_mov_b32_e32 v4, 0
                                        ; implicit-def: $vgpr12
	s_waitcnt vmcnt(0)
	v_mov_b32_e32 v1, v4
	v_mov_b32_e32 v2, v0
	s_and_b32 s8, s37, 3
	s_cmp_eq_u32 s8, 0
	s_cbranch_scc1 .LBB185_1287
.LBB185_1285:
	s_lshl_b32 s4, s36, 3
	s_add_u32 s4, s34, s4
	s_addc_u32 s5, s35, 0
	s_add_u32 s4, s4, 0xc4
	s_addc_u32 s5, s5, 0
	s_mul_i32 s6, s36, 12
	s_add_u32 s6, s34, s6
	s_addc_u32 s7, s35, 0
.LBB185_1286:                           ; =>This Inner Loop Header: Depth=1
	s_load_dwordx2 s[10:11], s[6:7], 0x4
	s_load_dword s9, s[6:7], 0xc
	s_load_dwordx2 s[12:13], s[4:5], 0x0
	v_mov_b32_e32 v12, v1
	s_add_u32 s6, s6, 12
	s_waitcnt lgkmcnt(0)
	v_mul_hi_u32 v1, s11, v2
	v_add_u32_e32 v1, v2, v1
	v_lshrrev_b32_e32 v1, s9, v1
	s_addc_u32 s7, s7, 0
	v_mul_lo_u32 v3, v1, s10
	s_add_u32 s4, s4, 8
	v_sub_u32_e32 v3, v2, v3
	s_addc_u32 s5, s5, 0
	s_add_i32 s8, s8, -1
	v_mad_u64_u32 v[12:13], s[10:11], v3, s13, v[12:13]
	s_cmp_lg_u32 s8, 0
	v_mov_b32_e32 v2, v1
	v_mad_u64_u32 v[4:5], s[10:11], v3, s12, v[4:5]
	v_mov_b32_e32 v1, v12
	s_cbranch_scc1 .LBB185_1286
.LBB185_1287:
	s_cbranch_execnz .LBB185_1290
.LBB185_1288:
	s_load_dwordx4 s[4:7], s[34:35], 0x4
	s_load_dwordx2 s[8:9], s[34:35], 0xc4
	s_cmp_lt_u32 s33, 2
	s_waitcnt vmcnt(0) lgkmcnt(0)
	v_mul_hi_u32 v1, s5, v0
	v_add_u32_e32 v1, v0, v1
	v_lshrrev_b32_e32 v1, s6, v1
	v_mul_lo_u32 v2, v1, s4
	v_sub_u32_e32 v0, v0, v2
	v_mul_lo_u32 v12, v0, s9
	v_mul_lo_u32 v4, v0, s8
	s_cbranch_scc1 .LBB185_1290
; %bb.1289:
	s_load_dwordx4 s[4:7], s[34:35], 0x10
	s_load_dwordx2 s[8:9], s[34:35], 0xcc
	s_waitcnt lgkmcnt(0)
	v_mul_hi_u32 v0, s5, v1
	v_add_u32_e32 v0, v1, v0
	v_lshrrev_b32_e32 v0, s6, v0
	v_mul_lo_u32 v0, v0, s4
	v_sub_u32_e32 v0, v1, v0
	v_mad_u64_u32 v[4:5], s[4:5], v0, s8, v[4:5]
	v_mad_u64_u32 v[12:13], s[4:5], v0, s9, v[12:13]
.LBB185_1290:
	s_and_b64 vcc, exec, s[2:3]
	v_add_u32_e32 v0, 0x100, v8
	s_cbranch_vccnz .LBB185_1296
; %bb.1291:
	s_cmp_lg_u32 s33, 0
	s_mov_b32 s36, 0
	s_cbranch_scc0 .LBB185_1297
; %bb.1292:
	s_min_u32 s37, s72, 15
	s_add_i32 s37, s37, 1
	s_cmp_eq_u32 s72, 2
	s_cbranch_scc1 .LBB185_1298
; %bb.1293:
	s_and_b32 s36, s37, 28
	s_add_u32 s28, s34, 0xc4
	s_addc_u32 s29, s35, 0
	s_mov_b32 s38, 0
	v_mov_b32_e32 v2, 0
	v_mov_b32_e32 v14, 0
	s_mov_b64 s[30:31], s[34:35]
	v_mov_b32_e32 v5, v0
.LBB185_1294:                           ; =>This Inner Loop Header: Depth=1
	s_load_dwordx8 s[12:19], s[30:31], 0x4
	s_load_dwordx4 s[20:23], s[30:31], 0x24
	s_load_dwordx8 s[4:11], s[28:29], 0x0
	s_add_u32 s30, s30, 48
	s_addc_u32 s31, s31, 0
	s_waitcnt vmcnt(0) lgkmcnt(0)
	v_mul_hi_u32 v1, s13, v5
	v_add_u32_e32 v1, v5, v1
	v_lshrrev_b32_e32 v1, s14, v1
	v_mul_lo_u32 v3, v1, s12
	v_mul_hi_u32 v7, s16, v1
	v_sub_u32_e32 v3, v5, v3
	v_add_u32_e32 v5, v1, v7
	v_lshrrev_b32_e32 v5, s17, v5
	v_mul_lo_u32 v8, v5, s15
	v_mul_hi_u32 v9, s19, v5
	v_sub_u32_e32 v1, v1, v8
	v_add_u32_e32 v8, v5, v9
	v_mul_lo_u32 v7, v3, s5
	v_mul_lo_u32 v3, v3, s4
	v_mul_lo_u32 v9, v1, s7
	v_mul_lo_u32 v1, v1, s6
	v_lshrrev_b32_e32 v8, s20, v8
	v_add3_u32 v1, v3, v2, v1
	v_add3_u32 v2, v7, v14, v9
	v_mul_lo_u32 v3, v8, s18
	v_mul_hi_u32 v7, s22, v8
	v_sub_u32_e32 v3, v5, v3
	v_add_u32_e32 v5, v8, v7
	v_lshrrev_b32_e32 v5, s23, v5
	s_add_i32 s38, s38, 4
	v_mul_lo_u32 v9, v5, s21
	s_add_u32 s28, s28, 32
	v_sub_u32_e32 v8, v8, v9
	s_addc_u32 s29, s29, 0
	v_mul_lo_u32 v7, v3, s8
	v_mul_lo_u32 v3, v3, s9
	;; [unrolled: 1-line block ×4, first 2 shown]
	s_cmp_lg_u32 s36, s38
	v_add3_u32 v14, v3, v2, v8
	v_add3_u32 v2, v7, v1, v9
	s_cbranch_scc1 .LBB185_1294
; %bb.1295:
	v_mov_b32_e32 v1, v14
	s_and_b32 s8, s37, 3
	s_cmp_eq_u32 s8, 0
	s_cbranch_scc0 .LBB185_1299
	s_branch .LBB185_1301
.LBB185_1296:
                                        ; implicit-def: $vgpr14
                                        ; implicit-def: $vgpr2
	s_branch .LBB185_1302
.LBB185_1297:
	v_mov_b32_e32 v14, 0
	v_mov_b32_e32 v2, 0
	s_branch .LBB185_1301
.LBB185_1298:
	v_mov_b32_e32 v2, 0
                                        ; implicit-def: $vgpr14
	s_waitcnt vmcnt(0)
	v_mov_b32_e32 v1, v2
	v_mov_b32_e32 v5, v0
	s_and_b32 s8, s37, 3
	s_cmp_eq_u32 s8, 0
	s_cbranch_scc1 .LBB185_1301
.LBB185_1299:
	s_lshl_b32 s4, s36, 3
	s_add_u32 s4, s34, s4
	s_addc_u32 s5, s35, 0
	s_add_u32 s4, s4, 0xc4
	s_addc_u32 s5, s5, 0
	s_mul_i32 s6, s36, 12
	s_add_u32 s6, s34, s6
	s_addc_u32 s7, s35, 0
.LBB185_1300:                           ; =>This Inner Loop Header: Depth=1
	s_load_dwordx2 s[10:11], s[6:7], 0x4
	s_load_dword s9, s[6:7], 0xc
	s_load_dwordx2 s[12:13], s[4:5], 0x0
	v_mov_b32_e32 v8, v1
	s_add_u32 s6, s6, 12
	s_waitcnt lgkmcnt(0)
	v_mul_hi_u32 v1, s11, v5
	v_add_u32_e32 v1, v5, v1
	v_lshrrev_b32_e32 v1, s9, v1
	s_addc_u32 s7, s7, 0
	v_mul_lo_u32 v3, v1, s10
	s_add_u32 s4, s4, 8
	v_sub_u32_e32 v3, v5, v3
	s_addc_u32 s5, s5, 0
	s_add_i32 s8, s8, -1
	v_mad_u64_u32 v[14:15], s[10:11], v3, s13, v[8:9]
	s_cmp_lg_u32 s8, 0
	v_mov_b32_e32 v5, v1
	v_mad_u64_u32 v[2:3], s[10:11], v3, s12, v[2:3]
	v_mov_b32_e32 v1, v14
	s_cbranch_scc1 .LBB185_1300
.LBB185_1301:
	s_cbranch_execnz .LBB185_1304
.LBB185_1302:
	s_load_dwordx4 s[4:7], s[34:35], 0x4
	s_load_dwordx2 s[8:9], s[34:35], 0xc4
	s_cmp_lt_u32 s33, 2
	s_waitcnt vmcnt(0) lgkmcnt(0)
	v_mul_hi_u32 v1, s5, v0
	v_add_u32_e32 v1, v0, v1
	v_lshrrev_b32_e32 v1, s6, v1
	v_mul_lo_u32 v2, v1, s4
	v_sub_u32_e32 v0, v0, v2
	v_mul_lo_u32 v14, v0, s9
	v_mul_lo_u32 v2, v0, s8
	s_cbranch_scc1 .LBB185_1304
; %bb.1303:
	s_load_dwordx4 s[4:7], s[34:35], 0x10
	s_load_dwordx2 s[8:9], s[34:35], 0xcc
	s_waitcnt lgkmcnt(0)
	v_mul_hi_u32 v0, s5, v1
	v_add_u32_e32 v0, v1, v0
	v_lshrrev_b32_e32 v0, s6, v0
	v_mul_lo_u32 v0, v0, s4
	v_sub_u32_e32 v0, v1, v0
	v_mad_u64_u32 v[2:3], s[4:5], v0, s8, v[2:3]
	v_mad_u64_u32 v[14:15], s[4:5], v0, s9, v[14:15]
.LBB185_1304:
	s_and_b64 vcc, exec, s[2:3]
	s_cbranch_vccnz .LBB185_1310
; %bb.1305:
	s_cmp_lg_u32 s33, 0
	s_mov_b32 s30, 0
	s_cbranch_scc0 .LBB185_1311
; %bb.1306:
	s_min_u32 s31, s72, 15
	s_add_i32 s31, s31, 1
	s_cmp_eq_u32 s72, 2
	s_cbranch_scc1 .LBB185_1312
; %bb.1307:
	s_and_b32 s30, s31, 28
	s_add_u32 s2, s34, 0xc4
	s_addc_u32 s3, s35, 0
	s_mov_b32 s36, 0
	v_mov_b32_e32 v0, 0
	v_mov_b32_e32 v8, 0
	s_mov_b64 s[28:29], s[34:35]
	v_mov_b32_e32 v3, v16
.LBB185_1308:                           ; =>This Inner Loop Header: Depth=1
	s_load_dwordx8 s[12:19], s[28:29], 0x4
	s_load_dwordx4 s[20:23], s[28:29], 0x24
	s_load_dwordx8 s[4:11], s[2:3], 0x0
	s_add_u32 s28, s28, 48
	s_addc_u32 s29, s29, 0
	s_waitcnt vmcnt(0) lgkmcnt(0)
	v_mul_hi_u32 v1, s13, v3
	v_add_u32_e32 v1, v3, v1
	v_lshrrev_b32_e32 v1, s14, v1
	v_mul_lo_u32 v5, v1, s12
	v_mul_hi_u32 v7, s16, v1
	v_sub_u32_e32 v3, v3, v5
	v_add_u32_e32 v5, v1, v7
	v_lshrrev_b32_e32 v5, s17, v5
	v_mul_lo_u32 v9, v5, s15
	v_mul_hi_u32 v11, s19, v5
	v_sub_u32_e32 v1, v1, v9
	v_add_u32_e32 v9, v5, v11
	v_mul_lo_u32 v7, v3, s5
	v_mul_lo_u32 v3, v3, s4
	;; [unrolled: 1-line block ×4, first 2 shown]
	v_lshrrev_b32_e32 v9, s20, v9
	v_add3_u32 v0, v3, v0, v1
	v_add3_u32 v1, v7, v8, v11
	v_mul_lo_u32 v3, v9, s18
	v_mul_hi_u32 v7, s22, v9
	v_sub_u32_e32 v3, v5, v3
	v_add_u32_e32 v5, v9, v7
	v_mul_lo_u32 v7, v3, s8
	v_mul_lo_u32 v8, v3, s9
	v_lshrrev_b32_e32 v3, s23, v5
	s_add_i32 s36, s36, 4
	v_mul_lo_u32 v5, v3, s21
	s_add_u32 s2, s2, 32
	v_sub_u32_e32 v5, v9, v5
	s_addc_u32 s3, s3, 0
	v_mul_lo_u32 v9, v5, s10
	v_mul_lo_u32 v5, v5, s11
	s_cmp_lg_u32 s30, s36
	v_add3_u32 v8, v8, v1, v5
	v_add3_u32 v0, v7, v0, v9
	s_cbranch_scc1 .LBB185_1308
; %bb.1309:
	v_mov_b32_e32 v1, v8
	s_and_b32 s6, s31, 3
	s_cmp_eq_u32 s6, 0
	s_cbranch_scc0 .LBB185_1313
	s_branch .LBB185_1315
.LBB185_1310:
                                        ; implicit-def: $vgpr8
                                        ; implicit-def: $vgpr0
	s_branch .LBB185_1316
.LBB185_1311:
	v_mov_b32_e32 v8, 0
	v_mov_b32_e32 v0, 0
	s_branch .LBB185_1315
.LBB185_1312:
	v_mov_b32_e32 v0, 0
                                        ; implicit-def: $vgpr8
	s_waitcnt vmcnt(0)
	v_mov_b32_e32 v1, v0
	v_mov_b32_e32 v3, v16
	s_and_b32 s6, s31, 3
	s_cmp_eq_u32 s6, 0
	s_cbranch_scc1 .LBB185_1315
.LBB185_1313:
	s_lshl_b32 s2, s30, 3
	s_add_u32 s2, s34, s2
	s_addc_u32 s3, s35, 0
	s_add_u32 s2, s2, 0xc4
	s_addc_u32 s3, s3, 0
	s_mul_i32 s4, s30, 12
	s_add_u32 s4, s34, s4
	s_addc_u32 s5, s35, 0
.LBB185_1314:                           ; =>This Inner Loop Header: Depth=1
	s_load_dwordx2 s[8:9], s[4:5], 0x4
	s_load_dword s7, s[4:5], 0xc
	s_load_dwordx2 s[10:11], s[2:3], 0x0
	v_mov_b32_e32 v8, v1
	s_add_u32 s4, s4, 12
	s_waitcnt lgkmcnt(0)
	v_mul_hi_u32 v1, s9, v3
	v_add_u32_e32 v1, v3, v1
	v_lshrrev_b32_e32 v1, s7, v1
	s_addc_u32 s5, s5, 0
	v_mul_lo_u32 v5, v1, s8
	s_add_u32 s2, s2, 8
	v_sub_u32_e32 v5, v3, v5
	s_addc_u32 s3, s3, 0
	s_add_i32 s6, s6, -1
	v_mov_b32_e32 v3, v1
	v_mad_u64_u32 v[8:9], s[8:9], v5, s11, v[8:9]
	v_mad_u64_u32 v[0:1], s[8:9], v5, s10, v[0:1]
	s_cmp_lg_u32 s6, 0
	v_mov_b32_e32 v1, v8
	s_cbranch_scc1 .LBB185_1314
.LBB185_1315:
	s_cbranch_execnz .LBB185_1318
.LBB185_1316:
	s_load_dwordx4 s[4:7], s[34:35], 0x4
	s_load_dwordx2 s[2:3], s[34:35], 0xc4
	s_cmp_lt_u32 s33, 2
	s_waitcnt lgkmcnt(0)
	v_mul_hi_u32 v0, s5, v16
	v_add_u32_e32 v0, v16, v0
	s_waitcnt vmcnt(0)
	v_lshrrev_b32_e32 v1, s6, v0
	v_mul_lo_u32 v0, v1, s4
	v_sub_u32_e32 v0, v16, v0
	v_mul_lo_u32 v8, v0, s3
	v_mul_lo_u32 v0, v0, s2
	s_cbranch_scc1 .LBB185_1318
; %bb.1317:
	s_load_dwordx4 s[4:7], s[34:35], 0x10
	s_load_dwordx2 s[2:3], s[34:35], 0xcc
	s_waitcnt lgkmcnt(0)
	v_mul_hi_u32 v3, s5, v1
	v_add_u32_e32 v3, v1, v3
	v_lshrrev_b32_e32 v3, s6, v3
	v_mul_lo_u32 v3, v3, s4
	v_sub_u32_e32 v3, v1, v3
	v_mad_u64_u32 v[0:1], s[4:5], v3, s2, v[0:1]
	v_mad_u64_u32 v[8:9], s[2:3], v3, s3, v[8:9]
.LBB185_1318:
	s_load_dword s22, s[0:1], 0x160
	s_load_dwordx4 s[4:7], s[34:35], 0x148
	v_mov_b32_e32 v11, 0
	s_waitcnt lgkmcnt(0)
	s_bfe_u32 s14, s22, 0x80010
	s_cmp_lt_i32 s14, 11
	v_lshl_add_u64 v[10:11], s[6:7], 0, v[10:11]
	s_cbranch_scc1 .LBB185_1325
; %bb.1319:
	s_and_b32 s15, 0xffff, s14
	s_cmp_gt_i32 s15, 25
	s_mov_b64 s[2:3], 0
	s_cbranch_scc0 .LBB185_1327
; %bb.1320:
	s_cmp_gt_i32 s15, 28
	s_cbranch_scc0 .LBB185_1328
; %bb.1321:
	s_cmp_gt_i32 s15, 43
	;; [unrolled: 3-line block ×3, first 2 shown]
	s_cbranch_scc0 .LBB185_1330
; %bb.1323:
	s_cmp_eq_u32 s15, 46
	s_mov_b64 s[8:9], 0
	s_cbranch_scc0 .LBB185_1333
; %bb.1324:
	global_load_dword v1, v[10:11], off
	s_mov_b64 s[0:1], 0
	s_mov_b64 s[10:11], -1
	s_waitcnt vmcnt(0)
	v_and_b32_e32 v3, 0xffff0000, v1
	v_lshlrev_b32_e32 v1, 16, v1
	v_cvt_f16_f32_e32 v1, v1
	v_cvt_f16_f32_e32 v3, v3
	s_branch .LBB185_1334
.LBB185_1325:
	s_mov_b64 s[10:11], 0
                                        ; implicit-def: $vgpr3
                                        ; implicit-def: $vgpr1
	s_mov_b64 s[8:9], s[24:25]
	s_cbranch_execnz .LBB185_1400
.LBB185_1326:
	s_andn2_b64 vcc, exec, s[10:11]
	s_cbranch_vccz .LBB185_1447
	s_branch .LBB185_2435
.LBB185_1327:
	s_mov_b64 s[10:11], 0
	s_mov_b64 s[0:1], 0
                                        ; implicit-def: $vgpr3
                                        ; implicit-def: $vgpr1
	s_cbranch_execnz .LBB185_1364
	s_branch .LBB185_1396
.LBB185_1328:
	s_mov_b64 s[10:11], 0
	s_mov_b64 s[0:1], 0
                                        ; implicit-def: $vgpr3
                                        ; implicit-def: $vgpr1
	s_cbranch_execnz .LBB185_1346
	s_branch .LBB185_1363
.LBB185_1329:
	s_mov_b64 s[8:9], -1
	s_mov_b64 s[10:11], 0
	s_mov_b64 s[0:1], 0
                                        ; implicit-def: $vgpr3
                                        ; implicit-def: $vgpr1
	s_branch .LBB185_1340
.LBB185_1330:
	s_mov_b64 s[8:9], -1
	s_mov_b64 s[10:11], 0
	s_mov_b64 s[0:1], 0
                                        ; implicit-def: $vgpr3
                                        ; implicit-def: $vgpr1
	s_branch .LBB185_1334
.LBB185_1331:
	s_andn2_saveexec_b64 s[12:13], s[12:13]
	s_cbranch_execz .LBB185_1174
.LBB185_1332:
	s_mov_b32 s14, 0x46000000
	v_add_f32_e64 v1, |v0|, s14
	v_and_b32_e32 v1, 0xff, v1
	v_cmp_ne_u32_e32 vcc, 0, v1
	s_andn2_b64 s[10:11], s[10:11], exec
	s_and_b64 s[14:15], vcc, exec
	s_or_b64 s[10:11], s[10:11], s[14:15]
	s_or_b64 exec, exec, s[12:13]
	v_mov_b32_e32 v7, 0
	s_and_saveexec_b64 s[12:13], s[10:11]
	s_cbranch_execnz .LBB185_1175
	s_branch .LBB185_1176
.LBB185_1333:
	s_mov_b64 s[0:1], -1
                                        ; implicit-def: $vgpr3
                                        ; implicit-def: $vgpr1
	s_mov_b64 s[10:11], 0
.LBB185_1334:
	s_and_b64 vcc, exec, s[8:9]
	s_cbranch_vccz .LBB185_1339
; %bb.1335:
	s_cmp_eq_u32 s15, 44
	s_cbranch_scc0 .LBB185_1337
; %bb.1336:
	global_load_ubyte v1, v[10:11], off
	s_movk_i32 s8, 0xff
	v_mov_b32_e32 v5, 0x7e00
	s_mov_b64 s[0:1], 0
	s_mov_b64 s[10:11], -1
	s_waitcnt vmcnt(0)
	v_lshlrev_b32_e32 v3, 23, v1
	v_cvt_f16_f32_e32 v3, v3
	v_cmp_ne_u32_e32 vcc, s8, v1
	s_nop 1
	v_cndmask_b32_e32 v3, v5, v3, vcc
	v_cmp_ne_u32_e32 vcc, 0, v1
	s_nop 1
	v_cndmask_b32_e32 v1, 0, v3, vcc
	s_branch .LBB185_1338
.LBB185_1337:
	s_mov_b64 s[0:1], -1
                                        ; implicit-def: $vgpr1
.LBB185_1338:
	v_mov_b32_e32 v3, 0
.LBB185_1339:
	s_mov_b64 s[8:9], 0
.LBB185_1340:
	s_and_b64 vcc, exec, s[8:9]
	s_cbranch_vccz .LBB185_1345
; %bb.1341:
	s_cmp_eq_u32 s15, 29
	s_cbranch_scc0 .LBB185_1343
; %bb.1342:
	global_load_dwordx2 v[16:17], v[10:11], off
	s_mov_b64 s[0:1], 0
	s_mov_b64 s[10:11], -1
	s_waitcnt vmcnt(0)
	v_ffbh_u32_e32 v1, v17
	v_min_u32_e32 v1, 32, v1
	v_lshlrev_b64 v[16:17], v1, v[16:17]
	v_min_u32_e32 v3, 1, v16
	v_or_b32_e32 v3, v17, v3
	v_cvt_f32_u32_e32 v3, v3
	v_sub_u32_e32 v1, 32, v1
	v_ldexp_f32 v1, v3, v1
	v_cvt_f16_f32_e32 v1, v1
	s_branch .LBB185_1344
.LBB185_1343:
	s_mov_b64 s[0:1], -1
                                        ; implicit-def: $vgpr1
.LBB185_1344:
	v_mov_b32_e32 v3, 0
.LBB185_1345:
	s_branch .LBB185_1363
.LBB185_1346:
	s_cmp_lt_i32 s15, 27
	s_cbranch_scc1 .LBB185_1349
; %bb.1347:
	s_cmp_gt_i32 s15, 27
	s_cbranch_scc0 .LBB185_1350
; %bb.1348:
	global_load_dword v1, v[10:11], off
	s_mov_b64 s[8:9], 0
	s_waitcnt vmcnt(0)
	v_cvt_f32_u32_e32 v1, v1
	v_cvt_f16_f32_e32 v1, v1
	s_branch .LBB185_1351
.LBB185_1349:
	s_mov_b64 s[8:9], -1
                                        ; implicit-def: $vgpr1
	s_branch .LBB185_1354
.LBB185_1350:
	s_mov_b64 s[8:9], -1
                                        ; implicit-def: $vgpr1
.LBB185_1351:
	s_andn2_b64 vcc, exec, s[8:9]
	s_cbranch_vccnz .LBB185_1353
; %bb.1352:
	global_load_ushort v1, v[10:11], off
	s_waitcnt vmcnt(0)
	v_cvt_f16_u16_e32 v1, v1
.LBB185_1353:
	s_mov_b64 s[8:9], 0
.LBB185_1354:
	s_andn2_b64 vcc, exec, s[8:9]
	s_cbranch_vccnz .LBB185_1362
; %bb.1355:
	global_load_ubyte v3, v[10:11], off
	s_movk_i32 s8, 0x7f
	s_waitcnt vmcnt(0)
	v_cmp_lt_i16_e32 vcc, s8, v3
	s_mov_b64 s[8:9], 0
	s_and_saveexec_b64 s[10:11], vcc
	s_xor_b64 s[10:11], exec, s[10:11]
	s_cbranch_execz .LBB185_1375
; %bb.1356:
	s_movk_i32 s8, 0x80
	v_cmp_eq_u16_e32 vcc, s8, v3
	s_mov_b64 s[8:9], -1
	s_and_saveexec_b64 s[12:13], vcc
; %bb.1357:
	s_xor_b64 s[8:9], exec, -1
; %bb.1358:
	s_or_b64 exec, exec, s[12:13]
	s_and_b64 s[8:9], s[8:9], exec
	s_or_saveexec_b64 s[10:11], s[10:11]
	v_mov_b32_e32 v1, 0x7e00
	s_xor_b64 exec, exec, s[10:11]
	s_cbranch_execnz .LBB185_1376
.LBB185_1359:
	s_or_b64 exec, exec, s[10:11]
	s_and_saveexec_b64 s[10:11], s[8:9]
	s_cbranch_execz .LBB185_1361
.LBB185_1360:
	v_lshlrev_b32_e32 v1, 24, v3
	v_and_b32_e32 v3, 0xffff, v3
	v_and_b32_e32 v5, 7, v3
	v_ffbh_u32_e32 v9, v5
	v_min_u32_e32 v9, 32, v9
	v_subrev_u32_e32 v13, 28, v9
	v_bfe_u32 v7, v3, 3, 4
	v_lshlrev_b32_e32 v3, v13, v3
	v_sub_u32_e32 v9, 29, v9
	v_and_b32_e32 v3, 7, v3
	v_cmp_eq_u32_e32 vcc, 0, v7
	v_and_b32_e32 v1, 0x80000000, v1
	s_nop 0
	v_cndmask_b32_e32 v7, v7, v9, vcc
	v_cndmask_b32_e32 v3, v5, v3, vcc
	v_mov_b32_e32 v5, 0x3b800000
	v_lshlrev_b32_e32 v3, 20, v3
	v_lshl_add_u32 v5, v7, 23, v5
	v_or3_b32 v1, v1, v5, v3
	v_cvt_f16_f32_e32 v1, v1
.LBB185_1361:
	s_or_b64 exec, exec, s[10:11]
.LBB185_1362:
	s_mov_b64 s[10:11], -1
	v_mov_b32_e32 v3, 0
.LBB185_1363:
	s_branch .LBB185_1396
.LBB185_1364:
	s_cmp_gt_i32 s15, 22
	s_cbranch_scc0 .LBB185_1374
; %bb.1365:
	s_cmp_lt_i32 s15, 24
	s_cbranch_scc1 .LBB185_1377
; %bb.1366:
	s_cmp_gt_i32 s15, 24
	s_cbranch_scc0 .LBB185_1378
; %bb.1367:
	global_load_ubyte v3, v[10:11], off
	s_movk_i32 s2, 0x7f
	s_waitcnt vmcnt(0)
	v_cmp_lt_i16_e32 vcc, s2, v3
	s_mov_b64 s[2:3], 0
	s_and_saveexec_b64 s[8:9], vcc
	s_xor_b64 s[8:9], exec, s[8:9]
	s_cbranch_execz .LBB185_1389
; %bb.1368:
	s_movk_i32 s2, 0x80
	v_cmp_eq_u16_e32 vcc, s2, v3
	s_mov_b64 s[2:3], -1
	s_and_saveexec_b64 s[10:11], vcc
; %bb.1369:
	s_xor_b64 s[2:3], exec, -1
; %bb.1370:
	s_or_b64 exec, exec, s[10:11]
	s_and_b64 s[2:3], s[2:3], exec
	s_or_saveexec_b64 s[8:9], s[8:9]
	v_mov_b32_e32 v1, 0x7e00
	s_xor_b64 exec, exec, s[8:9]
	s_cbranch_execnz .LBB185_1390
.LBB185_1371:
	s_or_b64 exec, exec, s[8:9]
	s_and_saveexec_b64 s[8:9], s[2:3]
	s_cbranch_execz .LBB185_1373
.LBB185_1372:
	v_lshlrev_b32_e32 v1, 24, v3
	v_and_b32_e32 v3, 0xffff, v3
	v_and_b32_e32 v5, 3, v3
	v_ffbh_u32_e32 v9, v5
	v_min_u32_e32 v9, 32, v9
	v_subrev_u32_e32 v13, 29, v9
	v_bfe_u32 v7, v3, 2, 5
	v_lshlrev_b32_e32 v3, v13, v3
	v_sub_u32_e32 v9, 30, v9
	v_and_b32_e32 v3, 3, v3
	v_cmp_eq_u32_e32 vcc, 0, v7
	v_and_b32_e32 v1, 0x80000000, v1
	s_nop 0
	v_cndmask_b32_e32 v7, v7, v9, vcc
	v_cndmask_b32_e32 v3, v5, v3, vcc
	v_mov_b32_e32 v5, 0x37800000
	v_lshlrev_b32_e32 v3, 21, v3
	v_lshl_add_u32 v5, v7, 23, v5
	v_or3_b32 v1, v1, v5, v3
	v_cvt_f16_f32_e32 v1, v1
.LBB185_1373:
	s_or_b64 exec, exec, s[8:9]
	s_mov_b64 s[2:3], 0
	s_branch .LBB185_1379
.LBB185_1374:
                                        ; implicit-def: $vgpr1
	s_mov_b64 s[2:3], 0
	s_branch .LBB185_1385
.LBB185_1375:
	s_or_saveexec_b64 s[10:11], s[10:11]
	v_mov_b32_e32 v1, 0x7e00
	s_xor_b64 exec, exec, s[10:11]
	s_cbranch_execz .LBB185_1359
.LBB185_1376:
	v_cmp_ne_u16_e32 vcc, 0, v3
	s_andn2_b64 s[8:9], s[8:9], exec
	s_and_b64 s[12:13], vcc, exec
	s_or_b64 s[8:9], s[8:9], s[12:13]
	v_mov_b32_e32 v1, v3
	s_or_b64 exec, exec, s[10:11]
	s_and_saveexec_b64 s[10:11], s[8:9]
	s_cbranch_execnz .LBB185_1360
	s_branch .LBB185_1361
.LBB185_1377:
	s_mov_b64 s[2:3], -1
                                        ; implicit-def: $vgpr1
	s_branch .LBB185_1382
.LBB185_1378:
	s_mov_b64 s[2:3], -1
                                        ; implicit-def: $vgpr1
.LBB185_1379:
	s_and_b64 vcc, exec, s[2:3]
	s_cbranch_vccz .LBB185_1381
; %bb.1380:
	global_load_ubyte v1, v[10:11], off
	s_mov_b32 s2, 0x7f800000
	s_waitcnt vmcnt(0)
	v_lshlrev_b32_e32 v1, 24, v1
	v_and_b32_e32 v3, 0x7f000000, v1
	v_ffbh_u32_e32 v5, v3
	v_min_u32_e32 v5, 32, v5
	v_sub_u32_e64 v5, v5, 4 clamp
	v_lshlrev_b32_e32 v9, v5, v3
	v_lshlrev_b32_e32 v5, 23, v5
	v_lshrrev_b32_e32 v9, 4, v9
	v_add_u32_e32 v7, 0x1000000, v3
	v_sub_u32_e32 v5, v9, v5
	v_ashrrev_i32_e32 v7, 8, v7
	v_add_u32_e32 v5, 0x3c000000, v5
	v_and_or_b32 v5, v7, s2, v5
	v_cmp_ne_u32_e32 vcc, 0, v3
	s_brev_b32 s2, 1
	s_nop 0
	v_cndmask_b32_e32 v3, 0, v5, vcc
	v_and_or_b32 v1, v1, s2, v3
	v_cvt_f16_f32_e32 v1, v1
.LBB185_1381:
	s_mov_b64 s[2:3], 0
.LBB185_1382:
	s_andn2_b64 vcc, exec, s[2:3]
	s_cbranch_vccnz .LBB185_1384
; %bb.1383:
	global_load_ubyte v1, v[10:11], off
	s_movk_i32 s2, 0x7f00
	s_brev_b32 s3, 16
	s_waitcnt vmcnt(0)
	v_lshlrev_b16_e32 v3, 8, v1
	v_lshlrev_b32_e32 v1, 25, v1
	v_lshrrev_b32_e32 v5, 4, v1
	v_and_or_b32 v7, v3, s2, 0.5
	v_or_b32_e32 v5, 0x70000000, v5
	v_add_f32_e32 v7, -0.5, v7
	v_mul_f32_e32 v5, 0x7800000, v5
	v_cmp_gt_u32_e32 vcc, s3, v1
	v_bfe_i32 v3, v3, 0, 16
	s_brev_b32 s2, 1
	v_cndmask_b32_e32 v1, v5, v7, vcc
	v_and_or_b32 v1, v3, s2, v1
	v_cvt_f16_f32_e32 v1, v1
.LBB185_1384:
	s_mov_b64 s[10:11], -1
	s_mov_b64 s[2:3], 0
	s_cbranch_execnz .LBB185_1395
.LBB185_1385:
	s_cmp_gt_i32 s15, 14
	s_cbranch_scc0 .LBB185_1388
; %bb.1386:
	s_cmp_eq_u32 s15, 15
	s_cbranch_scc0 .LBB185_1391
; %bb.1387:
	global_load_ushort v1, v[10:11], off
	s_mov_b64 s[0:1], 0
	s_mov_b64 s[10:11], -1
	s_waitcnt vmcnt(0)
	v_lshlrev_b32_e32 v1, 16, v1
	v_cvt_f16_f32_e32 v1, v1
	s_branch .LBB185_1392
.LBB185_1388:
	s_mov_b64 s[8:9], -1
                                        ; implicit-def: $vgpr1
	s_branch .LBB185_1393
.LBB185_1389:
	s_or_saveexec_b64 s[8:9], s[8:9]
	v_mov_b32_e32 v1, 0x7e00
	s_xor_b64 exec, exec, s[8:9]
	s_cbranch_execz .LBB185_1371
.LBB185_1390:
	v_cmp_ne_u16_e32 vcc, 0, v3
	s_andn2_b64 s[2:3], s[2:3], exec
	s_and_b64 s[10:11], vcc, exec
	s_or_b64 s[2:3], s[2:3], s[10:11]
	v_mov_b32_e32 v1, v3
	s_or_b64 exec, exec, s[8:9]
	s_and_saveexec_b64 s[8:9], s[2:3]
	s_cbranch_execnz .LBB185_1372
	s_branch .LBB185_1373
.LBB185_1391:
	s_mov_b64 s[0:1], -1
                                        ; implicit-def: $vgpr1
.LBB185_1392:
	s_mov_b64 s[8:9], 0
.LBB185_1393:
	s_and_b64 vcc, exec, s[8:9]
	s_cbranch_vccz .LBB185_1395
; %bb.1394:
	s_cmp_lg_u32 s15, 11
	s_mov_b64 s[2:3], -1
	s_cselect_b64 s[0:1], -1, 0
.LBB185_1395:
	v_mov_b32_e32 v3, 0
.LBB185_1396:
	s_and_b64 vcc, exec, s[0:1]
	s_mov_b64 s[8:9], s[24:25]
	s_cbranch_vccnz .LBB185_1497
; %bb.1397:
	s_andn2_b64 vcc, exec, s[2:3]
	s_cbranch_vccnz .LBB185_1399
.LBB185_1398:
	global_load_ubyte v1, v[10:11], off
	v_mov_b32_e32 v5, 0x3c00
	v_mov_b32_e32 v3, 0
	s_mov_b64 s[10:11], -1
	s_waitcnt vmcnt(0)
	v_cmp_ne_u16_e32 vcc, 0, v1
	s_nop 1
	v_cndmask_b32_e32 v1, 0, v5, vcc
.LBB185_1399:
	s_branch .LBB185_1326
.LBB185_1400:
	s_and_b32 s2, 0xffff, s14
	s_cmp_lt_i32 s2, 5
	s_cbranch_scc1 .LBB185_1405
; %bb.1401:
	s_cmp_lt_i32 s2, 8
	s_cbranch_scc1 .LBB185_1407
; %bb.1402:
	;; [unrolled: 3-line block ×3, first 2 shown]
	s_cmp_gt_i32 s2, 9
	s_cbranch_scc0 .LBB185_1409
; %bb.1404:
	global_load_dwordx4 v[16:19], v[10:11], off
	s_movk_i32 s0, 0x1ff
	s_movk_i32 s1, 0xffe
	s_waitcnt vmcnt(1)
	v_mov_b32_e32 v1, 0x7c00
	v_mov_b32_e32 v3, 0x7e00
	s_movk_i32 s3, 0x40f
	s_mov_b32 s10, 0x8000
	s_waitcnt vmcnt(0)
	v_and_or_b32 v5, v17, s0, v16
	v_and_or_b32 v15, v19, s0, v18
	v_cmp_ne_u32_e32 vcc, 0, v5
	v_lshrrev_b32_e32 v7, 8, v17
	v_bfe_u32 v9, v17, 20, 11
	v_cndmask_b32_e64 v5, 0, 1, vcc
	v_cmp_ne_u32_e32 vcc, 0, v15
	v_lshrrev_b32_e32 v13, 16, v17
	v_lshrrev_b32_e32 v16, 8, v19
	v_bfe_u32 v17, v19, 20, 11
	v_lshrrev_b32_e32 v18, 16, v19
	v_sub_u32_e32 v19, 0x3f1, v9
	v_cndmask_b32_e64 v15, 0, 1, vcc
	v_and_or_b32 v5, v7, s1, v5
	v_add_u32_e32 v9, 0xfffffc10, v9
	v_sub_u32_e32 v20, 0x3f1, v17
	v_add_u32_e32 v17, 0xfffffc10, v17
	v_med3_i32 v7, v19, 0, 13
	v_and_or_b32 v15, v16, s1, v15
	v_or_b32_e32 v19, 0x1000, v5
	v_cmp_ne_u32_e32 vcc, 0, v5
	v_med3_i32 v16, v20, 0, 13
	v_lshl_or_b32 v20, v9, 12, v5
	v_cndmask_b32_e32 v5, v1, v3, vcc
	v_or_b32_e32 v21, 0x1000, v15
	v_lshl_or_b32 v22, v17, 12, v15
	v_cmp_ne_u32_e32 vcc, 0, v15
	v_lshrrev_b32_e32 v15, v7, v19
	v_lshrrev_b32_e32 v23, v16, v21
	v_lshlrev_b32_e32 v7, v7, v15
	v_cndmask_b32_e32 v3, v1, v3, vcc
	v_lshlrev_b32_e32 v16, v16, v23
	v_cmp_ne_u32_e32 vcc, v7, v19
	s_mov_b64 s[0:1], 0
	s_nop 0
	v_cndmask_b32_e64 v7, 0, 1, vcc
	v_cmp_ne_u32_e32 vcc, v16, v21
	v_or_b32_e32 v7, v15, v7
	s_nop 0
	v_cndmask_b32_e64 v16, 0, 1, vcc
	v_cmp_gt_i32_e32 vcc, 1, v9
	v_or_b32_e32 v15, v23, v16
	s_nop 0
	v_cndmask_b32_e32 v7, v20, v7, vcc
	v_cmp_gt_i32_e32 vcc, 1, v17
	v_and_b32_e32 v16, 7, v7
	v_lshrrev_b32_e32 v7, 2, v7
	v_cndmask_b32_e32 v15, v22, v15, vcc
	v_cmp_lt_i32_e32 vcc, 5, v16
	v_and_b32_e32 v19, 7, v15
	v_lshrrev_b32_e32 v15, 2, v15
	v_cndmask_b32_e64 v20, 0, 1, vcc
	v_cmp_eq_u32_e32 vcc, 3, v16
	s_nop 1
	v_cndmask_b32_e64 v16, 0, 1, vcc
	v_cmp_lt_i32_e32 vcc, 5, v19
	v_or_b32_e32 v16, v16, v20
	v_add_u32_e32 v7, v7, v16
	v_cndmask_b32_e64 v21, 0, 1, vcc
	v_cmp_eq_u32_e32 vcc, 3, v19
	s_nop 1
	v_cndmask_b32_e64 v19, 0, 1, vcc
	v_or_b32_e32 v19, v19, v21
	v_cmp_gt_i32_e32 vcc, 31, v9
	v_add_u32_e32 v15, v15, v19
	s_nop 0
	v_cndmask_b32_e32 v7, v1, v7, vcc
	v_cmp_gt_i32_e32 vcc, 31, v17
	s_nop 1
	v_cndmask_b32_e32 v1, v1, v15, vcc
	v_cmp_eq_u32_e32 vcc, s3, v9
	s_nop 1
	v_cndmask_b32_e32 v5, v7, v5, vcc
	v_cmp_eq_u32_e32 vcc, s3, v17
	s_nop 1
	v_cndmask_b32_e32 v3, v1, v3, vcc
	v_and_or_b32 v1, v13, s10, v5
	v_and_or_b32 v3, v18, s10, v3
	s_branch .LBB185_1410
.LBB185_1405:
                                        ; implicit-def: $vgpr3
                                        ; implicit-def: $vgpr1
	s_branch .LBB185_1428
.LBB185_1406:
	s_branch .LBB185_1447
.LBB185_1407:
                                        ; implicit-def: $vgpr3
                                        ; implicit-def: $vgpr1
	s_branch .LBB185_1416
.LBB185_1408:
	s_mov_b64 s[0:1], -1
                                        ; implicit-def: $vgpr3
                                        ; implicit-def: $vgpr1
	s_branch .LBB185_1413
.LBB185_1409:
	s_mov_b64 s[0:1], -1
                                        ; implicit-def: $vgpr3
                                        ; implicit-def: $vgpr1
.LBB185_1410:
	s_andn2_b64 vcc, exec, s[0:1]
	s_cbranch_vccnz .LBB185_1412
; %bb.1411:
	global_load_dwordx2 v[16:17], v[10:11], off
	s_waitcnt vmcnt(0)
	v_cvt_f16_f32_e32 v1, v16
	v_cvt_f16_f32_e32 v3, v17
.LBB185_1412:
	s_mov_b64 s[0:1], 0
.LBB185_1413:
	s_andn2_b64 vcc, exec, s[0:1]
	s_cbranch_vccnz .LBB185_1415
; %bb.1414:
	global_load_dword v1, v[10:11], off
	s_waitcnt vmcnt(0)
	v_lshrrev_b32_e32 v3, 16, v1
.LBB185_1415:
	s_cbranch_execnz .LBB185_1427
.LBB185_1416:
	s_cmp_lt_i32 s2, 6
	s_cbranch_scc1 .LBB185_1419
; %bb.1417:
	s_cmp_gt_i32 s2, 6
	s_cbranch_scc0 .LBB185_1420
; %bb.1418:
	global_load_dwordx2 v[16:17], v[10:11], off
	s_movk_i32 s0, 0x1ff
	s_movk_i32 s1, 0xffe
	s_waitcnt vmcnt(1)
	v_mov_b32_e32 v1, 0x7c00
	v_mov_b32_e32 v3, 0x7e00
	s_movk_i32 s3, 0x40f
	s_mov_b32 s10, 0x8000
	s_waitcnt vmcnt(0)
	v_and_or_b32 v5, v17, s0, v16
	v_cmp_ne_u32_e32 vcc, 0, v5
	v_lshrrev_b32_e32 v7, 8, v17
	v_bfe_u32 v9, v17, 20, 11
	v_cndmask_b32_e64 v5, 0, 1, vcc
	v_sub_u32_e32 v15, 0x3f1, v9
	v_and_or_b32 v5, v7, s1, v5
	v_add_u32_e32 v9, 0xfffffc10, v9
	v_med3_i32 v7, v15, 0, 13
	v_or_b32_e32 v15, 0x1000, v5
	v_lshl_or_b32 v16, v9, 12, v5
	v_cmp_ne_u32_e32 vcc, 0, v5
	v_lshrrev_b32_e32 v5, v7, v15
	v_lshlrev_b32_e32 v7, v7, v5
	v_cndmask_b32_e32 v3, v1, v3, vcc
	v_cmp_ne_u32_e32 vcc, v7, v15
	v_lshrrev_b32_e32 v13, 16, v17
	s_mov_b64 s[0:1], 0
	v_cndmask_b32_e64 v7, 0, 1, vcc
	v_or_b32_e32 v5, v5, v7
	v_cmp_gt_i32_e32 vcc, 1, v9
	s_nop 1
	v_cndmask_b32_e32 v5, v16, v5, vcc
	v_and_b32_e32 v7, 7, v5
	v_cmp_lt_i32_e32 vcc, 5, v7
	v_lshrrev_b32_e32 v5, 2, v5
	s_nop 0
	v_cndmask_b32_e64 v15, 0, 1, vcc
	v_cmp_eq_u32_e32 vcc, 3, v7
	s_nop 1
	v_cndmask_b32_e64 v7, 0, 1, vcc
	v_or_b32_e32 v7, v7, v15
	v_add_u32_e32 v5, v5, v7
	v_cmp_gt_i32_e32 vcc, 31, v9
	s_nop 1
	v_cndmask_b32_e32 v1, v1, v5, vcc
	v_cmp_eq_u32_e32 vcc, s3, v9
	s_nop 1
	v_cndmask_b32_e32 v1, v1, v3, vcc
	v_and_or_b32 v1, v13, s10, v1
	s_branch .LBB185_1421
.LBB185_1419:
	s_mov_b64 s[0:1], -1
                                        ; implicit-def: $vgpr1
	s_branch .LBB185_1424
.LBB185_1420:
	s_mov_b64 s[0:1], -1
                                        ; implicit-def: $vgpr1
.LBB185_1421:
	s_andn2_b64 vcc, exec, s[0:1]
	s_cbranch_vccnz .LBB185_1423
; %bb.1422:
	global_load_dword v1, v[10:11], off
	s_waitcnt vmcnt(0)
	v_cvt_f16_f32_e32 v1, v1
.LBB185_1423:
	s_mov_b64 s[0:1], 0
.LBB185_1424:
	s_andn2_b64 vcc, exec, s[0:1]
	s_cbranch_vccnz .LBB185_1426
; %bb.1425:
	global_load_ushort v1, v[10:11], off
.LBB185_1426:
	v_mov_b32_e32 v3, 0
.LBB185_1427:
	s_cbranch_execnz .LBB185_1406
.LBB185_1428:
	s_cmp_lt_i32 s2, 2
	s_cbranch_scc1 .LBB185_1432
; %bb.1429:
	s_cmp_lt_i32 s2, 3
	s_cbranch_scc1 .LBB185_1433
; %bb.1430:
	s_cmp_gt_i32 s2, 3
	s_cbranch_scc0 .LBB185_1434
; %bb.1431:
	global_load_dwordx2 v[16:17], v[10:11], off
	s_mov_b64 s[0:1], 0
	s_waitcnt vmcnt(0)
	v_xor_b32_e32 v3, v16, v17
	v_ffbh_i32_e32 v1, v17
	v_ashrrev_i32_e32 v3, 31, v3
	v_add_u32_e32 v1, -1, v1
	v_add_u32_e32 v3, 32, v3
	v_min_u32_e32 v1, v1, v3
	v_lshlrev_b64 v[16:17], v1, v[16:17]
	v_min_u32_e32 v3, 1, v16
	v_or_b32_e32 v3, v17, v3
	v_cvt_f32_i32_e32 v3, v3
	v_sub_u32_e32 v1, 32, v1
	v_ldexp_f32 v1, v3, v1
	v_cvt_f16_f32_e32 v1, v1
	s_branch .LBB185_1435
.LBB185_1432:
                                        ; implicit-def: $vgpr1
	s_branch .LBB185_1441
.LBB185_1433:
	s_mov_b64 s[0:1], -1
                                        ; implicit-def: $vgpr1
	s_branch .LBB185_1438
.LBB185_1434:
	s_mov_b64 s[0:1], -1
                                        ; implicit-def: $vgpr1
.LBB185_1435:
	s_andn2_b64 vcc, exec, s[0:1]
	s_cbranch_vccnz .LBB185_1437
; %bb.1436:
	global_load_dword v1, v[10:11], off
	s_waitcnt vmcnt(0)
	v_cvt_f32_i32_e32 v1, v1
	v_cvt_f16_f32_e32 v1, v1
.LBB185_1437:
	s_mov_b64 s[0:1], 0
.LBB185_1438:
	s_andn2_b64 vcc, exec, s[0:1]
	s_cbranch_vccnz .LBB185_1440
; %bb.1439:
	global_load_ushort v1, v[10:11], off
	s_waitcnt vmcnt(0)
	v_cvt_f16_i16_e32 v1, v1
.LBB185_1440:
	s_cbranch_execnz .LBB185_1446
.LBB185_1441:
	s_cmp_gt_i32 s2, 0
	s_cbranch_scc0 .LBB185_1443
; %bb.1442:
	global_load_sbyte v1, v[10:11], off
	s_mov_b64 s[0:1], 0
	s_waitcnt vmcnt(0)
	v_cvt_f16_i16_e32 v1, v1
	s_branch .LBB185_1444
.LBB185_1443:
	s_mov_b64 s[0:1], -1
                                        ; implicit-def: $vgpr1
.LBB185_1444:
	s_andn2_b64 vcc, exec, s[0:1]
	s_cbranch_vccnz .LBB185_1446
; %bb.1445:
	global_load_ubyte v1, v[10:11], off
	s_waitcnt vmcnt(0)
	v_cvt_f16_u16_e32 v1, v1
.LBB185_1446:
	v_mov_b32_e32 v3, 0
.LBB185_1447:
	v_cvt_f32_f16_e32 v17, v3
	s_waitcnt vmcnt(0)
	v_cmp_neq_f16_e32 vcc, 0, v1
	v_cmp_neq_f16_e64 s[0:1], 0, v3
	s_or_b64 s[0:1], vcc, s[0:1]
	v_mov_b32_e32 v16, 0
	s_and_saveexec_b64 s[10:11], s[0:1]
	s_cbranch_execz .LBB185_1477
; %bb.1448:
	v_mov_b32_e32 v16, 0x7f800000
	v_cmp_neq_f32_e64 s[0:1], |v17|, v16
	s_and_saveexec_b64 s[12:13], s[0:1]
	s_cbranch_execz .LBB185_1476
; %bb.1449:
	v_cvt_f32_f16_e32 v3, v1
	v_cmp_o_f16_e32 vcc, v1, v1
	s_and_saveexec_b64 s[0:1], vcc
	s_xor_b64 s[14:15], exec, s[0:1]
	s_cbranch_execz .LBB185_1473
; %bb.1450:
	s_mov_b32 s0, 0x7f800000
	v_cmp_neq_f32_e64 s[0:1], |v3|, s0
	s_and_saveexec_b64 s[2:3], s[0:1]
	s_xor_b64 s[16:17], exec, s[2:3]
	s_cbranch_execz .LBB185_1466
; %bb.1451:
	v_max_f32_e64 v1, |v17|, |v17|
	v_max_f32_e64 v5, |v3|, |v3|
	v_max_f32_e32 v1, v5, v1
	s_mov_b32 s0, 0x7ed413cb
	v_cmp_nle_f32_e64 s[0:1], s0, v1
                                        ; implicit-def: $sgpr18_sgpr19
	s_and_saveexec_b64 s[2:3], s[0:1]
	s_xor_b64 s[2:3], exec, s[2:3]
	s_cbranch_execz .LBB185_1455
; %bb.1452:
	s_mov_b32 s20, 0x1000000
	v_cmp_le_f32_e64 s[18:19], |v3|, s20
	v_cmp_le_f32_e64 s[20:21], |v17|, s20
	s_and_b64 s[28:29], s[18:19], s[20:21]
	s_mov_b64 s[18:19], 0
	s_and_saveexec_b64 s[20:21], s[28:29]
; %bb.1453:
	s_mov_b64 s[18:19], exec
	v_mul_f32_e32 v17, 4.0, v17
	v_mul_f32_e32 v3, 4.0, v3
; %bb.1454:
	s_or_b64 exec, exec, s[20:21]
.LBB185_1455:
	s_andn2_saveexec_b64 s[2:3], s[2:3]
; %bb.1456:
	v_mul_f32_e32 v3, 0x3e800000, v3
	v_mul_f32_e32 v17, 0x3e800000, v17
	s_andn2_b64 s[18:19], s[18:19], exec
; %bb.1457:
	s_or_b64 exec, exec, s[2:3]
	v_max_f32_e64 v1, |v17|, |v17|
	v_max_f32_e64 v5, |v3|, |v3|
	v_max_f32_e32 v1, v5, v1
	v_cvt_f64_f32_e32 v[10:11], v1
	v_frexp_exp_i32_f64_e32 v5, v[10:11]
	v_sub_u32_e32 v7, 0, v5
	v_ldexp_f32 v9, |v3|, v7
	v_ldexp_f32 v7, |v17|, v7
	v_mul_f32_e32 v7, v7, v7
	v_fmac_f32_e32 v7, v9, v9
	v_sqrt_f32_e32 v7, v7
	s_mov_b32 s2, 0x7f800000
	v_cmp_neq_f32_e64 s[2:3], s2, v1
	v_cmp_le_f32_e32 vcc, 0, v3
	v_ldexp_f32 v5, v7, v5
	v_mov_b32_e32 v7, 0x7f800000
	v_cndmask_b32_e64 v1, v7, v5, s[2:3]
                                        ; implicit-def: $vgpr10_vgpr11
	s_and_saveexec_b64 s[2:3], vcc
	s_xor_b64 s[20:21], exec, s[2:3]
	s_cbranch_execz .LBB185_1459
; %bb.1458:
	v_add_f32_e32 v1, v3, v1
	v_mul_f32_e32 v1, 0.5, v1
	s_mov_b32 s2, 0xf800000
	v_mul_f32_e32 v3, 0x4f800000, v1
	v_cmp_gt_f32_e32 vcc, s2, v1
	s_nop 1
	v_cndmask_b32_e32 v1, v1, v3, vcc
	v_sqrt_f32_e32 v3, v1
	s_nop 0
	v_add_u32_e32 v5, -1, v3
	v_fma_f32 v7, -v5, v3, v1
	v_cmp_ge_f32_e64 s[2:3], 0, v7
	v_add_u32_e32 v7, 1, v3
	s_nop 0
	v_cndmask_b32_e64 v5, v3, v5, s[2:3]
	v_fma_f32 v3, -v7, v3, v1
	v_cmp_lt_f32_e64 s[2:3], 0, v3
	s_nop 1
	v_cndmask_b32_e64 v3, v5, v7, s[2:3]
	v_mul_f32_e32 v5, 0x37800000, v3
	v_cndmask_b32_e32 v3, v3, v5, vcc
	v_mov_b32_e32 v5, 0x260
	v_cmp_class_f32_e32 vcc, v1, v5
	s_nop 1
	v_cndmask_b32_e32 v10, v3, v1, vcc
	v_add_f32_e32 v1, v10, v10
	v_div_scale_f32 v3, s[2:3], v1, v1, v17
	v_rcp_f32_e32 v5, v3
	s_nop 0
	v_fma_f32 v7, -v3, v5, 1.0
	v_fmac_f32_e32 v5, v7, v5
	v_div_scale_f32 v7, vcc, v17, v1, v17
	v_mul_f32_e32 v9, v7, v5
	v_fma_f32 v11, -v3, v9, v7
	v_fmac_f32_e32 v9, v11, v5
	v_fma_f32 v3, -v3, v9, v7
	v_div_fmas_f32 v3, v3, v5, v9
	v_div_fixup_f32 v11, v3, v1, v17
                                        ; implicit-def: $vgpr1
                                        ; implicit-def: $vgpr3
                                        ; implicit-def: $vgpr17
	s_andn2_saveexec_b64 s[20:21], s[20:21]
	s_cbranch_execz .LBB185_1461
	s_branch .LBB185_1460
.LBB185_1459:
	s_andn2_saveexec_b64 s[20:21], s[20:21]
	s_cbranch_execz .LBB185_1461
.LBB185_1460:
	v_sub_f32_e32 v1, v1, v3
	v_mul_f32_e32 v1, 0.5, v1
	s_mov_b32 s2, 0xf800000
	v_mul_f32_e32 v3, 0x4f800000, v1
	v_cmp_gt_f32_e32 vcc, s2, v1
	s_nop 1
	v_cndmask_b32_e32 v1, v1, v3, vcc
	v_sqrt_f32_e32 v3, v1
	s_nop 0
	v_add_u32_e32 v5, -1, v3
	v_fma_f32 v7, -v5, v3, v1
	v_cmp_ge_f32_e64 s[2:3], 0, v7
	v_add_u32_e32 v7, 1, v3
	s_nop 0
	v_cndmask_b32_e64 v5, v3, v5, s[2:3]
	v_fma_f32 v3, -v7, v3, v1
	v_cmp_lt_f32_e64 s[2:3], 0, v3
	s_nop 1
	v_cndmask_b32_e64 v3, v5, v7, s[2:3]
	v_mul_f32_e32 v5, 0x37800000, v3
	v_cndmask_b32_e32 v3, v3, v5, vcc
	v_mov_b32_e32 v5, 0x260
	v_cmp_class_f32_e32 vcc, v1, v5
	v_and_b32_e32 v5, 0x7fffffff, v17
	s_nop 0
	v_cndmask_b32_e32 v1, v3, v1, vcc
	v_add_f32_e32 v3, v1, v1
	v_div_scale_f32 v7, s[2:3], v3, v3, v5
	v_rcp_f32_e32 v9, v7
	v_div_scale_f32 v5, vcc, v5, v3, v5
	s_brev_b32 s2, -2
	v_fma_f32 v10, -v7, v9, 1.0
	v_fmac_f32_e32 v9, v10, v9
	v_mul_f32_e32 v10, v5, v9
	v_fma_f32 v11, -v7, v10, v5
	v_fmac_f32_e32 v10, v11, v9
	v_fma_f32 v5, -v7, v10, v5
	v_div_fmas_f32 v5, v5, v9, v10
	v_div_fixup_f32 v10, v5, v3, |v17|
	v_bfi_b32 v11, s2, v1, v17
.LBB185_1461:
	s_or_b64 exec, exec, s[20:21]
                                        ; implicit-def: $vgpr17
	s_and_saveexec_b64 s[2:3], s[0:1]
	s_xor_b64 s[0:1], exec, s[2:3]
	s_cbranch_execz .LBB185_1463
; %bb.1462:
	v_pk_mul_f32 v[16:17], v[10:11], 0.5 op_sel_hi:[1,0]
	s_nop 0
	v_cndmask_b32_e64 v16, v10, v16, s[18:19]
	v_cndmask_b32_e64 v17, v11, v17, s[18:19]
                                        ; implicit-def: $vgpr10_vgpr11
	s_andn2_saveexec_b64 s[0:1], s[0:1]
	s_cbranch_execnz .LBB185_1464
	s_branch .LBB185_1465
.LBB185_1463:
	s_andn2_saveexec_b64 s[0:1], s[0:1]
.LBB185_1464:
	v_pk_add_f32 v[16:17], v[10:11], v[10:11]
.LBB185_1465:
	s_or_b64 exec, exec, s[0:1]
                                        ; implicit-def: $vgpr3
                                        ; implicit-def: $vgpr1
.LBB185_1466:
	s_andn2_saveexec_b64 s[0:1], s[16:17]
	s_cbranch_execz .LBB185_1472
; %bb.1467:
	v_cmp_lt_i16_e32 vcc, -1, v1
	v_sub_f32_e32 v1, v17, v17
	s_brev_b32 s16, -2
	v_and_b32_e32 v16, 0x7fffffff, v1
	s_and_saveexec_b64 s[2:3], vcc
	s_xor_b64 s[2:3], exec, s[2:3]
; %bb.1468:
	v_bfi_b32 v17, s16, v1, v17
	v_mov_b32_e32 v16, v3
; %bb.1469:
	s_andn2_saveexec_b64 s[2:3], s[2:3]
; %bb.1470:
	v_bfi_b32 v17, s16, v3, v17
; %bb.1471:
	s_or_b64 exec, exec, s[2:3]
.LBB185_1472:
	s_or_b64 exec, exec, s[0:1]
                                        ; implicit-def: $vgpr3
.LBB185_1473:
	s_andn2_saveexec_b64 s[0:1], s[14:15]
	s_cbranch_execz .LBB185_1475
; %bb.1474:
	v_sub_f32_e32 v1, v17, v17
	v_div_scale_f32 v5, vcc, v1, v1, v1
	v_rcp_f32_e32 v7, v5
	v_mov_b32_e32 v16, v3
	v_fma_f32 v9, -v5, v7, 1.0
	v_fmac_f32_e32 v7, v9, v7
	v_mul_f32_e32 v9, v5, v7
	v_fma_f32 v10, -v5, v9, v5
	v_fmac_f32_e32 v9, v10, v7
	v_fma_f32 v5, -v5, v9, v5
	v_div_fmas_f32 v5, v5, v7, v9
	v_div_fixup_f32 v17, v5, v1, v1
.LBB185_1475:
	s_or_b64 exec, exec, s[0:1]
.LBB185_1476:
	s_or_b64 exec, exec, s[12:13]
.LBB185_1477:
	s_or_b64 exec, exec, s[10:11]
	v_cmp_gt_f32_e32 vcc, 0, v17
                                        ; implicit-def: $vgpr10_vgpr11
	s_nop 1
	v_cndmask_b32_e64 v3, v17, -v17, vcc
	v_cmp_gt_f32_e32 vcc, 0, v16
	s_nop 1
	v_cndmask_b32_e64 v1, v16, -v16, vcc
	v_cmp_ge_f32_e32 vcc, v1, v3
	s_and_saveexec_b64 s[0:1], vcc
	s_xor_b64 s[2:3], exec, s[0:1]
	s_cbranch_execz .LBB185_1483
; %bb.1478:
	v_cmp_neq_f32_e32 vcc, 0, v16
	v_cmp_neq_f32_e64 s[0:1], 0, v17
	s_or_b64 s[0:1], vcc, s[0:1]
                                        ; implicit-def: $vgpr10_vgpr11
	s_and_saveexec_b64 s[10:11], s[0:1]
	s_xor_b64 s[0:1], exec, s[10:11]
	s_cbranch_execz .LBB185_1480
; %bb.1479:
	v_div_scale_f32 v1, s[10:11], v16, v16, v17
	v_rcp_f32_e32 v3, v1
	v_div_scale_f32 v5, vcc, v17, v16, v17
	v_fma_f32 v7, -v1, v3, 1.0
	v_fmac_f32_e32 v3, v7, v3
	v_mul_f32_e32 v7, v5, v3
	v_fma_f32 v9, -v1, v7, v5
	v_fmac_f32_e32 v7, v9, v3
	v_fma_f32 v1, -v1, v7, v5
	v_div_fmas_f32 v1, v1, v3, v7
	v_div_fixup_f32 v1, v1, v16, v17
	v_fmac_f32_e32 v16, v17, v1
	v_div_scale_f32 v3, s[10:11], v16, v16, 1.0
	v_rcp_f32_e32 v5, v3
	v_sub_f32_e32 v17, 0, v1
	v_fma_f32 v7, -v3, v5, 1.0
	v_fmac_f32_e32 v5, v7, v5
	v_div_scale_f32 v7, vcc, 1.0, v16, 1.0
	v_mul_f32_e32 v9, v7, v5
	v_fma_f32 v10, -v3, v9, v7
	v_fmac_f32_e32 v9, v10, v5
	v_fma_f32 v3, -v3, v9, v7
	v_div_fmas_f32 v3, v3, v5, v9
	v_div_fixup_f32 v10, v3, v16, 1.0
	v_mul_f32_e32 v3, 0, v1
	v_add_f32_e32 v16, 1.0, v3
	v_pk_mul_f32 v[10:11], v[16:17], v[10:11] op_sel_hi:[1,0]
                                        ; implicit-def: $vgpr3
                                        ; implicit-def: $vgpr1
.LBB185_1480:
	s_andn2_saveexec_b64 s[0:1], s[0:1]
	s_cbranch_execz .LBB185_1482
; %bb.1481:
	v_div_scale_f32 v5, s[10:11], v3, v3, 0
	v_rcp_f32_e32 v7, v5
	v_div_scale_f32 v9, vcc, 0, v3, 0
	v_fma_f32 v10, -v5, v7, 1.0
	v_fmac_f32_e32 v7, v10, v7
	v_mul_f32_e32 v10, v9, v7
	v_fma_f32 v11, -v5, v10, v9
	v_fmac_f32_e32 v10, v11, v7
	v_fma_f32 v5, -v5, v10, v9
	v_div_scale_f32 v9, s[10:11], v1, v1, 1.0
	v_rcp_f32_e32 v13, v9
	v_div_fmas_f32 v5, v5, v7, v10
	v_div_fixup_f32 v11, v5, v3, 0
	v_fma_f32 v3, -v9, v13, 1.0
	v_fmac_f32_e32 v13, v3, v13
	v_div_scale_f32 v3, vcc, 1.0, v1, 1.0
	v_mul_f32_e32 v5, v3, v13
	v_fma_f32 v7, -v9, v5, v3
	v_fmac_f32_e32 v5, v7, v13
	v_fma_f32 v3, -v9, v5, v3
	v_div_fmas_f32 v3, v3, v13, v5
	v_div_fixup_f32 v10, v3, v1, 1.0
.LBB185_1482:
	s_or_b64 exec, exec, s[0:1]
                                        ; implicit-def: $vgpr17
.LBB185_1483:
	s_andn2_saveexec_b64 s[0:1], s[2:3]
	s_cbranch_execz .LBB185_1485
; %bb.1484:
	v_div_scale_f32 v1, s[2:3], v17, v17, v16
	v_rcp_f32_e32 v3, v1
	v_div_scale_f32 v5, vcc, v16, v17, v16
	v_fma_f32 v7, -v1, v3, 1.0
	v_fmac_f32_e32 v3, v7, v3
	v_mul_f32_e32 v7, v5, v3
	v_fma_f32 v9, -v1, v7, v5
	v_fmac_f32_e32 v7, v9, v3
	v_fma_f32 v1, -v1, v7, v5
	v_div_fmas_f32 v1, v1, v3, v7
	v_div_fixup_f32 v10, v1, v17, v16
	v_fmac_f32_e32 v17, v16, v10
	v_div_scale_f32 v1, s[2:3], v17, v17, 1.0
	v_rcp_f32_e32 v3, v1
	s_mov_b32 s2, 0
	s_mov_b32 s3, -1.0
	v_mul_f32_e32 v11, 0, v10
	v_fma_f32 v5, -v1, v3, 1.0
	v_fmac_f32_e32 v3, v5, v3
	v_div_scale_f32 v5, vcc, 1.0, v17, 1.0
	v_mul_f32_e32 v7, v5, v3
	v_fma_f32 v9, -v1, v7, v5
	v_fmac_f32_e32 v7, v9, v3
	v_fma_f32 v1, -v1, v7, v5
	v_div_fmas_f32 v1, v1, v3, v7
	v_div_fixup_f32 v16, v1, v17, 1.0
	v_pk_add_f32 v[10:11], v[10:11], s[2:3]
	s_nop 0
	v_pk_mul_f32 v[10:11], v[10:11], v[16:17] op_sel_hi:[1,0]
.LBB185_1485:
	s_or_b64 exec, exec, s[0:1]
	s_lshr_b32 s0, s22, 16
	v_mov_b32_e32 v13, 0
	s_and_b32 s23, s0, 0xff
	s_cmp_lt_i32 s23, 11
	v_lshl_add_u64 v[12:13], s[6:7], 0, v[12:13]
	s_cbranch_scc1 .LBB185_1492
; %bb.1486:
	s_and_b32 s16, 0xffff, s23
	s_cmp_gt_i32 s16, 25
	s_mov_b64 s[2:3], 0
	s_cbranch_scc0 .LBB185_1494
; %bb.1487:
	s_cmp_gt_i32 s16, 28
	s_cbranch_scc0 .LBB185_1495
; %bb.1488:
	s_cmp_gt_i32 s16, 43
	;; [unrolled: 3-line block ×3, first 2 shown]
	s_cbranch_scc0 .LBB185_1498
; %bb.1490:
	s_cmp_eq_u32 s16, 46
	s_mov_b64 s[12:13], 0
	s_cbranch_scc0 .LBB185_1501
; %bb.1491:
	global_load_dword v1, v[12:13], off
	s_mov_b64 s[0:1], 0
	s_mov_b64 s[10:11], -1
	s_waitcnt vmcnt(0)
	v_and_b32_e32 v3, 0xffff0000, v1
	v_lshlrev_b32_e32 v1, 16, v1
	v_cvt_f16_f32_e32 v1, v1
	v_cvt_f16_f32_e32 v3, v3
	s_branch .LBB185_1502
.LBB185_1492:
	s_mov_b64 s[10:11], 0
                                        ; implicit-def: $vgpr3
                                        ; implicit-def: $vgpr1
	s_cbranch_execnz .LBB185_1570
.LBB185_1493:
	s_andn2_b64 vcc, exec, s[10:11]
	s_cbranch_vccnz .LBB185_2435
	s_branch .LBB185_1619
.LBB185_1494:
	s_mov_b64 s[10:11], 0
	s_mov_b64 s[0:1], 0
                                        ; implicit-def: $vgpr3
                                        ; implicit-def: $vgpr1
	s_cbranch_execnz .LBB185_1533
	s_branch .LBB185_1566
.LBB185_1495:
	s_mov_b64 s[12:13], -1
	s_mov_b64 s[10:11], 0
	s_mov_b64 s[0:1], 0
                                        ; implicit-def: $vgpr3
                                        ; implicit-def: $vgpr1
	s_branch .LBB185_1514
.LBB185_1496:
	s_mov_b64 s[12:13], -1
	s_mov_b64 s[10:11], 0
	s_mov_b64 s[0:1], 0
                                        ; implicit-def: $vgpr3
                                        ; implicit-def: $vgpr1
	s_branch .LBB185_1508
.LBB185_1497:
	s_trap 2
	s_or_b64 s[8:9], s[24:25], exec
	s_cbranch_execz .LBB185_1398
	s_branch .LBB185_1399
.LBB185_1498:
	s_mov_b64 s[12:13], -1
	s_mov_b64 s[10:11], 0
	s_mov_b64 s[0:1], 0
                                        ; implicit-def: $vgpr3
                                        ; implicit-def: $vgpr1
	s_branch .LBB185_1502
.LBB185_1499:
	s_andn2_saveexec_b64 s[14:15], s[14:15]
	s_cbranch_execz .LBB185_1186
.LBB185_1500:
	s_mov_b32 s18, 0x42800000
	v_add_f32_e64 v1, |v0|, s18
	v_and_b32_e32 v1, 0xff, v1
	v_cmp_ne_u32_e32 vcc, 0, v1
	s_andn2_b64 s[12:13], s[12:13], exec
	s_and_b64 s[18:19], vcc, exec
	s_or_b64 s[12:13], s[12:13], s[18:19]
	s_or_b64 exec, exec, s[14:15]
	v_mov_b32_e32 v7, 0
	s_and_saveexec_b64 s[14:15], s[12:13]
	s_cbranch_execnz .LBB185_1187
	s_branch .LBB185_1188
.LBB185_1501:
	s_mov_b64 s[0:1], -1
                                        ; implicit-def: $vgpr3
                                        ; implicit-def: $vgpr1
	s_mov_b64 s[10:11], 0
.LBB185_1502:
	s_and_b64 vcc, exec, s[12:13]
	s_cbranch_vccz .LBB185_1507
; %bb.1503:
	s_cmp_eq_u32 s16, 44
	s_cbranch_scc0 .LBB185_1505
; %bb.1504:
	global_load_ubyte v1, v[12:13], off
	s_movk_i32 s10, 0xff
	v_mov_b32_e32 v5, 0x7e00
	s_mov_b64 s[0:1], 0
	s_waitcnt vmcnt(0)
	v_lshlrev_b32_e32 v3, 23, v1
	v_cvt_f16_f32_e32 v3, v3
	v_cmp_ne_u32_e32 vcc, s10, v1
	s_mov_b64 s[10:11], -1
	s_nop 0
	v_cndmask_b32_e32 v3, v5, v3, vcc
	v_cmp_ne_u32_e32 vcc, 0, v1
	s_nop 1
	v_cndmask_b32_e32 v1, 0, v3, vcc
	s_branch .LBB185_1506
.LBB185_1505:
	s_mov_b64 s[0:1], -1
                                        ; implicit-def: $vgpr1
.LBB185_1506:
	v_mov_b32_e32 v3, 0
.LBB185_1507:
	s_mov_b64 s[12:13], 0
.LBB185_1508:
	s_and_b64 vcc, exec, s[12:13]
	s_cbranch_vccz .LBB185_1513
; %bb.1509:
	s_cmp_eq_u32 s16, 29
	s_cbranch_scc0 .LBB185_1511
; %bb.1510:
	global_load_dwordx2 v[16:17], v[12:13], off
	s_mov_b64 s[0:1], 0
	s_mov_b64 s[10:11], -1
	s_waitcnt vmcnt(0)
	v_ffbh_u32_e32 v1, v17
	v_min_u32_e32 v1, 32, v1
	v_lshlrev_b64 v[16:17], v1, v[16:17]
	v_min_u32_e32 v3, 1, v16
	v_or_b32_e32 v3, v17, v3
	v_cvt_f32_u32_e32 v3, v3
	v_sub_u32_e32 v1, 32, v1
	v_ldexp_f32 v1, v3, v1
	v_cvt_f16_f32_e32 v1, v1
	s_branch .LBB185_1512
.LBB185_1511:
	s_mov_b64 s[0:1], -1
                                        ; implicit-def: $vgpr1
.LBB185_1512:
	v_mov_b32_e32 v3, 0
.LBB185_1513:
	s_mov_b64 s[12:13], 0
.LBB185_1514:
	s_and_b64 vcc, exec, s[12:13]
	s_cbranch_vccz .LBB185_1532
; %bb.1515:
	s_cmp_lt_i32 s16, 27
	s_cbranch_scc1 .LBB185_1518
; %bb.1516:
	s_cmp_gt_i32 s16, 27
	s_cbranch_scc0 .LBB185_1519
; %bb.1517:
	global_load_dword v1, v[12:13], off
	s_mov_b64 s[10:11], 0
	s_waitcnt vmcnt(0)
	v_cvt_f32_u32_e32 v1, v1
	v_cvt_f16_f32_e32 v1, v1
	s_branch .LBB185_1520
.LBB185_1518:
	s_mov_b64 s[10:11], -1
                                        ; implicit-def: $vgpr1
	s_branch .LBB185_1523
.LBB185_1519:
	s_mov_b64 s[10:11], -1
                                        ; implicit-def: $vgpr1
.LBB185_1520:
	s_andn2_b64 vcc, exec, s[10:11]
	s_cbranch_vccnz .LBB185_1522
; %bb.1521:
	global_load_ushort v1, v[12:13], off
	s_waitcnt vmcnt(0)
	v_cvt_f16_u16_e32 v1, v1
.LBB185_1522:
	s_mov_b64 s[10:11], 0
.LBB185_1523:
	s_andn2_b64 vcc, exec, s[10:11]
	s_cbranch_vccnz .LBB185_1531
; %bb.1524:
	global_load_ubyte v3, v[12:13], off
	s_movk_i32 s10, 0x7f
	s_waitcnt vmcnt(0)
	v_cmp_lt_i16_e32 vcc, s10, v3
	s_mov_b64 s[10:11], 0
	s_and_saveexec_b64 s[12:13], vcc
	s_xor_b64 s[12:13], exec, s[12:13]
	s_cbranch_execz .LBB185_1544
; %bb.1525:
	s_movk_i32 s10, 0x80
	v_cmp_eq_u16_e32 vcc, s10, v3
	s_mov_b64 s[10:11], -1
	s_and_saveexec_b64 s[14:15], vcc
; %bb.1526:
	s_xor_b64 s[10:11], exec, -1
; %bb.1527:
	s_or_b64 exec, exec, s[14:15]
	s_and_b64 s[10:11], s[10:11], exec
	s_or_saveexec_b64 s[12:13], s[12:13]
	v_mov_b32_e32 v1, 0x7e00
	s_xor_b64 exec, exec, s[12:13]
	s_cbranch_execnz .LBB185_1545
.LBB185_1528:
	s_or_b64 exec, exec, s[12:13]
	s_and_saveexec_b64 s[12:13], s[10:11]
	s_cbranch_execz .LBB185_1530
.LBB185_1529:
	v_lshlrev_b32_e32 v1, 24, v3
	v_and_b32_e32 v3, 0xffff, v3
	v_and_b32_e32 v5, 7, v3
	v_ffbh_u32_e32 v9, v5
	v_min_u32_e32 v9, 32, v9
	v_subrev_u32_e32 v15, 28, v9
	v_bfe_u32 v7, v3, 3, 4
	v_lshlrev_b32_e32 v3, v15, v3
	v_sub_u32_e32 v9, 29, v9
	v_and_b32_e32 v3, 7, v3
	v_cmp_eq_u32_e32 vcc, 0, v7
	v_and_b32_e32 v1, 0x80000000, v1
	s_nop 0
	v_cndmask_b32_e32 v7, v7, v9, vcc
	v_cndmask_b32_e32 v3, v5, v3, vcc
	v_mov_b32_e32 v5, 0x3b800000
	v_lshlrev_b32_e32 v3, 20, v3
	v_lshl_add_u32 v5, v7, 23, v5
	v_or3_b32 v1, v1, v5, v3
	v_cvt_f16_f32_e32 v1, v1
.LBB185_1530:
	s_or_b64 exec, exec, s[12:13]
.LBB185_1531:
	s_mov_b64 s[10:11], -1
	v_mov_b32_e32 v3, 0
.LBB185_1532:
	s_branch .LBB185_1566
.LBB185_1533:
	s_cmp_gt_i32 s16, 22
	s_cbranch_scc0 .LBB185_1543
; %bb.1534:
	s_cmp_lt_i32 s16, 24
	s_cbranch_scc1 .LBB185_1546
; %bb.1535:
	s_cmp_gt_i32 s16, 24
	s_cbranch_scc0 .LBB185_1547
; %bb.1536:
	global_load_ubyte v3, v[12:13], off
	s_movk_i32 s2, 0x7f
	s_waitcnt vmcnt(0)
	v_cmp_lt_i16_e32 vcc, s2, v3
	s_mov_b64 s[2:3], 0
	s_and_saveexec_b64 s[10:11], vcc
	s_xor_b64 s[10:11], exec, s[10:11]
	s_cbranch_execz .LBB185_1559
; %bb.1537:
	s_movk_i32 s2, 0x80
	v_cmp_eq_u16_e32 vcc, s2, v3
	s_mov_b64 s[2:3], -1
	s_and_saveexec_b64 s[12:13], vcc
; %bb.1538:
	s_xor_b64 s[2:3], exec, -1
; %bb.1539:
	s_or_b64 exec, exec, s[12:13]
	s_and_b64 s[2:3], s[2:3], exec
	s_or_saveexec_b64 s[10:11], s[10:11]
	v_mov_b32_e32 v1, 0x7e00
	s_xor_b64 exec, exec, s[10:11]
	s_cbranch_execnz .LBB185_1560
.LBB185_1540:
	s_or_b64 exec, exec, s[10:11]
	s_and_saveexec_b64 s[10:11], s[2:3]
	s_cbranch_execz .LBB185_1542
.LBB185_1541:
	v_lshlrev_b32_e32 v1, 24, v3
	v_and_b32_e32 v3, 0xffff, v3
	v_and_b32_e32 v5, 3, v3
	v_ffbh_u32_e32 v9, v5
	v_min_u32_e32 v9, 32, v9
	v_subrev_u32_e32 v15, 29, v9
	v_bfe_u32 v7, v3, 2, 5
	v_lshlrev_b32_e32 v3, v15, v3
	v_sub_u32_e32 v9, 30, v9
	v_and_b32_e32 v3, 3, v3
	v_cmp_eq_u32_e32 vcc, 0, v7
	v_and_b32_e32 v1, 0x80000000, v1
	s_nop 0
	v_cndmask_b32_e32 v7, v7, v9, vcc
	v_cndmask_b32_e32 v3, v5, v3, vcc
	v_mov_b32_e32 v5, 0x37800000
	v_lshlrev_b32_e32 v3, 21, v3
	v_lshl_add_u32 v5, v7, 23, v5
	v_or3_b32 v1, v1, v5, v3
	v_cvt_f16_f32_e32 v1, v1
.LBB185_1542:
	s_or_b64 exec, exec, s[10:11]
	s_mov_b64 s[2:3], 0
	s_branch .LBB185_1548
.LBB185_1543:
	s_mov_b64 s[2:3], -1
                                        ; implicit-def: $vgpr1
	s_branch .LBB185_1554
.LBB185_1544:
	s_or_saveexec_b64 s[12:13], s[12:13]
	v_mov_b32_e32 v1, 0x7e00
	s_xor_b64 exec, exec, s[12:13]
	s_cbranch_execz .LBB185_1528
.LBB185_1545:
	v_cmp_ne_u16_e32 vcc, 0, v3
	s_andn2_b64 s[10:11], s[10:11], exec
	s_and_b64 s[14:15], vcc, exec
	s_or_b64 s[10:11], s[10:11], s[14:15]
	v_mov_b32_e32 v1, v3
	s_or_b64 exec, exec, s[12:13]
	s_and_saveexec_b64 s[12:13], s[10:11]
	s_cbranch_execnz .LBB185_1529
	s_branch .LBB185_1530
.LBB185_1546:
	s_mov_b64 s[2:3], -1
                                        ; implicit-def: $vgpr1
	s_branch .LBB185_1551
.LBB185_1547:
	s_mov_b64 s[2:3], -1
                                        ; implicit-def: $vgpr1
.LBB185_1548:
	s_and_b64 vcc, exec, s[2:3]
	s_cbranch_vccz .LBB185_1550
; %bb.1549:
	global_load_ubyte v1, v[12:13], off
	s_mov_b32 s2, 0x7f800000
	s_waitcnt vmcnt(0)
	v_lshlrev_b32_e32 v1, 24, v1
	v_and_b32_e32 v3, 0x7f000000, v1
	v_ffbh_u32_e32 v5, v3
	v_min_u32_e32 v5, 32, v5
	v_sub_u32_e64 v5, v5, 4 clamp
	v_lshlrev_b32_e32 v9, v5, v3
	v_lshlrev_b32_e32 v5, 23, v5
	v_lshrrev_b32_e32 v9, 4, v9
	v_add_u32_e32 v7, 0x1000000, v3
	v_sub_u32_e32 v5, v9, v5
	v_ashrrev_i32_e32 v7, 8, v7
	v_add_u32_e32 v5, 0x3c000000, v5
	v_and_or_b32 v5, v7, s2, v5
	v_cmp_ne_u32_e32 vcc, 0, v3
	s_brev_b32 s2, 1
	s_nop 0
	v_cndmask_b32_e32 v3, 0, v5, vcc
	v_and_or_b32 v1, v1, s2, v3
	v_cvt_f16_f32_e32 v1, v1
.LBB185_1550:
	s_mov_b64 s[2:3], 0
.LBB185_1551:
	s_andn2_b64 vcc, exec, s[2:3]
	s_cbranch_vccnz .LBB185_1553
; %bb.1552:
	global_load_ubyte v1, v[12:13], off
	s_movk_i32 s2, 0x7f00
	s_brev_b32 s3, 16
	s_waitcnt vmcnt(0)
	v_lshlrev_b16_e32 v3, 8, v1
	v_lshlrev_b32_e32 v1, 25, v1
	v_lshrrev_b32_e32 v5, 4, v1
	v_and_or_b32 v7, v3, s2, 0.5
	v_or_b32_e32 v5, 0x70000000, v5
	v_add_f32_e32 v7, -0.5, v7
	v_mul_f32_e32 v5, 0x7800000, v5
	v_cmp_gt_u32_e32 vcc, s3, v1
	v_bfe_i32 v3, v3, 0, 16
	s_brev_b32 s2, 1
	v_cndmask_b32_e32 v1, v5, v7, vcc
	v_and_or_b32 v1, v3, s2, v1
	v_cvt_f16_f32_e32 v1, v1
.LBB185_1553:
	s_mov_b64 s[2:3], 0
	s_mov_b64 s[10:11], -1
.LBB185_1554:
	s_andn2_b64 vcc, exec, s[2:3]
	s_mov_b64 s[2:3], 0
	s_cbranch_vccnz .LBB185_1565
; %bb.1555:
	s_cmp_gt_i32 s16, 14
	s_cbranch_scc0 .LBB185_1558
; %bb.1556:
	s_cmp_eq_u32 s16, 15
	s_cbranch_scc0 .LBB185_1561
; %bb.1557:
	global_load_ushort v1, v[12:13], off
	s_mov_b64 s[0:1], 0
	s_mov_b64 s[10:11], -1
	s_waitcnt vmcnt(0)
	v_lshlrev_b32_e32 v1, 16, v1
	v_cvt_f16_f32_e32 v1, v1
	s_branch .LBB185_1562
.LBB185_1558:
	s_mov_b64 s[12:13], -1
                                        ; implicit-def: $vgpr1
	s_branch .LBB185_1563
.LBB185_1559:
	s_or_saveexec_b64 s[10:11], s[10:11]
	v_mov_b32_e32 v1, 0x7e00
	s_xor_b64 exec, exec, s[10:11]
	s_cbranch_execz .LBB185_1540
.LBB185_1560:
	v_cmp_ne_u16_e32 vcc, 0, v3
	s_andn2_b64 s[2:3], s[2:3], exec
	s_and_b64 s[12:13], vcc, exec
	s_or_b64 s[2:3], s[2:3], s[12:13]
	v_mov_b32_e32 v1, v3
	s_or_b64 exec, exec, s[10:11]
	s_and_saveexec_b64 s[10:11], s[2:3]
	s_cbranch_execnz .LBB185_1541
	s_branch .LBB185_1542
.LBB185_1561:
	s_mov_b64 s[0:1], -1
                                        ; implicit-def: $vgpr1
.LBB185_1562:
	s_mov_b64 s[12:13], 0
.LBB185_1563:
	s_and_b64 vcc, exec, s[12:13]
	s_cbranch_vccz .LBB185_1565
; %bb.1564:
	s_cmp_lg_u32 s16, 11
	s_mov_b64 s[2:3], -1
	s_cselect_b64 s[0:1], -1, 0
.LBB185_1565:
	v_mov_b32_e32 v3, 0
.LBB185_1566:
	s_and_b64 vcc, exec, s[0:1]
	s_cbranch_vccnz .LBB185_1681
; %bb.1567:
	s_andn2_b64 vcc, exec, s[2:3]
	s_cbranch_vccnz .LBB185_1569
.LBB185_1568:
	global_load_ubyte v1, v[12:13], off
	v_mov_b32_e32 v5, 0x3c00
	v_mov_b32_e32 v3, 0
	s_mov_b64 s[10:11], -1
	s_waitcnt vmcnt(0)
	v_cmp_ne_u16_e32 vcc, 0, v1
	s_nop 1
	v_cndmask_b32_e32 v1, 0, v5, vcc
.LBB185_1569:
	s_branch .LBB185_1493
.LBB185_1570:
	s_and_b32 s2, 0xffff, s23
	s_cmp_lt_i32 s2, 5
	s_cbranch_scc1 .LBB185_1575
; %bb.1571:
	s_cmp_lt_i32 s2, 8
	s_cbranch_scc1 .LBB185_1577
; %bb.1572:
	;; [unrolled: 3-line block ×3, first 2 shown]
	s_cmp_gt_i32 s2, 9
	s_cbranch_scc0 .LBB185_1579
; %bb.1574:
	global_load_dwordx4 v[16:19], v[12:13], off
	s_movk_i32 s0, 0x1ff
	s_movk_i32 s1, 0xffe
	v_mov_b32_e32 v1, 0x7c00
	v_mov_b32_e32 v3, 0x7e00
	s_movk_i32 s3, 0x40f
	s_mov_b32 s10, 0x8000
	s_waitcnt vmcnt(0)
	v_and_or_b32 v5, v17, s0, v16
	v_and_or_b32 v16, v19, s0, v18
	v_cmp_ne_u32_e32 vcc, 0, v5
	v_lshrrev_b32_e32 v7, 8, v17
	v_bfe_u32 v9, v17, 20, 11
	v_cndmask_b32_e64 v5, 0, 1, vcc
	v_cmp_ne_u32_e32 vcc, 0, v16
	v_lshrrev_b32_e32 v15, 16, v17
	v_lshrrev_b32_e32 v17, 8, v19
	v_bfe_u32 v18, v19, 20, 11
	v_sub_u32_e32 v20, 0x3f1, v9
	v_cndmask_b32_e64 v16, 0, 1, vcc
	v_and_or_b32 v5, v7, s1, v5
	v_add_u32_e32 v9, 0xfffffc10, v9
	v_sub_u32_e32 v21, 0x3f1, v18
	v_add_u32_e32 v18, 0xfffffc10, v18
	v_med3_i32 v7, v20, 0, 13
	v_and_or_b32 v16, v17, s1, v16
	v_or_b32_e32 v20, 0x1000, v5
	v_cmp_ne_u32_e32 vcc, 0, v5
	v_med3_i32 v17, v21, 0, 13
	v_lshl_or_b32 v21, v9, 12, v5
	v_cndmask_b32_e32 v5, v1, v3, vcc
	v_or_b32_e32 v22, 0x1000, v16
	v_lshl_or_b32 v23, v18, 12, v16
	v_cmp_ne_u32_e32 vcc, 0, v16
	v_lshrrev_b32_e32 v16, v7, v20
	v_lshrrev_b32_e32 v24, v17, v22
	v_lshlrev_b32_e32 v7, v7, v16
	v_cndmask_b32_e32 v3, v1, v3, vcc
	v_lshlrev_b32_e32 v17, v17, v24
	v_cmp_ne_u32_e32 vcc, v7, v20
	v_lshrrev_b32_e32 v19, 16, v19
	s_mov_b64 s[0:1], 0
	v_cndmask_b32_e64 v7, 0, 1, vcc
	v_cmp_ne_u32_e32 vcc, v17, v22
	v_or_b32_e32 v7, v16, v7
	s_nop 0
	v_cndmask_b32_e64 v17, 0, 1, vcc
	v_cmp_gt_i32_e32 vcc, 1, v9
	v_or_b32_e32 v16, v24, v17
	s_nop 0
	v_cndmask_b32_e32 v7, v21, v7, vcc
	v_cmp_gt_i32_e32 vcc, 1, v18
	v_and_b32_e32 v17, 7, v7
	v_lshrrev_b32_e32 v7, 2, v7
	v_cndmask_b32_e32 v16, v23, v16, vcc
	v_cmp_lt_i32_e32 vcc, 5, v17
	v_and_b32_e32 v20, 7, v16
	v_lshrrev_b32_e32 v16, 2, v16
	v_cndmask_b32_e64 v21, 0, 1, vcc
	v_cmp_eq_u32_e32 vcc, 3, v17
	s_nop 1
	v_cndmask_b32_e64 v17, 0, 1, vcc
	v_cmp_lt_i32_e32 vcc, 5, v20
	v_or_b32_e32 v17, v17, v21
	v_add_u32_e32 v7, v7, v17
	v_cndmask_b32_e64 v22, 0, 1, vcc
	v_cmp_eq_u32_e32 vcc, 3, v20
	s_nop 1
	v_cndmask_b32_e64 v20, 0, 1, vcc
	v_or_b32_e32 v20, v20, v22
	v_cmp_gt_i32_e32 vcc, 31, v9
	v_add_u32_e32 v16, v16, v20
	s_nop 0
	v_cndmask_b32_e32 v7, v1, v7, vcc
	v_cmp_gt_i32_e32 vcc, 31, v18
	s_nop 1
	v_cndmask_b32_e32 v1, v1, v16, vcc
	v_cmp_eq_u32_e32 vcc, s3, v9
	s_nop 1
	v_cndmask_b32_e32 v5, v7, v5, vcc
	v_cmp_eq_u32_e32 vcc, s3, v18
	s_nop 1
	v_cndmask_b32_e32 v3, v1, v3, vcc
	v_and_or_b32 v1, v15, s10, v5
	v_and_or_b32 v3, v19, s10, v3
	s_branch .LBB185_1580
.LBB185_1575:
                                        ; implicit-def: $vgpr3
                                        ; implicit-def: $vgpr1
	s_branch .LBB185_1599
.LBB185_1576:
	s_branch .LBB185_1619
.LBB185_1577:
	s_mov_b64 s[0:1], -1
                                        ; implicit-def: $vgpr3
                                        ; implicit-def: $vgpr1
	s_branch .LBB185_1586
.LBB185_1578:
	s_mov_b64 s[0:1], -1
                                        ; implicit-def: $vgpr3
                                        ; implicit-def: $vgpr1
	s_branch .LBB185_1583
.LBB185_1579:
	s_mov_b64 s[0:1], -1
                                        ; implicit-def: $vgpr3
                                        ; implicit-def: $vgpr1
.LBB185_1580:
	s_andn2_b64 vcc, exec, s[0:1]
	s_cbranch_vccnz .LBB185_1582
; %bb.1581:
	global_load_dwordx2 v[16:17], v[12:13], off
	s_waitcnt vmcnt(0)
	v_cvt_f16_f32_e32 v1, v16
	v_cvt_f16_f32_e32 v3, v17
.LBB185_1582:
	s_mov_b64 s[0:1], 0
.LBB185_1583:
	s_andn2_b64 vcc, exec, s[0:1]
	s_cbranch_vccnz .LBB185_1585
; %bb.1584:
	global_load_dword v1, v[12:13], off
	s_waitcnt vmcnt(0)
	v_lshrrev_b32_e32 v3, 16, v1
.LBB185_1585:
	s_mov_b64 s[0:1], 0
.LBB185_1586:
	s_andn2_b64 vcc, exec, s[0:1]
	s_cbranch_vccnz .LBB185_1598
; %bb.1587:
	s_cmp_lt_i32 s2, 6
	s_cbranch_scc1 .LBB185_1590
; %bb.1588:
	s_cmp_gt_i32 s2, 6
	s_cbranch_scc0 .LBB185_1591
; %bb.1589:
	global_load_dwordx2 v[16:17], v[12:13], off
	s_movk_i32 s0, 0x1ff
	s_movk_i32 s1, 0xffe
	v_mov_b32_e32 v1, 0x7c00
	v_mov_b32_e32 v3, 0x7e00
	s_movk_i32 s3, 0x40f
	s_mov_b32 s10, 0x8000
	s_waitcnt vmcnt(0)
	v_and_or_b32 v5, v17, s0, v16
	v_cmp_ne_u32_e32 vcc, 0, v5
	v_lshrrev_b32_e32 v7, 8, v17
	v_bfe_u32 v9, v17, 20, 11
	v_cndmask_b32_e64 v5, 0, 1, vcc
	v_sub_u32_e32 v16, 0x3f1, v9
	v_and_or_b32 v5, v7, s1, v5
	v_add_u32_e32 v9, 0xfffffc10, v9
	v_med3_i32 v7, v16, 0, 13
	v_or_b32_e32 v16, 0x1000, v5
	v_lshrrev_b32_e32 v15, 16, v17
	v_lshl_or_b32 v17, v9, 12, v5
	v_cmp_ne_u32_e32 vcc, 0, v5
	v_lshrrev_b32_e32 v5, v7, v16
	v_lshlrev_b32_e32 v7, v7, v5
	v_cndmask_b32_e32 v3, v1, v3, vcc
	v_cmp_ne_u32_e32 vcc, v7, v16
	s_mov_b64 s[0:1], 0
	s_nop 0
	v_cndmask_b32_e64 v7, 0, 1, vcc
	v_or_b32_e32 v5, v5, v7
	v_cmp_gt_i32_e32 vcc, 1, v9
	s_nop 1
	v_cndmask_b32_e32 v5, v17, v5, vcc
	v_and_b32_e32 v7, 7, v5
	v_cmp_lt_i32_e32 vcc, 5, v7
	v_lshrrev_b32_e32 v5, 2, v5
	s_nop 0
	v_cndmask_b32_e64 v16, 0, 1, vcc
	v_cmp_eq_u32_e32 vcc, 3, v7
	s_nop 1
	v_cndmask_b32_e64 v7, 0, 1, vcc
	v_or_b32_e32 v7, v7, v16
	v_add_u32_e32 v5, v5, v7
	v_cmp_gt_i32_e32 vcc, 31, v9
	s_nop 1
	v_cndmask_b32_e32 v1, v1, v5, vcc
	v_cmp_eq_u32_e32 vcc, s3, v9
	s_nop 1
	v_cndmask_b32_e32 v1, v1, v3, vcc
	v_and_or_b32 v1, v15, s10, v1
	s_branch .LBB185_1592
.LBB185_1590:
	s_mov_b64 s[0:1], -1
                                        ; implicit-def: $vgpr1
	s_branch .LBB185_1595
.LBB185_1591:
	s_mov_b64 s[0:1], -1
                                        ; implicit-def: $vgpr1
.LBB185_1592:
	s_andn2_b64 vcc, exec, s[0:1]
	s_cbranch_vccnz .LBB185_1594
; %bb.1593:
	global_load_dword v1, v[12:13], off
	s_waitcnt vmcnt(0)
	v_cvt_f16_f32_e32 v1, v1
.LBB185_1594:
	s_mov_b64 s[0:1], 0
.LBB185_1595:
	s_andn2_b64 vcc, exec, s[0:1]
	s_cbranch_vccnz .LBB185_1597
; %bb.1596:
	global_load_ushort v1, v[12:13], off
.LBB185_1597:
	v_mov_b32_e32 v3, 0
.LBB185_1598:
	s_cbranch_execnz .LBB185_1576
.LBB185_1599:
	s_cmp_lt_i32 s2, 2
	s_cbranch_scc1 .LBB185_1603
; %bb.1600:
	s_cmp_lt_i32 s2, 3
	s_cbranch_scc1 .LBB185_1604
; %bb.1601:
	s_cmp_gt_i32 s2, 3
	s_cbranch_scc0 .LBB185_1605
; %bb.1602:
	global_load_dwordx2 v[16:17], v[12:13], off
	s_mov_b64 s[0:1], 0
	s_waitcnt vmcnt(0)
	v_xor_b32_e32 v3, v16, v17
	v_ffbh_i32_e32 v1, v17
	v_ashrrev_i32_e32 v3, 31, v3
	v_add_u32_e32 v1, -1, v1
	v_add_u32_e32 v3, 32, v3
	v_min_u32_e32 v1, v1, v3
	v_lshlrev_b64 v[16:17], v1, v[16:17]
	v_min_u32_e32 v3, 1, v16
	v_or_b32_e32 v3, v17, v3
	v_cvt_f32_i32_e32 v3, v3
	v_sub_u32_e32 v1, 32, v1
	v_ldexp_f32 v1, v3, v1
	v_cvt_f16_f32_e32 v1, v1
	s_branch .LBB185_1606
.LBB185_1603:
	s_mov_b64 s[0:1], -1
                                        ; implicit-def: $vgpr1
	s_branch .LBB185_1612
.LBB185_1604:
	s_mov_b64 s[0:1], -1
                                        ; implicit-def: $vgpr1
	s_branch .LBB185_1609
.LBB185_1605:
	s_mov_b64 s[0:1], -1
                                        ; implicit-def: $vgpr1
.LBB185_1606:
	s_andn2_b64 vcc, exec, s[0:1]
	s_cbranch_vccnz .LBB185_1608
; %bb.1607:
	global_load_dword v1, v[12:13], off
	s_waitcnt vmcnt(0)
	v_cvt_f32_i32_e32 v1, v1
	v_cvt_f16_f32_e32 v1, v1
.LBB185_1608:
	s_mov_b64 s[0:1], 0
.LBB185_1609:
	s_andn2_b64 vcc, exec, s[0:1]
	s_cbranch_vccnz .LBB185_1611
; %bb.1610:
	global_load_ushort v1, v[12:13], off
	s_waitcnt vmcnt(0)
	v_cvt_f16_i16_e32 v1, v1
.LBB185_1611:
	s_mov_b64 s[0:1], 0
.LBB185_1612:
	s_andn2_b64 vcc, exec, s[0:1]
	s_cbranch_vccnz .LBB185_1618
; %bb.1613:
	s_cmp_gt_i32 s2, 0
	s_cbranch_scc0 .LBB185_1615
; %bb.1614:
	global_load_sbyte v1, v[12:13], off
	s_mov_b64 s[0:1], 0
	s_waitcnt vmcnt(0)
	v_cvt_f16_i16_e32 v1, v1
	s_branch .LBB185_1616
.LBB185_1615:
	s_mov_b64 s[0:1], -1
                                        ; implicit-def: $vgpr1
.LBB185_1616:
	s_andn2_b64 vcc, exec, s[0:1]
	s_cbranch_vccnz .LBB185_1618
; %bb.1617:
	global_load_ubyte v1, v[12:13], off
	s_waitcnt vmcnt(0)
	v_cvt_f16_u16_e32 v1, v1
.LBB185_1618:
	v_mov_b32_e32 v3, 0
.LBB185_1619:
	v_cvt_f32_f16_e32 v17, v3
	s_waitcnt vmcnt(0)
	v_cmp_neq_f16_e32 vcc, 0, v1
	v_cmp_neq_f16_e64 s[0:1], 0, v3
	s_or_b64 s[0:1], vcc, s[0:1]
	v_mov_b32_e32 v16, 0
	s_and_saveexec_b64 s[10:11], s[0:1]
	s_cbranch_execz .LBB185_1649
; %bb.1620:
	v_mov_b32_e32 v16, 0x7f800000
	v_cmp_neq_f32_e64 s[0:1], |v17|, v16
	s_and_saveexec_b64 s[12:13], s[0:1]
	s_cbranch_execz .LBB185_1648
; %bb.1621:
	v_cvt_f32_f16_e32 v3, v1
	v_cmp_o_f16_e32 vcc, v1, v1
	s_and_saveexec_b64 s[0:1], vcc
	s_xor_b64 s[14:15], exec, s[0:1]
	s_cbranch_execz .LBB185_1645
; %bb.1622:
	s_mov_b32 s0, 0x7f800000
	v_cmp_neq_f32_e64 s[0:1], |v3|, s0
	s_and_saveexec_b64 s[2:3], s[0:1]
	s_xor_b64 s[16:17], exec, s[2:3]
	s_cbranch_execz .LBB185_1638
; %bb.1623:
	v_max_f32_e64 v1, |v17|, |v17|
	v_max_f32_e64 v5, |v3|, |v3|
	v_max_f32_e32 v1, v5, v1
	s_mov_b32 s0, 0x7ed413cb
	v_cmp_nle_f32_e64 s[0:1], s0, v1
                                        ; implicit-def: $sgpr18_sgpr19
	s_and_saveexec_b64 s[2:3], s[0:1]
	s_xor_b64 s[2:3], exec, s[2:3]
	s_cbranch_execz .LBB185_1627
; %bb.1624:
	s_mov_b32 s20, 0x1000000
	v_cmp_le_f32_e64 s[18:19], |v3|, s20
	v_cmp_le_f32_e64 s[20:21], |v17|, s20
	s_and_b64 s[28:29], s[18:19], s[20:21]
	s_mov_b64 s[18:19], 0
	s_and_saveexec_b64 s[20:21], s[28:29]
; %bb.1625:
	s_mov_b64 s[18:19], exec
	v_mul_f32_e32 v17, 4.0, v17
	v_mul_f32_e32 v3, 4.0, v3
; %bb.1626:
	s_or_b64 exec, exec, s[20:21]
.LBB185_1627:
	s_andn2_saveexec_b64 s[2:3], s[2:3]
; %bb.1628:
	v_mul_f32_e32 v3, 0x3e800000, v3
	v_mul_f32_e32 v17, 0x3e800000, v17
	s_andn2_b64 s[18:19], s[18:19], exec
; %bb.1629:
	s_or_b64 exec, exec, s[2:3]
	v_max_f32_e64 v1, |v17|, |v17|
	v_max_f32_e64 v5, |v3|, |v3|
	v_max_f32_e32 v1, v5, v1
	v_cvt_f64_f32_e32 v[12:13], v1
	v_frexp_exp_i32_f64_e32 v5, v[12:13]
	v_sub_u32_e32 v7, 0, v5
	v_ldexp_f32 v9, |v3|, v7
	v_ldexp_f32 v7, |v17|, v7
	v_mul_f32_e32 v7, v7, v7
	v_fmac_f32_e32 v7, v9, v9
	v_sqrt_f32_e32 v7, v7
	s_mov_b32 s2, 0x7f800000
	v_cmp_neq_f32_e64 s[2:3], s2, v1
	v_cmp_le_f32_e32 vcc, 0, v3
	v_ldexp_f32 v5, v7, v5
	v_mov_b32_e32 v7, 0x7f800000
	v_cndmask_b32_e64 v1, v7, v5, s[2:3]
                                        ; implicit-def: $vgpr12_vgpr13
	s_and_saveexec_b64 s[2:3], vcc
	s_xor_b64 s[20:21], exec, s[2:3]
	s_cbranch_execz .LBB185_1631
; %bb.1630:
	v_add_f32_e32 v1, v3, v1
	v_mul_f32_e32 v1, 0.5, v1
	s_mov_b32 s2, 0xf800000
	v_mul_f32_e32 v3, 0x4f800000, v1
	v_cmp_gt_f32_e32 vcc, s2, v1
	s_nop 1
	v_cndmask_b32_e32 v1, v1, v3, vcc
	v_sqrt_f32_e32 v3, v1
	s_nop 0
	v_add_u32_e32 v5, -1, v3
	v_fma_f32 v7, -v5, v3, v1
	v_cmp_ge_f32_e64 s[2:3], 0, v7
	v_add_u32_e32 v7, 1, v3
	s_nop 0
	v_cndmask_b32_e64 v5, v3, v5, s[2:3]
	v_fma_f32 v3, -v7, v3, v1
	v_cmp_lt_f32_e64 s[2:3], 0, v3
	s_nop 1
	v_cndmask_b32_e64 v3, v5, v7, s[2:3]
	v_mul_f32_e32 v5, 0x37800000, v3
	v_cndmask_b32_e32 v3, v3, v5, vcc
	v_mov_b32_e32 v5, 0x260
	v_cmp_class_f32_e32 vcc, v1, v5
	s_nop 1
	v_cndmask_b32_e32 v12, v3, v1, vcc
	v_add_f32_e32 v1, v12, v12
	v_div_scale_f32 v3, s[2:3], v1, v1, v17
	v_rcp_f32_e32 v5, v3
	s_nop 0
	v_fma_f32 v7, -v3, v5, 1.0
	v_fmac_f32_e32 v5, v7, v5
	v_div_scale_f32 v7, vcc, v17, v1, v17
	v_mul_f32_e32 v9, v7, v5
	v_fma_f32 v13, -v3, v9, v7
	v_fmac_f32_e32 v9, v13, v5
	v_fma_f32 v3, -v3, v9, v7
	v_div_fmas_f32 v3, v3, v5, v9
	v_div_fixup_f32 v13, v3, v1, v17
                                        ; implicit-def: $vgpr1
                                        ; implicit-def: $vgpr3
                                        ; implicit-def: $vgpr17
	s_andn2_saveexec_b64 s[20:21], s[20:21]
	s_cbranch_execz .LBB185_1633
	s_branch .LBB185_1632
.LBB185_1631:
	s_andn2_saveexec_b64 s[20:21], s[20:21]
	s_cbranch_execz .LBB185_1633
.LBB185_1632:
	v_sub_f32_e32 v1, v1, v3
	v_mul_f32_e32 v1, 0.5, v1
	s_mov_b32 s2, 0xf800000
	v_mul_f32_e32 v3, 0x4f800000, v1
	v_cmp_gt_f32_e32 vcc, s2, v1
	s_nop 1
	v_cndmask_b32_e32 v1, v1, v3, vcc
	v_sqrt_f32_e32 v3, v1
	s_nop 0
	v_add_u32_e32 v5, -1, v3
	v_fma_f32 v7, -v5, v3, v1
	v_cmp_ge_f32_e64 s[2:3], 0, v7
	v_add_u32_e32 v7, 1, v3
	s_nop 0
	v_cndmask_b32_e64 v5, v3, v5, s[2:3]
	v_fma_f32 v3, -v7, v3, v1
	v_cmp_lt_f32_e64 s[2:3], 0, v3
	s_nop 1
	v_cndmask_b32_e64 v3, v5, v7, s[2:3]
	v_mul_f32_e32 v5, 0x37800000, v3
	v_cndmask_b32_e32 v3, v3, v5, vcc
	v_mov_b32_e32 v5, 0x260
	v_cmp_class_f32_e32 vcc, v1, v5
	v_and_b32_e32 v5, 0x7fffffff, v17
	s_nop 0
	v_cndmask_b32_e32 v1, v3, v1, vcc
	v_add_f32_e32 v3, v1, v1
	v_div_scale_f32 v7, s[2:3], v3, v3, v5
	v_rcp_f32_e32 v9, v7
	v_div_scale_f32 v5, vcc, v5, v3, v5
	s_brev_b32 s2, -2
	v_fma_f32 v12, -v7, v9, 1.0
	v_fmac_f32_e32 v9, v12, v9
	v_mul_f32_e32 v12, v5, v9
	v_fma_f32 v13, -v7, v12, v5
	v_fmac_f32_e32 v12, v13, v9
	v_fma_f32 v5, -v7, v12, v5
	v_div_fmas_f32 v5, v5, v9, v12
	v_div_fixup_f32 v12, v5, v3, |v17|
	v_bfi_b32 v13, s2, v1, v17
.LBB185_1633:
	s_or_b64 exec, exec, s[20:21]
                                        ; implicit-def: $vgpr17
	s_and_saveexec_b64 s[2:3], s[0:1]
	s_xor_b64 s[0:1], exec, s[2:3]
	s_cbranch_execz .LBB185_1635
; %bb.1634:
	v_pk_mul_f32 v[16:17], v[12:13], 0.5 op_sel_hi:[1,0]
	s_nop 0
	v_cndmask_b32_e64 v16, v12, v16, s[18:19]
	v_cndmask_b32_e64 v17, v13, v17, s[18:19]
                                        ; implicit-def: $vgpr12_vgpr13
	s_andn2_saveexec_b64 s[0:1], s[0:1]
	s_cbranch_execnz .LBB185_1636
	s_branch .LBB185_1637
.LBB185_1635:
	s_andn2_saveexec_b64 s[0:1], s[0:1]
.LBB185_1636:
	v_pk_add_f32 v[16:17], v[12:13], v[12:13]
.LBB185_1637:
	s_or_b64 exec, exec, s[0:1]
                                        ; implicit-def: $vgpr3
                                        ; implicit-def: $vgpr1
.LBB185_1638:
	s_andn2_saveexec_b64 s[0:1], s[16:17]
	s_cbranch_execz .LBB185_1644
; %bb.1639:
	v_cmp_lt_i16_e32 vcc, -1, v1
	v_sub_f32_e32 v1, v17, v17
	s_brev_b32 s16, -2
	v_and_b32_e32 v16, 0x7fffffff, v1
	s_and_saveexec_b64 s[2:3], vcc
	s_xor_b64 s[2:3], exec, s[2:3]
; %bb.1640:
	v_bfi_b32 v17, s16, v1, v17
	v_mov_b32_e32 v16, v3
; %bb.1641:
	s_andn2_saveexec_b64 s[2:3], s[2:3]
; %bb.1642:
	v_bfi_b32 v17, s16, v3, v17
; %bb.1643:
	s_or_b64 exec, exec, s[2:3]
.LBB185_1644:
	s_or_b64 exec, exec, s[0:1]
                                        ; implicit-def: $vgpr3
.LBB185_1645:
	s_andn2_saveexec_b64 s[0:1], s[14:15]
	s_cbranch_execz .LBB185_1647
; %bb.1646:
	v_sub_f32_e32 v1, v17, v17
	v_div_scale_f32 v5, vcc, v1, v1, v1
	v_rcp_f32_e32 v7, v5
	v_mov_b32_e32 v16, v3
	v_fma_f32 v9, -v5, v7, 1.0
	v_fmac_f32_e32 v7, v9, v7
	v_mul_f32_e32 v9, v5, v7
	v_fma_f32 v12, -v5, v9, v5
	v_fmac_f32_e32 v9, v12, v7
	v_fma_f32 v5, -v5, v9, v5
	v_div_fmas_f32 v5, v5, v7, v9
	v_div_fixup_f32 v17, v5, v1, v1
.LBB185_1647:
	s_or_b64 exec, exec, s[0:1]
.LBB185_1648:
	s_or_b64 exec, exec, s[12:13]
.LBB185_1649:
	s_or_b64 exec, exec, s[10:11]
	v_cmp_gt_f32_e32 vcc, 0, v17
                                        ; implicit-def: $vgpr12_vgpr13
	s_nop 1
	v_cndmask_b32_e64 v3, v17, -v17, vcc
	v_cmp_gt_f32_e32 vcc, 0, v16
	s_nop 1
	v_cndmask_b32_e64 v1, v16, -v16, vcc
	v_cmp_ge_f32_e32 vcc, v1, v3
	s_and_saveexec_b64 s[0:1], vcc
	s_xor_b64 s[2:3], exec, s[0:1]
	s_cbranch_execz .LBB185_1655
; %bb.1650:
	v_cmp_neq_f32_e32 vcc, 0, v16
	v_cmp_neq_f32_e64 s[0:1], 0, v17
	s_or_b64 s[0:1], vcc, s[0:1]
                                        ; implicit-def: $vgpr12_vgpr13
	s_and_saveexec_b64 s[10:11], s[0:1]
	s_xor_b64 s[0:1], exec, s[10:11]
	s_cbranch_execz .LBB185_1652
; %bb.1651:
	v_div_scale_f32 v1, s[10:11], v16, v16, v17
	v_rcp_f32_e32 v3, v1
	v_div_scale_f32 v5, vcc, v17, v16, v17
	v_fma_f32 v7, -v1, v3, 1.0
	v_fmac_f32_e32 v3, v7, v3
	v_mul_f32_e32 v7, v5, v3
	v_fma_f32 v9, -v1, v7, v5
	v_fmac_f32_e32 v7, v9, v3
	v_fma_f32 v1, -v1, v7, v5
	v_div_fmas_f32 v1, v1, v3, v7
	v_div_fixup_f32 v1, v1, v16, v17
	v_fmac_f32_e32 v16, v17, v1
	v_div_scale_f32 v3, s[10:11], v16, v16, 1.0
	v_rcp_f32_e32 v5, v3
	v_sub_f32_e32 v17, 0, v1
	v_fma_f32 v7, -v3, v5, 1.0
	v_fmac_f32_e32 v5, v7, v5
	v_div_scale_f32 v7, vcc, 1.0, v16, 1.0
	v_mul_f32_e32 v9, v7, v5
	v_fma_f32 v12, -v3, v9, v7
	v_fmac_f32_e32 v9, v12, v5
	v_fma_f32 v3, -v3, v9, v7
	v_div_fmas_f32 v3, v3, v5, v9
	v_div_fixup_f32 v12, v3, v16, 1.0
	v_mul_f32_e32 v3, 0, v1
	v_add_f32_e32 v16, 1.0, v3
	v_pk_mul_f32 v[12:13], v[16:17], v[12:13] op_sel_hi:[1,0]
                                        ; implicit-def: $vgpr3
                                        ; implicit-def: $vgpr1
.LBB185_1652:
	s_andn2_saveexec_b64 s[0:1], s[0:1]
	s_cbranch_execz .LBB185_1654
; %bb.1653:
	v_div_scale_f32 v5, s[10:11], v3, v3, 0
	v_rcp_f32_e32 v7, v5
	v_div_scale_f32 v9, vcc, 0, v3, 0
	v_fma_f32 v12, -v5, v7, 1.0
	v_fmac_f32_e32 v7, v12, v7
	v_mul_f32_e32 v12, v9, v7
	v_fma_f32 v13, -v5, v12, v9
	v_fmac_f32_e32 v12, v13, v7
	v_fma_f32 v5, -v5, v12, v9
	v_div_scale_f32 v9, s[10:11], v1, v1, 1.0
	v_rcp_f32_e32 v15, v9
	v_div_fmas_f32 v5, v5, v7, v12
	v_div_fixup_f32 v13, v5, v3, 0
	v_fma_f32 v3, -v9, v15, 1.0
	v_fmac_f32_e32 v15, v3, v15
	v_div_scale_f32 v3, vcc, 1.0, v1, 1.0
	v_mul_f32_e32 v5, v3, v15
	v_fma_f32 v7, -v9, v5, v3
	v_fmac_f32_e32 v5, v7, v15
	v_fma_f32 v3, -v9, v5, v3
	v_div_fmas_f32 v3, v3, v15, v5
	v_div_fixup_f32 v12, v3, v1, 1.0
.LBB185_1654:
	s_or_b64 exec, exec, s[0:1]
                                        ; implicit-def: $vgpr17
.LBB185_1655:
	s_andn2_saveexec_b64 s[0:1], s[2:3]
	s_cbranch_execz .LBB185_1657
; %bb.1656:
	v_div_scale_f32 v1, s[2:3], v17, v17, v16
	v_rcp_f32_e32 v3, v1
	v_div_scale_f32 v5, vcc, v16, v17, v16
	v_fma_f32 v7, -v1, v3, 1.0
	v_fmac_f32_e32 v3, v7, v3
	v_mul_f32_e32 v7, v5, v3
	v_fma_f32 v9, -v1, v7, v5
	v_fmac_f32_e32 v7, v9, v3
	v_fma_f32 v1, -v1, v7, v5
	v_div_fmas_f32 v1, v1, v3, v7
	v_div_fixup_f32 v12, v1, v17, v16
	v_fmac_f32_e32 v17, v16, v12
	v_div_scale_f32 v1, s[2:3], v17, v17, 1.0
	v_rcp_f32_e32 v3, v1
	s_mov_b32 s2, 0
	s_mov_b32 s3, -1.0
	v_mul_f32_e32 v13, 0, v12
	v_fma_f32 v5, -v1, v3, 1.0
	v_fmac_f32_e32 v3, v5, v3
	v_div_scale_f32 v5, vcc, 1.0, v17, 1.0
	v_mul_f32_e32 v7, v5, v3
	v_fma_f32 v9, -v1, v7, v5
	v_fmac_f32_e32 v7, v9, v3
	v_fma_f32 v1, -v1, v7, v5
	v_div_fmas_f32 v1, v1, v3, v7
	v_div_fixup_f32 v16, v1, v17, 1.0
	v_pk_add_f32 v[12:13], v[12:13], s[2:3]
	s_nop 0
	v_pk_mul_f32 v[12:13], v[12:13], v[16:17] op_sel_hi:[1,0]
.LBB185_1657:
	s_or_b64 exec, exec, s[0:1]
	v_mov_b32_e32 v15, 0
	s_cmp_lt_i32 s23, 11
	v_lshl_add_u64 v[14:15], s[6:7], 0, v[14:15]
	s_cbranch_scc1 .LBB185_1664
; %bb.1658:
	s_and_b32 s16, 0xffff, s23
	s_cmp_gt_i32 s16, 25
	s_mov_b64 s[2:3], 0
	s_cbranch_scc0 .LBB185_1666
; %bb.1659:
	s_cmp_gt_i32 s16, 28
	s_cbranch_scc0 .LBB185_1677
; %bb.1660:
	s_cmp_gt_i32 s16, 43
	;; [unrolled: 3-line block ×3, first 2 shown]
	s_cbranch_scc0 .LBB185_1682
; %bb.1662:
	s_cmp_eq_u32 s16, 46
	s_mov_b64 s[12:13], 0
	s_cbranch_scc0 .LBB185_1774
; %bb.1663:
	global_load_dword v1, v[14:15], off
	s_mov_b64 s[0:1], 0
	s_mov_b64 s[10:11], -1
	s_waitcnt vmcnt(0)
	v_and_b32_e32 v3, 0xffff0000, v1
	v_lshlrev_b32_e32 v1, 16, v1
	v_cvt_f16_f32_e32 v1, v1
	v_cvt_f16_f32_e32 v3, v3
	s_branch .LBB185_1775
.LBB185_1664:
	s_mov_b64 s[10:11], 0
                                        ; implicit-def: $vgpr3
                                        ; implicit-def: $vgpr1
	s_cbranch_execnz .LBB185_1671
.LBB185_1665:
	s_andn2_b64 vcc, exec, s[10:11]
	s_cbranch_vccnz .LBB185_2435
	s_branch .LBB185_1725
.LBB185_1666:
	s_mov_b64 s[10:11], 0
	s_mov_b64 s[0:1], 0
                                        ; implicit-def: $vgpr3
                                        ; implicit-def: $vgpr1
	s_cbranch_execnz .LBB185_1807
.LBB185_1667:
	s_and_b64 vcc, exec, s[0:1]
	s_cbranch_vccnz .LBB185_1840
.LBB185_1668:
	s_andn2_b64 vcc, exec, s[2:3]
	s_cbranch_vccnz .LBB185_1670
.LBB185_1669:
	global_load_ubyte v1, v[14:15], off
	v_mov_b32_e32 v5, 0x3c00
	v_mov_b32_e32 v3, 0
	s_mov_b64 s[10:11], -1
	s_waitcnt vmcnt(0)
	v_cmp_ne_u16_e32 vcc, 0, v1
	s_nop 1
	v_cndmask_b32_e32 v1, 0, v5, vcc
.LBB185_1670:
	s_branch .LBB185_1665
.LBB185_1671:
	s_and_b32 s2, 0xffff, s23
	s_cmp_lt_i32 s2, 5
	s_cbranch_scc1 .LBB185_1676
; %bb.1672:
	s_cmp_lt_i32 s2, 8
	s_cbranch_scc1 .LBB185_1678
; %bb.1673:
	;; [unrolled: 3-line block ×3, first 2 shown]
	s_cmp_gt_i32 s2, 9
	s_cbranch_scc0 .LBB185_1683
; %bb.1675:
	global_load_dwordx4 v[16:19], v[14:15], off
	s_movk_i32 s0, 0x1ff
	s_movk_i32 s1, 0xffe
	v_mov_b32_e32 v1, 0x7c00
	v_mov_b32_e32 v3, 0x7e00
	s_movk_i32 s3, 0x40f
	s_mov_b32 s10, 0x8000
	s_waitcnt vmcnt(0)
	v_and_or_b32 v5, v17, s0, v16
	v_lshrrev_b32_e32 v7, 8, v17
	v_bfe_u32 v9, v17, 20, 11
	v_lshrrev_b32_e32 v16, 16, v17
	v_and_or_b32 v17, v19, s0, v18
	v_cmp_ne_u32_e32 vcc, 0, v5
	v_lshrrev_b32_e32 v18, 8, v19
	v_bfe_u32 v20, v19, 20, 11
	v_cndmask_b32_e64 v5, 0, 1, vcc
	v_cmp_ne_u32_e32 vcc, 0, v17
	v_sub_u32_e32 v21, 0x3f1, v9
	v_and_or_b32 v5, v7, s1, v5
	v_cndmask_b32_e64 v17, 0, 1, vcc
	v_add_u32_e32 v9, 0xfffffc10, v9
	v_sub_u32_e32 v22, 0x3f1, v20
	v_add_u32_e32 v20, 0xfffffc10, v20
	v_med3_i32 v7, v21, 0, 13
	v_and_or_b32 v17, v18, s1, v17
	v_or_b32_e32 v21, 0x1000, v5
	v_cmp_ne_u32_e32 vcc, 0, v5
	v_med3_i32 v18, v22, 0, 13
	v_lshl_or_b32 v22, v9, 12, v5
	v_cndmask_b32_e32 v5, v1, v3, vcc
	v_or_b32_e32 v23, 0x1000, v17
	v_lshl_or_b32 v24, v20, 12, v17
	v_cmp_ne_u32_e32 vcc, 0, v17
	v_lshrrev_b32_e32 v17, v7, v21
	v_lshrrev_b32_e32 v25, v18, v23
	v_lshlrev_b32_e32 v7, v7, v17
	v_cndmask_b32_e32 v3, v1, v3, vcc
	v_lshlrev_b32_e32 v18, v18, v25
	v_cmp_ne_u32_e32 vcc, v7, v21
	v_lshrrev_b32_e32 v19, 16, v19
	s_mov_b64 s[0:1], 0
	v_cndmask_b32_e64 v7, 0, 1, vcc
	v_cmp_ne_u32_e32 vcc, v18, v23
	v_or_b32_e32 v7, v17, v7
	s_nop 0
	v_cndmask_b32_e64 v18, 0, 1, vcc
	v_cmp_gt_i32_e32 vcc, 1, v9
	v_or_b32_e32 v17, v25, v18
	s_nop 0
	v_cndmask_b32_e32 v7, v22, v7, vcc
	v_cmp_gt_i32_e32 vcc, 1, v20
	v_and_b32_e32 v18, 7, v7
	v_lshrrev_b32_e32 v7, 2, v7
	v_cndmask_b32_e32 v17, v24, v17, vcc
	v_cmp_lt_i32_e32 vcc, 5, v18
	v_and_b32_e32 v21, 7, v17
	v_lshrrev_b32_e32 v17, 2, v17
	v_cndmask_b32_e64 v22, 0, 1, vcc
	v_cmp_eq_u32_e32 vcc, 3, v18
	s_nop 1
	v_cndmask_b32_e64 v18, 0, 1, vcc
	v_cmp_lt_i32_e32 vcc, 5, v21
	v_or_b32_e32 v18, v18, v22
	v_add_u32_e32 v7, v7, v18
	v_cndmask_b32_e64 v23, 0, 1, vcc
	v_cmp_eq_u32_e32 vcc, 3, v21
	s_nop 1
	v_cndmask_b32_e64 v21, 0, 1, vcc
	v_or_b32_e32 v21, v21, v23
	v_cmp_gt_i32_e32 vcc, 31, v9
	v_add_u32_e32 v17, v17, v21
	s_nop 0
	v_cndmask_b32_e32 v7, v1, v7, vcc
	v_cmp_gt_i32_e32 vcc, 31, v20
	s_nop 1
	v_cndmask_b32_e32 v1, v1, v17, vcc
	v_cmp_eq_u32_e32 vcc, s3, v9
	s_nop 1
	v_cndmask_b32_e32 v5, v7, v5, vcc
	v_cmp_eq_u32_e32 vcc, s3, v20
	s_nop 1
	v_cndmask_b32_e32 v3, v1, v3, vcc
	v_and_or_b32 v1, v16, s10, v5
	v_and_or_b32 v3, v19, s10, v3
	s_branch .LBB185_1684
.LBB185_1676:
	s_mov_b64 s[0:1], -1
                                        ; implicit-def: $vgpr3
                                        ; implicit-def: $vgpr1
	s_branch .LBB185_1703
.LBB185_1677:
	s_mov_b64 s[12:13], -1
	s_mov_b64 s[10:11], 0
	s_mov_b64 s[0:1], 0
                                        ; implicit-def: $vgpr3
                                        ; implicit-def: $vgpr1
	s_branch .LBB185_1788
.LBB185_1678:
	s_mov_b64 s[0:1], -1
                                        ; implicit-def: $vgpr3
                                        ; implicit-def: $vgpr1
	s_branch .LBB185_1690
.LBB185_1679:
	s_mov_b64 s[12:13], -1
	s_mov_b64 s[10:11], 0
	s_mov_b64 s[0:1], 0
                                        ; implicit-def: $vgpr3
                                        ; implicit-def: $vgpr1
	s_branch .LBB185_1782
.LBB185_1680:
	s_mov_b64 s[0:1], -1
                                        ; implicit-def: $vgpr3
                                        ; implicit-def: $vgpr1
	s_branch .LBB185_1687
.LBB185_1681:
	s_trap 2
	s_or_b64 s[8:9], s[8:9], exec
	s_cbranch_execz .LBB185_1568
	s_branch .LBB185_1569
.LBB185_1682:
	s_mov_b64 s[12:13], -1
	s_mov_b64 s[10:11], 0
	s_mov_b64 s[0:1], 0
                                        ; implicit-def: $vgpr3
                                        ; implicit-def: $vgpr1
	s_branch .LBB185_1775
.LBB185_1683:
	s_mov_b64 s[0:1], -1
                                        ; implicit-def: $vgpr3
                                        ; implicit-def: $vgpr1
.LBB185_1684:
	s_andn2_b64 vcc, exec, s[0:1]
	s_cbranch_vccnz .LBB185_1686
; %bb.1685:
	global_load_dwordx2 v[16:17], v[14:15], off
	s_waitcnt vmcnt(0)
	v_cvt_f16_f32_e32 v1, v16
	v_cvt_f16_f32_e32 v3, v17
.LBB185_1686:
	s_mov_b64 s[0:1], 0
.LBB185_1687:
	s_andn2_b64 vcc, exec, s[0:1]
	s_cbranch_vccnz .LBB185_1689
; %bb.1688:
	global_load_dword v1, v[14:15], off
	s_waitcnt vmcnt(0)
	v_lshrrev_b32_e32 v3, 16, v1
.LBB185_1689:
	s_mov_b64 s[0:1], 0
.LBB185_1690:
	s_andn2_b64 vcc, exec, s[0:1]
	s_cbranch_vccnz .LBB185_1702
; %bb.1691:
	s_cmp_lt_i32 s2, 6
	s_cbranch_scc1 .LBB185_1694
; %bb.1692:
	s_cmp_gt_i32 s2, 6
	s_cbranch_scc0 .LBB185_1695
; %bb.1693:
	global_load_dwordx2 v[16:17], v[14:15], off
	s_movk_i32 s0, 0x1ff
	s_movk_i32 s1, 0xffe
	v_mov_b32_e32 v1, 0x7c00
	v_mov_b32_e32 v3, 0x7e00
	s_movk_i32 s3, 0x40f
	s_mov_b32 s10, 0x8000
	s_waitcnt vmcnt(0)
	v_and_or_b32 v5, v17, s0, v16
	v_cmp_ne_u32_e32 vcc, 0, v5
	v_lshrrev_b32_e32 v7, 8, v17
	v_bfe_u32 v9, v17, 20, 11
	v_cndmask_b32_e64 v5, 0, 1, vcc
	v_lshrrev_b32_e32 v16, 16, v17
	v_sub_u32_e32 v17, 0x3f1, v9
	v_and_or_b32 v5, v7, s1, v5
	v_add_u32_e32 v9, 0xfffffc10, v9
	v_med3_i32 v7, v17, 0, 13
	v_or_b32_e32 v17, 0x1000, v5
	v_lshl_or_b32 v18, v9, 12, v5
	v_cmp_ne_u32_e32 vcc, 0, v5
	v_lshrrev_b32_e32 v5, v7, v17
	v_lshlrev_b32_e32 v7, v7, v5
	v_cndmask_b32_e32 v3, v1, v3, vcc
	v_cmp_ne_u32_e32 vcc, v7, v17
	s_mov_b64 s[0:1], 0
	s_nop 0
	v_cndmask_b32_e64 v7, 0, 1, vcc
	v_or_b32_e32 v5, v5, v7
	v_cmp_gt_i32_e32 vcc, 1, v9
	s_nop 1
	v_cndmask_b32_e32 v5, v18, v5, vcc
	v_and_b32_e32 v7, 7, v5
	v_cmp_lt_i32_e32 vcc, 5, v7
	v_lshrrev_b32_e32 v5, 2, v5
	s_nop 0
	v_cndmask_b32_e64 v17, 0, 1, vcc
	v_cmp_eq_u32_e32 vcc, 3, v7
	s_nop 1
	v_cndmask_b32_e64 v7, 0, 1, vcc
	v_or_b32_e32 v7, v7, v17
	v_add_u32_e32 v5, v5, v7
	v_cmp_gt_i32_e32 vcc, 31, v9
	s_nop 1
	v_cndmask_b32_e32 v1, v1, v5, vcc
	v_cmp_eq_u32_e32 vcc, s3, v9
	s_nop 1
	v_cndmask_b32_e32 v1, v1, v3, vcc
	v_and_or_b32 v1, v16, s10, v1
	s_branch .LBB185_1696
.LBB185_1694:
	s_mov_b64 s[0:1], -1
                                        ; implicit-def: $vgpr1
	s_branch .LBB185_1699
.LBB185_1695:
	s_mov_b64 s[0:1], -1
                                        ; implicit-def: $vgpr1
.LBB185_1696:
	s_andn2_b64 vcc, exec, s[0:1]
	s_cbranch_vccnz .LBB185_1698
; %bb.1697:
	global_load_dword v1, v[14:15], off
	s_waitcnt vmcnt(0)
	v_cvt_f16_f32_e32 v1, v1
.LBB185_1698:
	s_mov_b64 s[0:1], 0
.LBB185_1699:
	s_andn2_b64 vcc, exec, s[0:1]
	s_cbranch_vccnz .LBB185_1701
; %bb.1700:
	global_load_ushort v1, v[14:15], off
.LBB185_1701:
	v_mov_b32_e32 v3, 0
.LBB185_1702:
	s_mov_b64 s[0:1], 0
.LBB185_1703:
	s_andn2_b64 vcc, exec, s[0:1]
	s_cbranch_vccnz .LBB185_1724
; %bb.1704:
	s_cmp_lt_i32 s2, 2
	s_cbranch_scc1 .LBB185_1708
; %bb.1705:
	s_cmp_lt_i32 s2, 3
	s_cbranch_scc1 .LBB185_1709
; %bb.1706:
	s_cmp_gt_i32 s2, 3
	s_cbranch_scc0 .LBB185_1710
; %bb.1707:
	global_load_dwordx2 v[16:17], v[14:15], off
	s_mov_b64 s[0:1], 0
	s_waitcnt vmcnt(0)
	v_xor_b32_e32 v3, v16, v17
	v_ffbh_i32_e32 v1, v17
	v_ashrrev_i32_e32 v3, 31, v3
	v_add_u32_e32 v1, -1, v1
	v_add_u32_e32 v3, 32, v3
	v_min_u32_e32 v1, v1, v3
	v_lshlrev_b64 v[16:17], v1, v[16:17]
	v_min_u32_e32 v3, 1, v16
	v_or_b32_e32 v3, v17, v3
	v_cvt_f32_i32_e32 v3, v3
	v_sub_u32_e32 v1, 32, v1
	v_ldexp_f32 v1, v3, v1
	v_cvt_f16_f32_e32 v1, v1
	s_branch .LBB185_1711
.LBB185_1708:
	s_mov_b64 s[0:1], -1
                                        ; implicit-def: $vgpr1
	s_branch .LBB185_1717
.LBB185_1709:
	s_mov_b64 s[0:1], -1
                                        ; implicit-def: $vgpr1
	s_branch .LBB185_1714
.LBB185_1710:
	s_mov_b64 s[0:1], -1
                                        ; implicit-def: $vgpr1
.LBB185_1711:
	s_andn2_b64 vcc, exec, s[0:1]
	s_cbranch_vccnz .LBB185_1713
; %bb.1712:
	global_load_dword v1, v[14:15], off
	s_waitcnt vmcnt(0)
	v_cvt_f32_i32_e32 v1, v1
	v_cvt_f16_f32_e32 v1, v1
.LBB185_1713:
	s_mov_b64 s[0:1], 0
.LBB185_1714:
	s_andn2_b64 vcc, exec, s[0:1]
	s_cbranch_vccnz .LBB185_1716
; %bb.1715:
	global_load_ushort v1, v[14:15], off
	s_waitcnt vmcnt(0)
	v_cvt_f16_i16_e32 v1, v1
.LBB185_1716:
	s_mov_b64 s[0:1], 0
.LBB185_1717:
	s_andn2_b64 vcc, exec, s[0:1]
	s_cbranch_vccnz .LBB185_1723
; %bb.1718:
	s_cmp_gt_i32 s2, 0
	s_cbranch_scc0 .LBB185_1720
; %bb.1719:
	global_load_sbyte v1, v[14:15], off
	s_mov_b64 s[0:1], 0
	s_waitcnt vmcnt(0)
	v_cvt_f16_i16_e32 v1, v1
	s_branch .LBB185_1721
.LBB185_1720:
	s_mov_b64 s[0:1], -1
                                        ; implicit-def: $vgpr1
.LBB185_1721:
	s_andn2_b64 vcc, exec, s[0:1]
	s_cbranch_vccnz .LBB185_1723
; %bb.1722:
	global_load_ubyte v1, v[14:15], off
	s_waitcnt vmcnt(0)
	v_cvt_f16_u16_e32 v1, v1
.LBB185_1723:
	v_mov_b32_e32 v3, 0
.LBB185_1724:
.LBB185_1725:
	v_cvt_f32_f16_e32 v17, v3
	s_waitcnt vmcnt(0)
	v_cmp_neq_f16_e32 vcc, 0, v1
	v_cmp_neq_f16_e64 s[0:1], 0, v3
	s_or_b64 s[0:1], vcc, s[0:1]
	v_mov_b32_e32 v16, 0
	s_and_saveexec_b64 s[10:11], s[0:1]
	s_cbranch_execz .LBB185_1755
; %bb.1726:
	v_mov_b32_e32 v16, 0x7f800000
	v_cmp_neq_f32_e64 s[0:1], |v17|, v16
	s_and_saveexec_b64 s[12:13], s[0:1]
	s_cbranch_execz .LBB185_1754
; %bb.1727:
	v_cvt_f32_f16_e32 v3, v1
	v_cmp_o_f16_e32 vcc, v1, v1
	s_and_saveexec_b64 s[0:1], vcc
	s_xor_b64 s[14:15], exec, s[0:1]
	s_cbranch_execz .LBB185_1751
; %bb.1728:
	s_mov_b32 s0, 0x7f800000
	v_cmp_neq_f32_e64 s[0:1], |v3|, s0
	s_and_saveexec_b64 s[2:3], s[0:1]
	s_xor_b64 s[16:17], exec, s[2:3]
	s_cbranch_execz .LBB185_1744
; %bb.1729:
	v_max_f32_e64 v1, |v17|, |v17|
	v_max_f32_e64 v5, |v3|, |v3|
	v_max_f32_e32 v1, v5, v1
	s_mov_b32 s0, 0x7ed413cb
	v_cmp_nle_f32_e64 s[0:1], s0, v1
                                        ; implicit-def: $sgpr18_sgpr19
	s_and_saveexec_b64 s[2:3], s[0:1]
	s_xor_b64 s[2:3], exec, s[2:3]
	s_cbranch_execz .LBB185_1733
; %bb.1730:
	s_mov_b32 s20, 0x1000000
	v_cmp_le_f32_e64 s[18:19], |v3|, s20
	v_cmp_le_f32_e64 s[20:21], |v17|, s20
	s_and_b64 s[28:29], s[18:19], s[20:21]
	s_mov_b64 s[18:19], 0
	s_and_saveexec_b64 s[20:21], s[28:29]
; %bb.1731:
	s_mov_b64 s[18:19], exec
	v_mul_f32_e32 v17, 4.0, v17
	v_mul_f32_e32 v3, 4.0, v3
; %bb.1732:
	s_or_b64 exec, exec, s[20:21]
.LBB185_1733:
	s_andn2_saveexec_b64 s[2:3], s[2:3]
; %bb.1734:
	v_mul_f32_e32 v3, 0x3e800000, v3
	v_mul_f32_e32 v17, 0x3e800000, v17
	s_andn2_b64 s[18:19], s[18:19], exec
; %bb.1735:
	s_or_b64 exec, exec, s[2:3]
	v_max_f32_e64 v1, |v17|, |v17|
	v_max_f32_e64 v5, |v3|, |v3|
	v_max_f32_e32 v1, v5, v1
	v_cvt_f64_f32_e32 v[14:15], v1
	v_frexp_exp_i32_f64_e32 v5, v[14:15]
	v_sub_u32_e32 v7, 0, v5
	v_ldexp_f32 v9, |v3|, v7
	v_ldexp_f32 v7, |v17|, v7
	v_mul_f32_e32 v7, v7, v7
	v_fmac_f32_e32 v7, v9, v9
	v_sqrt_f32_e32 v7, v7
	s_mov_b32 s2, 0x7f800000
	v_cmp_neq_f32_e64 s[2:3], s2, v1
	v_cmp_le_f32_e32 vcc, 0, v3
	v_ldexp_f32 v5, v7, v5
	v_mov_b32_e32 v7, 0x7f800000
	v_cndmask_b32_e64 v1, v7, v5, s[2:3]
                                        ; implicit-def: $vgpr14_vgpr15
	s_and_saveexec_b64 s[2:3], vcc
	s_xor_b64 s[20:21], exec, s[2:3]
	s_cbranch_execz .LBB185_1737
; %bb.1736:
	v_add_f32_e32 v1, v3, v1
	v_mul_f32_e32 v1, 0.5, v1
	s_mov_b32 s2, 0xf800000
	v_mul_f32_e32 v3, 0x4f800000, v1
	v_cmp_gt_f32_e32 vcc, s2, v1
	s_nop 1
	v_cndmask_b32_e32 v1, v1, v3, vcc
	v_sqrt_f32_e32 v3, v1
	s_nop 0
	v_add_u32_e32 v5, -1, v3
	v_fma_f32 v7, -v5, v3, v1
	v_cmp_ge_f32_e64 s[2:3], 0, v7
	v_add_u32_e32 v7, 1, v3
	s_nop 0
	v_cndmask_b32_e64 v5, v3, v5, s[2:3]
	v_fma_f32 v3, -v7, v3, v1
	v_cmp_lt_f32_e64 s[2:3], 0, v3
	s_nop 1
	v_cndmask_b32_e64 v3, v5, v7, s[2:3]
	v_mul_f32_e32 v5, 0x37800000, v3
	v_cndmask_b32_e32 v3, v3, v5, vcc
	v_mov_b32_e32 v5, 0x260
	v_cmp_class_f32_e32 vcc, v1, v5
	s_nop 1
	v_cndmask_b32_e32 v14, v3, v1, vcc
	v_add_f32_e32 v1, v14, v14
	v_div_scale_f32 v3, s[2:3], v1, v1, v17
	v_rcp_f32_e32 v5, v3
	s_nop 0
	v_fma_f32 v7, -v3, v5, 1.0
	v_fmac_f32_e32 v5, v7, v5
	v_div_scale_f32 v7, vcc, v17, v1, v17
	v_mul_f32_e32 v9, v7, v5
	v_fma_f32 v15, -v3, v9, v7
	v_fmac_f32_e32 v9, v15, v5
	v_fma_f32 v3, -v3, v9, v7
	v_div_fmas_f32 v3, v3, v5, v9
	v_div_fixup_f32 v15, v3, v1, v17
                                        ; implicit-def: $vgpr1
                                        ; implicit-def: $vgpr3
                                        ; implicit-def: $vgpr17
	s_andn2_saveexec_b64 s[20:21], s[20:21]
	s_cbranch_execz .LBB185_1739
	s_branch .LBB185_1738
.LBB185_1737:
	s_andn2_saveexec_b64 s[20:21], s[20:21]
	s_cbranch_execz .LBB185_1739
.LBB185_1738:
	v_sub_f32_e32 v1, v1, v3
	v_mul_f32_e32 v1, 0.5, v1
	s_mov_b32 s2, 0xf800000
	v_mul_f32_e32 v3, 0x4f800000, v1
	v_cmp_gt_f32_e32 vcc, s2, v1
	s_nop 1
	v_cndmask_b32_e32 v1, v1, v3, vcc
	v_sqrt_f32_e32 v3, v1
	s_nop 0
	v_add_u32_e32 v5, -1, v3
	v_fma_f32 v7, -v5, v3, v1
	v_cmp_ge_f32_e64 s[2:3], 0, v7
	v_add_u32_e32 v7, 1, v3
	s_nop 0
	v_cndmask_b32_e64 v5, v3, v5, s[2:3]
	v_fma_f32 v3, -v7, v3, v1
	v_cmp_lt_f32_e64 s[2:3], 0, v3
	s_nop 1
	v_cndmask_b32_e64 v3, v5, v7, s[2:3]
	v_mul_f32_e32 v5, 0x37800000, v3
	v_cndmask_b32_e32 v3, v3, v5, vcc
	v_mov_b32_e32 v5, 0x260
	v_cmp_class_f32_e32 vcc, v1, v5
	v_and_b32_e32 v5, 0x7fffffff, v17
	s_nop 0
	v_cndmask_b32_e32 v1, v3, v1, vcc
	v_add_f32_e32 v3, v1, v1
	v_div_scale_f32 v7, s[2:3], v3, v3, v5
	v_rcp_f32_e32 v9, v7
	v_div_scale_f32 v5, vcc, v5, v3, v5
	s_brev_b32 s2, -2
	v_fma_f32 v14, -v7, v9, 1.0
	v_fmac_f32_e32 v9, v14, v9
	v_mul_f32_e32 v14, v5, v9
	v_fma_f32 v15, -v7, v14, v5
	v_fmac_f32_e32 v14, v15, v9
	v_fma_f32 v5, -v7, v14, v5
	v_div_fmas_f32 v5, v5, v9, v14
	v_div_fixup_f32 v14, v5, v3, |v17|
	v_bfi_b32 v15, s2, v1, v17
.LBB185_1739:
	s_or_b64 exec, exec, s[20:21]
                                        ; implicit-def: $vgpr17
	s_and_saveexec_b64 s[2:3], s[0:1]
	s_xor_b64 s[0:1], exec, s[2:3]
	s_cbranch_execz .LBB185_1741
; %bb.1740:
	v_pk_mul_f32 v[16:17], v[14:15], 0.5 op_sel_hi:[1,0]
	s_nop 0
	v_cndmask_b32_e64 v16, v14, v16, s[18:19]
	v_cndmask_b32_e64 v17, v15, v17, s[18:19]
                                        ; implicit-def: $vgpr14_vgpr15
	s_andn2_saveexec_b64 s[0:1], s[0:1]
	s_cbranch_execnz .LBB185_1742
	s_branch .LBB185_1743
.LBB185_1741:
	s_andn2_saveexec_b64 s[0:1], s[0:1]
.LBB185_1742:
	v_pk_add_f32 v[16:17], v[14:15], v[14:15]
.LBB185_1743:
	s_or_b64 exec, exec, s[0:1]
                                        ; implicit-def: $vgpr3
                                        ; implicit-def: $vgpr1
.LBB185_1744:
	s_andn2_saveexec_b64 s[0:1], s[16:17]
	s_cbranch_execz .LBB185_1750
; %bb.1745:
	v_cmp_lt_i16_e32 vcc, -1, v1
	v_sub_f32_e32 v1, v17, v17
	s_brev_b32 s16, -2
	v_and_b32_e32 v16, 0x7fffffff, v1
	s_and_saveexec_b64 s[2:3], vcc
	s_xor_b64 s[2:3], exec, s[2:3]
; %bb.1746:
	v_bfi_b32 v17, s16, v1, v17
	v_mov_b32_e32 v16, v3
; %bb.1747:
	s_andn2_saveexec_b64 s[2:3], s[2:3]
; %bb.1748:
	v_bfi_b32 v17, s16, v3, v17
; %bb.1749:
	s_or_b64 exec, exec, s[2:3]
.LBB185_1750:
	s_or_b64 exec, exec, s[0:1]
                                        ; implicit-def: $vgpr3
.LBB185_1751:
	s_andn2_saveexec_b64 s[0:1], s[14:15]
	s_cbranch_execz .LBB185_1753
; %bb.1752:
	v_sub_f32_e32 v1, v17, v17
	v_div_scale_f32 v5, vcc, v1, v1, v1
	v_rcp_f32_e32 v7, v5
	v_mov_b32_e32 v16, v3
	v_fma_f32 v9, -v5, v7, 1.0
	v_fmac_f32_e32 v7, v9, v7
	v_mul_f32_e32 v9, v5, v7
	v_fma_f32 v14, -v5, v9, v5
	v_fmac_f32_e32 v9, v14, v7
	v_fma_f32 v5, -v5, v9, v5
	v_div_fmas_f32 v5, v5, v7, v9
	v_div_fixup_f32 v17, v5, v1, v1
.LBB185_1753:
	s_or_b64 exec, exec, s[0:1]
.LBB185_1754:
	s_or_b64 exec, exec, s[12:13]
.LBB185_1755:
	s_or_b64 exec, exec, s[10:11]
	v_cmp_gt_f32_e32 vcc, 0, v17
                                        ; implicit-def: $vgpr14_vgpr15
	s_nop 1
	v_cndmask_b32_e64 v3, v17, -v17, vcc
	v_cmp_gt_f32_e32 vcc, 0, v16
	s_nop 1
	v_cndmask_b32_e64 v1, v16, -v16, vcc
	v_cmp_ge_f32_e32 vcc, v1, v3
	s_and_saveexec_b64 s[0:1], vcc
	s_xor_b64 s[2:3], exec, s[0:1]
	s_cbranch_execz .LBB185_1761
; %bb.1756:
	v_cmp_neq_f32_e32 vcc, 0, v16
	v_cmp_neq_f32_e64 s[0:1], 0, v17
	s_or_b64 s[0:1], vcc, s[0:1]
                                        ; implicit-def: $vgpr14_vgpr15
	s_and_saveexec_b64 s[10:11], s[0:1]
	s_xor_b64 s[0:1], exec, s[10:11]
	s_cbranch_execz .LBB185_1758
; %bb.1757:
	v_div_scale_f32 v1, s[10:11], v16, v16, v17
	v_rcp_f32_e32 v3, v1
	v_div_scale_f32 v5, vcc, v17, v16, v17
	v_fma_f32 v7, -v1, v3, 1.0
	v_fmac_f32_e32 v3, v7, v3
	v_mul_f32_e32 v7, v5, v3
	v_fma_f32 v9, -v1, v7, v5
	v_fmac_f32_e32 v7, v9, v3
	v_fma_f32 v1, -v1, v7, v5
	v_div_fmas_f32 v1, v1, v3, v7
	v_div_fixup_f32 v1, v1, v16, v17
	v_fmac_f32_e32 v16, v17, v1
	v_div_scale_f32 v3, s[10:11], v16, v16, 1.0
	v_rcp_f32_e32 v5, v3
	v_sub_f32_e32 v17, 0, v1
	v_fma_f32 v7, -v3, v5, 1.0
	v_fmac_f32_e32 v5, v7, v5
	v_div_scale_f32 v7, vcc, 1.0, v16, 1.0
	v_mul_f32_e32 v9, v7, v5
	v_fma_f32 v14, -v3, v9, v7
	v_fmac_f32_e32 v9, v14, v5
	v_fma_f32 v3, -v3, v9, v7
	v_div_fmas_f32 v3, v3, v5, v9
	v_div_fixup_f32 v14, v3, v16, 1.0
	v_mul_f32_e32 v3, 0, v1
	v_add_f32_e32 v16, 1.0, v3
	v_pk_mul_f32 v[14:15], v[16:17], v[14:15] op_sel_hi:[1,0]
                                        ; implicit-def: $vgpr3
                                        ; implicit-def: $vgpr1
.LBB185_1758:
	s_andn2_saveexec_b64 s[0:1], s[0:1]
	s_cbranch_execz .LBB185_1760
; %bb.1759:
	v_div_scale_f32 v5, s[10:11], v3, v3, 0
	v_rcp_f32_e32 v7, v5
	v_div_scale_f32 v9, vcc, 0, v3, 0
	v_fma_f32 v14, -v5, v7, 1.0
	v_fmac_f32_e32 v7, v14, v7
	v_mul_f32_e32 v14, v9, v7
	v_fma_f32 v15, -v5, v14, v9
	v_fmac_f32_e32 v14, v15, v7
	v_fma_f32 v5, -v5, v14, v9
	v_div_scale_f32 v9, s[10:11], v1, v1, 1.0
	v_rcp_f32_e32 v16, v9
	v_div_fmas_f32 v5, v5, v7, v14
	v_div_fixup_f32 v15, v5, v3, 0
	v_fma_f32 v3, -v9, v16, 1.0
	v_fmac_f32_e32 v16, v3, v16
	v_div_scale_f32 v3, vcc, 1.0, v1, 1.0
	v_mul_f32_e32 v5, v3, v16
	v_fma_f32 v7, -v9, v5, v3
	v_fmac_f32_e32 v5, v7, v16
	v_fma_f32 v3, -v9, v5, v3
	v_div_fmas_f32 v3, v3, v16, v5
	v_div_fixup_f32 v14, v3, v1, 1.0
.LBB185_1760:
	s_or_b64 exec, exec, s[0:1]
                                        ; implicit-def: $vgpr17
.LBB185_1761:
	s_andn2_saveexec_b64 s[0:1], s[2:3]
	s_cbranch_execz .LBB185_1763
; %bb.1762:
	v_div_scale_f32 v1, s[2:3], v17, v17, v16
	v_rcp_f32_e32 v3, v1
	v_div_scale_f32 v5, vcc, v16, v17, v16
	v_fma_f32 v7, -v1, v3, 1.0
	v_fmac_f32_e32 v3, v7, v3
	v_mul_f32_e32 v7, v5, v3
	v_fma_f32 v9, -v1, v7, v5
	v_fmac_f32_e32 v7, v9, v3
	v_fma_f32 v1, -v1, v7, v5
	v_div_fmas_f32 v1, v1, v3, v7
	v_div_fixup_f32 v14, v1, v17, v16
	v_fmac_f32_e32 v17, v16, v14
	v_div_scale_f32 v1, s[2:3], v17, v17, 1.0
	v_rcp_f32_e32 v3, v1
	s_mov_b32 s2, 0
	s_mov_b32 s3, -1.0
	v_mul_f32_e32 v15, 0, v14
	v_fma_f32 v5, -v1, v3, 1.0
	v_fmac_f32_e32 v3, v5, v3
	v_div_scale_f32 v5, vcc, 1.0, v17, 1.0
	v_mul_f32_e32 v7, v5, v3
	v_fma_f32 v9, -v1, v7, v5
	v_fmac_f32_e32 v7, v9, v3
	v_fma_f32 v1, -v1, v7, v5
	v_div_fmas_f32 v1, v1, v3, v7
	v_div_fixup_f32 v16, v1, v17, 1.0
	v_pk_add_f32 v[14:15], v[14:15], s[2:3]
	s_nop 0
	v_pk_mul_f32 v[14:15], v[14:15], v[16:17] op_sel_hi:[1,0]
.LBB185_1763:
	s_or_b64 exec, exec, s[0:1]
	v_mov_b32_e32 v9, 0
	s_cmp_lt_i32 s23, 11
	v_lshl_add_u64 v[8:9], s[6:7], 0, v[8:9]
	s_cbranch_scc1 .LBB185_1770
; %bb.1764:
	s_and_b32 s14, 0xffff, s23
	s_cmp_gt_i32 s14, 25
	s_mov_b64 s[2:3], 0
	s_cbranch_scc0 .LBB185_1771
; %bb.1765:
	s_cmp_gt_i32 s14, 28
	s_cbranch_scc0 .LBB185_1772
; %bb.1766:
	s_cmp_gt_i32 s14, 43
	;; [unrolled: 3-line block ×3, first 2 shown]
	s_cbranch_scc0 .LBB185_1778
; %bb.1768:
	s_cmp_eq_u32 s14, 46
	s_mov_b64 s[10:11], 0
	s_cbranch_scc0 .LBB185_1841
; %bb.1769:
	global_load_dword v1, v[8:9], off
	s_mov_b64 s[0:1], 0
	s_mov_b64 s[6:7], -1
	s_waitcnt vmcnt(0)
	v_and_b32_e32 v3, 0xffff0000, v1
	v_lshlrev_b32_e32 v1, 16, v1
	v_cvt_f16_f32_e32 v1, v1
	v_cvt_f16_f32_e32 v3, v3
	s_branch .LBB185_1842
.LBB185_1770:
	s_mov_b64 s[0:1], -1
	s_mov_b64 s[6:7], 0
                                        ; implicit-def: $vgpr3
                                        ; implicit-def: $vgpr1
	s_branch .LBB185_1888
.LBB185_1771:
	s_mov_b64 s[10:11], -1
	s_mov_b64 s[6:7], 0
	s_mov_b64 s[0:1], 0
                                        ; implicit-def: $vgpr3
                                        ; implicit-def: $vgpr1
	s_branch .LBB185_1873
.LBB185_1772:
	s_mov_b64 s[10:11], -1
	s_mov_b64 s[6:7], 0
	s_mov_b64 s[0:1], 0
                                        ; implicit-def: $vgpr3
                                        ; implicit-def: $vgpr1
	s_branch .LBB185_1854
.LBB185_1773:
	s_mov_b64 s[10:11], -1
	s_mov_b64 s[6:7], 0
	s_mov_b64 s[0:1], 0
                                        ; implicit-def: $vgpr3
                                        ; implicit-def: $vgpr1
	s_branch .LBB185_1848
.LBB185_1774:
	s_mov_b64 s[0:1], -1
                                        ; implicit-def: $vgpr3
                                        ; implicit-def: $vgpr1
	s_mov_b64 s[10:11], 0
.LBB185_1775:
	s_and_b64 vcc, exec, s[12:13]
	s_cbranch_vccz .LBB185_1781
; %bb.1776:
	s_cmp_eq_u32 s16, 44
	s_cbranch_scc0 .LBB185_1779
; %bb.1777:
	global_load_ubyte v1, v[14:15], off
	s_movk_i32 s10, 0xff
	v_mov_b32_e32 v5, 0x7e00
	s_mov_b64 s[0:1], 0
	s_waitcnt vmcnt(0)
	v_lshlrev_b32_e32 v3, 23, v1
	v_cvt_f16_f32_e32 v3, v3
	v_cmp_ne_u32_e32 vcc, s10, v1
	s_mov_b64 s[10:11], -1
	s_nop 0
	v_cndmask_b32_e32 v3, v5, v3, vcc
	v_cmp_ne_u32_e32 vcc, 0, v1
	s_nop 1
	v_cndmask_b32_e32 v1, 0, v3, vcc
	s_branch .LBB185_1780
.LBB185_1778:
	s_mov_b64 s[10:11], -1
	s_mov_b64 s[6:7], 0
	s_mov_b64 s[0:1], 0
                                        ; implicit-def: $vgpr3
                                        ; implicit-def: $vgpr1
	s_branch .LBB185_1842
.LBB185_1779:
	s_mov_b64 s[0:1], -1
                                        ; implicit-def: $vgpr1
.LBB185_1780:
	v_mov_b32_e32 v3, 0
.LBB185_1781:
	s_mov_b64 s[12:13], 0
.LBB185_1782:
	s_and_b64 vcc, exec, s[12:13]
	s_cbranch_vccz .LBB185_1787
; %bb.1783:
	s_cmp_eq_u32 s16, 29
	s_cbranch_scc0 .LBB185_1785
; %bb.1784:
	global_load_dwordx2 v[16:17], v[14:15], off
	s_mov_b64 s[0:1], 0
	s_mov_b64 s[10:11], -1
	s_waitcnt vmcnt(0)
	v_ffbh_u32_e32 v1, v17
	v_min_u32_e32 v1, 32, v1
	v_lshlrev_b64 v[16:17], v1, v[16:17]
	v_min_u32_e32 v3, 1, v16
	v_or_b32_e32 v3, v17, v3
	v_cvt_f32_u32_e32 v3, v3
	v_sub_u32_e32 v1, 32, v1
	v_ldexp_f32 v1, v3, v1
	v_cvt_f16_f32_e32 v1, v1
	s_branch .LBB185_1786
.LBB185_1785:
	s_mov_b64 s[0:1], -1
                                        ; implicit-def: $vgpr1
.LBB185_1786:
	v_mov_b32_e32 v3, 0
.LBB185_1787:
	s_mov_b64 s[12:13], 0
.LBB185_1788:
	s_and_b64 vcc, exec, s[12:13]
	s_cbranch_vccz .LBB185_1806
; %bb.1789:
	s_cmp_lt_i32 s16, 27
	s_cbranch_scc1 .LBB185_1792
; %bb.1790:
	s_cmp_gt_i32 s16, 27
	s_cbranch_scc0 .LBB185_1793
; %bb.1791:
	global_load_dword v1, v[14:15], off
	s_mov_b64 s[10:11], 0
	s_waitcnt vmcnt(0)
	v_cvt_f32_u32_e32 v1, v1
	v_cvt_f16_f32_e32 v1, v1
	s_branch .LBB185_1794
.LBB185_1792:
	s_mov_b64 s[10:11], -1
                                        ; implicit-def: $vgpr1
	s_branch .LBB185_1797
.LBB185_1793:
	s_mov_b64 s[10:11], -1
                                        ; implicit-def: $vgpr1
.LBB185_1794:
	s_andn2_b64 vcc, exec, s[10:11]
	s_cbranch_vccnz .LBB185_1796
; %bb.1795:
	global_load_ushort v1, v[14:15], off
	s_waitcnt vmcnt(0)
	v_cvt_f16_u16_e32 v1, v1
.LBB185_1796:
	s_mov_b64 s[10:11], 0
.LBB185_1797:
	s_andn2_b64 vcc, exec, s[10:11]
	s_cbranch_vccnz .LBB185_1805
; %bb.1798:
	global_load_ubyte v3, v[14:15], off
	s_movk_i32 s10, 0x7f
	s_waitcnt vmcnt(0)
	v_cmp_lt_i16_e32 vcc, s10, v3
	s_mov_b64 s[10:11], 0
	s_and_saveexec_b64 s[12:13], vcc
	s_xor_b64 s[12:13], exec, s[12:13]
	s_cbranch_execz .LBB185_1818
; %bb.1799:
	s_movk_i32 s10, 0x80
	v_cmp_eq_u16_e32 vcc, s10, v3
	s_mov_b64 s[10:11], -1
	s_and_saveexec_b64 s[14:15], vcc
; %bb.1800:
	s_xor_b64 s[10:11], exec, -1
; %bb.1801:
	s_or_b64 exec, exec, s[14:15]
	s_and_b64 s[10:11], s[10:11], exec
	s_or_saveexec_b64 s[12:13], s[12:13]
	v_mov_b32_e32 v1, 0x7e00
	s_xor_b64 exec, exec, s[12:13]
	s_cbranch_execnz .LBB185_1819
.LBB185_1802:
	s_or_b64 exec, exec, s[12:13]
	s_and_saveexec_b64 s[12:13], s[10:11]
	s_cbranch_execz .LBB185_1804
.LBB185_1803:
	v_lshlrev_b32_e32 v1, 24, v3
	v_and_b32_e32 v3, 0xffff, v3
	v_and_b32_e32 v5, 7, v3
	v_ffbh_u32_e32 v9, v5
	v_min_u32_e32 v9, 32, v9
	v_subrev_u32_e32 v16, 28, v9
	v_bfe_u32 v7, v3, 3, 4
	v_lshlrev_b32_e32 v3, v16, v3
	v_sub_u32_e32 v9, 29, v9
	v_and_b32_e32 v3, 7, v3
	v_cmp_eq_u32_e32 vcc, 0, v7
	v_and_b32_e32 v1, 0x80000000, v1
	s_nop 0
	v_cndmask_b32_e32 v7, v7, v9, vcc
	v_cndmask_b32_e32 v3, v5, v3, vcc
	v_mov_b32_e32 v5, 0x3b800000
	v_lshlrev_b32_e32 v3, 20, v3
	v_lshl_add_u32 v5, v7, 23, v5
	v_or3_b32 v1, v1, v5, v3
	v_cvt_f16_f32_e32 v1, v1
.LBB185_1804:
	s_or_b64 exec, exec, s[12:13]
.LBB185_1805:
	s_mov_b64 s[10:11], -1
	v_mov_b32_e32 v3, 0
.LBB185_1806:
	s_branch .LBB185_1667
.LBB185_1807:
	s_cmp_gt_i32 s16, 22
	s_cbranch_scc0 .LBB185_1817
; %bb.1808:
	s_cmp_lt_i32 s16, 24
	s_cbranch_scc1 .LBB185_1820
; %bb.1809:
	s_cmp_gt_i32 s16, 24
	s_cbranch_scc0 .LBB185_1821
; %bb.1810:
	global_load_ubyte v3, v[14:15], off
	s_movk_i32 s2, 0x7f
	s_waitcnt vmcnt(0)
	v_cmp_lt_i16_e32 vcc, s2, v3
	s_mov_b64 s[2:3], 0
	s_and_saveexec_b64 s[10:11], vcc
	s_xor_b64 s[10:11], exec, s[10:11]
	s_cbranch_execz .LBB185_1833
; %bb.1811:
	s_movk_i32 s2, 0x80
	v_cmp_eq_u16_e32 vcc, s2, v3
	s_mov_b64 s[2:3], -1
	s_and_saveexec_b64 s[12:13], vcc
; %bb.1812:
	s_xor_b64 s[2:3], exec, -1
; %bb.1813:
	s_or_b64 exec, exec, s[12:13]
	s_and_b64 s[2:3], s[2:3], exec
	s_or_saveexec_b64 s[10:11], s[10:11]
	v_mov_b32_e32 v1, 0x7e00
	s_xor_b64 exec, exec, s[10:11]
	s_cbranch_execnz .LBB185_1834
.LBB185_1814:
	s_or_b64 exec, exec, s[10:11]
	s_and_saveexec_b64 s[10:11], s[2:3]
	s_cbranch_execz .LBB185_1816
.LBB185_1815:
	v_lshlrev_b32_e32 v1, 24, v3
	v_and_b32_e32 v3, 0xffff, v3
	v_and_b32_e32 v5, 3, v3
	v_ffbh_u32_e32 v9, v5
	v_min_u32_e32 v9, 32, v9
	v_subrev_u32_e32 v16, 29, v9
	v_bfe_u32 v7, v3, 2, 5
	v_lshlrev_b32_e32 v3, v16, v3
	v_sub_u32_e32 v9, 30, v9
	v_and_b32_e32 v3, 3, v3
	v_cmp_eq_u32_e32 vcc, 0, v7
	v_and_b32_e32 v1, 0x80000000, v1
	s_nop 0
	v_cndmask_b32_e32 v7, v7, v9, vcc
	v_cndmask_b32_e32 v3, v5, v3, vcc
	v_mov_b32_e32 v5, 0x37800000
	v_lshlrev_b32_e32 v3, 21, v3
	v_lshl_add_u32 v5, v7, 23, v5
	v_or3_b32 v1, v1, v5, v3
	v_cvt_f16_f32_e32 v1, v1
.LBB185_1816:
	s_or_b64 exec, exec, s[10:11]
	s_mov_b64 s[2:3], 0
	s_branch .LBB185_1822
.LBB185_1817:
	s_mov_b64 s[2:3], -1
                                        ; implicit-def: $vgpr1
	s_branch .LBB185_1828
.LBB185_1818:
	s_or_saveexec_b64 s[12:13], s[12:13]
	v_mov_b32_e32 v1, 0x7e00
	s_xor_b64 exec, exec, s[12:13]
	s_cbranch_execz .LBB185_1802
.LBB185_1819:
	v_cmp_ne_u16_e32 vcc, 0, v3
	s_andn2_b64 s[10:11], s[10:11], exec
	s_and_b64 s[14:15], vcc, exec
	s_or_b64 s[10:11], s[10:11], s[14:15]
	v_mov_b32_e32 v1, v3
	s_or_b64 exec, exec, s[12:13]
	s_and_saveexec_b64 s[12:13], s[10:11]
	s_cbranch_execnz .LBB185_1803
	s_branch .LBB185_1804
.LBB185_1820:
	s_mov_b64 s[2:3], -1
                                        ; implicit-def: $vgpr1
	s_branch .LBB185_1825
.LBB185_1821:
	s_mov_b64 s[2:3], -1
                                        ; implicit-def: $vgpr1
.LBB185_1822:
	s_and_b64 vcc, exec, s[2:3]
	s_cbranch_vccz .LBB185_1824
; %bb.1823:
	global_load_ubyte v1, v[14:15], off
	s_mov_b32 s2, 0x7f800000
	s_waitcnt vmcnt(0)
	v_lshlrev_b32_e32 v1, 24, v1
	v_and_b32_e32 v3, 0x7f000000, v1
	v_ffbh_u32_e32 v5, v3
	v_min_u32_e32 v5, 32, v5
	v_sub_u32_e64 v5, v5, 4 clamp
	v_lshlrev_b32_e32 v9, v5, v3
	v_lshlrev_b32_e32 v5, 23, v5
	v_lshrrev_b32_e32 v9, 4, v9
	v_add_u32_e32 v7, 0x1000000, v3
	v_sub_u32_e32 v5, v9, v5
	v_ashrrev_i32_e32 v7, 8, v7
	v_add_u32_e32 v5, 0x3c000000, v5
	v_and_or_b32 v5, v7, s2, v5
	v_cmp_ne_u32_e32 vcc, 0, v3
	s_brev_b32 s2, 1
	s_nop 0
	v_cndmask_b32_e32 v3, 0, v5, vcc
	v_and_or_b32 v1, v1, s2, v3
	v_cvt_f16_f32_e32 v1, v1
.LBB185_1824:
	s_mov_b64 s[2:3], 0
.LBB185_1825:
	s_andn2_b64 vcc, exec, s[2:3]
	s_cbranch_vccnz .LBB185_1827
; %bb.1826:
	global_load_ubyte v1, v[14:15], off
	s_movk_i32 s2, 0x7f00
	s_brev_b32 s3, 16
	s_waitcnt vmcnt(0)
	v_lshlrev_b16_e32 v3, 8, v1
	v_lshlrev_b32_e32 v1, 25, v1
	v_lshrrev_b32_e32 v5, 4, v1
	v_and_or_b32 v7, v3, s2, 0.5
	v_or_b32_e32 v5, 0x70000000, v5
	v_add_f32_e32 v7, -0.5, v7
	v_mul_f32_e32 v5, 0x7800000, v5
	v_cmp_gt_u32_e32 vcc, s3, v1
	v_bfe_i32 v3, v3, 0, 16
	s_brev_b32 s2, 1
	v_cndmask_b32_e32 v1, v5, v7, vcc
	v_and_or_b32 v1, v3, s2, v1
	v_cvt_f16_f32_e32 v1, v1
.LBB185_1827:
	s_mov_b64 s[2:3], 0
	s_mov_b64 s[10:11], -1
.LBB185_1828:
	s_andn2_b64 vcc, exec, s[2:3]
	s_mov_b64 s[2:3], 0
	s_cbranch_vccnz .LBB185_1839
; %bb.1829:
	s_cmp_gt_i32 s16, 14
	s_cbranch_scc0 .LBB185_1832
; %bb.1830:
	s_cmp_eq_u32 s16, 15
	s_cbranch_scc0 .LBB185_1835
; %bb.1831:
	global_load_ushort v1, v[14:15], off
	s_mov_b64 s[0:1], 0
	s_mov_b64 s[10:11], -1
	s_waitcnt vmcnt(0)
	v_lshlrev_b32_e32 v1, 16, v1
	v_cvt_f16_f32_e32 v1, v1
	s_branch .LBB185_1836
.LBB185_1832:
	s_mov_b64 s[12:13], -1
                                        ; implicit-def: $vgpr1
	s_branch .LBB185_1837
.LBB185_1833:
	s_or_saveexec_b64 s[10:11], s[10:11]
	v_mov_b32_e32 v1, 0x7e00
	s_xor_b64 exec, exec, s[10:11]
	s_cbranch_execz .LBB185_1814
.LBB185_1834:
	v_cmp_ne_u16_e32 vcc, 0, v3
	s_andn2_b64 s[2:3], s[2:3], exec
	s_and_b64 s[12:13], vcc, exec
	s_or_b64 s[2:3], s[2:3], s[12:13]
	v_mov_b32_e32 v1, v3
	s_or_b64 exec, exec, s[10:11]
	s_and_saveexec_b64 s[10:11], s[2:3]
	s_cbranch_execnz .LBB185_1815
	s_branch .LBB185_1816
.LBB185_1835:
	s_mov_b64 s[0:1], -1
                                        ; implicit-def: $vgpr1
.LBB185_1836:
	s_mov_b64 s[12:13], 0
.LBB185_1837:
	s_and_b64 vcc, exec, s[12:13]
	s_cbranch_vccz .LBB185_1839
; %bb.1838:
	s_cmp_lg_u32 s16, 11
	s_mov_b64 s[2:3], -1
	s_cselect_b64 s[0:1], -1, 0
.LBB185_1839:
	v_mov_b32_e32 v3, 0
	s_and_b64 vcc, exec, s[0:1]
	s_cbranch_vccz .LBB185_1668
.LBB185_1840:
	s_trap 2
	s_or_b64 s[8:9], s[8:9], exec
	s_cbranch_execz .LBB185_1669
	s_branch .LBB185_1670
.LBB185_1841:
	s_mov_b64 s[0:1], -1
                                        ; implicit-def: $vgpr3
                                        ; implicit-def: $vgpr1
	s_mov_b64 s[6:7], 0
.LBB185_1842:
	s_and_b64 vcc, exec, s[10:11]
	s_cbranch_vccz .LBB185_1847
; %bb.1843:
	s_cmp_eq_u32 s14, 44
	s_cbranch_scc0 .LBB185_1845
; %bb.1844:
	global_load_ubyte v1, v[8:9], off
	s_movk_i32 s6, 0xff
	v_mov_b32_e32 v5, 0x7e00
	s_mov_b64 s[0:1], 0
	s_waitcnt vmcnt(0)
	v_lshlrev_b32_e32 v3, 23, v1
	v_cvt_f16_f32_e32 v3, v3
	v_cmp_ne_u32_e32 vcc, s6, v1
	s_mov_b64 s[6:7], -1
	s_nop 0
	v_cndmask_b32_e32 v3, v5, v3, vcc
	v_cmp_ne_u32_e32 vcc, 0, v1
	s_nop 1
	v_cndmask_b32_e32 v1, 0, v3, vcc
	s_branch .LBB185_1846
.LBB185_1845:
	s_mov_b64 s[0:1], -1
                                        ; implicit-def: $vgpr1
.LBB185_1846:
	v_mov_b32_e32 v3, 0
.LBB185_1847:
	s_mov_b64 s[10:11], 0
.LBB185_1848:
	s_and_b64 vcc, exec, s[10:11]
	s_cbranch_vccz .LBB185_1853
; %bb.1849:
	s_cmp_eq_u32 s14, 29
	s_cbranch_scc0 .LBB185_1851
; %bb.1850:
	global_load_dwordx2 v[16:17], v[8:9], off
	s_mov_b64 s[0:1], 0
	s_mov_b64 s[6:7], -1
	s_waitcnt vmcnt(0)
	v_ffbh_u32_e32 v1, v17
	v_min_u32_e32 v1, 32, v1
	v_lshlrev_b64 v[16:17], v1, v[16:17]
	v_min_u32_e32 v3, 1, v16
	v_or_b32_e32 v3, v17, v3
	v_cvt_f32_u32_e32 v3, v3
	v_sub_u32_e32 v1, 32, v1
	v_ldexp_f32 v1, v3, v1
	v_cvt_f16_f32_e32 v1, v1
	s_branch .LBB185_1852
.LBB185_1851:
	s_mov_b64 s[0:1], -1
                                        ; implicit-def: $vgpr1
.LBB185_1852:
	v_mov_b32_e32 v3, 0
.LBB185_1853:
	s_mov_b64 s[10:11], 0
.LBB185_1854:
	s_and_b64 vcc, exec, s[10:11]
	s_cbranch_vccz .LBB185_1872
; %bb.1855:
	s_cmp_lt_i32 s14, 27
	s_cbranch_scc1 .LBB185_1858
; %bb.1856:
	s_cmp_gt_i32 s14, 27
	s_cbranch_scc0 .LBB185_1859
; %bb.1857:
	global_load_dword v1, v[8:9], off
	s_mov_b64 s[6:7], 0
	s_waitcnt vmcnt(0)
	v_cvt_f32_u32_e32 v1, v1
	v_cvt_f16_f32_e32 v1, v1
	s_branch .LBB185_1860
.LBB185_1858:
	s_mov_b64 s[6:7], -1
                                        ; implicit-def: $vgpr1
	s_branch .LBB185_1863
.LBB185_1859:
	s_mov_b64 s[6:7], -1
                                        ; implicit-def: $vgpr1
.LBB185_1860:
	s_andn2_b64 vcc, exec, s[6:7]
	s_cbranch_vccnz .LBB185_1862
; %bb.1861:
	global_load_ushort v1, v[8:9], off
	s_waitcnt vmcnt(0)
	v_cvt_f16_u16_e32 v1, v1
.LBB185_1862:
	s_mov_b64 s[6:7], 0
.LBB185_1863:
	s_andn2_b64 vcc, exec, s[6:7]
	s_cbranch_vccnz .LBB185_1871
; %bb.1864:
	global_load_ubyte v3, v[8:9], off
	s_movk_i32 s6, 0x7f
	s_waitcnt vmcnt(0)
	v_cmp_lt_i16_e32 vcc, s6, v3
	s_mov_b64 s[6:7], 0
	s_and_saveexec_b64 s[10:11], vcc
	s_xor_b64 s[10:11], exec, s[10:11]
	s_cbranch_execz .LBB185_1897
; %bb.1865:
	s_movk_i32 s6, 0x80
	v_cmp_eq_u16_e32 vcc, s6, v3
	s_mov_b64 s[6:7], -1
	s_and_saveexec_b64 s[12:13], vcc
; %bb.1866:
	s_xor_b64 s[6:7], exec, -1
; %bb.1867:
	s_or_b64 exec, exec, s[12:13]
	s_and_b64 s[6:7], s[6:7], exec
	s_or_saveexec_b64 s[10:11], s[10:11]
	v_mov_b32_e32 v1, 0x7e00
	s_xor_b64 exec, exec, s[10:11]
	s_cbranch_execnz .LBB185_1898
.LBB185_1868:
	s_or_b64 exec, exec, s[10:11]
	s_and_saveexec_b64 s[10:11], s[6:7]
	s_cbranch_execz .LBB185_1870
.LBB185_1869:
	v_lshlrev_b32_e32 v1, 24, v3
	v_and_b32_e32 v3, 0xffff, v3
	v_and_b32_e32 v5, 7, v3
	v_ffbh_u32_e32 v16, v5
	v_min_u32_e32 v16, 32, v16
	v_subrev_u32_e32 v17, 28, v16
	v_bfe_u32 v7, v3, 3, 4
	v_lshlrev_b32_e32 v3, v17, v3
	v_sub_u32_e32 v16, 29, v16
	v_and_b32_e32 v3, 7, v3
	v_cmp_eq_u32_e32 vcc, 0, v7
	v_and_b32_e32 v1, 0x80000000, v1
	s_nop 0
	v_cndmask_b32_e32 v7, v7, v16, vcc
	v_cndmask_b32_e32 v3, v5, v3, vcc
	v_mov_b32_e32 v5, 0x3b800000
	v_lshlrev_b32_e32 v3, 20, v3
	v_lshl_add_u32 v5, v7, 23, v5
	v_or3_b32 v1, v1, v5, v3
	v_cvt_f16_f32_e32 v1, v1
.LBB185_1870:
	s_or_b64 exec, exec, s[10:11]
.LBB185_1871:
	s_mov_b64 s[6:7], -1
	v_mov_b32_e32 v3, 0
.LBB185_1872:
	s_mov_b64 s[10:11], 0
.LBB185_1873:
	s_and_b64 vcc, exec, s[10:11]
	s_cbranch_vccz .LBB185_1884
; %bb.1874:
	s_cmp_gt_i32 s14, 22
	s_cbranch_scc0 .LBB185_1895
; %bb.1875:
	s_cmp_lt_i32 s14, 24
	s_cbranch_scc1 .LBB185_1899
; %bb.1876:
	s_cmp_gt_i32 s14, 24
	s_cbranch_scc0 .LBB185_1901
; %bb.1877:
	global_load_ubyte v3, v[8:9], off
	s_movk_i32 s2, 0x7f
	s_waitcnt vmcnt(0)
	v_cmp_lt_i16_e32 vcc, s2, v3
	s_mov_b64 s[2:3], 0
	s_and_saveexec_b64 s[6:7], vcc
	s_xor_b64 s[6:7], exec, s[6:7]
	s_cbranch_execz .LBB185_1913
; %bb.1878:
	s_movk_i32 s2, 0x80
	v_cmp_eq_u16_e32 vcc, s2, v3
	s_mov_b64 s[2:3], -1
	s_and_saveexec_b64 s[10:11], vcc
; %bb.1879:
	s_xor_b64 s[2:3], exec, -1
; %bb.1880:
	s_or_b64 exec, exec, s[10:11]
	s_and_b64 s[2:3], s[2:3], exec
	s_or_saveexec_b64 s[6:7], s[6:7]
	v_mov_b32_e32 v1, 0x7e00
	s_xor_b64 exec, exec, s[6:7]
	s_cbranch_execnz .LBB185_1914
.LBB185_1881:
	s_or_b64 exec, exec, s[6:7]
	s_and_saveexec_b64 s[6:7], s[2:3]
	s_cbranch_execz .LBB185_1883
.LBB185_1882:
	v_lshlrev_b32_e32 v1, 24, v3
	v_and_b32_e32 v3, 0xffff, v3
	v_and_b32_e32 v5, 3, v3
	v_ffbh_u32_e32 v16, v5
	v_min_u32_e32 v16, 32, v16
	v_subrev_u32_e32 v17, 29, v16
	v_bfe_u32 v7, v3, 2, 5
	v_lshlrev_b32_e32 v3, v17, v3
	v_sub_u32_e32 v16, 30, v16
	v_and_b32_e32 v3, 3, v3
	v_cmp_eq_u32_e32 vcc, 0, v7
	v_and_b32_e32 v1, 0x80000000, v1
	s_nop 0
	v_cndmask_b32_e32 v7, v7, v16, vcc
	v_cndmask_b32_e32 v3, v5, v3, vcc
	v_mov_b32_e32 v5, 0x37800000
	v_lshlrev_b32_e32 v3, 21, v3
	v_lshl_add_u32 v5, v7, 23, v5
	v_or3_b32 v1, v1, v5, v3
	v_cvt_f16_f32_e32 v1, v1
.LBB185_1883:
	s_or_b64 exec, exec, s[6:7]
	s_mov_b64 s[2:3], 0
	s_branch .LBB185_1902
.LBB185_1884:
	s_and_b64 vcc, exec, s[0:1]
	s_cbranch_vccnz .LBB185_1932
.LBB185_1885:
	s_andn2_b64 vcc, exec, s[2:3]
	s_cbranch_vccnz .LBB185_1887
.LBB185_1886:
	global_load_ubyte v1, v[8:9], off
	v_mov_b32_e32 v5, 0x3c00
	v_mov_b32_e32 v3, 0
	s_mov_b64 s[6:7], -1
	s_waitcnt vmcnt(0)
	v_cmp_ne_u16_e32 vcc, 0, v1
	s_nop 1
	v_cndmask_b32_e32 v1, 0, v5, vcc
.LBB185_1887:
	s_mov_b64 s[0:1], 0
.LBB185_1888:
	s_and_b64 vcc, exec, s[0:1]
	s_cbranch_vccz .LBB185_1963
; %bb.1889:
	s_and_b32 s2, 0xffff, s23
	s_cmp_lt_i32 s2, 5
	s_cbranch_scc1 .LBB185_1894
; %bb.1890:
	s_cmp_lt_i32 s2, 8
	s_cbranch_scc1 .LBB185_1896
; %bb.1891:
	;; [unrolled: 3-line block ×3, first 2 shown]
	s_cmp_gt_i32 s2, 9
	s_cbranch_scc0 .LBB185_1915
; %bb.1893:
	global_load_dwordx4 v[16:19], v[8:9], off
	s_movk_i32 s0, 0x1ff
	s_movk_i32 s1, 0xffe
	v_mov_b32_e32 v1, 0x7c00
	v_mov_b32_e32 v3, 0x7e00
	s_movk_i32 s3, 0x40f
	s_mov_b32 s6, 0x8000
	s_waitcnt vmcnt(0)
	v_and_or_b32 v5, v17, s0, v16
	v_and_or_b32 v18, v19, s0, v18
	v_cmp_ne_u32_e32 vcc, 0, v5
	v_lshrrev_b32_e32 v7, 8, v17
	v_bfe_u32 v16, v17, 20, 11
	v_cndmask_b32_e64 v5, 0, 1, vcc
	v_cmp_ne_u32_e32 vcc, 0, v18
	v_lshrrev_b32_e32 v20, 8, v19
	v_bfe_u32 v21, v19, 20, 11
	v_sub_u32_e32 v22, 0x3f1, v16
	v_cndmask_b32_e64 v18, 0, 1, vcc
	v_and_or_b32 v5, v7, s1, v5
	v_add_u32_e32 v16, 0xfffffc10, v16
	v_sub_u32_e32 v23, 0x3f1, v21
	v_add_u32_e32 v21, 0xfffffc10, v21
	v_med3_i32 v7, v22, 0, 13
	v_and_or_b32 v18, v20, s1, v18
	v_or_b32_e32 v22, 0x1000, v5
	v_cmp_ne_u32_e32 vcc, 0, v5
	v_med3_i32 v20, v23, 0, 13
	v_lshl_or_b32 v23, v16, 12, v5
	v_cndmask_b32_e32 v5, v1, v3, vcc
	v_or_b32_e32 v24, 0x1000, v18
	v_lshl_or_b32 v25, v21, 12, v18
	v_cmp_ne_u32_e32 vcc, 0, v18
	v_lshrrev_b32_e32 v18, v7, v22
	v_lshrrev_b32_e32 v26, v20, v24
	v_lshlrev_b32_e32 v7, v7, v18
	v_cndmask_b32_e32 v3, v1, v3, vcc
	v_lshlrev_b32_e32 v20, v20, v26
	v_cmp_ne_u32_e32 vcc, v7, v22
	v_lshrrev_b32_e32 v17, 16, v17
	v_lshrrev_b32_e32 v19, 16, v19
	v_cndmask_b32_e64 v7, 0, 1, vcc
	v_cmp_ne_u32_e32 vcc, v20, v24
	v_or_b32_e32 v7, v18, v7
	s_mov_b64 s[0:1], 0
	v_cndmask_b32_e64 v20, 0, 1, vcc
	v_cmp_gt_i32_e32 vcc, 1, v16
	v_or_b32_e32 v18, v26, v20
	s_nop 0
	v_cndmask_b32_e32 v7, v23, v7, vcc
	v_cmp_gt_i32_e32 vcc, 1, v21
	v_and_b32_e32 v20, 7, v7
	v_lshrrev_b32_e32 v7, 2, v7
	v_cndmask_b32_e32 v18, v25, v18, vcc
	v_cmp_lt_i32_e32 vcc, 5, v20
	v_and_b32_e32 v22, 7, v18
	v_lshrrev_b32_e32 v18, 2, v18
	v_cndmask_b32_e64 v23, 0, 1, vcc
	v_cmp_eq_u32_e32 vcc, 3, v20
	s_nop 1
	v_cndmask_b32_e64 v20, 0, 1, vcc
	v_cmp_lt_i32_e32 vcc, 5, v22
	v_or_b32_e32 v20, v20, v23
	v_add_u32_e32 v7, v7, v20
	v_cndmask_b32_e64 v24, 0, 1, vcc
	v_cmp_eq_u32_e32 vcc, 3, v22
	s_nop 1
	v_cndmask_b32_e64 v22, 0, 1, vcc
	v_or_b32_e32 v22, v22, v24
	v_cmp_gt_i32_e32 vcc, 31, v16
	v_add_u32_e32 v18, v18, v22
	s_nop 0
	v_cndmask_b32_e32 v7, v1, v7, vcc
	v_cmp_gt_i32_e32 vcc, 31, v21
	s_nop 1
	v_cndmask_b32_e32 v1, v1, v18, vcc
	v_cmp_eq_u32_e32 vcc, s3, v16
	s_nop 1
	v_cndmask_b32_e32 v5, v7, v5, vcc
	v_cmp_eq_u32_e32 vcc, s3, v21
	s_nop 1
	v_cndmask_b32_e32 v3, v1, v3, vcc
	v_and_or_b32 v1, v17, s6, v5
	v_and_or_b32 v3, v19, s6, v3
	s_branch .LBB185_1916
.LBB185_1894:
	s_mov_b64 s[0:1], -1
                                        ; implicit-def: $vgpr3
                                        ; implicit-def: $vgpr1
	s_branch .LBB185_1941
.LBB185_1895:
	s_mov_b64 s[2:3], -1
                                        ; implicit-def: $vgpr1
	s_branch .LBB185_1908
.LBB185_1896:
	s_mov_b64 s[0:1], -1
                                        ; implicit-def: $vgpr3
                                        ; implicit-def: $vgpr1
	s_branch .LBB185_1922
.LBB185_1897:
	s_or_saveexec_b64 s[10:11], s[10:11]
	v_mov_b32_e32 v1, 0x7e00
	s_xor_b64 exec, exec, s[10:11]
	s_cbranch_execz .LBB185_1868
.LBB185_1898:
	v_cmp_ne_u16_e32 vcc, 0, v3
	s_andn2_b64 s[6:7], s[6:7], exec
	s_and_b64 s[12:13], vcc, exec
	s_or_b64 s[6:7], s[6:7], s[12:13]
	v_mov_b32_e32 v1, v3
	s_or_b64 exec, exec, s[10:11]
	s_and_saveexec_b64 s[10:11], s[6:7]
	s_cbranch_execnz .LBB185_1869
	s_branch .LBB185_1870
.LBB185_1899:
	s_mov_b64 s[2:3], -1
                                        ; implicit-def: $vgpr1
	s_branch .LBB185_1905
.LBB185_1900:
	s_mov_b64 s[0:1], -1
                                        ; implicit-def: $vgpr3
                                        ; implicit-def: $vgpr1
	s_branch .LBB185_1919
.LBB185_1901:
	s_mov_b64 s[2:3], -1
                                        ; implicit-def: $vgpr1
.LBB185_1902:
	s_and_b64 vcc, exec, s[2:3]
	s_cbranch_vccz .LBB185_1904
; %bb.1903:
	global_load_ubyte v1, v[8:9], off
	s_mov_b32 s2, 0x7f800000
	s_waitcnt vmcnt(0)
	v_lshlrev_b32_e32 v1, 24, v1
	v_and_b32_e32 v3, 0x7f000000, v1
	v_ffbh_u32_e32 v5, v3
	v_min_u32_e32 v5, 32, v5
	v_sub_u32_e64 v5, v5, 4 clamp
	v_lshlrev_b32_e32 v16, v5, v3
	v_lshlrev_b32_e32 v5, 23, v5
	v_lshrrev_b32_e32 v16, 4, v16
	v_add_u32_e32 v7, 0x1000000, v3
	v_sub_u32_e32 v5, v16, v5
	v_ashrrev_i32_e32 v7, 8, v7
	v_add_u32_e32 v5, 0x3c000000, v5
	v_and_or_b32 v5, v7, s2, v5
	v_cmp_ne_u32_e32 vcc, 0, v3
	s_brev_b32 s2, 1
	s_nop 0
	v_cndmask_b32_e32 v3, 0, v5, vcc
	v_and_or_b32 v1, v1, s2, v3
	v_cvt_f16_f32_e32 v1, v1
.LBB185_1904:
	s_mov_b64 s[2:3], 0
.LBB185_1905:
	s_andn2_b64 vcc, exec, s[2:3]
	s_cbranch_vccnz .LBB185_1907
; %bb.1906:
	global_load_ubyte v1, v[8:9], off
	s_movk_i32 s2, 0x7f00
	s_brev_b32 s3, 16
	s_waitcnt vmcnt(0)
	v_lshlrev_b16_e32 v3, 8, v1
	v_lshlrev_b32_e32 v1, 25, v1
	v_lshrrev_b32_e32 v5, 4, v1
	v_and_or_b32 v7, v3, s2, 0.5
	v_or_b32_e32 v5, 0x70000000, v5
	v_add_f32_e32 v7, -0.5, v7
	v_mul_f32_e32 v5, 0x7800000, v5
	v_cmp_gt_u32_e32 vcc, s3, v1
	v_bfe_i32 v3, v3, 0, 16
	s_brev_b32 s2, 1
	v_cndmask_b32_e32 v1, v5, v7, vcc
	v_and_or_b32 v1, v3, s2, v1
	v_cvt_f16_f32_e32 v1, v1
.LBB185_1907:
	s_mov_b64 s[2:3], 0
	s_mov_b64 s[6:7], -1
.LBB185_1908:
	s_andn2_b64 vcc, exec, s[2:3]
	s_mov_b64 s[2:3], 0
	s_cbranch_vccnz .LBB185_1931
; %bb.1909:
	s_cmp_gt_i32 s14, 14
	s_cbranch_scc0 .LBB185_1912
; %bb.1910:
	s_cmp_eq_u32 s14, 15
	s_cbranch_scc0 .LBB185_1927
; %bb.1911:
	global_load_ushort v1, v[8:9], off
	s_mov_b64 s[0:1], 0
	s_mov_b64 s[6:7], -1
	s_waitcnt vmcnt(0)
	v_lshlrev_b32_e32 v1, 16, v1
	v_cvt_f16_f32_e32 v1, v1
	s_branch .LBB185_1928
.LBB185_1912:
	s_mov_b64 s[10:11], -1
                                        ; implicit-def: $vgpr1
	s_branch .LBB185_1929
.LBB185_1913:
	s_or_saveexec_b64 s[6:7], s[6:7]
	v_mov_b32_e32 v1, 0x7e00
	s_xor_b64 exec, exec, s[6:7]
	s_cbranch_execz .LBB185_1881
.LBB185_1914:
	v_cmp_ne_u16_e32 vcc, 0, v3
	s_andn2_b64 s[2:3], s[2:3], exec
	s_and_b64 s[10:11], vcc, exec
	s_or_b64 s[2:3], s[2:3], s[10:11]
	v_mov_b32_e32 v1, v3
	s_or_b64 exec, exec, s[6:7]
	s_and_saveexec_b64 s[6:7], s[2:3]
	s_cbranch_execnz .LBB185_1882
	s_branch .LBB185_1883
.LBB185_1915:
	s_mov_b64 s[0:1], -1
                                        ; implicit-def: $vgpr3
                                        ; implicit-def: $vgpr1
.LBB185_1916:
	s_andn2_b64 vcc, exec, s[0:1]
	s_cbranch_vccnz .LBB185_1918
; %bb.1917:
	global_load_dwordx2 v[16:17], v[8:9], off
	s_waitcnt vmcnt(0)
	v_cvt_f16_f32_e32 v1, v16
	v_cvt_f16_f32_e32 v3, v17
.LBB185_1918:
	s_mov_b64 s[0:1], 0
.LBB185_1919:
	s_andn2_b64 vcc, exec, s[0:1]
	s_cbranch_vccnz .LBB185_1921
; %bb.1920:
	global_load_dword v1, v[8:9], off
	s_waitcnt vmcnt(0)
	v_lshrrev_b32_e32 v3, 16, v1
.LBB185_1921:
	s_mov_b64 s[0:1], 0
.LBB185_1922:
	s_andn2_b64 vcc, exec, s[0:1]
	s_cbranch_vccnz .LBB185_1940
; %bb.1923:
	s_cmp_lt_i32 s2, 6
	s_cbranch_scc1 .LBB185_1926
; %bb.1924:
	s_cmp_gt_i32 s2, 6
	s_cbranch_scc0 .LBB185_1933
; %bb.1925:
	global_load_dwordx2 v[16:17], v[8:9], off
	s_movk_i32 s0, 0x1ff
	s_movk_i32 s1, 0xffe
	v_mov_b32_e32 v1, 0x7c00
	v_mov_b32_e32 v3, 0x7e00
	s_movk_i32 s3, 0x40f
	s_mov_b32 s6, 0x8000
	s_waitcnt vmcnt(0)
	v_and_or_b32 v5, v17, s0, v16
	v_cmp_ne_u32_e32 vcc, 0, v5
	v_lshrrev_b32_e32 v7, 8, v17
	v_bfe_u32 v16, v17, 20, 11
	v_cndmask_b32_e64 v5, 0, 1, vcc
	v_sub_u32_e32 v18, 0x3f1, v16
	v_and_or_b32 v5, v7, s1, v5
	v_add_u32_e32 v16, 0xfffffc10, v16
	v_med3_i32 v7, v18, 0, 13
	v_or_b32_e32 v18, 0x1000, v5
	v_lshl_or_b32 v19, v16, 12, v5
	v_cmp_ne_u32_e32 vcc, 0, v5
	v_lshrrev_b32_e32 v5, v7, v18
	v_lshlrev_b32_e32 v7, v7, v5
	v_cndmask_b32_e32 v3, v1, v3, vcc
	v_cmp_ne_u32_e32 vcc, v7, v18
	v_lshrrev_b32_e32 v17, 16, v17
	s_mov_b64 s[0:1], 0
	v_cndmask_b32_e64 v7, 0, 1, vcc
	v_or_b32_e32 v5, v5, v7
	v_cmp_gt_i32_e32 vcc, 1, v16
	s_nop 1
	v_cndmask_b32_e32 v5, v19, v5, vcc
	v_and_b32_e32 v7, 7, v5
	v_cmp_lt_i32_e32 vcc, 5, v7
	v_lshrrev_b32_e32 v5, 2, v5
	s_nop 0
	v_cndmask_b32_e64 v18, 0, 1, vcc
	v_cmp_eq_u32_e32 vcc, 3, v7
	s_nop 1
	v_cndmask_b32_e64 v7, 0, 1, vcc
	v_or_b32_e32 v7, v7, v18
	v_add_u32_e32 v5, v5, v7
	v_cmp_gt_i32_e32 vcc, 31, v16
	s_nop 1
	v_cndmask_b32_e32 v1, v1, v5, vcc
	v_cmp_eq_u32_e32 vcc, s3, v16
	s_nop 1
	v_cndmask_b32_e32 v1, v1, v3, vcc
	v_and_or_b32 v1, v17, s6, v1
	s_branch .LBB185_1934
.LBB185_1926:
	s_mov_b64 s[0:1], -1
                                        ; implicit-def: $vgpr1
	s_branch .LBB185_1937
.LBB185_1927:
	s_mov_b64 s[0:1], -1
                                        ; implicit-def: $vgpr1
.LBB185_1928:
	s_mov_b64 s[10:11], 0
.LBB185_1929:
	s_and_b64 vcc, exec, s[10:11]
	s_cbranch_vccz .LBB185_1931
; %bb.1930:
	s_cmp_lg_u32 s14, 11
	s_mov_b64 s[2:3], -1
	s_cselect_b64 s[0:1], -1, 0
.LBB185_1931:
	v_mov_b32_e32 v3, 0
	s_and_b64 vcc, exec, s[0:1]
	s_cbranch_vccz .LBB185_1885
.LBB185_1932:
	s_trap 2
	s_or_b64 s[8:9], s[8:9], exec
	s_cbranch_execz .LBB185_1886
	s_branch .LBB185_1887
.LBB185_1933:
	s_mov_b64 s[0:1], -1
                                        ; implicit-def: $vgpr1
.LBB185_1934:
	s_andn2_b64 vcc, exec, s[0:1]
	s_cbranch_vccnz .LBB185_1936
; %bb.1935:
	global_load_dword v1, v[8:9], off
	s_waitcnt vmcnt(0)
	v_cvt_f16_f32_e32 v1, v1
.LBB185_1936:
	s_mov_b64 s[0:1], 0
.LBB185_1937:
	s_andn2_b64 vcc, exec, s[0:1]
	s_cbranch_vccnz .LBB185_1939
; %bb.1938:
	global_load_ushort v1, v[8:9], off
.LBB185_1939:
	v_mov_b32_e32 v3, 0
.LBB185_1940:
	s_mov_b64 s[0:1], 0
.LBB185_1941:
	s_andn2_b64 vcc, exec, s[0:1]
	s_cbranch_vccnz .LBB185_1962
; %bb.1942:
	s_cmp_lt_i32 s2, 2
	s_cbranch_scc1 .LBB185_1946
; %bb.1943:
	s_cmp_lt_i32 s2, 3
	s_cbranch_scc1 .LBB185_1947
; %bb.1944:
	s_cmp_gt_i32 s2, 3
	s_cbranch_scc0 .LBB185_1948
; %bb.1945:
	global_load_dwordx2 v[16:17], v[8:9], off
	s_mov_b64 s[0:1], 0
	s_waitcnt vmcnt(0)
	v_xor_b32_e32 v3, v16, v17
	v_ffbh_i32_e32 v1, v17
	v_ashrrev_i32_e32 v3, 31, v3
	v_add_u32_e32 v1, -1, v1
	v_add_u32_e32 v3, 32, v3
	v_min_u32_e32 v1, v1, v3
	v_lshlrev_b64 v[16:17], v1, v[16:17]
	v_min_u32_e32 v3, 1, v16
	v_or_b32_e32 v3, v17, v3
	v_cvt_f32_i32_e32 v3, v3
	v_sub_u32_e32 v1, 32, v1
	v_ldexp_f32 v1, v3, v1
	v_cvt_f16_f32_e32 v1, v1
	s_branch .LBB185_1949
.LBB185_1946:
	s_mov_b64 s[0:1], -1
                                        ; implicit-def: $vgpr1
	s_branch .LBB185_1955
.LBB185_1947:
	s_mov_b64 s[0:1], -1
                                        ; implicit-def: $vgpr1
	s_branch .LBB185_1952
.LBB185_1948:
	s_mov_b64 s[0:1], -1
                                        ; implicit-def: $vgpr1
.LBB185_1949:
	s_andn2_b64 vcc, exec, s[0:1]
	s_cbranch_vccnz .LBB185_1951
; %bb.1950:
	global_load_dword v1, v[8:9], off
	s_waitcnt vmcnt(0)
	v_cvt_f32_i32_e32 v1, v1
	v_cvt_f16_f32_e32 v1, v1
.LBB185_1951:
	s_mov_b64 s[0:1], 0
.LBB185_1952:
	s_andn2_b64 vcc, exec, s[0:1]
	s_cbranch_vccnz .LBB185_1954
; %bb.1953:
	global_load_ushort v1, v[8:9], off
	s_waitcnt vmcnt(0)
	v_cvt_f16_i16_e32 v1, v1
.LBB185_1954:
	s_mov_b64 s[0:1], 0
.LBB185_1955:
	s_andn2_b64 vcc, exec, s[0:1]
	s_cbranch_vccnz .LBB185_1961
; %bb.1956:
	s_cmp_gt_i32 s2, 0
	s_cbranch_scc0 .LBB185_1958
; %bb.1957:
	global_load_sbyte v1, v[8:9], off
	s_mov_b64 s[0:1], 0
	s_waitcnt vmcnt(0)
	v_cvt_f16_i16_e32 v1, v1
	s_branch .LBB185_1959
.LBB185_1958:
	s_mov_b64 s[0:1], -1
                                        ; implicit-def: $vgpr1
.LBB185_1959:
	s_andn2_b64 vcc, exec, s[0:1]
	s_cbranch_vccnz .LBB185_1961
; %bb.1960:
	global_load_ubyte v1, v[8:9], off
	s_waitcnt vmcnt(0)
	v_cvt_f16_u16_e32 v1, v1
.LBB185_1961:
	v_mov_b32_e32 v3, 0
.LBB185_1962:
	s_mov_b64 s[6:7], -1
.LBB185_1963:
	s_andn2_b64 vcc, exec, s[6:7]
	s_cbranch_vccnz .LBB185_2435
; %bb.1964:
	v_cvt_f32_f16_e32 v17, v3
	s_waitcnt vmcnt(0)
	v_cmp_neq_f16_e32 vcc, 0, v1
	v_cmp_neq_f16_e64 s[0:1], 0, v3
	s_or_b64 s[0:1], vcc, s[0:1]
	v_mov_b32_e32 v16, 0
	s_and_saveexec_b64 s[6:7], s[0:1]
	s_cbranch_execz .LBB185_1994
; %bb.1965:
	v_mov_b32_e32 v16, 0x7f800000
	v_cmp_neq_f32_e64 s[0:1], |v17|, v16
	s_and_saveexec_b64 s[10:11], s[0:1]
	s_cbranch_execz .LBB185_1993
; %bb.1966:
	v_cvt_f32_f16_e32 v3, v1
	v_cmp_o_f16_e32 vcc, v1, v1
	s_and_saveexec_b64 s[0:1], vcc
	s_xor_b64 s[12:13], exec, s[0:1]
	s_cbranch_execz .LBB185_1990
; %bb.1967:
	s_mov_b32 s0, 0x7f800000
	v_cmp_neq_f32_e64 s[0:1], |v3|, s0
	s_and_saveexec_b64 s[2:3], s[0:1]
	s_xor_b64 s[14:15], exec, s[2:3]
	s_cbranch_execz .LBB185_1983
; %bb.1968:
	v_max_f32_e64 v1, |v17|, |v17|
	v_max_f32_e64 v5, |v3|, |v3|
	v_max_f32_e32 v1, v5, v1
	s_mov_b32 s0, 0x7ed413cb
	v_cmp_nle_f32_e64 s[0:1], s0, v1
                                        ; implicit-def: $sgpr16_sgpr17
	s_and_saveexec_b64 s[2:3], s[0:1]
	s_xor_b64 s[2:3], exec, s[2:3]
	s_cbranch_execz .LBB185_1972
; %bb.1969:
	s_mov_b32 s18, 0x1000000
	v_cmp_le_f32_e64 s[16:17], |v3|, s18
	v_cmp_le_f32_e64 s[18:19], |v17|, s18
	s_and_b64 s[20:21], s[16:17], s[18:19]
	s_mov_b64 s[16:17], 0
	s_and_saveexec_b64 s[18:19], s[20:21]
; %bb.1970:
	s_mov_b64 s[16:17], exec
	v_mul_f32_e32 v17, 4.0, v17
	v_mul_f32_e32 v3, 4.0, v3
; %bb.1971:
	s_or_b64 exec, exec, s[18:19]
.LBB185_1972:
	s_andn2_saveexec_b64 s[2:3], s[2:3]
; %bb.1973:
	v_mul_f32_e32 v3, 0x3e800000, v3
	v_mul_f32_e32 v17, 0x3e800000, v17
	s_andn2_b64 s[16:17], s[16:17], exec
; %bb.1974:
	s_or_b64 exec, exec, s[2:3]
	v_max_f32_e64 v1, |v17|, |v17|
	v_max_f32_e64 v5, |v3|, |v3|
	v_max_f32_e32 v1, v5, v1
	v_cvt_f64_f32_e32 v[8:9], v1
	v_frexp_exp_i32_f64_e32 v5, v[8:9]
	v_sub_u32_e32 v7, 0, v5
	v_ldexp_f32 v8, |v3|, v7
	v_ldexp_f32 v7, |v17|, v7
	v_mul_f32_e32 v7, v7, v7
	v_fmac_f32_e32 v7, v8, v8
	v_sqrt_f32_e32 v7, v7
	s_mov_b32 s2, 0x7f800000
	v_cmp_neq_f32_e64 s[2:3], s2, v1
	v_cmp_le_f32_e32 vcc, 0, v3
	v_ldexp_f32 v5, v7, v5
	v_mov_b32_e32 v7, 0x7f800000
	v_cndmask_b32_e64 v1, v7, v5, s[2:3]
                                        ; implicit-def: $vgpr8_vgpr9
	s_and_saveexec_b64 s[2:3], vcc
	s_xor_b64 s[18:19], exec, s[2:3]
	s_cbranch_execz .LBB185_1976
; %bb.1975:
	v_add_f32_e32 v1, v3, v1
	v_mul_f32_e32 v1, 0.5, v1
	s_mov_b32 s2, 0xf800000
	v_mul_f32_e32 v3, 0x4f800000, v1
	v_cmp_gt_f32_e32 vcc, s2, v1
	s_nop 1
	v_cndmask_b32_e32 v1, v1, v3, vcc
	v_sqrt_f32_e32 v3, v1
	s_nop 0
	v_add_u32_e32 v5, -1, v3
	v_fma_f32 v7, -v5, v3, v1
	v_cmp_ge_f32_e64 s[2:3], 0, v7
	v_add_u32_e32 v7, 1, v3
	s_nop 0
	v_cndmask_b32_e64 v5, v3, v5, s[2:3]
	v_fma_f32 v3, -v7, v3, v1
	v_cmp_lt_f32_e64 s[2:3], 0, v3
	s_nop 1
	v_cndmask_b32_e64 v3, v5, v7, s[2:3]
	v_mul_f32_e32 v5, 0x37800000, v3
	v_cndmask_b32_e32 v3, v3, v5, vcc
	v_mov_b32_e32 v5, 0x260
	v_cmp_class_f32_e32 vcc, v1, v5
	s_nop 1
	v_cndmask_b32_e32 v8, v3, v1, vcc
	v_add_f32_e32 v1, v8, v8
	v_div_scale_f32 v3, s[2:3], v1, v1, v17
	v_rcp_f32_e32 v5, v3
	s_nop 0
	v_fma_f32 v7, -v3, v5, 1.0
	v_fmac_f32_e32 v5, v7, v5
	v_div_scale_f32 v7, vcc, v17, v1, v17
	v_mul_f32_e32 v9, v7, v5
	v_fma_f32 v16, -v3, v9, v7
	v_fmac_f32_e32 v9, v16, v5
	v_fma_f32 v3, -v3, v9, v7
	v_div_fmas_f32 v3, v3, v5, v9
	v_div_fixup_f32 v9, v3, v1, v17
                                        ; implicit-def: $vgpr1
                                        ; implicit-def: $vgpr3
                                        ; implicit-def: $vgpr17
	s_andn2_saveexec_b64 s[18:19], s[18:19]
	s_cbranch_execz .LBB185_1978
	s_branch .LBB185_1977
.LBB185_1976:
	s_andn2_saveexec_b64 s[18:19], s[18:19]
	s_cbranch_execz .LBB185_1978
.LBB185_1977:
	v_sub_f32_e32 v1, v1, v3
	v_mul_f32_e32 v1, 0.5, v1
	s_mov_b32 s2, 0xf800000
	v_mul_f32_e32 v3, 0x4f800000, v1
	v_cmp_gt_f32_e32 vcc, s2, v1
	s_nop 1
	v_cndmask_b32_e32 v1, v1, v3, vcc
	v_sqrt_f32_e32 v3, v1
	s_nop 0
	v_add_u32_e32 v5, -1, v3
	v_fma_f32 v7, -v5, v3, v1
	v_cmp_ge_f32_e64 s[2:3], 0, v7
	v_add_u32_e32 v7, 1, v3
	s_nop 0
	v_cndmask_b32_e64 v5, v3, v5, s[2:3]
	v_fma_f32 v3, -v7, v3, v1
	v_cmp_lt_f32_e64 s[2:3], 0, v3
	s_nop 1
	v_cndmask_b32_e64 v3, v5, v7, s[2:3]
	v_mul_f32_e32 v5, 0x37800000, v3
	v_cndmask_b32_e32 v3, v3, v5, vcc
	v_mov_b32_e32 v5, 0x260
	v_cmp_class_f32_e32 vcc, v1, v5
	v_and_b32_e32 v5, 0x7fffffff, v17
	s_nop 0
	v_cndmask_b32_e32 v1, v3, v1, vcc
	v_add_f32_e32 v3, v1, v1
	v_div_scale_f32 v7, s[2:3], v3, v3, v5
	v_rcp_f32_e32 v8, v7
	v_div_scale_f32 v5, vcc, v5, v3, v5
	s_brev_b32 s2, -2
	v_fma_f32 v9, -v7, v8, 1.0
	v_fmac_f32_e32 v8, v9, v8
	v_mul_f32_e32 v9, v5, v8
	v_fma_f32 v16, -v7, v9, v5
	v_fmac_f32_e32 v9, v16, v8
	v_fma_f32 v5, -v7, v9, v5
	v_div_fmas_f32 v5, v5, v8, v9
	v_div_fixup_f32 v8, v5, v3, |v17|
	v_bfi_b32 v9, s2, v1, v17
.LBB185_1978:
	s_or_b64 exec, exec, s[18:19]
                                        ; implicit-def: $vgpr17
	s_and_saveexec_b64 s[2:3], s[0:1]
	s_xor_b64 s[0:1], exec, s[2:3]
	s_cbranch_execz .LBB185_1980
; %bb.1979:
	v_pk_mul_f32 v[16:17], v[8:9], 0.5 op_sel_hi:[1,0]
	s_nop 0
	v_cndmask_b32_e64 v16, v8, v16, s[16:17]
	v_cndmask_b32_e64 v17, v9, v17, s[16:17]
                                        ; implicit-def: $vgpr8_vgpr9
	s_andn2_saveexec_b64 s[0:1], s[0:1]
	s_cbranch_execnz .LBB185_1981
	s_branch .LBB185_1982
.LBB185_1980:
	s_andn2_saveexec_b64 s[0:1], s[0:1]
.LBB185_1981:
	v_pk_add_f32 v[16:17], v[8:9], v[8:9]
.LBB185_1982:
	s_or_b64 exec, exec, s[0:1]
                                        ; implicit-def: $vgpr3
                                        ; implicit-def: $vgpr1
.LBB185_1983:
	s_andn2_saveexec_b64 s[0:1], s[14:15]
	s_cbranch_execz .LBB185_1989
; %bb.1984:
	v_cmp_lt_i16_e32 vcc, -1, v1
	v_sub_f32_e32 v1, v17, v17
	s_brev_b32 s14, -2
	v_and_b32_e32 v16, 0x7fffffff, v1
	s_and_saveexec_b64 s[2:3], vcc
	s_xor_b64 s[2:3], exec, s[2:3]
; %bb.1985:
	v_bfi_b32 v17, s14, v1, v17
	v_mov_b32_e32 v16, v3
; %bb.1986:
	s_andn2_saveexec_b64 s[2:3], s[2:3]
; %bb.1987:
	v_bfi_b32 v17, s14, v3, v17
; %bb.1988:
	s_or_b64 exec, exec, s[2:3]
.LBB185_1989:
	s_or_b64 exec, exec, s[0:1]
                                        ; implicit-def: $vgpr3
.LBB185_1990:
	s_andn2_saveexec_b64 s[0:1], s[12:13]
	s_cbranch_execz .LBB185_1992
; %bb.1991:
	v_sub_f32_e32 v1, v17, v17
	v_div_scale_f32 v5, vcc, v1, v1, v1
	v_rcp_f32_e32 v7, v5
	v_mov_b32_e32 v16, v3
	v_fma_f32 v8, -v5, v7, 1.0
	v_fmac_f32_e32 v7, v8, v7
	v_mul_f32_e32 v8, v5, v7
	v_fma_f32 v9, -v5, v8, v5
	v_fmac_f32_e32 v8, v9, v7
	v_fma_f32 v5, -v5, v8, v5
	v_div_fmas_f32 v5, v5, v7, v8
	v_div_fixup_f32 v17, v5, v1, v1
.LBB185_1992:
	s_or_b64 exec, exec, s[0:1]
.LBB185_1993:
	s_or_b64 exec, exec, s[10:11]
.LBB185_1994:
	s_or_b64 exec, exec, s[6:7]
	v_cmp_gt_f32_e32 vcc, 0, v17
                                        ; implicit-def: $vgpr8_vgpr9
	s_nop 1
	v_cndmask_b32_e64 v3, v17, -v17, vcc
	v_cmp_gt_f32_e32 vcc, 0, v16
	s_nop 1
	v_cndmask_b32_e64 v1, v16, -v16, vcc
	v_cmp_ge_f32_e32 vcc, v1, v3
	s_and_saveexec_b64 s[0:1], vcc
	s_xor_b64 s[2:3], exec, s[0:1]
	s_cbranch_execz .LBB185_2000
; %bb.1995:
	v_cmp_neq_f32_e32 vcc, 0, v16
	v_cmp_neq_f32_e64 s[0:1], 0, v17
	s_or_b64 s[0:1], vcc, s[0:1]
                                        ; implicit-def: $vgpr8_vgpr9
	s_and_saveexec_b64 s[6:7], s[0:1]
	s_xor_b64 s[0:1], exec, s[6:7]
	s_cbranch_execz .LBB185_1997
; %bb.1996:
	v_div_scale_f32 v1, s[6:7], v16, v16, v17
	v_rcp_f32_e32 v3, v1
	v_div_scale_f32 v5, vcc, v17, v16, v17
	v_fma_f32 v7, -v1, v3, 1.0
	v_fmac_f32_e32 v3, v7, v3
	v_mul_f32_e32 v7, v5, v3
	v_fma_f32 v8, -v1, v7, v5
	v_fmac_f32_e32 v7, v8, v3
	v_fma_f32 v1, -v1, v7, v5
	v_div_fmas_f32 v1, v1, v3, v7
	v_div_fixup_f32 v1, v1, v16, v17
	v_fmac_f32_e32 v16, v17, v1
	v_div_scale_f32 v3, s[6:7], v16, v16, 1.0
	v_rcp_f32_e32 v5, v3
	v_sub_f32_e32 v17, 0, v1
	v_fma_f32 v7, -v3, v5, 1.0
	v_fmac_f32_e32 v5, v7, v5
	v_div_scale_f32 v7, vcc, 1.0, v16, 1.0
	v_mul_f32_e32 v8, v7, v5
	v_fma_f32 v9, -v3, v8, v7
	v_fmac_f32_e32 v8, v9, v5
	v_fma_f32 v3, -v3, v8, v7
	v_div_fmas_f32 v3, v3, v5, v8
	v_div_fixup_f32 v8, v3, v16, 1.0
	v_mul_f32_e32 v3, 0, v1
	v_add_f32_e32 v16, 1.0, v3
	v_pk_mul_f32 v[8:9], v[16:17], v[8:9] op_sel_hi:[1,0]
                                        ; implicit-def: $vgpr3
                                        ; implicit-def: $vgpr1
.LBB185_1997:
	s_andn2_saveexec_b64 s[0:1], s[0:1]
	s_cbranch_execz .LBB185_1999
; %bb.1998:
	v_div_scale_f32 v5, s[6:7], v3, v3, 0
	v_rcp_f32_e32 v7, v5
	v_div_scale_f32 v8, vcc, 0, v3, 0
	v_fma_f32 v9, -v5, v7, 1.0
	v_fmac_f32_e32 v7, v9, v7
	v_mul_f32_e32 v9, v8, v7
	v_fma_f32 v16, -v5, v9, v8
	v_fmac_f32_e32 v9, v16, v7
	v_fma_f32 v5, -v5, v9, v8
	v_div_scale_f32 v8, s[6:7], v1, v1, 1.0
	v_rcp_f32_e32 v16, v8
	v_div_fmas_f32 v5, v5, v7, v9
	v_div_fixup_f32 v9, v5, v3, 0
	v_fma_f32 v3, -v8, v16, 1.0
	v_fmac_f32_e32 v16, v3, v16
	v_div_scale_f32 v3, vcc, 1.0, v1, 1.0
	v_mul_f32_e32 v5, v3, v16
	v_fma_f32 v7, -v8, v5, v3
	v_fmac_f32_e32 v5, v7, v16
	v_fma_f32 v3, -v8, v5, v3
	v_div_fmas_f32 v3, v3, v16, v5
	v_div_fixup_f32 v8, v3, v1, 1.0
.LBB185_1999:
	s_or_b64 exec, exec, s[0:1]
                                        ; implicit-def: $vgpr17
.LBB185_2000:
	s_andn2_saveexec_b64 s[0:1], s[2:3]
	s_cbranch_execz .LBB185_2002
; %bb.2001:
	v_div_scale_f32 v1, s[2:3], v17, v17, v16
	v_rcp_f32_e32 v3, v1
	v_div_scale_f32 v5, vcc, v16, v17, v16
	v_fma_f32 v7, -v1, v3, 1.0
	v_fmac_f32_e32 v3, v7, v3
	v_mul_f32_e32 v7, v5, v3
	v_fma_f32 v8, -v1, v7, v5
	v_fmac_f32_e32 v7, v8, v3
	v_fma_f32 v1, -v1, v7, v5
	v_div_fmas_f32 v1, v1, v3, v7
	v_div_fixup_f32 v8, v1, v17, v16
	v_fmac_f32_e32 v17, v16, v8
	v_div_scale_f32 v1, s[2:3], v17, v17, 1.0
	v_rcp_f32_e32 v3, v1
	s_mov_b32 s2, 0
	s_mov_b32 s3, -1.0
	v_fma_f32 v5, -v1, v3, 1.0
	v_fmac_f32_e32 v3, v5, v3
	v_div_scale_f32 v5, vcc, 1.0, v17, 1.0
	v_mul_f32_e32 v7, v5, v3
	v_fma_f32 v9, -v1, v7, v5
	v_fmac_f32_e32 v7, v9, v3
	v_fma_f32 v1, -v1, v7, v5
	v_div_fmas_f32 v1, v1, v3, v7
	v_mul_f32_e32 v9, 0, v8
	v_div_fixup_f32 v16, v1, v17, 1.0
	v_pk_add_f32 v[8:9], v[8:9], s[2:3]
	s_nop 0
	v_pk_mul_f32 v[8:9], v[8:9], v[16:17] op_sel_hi:[1,0]
.LBB185_2002:
	s_or_b64 exec, exec, s[0:1]
	v_cvt_f16_f32_e32 v5, v11
	v_cvt_f16_f32_e32 v1, v10
	s_bfe_u32 s14, s22, 0x80008
	v_mov_b32_e32 v7, 0
	v_lshlrev_b32_e32 v3, 16, v5
	v_or_b32_e32 v3, v3, v1
	s_cmp_lt_i32 s14, 11
	v_lshl_add_u64 v[6:7], s[4:5], 0, v[6:7]
	s_cbranch_scc1 .LBB185_2080
; %bb.2003:
	s_and_b32 s15, 0xffff, s14
	s_mov_b64 s[10:11], -1
	s_mov_b64 s[2:3], 0
	s_cmp_gt_i32 s15, 25
	s_mov_b64 s[6:7], 0
	s_mov_b64 s[0:1], 0
	s_cbranch_scc0 .LBB185_2036
; %bb.2004:
	s_cmp_gt_i32 s15, 28
	s_cbranch_scc0 .LBB185_2019
; %bb.2005:
	s_cmp_gt_i32 s15, 43
	;; [unrolled: 3-line block ×3, first 2 shown]
	s_cbranch_scc0 .LBB185_2009
; %bb.2007:
	s_mov_b64 s[0:1], -1
	s_mov_b64 s[10:11], 0
	s_cmp_eq_u32 s15, 46
	s_cbranch_scc0 .LBB185_2009
; %bb.2008:
	v_cvt_f32_f16_e32 v11, v5
	v_cvt_f32_f16_e32 v10, v1
	s_movk_i32 s0, 0x7fff
	v_cmp_o_f16_e32 vcc, v5, v5
	v_bfe_u32 v17, v11, 16, 1
	v_bfe_u32 v16, v10, 16, 1
	v_add3_u32 v11, v11, v17, s0
	v_add3_u32 v10, v10, v16, s0
	v_and_b32_e32 v11, 0xffff0000, v11
	v_mov_b32_e32 v16, 0x7fc00000
	v_cndmask_b32_e32 v11, v16, v11, vcc
	v_cmp_o_f16_e32 vcc, v1, v1
	v_mov_b32_e32 v16, 0x7fc0
	s_mov_b64 s[0:1], 0
	v_cndmask_b32_sdwa v10, v16, v10, vcc dst_sel:DWORD dst_unused:UNUSED_PAD src0_sel:DWORD src1_sel:WORD_1
	v_or_b32_e32 v10, v11, v10
	global_store_dword v[6:7], v10, off
	s_mov_b64 s[6:7], -1
.LBB185_2009:
	s_and_b64 vcc, exec, s[10:11]
	s_cbranch_vccz .LBB185_2014
; %bb.2010:
	s_cmp_eq_u32 s15, 44
	s_mov_b64 s[0:1], -1
	s_cbranch_scc0 .LBB185_2014
; %bb.2011:
	v_cvt_f32_f16_e32 v10, v1
	s_movk_i32 s0, 0xff
	v_mov_b32_e32 v16, 0xff
	v_bfe_u32 v11, v10, 23, 8
	v_cmp_ne_u32_e32 vcc, s0, v11
	s_and_saveexec_b64 s[6:7], vcc
; %bb.2012:
	s_mov_b32 s0, 0x3fffff
	v_lshrrev_b32_e32 v16, 23, v10
	v_and_b32_e32 v17, 0x400000, v10
	v_and_or_b32 v10, v10, s0, v11
	v_cmp_ne_u32_e32 vcc, 0, v17
	v_cmp_ne_u32_e64 s[0:1], 0, v10
	s_and_b64 s[0:1], vcc, s[0:1]
	s_nop 0
	v_cndmask_b32_e64 v10, 0, 1, s[0:1]
	v_add_u32_e32 v16, v16, v10
; %bb.2013:
	s_or_b64 exec, exec, s[6:7]
	s_mov_b64 s[0:1], 0
	s_mov_b64 s[6:7], -1
	global_store_byte v[6:7], v16, off
.LBB185_2014:
	s_mov_b64 s[10:11], 0
.LBB185_2015:
	s_and_b64 vcc, exec, s[10:11]
	s_cbranch_vccz .LBB185_2018
; %bb.2016:
	s_cmp_eq_u32 s15, 29
	s_mov_b64 s[0:1], -1
	s_cbranch_scc0 .LBB185_2018
; %bb.2017:
	v_cvt_f32_f16_e32 v10, v1
	v_mov_b32_e32 v11, 0
	s_mov_b64 s[0:1], 0
	s_mov_b64 s[6:7], -1
	v_cvt_u32_f32_e32 v10, v10
	global_store_dwordx2 v[6:7], v[10:11], off
.LBB185_2018:
	s_mov_b64 s[10:11], 0
.LBB185_2019:
	s_and_b64 vcc, exec, s[10:11]
	s_cbranch_vccz .LBB185_2035
; %bb.2020:
	s_cmp_lt_i32 s15, 27
	s_mov_b64 s[6:7], -1
	s_cbranch_scc1 .LBB185_2026
; %bb.2021:
	s_cmp_gt_i32 s15, 27
	s_cbranch_scc0 .LBB185_2023
; %bb.2022:
	v_cvt_f32_f16_e32 v10, v1
	s_mov_b64 s[6:7], 0
	v_cvt_u32_f32_e32 v10, v10
	global_store_dword v[6:7], v10, off
.LBB185_2023:
	s_andn2_b64 vcc, exec, s[6:7]
	s_cbranch_vccnz .LBB185_2025
; %bb.2024:
	v_cvt_u16_f16_e32 v10, v1
	global_store_short v[6:7], v10, off
.LBB185_2025:
	s_mov_b64 s[6:7], 0
.LBB185_2026:
	s_andn2_b64 vcc, exec, s[6:7]
	s_cbranch_vccnz .LBB185_2034
; %bb.2027:
	v_cvt_f32_f16_e32 v10, v1
	s_mov_b32 s6, 0x43800000
	v_mov_b32_e32 v16, 0x80
	v_and_b32_e32 v11, 0x7fffffff, v10
	v_cmp_gt_u32_e32 vcc, s6, v11
	s_and_saveexec_b64 s[6:7], vcc
	s_cbranch_execz .LBB185_2033
; %bb.2028:
	s_mov_b32 s10, 0x3bffffff
	v_cmp_lt_u32_e32 vcc, s10, v11
	s_mov_b64 s[10:11], 0
                                        ; implicit-def: $vgpr11
	s_and_saveexec_b64 s[12:13], vcc
	s_xor_b64 s[12:13], exec, s[12:13]
	s_cbranch_execz .LBB185_2482
; %bb.2029:
	v_bfe_u32 v11, v10, 20, 1
	s_mov_b32 s16, 0x487ffff
	v_add3_u32 v11, v10, v11, s16
	s_mov_b64 s[10:11], exec
	v_lshrrev_b32_e32 v11, 20, v11
	s_andn2_saveexec_b64 s[12:13], s[12:13]
	s_cbranch_execnz .LBB185_2483
.LBB185_2030:
	s_or_b64 exec, exec, s[12:13]
	v_mov_b32_e32 v16, 0
	s_and_saveexec_b64 s[12:13], s[10:11]
.LBB185_2031:
	v_lshrrev_b32_e32 v10, 24, v10
	s_movk_i32 s10, 0x80
	v_and_or_b32 v16, v10, s10, v11
.LBB185_2032:
	s_or_b64 exec, exec, s[12:13]
.LBB185_2033:
	s_or_b64 exec, exec, s[6:7]
	global_store_byte v[6:7], v16, off
.LBB185_2034:
	s_mov_b64 s[6:7], -1
.LBB185_2035:
	s_mov_b64 s[10:11], 0
.LBB185_2036:
	s_and_b64 vcc, exec, s[10:11]
	s_cbranch_vccz .LBB185_2076
; %bb.2037:
	s_cmp_gt_i32 s15, 22
	s_mov_b64 s[2:3], -1
	s_cbranch_scc0 .LBB185_2069
; %bb.2038:
	s_cmp_lt_i32 s15, 24
	s_cbranch_scc1 .LBB185_2058
; %bb.2039:
	s_cmp_gt_i32 s15, 24
	s_cbranch_scc0 .LBB185_2047
; %bb.2040:
	v_cvt_f32_f16_e32 v10, v1
	s_mov_b32 s2, 0x47800000
	v_mov_b32_e32 v16, 0x80
	v_and_b32_e32 v11, 0x7fffffff, v10
	v_cmp_gt_u32_e32 vcc, s2, v11
	s_and_saveexec_b64 s[2:3], vcc
	s_cbranch_execz .LBB185_2046
; %bb.2041:
	s_mov_b32 s6, 0x37ffffff
	v_cmp_lt_u32_e32 vcc, s6, v11
	s_mov_b64 s[6:7], 0
                                        ; implicit-def: $vgpr11
	s_and_saveexec_b64 s[10:11], vcc
	s_xor_b64 s[10:11], exec, s[10:11]
	s_cbranch_execz .LBB185_2485
; %bb.2042:
	v_bfe_u32 v11, v10, 21, 1
	s_mov_b32 s12, 0x88fffff
	v_add3_u32 v11, v10, v11, s12
	s_mov_b64 s[6:7], exec
	v_lshrrev_b32_e32 v11, 21, v11
	s_andn2_saveexec_b64 s[10:11], s[10:11]
	s_cbranch_execnz .LBB185_2486
.LBB185_2043:
	s_or_b64 exec, exec, s[10:11]
	v_mov_b32_e32 v16, 0
	s_and_saveexec_b64 s[10:11], s[6:7]
.LBB185_2044:
	v_lshrrev_b32_e32 v10, 24, v10
	s_movk_i32 s6, 0x80
	v_and_or_b32 v16, v10, s6, v11
.LBB185_2045:
	s_or_b64 exec, exec, s[10:11]
.LBB185_2046:
	s_or_b64 exec, exec, s[2:3]
	s_mov_b64 s[2:3], 0
	global_store_byte v[6:7], v16, off
.LBB185_2047:
	s_and_b64 vcc, exec, s[2:3]
	s_cbranch_vccz .LBB185_2057
; %bb.2048:
	v_cvt_f32_f16_e32 v10, v1
	s_mov_b32 s2, 0x43f00000
                                        ; implicit-def: $vgpr11
	v_and_b32_e32 v16, 0x7fffffff, v10
	v_cmp_gt_u32_e32 vcc, s2, v16
	s_and_saveexec_b64 s[2:3], vcc
	s_xor_b64 s[2:3], exec, s[2:3]
	s_cbranch_execz .LBB185_2054
; %bb.2049:
	s_mov_b32 s6, 0x3c7fffff
	v_cmp_lt_u32_e32 vcc, s6, v16
                                        ; implicit-def: $vgpr11
	s_and_saveexec_b64 s[6:7], vcc
	s_xor_b64 s[6:7], exec, s[6:7]
; %bb.2050:
	v_bfe_u32 v11, v10, 20, 1
	s_mov_b32 s10, 0x407ffff
	v_add3_u32 v11, v10, v11, s10
	v_lshrrev_b32_e32 v16, 20, v11
	v_and_b32_e32 v11, 0xff00000, v11
	s_mov_b32 s10, 0x7f00000
	v_mov_b32_e32 v17, 0x7e
	v_cmp_ne_u32_e32 vcc, s10, v11
	s_nop 1
	v_cndmask_b32_e32 v11, v17, v16, vcc
; %bb.2051:
	s_andn2_saveexec_b64 s[6:7], s[6:7]
; %bb.2052:
	s_mov_b32 s10, 0x46800000
	v_add_f32_e64 v11, |v10|, s10
; %bb.2053:
	s_or_b64 exec, exec, s[6:7]
                                        ; implicit-def: $vgpr16
.LBB185_2054:
	s_andn2_saveexec_b64 s[2:3], s[2:3]
; %bb.2055:
	s_mov_b32 s6, 0x7f800000
	v_mov_b32_e32 v11, 0x7e
	v_mov_b32_e32 v17, 0x7f
	v_cmp_lt_u32_e32 vcc, s6, v16
	s_nop 1
	v_cndmask_b32_e32 v11, v11, v17, vcc
; %bb.2056:
	s_or_b64 exec, exec, s[2:3]
	v_lshrrev_b32_e32 v10, 24, v10
	s_movk_i32 s2, 0x80
	v_and_or_b32 v10, v10, s2, v11
	global_store_byte v[6:7], v10, off
.LBB185_2057:
	s_mov_b64 s[2:3], 0
.LBB185_2058:
	s_andn2_b64 vcc, exec, s[2:3]
	s_cbranch_vccnz .LBB185_2068
; %bb.2059:
	v_cvt_f32_f16_e32 v10, v1
	s_mov_b32 s2, 0x47800000
                                        ; implicit-def: $vgpr11
	v_and_b32_e32 v16, 0x7fffffff, v10
	v_cmp_gt_u32_e32 vcc, s2, v16
	s_and_saveexec_b64 s[2:3], vcc
	s_xor_b64 s[2:3], exec, s[2:3]
	s_cbranch_execz .LBB185_2065
; %bb.2060:
	s_mov_b32 s6, 0x387fffff
	v_cmp_lt_u32_e32 vcc, s6, v16
                                        ; implicit-def: $vgpr11
	s_and_saveexec_b64 s[6:7], vcc
	s_xor_b64 s[6:7], exec, s[6:7]
; %bb.2061:
	v_bfe_u32 v11, v10, 21, 1
	s_mov_b32 s10, 0x80fffff
	v_add3_u32 v11, v10, v11, s10
	v_lshrrev_b32_e32 v11, 21, v11
; %bb.2062:
	s_andn2_saveexec_b64 s[6:7], s[6:7]
; %bb.2063:
	s_mov_b32 s10, 0x43000000
	v_add_f32_e64 v11, |v10|, s10
; %bb.2064:
	s_or_b64 exec, exec, s[6:7]
                                        ; implicit-def: $vgpr16
.LBB185_2065:
	s_andn2_saveexec_b64 s[2:3], s[2:3]
; %bb.2066:
	s_mov_b32 s6, 0x7f800000
	v_mov_b32_e32 v11, 0x7c
	v_mov_b32_e32 v17, 0x7f
	v_cmp_lt_u32_e32 vcc, s6, v16
	s_nop 1
	v_cndmask_b32_e32 v11, v11, v17, vcc
; %bb.2067:
	s_or_b64 exec, exec, s[2:3]
	v_lshrrev_b32_e32 v10, 24, v10
	s_movk_i32 s2, 0x80
	v_and_or_b32 v10, v10, s2, v11
	global_store_byte v[6:7], v10, off
.LBB185_2068:
	s_mov_b64 s[2:3], 0
	s_mov_b64 s[6:7], -1
.LBB185_2069:
	s_andn2_b64 vcc, exec, s[2:3]
	s_mov_b64 s[2:3], 0
	s_cbranch_vccnz .LBB185_2076
; %bb.2070:
	s_cmp_gt_i32 s15, 14
	s_mov_b64 s[10:11], -1
	s_cbranch_scc0 .LBB185_2074
; %bb.2071:
	s_cmp_eq_u32 s15, 15
	s_mov_b64 s[0:1], -1
	s_cbranch_scc0 .LBB185_2073
; %bb.2072:
	v_cvt_f32_f16_e32 v10, v1
	s_movk_i32 s0, 0x7fff
	v_cmp_o_f16_e32 vcc, v1, v1
	v_mov_b32_e32 v11, 0x7fc0
	v_bfe_u32 v16, v10, 16, 1
	v_add3_u32 v10, v10, v16, s0
	v_cndmask_b32_sdwa v10, v11, v10, vcc dst_sel:DWORD dst_unused:UNUSED_PAD src0_sel:DWORD src1_sel:WORD_1
	global_store_short v[6:7], v10, off
	s_mov_b64 s[0:1], 0
	s_mov_b64 s[6:7], -1
.LBB185_2073:
	s_mov_b64 s[10:11], 0
.LBB185_2074:
	s_and_b64 vcc, exec, s[10:11]
	s_cbranch_vccz .LBB185_2076
; %bb.2075:
	s_cmp_lg_u32 s15, 11
	s_mov_b64 s[2:3], -1
	s_cselect_b64 s[0:1], -1, 0
.LBB185_2076:
	s_and_b64 vcc, exec, s[0:1]
	s_cbranch_vccnz .LBB185_2484
; %bb.2077:
	s_andn2_b64 vcc, exec, s[2:3]
	s_cbranch_vccnz .LBB185_2079
.LBB185_2078:
	v_and_b32_e32 v10, 0x7fff7fff, v3
	v_cmp_ne_u32_e32 vcc, 0, v10
	s_mov_b64 s[6:7], -1
	s_nop 0
	v_cndmask_b32_e64 v10, 0, 1, vcc
	global_store_byte v[6:7], v10, off
.LBB185_2079:
	s_mov_b64 s[0:1], 0
	s_branch .LBB185_2081
.LBB185_2080:
	s_mov_b64 s[0:1], -1
	s_mov_b64 s[6:7], 0
.LBB185_2081:
	s_and_b64 vcc, exec, s[0:1]
	s_cbranch_vccz .LBB185_2120
; %bb.2082:
	s_and_b32 s2, 0xffff, s14
	s_cmp_lt_i32 s2, 5
	s_mov_b64 s[0:1], -1
	s_cbranch_scc1 .LBB185_2103
; %bb.2083:
	s_cmp_lt_i32 s2, 8
	s_cbranch_scc1 .LBB185_2093
; %bb.2084:
	s_cmp_lt_i32 s2, 9
	s_cbranch_scc1 .LBB185_2090
; %bb.2085:
	v_cvt_f32_f16_e32 v11, v5
	s_cmp_gt_i32 s2, 9
	s_cbranch_scc0 .LBB185_2087
; %bb.2086:
	v_cvt_f32_f16_e32 v5, v1
	v_cvt_f64_f32_e32 v[18:19], v11
	s_mov_b64 s[0:1], 0
	v_cvt_f64_f32_e32 v[16:17], v5
	global_store_dwordx4 v[6:7], v[16:19], off
.LBB185_2087:
	s_andn2_b64 vcc, exec, s[0:1]
	s_cbranch_vccnz .LBB185_2089
; %bb.2088:
	v_cvt_f32_f16_e32 v10, v1
	global_store_dwordx2 v[6:7], v[10:11], off
.LBB185_2089:
	s_mov_b64 s[0:1], 0
.LBB185_2090:
	s_andn2_b64 vcc, exec, s[0:1]
	s_cbranch_vccnz .LBB185_2092
; %bb.2091:
	global_store_dword v[6:7], v3, off
.LBB185_2092:
	s_mov_b64 s[0:1], 0
.LBB185_2093:
	s_andn2_b64 vcc, exec, s[0:1]
	s_cbranch_vccnz .LBB185_2102
; %bb.2094:
	s_cmp_lt_i32 s2, 6
	s_mov_b64 s[0:1], -1
	s_cbranch_scc1 .LBB185_2100
; %bb.2095:
	s_cmp_gt_i32 s2, 6
	s_cbranch_scc0 .LBB185_2097
; %bb.2096:
	v_cvt_f32_f16_e32 v3, v1
	s_mov_b64 s[0:1], 0
	v_cvt_f64_f32_e32 v[10:11], v3
	global_store_dwordx2 v[6:7], v[10:11], off
.LBB185_2097:
	s_andn2_b64 vcc, exec, s[0:1]
	s_cbranch_vccnz .LBB185_2099
; %bb.2098:
	v_cvt_f32_f16_e32 v3, v1
	global_store_dword v[6:7], v3, off
.LBB185_2099:
	s_mov_b64 s[0:1], 0
.LBB185_2100:
	s_andn2_b64 vcc, exec, s[0:1]
	s_cbranch_vccnz .LBB185_2102
; %bb.2101:
	global_store_short v[6:7], v1, off
.LBB185_2102:
	s_mov_b64 s[0:1], 0
.LBB185_2103:
	s_andn2_b64 vcc, exec, s[0:1]
	s_cbranch_vccnz .LBB185_2119
; %bb.2104:
	s_cmp_lt_i32 s2, 2
	s_mov_b64 s[0:1], -1
	s_cbranch_scc1 .LBB185_2114
; %bb.2105:
	s_cmp_lt_i32 s2, 3
	s_cbranch_scc1 .LBB185_2111
; %bb.2106:
	s_cmp_gt_i32 s2, 3
	s_cbranch_scc0 .LBB185_2108
; %bb.2107:
	v_cvt_f32_f16_e32 v3, v1
	s_mov_b64 s[0:1], 0
	v_cvt_i32_f32_e32 v10, v3
	v_ashrrev_i32_e32 v11, 31, v10
	global_store_dwordx2 v[6:7], v[10:11], off
.LBB185_2108:
	s_andn2_b64 vcc, exec, s[0:1]
	s_cbranch_vccnz .LBB185_2110
; %bb.2109:
	v_cvt_f32_f16_e32 v3, v1
	v_cvt_i32_f32_e32 v3, v3
	global_store_dword v[6:7], v3, off
.LBB185_2110:
	s_mov_b64 s[0:1], 0
.LBB185_2111:
	s_andn2_b64 vcc, exec, s[0:1]
	s_cbranch_vccnz .LBB185_2113
; %bb.2112:
	v_cvt_i16_f16_e32 v3, v1
	global_store_short v[6:7], v3, off
.LBB185_2113:
	s_mov_b64 s[0:1], 0
.LBB185_2114:
	s_andn2_b64 vcc, exec, s[0:1]
	s_cbranch_vccnz .LBB185_2119
; %bb.2115:
	s_cmp_gt_i32 s2, 0
	s_mov_b64 s[0:1], -1
	s_cbranch_scc0 .LBB185_2117
; %bb.2116:
	v_cvt_i16_f16_e32 v3, v1
	global_store_byte v[6:7], v3, off
	s_mov_b64 s[0:1], 0
.LBB185_2117:
	s_andn2_b64 vcc, exec, s[0:1]
	s_cbranch_vccnz .LBB185_2119
; %bb.2118:
	v_cvt_f32_f16_e32 v1, v1
	v_cvt_i32_f32_e32 v1, v1
	global_store_byte v[6:7], v1, off
.LBB185_2119:
	s_mov_b64 s[6:7], -1
.LBB185_2120:
	s_andn2_b64 vcc, exec, s[6:7]
	s_cbranch_vccnz .LBB185_2435
; %bb.2121:
	v_cvt_f16_f32_e32 v6, v13
	v_cvt_f16_f32_e32 v1, v12
	s_lshr_b32 s0, s22, 8
	s_and_b32 s14, s0, 0xff
	v_lshlrev_b32_e32 v3, 16, v6
	v_mov_b32_e32 v5, 0
	v_or_b32_e32 v3, v3, v1
	s_cmp_lt_i32 s14, 11
	v_lshl_add_u64 v[4:5], s[4:5], 0, v[4:5]
	s_cbranch_scc1 .LBB185_2199
; %bb.2122:
	s_and_b32 s15, 0xffff, s14
	s_mov_b64 s[10:11], -1
	s_mov_b64 s[2:3], 0
	s_cmp_gt_i32 s15, 25
	s_mov_b64 s[6:7], 0
	s_mov_b64 s[0:1], 0
	s_cbranch_scc0 .LBB185_2155
; %bb.2123:
	s_cmp_gt_i32 s15, 28
	s_cbranch_scc0 .LBB185_2138
; %bb.2124:
	s_cmp_gt_i32 s15, 43
	;; [unrolled: 3-line block ×3, first 2 shown]
	s_cbranch_scc0 .LBB185_2128
; %bb.2126:
	s_mov_b64 s[0:1], -1
	s_mov_b64 s[10:11], 0
	s_cmp_eq_u32 s15, 46
	s_cbranch_scc0 .LBB185_2128
; %bb.2127:
	v_cvt_f32_f16_e32 v10, v6
	v_cvt_f32_f16_e32 v7, v1
	s_movk_i32 s0, 0x7fff
	v_cmp_o_f16_e32 vcc, v6, v6
	v_bfe_u32 v12, v10, 16, 1
	v_bfe_u32 v11, v7, 16, 1
	v_add3_u32 v10, v10, v12, s0
	v_add3_u32 v7, v7, v11, s0
	v_and_b32_e32 v10, 0xffff0000, v10
	v_mov_b32_e32 v11, 0x7fc00000
	v_cndmask_b32_e32 v10, v11, v10, vcc
	v_cmp_o_f16_e32 vcc, v1, v1
	v_mov_b32_e32 v11, 0x7fc0
	s_mov_b64 s[0:1], 0
	v_cndmask_b32_sdwa v7, v11, v7, vcc dst_sel:DWORD dst_unused:UNUSED_PAD src0_sel:DWORD src1_sel:WORD_1
	v_or_b32_e32 v7, v10, v7
	global_store_dword v[4:5], v7, off
	s_mov_b64 s[6:7], -1
.LBB185_2128:
	s_and_b64 vcc, exec, s[10:11]
	s_cbranch_vccz .LBB185_2133
; %bb.2129:
	s_cmp_eq_u32 s15, 44
	s_mov_b64 s[0:1], -1
	s_cbranch_scc0 .LBB185_2133
; %bb.2130:
	v_cvt_f32_f16_e32 v7, v1
	s_movk_i32 s0, 0xff
	v_mov_b32_e32 v11, 0xff
	v_bfe_u32 v10, v7, 23, 8
	v_cmp_ne_u32_e32 vcc, s0, v10
	s_and_saveexec_b64 s[6:7], vcc
; %bb.2131:
	s_mov_b32 s0, 0x3fffff
	v_lshrrev_b32_e32 v11, 23, v7
	v_and_b32_e32 v12, 0x400000, v7
	v_and_or_b32 v7, v7, s0, v10
	v_cmp_ne_u32_e32 vcc, 0, v12
	v_cmp_ne_u32_e64 s[0:1], 0, v7
	s_and_b64 s[0:1], vcc, s[0:1]
	s_nop 0
	v_cndmask_b32_e64 v7, 0, 1, s[0:1]
	v_add_u32_e32 v11, v11, v7
; %bb.2132:
	s_or_b64 exec, exec, s[6:7]
	s_mov_b64 s[0:1], 0
	s_mov_b64 s[6:7], -1
	global_store_byte v[4:5], v11, off
.LBB185_2133:
	s_mov_b64 s[10:11], 0
.LBB185_2134:
	s_and_b64 vcc, exec, s[10:11]
	s_cbranch_vccz .LBB185_2137
; %bb.2135:
	s_cmp_eq_u32 s15, 29
	s_mov_b64 s[0:1], -1
	s_cbranch_scc0 .LBB185_2137
; %bb.2136:
	v_cvt_f32_f16_e32 v7, v1
	v_mov_b32_e32 v11, 0
	s_mov_b64 s[0:1], 0
	s_mov_b64 s[6:7], -1
	v_cvt_u32_f32_e32 v10, v7
	global_store_dwordx2 v[4:5], v[10:11], off
.LBB185_2137:
	s_mov_b64 s[10:11], 0
.LBB185_2138:
	s_and_b64 vcc, exec, s[10:11]
	s_cbranch_vccz .LBB185_2154
; %bb.2139:
	s_cmp_lt_i32 s15, 27
	s_mov_b64 s[6:7], -1
	s_cbranch_scc1 .LBB185_2145
; %bb.2140:
	s_cmp_gt_i32 s15, 27
	s_cbranch_scc0 .LBB185_2142
; %bb.2141:
	v_cvt_f32_f16_e32 v7, v1
	s_mov_b64 s[6:7], 0
	v_cvt_u32_f32_e32 v7, v7
	global_store_dword v[4:5], v7, off
.LBB185_2142:
	s_andn2_b64 vcc, exec, s[6:7]
	s_cbranch_vccnz .LBB185_2144
; %bb.2143:
	v_cvt_u16_f16_e32 v7, v1
	global_store_short v[4:5], v7, off
.LBB185_2144:
	s_mov_b64 s[6:7], 0
.LBB185_2145:
	s_andn2_b64 vcc, exec, s[6:7]
	s_cbranch_vccnz .LBB185_2153
; %bb.2146:
	v_cvt_f32_f16_e32 v7, v1
	s_mov_b32 s6, 0x43800000
	v_mov_b32_e32 v11, 0x80
	v_and_b32_e32 v10, 0x7fffffff, v7
	v_cmp_gt_u32_e32 vcc, s6, v10
	s_and_saveexec_b64 s[6:7], vcc
	s_cbranch_execz .LBB185_2152
; %bb.2147:
	s_mov_b32 s10, 0x3bffffff
	v_cmp_lt_u32_e32 vcc, s10, v10
	s_mov_b64 s[10:11], 0
                                        ; implicit-def: $vgpr10
	s_and_saveexec_b64 s[12:13], vcc
	s_xor_b64 s[12:13], exec, s[12:13]
	s_cbranch_execz .LBB185_2487
; %bb.2148:
	v_bfe_u32 v10, v7, 20, 1
	s_mov_b32 s16, 0x487ffff
	v_add3_u32 v10, v7, v10, s16
	s_mov_b64 s[10:11], exec
	v_lshrrev_b32_e32 v10, 20, v10
	s_andn2_saveexec_b64 s[12:13], s[12:13]
	s_cbranch_execnz .LBB185_2488
.LBB185_2149:
	s_or_b64 exec, exec, s[12:13]
	v_mov_b32_e32 v11, 0
	s_and_saveexec_b64 s[12:13], s[10:11]
.LBB185_2150:
	v_lshrrev_b32_e32 v7, 24, v7
	s_movk_i32 s10, 0x80
	v_and_or_b32 v11, v7, s10, v10
.LBB185_2151:
	s_or_b64 exec, exec, s[12:13]
.LBB185_2152:
	s_or_b64 exec, exec, s[6:7]
	global_store_byte v[4:5], v11, off
.LBB185_2153:
	s_mov_b64 s[6:7], -1
.LBB185_2154:
	s_mov_b64 s[10:11], 0
.LBB185_2155:
	s_and_b64 vcc, exec, s[10:11]
	s_cbranch_vccz .LBB185_2195
; %bb.2156:
	s_cmp_gt_i32 s15, 22
	s_mov_b64 s[2:3], -1
	s_cbranch_scc0 .LBB185_2188
; %bb.2157:
	s_cmp_lt_i32 s15, 24
	s_cbranch_scc1 .LBB185_2177
; %bb.2158:
	s_cmp_gt_i32 s15, 24
	s_cbranch_scc0 .LBB185_2166
; %bb.2159:
	v_cvt_f32_f16_e32 v7, v1
	s_mov_b32 s2, 0x47800000
	v_mov_b32_e32 v11, 0x80
	v_and_b32_e32 v10, 0x7fffffff, v7
	v_cmp_gt_u32_e32 vcc, s2, v10
	s_and_saveexec_b64 s[2:3], vcc
	s_cbranch_execz .LBB185_2165
; %bb.2160:
	s_mov_b32 s6, 0x37ffffff
	v_cmp_lt_u32_e32 vcc, s6, v10
	s_mov_b64 s[6:7], 0
                                        ; implicit-def: $vgpr10
	s_and_saveexec_b64 s[10:11], vcc
	s_xor_b64 s[10:11], exec, s[10:11]
	s_cbranch_execz .LBB185_2490
; %bb.2161:
	v_bfe_u32 v10, v7, 21, 1
	s_mov_b32 s12, 0x88fffff
	v_add3_u32 v10, v7, v10, s12
	s_mov_b64 s[6:7], exec
	v_lshrrev_b32_e32 v10, 21, v10
	s_andn2_saveexec_b64 s[10:11], s[10:11]
	s_cbranch_execnz .LBB185_2491
.LBB185_2162:
	s_or_b64 exec, exec, s[10:11]
	v_mov_b32_e32 v11, 0
	s_and_saveexec_b64 s[10:11], s[6:7]
.LBB185_2163:
	v_lshrrev_b32_e32 v7, 24, v7
	s_movk_i32 s6, 0x80
	v_and_or_b32 v11, v7, s6, v10
.LBB185_2164:
	s_or_b64 exec, exec, s[10:11]
.LBB185_2165:
	s_or_b64 exec, exec, s[2:3]
	s_mov_b64 s[2:3], 0
	global_store_byte v[4:5], v11, off
.LBB185_2166:
	s_and_b64 vcc, exec, s[2:3]
	s_cbranch_vccz .LBB185_2176
; %bb.2167:
	v_cvt_f32_f16_e32 v7, v1
	s_mov_b32 s2, 0x43f00000
                                        ; implicit-def: $vgpr10
	v_and_b32_e32 v11, 0x7fffffff, v7
	v_cmp_gt_u32_e32 vcc, s2, v11
	s_and_saveexec_b64 s[2:3], vcc
	s_xor_b64 s[2:3], exec, s[2:3]
	s_cbranch_execz .LBB185_2173
; %bb.2168:
	s_mov_b32 s6, 0x3c7fffff
	v_cmp_lt_u32_e32 vcc, s6, v11
                                        ; implicit-def: $vgpr10
	s_and_saveexec_b64 s[6:7], vcc
	s_xor_b64 s[6:7], exec, s[6:7]
; %bb.2169:
	v_bfe_u32 v10, v7, 20, 1
	s_mov_b32 s10, 0x407ffff
	v_add3_u32 v10, v7, v10, s10
	v_lshrrev_b32_e32 v11, 20, v10
	v_and_b32_e32 v10, 0xff00000, v10
	s_mov_b32 s10, 0x7f00000
	v_mov_b32_e32 v12, 0x7e
	v_cmp_ne_u32_e32 vcc, s10, v10
	s_nop 1
	v_cndmask_b32_e32 v10, v12, v11, vcc
; %bb.2170:
	s_andn2_saveexec_b64 s[6:7], s[6:7]
; %bb.2171:
	s_mov_b32 s10, 0x46800000
	v_add_f32_e64 v10, |v7|, s10
; %bb.2172:
	s_or_b64 exec, exec, s[6:7]
                                        ; implicit-def: $vgpr11
.LBB185_2173:
	s_andn2_saveexec_b64 s[2:3], s[2:3]
; %bb.2174:
	s_mov_b32 s6, 0x7f800000
	v_mov_b32_e32 v10, 0x7e
	v_mov_b32_e32 v12, 0x7f
	v_cmp_lt_u32_e32 vcc, s6, v11
	s_nop 1
	v_cndmask_b32_e32 v10, v10, v12, vcc
; %bb.2175:
	s_or_b64 exec, exec, s[2:3]
	v_lshrrev_b32_e32 v7, 24, v7
	s_movk_i32 s2, 0x80
	v_and_or_b32 v7, v7, s2, v10
	global_store_byte v[4:5], v7, off
.LBB185_2176:
	s_mov_b64 s[2:3], 0
.LBB185_2177:
	s_andn2_b64 vcc, exec, s[2:3]
	s_cbranch_vccnz .LBB185_2187
; %bb.2178:
	v_cvt_f32_f16_e32 v7, v1
	s_mov_b32 s2, 0x47800000
                                        ; implicit-def: $vgpr10
	v_and_b32_e32 v11, 0x7fffffff, v7
	v_cmp_gt_u32_e32 vcc, s2, v11
	s_and_saveexec_b64 s[2:3], vcc
	s_xor_b64 s[2:3], exec, s[2:3]
	s_cbranch_execz .LBB185_2184
; %bb.2179:
	s_mov_b32 s6, 0x387fffff
	v_cmp_lt_u32_e32 vcc, s6, v11
                                        ; implicit-def: $vgpr10
	s_and_saveexec_b64 s[6:7], vcc
	s_xor_b64 s[6:7], exec, s[6:7]
; %bb.2180:
	v_bfe_u32 v10, v7, 21, 1
	s_mov_b32 s10, 0x80fffff
	v_add3_u32 v10, v7, v10, s10
	v_lshrrev_b32_e32 v10, 21, v10
; %bb.2181:
	s_andn2_saveexec_b64 s[6:7], s[6:7]
; %bb.2182:
	s_mov_b32 s10, 0x43000000
	v_add_f32_e64 v10, |v7|, s10
; %bb.2183:
	s_or_b64 exec, exec, s[6:7]
                                        ; implicit-def: $vgpr11
.LBB185_2184:
	s_andn2_saveexec_b64 s[2:3], s[2:3]
; %bb.2185:
	s_mov_b32 s6, 0x7f800000
	v_mov_b32_e32 v10, 0x7c
	v_mov_b32_e32 v12, 0x7f
	v_cmp_lt_u32_e32 vcc, s6, v11
	s_nop 1
	v_cndmask_b32_e32 v10, v10, v12, vcc
; %bb.2186:
	s_or_b64 exec, exec, s[2:3]
	v_lshrrev_b32_e32 v7, 24, v7
	s_movk_i32 s2, 0x80
	v_and_or_b32 v7, v7, s2, v10
	global_store_byte v[4:5], v7, off
.LBB185_2187:
	s_mov_b64 s[2:3], 0
	s_mov_b64 s[6:7], -1
.LBB185_2188:
	s_andn2_b64 vcc, exec, s[2:3]
	s_mov_b64 s[2:3], 0
	s_cbranch_vccnz .LBB185_2195
; %bb.2189:
	s_cmp_gt_i32 s15, 14
	s_mov_b64 s[10:11], -1
	s_cbranch_scc0 .LBB185_2193
; %bb.2190:
	s_cmp_eq_u32 s15, 15
	s_mov_b64 s[0:1], -1
	s_cbranch_scc0 .LBB185_2192
; %bb.2191:
	v_cvt_f32_f16_e32 v7, v1
	s_movk_i32 s0, 0x7fff
	v_cmp_o_f16_e32 vcc, v1, v1
	v_mov_b32_e32 v10, 0x7fc0
	v_bfe_u32 v11, v7, 16, 1
	v_add3_u32 v7, v7, v11, s0
	v_cndmask_b32_sdwa v7, v10, v7, vcc dst_sel:DWORD dst_unused:UNUSED_PAD src0_sel:DWORD src1_sel:WORD_1
	global_store_short v[4:5], v7, off
	s_mov_b64 s[0:1], 0
	s_mov_b64 s[6:7], -1
.LBB185_2192:
	s_mov_b64 s[10:11], 0
.LBB185_2193:
	s_and_b64 vcc, exec, s[10:11]
	s_cbranch_vccz .LBB185_2195
; %bb.2194:
	s_cmp_lg_u32 s15, 11
	s_mov_b64 s[2:3], -1
	s_cselect_b64 s[0:1], -1, 0
.LBB185_2195:
	s_and_b64 vcc, exec, s[0:1]
	s_cbranch_vccnz .LBB185_2489
; %bb.2196:
	s_andn2_b64 vcc, exec, s[2:3]
	s_cbranch_vccnz .LBB185_2198
.LBB185_2197:
	v_and_b32_e32 v7, 0x7fff7fff, v3
	v_cmp_ne_u32_e32 vcc, 0, v7
	s_mov_b64 s[6:7], -1
	s_nop 0
	v_cndmask_b32_e64 v7, 0, 1, vcc
	global_store_byte v[4:5], v7, off
.LBB185_2198:
	s_mov_b64 s[0:1], 0
	s_branch .LBB185_2200
.LBB185_2199:
	s_mov_b64 s[0:1], -1
	s_mov_b64 s[6:7], 0
.LBB185_2200:
	s_and_b64 vcc, exec, s[0:1]
	s_cbranch_vccz .LBB185_2239
; %bb.2201:
	s_and_b32 s2, 0xffff, s14
	s_cmp_lt_i32 s2, 5
	s_mov_b64 s[0:1], -1
	s_cbranch_scc1 .LBB185_2222
; %bb.2202:
	s_cmp_lt_i32 s2, 8
	s_cbranch_scc1 .LBB185_2212
; %bb.2203:
	s_cmp_lt_i32 s2, 9
	s_cbranch_scc1 .LBB185_2209
; %bb.2204:
	s_cmp_gt_i32 s2, 9
	s_cbranch_scc0 .LBB185_2206
; %bb.2205:
	v_cvt_f32_f16_e32 v7, v1
	v_cvt_f32_f16_e32 v12, v6
	s_mov_b64 s[0:1], 0
	v_cvt_f64_f32_e32 v[10:11], v7
	v_cvt_f64_f32_e32 v[12:13], v12
	global_store_dwordx4 v[4:5], v[10:13], off
.LBB185_2206:
	s_andn2_b64 vcc, exec, s[0:1]
	s_cbranch_vccnz .LBB185_2208
; %bb.2207:
	v_cvt_f32_f16_e32 v10, v1
	v_cvt_f32_f16_e32 v11, v6
	global_store_dwordx2 v[4:5], v[10:11], off
.LBB185_2208:
	s_mov_b64 s[0:1], 0
.LBB185_2209:
	s_andn2_b64 vcc, exec, s[0:1]
	s_cbranch_vccnz .LBB185_2211
; %bb.2210:
	global_store_dword v[4:5], v3, off
.LBB185_2211:
	s_mov_b64 s[0:1], 0
.LBB185_2212:
	s_andn2_b64 vcc, exec, s[0:1]
	s_cbranch_vccnz .LBB185_2221
; %bb.2213:
	s_cmp_lt_i32 s2, 6
	s_mov_b64 s[0:1], -1
	s_cbranch_scc1 .LBB185_2219
; %bb.2214:
	s_cmp_gt_i32 s2, 6
	s_cbranch_scc0 .LBB185_2216
; %bb.2215:
	v_cvt_f32_f16_e32 v3, v1
	s_mov_b64 s[0:1], 0
	v_cvt_f64_f32_e32 v[6:7], v3
	global_store_dwordx2 v[4:5], v[6:7], off
.LBB185_2216:
	s_andn2_b64 vcc, exec, s[0:1]
	s_cbranch_vccnz .LBB185_2218
; %bb.2217:
	v_cvt_f32_f16_e32 v3, v1
	global_store_dword v[4:5], v3, off
.LBB185_2218:
	s_mov_b64 s[0:1], 0
.LBB185_2219:
	s_andn2_b64 vcc, exec, s[0:1]
	s_cbranch_vccnz .LBB185_2221
; %bb.2220:
	global_store_short v[4:5], v1, off
.LBB185_2221:
	s_mov_b64 s[0:1], 0
.LBB185_2222:
	s_andn2_b64 vcc, exec, s[0:1]
	s_cbranch_vccnz .LBB185_2238
; %bb.2223:
	s_cmp_lt_i32 s2, 2
	s_mov_b64 s[0:1], -1
	s_cbranch_scc1 .LBB185_2233
; %bb.2224:
	s_cmp_lt_i32 s2, 3
	s_cbranch_scc1 .LBB185_2230
; %bb.2225:
	s_cmp_gt_i32 s2, 3
	s_cbranch_scc0 .LBB185_2227
; %bb.2226:
	v_cvt_f32_f16_e32 v3, v1
	s_mov_b64 s[0:1], 0
	v_cvt_i32_f32_e32 v6, v3
	v_ashrrev_i32_e32 v7, 31, v6
	global_store_dwordx2 v[4:5], v[6:7], off
.LBB185_2227:
	s_andn2_b64 vcc, exec, s[0:1]
	s_cbranch_vccnz .LBB185_2229
; %bb.2228:
	v_cvt_f32_f16_e32 v3, v1
	v_cvt_i32_f32_e32 v3, v3
	global_store_dword v[4:5], v3, off
.LBB185_2229:
	s_mov_b64 s[0:1], 0
.LBB185_2230:
	s_andn2_b64 vcc, exec, s[0:1]
	s_cbranch_vccnz .LBB185_2232
; %bb.2231:
	v_cvt_i16_f16_e32 v3, v1
	global_store_short v[4:5], v3, off
.LBB185_2232:
	s_mov_b64 s[0:1], 0
.LBB185_2233:
	s_andn2_b64 vcc, exec, s[0:1]
	s_cbranch_vccnz .LBB185_2238
; %bb.2234:
	s_cmp_gt_i32 s2, 0
	s_mov_b64 s[0:1], -1
	s_cbranch_scc0 .LBB185_2236
; %bb.2235:
	v_cvt_i16_f16_e32 v3, v1
	global_store_byte v[4:5], v3, off
	s_mov_b64 s[0:1], 0
.LBB185_2236:
	s_andn2_b64 vcc, exec, s[0:1]
	s_cbranch_vccnz .LBB185_2238
; %bb.2237:
	v_cvt_f32_f16_e32 v1, v1
	v_cvt_i32_f32_e32 v1, v1
	global_store_byte v[4:5], v1, off
.LBB185_2238:
	s_mov_b64 s[6:7], -1
.LBB185_2239:
	s_andn2_b64 vcc, exec, s[6:7]
	s_cbranch_vccnz .LBB185_2435
; %bb.2240:
	v_cvt_f16_f32_e32 v4, v15
	v_cvt_f16_f32_e32 v1, v14
	v_mov_b32_e32 v3, 0
	s_cmp_lt_i32 s14, 11
	v_lshlrev_b32_e32 v5, 16, v4
	v_or_b32_e32 v6, v5, v1
	v_lshl_add_u64 v[2:3], s[4:5], 0, v[2:3]
	s_cbranch_scc1 .LBB185_2318
; %bb.2241:
	s_and_b32 s15, 0xffff, s14
	s_mov_b64 s[10:11], -1
	s_mov_b64 s[2:3], 0
	s_cmp_gt_i32 s15, 25
	s_mov_b64 s[6:7], 0
	s_mov_b64 s[0:1], 0
	s_cbranch_scc0 .LBB185_2274
; %bb.2242:
	s_cmp_gt_i32 s15, 28
	s_cbranch_scc0 .LBB185_2257
; %bb.2243:
	s_cmp_gt_i32 s15, 43
	;; [unrolled: 3-line block ×3, first 2 shown]
	s_cbranch_scc0 .LBB185_2247
; %bb.2245:
	s_mov_b64 s[0:1], -1
	s_mov_b64 s[10:11], 0
	s_cmp_eq_u32 s15, 46
	s_cbranch_scc0 .LBB185_2247
; %bb.2246:
	v_cvt_f32_f16_e32 v7, v4
	v_cvt_f32_f16_e32 v5, v1
	s_movk_i32 s0, 0x7fff
	v_cmp_o_f16_e32 vcc, v4, v4
	v_bfe_u32 v11, v7, 16, 1
	v_bfe_u32 v10, v5, 16, 1
	v_add3_u32 v7, v7, v11, s0
	v_add3_u32 v5, v5, v10, s0
	v_and_b32_e32 v7, 0xffff0000, v7
	v_mov_b32_e32 v10, 0x7fc00000
	v_cndmask_b32_e32 v7, v10, v7, vcc
	v_cmp_o_f16_e32 vcc, v1, v1
	v_mov_b32_e32 v10, 0x7fc0
	s_mov_b64 s[0:1], 0
	v_cndmask_b32_sdwa v5, v10, v5, vcc dst_sel:DWORD dst_unused:UNUSED_PAD src0_sel:DWORD src1_sel:WORD_1
	v_or_b32_e32 v5, v7, v5
	global_store_dword v[2:3], v5, off
	s_mov_b64 s[6:7], -1
.LBB185_2247:
	s_and_b64 vcc, exec, s[10:11]
	s_cbranch_vccz .LBB185_2252
; %bb.2248:
	s_cmp_eq_u32 s15, 44
	s_mov_b64 s[0:1], -1
	s_cbranch_scc0 .LBB185_2252
; %bb.2249:
	v_cvt_f32_f16_e32 v5, v1
	s_movk_i32 s0, 0xff
	v_mov_b32_e32 v10, 0xff
	v_bfe_u32 v7, v5, 23, 8
	v_cmp_ne_u32_e32 vcc, s0, v7
	s_and_saveexec_b64 s[6:7], vcc
; %bb.2250:
	s_mov_b32 s0, 0x3fffff
	v_lshrrev_b32_e32 v10, 23, v5
	v_and_b32_e32 v11, 0x400000, v5
	v_and_or_b32 v5, v5, s0, v7
	v_cmp_ne_u32_e32 vcc, 0, v11
	v_cmp_ne_u32_e64 s[0:1], 0, v5
	s_and_b64 s[0:1], vcc, s[0:1]
	s_nop 0
	v_cndmask_b32_e64 v5, 0, 1, s[0:1]
	v_add_u32_e32 v10, v10, v5
; %bb.2251:
	s_or_b64 exec, exec, s[6:7]
	s_mov_b64 s[0:1], 0
	s_mov_b64 s[6:7], -1
	global_store_byte v[2:3], v10, off
.LBB185_2252:
	s_mov_b64 s[10:11], 0
.LBB185_2253:
	s_and_b64 vcc, exec, s[10:11]
	s_cbranch_vccz .LBB185_2256
; %bb.2254:
	s_cmp_eq_u32 s15, 29
	s_mov_b64 s[0:1], -1
	s_cbranch_scc0 .LBB185_2256
; %bb.2255:
	v_cvt_f32_f16_e32 v5, v1
	v_mov_b32_e32 v11, 0
	s_mov_b64 s[0:1], 0
	s_mov_b64 s[6:7], -1
	v_cvt_u32_f32_e32 v10, v5
	global_store_dwordx2 v[2:3], v[10:11], off
.LBB185_2256:
	s_mov_b64 s[10:11], 0
.LBB185_2257:
	s_and_b64 vcc, exec, s[10:11]
	s_cbranch_vccz .LBB185_2273
; %bb.2258:
	s_cmp_lt_i32 s15, 27
	s_mov_b64 s[6:7], -1
	s_cbranch_scc1 .LBB185_2264
; %bb.2259:
	s_cmp_gt_i32 s15, 27
	s_cbranch_scc0 .LBB185_2261
; %bb.2260:
	v_cvt_f32_f16_e32 v5, v1
	s_mov_b64 s[6:7], 0
	v_cvt_u32_f32_e32 v5, v5
	global_store_dword v[2:3], v5, off
.LBB185_2261:
	s_andn2_b64 vcc, exec, s[6:7]
	s_cbranch_vccnz .LBB185_2263
; %bb.2262:
	v_cvt_u16_f16_e32 v5, v1
	global_store_short v[2:3], v5, off
.LBB185_2263:
	s_mov_b64 s[6:7], 0
.LBB185_2264:
	s_andn2_b64 vcc, exec, s[6:7]
	s_cbranch_vccnz .LBB185_2272
; %bb.2265:
	v_cvt_f32_f16_e32 v5, v1
	s_mov_b32 s6, 0x43800000
	v_mov_b32_e32 v10, 0x80
	v_and_b32_e32 v7, 0x7fffffff, v5
	v_cmp_gt_u32_e32 vcc, s6, v7
	s_and_saveexec_b64 s[6:7], vcc
	s_cbranch_execz .LBB185_2271
; %bb.2266:
	s_mov_b32 s10, 0x3bffffff
	v_cmp_lt_u32_e32 vcc, s10, v7
	s_mov_b64 s[10:11], 0
                                        ; implicit-def: $vgpr7
	s_and_saveexec_b64 s[12:13], vcc
	s_xor_b64 s[12:13], exec, s[12:13]
	s_cbranch_execz .LBB185_2492
; %bb.2267:
	v_bfe_u32 v7, v5, 20, 1
	s_mov_b32 s16, 0x487ffff
	v_add3_u32 v7, v5, v7, s16
	s_mov_b64 s[10:11], exec
	v_lshrrev_b32_e32 v7, 20, v7
	s_andn2_saveexec_b64 s[12:13], s[12:13]
	s_cbranch_execnz .LBB185_2493
.LBB185_2268:
	s_or_b64 exec, exec, s[12:13]
	v_mov_b32_e32 v10, 0
	s_and_saveexec_b64 s[12:13], s[10:11]
.LBB185_2269:
	v_lshrrev_b32_e32 v5, 24, v5
	s_movk_i32 s10, 0x80
	v_and_or_b32 v10, v5, s10, v7
.LBB185_2270:
	s_or_b64 exec, exec, s[12:13]
.LBB185_2271:
	s_or_b64 exec, exec, s[6:7]
	global_store_byte v[2:3], v10, off
.LBB185_2272:
	s_mov_b64 s[6:7], -1
.LBB185_2273:
	s_mov_b64 s[10:11], 0
.LBB185_2274:
	s_and_b64 vcc, exec, s[10:11]
	s_cbranch_vccz .LBB185_2314
; %bb.2275:
	s_cmp_gt_i32 s15, 22
	s_mov_b64 s[2:3], -1
	s_cbranch_scc0 .LBB185_2307
; %bb.2276:
	s_cmp_lt_i32 s15, 24
	s_cbranch_scc1 .LBB185_2296
; %bb.2277:
	s_cmp_gt_i32 s15, 24
	s_cbranch_scc0 .LBB185_2285
; %bb.2278:
	v_cvt_f32_f16_e32 v5, v1
	s_mov_b32 s2, 0x47800000
	v_mov_b32_e32 v10, 0x80
	v_and_b32_e32 v7, 0x7fffffff, v5
	v_cmp_gt_u32_e32 vcc, s2, v7
	s_and_saveexec_b64 s[2:3], vcc
	s_cbranch_execz .LBB185_2284
; %bb.2279:
	s_mov_b32 s6, 0x37ffffff
	v_cmp_lt_u32_e32 vcc, s6, v7
	s_mov_b64 s[6:7], 0
                                        ; implicit-def: $vgpr7
	s_and_saveexec_b64 s[10:11], vcc
	s_xor_b64 s[10:11], exec, s[10:11]
	s_cbranch_execz .LBB185_2495
; %bb.2280:
	v_bfe_u32 v7, v5, 21, 1
	s_mov_b32 s12, 0x88fffff
	v_add3_u32 v7, v5, v7, s12
	s_mov_b64 s[6:7], exec
	v_lshrrev_b32_e32 v7, 21, v7
	s_andn2_saveexec_b64 s[10:11], s[10:11]
	s_cbranch_execnz .LBB185_2496
.LBB185_2281:
	s_or_b64 exec, exec, s[10:11]
	v_mov_b32_e32 v10, 0
	s_and_saveexec_b64 s[10:11], s[6:7]
.LBB185_2282:
	v_lshrrev_b32_e32 v5, 24, v5
	s_movk_i32 s6, 0x80
	v_and_or_b32 v10, v5, s6, v7
.LBB185_2283:
	s_or_b64 exec, exec, s[10:11]
.LBB185_2284:
	s_or_b64 exec, exec, s[2:3]
	s_mov_b64 s[2:3], 0
	global_store_byte v[2:3], v10, off
.LBB185_2285:
	s_and_b64 vcc, exec, s[2:3]
	s_cbranch_vccz .LBB185_2295
; %bb.2286:
	v_cvt_f32_f16_e32 v5, v1
	s_mov_b32 s2, 0x43f00000
                                        ; implicit-def: $vgpr7
	v_and_b32_e32 v10, 0x7fffffff, v5
	v_cmp_gt_u32_e32 vcc, s2, v10
	s_and_saveexec_b64 s[2:3], vcc
	s_xor_b64 s[2:3], exec, s[2:3]
	s_cbranch_execz .LBB185_2292
; %bb.2287:
	s_mov_b32 s6, 0x3c7fffff
	v_cmp_lt_u32_e32 vcc, s6, v10
                                        ; implicit-def: $vgpr7
	s_and_saveexec_b64 s[6:7], vcc
	s_xor_b64 s[6:7], exec, s[6:7]
; %bb.2288:
	v_bfe_u32 v7, v5, 20, 1
	s_mov_b32 s10, 0x407ffff
	v_add3_u32 v7, v5, v7, s10
	v_lshrrev_b32_e32 v10, 20, v7
	v_and_b32_e32 v7, 0xff00000, v7
	s_mov_b32 s10, 0x7f00000
	v_mov_b32_e32 v11, 0x7e
	v_cmp_ne_u32_e32 vcc, s10, v7
	s_nop 1
	v_cndmask_b32_e32 v7, v11, v10, vcc
; %bb.2289:
	s_andn2_saveexec_b64 s[6:7], s[6:7]
; %bb.2290:
	s_mov_b32 s10, 0x46800000
	v_add_f32_e64 v7, |v5|, s10
; %bb.2291:
	s_or_b64 exec, exec, s[6:7]
                                        ; implicit-def: $vgpr10
.LBB185_2292:
	s_andn2_saveexec_b64 s[2:3], s[2:3]
; %bb.2293:
	s_mov_b32 s6, 0x7f800000
	v_mov_b32_e32 v7, 0x7e
	v_mov_b32_e32 v11, 0x7f
	v_cmp_lt_u32_e32 vcc, s6, v10
	s_nop 1
	v_cndmask_b32_e32 v7, v7, v11, vcc
; %bb.2294:
	s_or_b64 exec, exec, s[2:3]
	v_lshrrev_b32_e32 v5, 24, v5
	s_movk_i32 s2, 0x80
	v_and_or_b32 v5, v5, s2, v7
	global_store_byte v[2:3], v5, off
.LBB185_2295:
	s_mov_b64 s[2:3], 0
.LBB185_2296:
	s_andn2_b64 vcc, exec, s[2:3]
	s_cbranch_vccnz .LBB185_2306
; %bb.2297:
	v_cvt_f32_f16_e32 v5, v1
	s_mov_b32 s2, 0x47800000
                                        ; implicit-def: $vgpr7
	v_and_b32_e32 v10, 0x7fffffff, v5
	v_cmp_gt_u32_e32 vcc, s2, v10
	s_and_saveexec_b64 s[2:3], vcc
	s_xor_b64 s[2:3], exec, s[2:3]
	s_cbranch_execz .LBB185_2303
; %bb.2298:
	s_mov_b32 s6, 0x387fffff
	v_cmp_lt_u32_e32 vcc, s6, v10
                                        ; implicit-def: $vgpr7
	s_and_saveexec_b64 s[6:7], vcc
	s_xor_b64 s[6:7], exec, s[6:7]
; %bb.2299:
	v_bfe_u32 v7, v5, 21, 1
	s_mov_b32 s10, 0x80fffff
	v_add3_u32 v7, v5, v7, s10
	v_lshrrev_b32_e32 v7, 21, v7
; %bb.2300:
	s_andn2_saveexec_b64 s[6:7], s[6:7]
; %bb.2301:
	s_mov_b32 s10, 0x43000000
	v_add_f32_e64 v7, |v5|, s10
; %bb.2302:
	s_or_b64 exec, exec, s[6:7]
                                        ; implicit-def: $vgpr10
.LBB185_2303:
	s_andn2_saveexec_b64 s[2:3], s[2:3]
; %bb.2304:
	s_mov_b32 s6, 0x7f800000
	v_mov_b32_e32 v7, 0x7c
	v_mov_b32_e32 v11, 0x7f
	v_cmp_lt_u32_e32 vcc, s6, v10
	s_nop 1
	v_cndmask_b32_e32 v7, v7, v11, vcc
; %bb.2305:
	s_or_b64 exec, exec, s[2:3]
	v_lshrrev_b32_e32 v5, 24, v5
	s_movk_i32 s2, 0x80
	v_and_or_b32 v5, v5, s2, v7
	global_store_byte v[2:3], v5, off
.LBB185_2306:
	s_mov_b64 s[2:3], 0
	s_mov_b64 s[6:7], -1
.LBB185_2307:
	s_andn2_b64 vcc, exec, s[2:3]
	s_mov_b64 s[2:3], 0
	s_cbranch_vccnz .LBB185_2314
; %bb.2308:
	s_cmp_gt_i32 s15, 14
	s_mov_b64 s[10:11], -1
	s_cbranch_scc0 .LBB185_2312
; %bb.2309:
	s_cmp_eq_u32 s15, 15
	s_mov_b64 s[0:1], -1
	s_cbranch_scc0 .LBB185_2311
; %bb.2310:
	v_cvt_f32_f16_e32 v5, v1
	s_movk_i32 s0, 0x7fff
	v_cmp_o_f16_e32 vcc, v1, v1
	v_mov_b32_e32 v7, 0x7fc0
	v_bfe_u32 v10, v5, 16, 1
	v_add3_u32 v5, v5, v10, s0
	v_cndmask_b32_sdwa v5, v7, v5, vcc dst_sel:DWORD dst_unused:UNUSED_PAD src0_sel:DWORD src1_sel:WORD_1
	global_store_short v[2:3], v5, off
	s_mov_b64 s[0:1], 0
	s_mov_b64 s[6:7], -1
.LBB185_2311:
	s_mov_b64 s[10:11], 0
.LBB185_2312:
	s_and_b64 vcc, exec, s[10:11]
	s_cbranch_vccz .LBB185_2314
; %bb.2313:
	s_cmp_lg_u32 s15, 11
	s_mov_b64 s[2:3], -1
	s_cselect_b64 s[0:1], -1, 0
.LBB185_2314:
	s_and_b64 vcc, exec, s[0:1]
	s_cbranch_vccnz .LBB185_2494
; %bb.2315:
	s_andn2_b64 vcc, exec, s[2:3]
	s_cbranch_vccnz .LBB185_2317
.LBB185_2316:
	v_and_b32_e32 v5, 0x7fff7fff, v6
	v_cmp_ne_u32_e32 vcc, 0, v5
	s_mov_b64 s[6:7], -1
	s_nop 0
	v_cndmask_b32_e64 v5, 0, 1, vcc
	global_store_byte v[2:3], v5, off
.LBB185_2317:
	s_mov_b64 s[0:1], 0
	s_branch .LBB185_2319
.LBB185_2318:
	s_mov_b64 s[0:1], -1
	s_mov_b64 s[6:7], 0
.LBB185_2319:
	s_and_b64 vcc, exec, s[0:1]
	s_cbranch_vccz .LBB185_2358
; %bb.2320:
	s_and_b32 s2, 0xffff, s14
	s_cmp_lt_i32 s2, 5
	s_mov_b64 s[0:1], -1
	s_cbranch_scc1 .LBB185_2341
; %bb.2321:
	s_cmp_lt_i32 s2, 8
	s_cbranch_scc1 .LBB185_2331
; %bb.2322:
	s_cmp_lt_i32 s2, 9
	s_cbranch_scc1 .LBB185_2328
; %bb.2323:
	v_cvt_f32_f16_e32 v5, v4
	s_cmp_gt_i32 s2, 9
	s_cbranch_scc0 .LBB185_2325
; %bb.2324:
	v_cvt_f32_f16_e32 v4, v1
	v_cvt_f64_f32_e32 v[12:13], v5
	s_mov_b64 s[0:1], 0
	v_cvt_f64_f32_e32 v[10:11], v4
	global_store_dwordx4 v[2:3], v[10:13], off
.LBB185_2325:
	s_andn2_b64 vcc, exec, s[0:1]
	s_cbranch_vccnz .LBB185_2327
; %bb.2326:
	v_cvt_f32_f16_e32 v4, v1
	global_store_dwordx2 v[2:3], v[4:5], off
.LBB185_2327:
	s_mov_b64 s[0:1], 0
.LBB185_2328:
	s_andn2_b64 vcc, exec, s[0:1]
	s_cbranch_vccnz .LBB185_2330
; %bb.2329:
	global_store_dword v[2:3], v6, off
.LBB185_2330:
	s_mov_b64 s[0:1], 0
.LBB185_2331:
	s_andn2_b64 vcc, exec, s[0:1]
	s_cbranch_vccnz .LBB185_2340
; %bb.2332:
	s_cmp_lt_i32 s2, 6
	s_mov_b64 s[0:1], -1
	s_cbranch_scc1 .LBB185_2338
; %bb.2333:
	s_cmp_gt_i32 s2, 6
	s_cbranch_scc0 .LBB185_2335
; %bb.2334:
	v_cvt_f32_f16_e32 v4, v1
	s_mov_b64 s[0:1], 0
	v_cvt_f64_f32_e32 v[4:5], v4
	global_store_dwordx2 v[2:3], v[4:5], off
.LBB185_2335:
	s_andn2_b64 vcc, exec, s[0:1]
	s_cbranch_vccnz .LBB185_2337
; %bb.2336:
	v_cvt_f32_f16_e32 v4, v1
	global_store_dword v[2:3], v4, off
.LBB185_2337:
	s_mov_b64 s[0:1], 0
.LBB185_2338:
	s_andn2_b64 vcc, exec, s[0:1]
	s_cbranch_vccnz .LBB185_2340
; %bb.2339:
	global_store_short v[2:3], v1, off
.LBB185_2340:
	s_mov_b64 s[0:1], 0
.LBB185_2341:
	s_andn2_b64 vcc, exec, s[0:1]
	s_cbranch_vccnz .LBB185_2357
; %bb.2342:
	s_cmp_lt_i32 s2, 2
	s_mov_b64 s[0:1], -1
	s_cbranch_scc1 .LBB185_2352
; %bb.2343:
	s_cmp_lt_i32 s2, 3
	s_cbranch_scc1 .LBB185_2349
; %bb.2344:
	s_cmp_gt_i32 s2, 3
	s_cbranch_scc0 .LBB185_2346
; %bb.2345:
	v_cvt_f32_f16_e32 v4, v1
	s_mov_b64 s[0:1], 0
	v_cvt_i32_f32_e32 v4, v4
	v_ashrrev_i32_e32 v5, 31, v4
	global_store_dwordx2 v[2:3], v[4:5], off
.LBB185_2346:
	s_andn2_b64 vcc, exec, s[0:1]
	s_cbranch_vccnz .LBB185_2348
; %bb.2347:
	v_cvt_f32_f16_e32 v4, v1
	v_cvt_i32_f32_e32 v4, v4
	global_store_dword v[2:3], v4, off
.LBB185_2348:
	s_mov_b64 s[0:1], 0
.LBB185_2349:
	s_andn2_b64 vcc, exec, s[0:1]
	s_cbranch_vccnz .LBB185_2351
; %bb.2350:
	v_cvt_i16_f16_e32 v4, v1
	global_store_short v[2:3], v4, off
.LBB185_2351:
	s_mov_b64 s[0:1], 0
.LBB185_2352:
	s_andn2_b64 vcc, exec, s[0:1]
	s_cbranch_vccnz .LBB185_2357
; %bb.2353:
	s_cmp_gt_i32 s2, 0
	s_mov_b64 s[0:1], -1
	s_cbranch_scc0 .LBB185_2355
; %bb.2354:
	v_cvt_i16_f16_e32 v4, v1
	global_store_byte v[2:3], v4, off
	s_mov_b64 s[0:1], 0
.LBB185_2355:
	s_andn2_b64 vcc, exec, s[0:1]
	s_cbranch_vccnz .LBB185_2357
; %bb.2356:
	v_cvt_f32_f16_e32 v1, v1
	v_cvt_i32_f32_e32 v1, v1
	global_store_byte v[2:3], v1, off
.LBB185_2357:
	s_mov_b64 s[6:7], -1
.LBB185_2358:
	s_andn2_b64 vcc, exec, s[6:7]
	s_cbranch_vccnz .LBB185_2435
; %bb.2359:
	v_cvt_f16_f32_e32 v3, v9
	v_cvt_f16_f32_e32 v2, v8
	v_mov_b32_e32 v1, 0
	s_cmp_lt_i32 s14, 11
	v_lshlrev_b32_e32 v4, 16, v3
	v_lshl_add_u64 v[0:1], s[4:5], 0, v[0:1]
	s_cbranch_scc1 .LBB185_2480
; %bb.2360:
	s_and_b32 s12, 0xffff, s14
	s_mov_b64 s[4:5], -1
	s_mov_b64 s[2:3], 0
	s_cmp_gt_i32 s12, 25
	s_mov_b64 s[0:1], 0
	s_cbranch_scc0 .LBB185_2393
; %bb.2361:
	s_cmp_gt_i32 s12, 28
	s_cbranch_scc0 .LBB185_2377
; %bb.2362:
	s_cmp_gt_i32 s12, 43
	;; [unrolled: 3-line block ×3, first 2 shown]
	s_cbranch_scc0 .LBB185_2367
; %bb.2364:
	s_cmp_eq_u32 s12, 46
	s_mov_b64 s[0:1], -1
	s_cbranch_scc0 .LBB185_2366
; %bb.2365:
	v_cvt_f32_f16_e32 v6, v3
	v_cvt_f32_f16_e32 v5, v2
	s_movk_i32 s0, 0x7fff
	v_cmp_o_f16_e32 vcc, v3, v3
	v_bfe_u32 v8, v6, 16, 1
	v_bfe_u32 v7, v5, 16, 1
	v_add3_u32 v6, v6, v8, s0
	v_add3_u32 v5, v5, v7, s0
	v_and_b32_e32 v6, 0xffff0000, v6
	v_mov_b32_e32 v7, 0x7fc00000
	v_cndmask_b32_e32 v6, v7, v6, vcc
	v_cmp_o_f16_e32 vcc, v2, v2
	v_mov_b32_e32 v7, 0x7fc0
	s_mov_b64 s[0:1], 0
	v_cndmask_b32_sdwa v5, v7, v5, vcc dst_sel:DWORD dst_unused:UNUSED_PAD src0_sel:DWORD src1_sel:WORD_1
	v_or_b32_e32 v5, v6, v5
	global_store_dword v[0:1], v5, off
.LBB185_2366:
	s_mov_b64 s[4:5], 0
.LBB185_2367:
	s_and_b64 vcc, exec, s[4:5]
	s_cbranch_vccz .LBB185_2372
; %bb.2368:
	s_cmp_eq_u32 s12, 44
	s_mov_b64 s[0:1], -1
	s_cbranch_scc0 .LBB185_2372
; %bb.2369:
	v_cvt_f32_f16_e32 v5, v2
	s_movk_i32 s0, 0xff
	v_mov_b32_e32 v7, 0xff
	v_bfe_u32 v6, v5, 23, 8
	v_cmp_ne_u32_e32 vcc, s0, v6
	s_and_saveexec_b64 s[4:5], vcc
; %bb.2370:
	s_mov_b32 s0, 0x3fffff
	v_lshrrev_b32_e32 v7, 23, v5
	v_and_b32_e32 v8, 0x400000, v5
	v_and_or_b32 v5, v5, s0, v6
	v_cmp_ne_u32_e32 vcc, 0, v8
	v_cmp_ne_u32_e64 s[0:1], 0, v5
	s_and_b64 s[0:1], vcc, s[0:1]
	s_nop 0
	v_cndmask_b32_e64 v5, 0, 1, s[0:1]
	v_add_u32_e32 v7, v7, v5
; %bb.2371:
	s_or_b64 exec, exec, s[4:5]
	s_mov_b64 s[0:1], 0
	global_store_byte v[0:1], v7, off
.LBB185_2372:
	s_mov_b64 s[4:5], 0
.LBB185_2373:
	s_and_b64 vcc, exec, s[4:5]
	s_cbranch_vccz .LBB185_2376
; %bb.2374:
	s_cmp_eq_u32 s12, 29
	s_mov_b64 s[0:1], -1
	s_cbranch_scc0 .LBB185_2376
; %bb.2375:
	v_cvt_f32_f16_e32 v5, v2
	v_mov_b32_e32 v7, 0
	s_mov_b64 s[0:1], 0
	v_cvt_u32_f32_e32 v6, v5
	global_store_dwordx2 v[0:1], v[6:7], off
.LBB185_2376:
	s_mov_b64 s[4:5], 0
.LBB185_2377:
	s_and_b64 vcc, exec, s[4:5]
	s_cbranch_vccz .LBB185_2392
; %bb.2378:
	s_cmp_lt_i32 s12, 27
	s_mov_b64 s[4:5], -1
	s_cbranch_scc1 .LBB185_2384
; %bb.2379:
	s_cmp_gt_i32 s12, 27
	s_cbranch_scc0 .LBB185_2381
; %bb.2380:
	v_cvt_f32_f16_e32 v5, v2
	s_mov_b64 s[4:5], 0
	v_cvt_u32_f32_e32 v5, v5
	global_store_dword v[0:1], v5, off
.LBB185_2381:
	s_andn2_b64 vcc, exec, s[4:5]
	s_cbranch_vccnz .LBB185_2383
; %bb.2382:
	v_cvt_u16_f16_e32 v5, v2
	global_store_short v[0:1], v5, off
.LBB185_2383:
	s_mov_b64 s[4:5], 0
.LBB185_2384:
	s_andn2_b64 vcc, exec, s[4:5]
	s_cbranch_vccnz .LBB185_2392
; %bb.2385:
	v_cvt_f32_f16_e32 v5, v2
	s_mov_b32 s4, 0x43800000
	v_mov_b32_e32 v7, 0x80
	v_and_b32_e32 v6, 0x7fffffff, v5
	v_cmp_gt_u32_e32 vcc, s4, v6
	s_and_saveexec_b64 s[4:5], vcc
	s_cbranch_execz .LBB185_2391
; %bb.2386:
	s_mov_b32 s6, 0x3bffffff
	v_cmp_lt_u32_e32 vcc, s6, v6
	s_mov_b64 s[6:7], 0
                                        ; implicit-def: $vgpr6
	s_and_saveexec_b64 s[10:11], vcc
	s_xor_b64 s[10:11], exec, s[10:11]
	s_cbranch_execz .LBB185_2497
; %bb.2387:
	v_bfe_u32 v6, v5, 20, 1
	s_mov_b32 s13, 0x487ffff
	v_add3_u32 v6, v5, v6, s13
	s_mov_b64 s[6:7], exec
	v_lshrrev_b32_e32 v6, 20, v6
	s_andn2_saveexec_b64 s[10:11], s[10:11]
	s_cbranch_execnz .LBB185_2498
.LBB185_2388:
	s_or_b64 exec, exec, s[10:11]
	v_mov_b32_e32 v7, 0
	s_and_saveexec_b64 s[10:11], s[6:7]
.LBB185_2389:
	v_lshrrev_b32_e32 v5, 24, v5
	s_movk_i32 s6, 0x80
	v_and_or_b32 v7, v5, s6, v6
.LBB185_2390:
	s_or_b64 exec, exec, s[10:11]
.LBB185_2391:
	s_or_b64 exec, exec, s[4:5]
	global_store_byte v[0:1], v7, off
.LBB185_2392:
	s_mov_b64 s[4:5], 0
.LBB185_2393:
	s_and_b64 vcc, exec, s[4:5]
	s_cbranch_vccz .LBB185_2433
; %bb.2394:
	s_cmp_gt_i32 s12, 22
	s_mov_b64 s[2:3], -1
	s_cbranch_scc0 .LBB185_2426
; %bb.2395:
	s_cmp_lt_i32 s12, 24
	s_cbranch_scc1 .LBB185_2415
; %bb.2396:
	s_cmp_gt_i32 s12, 24
	s_cbranch_scc0 .LBB185_2404
; %bb.2397:
	v_cvt_f32_f16_e32 v5, v2
	s_mov_b32 s2, 0x47800000
	v_mov_b32_e32 v7, 0x80
	v_and_b32_e32 v6, 0x7fffffff, v5
	v_cmp_gt_u32_e32 vcc, s2, v6
	s_and_saveexec_b64 s[2:3], vcc
	s_cbranch_execz .LBB185_2403
; %bb.2398:
	s_mov_b32 s4, 0x37ffffff
	v_cmp_lt_u32_e32 vcc, s4, v6
	s_mov_b64 s[4:5], 0
                                        ; implicit-def: $vgpr6
	s_and_saveexec_b64 s[6:7], vcc
	s_xor_b64 s[6:7], exec, s[6:7]
	s_cbranch_execz .LBB185_2500
; %bb.2399:
	v_bfe_u32 v6, v5, 21, 1
	s_mov_b32 s10, 0x88fffff
	v_add3_u32 v6, v5, v6, s10
	s_mov_b64 s[4:5], exec
	v_lshrrev_b32_e32 v6, 21, v6
	s_andn2_saveexec_b64 s[6:7], s[6:7]
	s_cbranch_execnz .LBB185_2501
.LBB185_2400:
	s_or_b64 exec, exec, s[6:7]
	v_mov_b32_e32 v7, 0
	s_and_saveexec_b64 s[6:7], s[4:5]
.LBB185_2401:
	v_lshrrev_b32_e32 v5, 24, v5
	s_movk_i32 s4, 0x80
	v_and_or_b32 v7, v5, s4, v6
.LBB185_2402:
	s_or_b64 exec, exec, s[6:7]
.LBB185_2403:
	s_or_b64 exec, exec, s[2:3]
	s_mov_b64 s[2:3], 0
	global_store_byte v[0:1], v7, off
.LBB185_2404:
	s_and_b64 vcc, exec, s[2:3]
	s_cbranch_vccz .LBB185_2414
; %bb.2405:
	v_cvt_f32_f16_e32 v5, v2
	s_mov_b32 s2, 0x43f00000
                                        ; implicit-def: $vgpr6
	v_and_b32_e32 v7, 0x7fffffff, v5
	v_cmp_gt_u32_e32 vcc, s2, v7
	s_and_saveexec_b64 s[2:3], vcc
	s_xor_b64 s[2:3], exec, s[2:3]
	s_cbranch_execz .LBB185_2411
; %bb.2406:
	s_mov_b32 s4, 0x3c7fffff
	v_cmp_lt_u32_e32 vcc, s4, v7
                                        ; implicit-def: $vgpr6
	s_and_saveexec_b64 s[4:5], vcc
	s_xor_b64 s[4:5], exec, s[4:5]
; %bb.2407:
	v_bfe_u32 v6, v5, 20, 1
	s_mov_b32 s6, 0x407ffff
	v_add3_u32 v6, v5, v6, s6
	v_lshrrev_b32_e32 v7, 20, v6
	v_and_b32_e32 v6, 0xff00000, v6
	s_mov_b32 s6, 0x7f00000
	v_mov_b32_e32 v8, 0x7e
	v_cmp_ne_u32_e32 vcc, s6, v6
	s_nop 1
	v_cndmask_b32_e32 v6, v8, v7, vcc
; %bb.2408:
	s_andn2_saveexec_b64 s[4:5], s[4:5]
; %bb.2409:
	s_mov_b32 s6, 0x46800000
	v_add_f32_e64 v6, |v5|, s6
; %bb.2410:
	s_or_b64 exec, exec, s[4:5]
                                        ; implicit-def: $vgpr7
.LBB185_2411:
	s_andn2_saveexec_b64 s[2:3], s[2:3]
; %bb.2412:
	s_mov_b32 s4, 0x7f800000
	v_mov_b32_e32 v6, 0x7e
	v_mov_b32_e32 v8, 0x7f
	v_cmp_lt_u32_e32 vcc, s4, v7
	s_nop 1
	v_cndmask_b32_e32 v6, v6, v8, vcc
; %bb.2413:
	s_or_b64 exec, exec, s[2:3]
	v_lshrrev_b32_e32 v5, 24, v5
	s_movk_i32 s2, 0x80
	v_and_or_b32 v5, v5, s2, v6
	global_store_byte v[0:1], v5, off
.LBB185_2414:
	s_mov_b64 s[2:3], 0
.LBB185_2415:
	s_andn2_b64 vcc, exec, s[2:3]
	s_cbranch_vccnz .LBB185_2425
; %bb.2416:
	v_cvt_f32_f16_e32 v5, v2
	s_mov_b32 s2, 0x47800000
                                        ; implicit-def: $vgpr6
	v_and_b32_e32 v7, 0x7fffffff, v5
	v_cmp_gt_u32_e32 vcc, s2, v7
	s_and_saveexec_b64 s[2:3], vcc
	s_xor_b64 s[2:3], exec, s[2:3]
	s_cbranch_execz .LBB185_2422
; %bb.2417:
	s_mov_b32 s4, 0x387fffff
	v_cmp_lt_u32_e32 vcc, s4, v7
                                        ; implicit-def: $vgpr6
	s_and_saveexec_b64 s[4:5], vcc
	s_xor_b64 s[4:5], exec, s[4:5]
; %bb.2418:
	v_bfe_u32 v6, v5, 21, 1
	s_mov_b32 s6, 0x80fffff
	v_add3_u32 v6, v5, v6, s6
	v_lshrrev_b32_e32 v6, 21, v6
; %bb.2419:
	s_andn2_saveexec_b64 s[4:5], s[4:5]
; %bb.2420:
	s_mov_b32 s6, 0x43000000
	v_add_f32_e64 v6, |v5|, s6
; %bb.2421:
	s_or_b64 exec, exec, s[4:5]
                                        ; implicit-def: $vgpr7
.LBB185_2422:
	s_andn2_saveexec_b64 s[2:3], s[2:3]
; %bb.2423:
	s_mov_b32 s4, 0x7f800000
	v_mov_b32_e32 v6, 0x7c
	v_mov_b32_e32 v8, 0x7f
	v_cmp_lt_u32_e32 vcc, s4, v7
	s_nop 1
	v_cndmask_b32_e32 v6, v6, v8, vcc
; %bb.2424:
	s_or_b64 exec, exec, s[2:3]
	v_lshrrev_b32_e32 v5, 24, v5
	s_movk_i32 s2, 0x80
	v_and_or_b32 v5, v5, s2, v6
	global_store_byte v[0:1], v5, off
.LBB185_2425:
	s_mov_b64 s[2:3], 0
.LBB185_2426:
	s_andn2_b64 vcc, exec, s[2:3]
	s_mov_b64 s[2:3], 0
	s_cbranch_vccnz .LBB185_2433
; %bb.2427:
	s_cmp_gt_i32 s12, 14
	s_mov_b64 s[4:5], -1
	s_cbranch_scc0 .LBB185_2431
; %bb.2428:
	s_cmp_eq_u32 s12, 15
	s_mov_b64 s[0:1], -1
	s_cbranch_scc0 .LBB185_2430
; %bb.2429:
	v_cvt_f32_f16_e32 v5, v2
	s_movk_i32 s0, 0x7fff
	v_cmp_o_f16_e32 vcc, v2, v2
	v_mov_b32_e32 v6, 0x7fc0
	v_bfe_u32 v7, v5, 16, 1
	v_add3_u32 v5, v5, v7, s0
	v_cndmask_b32_sdwa v5, v6, v5, vcc dst_sel:DWORD dst_unused:UNUSED_PAD src0_sel:DWORD src1_sel:WORD_1
	global_store_short v[0:1], v5, off
	s_mov_b64 s[0:1], 0
.LBB185_2430:
	s_mov_b64 s[4:5], 0
.LBB185_2431:
	s_and_b64 vcc, exec, s[4:5]
	s_cbranch_vccz .LBB185_2433
; %bb.2432:
	s_cmp_lg_u32 s12, 11
	s_mov_b64 s[2:3], -1
	s_cselect_b64 s[0:1], -1, 0
.LBB185_2433:
	s_and_b64 vcc, exec, s[0:1]
	s_cbranch_vccnz .LBB185_2499
.LBB185_2434:
	s_mov_b64 s[0:1], 0
	s_branch .LBB185_2481
.LBB185_2435:
	s_mov_b64 s[0:1], 0
	s_mov_b64 s[2:3], 0
                                        ; implicit-def: $vgpr0_vgpr1
                                        ; implicit-def: $sgpr14
                                        ; implicit-def: $vgpr4
                                        ; implicit-def: $vgpr3
                                        ; implicit-def: $vgpr2
.LBB185_2436:
	s_and_b64 s[4:5], s[0:1], exec
	s_and_b64 s[40:41], s[2:3], exec
	s_andn2_b64 s[0:1], s[24:25], exec
	s_and_b64 s[2:3], s[8:9], exec
	s_or_b64 s[24:25], s[0:1], s[2:3]
.LBB185_2437:
	s_or_b64 exec, exec, s[26:27]
	s_and_saveexec_b64 s[0:1], s[24:25]
	s_cbranch_execz .LBB185_2440
; %bb.2438:
	; divergent unreachable
	s_or_b64 exec, exec, s[0:1]
	s_and_saveexec_b64 s[0:1], s[40:41]
	s_xor_b64 s[0:1], exec, s[0:1]
	s_cbranch_execnz .LBB185_2441
.LBB185_2439:
	s_or_b64 exec, exec, s[0:1]
	s_and_saveexec_b64 s[0:1], s[4:5]
	s_cbranch_execnz .LBB185_2442
	s_branch .LBB185_2479
.LBB185_2440:
	s_or_b64 exec, exec, s[0:1]
	s_and_saveexec_b64 s[0:1], s[40:41]
	s_xor_b64 s[0:1], exec, s[0:1]
	s_cbranch_execz .LBB185_2439
.LBB185_2441:
	v_and_b32_e32 v5, 0x7fff7fff, v4
	v_cmp_ne_u32_e32 vcc, 0, v5
	s_nop 1
	v_cndmask_b32_e64 v5, 0, 1, vcc
	s_waitcnt vmcnt(0)
	global_store_byte v[0:1], v5, off
	s_or_b64 exec, exec, s[0:1]
	s_and_saveexec_b64 s[0:1], s[4:5]
	s_cbranch_execz .LBB185_2479
.LBB185_2442:
	s_sext_i32_i16 s2, s14
	s_cmp_lt_i32 s2, 5
	s_mov_b64 s[0:1], -1
	s_cbranch_scc1 .LBB185_2463
; %bb.2443:
	s_cmp_lt_i32 s2, 8
	s_cbranch_scc1 .LBB185_2453
; %bb.2444:
	s_cmp_lt_i32 s2, 9
	s_cbranch_scc1 .LBB185_2450
; %bb.2445:
	s_cmp_gt_i32 s2, 9
	s_cbranch_scc0 .LBB185_2447
; %bb.2446:
	v_cvt_f32_f16_e32 v5, v2
	v_cvt_f32_f16_e32 v8, v3
	s_mov_b64 s[0:1], 0
	v_cvt_f64_f32_e32 v[6:7], v5
	v_cvt_f64_f32_e32 v[8:9], v8
	s_waitcnt vmcnt(0)
	global_store_dwordx4 v[0:1], v[6:9], off
.LBB185_2447:
	s_andn2_b64 vcc, exec, s[0:1]
	s_cbranch_vccnz .LBB185_2449
; %bb.2448:
	v_cvt_f32_f16_e32 v6, v2
	v_cvt_f32_f16_e32 v7, v3
	s_waitcnt vmcnt(0)
	global_store_dwordx2 v[0:1], v[6:7], off
.LBB185_2449:
	s_mov_b64 s[0:1], 0
.LBB185_2450:
	s_andn2_b64 vcc, exec, s[0:1]
	s_cbranch_vccnz .LBB185_2452
; %bb.2451:
	s_waitcnt vmcnt(0)
	global_store_dword v[0:1], v4, off
.LBB185_2452:
	s_mov_b64 s[0:1], 0
.LBB185_2453:
	s_andn2_b64 vcc, exec, s[0:1]
	s_cbranch_vccnz .LBB185_2462
; %bb.2454:
	s_sext_i32_i16 s2, s14
	s_cmp_lt_i32 s2, 6
	s_mov_b64 s[0:1], -1
	s_cbranch_scc1 .LBB185_2460
; %bb.2455:
	s_cmp_gt_i32 s2, 6
	s_cbranch_scc0 .LBB185_2457
; %bb.2456:
	v_cvt_f32_f16_e32 v3, v2
	s_mov_b64 s[0:1], 0
	v_cvt_f64_f32_e32 v[4:5], v3
	s_waitcnt vmcnt(0)
	global_store_dwordx2 v[0:1], v[4:5], off
.LBB185_2457:
	s_andn2_b64 vcc, exec, s[0:1]
	s_cbranch_vccnz .LBB185_2459
; %bb.2458:
	v_cvt_f32_f16_e32 v3, v2
	s_waitcnt vmcnt(0)
	global_store_dword v[0:1], v3, off
.LBB185_2459:
	s_mov_b64 s[0:1], 0
.LBB185_2460:
	s_andn2_b64 vcc, exec, s[0:1]
	s_cbranch_vccnz .LBB185_2462
; %bb.2461:
	s_waitcnt vmcnt(0)
	global_store_short v[0:1], v2, off
.LBB185_2462:
	s_mov_b64 s[0:1], 0
.LBB185_2463:
	s_andn2_b64 vcc, exec, s[0:1]
	s_cbranch_vccnz .LBB185_2479
; %bb.2464:
	s_sext_i32_i16 s2, s14
	s_cmp_lt_i32 s2, 2
	s_mov_b64 s[0:1], -1
	s_cbranch_scc1 .LBB185_2474
; %bb.2465:
	s_cmp_lt_i32 s2, 3
	s_cbranch_scc1 .LBB185_2471
; %bb.2466:
	s_cmp_gt_i32 s2, 3
	s_cbranch_scc0 .LBB185_2468
; %bb.2467:
	v_cvt_f32_f16_e32 v3, v2
	s_mov_b64 s[0:1], 0
	v_cvt_i32_f32_e32 v4, v3
	v_ashrrev_i32_e32 v5, 31, v4
	s_waitcnt vmcnt(0)
	global_store_dwordx2 v[0:1], v[4:5], off
.LBB185_2468:
	s_andn2_b64 vcc, exec, s[0:1]
	s_cbranch_vccnz .LBB185_2470
; %bb.2469:
	v_cvt_f32_f16_e32 v3, v2
	v_cvt_i32_f32_e32 v3, v3
	s_waitcnt vmcnt(0)
	global_store_dword v[0:1], v3, off
.LBB185_2470:
	s_mov_b64 s[0:1], 0
.LBB185_2471:
	s_andn2_b64 vcc, exec, s[0:1]
	s_cbranch_vccnz .LBB185_2473
; %bb.2472:
	v_cvt_i16_f16_e32 v3, v2
	s_waitcnt vmcnt(0)
	global_store_short v[0:1], v3, off
.LBB185_2473:
	s_mov_b64 s[0:1], 0
.LBB185_2474:
	s_andn2_b64 vcc, exec, s[0:1]
	s_cbranch_vccnz .LBB185_2479
; %bb.2475:
	s_sext_i32_i16 s0, s14
	s_cmp_gt_i32 s0, 0
	s_mov_b64 s[0:1], -1
	s_cbranch_scc0 .LBB185_2477
; %bb.2476:
	v_cvt_i16_f16_e32 v3, v2
	s_waitcnt vmcnt(0)
	global_store_byte v[0:1], v3, off
	s_mov_b64 s[0:1], 0
.LBB185_2477:
	s_andn2_b64 vcc, exec, s[0:1]
	s_cbranch_vccnz .LBB185_2479
; %bb.2478:
	v_cvt_f32_f16_e32 v2, v2
	v_cvt_i32_f32_e32 v2, v2
	s_waitcnt vmcnt(0)
	global_store_byte v[0:1], v2, off
	s_endpgm
.LBB185_2479:
	s_endpgm
.LBB185_2480:
	s_mov_b64 s[2:3], 0
	s_mov_b64 s[0:1], -1
.LBB185_2481:
	v_or_b32_e32 v4, v4, v2
	s_branch .LBB185_2436
.LBB185_2482:
	s_andn2_saveexec_b64 s[12:13], s[12:13]
	s_cbranch_execz .LBB185_2030
.LBB185_2483:
	s_mov_b32 s16, 0x46000000
	v_add_f32_e64 v11, |v10|, s16
	v_and_b32_e32 v11, 0xff, v11
	v_cmp_ne_u32_e32 vcc, 0, v11
	s_andn2_b64 s[10:11], s[10:11], exec
	s_and_b64 s[16:17], vcc, exec
	s_or_b64 s[10:11], s[10:11], s[16:17]
	s_or_b64 exec, exec, s[12:13]
	v_mov_b32_e32 v16, 0
	s_and_saveexec_b64 s[12:13], s[10:11]
	s_cbranch_execnz .LBB185_2031
	s_branch .LBB185_2032
.LBB185_2484:
	s_trap 2
	s_or_b64 s[8:9], s[8:9], exec
	s_cbranch_execz .LBB185_2078
	s_branch .LBB185_2079
.LBB185_2485:
	s_andn2_saveexec_b64 s[10:11], s[10:11]
	s_cbranch_execz .LBB185_2043
.LBB185_2486:
	s_mov_b32 s12, 0x42800000
	v_add_f32_e64 v11, |v10|, s12
	v_and_b32_e32 v11, 0xff, v11
	v_cmp_ne_u32_e32 vcc, 0, v11
	s_andn2_b64 s[6:7], s[6:7], exec
	s_and_b64 s[12:13], vcc, exec
	s_or_b64 s[6:7], s[6:7], s[12:13]
	s_or_b64 exec, exec, s[10:11]
	v_mov_b32_e32 v16, 0
	s_and_saveexec_b64 s[10:11], s[6:7]
	s_cbranch_execnz .LBB185_2044
	s_branch .LBB185_2045
.LBB185_2487:
	s_andn2_saveexec_b64 s[12:13], s[12:13]
	s_cbranch_execz .LBB185_2149
.LBB185_2488:
	s_mov_b32 s16, 0x46000000
	v_add_f32_e64 v10, |v7|, s16
	v_and_b32_e32 v10, 0xff, v10
	v_cmp_ne_u32_e32 vcc, 0, v10
	s_andn2_b64 s[10:11], s[10:11], exec
	s_and_b64 s[16:17], vcc, exec
	s_or_b64 s[10:11], s[10:11], s[16:17]
	s_or_b64 exec, exec, s[12:13]
	v_mov_b32_e32 v11, 0
	s_and_saveexec_b64 s[12:13], s[10:11]
	s_cbranch_execnz .LBB185_2150
	s_branch .LBB185_2151
.LBB185_2489:
	s_trap 2
	s_or_b64 s[8:9], s[8:9], exec
	s_cbranch_execz .LBB185_2197
	s_branch .LBB185_2198
.LBB185_2490:
	s_andn2_saveexec_b64 s[10:11], s[10:11]
	s_cbranch_execz .LBB185_2162
.LBB185_2491:
	s_mov_b32 s12, 0x42800000
	v_add_f32_e64 v10, |v7|, s12
	v_and_b32_e32 v10, 0xff, v10
	v_cmp_ne_u32_e32 vcc, 0, v10
	s_andn2_b64 s[6:7], s[6:7], exec
	s_and_b64 s[12:13], vcc, exec
	s_or_b64 s[6:7], s[6:7], s[12:13]
	s_or_b64 exec, exec, s[10:11]
	v_mov_b32_e32 v11, 0
	s_and_saveexec_b64 s[10:11], s[6:7]
	s_cbranch_execnz .LBB185_2163
	s_branch .LBB185_2164
.LBB185_2492:
	s_andn2_saveexec_b64 s[12:13], s[12:13]
	s_cbranch_execz .LBB185_2268
.LBB185_2493:
	s_mov_b32 s16, 0x46000000
	v_add_f32_e64 v7, |v5|, s16
	v_and_b32_e32 v7, 0xff, v7
	v_cmp_ne_u32_e32 vcc, 0, v7
	s_andn2_b64 s[10:11], s[10:11], exec
	s_and_b64 s[16:17], vcc, exec
	s_or_b64 s[10:11], s[10:11], s[16:17]
	s_or_b64 exec, exec, s[12:13]
	v_mov_b32_e32 v10, 0
	s_and_saveexec_b64 s[12:13], s[10:11]
	s_cbranch_execnz .LBB185_2269
	s_branch .LBB185_2270
.LBB185_2494:
	s_trap 2
	s_or_b64 s[8:9], s[8:9], exec
	s_cbranch_execz .LBB185_2316
	s_branch .LBB185_2317
.LBB185_2495:
	s_andn2_saveexec_b64 s[10:11], s[10:11]
	s_cbranch_execz .LBB185_2281
.LBB185_2496:
	s_mov_b32 s12, 0x42800000
	v_add_f32_e64 v7, |v5|, s12
	v_and_b32_e32 v7, 0xff, v7
	v_cmp_ne_u32_e32 vcc, 0, v7
	s_andn2_b64 s[6:7], s[6:7], exec
	s_and_b64 s[12:13], vcc, exec
	s_or_b64 s[6:7], s[6:7], s[12:13]
	s_or_b64 exec, exec, s[10:11]
	v_mov_b32_e32 v10, 0
	s_and_saveexec_b64 s[10:11], s[6:7]
	s_cbranch_execnz .LBB185_2282
	s_branch .LBB185_2283
.LBB185_2497:
	s_andn2_saveexec_b64 s[10:11], s[10:11]
	s_cbranch_execz .LBB185_2388
.LBB185_2498:
	s_mov_b32 s13, 0x46000000
	v_add_f32_e64 v6, |v5|, s13
	v_and_b32_e32 v6, 0xff, v6
	v_cmp_ne_u32_e32 vcc, 0, v6
	s_andn2_b64 s[6:7], s[6:7], exec
	s_and_b64 s[16:17], vcc, exec
	s_or_b64 s[6:7], s[6:7], s[16:17]
	s_or_b64 exec, exec, s[10:11]
	v_mov_b32_e32 v7, 0
	s_and_saveexec_b64 s[10:11], s[6:7]
	s_cbranch_execnz .LBB185_2389
	s_branch .LBB185_2390
.LBB185_2499:
	s_mov_b64 s[2:3], 0
	s_or_b64 s[8:9], s[8:9], exec
	s_trap 2
	s_branch .LBB185_2434
.LBB185_2500:
	s_andn2_saveexec_b64 s[6:7], s[6:7]
	s_cbranch_execz .LBB185_2400
.LBB185_2501:
	s_mov_b32 s10, 0x42800000
	v_add_f32_e64 v6, |v5|, s10
	v_and_b32_e32 v6, 0xff, v6
	v_cmp_ne_u32_e32 vcc, 0, v6
	s_andn2_b64 s[4:5], s[4:5], exec
	s_and_b64 s[10:11], vcc, exec
	s_or_b64 s[4:5], s[4:5], s[10:11]
	s_or_b64 exec, exec, s[6:7]
	v_mov_b32_e32 v7, 0
	s_and_saveexec_b64 s[6:7], s[4:5]
	s_cbranch_execnz .LBB185_2401
	s_branch .LBB185_2402
	.section	.rodata,"a",@progbits
	.p2align	6, 0x0
	.amdhsa_kernel _ZN2at6native32elementwise_kernel_manual_unrollILi128ELi4EZNS0_15gpu_kernel_implIZZZNS0_17rsqrt_kernel_cudaERNS_18TensorIteratorBaseEENKUlvE_clEvENKUlvE1_clEvEUlN3c107complexINS7_4HalfEEEE_EEvS4_RKT_EUlibE0_EEviT1_
		.amdhsa_group_segment_fixed_size 0
		.amdhsa_private_segment_fixed_size 0
		.amdhsa_kernarg_size 360
		.amdhsa_user_sgpr_count 2
		.amdhsa_user_sgpr_dispatch_ptr 0
		.amdhsa_user_sgpr_queue_ptr 0
		.amdhsa_user_sgpr_kernarg_segment_ptr 1
		.amdhsa_user_sgpr_dispatch_id 0
		.amdhsa_user_sgpr_kernarg_preload_length 0
		.amdhsa_user_sgpr_kernarg_preload_offset 0
		.amdhsa_user_sgpr_private_segment_size 0
		.amdhsa_uses_dynamic_stack 0
		.amdhsa_enable_private_segment 0
		.amdhsa_system_sgpr_workgroup_id_x 1
		.amdhsa_system_sgpr_workgroup_id_y 0
		.amdhsa_system_sgpr_workgroup_id_z 0
		.amdhsa_system_sgpr_workgroup_info 0
		.amdhsa_system_vgpr_workitem_id 0
		.amdhsa_next_free_vgpr 27
		.amdhsa_next_free_sgpr 78
		.amdhsa_accum_offset 28
		.amdhsa_reserve_vcc 1
		.amdhsa_float_round_mode_32 0
		.amdhsa_float_round_mode_16_64 0
		.amdhsa_float_denorm_mode_32 3
		.amdhsa_float_denorm_mode_16_64 3
		.amdhsa_dx10_clamp 1
		.amdhsa_ieee_mode 1
		.amdhsa_fp16_overflow 0
		.amdhsa_tg_split 0
		.amdhsa_exception_fp_ieee_invalid_op 0
		.amdhsa_exception_fp_denorm_src 0
		.amdhsa_exception_fp_ieee_div_zero 0
		.amdhsa_exception_fp_ieee_overflow 0
		.amdhsa_exception_fp_ieee_underflow 0
		.amdhsa_exception_fp_ieee_inexact 0
		.amdhsa_exception_int_div_zero 0
	.end_amdhsa_kernel
	.section	.text._ZN2at6native32elementwise_kernel_manual_unrollILi128ELi4EZNS0_15gpu_kernel_implIZZZNS0_17rsqrt_kernel_cudaERNS_18TensorIteratorBaseEENKUlvE_clEvENKUlvE1_clEvEUlN3c107complexINS7_4HalfEEEE_EEvS4_RKT_EUlibE0_EEviT1_,"axG",@progbits,_ZN2at6native32elementwise_kernel_manual_unrollILi128ELi4EZNS0_15gpu_kernel_implIZZZNS0_17rsqrt_kernel_cudaERNS_18TensorIteratorBaseEENKUlvE_clEvENKUlvE1_clEvEUlN3c107complexINS7_4HalfEEEE_EEvS4_RKT_EUlibE0_EEviT1_,comdat
.Lfunc_end185:
	.size	_ZN2at6native32elementwise_kernel_manual_unrollILi128ELi4EZNS0_15gpu_kernel_implIZZZNS0_17rsqrt_kernel_cudaERNS_18TensorIteratorBaseEENKUlvE_clEvENKUlvE1_clEvEUlN3c107complexINS7_4HalfEEEE_EEvS4_RKT_EUlibE0_EEviT1_, .Lfunc_end185-_ZN2at6native32elementwise_kernel_manual_unrollILi128ELi4EZNS0_15gpu_kernel_implIZZZNS0_17rsqrt_kernel_cudaERNS_18TensorIteratorBaseEENKUlvE_clEvENKUlvE1_clEvEUlN3c107complexINS7_4HalfEEEE_EEvS4_RKT_EUlibE0_EEviT1_
                                        ; -- End function
	.set _ZN2at6native32elementwise_kernel_manual_unrollILi128ELi4EZNS0_15gpu_kernel_implIZZZNS0_17rsqrt_kernel_cudaERNS_18TensorIteratorBaseEENKUlvE_clEvENKUlvE1_clEvEUlN3c107complexINS7_4HalfEEEE_EEvS4_RKT_EUlibE0_EEviT1_.num_vgpr, 27
	.set _ZN2at6native32elementwise_kernel_manual_unrollILi128ELi4EZNS0_15gpu_kernel_implIZZZNS0_17rsqrt_kernel_cudaERNS_18TensorIteratorBaseEENKUlvE_clEvENKUlvE1_clEvEUlN3c107complexINS7_4HalfEEEE_EEvS4_RKT_EUlibE0_EEviT1_.num_agpr, 0
	.set _ZN2at6native32elementwise_kernel_manual_unrollILi128ELi4EZNS0_15gpu_kernel_implIZZZNS0_17rsqrt_kernel_cudaERNS_18TensorIteratorBaseEENKUlvE_clEvENKUlvE1_clEvEUlN3c107complexINS7_4HalfEEEE_EEvS4_RKT_EUlibE0_EEviT1_.numbered_sgpr, 78
	.set _ZN2at6native32elementwise_kernel_manual_unrollILi128ELi4EZNS0_15gpu_kernel_implIZZZNS0_17rsqrt_kernel_cudaERNS_18TensorIteratorBaseEENKUlvE_clEvENKUlvE1_clEvEUlN3c107complexINS7_4HalfEEEE_EEvS4_RKT_EUlibE0_EEviT1_.num_named_barrier, 0
	.set _ZN2at6native32elementwise_kernel_manual_unrollILi128ELi4EZNS0_15gpu_kernel_implIZZZNS0_17rsqrt_kernel_cudaERNS_18TensorIteratorBaseEENKUlvE_clEvENKUlvE1_clEvEUlN3c107complexINS7_4HalfEEEE_EEvS4_RKT_EUlibE0_EEviT1_.private_seg_size, 0
	.set _ZN2at6native32elementwise_kernel_manual_unrollILi128ELi4EZNS0_15gpu_kernel_implIZZZNS0_17rsqrt_kernel_cudaERNS_18TensorIteratorBaseEENKUlvE_clEvENKUlvE1_clEvEUlN3c107complexINS7_4HalfEEEE_EEvS4_RKT_EUlibE0_EEviT1_.uses_vcc, 1
	.set _ZN2at6native32elementwise_kernel_manual_unrollILi128ELi4EZNS0_15gpu_kernel_implIZZZNS0_17rsqrt_kernel_cudaERNS_18TensorIteratorBaseEENKUlvE_clEvENKUlvE1_clEvEUlN3c107complexINS7_4HalfEEEE_EEvS4_RKT_EUlibE0_EEviT1_.uses_flat_scratch, 0
	.set _ZN2at6native32elementwise_kernel_manual_unrollILi128ELi4EZNS0_15gpu_kernel_implIZZZNS0_17rsqrt_kernel_cudaERNS_18TensorIteratorBaseEENKUlvE_clEvENKUlvE1_clEvEUlN3c107complexINS7_4HalfEEEE_EEvS4_RKT_EUlibE0_EEviT1_.has_dyn_sized_stack, 0
	.set _ZN2at6native32elementwise_kernel_manual_unrollILi128ELi4EZNS0_15gpu_kernel_implIZZZNS0_17rsqrt_kernel_cudaERNS_18TensorIteratorBaseEENKUlvE_clEvENKUlvE1_clEvEUlN3c107complexINS7_4HalfEEEE_EEvS4_RKT_EUlibE0_EEviT1_.has_recursion, 0
	.set _ZN2at6native32elementwise_kernel_manual_unrollILi128ELi4EZNS0_15gpu_kernel_implIZZZNS0_17rsqrt_kernel_cudaERNS_18TensorIteratorBaseEENKUlvE_clEvENKUlvE1_clEvEUlN3c107complexINS7_4HalfEEEE_EEvS4_RKT_EUlibE0_EEviT1_.has_indirect_call, 0
	.section	.AMDGPU.csdata,"",@progbits
; Kernel info:
; codeLenInByte = 57300
; TotalNumSgprs: 84
; NumVgprs: 27
; NumAgprs: 0
; TotalNumVgprs: 27
; ScratchSize: 0
; MemoryBound: 0
; FloatMode: 240
; IeeeMode: 1
; LDSByteSize: 0 bytes/workgroup (compile time only)
; SGPRBlocks: 10
; VGPRBlocks: 3
; NumSGPRsForWavesPerEU: 84
; NumVGPRsForWavesPerEU: 27
; AccumOffset: 28
; Occupancy: 8
; WaveLimiterHint : 1
; COMPUTE_PGM_RSRC2:SCRATCH_EN: 0
; COMPUTE_PGM_RSRC2:USER_SGPR: 2
; COMPUTE_PGM_RSRC2:TRAP_HANDLER: 0
; COMPUTE_PGM_RSRC2:TGID_X_EN: 1
; COMPUTE_PGM_RSRC2:TGID_Y_EN: 0
; COMPUTE_PGM_RSRC2:TGID_Z_EN: 0
; COMPUTE_PGM_RSRC2:TIDIG_COMP_CNT: 0
; COMPUTE_PGM_RSRC3_GFX90A:ACCUM_OFFSET: 6
; COMPUTE_PGM_RSRC3_GFX90A:TG_SPLIT: 0
	.section	.text._ZN2at6native29vectorized_elementwise_kernelILi16EZZZNS0_17rsqrt_kernel_cudaERNS_18TensorIteratorBaseEENKUlvE0_clEvENKUlvE_clEvEUldE_St5arrayIPcLm2EEEEviT0_T1_,"axG",@progbits,_ZN2at6native29vectorized_elementwise_kernelILi16EZZZNS0_17rsqrt_kernel_cudaERNS_18TensorIteratorBaseEENKUlvE0_clEvENKUlvE_clEvEUldE_St5arrayIPcLm2EEEEviT0_T1_,comdat
	.globl	_ZN2at6native29vectorized_elementwise_kernelILi16EZZZNS0_17rsqrt_kernel_cudaERNS_18TensorIteratorBaseEENKUlvE0_clEvENKUlvE_clEvEUldE_St5arrayIPcLm2EEEEviT0_T1_ ; -- Begin function _ZN2at6native29vectorized_elementwise_kernelILi16EZZZNS0_17rsqrt_kernel_cudaERNS_18TensorIteratorBaseEENKUlvE0_clEvENKUlvE_clEvEUldE_St5arrayIPcLm2EEEEviT0_T1_
	.p2align	8
	.type	_ZN2at6native29vectorized_elementwise_kernelILi16EZZZNS0_17rsqrt_kernel_cudaERNS_18TensorIteratorBaseEENKUlvE0_clEvENKUlvE_clEvEUldE_St5arrayIPcLm2EEEEviT0_T1_,@function
_ZN2at6native29vectorized_elementwise_kernelILi16EZZZNS0_17rsqrt_kernel_cudaERNS_18TensorIteratorBaseEENKUlvE0_clEvENKUlvE_clEvEUldE_St5arrayIPcLm2EEEEviT0_T1_: ; @_ZN2at6native29vectorized_elementwise_kernelILi16EZZZNS0_17rsqrt_kernel_cudaERNS_18TensorIteratorBaseEENKUlvE0_clEvENKUlvE_clEvEUldE_St5arrayIPcLm2EEEEviT0_T1_
; %bb.0:
	s_load_dword s3, s[0:1], 0x0
	s_load_dwordx4 s[4:7], s[0:1], 0x8
	s_lshl_b32 s2, s2, 10
	s_mov_b64 s[0:1], -1
	s_waitcnt lgkmcnt(0)
	s_sub_i32 s10, s3, s2
	s_cmpk_gt_i32 s10, 0x3ff
	s_cbranch_scc0 .LBB186_2
; %bb.1:
	s_ashr_i32 s3, s2, 31
	s_lshl_b64 s[0:1], s[2:3], 3
	s_add_u32 s8, s6, s0
	s_addc_u32 s9, s7, s1
	v_lshlrev_b32_e32 v1, 5, v0
	global_load_dwordx4 v[2:5], v1, s[8:9]
	global_load_dwordx4 v[6:9], v1, s[8:9] offset:16
	s_mov_b32 s8, 0
	s_mov_b32 s9, 0x3fd80000
	v_mov_b32_e32 v26, 0x180
	s_add_u32 s0, s4, s0
	s_addc_u32 s1, s5, s1
	s_waitcnt vmcnt(1)
	v_rsq_f64_e32 v[10:11], v[2:3]
	v_rsq_f64_e32 v[12:13], v[4:5]
	s_waitcnt vmcnt(0)
	v_rsq_f64_e32 v[14:15], v[6:7]
	v_rsq_f64_e32 v[16:17], v[8:9]
	v_mul_f64 v[2:3], v[10:11], -v[2:3]
	v_mul_f64 v[4:5], v[12:13], -v[4:5]
	v_fma_f64 v[2:3], v[2:3], v[10:11], 1.0
	v_mul_f64 v[6:7], v[14:15], -v[6:7]
	v_fma_f64 v[4:5], v[4:5], v[12:13], 1.0
	v_mul_f64 v[18:19], v[10:11], v[2:3]
	v_fma_f64 v[2:3], v[2:3], s[8:9], 0.5
	v_mul_f64 v[8:9], v[16:17], -v[8:9]
	v_fma_f64 v[6:7], v[6:7], v[14:15], 1.0
	v_mul_f64 v[20:21], v[12:13], v[4:5]
	v_fma_f64 v[4:5], v[4:5], s[8:9], 0.5
	v_fma_f64 v[2:3], v[18:19], v[2:3], v[10:11]
	v_cmp_class_f64_e32 vcc, v[10:11], v26
	v_fma_f64 v[8:9], v[8:9], v[16:17], 1.0
	v_mul_f64 v[22:23], v[14:15], v[6:7]
	v_fma_f64 v[6:7], v[6:7], s[8:9], 0.5
	v_fma_f64 v[4:5], v[20:21], v[4:5], v[12:13]
	v_cndmask_b32_e32 v3, v11, v3, vcc
	v_cndmask_b32_e32 v2, v10, v2, vcc
	v_cmp_class_f64_e32 vcc, v[12:13], v26
	v_mul_f64 v[24:25], v[16:17], v[8:9]
	v_fma_f64 v[8:9], v[8:9], s[8:9], 0.5
	v_fma_f64 v[6:7], v[22:23], v[6:7], v[14:15]
	v_cndmask_b32_e32 v5, v13, v5, vcc
	v_cndmask_b32_e32 v4, v12, v4, vcc
	v_cmp_class_f64_e32 vcc, v[14:15], v26
	v_fma_f64 v[8:9], v[24:25], v[8:9], v[16:17]
	s_nop 0
	v_cndmask_b32_e32 v7, v15, v7, vcc
	v_cndmask_b32_e32 v6, v14, v6, vcc
	v_cmp_class_f64_e32 vcc, v[16:17], v26
	s_nop 1
	v_cndmask_b32_e32 v9, v17, v9, vcc
	v_cndmask_b32_e32 v8, v16, v8, vcc
	global_store_dwordx4 v1, v[2:5], s[0:1]
	global_store_dwordx4 v1, v[6:9], s[0:1] offset:16
	s_mov_b64 s[0:1], 0
.LBB186_2:
	s_andn2_b64 vcc, exec, s[0:1]
	s_cbranch_vccnz .LBB186_23
; %bb.3:
	v_cmp_gt_i32_e32 vcc, s10, v0
	v_mov_b64_e32 v[14:15], 0
	v_or_b32_e32 v10, s2, v0
	v_mov_b64_e32 v[18:19], 0
	v_mov_b32_e32 v1, v0
	s_and_saveexec_b64 s[0:1], vcc
	s_cbranch_execz .LBB186_5
; %bb.4:
	v_mov_b32_e32 v11, 0
	v_lshl_add_u64 v[2:3], v[10:11], 3, s[6:7]
	global_load_dwordx2 v[18:19], v[2:3], off
	v_or_b32_e32 v1, 0x100, v0
.LBB186_5:
	s_or_b64 exec, exec, s[0:1]
	v_cmp_gt_i32_e64 s[0:1], s10, v1
	s_and_saveexec_b64 s[8:9], s[0:1]
	s_cbranch_execz .LBB186_7
; %bb.6:
	v_add_u32_e32 v2, s2, v1
	v_mov_b32_e32 v3, 0
	v_lshl_add_u64 v[2:3], v[2:3], 3, s[6:7]
	global_load_dwordx2 v[14:15], v[2:3], off
	v_add_u32_e32 v1, 0x100, v1
.LBB186_7:
	s_or_b64 exec, exec, s[8:9]
	v_cmp_gt_i32_e64 s[0:1], s10, v1
	v_mov_b64_e32 v[12:13], 0
	v_mov_b64_e32 v[16:17], 0
	s_and_saveexec_b64 s[8:9], s[0:1]
	s_cbranch_execz .LBB186_9
; %bb.8:
	v_add_u32_e32 v2, s2, v1
	v_mov_b32_e32 v3, 0
	v_lshl_add_u64 v[2:3], v[2:3], 3, s[6:7]
	global_load_dwordx2 v[16:17], v[2:3], off
	v_add_u32_e32 v1, 0x100, v1
.LBB186_9:
	s_or_b64 exec, exec, s[8:9]
	v_cmp_gt_i32_e64 s[0:1], s10, v1
	s_and_saveexec_b64 s[8:9], s[0:1]
	s_cbranch_execz .LBB186_11
; %bb.10:
	v_add_u32_e32 v2, s2, v1
	v_mov_b32_e32 v3, 0
	v_lshl_add_u64 v[2:3], v[2:3], 3, s[6:7]
	global_load_dwordx2 v[12:13], v[2:3], off
.LBB186_11:
	s_or_b64 exec, exec, s[8:9]
	v_mov_b32_e32 v2, 0
	v_mov_b32_e32 v3, v2
	;; [unrolled: 1-line block ×8, first 2 shown]
	s_and_saveexec_b64 s[6:7], vcc
	s_cbranch_execz .LBB186_13
; %bb.12:
	s_waitcnt vmcnt(0)
	v_rsq_f64_e32 v[4:5], v[18:19]
	s_mov_b32 s0, 0
	s_mov_b32 s1, 0x3fd80000
	v_mov_b32_e32 v1, 0x180
	v_mul_f64 v[6:7], v[4:5], -v[18:19]
	v_fma_f64 v[6:7], v[6:7], v[4:5], 1.0
	v_mul_f64 v[8:9], v[4:5], v[6:7]
	v_fma_f64 v[6:7], v[6:7], s[0:1], 0.5
	v_fma_f64 v[6:7], v[8:9], v[6:7], v[4:5]
	v_cmp_class_f64_e64 s[0:1], v[4:5], v1
	v_mov_b32_e32 v20, v2
	v_mov_b32_e32 v21, v2
	v_cndmask_b32_e64 v19, v5, v7, s[0:1]
	v_cndmask_b32_e64 v18, v4, v6, s[0:1]
	v_mov_b32_e32 v22, v2
	v_mov_b32_e32 v23, v2
	;; [unrolled: 1-line block ×4, first 2 shown]
	v_mov_b64_e32 v[2:3], v[18:19]
	v_mov_b64_e32 v[4:5], v[20:21]
	v_mov_b64_e32 v[6:7], v[22:23]
	v_mov_b64_e32 v[8:9], v[24:25]
.LBB186_13:
	s_or_b64 exec, exec, s[6:7]
	v_or_b32_e32 v1, 0x100, v0
	v_cmp_gt_i32_e64 s[0:1], s10, v1
	s_and_saveexec_b64 s[6:7], s[0:1]
	s_cbranch_execz .LBB186_15
; %bb.14:
	s_waitcnt vmcnt(0)
	v_rsq_f64_e32 v[4:5], v[14:15]
	s_mov_b32 s0, 0
	s_mov_b32 s1, 0x3fd80000
	v_mov_b32_e32 v11, 0x180
	v_mul_f64 v[14:15], v[4:5], -v[14:15]
	v_fma_f64 v[14:15], v[14:15], v[4:5], 1.0
	v_mul_f64 v[18:19], v[4:5], v[14:15]
	v_fma_f64 v[14:15], v[14:15], s[0:1], 0.5
	v_fma_f64 v[14:15], v[18:19], v[14:15], v[4:5]
	v_cmp_class_f64_e64 s[0:1], v[4:5], v11
	s_nop 1
	v_cndmask_b32_e64 v5, v5, v15, s[0:1]
	v_cndmask_b32_e64 v4, v4, v14, s[0:1]
.LBB186_15:
	s_or_b64 exec, exec, s[6:7]
	v_or_b32_e32 v11, 0x200, v0
	v_cmp_gt_i32_e64 s[0:1], s10, v11
	s_and_saveexec_b64 s[6:7], s[0:1]
	s_cbranch_execz .LBB186_17
; %bb.16:
	s_waitcnt vmcnt(0)
	v_rsq_f64_e32 v[6:7], v[16:17]
	s_mov_b32 s0, 0
	s_mov_b32 s1, 0x3fd80000
	v_mov_b32_e32 v11, 0x180
	v_mul_f64 v[14:15], v[6:7], -v[16:17]
	v_fma_f64 v[14:15], v[14:15], v[6:7], 1.0
	v_mul_f64 v[16:17], v[6:7], v[14:15]
	v_fma_f64 v[14:15], v[14:15], s[0:1], 0.5
	v_fma_f64 v[14:15], v[16:17], v[14:15], v[6:7]
	v_cmp_class_f64_e64 s[0:1], v[6:7], v11
	s_nop 1
	v_cndmask_b32_e64 v7, v7, v15, s[0:1]
	v_cndmask_b32_e64 v6, v6, v14, s[0:1]
.LBB186_17:
	s_or_b64 exec, exec, s[6:7]
	v_or_b32_e32 v11, 0x300, v0
	v_cmp_gt_i32_e64 s[0:1], s10, v11
	s_and_saveexec_b64 s[6:7], s[0:1]
	s_cbranch_execnz .LBB186_24
; %bb.18:
	s_or_b64 exec, exec, s[6:7]
	s_and_saveexec_b64 s[0:1], vcc
	s_xor_b64 s[0:1], exec, s[0:1]
	s_cbranch_execnz .LBB186_25
.LBB186_19:
	s_or_b64 exec, exec, s[0:1]
	v_cmp_gt_i32_e32 vcc, s10, v0
	s_and_saveexec_b64 s[0:1], vcc
	s_cbranch_execnz .LBB186_26
.LBB186_20:
	s_or_b64 exec, exec, s[0:1]
	v_cmp_gt_i32_e32 vcc, s10, v0
	s_and_saveexec_b64 s[0:1], vcc
	s_cbranch_execnz .LBB186_27
.LBB186_21:
	s_or_b64 exec, exec, s[0:1]
	v_cmp_gt_i32_e32 vcc, s10, v0
	s_and_saveexec_b64 s[0:1], vcc
	s_cbranch_execz .LBB186_23
.LBB186_22:
	v_add_u32_e32 v0, s2, v0
	v_mov_b32_e32 v1, 0
	v_lshl_add_u64 v[0:1], v[0:1], 3, s[4:5]
	global_store_dwordx2 v[0:1], v[8:9], off
.LBB186_23:
	s_endpgm
.LBB186_24:
	s_waitcnt vmcnt(0)
	v_rsq_f64_e32 v[8:9], v[12:13]
	s_mov_b32 s0, 0
	s_mov_b32 s1, 0x3fd80000
	v_mov_b32_e32 v11, 0x180
	v_mul_f64 v[12:13], v[8:9], -v[12:13]
	v_fma_f64 v[12:13], v[12:13], v[8:9], 1.0
	v_mul_f64 v[14:15], v[8:9], v[12:13]
	v_fma_f64 v[12:13], v[12:13], s[0:1], 0.5
	v_fma_f64 v[12:13], v[14:15], v[12:13], v[8:9]
	v_cmp_class_f64_e64 s[0:1], v[8:9], v11
	s_nop 1
	v_cndmask_b32_e64 v9, v9, v13, s[0:1]
	v_cndmask_b32_e64 v8, v8, v12, s[0:1]
	s_or_b64 exec, exec, s[6:7]
	s_and_saveexec_b64 s[0:1], vcc
	s_xor_b64 s[0:1], exec, s[0:1]
	s_cbranch_execz .LBB186_19
.LBB186_25:
	v_mov_b32_e32 v11, 0
	v_lshl_add_u64 v[10:11], v[10:11], 3, s[4:5]
	v_mov_b32_e32 v0, v1
	global_store_dwordx2 v[10:11], v[2:3], off
	s_or_b64 exec, exec, s[0:1]
	v_cmp_gt_i32_e32 vcc, s10, v0
	s_and_saveexec_b64 s[0:1], vcc
	s_cbranch_execz .LBB186_20
.LBB186_26:
	v_add_u32_e32 v2, s2, v0
	v_mov_b32_e32 v3, 0
	v_lshl_add_u64 v[2:3], v[2:3], 3, s[4:5]
	v_add_u32_e32 v0, 0x100, v0
	global_store_dwordx2 v[2:3], v[4:5], off
	s_or_b64 exec, exec, s[0:1]
	v_cmp_gt_i32_e32 vcc, s10, v0
	s_and_saveexec_b64 s[0:1], vcc
	s_cbranch_execz .LBB186_21
.LBB186_27:
	v_add_u32_e32 v2, s2, v0
	v_mov_b32_e32 v3, 0
	v_lshl_add_u64 v[2:3], v[2:3], 3, s[4:5]
	v_add_u32_e32 v0, 0x100, v0
	global_store_dwordx2 v[2:3], v[6:7], off
	s_or_b64 exec, exec, s[0:1]
	v_cmp_gt_i32_e32 vcc, s10, v0
	s_and_saveexec_b64 s[0:1], vcc
	s_cbranch_execnz .LBB186_22
	s_branch .LBB186_23
	.section	.rodata,"a",@progbits
	.p2align	6, 0x0
	.amdhsa_kernel _ZN2at6native29vectorized_elementwise_kernelILi16EZZZNS0_17rsqrt_kernel_cudaERNS_18TensorIteratorBaseEENKUlvE0_clEvENKUlvE_clEvEUldE_St5arrayIPcLm2EEEEviT0_T1_
		.amdhsa_group_segment_fixed_size 0
		.amdhsa_private_segment_fixed_size 0
		.amdhsa_kernarg_size 24
		.amdhsa_user_sgpr_count 2
		.amdhsa_user_sgpr_dispatch_ptr 0
		.amdhsa_user_sgpr_queue_ptr 0
		.amdhsa_user_sgpr_kernarg_segment_ptr 1
		.amdhsa_user_sgpr_dispatch_id 0
		.amdhsa_user_sgpr_kernarg_preload_length 0
		.amdhsa_user_sgpr_kernarg_preload_offset 0
		.amdhsa_user_sgpr_private_segment_size 0
		.amdhsa_uses_dynamic_stack 0
		.amdhsa_enable_private_segment 0
		.amdhsa_system_sgpr_workgroup_id_x 1
		.amdhsa_system_sgpr_workgroup_id_y 0
		.amdhsa_system_sgpr_workgroup_id_z 0
		.amdhsa_system_sgpr_workgroup_info 0
		.amdhsa_system_vgpr_workitem_id 0
		.amdhsa_next_free_vgpr 27
		.amdhsa_next_free_sgpr 11
		.amdhsa_accum_offset 28
		.amdhsa_reserve_vcc 1
		.amdhsa_float_round_mode_32 0
		.amdhsa_float_round_mode_16_64 0
		.amdhsa_float_denorm_mode_32 3
		.amdhsa_float_denorm_mode_16_64 3
		.amdhsa_dx10_clamp 1
		.amdhsa_ieee_mode 1
		.amdhsa_fp16_overflow 0
		.amdhsa_tg_split 0
		.amdhsa_exception_fp_ieee_invalid_op 0
		.amdhsa_exception_fp_denorm_src 0
		.amdhsa_exception_fp_ieee_div_zero 0
		.amdhsa_exception_fp_ieee_overflow 0
		.amdhsa_exception_fp_ieee_underflow 0
		.amdhsa_exception_fp_ieee_inexact 0
		.amdhsa_exception_int_div_zero 0
	.end_amdhsa_kernel
	.section	.text._ZN2at6native29vectorized_elementwise_kernelILi16EZZZNS0_17rsqrt_kernel_cudaERNS_18TensorIteratorBaseEENKUlvE0_clEvENKUlvE_clEvEUldE_St5arrayIPcLm2EEEEviT0_T1_,"axG",@progbits,_ZN2at6native29vectorized_elementwise_kernelILi16EZZZNS0_17rsqrt_kernel_cudaERNS_18TensorIteratorBaseEENKUlvE0_clEvENKUlvE_clEvEUldE_St5arrayIPcLm2EEEEviT0_T1_,comdat
.Lfunc_end186:
	.size	_ZN2at6native29vectorized_elementwise_kernelILi16EZZZNS0_17rsqrt_kernel_cudaERNS_18TensorIteratorBaseEENKUlvE0_clEvENKUlvE_clEvEUldE_St5arrayIPcLm2EEEEviT0_T1_, .Lfunc_end186-_ZN2at6native29vectorized_elementwise_kernelILi16EZZZNS0_17rsqrt_kernel_cudaERNS_18TensorIteratorBaseEENKUlvE0_clEvENKUlvE_clEvEUldE_St5arrayIPcLm2EEEEviT0_T1_
                                        ; -- End function
	.set _ZN2at6native29vectorized_elementwise_kernelILi16EZZZNS0_17rsqrt_kernel_cudaERNS_18TensorIteratorBaseEENKUlvE0_clEvENKUlvE_clEvEUldE_St5arrayIPcLm2EEEEviT0_T1_.num_vgpr, 27
	.set _ZN2at6native29vectorized_elementwise_kernelILi16EZZZNS0_17rsqrt_kernel_cudaERNS_18TensorIteratorBaseEENKUlvE0_clEvENKUlvE_clEvEUldE_St5arrayIPcLm2EEEEviT0_T1_.num_agpr, 0
	.set _ZN2at6native29vectorized_elementwise_kernelILi16EZZZNS0_17rsqrt_kernel_cudaERNS_18TensorIteratorBaseEENKUlvE0_clEvENKUlvE_clEvEUldE_St5arrayIPcLm2EEEEviT0_T1_.numbered_sgpr, 11
	.set _ZN2at6native29vectorized_elementwise_kernelILi16EZZZNS0_17rsqrt_kernel_cudaERNS_18TensorIteratorBaseEENKUlvE0_clEvENKUlvE_clEvEUldE_St5arrayIPcLm2EEEEviT0_T1_.num_named_barrier, 0
	.set _ZN2at6native29vectorized_elementwise_kernelILi16EZZZNS0_17rsqrt_kernel_cudaERNS_18TensorIteratorBaseEENKUlvE0_clEvENKUlvE_clEvEUldE_St5arrayIPcLm2EEEEviT0_T1_.private_seg_size, 0
	.set _ZN2at6native29vectorized_elementwise_kernelILi16EZZZNS0_17rsqrt_kernel_cudaERNS_18TensorIteratorBaseEENKUlvE0_clEvENKUlvE_clEvEUldE_St5arrayIPcLm2EEEEviT0_T1_.uses_vcc, 1
	.set _ZN2at6native29vectorized_elementwise_kernelILi16EZZZNS0_17rsqrt_kernel_cudaERNS_18TensorIteratorBaseEENKUlvE0_clEvENKUlvE_clEvEUldE_St5arrayIPcLm2EEEEviT0_T1_.uses_flat_scratch, 0
	.set _ZN2at6native29vectorized_elementwise_kernelILi16EZZZNS0_17rsqrt_kernel_cudaERNS_18TensorIteratorBaseEENKUlvE0_clEvENKUlvE_clEvEUldE_St5arrayIPcLm2EEEEviT0_T1_.has_dyn_sized_stack, 0
	.set _ZN2at6native29vectorized_elementwise_kernelILi16EZZZNS0_17rsqrt_kernel_cudaERNS_18TensorIteratorBaseEENKUlvE0_clEvENKUlvE_clEvEUldE_St5arrayIPcLm2EEEEviT0_T1_.has_recursion, 0
	.set _ZN2at6native29vectorized_elementwise_kernelILi16EZZZNS0_17rsqrt_kernel_cudaERNS_18TensorIteratorBaseEENKUlvE0_clEvENKUlvE_clEvEUldE_St5arrayIPcLm2EEEEviT0_T1_.has_indirect_call, 0
	.section	.AMDGPU.csdata,"",@progbits
; Kernel info:
; codeLenInByte = 1380
; TotalNumSgprs: 17
; NumVgprs: 27
; NumAgprs: 0
; TotalNumVgprs: 27
; ScratchSize: 0
; MemoryBound: 0
; FloatMode: 240
; IeeeMode: 1
; LDSByteSize: 0 bytes/workgroup (compile time only)
; SGPRBlocks: 2
; VGPRBlocks: 3
; NumSGPRsForWavesPerEU: 17
; NumVGPRsForWavesPerEU: 27
; AccumOffset: 28
; Occupancy: 8
; WaveLimiterHint : 0
; COMPUTE_PGM_RSRC2:SCRATCH_EN: 0
; COMPUTE_PGM_RSRC2:USER_SGPR: 2
; COMPUTE_PGM_RSRC2:TRAP_HANDLER: 0
; COMPUTE_PGM_RSRC2:TGID_X_EN: 1
; COMPUTE_PGM_RSRC2:TGID_Y_EN: 0
; COMPUTE_PGM_RSRC2:TGID_Z_EN: 0
; COMPUTE_PGM_RSRC2:TIDIG_COMP_CNT: 0
; COMPUTE_PGM_RSRC3_GFX90A:ACCUM_OFFSET: 6
; COMPUTE_PGM_RSRC3_GFX90A:TG_SPLIT: 0
	.section	.text._ZN2at6native29vectorized_elementwise_kernelILi8EZZZNS0_17rsqrt_kernel_cudaERNS_18TensorIteratorBaseEENKUlvE0_clEvENKUlvE_clEvEUldE_St5arrayIPcLm2EEEEviT0_T1_,"axG",@progbits,_ZN2at6native29vectorized_elementwise_kernelILi8EZZZNS0_17rsqrt_kernel_cudaERNS_18TensorIteratorBaseEENKUlvE0_clEvENKUlvE_clEvEUldE_St5arrayIPcLm2EEEEviT0_T1_,comdat
	.globl	_ZN2at6native29vectorized_elementwise_kernelILi8EZZZNS0_17rsqrt_kernel_cudaERNS_18TensorIteratorBaseEENKUlvE0_clEvENKUlvE_clEvEUldE_St5arrayIPcLm2EEEEviT0_T1_ ; -- Begin function _ZN2at6native29vectorized_elementwise_kernelILi8EZZZNS0_17rsqrt_kernel_cudaERNS_18TensorIteratorBaseEENKUlvE0_clEvENKUlvE_clEvEUldE_St5arrayIPcLm2EEEEviT0_T1_
	.p2align	8
	.type	_ZN2at6native29vectorized_elementwise_kernelILi8EZZZNS0_17rsqrt_kernel_cudaERNS_18TensorIteratorBaseEENKUlvE0_clEvENKUlvE_clEvEUldE_St5arrayIPcLm2EEEEviT0_T1_,@function
_ZN2at6native29vectorized_elementwise_kernelILi8EZZZNS0_17rsqrt_kernel_cudaERNS_18TensorIteratorBaseEENKUlvE0_clEvENKUlvE_clEvEUldE_St5arrayIPcLm2EEEEviT0_T1_: ; @_ZN2at6native29vectorized_elementwise_kernelILi8EZZZNS0_17rsqrt_kernel_cudaERNS_18TensorIteratorBaseEENKUlvE0_clEvENKUlvE_clEvEUldE_St5arrayIPcLm2EEEEviT0_T1_
; %bb.0:
	s_load_dword s3, s[0:1], 0x0
	s_load_dwordx4 s[4:7], s[0:1], 0x8
	s_lshl_b32 s2, s2, 10
	s_mov_b64 s[0:1], -1
	s_waitcnt lgkmcnt(0)
	s_sub_i32 s10, s3, s2
	s_cmpk_gt_i32 s10, 0x3ff
	s_cbranch_scc0 .LBB187_2
; %bb.1:
	s_ashr_i32 s3, s2, 31
	s_lshl_b64 s[0:1], s[2:3], 3
	s_add_u32 s8, s6, s0
	s_addc_u32 s9, s7, s1
	v_lshlrev_b32_e32 v1, 5, v0
	global_load_dwordx4 v[2:5], v1, s[8:9]
	global_load_dwordx4 v[6:9], v1, s[8:9] offset:16
	s_mov_b32 s8, 0
	s_mov_b32 s9, 0x3fd80000
	v_mov_b32_e32 v26, 0x180
	s_add_u32 s0, s4, s0
	s_addc_u32 s1, s5, s1
	s_waitcnt vmcnt(1)
	v_rsq_f64_e32 v[10:11], v[2:3]
	v_rsq_f64_e32 v[12:13], v[4:5]
	s_waitcnt vmcnt(0)
	v_rsq_f64_e32 v[14:15], v[6:7]
	v_rsq_f64_e32 v[16:17], v[8:9]
	v_mul_f64 v[2:3], v[10:11], -v[2:3]
	v_mul_f64 v[4:5], v[12:13], -v[4:5]
	v_fma_f64 v[2:3], v[2:3], v[10:11], 1.0
	v_mul_f64 v[6:7], v[14:15], -v[6:7]
	v_fma_f64 v[4:5], v[4:5], v[12:13], 1.0
	v_mul_f64 v[18:19], v[10:11], v[2:3]
	v_fma_f64 v[2:3], v[2:3], s[8:9], 0.5
	v_mul_f64 v[8:9], v[16:17], -v[8:9]
	v_fma_f64 v[6:7], v[6:7], v[14:15], 1.0
	v_mul_f64 v[20:21], v[12:13], v[4:5]
	v_fma_f64 v[4:5], v[4:5], s[8:9], 0.5
	v_fma_f64 v[2:3], v[18:19], v[2:3], v[10:11]
	v_cmp_class_f64_e32 vcc, v[10:11], v26
	v_fma_f64 v[8:9], v[8:9], v[16:17], 1.0
	v_mul_f64 v[22:23], v[14:15], v[6:7]
	v_fma_f64 v[6:7], v[6:7], s[8:9], 0.5
	v_fma_f64 v[4:5], v[20:21], v[4:5], v[12:13]
	v_cndmask_b32_e32 v3, v11, v3, vcc
	v_cndmask_b32_e32 v2, v10, v2, vcc
	v_cmp_class_f64_e32 vcc, v[12:13], v26
	v_mul_f64 v[24:25], v[16:17], v[8:9]
	v_fma_f64 v[8:9], v[8:9], s[8:9], 0.5
	v_fma_f64 v[6:7], v[22:23], v[6:7], v[14:15]
	v_cndmask_b32_e32 v5, v13, v5, vcc
	v_cndmask_b32_e32 v4, v12, v4, vcc
	v_cmp_class_f64_e32 vcc, v[14:15], v26
	v_fma_f64 v[8:9], v[24:25], v[8:9], v[16:17]
	s_nop 0
	v_cndmask_b32_e32 v7, v15, v7, vcc
	v_cndmask_b32_e32 v6, v14, v6, vcc
	v_cmp_class_f64_e32 vcc, v[16:17], v26
	s_nop 1
	v_cndmask_b32_e32 v9, v17, v9, vcc
	v_cndmask_b32_e32 v8, v16, v8, vcc
	global_store_dwordx4 v1, v[2:5], s[0:1]
	global_store_dwordx4 v1, v[6:9], s[0:1] offset:16
	s_mov_b64 s[0:1], 0
.LBB187_2:
	s_andn2_b64 vcc, exec, s[0:1]
	s_cbranch_vccnz .LBB187_23
; %bb.3:
	v_cmp_gt_i32_e32 vcc, s10, v0
	v_mov_b64_e32 v[14:15], 0
	v_or_b32_e32 v10, s2, v0
	v_mov_b64_e32 v[18:19], 0
	v_mov_b32_e32 v1, v0
	s_and_saveexec_b64 s[0:1], vcc
	s_cbranch_execz .LBB187_5
; %bb.4:
	v_mov_b32_e32 v11, 0
	v_lshl_add_u64 v[2:3], v[10:11], 3, s[6:7]
	global_load_dwordx2 v[18:19], v[2:3], off
	v_or_b32_e32 v1, 0x100, v0
.LBB187_5:
	s_or_b64 exec, exec, s[0:1]
	v_cmp_gt_i32_e64 s[0:1], s10, v1
	s_and_saveexec_b64 s[8:9], s[0:1]
	s_cbranch_execz .LBB187_7
; %bb.6:
	v_add_u32_e32 v2, s2, v1
	v_mov_b32_e32 v3, 0
	v_lshl_add_u64 v[2:3], v[2:3], 3, s[6:7]
	global_load_dwordx2 v[14:15], v[2:3], off
	v_add_u32_e32 v1, 0x100, v1
.LBB187_7:
	s_or_b64 exec, exec, s[8:9]
	v_cmp_gt_i32_e64 s[0:1], s10, v1
	v_mov_b64_e32 v[12:13], 0
	v_mov_b64_e32 v[16:17], 0
	s_and_saveexec_b64 s[8:9], s[0:1]
	s_cbranch_execz .LBB187_9
; %bb.8:
	v_add_u32_e32 v2, s2, v1
	v_mov_b32_e32 v3, 0
	v_lshl_add_u64 v[2:3], v[2:3], 3, s[6:7]
	global_load_dwordx2 v[16:17], v[2:3], off
	v_add_u32_e32 v1, 0x100, v1
.LBB187_9:
	s_or_b64 exec, exec, s[8:9]
	v_cmp_gt_i32_e64 s[0:1], s10, v1
	s_and_saveexec_b64 s[8:9], s[0:1]
	s_cbranch_execz .LBB187_11
; %bb.10:
	v_add_u32_e32 v2, s2, v1
	v_mov_b32_e32 v3, 0
	v_lshl_add_u64 v[2:3], v[2:3], 3, s[6:7]
	global_load_dwordx2 v[12:13], v[2:3], off
.LBB187_11:
	s_or_b64 exec, exec, s[8:9]
	v_mov_b32_e32 v2, 0
	v_mov_b32_e32 v3, v2
	;; [unrolled: 1-line block ×8, first 2 shown]
	s_and_saveexec_b64 s[6:7], vcc
	s_cbranch_execz .LBB187_13
; %bb.12:
	s_waitcnt vmcnt(0)
	v_rsq_f64_e32 v[4:5], v[18:19]
	s_mov_b32 s0, 0
	s_mov_b32 s1, 0x3fd80000
	v_mov_b32_e32 v1, 0x180
	v_mul_f64 v[6:7], v[4:5], -v[18:19]
	v_fma_f64 v[6:7], v[6:7], v[4:5], 1.0
	v_mul_f64 v[8:9], v[4:5], v[6:7]
	v_fma_f64 v[6:7], v[6:7], s[0:1], 0.5
	v_fma_f64 v[6:7], v[8:9], v[6:7], v[4:5]
	v_cmp_class_f64_e64 s[0:1], v[4:5], v1
	v_mov_b32_e32 v20, v2
	v_mov_b32_e32 v21, v2
	v_cndmask_b32_e64 v19, v5, v7, s[0:1]
	v_cndmask_b32_e64 v18, v4, v6, s[0:1]
	v_mov_b32_e32 v22, v2
	v_mov_b32_e32 v23, v2
	;; [unrolled: 1-line block ×4, first 2 shown]
	v_mov_b64_e32 v[2:3], v[18:19]
	v_mov_b64_e32 v[4:5], v[20:21]
	;; [unrolled: 1-line block ×4, first 2 shown]
.LBB187_13:
	s_or_b64 exec, exec, s[6:7]
	v_or_b32_e32 v1, 0x100, v0
	v_cmp_gt_i32_e64 s[0:1], s10, v1
	s_and_saveexec_b64 s[6:7], s[0:1]
	s_cbranch_execz .LBB187_15
; %bb.14:
	s_waitcnt vmcnt(0)
	v_rsq_f64_e32 v[4:5], v[14:15]
	s_mov_b32 s0, 0
	s_mov_b32 s1, 0x3fd80000
	v_mov_b32_e32 v11, 0x180
	v_mul_f64 v[14:15], v[4:5], -v[14:15]
	v_fma_f64 v[14:15], v[14:15], v[4:5], 1.0
	v_mul_f64 v[18:19], v[4:5], v[14:15]
	v_fma_f64 v[14:15], v[14:15], s[0:1], 0.5
	v_fma_f64 v[14:15], v[18:19], v[14:15], v[4:5]
	v_cmp_class_f64_e64 s[0:1], v[4:5], v11
	s_nop 1
	v_cndmask_b32_e64 v5, v5, v15, s[0:1]
	v_cndmask_b32_e64 v4, v4, v14, s[0:1]
.LBB187_15:
	s_or_b64 exec, exec, s[6:7]
	v_or_b32_e32 v11, 0x200, v0
	v_cmp_gt_i32_e64 s[0:1], s10, v11
	s_and_saveexec_b64 s[6:7], s[0:1]
	s_cbranch_execz .LBB187_17
; %bb.16:
	s_waitcnt vmcnt(0)
	v_rsq_f64_e32 v[6:7], v[16:17]
	s_mov_b32 s0, 0
	s_mov_b32 s1, 0x3fd80000
	v_mov_b32_e32 v11, 0x180
	v_mul_f64 v[14:15], v[6:7], -v[16:17]
	v_fma_f64 v[14:15], v[14:15], v[6:7], 1.0
	v_mul_f64 v[16:17], v[6:7], v[14:15]
	v_fma_f64 v[14:15], v[14:15], s[0:1], 0.5
	v_fma_f64 v[14:15], v[16:17], v[14:15], v[6:7]
	v_cmp_class_f64_e64 s[0:1], v[6:7], v11
	s_nop 1
	v_cndmask_b32_e64 v7, v7, v15, s[0:1]
	v_cndmask_b32_e64 v6, v6, v14, s[0:1]
.LBB187_17:
	s_or_b64 exec, exec, s[6:7]
	v_or_b32_e32 v11, 0x300, v0
	v_cmp_gt_i32_e64 s[0:1], s10, v11
	s_and_saveexec_b64 s[6:7], s[0:1]
	s_cbranch_execnz .LBB187_24
; %bb.18:
	s_or_b64 exec, exec, s[6:7]
	s_and_saveexec_b64 s[0:1], vcc
	s_xor_b64 s[0:1], exec, s[0:1]
	s_cbranch_execnz .LBB187_25
.LBB187_19:
	s_or_b64 exec, exec, s[0:1]
	v_cmp_gt_i32_e32 vcc, s10, v0
	s_and_saveexec_b64 s[0:1], vcc
	s_cbranch_execnz .LBB187_26
.LBB187_20:
	s_or_b64 exec, exec, s[0:1]
	v_cmp_gt_i32_e32 vcc, s10, v0
	s_and_saveexec_b64 s[0:1], vcc
	s_cbranch_execnz .LBB187_27
.LBB187_21:
	s_or_b64 exec, exec, s[0:1]
	v_cmp_gt_i32_e32 vcc, s10, v0
	s_and_saveexec_b64 s[0:1], vcc
	s_cbranch_execz .LBB187_23
.LBB187_22:
	v_add_u32_e32 v0, s2, v0
	v_mov_b32_e32 v1, 0
	v_lshl_add_u64 v[0:1], v[0:1], 3, s[4:5]
	global_store_dwordx2 v[0:1], v[8:9], off
.LBB187_23:
	s_endpgm
.LBB187_24:
	s_waitcnt vmcnt(0)
	v_rsq_f64_e32 v[8:9], v[12:13]
	s_mov_b32 s0, 0
	s_mov_b32 s1, 0x3fd80000
	v_mov_b32_e32 v11, 0x180
	v_mul_f64 v[12:13], v[8:9], -v[12:13]
	v_fma_f64 v[12:13], v[12:13], v[8:9], 1.0
	v_mul_f64 v[14:15], v[8:9], v[12:13]
	v_fma_f64 v[12:13], v[12:13], s[0:1], 0.5
	v_fma_f64 v[12:13], v[14:15], v[12:13], v[8:9]
	v_cmp_class_f64_e64 s[0:1], v[8:9], v11
	s_nop 1
	v_cndmask_b32_e64 v9, v9, v13, s[0:1]
	v_cndmask_b32_e64 v8, v8, v12, s[0:1]
	s_or_b64 exec, exec, s[6:7]
	s_and_saveexec_b64 s[0:1], vcc
	s_xor_b64 s[0:1], exec, s[0:1]
	s_cbranch_execz .LBB187_19
.LBB187_25:
	v_mov_b32_e32 v11, 0
	v_lshl_add_u64 v[10:11], v[10:11], 3, s[4:5]
	v_mov_b32_e32 v0, v1
	global_store_dwordx2 v[10:11], v[2:3], off
	s_or_b64 exec, exec, s[0:1]
	v_cmp_gt_i32_e32 vcc, s10, v0
	s_and_saveexec_b64 s[0:1], vcc
	s_cbranch_execz .LBB187_20
.LBB187_26:
	v_add_u32_e32 v2, s2, v0
	v_mov_b32_e32 v3, 0
	v_lshl_add_u64 v[2:3], v[2:3], 3, s[4:5]
	v_add_u32_e32 v0, 0x100, v0
	global_store_dwordx2 v[2:3], v[4:5], off
	s_or_b64 exec, exec, s[0:1]
	v_cmp_gt_i32_e32 vcc, s10, v0
	s_and_saveexec_b64 s[0:1], vcc
	s_cbranch_execz .LBB187_21
.LBB187_27:
	v_add_u32_e32 v2, s2, v0
	v_mov_b32_e32 v3, 0
	v_lshl_add_u64 v[2:3], v[2:3], 3, s[4:5]
	v_add_u32_e32 v0, 0x100, v0
	global_store_dwordx2 v[2:3], v[6:7], off
	s_or_b64 exec, exec, s[0:1]
	v_cmp_gt_i32_e32 vcc, s10, v0
	s_and_saveexec_b64 s[0:1], vcc
	s_cbranch_execnz .LBB187_22
	s_branch .LBB187_23
	.section	.rodata,"a",@progbits
	.p2align	6, 0x0
	.amdhsa_kernel _ZN2at6native29vectorized_elementwise_kernelILi8EZZZNS0_17rsqrt_kernel_cudaERNS_18TensorIteratorBaseEENKUlvE0_clEvENKUlvE_clEvEUldE_St5arrayIPcLm2EEEEviT0_T1_
		.amdhsa_group_segment_fixed_size 0
		.amdhsa_private_segment_fixed_size 0
		.amdhsa_kernarg_size 24
		.amdhsa_user_sgpr_count 2
		.amdhsa_user_sgpr_dispatch_ptr 0
		.amdhsa_user_sgpr_queue_ptr 0
		.amdhsa_user_sgpr_kernarg_segment_ptr 1
		.amdhsa_user_sgpr_dispatch_id 0
		.amdhsa_user_sgpr_kernarg_preload_length 0
		.amdhsa_user_sgpr_kernarg_preload_offset 0
		.amdhsa_user_sgpr_private_segment_size 0
		.amdhsa_uses_dynamic_stack 0
		.amdhsa_enable_private_segment 0
		.amdhsa_system_sgpr_workgroup_id_x 1
		.amdhsa_system_sgpr_workgroup_id_y 0
		.amdhsa_system_sgpr_workgroup_id_z 0
		.amdhsa_system_sgpr_workgroup_info 0
		.amdhsa_system_vgpr_workitem_id 0
		.amdhsa_next_free_vgpr 27
		.amdhsa_next_free_sgpr 11
		.amdhsa_accum_offset 28
		.amdhsa_reserve_vcc 1
		.amdhsa_float_round_mode_32 0
		.amdhsa_float_round_mode_16_64 0
		.amdhsa_float_denorm_mode_32 3
		.amdhsa_float_denorm_mode_16_64 3
		.amdhsa_dx10_clamp 1
		.amdhsa_ieee_mode 1
		.amdhsa_fp16_overflow 0
		.amdhsa_tg_split 0
		.amdhsa_exception_fp_ieee_invalid_op 0
		.amdhsa_exception_fp_denorm_src 0
		.amdhsa_exception_fp_ieee_div_zero 0
		.amdhsa_exception_fp_ieee_overflow 0
		.amdhsa_exception_fp_ieee_underflow 0
		.amdhsa_exception_fp_ieee_inexact 0
		.amdhsa_exception_int_div_zero 0
	.end_amdhsa_kernel
	.section	.text._ZN2at6native29vectorized_elementwise_kernelILi8EZZZNS0_17rsqrt_kernel_cudaERNS_18TensorIteratorBaseEENKUlvE0_clEvENKUlvE_clEvEUldE_St5arrayIPcLm2EEEEviT0_T1_,"axG",@progbits,_ZN2at6native29vectorized_elementwise_kernelILi8EZZZNS0_17rsqrt_kernel_cudaERNS_18TensorIteratorBaseEENKUlvE0_clEvENKUlvE_clEvEUldE_St5arrayIPcLm2EEEEviT0_T1_,comdat
.Lfunc_end187:
	.size	_ZN2at6native29vectorized_elementwise_kernelILi8EZZZNS0_17rsqrt_kernel_cudaERNS_18TensorIteratorBaseEENKUlvE0_clEvENKUlvE_clEvEUldE_St5arrayIPcLm2EEEEviT0_T1_, .Lfunc_end187-_ZN2at6native29vectorized_elementwise_kernelILi8EZZZNS0_17rsqrt_kernel_cudaERNS_18TensorIteratorBaseEENKUlvE0_clEvENKUlvE_clEvEUldE_St5arrayIPcLm2EEEEviT0_T1_
                                        ; -- End function
	.set _ZN2at6native29vectorized_elementwise_kernelILi8EZZZNS0_17rsqrt_kernel_cudaERNS_18TensorIteratorBaseEENKUlvE0_clEvENKUlvE_clEvEUldE_St5arrayIPcLm2EEEEviT0_T1_.num_vgpr, 27
	.set _ZN2at6native29vectorized_elementwise_kernelILi8EZZZNS0_17rsqrt_kernel_cudaERNS_18TensorIteratorBaseEENKUlvE0_clEvENKUlvE_clEvEUldE_St5arrayIPcLm2EEEEviT0_T1_.num_agpr, 0
	.set _ZN2at6native29vectorized_elementwise_kernelILi8EZZZNS0_17rsqrt_kernel_cudaERNS_18TensorIteratorBaseEENKUlvE0_clEvENKUlvE_clEvEUldE_St5arrayIPcLm2EEEEviT0_T1_.numbered_sgpr, 11
	.set _ZN2at6native29vectorized_elementwise_kernelILi8EZZZNS0_17rsqrt_kernel_cudaERNS_18TensorIteratorBaseEENKUlvE0_clEvENKUlvE_clEvEUldE_St5arrayIPcLm2EEEEviT0_T1_.num_named_barrier, 0
	.set _ZN2at6native29vectorized_elementwise_kernelILi8EZZZNS0_17rsqrt_kernel_cudaERNS_18TensorIteratorBaseEENKUlvE0_clEvENKUlvE_clEvEUldE_St5arrayIPcLm2EEEEviT0_T1_.private_seg_size, 0
	.set _ZN2at6native29vectorized_elementwise_kernelILi8EZZZNS0_17rsqrt_kernel_cudaERNS_18TensorIteratorBaseEENKUlvE0_clEvENKUlvE_clEvEUldE_St5arrayIPcLm2EEEEviT0_T1_.uses_vcc, 1
	.set _ZN2at6native29vectorized_elementwise_kernelILi8EZZZNS0_17rsqrt_kernel_cudaERNS_18TensorIteratorBaseEENKUlvE0_clEvENKUlvE_clEvEUldE_St5arrayIPcLm2EEEEviT0_T1_.uses_flat_scratch, 0
	.set _ZN2at6native29vectorized_elementwise_kernelILi8EZZZNS0_17rsqrt_kernel_cudaERNS_18TensorIteratorBaseEENKUlvE0_clEvENKUlvE_clEvEUldE_St5arrayIPcLm2EEEEviT0_T1_.has_dyn_sized_stack, 0
	.set _ZN2at6native29vectorized_elementwise_kernelILi8EZZZNS0_17rsqrt_kernel_cudaERNS_18TensorIteratorBaseEENKUlvE0_clEvENKUlvE_clEvEUldE_St5arrayIPcLm2EEEEviT0_T1_.has_recursion, 0
	.set _ZN2at6native29vectorized_elementwise_kernelILi8EZZZNS0_17rsqrt_kernel_cudaERNS_18TensorIteratorBaseEENKUlvE0_clEvENKUlvE_clEvEUldE_St5arrayIPcLm2EEEEviT0_T1_.has_indirect_call, 0
	.section	.AMDGPU.csdata,"",@progbits
; Kernel info:
; codeLenInByte = 1380
; TotalNumSgprs: 17
; NumVgprs: 27
; NumAgprs: 0
; TotalNumVgprs: 27
; ScratchSize: 0
; MemoryBound: 0
; FloatMode: 240
; IeeeMode: 1
; LDSByteSize: 0 bytes/workgroup (compile time only)
; SGPRBlocks: 2
; VGPRBlocks: 3
; NumSGPRsForWavesPerEU: 17
; NumVGPRsForWavesPerEU: 27
; AccumOffset: 28
; Occupancy: 8
; WaveLimiterHint : 0
; COMPUTE_PGM_RSRC2:SCRATCH_EN: 0
; COMPUTE_PGM_RSRC2:USER_SGPR: 2
; COMPUTE_PGM_RSRC2:TRAP_HANDLER: 0
; COMPUTE_PGM_RSRC2:TGID_X_EN: 1
; COMPUTE_PGM_RSRC2:TGID_Y_EN: 0
; COMPUTE_PGM_RSRC2:TGID_Z_EN: 0
; COMPUTE_PGM_RSRC2:TIDIG_COMP_CNT: 0
; COMPUTE_PGM_RSRC3_GFX90A:ACCUM_OFFSET: 6
; COMPUTE_PGM_RSRC3_GFX90A:TG_SPLIT: 0
	.section	.text._ZN2at6native29vectorized_elementwise_kernelILi4EZZZNS0_17rsqrt_kernel_cudaERNS_18TensorIteratorBaseEENKUlvE0_clEvENKUlvE_clEvEUldE_St5arrayIPcLm2EEEEviT0_T1_,"axG",@progbits,_ZN2at6native29vectorized_elementwise_kernelILi4EZZZNS0_17rsqrt_kernel_cudaERNS_18TensorIteratorBaseEENKUlvE0_clEvENKUlvE_clEvEUldE_St5arrayIPcLm2EEEEviT0_T1_,comdat
	.globl	_ZN2at6native29vectorized_elementwise_kernelILi4EZZZNS0_17rsqrt_kernel_cudaERNS_18TensorIteratorBaseEENKUlvE0_clEvENKUlvE_clEvEUldE_St5arrayIPcLm2EEEEviT0_T1_ ; -- Begin function _ZN2at6native29vectorized_elementwise_kernelILi4EZZZNS0_17rsqrt_kernel_cudaERNS_18TensorIteratorBaseEENKUlvE0_clEvENKUlvE_clEvEUldE_St5arrayIPcLm2EEEEviT0_T1_
	.p2align	8
	.type	_ZN2at6native29vectorized_elementwise_kernelILi4EZZZNS0_17rsqrt_kernel_cudaERNS_18TensorIteratorBaseEENKUlvE0_clEvENKUlvE_clEvEUldE_St5arrayIPcLm2EEEEviT0_T1_,@function
_ZN2at6native29vectorized_elementwise_kernelILi4EZZZNS0_17rsqrt_kernel_cudaERNS_18TensorIteratorBaseEENKUlvE0_clEvENKUlvE_clEvEUldE_St5arrayIPcLm2EEEEviT0_T1_: ; @_ZN2at6native29vectorized_elementwise_kernelILi4EZZZNS0_17rsqrt_kernel_cudaERNS_18TensorIteratorBaseEENKUlvE0_clEvENKUlvE_clEvEUldE_St5arrayIPcLm2EEEEviT0_T1_
; %bb.0:
	s_load_dword s3, s[0:1], 0x0
	s_load_dwordx4 s[4:7], s[0:1], 0x8
	s_lshl_b32 s2, s2, 10
	s_mov_b64 s[0:1], -1
	s_waitcnt lgkmcnt(0)
	s_sub_i32 s10, s3, s2
	s_cmpk_gt_i32 s10, 0x3ff
	s_cbranch_scc0 .LBB188_2
; %bb.1:
	s_ashr_i32 s3, s2, 31
	s_lshl_b64 s[0:1], s[2:3], 3
	s_add_u32 s8, s6, s0
	s_addc_u32 s9, s7, s1
	v_lshlrev_b32_e32 v1, 5, v0
	global_load_dwordx4 v[2:5], v1, s[8:9]
	global_load_dwordx4 v[6:9], v1, s[8:9] offset:16
	s_mov_b32 s8, 0
	s_mov_b32 s9, 0x3fd80000
	v_mov_b32_e32 v26, 0x180
	s_add_u32 s0, s4, s0
	s_addc_u32 s1, s5, s1
	s_waitcnt vmcnt(1)
	v_rsq_f64_e32 v[10:11], v[2:3]
	v_rsq_f64_e32 v[12:13], v[4:5]
	s_waitcnt vmcnt(0)
	v_rsq_f64_e32 v[14:15], v[6:7]
	v_rsq_f64_e32 v[16:17], v[8:9]
	v_mul_f64 v[2:3], v[10:11], -v[2:3]
	v_mul_f64 v[4:5], v[12:13], -v[4:5]
	v_fma_f64 v[2:3], v[2:3], v[10:11], 1.0
	v_mul_f64 v[6:7], v[14:15], -v[6:7]
	v_fma_f64 v[4:5], v[4:5], v[12:13], 1.0
	v_mul_f64 v[18:19], v[10:11], v[2:3]
	v_fma_f64 v[2:3], v[2:3], s[8:9], 0.5
	v_mul_f64 v[8:9], v[16:17], -v[8:9]
	v_fma_f64 v[6:7], v[6:7], v[14:15], 1.0
	v_mul_f64 v[20:21], v[12:13], v[4:5]
	v_fma_f64 v[4:5], v[4:5], s[8:9], 0.5
	v_fma_f64 v[2:3], v[18:19], v[2:3], v[10:11]
	v_cmp_class_f64_e32 vcc, v[10:11], v26
	v_fma_f64 v[8:9], v[8:9], v[16:17], 1.0
	v_mul_f64 v[22:23], v[14:15], v[6:7]
	v_fma_f64 v[6:7], v[6:7], s[8:9], 0.5
	v_fma_f64 v[4:5], v[20:21], v[4:5], v[12:13]
	v_cndmask_b32_e32 v3, v11, v3, vcc
	v_cndmask_b32_e32 v2, v10, v2, vcc
	v_cmp_class_f64_e32 vcc, v[12:13], v26
	v_mul_f64 v[24:25], v[16:17], v[8:9]
	v_fma_f64 v[8:9], v[8:9], s[8:9], 0.5
	v_fma_f64 v[6:7], v[22:23], v[6:7], v[14:15]
	v_cndmask_b32_e32 v5, v13, v5, vcc
	v_cndmask_b32_e32 v4, v12, v4, vcc
	v_cmp_class_f64_e32 vcc, v[14:15], v26
	v_fma_f64 v[8:9], v[24:25], v[8:9], v[16:17]
	s_nop 0
	v_cndmask_b32_e32 v7, v15, v7, vcc
	v_cndmask_b32_e32 v6, v14, v6, vcc
	v_cmp_class_f64_e32 vcc, v[16:17], v26
	s_nop 1
	v_cndmask_b32_e32 v9, v17, v9, vcc
	v_cndmask_b32_e32 v8, v16, v8, vcc
	global_store_dwordx4 v1, v[2:5], s[0:1]
	global_store_dwordx4 v1, v[6:9], s[0:1] offset:16
	s_mov_b64 s[0:1], 0
.LBB188_2:
	s_andn2_b64 vcc, exec, s[0:1]
	s_cbranch_vccnz .LBB188_23
; %bb.3:
	v_cmp_gt_i32_e32 vcc, s10, v0
	v_mov_b64_e32 v[14:15], 0
	v_or_b32_e32 v10, s2, v0
	v_mov_b64_e32 v[18:19], 0
	v_mov_b32_e32 v1, v0
	s_and_saveexec_b64 s[0:1], vcc
	s_cbranch_execz .LBB188_5
; %bb.4:
	v_mov_b32_e32 v11, 0
	v_lshl_add_u64 v[2:3], v[10:11], 3, s[6:7]
	global_load_dwordx2 v[18:19], v[2:3], off
	v_or_b32_e32 v1, 0x100, v0
.LBB188_5:
	s_or_b64 exec, exec, s[0:1]
	v_cmp_gt_i32_e64 s[0:1], s10, v1
	s_and_saveexec_b64 s[8:9], s[0:1]
	s_cbranch_execz .LBB188_7
; %bb.6:
	v_add_u32_e32 v2, s2, v1
	v_mov_b32_e32 v3, 0
	v_lshl_add_u64 v[2:3], v[2:3], 3, s[6:7]
	global_load_dwordx2 v[14:15], v[2:3], off
	v_add_u32_e32 v1, 0x100, v1
.LBB188_7:
	s_or_b64 exec, exec, s[8:9]
	v_cmp_gt_i32_e64 s[0:1], s10, v1
	v_mov_b64_e32 v[12:13], 0
	v_mov_b64_e32 v[16:17], 0
	s_and_saveexec_b64 s[8:9], s[0:1]
	s_cbranch_execz .LBB188_9
; %bb.8:
	v_add_u32_e32 v2, s2, v1
	v_mov_b32_e32 v3, 0
	v_lshl_add_u64 v[2:3], v[2:3], 3, s[6:7]
	global_load_dwordx2 v[16:17], v[2:3], off
	v_add_u32_e32 v1, 0x100, v1
.LBB188_9:
	s_or_b64 exec, exec, s[8:9]
	v_cmp_gt_i32_e64 s[0:1], s10, v1
	s_and_saveexec_b64 s[8:9], s[0:1]
	s_cbranch_execz .LBB188_11
; %bb.10:
	v_add_u32_e32 v2, s2, v1
	v_mov_b32_e32 v3, 0
	v_lshl_add_u64 v[2:3], v[2:3], 3, s[6:7]
	global_load_dwordx2 v[12:13], v[2:3], off
.LBB188_11:
	s_or_b64 exec, exec, s[8:9]
	v_mov_b32_e32 v2, 0
	v_mov_b32_e32 v3, v2
	;; [unrolled: 1-line block ×8, first 2 shown]
	s_and_saveexec_b64 s[6:7], vcc
	s_cbranch_execz .LBB188_13
; %bb.12:
	s_waitcnt vmcnt(0)
	v_rsq_f64_e32 v[4:5], v[18:19]
	s_mov_b32 s0, 0
	s_mov_b32 s1, 0x3fd80000
	v_mov_b32_e32 v1, 0x180
	v_mul_f64 v[6:7], v[4:5], -v[18:19]
	v_fma_f64 v[6:7], v[6:7], v[4:5], 1.0
	v_mul_f64 v[8:9], v[4:5], v[6:7]
	v_fma_f64 v[6:7], v[6:7], s[0:1], 0.5
	v_fma_f64 v[6:7], v[8:9], v[6:7], v[4:5]
	v_cmp_class_f64_e64 s[0:1], v[4:5], v1
	v_mov_b32_e32 v20, v2
	v_mov_b32_e32 v21, v2
	v_cndmask_b32_e64 v19, v5, v7, s[0:1]
	v_cndmask_b32_e64 v18, v4, v6, s[0:1]
	v_mov_b32_e32 v22, v2
	v_mov_b32_e32 v23, v2
	;; [unrolled: 1-line block ×4, first 2 shown]
	v_mov_b64_e32 v[2:3], v[18:19]
	v_mov_b64_e32 v[4:5], v[20:21]
	v_mov_b64_e32 v[6:7], v[22:23]
	v_mov_b64_e32 v[8:9], v[24:25]
.LBB188_13:
	s_or_b64 exec, exec, s[6:7]
	v_or_b32_e32 v1, 0x100, v0
	v_cmp_gt_i32_e64 s[0:1], s10, v1
	s_and_saveexec_b64 s[6:7], s[0:1]
	s_cbranch_execz .LBB188_15
; %bb.14:
	s_waitcnt vmcnt(0)
	v_rsq_f64_e32 v[4:5], v[14:15]
	s_mov_b32 s0, 0
	s_mov_b32 s1, 0x3fd80000
	v_mov_b32_e32 v11, 0x180
	v_mul_f64 v[14:15], v[4:5], -v[14:15]
	v_fma_f64 v[14:15], v[14:15], v[4:5], 1.0
	v_mul_f64 v[18:19], v[4:5], v[14:15]
	v_fma_f64 v[14:15], v[14:15], s[0:1], 0.5
	v_fma_f64 v[14:15], v[18:19], v[14:15], v[4:5]
	v_cmp_class_f64_e64 s[0:1], v[4:5], v11
	s_nop 1
	v_cndmask_b32_e64 v5, v5, v15, s[0:1]
	v_cndmask_b32_e64 v4, v4, v14, s[0:1]
.LBB188_15:
	s_or_b64 exec, exec, s[6:7]
	v_or_b32_e32 v11, 0x200, v0
	v_cmp_gt_i32_e64 s[0:1], s10, v11
	s_and_saveexec_b64 s[6:7], s[0:1]
	s_cbranch_execz .LBB188_17
; %bb.16:
	s_waitcnt vmcnt(0)
	v_rsq_f64_e32 v[6:7], v[16:17]
	s_mov_b32 s0, 0
	s_mov_b32 s1, 0x3fd80000
	v_mov_b32_e32 v11, 0x180
	v_mul_f64 v[14:15], v[6:7], -v[16:17]
	v_fma_f64 v[14:15], v[14:15], v[6:7], 1.0
	v_mul_f64 v[16:17], v[6:7], v[14:15]
	v_fma_f64 v[14:15], v[14:15], s[0:1], 0.5
	v_fma_f64 v[14:15], v[16:17], v[14:15], v[6:7]
	v_cmp_class_f64_e64 s[0:1], v[6:7], v11
	s_nop 1
	v_cndmask_b32_e64 v7, v7, v15, s[0:1]
	v_cndmask_b32_e64 v6, v6, v14, s[0:1]
.LBB188_17:
	s_or_b64 exec, exec, s[6:7]
	v_or_b32_e32 v11, 0x300, v0
	v_cmp_gt_i32_e64 s[0:1], s10, v11
	s_and_saveexec_b64 s[6:7], s[0:1]
	s_cbranch_execnz .LBB188_24
; %bb.18:
	s_or_b64 exec, exec, s[6:7]
	s_and_saveexec_b64 s[0:1], vcc
	s_xor_b64 s[0:1], exec, s[0:1]
	s_cbranch_execnz .LBB188_25
.LBB188_19:
	s_or_b64 exec, exec, s[0:1]
	v_cmp_gt_i32_e32 vcc, s10, v0
	s_and_saveexec_b64 s[0:1], vcc
	s_cbranch_execnz .LBB188_26
.LBB188_20:
	s_or_b64 exec, exec, s[0:1]
	v_cmp_gt_i32_e32 vcc, s10, v0
	s_and_saveexec_b64 s[0:1], vcc
	s_cbranch_execnz .LBB188_27
.LBB188_21:
	s_or_b64 exec, exec, s[0:1]
	v_cmp_gt_i32_e32 vcc, s10, v0
	s_and_saveexec_b64 s[0:1], vcc
	s_cbranch_execz .LBB188_23
.LBB188_22:
	v_add_u32_e32 v0, s2, v0
	v_mov_b32_e32 v1, 0
	v_lshl_add_u64 v[0:1], v[0:1], 3, s[4:5]
	global_store_dwordx2 v[0:1], v[8:9], off
.LBB188_23:
	s_endpgm
.LBB188_24:
	s_waitcnt vmcnt(0)
	v_rsq_f64_e32 v[8:9], v[12:13]
	s_mov_b32 s0, 0
	s_mov_b32 s1, 0x3fd80000
	v_mov_b32_e32 v11, 0x180
	v_mul_f64 v[12:13], v[8:9], -v[12:13]
	v_fma_f64 v[12:13], v[12:13], v[8:9], 1.0
	v_mul_f64 v[14:15], v[8:9], v[12:13]
	v_fma_f64 v[12:13], v[12:13], s[0:1], 0.5
	v_fma_f64 v[12:13], v[14:15], v[12:13], v[8:9]
	v_cmp_class_f64_e64 s[0:1], v[8:9], v11
	s_nop 1
	v_cndmask_b32_e64 v9, v9, v13, s[0:1]
	v_cndmask_b32_e64 v8, v8, v12, s[0:1]
	s_or_b64 exec, exec, s[6:7]
	s_and_saveexec_b64 s[0:1], vcc
	s_xor_b64 s[0:1], exec, s[0:1]
	s_cbranch_execz .LBB188_19
.LBB188_25:
	v_mov_b32_e32 v11, 0
	v_lshl_add_u64 v[10:11], v[10:11], 3, s[4:5]
	v_mov_b32_e32 v0, v1
	global_store_dwordx2 v[10:11], v[2:3], off
	s_or_b64 exec, exec, s[0:1]
	v_cmp_gt_i32_e32 vcc, s10, v0
	s_and_saveexec_b64 s[0:1], vcc
	s_cbranch_execz .LBB188_20
.LBB188_26:
	v_add_u32_e32 v2, s2, v0
	v_mov_b32_e32 v3, 0
	v_lshl_add_u64 v[2:3], v[2:3], 3, s[4:5]
	v_add_u32_e32 v0, 0x100, v0
	global_store_dwordx2 v[2:3], v[4:5], off
	s_or_b64 exec, exec, s[0:1]
	v_cmp_gt_i32_e32 vcc, s10, v0
	s_and_saveexec_b64 s[0:1], vcc
	s_cbranch_execz .LBB188_21
.LBB188_27:
	v_add_u32_e32 v2, s2, v0
	v_mov_b32_e32 v3, 0
	v_lshl_add_u64 v[2:3], v[2:3], 3, s[4:5]
	v_add_u32_e32 v0, 0x100, v0
	global_store_dwordx2 v[2:3], v[6:7], off
	s_or_b64 exec, exec, s[0:1]
	v_cmp_gt_i32_e32 vcc, s10, v0
	s_and_saveexec_b64 s[0:1], vcc
	s_cbranch_execnz .LBB188_22
	s_branch .LBB188_23
	.section	.rodata,"a",@progbits
	.p2align	6, 0x0
	.amdhsa_kernel _ZN2at6native29vectorized_elementwise_kernelILi4EZZZNS0_17rsqrt_kernel_cudaERNS_18TensorIteratorBaseEENKUlvE0_clEvENKUlvE_clEvEUldE_St5arrayIPcLm2EEEEviT0_T1_
		.amdhsa_group_segment_fixed_size 0
		.amdhsa_private_segment_fixed_size 0
		.amdhsa_kernarg_size 24
		.amdhsa_user_sgpr_count 2
		.amdhsa_user_sgpr_dispatch_ptr 0
		.amdhsa_user_sgpr_queue_ptr 0
		.amdhsa_user_sgpr_kernarg_segment_ptr 1
		.amdhsa_user_sgpr_dispatch_id 0
		.amdhsa_user_sgpr_kernarg_preload_length 0
		.amdhsa_user_sgpr_kernarg_preload_offset 0
		.amdhsa_user_sgpr_private_segment_size 0
		.amdhsa_uses_dynamic_stack 0
		.amdhsa_enable_private_segment 0
		.amdhsa_system_sgpr_workgroup_id_x 1
		.amdhsa_system_sgpr_workgroup_id_y 0
		.amdhsa_system_sgpr_workgroup_id_z 0
		.amdhsa_system_sgpr_workgroup_info 0
		.amdhsa_system_vgpr_workitem_id 0
		.amdhsa_next_free_vgpr 27
		.amdhsa_next_free_sgpr 11
		.amdhsa_accum_offset 28
		.amdhsa_reserve_vcc 1
		.amdhsa_float_round_mode_32 0
		.amdhsa_float_round_mode_16_64 0
		.amdhsa_float_denorm_mode_32 3
		.amdhsa_float_denorm_mode_16_64 3
		.amdhsa_dx10_clamp 1
		.amdhsa_ieee_mode 1
		.amdhsa_fp16_overflow 0
		.amdhsa_tg_split 0
		.amdhsa_exception_fp_ieee_invalid_op 0
		.amdhsa_exception_fp_denorm_src 0
		.amdhsa_exception_fp_ieee_div_zero 0
		.amdhsa_exception_fp_ieee_overflow 0
		.amdhsa_exception_fp_ieee_underflow 0
		.amdhsa_exception_fp_ieee_inexact 0
		.amdhsa_exception_int_div_zero 0
	.end_amdhsa_kernel
	.section	.text._ZN2at6native29vectorized_elementwise_kernelILi4EZZZNS0_17rsqrt_kernel_cudaERNS_18TensorIteratorBaseEENKUlvE0_clEvENKUlvE_clEvEUldE_St5arrayIPcLm2EEEEviT0_T1_,"axG",@progbits,_ZN2at6native29vectorized_elementwise_kernelILi4EZZZNS0_17rsqrt_kernel_cudaERNS_18TensorIteratorBaseEENKUlvE0_clEvENKUlvE_clEvEUldE_St5arrayIPcLm2EEEEviT0_T1_,comdat
.Lfunc_end188:
	.size	_ZN2at6native29vectorized_elementwise_kernelILi4EZZZNS0_17rsqrt_kernel_cudaERNS_18TensorIteratorBaseEENKUlvE0_clEvENKUlvE_clEvEUldE_St5arrayIPcLm2EEEEviT0_T1_, .Lfunc_end188-_ZN2at6native29vectorized_elementwise_kernelILi4EZZZNS0_17rsqrt_kernel_cudaERNS_18TensorIteratorBaseEENKUlvE0_clEvENKUlvE_clEvEUldE_St5arrayIPcLm2EEEEviT0_T1_
                                        ; -- End function
	.set _ZN2at6native29vectorized_elementwise_kernelILi4EZZZNS0_17rsqrt_kernel_cudaERNS_18TensorIteratorBaseEENKUlvE0_clEvENKUlvE_clEvEUldE_St5arrayIPcLm2EEEEviT0_T1_.num_vgpr, 27
	.set _ZN2at6native29vectorized_elementwise_kernelILi4EZZZNS0_17rsqrt_kernel_cudaERNS_18TensorIteratorBaseEENKUlvE0_clEvENKUlvE_clEvEUldE_St5arrayIPcLm2EEEEviT0_T1_.num_agpr, 0
	.set _ZN2at6native29vectorized_elementwise_kernelILi4EZZZNS0_17rsqrt_kernel_cudaERNS_18TensorIteratorBaseEENKUlvE0_clEvENKUlvE_clEvEUldE_St5arrayIPcLm2EEEEviT0_T1_.numbered_sgpr, 11
	.set _ZN2at6native29vectorized_elementwise_kernelILi4EZZZNS0_17rsqrt_kernel_cudaERNS_18TensorIteratorBaseEENKUlvE0_clEvENKUlvE_clEvEUldE_St5arrayIPcLm2EEEEviT0_T1_.num_named_barrier, 0
	.set _ZN2at6native29vectorized_elementwise_kernelILi4EZZZNS0_17rsqrt_kernel_cudaERNS_18TensorIteratorBaseEENKUlvE0_clEvENKUlvE_clEvEUldE_St5arrayIPcLm2EEEEviT0_T1_.private_seg_size, 0
	.set _ZN2at6native29vectorized_elementwise_kernelILi4EZZZNS0_17rsqrt_kernel_cudaERNS_18TensorIteratorBaseEENKUlvE0_clEvENKUlvE_clEvEUldE_St5arrayIPcLm2EEEEviT0_T1_.uses_vcc, 1
	.set _ZN2at6native29vectorized_elementwise_kernelILi4EZZZNS0_17rsqrt_kernel_cudaERNS_18TensorIteratorBaseEENKUlvE0_clEvENKUlvE_clEvEUldE_St5arrayIPcLm2EEEEviT0_T1_.uses_flat_scratch, 0
	.set _ZN2at6native29vectorized_elementwise_kernelILi4EZZZNS0_17rsqrt_kernel_cudaERNS_18TensorIteratorBaseEENKUlvE0_clEvENKUlvE_clEvEUldE_St5arrayIPcLm2EEEEviT0_T1_.has_dyn_sized_stack, 0
	.set _ZN2at6native29vectorized_elementwise_kernelILi4EZZZNS0_17rsqrt_kernel_cudaERNS_18TensorIteratorBaseEENKUlvE0_clEvENKUlvE_clEvEUldE_St5arrayIPcLm2EEEEviT0_T1_.has_recursion, 0
	.set _ZN2at6native29vectorized_elementwise_kernelILi4EZZZNS0_17rsqrt_kernel_cudaERNS_18TensorIteratorBaseEENKUlvE0_clEvENKUlvE_clEvEUldE_St5arrayIPcLm2EEEEviT0_T1_.has_indirect_call, 0
	.section	.AMDGPU.csdata,"",@progbits
; Kernel info:
; codeLenInByte = 1380
; TotalNumSgprs: 17
; NumVgprs: 27
; NumAgprs: 0
; TotalNumVgprs: 27
; ScratchSize: 0
; MemoryBound: 0
; FloatMode: 240
; IeeeMode: 1
; LDSByteSize: 0 bytes/workgroup (compile time only)
; SGPRBlocks: 2
; VGPRBlocks: 3
; NumSGPRsForWavesPerEU: 17
; NumVGPRsForWavesPerEU: 27
; AccumOffset: 28
; Occupancy: 8
; WaveLimiterHint : 0
; COMPUTE_PGM_RSRC2:SCRATCH_EN: 0
; COMPUTE_PGM_RSRC2:USER_SGPR: 2
; COMPUTE_PGM_RSRC2:TRAP_HANDLER: 0
; COMPUTE_PGM_RSRC2:TGID_X_EN: 1
; COMPUTE_PGM_RSRC2:TGID_Y_EN: 0
; COMPUTE_PGM_RSRC2:TGID_Z_EN: 0
; COMPUTE_PGM_RSRC2:TIDIG_COMP_CNT: 0
; COMPUTE_PGM_RSRC3_GFX90A:ACCUM_OFFSET: 6
; COMPUTE_PGM_RSRC3_GFX90A:TG_SPLIT: 0
	.section	.text._ZN2at6native29vectorized_elementwise_kernelILi2EZZZNS0_17rsqrt_kernel_cudaERNS_18TensorIteratorBaseEENKUlvE0_clEvENKUlvE_clEvEUldE_St5arrayIPcLm2EEEEviT0_T1_,"axG",@progbits,_ZN2at6native29vectorized_elementwise_kernelILi2EZZZNS0_17rsqrt_kernel_cudaERNS_18TensorIteratorBaseEENKUlvE0_clEvENKUlvE_clEvEUldE_St5arrayIPcLm2EEEEviT0_T1_,comdat
	.globl	_ZN2at6native29vectorized_elementwise_kernelILi2EZZZNS0_17rsqrt_kernel_cudaERNS_18TensorIteratorBaseEENKUlvE0_clEvENKUlvE_clEvEUldE_St5arrayIPcLm2EEEEviT0_T1_ ; -- Begin function _ZN2at6native29vectorized_elementwise_kernelILi2EZZZNS0_17rsqrt_kernel_cudaERNS_18TensorIteratorBaseEENKUlvE0_clEvENKUlvE_clEvEUldE_St5arrayIPcLm2EEEEviT0_T1_
	.p2align	8
	.type	_ZN2at6native29vectorized_elementwise_kernelILi2EZZZNS0_17rsqrt_kernel_cudaERNS_18TensorIteratorBaseEENKUlvE0_clEvENKUlvE_clEvEUldE_St5arrayIPcLm2EEEEviT0_T1_,@function
_ZN2at6native29vectorized_elementwise_kernelILi2EZZZNS0_17rsqrt_kernel_cudaERNS_18TensorIteratorBaseEENKUlvE0_clEvENKUlvE_clEvEUldE_St5arrayIPcLm2EEEEviT0_T1_: ; @_ZN2at6native29vectorized_elementwise_kernelILi2EZZZNS0_17rsqrt_kernel_cudaERNS_18TensorIteratorBaseEENKUlvE0_clEvENKUlvE_clEvEUldE_St5arrayIPcLm2EEEEviT0_T1_
; %bb.0:
	s_load_dword s3, s[0:1], 0x0
	s_load_dwordx4 s[4:7], s[0:1], 0x8
	s_lshl_b32 s2, s2, 10
	s_mov_b64 s[0:1], -1
	s_waitcnt lgkmcnt(0)
	s_sub_i32 s10, s3, s2
	s_cmpk_gt_i32 s10, 0x3ff
	s_cbranch_scc0 .LBB189_2
; %bb.1:
	s_ashr_i32 s3, s2, 31
	s_lshl_b64 s[0:1], s[2:3], 3
	s_add_u32 s8, s6, s0
	s_addc_u32 s9, s7, s1
	v_lshlrev_b32_e32 v10, 4, v0
	v_mov_b32_e32 v11, 0
	v_lshl_add_u64 v[6:7], s[8:9], 0, v[10:11]
	global_load_dwordx4 v[2:5], v10, s[8:9]
	v_add_co_u32_e32 v6, vcc, 0x1000, v6
	s_add_u32 s0, s4, s0
	s_nop 0
	v_addc_co_u32_e32 v7, vcc, 0, v7, vcc
	global_load_dwordx4 v[6:9], v[6:7], off
	s_addc_u32 s1, s5, s1
	s_mov_b32 s8, 0
	v_lshl_add_u64 v[12:13], s[0:1], 0, v[10:11]
	s_mov_b32 s9, 0x3fd80000
	v_add_co_u32_e32 v12, vcc, 0x1000, v12
	v_mov_b32_e32 v1, 0x180
	s_nop 0
	v_addc_co_u32_e32 v13, vcc, 0, v13, vcc
	s_waitcnt vmcnt(1)
	v_rsq_f64_e32 v[14:15], v[2:3]
	v_rsq_f64_e32 v[16:17], v[4:5]
	v_mul_f64 v[2:3], v[14:15], -v[2:3]
	v_mul_f64 v[4:5], v[16:17], -v[4:5]
	s_waitcnt vmcnt(0)
	v_rsq_f64_e32 v[18:19], v[6:7]
	v_rsq_f64_e32 v[20:21], v[8:9]
	v_fma_f64 v[2:3], v[2:3], v[14:15], 1.0
	v_fma_f64 v[4:5], v[4:5], v[16:17], 1.0
	v_mul_f64 v[22:23], v[14:15], v[2:3]
	v_fma_f64 v[2:3], v[2:3], s[8:9], 0.5
	v_mul_f64 v[24:25], v[16:17], v[4:5]
	v_fma_f64 v[4:5], v[4:5], s[8:9], 0.5
	v_fma_f64 v[2:3], v[22:23], v[2:3], v[14:15]
	v_mul_f64 v[6:7], v[18:19], -v[6:7]
	v_cmp_class_f64_e32 vcc, v[14:15], v1
	v_fma_f64 v[4:5], v[24:25], v[4:5], v[16:17]
	v_mul_f64 v[8:9], v[20:21], -v[8:9]
	v_cndmask_b32_e32 v3, v15, v3, vcc
	v_cndmask_b32_e32 v2, v14, v2, vcc
	v_cmp_class_f64_e32 vcc, v[16:17], v1
	v_fma_f64 v[6:7], v[6:7], v[18:19], 1.0
	v_fma_f64 v[8:9], v[8:9], v[20:21], 1.0
	v_cndmask_b32_e32 v5, v17, v5, vcc
	v_cndmask_b32_e32 v4, v16, v4, vcc
	v_mul_f64 v[14:15], v[18:19], v[6:7]
	v_fma_f64 v[6:7], v[6:7], s[8:9], 0.5
	v_mul_f64 v[16:17], v[20:21], v[8:9]
	v_fma_f64 v[8:9], v[8:9], s[8:9], 0.5
	global_store_dwordx4 v10, v[2:5], s[0:1]
	v_cmp_class_f64_e32 vcc, v[18:19], v1
	s_mov_b64 s[0:1], 0
	v_fma_f64 v[2:3], v[14:15], v[6:7], v[18:19]
	v_fma_f64 v[4:5], v[16:17], v[8:9], v[20:21]
	v_cndmask_b32_e32 v3, v19, v3, vcc
	v_cndmask_b32_e32 v2, v18, v2, vcc
	v_cmp_class_f64_e32 vcc, v[20:21], v1
	s_nop 1
	v_cndmask_b32_e32 v5, v21, v5, vcc
	v_cndmask_b32_e32 v4, v20, v4, vcc
	global_store_dwordx4 v[12:13], v[2:5], off
.LBB189_2:
	s_andn2_b64 vcc, exec, s[0:1]
	s_cbranch_vccnz .LBB189_23
; %bb.3:
	v_cmp_gt_i32_e32 vcc, s10, v0
	v_mov_b64_e32 v[14:15], 0
	v_or_b32_e32 v10, s2, v0
	v_mov_b64_e32 v[18:19], 0
	v_mov_b32_e32 v1, v0
	s_and_saveexec_b64 s[0:1], vcc
	s_cbranch_execz .LBB189_5
; %bb.4:
	v_mov_b32_e32 v11, 0
	v_lshl_add_u64 v[2:3], v[10:11], 3, s[6:7]
	global_load_dwordx2 v[18:19], v[2:3], off
	v_or_b32_e32 v1, 0x100, v0
.LBB189_5:
	s_or_b64 exec, exec, s[0:1]
	v_cmp_gt_i32_e64 s[0:1], s10, v1
	s_and_saveexec_b64 s[8:9], s[0:1]
	s_cbranch_execz .LBB189_7
; %bb.6:
	v_add_u32_e32 v2, s2, v1
	v_mov_b32_e32 v3, 0
	v_lshl_add_u64 v[2:3], v[2:3], 3, s[6:7]
	global_load_dwordx2 v[14:15], v[2:3], off
	v_add_u32_e32 v1, 0x100, v1
.LBB189_7:
	s_or_b64 exec, exec, s[8:9]
	v_cmp_gt_i32_e64 s[0:1], s10, v1
	v_mov_b64_e32 v[12:13], 0
	v_mov_b64_e32 v[16:17], 0
	s_and_saveexec_b64 s[8:9], s[0:1]
	s_cbranch_execz .LBB189_9
; %bb.8:
	v_add_u32_e32 v2, s2, v1
	v_mov_b32_e32 v3, 0
	v_lshl_add_u64 v[2:3], v[2:3], 3, s[6:7]
	global_load_dwordx2 v[16:17], v[2:3], off
	v_add_u32_e32 v1, 0x100, v1
.LBB189_9:
	s_or_b64 exec, exec, s[8:9]
	v_cmp_gt_i32_e64 s[0:1], s10, v1
	s_and_saveexec_b64 s[8:9], s[0:1]
	s_cbranch_execz .LBB189_11
; %bb.10:
	v_add_u32_e32 v2, s2, v1
	v_mov_b32_e32 v3, 0
	v_lshl_add_u64 v[2:3], v[2:3], 3, s[6:7]
	global_load_dwordx2 v[12:13], v[2:3], off
.LBB189_11:
	s_or_b64 exec, exec, s[8:9]
	v_mov_b32_e32 v2, 0
	v_mov_b32_e32 v3, v2
	;; [unrolled: 1-line block ×8, first 2 shown]
	s_and_saveexec_b64 s[6:7], vcc
	s_cbranch_execz .LBB189_13
; %bb.12:
	s_waitcnt vmcnt(0)
	v_rsq_f64_e32 v[4:5], v[18:19]
	s_mov_b32 s0, 0
	s_mov_b32 s1, 0x3fd80000
	v_mov_b32_e32 v1, 0x180
	v_mul_f64 v[6:7], v[4:5], -v[18:19]
	v_fma_f64 v[6:7], v[6:7], v[4:5], 1.0
	v_mul_f64 v[8:9], v[4:5], v[6:7]
	v_fma_f64 v[6:7], v[6:7], s[0:1], 0.5
	v_fma_f64 v[6:7], v[8:9], v[6:7], v[4:5]
	v_cmp_class_f64_e64 s[0:1], v[4:5], v1
	v_mov_b32_e32 v20, v2
	v_mov_b32_e32 v21, v2
	v_cndmask_b32_e64 v19, v5, v7, s[0:1]
	v_cndmask_b32_e64 v18, v4, v6, s[0:1]
	v_mov_b32_e32 v22, v2
	v_mov_b32_e32 v23, v2
	;; [unrolled: 1-line block ×4, first 2 shown]
	v_mov_b64_e32 v[2:3], v[18:19]
	v_mov_b64_e32 v[4:5], v[20:21]
	v_mov_b64_e32 v[6:7], v[22:23]
	v_mov_b64_e32 v[8:9], v[24:25]
.LBB189_13:
	s_or_b64 exec, exec, s[6:7]
	v_or_b32_e32 v1, 0x100, v0
	v_cmp_gt_i32_e64 s[0:1], s10, v1
	s_and_saveexec_b64 s[6:7], s[0:1]
	s_cbranch_execz .LBB189_15
; %bb.14:
	s_waitcnt vmcnt(0)
	v_rsq_f64_e32 v[4:5], v[14:15]
	s_mov_b32 s0, 0
	s_mov_b32 s1, 0x3fd80000
	v_mov_b32_e32 v11, 0x180
	v_mul_f64 v[14:15], v[4:5], -v[14:15]
	v_fma_f64 v[14:15], v[14:15], v[4:5], 1.0
	v_mul_f64 v[18:19], v[4:5], v[14:15]
	v_fma_f64 v[14:15], v[14:15], s[0:1], 0.5
	v_fma_f64 v[14:15], v[18:19], v[14:15], v[4:5]
	v_cmp_class_f64_e64 s[0:1], v[4:5], v11
	s_nop 1
	v_cndmask_b32_e64 v5, v5, v15, s[0:1]
	v_cndmask_b32_e64 v4, v4, v14, s[0:1]
.LBB189_15:
	s_or_b64 exec, exec, s[6:7]
	v_or_b32_e32 v11, 0x200, v0
	v_cmp_gt_i32_e64 s[0:1], s10, v11
	s_and_saveexec_b64 s[6:7], s[0:1]
	s_cbranch_execz .LBB189_17
; %bb.16:
	s_waitcnt vmcnt(0)
	v_rsq_f64_e32 v[6:7], v[16:17]
	s_mov_b32 s0, 0
	s_mov_b32 s1, 0x3fd80000
	v_mov_b32_e32 v11, 0x180
	v_mul_f64 v[14:15], v[6:7], -v[16:17]
	v_fma_f64 v[14:15], v[14:15], v[6:7], 1.0
	v_mul_f64 v[16:17], v[6:7], v[14:15]
	v_fma_f64 v[14:15], v[14:15], s[0:1], 0.5
	v_fma_f64 v[14:15], v[16:17], v[14:15], v[6:7]
	v_cmp_class_f64_e64 s[0:1], v[6:7], v11
	s_nop 1
	v_cndmask_b32_e64 v7, v7, v15, s[0:1]
	v_cndmask_b32_e64 v6, v6, v14, s[0:1]
.LBB189_17:
	s_or_b64 exec, exec, s[6:7]
	v_or_b32_e32 v11, 0x300, v0
	v_cmp_gt_i32_e64 s[0:1], s10, v11
	s_and_saveexec_b64 s[6:7], s[0:1]
	s_cbranch_execnz .LBB189_24
; %bb.18:
	s_or_b64 exec, exec, s[6:7]
	s_and_saveexec_b64 s[0:1], vcc
	s_xor_b64 s[0:1], exec, s[0:1]
	s_cbranch_execnz .LBB189_25
.LBB189_19:
	s_or_b64 exec, exec, s[0:1]
	v_cmp_gt_i32_e32 vcc, s10, v0
	s_and_saveexec_b64 s[0:1], vcc
	s_cbranch_execnz .LBB189_26
.LBB189_20:
	s_or_b64 exec, exec, s[0:1]
	v_cmp_gt_i32_e32 vcc, s10, v0
	s_and_saveexec_b64 s[0:1], vcc
	s_cbranch_execnz .LBB189_27
.LBB189_21:
	s_or_b64 exec, exec, s[0:1]
	v_cmp_gt_i32_e32 vcc, s10, v0
	s_and_saveexec_b64 s[0:1], vcc
	s_cbranch_execz .LBB189_23
.LBB189_22:
	v_add_u32_e32 v0, s2, v0
	v_mov_b32_e32 v1, 0
	v_lshl_add_u64 v[0:1], v[0:1], 3, s[4:5]
	global_store_dwordx2 v[0:1], v[8:9], off
.LBB189_23:
	s_endpgm
.LBB189_24:
	s_waitcnt vmcnt(0)
	v_rsq_f64_e32 v[8:9], v[12:13]
	s_mov_b32 s0, 0
	s_mov_b32 s1, 0x3fd80000
	v_mov_b32_e32 v11, 0x180
	v_mul_f64 v[12:13], v[8:9], -v[12:13]
	v_fma_f64 v[12:13], v[12:13], v[8:9], 1.0
	v_mul_f64 v[14:15], v[8:9], v[12:13]
	v_fma_f64 v[12:13], v[12:13], s[0:1], 0.5
	v_fma_f64 v[12:13], v[14:15], v[12:13], v[8:9]
	v_cmp_class_f64_e64 s[0:1], v[8:9], v11
	s_nop 1
	v_cndmask_b32_e64 v9, v9, v13, s[0:1]
	v_cndmask_b32_e64 v8, v8, v12, s[0:1]
	s_or_b64 exec, exec, s[6:7]
	s_and_saveexec_b64 s[0:1], vcc
	s_xor_b64 s[0:1], exec, s[0:1]
	s_cbranch_execz .LBB189_19
.LBB189_25:
	v_mov_b32_e32 v11, 0
	v_lshl_add_u64 v[10:11], v[10:11], 3, s[4:5]
	v_mov_b32_e32 v0, v1
	global_store_dwordx2 v[10:11], v[2:3], off
	s_or_b64 exec, exec, s[0:1]
	v_cmp_gt_i32_e32 vcc, s10, v0
	s_and_saveexec_b64 s[0:1], vcc
	s_cbranch_execz .LBB189_20
.LBB189_26:
	v_add_u32_e32 v2, s2, v0
	v_mov_b32_e32 v3, 0
	v_lshl_add_u64 v[2:3], v[2:3], 3, s[4:5]
	v_add_u32_e32 v0, 0x100, v0
	global_store_dwordx2 v[2:3], v[4:5], off
	s_or_b64 exec, exec, s[0:1]
	v_cmp_gt_i32_e32 vcc, s10, v0
	s_and_saveexec_b64 s[0:1], vcc
	s_cbranch_execz .LBB189_21
.LBB189_27:
	v_add_u32_e32 v2, s2, v0
	v_mov_b32_e32 v3, 0
	v_lshl_add_u64 v[2:3], v[2:3], 3, s[4:5]
	v_add_u32_e32 v0, 0x100, v0
	global_store_dwordx2 v[2:3], v[6:7], off
	s_or_b64 exec, exec, s[0:1]
	v_cmp_gt_i32_e32 vcc, s10, v0
	s_and_saveexec_b64 s[0:1], vcc
	s_cbranch_execnz .LBB189_22
	s_branch .LBB189_23
	.section	.rodata,"a",@progbits
	.p2align	6, 0x0
	.amdhsa_kernel _ZN2at6native29vectorized_elementwise_kernelILi2EZZZNS0_17rsqrt_kernel_cudaERNS_18TensorIteratorBaseEENKUlvE0_clEvENKUlvE_clEvEUldE_St5arrayIPcLm2EEEEviT0_T1_
		.amdhsa_group_segment_fixed_size 0
		.amdhsa_private_segment_fixed_size 0
		.amdhsa_kernarg_size 24
		.amdhsa_user_sgpr_count 2
		.amdhsa_user_sgpr_dispatch_ptr 0
		.amdhsa_user_sgpr_queue_ptr 0
		.amdhsa_user_sgpr_kernarg_segment_ptr 1
		.amdhsa_user_sgpr_dispatch_id 0
		.amdhsa_user_sgpr_kernarg_preload_length 0
		.amdhsa_user_sgpr_kernarg_preload_offset 0
		.amdhsa_user_sgpr_private_segment_size 0
		.amdhsa_uses_dynamic_stack 0
		.amdhsa_enable_private_segment 0
		.amdhsa_system_sgpr_workgroup_id_x 1
		.amdhsa_system_sgpr_workgroup_id_y 0
		.amdhsa_system_sgpr_workgroup_id_z 0
		.amdhsa_system_sgpr_workgroup_info 0
		.amdhsa_system_vgpr_workitem_id 0
		.amdhsa_next_free_vgpr 26
		.amdhsa_next_free_sgpr 11
		.amdhsa_accum_offset 28
		.amdhsa_reserve_vcc 1
		.amdhsa_float_round_mode_32 0
		.amdhsa_float_round_mode_16_64 0
		.amdhsa_float_denorm_mode_32 3
		.amdhsa_float_denorm_mode_16_64 3
		.amdhsa_dx10_clamp 1
		.amdhsa_ieee_mode 1
		.amdhsa_fp16_overflow 0
		.amdhsa_tg_split 0
		.amdhsa_exception_fp_ieee_invalid_op 0
		.amdhsa_exception_fp_denorm_src 0
		.amdhsa_exception_fp_ieee_div_zero 0
		.amdhsa_exception_fp_ieee_overflow 0
		.amdhsa_exception_fp_ieee_underflow 0
		.amdhsa_exception_fp_ieee_inexact 0
		.amdhsa_exception_int_div_zero 0
	.end_amdhsa_kernel
	.section	.text._ZN2at6native29vectorized_elementwise_kernelILi2EZZZNS0_17rsqrt_kernel_cudaERNS_18TensorIteratorBaseEENKUlvE0_clEvENKUlvE_clEvEUldE_St5arrayIPcLm2EEEEviT0_T1_,"axG",@progbits,_ZN2at6native29vectorized_elementwise_kernelILi2EZZZNS0_17rsqrt_kernel_cudaERNS_18TensorIteratorBaseEENKUlvE0_clEvENKUlvE_clEvEUldE_St5arrayIPcLm2EEEEviT0_T1_,comdat
.Lfunc_end189:
	.size	_ZN2at6native29vectorized_elementwise_kernelILi2EZZZNS0_17rsqrt_kernel_cudaERNS_18TensorIteratorBaseEENKUlvE0_clEvENKUlvE_clEvEUldE_St5arrayIPcLm2EEEEviT0_T1_, .Lfunc_end189-_ZN2at6native29vectorized_elementwise_kernelILi2EZZZNS0_17rsqrt_kernel_cudaERNS_18TensorIteratorBaseEENKUlvE0_clEvENKUlvE_clEvEUldE_St5arrayIPcLm2EEEEviT0_T1_
                                        ; -- End function
	.set _ZN2at6native29vectorized_elementwise_kernelILi2EZZZNS0_17rsqrt_kernel_cudaERNS_18TensorIteratorBaseEENKUlvE0_clEvENKUlvE_clEvEUldE_St5arrayIPcLm2EEEEviT0_T1_.num_vgpr, 26
	.set _ZN2at6native29vectorized_elementwise_kernelILi2EZZZNS0_17rsqrt_kernel_cudaERNS_18TensorIteratorBaseEENKUlvE0_clEvENKUlvE_clEvEUldE_St5arrayIPcLm2EEEEviT0_T1_.num_agpr, 0
	.set _ZN2at6native29vectorized_elementwise_kernelILi2EZZZNS0_17rsqrt_kernel_cudaERNS_18TensorIteratorBaseEENKUlvE0_clEvENKUlvE_clEvEUldE_St5arrayIPcLm2EEEEviT0_T1_.numbered_sgpr, 11
	.set _ZN2at6native29vectorized_elementwise_kernelILi2EZZZNS0_17rsqrt_kernel_cudaERNS_18TensorIteratorBaseEENKUlvE0_clEvENKUlvE_clEvEUldE_St5arrayIPcLm2EEEEviT0_T1_.num_named_barrier, 0
	.set _ZN2at6native29vectorized_elementwise_kernelILi2EZZZNS0_17rsqrt_kernel_cudaERNS_18TensorIteratorBaseEENKUlvE0_clEvENKUlvE_clEvEUldE_St5arrayIPcLm2EEEEviT0_T1_.private_seg_size, 0
	.set _ZN2at6native29vectorized_elementwise_kernelILi2EZZZNS0_17rsqrt_kernel_cudaERNS_18TensorIteratorBaseEENKUlvE0_clEvENKUlvE_clEvEUldE_St5arrayIPcLm2EEEEviT0_T1_.uses_vcc, 1
	.set _ZN2at6native29vectorized_elementwise_kernelILi2EZZZNS0_17rsqrt_kernel_cudaERNS_18TensorIteratorBaseEENKUlvE0_clEvENKUlvE_clEvEUldE_St5arrayIPcLm2EEEEviT0_T1_.uses_flat_scratch, 0
	.set _ZN2at6native29vectorized_elementwise_kernelILi2EZZZNS0_17rsqrt_kernel_cudaERNS_18TensorIteratorBaseEENKUlvE0_clEvENKUlvE_clEvEUldE_St5arrayIPcLm2EEEEviT0_T1_.has_dyn_sized_stack, 0
	.set _ZN2at6native29vectorized_elementwise_kernelILi2EZZZNS0_17rsqrt_kernel_cudaERNS_18TensorIteratorBaseEENKUlvE0_clEvENKUlvE_clEvEUldE_St5arrayIPcLm2EEEEviT0_T1_.has_recursion, 0
	.set _ZN2at6native29vectorized_elementwise_kernelILi2EZZZNS0_17rsqrt_kernel_cudaERNS_18TensorIteratorBaseEENKUlvE0_clEvENKUlvE_clEvEUldE_St5arrayIPcLm2EEEEviT0_T1_.has_indirect_call, 0
	.section	.AMDGPU.csdata,"",@progbits
; Kernel info:
; codeLenInByte = 1428
; TotalNumSgprs: 17
; NumVgprs: 26
; NumAgprs: 0
; TotalNumVgprs: 26
; ScratchSize: 0
; MemoryBound: 0
; FloatMode: 240
; IeeeMode: 1
; LDSByteSize: 0 bytes/workgroup (compile time only)
; SGPRBlocks: 2
; VGPRBlocks: 3
; NumSGPRsForWavesPerEU: 17
; NumVGPRsForWavesPerEU: 26
; AccumOffset: 28
; Occupancy: 8
; WaveLimiterHint : 1
; COMPUTE_PGM_RSRC2:SCRATCH_EN: 0
; COMPUTE_PGM_RSRC2:USER_SGPR: 2
; COMPUTE_PGM_RSRC2:TRAP_HANDLER: 0
; COMPUTE_PGM_RSRC2:TGID_X_EN: 1
; COMPUTE_PGM_RSRC2:TGID_Y_EN: 0
; COMPUTE_PGM_RSRC2:TGID_Z_EN: 0
; COMPUTE_PGM_RSRC2:TIDIG_COMP_CNT: 0
; COMPUTE_PGM_RSRC3_GFX90A:ACCUM_OFFSET: 6
; COMPUTE_PGM_RSRC3_GFX90A:TG_SPLIT: 0
	.section	.text._ZN2at6native27unrolled_elementwise_kernelIZZZNS0_17rsqrt_kernel_cudaERNS_18TensorIteratorBaseEENKUlvE0_clEvENKUlvE_clEvEUldE_St5arrayIPcLm2EELi4E23TrivialOffsetCalculatorILi1EjESB_NS0_6memory15LoadWithoutCastENSC_16StoreWithoutCastEEEviT_T0_T2_T3_T4_T5_,"axG",@progbits,_ZN2at6native27unrolled_elementwise_kernelIZZZNS0_17rsqrt_kernel_cudaERNS_18TensorIteratorBaseEENKUlvE0_clEvENKUlvE_clEvEUldE_St5arrayIPcLm2EELi4E23TrivialOffsetCalculatorILi1EjESB_NS0_6memory15LoadWithoutCastENSC_16StoreWithoutCastEEEviT_T0_T2_T3_T4_T5_,comdat
	.globl	_ZN2at6native27unrolled_elementwise_kernelIZZZNS0_17rsqrt_kernel_cudaERNS_18TensorIteratorBaseEENKUlvE0_clEvENKUlvE_clEvEUldE_St5arrayIPcLm2EELi4E23TrivialOffsetCalculatorILi1EjESB_NS0_6memory15LoadWithoutCastENSC_16StoreWithoutCastEEEviT_T0_T2_T3_T4_T5_ ; -- Begin function _ZN2at6native27unrolled_elementwise_kernelIZZZNS0_17rsqrt_kernel_cudaERNS_18TensorIteratorBaseEENKUlvE0_clEvENKUlvE_clEvEUldE_St5arrayIPcLm2EELi4E23TrivialOffsetCalculatorILi1EjESB_NS0_6memory15LoadWithoutCastENSC_16StoreWithoutCastEEEviT_T0_T2_T3_T4_T5_
	.p2align	8
	.type	_ZN2at6native27unrolled_elementwise_kernelIZZZNS0_17rsqrt_kernel_cudaERNS_18TensorIteratorBaseEENKUlvE0_clEvENKUlvE_clEvEUldE_St5arrayIPcLm2EELi4E23TrivialOffsetCalculatorILi1EjESB_NS0_6memory15LoadWithoutCastENSC_16StoreWithoutCastEEEviT_T0_T2_T3_T4_T5_,@function
_ZN2at6native27unrolled_elementwise_kernelIZZZNS0_17rsqrt_kernel_cudaERNS_18TensorIteratorBaseEENKUlvE0_clEvENKUlvE_clEvEUldE_St5arrayIPcLm2EELi4E23TrivialOffsetCalculatorILi1EjESB_NS0_6memory15LoadWithoutCastENSC_16StoreWithoutCastEEEviT_T0_T2_T3_T4_T5_: ; @_ZN2at6native27unrolled_elementwise_kernelIZZZNS0_17rsqrt_kernel_cudaERNS_18TensorIteratorBaseEENKUlvE0_clEvENKUlvE_clEvEUldE_St5arrayIPcLm2EELi4E23TrivialOffsetCalculatorILi1EjESB_NS0_6memory15LoadWithoutCastENSC_16StoreWithoutCastEEEviT_T0_T2_T3_T4_T5_
; %bb.0:
	s_load_dword s3, s[0:1], 0x0
	s_load_dwordx4 s[4:7], s[0:1], 0x8
	s_lshl_b32 s8, s2, 10
	v_mov_b64_e32 v[14:15], 0
	v_or_b32_e32 v10, s8, v0
	s_waitcnt lgkmcnt(0)
	s_sub_i32 s9, s3, s8
	v_cmp_gt_i32_e32 vcc, s9, v0
	v_mov_b64_e32 v[18:19], 0
	v_mov_b32_e32 v1, v0
	s_and_saveexec_b64 s[0:1], vcc
	s_cbranch_execz .LBB190_2
; %bb.1:
	v_mov_b32_e32 v11, 0
	v_lshl_add_u64 v[2:3], v[10:11], 3, s[6:7]
	global_load_dwordx2 v[18:19], v[2:3], off
	v_or_b32_e32 v1, 0x100, v0
.LBB190_2:
	s_or_b64 exec, exec, s[0:1]
	v_cmp_gt_i32_e64 s[0:1], s9, v1
	s_and_saveexec_b64 s[2:3], s[0:1]
	s_cbranch_execz .LBB190_4
; %bb.3:
	v_add_u32_e32 v2, s8, v1
	v_mov_b32_e32 v3, 0
	v_lshl_add_u64 v[2:3], v[2:3], 3, s[6:7]
	global_load_dwordx2 v[14:15], v[2:3], off
	v_add_u32_e32 v1, 0x100, v1
.LBB190_4:
	s_or_b64 exec, exec, s[2:3]
	v_cmp_gt_i32_e64 s[0:1], s9, v1
	v_mov_b64_e32 v[12:13], 0
	v_mov_b64_e32 v[16:17], 0
	s_and_saveexec_b64 s[2:3], s[0:1]
	s_cbranch_execz .LBB190_6
; %bb.5:
	v_add_u32_e32 v2, s8, v1
	v_mov_b32_e32 v3, 0
	v_lshl_add_u64 v[2:3], v[2:3], 3, s[6:7]
	global_load_dwordx2 v[16:17], v[2:3], off
	v_add_u32_e32 v1, 0x100, v1
.LBB190_6:
	s_or_b64 exec, exec, s[2:3]
	v_cmp_gt_i32_e64 s[0:1], s9, v1
	s_and_saveexec_b64 s[2:3], s[0:1]
	s_cbranch_execz .LBB190_8
; %bb.7:
	v_add_u32_e32 v2, s8, v1
	v_mov_b32_e32 v3, 0
	v_lshl_add_u64 v[2:3], v[2:3], 3, s[6:7]
	global_load_dwordx2 v[12:13], v[2:3], off
.LBB190_8:
	s_or_b64 exec, exec, s[2:3]
	v_mov_b32_e32 v2, 0
	v_mov_b32_e32 v3, v2
	;; [unrolled: 1-line block ×8, first 2 shown]
	s_and_saveexec_b64 s[2:3], vcc
	s_cbranch_execz .LBB190_10
; %bb.9:
	s_waitcnt vmcnt(0)
	v_rsq_f64_e32 v[4:5], v[18:19]
	s_mov_b32 s0, 0
	s_mov_b32 s1, 0x3fd80000
	v_mov_b32_e32 v1, 0x180
	v_mul_f64 v[6:7], v[4:5], -v[18:19]
	v_fma_f64 v[6:7], v[6:7], v[4:5], 1.0
	v_mul_f64 v[8:9], v[4:5], v[6:7]
	v_fma_f64 v[6:7], v[6:7], s[0:1], 0.5
	v_fma_f64 v[6:7], v[8:9], v[6:7], v[4:5]
	v_cmp_class_f64_e64 s[0:1], v[4:5], v1
	v_mov_b32_e32 v20, v2
	v_mov_b32_e32 v21, v2
	v_cndmask_b32_e64 v19, v5, v7, s[0:1]
	v_cndmask_b32_e64 v18, v4, v6, s[0:1]
	v_mov_b32_e32 v22, v2
	v_mov_b32_e32 v23, v2
	v_mov_b32_e32 v24, v2
	v_mov_b32_e32 v25, v2
	v_mov_b64_e32 v[2:3], v[18:19]
	v_mov_b64_e32 v[4:5], v[20:21]
	;; [unrolled: 1-line block ×4, first 2 shown]
.LBB190_10:
	s_or_b64 exec, exec, s[2:3]
	v_or_b32_e32 v1, 0x100, v0
	v_cmp_gt_i32_e64 s[0:1], s9, v1
	s_and_saveexec_b64 s[2:3], s[0:1]
	s_cbranch_execz .LBB190_12
; %bb.11:
	s_waitcnt vmcnt(0)
	v_rsq_f64_e32 v[4:5], v[14:15]
	s_mov_b32 s0, 0
	s_mov_b32 s1, 0x3fd80000
	v_mov_b32_e32 v11, 0x180
	v_mul_f64 v[14:15], v[4:5], -v[14:15]
	v_fma_f64 v[14:15], v[14:15], v[4:5], 1.0
	v_mul_f64 v[18:19], v[4:5], v[14:15]
	v_fma_f64 v[14:15], v[14:15], s[0:1], 0.5
	v_fma_f64 v[14:15], v[18:19], v[14:15], v[4:5]
	v_cmp_class_f64_e64 s[0:1], v[4:5], v11
	s_nop 1
	v_cndmask_b32_e64 v5, v5, v15, s[0:1]
	v_cndmask_b32_e64 v4, v4, v14, s[0:1]
.LBB190_12:
	s_or_b64 exec, exec, s[2:3]
	v_or_b32_e32 v11, 0x200, v0
	v_cmp_gt_i32_e64 s[0:1], s9, v11
	s_and_saveexec_b64 s[2:3], s[0:1]
	s_cbranch_execz .LBB190_14
; %bb.13:
	s_waitcnt vmcnt(0)
	v_rsq_f64_e32 v[6:7], v[16:17]
	s_mov_b32 s0, 0
	s_mov_b32 s1, 0x3fd80000
	v_mov_b32_e32 v11, 0x180
	v_mul_f64 v[14:15], v[6:7], -v[16:17]
	v_fma_f64 v[14:15], v[14:15], v[6:7], 1.0
	v_mul_f64 v[16:17], v[6:7], v[14:15]
	v_fma_f64 v[14:15], v[14:15], s[0:1], 0.5
	v_fma_f64 v[14:15], v[16:17], v[14:15], v[6:7]
	v_cmp_class_f64_e64 s[0:1], v[6:7], v11
	s_nop 1
	v_cndmask_b32_e64 v7, v7, v15, s[0:1]
	v_cndmask_b32_e64 v6, v6, v14, s[0:1]
.LBB190_14:
	s_or_b64 exec, exec, s[2:3]
	v_or_b32_e32 v11, 0x300, v0
	v_cmp_gt_i32_e64 s[0:1], s9, v11
	s_and_saveexec_b64 s[2:3], s[0:1]
	s_cbranch_execnz .LBB190_20
; %bb.15:
	s_or_b64 exec, exec, s[2:3]
	s_and_saveexec_b64 s[0:1], vcc
	s_xor_b64 s[0:1], exec, s[0:1]
	s_cbranch_execnz .LBB190_21
.LBB190_16:
	s_or_b64 exec, exec, s[0:1]
	v_cmp_gt_i32_e32 vcc, s9, v0
	s_and_saveexec_b64 s[0:1], vcc
	s_cbranch_execnz .LBB190_22
.LBB190_17:
	s_or_b64 exec, exec, s[0:1]
	v_cmp_gt_i32_e32 vcc, s9, v0
	s_and_saveexec_b64 s[0:1], vcc
	s_cbranch_execnz .LBB190_23
.LBB190_18:
	s_or_b64 exec, exec, s[0:1]
	v_cmp_gt_i32_e32 vcc, s9, v0
	s_and_saveexec_b64 s[0:1], vcc
	s_cbranch_execnz .LBB190_24
.LBB190_19:
	s_endpgm
.LBB190_20:
	s_waitcnt vmcnt(0)
	v_rsq_f64_e32 v[8:9], v[12:13]
	s_mov_b32 s0, 0
	s_mov_b32 s1, 0x3fd80000
	v_mov_b32_e32 v11, 0x180
	v_mul_f64 v[12:13], v[8:9], -v[12:13]
	v_fma_f64 v[12:13], v[12:13], v[8:9], 1.0
	v_mul_f64 v[14:15], v[8:9], v[12:13]
	v_fma_f64 v[12:13], v[12:13], s[0:1], 0.5
	v_fma_f64 v[12:13], v[14:15], v[12:13], v[8:9]
	v_cmp_class_f64_e64 s[0:1], v[8:9], v11
	s_nop 1
	v_cndmask_b32_e64 v9, v9, v13, s[0:1]
	v_cndmask_b32_e64 v8, v8, v12, s[0:1]
	s_or_b64 exec, exec, s[2:3]
	s_and_saveexec_b64 s[0:1], vcc
	s_xor_b64 s[0:1], exec, s[0:1]
	s_cbranch_execz .LBB190_16
.LBB190_21:
	v_mov_b32_e32 v11, 0
	v_lshl_add_u64 v[10:11], v[10:11], 3, s[4:5]
	v_mov_b32_e32 v0, v1
	global_store_dwordx2 v[10:11], v[2:3], off
	s_or_b64 exec, exec, s[0:1]
	v_cmp_gt_i32_e32 vcc, s9, v0
	s_and_saveexec_b64 s[0:1], vcc
	s_cbranch_execz .LBB190_17
.LBB190_22:
	v_add_u32_e32 v2, 0x100, v0
	v_add_u32_e32 v0, s8, v0
	v_mov_b32_e32 v1, 0
	v_lshl_add_u64 v[0:1], v[0:1], 3, s[4:5]
	global_store_dwordx2 v[0:1], v[4:5], off
	v_mov_b32_e32 v0, v2
	s_or_b64 exec, exec, s[0:1]
	v_cmp_gt_i32_e32 vcc, s9, v0
	s_and_saveexec_b64 s[0:1], vcc
	s_cbranch_execz .LBB190_18
.LBB190_23:
	v_add_u32_e32 v2, 0x100, v0
	v_add_u32_e32 v0, s8, v0
	v_mov_b32_e32 v1, 0
	v_lshl_add_u64 v[0:1], v[0:1], 3, s[4:5]
	global_store_dwordx2 v[0:1], v[6:7], off
	v_mov_b32_e32 v0, v2
	s_or_b64 exec, exec, s[0:1]
	v_cmp_gt_i32_e32 vcc, s9, v0
	s_and_saveexec_b64 s[0:1], vcc
	s_cbranch_execz .LBB190_19
.LBB190_24:
	v_add_u32_e32 v0, s8, v0
	v_mov_b32_e32 v1, 0
	v_lshl_add_u64 v[0:1], v[0:1], 3, s[4:5]
	global_store_dwordx2 v[0:1], v[8:9], off
	s_endpgm
	.section	.rodata,"a",@progbits
	.p2align	6, 0x0
	.amdhsa_kernel _ZN2at6native27unrolled_elementwise_kernelIZZZNS0_17rsqrt_kernel_cudaERNS_18TensorIteratorBaseEENKUlvE0_clEvENKUlvE_clEvEUldE_St5arrayIPcLm2EELi4E23TrivialOffsetCalculatorILi1EjESB_NS0_6memory15LoadWithoutCastENSC_16StoreWithoutCastEEEviT_T0_T2_T3_T4_T5_
		.amdhsa_group_segment_fixed_size 0
		.amdhsa_private_segment_fixed_size 0
		.amdhsa_kernarg_size 28
		.amdhsa_user_sgpr_count 2
		.amdhsa_user_sgpr_dispatch_ptr 0
		.amdhsa_user_sgpr_queue_ptr 0
		.amdhsa_user_sgpr_kernarg_segment_ptr 1
		.amdhsa_user_sgpr_dispatch_id 0
		.amdhsa_user_sgpr_kernarg_preload_length 0
		.amdhsa_user_sgpr_kernarg_preload_offset 0
		.amdhsa_user_sgpr_private_segment_size 0
		.amdhsa_uses_dynamic_stack 0
		.amdhsa_enable_private_segment 0
		.amdhsa_system_sgpr_workgroup_id_x 1
		.amdhsa_system_sgpr_workgroup_id_y 0
		.amdhsa_system_sgpr_workgroup_id_z 0
		.amdhsa_system_sgpr_workgroup_info 0
		.amdhsa_system_vgpr_workitem_id 0
		.amdhsa_next_free_vgpr 26
		.amdhsa_next_free_sgpr 10
		.amdhsa_accum_offset 28
		.amdhsa_reserve_vcc 1
		.amdhsa_float_round_mode_32 0
		.amdhsa_float_round_mode_16_64 0
		.amdhsa_float_denorm_mode_32 3
		.amdhsa_float_denorm_mode_16_64 3
		.amdhsa_dx10_clamp 1
		.amdhsa_ieee_mode 1
		.amdhsa_fp16_overflow 0
		.amdhsa_tg_split 0
		.amdhsa_exception_fp_ieee_invalid_op 0
		.amdhsa_exception_fp_denorm_src 0
		.amdhsa_exception_fp_ieee_div_zero 0
		.amdhsa_exception_fp_ieee_overflow 0
		.amdhsa_exception_fp_ieee_underflow 0
		.amdhsa_exception_fp_ieee_inexact 0
		.amdhsa_exception_int_div_zero 0
	.end_amdhsa_kernel
	.section	.text._ZN2at6native27unrolled_elementwise_kernelIZZZNS0_17rsqrt_kernel_cudaERNS_18TensorIteratorBaseEENKUlvE0_clEvENKUlvE_clEvEUldE_St5arrayIPcLm2EELi4E23TrivialOffsetCalculatorILi1EjESB_NS0_6memory15LoadWithoutCastENSC_16StoreWithoutCastEEEviT_T0_T2_T3_T4_T5_,"axG",@progbits,_ZN2at6native27unrolled_elementwise_kernelIZZZNS0_17rsqrt_kernel_cudaERNS_18TensorIteratorBaseEENKUlvE0_clEvENKUlvE_clEvEUldE_St5arrayIPcLm2EELi4E23TrivialOffsetCalculatorILi1EjESB_NS0_6memory15LoadWithoutCastENSC_16StoreWithoutCastEEEviT_T0_T2_T3_T4_T5_,comdat
.Lfunc_end190:
	.size	_ZN2at6native27unrolled_elementwise_kernelIZZZNS0_17rsqrt_kernel_cudaERNS_18TensorIteratorBaseEENKUlvE0_clEvENKUlvE_clEvEUldE_St5arrayIPcLm2EELi4E23TrivialOffsetCalculatorILi1EjESB_NS0_6memory15LoadWithoutCastENSC_16StoreWithoutCastEEEviT_T0_T2_T3_T4_T5_, .Lfunc_end190-_ZN2at6native27unrolled_elementwise_kernelIZZZNS0_17rsqrt_kernel_cudaERNS_18TensorIteratorBaseEENKUlvE0_clEvENKUlvE_clEvEUldE_St5arrayIPcLm2EELi4E23TrivialOffsetCalculatorILi1EjESB_NS0_6memory15LoadWithoutCastENSC_16StoreWithoutCastEEEviT_T0_T2_T3_T4_T5_
                                        ; -- End function
	.set _ZN2at6native27unrolled_elementwise_kernelIZZZNS0_17rsqrt_kernel_cudaERNS_18TensorIteratorBaseEENKUlvE0_clEvENKUlvE_clEvEUldE_St5arrayIPcLm2EELi4E23TrivialOffsetCalculatorILi1EjESB_NS0_6memory15LoadWithoutCastENSC_16StoreWithoutCastEEEviT_T0_T2_T3_T4_T5_.num_vgpr, 26
	.set _ZN2at6native27unrolled_elementwise_kernelIZZZNS0_17rsqrt_kernel_cudaERNS_18TensorIteratorBaseEENKUlvE0_clEvENKUlvE_clEvEUldE_St5arrayIPcLm2EELi4E23TrivialOffsetCalculatorILi1EjESB_NS0_6memory15LoadWithoutCastENSC_16StoreWithoutCastEEEviT_T0_T2_T3_T4_T5_.num_agpr, 0
	.set _ZN2at6native27unrolled_elementwise_kernelIZZZNS0_17rsqrt_kernel_cudaERNS_18TensorIteratorBaseEENKUlvE0_clEvENKUlvE_clEvEUldE_St5arrayIPcLm2EELi4E23TrivialOffsetCalculatorILi1EjESB_NS0_6memory15LoadWithoutCastENSC_16StoreWithoutCastEEEviT_T0_T2_T3_T4_T5_.numbered_sgpr, 10
	.set _ZN2at6native27unrolled_elementwise_kernelIZZZNS0_17rsqrt_kernel_cudaERNS_18TensorIteratorBaseEENKUlvE0_clEvENKUlvE_clEvEUldE_St5arrayIPcLm2EELi4E23TrivialOffsetCalculatorILi1EjESB_NS0_6memory15LoadWithoutCastENSC_16StoreWithoutCastEEEviT_T0_T2_T3_T4_T5_.num_named_barrier, 0
	.set _ZN2at6native27unrolled_elementwise_kernelIZZZNS0_17rsqrt_kernel_cudaERNS_18TensorIteratorBaseEENKUlvE0_clEvENKUlvE_clEvEUldE_St5arrayIPcLm2EELi4E23TrivialOffsetCalculatorILi1EjESB_NS0_6memory15LoadWithoutCastENSC_16StoreWithoutCastEEEviT_T0_T2_T3_T4_T5_.private_seg_size, 0
	.set _ZN2at6native27unrolled_elementwise_kernelIZZZNS0_17rsqrt_kernel_cudaERNS_18TensorIteratorBaseEENKUlvE0_clEvENKUlvE_clEvEUldE_St5arrayIPcLm2EELi4E23TrivialOffsetCalculatorILi1EjESB_NS0_6memory15LoadWithoutCastENSC_16StoreWithoutCastEEEviT_T0_T2_T3_T4_T5_.uses_vcc, 1
	.set _ZN2at6native27unrolled_elementwise_kernelIZZZNS0_17rsqrt_kernel_cudaERNS_18TensorIteratorBaseEENKUlvE0_clEvENKUlvE_clEvEUldE_St5arrayIPcLm2EELi4E23TrivialOffsetCalculatorILi1EjESB_NS0_6memory15LoadWithoutCastENSC_16StoreWithoutCastEEEviT_T0_T2_T3_T4_T5_.uses_flat_scratch, 0
	.set _ZN2at6native27unrolled_elementwise_kernelIZZZNS0_17rsqrt_kernel_cudaERNS_18TensorIteratorBaseEENKUlvE0_clEvENKUlvE_clEvEUldE_St5arrayIPcLm2EELi4E23TrivialOffsetCalculatorILi1EjESB_NS0_6memory15LoadWithoutCastENSC_16StoreWithoutCastEEEviT_T0_T2_T3_T4_T5_.has_dyn_sized_stack, 0
	.set _ZN2at6native27unrolled_elementwise_kernelIZZZNS0_17rsqrt_kernel_cudaERNS_18TensorIteratorBaseEENKUlvE0_clEvENKUlvE_clEvEUldE_St5arrayIPcLm2EELi4E23TrivialOffsetCalculatorILi1EjESB_NS0_6memory15LoadWithoutCastENSC_16StoreWithoutCastEEEviT_T0_T2_T3_T4_T5_.has_recursion, 0
	.set _ZN2at6native27unrolled_elementwise_kernelIZZZNS0_17rsqrt_kernel_cudaERNS_18TensorIteratorBaseEENKUlvE0_clEvENKUlvE_clEvEUldE_St5arrayIPcLm2EELi4E23TrivialOffsetCalculatorILi1EjESB_NS0_6memory15LoadWithoutCastENSC_16StoreWithoutCastEEEviT_T0_T2_T3_T4_T5_.has_indirect_call, 0
	.section	.AMDGPU.csdata,"",@progbits
; Kernel info:
; codeLenInByte = 1044
; TotalNumSgprs: 16
; NumVgprs: 26
; NumAgprs: 0
; TotalNumVgprs: 26
; ScratchSize: 0
; MemoryBound: 0
; FloatMode: 240
; IeeeMode: 1
; LDSByteSize: 0 bytes/workgroup (compile time only)
; SGPRBlocks: 1
; VGPRBlocks: 3
; NumSGPRsForWavesPerEU: 16
; NumVGPRsForWavesPerEU: 26
; AccumOffset: 28
; Occupancy: 8
; WaveLimiterHint : 0
; COMPUTE_PGM_RSRC2:SCRATCH_EN: 0
; COMPUTE_PGM_RSRC2:USER_SGPR: 2
; COMPUTE_PGM_RSRC2:TRAP_HANDLER: 0
; COMPUTE_PGM_RSRC2:TGID_X_EN: 1
; COMPUTE_PGM_RSRC2:TGID_Y_EN: 0
; COMPUTE_PGM_RSRC2:TGID_Z_EN: 0
; COMPUTE_PGM_RSRC2:TIDIG_COMP_CNT: 0
; COMPUTE_PGM_RSRC3_GFX90A:ACCUM_OFFSET: 6
; COMPUTE_PGM_RSRC3_GFX90A:TG_SPLIT: 0
	.section	.text._ZN2at6native32elementwise_kernel_manual_unrollILi128ELi4EZNS0_22gpu_kernel_impl_nocastIZZZNS0_17rsqrt_kernel_cudaERNS_18TensorIteratorBaseEENKUlvE0_clEvENKUlvE_clEvEUldE_EEvS4_RKT_EUlibE_EEviT1_,"axG",@progbits,_ZN2at6native32elementwise_kernel_manual_unrollILi128ELi4EZNS0_22gpu_kernel_impl_nocastIZZZNS0_17rsqrt_kernel_cudaERNS_18TensorIteratorBaseEENKUlvE0_clEvENKUlvE_clEvEUldE_EEvS4_RKT_EUlibE_EEviT1_,comdat
	.globl	_ZN2at6native32elementwise_kernel_manual_unrollILi128ELi4EZNS0_22gpu_kernel_impl_nocastIZZZNS0_17rsqrt_kernel_cudaERNS_18TensorIteratorBaseEENKUlvE0_clEvENKUlvE_clEvEUldE_EEvS4_RKT_EUlibE_EEviT1_ ; -- Begin function _ZN2at6native32elementwise_kernel_manual_unrollILi128ELi4EZNS0_22gpu_kernel_impl_nocastIZZZNS0_17rsqrt_kernel_cudaERNS_18TensorIteratorBaseEENKUlvE0_clEvENKUlvE_clEvEUldE_EEvS4_RKT_EUlibE_EEviT1_
	.p2align	8
	.type	_ZN2at6native32elementwise_kernel_manual_unrollILi128ELi4EZNS0_22gpu_kernel_impl_nocastIZZZNS0_17rsqrt_kernel_cudaERNS_18TensorIteratorBaseEENKUlvE0_clEvENKUlvE_clEvEUldE_EEvS4_RKT_EUlibE_EEviT1_,@function
_ZN2at6native32elementwise_kernel_manual_unrollILi128ELi4EZNS0_22gpu_kernel_impl_nocastIZZZNS0_17rsqrt_kernel_cudaERNS_18TensorIteratorBaseEENKUlvE0_clEvENKUlvE_clEvEUldE_EEvS4_RKT_EUlibE_EEviT1_: ; @_ZN2at6native32elementwise_kernel_manual_unrollILi128ELi4EZNS0_22gpu_kernel_impl_nocastIZZZNS0_17rsqrt_kernel_cudaERNS_18TensorIteratorBaseEENKUlvE0_clEvENKUlvE_clEvEUldE_EEvS4_RKT_EUlibE_EEviT1_
; %bb.0:
	s_load_dword s55, s[0:1], 0x0
	s_load_dword s33, s[0:1], 0x8
	s_add_u32 s34, s0, 8
	s_addc_u32 s35, s1, 0
	v_lshl_or_b32 v8, s2, 9, v0
	v_or_b32_e32 v16, 0x180, v8
	s_waitcnt lgkmcnt(0)
	s_add_i32 s54, s33, -1
	s_cmp_gt_u32 s54, 1
	v_cmp_le_i32_e32 vcc, s55, v16
	s_cselect_b64 s[36:37], -1, 0
	s_and_saveexec_b64 s[0:1], vcc
	s_xor_b64 s[38:39], exec, s[0:1]
	s_cbranch_execz .LBB191_8
; %bb.1:
	s_load_dwordx4 s[24:27], s[34:35], 0x4
	s_load_dwordx2 s[40:41], s[34:35], 0x14
	s_load_dwordx4 s[20:23], s[34:35], 0xc4
	s_load_dwordx4 s[16:19], s[34:35], 0x148
	s_cmp_lg_u32 s33, 0
	s_cselect_b64 s[46:47], -1, 0
	s_add_u32 s44, s34, 0xc4
	s_addc_u32 s45, s35, 0
	s_min_u32 s56, s54, 15
	s_cmp_gt_u32 s33, 1
	s_cselect_b64 s[42:43], -1, 0
	v_cmp_gt_i32_e32 vcc, s55, v8
	s_and_saveexec_b64 s[48:49], vcc
	s_cbranch_execz .LBB191_15
; %bb.2:
	s_andn2_b64 vcc, exec, s[36:37]
	s_cbranch_vccnz .LBB191_23
; %bb.3:
	s_andn2_b64 vcc, exec, s[46:47]
	s_cbranch_vccnz .LBB191_75
; %bb.4:
	s_add_i32 s58, s56, 1
	s_cmp_eq_u32 s54, 2
	s_cbranch_scc1 .LBB191_77
; %bb.5:
	s_and_b32 s57, s58, 28
	s_mov_b32 s59, 0
	v_mov_b32_e32 v0, 0
	v_mov_b32_e32 v2, 0
	s_mov_b64 s[50:51], s[34:35]
	s_mov_b64 s[52:53], s[44:45]
	v_mov_b32_e32 v4, v8
.LBB191_6:                              ; =>This Inner Loop Header: Depth=1
	s_load_dwordx8 s[8:15], s[50:51], 0x4
	s_load_dwordx4 s[28:31], s[50:51], 0x24
	s_load_dwordx8 s[0:7], s[52:53], 0x0
	s_add_u32 s50, s50, 48
	s_addc_u32 s51, s51, 0
	s_waitcnt lgkmcnt(0)
	v_mul_hi_u32 v1, s9, v4
	v_add_u32_e32 v1, v4, v1
	v_lshrrev_b32_e32 v1, s10, v1
	v_mul_lo_u32 v3, v1, s8
	v_mul_hi_u32 v5, s12, v1
	v_sub_u32_e32 v3, v4, v3
	v_add_u32_e32 v4, v1, v5
	v_lshrrev_b32_e32 v4, s13, v4
	v_mul_lo_u32 v6, v4, s11
	v_mul_hi_u32 v7, s15, v4
	v_sub_u32_e32 v1, v1, v6
	v_add_u32_e32 v6, v4, v7
	v_mul_lo_u32 v5, v3, s1
	v_mul_lo_u32 v3, v3, s0
	;; [unrolled: 1-line block ×4, first 2 shown]
	v_lshrrev_b32_e32 v6, s28, v6
	v_add3_u32 v0, v3, v0, v1
	v_mul_hi_u32 v3, s30, v6
	v_add3_u32 v1, v5, v2, v7
	v_mul_lo_u32 v2, v6, s14
	v_add_u32_e32 v3, v6, v3
	v_sub_u32_e32 v2, v4, v2
	v_lshrrev_b32_e32 v4, s31, v3
	s_add_i32 s59, s59, 4
	v_mul_lo_u32 v3, v4, s29
	s_add_u32 s52, s52, 32
	v_sub_u32_e32 v3, v6, v3
	s_addc_u32 s53, s53, 0
	v_mul_lo_u32 v5, v2, s4
	v_mul_lo_u32 v2, v2, s5
	;; [unrolled: 1-line block ×4, first 2 shown]
	s_cmp_lg_u32 s57, s59
	v_add3_u32 v2, v2, v1, v3
	v_add3_u32 v0, v5, v0, v6
	s_cbranch_scc1 .LBB191_6
; %bb.7:
	v_mov_b32_e32 v1, v2
	s_branch .LBB191_78
.LBB191_8:
	s_andn2_saveexec_b64 s[0:1], s[38:39]
	s_cbranch_execz .LBB191_104
.LBB191_9:
	v_cndmask_b32_e64 v0, 0, 1, s[36:37]
	v_cmp_ne_u32_e64 s[0:1], 1, v0
	s_andn2_b64 vcc, exec, s[36:37]
	s_cbranch_vccnz .LBB191_22
; %bb.10:
	s_cmp_lg_u32 s33, 0
	s_waitcnt lgkmcnt(0)
	s_mov_b32 s26, 0
	s_cbranch_scc0 .LBB191_25
; %bb.11:
	s_min_u32 s27, s54, 15
	s_add_i32 s27, s27, 1
	s_cmp_eq_u32 s54, 2
	s_cbranch_scc1 .LBB191_26
; %bb.12:
	s_and_b32 s26, s27, 28
	s_add_u32 s2, s34, 0xc4
	s_addc_u32 s3, s35, 0
	s_mov_b32 s28, 0
	v_mov_b32_e32 v0, 0
	v_mov_b32_e32 v2, 0
	s_mov_b64 s[24:25], s[34:35]
	v_mov_b32_e32 v4, v8
.LBB191_13:                             ; =>This Inner Loop Header: Depth=1
	s_load_dwordx8 s[12:19], s[24:25], 0x4
	s_load_dwordx4 s[20:23], s[24:25], 0x24
	s_load_dwordx8 s[4:11], s[2:3], 0x0
	s_add_u32 s24, s24, 48
	s_addc_u32 s25, s25, 0
	s_waitcnt lgkmcnt(0)
	v_mul_hi_u32 v1, s13, v4
	v_add_u32_e32 v1, v4, v1
	v_lshrrev_b32_e32 v1, s14, v1
	v_mul_lo_u32 v3, v1, s12
	v_mul_hi_u32 v5, s16, v1
	v_sub_u32_e32 v3, v4, v3
	v_add_u32_e32 v4, v1, v5
	v_lshrrev_b32_e32 v4, s17, v4
	v_mul_lo_u32 v6, v4, s15
	v_mul_hi_u32 v7, s19, v4
	v_sub_u32_e32 v1, v1, v6
	v_add_u32_e32 v6, v4, v7
	v_mul_lo_u32 v5, v3, s5
	v_mul_lo_u32 v3, v3, s4
	;; [unrolled: 1-line block ×4, first 2 shown]
	v_lshrrev_b32_e32 v6, s20, v6
	v_add3_u32 v0, v3, v0, v1
	v_mul_hi_u32 v3, s22, v6
	v_add3_u32 v1, v5, v2, v7
	v_mul_lo_u32 v2, v6, s18
	v_add_u32_e32 v3, v6, v3
	v_sub_u32_e32 v2, v4, v2
	v_lshrrev_b32_e32 v4, s23, v3
	s_add_i32 s28, s28, 4
	v_mul_lo_u32 v3, v4, s21
	s_add_u32 s2, s2, 32
	v_sub_u32_e32 v3, v6, v3
	s_addc_u32 s3, s3, 0
	v_mul_lo_u32 v5, v2, s8
	v_mul_lo_u32 v2, v2, s9
	;; [unrolled: 1-line block ×4, first 2 shown]
	s_cmp_lg_u32 s26, s28
	v_add3_u32 v2, v2, v1, v3
	v_add3_u32 v0, v5, v0, v6
	s_cbranch_scc1 .LBB191_13
; %bb.14:
	v_mov_b32_e32 v1, v2
	s_and_b32 s6, s27, 3
	s_cmp_eq_u32 s6, 0
	s_cbranch_scc0 .LBB191_27
	s_branch .LBB191_29
.LBB191_15:
	s_or_b64 exec, exec, s[48:49]
	v_cmp_gt_i32_e32 vcc, s55, v8
	s_and_saveexec_b64 s[48:49], vcc
	s_cbranch_execz .LBB191_85
.LBB191_16:
	s_andn2_b64 vcc, exec, s[36:37]
	s_cbranch_vccnz .LBB191_24
; %bb.17:
	s_andn2_b64 vcc, exec, s[46:47]
	s_cbranch_vccnz .LBB191_76
; %bb.18:
	s_add_i32 s58, s56, 1
	s_cmp_eq_u32 s54, 2
	s_cbranch_scc1 .LBB191_94
; %bb.19:
	s_and_b32 s57, s58, 28
	s_mov_b32 s59, 0
	v_mov_b32_e32 v0, 0
	v_mov_b32_e32 v2, 0
	s_mov_b64 s[50:51], s[34:35]
	s_mov_b64 s[52:53], s[44:45]
	v_mov_b32_e32 v4, v8
.LBB191_20:                             ; =>This Inner Loop Header: Depth=1
	s_load_dwordx8 s[8:15], s[50:51], 0x4
	s_load_dwordx4 s[28:31], s[50:51], 0x24
	s_load_dwordx8 s[0:7], s[52:53], 0x0
	s_add_u32 s50, s50, 48
	s_addc_u32 s51, s51, 0
	s_waitcnt lgkmcnt(0)
	v_mul_hi_u32 v1, s9, v4
	v_add_u32_e32 v1, v4, v1
	v_lshrrev_b32_e32 v1, s10, v1
	v_mul_lo_u32 v3, v1, s8
	v_mul_hi_u32 v5, s12, v1
	v_sub_u32_e32 v3, v4, v3
	v_add_u32_e32 v4, v1, v5
	v_lshrrev_b32_e32 v4, s13, v4
	v_mul_lo_u32 v6, v4, s11
	v_mul_hi_u32 v7, s15, v4
	v_sub_u32_e32 v1, v1, v6
	v_add_u32_e32 v6, v4, v7
	v_mul_lo_u32 v5, v3, s1
	v_mul_lo_u32 v3, v3, s0
	;; [unrolled: 1-line block ×4, first 2 shown]
	v_lshrrev_b32_e32 v6, s28, v6
	v_add3_u32 v0, v3, v0, v1
	v_mul_hi_u32 v3, s30, v6
	v_add3_u32 v1, v5, v2, v7
	v_mul_lo_u32 v2, v6, s14
	v_add_u32_e32 v3, v6, v3
	v_sub_u32_e32 v2, v4, v2
	v_lshrrev_b32_e32 v4, s31, v3
	s_add_i32 s59, s59, 4
	v_mul_lo_u32 v3, v4, s29
	s_add_u32 s52, s52, 32
	v_sub_u32_e32 v3, v6, v3
	s_addc_u32 s53, s53, 0
	v_mul_lo_u32 v5, v2, s4
	v_mul_lo_u32 v2, v2, s5
	;; [unrolled: 1-line block ×4, first 2 shown]
	s_cmp_eq_u32 s57, s59
	v_add3_u32 v2, v2, v1, v3
	v_add3_u32 v0, v5, v0, v6
	s_cbranch_scc0 .LBB191_20
; %bb.21:
	v_mov_b32_e32 v1, v2
	s_branch .LBB191_95
.LBB191_22:
                                        ; implicit-def: $vgpr2
                                        ; implicit-def: $vgpr0
	s_branch .LBB191_30
.LBB191_23:
                                        ; implicit-def: $vgpr2
                                        ; implicit-def: $vgpr0
	s_branch .LBB191_82
.LBB191_24:
                                        ; implicit-def: $vgpr2
                                        ; implicit-def: $vgpr0
	s_branch .LBB191_99
.LBB191_25:
	v_mov_b32_e32 v2, 0
	v_mov_b32_e32 v0, 0
	s_branch .LBB191_29
.LBB191_26:
	v_mov_b32_e32 v0, 0
                                        ; implicit-def: $vgpr2
	v_mov_b32_e32 v1, v0
	v_mov_b32_e32 v4, v8
	s_and_b32 s6, s27, 3
	s_cmp_eq_u32 s6, 0
	s_cbranch_scc1 .LBB191_29
.LBB191_27:
	s_lshl_b32 s2, s26, 3
	s_add_u32 s2, s34, s2
	s_addc_u32 s3, s35, 0
	s_add_u32 s2, s2, 0xc4
	s_addc_u32 s3, s3, 0
	s_mul_i32 s4, s26, 12
	s_add_u32 s4, s34, s4
	s_addc_u32 s5, s35, 0
.LBB191_28:                             ; =>This Inner Loop Header: Depth=1
	s_load_dwordx2 s[8:9], s[4:5], 0x4
	s_load_dword s7, s[4:5], 0xc
	s_load_dwordx2 s[10:11], s[2:3], 0x0
	v_mov_b32_e32 v2, v1
	s_add_u32 s4, s4, 12
	s_waitcnt lgkmcnt(0)
	v_mul_hi_u32 v1, s9, v4
	v_add_u32_e32 v1, v4, v1
	v_lshrrev_b32_e32 v1, s7, v1
	s_addc_u32 s5, s5, 0
	v_mul_lo_u32 v3, v1, s8
	s_add_u32 s2, s2, 8
	v_sub_u32_e32 v5, v4, v3
	s_addc_u32 s3, s3, 0
	s_add_i32 s6, s6, -1
	v_mov_b32_e32 v4, v1
	v_mad_u64_u32 v[2:3], s[8:9], v5, s11, v[2:3]
	v_mad_u64_u32 v[0:1], s[8:9], v5, s10, v[0:1]
	s_cmp_lg_u32 s6, 0
	v_mov_b32_e32 v1, v2
	s_cbranch_scc1 .LBB191_28
.LBB191_29:
	s_cbranch_execnz .LBB191_32
.LBB191_30:
	s_load_dwordx4 s[4:7], s[34:35], 0x4
	s_load_dwordx2 s[2:3], s[34:35], 0xc4
	s_cmp_lt_u32 s33, 2
	s_waitcnt lgkmcnt(0)
	v_mul_hi_u32 v0, s5, v8
	v_add_u32_e32 v0, v8, v0
	v_lshrrev_b32_e32 v1, s6, v0
	v_mul_lo_u32 v0, v1, s4
	v_sub_u32_e32 v0, v8, v0
	v_mul_lo_u32 v2, v0, s3
	v_mul_lo_u32 v0, v0, s2
	s_cbranch_scc1 .LBB191_32
; %bb.31:
	s_load_dwordx4 s[4:7], s[34:35], 0x10
	s_load_dwordx2 s[2:3], s[34:35], 0xcc
	s_waitcnt lgkmcnt(0)
	v_mul_hi_u32 v3, s5, v1
	v_add_u32_e32 v3, v1, v3
	v_lshrrev_b32_e32 v3, s6, v3
	v_mul_lo_u32 v3, v3, s4
	v_sub_u32_e32 v3, v1, v3
	v_mad_u64_u32 v[0:1], s[4:5], v3, s2, v[0:1]
	v_mad_u64_u32 v[2:3], s[2:3], v3, s3, v[2:3]
.LBB191_32:
	s_and_b64 vcc, exec, s[0:1]
	v_add_u32_e32 v3, 0x80, v8
	s_cbranch_vccnz .LBB191_38
; %bb.33:
	s_cmp_lg_u32 s33, 0
	s_waitcnt lgkmcnt(0)
	s_mov_b32 s26, 0
	s_cbranch_scc0 .LBB191_39
; %bb.34:
	s_min_u32 s27, s54, 15
	s_add_i32 s27, s27, 1
	s_cmp_eq_u32 s54, 2
	s_cbranch_scc1 .LBB191_40
; %bb.35:
	s_and_b32 s26, s27, 28
	s_add_u32 s2, s34, 0xc4
	s_addc_u32 s3, s35, 0
	s_mov_b32 s28, 0
	v_mov_b32_e32 v4, 0
	v_mov_b32_e32 v6, 0
	s_mov_b64 s[24:25], s[34:35]
	v_mov_b32_e32 v9, v3
.LBB191_36:                             ; =>This Inner Loop Header: Depth=1
	s_load_dwordx8 s[12:19], s[24:25], 0x4
	s_load_dwordx4 s[20:23], s[24:25], 0x24
	s_load_dwordx8 s[4:11], s[2:3], 0x0
	s_add_u32 s24, s24, 48
	s_addc_u32 s25, s25, 0
	s_waitcnt lgkmcnt(0)
	v_mul_hi_u32 v1, s13, v9
	v_add_u32_e32 v1, v9, v1
	v_lshrrev_b32_e32 v1, s14, v1
	v_mul_hi_u32 v7, s16, v1
	v_add_u32_e32 v7, v1, v7
	v_lshrrev_b32_e32 v7, s17, v7
	v_mul_lo_u32 v5, v1, s12
	v_mul_lo_u32 v10, v7, s15
	v_mul_hi_u32 v11, s19, v7
	v_sub_u32_e32 v5, v9, v5
	v_sub_u32_e32 v1, v1, v10
	v_add_u32_e32 v10, v7, v11
	v_mul_lo_u32 v9, v5, s5
	v_mul_lo_u32 v5, v5, s4
	;; [unrolled: 1-line block ×4, first 2 shown]
	v_lshrrev_b32_e32 v10, s20, v10
	v_add3_u32 v1, v5, v4, v1
	v_add3_u32 v4, v9, v6, v11
	v_mul_hi_u32 v6, s22, v10
	v_add_u32_e32 v6, v10, v6
	v_lshrrev_b32_e32 v9, s23, v6
	s_add_i32 s28, s28, 4
	v_mul_lo_u32 v5, v10, s18
	v_mul_lo_u32 v6, v9, s21
	s_add_u32 s2, s2, 32
	v_sub_u32_e32 v5, v7, v5
	v_sub_u32_e32 v6, v10, v6
	s_addc_u32 s3, s3, 0
	v_mul_lo_u32 v7, v5, s8
	v_mul_lo_u32 v5, v5, s9
	;; [unrolled: 1-line block ×4, first 2 shown]
	s_cmp_lg_u32 s26, s28
	v_add3_u32 v6, v5, v4, v6
	v_add3_u32 v4, v7, v1, v10
	s_cbranch_scc1 .LBB191_36
; %bb.37:
	v_mov_b32_e32 v1, v6
	s_and_b32 s6, s27, 3
	s_cmp_eq_u32 s6, 0
	s_cbranch_scc0 .LBB191_41
	s_branch .LBB191_43
.LBB191_38:
                                        ; implicit-def: $vgpr6
                                        ; implicit-def: $vgpr4
	s_branch .LBB191_44
.LBB191_39:
	v_mov_b32_e32 v6, 0
	v_mov_b32_e32 v4, 0
	s_branch .LBB191_43
.LBB191_40:
	v_mov_b32_e32 v4, 0
                                        ; implicit-def: $vgpr6
	v_mov_b32_e32 v1, v4
	v_mov_b32_e32 v9, v3
	s_and_b32 s6, s27, 3
	s_cmp_eq_u32 s6, 0
	s_cbranch_scc1 .LBB191_43
.LBB191_41:
	s_lshl_b32 s2, s26, 3
	s_add_u32 s2, s34, s2
	s_addc_u32 s3, s35, 0
	s_add_u32 s2, s2, 0xc4
	s_addc_u32 s3, s3, 0
	s_mul_i32 s4, s26, 12
	s_add_u32 s4, s34, s4
	s_addc_u32 s5, s35, 0
.LBB191_42:                             ; =>This Inner Loop Header: Depth=1
	s_load_dwordx2 s[8:9], s[4:5], 0x4
	s_load_dword s7, s[4:5], 0xc
	s_load_dwordx2 s[10:11], s[2:3], 0x0
	v_mov_b32_e32 v6, v1
	s_add_u32 s4, s4, 12
	s_waitcnt lgkmcnt(0)
	v_mul_hi_u32 v1, s9, v9
	v_add_u32_e32 v1, v9, v1
	v_lshrrev_b32_e32 v1, s7, v1
	s_addc_u32 s5, s5, 0
	v_mul_lo_u32 v5, v1, s8
	s_add_u32 s2, s2, 8
	v_sub_u32_e32 v5, v9, v5
	s_addc_u32 s3, s3, 0
	s_add_i32 s6, s6, -1
	v_mad_u64_u32 v[6:7], s[8:9], v5, s11, v[6:7]
	s_cmp_lg_u32 s6, 0
	v_mov_b32_e32 v9, v1
	v_mad_u64_u32 v[4:5], s[8:9], v5, s10, v[4:5]
	v_mov_b32_e32 v1, v6
	s_cbranch_scc1 .LBB191_42
.LBB191_43:
	s_cbranch_execnz .LBB191_46
.LBB191_44:
	s_load_dwordx4 s[4:7], s[34:35], 0x4
	s_load_dwordx2 s[2:3], s[34:35], 0xc4
	s_cmp_lt_u32 s33, 2
	s_waitcnt lgkmcnt(0)
	v_mul_hi_u32 v1, s5, v3
	v_add_u32_e32 v1, v3, v1
	v_lshrrev_b32_e32 v1, s6, v1
	v_mul_lo_u32 v4, v1, s4
	v_sub_u32_e32 v3, v3, v4
	v_mul_lo_u32 v6, v3, s3
	v_mul_lo_u32 v4, v3, s2
	s_cbranch_scc1 .LBB191_46
; %bb.45:
	s_load_dwordx4 s[4:7], s[34:35], 0x10
	s_load_dwordx2 s[2:3], s[34:35], 0xcc
	s_waitcnt lgkmcnt(0)
	v_mul_hi_u32 v3, s5, v1
	v_add_u32_e32 v3, v1, v3
	v_lshrrev_b32_e32 v3, s6, v3
	v_mul_lo_u32 v3, v3, s4
	v_sub_u32_e32 v1, v1, v3
	v_mad_u64_u32 v[4:5], s[4:5], v1, s2, v[4:5]
	v_mad_u64_u32 v[6:7], s[2:3], v1, s3, v[6:7]
.LBB191_46:
	s_and_b64 vcc, exec, s[0:1]
	v_add_u32_e32 v3, 0x100, v8
	s_cbranch_vccnz .LBB191_52
; %bb.47:
	s_cmp_lg_u32 s33, 0
	s_waitcnt lgkmcnt(0)
	s_mov_b32 s26, 0
	s_cbranch_scc0 .LBB191_53
; %bb.48:
	s_min_u32 s27, s54, 15
	s_add_i32 s27, s27, 1
	s_cmp_eq_u32 s54, 2
	s_cbranch_scc1 .LBB191_54
; %bb.49:
	s_and_b32 s26, s27, 28
	s_add_u32 s2, s34, 0xc4
	s_addc_u32 s3, s35, 0
	s_mov_b32 s28, 0
	v_mov_b32_e32 v8, 0
	v_mov_b32_e32 v10, 0
	s_mov_b64 s[24:25], s[34:35]
	v_mov_b32_e32 v5, v3
.LBB191_50:                             ; =>This Inner Loop Header: Depth=1
	s_load_dwordx8 s[12:19], s[24:25], 0x4
	s_load_dwordx4 s[20:23], s[24:25], 0x24
	s_load_dwordx8 s[4:11], s[2:3], 0x0
	s_add_u32 s24, s24, 48
	s_addc_u32 s25, s25, 0
	s_waitcnt lgkmcnt(0)
	v_mul_hi_u32 v1, s13, v5
	v_add_u32_e32 v1, v5, v1
	v_lshrrev_b32_e32 v1, s14, v1
	v_mul_lo_u32 v7, v1, s12
	v_mul_hi_u32 v9, s16, v1
	v_sub_u32_e32 v5, v5, v7
	v_add_u32_e32 v7, v1, v9
	v_lshrrev_b32_e32 v7, s17, v7
	v_mul_lo_u32 v11, v7, s15
	v_mul_hi_u32 v12, s19, v7
	v_sub_u32_e32 v1, v1, v11
	v_add_u32_e32 v11, v7, v12
	v_mul_lo_u32 v9, v5, s5
	v_mul_lo_u32 v5, v5, s4
	;; [unrolled: 1-line block ×4, first 2 shown]
	v_lshrrev_b32_e32 v11, s20, v11
	v_add3_u32 v1, v5, v8, v1
	v_add3_u32 v8, v9, v10, v12
	v_mul_lo_u32 v5, v11, s18
	v_mul_hi_u32 v9, s22, v11
	v_sub_u32_e32 v5, v7, v5
	v_add_u32_e32 v7, v11, v9
	v_mul_lo_u32 v9, v5, s8
	v_mul_lo_u32 v10, v5, s9
	v_lshrrev_b32_e32 v5, s23, v7
	s_add_i32 s28, s28, 4
	v_mul_lo_u32 v7, v5, s21
	s_add_u32 s2, s2, 32
	v_sub_u32_e32 v7, v11, v7
	s_addc_u32 s3, s3, 0
	v_mul_lo_u32 v11, v7, s10
	v_mul_lo_u32 v7, v7, s11
	s_cmp_lg_u32 s26, s28
	v_add3_u32 v10, v10, v8, v7
	v_add3_u32 v8, v9, v1, v11
	s_cbranch_scc1 .LBB191_50
; %bb.51:
	v_mov_b32_e32 v1, v10
	s_and_b32 s6, s27, 3
	s_cmp_eq_u32 s6, 0
	s_cbranch_scc0 .LBB191_55
	s_branch .LBB191_57
.LBB191_52:
                                        ; implicit-def: $vgpr10
                                        ; implicit-def: $vgpr8
	s_branch .LBB191_58
.LBB191_53:
	v_mov_b32_e32 v10, 0
	v_mov_b32_e32 v8, 0
	s_branch .LBB191_57
.LBB191_54:
	v_mov_b32_e32 v8, 0
                                        ; implicit-def: $vgpr10
	v_mov_b32_e32 v1, v8
	v_mov_b32_e32 v5, v3
	s_and_b32 s6, s27, 3
	s_cmp_eq_u32 s6, 0
	s_cbranch_scc1 .LBB191_57
.LBB191_55:
	s_lshl_b32 s2, s26, 3
	s_add_u32 s2, s34, s2
	s_addc_u32 s3, s35, 0
	s_add_u32 s2, s2, 0xc4
	s_addc_u32 s3, s3, 0
	s_mul_i32 s4, s26, 12
	s_add_u32 s4, s34, s4
	s_addc_u32 s5, s35, 0
.LBB191_56:                             ; =>This Inner Loop Header: Depth=1
	s_load_dwordx2 s[8:9], s[4:5], 0x4
	s_load_dword s7, s[4:5], 0xc
	s_load_dwordx2 s[10:11], s[2:3], 0x0
	v_mov_b32_e32 v10, v1
	s_add_u32 s4, s4, 12
	s_waitcnt lgkmcnt(0)
	v_mul_hi_u32 v1, s9, v5
	v_add_u32_e32 v1, v5, v1
	v_lshrrev_b32_e32 v1, s7, v1
	s_addc_u32 s5, s5, 0
	v_mul_lo_u32 v7, v1, s8
	s_add_u32 s2, s2, 8
	v_sub_u32_e32 v7, v5, v7
	s_addc_u32 s3, s3, 0
	s_add_i32 s6, s6, -1
	v_mad_u64_u32 v[10:11], s[8:9], v7, s11, v[10:11]
	s_cmp_lg_u32 s6, 0
	v_mov_b32_e32 v5, v1
	v_mad_u64_u32 v[8:9], s[8:9], v7, s10, v[8:9]
	v_mov_b32_e32 v1, v10
	s_cbranch_scc1 .LBB191_56
.LBB191_57:
	s_cbranch_execnz .LBB191_60
.LBB191_58:
	s_load_dwordx4 s[4:7], s[34:35], 0x4
	s_load_dwordx2 s[2:3], s[34:35], 0xc4
	s_cmp_lt_u32 s33, 2
	s_waitcnt lgkmcnt(0)
	v_mul_hi_u32 v1, s5, v3
	v_add_u32_e32 v1, v3, v1
	v_lshrrev_b32_e32 v1, s6, v1
	v_mul_lo_u32 v5, v1, s4
	v_sub_u32_e32 v3, v3, v5
	v_mul_lo_u32 v10, v3, s3
	v_mul_lo_u32 v8, v3, s2
	s_cbranch_scc1 .LBB191_60
; %bb.59:
	s_load_dwordx4 s[4:7], s[34:35], 0x10
	s_load_dwordx2 s[2:3], s[34:35], 0xcc
	s_waitcnt lgkmcnt(0)
	v_mul_hi_u32 v3, s5, v1
	v_add_u32_e32 v3, v1, v3
	v_lshrrev_b32_e32 v3, s6, v3
	v_mul_lo_u32 v3, v3, s4
	v_sub_u32_e32 v1, v1, v3
	v_mad_u64_u32 v[8:9], s[4:5], v1, s2, v[8:9]
	v_mad_u64_u32 v[10:11], s[2:3], v1, s3, v[10:11]
.LBB191_60:
	s_and_b64 vcc, exec, s[0:1]
	s_cbranch_vccnz .LBB191_66
; %bb.61:
	s_cmp_lg_u32 s33, 0
	s_waitcnt lgkmcnt(0)
	s_mov_b32 s24, 0
	s_cbranch_scc0 .LBB191_67
; %bb.62:
	s_min_u32 s25, s54, 15
	s_add_i32 s25, s25, 1
	s_cmp_eq_u32 s54, 2
	s_cbranch_scc1 .LBB191_68
; %bb.63:
	s_and_b32 s24, s25, 28
	s_add_u32 s20, s34, 0xc4
	s_addc_u32 s21, s35, 0
	s_mov_b32 s26, 0
	v_mov_b32_e32 v12, 0
	v_mov_b32_e32 v14, 0
	s_mov_b64 s[22:23], s[34:35]
	v_mov_b32_e32 v3, v16
.LBB191_64:                             ; =>This Inner Loop Header: Depth=1
	s_load_dwordx8 s[8:15], s[22:23], 0x4
	s_load_dwordx4 s[16:19], s[22:23], 0x24
	s_load_dwordx8 s[0:7], s[20:21], 0x0
	s_add_u32 s22, s22, 48
	s_addc_u32 s23, s23, 0
	s_waitcnt lgkmcnt(0)
	v_mul_hi_u32 v1, s9, v3
	v_add_u32_e32 v1, v3, v1
	v_lshrrev_b32_e32 v1, s10, v1
	v_mul_lo_u32 v5, v1, s8
	v_mul_hi_u32 v7, s12, v1
	v_sub_u32_e32 v3, v3, v5
	v_add_u32_e32 v5, v1, v7
	v_lshrrev_b32_e32 v5, s13, v5
	v_mul_lo_u32 v9, v5, s11
	v_mul_hi_u32 v11, s15, v5
	v_sub_u32_e32 v1, v1, v9
	v_add_u32_e32 v9, v5, v11
	v_mul_lo_u32 v7, v3, s1
	v_mul_lo_u32 v3, v3, s0
	;; [unrolled: 1-line block ×4, first 2 shown]
	v_lshrrev_b32_e32 v9, s16, v9
	v_add3_u32 v1, v3, v12, v1
	v_add3_u32 v7, v7, v14, v11
	v_mul_lo_u32 v3, v9, s14
	v_mul_hi_u32 v11, s18, v9
	v_sub_u32_e32 v3, v5, v3
	v_add_u32_e32 v5, v9, v11
	v_mul_lo_u32 v11, v3, s4
	v_mul_lo_u32 v12, v3, s5
	v_lshrrev_b32_e32 v3, s19, v5
	s_add_i32 s26, s26, 4
	v_mul_lo_u32 v5, v3, s17
	s_add_u32 s20, s20, 32
	v_sub_u32_e32 v5, v9, v5
	s_addc_u32 s21, s21, 0
	v_mul_lo_u32 v9, v5, s6
	v_mul_lo_u32 v5, v5, s7
	s_cmp_lg_u32 s24, s26
	v_add3_u32 v14, v12, v7, v5
	v_add3_u32 v12, v11, v1, v9
	s_cbranch_scc1 .LBB191_64
; %bb.65:
	v_mov_b32_e32 v1, v14
	s_and_b32 s4, s25, 3
	s_cmp_eq_u32 s4, 0
	s_cbranch_scc0 .LBB191_69
	s_branch .LBB191_71
.LBB191_66:
                                        ; implicit-def: $vgpr14
                                        ; implicit-def: $vgpr12
	s_branch .LBB191_72
.LBB191_67:
	v_mov_b32_e32 v14, 0
	v_mov_b32_e32 v12, 0
	s_branch .LBB191_71
.LBB191_68:
	v_mov_b32_e32 v12, 0
                                        ; implicit-def: $vgpr14
	v_mov_b32_e32 v1, v12
	v_mov_b32_e32 v3, v16
	s_and_b32 s4, s25, 3
	s_cmp_eq_u32 s4, 0
	s_cbranch_scc1 .LBB191_71
.LBB191_69:
	s_lshl_b32 s0, s24, 3
	s_add_u32 s0, s34, s0
	s_addc_u32 s1, s35, 0
	s_add_u32 s0, s0, 0xc4
	s_addc_u32 s1, s1, 0
	s_mul_i32 s2, s24, 12
	s_add_u32 s2, s34, s2
	s_addc_u32 s3, s35, 0
.LBB191_70:                             ; =>This Inner Loop Header: Depth=1
	s_load_dwordx2 s[6:7], s[2:3], 0x4
	s_load_dword s5, s[2:3], 0xc
	s_load_dwordx2 s[8:9], s[0:1], 0x0
	v_mov_b32_e32 v14, v1
	s_add_u32 s2, s2, 12
	s_waitcnt lgkmcnt(0)
	v_mul_hi_u32 v1, s7, v3
	v_add_u32_e32 v1, v3, v1
	v_lshrrev_b32_e32 v1, s5, v1
	s_addc_u32 s3, s3, 0
	v_mul_lo_u32 v5, v1, s6
	s_add_u32 s0, s0, 8
	v_sub_u32_e32 v5, v3, v5
	s_addc_u32 s1, s1, 0
	s_add_i32 s4, s4, -1
	v_mad_u64_u32 v[14:15], s[6:7], v5, s9, v[14:15]
	s_cmp_lg_u32 s4, 0
	v_mov_b32_e32 v3, v1
	v_mad_u64_u32 v[12:13], s[6:7], v5, s8, v[12:13]
	v_mov_b32_e32 v1, v14
	s_cbranch_scc1 .LBB191_70
.LBB191_71:
	s_cbranch_execnz .LBB191_74
.LBB191_72:
	s_load_dwordx4 s[0:3], s[34:35], 0x4
	s_load_dwordx2 s[4:5], s[34:35], 0xc4
	s_cmp_lt_u32 s33, 2
	s_waitcnt lgkmcnt(0)
	v_mul_hi_u32 v1, s1, v16
	v_add_u32_e32 v1, v16, v1
	v_lshrrev_b32_e32 v1, s2, v1
	v_mul_lo_u32 v3, v1, s0
	v_sub_u32_e32 v3, v16, v3
	v_mul_lo_u32 v14, v3, s5
	v_mul_lo_u32 v12, v3, s4
	s_cbranch_scc1 .LBB191_74
; %bb.73:
	s_load_dwordx4 s[0:3], s[34:35], 0x10
	s_load_dwordx2 s[4:5], s[34:35], 0xcc
	s_waitcnt lgkmcnt(0)
	v_mul_hi_u32 v3, s1, v1
	v_add_u32_e32 v3, v1, v3
	v_lshrrev_b32_e32 v3, s2, v3
	v_mul_lo_u32 v3, v3, s0
	v_sub_u32_e32 v1, v1, v3
	v_mad_u64_u32 v[12:13], s[0:1], v1, s4, v[12:13]
	v_mad_u64_u32 v[14:15], s[0:1], v1, s5, v[14:15]
.LBB191_74:
	s_load_dwordx4 s[0:3], s[34:35], 0x148
	v_mov_b32_e32 v1, 0x180
	s_waitcnt lgkmcnt(0)
	global_load_dwordx2 v[16:17], v2, s[2:3]
	global_load_dwordx2 v[18:19], v6, s[2:3]
	;; [unrolled: 1-line block ×4, first 2 shown]
	s_mov_b32 s2, 0
	s_mov_b32 s3, 0x3fd80000
	s_waitcnt vmcnt(3)
	v_rsq_f64_e32 v[2:3], v[16:17]
	s_waitcnt vmcnt(2)
	v_rsq_f64_e32 v[6:7], v[18:19]
	;; [unrolled: 2-line block ×4, first 2 shown]
	v_mul_f64 v[16:17], v[2:3], -v[16:17]
	v_mul_f64 v[18:19], v[6:7], -v[18:19]
	v_fma_f64 v[16:17], v[16:17], v[2:3], 1.0
	v_mul_f64 v[20:21], v[10:11], -v[20:21]
	v_fma_f64 v[18:19], v[18:19], v[6:7], 1.0
	v_mul_f64 v[24:25], v[2:3], v[16:17]
	v_fma_f64 v[16:17], v[16:17], s[2:3], 0.5
	v_mul_f64 v[22:23], v[14:15], -v[22:23]
	v_fma_f64 v[20:21], v[20:21], v[10:11], 1.0
	v_mul_f64 v[26:27], v[6:7], v[18:19]
	v_fma_f64 v[18:19], v[18:19], s[2:3], 0.5
	v_fma_f64 v[16:17], v[24:25], v[16:17], v[2:3]
	v_cmp_class_f64_e32 vcc, v[2:3], v1
	v_fma_f64 v[22:23], v[22:23], v[14:15], 1.0
	v_mul_f64 v[28:29], v[10:11], v[20:21]
	v_fma_f64 v[20:21], v[20:21], s[2:3], 0.5
	v_fma_f64 v[18:19], v[26:27], v[18:19], v[6:7]
	v_cndmask_b32_e32 v3, v3, v17, vcc
	v_cndmask_b32_e32 v2, v2, v16, vcc
	v_cmp_class_f64_e32 vcc, v[6:7], v1
	v_mul_f64 v[30:31], v[14:15], v[22:23]
	v_fma_f64 v[22:23], v[22:23], s[2:3], 0.5
	v_fma_f64 v[20:21], v[28:29], v[20:21], v[10:11]
	v_cndmask_b32_e32 v7, v7, v19, vcc
	v_cndmask_b32_e32 v6, v6, v18, vcc
	v_cmp_class_f64_e32 vcc, v[10:11], v1
	v_fma_f64 v[22:23], v[30:31], v[22:23], v[14:15]
	s_nop 0
	v_cndmask_b32_e32 v11, v11, v21, vcc
	v_cndmask_b32_e32 v10, v10, v20, vcc
	v_cmp_class_f64_e32 vcc, v[14:15], v1
	s_nop 1
	v_cndmask_b32_e32 v15, v15, v23, vcc
	v_cndmask_b32_e32 v14, v14, v22, vcc
	global_store_dwordx2 v0, v[2:3], s[0:1]
	global_store_dwordx2 v4, v[6:7], s[0:1]
	;; [unrolled: 1-line block ×4, first 2 shown]
	s_endpgm
.LBB191_75:
	v_mov_b32_e32 v2, 0
	v_mov_b32_e32 v0, 0
	s_branch .LBB191_81
.LBB191_76:
	v_mov_b32_e32 v2, 0
	v_mov_b32_e32 v0, 0
	s_branch .LBB191_98
.LBB191_77:
	v_mov_b32_e32 v0, 0
	s_mov_b32 s57, 0
	v_mov_b32_e32 v1, v0
                                        ; implicit-def: $vgpr2
	v_mov_b32_e32 v4, v8
.LBB191_78:
	s_and_b32 s4, s58, 3
	s_cmp_eq_u32 s4, 0
	s_cbranch_scc1 .LBB191_81
; %bb.79:
	s_lshl_b32 s0, s57, 3
	s_add_u32 s0, s34, s0
	s_addc_u32 s1, s35, 0
	s_add_u32 s0, s0, 0xc4
	s_addc_u32 s1, s1, 0
	s_mul_i32 s2, s57, 12
	s_add_u32 s2, s34, s2
	s_addc_u32 s3, s35, 0
.LBB191_80:                             ; =>This Inner Loop Header: Depth=1
	s_load_dwordx2 s[6:7], s[2:3], 0x4
	s_load_dword s5, s[2:3], 0xc
	s_load_dwordx2 s[8:9], s[0:1], 0x0
	v_mov_b32_e32 v2, v1
	s_add_u32 s2, s2, 12
	s_waitcnt lgkmcnt(0)
	v_mul_hi_u32 v1, s7, v4
	v_add_u32_e32 v1, v4, v1
	v_lshrrev_b32_e32 v1, s5, v1
	s_addc_u32 s3, s3, 0
	v_mul_lo_u32 v3, v1, s6
	s_add_u32 s0, s0, 8
	v_sub_u32_e32 v5, v4, v3
	s_addc_u32 s1, s1, 0
	s_add_i32 s4, s4, -1
	v_mov_b32_e32 v4, v1
	v_mad_u64_u32 v[2:3], s[6:7], v5, s9, v[2:3]
	v_mad_u64_u32 v[0:1], s[6:7], v5, s8, v[0:1]
	s_cmp_lg_u32 s4, 0
	v_mov_b32_e32 v1, v2
	s_cbranch_scc1 .LBB191_80
.LBB191_81:
	s_cbranch_execnz .LBB191_84
.LBB191_82:
	s_waitcnt lgkmcnt(0)
	v_mul_hi_u32 v0, s25, v8
	v_add_u32_e32 v0, v8, v0
	v_lshrrev_b32_e32 v1, s26, v0
	v_mul_lo_u32 v0, v1, s24
	v_sub_u32_e32 v0, v8, v0
	v_mul_lo_u32 v2, v0, s21
	s_andn2_b64 vcc, exec, s[42:43]
	v_mul_lo_u32 v0, v0, s20
	s_cbranch_vccnz .LBB191_84
; %bb.83:
	v_mul_hi_u32 v3, s40, v1
	v_add_u32_e32 v3, v1, v3
	v_lshrrev_b32_e32 v3, s41, v3
	v_mul_lo_u32 v3, v3, s27
	v_sub_u32_e32 v3, v1, v3
	v_mad_u64_u32 v[0:1], s[0:1], v3, s22, v[0:1]
	v_mad_u64_u32 v[2:3], s[0:1], v3, s23, v[2:3]
.LBB191_84:
	s_waitcnt lgkmcnt(0)
	global_load_dwordx2 v[2:3], v2, s[18:19]
	s_mov_b32 s0, 0
	s_mov_b32 s1, 0x3fd80000
	v_mov_b32_e32 v1, 0x180
	v_add_u32_e32 v8, 0x80, v8
	s_waitcnt vmcnt(0)
	v_rsq_f64_e32 v[4:5], v[2:3]
	s_nop 0
	v_mul_f64 v[2:3], v[4:5], -v[2:3]
	v_fma_f64 v[2:3], v[2:3], v[4:5], 1.0
	v_mul_f64 v[6:7], v[4:5], v[2:3]
	v_fma_f64 v[2:3], v[2:3], s[0:1], 0.5
	v_fma_f64 v[2:3], v[6:7], v[2:3], v[4:5]
	v_cmp_class_f64_e32 vcc, v[4:5], v1
	s_nop 1
	v_cndmask_b32_e32 v3, v5, v3, vcc
	v_cndmask_b32_e32 v2, v4, v2, vcc
	global_store_dwordx2 v0, v[2:3], s[16:17]
	s_or_b64 exec, exec, s[48:49]
	v_cmp_gt_i32_e32 vcc, s55, v8
	s_and_saveexec_b64 s[48:49], vcc
	s_cbranch_execnz .LBB191_16
.LBB191_85:
	s_or_b64 exec, exec, s[48:49]
	v_cmp_gt_i32_e32 vcc, s55, v8
	s_and_saveexec_b64 s[48:49], vcc
	s_cbranch_execz .LBB191_102
.LBB191_86:
	s_andn2_b64 vcc, exec, s[36:37]
	s_cbranch_vccnz .LBB191_92
; %bb.87:
	s_andn2_b64 vcc, exec, s[46:47]
	s_cbranch_vccnz .LBB191_93
; %bb.88:
	s_add_i32 s58, s56, 1
	s_cmp_eq_u32 s54, 2
	s_cbranch_scc1 .LBB191_105
; %bb.89:
	s_and_b32 s57, s58, 28
	s_mov_b32 s59, 0
	v_mov_b32_e32 v0, 0
	v_mov_b32_e32 v2, 0
	s_mov_b64 s[50:51], s[34:35]
	s_mov_b64 s[52:53], s[44:45]
	v_mov_b32_e32 v4, v8
.LBB191_90:                             ; =>This Inner Loop Header: Depth=1
	s_load_dwordx8 s[8:15], s[50:51], 0x4
	s_load_dwordx4 s[28:31], s[50:51], 0x24
	s_load_dwordx8 s[0:7], s[52:53], 0x0
	s_add_u32 s50, s50, 48
	s_addc_u32 s51, s51, 0
	s_waitcnt lgkmcnt(0)
	v_mul_hi_u32 v1, s9, v4
	v_add_u32_e32 v1, v4, v1
	v_lshrrev_b32_e32 v1, s10, v1
	v_mul_lo_u32 v3, v1, s8
	v_mul_hi_u32 v5, s12, v1
	v_sub_u32_e32 v3, v4, v3
	v_add_u32_e32 v4, v1, v5
	v_lshrrev_b32_e32 v4, s13, v4
	v_mul_lo_u32 v6, v4, s11
	v_mul_hi_u32 v7, s15, v4
	v_sub_u32_e32 v1, v1, v6
	v_add_u32_e32 v6, v4, v7
	v_mul_lo_u32 v5, v3, s1
	v_mul_lo_u32 v3, v3, s0
	;; [unrolled: 1-line block ×4, first 2 shown]
	v_lshrrev_b32_e32 v6, s28, v6
	v_add3_u32 v0, v3, v0, v1
	v_mul_hi_u32 v3, s30, v6
	v_add3_u32 v1, v5, v2, v7
	v_mul_lo_u32 v2, v6, s14
	v_add_u32_e32 v3, v6, v3
	v_sub_u32_e32 v2, v4, v2
	v_lshrrev_b32_e32 v4, s31, v3
	s_add_i32 s59, s59, 4
	v_mul_lo_u32 v3, v4, s29
	s_add_u32 s52, s52, 32
	v_sub_u32_e32 v3, v6, v3
	s_addc_u32 s53, s53, 0
	v_mul_lo_u32 v5, v2, s4
	v_mul_lo_u32 v2, v2, s5
	;; [unrolled: 1-line block ×4, first 2 shown]
	s_cmp_eq_u32 s57, s59
	v_add3_u32 v2, v2, v1, v3
	v_add3_u32 v0, v5, v0, v6
	s_cbranch_scc0 .LBB191_90
; %bb.91:
	v_mov_b32_e32 v1, v2
	s_branch .LBB191_106
.LBB191_92:
                                        ; implicit-def: $vgpr2
                                        ; implicit-def: $vgpr0
	s_branch .LBB191_110
.LBB191_93:
	v_mov_b32_e32 v2, 0
	v_mov_b32_e32 v0, 0
	s_branch .LBB191_109
.LBB191_94:
	v_mov_b32_e32 v0, 0
	s_mov_b32 s57, 0
	v_mov_b32_e32 v1, v0
                                        ; implicit-def: $vgpr2
	v_mov_b32_e32 v4, v8
.LBB191_95:
	s_and_b32 s4, s58, 3
	s_cmp_eq_u32 s4, 0
	s_cbranch_scc1 .LBB191_98
; %bb.96:
	s_lshl_b32 s0, s57, 3
	s_add_u32 s0, s34, s0
	s_addc_u32 s1, s35, 0
	s_add_u32 s0, s0, 0xc4
	s_addc_u32 s1, s1, 0
	s_mul_i32 s2, s57, 12
	s_add_u32 s2, s34, s2
	s_addc_u32 s3, s35, 0
.LBB191_97:                             ; =>This Inner Loop Header: Depth=1
	s_load_dwordx2 s[6:7], s[2:3], 0x4
	s_load_dword s5, s[2:3], 0xc
	s_load_dwordx2 s[8:9], s[0:1], 0x0
	v_mov_b32_e32 v2, v1
	s_add_u32 s2, s2, 12
	s_waitcnt lgkmcnt(0)
	v_mul_hi_u32 v1, s7, v4
	v_add_u32_e32 v1, v4, v1
	v_lshrrev_b32_e32 v1, s5, v1
	s_addc_u32 s3, s3, 0
	v_mul_lo_u32 v3, v1, s6
	s_add_u32 s0, s0, 8
	v_sub_u32_e32 v5, v4, v3
	s_addc_u32 s1, s1, 0
	s_add_i32 s4, s4, -1
	v_mov_b32_e32 v4, v1
	v_mad_u64_u32 v[2:3], s[6:7], v5, s9, v[2:3]
	v_mad_u64_u32 v[0:1], s[6:7], v5, s8, v[0:1]
	s_cmp_lg_u32 s4, 0
	v_mov_b32_e32 v1, v2
	s_cbranch_scc1 .LBB191_97
.LBB191_98:
	s_cbranch_execnz .LBB191_101
.LBB191_99:
	s_waitcnt lgkmcnt(0)
	v_mul_hi_u32 v0, s25, v8
	v_add_u32_e32 v0, v8, v0
	v_lshrrev_b32_e32 v1, s26, v0
	v_mul_lo_u32 v0, v1, s24
	v_sub_u32_e32 v0, v8, v0
	v_mul_lo_u32 v2, v0, s21
	s_andn2_b64 vcc, exec, s[42:43]
	v_mul_lo_u32 v0, v0, s20
	s_cbranch_vccnz .LBB191_101
; %bb.100:
	v_mul_hi_u32 v3, s40, v1
	v_add_u32_e32 v3, v1, v3
	v_lshrrev_b32_e32 v3, s41, v3
	v_mul_lo_u32 v3, v3, s27
	v_sub_u32_e32 v3, v1, v3
	v_mad_u64_u32 v[0:1], s[0:1], v3, s22, v[0:1]
	v_mad_u64_u32 v[2:3], s[0:1], v3, s23, v[2:3]
.LBB191_101:
	s_waitcnt lgkmcnt(0)
	global_load_dwordx2 v[2:3], v2, s[18:19]
	s_mov_b32 s0, 0
	s_mov_b32 s1, 0x3fd80000
	v_mov_b32_e32 v1, 0x180
	v_add_u32_e32 v8, 0x80, v8
	s_waitcnt vmcnt(0)
	v_rsq_f64_e32 v[4:5], v[2:3]
	s_nop 0
	v_mul_f64 v[2:3], v[4:5], -v[2:3]
	v_fma_f64 v[2:3], v[2:3], v[4:5], 1.0
	v_mul_f64 v[6:7], v[4:5], v[2:3]
	v_fma_f64 v[2:3], v[2:3], s[0:1], 0.5
	v_fma_f64 v[2:3], v[6:7], v[2:3], v[4:5]
	v_cmp_class_f64_e32 vcc, v[4:5], v1
	s_nop 1
	v_cndmask_b32_e32 v3, v5, v3, vcc
	v_cndmask_b32_e32 v2, v4, v2, vcc
	global_store_dwordx2 v0, v[2:3], s[16:17]
	s_or_b64 exec, exec, s[48:49]
	v_cmp_gt_i32_e32 vcc, s55, v8
	s_and_saveexec_b64 s[48:49], vcc
	s_cbranch_execnz .LBB191_86
.LBB191_102:
	s_or_b64 exec, exec, s[48:49]
	v_cmp_gt_i32_e32 vcc, s55, v8
	s_and_saveexec_b64 s[48:49], vcc
	s_cbranch_execnz .LBB191_113
.LBB191_103:
	s_or_b64 exec, exec, s[48:49]
                                        ; implicit-def: $vgpr16
                                        ; implicit-def: $vgpr8
	s_andn2_saveexec_b64 s[0:1], s[38:39]
	s_cbranch_execnz .LBB191_9
.LBB191_104:
	s_endpgm
.LBB191_105:
	v_mov_b32_e32 v0, 0
	s_mov_b32 s57, 0
	v_mov_b32_e32 v1, v0
                                        ; implicit-def: $vgpr2
	v_mov_b32_e32 v4, v8
.LBB191_106:
	s_and_b32 s4, s58, 3
	s_cmp_eq_u32 s4, 0
	s_cbranch_scc1 .LBB191_109
; %bb.107:
	s_lshl_b32 s0, s57, 3
	s_add_u32 s0, s34, s0
	s_addc_u32 s1, s35, 0
	s_add_u32 s0, s0, 0xc4
	s_addc_u32 s1, s1, 0
	s_mul_i32 s2, s57, 12
	s_add_u32 s2, s34, s2
	s_addc_u32 s3, s35, 0
.LBB191_108:                            ; =>This Inner Loop Header: Depth=1
	s_load_dwordx2 s[6:7], s[2:3], 0x4
	s_load_dword s5, s[2:3], 0xc
	s_load_dwordx2 s[8:9], s[0:1], 0x0
	v_mov_b32_e32 v2, v1
	s_add_u32 s2, s2, 12
	s_waitcnt lgkmcnt(0)
	v_mul_hi_u32 v1, s7, v4
	v_add_u32_e32 v1, v4, v1
	v_lshrrev_b32_e32 v1, s5, v1
	s_addc_u32 s3, s3, 0
	v_mul_lo_u32 v3, v1, s6
	s_add_u32 s0, s0, 8
	v_sub_u32_e32 v5, v4, v3
	s_addc_u32 s1, s1, 0
	s_add_i32 s4, s4, -1
	v_mov_b32_e32 v4, v1
	v_mad_u64_u32 v[2:3], s[6:7], v5, s9, v[2:3]
	v_mad_u64_u32 v[0:1], s[6:7], v5, s8, v[0:1]
	s_cmp_lg_u32 s4, 0
	v_mov_b32_e32 v1, v2
	s_cbranch_scc1 .LBB191_108
.LBB191_109:
	s_cbranch_execnz .LBB191_112
.LBB191_110:
	s_waitcnt lgkmcnt(0)
	v_mul_hi_u32 v0, s25, v8
	v_add_u32_e32 v0, v8, v0
	v_lshrrev_b32_e32 v1, s26, v0
	v_mul_lo_u32 v0, v1, s24
	v_sub_u32_e32 v0, v8, v0
	v_mul_lo_u32 v2, v0, s21
	s_andn2_b64 vcc, exec, s[42:43]
	v_mul_lo_u32 v0, v0, s20
	s_cbranch_vccnz .LBB191_112
; %bb.111:
	v_mul_hi_u32 v3, s40, v1
	v_add_u32_e32 v3, v1, v3
	v_lshrrev_b32_e32 v3, s41, v3
	v_mul_lo_u32 v3, v3, s27
	v_sub_u32_e32 v3, v1, v3
	v_mad_u64_u32 v[0:1], s[0:1], v3, s22, v[0:1]
	v_mad_u64_u32 v[2:3], s[0:1], v3, s23, v[2:3]
.LBB191_112:
	s_waitcnt lgkmcnt(0)
	global_load_dwordx2 v[2:3], v2, s[18:19]
	s_mov_b32 s0, 0
	s_mov_b32 s1, 0x3fd80000
	v_mov_b32_e32 v1, 0x180
	v_add_u32_e32 v8, 0x80, v8
	s_waitcnt vmcnt(0)
	v_rsq_f64_e32 v[4:5], v[2:3]
	s_nop 0
	v_mul_f64 v[2:3], v[4:5], -v[2:3]
	v_fma_f64 v[2:3], v[2:3], v[4:5], 1.0
	v_mul_f64 v[6:7], v[4:5], v[2:3]
	v_fma_f64 v[2:3], v[2:3], s[0:1], 0.5
	v_fma_f64 v[2:3], v[6:7], v[2:3], v[4:5]
	v_cmp_class_f64_e32 vcc, v[4:5], v1
	s_nop 1
	v_cndmask_b32_e32 v3, v5, v3, vcc
	v_cndmask_b32_e32 v2, v4, v2, vcc
	global_store_dwordx2 v0, v[2:3], s[16:17]
	s_or_b64 exec, exec, s[48:49]
	v_cmp_gt_i32_e32 vcc, s55, v8
	s_and_saveexec_b64 s[48:49], vcc
	s_cbranch_execz .LBB191_103
.LBB191_113:
	s_andn2_b64 vcc, exec, s[36:37]
	s_cbranch_vccnz .LBB191_119
; %bb.114:
	s_andn2_b64 vcc, exec, s[46:47]
	s_cbranch_vccnz .LBB191_120
; %bb.115:
	s_add_i32 s56, s56, 1
	s_cmp_eq_u32 s54, 2
	s_cbranch_scc1 .LBB191_121
; %bb.116:
	s_and_b32 s50, s56, 28
	s_mov_b32 s51, 0
	v_mov_b32_e32 v0, 0
	v_mov_b32_e32 v2, 0
	s_mov_b64 s[46:47], s[34:35]
	v_mov_b32_e32 v4, v8
.LBB191_117:                            ; =>This Inner Loop Header: Depth=1
	s_load_dwordx8 s[8:15], s[46:47], 0x4
	s_load_dwordx4 s[28:31], s[46:47], 0x24
	s_load_dwordx8 s[0:7], s[44:45], 0x0
	s_add_u32 s46, s46, 48
	s_addc_u32 s47, s47, 0
	s_waitcnt lgkmcnt(0)
	v_mul_hi_u32 v1, s9, v4
	v_add_u32_e32 v1, v4, v1
	v_lshrrev_b32_e32 v1, s10, v1
	v_mul_lo_u32 v3, v1, s8
	v_mul_hi_u32 v5, s12, v1
	v_sub_u32_e32 v3, v4, v3
	v_add_u32_e32 v4, v1, v5
	v_lshrrev_b32_e32 v4, s13, v4
	v_mul_lo_u32 v6, v4, s11
	v_mul_hi_u32 v7, s15, v4
	v_sub_u32_e32 v1, v1, v6
	v_add_u32_e32 v6, v4, v7
	v_mul_lo_u32 v5, v3, s1
	v_mul_lo_u32 v3, v3, s0
	;; [unrolled: 1-line block ×4, first 2 shown]
	v_lshrrev_b32_e32 v6, s28, v6
	v_add3_u32 v0, v3, v0, v1
	v_mul_hi_u32 v3, s30, v6
	v_add3_u32 v1, v5, v2, v7
	v_mul_lo_u32 v2, v6, s14
	v_add_u32_e32 v3, v6, v3
	v_sub_u32_e32 v2, v4, v2
	v_lshrrev_b32_e32 v4, s31, v3
	s_add_i32 s51, s51, 4
	v_mul_lo_u32 v3, v4, s29
	s_add_u32 s44, s44, 32
	v_sub_u32_e32 v3, v6, v3
	s_addc_u32 s45, s45, 0
	v_mul_lo_u32 v5, v2, s4
	v_mul_lo_u32 v2, v2, s5
	;; [unrolled: 1-line block ×4, first 2 shown]
	s_cmp_eq_u32 s50, s51
	v_add3_u32 v2, v2, v1, v3
	v_add3_u32 v0, v5, v0, v6
	s_cbranch_scc0 .LBB191_117
; %bb.118:
	v_mov_b32_e32 v1, v2
	s_branch .LBB191_122
.LBB191_119:
                                        ; implicit-def: $vgpr2
                                        ; implicit-def: $vgpr0
	s_branch .LBB191_126
.LBB191_120:
	v_mov_b32_e32 v2, 0
	v_mov_b32_e32 v0, 0
	s_branch .LBB191_125
.LBB191_121:
	v_mov_b32_e32 v0, 0
	s_mov_b32 s50, 0
	v_mov_b32_e32 v1, v0
                                        ; implicit-def: $vgpr2
	v_mov_b32_e32 v4, v8
.LBB191_122:
	s_and_b32 s4, s56, 3
	s_cmp_eq_u32 s4, 0
	s_cbranch_scc1 .LBB191_125
; %bb.123:
	s_lshl_b32 s0, s50, 3
	s_add_u32 s0, s34, s0
	s_addc_u32 s1, s35, 0
	s_add_u32 s0, s0, 0xc4
	s_addc_u32 s1, s1, 0
	s_mul_i32 s2, s50, 12
	s_add_u32 s2, s34, s2
	s_addc_u32 s3, s35, 0
.LBB191_124:                            ; =>This Inner Loop Header: Depth=1
	s_load_dwordx2 s[6:7], s[2:3], 0x4
	s_load_dword s5, s[2:3], 0xc
	s_load_dwordx2 s[8:9], s[0:1], 0x0
	v_mov_b32_e32 v2, v1
	s_add_u32 s2, s2, 12
	s_waitcnt lgkmcnt(0)
	v_mul_hi_u32 v1, s7, v4
	v_add_u32_e32 v1, v4, v1
	v_lshrrev_b32_e32 v1, s5, v1
	s_addc_u32 s3, s3, 0
	v_mul_lo_u32 v3, v1, s6
	s_add_u32 s0, s0, 8
	v_sub_u32_e32 v5, v4, v3
	s_addc_u32 s1, s1, 0
	s_add_i32 s4, s4, -1
	v_mov_b32_e32 v4, v1
	v_mad_u64_u32 v[2:3], s[6:7], v5, s9, v[2:3]
	v_mad_u64_u32 v[0:1], s[6:7], v5, s8, v[0:1]
	s_cmp_lg_u32 s4, 0
	v_mov_b32_e32 v1, v2
	s_cbranch_scc1 .LBB191_124
.LBB191_125:
	s_cbranch_execnz .LBB191_128
.LBB191_126:
	s_waitcnt lgkmcnt(0)
	v_mul_hi_u32 v0, s25, v8
	v_add_u32_e32 v0, v8, v0
	v_lshrrev_b32_e32 v1, s26, v0
	v_mul_lo_u32 v0, v1, s24
	v_sub_u32_e32 v0, v8, v0
	v_mul_lo_u32 v2, v0, s21
	s_andn2_b64 vcc, exec, s[42:43]
	v_mul_lo_u32 v0, v0, s20
	s_cbranch_vccnz .LBB191_128
; %bb.127:
	v_mul_hi_u32 v3, s40, v1
	v_add_u32_e32 v3, v1, v3
	v_lshrrev_b32_e32 v3, s41, v3
	v_mul_lo_u32 v3, v3, s27
	v_sub_u32_e32 v3, v1, v3
	v_mad_u64_u32 v[0:1], s[0:1], v3, s22, v[0:1]
	v_mad_u64_u32 v[2:3], s[0:1], v3, s23, v[2:3]
.LBB191_128:
	s_waitcnt lgkmcnt(0)
	global_load_dwordx2 v[2:3], v2, s[18:19]
	s_mov_b32 s0, 0
	s_mov_b32 s1, 0x3fd80000
	v_mov_b32_e32 v1, 0x180
	s_waitcnt vmcnt(0)
	v_rsq_f64_e32 v[4:5], v[2:3]
	s_nop 0
	v_mul_f64 v[2:3], v[4:5], -v[2:3]
	v_fma_f64 v[2:3], v[2:3], v[4:5], 1.0
	v_mul_f64 v[6:7], v[4:5], v[2:3]
	v_fma_f64 v[2:3], v[2:3], s[0:1], 0.5
	v_fma_f64 v[2:3], v[6:7], v[2:3], v[4:5]
	v_cmp_class_f64_e32 vcc, v[4:5], v1
	s_nop 1
	v_cndmask_b32_e32 v3, v5, v3, vcc
	v_cndmask_b32_e32 v2, v4, v2, vcc
	global_store_dwordx2 v0, v[2:3], s[16:17]
	s_or_b64 exec, exec, s[48:49]
                                        ; implicit-def: $vgpr16
                                        ; implicit-def: $vgpr8
	s_andn2_saveexec_b64 s[0:1], s[38:39]
	s_cbranch_execz .LBB191_104
	s_branch .LBB191_9
	.section	.rodata,"a",@progbits
	.p2align	6, 0x0
	.amdhsa_kernel _ZN2at6native32elementwise_kernel_manual_unrollILi128ELi4EZNS0_22gpu_kernel_impl_nocastIZZZNS0_17rsqrt_kernel_cudaERNS_18TensorIteratorBaseEENKUlvE0_clEvENKUlvE_clEvEUldE_EEvS4_RKT_EUlibE_EEviT1_
		.amdhsa_group_segment_fixed_size 0
		.amdhsa_private_segment_fixed_size 0
		.amdhsa_kernarg_size 360
		.amdhsa_user_sgpr_count 2
		.amdhsa_user_sgpr_dispatch_ptr 0
		.amdhsa_user_sgpr_queue_ptr 0
		.amdhsa_user_sgpr_kernarg_segment_ptr 1
		.amdhsa_user_sgpr_dispatch_id 0
		.amdhsa_user_sgpr_kernarg_preload_length 0
		.amdhsa_user_sgpr_kernarg_preload_offset 0
		.amdhsa_user_sgpr_private_segment_size 0
		.amdhsa_uses_dynamic_stack 0
		.amdhsa_enable_private_segment 0
		.amdhsa_system_sgpr_workgroup_id_x 1
		.amdhsa_system_sgpr_workgroup_id_y 0
		.amdhsa_system_sgpr_workgroup_id_z 0
		.amdhsa_system_sgpr_workgroup_info 0
		.amdhsa_system_vgpr_workitem_id 0
		.amdhsa_next_free_vgpr 32
		.amdhsa_next_free_sgpr 60
		.amdhsa_accum_offset 32
		.amdhsa_reserve_vcc 1
		.amdhsa_float_round_mode_32 0
		.amdhsa_float_round_mode_16_64 0
		.amdhsa_float_denorm_mode_32 3
		.amdhsa_float_denorm_mode_16_64 3
		.amdhsa_dx10_clamp 1
		.amdhsa_ieee_mode 1
		.amdhsa_fp16_overflow 0
		.amdhsa_tg_split 0
		.amdhsa_exception_fp_ieee_invalid_op 0
		.amdhsa_exception_fp_denorm_src 0
		.amdhsa_exception_fp_ieee_div_zero 0
		.amdhsa_exception_fp_ieee_overflow 0
		.amdhsa_exception_fp_ieee_underflow 0
		.amdhsa_exception_fp_ieee_inexact 0
		.amdhsa_exception_int_div_zero 0
	.end_amdhsa_kernel
	.section	.text._ZN2at6native32elementwise_kernel_manual_unrollILi128ELi4EZNS0_22gpu_kernel_impl_nocastIZZZNS0_17rsqrt_kernel_cudaERNS_18TensorIteratorBaseEENKUlvE0_clEvENKUlvE_clEvEUldE_EEvS4_RKT_EUlibE_EEviT1_,"axG",@progbits,_ZN2at6native32elementwise_kernel_manual_unrollILi128ELi4EZNS0_22gpu_kernel_impl_nocastIZZZNS0_17rsqrt_kernel_cudaERNS_18TensorIteratorBaseEENKUlvE0_clEvENKUlvE_clEvEUldE_EEvS4_RKT_EUlibE_EEviT1_,comdat
.Lfunc_end191:
	.size	_ZN2at6native32elementwise_kernel_manual_unrollILi128ELi4EZNS0_22gpu_kernel_impl_nocastIZZZNS0_17rsqrt_kernel_cudaERNS_18TensorIteratorBaseEENKUlvE0_clEvENKUlvE_clEvEUldE_EEvS4_RKT_EUlibE_EEviT1_, .Lfunc_end191-_ZN2at6native32elementwise_kernel_manual_unrollILi128ELi4EZNS0_22gpu_kernel_impl_nocastIZZZNS0_17rsqrt_kernel_cudaERNS_18TensorIteratorBaseEENKUlvE0_clEvENKUlvE_clEvEUldE_EEvS4_RKT_EUlibE_EEviT1_
                                        ; -- End function
	.set _ZN2at6native32elementwise_kernel_manual_unrollILi128ELi4EZNS0_22gpu_kernel_impl_nocastIZZZNS0_17rsqrt_kernel_cudaERNS_18TensorIteratorBaseEENKUlvE0_clEvENKUlvE_clEvEUldE_EEvS4_RKT_EUlibE_EEviT1_.num_vgpr, 32
	.set _ZN2at6native32elementwise_kernel_manual_unrollILi128ELi4EZNS0_22gpu_kernel_impl_nocastIZZZNS0_17rsqrt_kernel_cudaERNS_18TensorIteratorBaseEENKUlvE0_clEvENKUlvE_clEvEUldE_EEvS4_RKT_EUlibE_EEviT1_.num_agpr, 0
	.set _ZN2at6native32elementwise_kernel_manual_unrollILi128ELi4EZNS0_22gpu_kernel_impl_nocastIZZZNS0_17rsqrt_kernel_cudaERNS_18TensorIteratorBaseEENKUlvE0_clEvENKUlvE_clEvEUldE_EEvS4_RKT_EUlibE_EEviT1_.numbered_sgpr, 60
	.set _ZN2at6native32elementwise_kernel_manual_unrollILi128ELi4EZNS0_22gpu_kernel_impl_nocastIZZZNS0_17rsqrt_kernel_cudaERNS_18TensorIteratorBaseEENKUlvE0_clEvENKUlvE_clEvEUldE_EEvS4_RKT_EUlibE_EEviT1_.num_named_barrier, 0
	.set _ZN2at6native32elementwise_kernel_manual_unrollILi128ELi4EZNS0_22gpu_kernel_impl_nocastIZZZNS0_17rsqrt_kernel_cudaERNS_18TensorIteratorBaseEENKUlvE0_clEvENKUlvE_clEvEUldE_EEvS4_RKT_EUlibE_EEviT1_.private_seg_size, 0
	.set _ZN2at6native32elementwise_kernel_manual_unrollILi128ELi4EZNS0_22gpu_kernel_impl_nocastIZZZNS0_17rsqrt_kernel_cudaERNS_18TensorIteratorBaseEENKUlvE0_clEvENKUlvE_clEvEUldE_EEvS4_RKT_EUlibE_EEviT1_.uses_vcc, 1
	.set _ZN2at6native32elementwise_kernel_manual_unrollILi128ELi4EZNS0_22gpu_kernel_impl_nocastIZZZNS0_17rsqrt_kernel_cudaERNS_18TensorIteratorBaseEENKUlvE0_clEvENKUlvE_clEvEUldE_EEvS4_RKT_EUlibE_EEviT1_.uses_flat_scratch, 0
	.set _ZN2at6native32elementwise_kernel_manual_unrollILi128ELi4EZNS0_22gpu_kernel_impl_nocastIZZZNS0_17rsqrt_kernel_cudaERNS_18TensorIteratorBaseEENKUlvE0_clEvENKUlvE_clEvEUldE_EEvS4_RKT_EUlibE_EEviT1_.has_dyn_sized_stack, 0
	.set _ZN2at6native32elementwise_kernel_manual_unrollILi128ELi4EZNS0_22gpu_kernel_impl_nocastIZZZNS0_17rsqrt_kernel_cudaERNS_18TensorIteratorBaseEENKUlvE0_clEvENKUlvE_clEvEUldE_EEvS4_RKT_EUlibE_EEviT1_.has_recursion, 0
	.set _ZN2at6native32elementwise_kernel_manual_unrollILi128ELi4EZNS0_22gpu_kernel_impl_nocastIZZZNS0_17rsqrt_kernel_cudaERNS_18TensorIteratorBaseEENKUlvE0_clEvENKUlvE_clEvEUldE_EEvS4_RKT_EUlibE_EEviT1_.has_indirect_call, 0
	.section	.AMDGPU.csdata,"",@progbits
; Kernel info:
; codeLenInByte = 6364
; TotalNumSgprs: 66
; NumVgprs: 32
; NumAgprs: 0
; TotalNumVgprs: 32
; ScratchSize: 0
; MemoryBound: 0
; FloatMode: 240
; IeeeMode: 1
; LDSByteSize: 0 bytes/workgroup (compile time only)
; SGPRBlocks: 8
; VGPRBlocks: 3
; NumSGPRsForWavesPerEU: 66
; NumVGPRsForWavesPerEU: 32
; AccumOffset: 32
; Occupancy: 8
; WaveLimiterHint : 1
; COMPUTE_PGM_RSRC2:SCRATCH_EN: 0
; COMPUTE_PGM_RSRC2:USER_SGPR: 2
; COMPUTE_PGM_RSRC2:TRAP_HANDLER: 0
; COMPUTE_PGM_RSRC2:TGID_X_EN: 1
; COMPUTE_PGM_RSRC2:TGID_Y_EN: 0
; COMPUTE_PGM_RSRC2:TGID_Z_EN: 0
; COMPUTE_PGM_RSRC2:TIDIG_COMP_CNT: 0
; COMPUTE_PGM_RSRC3_GFX90A:ACCUM_OFFSET: 7
; COMPUTE_PGM_RSRC3_GFX90A:TG_SPLIT: 0
	.section	.text._ZN2at6native32elementwise_kernel_manual_unrollILi128ELi4EZNS0_15gpu_kernel_implIZZZNS0_17rsqrt_kernel_cudaERNS_18TensorIteratorBaseEENKUlvE0_clEvENKUlvE_clEvEUldE_EEvS4_RKT_EUlibE_EEviT1_,"axG",@progbits,_ZN2at6native32elementwise_kernel_manual_unrollILi128ELi4EZNS0_15gpu_kernel_implIZZZNS0_17rsqrt_kernel_cudaERNS_18TensorIteratorBaseEENKUlvE0_clEvENKUlvE_clEvEUldE_EEvS4_RKT_EUlibE_EEviT1_,comdat
	.globl	_ZN2at6native32elementwise_kernel_manual_unrollILi128ELi4EZNS0_15gpu_kernel_implIZZZNS0_17rsqrt_kernel_cudaERNS_18TensorIteratorBaseEENKUlvE0_clEvENKUlvE_clEvEUldE_EEvS4_RKT_EUlibE_EEviT1_ ; -- Begin function _ZN2at6native32elementwise_kernel_manual_unrollILi128ELi4EZNS0_15gpu_kernel_implIZZZNS0_17rsqrt_kernel_cudaERNS_18TensorIteratorBaseEENKUlvE0_clEvENKUlvE_clEvEUldE_EEvS4_RKT_EUlibE_EEviT1_
	.p2align	8
	.type	_ZN2at6native32elementwise_kernel_manual_unrollILi128ELi4EZNS0_15gpu_kernel_implIZZZNS0_17rsqrt_kernel_cudaERNS_18TensorIteratorBaseEENKUlvE0_clEvENKUlvE_clEvEUldE_EEvS4_RKT_EUlibE_EEviT1_,@function
_ZN2at6native32elementwise_kernel_manual_unrollILi128ELi4EZNS0_15gpu_kernel_implIZZZNS0_17rsqrt_kernel_cudaERNS_18TensorIteratorBaseEENKUlvE0_clEvENKUlvE_clEvEUldE_EEvS4_RKT_EUlibE_EEviT1_: ; @_ZN2at6native32elementwise_kernel_manual_unrollILi128ELi4EZNS0_15gpu_kernel_implIZZZNS0_17rsqrt_kernel_cudaERNS_18TensorIteratorBaseEENKUlvE0_clEvENKUlvE_clEvEUldE_EEvS4_RKT_EUlibE_EEviT1_
; %bb.0:
	v_mov_b32_e32 v1, 0
	global_load_ushort v1, v1, s[0:1] offset:33
	s_load_dwordx4 s[4:7], s[0:1], 0x8
	s_load_dwordx2 s[8:9], s[0:1], 0x18
	s_load_dword s38, s[0:1], 0x0
	v_lshl_or_b32 v10, s2, 9, v0
	v_or_b32_e32 v0, 0x180, v10
	s_mov_b64 s[10:11], 0
	s_mov_b64 s[12:13], 0
	s_waitcnt lgkmcnt(0)
	v_cmp_le_i32_e32 vcc, s38, v0
	s_waitcnt vmcnt(0)
	v_readfirstlane_b32 s33, v1
	s_and_b32 s0, 0xffff, s33
	s_lshr_b32 s42, s0, 8
	s_and_saveexec_b64 s[0:1], vcc
	s_xor_b64 s[2:3], exec, s[0:1]
	s_cbranch_execz .LBB192_1027
; %bb.1:
	v_cmp_gt_i32_e32 vcc, s38, v10
	s_mov_b64 s[18:19], -1
	s_mov_b64 s[20:21], 0
	s_mov_b64 s[14:15], 0
	s_and_saveexec_b64 s[16:17], vcc
	s_cbranch_execz .LBB192_252
; %bb.2:
	v_mul_lo_u32 v0, v10, s9
	v_ashrrev_i32_e32 v1, 31, v0
	s_and_b32 s22, 0xffff, s42
	s_cmp_lt_i32 s22, 11
	v_lshl_add_u64 v[0:1], s[6:7], 0, v[0:1]
	s_cbranch_scc1 .LBB192_9
; %bb.3:
	s_cmp_gt_i32 s22, 25
	s_cbranch_scc0 .LBB192_18
; %bb.4:
	s_cmp_gt_i32 s22, 28
	s_cbranch_scc0 .LBB192_22
	;; [unrolled: 3-line block ×4, first 2 shown]
; %bb.7:
	s_cmp_eq_u32 s22, 46
	s_cbranch_scc0 .LBB192_28
; %bb.8:
	global_load_dword v2, v[0:1], off
	s_mov_b64 s[0:1], -1
	s_waitcnt vmcnt(0)
	v_lshlrev_b32_e32 v2, 16, v2
	v_cvt_f64_f32_e32 v[2:3], v2
	s_branch .LBB192_30
.LBB192_9:
                                        ; implicit-def: $vgpr2_vgpr3
	s_mov_b64 s[0:1], 0
	s_cbranch_execnz .LBB192_203
.LBB192_10:
	s_andn2_b64 vcc, exec, s[0:1]
	s_cbranch_vccnz .LBB192_250
.LBB192_11:
	s_waitcnt vmcnt(0)
	v_rsq_f64_e32 v[0:1], v[2:3]
	s_mov_b32 s0, 0
	s_mov_b32 s1, 0x3fd80000
	s_and_b32 s24, s33, 0xff
	v_mul_f64 v[2:3], v[0:1], -v[2:3]
	v_fma_f64 v[2:3], v[2:3], v[0:1], 1.0
	v_mul_f64 v[4:5], v[0:1], v[2:3]
	v_fma_f64 v[2:3], v[2:3], s[0:1], 0.5
	v_fma_f64 v[2:3], v[4:5], v[2:3], v[0:1]
	v_mov_b32_e32 v4, 0x180
	v_cmp_class_f64_e32 vcc, v[0:1], v4
	s_cmp_lt_i32 s24, 11
	s_nop 0
	v_cndmask_b32_e32 v0, v0, v2, vcc
	v_mul_lo_u32 v2, v10, s8
	v_cndmask_b32_e32 v1, v1, v3, vcc
	v_ashrrev_i32_e32 v3, 31, v2
	v_lshl_add_u64 v[4:5], s[4:5], 0, v[2:3]
	s_cbranch_scc1 .LBB192_19
; %bb.12:
	s_and_b32 s25, 0xffff, s24
	s_cmp_gt_i32 s25, 25
	s_cbranch_scc0 .LBB192_23
; %bb.13:
	s_cmp_gt_i32 s25, 28
	s_cbranch_scc0 .LBB192_25
; %bb.14:
	;; [unrolled: 3-line block ×4, first 2 shown]
	s_mov_b64 s[18:19], 0
	s_mov_b64 s[0:1], -1
	s_cmp_eq_u32 s25, 46
	s_mov_b64 s[12:13], 0
	s_cbranch_scc0 .LBB192_34
; %bb.17:
	v_cvt_f32_f64_e32 v2, v[0:1]
	v_bfe_u32 v3, v2, 16, 1
	s_movk_i32 s0, 0x7fff
	v_add3_u32 v3, v2, v3, s0
	v_cmp_o_f32_e32 vcc, v2, v2
	v_mov_b32_e32 v2, 0x7fc0
	s_mov_b64 s[12:13], -1
	v_cndmask_b32_sdwa v2, v2, v3, vcc dst_sel:DWORD dst_unused:UNUSED_PAD src0_sel:DWORD src1_sel:WORD_1
	global_store_dword v[4:5], v2, off
	s_mov_b64 s[0:1], 0
	s_branch .LBB192_34
.LBB192_18:
	s_mov_b64 s[0:1], 0
                                        ; implicit-def: $vgpr2_vgpr3
	s_cbranch_execnz .LBB192_170
	s_branch .LBB192_202
.LBB192_19:
	s_mov_b64 s[0:1], 0
	s_mov_b64 s[12:13], 0
	s_cbranch_execnz .LBB192_103
.LBB192_20:
	s_andn2_b64 vcc, exec, s[12:13]
	s_cbranch_vccnz .LBB192_141
.LBB192_21:
	v_add_u32_e32 v10, 0x80, v10
	s_mov_b64 s[18:19], -1
	s_branch .LBB192_251
.LBB192_22:
	s_mov_b64 s[12:13], -1
	s_mov_b64 s[0:1], 0
                                        ; implicit-def: $vgpr2_vgpr3
	s_branch .LBB192_149
.LBB192_23:
	s_mov_b64 s[18:19], -1
	s_mov_b64 s[0:1], 0
	s_mov_b64 s[12:13], 0
	s_branch .LBB192_61
.LBB192_24:
	s_mov_b64 s[12:13], -1
	s_mov_b64 s[0:1], 0
                                        ; implicit-def: $vgpr2_vgpr3
	s_branch .LBB192_144
.LBB192_25:
	s_mov_b64 s[18:19], -1
	s_mov_b64 s[0:1], 0
	s_mov_b64 s[12:13], 0
	s_branch .LBB192_44
.LBB192_26:
	s_mov_b64 s[12:13], -1
	s_branch .LBB192_29
.LBB192_27:
	s_mov_b64 s[18:19], -1
	s_mov_b64 s[0:1], 0
	s_mov_b64 s[12:13], 0
	s_branch .LBB192_40
.LBB192_28:
	s_mov_b64 s[14:15], -1
.LBB192_29:
	s_mov_b64 s[0:1], 0
                                        ; implicit-def: $vgpr2_vgpr3
.LBB192_30:
	s_and_b64 vcc, exec, s[12:13]
	s_cbranch_vccz .LBB192_143
; %bb.31:
	s_cmp_eq_u32 s22, 44
	s_cbranch_scc0 .LBB192_142
; %bb.32:
	global_load_ubyte v4, v[0:1], off
	s_movk_i32 s12, 0xff
	v_bfrev_b32_e32 v5, 4
	v_mov_b32_e32 v6, 0x7ff80000
	v_bfrev_b32_e32 v7, 28
	s_mov_b64 s[0:1], -1
	s_mov_b64 s[14:15], 0
	s_waitcnt vmcnt(0)
	v_lshlrev_b32_e32 v2, 23, v4
	v_cvt_f64_f32_e32 v[2:3], v2
	v_cmp_ne_u32_e32 vcc, s12, v4
	s_nop 1
	v_cndmask_b32_e32 v2, v5, v2, vcc
	v_cndmask_b32_e32 v3, v6, v3, vcc
	v_cmp_ne_u32_e32 vcc, 0, v4
	s_nop 1
	v_cndmask_b32_e32 v3, v7, v3, vcc
	v_cndmask_b32_e32 v2, 0, v2, vcc
	s_branch .LBB192_143
.LBB192_33:
	s_mov_b64 s[18:19], -1
	s_mov_b64 s[0:1], 0
	s_mov_b64 s[12:13], 0
.LBB192_34:
	s_and_b64 vcc, exec, s[18:19]
	s_cbranch_vccz .LBB192_39
; %bb.35:
	s_cmp_eq_u32 s25, 44
	s_mov_b64 s[0:1], -1
	s_cbranch_scc0 .LBB192_39
; %bb.36:
	v_cvt_f32_f64_e32 v2, v[0:1]
	v_bfe_u32 v3, v2, 23, 8
	s_movk_i32 s0, 0xff
	v_cmp_ne_u32_e32 vcc, s0, v3
	v_mov_b32_e32 v6, 0xff
	s_and_saveexec_b64 s[12:13], vcc
; %bb.37:
	s_mov_b32 s0, 0x3fffff
	v_lshrrev_b32_e32 v6, 23, v2
	v_and_b32_e32 v7, 0x400000, v2
	v_and_or_b32 v2, v2, s0, v3
	v_cmp_ne_u32_e32 vcc, 0, v7
	v_cmp_ne_u32_e64 s[0:1], 0, v2
	s_and_b64 s[0:1], vcc, s[0:1]
	s_nop 0
	v_cndmask_b32_e64 v2, 0, 1, s[0:1]
	v_add_u32_e32 v6, v6, v2
; %bb.38:
	s_or_b64 exec, exec, s[12:13]
	s_mov_b64 s[12:13], -1
	s_mov_b64 s[0:1], 0
	global_store_byte v[4:5], v6, off
.LBB192_39:
	s_mov_b64 s[18:19], 0
.LBB192_40:
	s_and_b64 vcc, exec, s[18:19]
	s_cbranch_vccz .LBB192_43
; %bb.41:
	s_cmp_eq_u32 s25, 29
	s_mov_b64 s[0:1], -1
	s_cbranch_scc0 .LBB192_43
; %bb.42:
	v_trunc_f64_e32 v[2:3], v[0:1]
	s_movk_i32 s0, 0xffe0
	v_ldexp_f64 v[6:7], v[2:3], s0
	v_floor_f64_e32 v[6:7], v[6:7]
	v_fmac_f64_e32 v[2:3], 0xc1f00000, v[6:7]
	v_cvt_u32_f64_e32 v9, v[6:7]
	v_cvt_u32_f64_e32 v8, v[2:3]
	global_store_dwordx2 v[4:5], v[8:9], off
	s_mov_b64 s[12:13], -1
	s_mov_b64 s[0:1], 0
.LBB192_43:
	s_mov_b64 s[18:19], 0
.LBB192_44:
	s_and_b64 vcc, exec, s[18:19]
	s_cbranch_vccz .LBB192_60
; %bb.45:
	s_cmp_lt_i32 s25, 27
	s_mov_b64 s[12:13], -1
	s_cbranch_scc1 .LBB192_51
; %bb.46:
	s_cmp_gt_i32 s25, 27
	v_cvt_u32_f64_e32 v2, v[0:1]
	s_cbranch_scc0 .LBB192_48
; %bb.47:
	s_mov_b64 s[12:13], 0
	global_store_dword v[4:5], v2, off
.LBB192_48:
	s_andn2_b64 vcc, exec, s[12:13]
	s_cbranch_vccnz .LBB192_50
; %bb.49:
	global_store_short v[4:5], v2, off
.LBB192_50:
	s_mov_b64 s[12:13], 0
.LBB192_51:
	s_andn2_b64 vcc, exec, s[12:13]
	s_cbranch_vccnz .LBB192_59
; %bb.52:
	v_cvt_f32_f64_e32 v2, v[0:1]
	v_and_b32_e32 v3, 0x7fffffff, v2
	s_mov_b32 s12, 0x43800000
	v_cmp_gt_u32_e32 vcc, s12, v3
	v_mov_b32_e32 v6, 0x80
	s_and_saveexec_b64 s[12:13], vcc
	s_cbranch_execz .LBB192_58
; %bb.53:
	s_mov_b32 s18, 0x3bffffff
	v_cmp_lt_u32_e32 vcc, s18, v3
	s_mov_b64 s[18:19], 0
                                        ; implicit-def: $vgpr3
	s_and_saveexec_b64 s[22:23], vcc
	s_xor_b64 s[22:23], exec, s[22:23]
	s_cbranch_execz .LBB192_279
; %bb.54:
	v_bfe_u32 v3, v2, 20, 1
	s_mov_b32 s26, 0x487ffff
	v_add3_u32 v3, v2, v3, s26
	s_mov_b64 s[18:19], exec
	v_lshrrev_b32_e32 v3, 20, v3
	s_andn2_saveexec_b64 s[22:23], s[22:23]
	s_cbranch_execnz .LBB192_280
.LBB192_55:
	s_or_b64 exec, exec, s[22:23]
	v_mov_b32_e32 v6, 0
	s_and_saveexec_b64 s[22:23], s[18:19]
.LBB192_56:
	v_lshrrev_b32_e32 v2, 24, v2
	s_movk_i32 s18, 0x80
	v_and_or_b32 v6, v2, s18, v3
.LBB192_57:
	s_or_b64 exec, exec, s[22:23]
.LBB192_58:
	s_or_b64 exec, exec, s[12:13]
	global_store_byte v[4:5], v6, off
.LBB192_59:
	s_mov_b64 s[12:13], -1
.LBB192_60:
	s_mov_b64 s[18:19], 0
.LBB192_61:
	s_and_b64 vcc, exec, s[18:19]
	s_cbranch_vccz .LBB192_102
; %bb.62:
	s_cmp_gt_i32 s25, 22
	s_mov_b64 s[18:19], -1
	s_cbranch_scc0 .LBB192_94
; %bb.63:
	s_cmp_lt_i32 s25, 24
	s_mov_b64 s[12:13], -1
	s_cbranch_scc1 .LBB192_83
; %bb.64:
	s_cmp_gt_i32 s25, 24
	s_cbranch_scc0 .LBB192_72
; %bb.65:
	v_cvt_f32_f64_e32 v2, v[0:1]
	v_and_b32_e32 v3, 0x7fffffff, v2
	s_mov_b32 s12, 0x47800000
	v_cmp_gt_u32_e32 vcc, s12, v3
	v_mov_b32_e32 v6, 0x80
	s_and_saveexec_b64 s[12:13], vcc
	s_cbranch_execz .LBB192_71
; %bb.66:
	s_mov_b32 s18, 0x37ffffff
	v_cmp_lt_u32_e32 vcc, s18, v3
	s_mov_b64 s[18:19], 0
                                        ; implicit-def: $vgpr3
	s_and_saveexec_b64 s[22:23], vcc
	s_xor_b64 s[22:23], exec, s[22:23]
	s_cbranch_execz .LBB192_283
; %bb.67:
	v_bfe_u32 v3, v2, 21, 1
	s_mov_b32 s26, 0x88fffff
	v_add3_u32 v3, v2, v3, s26
	s_mov_b64 s[18:19], exec
	v_lshrrev_b32_e32 v3, 21, v3
	s_andn2_saveexec_b64 s[22:23], s[22:23]
	s_cbranch_execnz .LBB192_284
.LBB192_68:
	s_or_b64 exec, exec, s[22:23]
	v_mov_b32_e32 v6, 0
	s_and_saveexec_b64 s[22:23], s[18:19]
.LBB192_69:
	v_lshrrev_b32_e32 v2, 24, v2
	s_movk_i32 s18, 0x80
	v_and_or_b32 v6, v2, s18, v3
.LBB192_70:
	s_or_b64 exec, exec, s[22:23]
.LBB192_71:
	s_or_b64 exec, exec, s[12:13]
	s_mov_b64 s[12:13], 0
	global_store_byte v[4:5], v6, off
.LBB192_72:
	s_and_b64 vcc, exec, s[12:13]
	s_cbranch_vccz .LBB192_82
; %bb.73:
	v_cvt_f32_f64_e32 v2, v[0:1]
	v_and_b32_e32 v6, 0x7fffffff, v2
	s_mov_b32 s12, 0x43f00000
	v_cmp_gt_u32_e32 vcc, s12, v6
                                        ; implicit-def: $vgpr3
	s_and_saveexec_b64 s[12:13], vcc
	s_xor_b64 s[12:13], exec, s[12:13]
	s_cbranch_execz .LBB192_79
; %bb.74:
	s_mov_b32 s18, 0x3c7fffff
	v_cmp_lt_u32_e32 vcc, s18, v6
                                        ; implicit-def: $vgpr3
	s_and_saveexec_b64 s[18:19], vcc
	s_xor_b64 s[18:19], exec, s[18:19]
; %bb.75:
	v_bfe_u32 v3, v2, 20, 1
	s_mov_b32 s22, 0x407ffff
	v_add3_u32 v3, v2, v3, s22
	v_lshrrev_b32_e32 v6, 20, v3
	v_and_b32_e32 v3, 0xff00000, v3
	s_mov_b32 s22, 0x7f00000
	v_mov_b32_e32 v7, 0x7e
	v_cmp_ne_u32_e32 vcc, s22, v3
	s_nop 1
	v_cndmask_b32_e32 v3, v7, v6, vcc
; %bb.76:
	s_andn2_saveexec_b64 s[18:19], s[18:19]
; %bb.77:
	s_mov_b32 s22, 0x46800000
	v_add_f32_e64 v3, |v2|, s22
; %bb.78:
	s_or_b64 exec, exec, s[18:19]
                                        ; implicit-def: $vgpr6
.LBB192_79:
	s_andn2_saveexec_b64 s[12:13], s[12:13]
; %bb.80:
	s_mov_b32 s18, 0x7f800000
	v_mov_b32_e32 v3, 0x7e
	v_mov_b32_e32 v7, 0x7f
	v_cmp_lt_u32_e32 vcc, s18, v6
	s_nop 1
	v_cndmask_b32_e32 v3, v3, v7, vcc
; %bb.81:
	s_or_b64 exec, exec, s[12:13]
	v_lshrrev_b32_e32 v2, 24, v2
	s_movk_i32 s12, 0x80
	v_and_or_b32 v2, v2, s12, v3
	global_store_byte v[4:5], v2, off
.LBB192_82:
	s_mov_b64 s[12:13], 0
.LBB192_83:
	s_andn2_b64 vcc, exec, s[12:13]
	s_cbranch_vccnz .LBB192_93
; %bb.84:
	v_cvt_f32_f64_e32 v2, v[0:1]
	v_and_b32_e32 v6, 0x7fffffff, v2
	s_mov_b32 s12, 0x47800000
	v_cmp_gt_u32_e32 vcc, s12, v6
                                        ; implicit-def: $vgpr3
	s_and_saveexec_b64 s[12:13], vcc
	s_xor_b64 s[12:13], exec, s[12:13]
	s_cbranch_execz .LBB192_90
; %bb.85:
	s_mov_b32 s18, 0x387fffff
	v_cmp_lt_u32_e32 vcc, s18, v6
                                        ; implicit-def: $vgpr3
	s_and_saveexec_b64 s[18:19], vcc
	s_xor_b64 s[18:19], exec, s[18:19]
; %bb.86:
	v_bfe_u32 v3, v2, 21, 1
	s_mov_b32 s22, 0x80fffff
	v_add3_u32 v3, v2, v3, s22
	v_lshrrev_b32_e32 v3, 21, v3
; %bb.87:
	s_andn2_saveexec_b64 s[18:19], s[18:19]
; %bb.88:
	s_mov_b32 s22, 0x43000000
	v_add_f32_e64 v3, |v2|, s22
; %bb.89:
	s_or_b64 exec, exec, s[18:19]
                                        ; implicit-def: $vgpr6
.LBB192_90:
	s_andn2_saveexec_b64 s[12:13], s[12:13]
; %bb.91:
	s_mov_b32 s18, 0x7f800000
	v_mov_b32_e32 v3, 0x7c
	v_mov_b32_e32 v7, 0x7f
	v_cmp_lt_u32_e32 vcc, s18, v6
	s_nop 1
	v_cndmask_b32_e32 v3, v3, v7, vcc
; %bb.92:
	s_or_b64 exec, exec, s[12:13]
	v_lshrrev_b32_e32 v2, 24, v2
	s_movk_i32 s12, 0x80
	v_and_or_b32 v2, v2, s12, v3
	global_store_byte v[4:5], v2, off
.LBB192_93:
	s_mov_b64 s[18:19], 0
	s_mov_b64 s[12:13], -1
.LBB192_94:
	s_andn2_b64 vcc, exec, s[18:19]
	s_cbranch_vccnz .LBB192_102
; %bb.95:
	s_cmp_gt_i32 s25, 14
	s_mov_b64 s[18:19], -1
	s_cbranch_scc0 .LBB192_99
; %bb.96:
	s_cmp_eq_u32 s25, 15
	s_mov_b64 s[0:1], -1
	s_cbranch_scc0 .LBB192_98
; %bb.97:
	v_cvt_f32_f64_e32 v2, v[0:1]
	v_bfe_u32 v3, v2, 16, 1
	s_movk_i32 s0, 0x7fff
	v_add3_u32 v3, v2, v3, s0
	v_cmp_o_f32_e32 vcc, v2, v2
	v_mov_b32_e32 v2, 0x7fc0
	s_mov_b64 s[12:13], -1
	v_cndmask_b32_sdwa v2, v2, v3, vcc dst_sel:DWORD dst_unused:UNUSED_PAD src0_sel:DWORD src1_sel:WORD_1
	global_store_short v[4:5], v2, off
	s_mov_b64 s[0:1], 0
.LBB192_98:
	s_mov_b64 s[18:19], 0
.LBB192_99:
	s_and_b64 vcc, exec, s[18:19]
	s_cbranch_vccz .LBB192_102
; %bb.100:
	s_cmp_eq_u32 s25, 11
	s_mov_b64 s[0:1], -1
	s_cbranch_scc0 .LBB192_102
; %bb.101:
	v_cmp_neq_f64_e32 vcc, 0, v[0:1]
	s_mov_b64 s[0:1], 0
	s_mov_b64 s[12:13], -1
	v_cndmask_b32_e64 v2, 0, 1, vcc
	global_store_byte v[4:5], v2, off
.LBB192_102:
	s_branch .LBB192_20
.LBB192_103:
	s_and_b32 s18, 0xffff, s24
	s_cmp_lt_i32 s18, 5
	s_mov_b64 s[12:13], -1
	s_cbranch_scc1 .LBB192_124
; %bb.104:
	s_cmp_lt_i32 s18, 8
	s_cbranch_scc1 .LBB192_114
; %bb.105:
	s_cmp_lt_i32 s18, 9
	s_cbranch_scc1 .LBB192_111
; %bb.106:
	s_cmp_gt_i32 s18, 9
	s_cbranch_scc0 .LBB192_108
; %bb.107:
	v_mov_b32_e32 v2, 0
	v_mov_b32_e32 v3, v2
	global_store_dwordx4 v[4:5], v[0:3], off
	s_mov_b64 s[12:13], 0
.LBB192_108:
	s_andn2_b64 vcc, exec, s[12:13]
	s_cbranch_vccnz .LBB192_110
; %bb.109:
	v_cvt_f32_f64_e32 v2, v[0:1]
	v_mov_b32_e32 v3, 0
	global_store_dwordx2 v[4:5], v[2:3], off
.LBB192_110:
	s_mov_b64 s[12:13], 0
.LBB192_111:
	s_andn2_b64 vcc, exec, s[12:13]
	s_cbranch_vccnz .LBB192_113
; %bb.112:
	s_movk_i32 s12, 0x1ff
	v_and_or_b32 v2, v1, s12, v0
	v_cmp_ne_u32_e32 vcc, 0, v2
	v_lshrrev_b32_e32 v3, 8, v1
	s_movk_i32 s12, 0xffe
	v_cndmask_b32_e64 v2, 0, 1, vcc
	v_bfe_u32 v6, v1, 20, 11
	v_and_or_b32 v2, v3, s12, v2
	v_sub_u32_e32 v7, 0x3f1, v6
	v_or_b32_e32 v3, 0x1000, v2
	v_med3_i32 v7, v7, 0, 13
	v_lshrrev_b32_e32 v8, v7, v3
	v_lshlrev_b32_e32 v7, v7, v8
	v_cmp_ne_u32_e32 vcc, v7, v3
	v_add_u32_e32 v6, 0xfffffc10, v6
	v_lshl_or_b32 v7, v6, 12, v2
	v_cndmask_b32_e64 v3, 0, 1, vcc
	v_or_b32_e32 v3, v8, v3
	v_cmp_gt_i32_e32 vcc, 1, v6
	s_movk_i32 s12, 0x40f
	s_nop 0
	v_cndmask_b32_e32 v3, v7, v3, vcc
	v_and_b32_e32 v7, 7, v3
	v_cmp_lt_i32_e32 vcc, 5, v7
	v_lshrrev_b32_e32 v3, 2, v3
	s_nop 0
	v_cndmask_b32_e64 v8, 0, 1, vcc
	v_cmp_eq_u32_e32 vcc, 3, v7
	s_nop 1
	v_cndmask_b32_e64 v7, 0, 1, vcc
	v_or_b32_e32 v7, v7, v8
	v_add_u32_e32 v3, v3, v7
	v_mov_b32_e32 v7, 0x7c00
	v_cmp_gt_i32_e32 vcc, 31, v6
	v_mov_b32_e32 v8, 0x7e00
	s_nop 0
	v_cndmask_b32_e32 v3, v7, v3, vcc
	v_cmp_ne_u32_e32 vcc, 0, v2
	s_nop 1
	v_cndmask_b32_e32 v2, v7, v8, vcc
	v_cmp_eq_u32_e32 vcc, s12, v6
	s_mov_b32 s12, 0x8000
	s_nop 0
	v_cndmask_b32_e32 v2, v3, v2, vcc
	v_and_b32_sdwa v3, v1, s12 dst_sel:DWORD dst_unused:UNUSED_PAD src0_sel:WORD_1 src1_sel:DWORD
	s_mov_b32 s12, 0xffff
	v_bitop3_b32 v2, v3, s12, v2 bitop3:0xc8
	global_store_dword v[4:5], v2, off
.LBB192_113:
	s_mov_b64 s[12:13], 0
.LBB192_114:
	s_andn2_b64 vcc, exec, s[12:13]
	s_cbranch_vccnz .LBB192_123
; %bb.115:
	s_cmp_lt_i32 s18, 6
	s_mov_b64 s[12:13], -1
	s_cbranch_scc1 .LBB192_121
; %bb.116:
	s_cmp_gt_i32 s18, 6
	s_cbranch_scc0 .LBB192_118
; %bb.117:
	global_store_dwordx2 v[4:5], v[0:1], off
	s_mov_b64 s[12:13], 0
.LBB192_118:
	s_andn2_b64 vcc, exec, s[12:13]
	s_cbranch_vccnz .LBB192_120
; %bb.119:
	v_cvt_f32_f64_e32 v2, v[0:1]
	global_store_dword v[4:5], v2, off
.LBB192_120:
	s_mov_b64 s[12:13], 0
.LBB192_121:
	s_andn2_b64 vcc, exec, s[12:13]
	s_cbranch_vccnz .LBB192_123
; %bb.122:
	s_movk_i32 s12, 0x1ff
	v_and_or_b32 v2, v1, s12, v0
	v_cmp_ne_u32_e32 vcc, 0, v2
	v_lshrrev_b32_e32 v3, 8, v1
	s_movk_i32 s12, 0xffe
	v_cndmask_b32_e64 v2, 0, 1, vcc
	v_bfe_u32 v6, v1, 20, 11
	v_and_or_b32 v2, v3, s12, v2
	v_sub_u32_e32 v7, 0x3f1, v6
	v_or_b32_e32 v3, 0x1000, v2
	v_med3_i32 v7, v7, 0, 13
	v_lshrrev_b32_e32 v8, v7, v3
	v_lshlrev_b32_e32 v7, v7, v8
	v_cmp_ne_u32_e32 vcc, v7, v3
	v_add_u32_e32 v6, 0xfffffc10, v6
	v_lshl_or_b32 v7, v6, 12, v2
	v_cndmask_b32_e64 v3, 0, 1, vcc
	v_or_b32_e32 v3, v8, v3
	v_cmp_gt_i32_e32 vcc, 1, v6
	s_movk_i32 s12, 0x40f
	s_nop 0
	v_cndmask_b32_e32 v3, v7, v3, vcc
	v_and_b32_e32 v7, 7, v3
	v_cmp_lt_i32_e32 vcc, 5, v7
	v_lshrrev_b32_e32 v3, 2, v3
	s_nop 0
	v_cndmask_b32_e64 v8, 0, 1, vcc
	v_cmp_eq_u32_e32 vcc, 3, v7
	s_nop 1
	v_cndmask_b32_e64 v7, 0, 1, vcc
	v_or_b32_e32 v7, v7, v8
	v_add_u32_e32 v3, v3, v7
	v_mov_b32_e32 v7, 0x7c00
	v_cmp_gt_i32_e32 vcc, 31, v6
	v_mov_b32_e32 v8, 0x7e00
	s_nop 0
	v_cndmask_b32_e32 v3, v7, v3, vcc
	v_cmp_ne_u32_e32 vcc, 0, v2
	s_nop 1
	v_cndmask_b32_e32 v2, v7, v8, vcc
	v_cmp_eq_u32_e32 vcc, s12, v6
	s_mov_b32 s12, 0x8000
	s_nop 0
	v_cndmask_b32_e32 v2, v3, v2, vcc
	v_lshrrev_b32_e32 v3, 16, v1
	v_and_or_b32 v2, v3, s12, v2
	global_store_short v[4:5], v2, off
.LBB192_123:
	s_mov_b64 s[12:13], 0
.LBB192_124:
	s_andn2_b64 vcc, exec, s[12:13]
	s_cbranch_vccnz .LBB192_140
; %bb.125:
	s_cmp_lt_i32 s18, 2
	s_mov_b64 s[12:13], -1
	s_cbranch_scc1 .LBB192_135
; %bb.126:
	s_cmp_lt_i32 s18, 3
	s_cbranch_scc1 .LBB192_132
; %bb.127:
	s_cmp_gt_i32 s18, 3
	s_cbranch_scc0 .LBB192_129
; %bb.128:
	v_trunc_f64_e32 v[2:3], v[0:1]
	s_movk_i32 s12, 0xffe0
	v_ldexp_f64 v[6:7], v[2:3], s12
	v_floor_f64_e32 v[6:7], v[6:7]
	v_fmac_f64_e32 v[2:3], 0xc1f00000, v[6:7]
	v_cvt_i32_f64_e32 v9, v[6:7]
	v_cvt_u32_f64_e32 v8, v[2:3]
	global_store_dwordx2 v[4:5], v[8:9], off
	s_mov_b64 s[12:13], 0
.LBB192_129:
	s_andn2_b64 vcc, exec, s[12:13]
	s_cbranch_vccnz .LBB192_131
; %bb.130:
	v_cvt_i32_f64_e32 v2, v[0:1]
	global_store_dword v[4:5], v2, off
.LBB192_131:
	s_mov_b64 s[12:13], 0
.LBB192_132:
	s_andn2_b64 vcc, exec, s[12:13]
	s_cbranch_vccnz .LBB192_134
; %bb.133:
	v_cvt_i32_f64_e32 v2, v[0:1]
	global_store_short v[4:5], v2, off
.LBB192_134:
	s_mov_b64 s[12:13], 0
.LBB192_135:
	s_andn2_b64 vcc, exec, s[12:13]
	s_cbranch_vccnz .LBB192_140
; %bb.136:
	s_cmp_gt_i32 s18, 0
	s_mov_b64 s[12:13], -1
	s_cbranch_scc0 .LBB192_138
; %bb.137:
	v_cvt_i32_f64_e32 v2, v[0:1]
	global_store_byte v[4:5], v2, off
	s_mov_b64 s[12:13], 0
.LBB192_138:
	s_andn2_b64 vcc, exec, s[12:13]
	s_cbranch_vccnz .LBB192_140
; %bb.139:
	v_trunc_f64_e32 v[0:1], v[0:1]
	s_movk_i32 s12, 0xffe0
	v_ldexp_f64 v[2:3], v[0:1], s12
	v_floor_f64_e32 v[2:3], v[2:3]
	v_fmac_f64_e32 v[0:1], 0xc1f00000, v[2:3]
	v_cvt_u32_f64_e32 v0, v[0:1]
	global_store_byte v[4:5], v0, off
.LBB192_140:
	s_branch .LBB192_21
.LBB192_141:
	s_mov_b64 s[18:19], 0
                                        ; implicit-def: $vgpr10
	s_branch .LBB192_251
.LBB192_142:
	s_mov_b64 s[14:15], -1
                                        ; implicit-def: $vgpr2_vgpr3
.LBB192_143:
	s_mov_b64 s[12:13], 0
.LBB192_144:
	s_and_b64 vcc, exec, s[12:13]
	s_cbranch_vccz .LBB192_148
; %bb.145:
	s_cmp_eq_u32 s22, 29
	s_cbranch_scc0 .LBB192_147
; %bb.146:
	global_load_dwordx2 v[2:3], v[0:1], off
	s_mov_b64 s[0:1], -1
	s_mov_b64 s[14:15], 0
	s_mov_b64 s[12:13], 0
	s_waitcnt vmcnt(0)
	v_cvt_f64_u32_e32 v[4:5], v3
	v_cvt_f64_u32_e32 v[2:3], v2
	v_ldexp_f64 v[4:5], v[4:5], 32
	v_add_f64 v[2:3], v[4:5], v[2:3]
	s_branch .LBB192_149
.LBB192_147:
	s_mov_b64 s[14:15], -1
                                        ; implicit-def: $vgpr2_vgpr3
.LBB192_148:
	s_mov_b64 s[12:13], 0
.LBB192_149:
	s_and_b64 vcc, exec, s[12:13]
	s_cbranch_vccz .LBB192_169
; %bb.150:
	s_cmp_lt_i32 s22, 27
	s_cbranch_scc1 .LBB192_153
; %bb.151:
	s_cmp_gt_i32 s22, 27
	s_cbranch_scc0 .LBB192_154
; %bb.152:
	global_load_dword v2, v[0:1], off
	s_mov_b64 s[0:1], 0
	s_waitcnt vmcnt(0)
	v_cvt_f64_u32_e32 v[2:3], v2
	s_branch .LBB192_155
.LBB192_153:
	s_mov_b64 s[0:1], -1
                                        ; implicit-def: $vgpr2_vgpr3
	s_branch .LBB192_158
.LBB192_154:
	s_mov_b64 s[0:1], -1
                                        ; implicit-def: $vgpr2_vgpr3
.LBB192_155:
	s_andn2_b64 vcc, exec, s[0:1]
	s_cbranch_vccnz .LBB192_157
; %bb.156:
	global_load_ushort v2, v[0:1], off
	s_waitcnt vmcnt(0)
	v_cvt_f64_u32_e32 v[2:3], v2
.LBB192_157:
	s_mov_b64 s[0:1], 0
.LBB192_158:
	s_andn2_b64 vcc, exec, s[0:1]
	s_cbranch_vccnz .LBB192_168
; %bb.159:
	global_load_ubyte v4, v[0:1], off
	s_movk_i32 s0, 0x7f
	s_waitcnt vmcnt(0)
	v_cmp_lt_i16_e32 vcc, s0, v4
	s_mov_b64 s[0:1], 0
	s_and_saveexec_b64 s[12:13], vcc
	s_xor_b64 s[12:13], exec, s[12:13]
	s_cbranch_execz .LBB192_163
; %bb.160:
	s_movk_i32 s0, 0x80
	v_cmp_eq_u16_e32 vcc, s0, v4
	s_mov_b64 s[0:1], -1
	s_and_saveexec_b64 s[18:19], vcc
; %bb.161:
	s_xor_b64 s[0:1], exec, -1
; %bb.162:
	s_or_b64 exec, exec, s[18:19]
	s_and_b64 s[0:1], s[0:1], exec
.LBB192_163:
	s_or_saveexec_b64 s[12:13], s[12:13]
	v_bfrev_b32_e32 v2, 4
	v_mov_b32_e32 v3, 0x7ff80000
	s_xor_b64 exec, exec, s[12:13]
; %bb.164:
	v_cmp_ne_u16_e32 vcc, 0, v4
	s_andn2_b64 s[0:1], s[0:1], exec
	s_and_b64 s[18:19], vcc, exec
	v_mov_b64_e32 v[2:3], 0
	s_or_b64 s[0:1], s[0:1], s[18:19]
; %bb.165:
	s_or_b64 exec, exec, s[12:13]
	s_and_saveexec_b64 s[12:13], s[0:1]
	s_cbranch_execz .LBB192_167
; %bb.166:
	v_and_b32_e32 v3, 0xffff, v4
	v_lshlrev_b32_e32 v2, 24, v4
	v_and_b32_e32 v4, 7, v3
	v_ffbh_u32_e32 v6, v4
	v_min_u32_e32 v6, 32, v6
	v_subrev_u32_e32 v7, 28, v6
	v_bfe_u32 v5, v3, 3, 4
	v_lshlrev_b32_e32 v3, v7, v3
	v_sub_u32_e32 v6, 29, v6
	v_and_b32_e32 v3, 7, v3
	v_cmp_eq_u32_e32 vcc, 0, v5
	v_and_b32_e32 v2, 0x80000000, v2
	s_nop 0
	v_cndmask_b32_e32 v5, v5, v6, vcc
	v_cndmask_b32_e32 v3, v4, v3, vcc
	v_mov_b32_e32 v4, 0x3b800000
	v_lshlrev_b32_e32 v3, 20, v3
	v_lshl_add_u32 v4, v5, 23, v4
	v_or3_b32 v2, v2, v4, v3
	v_cvt_f64_f32_e32 v[2:3], v2
.LBB192_167:
	s_or_b64 exec, exec, s[12:13]
.LBB192_168:
	s_mov_b64 s[0:1], -1
.LBB192_169:
	s_branch .LBB192_202
.LBB192_170:
	s_cmp_gt_i32 s22, 22
	s_cbranch_scc0 .LBB192_182
; %bb.171:
	s_cmp_lt_i32 s22, 24
	s_cbranch_scc1 .LBB192_183
; %bb.172:
	s_cmp_gt_i32 s22, 24
	s_cbranch_scc0 .LBB192_184
; %bb.173:
	global_load_ubyte v4, v[0:1], off
	s_movk_i32 s0, 0x7f
	s_waitcnt vmcnt(0)
	v_cmp_lt_i16_e32 vcc, s0, v4
	s_mov_b64 s[0:1], 0
	s_and_saveexec_b64 s[12:13], vcc
	s_xor_b64 s[12:13], exec, s[12:13]
	s_cbranch_execz .LBB192_177
; %bb.174:
	s_movk_i32 s0, 0x80
	v_cmp_eq_u16_e32 vcc, s0, v4
	s_mov_b64 s[0:1], -1
	s_and_saveexec_b64 s[18:19], vcc
; %bb.175:
	s_xor_b64 s[0:1], exec, -1
; %bb.176:
	s_or_b64 exec, exec, s[18:19]
	s_and_b64 s[0:1], s[0:1], exec
.LBB192_177:
	s_or_saveexec_b64 s[12:13], s[12:13]
	v_bfrev_b32_e32 v2, 4
	v_mov_b32_e32 v3, 0x7ff80000
	s_xor_b64 exec, exec, s[12:13]
; %bb.178:
	v_cmp_ne_u16_e32 vcc, 0, v4
	s_andn2_b64 s[0:1], s[0:1], exec
	s_and_b64 s[18:19], vcc, exec
	v_mov_b64_e32 v[2:3], 0
	s_or_b64 s[0:1], s[0:1], s[18:19]
; %bb.179:
	s_or_b64 exec, exec, s[12:13]
	s_and_saveexec_b64 s[12:13], s[0:1]
	s_cbranch_execz .LBB192_181
; %bb.180:
	v_and_b32_e32 v3, 0xffff, v4
	v_lshlrev_b32_e32 v2, 24, v4
	v_and_b32_e32 v4, 3, v3
	v_ffbh_u32_e32 v6, v4
	v_min_u32_e32 v6, 32, v6
	v_subrev_u32_e32 v7, 29, v6
	v_bfe_u32 v5, v3, 2, 5
	v_lshlrev_b32_e32 v3, v7, v3
	v_sub_u32_e32 v6, 30, v6
	v_and_b32_e32 v3, 3, v3
	v_cmp_eq_u32_e32 vcc, 0, v5
	v_and_b32_e32 v2, 0x80000000, v2
	s_nop 0
	v_cndmask_b32_e32 v5, v5, v6, vcc
	v_cndmask_b32_e32 v3, v4, v3, vcc
	v_mov_b32_e32 v4, 0x37800000
	v_lshlrev_b32_e32 v3, 21, v3
	v_lshl_add_u32 v4, v5, 23, v4
	v_or3_b32 v2, v2, v4, v3
	v_cvt_f64_f32_e32 v[2:3], v2
.LBB192_181:
	s_or_b64 exec, exec, s[12:13]
	s_mov_b64 s[0:1], 0
	s_branch .LBB192_185
.LBB192_182:
	s_mov_b64 s[12:13], -1
                                        ; implicit-def: $vgpr2_vgpr3
	s_branch .LBB192_191
.LBB192_183:
	s_mov_b64 s[0:1], -1
                                        ; implicit-def: $vgpr2_vgpr3
	s_branch .LBB192_188
.LBB192_184:
	s_mov_b64 s[0:1], -1
                                        ; implicit-def: $vgpr2_vgpr3
.LBB192_185:
	s_and_b64 vcc, exec, s[0:1]
	s_cbranch_vccz .LBB192_187
; %bb.186:
	global_load_ubyte v2, v[0:1], off
	s_mov_b32 s0, 0x7f800000
	s_waitcnt vmcnt(0)
	v_lshlrev_b32_e32 v2, 24, v2
	v_and_b32_e32 v3, 0x7f000000, v2
	v_ffbh_u32_e32 v4, v3
	v_min_u32_e32 v4, 32, v4
	v_sub_u32_e64 v4, v4, 4 clamp
	v_lshlrev_b32_e32 v6, v4, v3
	v_lshlrev_b32_e32 v4, 23, v4
	v_lshrrev_b32_e32 v6, 4, v6
	v_add_u32_e32 v5, 0x1000000, v3
	v_sub_u32_e32 v4, v6, v4
	v_ashrrev_i32_e32 v5, 8, v5
	v_add_u32_e32 v4, 0x3c000000, v4
	v_and_or_b32 v4, v5, s0, v4
	v_cmp_ne_u32_e32 vcc, 0, v3
	s_brev_b32 s0, 1
	s_nop 0
	v_cndmask_b32_e32 v3, 0, v4, vcc
	v_and_or_b32 v2, v2, s0, v3
	v_cvt_f64_f32_e32 v[2:3], v2
.LBB192_187:
	s_mov_b64 s[0:1], 0
.LBB192_188:
	s_andn2_b64 vcc, exec, s[0:1]
	s_cbranch_vccnz .LBB192_190
; %bb.189:
	global_load_ubyte v2, v[0:1], off
	s_movk_i32 s0, 0x7f00
	s_brev_b32 s1, 16
	s_waitcnt vmcnt(0)
	v_lshlrev_b16_e32 v3, 8, v2
	v_lshlrev_b32_e32 v2, 25, v2
	v_lshrrev_b32_e32 v4, 4, v2
	v_and_or_b32 v5, v3, s0, 0.5
	v_or_b32_e32 v4, 0x70000000, v4
	v_add_f32_e32 v5, -0.5, v5
	v_mul_f32_e32 v4, 0x7800000, v4
	v_cmp_gt_u32_e32 vcc, s1, v2
	v_bfe_i32 v3, v3, 0, 16
	s_brev_b32 s0, 1
	v_cndmask_b32_e32 v2, v4, v5, vcc
	v_and_or_b32 v2, v3, s0, v2
	v_cvt_f64_f32_e32 v[2:3], v2
.LBB192_190:
	s_mov_b64 s[12:13], 0
	s_mov_b64 s[0:1], -1
.LBB192_191:
	s_andn2_b64 vcc, exec, s[12:13]
	s_cbranch_vccnz .LBB192_202
; %bb.192:
	s_cmp_gt_i32 s22, 14
	s_cbranch_scc0 .LBB192_195
; %bb.193:
	s_cmp_eq_u32 s22, 15
	s_cbranch_scc0 .LBB192_196
; %bb.194:
	global_load_ushort v2, v[0:1], off
	s_mov_b64 s[0:1], -1
	s_mov_b64 s[14:15], 0
	s_waitcnt vmcnt(0)
	v_lshlrev_b32_e32 v2, 16, v2
	v_cvt_f64_f32_e32 v[2:3], v2
	s_branch .LBB192_197
.LBB192_195:
	s_mov_b64 s[12:13], -1
                                        ; implicit-def: $vgpr2_vgpr3
	s_branch .LBB192_198
.LBB192_196:
	s_mov_b64 s[14:15], -1
                                        ; implicit-def: $vgpr2_vgpr3
.LBB192_197:
	s_mov_b64 s[12:13], 0
.LBB192_198:
	s_and_b64 vcc, exec, s[12:13]
	s_cbranch_vccz .LBB192_202
; %bb.199:
	s_cmp_eq_u32 s22, 11
	s_cbranch_scc0 .LBB192_201
; %bb.200:
	global_load_ubyte v3, v[0:1], off
	v_mov_b32_e32 v4, 0x3ff00000
	v_mov_b32_e32 v2, 0
	s_mov_b64 s[0:1], -1
	s_mov_b64 s[14:15], 0
	s_waitcnt vmcnt(0)
	v_cmp_ne_u16_e32 vcc, 0, v3
	s_nop 1
	v_cndmask_b32_e32 v3, 0, v4, vcc
	s_branch .LBB192_202
.LBB192_201:
	s_mov_b64 s[14:15], -1
                                        ; implicit-def: $vgpr2_vgpr3
.LBB192_202:
	s_branch .LBB192_10
.LBB192_203:
	s_cmp_lt_i32 s22, 5
	s_cbranch_scc1 .LBB192_208
; %bb.204:
	s_cmp_lt_i32 s22, 8
	s_cbranch_scc1 .LBB192_209
; %bb.205:
	;; [unrolled: 3-line block ×3, first 2 shown]
	s_cmp_gt_i32 s22, 9
	s_cbranch_scc0 .LBB192_211
; %bb.207:
	global_load_dwordx2 v[2:3], v[0:1], off
	s_mov_b64 s[0:1], 0
	s_branch .LBB192_212
.LBB192_208:
                                        ; implicit-def: $vgpr2_vgpr3
	s_branch .LBB192_230
.LBB192_209:
	s_mov_b64 s[0:1], -1
                                        ; implicit-def: $vgpr2_vgpr3
	s_branch .LBB192_218
.LBB192_210:
	s_mov_b64 s[0:1], -1
                                        ; implicit-def: $vgpr2_vgpr3
	s_branch .LBB192_215
.LBB192_211:
	s_mov_b64 s[0:1], -1
                                        ; implicit-def: $vgpr2_vgpr3
.LBB192_212:
	s_andn2_b64 vcc, exec, s[0:1]
	s_cbranch_vccnz .LBB192_214
; %bb.213:
	global_load_dword v2, v[0:1], off
	s_waitcnt vmcnt(0)
	v_cvt_f64_f32_e32 v[2:3], v2
.LBB192_214:
	s_mov_b64 s[0:1], 0
.LBB192_215:
	s_andn2_b64 vcc, exec, s[0:1]
	s_cbranch_vccnz .LBB192_217
; %bb.216:
	global_load_dword v2, v[0:1], off
	s_waitcnt vmcnt(0)
	v_cvt_f32_f16_e32 v2, v2
	v_cvt_f64_f32_e32 v[2:3], v2
.LBB192_217:
	s_mov_b64 s[0:1], 0
.LBB192_218:
	s_andn2_b64 vcc, exec, s[0:1]
	s_cbranch_vccnz .LBB192_229
; %bb.219:
	s_cmp_lt_i32 s22, 6
	s_cbranch_scc1 .LBB192_222
; %bb.220:
	s_cmp_gt_i32 s22, 6
	s_cbranch_scc0 .LBB192_223
; %bb.221:
	global_load_dwordx2 v[2:3], v[0:1], off
	s_mov_b64 s[0:1], 0
	s_branch .LBB192_224
.LBB192_222:
	s_mov_b64 s[0:1], -1
                                        ; implicit-def: $vgpr2_vgpr3
	s_branch .LBB192_227
.LBB192_223:
	s_mov_b64 s[0:1], -1
                                        ; implicit-def: $vgpr2_vgpr3
.LBB192_224:
	s_andn2_b64 vcc, exec, s[0:1]
	s_cbranch_vccnz .LBB192_226
; %bb.225:
	global_load_dword v2, v[0:1], off
	s_waitcnt vmcnt(0)
	v_cvt_f64_f32_e32 v[2:3], v2
.LBB192_226:
	s_mov_b64 s[0:1], 0
.LBB192_227:
	s_andn2_b64 vcc, exec, s[0:1]
	s_cbranch_vccnz .LBB192_229
; %bb.228:
	global_load_ushort v2, v[0:1], off
	s_waitcnt vmcnt(0)
	v_cvt_f32_f16_e32 v2, v2
	v_cvt_f64_f32_e32 v[2:3], v2
.LBB192_229:
	s_cbranch_execnz .LBB192_249
.LBB192_230:
	s_cmp_lt_i32 s22, 2
	s_cbranch_scc1 .LBB192_234
; %bb.231:
	s_cmp_lt_i32 s22, 3
	s_cbranch_scc1 .LBB192_235
; %bb.232:
	s_cmp_gt_i32 s22, 3
	s_cbranch_scc0 .LBB192_236
; %bb.233:
	global_load_dwordx2 v[2:3], v[0:1], off
	s_mov_b64 s[0:1], 0
	s_waitcnt vmcnt(0)
	v_cvt_f64_i32_e32 v[4:5], v3
	v_cvt_f64_u32_e32 v[2:3], v2
	v_ldexp_f64 v[4:5], v[4:5], 32
	v_add_f64 v[2:3], v[4:5], v[2:3]
	s_branch .LBB192_237
.LBB192_234:
	s_mov_b64 s[0:1], -1
                                        ; implicit-def: $vgpr2_vgpr3
	s_branch .LBB192_243
.LBB192_235:
	s_mov_b64 s[0:1], -1
                                        ; implicit-def: $vgpr2_vgpr3
	s_branch .LBB192_240
.LBB192_236:
	s_mov_b64 s[0:1], -1
                                        ; implicit-def: $vgpr2_vgpr3
.LBB192_237:
	s_andn2_b64 vcc, exec, s[0:1]
	s_cbranch_vccnz .LBB192_239
; %bb.238:
	global_load_dword v2, v[0:1], off
	s_waitcnt vmcnt(0)
	v_cvt_f64_i32_e32 v[2:3], v2
.LBB192_239:
	s_mov_b64 s[0:1], 0
.LBB192_240:
	s_andn2_b64 vcc, exec, s[0:1]
	s_cbranch_vccnz .LBB192_242
; %bb.241:
	global_load_sshort v2, v[0:1], off
	s_waitcnt vmcnt(0)
	v_cvt_f64_i32_e32 v[2:3], v2
.LBB192_242:
	s_mov_b64 s[0:1], 0
.LBB192_243:
	s_andn2_b64 vcc, exec, s[0:1]
	s_cbranch_vccnz .LBB192_249
; %bb.244:
	s_cmp_gt_i32 s22, 0
	s_cbranch_scc0 .LBB192_246
; %bb.245:
	global_load_sbyte v2, v[0:1], off
	s_mov_b64 s[0:1], 0
	s_waitcnt vmcnt(0)
	v_cvt_f64_i32_e32 v[2:3], v2
	s_branch .LBB192_247
.LBB192_246:
	s_mov_b64 s[0:1], -1
                                        ; implicit-def: $vgpr2_vgpr3
.LBB192_247:
	s_andn2_b64 vcc, exec, s[0:1]
	s_cbranch_vccnz .LBB192_249
; %bb.248:
	global_load_ubyte v0, v[0:1], off
	s_waitcnt vmcnt(0)
	v_cvt_f64_u32_e32 v[2:3], v0
.LBB192_249:
	s_branch .LBB192_11
.LBB192_250:
	s_mov_b64 s[0:1], 0
                                        ; implicit-def: $vgpr10
	s_mov_b64 s[18:19], 0
.LBB192_251:
	s_and_b64 s[12:13], s[0:1], exec
	s_and_b64 s[14:15], s[14:15], exec
	s_orn2_b64 s[18:19], s[18:19], exec
.LBB192_252:
	s_or_b64 exec, exec, s[16:17]
	s_mov_b64 s[22:23], 0
	s_mov_b64 s[0:1], 0
                                        ; implicit-def: $vgpr0_vgpr1
                                        ; implicit-def: $vgpr2_vgpr3
	s_and_saveexec_b64 s[16:17], s[18:19]
	s_cbranch_execz .LBB192_261
; %bb.253:
	v_cmp_gt_i32_e32 vcc, s38, v10
	s_mov_b64 s[0:1], -1
	s_mov_b64 s[18:19], s[14:15]
	s_mov_b64 s[20:21], s[12:13]
	s_and_saveexec_b64 s[22:23], vcc
	s_cbranch_execz .LBB192_513
; %bb.254:
	v_mul_lo_u32 v0, v10, s9
	v_ashrrev_i32_e32 v1, 31, v0
	s_and_b32 s26, 0xffff, s42
	s_cmp_lt_i32 s26, 11
	v_lshl_add_u64 v[0:1], s[6:7], 0, v[0:1]
	s_cbranch_scc1 .LBB192_264
; %bb.255:
	s_cmp_gt_i32 s26, 25
	s_cbranch_scc0 .LBB192_273
; %bb.256:
	s_cmp_gt_i32 s26, 28
	s_cbranch_scc0 .LBB192_275
	;; [unrolled: 3-line block ×4, first 2 shown]
; %bb.259:
	s_cmp_eq_u32 s26, 46
	s_mov_b64 s[20:21], 0
	s_cbranch_scc0 .LBB192_285
; %bb.260:
	global_load_dword v2, v[0:1], off
	s_mov_b64 s[18:19], 0
	s_waitcnt vmcnt(0)
	v_lshlrev_b32_e32 v2, 16, v2
	v_cvt_f64_f32_e32 v[2:3], v2
	s_branch .LBB192_286
.LBB192_261:
	s_or_b64 exec, exec, s[16:17]
	s_mov_b64 s[16:17], 0
	s_and_saveexec_b64 s[18:19], s[14:15]
	s_cbranch_execnz .LBB192_859
.LBB192_262:
	s_or_b64 exec, exec, s[18:19]
	s_and_saveexec_b64 s[14:15], s[20:21]
	s_xor_b64 s[14:15], exec, s[14:15]
	s_cbranch_execz .LBB192_860
.LBB192_263:
	global_load_ubyte v3, v[0:1], off
	v_mov_b32_e32 v4, 0x3ff00000
	s_waitcnt vmcnt(1)
	v_mov_b32_e32 v2, 0
	s_or_b64 s[0:1], s[0:1], exec
	s_waitcnt vmcnt(0)
	v_cmp_ne_u16_e32 vcc, 0, v3
	s_nop 1
	v_cndmask_b32_e32 v3, 0, v4, vcc
	s_or_b64 exec, exec, s[14:15]
	s_and_saveexec_b64 s[14:15], s[22:23]
	s_cbranch_execz .LBB192_906
	s_branch .LBB192_861
.LBB192_264:
	s_mov_b64 s[0:1], 0
                                        ; implicit-def: $vgpr2_vgpr3
	s_mov_b64 s[18:19], s[14:15]
	s_cbranch_execnz .LBB192_463
.LBB192_265:
	s_andn2_b64 vcc, exec, s[0:1]
	s_cbranch_vccnz .LBB192_511
.LBB192_266:
	s_waitcnt vmcnt(0)
	v_rsq_f64_e32 v[0:1], v[2:3]
	s_mov_b32 s0, 0
	s_mov_b32 s1, 0x3fd80000
	s_and_b32 s28, s33, 0xff
	v_mul_f64 v[2:3], v[0:1], -v[2:3]
	v_fma_f64 v[2:3], v[2:3], v[0:1], 1.0
	v_mul_f64 v[4:5], v[0:1], v[2:3]
	v_fma_f64 v[2:3], v[2:3], s[0:1], 0.5
	v_fma_f64 v[2:3], v[4:5], v[2:3], v[0:1]
	v_mov_b32_e32 v4, 0x180
	v_cmp_class_f64_e32 vcc, v[0:1], v4
	s_cmp_lt_i32 s28, 11
	s_nop 0
	v_cndmask_b32_e32 v0, v0, v2, vcc
	v_mul_lo_u32 v2, v10, s8
	v_cndmask_b32_e32 v1, v1, v3, vcc
	v_ashrrev_i32_e32 v3, 31, v2
	v_lshl_add_u64 v[4:5], s[4:5], 0, v[2:3]
	s_cbranch_scc1 .LBB192_274
; %bb.267:
	s_and_b32 s29, 0xffff, s28
	s_cmp_gt_i32 s29, 25
	s_cbranch_scc0 .LBB192_276
; %bb.268:
	s_cmp_gt_i32 s29, 28
	s_cbranch_scc0 .LBB192_278
; %bb.269:
	;; [unrolled: 3-line block ×4, first 2 shown]
	s_mov_b64 s[24:25], 0
	s_mov_b64 s[0:1], -1
	s_cmp_eq_u32 s29, 46
	s_mov_b64 s[20:21], 0
	s_cbranch_scc0 .LBB192_290
; %bb.272:
	v_cvt_f32_f64_e32 v2, v[0:1]
	v_bfe_u32 v3, v2, 16, 1
	s_movk_i32 s0, 0x7fff
	v_add3_u32 v3, v2, v3, s0
	v_cmp_o_f32_e32 vcc, v2, v2
	v_mov_b32_e32 v2, 0x7fc0
	s_mov_b64 s[20:21], -1
	v_cndmask_b32_sdwa v2, v2, v3, vcc dst_sel:DWORD dst_unused:UNUSED_PAD src0_sel:DWORD src1_sel:WORD_1
	global_store_dword v[4:5], v2, off
	s_mov_b64 s[0:1], 0
	s_branch .LBB192_290
.LBB192_273:
	s_mov_b64 s[20:21], -1
	s_mov_b64 s[0:1], 0
	s_mov_b64 s[18:19], s[14:15]
                                        ; implicit-def: $vgpr2_vgpr3
	s_branch .LBB192_429
.LBB192_274:
	s_mov_b64 s[24:25], -1
	s_mov_b64 s[20:21], 0
	s_mov_b64 s[0:1], s[12:13]
	s_branch .LBB192_359
.LBB192_275:
	s_mov_b64 s[20:21], -1
	s_mov_b64 s[0:1], 0
	s_mov_b64 s[18:19], s[14:15]
                                        ; implicit-def: $vgpr2_vgpr3
	s_branch .LBB192_408
.LBB192_276:
	s_mov_b64 s[24:25], -1
	s_mov_b64 s[20:21], 0
	s_mov_b64 s[0:1], s[12:13]
	s_branch .LBB192_317
.LBB192_277:
	s_mov_b64 s[20:21], -1
	s_mov_b64 s[0:1], 0
	s_mov_b64 s[18:19], s[14:15]
                                        ; implicit-def: $vgpr2_vgpr3
	s_branch .LBB192_403
.LBB192_278:
	s_mov_b64 s[24:25], -1
	s_mov_b64 s[20:21], 0
	s_mov_b64 s[0:1], s[12:13]
	s_branch .LBB192_300
.LBB192_279:
	s_andn2_saveexec_b64 s[22:23], s[22:23]
	s_cbranch_execz .LBB192_55
.LBB192_280:
	s_mov_b32 s26, 0x46000000
	v_add_f32_e64 v3, |v2|, s26
	v_and_b32_e32 v3, 0xff, v3
	v_cmp_ne_u32_e32 vcc, 0, v3
	s_andn2_b64 s[18:19], s[18:19], exec
	s_and_b64 s[26:27], vcc, exec
	s_or_b64 s[18:19], s[18:19], s[26:27]
	s_or_b64 exec, exec, s[22:23]
	v_mov_b32_e32 v6, 0
	s_and_saveexec_b64 s[22:23], s[18:19]
	s_cbranch_execnz .LBB192_56
	s_branch .LBB192_57
.LBB192_281:
	s_mov_b64 s[20:21], -1
	s_mov_b64 s[0:1], 0
	s_mov_b64 s[18:19], s[14:15]
                                        ; implicit-def: $vgpr2_vgpr3
	s_branch .LBB192_286
.LBB192_282:
	s_mov_b64 s[24:25], -1
	s_mov_b64 s[20:21], 0
	s_mov_b64 s[0:1], s[12:13]
	s_branch .LBB192_296
.LBB192_283:
	s_andn2_saveexec_b64 s[22:23], s[22:23]
	s_cbranch_execz .LBB192_68
.LBB192_284:
	s_mov_b32 s26, 0x42800000
	v_add_f32_e64 v3, |v2|, s26
	v_and_b32_e32 v3, 0xff, v3
	v_cmp_ne_u32_e32 vcc, 0, v3
	s_andn2_b64 s[18:19], s[18:19], exec
	s_and_b64 s[26:27], vcc, exec
	s_or_b64 s[18:19], s[18:19], s[26:27]
	s_or_b64 exec, exec, s[22:23]
	v_mov_b32_e32 v6, 0
	s_and_saveexec_b64 s[22:23], s[18:19]
	s_cbranch_execnz .LBB192_69
	s_branch .LBB192_70
.LBB192_285:
	s_mov_b64 s[18:19], -1
                                        ; implicit-def: $vgpr2_vgpr3
	s_mov_b64 s[0:1], 0
.LBB192_286:
	s_and_b64 vcc, exec, s[20:21]
	s_cbranch_vccz .LBB192_402
; %bb.287:
	s_cmp_eq_u32 s26, 44
	s_cbranch_scc0 .LBB192_401
; %bb.288:
	global_load_ubyte v4, v[0:1], off
	s_movk_i32 s18, 0xff
	v_bfrev_b32_e32 v5, 4
	v_mov_b32_e32 v6, 0x7ff80000
	v_bfrev_b32_e32 v7, 28
	s_mov_b64 s[0:1], -1
	s_waitcnt vmcnt(0)
	v_lshlrev_b32_e32 v2, 23, v4
	v_cvt_f64_f32_e32 v[2:3], v2
	v_cmp_ne_u32_e32 vcc, s18, v4
	s_mov_b64 s[18:19], 0
	s_nop 0
	v_cndmask_b32_e32 v2, v5, v2, vcc
	v_cndmask_b32_e32 v3, v6, v3, vcc
	v_cmp_ne_u32_e32 vcc, 0, v4
	s_nop 1
	v_cndmask_b32_e32 v3, v7, v3, vcc
	v_cndmask_b32_e32 v2, 0, v2, vcc
	s_branch .LBB192_402
.LBB192_289:
	s_mov_b64 s[24:25], -1
	s_mov_b64 s[20:21], 0
	s_mov_b64 s[0:1], s[12:13]
.LBB192_290:
	s_and_b64 vcc, exec, s[24:25]
	s_cbranch_vccz .LBB192_295
; %bb.291:
	s_cmp_eq_u32 s29, 44
	s_mov_b64 s[0:1], -1
	s_cbranch_scc0 .LBB192_295
; %bb.292:
	v_cvt_f32_f64_e32 v2, v[0:1]
	v_bfe_u32 v3, v2, 23, 8
	s_movk_i32 s0, 0xff
	v_cmp_ne_u32_e32 vcc, s0, v3
	v_mov_b32_e32 v6, 0xff
	s_and_saveexec_b64 s[20:21], vcc
; %bb.293:
	s_mov_b32 s0, 0x3fffff
	v_lshrrev_b32_e32 v6, 23, v2
	v_and_b32_e32 v7, 0x400000, v2
	v_and_or_b32 v2, v2, s0, v3
	v_cmp_ne_u32_e32 vcc, 0, v7
	v_cmp_ne_u32_e64 s[0:1], 0, v2
	s_and_b64 s[0:1], vcc, s[0:1]
	s_nop 0
	v_cndmask_b32_e64 v2, 0, 1, s[0:1]
	v_add_u32_e32 v6, v6, v2
; %bb.294:
	s_or_b64 exec, exec, s[20:21]
	s_mov_b64 s[20:21], -1
	s_mov_b64 s[0:1], 0
	global_store_byte v[4:5], v6, off
.LBB192_295:
	s_mov_b64 s[24:25], 0
.LBB192_296:
	s_and_b64 vcc, exec, s[24:25]
	s_cbranch_vccz .LBB192_299
; %bb.297:
	s_cmp_eq_u32 s29, 29
	s_mov_b64 s[0:1], -1
	s_cbranch_scc0 .LBB192_299
; %bb.298:
	v_trunc_f64_e32 v[2:3], v[0:1]
	s_movk_i32 s0, 0xffe0
	v_ldexp_f64 v[6:7], v[2:3], s0
	v_floor_f64_e32 v[6:7], v[6:7]
	v_fmac_f64_e32 v[2:3], 0xc1f00000, v[6:7]
	v_cvt_u32_f64_e32 v9, v[6:7]
	v_cvt_u32_f64_e32 v8, v[2:3]
	global_store_dwordx2 v[4:5], v[8:9], off
	s_mov_b64 s[20:21], -1
	s_mov_b64 s[0:1], 0
.LBB192_299:
	s_mov_b64 s[24:25], 0
.LBB192_300:
	s_and_b64 vcc, exec, s[24:25]
	s_cbranch_vccz .LBB192_316
; %bb.301:
	s_cmp_lt_i32 s29, 27
	s_mov_b64 s[20:21], -1
	s_cbranch_scc1 .LBB192_307
; %bb.302:
	s_cmp_gt_i32 s29, 27
	v_cvt_u32_f64_e32 v2, v[0:1]
	s_cbranch_scc0 .LBB192_304
; %bb.303:
	s_mov_b64 s[20:21], 0
	global_store_dword v[4:5], v2, off
.LBB192_304:
	s_andn2_b64 vcc, exec, s[20:21]
	s_cbranch_vccnz .LBB192_306
; %bb.305:
	global_store_short v[4:5], v2, off
.LBB192_306:
	s_mov_b64 s[20:21], 0
.LBB192_307:
	s_andn2_b64 vcc, exec, s[20:21]
	s_cbranch_vccnz .LBB192_315
; %bb.308:
	v_cvt_f32_f64_e32 v2, v[0:1]
	v_and_b32_e32 v3, 0x7fffffff, v2
	s_mov_b32 s20, 0x43800000
	v_cmp_gt_u32_e32 vcc, s20, v3
	v_mov_b32_e32 v6, 0x80
	s_and_saveexec_b64 s[20:21], vcc
	s_cbranch_execz .LBB192_314
; %bb.309:
	s_mov_b32 s24, 0x3bffffff
	v_cmp_lt_u32_e32 vcc, s24, v3
	s_mov_b64 s[24:25], 0
                                        ; implicit-def: $vgpr3
	s_and_saveexec_b64 s[26:27], vcc
	s_xor_b64 s[26:27], exec, s[26:27]
	s_cbranch_execz .LBB192_526
; %bb.310:
	v_bfe_u32 v3, v2, 20, 1
	s_mov_b32 s30, 0x487ffff
	v_add3_u32 v3, v2, v3, s30
	s_mov_b64 s[24:25], exec
	v_lshrrev_b32_e32 v3, 20, v3
	s_andn2_saveexec_b64 s[26:27], s[26:27]
	s_cbranch_execnz .LBB192_527
.LBB192_311:
	s_or_b64 exec, exec, s[26:27]
	v_mov_b32_e32 v6, 0
	s_and_saveexec_b64 s[26:27], s[24:25]
.LBB192_312:
	v_lshrrev_b32_e32 v2, 24, v2
	s_movk_i32 s24, 0x80
	v_and_or_b32 v6, v2, s24, v3
.LBB192_313:
	s_or_b64 exec, exec, s[26:27]
.LBB192_314:
	s_or_b64 exec, exec, s[20:21]
	global_store_byte v[4:5], v6, off
.LBB192_315:
	s_mov_b64 s[20:21], -1
.LBB192_316:
	s_mov_b64 s[24:25], 0
.LBB192_317:
	s_and_b64 vcc, exec, s[24:25]
	s_cbranch_vccz .LBB192_358
; %bb.318:
	s_cmp_gt_i32 s29, 22
	s_mov_b64 s[24:25], -1
	s_cbranch_scc0 .LBB192_350
; %bb.319:
	s_cmp_lt_i32 s29, 24
	s_mov_b64 s[20:21], -1
	s_cbranch_scc1 .LBB192_339
; %bb.320:
	s_cmp_gt_i32 s29, 24
	s_cbranch_scc0 .LBB192_328
; %bb.321:
	v_cvt_f32_f64_e32 v2, v[0:1]
	v_and_b32_e32 v3, 0x7fffffff, v2
	s_mov_b32 s20, 0x47800000
	v_cmp_gt_u32_e32 vcc, s20, v3
	v_mov_b32_e32 v6, 0x80
	s_and_saveexec_b64 s[20:21], vcc
	s_cbranch_execz .LBB192_327
; %bb.322:
	s_mov_b32 s24, 0x37ffffff
	v_cmp_lt_u32_e32 vcc, s24, v3
	s_mov_b64 s[24:25], 0
                                        ; implicit-def: $vgpr3
	s_and_saveexec_b64 s[26:27], vcc
	s_xor_b64 s[26:27], exec, s[26:27]
	s_cbranch_execz .LBB192_529
; %bb.323:
	v_bfe_u32 v3, v2, 21, 1
	s_mov_b32 s30, 0x88fffff
	v_add3_u32 v3, v2, v3, s30
	s_mov_b64 s[24:25], exec
	v_lshrrev_b32_e32 v3, 21, v3
	s_andn2_saveexec_b64 s[26:27], s[26:27]
	s_cbranch_execnz .LBB192_530
.LBB192_324:
	s_or_b64 exec, exec, s[26:27]
	v_mov_b32_e32 v6, 0
	s_and_saveexec_b64 s[26:27], s[24:25]
.LBB192_325:
	v_lshrrev_b32_e32 v2, 24, v2
	s_movk_i32 s24, 0x80
	v_and_or_b32 v6, v2, s24, v3
.LBB192_326:
	s_or_b64 exec, exec, s[26:27]
.LBB192_327:
	s_or_b64 exec, exec, s[20:21]
	s_mov_b64 s[20:21], 0
	global_store_byte v[4:5], v6, off
.LBB192_328:
	s_and_b64 vcc, exec, s[20:21]
	s_cbranch_vccz .LBB192_338
; %bb.329:
	v_cvt_f32_f64_e32 v2, v[0:1]
	v_and_b32_e32 v6, 0x7fffffff, v2
	s_mov_b32 s20, 0x43f00000
	v_cmp_gt_u32_e32 vcc, s20, v6
                                        ; implicit-def: $vgpr3
	s_and_saveexec_b64 s[20:21], vcc
	s_xor_b64 s[20:21], exec, s[20:21]
	s_cbranch_execz .LBB192_335
; %bb.330:
	s_mov_b32 s24, 0x3c7fffff
	v_cmp_lt_u32_e32 vcc, s24, v6
                                        ; implicit-def: $vgpr3
	s_and_saveexec_b64 s[24:25], vcc
	s_xor_b64 s[24:25], exec, s[24:25]
; %bb.331:
	v_bfe_u32 v3, v2, 20, 1
	s_mov_b32 s26, 0x407ffff
	v_add3_u32 v3, v2, v3, s26
	v_lshrrev_b32_e32 v6, 20, v3
	v_and_b32_e32 v3, 0xff00000, v3
	s_mov_b32 s26, 0x7f00000
	v_mov_b32_e32 v7, 0x7e
	v_cmp_ne_u32_e32 vcc, s26, v3
	s_nop 1
	v_cndmask_b32_e32 v3, v7, v6, vcc
; %bb.332:
	s_andn2_saveexec_b64 s[24:25], s[24:25]
; %bb.333:
	s_mov_b32 s26, 0x46800000
	v_add_f32_e64 v3, |v2|, s26
; %bb.334:
	s_or_b64 exec, exec, s[24:25]
                                        ; implicit-def: $vgpr6
.LBB192_335:
	s_andn2_saveexec_b64 s[20:21], s[20:21]
; %bb.336:
	s_mov_b32 s24, 0x7f800000
	v_mov_b32_e32 v3, 0x7e
	v_mov_b32_e32 v7, 0x7f
	v_cmp_lt_u32_e32 vcc, s24, v6
	s_nop 1
	v_cndmask_b32_e32 v3, v3, v7, vcc
; %bb.337:
	s_or_b64 exec, exec, s[20:21]
	v_lshrrev_b32_e32 v2, 24, v2
	s_movk_i32 s20, 0x80
	v_and_or_b32 v2, v2, s20, v3
	global_store_byte v[4:5], v2, off
.LBB192_338:
	s_mov_b64 s[20:21], 0
.LBB192_339:
	s_andn2_b64 vcc, exec, s[20:21]
	s_cbranch_vccnz .LBB192_349
; %bb.340:
	v_cvt_f32_f64_e32 v2, v[0:1]
	v_and_b32_e32 v6, 0x7fffffff, v2
	s_mov_b32 s20, 0x47800000
	v_cmp_gt_u32_e32 vcc, s20, v6
                                        ; implicit-def: $vgpr3
	s_and_saveexec_b64 s[20:21], vcc
	s_xor_b64 s[20:21], exec, s[20:21]
	s_cbranch_execz .LBB192_346
; %bb.341:
	s_mov_b32 s24, 0x387fffff
	v_cmp_lt_u32_e32 vcc, s24, v6
                                        ; implicit-def: $vgpr3
	s_and_saveexec_b64 s[24:25], vcc
	s_xor_b64 s[24:25], exec, s[24:25]
; %bb.342:
	v_bfe_u32 v3, v2, 21, 1
	s_mov_b32 s26, 0x80fffff
	v_add3_u32 v3, v2, v3, s26
	v_lshrrev_b32_e32 v3, 21, v3
; %bb.343:
	s_andn2_saveexec_b64 s[24:25], s[24:25]
; %bb.344:
	s_mov_b32 s26, 0x43000000
	v_add_f32_e64 v3, |v2|, s26
; %bb.345:
	s_or_b64 exec, exec, s[24:25]
                                        ; implicit-def: $vgpr6
.LBB192_346:
	s_andn2_saveexec_b64 s[20:21], s[20:21]
; %bb.347:
	s_mov_b32 s24, 0x7f800000
	v_mov_b32_e32 v3, 0x7c
	v_mov_b32_e32 v7, 0x7f
	v_cmp_lt_u32_e32 vcc, s24, v6
	s_nop 1
	v_cndmask_b32_e32 v3, v3, v7, vcc
; %bb.348:
	s_or_b64 exec, exec, s[20:21]
	v_lshrrev_b32_e32 v2, 24, v2
	s_movk_i32 s20, 0x80
	v_and_or_b32 v2, v2, s20, v3
	global_store_byte v[4:5], v2, off
.LBB192_349:
	s_mov_b64 s[24:25], 0
	s_mov_b64 s[20:21], -1
.LBB192_350:
	s_andn2_b64 vcc, exec, s[24:25]
	s_cbranch_vccnz .LBB192_358
; %bb.351:
	s_cmp_gt_i32 s29, 14
	s_mov_b64 s[24:25], -1
	s_cbranch_scc0 .LBB192_355
; %bb.352:
	s_cmp_eq_u32 s29, 15
	s_mov_b64 s[0:1], -1
	s_cbranch_scc0 .LBB192_354
; %bb.353:
	v_cvt_f32_f64_e32 v2, v[0:1]
	v_bfe_u32 v3, v2, 16, 1
	s_movk_i32 s0, 0x7fff
	v_add3_u32 v3, v2, v3, s0
	v_cmp_o_f32_e32 vcc, v2, v2
	v_mov_b32_e32 v2, 0x7fc0
	s_mov_b64 s[20:21], -1
	v_cndmask_b32_sdwa v2, v2, v3, vcc dst_sel:DWORD dst_unused:UNUSED_PAD src0_sel:DWORD src1_sel:WORD_1
	global_store_short v[4:5], v2, off
	s_mov_b64 s[0:1], 0
.LBB192_354:
	s_mov_b64 s[24:25], 0
.LBB192_355:
	s_and_b64 vcc, exec, s[24:25]
	s_cbranch_vccz .LBB192_358
; %bb.356:
	s_cmp_eq_u32 s29, 11
	s_mov_b64 s[0:1], -1
	s_cbranch_scc0 .LBB192_358
; %bb.357:
	v_cmp_neq_f64_e32 vcc, 0, v[0:1]
	s_mov_b64 s[0:1], 0
	s_mov_b64 s[20:21], -1
	v_cndmask_b32_e64 v2, 0, 1, vcc
	global_store_byte v[4:5], v2, off
.LBB192_358:
	s_mov_b64 s[24:25], 0
.LBB192_359:
	s_and_b64 vcc, exec, s[24:25]
	s_cbranch_vccz .LBB192_398
; %bb.360:
	s_and_b32 s24, 0xffff, s28
	s_cmp_lt_i32 s24, 5
	s_mov_b64 s[20:21], -1
	s_cbranch_scc1 .LBB192_381
; %bb.361:
	s_cmp_lt_i32 s24, 8
	s_cbranch_scc1 .LBB192_371
; %bb.362:
	s_cmp_lt_i32 s24, 9
	s_cbranch_scc1 .LBB192_368
; %bb.363:
	s_cmp_gt_i32 s24, 9
	s_cbranch_scc0 .LBB192_365
; %bb.364:
	v_mov_b32_e32 v2, 0
	v_mov_b32_e32 v3, v2
	s_mov_b64 s[20:21], 0
	global_store_dwordx4 v[4:5], v[0:3], off
.LBB192_365:
	s_andn2_b64 vcc, exec, s[20:21]
	s_cbranch_vccnz .LBB192_367
; %bb.366:
	v_cvt_f32_f64_e32 v2, v[0:1]
	v_mov_b32_e32 v3, 0
	global_store_dwordx2 v[4:5], v[2:3], off
.LBB192_367:
	s_mov_b64 s[20:21], 0
.LBB192_368:
	s_andn2_b64 vcc, exec, s[20:21]
	s_cbranch_vccnz .LBB192_370
; %bb.369:
	s_movk_i32 s20, 0x1ff
	v_and_or_b32 v2, v1, s20, v0
	v_cmp_ne_u32_e32 vcc, 0, v2
	v_lshrrev_b32_e32 v3, 8, v1
	s_movk_i32 s20, 0xffe
	v_cndmask_b32_e64 v2, 0, 1, vcc
	v_bfe_u32 v6, v1, 20, 11
	v_and_or_b32 v2, v3, s20, v2
	v_sub_u32_e32 v7, 0x3f1, v6
	v_or_b32_e32 v3, 0x1000, v2
	v_med3_i32 v7, v7, 0, 13
	v_lshrrev_b32_e32 v8, v7, v3
	v_lshlrev_b32_e32 v7, v7, v8
	v_cmp_ne_u32_e32 vcc, v7, v3
	v_add_u32_e32 v6, 0xfffffc10, v6
	v_lshl_or_b32 v7, v6, 12, v2
	v_cndmask_b32_e64 v3, 0, 1, vcc
	v_or_b32_e32 v3, v8, v3
	v_cmp_gt_i32_e32 vcc, 1, v6
	s_movk_i32 s20, 0x40f
	s_nop 0
	v_cndmask_b32_e32 v3, v7, v3, vcc
	v_and_b32_e32 v7, 7, v3
	v_cmp_lt_i32_e32 vcc, 5, v7
	v_lshrrev_b32_e32 v3, 2, v3
	s_nop 0
	v_cndmask_b32_e64 v8, 0, 1, vcc
	v_cmp_eq_u32_e32 vcc, 3, v7
	s_nop 1
	v_cndmask_b32_e64 v7, 0, 1, vcc
	v_or_b32_e32 v7, v7, v8
	v_add_u32_e32 v3, v3, v7
	v_mov_b32_e32 v7, 0x7c00
	v_cmp_gt_i32_e32 vcc, 31, v6
	v_mov_b32_e32 v8, 0x7e00
	s_nop 0
	v_cndmask_b32_e32 v3, v7, v3, vcc
	v_cmp_ne_u32_e32 vcc, 0, v2
	s_nop 1
	v_cndmask_b32_e32 v2, v7, v8, vcc
	v_cmp_eq_u32_e32 vcc, s20, v6
	s_mov_b32 s20, 0x8000
	s_nop 0
	v_cndmask_b32_e32 v2, v3, v2, vcc
	v_and_b32_sdwa v3, v1, s20 dst_sel:DWORD dst_unused:UNUSED_PAD src0_sel:WORD_1 src1_sel:DWORD
	s_mov_b32 s20, 0xffff
	v_bitop3_b32 v2, v3, s20, v2 bitop3:0xc8
	global_store_dword v[4:5], v2, off
.LBB192_370:
	s_mov_b64 s[20:21], 0
.LBB192_371:
	s_andn2_b64 vcc, exec, s[20:21]
	s_cbranch_vccnz .LBB192_380
; %bb.372:
	s_cmp_lt_i32 s24, 6
	s_mov_b64 s[20:21], -1
	s_cbranch_scc1 .LBB192_378
; %bb.373:
	s_cmp_gt_i32 s24, 6
	s_cbranch_scc0 .LBB192_375
; %bb.374:
	s_mov_b64 s[20:21], 0
	global_store_dwordx2 v[4:5], v[0:1], off
.LBB192_375:
	s_andn2_b64 vcc, exec, s[20:21]
	s_cbranch_vccnz .LBB192_377
; %bb.376:
	v_cvt_f32_f64_e32 v2, v[0:1]
	global_store_dword v[4:5], v2, off
.LBB192_377:
	s_mov_b64 s[20:21], 0
.LBB192_378:
	s_andn2_b64 vcc, exec, s[20:21]
	s_cbranch_vccnz .LBB192_380
; %bb.379:
	s_movk_i32 s20, 0x1ff
	v_and_or_b32 v2, v1, s20, v0
	v_cmp_ne_u32_e32 vcc, 0, v2
	v_lshrrev_b32_e32 v3, 8, v1
	s_movk_i32 s20, 0xffe
	v_cndmask_b32_e64 v2, 0, 1, vcc
	v_bfe_u32 v6, v1, 20, 11
	v_and_or_b32 v2, v3, s20, v2
	v_sub_u32_e32 v7, 0x3f1, v6
	v_or_b32_e32 v3, 0x1000, v2
	v_med3_i32 v7, v7, 0, 13
	v_lshrrev_b32_e32 v8, v7, v3
	v_lshlrev_b32_e32 v7, v7, v8
	v_cmp_ne_u32_e32 vcc, v7, v3
	v_add_u32_e32 v6, 0xfffffc10, v6
	v_lshl_or_b32 v7, v6, 12, v2
	v_cndmask_b32_e64 v3, 0, 1, vcc
	v_or_b32_e32 v3, v8, v3
	v_cmp_gt_i32_e32 vcc, 1, v6
	s_movk_i32 s20, 0x40f
	s_nop 0
	v_cndmask_b32_e32 v3, v7, v3, vcc
	v_and_b32_e32 v7, 7, v3
	v_cmp_lt_i32_e32 vcc, 5, v7
	v_lshrrev_b32_e32 v3, 2, v3
	s_nop 0
	v_cndmask_b32_e64 v8, 0, 1, vcc
	v_cmp_eq_u32_e32 vcc, 3, v7
	s_nop 1
	v_cndmask_b32_e64 v7, 0, 1, vcc
	v_or_b32_e32 v7, v7, v8
	v_add_u32_e32 v3, v3, v7
	v_mov_b32_e32 v7, 0x7c00
	v_cmp_gt_i32_e32 vcc, 31, v6
	v_mov_b32_e32 v8, 0x7e00
	s_nop 0
	v_cndmask_b32_e32 v3, v7, v3, vcc
	v_cmp_ne_u32_e32 vcc, 0, v2
	s_nop 1
	v_cndmask_b32_e32 v2, v7, v8, vcc
	v_cmp_eq_u32_e32 vcc, s20, v6
	s_mov_b32 s20, 0x8000
	s_nop 0
	v_cndmask_b32_e32 v2, v3, v2, vcc
	v_lshrrev_b32_e32 v3, 16, v1
	v_and_or_b32 v2, v3, s20, v2
	global_store_short v[4:5], v2, off
.LBB192_380:
	s_mov_b64 s[20:21], 0
.LBB192_381:
	s_andn2_b64 vcc, exec, s[20:21]
	s_cbranch_vccnz .LBB192_397
; %bb.382:
	s_cmp_lt_i32 s24, 2
	s_mov_b64 s[20:21], -1
	s_cbranch_scc1 .LBB192_392
; %bb.383:
	s_cmp_lt_i32 s24, 3
	s_cbranch_scc1 .LBB192_389
; %bb.384:
	s_cmp_gt_i32 s24, 3
	s_cbranch_scc0 .LBB192_386
; %bb.385:
	v_trunc_f64_e32 v[2:3], v[0:1]
	s_movk_i32 s20, 0xffe0
	v_ldexp_f64 v[6:7], v[2:3], s20
	v_floor_f64_e32 v[6:7], v[6:7]
	v_fmac_f64_e32 v[2:3], 0xc1f00000, v[6:7]
	v_cvt_i32_f64_e32 v9, v[6:7]
	v_cvt_u32_f64_e32 v8, v[2:3]
	s_mov_b64 s[20:21], 0
	global_store_dwordx2 v[4:5], v[8:9], off
.LBB192_386:
	s_andn2_b64 vcc, exec, s[20:21]
	s_cbranch_vccnz .LBB192_388
; %bb.387:
	v_cvt_i32_f64_e32 v2, v[0:1]
	global_store_dword v[4:5], v2, off
.LBB192_388:
	s_mov_b64 s[20:21], 0
.LBB192_389:
	s_andn2_b64 vcc, exec, s[20:21]
	s_cbranch_vccnz .LBB192_391
; %bb.390:
	v_cvt_i32_f64_e32 v2, v[0:1]
	global_store_short v[4:5], v2, off
.LBB192_391:
	s_mov_b64 s[20:21], 0
.LBB192_392:
	s_andn2_b64 vcc, exec, s[20:21]
	s_cbranch_vccnz .LBB192_397
; %bb.393:
	s_cmp_gt_i32 s24, 0
	s_mov_b64 s[20:21], -1
	s_cbranch_scc0 .LBB192_395
; %bb.394:
	v_cvt_i32_f64_e32 v2, v[0:1]
	s_mov_b64 s[20:21], 0
	global_store_byte v[4:5], v2, off
.LBB192_395:
	s_andn2_b64 vcc, exec, s[20:21]
	s_cbranch_vccnz .LBB192_397
; %bb.396:
	v_trunc_f64_e32 v[0:1], v[0:1]
	s_movk_i32 s20, 0xffe0
	v_ldexp_f64 v[2:3], v[0:1], s20
	v_floor_f64_e32 v[2:3], v[2:3]
	v_fmac_f64_e32 v[0:1], 0xc1f00000, v[2:3]
	v_cvt_u32_f64_e32 v0, v[0:1]
	global_store_byte v[4:5], v0, off
.LBB192_397:
	s_mov_b64 s[20:21], -1
.LBB192_398:
	s_andn2_b64 vcc, exec, s[20:21]
	s_cbranch_vccnz .LBB192_400
; %bb.399:
	v_add_u32_e32 v10, 0x80, v10
	s_mov_b64 s[24:25], -1
	s_branch .LBB192_512
.LBB192_400:
	s_mov_b64 s[24:25], 0
                                        ; implicit-def: $vgpr10
	s_branch .LBB192_512
.LBB192_401:
	s_mov_b64 s[18:19], -1
                                        ; implicit-def: $vgpr2_vgpr3
.LBB192_402:
	s_mov_b64 s[20:21], 0
.LBB192_403:
	s_and_b64 vcc, exec, s[20:21]
	s_cbranch_vccz .LBB192_407
; %bb.404:
	s_cmp_eq_u32 s26, 29
	s_cbranch_scc0 .LBB192_406
; %bb.405:
	global_load_dwordx2 v[2:3], v[0:1], off
	s_mov_b64 s[0:1], -1
	s_mov_b64 s[18:19], 0
	s_mov_b64 s[20:21], 0
	s_waitcnt vmcnt(0)
	v_cvt_f64_u32_e32 v[4:5], v3
	v_cvt_f64_u32_e32 v[2:3], v2
	v_ldexp_f64 v[4:5], v[4:5], 32
	v_add_f64 v[2:3], v[4:5], v[2:3]
	s_branch .LBB192_408
.LBB192_406:
	s_mov_b64 s[18:19], -1
                                        ; implicit-def: $vgpr2_vgpr3
.LBB192_407:
	s_mov_b64 s[20:21], 0
.LBB192_408:
	s_and_b64 vcc, exec, s[20:21]
	s_cbranch_vccz .LBB192_428
; %bb.409:
	s_cmp_lt_i32 s26, 27
	s_cbranch_scc1 .LBB192_412
; %bb.410:
	s_cmp_gt_i32 s26, 27
	s_cbranch_scc0 .LBB192_413
; %bb.411:
	global_load_dword v2, v[0:1], off
	s_mov_b64 s[0:1], 0
	s_waitcnt vmcnt(0)
	v_cvt_f64_u32_e32 v[2:3], v2
	s_branch .LBB192_414
.LBB192_412:
	s_mov_b64 s[0:1], -1
                                        ; implicit-def: $vgpr2_vgpr3
	s_branch .LBB192_417
.LBB192_413:
	s_mov_b64 s[0:1], -1
                                        ; implicit-def: $vgpr2_vgpr3
.LBB192_414:
	s_andn2_b64 vcc, exec, s[0:1]
	s_cbranch_vccnz .LBB192_416
; %bb.415:
	global_load_ushort v2, v[0:1], off
	s_waitcnt vmcnt(0)
	v_cvt_f64_u32_e32 v[2:3], v2
.LBB192_416:
	s_mov_b64 s[0:1], 0
.LBB192_417:
	s_andn2_b64 vcc, exec, s[0:1]
	s_cbranch_vccnz .LBB192_427
; %bb.418:
	global_load_ubyte v4, v[0:1], off
	s_movk_i32 s0, 0x7f
	s_waitcnt vmcnt(0)
	v_cmp_lt_i16_e32 vcc, s0, v4
	s_mov_b64 s[0:1], 0
	s_and_saveexec_b64 s[20:21], vcc
	s_xor_b64 s[20:21], exec, s[20:21]
	s_cbranch_execz .LBB192_422
; %bb.419:
	s_movk_i32 s0, 0x80
	v_cmp_eq_u16_e32 vcc, s0, v4
	s_mov_b64 s[0:1], -1
	s_and_saveexec_b64 s[24:25], vcc
; %bb.420:
	s_xor_b64 s[0:1], exec, -1
; %bb.421:
	s_or_b64 exec, exec, s[24:25]
	s_and_b64 s[0:1], s[0:1], exec
.LBB192_422:
	s_or_saveexec_b64 s[20:21], s[20:21]
	v_bfrev_b32_e32 v2, 4
	v_mov_b32_e32 v3, 0x7ff80000
	s_xor_b64 exec, exec, s[20:21]
; %bb.423:
	v_cmp_ne_u16_e32 vcc, 0, v4
	s_andn2_b64 s[0:1], s[0:1], exec
	s_and_b64 s[24:25], vcc, exec
	v_mov_b64_e32 v[2:3], 0
	s_or_b64 s[0:1], s[0:1], s[24:25]
; %bb.424:
	s_or_b64 exec, exec, s[20:21]
	s_and_saveexec_b64 s[20:21], s[0:1]
	s_cbranch_execz .LBB192_426
; %bb.425:
	v_and_b32_e32 v3, 0xffff, v4
	v_lshlrev_b32_e32 v2, 24, v4
	v_and_b32_e32 v4, 7, v3
	v_ffbh_u32_e32 v6, v4
	v_min_u32_e32 v6, 32, v6
	v_subrev_u32_e32 v7, 28, v6
	v_bfe_u32 v5, v3, 3, 4
	v_lshlrev_b32_e32 v3, v7, v3
	v_sub_u32_e32 v6, 29, v6
	v_and_b32_e32 v3, 7, v3
	v_cmp_eq_u32_e32 vcc, 0, v5
	v_and_b32_e32 v2, 0x80000000, v2
	s_nop 0
	v_cndmask_b32_e32 v5, v5, v6, vcc
	v_cndmask_b32_e32 v3, v4, v3, vcc
	v_mov_b32_e32 v4, 0x3b800000
	v_lshlrev_b32_e32 v3, 20, v3
	v_lshl_add_u32 v4, v5, 23, v4
	v_or3_b32 v2, v2, v4, v3
	v_cvt_f64_f32_e32 v[2:3], v2
.LBB192_426:
	s_or_b64 exec, exec, s[20:21]
.LBB192_427:
	s_mov_b64 s[0:1], -1
.LBB192_428:
	s_mov_b64 s[20:21], 0
.LBB192_429:
	s_and_b64 vcc, exec, s[20:21]
	s_cbranch_vccz .LBB192_462
; %bb.430:
	s_cmp_gt_i32 s26, 22
	s_cbranch_scc0 .LBB192_442
; %bb.431:
	s_cmp_lt_i32 s26, 24
	s_cbranch_scc1 .LBB192_443
; %bb.432:
	s_cmp_gt_i32 s26, 24
	s_cbranch_scc0 .LBB192_444
; %bb.433:
	global_load_ubyte v4, v[0:1], off
	s_movk_i32 s0, 0x7f
	s_waitcnt vmcnt(0)
	v_cmp_lt_i16_e32 vcc, s0, v4
	s_mov_b64 s[0:1], 0
	s_and_saveexec_b64 s[20:21], vcc
	s_xor_b64 s[20:21], exec, s[20:21]
	s_cbranch_execz .LBB192_437
; %bb.434:
	s_movk_i32 s0, 0x80
	v_cmp_eq_u16_e32 vcc, s0, v4
	s_mov_b64 s[0:1], -1
	s_and_saveexec_b64 s[24:25], vcc
; %bb.435:
	s_xor_b64 s[0:1], exec, -1
; %bb.436:
	s_or_b64 exec, exec, s[24:25]
	s_and_b64 s[0:1], s[0:1], exec
.LBB192_437:
	s_or_saveexec_b64 s[20:21], s[20:21]
	v_bfrev_b32_e32 v2, 4
	v_mov_b32_e32 v3, 0x7ff80000
	s_xor_b64 exec, exec, s[20:21]
; %bb.438:
	v_cmp_ne_u16_e32 vcc, 0, v4
	s_andn2_b64 s[0:1], s[0:1], exec
	s_and_b64 s[24:25], vcc, exec
	v_mov_b64_e32 v[2:3], 0
	s_or_b64 s[0:1], s[0:1], s[24:25]
; %bb.439:
	s_or_b64 exec, exec, s[20:21]
	s_and_saveexec_b64 s[20:21], s[0:1]
	s_cbranch_execz .LBB192_441
; %bb.440:
	v_and_b32_e32 v3, 0xffff, v4
	v_lshlrev_b32_e32 v2, 24, v4
	v_and_b32_e32 v4, 3, v3
	v_ffbh_u32_e32 v6, v4
	v_min_u32_e32 v6, 32, v6
	v_subrev_u32_e32 v7, 29, v6
	v_bfe_u32 v5, v3, 2, 5
	v_lshlrev_b32_e32 v3, v7, v3
	v_sub_u32_e32 v6, 30, v6
	v_and_b32_e32 v3, 3, v3
	v_cmp_eq_u32_e32 vcc, 0, v5
	v_and_b32_e32 v2, 0x80000000, v2
	s_nop 0
	v_cndmask_b32_e32 v5, v5, v6, vcc
	v_cndmask_b32_e32 v3, v4, v3, vcc
	v_mov_b32_e32 v4, 0x37800000
	v_lshlrev_b32_e32 v3, 21, v3
	v_lshl_add_u32 v4, v5, 23, v4
	v_or3_b32 v2, v2, v4, v3
	v_cvt_f64_f32_e32 v[2:3], v2
.LBB192_441:
	s_or_b64 exec, exec, s[20:21]
	s_mov_b64 s[0:1], 0
	s_branch .LBB192_445
.LBB192_442:
	s_mov_b64 s[20:21], -1
                                        ; implicit-def: $vgpr2_vgpr3
	s_branch .LBB192_451
.LBB192_443:
	s_mov_b64 s[0:1], -1
                                        ; implicit-def: $vgpr2_vgpr3
	s_branch .LBB192_448
.LBB192_444:
	s_mov_b64 s[0:1], -1
                                        ; implicit-def: $vgpr2_vgpr3
.LBB192_445:
	s_and_b64 vcc, exec, s[0:1]
	s_cbranch_vccz .LBB192_447
; %bb.446:
	global_load_ubyte v2, v[0:1], off
	s_mov_b32 s0, 0x7f800000
	s_waitcnt vmcnt(0)
	v_lshlrev_b32_e32 v2, 24, v2
	v_and_b32_e32 v3, 0x7f000000, v2
	v_ffbh_u32_e32 v4, v3
	v_min_u32_e32 v4, 32, v4
	v_sub_u32_e64 v4, v4, 4 clamp
	v_lshlrev_b32_e32 v6, v4, v3
	v_lshlrev_b32_e32 v4, 23, v4
	v_lshrrev_b32_e32 v6, 4, v6
	v_add_u32_e32 v5, 0x1000000, v3
	v_sub_u32_e32 v4, v6, v4
	v_ashrrev_i32_e32 v5, 8, v5
	v_add_u32_e32 v4, 0x3c000000, v4
	v_and_or_b32 v4, v5, s0, v4
	v_cmp_ne_u32_e32 vcc, 0, v3
	s_brev_b32 s0, 1
	s_nop 0
	v_cndmask_b32_e32 v3, 0, v4, vcc
	v_and_or_b32 v2, v2, s0, v3
	v_cvt_f64_f32_e32 v[2:3], v2
.LBB192_447:
	s_mov_b64 s[0:1], 0
.LBB192_448:
	s_andn2_b64 vcc, exec, s[0:1]
	s_cbranch_vccnz .LBB192_450
; %bb.449:
	global_load_ubyte v2, v[0:1], off
	s_movk_i32 s0, 0x7f00
	s_brev_b32 s1, 16
	s_waitcnt vmcnt(0)
	v_lshlrev_b16_e32 v3, 8, v2
	v_lshlrev_b32_e32 v2, 25, v2
	v_lshrrev_b32_e32 v4, 4, v2
	v_and_or_b32 v5, v3, s0, 0.5
	v_or_b32_e32 v4, 0x70000000, v4
	v_add_f32_e32 v5, -0.5, v5
	v_mul_f32_e32 v4, 0x7800000, v4
	v_cmp_gt_u32_e32 vcc, s1, v2
	v_bfe_i32 v3, v3, 0, 16
	s_brev_b32 s0, 1
	v_cndmask_b32_e32 v2, v4, v5, vcc
	v_and_or_b32 v2, v3, s0, v2
	v_cvt_f64_f32_e32 v[2:3], v2
.LBB192_450:
	s_mov_b64 s[20:21], 0
	s_mov_b64 s[0:1], -1
.LBB192_451:
	s_andn2_b64 vcc, exec, s[20:21]
	s_cbranch_vccnz .LBB192_462
; %bb.452:
	s_cmp_gt_i32 s26, 14
	s_cbranch_scc0 .LBB192_455
; %bb.453:
	s_cmp_eq_u32 s26, 15
	s_cbranch_scc0 .LBB192_456
; %bb.454:
	global_load_ushort v2, v[0:1], off
	s_mov_b64 s[0:1], -1
	s_mov_b64 s[18:19], 0
	s_waitcnt vmcnt(0)
	v_lshlrev_b32_e32 v2, 16, v2
	v_cvt_f64_f32_e32 v[2:3], v2
	s_branch .LBB192_457
.LBB192_455:
	s_mov_b64 s[20:21], -1
                                        ; implicit-def: $vgpr2_vgpr3
	s_branch .LBB192_458
.LBB192_456:
	s_mov_b64 s[18:19], -1
                                        ; implicit-def: $vgpr2_vgpr3
.LBB192_457:
	s_mov_b64 s[20:21], 0
.LBB192_458:
	s_and_b64 vcc, exec, s[20:21]
	s_cbranch_vccz .LBB192_462
; %bb.459:
	s_cmp_eq_u32 s26, 11
	s_cbranch_scc0 .LBB192_461
; %bb.460:
	global_load_ubyte v3, v[0:1], off
	v_mov_b32_e32 v4, 0x3ff00000
	s_waitcnt vmcnt(1)
	v_mov_b32_e32 v2, 0
	s_mov_b64 s[0:1], -1
	s_mov_b64 s[18:19], 0
	s_waitcnt vmcnt(0)
	v_cmp_ne_u16_e32 vcc, 0, v3
	s_nop 1
	v_cndmask_b32_e32 v3, 0, v4, vcc
	s_branch .LBB192_462
.LBB192_461:
	s_mov_b64 s[18:19], -1
                                        ; implicit-def: $vgpr2_vgpr3
.LBB192_462:
	s_branch .LBB192_265
.LBB192_463:
	s_cmp_lt_i32 s26, 5
	s_cbranch_scc1 .LBB192_468
; %bb.464:
	s_cmp_lt_i32 s26, 8
	s_cbranch_scc1 .LBB192_469
; %bb.465:
	;; [unrolled: 3-line block ×3, first 2 shown]
	s_cmp_gt_i32 s26, 9
	s_cbranch_scc0 .LBB192_471
; %bb.467:
	global_load_dwordx2 v[2:3], v[0:1], off
	s_mov_b64 s[0:1], 0
	s_branch .LBB192_472
.LBB192_468:
	s_mov_b64 s[0:1], -1
                                        ; implicit-def: $vgpr2_vgpr3
	s_branch .LBB192_490
.LBB192_469:
	s_mov_b64 s[0:1], -1
                                        ; implicit-def: $vgpr2_vgpr3
	s_branch .LBB192_478
.LBB192_470:
	s_mov_b64 s[0:1], -1
                                        ; implicit-def: $vgpr2_vgpr3
	s_branch .LBB192_475
.LBB192_471:
	s_mov_b64 s[0:1], -1
                                        ; implicit-def: $vgpr2_vgpr3
.LBB192_472:
	s_andn2_b64 vcc, exec, s[0:1]
	s_cbranch_vccnz .LBB192_474
; %bb.473:
	global_load_dword v2, v[0:1], off
	s_waitcnt vmcnt(0)
	v_cvt_f64_f32_e32 v[2:3], v2
.LBB192_474:
	s_mov_b64 s[0:1], 0
.LBB192_475:
	s_andn2_b64 vcc, exec, s[0:1]
	s_cbranch_vccnz .LBB192_477
; %bb.476:
	global_load_dword v2, v[0:1], off
	s_waitcnt vmcnt(0)
	v_cvt_f32_f16_e32 v2, v2
	v_cvt_f64_f32_e32 v[2:3], v2
.LBB192_477:
	s_mov_b64 s[0:1], 0
.LBB192_478:
	s_andn2_b64 vcc, exec, s[0:1]
	s_cbranch_vccnz .LBB192_489
; %bb.479:
	s_cmp_lt_i32 s26, 6
	s_cbranch_scc1 .LBB192_482
; %bb.480:
	s_cmp_gt_i32 s26, 6
	s_cbranch_scc0 .LBB192_483
; %bb.481:
	global_load_dwordx2 v[2:3], v[0:1], off
	s_mov_b64 s[0:1], 0
	s_branch .LBB192_484
.LBB192_482:
	s_mov_b64 s[0:1], -1
                                        ; implicit-def: $vgpr2_vgpr3
	s_branch .LBB192_487
.LBB192_483:
	s_mov_b64 s[0:1], -1
                                        ; implicit-def: $vgpr2_vgpr3
.LBB192_484:
	s_andn2_b64 vcc, exec, s[0:1]
	s_cbranch_vccnz .LBB192_486
; %bb.485:
	global_load_dword v2, v[0:1], off
	s_waitcnt vmcnt(0)
	v_cvt_f64_f32_e32 v[2:3], v2
.LBB192_486:
	s_mov_b64 s[0:1], 0
.LBB192_487:
	s_andn2_b64 vcc, exec, s[0:1]
	s_cbranch_vccnz .LBB192_489
; %bb.488:
	global_load_ushort v2, v[0:1], off
	s_waitcnt vmcnt(0)
	v_cvt_f32_f16_e32 v2, v2
	v_cvt_f64_f32_e32 v[2:3], v2
.LBB192_489:
	s_mov_b64 s[0:1], 0
.LBB192_490:
	s_andn2_b64 vcc, exec, s[0:1]
	s_cbranch_vccnz .LBB192_510
; %bb.491:
	s_cmp_lt_i32 s26, 2
	s_cbranch_scc1 .LBB192_495
; %bb.492:
	s_cmp_lt_i32 s26, 3
	s_cbranch_scc1 .LBB192_496
; %bb.493:
	s_cmp_gt_i32 s26, 3
	s_cbranch_scc0 .LBB192_497
; %bb.494:
	global_load_dwordx2 v[2:3], v[0:1], off
	s_mov_b64 s[0:1], 0
	s_waitcnt vmcnt(0)
	v_cvt_f64_i32_e32 v[4:5], v3
	v_cvt_f64_u32_e32 v[2:3], v2
	v_ldexp_f64 v[4:5], v[4:5], 32
	v_add_f64 v[2:3], v[4:5], v[2:3]
	s_branch .LBB192_498
.LBB192_495:
	s_mov_b64 s[0:1], -1
                                        ; implicit-def: $vgpr2_vgpr3
	s_branch .LBB192_504
.LBB192_496:
	s_mov_b64 s[0:1], -1
                                        ; implicit-def: $vgpr2_vgpr3
	s_branch .LBB192_501
.LBB192_497:
	s_mov_b64 s[0:1], -1
                                        ; implicit-def: $vgpr2_vgpr3
.LBB192_498:
	s_andn2_b64 vcc, exec, s[0:1]
	s_cbranch_vccnz .LBB192_500
; %bb.499:
	global_load_dword v2, v[0:1], off
	s_waitcnt vmcnt(0)
	v_cvt_f64_i32_e32 v[2:3], v2
.LBB192_500:
	s_mov_b64 s[0:1], 0
.LBB192_501:
	s_andn2_b64 vcc, exec, s[0:1]
	s_cbranch_vccnz .LBB192_503
; %bb.502:
	global_load_sshort v2, v[0:1], off
	s_waitcnt vmcnt(0)
	v_cvt_f64_i32_e32 v[2:3], v2
.LBB192_503:
	s_mov_b64 s[0:1], 0
.LBB192_504:
	s_andn2_b64 vcc, exec, s[0:1]
	s_cbranch_vccnz .LBB192_510
; %bb.505:
	s_cmp_gt_i32 s26, 0
	s_cbranch_scc0 .LBB192_507
; %bb.506:
	global_load_sbyte v2, v[0:1], off
	s_mov_b64 s[0:1], 0
	s_waitcnt vmcnt(0)
	v_cvt_f64_i32_e32 v[2:3], v2
	s_branch .LBB192_508
.LBB192_507:
	s_mov_b64 s[0:1], -1
                                        ; implicit-def: $vgpr2_vgpr3
.LBB192_508:
	s_andn2_b64 vcc, exec, s[0:1]
	s_cbranch_vccnz .LBB192_510
; %bb.509:
	global_load_ubyte v0, v[0:1], off
	s_waitcnt vmcnt(0)
	v_cvt_f64_u32_e32 v[2:3], v0
.LBB192_510:
	s_branch .LBB192_266
.LBB192_511:
	s_mov_b64 s[24:25], 0
                                        ; implicit-def: $vgpr10
	s_mov_b64 s[0:1], s[12:13]
.LBB192_512:
	s_andn2_b64 s[20:21], s[12:13], exec
	s_and_b64 s[0:1], s[0:1], exec
	s_or_b64 s[20:21], s[20:21], s[0:1]
	s_andn2_b64 s[0:1], s[14:15], exec
	s_and_b64 s[18:19], s[18:19], exec
	s_or_b64 s[18:19], s[0:1], s[18:19]
	s_orn2_b64 s[0:1], s[24:25], exec
.LBB192_513:
	s_or_b64 exec, exec, s[22:23]
	s_mov_b64 s[24:25], 0
	s_mov_b64 s[26:27], 0
	;; [unrolled: 1-line block ×3, first 2 shown]
                                        ; implicit-def: $vgpr0_vgpr1
                                        ; implicit-def: $vgpr2_vgpr3
	s_and_saveexec_b64 s[22:23], s[0:1]
	s_cbranch_execz .LBB192_858
; %bb.514:
	v_cmp_gt_i32_e32 vcc, s38, v10
	s_mov_b64 s[34:35], -1
	s_mov_b64 s[0:1], s[18:19]
	s_mov_b64 s[28:29], s[20:21]
	s_and_saveexec_b64 s[24:25], vcc
	s_cbranch_execz .LBB192_772
; %bb.515:
	v_mul_lo_u32 v0, v10, s9
	v_ashrrev_i32_e32 v1, 31, v0
	s_and_b32 s34, 0xffff, s42
	s_cmp_lt_i32 s34, 11
	v_lshl_add_u64 v[0:1], s[6:7], 0, v[0:1]
	s_cbranch_scc1 .LBB192_522
; %bb.516:
	s_cmp_gt_i32 s34, 25
	s_cbranch_scc0 .LBB192_523
; %bb.517:
	s_cmp_gt_i32 s34, 28
	s_cbranch_scc0 .LBB192_524
	;; [unrolled: 3-line block ×4, first 2 shown]
; %bb.520:
	s_cmp_eq_u32 s34, 46
	s_mov_b64 s[28:29], 0
	s_cbranch_scc0 .LBB192_531
; %bb.521:
	global_load_dword v2, v[0:1], off
	s_mov_b64 s[0:1], -1
	s_waitcnt vmcnt(0)
	v_lshlrev_b32_e32 v2, 16, v2
	v_cvt_f64_f32_e32 v[2:3], v2
	s_branch .LBB192_532
.LBB192_522:
	s_mov_b64 s[28:29], -1
	s_mov_b64 s[0:1], 0
                                        ; implicit-def: $vgpr2_vgpr3
	s_mov_b64 s[26:27], s[18:19]
	s_branch .LBB192_597
.LBB192_523:
	s_mov_b64 s[28:29], -1
	s_mov_b64 s[0:1], 0
	s_mov_b64 s[26:27], s[18:19]
                                        ; implicit-def: $vgpr2_vgpr3
	s_branch .LBB192_563
.LBB192_524:
	s_mov_b64 s[28:29], -1
	s_mov_b64 s[0:1], 0
	s_mov_b64 s[26:27], s[18:19]
                                        ; implicit-def: $vgpr2_vgpr3
	s_branch .LBB192_542
.LBB192_525:
	s_mov_b64 s[28:29], -1
	s_mov_b64 s[0:1], 0
	s_mov_b64 s[26:27], s[18:19]
                                        ; implicit-def: $vgpr2_vgpr3
	s_branch .LBB192_537
.LBB192_526:
	s_andn2_saveexec_b64 s[26:27], s[26:27]
	s_cbranch_execz .LBB192_311
.LBB192_527:
	s_mov_b32 s30, 0x46000000
	v_add_f32_e64 v3, |v2|, s30
	v_and_b32_e32 v3, 0xff, v3
	v_cmp_ne_u32_e32 vcc, 0, v3
	s_andn2_b64 s[24:25], s[24:25], exec
	s_and_b64 s[30:31], vcc, exec
	s_or_b64 s[24:25], s[24:25], s[30:31]
	s_or_b64 exec, exec, s[26:27]
	v_mov_b32_e32 v6, 0
	s_and_saveexec_b64 s[26:27], s[24:25]
	s_cbranch_execnz .LBB192_312
	s_branch .LBB192_313
.LBB192_528:
	s_mov_b64 s[28:29], -1
	s_mov_b64 s[0:1], 0
	s_mov_b64 s[26:27], s[18:19]
                                        ; implicit-def: $vgpr2_vgpr3
	s_branch .LBB192_532
.LBB192_529:
	s_andn2_saveexec_b64 s[26:27], s[26:27]
	s_cbranch_execz .LBB192_324
.LBB192_530:
	s_mov_b32 s30, 0x42800000
	v_add_f32_e64 v3, |v2|, s30
	v_and_b32_e32 v3, 0xff, v3
	v_cmp_ne_u32_e32 vcc, 0, v3
	s_andn2_b64 s[24:25], s[24:25], exec
	s_and_b64 s[30:31], vcc, exec
	s_or_b64 s[24:25], s[24:25], s[30:31]
	s_or_b64 exec, exec, s[26:27]
	v_mov_b32_e32 v6, 0
	s_and_saveexec_b64 s[26:27], s[24:25]
	s_cbranch_execnz .LBB192_325
	s_branch .LBB192_326
.LBB192_531:
	s_mov_b64 s[26:27], -1
                                        ; implicit-def: $vgpr2_vgpr3
	s_mov_b64 s[0:1], 0
.LBB192_532:
	s_and_b64 vcc, exec, s[28:29]
	s_cbranch_vccz .LBB192_536
; %bb.533:
	s_cmp_eq_u32 s34, 44
	s_cbranch_scc0 .LBB192_535
; %bb.534:
	global_load_ubyte v4, v[0:1], off
	s_movk_i32 s26, 0xff
	v_bfrev_b32_e32 v5, 4
	v_mov_b32_e32 v6, 0x7ff80000
	v_bfrev_b32_e32 v7, 28
	s_mov_b64 s[0:1], -1
	s_waitcnt vmcnt(0)
	v_lshlrev_b32_e32 v2, 23, v4
	v_cvt_f64_f32_e32 v[2:3], v2
	v_cmp_ne_u32_e32 vcc, s26, v4
	s_mov_b64 s[26:27], 0
	s_nop 0
	v_cndmask_b32_e32 v2, v5, v2, vcc
	v_cndmask_b32_e32 v3, v6, v3, vcc
	v_cmp_ne_u32_e32 vcc, 0, v4
	s_nop 1
	v_cndmask_b32_e32 v3, v7, v3, vcc
	v_cndmask_b32_e32 v2, 0, v2, vcc
	s_branch .LBB192_536
.LBB192_535:
	s_mov_b64 s[26:27], -1
                                        ; implicit-def: $vgpr2_vgpr3
.LBB192_536:
	s_mov_b64 s[28:29], 0
.LBB192_537:
	s_and_b64 vcc, exec, s[28:29]
	s_cbranch_vccz .LBB192_541
; %bb.538:
	s_cmp_eq_u32 s34, 29
	s_cbranch_scc0 .LBB192_540
; %bb.539:
	global_load_dwordx2 v[2:3], v[0:1], off
	s_mov_b64 s[0:1], -1
	s_mov_b64 s[26:27], 0
	s_mov_b64 s[28:29], 0
	s_waitcnt vmcnt(0)
	v_cvt_f64_u32_e32 v[4:5], v3
	v_cvt_f64_u32_e32 v[2:3], v2
	v_ldexp_f64 v[4:5], v[4:5], 32
	v_add_f64 v[2:3], v[4:5], v[2:3]
	s_branch .LBB192_542
.LBB192_540:
	s_mov_b64 s[26:27], -1
                                        ; implicit-def: $vgpr2_vgpr3
.LBB192_541:
	s_mov_b64 s[28:29], 0
.LBB192_542:
	s_and_b64 vcc, exec, s[28:29]
	s_cbranch_vccz .LBB192_562
; %bb.543:
	s_cmp_lt_i32 s34, 27
	s_cbranch_scc1 .LBB192_546
; %bb.544:
	s_cmp_gt_i32 s34, 27
	s_cbranch_scc0 .LBB192_547
; %bb.545:
	global_load_dword v2, v[0:1], off
	s_mov_b64 s[0:1], 0
	s_waitcnt vmcnt(0)
	v_cvt_f64_u32_e32 v[2:3], v2
	s_branch .LBB192_548
.LBB192_546:
	s_mov_b64 s[0:1], -1
                                        ; implicit-def: $vgpr2_vgpr3
	s_branch .LBB192_551
.LBB192_547:
	s_mov_b64 s[0:1], -1
                                        ; implicit-def: $vgpr2_vgpr3
.LBB192_548:
	s_andn2_b64 vcc, exec, s[0:1]
	s_cbranch_vccnz .LBB192_550
; %bb.549:
	global_load_ushort v2, v[0:1], off
	s_waitcnt vmcnt(0)
	v_cvt_f64_u32_e32 v[2:3], v2
.LBB192_550:
	s_mov_b64 s[0:1], 0
.LBB192_551:
	s_andn2_b64 vcc, exec, s[0:1]
	s_cbranch_vccnz .LBB192_561
; %bb.552:
	global_load_ubyte v4, v[0:1], off
	s_movk_i32 s0, 0x7f
	s_waitcnt vmcnt(0)
	v_cmp_lt_i16_e32 vcc, s0, v4
	s_mov_b64 s[0:1], 0
	s_and_saveexec_b64 s[28:29], vcc
	s_xor_b64 s[28:29], exec, s[28:29]
	s_cbranch_execz .LBB192_556
; %bb.553:
	s_movk_i32 s0, 0x80
	v_cmp_eq_u16_e32 vcc, s0, v4
	s_mov_b64 s[0:1], -1
	s_and_saveexec_b64 s[30:31], vcc
; %bb.554:
	s_xor_b64 s[0:1], exec, -1
; %bb.555:
	s_or_b64 exec, exec, s[30:31]
	s_and_b64 s[0:1], s[0:1], exec
.LBB192_556:
	s_or_saveexec_b64 s[28:29], s[28:29]
	v_bfrev_b32_e32 v2, 4
	v_mov_b32_e32 v3, 0x7ff80000
	s_xor_b64 exec, exec, s[28:29]
; %bb.557:
	v_cmp_ne_u16_e32 vcc, 0, v4
	s_andn2_b64 s[0:1], s[0:1], exec
	s_and_b64 s[30:31], vcc, exec
	v_mov_b64_e32 v[2:3], 0
	s_or_b64 s[0:1], s[0:1], s[30:31]
; %bb.558:
	s_or_b64 exec, exec, s[28:29]
	s_and_saveexec_b64 s[28:29], s[0:1]
	s_cbranch_execz .LBB192_560
; %bb.559:
	v_and_b32_e32 v3, 0xffff, v4
	v_lshlrev_b32_e32 v2, 24, v4
	v_and_b32_e32 v4, 7, v3
	v_ffbh_u32_e32 v6, v4
	v_min_u32_e32 v6, 32, v6
	v_subrev_u32_e32 v7, 28, v6
	v_bfe_u32 v5, v3, 3, 4
	v_lshlrev_b32_e32 v3, v7, v3
	v_sub_u32_e32 v6, 29, v6
	v_and_b32_e32 v3, 7, v3
	v_cmp_eq_u32_e32 vcc, 0, v5
	v_and_b32_e32 v2, 0x80000000, v2
	s_nop 0
	v_cndmask_b32_e32 v5, v5, v6, vcc
	v_cndmask_b32_e32 v3, v4, v3, vcc
	v_mov_b32_e32 v4, 0x3b800000
	v_lshlrev_b32_e32 v3, 20, v3
	v_lshl_add_u32 v4, v5, 23, v4
	v_or3_b32 v2, v2, v4, v3
	v_cvt_f64_f32_e32 v[2:3], v2
.LBB192_560:
	s_or_b64 exec, exec, s[28:29]
.LBB192_561:
	s_mov_b64 s[0:1], -1
.LBB192_562:
	s_mov_b64 s[28:29], 0
.LBB192_563:
	s_and_b64 vcc, exec, s[28:29]
	s_cbranch_vccz .LBB192_596
; %bb.564:
	s_cmp_gt_i32 s34, 22
	s_cbranch_scc0 .LBB192_576
; %bb.565:
	s_cmp_lt_i32 s34, 24
	s_cbranch_scc1 .LBB192_577
; %bb.566:
	s_cmp_gt_i32 s34, 24
	s_cbranch_scc0 .LBB192_578
; %bb.567:
	global_load_ubyte v4, v[0:1], off
	s_movk_i32 s0, 0x7f
	s_waitcnt vmcnt(0)
	v_cmp_lt_i16_e32 vcc, s0, v4
	s_mov_b64 s[0:1], 0
	s_and_saveexec_b64 s[28:29], vcc
	s_xor_b64 s[28:29], exec, s[28:29]
	s_cbranch_execz .LBB192_571
; %bb.568:
	s_movk_i32 s0, 0x80
	v_cmp_eq_u16_e32 vcc, s0, v4
	s_mov_b64 s[0:1], -1
	s_and_saveexec_b64 s[30:31], vcc
; %bb.569:
	s_xor_b64 s[0:1], exec, -1
; %bb.570:
	s_or_b64 exec, exec, s[30:31]
	s_and_b64 s[0:1], s[0:1], exec
.LBB192_571:
	s_or_saveexec_b64 s[28:29], s[28:29]
	v_bfrev_b32_e32 v2, 4
	v_mov_b32_e32 v3, 0x7ff80000
	s_xor_b64 exec, exec, s[28:29]
; %bb.572:
	v_cmp_ne_u16_e32 vcc, 0, v4
	s_andn2_b64 s[0:1], s[0:1], exec
	s_and_b64 s[30:31], vcc, exec
	v_mov_b64_e32 v[2:3], 0
	s_or_b64 s[0:1], s[0:1], s[30:31]
; %bb.573:
	s_or_b64 exec, exec, s[28:29]
	s_and_saveexec_b64 s[28:29], s[0:1]
	s_cbranch_execz .LBB192_575
; %bb.574:
	v_and_b32_e32 v3, 0xffff, v4
	v_lshlrev_b32_e32 v2, 24, v4
	v_and_b32_e32 v4, 3, v3
	v_ffbh_u32_e32 v6, v4
	v_min_u32_e32 v6, 32, v6
	v_subrev_u32_e32 v7, 29, v6
	v_bfe_u32 v5, v3, 2, 5
	v_lshlrev_b32_e32 v3, v7, v3
	v_sub_u32_e32 v6, 30, v6
	v_and_b32_e32 v3, 3, v3
	v_cmp_eq_u32_e32 vcc, 0, v5
	v_and_b32_e32 v2, 0x80000000, v2
	s_nop 0
	v_cndmask_b32_e32 v5, v5, v6, vcc
	v_cndmask_b32_e32 v3, v4, v3, vcc
	v_mov_b32_e32 v4, 0x37800000
	v_lshlrev_b32_e32 v3, 21, v3
	v_lshl_add_u32 v4, v5, 23, v4
	v_or3_b32 v2, v2, v4, v3
	v_cvt_f64_f32_e32 v[2:3], v2
.LBB192_575:
	s_or_b64 exec, exec, s[28:29]
	s_mov_b64 s[0:1], 0
	s_branch .LBB192_579
.LBB192_576:
	s_mov_b64 s[28:29], -1
                                        ; implicit-def: $vgpr2_vgpr3
	s_branch .LBB192_585
.LBB192_577:
	s_mov_b64 s[0:1], -1
                                        ; implicit-def: $vgpr2_vgpr3
	s_branch .LBB192_582
.LBB192_578:
	s_mov_b64 s[0:1], -1
                                        ; implicit-def: $vgpr2_vgpr3
.LBB192_579:
	s_and_b64 vcc, exec, s[0:1]
	s_cbranch_vccz .LBB192_581
; %bb.580:
	global_load_ubyte v2, v[0:1], off
	s_mov_b32 s0, 0x7f800000
	s_waitcnt vmcnt(0)
	v_lshlrev_b32_e32 v2, 24, v2
	v_and_b32_e32 v3, 0x7f000000, v2
	v_ffbh_u32_e32 v4, v3
	v_min_u32_e32 v4, 32, v4
	v_sub_u32_e64 v4, v4, 4 clamp
	v_lshlrev_b32_e32 v6, v4, v3
	v_lshlrev_b32_e32 v4, 23, v4
	v_lshrrev_b32_e32 v6, 4, v6
	v_add_u32_e32 v5, 0x1000000, v3
	v_sub_u32_e32 v4, v6, v4
	v_ashrrev_i32_e32 v5, 8, v5
	v_add_u32_e32 v4, 0x3c000000, v4
	v_and_or_b32 v4, v5, s0, v4
	v_cmp_ne_u32_e32 vcc, 0, v3
	s_brev_b32 s0, 1
	s_nop 0
	v_cndmask_b32_e32 v3, 0, v4, vcc
	v_and_or_b32 v2, v2, s0, v3
	v_cvt_f64_f32_e32 v[2:3], v2
.LBB192_581:
	s_mov_b64 s[0:1], 0
.LBB192_582:
	s_andn2_b64 vcc, exec, s[0:1]
	s_cbranch_vccnz .LBB192_584
; %bb.583:
	global_load_ubyte v2, v[0:1], off
	s_movk_i32 s0, 0x7f00
	s_brev_b32 s1, 16
	s_waitcnt vmcnt(0)
	v_lshlrev_b16_e32 v3, 8, v2
	v_lshlrev_b32_e32 v2, 25, v2
	v_lshrrev_b32_e32 v4, 4, v2
	v_and_or_b32 v5, v3, s0, 0.5
	v_or_b32_e32 v4, 0x70000000, v4
	v_add_f32_e32 v5, -0.5, v5
	v_mul_f32_e32 v4, 0x7800000, v4
	v_cmp_gt_u32_e32 vcc, s1, v2
	v_bfe_i32 v3, v3, 0, 16
	s_brev_b32 s0, 1
	v_cndmask_b32_e32 v2, v4, v5, vcc
	v_and_or_b32 v2, v3, s0, v2
	v_cvt_f64_f32_e32 v[2:3], v2
.LBB192_584:
	s_mov_b64 s[28:29], 0
	s_mov_b64 s[0:1], -1
.LBB192_585:
	s_andn2_b64 vcc, exec, s[28:29]
	s_cbranch_vccnz .LBB192_596
; %bb.586:
	s_cmp_gt_i32 s34, 14
	s_cbranch_scc0 .LBB192_589
; %bb.587:
	s_cmp_eq_u32 s34, 15
	s_cbranch_scc0 .LBB192_590
; %bb.588:
	global_load_ushort v2, v[0:1], off
	s_mov_b64 s[0:1], -1
	s_mov_b64 s[26:27], 0
	s_waitcnt vmcnt(0)
	v_lshlrev_b32_e32 v2, 16, v2
	v_cvt_f64_f32_e32 v[2:3], v2
	s_branch .LBB192_591
.LBB192_589:
	s_mov_b64 s[28:29], -1
                                        ; implicit-def: $vgpr2_vgpr3
	s_branch .LBB192_592
.LBB192_590:
	s_mov_b64 s[26:27], -1
                                        ; implicit-def: $vgpr2_vgpr3
.LBB192_591:
	s_mov_b64 s[28:29], 0
.LBB192_592:
	s_and_b64 vcc, exec, s[28:29]
	s_cbranch_vccz .LBB192_596
; %bb.593:
	s_cmp_eq_u32 s34, 11
	s_cbranch_scc0 .LBB192_595
; %bb.594:
	global_load_ubyte v3, v[0:1], off
	v_mov_b32_e32 v4, 0x3ff00000
	s_waitcnt vmcnt(1)
	v_mov_b32_e32 v2, 0
	s_mov_b64 s[0:1], -1
	s_mov_b64 s[26:27], 0
	s_waitcnt vmcnt(0)
	v_cmp_ne_u16_e32 vcc, 0, v3
	s_nop 1
	v_cndmask_b32_e32 v3, 0, v4, vcc
	s_branch .LBB192_596
.LBB192_595:
	s_mov_b64 s[26:27], -1
                                        ; implicit-def: $vgpr2_vgpr3
.LBB192_596:
	s_mov_b64 s[28:29], 0
.LBB192_597:
	s_and_b64 vcc, exec, s[28:29]
	s_cbranch_vccz .LBB192_646
; %bb.598:
	s_cmp_lt_i32 s34, 5
	s_cbranch_scc1 .LBB192_603
; %bb.599:
	s_cmp_lt_i32 s34, 8
	s_cbranch_scc1 .LBB192_604
	;; [unrolled: 3-line block ×3, first 2 shown]
; %bb.601:
	s_cmp_gt_i32 s34, 9
	s_cbranch_scc0 .LBB192_606
; %bb.602:
	global_load_dwordx2 v[2:3], v[0:1], off
	s_mov_b64 s[0:1], 0
	s_branch .LBB192_607
.LBB192_603:
	s_mov_b64 s[0:1], -1
                                        ; implicit-def: $vgpr2_vgpr3
	s_branch .LBB192_625
.LBB192_604:
	s_mov_b64 s[0:1], -1
                                        ; implicit-def: $vgpr2_vgpr3
	s_branch .LBB192_613
.LBB192_605:
	s_mov_b64 s[0:1], -1
                                        ; implicit-def: $vgpr2_vgpr3
	s_branch .LBB192_610
.LBB192_606:
	s_mov_b64 s[0:1], -1
                                        ; implicit-def: $vgpr2_vgpr3
.LBB192_607:
	s_andn2_b64 vcc, exec, s[0:1]
	s_cbranch_vccnz .LBB192_609
; %bb.608:
	global_load_dword v2, v[0:1], off
	s_waitcnt vmcnt(0)
	v_cvt_f64_f32_e32 v[2:3], v2
.LBB192_609:
	s_mov_b64 s[0:1], 0
.LBB192_610:
	s_andn2_b64 vcc, exec, s[0:1]
	s_cbranch_vccnz .LBB192_612
; %bb.611:
	global_load_dword v2, v[0:1], off
	s_waitcnt vmcnt(0)
	v_cvt_f32_f16_e32 v2, v2
	v_cvt_f64_f32_e32 v[2:3], v2
.LBB192_612:
	s_mov_b64 s[0:1], 0
.LBB192_613:
	s_andn2_b64 vcc, exec, s[0:1]
	s_cbranch_vccnz .LBB192_624
; %bb.614:
	s_cmp_lt_i32 s34, 6
	s_cbranch_scc1 .LBB192_617
; %bb.615:
	s_cmp_gt_i32 s34, 6
	s_cbranch_scc0 .LBB192_618
; %bb.616:
	global_load_dwordx2 v[2:3], v[0:1], off
	s_mov_b64 s[0:1], 0
	s_branch .LBB192_619
.LBB192_617:
	s_mov_b64 s[0:1], -1
                                        ; implicit-def: $vgpr2_vgpr3
	s_branch .LBB192_622
.LBB192_618:
	s_mov_b64 s[0:1], -1
                                        ; implicit-def: $vgpr2_vgpr3
.LBB192_619:
	s_andn2_b64 vcc, exec, s[0:1]
	s_cbranch_vccnz .LBB192_621
; %bb.620:
	global_load_dword v2, v[0:1], off
	s_waitcnt vmcnt(0)
	v_cvt_f64_f32_e32 v[2:3], v2
.LBB192_621:
	s_mov_b64 s[0:1], 0
.LBB192_622:
	s_andn2_b64 vcc, exec, s[0:1]
	s_cbranch_vccnz .LBB192_624
; %bb.623:
	global_load_ushort v2, v[0:1], off
	s_waitcnt vmcnt(0)
	v_cvt_f32_f16_e32 v2, v2
	v_cvt_f64_f32_e32 v[2:3], v2
.LBB192_624:
	s_mov_b64 s[0:1], 0
.LBB192_625:
	s_andn2_b64 vcc, exec, s[0:1]
	s_cbranch_vccnz .LBB192_645
; %bb.626:
	s_cmp_lt_i32 s34, 2
	s_cbranch_scc1 .LBB192_630
; %bb.627:
	s_cmp_lt_i32 s34, 3
	s_cbranch_scc1 .LBB192_631
; %bb.628:
	s_cmp_gt_i32 s34, 3
	s_cbranch_scc0 .LBB192_632
; %bb.629:
	global_load_dwordx2 v[2:3], v[0:1], off
	s_mov_b64 s[0:1], 0
	s_waitcnt vmcnt(0)
	v_cvt_f64_i32_e32 v[4:5], v3
	v_cvt_f64_u32_e32 v[2:3], v2
	v_ldexp_f64 v[4:5], v[4:5], 32
	v_add_f64 v[2:3], v[4:5], v[2:3]
	s_branch .LBB192_633
.LBB192_630:
	s_mov_b64 s[0:1], -1
                                        ; implicit-def: $vgpr2_vgpr3
	s_branch .LBB192_639
.LBB192_631:
	s_mov_b64 s[0:1], -1
                                        ; implicit-def: $vgpr2_vgpr3
	s_branch .LBB192_636
.LBB192_632:
	s_mov_b64 s[0:1], -1
                                        ; implicit-def: $vgpr2_vgpr3
.LBB192_633:
	s_andn2_b64 vcc, exec, s[0:1]
	s_cbranch_vccnz .LBB192_635
; %bb.634:
	global_load_dword v2, v[0:1], off
	s_waitcnt vmcnt(0)
	v_cvt_f64_i32_e32 v[2:3], v2
.LBB192_635:
	s_mov_b64 s[0:1], 0
.LBB192_636:
	s_andn2_b64 vcc, exec, s[0:1]
	s_cbranch_vccnz .LBB192_638
; %bb.637:
	global_load_sshort v2, v[0:1], off
	s_waitcnt vmcnt(0)
	v_cvt_f64_i32_e32 v[2:3], v2
.LBB192_638:
	s_mov_b64 s[0:1], 0
.LBB192_639:
	s_andn2_b64 vcc, exec, s[0:1]
	s_cbranch_vccnz .LBB192_645
; %bb.640:
	s_cmp_gt_i32 s34, 0
	s_cbranch_scc0 .LBB192_642
; %bb.641:
	global_load_sbyte v2, v[0:1], off
	s_mov_b64 s[0:1], 0
	s_waitcnt vmcnt(0)
	v_cvt_f64_i32_e32 v[2:3], v2
	s_branch .LBB192_643
.LBB192_642:
	s_mov_b64 s[0:1], -1
                                        ; implicit-def: $vgpr2_vgpr3
.LBB192_643:
	s_andn2_b64 vcc, exec, s[0:1]
	s_cbranch_vccnz .LBB192_645
; %bb.644:
	global_load_ubyte v0, v[0:1], off
	s_waitcnt vmcnt(0)
	v_cvt_f64_u32_e32 v[2:3], v0
.LBB192_645:
	s_mov_b64 s[0:1], -1
.LBB192_646:
	s_andn2_b64 vcc, exec, s[0:1]
	s_cbranch_vccnz .LBB192_654
; %bb.647:
	s_waitcnt vmcnt(0)
	v_rsq_f64_e32 v[0:1], v[2:3]
	s_mov_b32 s0, 0
	s_mov_b32 s1, 0x3fd80000
	s_and_b32 s36, s33, 0xff
	v_mul_f64 v[2:3], v[0:1], -v[2:3]
	v_fma_f64 v[2:3], v[2:3], v[0:1], 1.0
	v_mul_f64 v[4:5], v[0:1], v[2:3]
	v_fma_f64 v[2:3], v[2:3], s[0:1], 0.5
	v_fma_f64 v[2:3], v[4:5], v[2:3], v[0:1]
	v_mov_b32_e32 v4, 0x180
	v_cmp_class_f64_e32 vcc, v[0:1], v4
	s_cmp_lt_i32 s36, 11
	s_nop 0
	v_cndmask_b32_e32 v0, v0, v2, vcc
	v_mul_lo_u32 v2, v10, s8
	v_cndmask_b32_e32 v1, v1, v3, vcc
	v_ashrrev_i32_e32 v3, 31, v2
	v_lshl_add_u64 v[4:5], s[4:5], 0, v[2:3]
	s_cbranch_scc1 .LBB192_655
; %bb.648:
	s_and_b32 s37, 0xffff, s36
	s_cmp_gt_i32 s37, 25
	s_cbranch_scc0 .LBB192_656
; %bb.649:
	s_cmp_gt_i32 s37, 28
	s_cbranch_scc0 .LBB192_657
; %bb.650:
	;; [unrolled: 3-line block ×4, first 2 shown]
	s_mov_b64 s[30:31], 0
	s_mov_b64 s[0:1], -1
	s_cmp_eq_u32 s37, 46
	s_mov_b64 s[28:29], 0
	s_cbranch_scc0 .LBB192_660
; %bb.653:
	v_cvt_f32_f64_e32 v2, v[0:1]
	v_bfe_u32 v3, v2, 16, 1
	s_movk_i32 s0, 0x7fff
	v_add3_u32 v3, v2, v3, s0
	v_cmp_o_f32_e32 vcc, v2, v2
	v_mov_b32_e32 v2, 0x7fc0
	s_mov_b64 s[28:29], -1
	v_cndmask_b32_sdwa v2, v2, v3, vcc dst_sel:DWORD dst_unused:UNUSED_PAD src0_sel:DWORD src1_sel:WORD_1
	global_store_dword v[4:5], v2, off
	s_mov_b64 s[0:1], 0
	s_branch .LBB192_660
.LBB192_654:
	s_mov_b64 s[30:31], 0
                                        ; implicit-def: $vgpr10
	s_mov_b64 s[0:1], s[20:21]
	s_branch .LBB192_771
.LBB192_655:
	s_mov_b64 s[30:31], -1
	s_mov_b64 s[28:29], 0
	s_mov_b64 s[0:1], s[20:21]
	s_branch .LBB192_729
.LBB192_656:
	s_mov_b64 s[30:31], -1
	s_mov_b64 s[28:29], 0
	s_mov_b64 s[0:1], s[20:21]
	s_branch .LBB192_687
.LBB192_657:
	s_mov_b64 s[30:31], -1
	s_mov_b64 s[28:29], 0
	s_mov_b64 s[0:1], s[20:21]
	s_branch .LBB192_670
.LBB192_658:
	s_mov_b64 s[30:31], -1
	s_mov_b64 s[28:29], 0
	s_mov_b64 s[0:1], s[20:21]
	s_branch .LBB192_666
.LBB192_659:
	s_mov_b64 s[30:31], -1
	s_mov_b64 s[28:29], 0
	s_mov_b64 s[0:1], s[20:21]
.LBB192_660:
	s_and_b64 vcc, exec, s[30:31]
	s_cbranch_vccz .LBB192_665
; %bb.661:
	s_cmp_eq_u32 s37, 44
	s_mov_b64 s[0:1], -1
	s_cbranch_scc0 .LBB192_665
; %bb.662:
	v_cvt_f32_f64_e32 v2, v[0:1]
	v_bfe_u32 v3, v2, 23, 8
	s_movk_i32 s0, 0xff
	v_cmp_ne_u32_e32 vcc, s0, v3
	v_mov_b32_e32 v6, 0xff
	s_and_saveexec_b64 s[28:29], vcc
; %bb.663:
	s_mov_b32 s0, 0x3fffff
	v_lshrrev_b32_e32 v6, 23, v2
	v_and_b32_e32 v7, 0x400000, v2
	v_and_or_b32 v2, v2, s0, v3
	v_cmp_ne_u32_e32 vcc, 0, v7
	v_cmp_ne_u32_e64 s[0:1], 0, v2
	s_and_b64 s[0:1], vcc, s[0:1]
	s_nop 0
	v_cndmask_b32_e64 v2, 0, 1, s[0:1]
	v_add_u32_e32 v6, v6, v2
; %bb.664:
	s_or_b64 exec, exec, s[28:29]
	s_mov_b64 s[28:29], -1
	s_mov_b64 s[0:1], 0
	global_store_byte v[4:5], v6, off
.LBB192_665:
	s_mov_b64 s[30:31], 0
.LBB192_666:
	s_and_b64 vcc, exec, s[30:31]
	s_cbranch_vccz .LBB192_669
; %bb.667:
	s_cmp_eq_u32 s37, 29
	s_mov_b64 s[0:1], -1
	s_cbranch_scc0 .LBB192_669
; %bb.668:
	v_trunc_f64_e32 v[2:3], v[0:1]
	s_movk_i32 s0, 0xffe0
	v_ldexp_f64 v[6:7], v[2:3], s0
	v_floor_f64_e32 v[6:7], v[6:7]
	v_fmac_f64_e32 v[2:3], 0xc1f00000, v[6:7]
	v_cvt_u32_f64_e32 v9, v[6:7]
	v_cvt_u32_f64_e32 v8, v[2:3]
	global_store_dwordx2 v[4:5], v[8:9], off
	s_mov_b64 s[28:29], -1
	s_mov_b64 s[0:1], 0
.LBB192_669:
	s_mov_b64 s[30:31], 0
.LBB192_670:
	s_and_b64 vcc, exec, s[30:31]
	s_cbranch_vccz .LBB192_686
; %bb.671:
	s_cmp_lt_i32 s37, 27
	s_mov_b64 s[28:29], -1
	s_cbranch_scc1 .LBB192_677
; %bb.672:
	s_cmp_gt_i32 s37, 27
	v_cvt_u32_f64_e32 v2, v[0:1]
	s_cbranch_scc0 .LBB192_674
; %bb.673:
	s_mov_b64 s[28:29], 0
	global_store_dword v[4:5], v2, off
.LBB192_674:
	s_andn2_b64 vcc, exec, s[28:29]
	s_cbranch_vccnz .LBB192_676
; %bb.675:
	global_store_short v[4:5], v2, off
.LBB192_676:
	s_mov_b64 s[28:29], 0
.LBB192_677:
	s_andn2_b64 vcc, exec, s[28:29]
	s_cbranch_vccnz .LBB192_685
; %bb.678:
	v_cvt_f32_f64_e32 v2, v[0:1]
	v_and_b32_e32 v3, 0x7fffffff, v2
	s_mov_b32 s28, 0x43800000
	v_cmp_gt_u32_e32 vcc, s28, v3
	v_mov_b32_e32 v6, 0x80
	s_and_saveexec_b64 s[28:29], vcc
	s_cbranch_execz .LBB192_684
; %bb.679:
	s_mov_b32 s30, 0x3bffffff
	v_cmp_lt_u32_e32 vcc, s30, v3
	s_mov_b64 s[30:31], 0
                                        ; implicit-def: $vgpr3
	s_and_saveexec_b64 s[34:35], vcc
	s_xor_b64 s[34:35], exec, s[34:35]
	s_cbranch_execz .LBB192_785
; %bb.680:
	v_bfe_u32 v3, v2, 20, 1
	s_mov_b32 s39, 0x487ffff
	v_add3_u32 v3, v2, v3, s39
	s_mov_b64 s[30:31], exec
	v_lshrrev_b32_e32 v3, 20, v3
	s_andn2_saveexec_b64 s[34:35], s[34:35]
	s_cbranch_execnz .LBB192_786
.LBB192_681:
	s_or_b64 exec, exec, s[34:35]
	v_mov_b32_e32 v6, 0
	s_and_saveexec_b64 s[34:35], s[30:31]
.LBB192_682:
	v_lshrrev_b32_e32 v2, 24, v2
	s_movk_i32 s30, 0x80
	v_and_or_b32 v6, v2, s30, v3
.LBB192_683:
	s_or_b64 exec, exec, s[34:35]
.LBB192_684:
	s_or_b64 exec, exec, s[28:29]
	global_store_byte v[4:5], v6, off
.LBB192_685:
	s_mov_b64 s[28:29], -1
.LBB192_686:
	s_mov_b64 s[30:31], 0
.LBB192_687:
	s_and_b64 vcc, exec, s[30:31]
	s_cbranch_vccz .LBB192_728
; %bb.688:
	s_cmp_gt_i32 s37, 22
	s_mov_b64 s[30:31], -1
	s_cbranch_scc0 .LBB192_720
; %bb.689:
	s_cmp_lt_i32 s37, 24
	s_mov_b64 s[28:29], -1
	s_cbranch_scc1 .LBB192_709
; %bb.690:
	s_cmp_gt_i32 s37, 24
	s_cbranch_scc0 .LBB192_698
; %bb.691:
	v_cvt_f32_f64_e32 v2, v[0:1]
	v_and_b32_e32 v3, 0x7fffffff, v2
	s_mov_b32 s28, 0x47800000
	v_cmp_gt_u32_e32 vcc, s28, v3
	v_mov_b32_e32 v6, 0x80
	s_and_saveexec_b64 s[28:29], vcc
	s_cbranch_execz .LBB192_697
; %bb.692:
	s_mov_b32 s30, 0x37ffffff
	v_cmp_lt_u32_e32 vcc, s30, v3
	s_mov_b64 s[30:31], 0
                                        ; implicit-def: $vgpr3
	s_and_saveexec_b64 s[34:35], vcc
	s_xor_b64 s[34:35], exec, s[34:35]
	s_cbranch_execz .LBB192_788
; %bb.693:
	v_bfe_u32 v3, v2, 21, 1
	s_mov_b32 s39, 0x88fffff
	v_add3_u32 v3, v2, v3, s39
	s_mov_b64 s[30:31], exec
	v_lshrrev_b32_e32 v3, 21, v3
	s_andn2_saveexec_b64 s[34:35], s[34:35]
	s_cbranch_execnz .LBB192_789
.LBB192_694:
	s_or_b64 exec, exec, s[34:35]
	v_mov_b32_e32 v6, 0
	s_and_saveexec_b64 s[34:35], s[30:31]
.LBB192_695:
	v_lshrrev_b32_e32 v2, 24, v2
	s_movk_i32 s30, 0x80
	v_and_or_b32 v6, v2, s30, v3
.LBB192_696:
	s_or_b64 exec, exec, s[34:35]
.LBB192_697:
	s_or_b64 exec, exec, s[28:29]
	s_mov_b64 s[28:29], 0
	global_store_byte v[4:5], v6, off
.LBB192_698:
	s_and_b64 vcc, exec, s[28:29]
	s_cbranch_vccz .LBB192_708
; %bb.699:
	v_cvt_f32_f64_e32 v2, v[0:1]
	v_and_b32_e32 v6, 0x7fffffff, v2
	s_mov_b32 s28, 0x43f00000
	v_cmp_gt_u32_e32 vcc, s28, v6
                                        ; implicit-def: $vgpr3
	s_and_saveexec_b64 s[28:29], vcc
	s_xor_b64 s[28:29], exec, s[28:29]
	s_cbranch_execz .LBB192_705
; %bb.700:
	s_mov_b32 s30, 0x3c7fffff
	v_cmp_lt_u32_e32 vcc, s30, v6
                                        ; implicit-def: $vgpr3
	s_and_saveexec_b64 s[30:31], vcc
	s_xor_b64 s[30:31], exec, s[30:31]
; %bb.701:
	v_bfe_u32 v3, v2, 20, 1
	s_mov_b32 s34, 0x407ffff
	v_add3_u32 v3, v2, v3, s34
	v_lshrrev_b32_e32 v6, 20, v3
	v_and_b32_e32 v3, 0xff00000, v3
	s_mov_b32 s34, 0x7f00000
	v_mov_b32_e32 v7, 0x7e
	v_cmp_ne_u32_e32 vcc, s34, v3
	s_nop 1
	v_cndmask_b32_e32 v3, v7, v6, vcc
; %bb.702:
	s_andn2_saveexec_b64 s[30:31], s[30:31]
; %bb.703:
	s_mov_b32 s34, 0x46800000
	v_add_f32_e64 v3, |v2|, s34
; %bb.704:
	s_or_b64 exec, exec, s[30:31]
                                        ; implicit-def: $vgpr6
.LBB192_705:
	s_andn2_saveexec_b64 s[28:29], s[28:29]
; %bb.706:
	s_mov_b32 s30, 0x7f800000
	v_mov_b32_e32 v3, 0x7e
	v_mov_b32_e32 v7, 0x7f
	v_cmp_lt_u32_e32 vcc, s30, v6
	s_nop 1
	v_cndmask_b32_e32 v3, v3, v7, vcc
; %bb.707:
	s_or_b64 exec, exec, s[28:29]
	v_lshrrev_b32_e32 v2, 24, v2
	s_movk_i32 s28, 0x80
	v_and_or_b32 v2, v2, s28, v3
	global_store_byte v[4:5], v2, off
.LBB192_708:
	s_mov_b64 s[28:29], 0
.LBB192_709:
	s_andn2_b64 vcc, exec, s[28:29]
	s_cbranch_vccnz .LBB192_719
; %bb.710:
	v_cvt_f32_f64_e32 v2, v[0:1]
	v_and_b32_e32 v6, 0x7fffffff, v2
	s_mov_b32 s28, 0x47800000
	v_cmp_gt_u32_e32 vcc, s28, v6
                                        ; implicit-def: $vgpr3
	s_and_saveexec_b64 s[28:29], vcc
	s_xor_b64 s[28:29], exec, s[28:29]
	s_cbranch_execz .LBB192_716
; %bb.711:
	s_mov_b32 s30, 0x387fffff
	v_cmp_lt_u32_e32 vcc, s30, v6
                                        ; implicit-def: $vgpr3
	s_and_saveexec_b64 s[30:31], vcc
	s_xor_b64 s[30:31], exec, s[30:31]
; %bb.712:
	v_bfe_u32 v3, v2, 21, 1
	s_mov_b32 s34, 0x80fffff
	v_add3_u32 v3, v2, v3, s34
	v_lshrrev_b32_e32 v3, 21, v3
; %bb.713:
	s_andn2_saveexec_b64 s[30:31], s[30:31]
; %bb.714:
	s_mov_b32 s34, 0x43000000
	v_add_f32_e64 v3, |v2|, s34
; %bb.715:
	s_or_b64 exec, exec, s[30:31]
                                        ; implicit-def: $vgpr6
.LBB192_716:
	s_andn2_saveexec_b64 s[28:29], s[28:29]
; %bb.717:
	s_mov_b32 s30, 0x7f800000
	v_mov_b32_e32 v3, 0x7c
	v_mov_b32_e32 v7, 0x7f
	v_cmp_lt_u32_e32 vcc, s30, v6
	s_nop 1
	v_cndmask_b32_e32 v3, v3, v7, vcc
; %bb.718:
	s_or_b64 exec, exec, s[28:29]
	v_lshrrev_b32_e32 v2, 24, v2
	s_movk_i32 s28, 0x80
	v_and_or_b32 v2, v2, s28, v3
	global_store_byte v[4:5], v2, off
.LBB192_719:
	s_mov_b64 s[30:31], 0
	s_mov_b64 s[28:29], -1
.LBB192_720:
	s_andn2_b64 vcc, exec, s[30:31]
	s_cbranch_vccnz .LBB192_728
; %bb.721:
	s_cmp_gt_i32 s37, 14
	s_mov_b64 s[30:31], -1
	s_cbranch_scc0 .LBB192_725
; %bb.722:
	s_cmp_eq_u32 s37, 15
	s_mov_b64 s[0:1], -1
	s_cbranch_scc0 .LBB192_724
; %bb.723:
	v_cvt_f32_f64_e32 v2, v[0:1]
	v_bfe_u32 v3, v2, 16, 1
	s_movk_i32 s0, 0x7fff
	v_add3_u32 v3, v2, v3, s0
	v_cmp_o_f32_e32 vcc, v2, v2
	v_mov_b32_e32 v2, 0x7fc0
	s_mov_b64 s[28:29], -1
	v_cndmask_b32_sdwa v2, v2, v3, vcc dst_sel:DWORD dst_unused:UNUSED_PAD src0_sel:DWORD src1_sel:WORD_1
	global_store_short v[4:5], v2, off
	s_mov_b64 s[0:1], 0
.LBB192_724:
	s_mov_b64 s[30:31], 0
.LBB192_725:
	s_and_b64 vcc, exec, s[30:31]
	s_cbranch_vccz .LBB192_728
; %bb.726:
	s_cmp_eq_u32 s37, 11
	s_mov_b64 s[0:1], -1
	s_cbranch_scc0 .LBB192_728
; %bb.727:
	v_cmp_neq_f64_e32 vcc, 0, v[0:1]
	s_mov_b64 s[0:1], 0
	s_mov_b64 s[28:29], -1
	v_cndmask_b32_e64 v2, 0, 1, vcc
	global_store_byte v[4:5], v2, off
.LBB192_728:
	s_mov_b64 s[30:31], 0
.LBB192_729:
	s_and_b64 vcc, exec, s[30:31]
	s_cbranch_vccz .LBB192_768
; %bb.730:
	s_and_b32 s30, 0xffff, s36
	s_cmp_lt_i32 s30, 5
	s_mov_b64 s[28:29], -1
	s_cbranch_scc1 .LBB192_751
; %bb.731:
	s_cmp_lt_i32 s30, 8
	s_cbranch_scc1 .LBB192_741
; %bb.732:
	s_cmp_lt_i32 s30, 9
	s_cbranch_scc1 .LBB192_738
; %bb.733:
	s_cmp_gt_i32 s30, 9
	s_cbranch_scc0 .LBB192_735
; %bb.734:
	v_mov_b32_e32 v2, 0
	v_mov_b32_e32 v3, v2
	s_mov_b64 s[28:29], 0
	global_store_dwordx4 v[4:5], v[0:3], off
.LBB192_735:
	s_andn2_b64 vcc, exec, s[28:29]
	s_cbranch_vccnz .LBB192_737
; %bb.736:
	v_cvt_f32_f64_e32 v2, v[0:1]
	v_mov_b32_e32 v3, 0
	global_store_dwordx2 v[4:5], v[2:3], off
.LBB192_737:
	s_mov_b64 s[28:29], 0
.LBB192_738:
	s_andn2_b64 vcc, exec, s[28:29]
	s_cbranch_vccnz .LBB192_740
; %bb.739:
	s_movk_i32 s28, 0x1ff
	v_and_or_b32 v2, v1, s28, v0
	v_cmp_ne_u32_e32 vcc, 0, v2
	v_lshrrev_b32_e32 v3, 8, v1
	s_movk_i32 s28, 0xffe
	v_cndmask_b32_e64 v2, 0, 1, vcc
	v_bfe_u32 v6, v1, 20, 11
	v_and_or_b32 v2, v3, s28, v2
	v_sub_u32_e32 v7, 0x3f1, v6
	v_or_b32_e32 v3, 0x1000, v2
	v_med3_i32 v7, v7, 0, 13
	v_lshrrev_b32_e32 v8, v7, v3
	v_lshlrev_b32_e32 v7, v7, v8
	v_cmp_ne_u32_e32 vcc, v7, v3
	v_add_u32_e32 v6, 0xfffffc10, v6
	v_lshl_or_b32 v7, v6, 12, v2
	v_cndmask_b32_e64 v3, 0, 1, vcc
	v_or_b32_e32 v3, v8, v3
	v_cmp_gt_i32_e32 vcc, 1, v6
	s_movk_i32 s28, 0x40f
	s_nop 0
	v_cndmask_b32_e32 v3, v7, v3, vcc
	v_and_b32_e32 v7, 7, v3
	v_cmp_lt_i32_e32 vcc, 5, v7
	v_lshrrev_b32_e32 v3, 2, v3
	s_nop 0
	v_cndmask_b32_e64 v8, 0, 1, vcc
	v_cmp_eq_u32_e32 vcc, 3, v7
	s_nop 1
	v_cndmask_b32_e64 v7, 0, 1, vcc
	v_or_b32_e32 v7, v7, v8
	v_add_u32_e32 v3, v3, v7
	v_mov_b32_e32 v7, 0x7c00
	v_cmp_gt_i32_e32 vcc, 31, v6
	v_mov_b32_e32 v8, 0x7e00
	s_nop 0
	v_cndmask_b32_e32 v3, v7, v3, vcc
	v_cmp_ne_u32_e32 vcc, 0, v2
	s_nop 1
	v_cndmask_b32_e32 v2, v7, v8, vcc
	v_cmp_eq_u32_e32 vcc, s28, v6
	s_mov_b32 s28, 0x8000
	s_nop 0
	v_cndmask_b32_e32 v2, v3, v2, vcc
	v_and_b32_sdwa v3, v1, s28 dst_sel:DWORD dst_unused:UNUSED_PAD src0_sel:WORD_1 src1_sel:DWORD
	s_mov_b32 s28, 0xffff
	v_bitop3_b32 v2, v3, s28, v2 bitop3:0xc8
	global_store_dword v[4:5], v2, off
.LBB192_740:
	s_mov_b64 s[28:29], 0
.LBB192_741:
	s_andn2_b64 vcc, exec, s[28:29]
	s_cbranch_vccnz .LBB192_750
; %bb.742:
	s_cmp_lt_i32 s30, 6
	s_mov_b64 s[28:29], -1
	s_cbranch_scc1 .LBB192_748
; %bb.743:
	s_cmp_gt_i32 s30, 6
	s_cbranch_scc0 .LBB192_745
; %bb.744:
	s_mov_b64 s[28:29], 0
	global_store_dwordx2 v[4:5], v[0:1], off
.LBB192_745:
	s_andn2_b64 vcc, exec, s[28:29]
	s_cbranch_vccnz .LBB192_747
; %bb.746:
	v_cvt_f32_f64_e32 v2, v[0:1]
	global_store_dword v[4:5], v2, off
.LBB192_747:
	s_mov_b64 s[28:29], 0
.LBB192_748:
	s_andn2_b64 vcc, exec, s[28:29]
	s_cbranch_vccnz .LBB192_750
; %bb.749:
	s_movk_i32 s28, 0x1ff
	v_and_or_b32 v2, v1, s28, v0
	v_cmp_ne_u32_e32 vcc, 0, v2
	v_lshrrev_b32_e32 v3, 8, v1
	s_movk_i32 s28, 0xffe
	v_cndmask_b32_e64 v2, 0, 1, vcc
	v_bfe_u32 v6, v1, 20, 11
	v_and_or_b32 v2, v3, s28, v2
	v_sub_u32_e32 v7, 0x3f1, v6
	v_or_b32_e32 v3, 0x1000, v2
	v_med3_i32 v7, v7, 0, 13
	v_lshrrev_b32_e32 v8, v7, v3
	v_lshlrev_b32_e32 v7, v7, v8
	v_cmp_ne_u32_e32 vcc, v7, v3
	v_add_u32_e32 v6, 0xfffffc10, v6
	v_lshl_or_b32 v7, v6, 12, v2
	v_cndmask_b32_e64 v3, 0, 1, vcc
	v_or_b32_e32 v3, v8, v3
	v_cmp_gt_i32_e32 vcc, 1, v6
	s_movk_i32 s28, 0x40f
	s_nop 0
	v_cndmask_b32_e32 v3, v7, v3, vcc
	v_and_b32_e32 v7, 7, v3
	v_cmp_lt_i32_e32 vcc, 5, v7
	v_lshrrev_b32_e32 v3, 2, v3
	s_nop 0
	v_cndmask_b32_e64 v8, 0, 1, vcc
	v_cmp_eq_u32_e32 vcc, 3, v7
	s_nop 1
	v_cndmask_b32_e64 v7, 0, 1, vcc
	v_or_b32_e32 v7, v7, v8
	v_add_u32_e32 v3, v3, v7
	v_mov_b32_e32 v7, 0x7c00
	v_cmp_gt_i32_e32 vcc, 31, v6
	v_mov_b32_e32 v8, 0x7e00
	s_nop 0
	v_cndmask_b32_e32 v3, v7, v3, vcc
	v_cmp_ne_u32_e32 vcc, 0, v2
	s_nop 1
	v_cndmask_b32_e32 v2, v7, v8, vcc
	v_cmp_eq_u32_e32 vcc, s28, v6
	s_mov_b32 s28, 0x8000
	s_nop 0
	v_cndmask_b32_e32 v2, v3, v2, vcc
	v_lshrrev_b32_e32 v3, 16, v1
	v_and_or_b32 v2, v3, s28, v2
	global_store_short v[4:5], v2, off
.LBB192_750:
	s_mov_b64 s[28:29], 0
.LBB192_751:
	s_andn2_b64 vcc, exec, s[28:29]
	s_cbranch_vccnz .LBB192_767
; %bb.752:
	s_cmp_lt_i32 s30, 2
	s_mov_b64 s[28:29], -1
	s_cbranch_scc1 .LBB192_762
; %bb.753:
	s_cmp_lt_i32 s30, 3
	s_cbranch_scc1 .LBB192_759
; %bb.754:
	s_cmp_gt_i32 s30, 3
	s_cbranch_scc0 .LBB192_756
; %bb.755:
	v_trunc_f64_e32 v[2:3], v[0:1]
	s_movk_i32 s28, 0xffe0
	v_ldexp_f64 v[6:7], v[2:3], s28
	v_floor_f64_e32 v[6:7], v[6:7]
	v_fmac_f64_e32 v[2:3], 0xc1f00000, v[6:7]
	v_cvt_i32_f64_e32 v9, v[6:7]
	v_cvt_u32_f64_e32 v8, v[2:3]
	s_mov_b64 s[28:29], 0
	global_store_dwordx2 v[4:5], v[8:9], off
.LBB192_756:
	s_andn2_b64 vcc, exec, s[28:29]
	s_cbranch_vccnz .LBB192_758
; %bb.757:
	v_cvt_i32_f64_e32 v2, v[0:1]
	global_store_dword v[4:5], v2, off
.LBB192_758:
	s_mov_b64 s[28:29], 0
.LBB192_759:
	s_andn2_b64 vcc, exec, s[28:29]
	s_cbranch_vccnz .LBB192_761
; %bb.760:
	v_cvt_i32_f64_e32 v2, v[0:1]
	global_store_short v[4:5], v2, off
.LBB192_761:
	s_mov_b64 s[28:29], 0
.LBB192_762:
	s_andn2_b64 vcc, exec, s[28:29]
	s_cbranch_vccnz .LBB192_767
; %bb.763:
	s_cmp_gt_i32 s30, 0
	s_mov_b64 s[28:29], -1
	s_cbranch_scc0 .LBB192_765
; %bb.764:
	v_cvt_i32_f64_e32 v2, v[0:1]
	s_mov_b64 s[28:29], 0
	global_store_byte v[4:5], v2, off
.LBB192_765:
	s_andn2_b64 vcc, exec, s[28:29]
	s_cbranch_vccnz .LBB192_767
; %bb.766:
	v_trunc_f64_e32 v[0:1], v[0:1]
	s_movk_i32 s28, 0xffe0
	v_ldexp_f64 v[2:3], v[0:1], s28
	v_floor_f64_e32 v[2:3], v[2:3]
	v_fmac_f64_e32 v[0:1], 0xc1f00000, v[2:3]
	v_cvt_u32_f64_e32 v0, v[0:1]
	global_store_byte v[4:5], v0, off
.LBB192_767:
	s_mov_b64 s[28:29], -1
.LBB192_768:
	s_andn2_b64 vcc, exec, s[28:29]
	s_cbranch_vccnz .LBB192_770
; %bb.769:
	v_add_u32_e32 v10, 0x80, v10
	s_mov_b64 s[30:31], -1
	s_branch .LBB192_771
.LBB192_770:
	s_mov_b64 s[30:31], 0
                                        ; implicit-def: $vgpr10
.LBB192_771:
	s_andn2_b64 s[28:29], s[20:21], exec
	s_and_b64 s[0:1], s[0:1], exec
	s_or_b64 s[28:29], s[28:29], s[0:1]
	s_andn2_b64 s[0:1], s[18:19], exec
	s_and_b64 s[26:27], s[26:27], exec
	s_or_b64 s[0:1], s[0:1], s[26:27]
	s_orn2_b64 s[34:35], s[30:31], exec
.LBB192_772:
	s_or_b64 exec, exec, s[24:25]
	s_mov_b64 s[30:31], 0
	s_mov_b64 s[26:27], 0
	;; [unrolled: 1-line block ×3, first 2 shown]
                                        ; implicit-def: $vgpr0_vgpr1
                                        ; implicit-def: $vgpr2_vgpr3
	s_and_saveexec_b64 s[24:25], s[34:35]
	s_cbranch_execz .LBB192_857
; %bb.773:
	v_cmp_gt_i32_e32 vcc, s38, v10
	s_mov_b64 s[34:35], 0
	s_mov_b64 s[38:39], s[0:1]
	;; [unrolled: 1-line block ×3, first 2 shown]
                                        ; implicit-def: $vgpr0_vgpr1
                                        ; implicit-def: $vgpr2_vgpr3
	s_and_saveexec_b64 s[26:27], vcc
	s_cbranch_execz .LBB192_856
; %bb.774:
	v_mul_lo_u32 v0, v10, s9
	v_ashrrev_i32_e32 v1, 31, v0
	s_and_b32 s43, 0xffff, s42
	s_cmp_lt_i32 s43, 11
	v_lshl_add_u64 v[0:1], s[6:7], 0, v[0:1]
	s_cbranch_scc1 .LBB192_781
; %bb.775:
	s_cmp_gt_i32 s43, 25
	s_cbranch_scc0 .LBB192_782
; %bb.776:
	s_cmp_gt_i32 s43, 28
	s_cbranch_scc0 .LBB192_783
; %bb.777:
	s_cmp_gt_i32 s43, 43
	s_cbranch_scc0 .LBB192_784
; %bb.778:
	s_cmp_gt_i32 s43, 45
	s_cbranch_scc0 .LBB192_787
; %bb.779:
	s_cmp_eq_u32 s43, 46
	s_mov_b64 s[38:39], 0
	s_cbranch_scc0 .LBB192_790
; %bb.780:
	global_load_dword v2, v[0:1], off
	s_mov_b64 s[36:37], -1
	s_waitcnt vmcnt(0)
	v_lshlrev_b32_e32 v2, 16, v2
	v_cvt_f64_f32_e32 v[2:3], v2
	s_branch .LBB192_792
.LBB192_781:
	s_mov_b64 s[38:39], -1
                                        ; implicit-def: $vgpr2_vgpr3
	s_mov_b64 s[30:31], s[0:1]
	s_branch .LBB192_855
.LBB192_782:
	s_mov_b64 s[38:39], -1
	s_mov_b64 s[30:31], s[0:1]
                                        ; implicit-def: $vgpr2_vgpr3
	s_branch .LBB192_823
.LBB192_783:
	s_mov_b64 s[38:39], -1
	s_mov_b64 s[30:31], s[0:1]
                                        ; implicit-def: $vgpr2_vgpr3
	s_branch .LBB192_802
.LBB192_784:
	s_mov_b64 s[38:39], -1
	s_mov_b64 s[30:31], s[0:1]
                                        ; implicit-def: $vgpr2_vgpr3
	s_branch .LBB192_797
.LBB192_785:
	s_andn2_saveexec_b64 s[34:35], s[34:35]
	s_cbranch_execz .LBB192_681
.LBB192_786:
	s_mov_b32 s39, 0x46000000
	v_add_f32_e64 v3, |v2|, s39
	v_and_b32_e32 v3, 0xff, v3
	v_cmp_ne_u32_e32 vcc, 0, v3
	s_andn2_b64 s[30:31], s[30:31], exec
	s_and_b64 s[40:41], vcc, exec
	s_or_b64 s[30:31], s[30:31], s[40:41]
	s_or_b64 exec, exec, s[34:35]
	v_mov_b32_e32 v6, 0
	s_and_saveexec_b64 s[34:35], s[30:31]
	s_cbranch_execnz .LBB192_682
	s_branch .LBB192_683
.LBB192_787:
	s_mov_b64 s[38:39], -1
	s_mov_b64 s[30:31], s[0:1]
	s_branch .LBB192_791
.LBB192_788:
	s_andn2_saveexec_b64 s[34:35], s[34:35]
	s_cbranch_execz .LBB192_694
.LBB192_789:
	s_mov_b32 s39, 0x42800000
	v_add_f32_e64 v3, |v2|, s39
	v_and_b32_e32 v3, 0xff, v3
	v_cmp_ne_u32_e32 vcc, 0, v3
	s_andn2_b64 s[30:31], s[30:31], exec
	s_and_b64 s[40:41], vcc, exec
	s_or_b64 s[30:31], s[30:31], s[40:41]
	s_or_b64 exec, exec, s[34:35]
	v_mov_b32_e32 v6, 0
	s_and_saveexec_b64 s[34:35], s[30:31]
	s_cbranch_execnz .LBB192_695
	s_branch .LBB192_696
.LBB192_790:
	s_mov_b64 s[30:31], -1
.LBB192_791:
                                        ; implicit-def: $vgpr2_vgpr3
.LBB192_792:
	s_and_b64 vcc, exec, s[38:39]
	s_cbranch_vccz .LBB192_796
; %bb.793:
	s_cmp_eq_u32 s43, 44
	s_cbranch_scc0 .LBB192_795
; %bb.794:
	global_load_ubyte v4, v[0:1], off
	s_movk_i32 s36, 0xff
	v_bfrev_b32_e32 v5, 4
	v_mov_b32_e32 v6, 0x7ff80000
	v_bfrev_b32_e32 v7, 28
	s_mov_b64 s[30:31], 0
	s_waitcnt vmcnt(0)
	v_lshlrev_b32_e32 v2, 23, v4
	v_cvt_f64_f32_e32 v[2:3], v2
	v_cmp_ne_u32_e32 vcc, s36, v4
	s_mov_b64 s[36:37], -1
	s_nop 0
	v_cndmask_b32_e32 v2, v5, v2, vcc
	v_cndmask_b32_e32 v3, v6, v3, vcc
	v_cmp_ne_u32_e32 vcc, 0, v4
	s_nop 1
	v_cndmask_b32_e32 v3, v7, v3, vcc
	v_cndmask_b32_e32 v2, 0, v2, vcc
	s_branch .LBB192_796
.LBB192_795:
	s_mov_b64 s[30:31], -1
                                        ; implicit-def: $vgpr2_vgpr3
.LBB192_796:
	s_mov_b64 s[38:39], 0
.LBB192_797:
	s_and_b64 vcc, exec, s[38:39]
	s_cbranch_vccz .LBB192_801
; %bb.798:
	s_cmp_eq_u32 s43, 29
	s_cbranch_scc0 .LBB192_800
; %bb.799:
	global_load_dwordx2 v[2:3], v[0:1], off
	s_mov_b64 s[30:31], 0
	s_mov_b64 s[36:37], -1
	s_mov_b64 s[38:39], 0
	s_waitcnt vmcnt(0)
	v_cvt_f64_u32_e32 v[4:5], v3
	v_cvt_f64_u32_e32 v[2:3], v2
	v_ldexp_f64 v[4:5], v[4:5], 32
	v_add_f64 v[2:3], v[4:5], v[2:3]
	s_branch .LBB192_802
.LBB192_800:
	s_mov_b64 s[30:31], -1
                                        ; implicit-def: $vgpr2_vgpr3
.LBB192_801:
	s_mov_b64 s[38:39], 0
.LBB192_802:
	s_and_b64 vcc, exec, s[38:39]
	s_cbranch_vccz .LBB192_822
; %bb.803:
	s_cmp_lt_i32 s43, 27
	s_cbranch_scc1 .LBB192_806
; %bb.804:
	s_cmp_gt_i32 s43, 27
	s_cbranch_scc0 .LBB192_807
; %bb.805:
	global_load_dword v2, v[0:1], off
	s_mov_b64 s[36:37], 0
	s_waitcnt vmcnt(0)
	v_cvt_f64_u32_e32 v[2:3], v2
	s_branch .LBB192_808
.LBB192_806:
	s_mov_b64 s[36:37], -1
                                        ; implicit-def: $vgpr2_vgpr3
	s_branch .LBB192_811
.LBB192_807:
	s_mov_b64 s[36:37], -1
                                        ; implicit-def: $vgpr2_vgpr3
.LBB192_808:
	s_andn2_b64 vcc, exec, s[36:37]
	s_cbranch_vccnz .LBB192_810
; %bb.809:
	global_load_ushort v2, v[0:1], off
	s_waitcnt vmcnt(0)
	v_cvt_f64_u32_e32 v[2:3], v2
.LBB192_810:
	s_mov_b64 s[36:37], 0
.LBB192_811:
	s_andn2_b64 vcc, exec, s[36:37]
	s_cbranch_vccnz .LBB192_821
; %bb.812:
	global_load_ubyte v4, v[0:1], off
	s_movk_i32 s36, 0x7f
	s_waitcnt vmcnt(0)
	v_cmp_lt_i16_e32 vcc, s36, v4
	s_mov_b64 s[36:37], 0
	s_and_saveexec_b64 s[38:39], vcc
	s_xor_b64 s[38:39], exec, s[38:39]
	s_cbranch_execz .LBB192_816
; %bb.813:
	s_movk_i32 s36, 0x80
	v_cmp_eq_u16_e32 vcc, s36, v4
	s_mov_b64 s[36:37], -1
	s_and_saveexec_b64 s[40:41], vcc
; %bb.814:
	s_xor_b64 s[36:37], exec, -1
; %bb.815:
	s_or_b64 exec, exec, s[40:41]
	s_and_b64 s[36:37], s[36:37], exec
.LBB192_816:
	s_or_saveexec_b64 s[38:39], s[38:39]
	v_bfrev_b32_e32 v2, 4
	v_mov_b32_e32 v3, 0x7ff80000
	s_xor_b64 exec, exec, s[38:39]
; %bb.817:
	v_cmp_ne_u16_e32 vcc, 0, v4
	s_andn2_b64 s[36:37], s[36:37], exec
	s_and_b64 s[40:41], vcc, exec
	v_mov_b64_e32 v[2:3], 0
	s_or_b64 s[36:37], s[36:37], s[40:41]
; %bb.818:
	s_or_b64 exec, exec, s[38:39]
	s_and_saveexec_b64 s[38:39], s[36:37]
	s_cbranch_execz .LBB192_820
; %bb.819:
	v_and_b32_e32 v3, 0xffff, v4
	v_lshlrev_b32_e32 v2, 24, v4
	v_and_b32_e32 v4, 7, v3
	v_ffbh_u32_e32 v6, v4
	v_min_u32_e32 v6, 32, v6
	v_subrev_u32_e32 v7, 28, v6
	v_bfe_u32 v5, v3, 3, 4
	v_lshlrev_b32_e32 v3, v7, v3
	v_sub_u32_e32 v6, 29, v6
	v_and_b32_e32 v3, 7, v3
	v_cmp_eq_u32_e32 vcc, 0, v5
	v_and_b32_e32 v2, 0x80000000, v2
	s_nop 0
	v_cndmask_b32_e32 v5, v5, v6, vcc
	v_cndmask_b32_e32 v3, v4, v3, vcc
	v_mov_b32_e32 v4, 0x3b800000
	v_lshlrev_b32_e32 v3, 20, v3
	v_lshl_add_u32 v4, v5, 23, v4
	v_or3_b32 v2, v2, v4, v3
	v_cvt_f64_f32_e32 v[2:3], v2
.LBB192_820:
	s_or_b64 exec, exec, s[38:39]
.LBB192_821:
	s_mov_b64 s[36:37], -1
.LBB192_822:
	s_mov_b64 s[38:39], 0
.LBB192_823:
	s_and_b64 vcc, exec, s[38:39]
	s_cbranch_vccz .LBB192_854
; %bb.824:
	s_cmp_gt_i32 s43, 22
	s_cbranch_scc0 .LBB192_836
; %bb.825:
	s_cmp_lt_i32 s43, 24
	s_cbranch_scc1 .LBB192_837
; %bb.826:
	s_cmp_gt_i32 s43, 24
	s_cbranch_scc0 .LBB192_838
; %bb.827:
	global_load_ubyte v4, v[0:1], off
	s_movk_i32 s34, 0x7f
	s_waitcnt vmcnt(0)
	v_cmp_lt_i16_e32 vcc, s34, v4
	s_mov_b64 s[34:35], 0
	s_and_saveexec_b64 s[36:37], vcc
	s_xor_b64 s[36:37], exec, s[36:37]
	s_cbranch_execz .LBB192_831
; %bb.828:
	s_movk_i32 s34, 0x80
	v_cmp_eq_u16_e32 vcc, s34, v4
	s_mov_b64 s[34:35], -1
	s_and_saveexec_b64 s[38:39], vcc
; %bb.829:
	s_xor_b64 s[34:35], exec, -1
; %bb.830:
	s_or_b64 exec, exec, s[38:39]
	s_and_b64 s[34:35], s[34:35], exec
.LBB192_831:
	s_or_saveexec_b64 s[36:37], s[36:37]
	v_bfrev_b32_e32 v2, 4
	v_mov_b32_e32 v3, 0x7ff80000
	s_xor_b64 exec, exec, s[36:37]
; %bb.832:
	v_cmp_ne_u16_e32 vcc, 0, v4
	s_andn2_b64 s[34:35], s[34:35], exec
	s_and_b64 s[38:39], vcc, exec
	v_mov_b64_e32 v[2:3], 0
	s_or_b64 s[34:35], s[34:35], s[38:39]
; %bb.833:
	s_or_b64 exec, exec, s[36:37]
	s_and_saveexec_b64 s[36:37], s[34:35]
	s_cbranch_execz .LBB192_835
; %bb.834:
	v_and_b32_e32 v3, 0xffff, v4
	v_lshlrev_b32_e32 v2, 24, v4
	v_and_b32_e32 v4, 3, v3
	v_ffbh_u32_e32 v6, v4
	v_min_u32_e32 v6, 32, v6
	v_subrev_u32_e32 v7, 29, v6
	v_bfe_u32 v5, v3, 2, 5
	v_lshlrev_b32_e32 v3, v7, v3
	v_sub_u32_e32 v6, 30, v6
	v_and_b32_e32 v3, 3, v3
	v_cmp_eq_u32_e32 vcc, 0, v5
	v_and_b32_e32 v2, 0x80000000, v2
	s_nop 0
	v_cndmask_b32_e32 v5, v5, v6, vcc
	v_cndmask_b32_e32 v3, v4, v3, vcc
	v_mov_b32_e32 v4, 0x37800000
	v_lshlrev_b32_e32 v3, 21, v3
	v_lshl_add_u32 v4, v5, 23, v4
	v_or3_b32 v2, v2, v4, v3
	v_cvt_f64_f32_e32 v[2:3], v2
.LBB192_835:
	s_or_b64 exec, exec, s[36:37]
	s_mov_b64 s[34:35], 0
	s_branch .LBB192_839
.LBB192_836:
	s_mov_b64 s[34:35], -1
                                        ; implicit-def: $vgpr2_vgpr3
	s_branch .LBB192_845
.LBB192_837:
	s_mov_b64 s[34:35], -1
                                        ; implicit-def: $vgpr2_vgpr3
	s_branch .LBB192_842
.LBB192_838:
	s_mov_b64 s[34:35], -1
                                        ; implicit-def: $vgpr2_vgpr3
.LBB192_839:
	s_and_b64 vcc, exec, s[34:35]
	s_cbranch_vccz .LBB192_841
; %bb.840:
	global_load_ubyte v2, v[0:1], off
	s_mov_b32 s34, 0x7f800000
	s_waitcnt vmcnt(0)
	v_lshlrev_b32_e32 v2, 24, v2
	v_and_b32_e32 v3, 0x7f000000, v2
	v_ffbh_u32_e32 v4, v3
	v_min_u32_e32 v4, 32, v4
	v_sub_u32_e64 v4, v4, 4 clamp
	v_lshlrev_b32_e32 v6, v4, v3
	v_lshlrev_b32_e32 v4, 23, v4
	v_lshrrev_b32_e32 v6, 4, v6
	v_add_u32_e32 v5, 0x1000000, v3
	v_sub_u32_e32 v4, v6, v4
	v_ashrrev_i32_e32 v5, 8, v5
	v_add_u32_e32 v4, 0x3c000000, v4
	v_and_or_b32 v4, v5, s34, v4
	v_cmp_ne_u32_e32 vcc, 0, v3
	s_brev_b32 s34, 1
	s_nop 0
	v_cndmask_b32_e32 v3, 0, v4, vcc
	v_and_or_b32 v2, v2, s34, v3
	v_cvt_f64_f32_e32 v[2:3], v2
.LBB192_841:
	s_mov_b64 s[34:35], 0
.LBB192_842:
	s_andn2_b64 vcc, exec, s[34:35]
	s_cbranch_vccnz .LBB192_844
; %bb.843:
	global_load_ubyte v2, v[0:1], off
	s_movk_i32 s34, 0x7f00
	s_brev_b32 s35, 16
	s_waitcnt vmcnt(0)
	v_lshlrev_b16_e32 v3, 8, v2
	v_lshlrev_b32_e32 v2, 25, v2
	v_lshrrev_b32_e32 v4, 4, v2
	v_and_or_b32 v5, v3, s34, 0.5
	v_or_b32_e32 v4, 0x70000000, v4
	v_add_f32_e32 v5, -0.5, v5
	v_mul_f32_e32 v4, 0x7800000, v4
	v_cmp_gt_u32_e32 vcc, s35, v2
	v_bfe_i32 v3, v3, 0, 16
	s_brev_b32 s34, 1
	v_cndmask_b32_e32 v2, v4, v5, vcc
	v_and_or_b32 v2, v3, s34, v2
	v_cvt_f64_f32_e32 v[2:3], v2
.LBB192_844:
	s_mov_b64 s[34:35], 0
	s_mov_b64 s[36:37], -1
.LBB192_845:
	s_andn2_b64 vcc, exec, s[34:35]
	s_mov_b64 s[34:35], 0
	s_cbranch_vccnz .LBB192_854
; %bb.846:
	s_cmp_gt_i32 s43, 14
	s_cbranch_scc0 .LBB192_849
; %bb.847:
	s_cmp_eq_u32 s43, 15
	s_cbranch_scc0 .LBB192_850
; %bb.848:
	global_load_ushort v2, v[0:1], off
	s_mov_b64 s[30:31], 0
	s_mov_b64 s[36:37], -1
	s_waitcnt vmcnt(0)
	v_lshlrev_b32_e32 v2, 16, v2
	v_cvt_f64_f32_e32 v[2:3], v2
	s_branch .LBB192_851
.LBB192_849:
	s_mov_b64 s[38:39], -1
                                        ; implicit-def: $vgpr2_vgpr3
	s_branch .LBB192_852
.LBB192_850:
	s_mov_b64 s[30:31], -1
                                        ; implicit-def: $vgpr2_vgpr3
.LBB192_851:
	s_mov_b64 s[38:39], 0
.LBB192_852:
	s_and_b64 vcc, exec, s[38:39]
	s_cbranch_vccz .LBB192_854
; %bb.853:
	s_cmp_lg_u32 s43, 11
	s_cselect_b64 s[38:39], -1, 0
	s_andn2_b64 s[30:31], s[30:31], exec
	s_and_b64 s[38:39], s[38:39], exec
	s_mov_b64 s[34:35], -1
	s_or_b64 s[30:31], s[30:31], s[38:39]
.LBB192_854:
	s_mov_b64 s[38:39], 0
.LBB192_855:
	s_and_b64 s[40:41], s[38:39], exec
	s_andn2_b64 s[38:39], s[0:1], exec
	s_and_b64 s[30:31], s[30:31], exec
	s_and_b64 s[36:37], s[36:37], exec
	;; [unrolled: 1-line block ×3, first 2 shown]
	s_or_b64 s[38:39], s[38:39], s[30:31]
.LBB192_856:
	s_or_b64 exec, exec, s[26:27]
	s_and_b64 s[30:31], s[34:35], exec
	s_andn2_b64 s[0:1], s[0:1], exec
	s_and_b64 s[34:35], s[38:39], exec
	s_and_b64 s[36:37], s[36:37], exec
	;; [unrolled: 1-line block ×3, first 2 shown]
	s_or_b64 s[0:1], s[0:1], s[34:35]
.LBB192_857:
	s_or_b64 exec, exec, s[24:25]
	s_andn2_b64 s[20:21], s[20:21], exec
	s_and_b64 s[24:25], s[28:29], exec
	s_andn2_b64 s[18:19], s[18:19], exec
	s_and_b64 s[0:1], s[0:1], exec
	s_or_b64 s[20:21], s[20:21], s[24:25]
	s_and_b64 s[28:29], s[36:37], exec
	s_and_b64 s[26:27], s[26:27], exec
	;; [unrolled: 1-line block ×3, first 2 shown]
	s_or_b64 s[18:19], s[18:19], s[0:1]
.LBB192_858:
	s_or_b64 exec, exec, s[22:23]
	s_andn2_b64 s[0:1], s[12:13], exec
	s_and_b64 s[12:13], s[20:21], exec
	s_andn2_b64 s[14:15], s[14:15], exec
	s_and_b64 s[18:19], s[18:19], exec
	s_or_b64 s[12:13], s[0:1], s[12:13]
	s_and_b64 s[0:1], s[28:29], exec
	s_and_b64 s[22:23], s[26:27], exec
	;; [unrolled: 1-line block ×3, first 2 shown]
	s_or_b64 s[14:15], s[14:15], s[18:19]
	s_or_b64 exec, exec, s[16:17]
	s_mov_b64 s[16:17], 0
	s_and_saveexec_b64 s[18:19], s[14:15]
	s_cbranch_execz .LBB192_262
.LBB192_859:
	s_mov_b64 s[16:17], exec
	s_andn2_b64 s[20:21], s[20:21], exec
	s_trap 2
	s_or_b64 exec, exec, s[18:19]
	s_and_saveexec_b64 s[14:15], s[20:21]
	s_xor_b64 s[14:15], exec, s[14:15]
	s_cbranch_execnz .LBB192_263
.LBB192_860:
	s_or_b64 exec, exec, s[14:15]
	s_and_saveexec_b64 s[14:15], s[22:23]
	s_cbranch_execz .LBB192_906
.LBB192_861:
	s_sext_i32_i16 s18, s42
	s_cmp_lt_i32 s18, 5
	s_cbranch_scc1 .LBB192_866
; %bb.862:
	s_cmp_lt_i32 s18, 8
	s_cbranch_scc1 .LBB192_867
; %bb.863:
	;; [unrolled: 3-line block ×3, first 2 shown]
	s_cmp_gt_i32 s18, 9
	s_cbranch_scc0 .LBB192_869
; %bb.865:
	global_load_dwordx2 v[2:3], v[0:1], off
	s_mov_b64 s[18:19], 0
	s_branch .LBB192_870
.LBB192_866:
                                        ; implicit-def: $vgpr2_vgpr3
	s_branch .LBB192_887
.LBB192_867:
                                        ; implicit-def: $vgpr2_vgpr3
	s_branch .LBB192_876
.LBB192_868:
	s_mov_b64 s[18:19], -1
                                        ; implicit-def: $vgpr2_vgpr3
	s_branch .LBB192_873
.LBB192_869:
	s_mov_b64 s[18:19], -1
                                        ; implicit-def: $vgpr2_vgpr3
.LBB192_870:
	s_andn2_b64 vcc, exec, s[18:19]
	s_cbranch_vccnz .LBB192_872
; %bb.871:
	global_load_dword v2, v[0:1], off
	s_waitcnt vmcnt(0)
	v_cvt_f64_f32_e32 v[2:3], v2
.LBB192_872:
	s_mov_b64 s[18:19], 0
.LBB192_873:
	s_andn2_b64 vcc, exec, s[18:19]
	s_cbranch_vccnz .LBB192_875
; %bb.874:
	global_load_dword v2, v[0:1], off
	s_waitcnt vmcnt(0)
	v_cvt_f32_f16_e32 v2, v2
	v_cvt_f64_f32_e32 v[2:3], v2
.LBB192_875:
	s_cbranch_execnz .LBB192_886
.LBB192_876:
	s_sext_i32_i16 s18, s42
	s_cmp_lt_i32 s18, 6
	s_cbranch_scc1 .LBB192_879
; %bb.877:
	s_cmp_gt_i32 s18, 6
	s_cbranch_scc0 .LBB192_880
; %bb.878:
	global_load_dwordx2 v[2:3], v[0:1], off
	s_mov_b64 s[18:19], 0
	s_branch .LBB192_881
.LBB192_879:
	s_mov_b64 s[18:19], -1
                                        ; implicit-def: $vgpr2_vgpr3
	s_branch .LBB192_884
.LBB192_880:
	s_mov_b64 s[18:19], -1
                                        ; implicit-def: $vgpr2_vgpr3
.LBB192_881:
	s_andn2_b64 vcc, exec, s[18:19]
	s_cbranch_vccnz .LBB192_883
; %bb.882:
	global_load_dword v2, v[0:1], off
	s_waitcnt vmcnt(0)
	v_cvt_f64_f32_e32 v[2:3], v2
.LBB192_883:
	s_mov_b64 s[18:19], 0
.LBB192_884:
	s_andn2_b64 vcc, exec, s[18:19]
	s_cbranch_vccnz .LBB192_886
; %bb.885:
	global_load_ushort v2, v[0:1], off
	s_waitcnt vmcnt(0)
	v_cvt_f32_f16_e32 v2, v2
	v_cvt_f64_f32_e32 v[2:3], v2
.LBB192_886:
	s_cbranch_execnz .LBB192_905
.LBB192_887:
	s_sext_i32_i16 s18, s42
	s_cmp_lt_i32 s18, 2
	s_cbranch_scc1 .LBB192_891
; %bb.888:
	s_cmp_lt_i32 s18, 3
	s_cbranch_scc1 .LBB192_892
; %bb.889:
	s_cmp_gt_i32 s18, 3
	s_cbranch_scc0 .LBB192_893
; %bb.890:
	global_load_dwordx2 v[2:3], v[0:1], off
	s_mov_b64 s[18:19], 0
	s_waitcnt vmcnt(0)
	v_cvt_f64_i32_e32 v[4:5], v3
	v_cvt_f64_u32_e32 v[2:3], v2
	v_ldexp_f64 v[4:5], v[4:5], 32
	v_add_f64 v[2:3], v[4:5], v[2:3]
	s_branch .LBB192_894
.LBB192_891:
                                        ; implicit-def: $vgpr2_vgpr3
	s_branch .LBB192_900
.LBB192_892:
	s_mov_b64 s[18:19], -1
                                        ; implicit-def: $vgpr2_vgpr3
	s_branch .LBB192_897
.LBB192_893:
	s_mov_b64 s[18:19], -1
                                        ; implicit-def: $vgpr2_vgpr3
.LBB192_894:
	s_andn2_b64 vcc, exec, s[18:19]
	s_cbranch_vccnz .LBB192_896
; %bb.895:
	global_load_dword v2, v[0:1], off
	s_waitcnt vmcnt(0)
	v_cvt_f64_i32_e32 v[2:3], v2
.LBB192_896:
	s_mov_b64 s[18:19], 0
.LBB192_897:
	s_andn2_b64 vcc, exec, s[18:19]
	s_cbranch_vccnz .LBB192_899
; %bb.898:
	global_load_sshort v2, v[0:1], off
	s_waitcnt vmcnt(0)
	v_cvt_f64_i32_e32 v[2:3], v2
.LBB192_899:
	s_cbranch_execnz .LBB192_905
.LBB192_900:
	s_sext_i32_i16 s18, s42
	s_cmp_gt_i32 s18, 0
	s_cbranch_scc0 .LBB192_902
; %bb.901:
	global_load_sbyte v2, v[0:1], off
	s_mov_b64 s[18:19], 0
	s_waitcnt vmcnt(0)
	v_cvt_f64_i32_e32 v[2:3], v2
	s_branch .LBB192_903
.LBB192_902:
	s_mov_b64 s[18:19], -1
                                        ; implicit-def: $vgpr2_vgpr3
.LBB192_903:
	s_andn2_b64 vcc, exec, s[18:19]
	s_cbranch_vccnz .LBB192_905
; %bb.904:
	global_load_ubyte v0, v[0:1], off
	s_waitcnt vmcnt(0)
	v_cvt_f64_u32_e32 v[2:3], v0
.LBB192_905:
	s_or_b64 s[0:1], s[0:1], exec
.LBB192_906:
	s_or_b64 exec, exec, s[14:15]
	s_mov_b64 s[20:21], 0
	s_mov_b64 s[18:19], 0
                                        ; implicit-def: $sgpr26
                                        ; implicit-def: $vgpr4_vgpr5
                                        ; implicit-def: $vgpr0_vgpr1
	s_and_saveexec_b64 s[14:15], s[0:1]
	s_cbranch_execz .LBB192_981
; %bb.907:
	s_waitcnt vmcnt(0)
	v_rsq_f64_e32 v[0:1], v[2:3]
	s_mov_b32 s0, 0
	s_mov_b32 s1, 0x3fd80000
	s_and_b32 s26, s33, 0xff
	v_mul_f64 v[2:3], v[0:1], -v[2:3]
	v_fma_f64 v[2:3], v[2:3], v[0:1], 1.0
	v_mul_f64 v[4:5], v[0:1], v[2:3]
	v_fma_f64 v[2:3], v[2:3], s[0:1], 0.5
	v_fma_f64 v[2:3], v[4:5], v[2:3], v[0:1]
	v_mov_b32_e32 v4, 0x180
	v_cmp_class_f64_e32 vcc, v[0:1], v4
	s_cmp_lt_i32 s26, 11
	s_nop 0
	v_cndmask_b32_e32 v0, v0, v2, vcc
	v_mul_lo_u32 v2, v10, s8
	v_cndmask_b32_e32 v1, v1, v3, vcc
	v_ashrrev_i32_e32 v3, 31, v2
	v_lshl_add_u64 v[4:5], s[4:5], 0, v[2:3]
	s_cbranch_scc1 .LBB192_984
; %bb.908:
	s_and_b32 s27, 0xffff, s26
	s_mov_b64 s[20:21], -1
	s_cmp_gt_i32 s27, 25
	s_mov_b64 s[0:1], s[12:13]
	s_cbranch_scc0 .LBB192_941
; %bb.909:
	s_mov_b64 s[18:19], -1
	s_cmp_gt_i32 s27, 28
	s_mov_b64 s[0:1], s[12:13]
	s_cbranch_scc0 .LBB192_925
; %bb.910:
	s_cmp_gt_i32 s27, 43
	s_mov_b64 s[0:1], s[12:13]
	s_cbranch_scc0 .LBB192_921
; %bb.911:
	;; [unrolled: 4-line block ×3, first 2 shown]
	s_cmp_eq_u32 s27, 46
	s_mov_b64 s[0:1], -1
	s_cbranch_scc0 .LBB192_914
; %bb.913:
	v_cvt_f32_f64_e32 v2, v[0:1]
	v_bfe_u32 v3, v2, 16, 1
	s_movk_i32 s0, 0x7fff
	v_add3_u32 v3, v2, v3, s0
	v_cmp_o_f32_e32 vcc, v2, v2
	v_mov_b32_e32 v2, 0x7fc0
	s_mov_b64 s[0:1], 0
	v_cndmask_b32_sdwa v2, v2, v3, vcc dst_sel:DWORD dst_unused:UNUSED_PAD src0_sel:DWORD src1_sel:WORD_1
	global_store_dword v[4:5], v2, off
.LBB192_914:
	s_mov_b64 s[18:19], 0
.LBB192_915:
	s_and_b64 vcc, exec, s[18:19]
	s_cbranch_vccz .LBB192_920
; %bb.916:
	s_cmp_eq_u32 s27, 44
	s_mov_b64 s[0:1], -1
	s_cbranch_scc0 .LBB192_920
; %bb.917:
	v_cvt_f32_f64_e32 v2, v[0:1]
	v_bfe_u32 v3, v2, 23, 8
	s_movk_i32 s0, 0xff
	v_cmp_ne_u32_e32 vcc, s0, v3
	v_mov_b32_e32 v6, 0xff
	s_and_saveexec_b64 s[18:19], vcc
; %bb.918:
	s_mov_b32 s0, 0x3fffff
	v_lshrrev_b32_e32 v6, 23, v2
	v_and_b32_e32 v7, 0x400000, v2
	v_and_or_b32 v2, v2, s0, v3
	v_cmp_ne_u32_e32 vcc, 0, v7
	v_cmp_ne_u32_e64 s[0:1], 0, v2
	s_and_b64 s[0:1], vcc, s[0:1]
	s_nop 0
	v_cndmask_b32_e64 v2, 0, 1, s[0:1]
	v_add_u32_e32 v6, v6, v2
; %bb.919:
	s_or_b64 exec, exec, s[18:19]
	s_mov_b64 s[0:1], 0
	global_store_byte v[4:5], v6, off
.LBB192_920:
	s_mov_b64 s[18:19], 0
.LBB192_921:
	s_and_b64 vcc, exec, s[18:19]
	s_cbranch_vccz .LBB192_924
; %bb.922:
	s_cmp_eq_u32 s27, 29
	s_mov_b64 s[0:1], -1
	s_cbranch_scc0 .LBB192_924
; %bb.923:
	v_trunc_f64_e32 v[2:3], v[0:1]
	s_movk_i32 s0, 0xffe0
	v_ldexp_f64 v[6:7], v[2:3], s0
	v_floor_f64_e32 v[6:7], v[6:7]
	v_fmac_f64_e32 v[2:3], 0xc1f00000, v[6:7]
	v_cvt_u32_f64_e32 v9, v[6:7]
	v_cvt_u32_f64_e32 v8, v[2:3]
	global_store_dwordx2 v[4:5], v[8:9], off
	s_mov_b64 s[0:1], 0
.LBB192_924:
	s_mov_b64 s[18:19], 0
.LBB192_925:
	s_and_b64 vcc, exec, s[18:19]
	s_cbranch_vccz .LBB192_940
; %bb.926:
	s_cmp_lt_i32 s27, 27
	s_mov_b64 s[18:19], -1
	s_cbranch_scc1 .LBB192_932
; %bb.927:
	s_cmp_gt_i32 s27, 27
	v_cvt_u32_f64_e32 v2, v[0:1]
	s_cbranch_scc0 .LBB192_929
; %bb.928:
	s_mov_b64 s[18:19], 0
	global_store_dword v[4:5], v2, off
.LBB192_929:
	s_andn2_b64 vcc, exec, s[18:19]
	s_cbranch_vccnz .LBB192_931
; %bb.930:
	global_store_short v[4:5], v2, off
.LBB192_931:
	s_mov_b64 s[18:19], 0
.LBB192_932:
	s_andn2_b64 vcc, exec, s[18:19]
	s_cbranch_vccnz .LBB192_940
; %bb.933:
	v_cvt_f32_f64_e32 v2, v[0:1]
	v_and_b32_e32 v3, 0x7fffffff, v2
	s_mov_b32 s18, 0x43800000
	v_cmp_gt_u32_e32 vcc, s18, v3
	v_mov_b32_e32 v6, 0x80
	s_and_saveexec_b64 s[18:19], vcc
	s_cbranch_execz .LBB192_939
; %bb.934:
	s_mov_b32 s20, 0x3bffffff
	v_cmp_lt_u32_e32 vcc, s20, v3
	s_mov_b64 s[20:21], 0
                                        ; implicit-def: $vgpr3
	s_and_saveexec_b64 s[22:23], vcc
	s_xor_b64 s[22:23], exec, s[22:23]
	s_cbranch_execz .LBB192_1041
; %bb.935:
	v_bfe_u32 v3, v2, 20, 1
	s_mov_b32 s24, 0x487ffff
	v_add3_u32 v3, v2, v3, s24
	s_mov_b64 s[20:21], exec
	v_lshrrev_b32_e32 v3, 20, v3
	s_andn2_saveexec_b64 s[22:23], s[22:23]
	s_cbranch_execnz .LBB192_1042
.LBB192_936:
	s_or_b64 exec, exec, s[22:23]
	v_mov_b32_e32 v6, 0
	s_and_saveexec_b64 s[22:23], s[20:21]
.LBB192_937:
	v_lshrrev_b32_e32 v2, 24, v2
	s_movk_i32 s20, 0x80
	v_and_or_b32 v6, v2, s20, v3
.LBB192_938:
	s_or_b64 exec, exec, s[22:23]
.LBB192_939:
	s_or_b64 exec, exec, s[18:19]
	global_store_byte v[4:5], v6, off
.LBB192_940:
	s_mov_b64 s[20:21], 0
.LBB192_941:
	s_mov_b64 s[18:19], 0
	s_and_b64 vcc, exec, s[20:21]
	s_cbranch_vccz .LBB192_985
; %bb.942:
	s_cmp_gt_i32 s27, 22
	s_mov_b64 s[20:21], -1
	s_cbranch_scc0 .LBB192_974
; %bb.943:
	s_cmp_lt_i32 s27, 24
	s_cbranch_scc1 .LBB192_963
; %bb.944:
	s_cmp_gt_i32 s27, 24
	s_cbranch_scc0 .LBB192_952
; %bb.945:
	v_cvt_f32_f64_e32 v2, v[0:1]
	v_and_b32_e32 v3, 0x7fffffff, v2
	s_mov_b32 s20, 0x47800000
	v_cmp_gt_u32_e32 vcc, s20, v3
	v_mov_b32_e32 v6, 0x80
	s_and_saveexec_b64 s[20:21], vcc
	s_cbranch_execz .LBB192_951
; %bb.946:
	s_mov_b32 s22, 0x37ffffff
	v_cmp_lt_u32_e32 vcc, s22, v3
	s_mov_b64 s[22:23], 0
                                        ; implicit-def: $vgpr3
	s_and_saveexec_b64 s[24:25], vcc
	s_xor_b64 s[24:25], exec, s[24:25]
	s_cbranch_execz .LBB192_1166
; %bb.947:
	v_bfe_u32 v3, v2, 21, 1
	s_mov_b32 s28, 0x88fffff
	v_add3_u32 v3, v2, v3, s28
	s_mov_b64 s[22:23], exec
	v_lshrrev_b32_e32 v3, 21, v3
	s_andn2_saveexec_b64 s[24:25], s[24:25]
	s_cbranch_execnz .LBB192_1167
.LBB192_948:
	s_or_b64 exec, exec, s[24:25]
	v_mov_b32_e32 v6, 0
	s_and_saveexec_b64 s[24:25], s[22:23]
.LBB192_949:
	v_lshrrev_b32_e32 v2, 24, v2
	s_movk_i32 s22, 0x80
	v_and_or_b32 v6, v2, s22, v3
.LBB192_950:
	s_or_b64 exec, exec, s[24:25]
.LBB192_951:
	s_or_b64 exec, exec, s[20:21]
	s_mov_b64 s[20:21], 0
	global_store_byte v[4:5], v6, off
.LBB192_952:
	s_and_b64 vcc, exec, s[20:21]
	s_cbranch_vccz .LBB192_962
; %bb.953:
	v_cvt_f32_f64_e32 v2, v[0:1]
	v_and_b32_e32 v6, 0x7fffffff, v2
	s_mov_b32 s20, 0x43f00000
	v_cmp_gt_u32_e32 vcc, s20, v6
                                        ; implicit-def: $vgpr3
	s_and_saveexec_b64 s[20:21], vcc
	s_xor_b64 s[20:21], exec, s[20:21]
	s_cbranch_execz .LBB192_959
; %bb.954:
	s_mov_b32 s22, 0x3c7fffff
	v_cmp_lt_u32_e32 vcc, s22, v6
                                        ; implicit-def: $vgpr3
	s_and_saveexec_b64 s[22:23], vcc
	s_xor_b64 s[22:23], exec, s[22:23]
; %bb.955:
	v_bfe_u32 v3, v2, 20, 1
	s_mov_b32 s24, 0x407ffff
	v_add3_u32 v3, v2, v3, s24
	v_lshrrev_b32_e32 v6, 20, v3
	v_and_b32_e32 v3, 0xff00000, v3
	s_mov_b32 s24, 0x7f00000
	v_mov_b32_e32 v7, 0x7e
	v_cmp_ne_u32_e32 vcc, s24, v3
	s_nop 1
	v_cndmask_b32_e32 v3, v7, v6, vcc
; %bb.956:
	s_andn2_saveexec_b64 s[22:23], s[22:23]
; %bb.957:
	s_mov_b32 s24, 0x46800000
	v_add_f32_e64 v3, |v2|, s24
; %bb.958:
	s_or_b64 exec, exec, s[22:23]
                                        ; implicit-def: $vgpr6
.LBB192_959:
	s_andn2_saveexec_b64 s[20:21], s[20:21]
; %bb.960:
	s_mov_b32 s22, 0x7f800000
	v_mov_b32_e32 v3, 0x7e
	v_mov_b32_e32 v7, 0x7f
	v_cmp_lt_u32_e32 vcc, s22, v6
	s_nop 1
	v_cndmask_b32_e32 v3, v3, v7, vcc
; %bb.961:
	s_or_b64 exec, exec, s[20:21]
	v_lshrrev_b32_e32 v2, 24, v2
	s_movk_i32 s20, 0x80
	v_and_or_b32 v2, v2, s20, v3
	global_store_byte v[4:5], v2, off
.LBB192_962:
	s_mov_b64 s[20:21], 0
.LBB192_963:
	s_andn2_b64 vcc, exec, s[20:21]
	s_cbranch_vccnz .LBB192_973
; %bb.964:
	v_cvt_f32_f64_e32 v2, v[0:1]
	v_and_b32_e32 v6, 0x7fffffff, v2
	s_mov_b32 s20, 0x47800000
	v_cmp_gt_u32_e32 vcc, s20, v6
                                        ; implicit-def: $vgpr3
	s_and_saveexec_b64 s[20:21], vcc
	s_xor_b64 s[20:21], exec, s[20:21]
	s_cbranch_execz .LBB192_970
; %bb.965:
	s_mov_b32 s22, 0x387fffff
	v_cmp_lt_u32_e32 vcc, s22, v6
                                        ; implicit-def: $vgpr3
	s_and_saveexec_b64 s[22:23], vcc
	s_xor_b64 s[22:23], exec, s[22:23]
; %bb.966:
	v_bfe_u32 v3, v2, 21, 1
	s_mov_b32 s24, 0x80fffff
	v_add3_u32 v3, v2, v3, s24
	v_lshrrev_b32_e32 v3, 21, v3
; %bb.967:
	s_andn2_saveexec_b64 s[22:23], s[22:23]
; %bb.968:
	s_mov_b32 s24, 0x43000000
	v_add_f32_e64 v3, |v2|, s24
; %bb.969:
	s_or_b64 exec, exec, s[22:23]
                                        ; implicit-def: $vgpr6
.LBB192_970:
	s_andn2_saveexec_b64 s[20:21], s[20:21]
; %bb.971:
	s_mov_b32 s22, 0x7f800000
	v_mov_b32_e32 v3, 0x7c
	v_mov_b32_e32 v7, 0x7f
	v_cmp_lt_u32_e32 vcc, s22, v6
	s_nop 1
	v_cndmask_b32_e32 v3, v3, v7, vcc
; %bb.972:
	s_or_b64 exec, exec, s[20:21]
	v_lshrrev_b32_e32 v2, 24, v2
	s_movk_i32 s20, 0x80
	v_and_or_b32 v2, v2, s20, v3
	global_store_byte v[4:5], v2, off
.LBB192_973:
	s_mov_b64 s[20:21], 0
.LBB192_974:
	s_andn2_b64 vcc, exec, s[20:21]
	s_mov_b64 s[20:21], 0
	s_cbranch_vccnz .LBB192_986
; %bb.975:
	s_cmp_gt_i32 s27, 14
	s_mov_b64 s[22:23], -1
	s_cbranch_scc0 .LBB192_979
; %bb.976:
	s_cmp_eq_u32 s27, 15
	s_mov_b64 s[0:1], -1
	s_cbranch_scc0 .LBB192_978
; %bb.977:
	v_cvt_f32_f64_e32 v2, v[0:1]
	v_bfe_u32 v3, v2, 16, 1
	s_movk_i32 s0, 0x7fff
	v_add3_u32 v3, v2, v3, s0
	v_cmp_o_f32_e32 vcc, v2, v2
	v_mov_b32_e32 v2, 0x7fc0
	s_mov_b64 s[0:1], 0
	v_cndmask_b32_sdwa v2, v2, v3, vcc dst_sel:DWORD dst_unused:UNUSED_PAD src0_sel:DWORD src1_sel:WORD_1
	global_store_short v[4:5], v2, off
.LBB192_978:
	s_mov_b64 s[22:23], 0
.LBB192_979:
	s_and_b64 vcc, exec, s[22:23]
	s_cbranch_vccz .LBB192_986
; %bb.980:
	s_cmp_lg_u32 s27, 11
	s_cselect_b64 s[22:23], -1, 0
	s_andn2_b64 s[0:1], s[0:1], exec
	s_and_b64 s[22:23], s[22:23], exec
	s_mov_b64 s[20:21], -1
	s_or_b64 s[0:1], s[0:1], s[22:23]
	s_branch .LBB192_986
.LBB192_981:
	s_or_b64 exec, exec, s[14:15]
	s_and_saveexec_b64 s[0:1], s[12:13]
	s_cbranch_execnz .LBB192_987
.LBB192_982:
	s_or_b64 exec, exec, s[0:1]
	s_and_saveexec_b64 s[0:1], s[20:21]
	s_xor_b64 s[0:1], exec, s[0:1]
	s_cbranch_execz .LBB192_988
.LBB192_983:
	v_cmp_neq_f64_e32 vcc, 0, v[0:1]
	s_waitcnt vmcnt(0)
	s_nop 0
	v_cndmask_b32_e64 v2, 0, 1, vcc
	global_store_byte v[4:5], v2, off
	s_or_b64 exec, exec, s[0:1]
	s_and_saveexec_b64 s[0:1], s[18:19]
	s_xor_b64 s[0:1], exec, s[0:1]
	s_cbranch_execz .LBB192_1026
	s_branch .LBB192_989
.LBB192_984:
	s_mov_b64 s[18:19], -1
	s_mov_b64 s[0:1], s[12:13]
	s_branch .LBB192_986
.LBB192_985:
	s_mov_b64 s[20:21], 0
.LBB192_986:
	s_andn2_b64 s[12:13], s[12:13], exec
	s_and_b64 s[0:1], s[0:1], exec
	s_and_b64 s[18:19], s[18:19], exec
	;; [unrolled: 1-line block ×3, first 2 shown]
	s_or_b64 s[12:13], s[12:13], s[0:1]
	s_or_b64 exec, exec, s[14:15]
	s_and_saveexec_b64 s[0:1], s[12:13]
	s_cbranch_execz .LBB192_982
.LBB192_987:
	s_or_b64 s[16:17], s[16:17], exec
	s_andn2_b64 s[20:21], s[20:21], exec
	s_trap 2
	s_or_b64 exec, exec, s[0:1]
	s_and_saveexec_b64 s[0:1], s[20:21]
	s_xor_b64 s[0:1], exec, s[0:1]
	s_cbranch_execnz .LBB192_983
.LBB192_988:
	s_or_b64 exec, exec, s[0:1]
	s_and_saveexec_b64 s[0:1], s[18:19]
	s_xor_b64 s[0:1], exec, s[0:1]
	s_cbranch_execz .LBB192_1026
.LBB192_989:
	s_sext_i32_i16 s14, s26
	s_cmp_lt_i32 s14, 5
	s_mov_b64 s[12:13], -1
	s_cbranch_scc1 .LBB192_1010
; %bb.990:
	s_cmp_lt_i32 s14, 8
	s_cbranch_scc1 .LBB192_1000
; %bb.991:
	s_cmp_lt_i32 s14, 9
	s_cbranch_scc1 .LBB192_997
; %bb.992:
	s_cmp_gt_i32 s14, 9
	s_cbranch_scc0 .LBB192_994
; %bb.993:
	s_waitcnt vmcnt(0)
	v_mov_b32_e32 v2, 0
	v_mov_b32_e32 v3, v2
	s_mov_b64 s[12:13], 0
	global_store_dwordx4 v[4:5], v[0:3], off
.LBB192_994:
	s_andn2_b64 vcc, exec, s[12:13]
	s_cbranch_vccnz .LBB192_996
; %bb.995:
	s_waitcnt vmcnt(0)
	v_cvt_f32_f64_e32 v2, v[0:1]
	v_mov_b32_e32 v3, 0
	global_store_dwordx2 v[4:5], v[2:3], off
.LBB192_996:
	s_mov_b64 s[12:13], 0
.LBB192_997:
	s_andn2_b64 vcc, exec, s[12:13]
	s_cbranch_vccnz .LBB192_999
; %bb.998:
	s_movk_i32 s12, 0x1ff
	s_waitcnt vmcnt(0)
	v_and_or_b32 v2, v1, s12, v0
	v_cmp_ne_u32_e32 vcc, 0, v2
	v_lshrrev_b32_e32 v3, 8, v1
	s_movk_i32 s12, 0xffe
	v_cndmask_b32_e64 v2, 0, 1, vcc
	v_bfe_u32 v6, v1, 20, 11
	v_and_or_b32 v2, v3, s12, v2
	v_sub_u32_e32 v7, 0x3f1, v6
	v_or_b32_e32 v3, 0x1000, v2
	v_med3_i32 v7, v7, 0, 13
	v_lshrrev_b32_e32 v8, v7, v3
	v_lshlrev_b32_e32 v7, v7, v8
	v_cmp_ne_u32_e32 vcc, v7, v3
	v_add_u32_e32 v6, 0xfffffc10, v6
	v_lshl_or_b32 v7, v6, 12, v2
	v_cndmask_b32_e64 v3, 0, 1, vcc
	v_or_b32_e32 v3, v8, v3
	v_cmp_gt_i32_e32 vcc, 1, v6
	s_movk_i32 s12, 0x40f
	s_nop 0
	v_cndmask_b32_e32 v3, v7, v3, vcc
	v_and_b32_e32 v7, 7, v3
	v_cmp_lt_i32_e32 vcc, 5, v7
	v_lshrrev_b32_e32 v3, 2, v3
	s_nop 0
	v_cndmask_b32_e64 v8, 0, 1, vcc
	v_cmp_eq_u32_e32 vcc, 3, v7
	s_nop 1
	v_cndmask_b32_e64 v7, 0, 1, vcc
	v_or_b32_e32 v7, v7, v8
	v_add_u32_e32 v3, v3, v7
	v_mov_b32_e32 v7, 0x7c00
	v_cmp_gt_i32_e32 vcc, 31, v6
	v_mov_b32_e32 v8, 0x7e00
	s_nop 0
	v_cndmask_b32_e32 v3, v7, v3, vcc
	v_cmp_ne_u32_e32 vcc, 0, v2
	s_nop 1
	v_cndmask_b32_e32 v2, v7, v8, vcc
	v_cmp_eq_u32_e32 vcc, s12, v6
	s_mov_b32 s12, 0x8000
	s_nop 0
	v_cndmask_b32_e32 v2, v3, v2, vcc
	v_and_b32_sdwa v3, v1, s12 dst_sel:DWORD dst_unused:UNUSED_PAD src0_sel:WORD_1 src1_sel:DWORD
	s_mov_b32 s12, 0xffff
	v_bitop3_b32 v2, v3, s12, v2 bitop3:0xc8
	global_store_dword v[4:5], v2, off
.LBB192_999:
	s_mov_b64 s[12:13], 0
.LBB192_1000:
	s_andn2_b64 vcc, exec, s[12:13]
	s_cbranch_vccnz .LBB192_1009
; %bb.1001:
	s_sext_i32_i16 s14, s26
	s_cmp_lt_i32 s14, 6
	s_mov_b64 s[12:13], -1
	s_cbranch_scc1 .LBB192_1007
; %bb.1002:
	s_cmp_gt_i32 s14, 6
	s_cbranch_scc0 .LBB192_1004
; %bb.1003:
	s_mov_b64 s[12:13], 0
	global_store_dwordx2 v[4:5], v[0:1], off
.LBB192_1004:
	s_andn2_b64 vcc, exec, s[12:13]
	s_cbranch_vccnz .LBB192_1006
; %bb.1005:
	s_waitcnt vmcnt(0)
	v_cvt_f32_f64_e32 v2, v[0:1]
	global_store_dword v[4:5], v2, off
.LBB192_1006:
	s_mov_b64 s[12:13], 0
.LBB192_1007:
	s_andn2_b64 vcc, exec, s[12:13]
	s_cbranch_vccnz .LBB192_1009
; %bb.1008:
	s_movk_i32 s12, 0x1ff
	s_waitcnt vmcnt(0)
	v_and_or_b32 v2, v1, s12, v0
	v_cmp_ne_u32_e32 vcc, 0, v2
	v_lshrrev_b32_e32 v3, 8, v1
	s_movk_i32 s12, 0xffe
	v_cndmask_b32_e64 v2, 0, 1, vcc
	v_bfe_u32 v6, v1, 20, 11
	v_and_or_b32 v2, v3, s12, v2
	v_sub_u32_e32 v7, 0x3f1, v6
	v_or_b32_e32 v3, 0x1000, v2
	v_med3_i32 v7, v7, 0, 13
	v_lshrrev_b32_e32 v8, v7, v3
	v_lshlrev_b32_e32 v7, v7, v8
	v_cmp_ne_u32_e32 vcc, v7, v3
	v_add_u32_e32 v6, 0xfffffc10, v6
	v_lshl_or_b32 v7, v6, 12, v2
	v_cndmask_b32_e64 v3, 0, 1, vcc
	v_or_b32_e32 v3, v8, v3
	v_cmp_gt_i32_e32 vcc, 1, v6
	s_movk_i32 s12, 0x40f
	s_nop 0
	v_cndmask_b32_e32 v3, v7, v3, vcc
	v_and_b32_e32 v7, 7, v3
	v_cmp_lt_i32_e32 vcc, 5, v7
	v_lshrrev_b32_e32 v3, 2, v3
	s_nop 0
	v_cndmask_b32_e64 v8, 0, 1, vcc
	v_cmp_eq_u32_e32 vcc, 3, v7
	s_nop 1
	v_cndmask_b32_e64 v7, 0, 1, vcc
	v_or_b32_e32 v7, v7, v8
	v_add_u32_e32 v3, v3, v7
	v_mov_b32_e32 v7, 0x7c00
	v_cmp_gt_i32_e32 vcc, 31, v6
	v_mov_b32_e32 v8, 0x7e00
	s_nop 0
	v_cndmask_b32_e32 v3, v7, v3, vcc
	v_cmp_ne_u32_e32 vcc, 0, v2
	s_nop 1
	v_cndmask_b32_e32 v2, v7, v8, vcc
	v_cmp_eq_u32_e32 vcc, s12, v6
	s_mov_b32 s12, 0x8000
	s_nop 0
	v_cndmask_b32_e32 v2, v3, v2, vcc
	v_lshrrev_b32_e32 v3, 16, v1
	v_and_or_b32 v2, v3, s12, v2
	global_store_short v[4:5], v2, off
.LBB192_1009:
	s_mov_b64 s[12:13], 0
.LBB192_1010:
	s_andn2_b64 vcc, exec, s[12:13]
	s_cbranch_vccnz .LBB192_1026
; %bb.1011:
	s_sext_i32_i16 s14, s26
	s_cmp_lt_i32 s14, 2
	s_mov_b64 s[12:13], -1
	s_cbranch_scc1 .LBB192_1021
; %bb.1012:
	s_cmp_lt_i32 s14, 3
	s_cbranch_scc1 .LBB192_1018
; %bb.1013:
	s_cmp_gt_i32 s14, 3
	s_cbranch_scc0 .LBB192_1015
; %bb.1014:
	s_waitcnt vmcnt(0)
	v_trunc_f64_e32 v[2:3], v[0:1]
	s_movk_i32 s12, 0xffe0
	v_ldexp_f64 v[6:7], v[2:3], s12
	v_floor_f64_e32 v[6:7], v[6:7]
	v_fmac_f64_e32 v[2:3], 0xc1f00000, v[6:7]
	v_cvt_i32_f64_e32 v9, v[6:7]
	v_cvt_u32_f64_e32 v8, v[2:3]
	s_mov_b64 s[12:13], 0
	global_store_dwordx2 v[4:5], v[8:9], off
.LBB192_1015:
	s_andn2_b64 vcc, exec, s[12:13]
	s_cbranch_vccnz .LBB192_1017
; %bb.1016:
	s_waitcnt vmcnt(0)
	v_cvt_i32_f64_e32 v2, v[0:1]
	global_store_dword v[4:5], v2, off
.LBB192_1017:
	s_mov_b64 s[12:13], 0
.LBB192_1018:
	s_andn2_b64 vcc, exec, s[12:13]
	s_cbranch_vccnz .LBB192_1020
; %bb.1019:
	s_waitcnt vmcnt(0)
	v_cvt_i32_f64_e32 v2, v[0:1]
	global_store_short v[4:5], v2, off
.LBB192_1020:
	s_mov_b64 s[12:13], 0
.LBB192_1021:
	s_andn2_b64 vcc, exec, s[12:13]
	s_cbranch_vccnz .LBB192_1026
; %bb.1022:
	s_sext_i32_i16 s12, s26
	s_cmp_gt_i32 s12, 0
	s_mov_b64 s[12:13], -1
	s_cbranch_scc0 .LBB192_1024
; %bb.1023:
	s_waitcnt vmcnt(0)
	v_cvt_i32_f64_e32 v2, v[0:1]
	s_mov_b64 s[12:13], 0
	global_store_byte v[4:5], v2, off
.LBB192_1024:
	s_andn2_b64 vcc, exec, s[12:13]
	s_cbranch_vccnz .LBB192_1026
; %bb.1025:
	v_trunc_f64_e32 v[0:1], v[0:1]
	s_movk_i32 s12, 0xffe0
	s_waitcnt vmcnt(0)
	v_ldexp_f64 v[2:3], v[0:1], s12
	v_floor_f64_e32 v[2:3], v[2:3]
	v_fmac_f64_e32 v[0:1], 0xc1f00000, v[2:3]
	v_cvt_u32_f64_e32 v0, v[0:1]
	global_store_byte v[4:5], v0, off
.LBB192_1026:
	s_or_b64 exec, exec, s[0:1]
	s_and_b64 s[12:13], s[16:17], exec
                                        ; implicit-def: $vgpr10
.LBB192_1027:
	s_or_saveexec_b64 s[2:3], s[2:3]
	s_mov_b64 s[0:1], 0
                                        ; implicit-def: $sgpr20
                                        ; implicit-def: $vgpr4_vgpr5
                                        ; implicit-def: $vgpr0_vgpr1
	s_xor_b64 exec, exec, s[2:3]
	s_cbranch_execz .LBB192_1975
; %bb.1028:
	s_waitcnt vmcnt(0)
	v_mul_lo_u32 v2, s9, v10
	v_ashrrev_i32_e32 v3, 31, v2
	s_and_b32 s22, 0xffff, s42
	s_cmp_lt_i32 s22, 11
	v_lshl_add_u64 v[4:5], s[6:7], 0, v[2:3]
	s_cbranch_scc1 .LBB192_1035
; %bb.1029:
	s_cmp_gt_i32 s22, 25
	s_cbranch_scc0 .LBB192_1037
; %bb.1030:
	s_cmp_gt_i32 s22, 28
	s_cbranch_scc0 .LBB192_1038
	;; [unrolled: 3-line block ×4, first 2 shown]
; %bb.1033:
	s_cmp_eq_u32 s22, 46
	s_mov_b64 s[14:15], 0
	s_cbranch_scc0 .LBB192_1043
; %bb.1034:
	global_load_dword v0, v[4:5], off
	s_mov_b64 s[16:17], -1
	s_waitcnt vmcnt(0)
	v_lshlrev_b32_e32 v0, 16, v0
	v_cvt_f64_f32_e32 v[0:1], v0
	s_branch .LBB192_1044
.LBB192_1035:
	s_mov_b64 s[16:17], 0
                                        ; implicit-def: $vgpr0_vgpr1
	s_mov_b64 s[14:15], s[12:13]
	s_cbranch_execnz .LBB192_1107
.LBB192_1036:
	s_andn2_b64 vcc, exec, s[16:17]
	s_cbranch_vccz .LBB192_1152
	s_branch .LBB192_1973
.LBB192_1037:
	s_mov_b64 s[16:17], 0
                                        ; implicit-def: $vgpr0_vgpr1
	s_cbranch_execnz .LBB192_1074
	s_branch .LBB192_1103
.LBB192_1038:
	s_mov_b64 s[14:15], -1
	s_mov_b64 s[16:17], 0
                                        ; implicit-def: $vgpr0_vgpr1
	s_branch .LBB192_1053
.LBB192_1039:
	s_mov_b64 s[16:17], 0
                                        ; implicit-def: $vgpr0_vgpr1
	s_cbranch_execnz .LBB192_1049
	s_branch .LBB192_1052
.LBB192_1040:
	s_mov_b64 s[14:15], -1
	s_mov_b64 s[16:17], 0
                                        ; implicit-def: $vgpr0_vgpr1
	s_branch .LBB192_1044
.LBB192_1041:
	s_andn2_saveexec_b64 s[22:23], s[22:23]
	s_cbranch_execz .LBB192_936
.LBB192_1042:
	s_mov_b32 s24, 0x46000000
	v_add_f32_e64 v3, |v2|, s24
	v_and_b32_e32 v3, 0xff, v3
	v_cmp_ne_u32_e32 vcc, 0, v3
	s_andn2_b64 s[20:21], s[20:21], exec
	s_and_b64 s[24:25], vcc, exec
	s_or_b64 s[20:21], s[20:21], s[24:25]
	s_or_b64 exec, exec, s[22:23]
	v_mov_b32_e32 v6, 0
	s_and_saveexec_b64 s[22:23], s[20:21]
	s_cbranch_execnz .LBB192_937
	s_branch .LBB192_938
.LBB192_1043:
	s_mov_b64 s[0:1], -1
                                        ; implicit-def: $vgpr0_vgpr1
	s_mov_b64 s[16:17], 0
.LBB192_1044:
	s_and_b64 vcc, exec, s[14:15]
	s_cbranch_vccz .LBB192_1047
; %bb.1045:
	s_cmp_eq_u32 s22, 44
	s_cbranch_scc0 .LBB192_1048
; %bb.1046:
	global_load_ubyte v3, v[4:5], off
	s_movk_i32 s14, 0xff
	v_bfrev_b32_e32 v6, 4
	v_mov_b32_e32 v7, 0x7ff80000
	v_bfrev_b32_e32 v8, 28
	s_mov_b64 s[0:1], 0
	s_mov_b64 s[16:17], -1
	s_waitcnt vmcnt(0)
	v_lshlrev_b32_e32 v0, 23, v3
	v_cvt_f64_f32_e32 v[0:1], v0
	v_cmp_ne_u32_e32 vcc, s14, v3
	s_nop 1
	v_cndmask_b32_e32 v0, v6, v0, vcc
	v_cndmask_b32_e32 v1, v7, v1, vcc
	v_cmp_ne_u32_e32 vcc, 0, v3
	s_nop 1
	v_cndmask_b32_e32 v1, v8, v1, vcc
	v_cndmask_b32_e32 v0, 0, v0, vcc
.LBB192_1047:
	s_branch .LBB192_1052
.LBB192_1048:
	s_mov_b64 s[0:1], -1
                                        ; implicit-def: $vgpr0_vgpr1
	s_branch .LBB192_1052
.LBB192_1049:
	s_cmp_eq_u32 s22, 29
	s_cbranch_scc0 .LBB192_1051
; %bb.1050:
	global_load_dwordx2 v[0:1], v[4:5], off
	s_mov_b64 s[0:1], 0
	s_mov_b64 s[16:17], -1
	s_mov_b64 s[14:15], 0
	s_waitcnt vmcnt(0)
	v_cvt_f64_u32_e32 v[6:7], v1
	v_cvt_f64_u32_e32 v[0:1], v0
	v_ldexp_f64 v[6:7], v[6:7], 32
	v_add_f64 v[0:1], v[6:7], v[0:1]
	s_branch .LBB192_1053
.LBB192_1051:
	s_mov_b64 s[0:1], -1
                                        ; implicit-def: $vgpr0_vgpr1
.LBB192_1052:
	s_mov_b64 s[14:15], 0
.LBB192_1053:
	s_and_b64 vcc, exec, s[14:15]
	s_cbranch_vccz .LBB192_1073
; %bb.1054:
	s_cmp_lt_i32 s22, 27
	s_cbranch_scc1 .LBB192_1057
; %bb.1055:
	s_cmp_gt_i32 s22, 27
	s_cbranch_scc0 .LBB192_1058
; %bb.1056:
	global_load_dword v0, v[4:5], off
	s_mov_b64 s[14:15], 0
	s_waitcnt vmcnt(0)
	v_cvt_f64_u32_e32 v[0:1], v0
	s_branch .LBB192_1059
.LBB192_1057:
	s_mov_b64 s[14:15], -1
                                        ; implicit-def: $vgpr0_vgpr1
	s_branch .LBB192_1062
.LBB192_1058:
	s_mov_b64 s[14:15], -1
                                        ; implicit-def: $vgpr0_vgpr1
.LBB192_1059:
	s_andn2_b64 vcc, exec, s[14:15]
	s_cbranch_vccnz .LBB192_1061
; %bb.1060:
	global_load_ushort v0, v[4:5], off
	s_waitcnt vmcnt(0)
	v_cvt_f64_u32_e32 v[0:1], v0
.LBB192_1061:
	s_mov_b64 s[14:15], 0
.LBB192_1062:
	s_andn2_b64 vcc, exec, s[14:15]
	s_cbranch_vccnz .LBB192_1072
; %bb.1063:
	global_load_ubyte v3, v[4:5], off
	s_movk_i32 s14, 0x7f
	s_waitcnt vmcnt(0)
	v_cmp_lt_i16_e32 vcc, s14, v3
	s_mov_b64 s[14:15], 0
	s_and_saveexec_b64 s[16:17], vcc
	s_xor_b64 s[16:17], exec, s[16:17]
	s_cbranch_execz .LBB192_1067
; %bb.1064:
	s_movk_i32 s14, 0x80
	v_cmp_eq_u16_e32 vcc, s14, v3
	s_mov_b64 s[14:15], -1
	s_and_saveexec_b64 s[18:19], vcc
; %bb.1065:
	s_xor_b64 s[14:15], exec, -1
; %bb.1066:
	s_or_b64 exec, exec, s[18:19]
	s_and_b64 s[14:15], s[14:15], exec
.LBB192_1067:
	s_or_saveexec_b64 s[16:17], s[16:17]
	v_bfrev_b32_e32 v0, 4
	v_mov_b32_e32 v1, 0x7ff80000
	s_xor_b64 exec, exec, s[16:17]
; %bb.1068:
	v_cmp_ne_u16_e32 vcc, 0, v3
	s_andn2_b64 s[14:15], s[14:15], exec
	s_and_b64 s[18:19], vcc, exec
	v_mov_b64_e32 v[0:1], 0
	s_or_b64 s[14:15], s[14:15], s[18:19]
; %bb.1069:
	s_or_b64 exec, exec, s[16:17]
	s_and_saveexec_b64 s[16:17], s[14:15]
	s_cbranch_execz .LBB192_1071
; %bb.1070:
	v_and_b32_e32 v1, 0xffff, v3
	v_lshlrev_b32_e32 v0, 24, v3
	v_and_b32_e32 v3, 7, v1
	v_ffbh_u32_e32 v7, v3
	v_min_u32_e32 v7, 32, v7
	v_subrev_u32_e32 v8, 28, v7
	v_bfe_u32 v6, v1, 3, 4
	v_lshlrev_b32_e32 v1, v8, v1
	v_sub_u32_e32 v7, 29, v7
	v_and_b32_e32 v1, 7, v1
	v_cmp_eq_u32_e32 vcc, 0, v6
	v_and_b32_e32 v0, 0x80000000, v0
	s_nop 0
	v_cndmask_b32_e32 v6, v6, v7, vcc
	v_cndmask_b32_e32 v1, v3, v1, vcc
	v_mov_b32_e32 v3, 0x3b800000
	v_lshlrev_b32_e32 v1, 20, v1
	v_lshl_add_u32 v3, v6, 23, v3
	v_or3_b32 v0, v0, v3, v1
	v_cvt_f64_f32_e32 v[0:1], v0
.LBB192_1071:
	s_or_b64 exec, exec, s[16:17]
.LBB192_1072:
	s_mov_b64 s[16:17], -1
.LBB192_1073:
	s_branch .LBB192_1103
.LBB192_1074:
	s_cmp_gt_i32 s22, 22
	s_cbranch_scc0 .LBB192_1086
; %bb.1075:
	s_cmp_lt_i32 s22, 24
	s_cbranch_scc1 .LBB192_1087
; %bb.1076:
	s_cmp_gt_i32 s22, 24
	s_cbranch_scc0 .LBB192_1088
; %bb.1077:
	global_load_ubyte v3, v[4:5], off
	s_movk_i32 s10, 0x7f
	s_waitcnt vmcnt(0)
	v_cmp_lt_i16_e32 vcc, s10, v3
	s_mov_b64 s[10:11], 0
	s_and_saveexec_b64 s[14:15], vcc
	s_xor_b64 s[14:15], exec, s[14:15]
	s_cbranch_execz .LBB192_1081
; %bb.1078:
	s_movk_i32 s10, 0x80
	v_cmp_eq_u16_e32 vcc, s10, v3
	s_mov_b64 s[10:11], -1
	s_and_saveexec_b64 s[16:17], vcc
; %bb.1079:
	s_xor_b64 s[10:11], exec, -1
; %bb.1080:
	s_or_b64 exec, exec, s[16:17]
	s_and_b64 s[10:11], s[10:11], exec
.LBB192_1081:
	s_or_saveexec_b64 s[14:15], s[14:15]
	v_bfrev_b32_e32 v0, 4
	v_mov_b32_e32 v1, 0x7ff80000
	s_xor_b64 exec, exec, s[14:15]
; %bb.1082:
	v_cmp_ne_u16_e32 vcc, 0, v3
	s_andn2_b64 s[10:11], s[10:11], exec
	s_and_b64 s[16:17], vcc, exec
	v_mov_b64_e32 v[0:1], 0
	s_or_b64 s[10:11], s[10:11], s[16:17]
; %bb.1083:
	s_or_b64 exec, exec, s[14:15]
	s_and_saveexec_b64 s[14:15], s[10:11]
	s_cbranch_execz .LBB192_1085
; %bb.1084:
	v_and_b32_e32 v1, 0xffff, v3
	v_lshlrev_b32_e32 v0, 24, v3
	v_and_b32_e32 v3, 3, v1
	v_ffbh_u32_e32 v7, v3
	v_min_u32_e32 v7, 32, v7
	v_subrev_u32_e32 v8, 29, v7
	v_bfe_u32 v6, v1, 2, 5
	v_lshlrev_b32_e32 v1, v8, v1
	v_sub_u32_e32 v7, 30, v7
	v_and_b32_e32 v1, 3, v1
	v_cmp_eq_u32_e32 vcc, 0, v6
	v_and_b32_e32 v0, 0x80000000, v0
	s_nop 0
	v_cndmask_b32_e32 v6, v6, v7, vcc
	v_cndmask_b32_e32 v1, v3, v1, vcc
	v_mov_b32_e32 v3, 0x37800000
	v_lshlrev_b32_e32 v1, 21, v1
	v_lshl_add_u32 v3, v6, 23, v3
	v_or3_b32 v0, v0, v3, v1
	v_cvt_f64_f32_e32 v[0:1], v0
.LBB192_1085:
	s_or_b64 exec, exec, s[14:15]
	s_mov_b64 s[10:11], 0
	s_branch .LBB192_1089
.LBB192_1086:
                                        ; implicit-def: $vgpr0_vgpr1
	s_mov_b64 s[10:11], 0
	s_branch .LBB192_1095
.LBB192_1087:
	s_mov_b64 s[10:11], -1
                                        ; implicit-def: $vgpr0_vgpr1
	s_branch .LBB192_1092
.LBB192_1088:
	s_mov_b64 s[10:11], -1
                                        ; implicit-def: $vgpr0_vgpr1
.LBB192_1089:
	s_and_b64 vcc, exec, s[10:11]
	s_cbranch_vccz .LBB192_1091
; %bb.1090:
	global_load_ubyte v0, v[4:5], off
	s_mov_b32 s10, 0x7f800000
	s_waitcnt vmcnt(0)
	v_lshlrev_b32_e32 v0, 24, v0
	v_and_b32_e32 v1, 0x7f000000, v0
	v_ffbh_u32_e32 v3, v1
	v_min_u32_e32 v3, 32, v3
	v_sub_u32_e64 v3, v3, 4 clamp
	v_lshlrev_b32_e32 v7, v3, v1
	v_lshlrev_b32_e32 v3, 23, v3
	v_lshrrev_b32_e32 v7, 4, v7
	v_add_u32_e32 v6, 0x1000000, v1
	v_sub_u32_e32 v3, v7, v3
	v_ashrrev_i32_e32 v6, 8, v6
	v_add_u32_e32 v3, 0x3c000000, v3
	v_and_or_b32 v3, v6, s10, v3
	v_cmp_ne_u32_e32 vcc, 0, v1
	s_brev_b32 s10, 1
	s_nop 0
	v_cndmask_b32_e32 v1, 0, v3, vcc
	v_and_or_b32 v0, v0, s10, v1
	v_cvt_f64_f32_e32 v[0:1], v0
.LBB192_1091:
	s_mov_b64 s[10:11], 0
.LBB192_1092:
	s_andn2_b64 vcc, exec, s[10:11]
	s_cbranch_vccnz .LBB192_1094
; %bb.1093:
	global_load_ubyte v0, v[4:5], off
	s_movk_i32 s10, 0x7f00
	s_brev_b32 s11, 16
	s_waitcnt vmcnt(0)
	v_lshlrev_b16_e32 v1, 8, v0
	v_lshlrev_b32_e32 v0, 25, v0
	v_lshrrev_b32_e32 v3, 4, v0
	v_and_or_b32 v6, v1, s10, 0.5
	v_or_b32_e32 v3, 0x70000000, v3
	v_add_f32_e32 v6, -0.5, v6
	v_mul_f32_e32 v3, 0x7800000, v3
	v_cmp_gt_u32_e32 vcc, s11, v0
	v_bfe_i32 v1, v1, 0, 16
	s_brev_b32 s10, 1
	v_cndmask_b32_e32 v0, v3, v6, vcc
	v_and_or_b32 v0, v1, s10, v0
	v_cvt_f64_f32_e32 v[0:1], v0
.LBB192_1094:
	s_mov_b64 s[16:17], -1
	s_mov_b64 s[10:11], 0
	s_cbranch_execnz .LBB192_1103
.LBB192_1095:
	s_cmp_gt_i32 s22, 14
	s_cbranch_scc0 .LBB192_1098
; %bb.1096:
	s_cmp_eq_u32 s22, 15
	s_cbranch_scc0 .LBB192_1099
; %bb.1097:
	global_load_ushort v0, v[4:5], off
	s_mov_b64 s[0:1], 0
	s_mov_b64 s[16:17], -1
	s_waitcnt vmcnt(0)
	v_lshlrev_b32_e32 v0, 16, v0
	v_cvt_f64_f32_e32 v[0:1], v0
	s_branch .LBB192_1100
.LBB192_1098:
	s_mov_b64 s[14:15], -1
                                        ; implicit-def: $vgpr0_vgpr1
	s_branch .LBB192_1101
.LBB192_1099:
	s_mov_b64 s[0:1], -1
                                        ; implicit-def: $vgpr0_vgpr1
.LBB192_1100:
	s_mov_b64 s[14:15], 0
.LBB192_1101:
	s_and_b64 vcc, exec, s[14:15]
	s_cbranch_vccz .LBB192_1103
; %bb.1102:
	s_cmp_lg_u32 s22, 11
	s_mov_b64 s[10:11], -1
	s_cselect_b64 s[0:1], -1, 0
.LBB192_1103:
	s_and_b64 vcc, exec, s[0:1]
	s_mov_b64 s[14:15], s[12:13]
	s_cbranch_vccnz .LBB192_1164
; %bb.1104:
	s_andn2_b64 vcc, exec, s[10:11]
	s_cbranch_vccnz .LBB192_1106
.LBB192_1105:
	global_load_ubyte v1, v[4:5], off
	v_mov_b32_e32 v3, 0x3ff00000
	v_mov_b32_e32 v0, 0
	s_mov_b64 s[16:17], -1
	s_waitcnt vmcnt(0)
	v_cmp_ne_u16_e32 vcc, 0, v1
	s_nop 1
	v_cndmask_b32_e32 v1, 0, v3, vcc
.LBB192_1106:
	s_branch .LBB192_1036
.LBB192_1107:
	s_cmp_lt_i32 s22, 5
	s_cbranch_scc1 .LBB192_1112
; %bb.1108:
	s_cmp_lt_i32 s22, 8
	s_cbranch_scc1 .LBB192_1113
; %bb.1109:
	;; [unrolled: 3-line block ×3, first 2 shown]
	s_cmp_gt_i32 s22, 9
	s_cbranch_scc0 .LBB192_1115
; %bb.1111:
	global_load_dwordx2 v[0:1], v[4:5], off
	s_mov_b64 s[0:1], 0
	s_branch .LBB192_1116
.LBB192_1112:
                                        ; implicit-def: $vgpr0_vgpr1
	s_branch .LBB192_1133
.LBB192_1113:
                                        ; implicit-def: $vgpr0_vgpr1
	s_branch .LBB192_1122
.LBB192_1114:
	s_mov_b64 s[0:1], -1
                                        ; implicit-def: $vgpr0_vgpr1
	s_branch .LBB192_1119
.LBB192_1115:
	s_mov_b64 s[0:1], -1
                                        ; implicit-def: $vgpr0_vgpr1
.LBB192_1116:
	s_andn2_b64 vcc, exec, s[0:1]
	s_cbranch_vccnz .LBB192_1118
; %bb.1117:
	global_load_dword v0, v[4:5], off
	s_waitcnt vmcnt(0)
	v_cvt_f64_f32_e32 v[0:1], v0
.LBB192_1118:
	s_mov_b64 s[0:1], 0
.LBB192_1119:
	s_andn2_b64 vcc, exec, s[0:1]
	s_cbranch_vccnz .LBB192_1121
; %bb.1120:
	global_load_dword v0, v[4:5], off
	s_waitcnt vmcnt(0)
	v_cvt_f32_f16_e32 v0, v0
	v_cvt_f64_f32_e32 v[0:1], v0
.LBB192_1121:
	s_cbranch_execnz .LBB192_1132
.LBB192_1122:
	s_cmp_lt_i32 s22, 6
	s_cbranch_scc1 .LBB192_1125
; %bb.1123:
	s_cmp_gt_i32 s22, 6
	s_cbranch_scc0 .LBB192_1126
; %bb.1124:
	global_load_dwordx2 v[0:1], v[4:5], off
	s_mov_b64 s[0:1], 0
	s_branch .LBB192_1127
.LBB192_1125:
	s_mov_b64 s[0:1], -1
                                        ; implicit-def: $vgpr0_vgpr1
	s_branch .LBB192_1130
.LBB192_1126:
	s_mov_b64 s[0:1], -1
                                        ; implicit-def: $vgpr0_vgpr1
.LBB192_1127:
	s_andn2_b64 vcc, exec, s[0:1]
	s_cbranch_vccnz .LBB192_1129
; %bb.1128:
	global_load_dword v0, v[4:5], off
	s_waitcnt vmcnt(0)
	v_cvt_f64_f32_e32 v[0:1], v0
.LBB192_1129:
	s_mov_b64 s[0:1], 0
.LBB192_1130:
	s_andn2_b64 vcc, exec, s[0:1]
	s_cbranch_vccnz .LBB192_1132
; %bb.1131:
	global_load_ushort v0, v[4:5], off
	s_waitcnt vmcnt(0)
	v_cvt_f32_f16_e32 v0, v0
	v_cvt_f64_f32_e32 v[0:1], v0
.LBB192_1132:
	s_cbranch_execnz .LBB192_1151
.LBB192_1133:
	s_cmp_lt_i32 s22, 2
	s_cbranch_scc1 .LBB192_1137
; %bb.1134:
	s_cmp_lt_i32 s22, 3
	s_cbranch_scc1 .LBB192_1138
; %bb.1135:
	s_cmp_gt_i32 s22, 3
	s_cbranch_scc0 .LBB192_1139
; %bb.1136:
	global_load_dwordx2 v[0:1], v[4:5], off
	s_mov_b64 s[0:1], 0
	s_waitcnt vmcnt(0)
	v_cvt_f64_i32_e32 v[6:7], v1
	v_cvt_f64_u32_e32 v[0:1], v0
	v_ldexp_f64 v[6:7], v[6:7], 32
	v_add_f64 v[0:1], v[6:7], v[0:1]
	s_branch .LBB192_1140
.LBB192_1137:
                                        ; implicit-def: $vgpr0_vgpr1
	s_branch .LBB192_1146
.LBB192_1138:
	s_mov_b64 s[0:1], -1
                                        ; implicit-def: $vgpr0_vgpr1
	s_branch .LBB192_1143
.LBB192_1139:
	s_mov_b64 s[0:1], -1
                                        ; implicit-def: $vgpr0_vgpr1
.LBB192_1140:
	s_andn2_b64 vcc, exec, s[0:1]
	s_cbranch_vccnz .LBB192_1142
; %bb.1141:
	global_load_dword v0, v[4:5], off
	s_waitcnt vmcnt(0)
	v_cvt_f64_i32_e32 v[0:1], v0
.LBB192_1142:
	s_mov_b64 s[0:1], 0
.LBB192_1143:
	s_andn2_b64 vcc, exec, s[0:1]
	s_cbranch_vccnz .LBB192_1145
; %bb.1144:
	global_load_sshort v0, v[4:5], off
	s_waitcnt vmcnt(0)
	v_cvt_f64_i32_e32 v[0:1], v0
.LBB192_1145:
	s_cbranch_execnz .LBB192_1151
.LBB192_1146:
	s_cmp_gt_i32 s22, 0
	s_cbranch_scc0 .LBB192_1148
; %bb.1147:
	global_load_sbyte v0, v[4:5], off
	s_mov_b64 s[0:1], 0
	s_waitcnt vmcnt(0)
	v_cvt_f64_i32_e32 v[0:1], v0
	s_branch .LBB192_1149
.LBB192_1148:
	s_mov_b64 s[0:1], -1
                                        ; implicit-def: $vgpr0_vgpr1
.LBB192_1149:
	s_andn2_b64 vcc, exec, s[0:1]
	s_cbranch_vccnz .LBB192_1151
; %bb.1150:
	global_load_ubyte v0, v[4:5], off
	s_waitcnt vmcnt(0)
	v_cvt_f64_u32_e32 v[0:1], v0
.LBB192_1151:
.LBB192_1152:
	s_lshl_b32 s9, s9, 7
	v_add_u32_e32 v2, s9, v2
	v_ashrrev_i32_e32 v3, 31, v2
	s_cmp_lt_i32 s22, 11
	v_lshl_add_u64 v[4:5], s[6:7], 0, v[2:3]
	s_cbranch_scc1 .LBB192_1159
; %bb.1153:
	s_cmp_gt_i32 s22, 25
	s_mov_b64 s[10:11], 0
	s_cbranch_scc0 .LBB192_1161
; %bb.1154:
	s_cmp_gt_i32 s22, 28
	s_cbranch_scc0 .LBB192_1162
; %bb.1155:
	s_cmp_gt_i32 s22, 43
	;; [unrolled: 3-line block ×3, first 2 shown]
	s_cbranch_scc0 .LBB192_1165
; %bb.1157:
	s_cmp_eq_u32 s22, 46
	s_mov_b64 s[18:19], 0
	s_cbranch_scc0 .LBB192_1168
; %bb.1158:
	global_load_dword v3, v[4:5], off
	s_mov_b64 s[0:1], 0
	s_mov_b64 s[16:17], -1
	s_waitcnt vmcnt(0)
	v_lshlrev_b32_e32 v3, 16, v3
	v_cvt_f64_f32_e32 v[8:9], v3
	s_branch .LBB192_1169
.LBB192_1159:
	s_mov_b64 s[16:17], 0
                                        ; implicit-def: $vgpr8_vgpr9
	s_cbranch_execnz .LBB192_1234
.LBB192_1160:
	s_andn2_b64 vcc, exec, s[16:17]
	s_cbranch_vccnz .LBB192_1973
	s_branch .LBB192_1281
.LBB192_1161:
	s_mov_b64 s[16:17], 0
	s_mov_b64 s[0:1], 0
                                        ; implicit-def: $vgpr8_vgpr9
	s_cbranch_execnz .LBB192_1200
	s_branch .LBB192_1230
.LBB192_1162:
	s_mov_b64 s[18:19], -1
	s_mov_b64 s[16:17], 0
	s_mov_b64 s[0:1], 0
                                        ; implicit-def: $vgpr8_vgpr9
	s_branch .LBB192_1179
.LBB192_1163:
	s_mov_b64 s[18:19], -1
	s_mov_b64 s[16:17], 0
	s_mov_b64 s[0:1], 0
                                        ; implicit-def: $vgpr8_vgpr9
	s_branch .LBB192_1174
.LBB192_1164:
	s_or_b64 s[14:15], s[12:13], exec
	s_trap 2
	s_cbranch_execz .LBB192_1105
	s_branch .LBB192_1106
.LBB192_1165:
	s_mov_b64 s[18:19], -1
	s_mov_b64 s[16:17], 0
	s_mov_b64 s[0:1], 0
                                        ; implicit-def: $vgpr8_vgpr9
	s_branch .LBB192_1169
.LBB192_1166:
	s_andn2_saveexec_b64 s[24:25], s[24:25]
	s_cbranch_execz .LBB192_948
.LBB192_1167:
	s_mov_b32 s28, 0x42800000
	v_add_f32_e64 v3, |v2|, s28
	v_and_b32_e32 v3, 0xff, v3
	v_cmp_ne_u32_e32 vcc, 0, v3
	s_andn2_b64 s[22:23], s[22:23], exec
	s_and_b64 s[28:29], vcc, exec
	s_or_b64 s[22:23], s[22:23], s[28:29]
	s_or_b64 exec, exec, s[24:25]
	v_mov_b32_e32 v6, 0
	s_and_saveexec_b64 s[24:25], s[22:23]
	s_cbranch_execnz .LBB192_949
	s_branch .LBB192_950
.LBB192_1168:
	s_mov_b64 s[0:1], -1
                                        ; implicit-def: $vgpr8_vgpr9
	s_mov_b64 s[16:17], 0
.LBB192_1169:
	s_and_b64 vcc, exec, s[18:19]
	s_cbranch_vccz .LBB192_1173
; %bb.1170:
	s_cmp_eq_u32 s22, 44
	s_cbranch_scc0 .LBB192_1172
; %bb.1171:
	global_load_ubyte v3, v[4:5], off
	s_movk_i32 s16, 0xff
	v_bfrev_b32_e32 v8, 4
	v_mov_b32_e32 v9, 0x7ff80000
	v_bfrev_b32_e32 v11, 28
	s_mov_b64 s[0:1], 0
	s_waitcnt vmcnt(0)
	v_lshlrev_b32_e32 v6, 23, v3
	v_cvt_f64_f32_e32 v[6:7], v6
	v_cmp_ne_u32_e32 vcc, s16, v3
	s_mov_b64 s[16:17], -1
	s_nop 0
	v_cndmask_b32_e32 v6, v8, v6, vcc
	v_cndmask_b32_e32 v7, v9, v7, vcc
	v_cmp_ne_u32_e32 vcc, 0, v3
	s_nop 1
	v_cndmask_b32_e32 v9, v11, v7, vcc
	v_cndmask_b32_e32 v8, 0, v6, vcc
	s_branch .LBB192_1173
.LBB192_1172:
	s_mov_b64 s[0:1], -1
                                        ; implicit-def: $vgpr8_vgpr9
.LBB192_1173:
	s_mov_b64 s[18:19], 0
.LBB192_1174:
	s_and_b64 vcc, exec, s[18:19]
	s_cbranch_vccz .LBB192_1178
; %bb.1175:
	s_cmp_eq_u32 s22, 29
	s_cbranch_scc0 .LBB192_1177
; %bb.1176:
	global_load_dwordx2 v[6:7], v[4:5], off
	s_mov_b64 s[0:1], 0
	s_mov_b64 s[16:17], -1
	s_mov_b64 s[18:19], 0
	s_waitcnt vmcnt(0)
	v_cvt_f64_u32_e32 v[8:9], v7
	v_cvt_f64_u32_e32 v[6:7], v6
	v_ldexp_f64 v[8:9], v[8:9], 32
	v_add_f64 v[8:9], v[8:9], v[6:7]
	s_branch .LBB192_1179
.LBB192_1177:
	s_mov_b64 s[0:1], -1
                                        ; implicit-def: $vgpr8_vgpr9
.LBB192_1178:
	s_mov_b64 s[18:19], 0
.LBB192_1179:
	s_and_b64 vcc, exec, s[18:19]
	s_cbranch_vccz .LBB192_1199
; %bb.1180:
	s_cmp_lt_i32 s22, 27
	s_cbranch_scc1 .LBB192_1183
; %bb.1181:
	s_cmp_gt_i32 s22, 27
	s_cbranch_scc0 .LBB192_1184
; %bb.1182:
	global_load_dword v3, v[4:5], off
	s_mov_b64 s[16:17], 0
	s_waitcnt vmcnt(0)
	v_cvt_f64_u32_e32 v[8:9], v3
	s_branch .LBB192_1185
.LBB192_1183:
	s_mov_b64 s[16:17], -1
                                        ; implicit-def: $vgpr8_vgpr9
	s_branch .LBB192_1188
.LBB192_1184:
	s_mov_b64 s[16:17], -1
                                        ; implicit-def: $vgpr8_vgpr9
.LBB192_1185:
	s_andn2_b64 vcc, exec, s[16:17]
	s_cbranch_vccnz .LBB192_1187
; %bb.1186:
	global_load_ushort v3, v[4:5], off
	s_waitcnt vmcnt(0)
	v_cvt_f64_u32_e32 v[8:9], v3
.LBB192_1187:
	s_mov_b64 s[16:17], 0
.LBB192_1188:
	s_andn2_b64 vcc, exec, s[16:17]
	s_cbranch_vccnz .LBB192_1198
; %bb.1189:
	global_load_ubyte v3, v[4:5], off
	s_movk_i32 s16, 0x7f
	s_waitcnt vmcnt(0)
	v_cmp_lt_i16_e32 vcc, s16, v3
	s_mov_b64 s[16:17], 0
	s_and_saveexec_b64 s[18:19], vcc
	s_xor_b64 s[18:19], exec, s[18:19]
	s_cbranch_execz .LBB192_1193
; %bb.1190:
	s_movk_i32 s16, 0x80
	v_cmp_eq_u16_e32 vcc, s16, v3
	s_mov_b64 s[16:17], -1
	s_and_saveexec_b64 s[20:21], vcc
; %bb.1191:
	s_xor_b64 s[16:17], exec, -1
; %bb.1192:
	s_or_b64 exec, exec, s[20:21]
	s_and_b64 s[16:17], s[16:17], exec
.LBB192_1193:
	s_or_saveexec_b64 s[18:19], s[18:19]
	v_bfrev_b32_e32 v8, 4
	v_mov_b32_e32 v9, 0x7ff80000
	s_xor_b64 exec, exec, s[18:19]
; %bb.1194:
	v_cmp_ne_u16_e32 vcc, 0, v3
	s_andn2_b64 s[16:17], s[16:17], exec
	s_and_b64 s[20:21], vcc, exec
	v_mov_b64_e32 v[8:9], 0
	s_or_b64 s[16:17], s[16:17], s[20:21]
; %bb.1195:
	s_or_b64 exec, exec, s[18:19]
	s_and_saveexec_b64 s[18:19], s[16:17]
	s_cbranch_execz .LBB192_1197
; %bb.1196:
	v_lshlrev_b32_e32 v6, 24, v3
	v_and_b32_e32 v3, 0xffff, v3
	v_and_b32_e32 v7, 7, v3
	v_ffbh_u32_e32 v9, v7
	v_min_u32_e32 v9, 32, v9
	v_subrev_u32_e32 v11, 28, v9
	v_bfe_u32 v8, v3, 3, 4
	v_lshlrev_b32_e32 v3, v11, v3
	v_sub_u32_e32 v9, 29, v9
	v_and_b32_e32 v3, 7, v3
	v_cmp_eq_u32_e32 vcc, 0, v8
	v_and_b32_e32 v6, 0x80000000, v6
	s_nop 0
	v_cndmask_b32_e32 v8, v8, v9, vcc
	v_cndmask_b32_e32 v3, v7, v3, vcc
	v_mov_b32_e32 v7, 0x3b800000
	v_lshlrev_b32_e32 v3, 20, v3
	v_lshl_add_u32 v7, v8, 23, v7
	v_or3_b32 v3, v6, v7, v3
	v_cvt_f64_f32_e32 v[8:9], v3
.LBB192_1197:
	s_or_b64 exec, exec, s[18:19]
.LBB192_1198:
	s_mov_b64 s[16:17], -1
.LBB192_1199:
	s_branch .LBB192_1230
.LBB192_1200:
	s_cmp_gt_i32 s22, 22
	s_cbranch_scc0 .LBB192_1212
; %bb.1201:
	s_cmp_lt_i32 s22, 24
	s_cbranch_scc1 .LBB192_1213
; %bb.1202:
	s_cmp_gt_i32 s22, 24
	s_cbranch_scc0 .LBB192_1214
; %bb.1203:
	global_load_ubyte v3, v[4:5], off
	s_movk_i32 s10, 0x7f
	s_waitcnt vmcnt(0)
	v_cmp_lt_i16_e32 vcc, s10, v3
	s_mov_b64 s[10:11], 0
	s_and_saveexec_b64 s[16:17], vcc
	s_xor_b64 s[16:17], exec, s[16:17]
	s_cbranch_execz .LBB192_1207
; %bb.1204:
	s_movk_i32 s10, 0x80
	v_cmp_eq_u16_e32 vcc, s10, v3
	s_mov_b64 s[10:11], -1
	s_and_saveexec_b64 s[18:19], vcc
; %bb.1205:
	s_xor_b64 s[10:11], exec, -1
; %bb.1206:
	s_or_b64 exec, exec, s[18:19]
	s_and_b64 s[10:11], s[10:11], exec
.LBB192_1207:
	s_or_saveexec_b64 s[16:17], s[16:17]
	v_bfrev_b32_e32 v8, 4
	v_mov_b32_e32 v9, 0x7ff80000
	s_xor_b64 exec, exec, s[16:17]
; %bb.1208:
	v_cmp_ne_u16_e32 vcc, 0, v3
	s_andn2_b64 s[10:11], s[10:11], exec
	s_and_b64 s[18:19], vcc, exec
	v_mov_b64_e32 v[8:9], 0
	s_or_b64 s[10:11], s[10:11], s[18:19]
; %bb.1209:
	s_or_b64 exec, exec, s[16:17]
	s_and_saveexec_b64 s[16:17], s[10:11]
	s_cbranch_execz .LBB192_1211
; %bb.1210:
	v_lshlrev_b32_e32 v6, 24, v3
	v_and_b32_e32 v3, 0xffff, v3
	v_and_b32_e32 v7, 3, v3
	v_ffbh_u32_e32 v9, v7
	v_min_u32_e32 v9, 32, v9
	v_subrev_u32_e32 v11, 29, v9
	v_bfe_u32 v8, v3, 2, 5
	v_lshlrev_b32_e32 v3, v11, v3
	v_sub_u32_e32 v9, 30, v9
	v_and_b32_e32 v3, 3, v3
	v_cmp_eq_u32_e32 vcc, 0, v8
	v_and_b32_e32 v6, 0x80000000, v6
	s_nop 0
	v_cndmask_b32_e32 v8, v8, v9, vcc
	v_cndmask_b32_e32 v3, v7, v3, vcc
	v_mov_b32_e32 v7, 0x37800000
	v_lshlrev_b32_e32 v3, 21, v3
	v_lshl_add_u32 v7, v8, 23, v7
	v_or3_b32 v3, v6, v7, v3
	v_cvt_f64_f32_e32 v[8:9], v3
.LBB192_1211:
	s_or_b64 exec, exec, s[16:17]
	s_mov_b64 s[10:11], 0
	s_branch .LBB192_1215
.LBB192_1212:
	s_mov_b64 s[10:11], -1
                                        ; implicit-def: $vgpr8_vgpr9
	s_branch .LBB192_1221
.LBB192_1213:
	s_mov_b64 s[10:11], -1
                                        ; implicit-def: $vgpr8_vgpr9
	s_branch .LBB192_1218
.LBB192_1214:
	s_mov_b64 s[10:11], -1
                                        ; implicit-def: $vgpr8_vgpr9
.LBB192_1215:
	s_and_b64 vcc, exec, s[10:11]
	s_cbranch_vccz .LBB192_1217
; %bb.1216:
	global_load_ubyte v3, v[4:5], off
	s_mov_b32 s10, 0x7f800000
	s_waitcnt vmcnt(0)
	v_lshlrev_b32_e32 v3, 24, v3
	v_and_b32_e32 v6, 0x7f000000, v3
	v_ffbh_u32_e32 v7, v6
	v_min_u32_e32 v7, 32, v7
	v_sub_u32_e64 v7, v7, 4 clamp
	v_lshlrev_b32_e32 v9, v7, v6
	v_lshlrev_b32_e32 v7, 23, v7
	v_lshrrev_b32_e32 v9, 4, v9
	v_add_u32_e32 v8, 0x1000000, v6
	v_sub_u32_e32 v7, v9, v7
	v_ashrrev_i32_e32 v8, 8, v8
	v_add_u32_e32 v7, 0x3c000000, v7
	v_and_or_b32 v7, v8, s10, v7
	v_cmp_ne_u32_e32 vcc, 0, v6
	s_brev_b32 s10, 1
	s_nop 0
	v_cndmask_b32_e32 v6, 0, v7, vcc
	v_and_or_b32 v3, v3, s10, v6
	v_cvt_f64_f32_e32 v[8:9], v3
.LBB192_1217:
	s_mov_b64 s[10:11], 0
.LBB192_1218:
	s_andn2_b64 vcc, exec, s[10:11]
	s_cbranch_vccnz .LBB192_1220
; %bb.1219:
	global_load_ubyte v3, v[4:5], off
	s_movk_i32 s10, 0x7f00
	s_brev_b32 s11, 16
	s_waitcnt vmcnt(0)
	v_lshlrev_b16_e32 v6, 8, v3
	v_lshlrev_b32_e32 v3, 25, v3
	v_lshrrev_b32_e32 v7, 4, v3
	v_and_or_b32 v8, v6, s10, 0.5
	v_or_b32_e32 v7, 0x70000000, v7
	v_add_f32_e32 v8, -0.5, v8
	v_mul_f32_e32 v7, 0x7800000, v7
	v_cmp_gt_u32_e32 vcc, s11, v3
	v_bfe_i32 v6, v6, 0, 16
	s_brev_b32 s10, 1
	v_cndmask_b32_e32 v3, v7, v8, vcc
	v_and_or_b32 v3, v6, s10, v3
	v_cvt_f64_f32_e32 v[8:9], v3
.LBB192_1220:
	s_mov_b64 s[10:11], 0
	s_mov_b64 s[16:17], -1
.LBB192_1221:
	s_andn2_b64 vcc, exec, s[10:11]
	s_mov_b64 s[10:11], 0
	s_cbranch_vccnz .LBB192_1230
; %bb.1222:
	s_cmp_gt_i32 s22, 14
	s_cbranch_scc0 .LBB192_1225
; %bb.1223:
	s_cmp_eq_u32 s22, 15
	s_cbranch_scc0 .LBB192_1226
; %bb.1224:
	global_load_ushort v3, v[4:5], off
	s_mov_b64 s[0:1], 0
	s_mov_b64 s[16:17], -1
	s_waitcnt vmcnt(0)
	v_lshlrev_b32_e32 v3, 16, v3
	v_cvt_f64_f32_e32 v[8:9], v3
	s_branch .LBB192_1227
.LBB192_1225:
	s_mov_b64 s[18:19], -1
                                        ; implicit-def: $vgpr8_vgpr9
	s_branch .LBB192_1228
.LBB192_1226:
	s_mov_b64 s[0:1], -1
                                        ; implicit-def: $vgpr8_vgpr9
.LBB192_1227:
	s_mov_b64 s[18:19], 0
.LBB192_1228:
	s_and_b64 vcc, exec, s[18:19]
	s_cbranch_vccz .LBB192_1230
; %bb.1229:
	s_cmp_lg_u32 s22, 11
	s_mov_b64 s[10:11], -1
	s_cselect_b64 s[0:1], -1, 0
.LBB192_1230:
	s_and_b64 vcc, exec, s[0:1]
	s_cbranch_vccnz .LBB192_1293
; %bb.1231:
	s_andn2_b64 vcc, exec, s[10:11]
	s_cbranch_vccnz .LBB192_1233
.LBB192_1232:
	global_load_ubyte v3, v[4:5], off
	v_mov_b32_e32 v6, 0x3ff00000
	v_mov_b32_e32 v8, 0
	s_mov_b64 s[16:17], -1
	s_waitcnt vmcnt(0)
	v_cmp_ne_u16_e32 vcc, 0, v3
	s_nop 1
	v_cndmask_b32_e32 v9, 0, v6, vcc
.LBB192_1233:
	s_branch .LBB192_1160
.LBB192_1234:
	s_cmp_lt_i32 s22, 5
	s_cbranch_scc1 .LBB192_1239
; %bb.1235:
	s_cmp_lt_i32 s22, 8
	s_cbranch_scc1 .LBB192_1240
; %bb.1236:
	;; [unrolled: 3-line block ×3, first 2 shown]
	s_cmp_gt_i32 s22, 9
	s_cbranch_scc0 .LBB192_1242
; %bb.1238:
	global_load_dwordx2 v[8:9], v[4:5], off
	s_mov_b64 s[0:1], 0
	s_branch .LBB192_1243
.LBB192_1239:
                                        ; implicit-def: $vgpr8_vgpr9
	s_branch .LBB192_1261
.LBB192_1240:
	s_mov_b64 s[0:1], -1
                                        ; implicit-def: $vgpr8_vgpr9
	s_branch .LBB192_1249
.LBB192_1241:
	s_mov_b64 s[0:1], -1
                                        ; implicit-def: $vgpr8_vgpr9
	s_branch .LBB192_1246
.LBB192_1242:
	s_mov_b64 s[0:1], -1
                                        ; implicit-def: $vgpr8_vgpr9
.LBB192_1243:
	s_andn2_b64 vcc, exec, s[0:1]
	s_cbranch_vccnz .LBB192_1245
; %bb.1244:
	global_load_dword v3, v[4:5], off
	s_waitcnt vmcnt(0)
	v_cvt_f64_f32_e32 v[8:9], v3
.LBB192_1245:
	s_mov_b64 s[0:1], 0
.LBB192_1246:
	s_andn2_b64 vcc, exec, s[0:1]
	s_cbranch_vccnz .LBB192_1248
; %bb.1247:
	global_load_dword v3, v[4:5], off
	s_waitcnt vmcnt(0)
	v_cvt_f32_f16_e32 v3, v3
	v_cvt_f64_f32_e32 v[8:9], v3
.LBB192_1248:
	s_mov_b64 s[0:1], 0
.LBB192_1249:
	s_andn2_b64 vcc, exec, s[0:1]
	s_cbranch_vccnz .LBB192_1260
; %bb.1250:
	s_cmp_lt_i32 s22, 6
	s_cbranch_scc1 .LBB192_1253
; %bb.1251:
	s_cmp_gt_i32 s22, 6
	s_cbranch_scc0 .LBB192_1254
; %bb.1252:
	global_load_dwordx2 v[8:9], v[4:5], off
	s_mov_b64 s[0:1], 0
	s_branch .LBB192_1255
.LBB192_1253:
	s_mov_b64 s[0:1], -1
                                        ; implicit-def: $vgpr8_vgpr9
	s_branch .LBB192_1258
.LBB192_1254:
	s_mov_b64 s[0:1], -1
                                        ; implicit-def: $vgpr8_vgpr9
.LBB192_1255:
	s_andn2_b64 vcc, exec, s[0:1]
	s_cbranch_vccnz .LBB192_1257
; %bb.1256:
	global_load_dword v3, v[4:5], off
	s_waitcnt vmcnt(0)
	v_cvt_f64_f32_e32 v[8:9], v3
.LBB192_1257:
	s_mov_b64 s[0:1], 0
.LBB192_1258:
	s_andn2_b64 vcc, exec, s[0:1]
	s_cbranch_vccnz .LBB192_1260
; %bb.1259:
	global_load_ushort v3, v[4:5], off
	s_waitcnt vmcnt(0)
	v_cvt_f32_f16_e32 v3, v3
	v_cvt_f64_f32_e32 v[8:9], v3
.LBB192_1260:
	s_cbranch_execnz .LBB192_1280
.LBB192_1261:
	s_cmp_lt_i32 s22, 2
	s_cbranch_scc1 .LBB192_1265
; %bb.1262:
	s_cmp_lt_i32 s22, 3
	s_cbranch_scc1 .LBB192_1266
; %bb.1263:
	s_cmp_gt_i32 s22, 3
	s_cbranch_scc0 .LBB192_1267
; %bb.1264:
	global_load_dwordx2 v[6:7], v[4:5], off
	s_mov_b64 s[0:1], 0
	s_waitcnt vmcnt(0)
	v_cvt_f64_i32_e32 v[8:9], v7
	v_cvt_f64_u32_e32 v[6:7], v6
	v_ldexp_f64 v[8:9], v[8:9], 32
	v_add_f64 v[8:9], v[8:9], v[6:7]
	s_branch .LBB192_1268
.LBB192_1265:
	s_mov_b64 s[0:1], -1
                                        ; implicit-def: $vgpr8_vgpr9
	s_branch .LBB192_1274
.LBB192_1266:
	s_mov_b64 s[0:1], -1
                                        ; implicit-def: $vgpr8_vgpr9
	s_branch .LBB192_1271
.LBB192_1267:
	s_mov_b64 s[0:1], -1
                                        ; implicit-def: $vgpr8_vgpr9
.LBB192_1268:
	s_andn2_b64 vcc, exec, s[0:1]
	s_cbranch_vccnz .LBB192_1270
; %bb.1269:
	global_load_dword v3, v[4:5], off
	s_waitcnt vmcnt(0)
	v_cvt_f64_i32_e32 v[8:9], v3
.LBB192_1270:
	s_mov_b64 s[0:1], 0
.LBB192_1271:
	s_andn2_b64 vcc, exec, s[0:1]
	s_cbranch_vccnz .LBB192_1273
; %bb.1272:
	global_load_sshort v3, v[4:5], off
	s_waitcnt vmcnt(0)
	v_cvt_f64_i32_e32 v[8:9], v3
.LBB192_1273:
	s_mov_b64 s[0:1], 0
.LBB192_1274:
	s_andn2_b64 vcc, exec, s[0:1]
	s_cbranch_vccnz .LBB192_1280
; %bb.1275:
	s_cmp_gt_i32 s22, 0
	s_cbranch_scc0 .LBB192_1277
; %bb.1276:
	global_load_sbyte v3, v[4:5], off
	s_mov_b64 s[0:1], 0
	s_waitcnt vmcnt(0)
	v_cvt_f64_i32_e32 v[8:9], v3
	s_branch .LBB192_1278
.LBB192_1277:
	s_mov_b64 s[0:1], -1
                                        ; implicit-def: $vgpr8_vgpr9
.LBB192_1278:
	s_andn2_b64 vcc, exec, s[0:1]
	s_cbranch_vccnz .LBB192_1280
; %bb.1279:
	global_load_ubyte v3, v[4:5], off
	s_waitcnt vmcnt(0)
	v_cvt_f64_u32_e32 v[8:9], v3
.LBB192_1280:
.LBB192_1281:
	v_add_u32_e32 v2, s9, v2
	v_ashrrev_i32_e32 v3, 31, v2
	s_cmp_lt_i32 s22, 11
	v_lshl_add_u64 v[4:5], s[6:7], 0, v[2:3]
	s_cbranch_scc1 .LBB192_1288
; %bb.1282:
	s_cmp_gt_i32 s22, 25
	s_mov_b64 s[10:11], 0
	s_cbranch_scc0 .LBB192_1290
; %bb.1283:
	s_cmp_gt_i32 s22, 28
	s_cbranch_scc0 .LBB192_1291
; %bb.1284:
	s_cmp_gt_i32 s22, 43
	;; [unrolled: 3-line block ×3, first 2 shown]
	s_cbranch_scc0 .LBB192_1294
; %bb.1286:
	s_cmp_eq_u32 s22, 46
	s_mov_b64 s[18:19], 0
	s_cbranch_scc0 .LBB192_1295
; %bb.1287:
	global_load_dword v3, v[4:5], off
	s_mov_b64 s[0:1], 0
	s_mov_b64 s[16:17], -1
	s_waitcnt vmcnt(0)
	v_lshlrev_b32_e32 v3, 16, v3
	v_cvt_f64_f32_e32 v[6:7], v3
	s_branch .LBB192_1296
.LBB192_1288:
	s_mov_b64 s[16:17], 0
                                        ; implicit-def: $vgpr6_vgpr7
	s_cbranch_execnz .LBB192_1362
.LBB192_1289:
	s_andn2_b64 vcc, exec, s[16:17]
	s_cbranch_vccnz .LBB192_1973
	s_branch .LBB192_1410
.LBB192_1290:
	s_mov_b64 s[18:19], -1
	s_mov_b64 s[16:17], 0
	s_mov_b64 s[0:1], 0
                                        ; implicit-def: $vgpr6_vgpr7
	s_branch .LBB192_1327
.LBB192_1291:
	s_mov_b64 s[18:19], -1
	s_mov_b64 s[16:17], 0
	s_mov_b64 s[0:1], 0
                                        ; implicit-def: $vgpr6_vgpr7
	s_branch .LBB192_1306
.LBB192_1292:
	s_mov_b64 s[18:19], -1
	s_mov_b64 s[16:17], 0
	s_mov_b64 s[0:1], 0
                                        ; implicit-def: $vgpr6_vgpr7
	s_branch .LBB192_1301
.LBB192_1293:
	s_trap 2
	s_or_b64 s[14:15], s[14:15], exec
	s_cbranch_execz .LBB192_1232
	s_branch .LBB192_1233
.LBB192_1294:
	s_mov_b64 s[18:19], -1
	s_mov_b64 s[16:17], 0
	s_mov_b64 s[0:1], 0
                                        ; implicit-def: $vgpr6_vgpr7
	s_branch .LBB192_1296
.LBB192_1295:
	s_mov_b64 s[0:1], -1
                                        ; implicit-def: $vgpr6_vgpr7
	s_mov_b64 s[16:17], 0
.LBB192_1296:
	s_and_b64 vcc, exec, s[18:19]
	s_cbranch_vccz .LBB192_1300
; %bb.1297:
	s_cmp_eq_u32 s22, 44
	s_cbranch_scc0 .LBB192_1299
; %bb.1298:
	global_load_ubyte v3, v[4:5], off
	s_movk_i32 s16, 0xff
	v_bfrev_b32_e32 v11, 4
	v_mov_b32_e32 v12, 0x7ff80000
	v_bfrev_b32_e32 v13, 28
	s_mov_b64 s[0:1], 0
	s_waitcnt vmcnt(0)
	v_lshlrev_b32_e32 v6, 23, v3
	v_cvt_f64_f32_e32 v[6:7], v6
	v_cmp_ne_u32_e32 vcc, s16, v3
	s_mov_b64 s[16:17], -1
	s_nop 0
	v_cndmask_b32_e32 v6, v11, v6, vcc
	v_cndmask_b32_e32 v7, v12, v7, vcc
	v_cmp_ne_u32_e32 vcc, 0, v3
	s_nop 1
	v_cndmask_b32_e32 v7, v13, v7, vcc
	v_cndmask_b32_e32 v6, 0, v6, vcc
	s_branch .LBB192_1300
.LBB192_1299:
	s_mov_b64 s[0:1], -1
                                        ; implicit-def: $vgpr6_vgpr7
.LBB192_1300:
	s_mov_b64 s[18:19], 0
.LBB192_1301:
	s_and_b64 vcc, exec, s[18:19]
	s_cbranch_vccz .LBB192_1305
; %bb.1302:
	s_cmp_eq_u32 s22, 29
	s_cbranch_scc0 .LBB192_1304
; %bb.1303:
	global_load_dwordx2 v[6:7], v[4:5], off
	s_mov_b64 s[0:1], 0
	s_mov_b64 s[16:17], -1
	s_mov_b64 s[18:19], 0
	s_waitcnt vmcnt(0)
	v_cvt_f64_u32_e32 v[12:13], v7
	v_cvt_f64_u32_e32 v[6:7], v6
	v_ldexp_f64 v[12:13], v[12:13], 32
	v_add_f64 v[6:7], v[12:13], v[6:7]
	s_branch .LBB192_1306
.LBB192_1304:
	s_mov_b64 s[0:1], -1
                                        ; implicit-def: $vgpr6_vgpr7
.LBB192_1305:
	s_mov_b64 s[18:19], 0
.LBB192_1306:
	s_and_b64 vcc, exec, s[18:19]
	s_cbranch_vccz .LBB192_1326
; %bb.1307:
	s_cmp_lt_i32 s22, 27
	s_cbranch_scc1 .LBB192_1310
; %bb.1308:
	s_cmp_gt_i32 s22, 27
	s_cbranch_scc0 .LBB192_1311
; %bb.1309:
	global_load_dword v3, v[4:5], off
	s_mov_b64 s[16:17], 0
	s_waitcnt vmcnt(0)
	v_cvt_f64_u32_e32 v[6:7], v3
	s_branch .LBB192_1312
.LBB192_1310:
	s_mov_b64 s[16:17], -1
                                        ; implicit-def: $vgpr6_vgpr7
	s_branch .LBB192_1315
.LBB192_1311:
	s_mov_b64 s[16:17], -1
                                        ; implicit-def: $vgpr6_vgpr7
.LBB192_1312:
	s_andn2_b64 vcc, exec, s[16:17]
	s_cbranch_vccnz .LBB192_1314
; %bb.1313:
	global_load_ushort v3, v[4:5], off
	s_waitcnt vmcnt(0)
	v_cvt_f64_u32_e32 v[6:7], v3
.LBB192_1314:
	s_mov_b64 s[16:17], 0
.LBB192_1315:
	s_andn2_b64 vcc, exec, s[16:17]
	s_cbranch_vccnz .LBB192_1325
; %bb.1316:
	global_load_ubyte v3, v[4:5], off
	s_movk_i32 s16, 0x7f
	s_waitcnt vmcnt(0)
	v_cmp_lt_i16_e32 vcc, s16, v3
	s_mov_b64 s[16:17], 0
	s_and_saveexec_b64 s[18:19], vcc
	s_xor_b64 s[18:19], exec, s[18:19]
	s_cbranch_execz .LBB192_1320
; %bb.1317:
	s_movk_i32 s16, 0x80
	v_cmp_eq_u16_e32 vcc, s16, v3
	s_mov_b64 s[16:17], -1
	s_and_saveexec_b64 s[20:21], vcc
; %bb.1318:
	s_xor_b64 s[16:17], exec, -1
; %bb.1319:
	s_or_b64 exec, exec, s[20:21]
	s_and_b64 s[16:17], s[16:17], exec
.LBB192_1320:
	s_or_saveexec_b64 s[18:19], s[18:19]
	v_bfrev_b32_e32 v6, 4
	v_mov_b32_e32 v7, 0x7ff80000
	s_xor_b64 exec, exec, s[18:19]
; %bb.1321:
	v_cmp_ne_u16_e32 vcc, 0, v3
	s_andn2_b64 s[16:17], s[16:17], exec
	s_and_b64 s[20:21], vcc, exec
	v_mov_b64_e32 v[6:7], 0
	s_or_b64 s[16:17], s[16:17], s[20:21]
; %bb.1322:
	s_or_b64 exec, exec, s[18:19]
	s_and_saveexec_b64 s[18:19], s[16:17]
	s_cbranch_execz .LBB192_1324
; %bb.1323:
	v_lshlrev_b32_e32 v6, 24, v3
	v_and_b32_e32 v3, 0xffff, v3
	v_and_b32_e32 v7, 7, v3
	v_ffbh_u32_e32 v12, v7
	v_min_u32_e32 v12, 32, v12
	v_subrev_u32_e32 v13, 28, v12
	v_bfe_u32 v11, v3, 3, 4
	v_lshlrev_b32_e32 v3, v13, v3
	v_sub_u32_e32 v12, 29, v12
	v_and_b32_e32 v3, 7, v3
	v_cmp_eq_u32_e32 vcc, 0, v11
	v_and_b32_e32 v6, 0x80000000, v6
	s_nop 0
	v_cndmask_b32_e32 v11, v11, v12, vcc
	v_cndmask_b32_e32 v3, v7, v3, vcc
	v_mov_b32_e32 v7, 0x3b800000
	v_lshlrev_b32_e32 v3, 20, v3
	v_lshl_add_u32 v7, v11, 23, v7
	v_or3_b32 v3, v6, v7, v3
	v_cvt_f64_f32_e32 v[6:7], v3
.LBB192_1324:
	s_or_b64 exec, exec, s[18:19]
.LBB192_1325:
	s_mov_b64 s[16:17], -1
.LBB192_1326:
	s_mov_b64 s[18:19], 0
.LBB192_1327:
	s_and_b64 vcc, exec, s[18:19]
	s_cbranch_vccz .LBB192_1358
; %bb.1328:
	s_cmp_gt_i32 s22, 22
	s_cbranch_scc0 .LBB192_1340
; %bb.1329:
	s_cmp_lt_i32 s22, 24
	s_cbranch_scc1 .LBB192_1341
; %bb.1330:
	s_cmp_gt_i32 s22, 24
	s_cbranch_scc0 .LBB192_1342
; %bb.1331:
	global_load_ubyte v3, v[4:5], off
	s_movk_i32 s10, 0x7f
	s_waitcnt vmcnt(0)
	v_cmp_lt_i16_e32 vcc, s10, v3
	s_mov_b64 s[10:11], 0
	s_and_saveexec_b64 s[16:17], vcc
	s_xor_b64 s[16:17], exec, s[16:17]
	s_cbranch_execz .LBB192_1335
; %bb.1332:
	s_movk_i32 s10, 0x80
	v_cmp_eq_u16_e32 vcc, s10, v3
	s_mov_b64 s[10:11], -1
	s_and_saveexec_b64 s[18:19], vcc
; %bb.1333:
	s_xor_b64 s[10:11], exec, -1
; %bb.1334:
	s_or_b64 exec, exec, s[18:19]
	s_and_b64 s[10:11], s[10:11], exec
.LBB192_1335:
	s_or_saveexec_b64 s[16:17], s[16:17]
	v_bfrev_b32_e32 v6, 4
	v_mov_b32_e32 v7, 0x7ff80000
	s_xor_b64 exec, exec, s[16:17]
; %bb.1336:
	v_cmp_ne_u16_e32 vcc, 0, v3
	s_andn2_b64 s[10:11], s[10:11], exec
	s_and_b64 s[18:19], vcc, exec
	v_mov_b64_e32 v[6:7], 0
	s_or_b64 s[10:11], s[10:11], s[18:19]
; %bb.1337:
	s_or_b64 exec, exec, s[16:17]
	s_and_saveexec_b64 s[16:17], s[10:11]
	s_cbranch_execz .LBB192_1339
; %bb.1338:
	v_lshlrev_b32_e32 v6, 24, v3
	v_and_b32_e32 v3, 0xffff, v3
	v_and_b32_e32 v7, 3, v3
	v_ffbh_u32_e32 v12, v7
	v_min_u32_e32 v12, 32, v12
	v_subrev_u32_e32 v13, 29, v12
	v_bfe_u32 v11, v3, 2, 5
	v_lshlrev_b32_e32 v3, v13, v3
	v_sub_u32_e32 v12, 30, v12
	v_and_b32_e32 v3, 3, v3
	v_cmp_eq_u32_e32 vcc, 0, v11
	v_and_b32_e32 v6, 0x80000000, v6
	s_nop 0
	v_cndmask_b32_e32 v11, v11, v12, vcc
	v_cndmask_b32_e32 v3, v7, v3, vcc
	v_mov_b32_e32 v7, 0x37800000
	v_lshlrev_b32_e32 v3, 21, v3
	v_lshl_add_u32 v7, v11, 23, v7
	v_or3_b32 v3, v6, v7, v3
	v_cvt_f64_f32_e32 v[6:7], v3
.LBB192_1339:
	s_or_b64 exec, exec, s[16:17]
	s_mov_b64 s[10:11], 0
	s_branch .LBB192_1343
.LBB192_1340:
	s_mov_b64 s[10:11], -1
                                        ; implicit-def: $vgpr6_vgpr7
	s_branch .LBB192_1349
.LBB192_1341:
	s_mov_b64 s[10:11], -1
                                        ; implicit-def: $vgpr6_vgpr7
	s_branch .LBB192_1346
.LBB192_1342:
	s_mov_b64 s[10:11], -1
                                        ; implicit-def: $vgpr6_vgpr7
.LBB192_1343:
	s_and_b64 vcc, exec, s[10:11]
	s_cbranch_vccz .LBB192_1345
; %bb.1344:
	global_load_ubyte v3, v[4:5], off
	s_mov_b32 s10, 0x7f800000
	s_waitcnt vmcnt(0)
	v_lshlrev_b32_e32 v3, 24, v3
	v_and_b32_e32 v6, 0x7f000000, v3
	v_ffbh_u32_e32 v7, v6
	v_min_u32_e32 v7, 32, v7
	v_sub_u32_e64 v7, v7, 4 clamp
	v_lshlrev_b32_e32 v12, v7, v6
	v_lshlrev_b32_e32 v7, 23, v7
	v_lshrrev_b32_e32 v12, 4, v12
	v_add_u32_e32 v11, 0x1000000, v6
	v_sub_u32_e32 v7, v12, v7
	v_ashrrev_i32_e32 v11, 8, v11
	v_add_u32_e32 v7, 0x3c000000, v7
	v_and_or_b32 v7, v11, s10, v7
	v_cmp_ne_u32_e32 vcc, 0, v6
	s_brev_b32 s10, 1
	s_nop 0
	v_cndmask_b32_e32 v6, 0, v7, vcc
	v_and_or_b32 v3, v3, s10, v6
	v_cvt_f64_f32_e32 v[6:7], v3
.LBB192_1345:
	s_mov_b64 s[10:11], 0
.LBB192_1346:
	s_andn2_b64 vcc, exec, s[10:11]
	s_cbranch_vccnz .LBB192_1348
; %bb.1347:
	global_load_ubyte v3, v[4:5], off
	s_movk_i32 s10, 0x7f00
	s_brev_b32 s11, 16
	s_waitcnt vmcnt(0)
	v_lshlrev_b16_e32 v6, 8, v3
	v_lshlrev_b32_e32 v3, 25, v3
	v_lshrrev_b32_e32 v7, 4, v3
	v_and_or_b32 v11, v6, s10, 0.5
	v_or_b32_e32 v7, 0x70000000, v7
	v_add_f32_e32 v11, -0.5, v11
	v_mul_f32_e32 v7, 0x7800000, v7
	v_cmp_gt_u32_e32 vcc, s11, v3
	v_bfe_i32 v6, v6, 0, 16
	s_brev_b32 s10, 1
	v_cndmask_b32_e32 v3, v7, v11, vcc
	v_and_or_b32 v3, v6, s10, v3
	v_cvt_f64_f32_e32 v[6:7], v3
.LBB192_1348:
	s_mov_b64 s[10:11], 0
	s_mov_b64 s[16:17], -1
.LBB192_1349:
	s_andn2_b64 vcc, exec, s[10:11]
	s_mov_b64 s[10:11], 0
	s_cbranch_vccnz .LBB192_1358
; %bb.1350:
	s_cmp_gt_i32 s22, 14
	s_cbranch_scc0 .LBB192_1353
; %bb.1351:
	s_cmp_eq_u32 s22, 15
	s_cbranch_scc0 .LBB192_1354
; %bb.1352:
	global_load_ushort v3, v[4:5], off
	s_mov_b64 s[0:1], 0
	s_mov_b64 s[16:17], -1
	s_waitcnt vmcnt(0)
	v_lshlrev_b32_e32 v3, 16, v3
	v_cvt_f64_f32_e32 v[6:7], v3
	s_branch .LBB192_1355
.LBB192_1353:
	s_mov_b64 s[18:19], -1
                                        ; implicit-def: $vgpr6_vgpr7
	s_branch .LBB192_1356
.LBB192_1354:
	s_mov_b64 s[0:1], -1
                                        ; implicit-def: $vgpr6_vgpr7
.LBB192_1355:
	s_mov_b64 s[18:19], 0
.LBB192_1356:
	s_and_b64 vcc, exec, s[18:19]
	s_cbranch_vccz .LBB192_1358
; %bb.1357:
	s_cmp_lg_u32 s22, 11
	s_mov_b64 s[10:11], -1
	s_cselect_b64 s[0:1], -1, 0
.LBB192_1358:
	s_and_b64 vcc, exec, s[0:1]
	s_cbranch_vccnz .LBB192_1421
; %bb.1359:
	s_andn2_b64 vcc, exec, s[10:11]
	s_cbranch_vccnz .LBB192_1361
.LBB192_1360:
	global_load_ubyte v3, v[4:5], off
	v_mov_b32_e32 v7, 0x3ff00000
	v_mov_b32_e32 v6, 0
	s_mov_b64 s[16:17], -1
	s_waitcnt vmcnt(0)
	v_cmp_ne_u16_e32 vcc, 0, v3
	s_nop 1
	v_cndmask_b32_e32 v7, 0, v7, vcc
.LBB192_1361:
	s_branch .LBB192_1289
.LBB192_1362:
	s_cmp_lt_i32 s22, 5
	s_cbranch_scc1 .LBB192_1367
; %bb.1363:
	s_cmp_lt_i32 s22, 8
	s_cbranch_scc1 .LBB192_1368
; %bb.1364:
	;; [unrolled: 3-line block ×3, first 2 shown]
	s_cmp_gt_i32 s22, 9
	s_cbranch_scc0 .LBB192_1370
; %bb.1366:
	global_load_dwordx2 v[6:7], v[4:5], off
	s_mov_b64 s[0:1], 0
	s_branch .LBB192_1371
.LBB192_1367:
	s_mov_b64 s[0:1], -1
                                        ; implicit-def: $vgpr6_vgpr7
	s_branch .LBB192_1389
.LBB192_1368:
	s_mov_b64 s[0:1], -1
                                        ; implicit-def: $vgpr6_vgpr7
	s_branch .LBB192_1377
.LBB192_1369:
	s_mov_b64 s[0:1], -1
                                        ; implicit-def: $vgpr6_vgpr7
	s_branch .LBB192_1374
.LBB192_1370:
	s_mov_b64 s[0:1], -1
                                        ; implicit-def: $vgpr6_vgpr7
.LBB192_1371:
	s_andn2_b64 vcc, exec, s[0:1]
	s_cbranch_vccnz .LBB192_1373
; %bb.1372:
	global_load_dword v3, v[4:5], off
	s_waitcnt vmcnt(0)
	v_cvt_f64_f32_e32 v[6:7], v3
.LBB192_1373:
	s_mov_b64 s[0:1], 0
.LBB192_1374:
	s_andn2_b64 vcc, exec, s[0:1]
	s_cbranch_vccnz .LBB192_1376
; %bb.1375:
	global_load_dword v3, v[4:5], off
	s_waitcnt vmcnt(0)
	v_cvt_f32_f16_e32 v3, v3
	v_cvt_f64_f32_e32 v[6:7], v3
.LBB192_1376:
	s_mov_b64 s[0:1], 0
.LBB192_1377:
	s_andn2_b64 vcc, exec, s[0:1]
	s_cbranch_vccnz .LBB192_1388
; %bb.1378:
	s_cmp_lt_i32 s22, 6
	s_cbranch_scc1 .LBB192_1381
; %bb.1379:
	s_cmp_gt_i32 s22, 6
	s_cbranch_scc0 .LBB192_1382
; %bb.1380:
	global_load_dwordx2 v[6:7], v[4:5], off
	s_mov_b64 s[0:1], 0
	s_branch .LBB192_1383
.LBB192_1381:
	s_mov_b64 s[0:1], -1
                                        ; implicit-def: $vgpr6_vgpr7
	s_branch .LBB192_1386
.LBB192_1382:
	s_mov_b64 s[0:1], -1
                                        ; implicit-def: $vgpr6_vgpr7
.LBB192_1383:
	s_andn2_b64 vcc, exec, s[0:1]
	s_cbranch_vccnz .LBB192_1385
; %bb.1384:
	global_load_dword v3, v[4:5], off
	s_waitcnt vmcnt(0)
	v_cvt_f64_f32_e32 v[6:7], v3
.LBB192_1385:
	s_mov_b64 s[0:1], 0
.LBB192_1386:
	s_andn2_b64 vcc, exec, s[0:1]
	s_cbranch_vccnz .LBB192_1388
; %bb.1387:
	global_load_ushort v3, v[4:5], off
	s_waitcnt vmcnt(0)
	v_cvt_f32_f16_e32 v3, v3
	v_cvt_f64_f32_e32 v[6:7], v3
.LBB192_1388:
	s_mov_b64 s[0:1], 0
.LBB192_1389:
	s_andn2_b64 vcc, exec, s[0:1]
	s_cbranch_vccnz .LBB192_1409
; %bb.1390:
	s_cmp_lt_i32 s22, 2
	s_cbranch_scc1 .LBB192_1394
; %bb.1391:
	s_cmp_lt_i32 s22, 3
	s_cbranch_scc1 .LBB192_1395
; %bb.1392:
	s_cmp_gt_i32 s22, 3
	s_cbranch_scc0 .LBB192_1396
; %bb.1393:
	global_load_dwordx2 v[6:7], v[4:5], off
	s_mov_b64 s[0:1], 0
	s_waitcnt vmcnt(0)
	v_cvt_f64_i32_e32 v[12:13], v7
	v_cvt_f64_u32_e32 v[6:7], v6
	v_ldexp_f64 v[12:13], v[12:13], 32
	v_add_f64 v[6:7], v[12:13], v[6:7]
	s_branch .LBB192_1397
.LBB192_1394:
	s_mov_b64 s[0:1], -1
                                        ; implicit-def: $vgpr6_vgpr7
	s_branch .LBB192_1403
.LBB192_1395:
	s_mov_b64 s[0:1], -1
                                        ; implicit-def: $vgpr6_vgpr7
	s_branch .LBB192_1400
.LBB192_1396:
	s_mov_b64 s[0:1], -1
                                        ; implicit-def: $vgpr6_vgpr7
.LBB192_1397:
	s_andn2_b64 vcc, exec, s[0:1]
	s_cbranch_vccnz .LBB192_1399
; %bb.1398:
	global_load_dword v3, v[4:5], off
	s_waitcnt vmcnt(0)
	v_cvt_f64_i32_e32 v[6:7], v3
.LBB192_1399:
	s_mov_b64 s[0:1], 0
.LBB192_1400:
	s_andn2_b64 vcc, exec, s[0:1]
	s_cbranch_vccnz .LBB192_1402
; %bb.1401:
	global_load_sshort v3, v[4:5], off
	s_waitcnt vmcnt(0)
	v_cvt_f64_i32_e32 v[6:7], v3
.LBB192_1402:
	s_mov_b64 s[0:1], 0
.LBB192_1403:
	s_andn2_b64 vcc, exec, s[0:1]
	s_cbranch_vccnz .LBB192_1409
; %bb.1404:
	s_cmp_gt_i32 s22, 0
	s_cbranch_scc0 .LBB192_1406
; %bb.1405:
	global_load_sbyte v3, v[4:5], off
	s_mov_b64 s[0:1], 0
	s_waitcnt vmcnt(0)
	v_cvt_f64_i32_e32 v[6:7], v3
	s_branch .LBB192_1407
.LBB192_1406:
	s_mov_b64 s[0:1], -1
                                        ; implicit-def: $vgpr6_vgpr7
.LBB192_1407:
	s_andn2_b64 vcc, exec, s[0:1]
	s_cbranch_vccnz .LBB192_1409
; %bb.1408:
	global_load_ubyte v3, v[4:5], off
	s_waitcnt vmcnt(0)
	v_cvt_f64_u32_e32 v[6:7], v3
.LBB192_1409:
.LBB192_1410:
	v_add_u32_e32 v2, s9, v2
	v_ashrrev_i32_e32 v3, 31, v2
	s_cmp_lt_i32 s22, 11
	v_lshl_add_u64 v[2:3], s[6:7], 0, v[2:3]
	s_cbranch_scc1 .LBB192_1417
; %bb.1411:
	s_cmp_gt_i32 s22, 25
	s_mov_b64 s[6:7], 0
	s_cbranch_scc0 .LBB192_1418
; %bb.1412:
	s_cmp_gt_i32 s22, 28
	s_cbranch_scc0 .LBB192_1419
; %bb.1413:
	s_cmp_gt_i32 s22, 43
	;; [unrolled: 3-line block ×3, first 2 shown]
	s_cbranch_scc0 .LBB192_1422
; %bb.1415:
	s_cmp_eq_u32 s22, 46
	s_mov_b64 s[16:17], 0
	s_cbranch_scc0 .LBB192_1423
; %bb.1416:
	global_load_dword v4, v[2:3], off
	s_mov_b64 s[0:1], 0
	s_mov_b64 s[10:11], -1
	s_waitcnt vmcnt(0)
	v_lshlrev_b32_e32 v4, 16, v4
	v_cvt_f64_f32_e32 v[4:5], v4
	s_branch .LBB192_1424
.LBB192_1417:
	s_mov_b64 s[0:1], -1
	s_mov_b64 s[10:11], 0
                                        ; implicit-def: $vgpr4_vgpr5
	s_branch .LBB192_1490
.LBB192_1418:
	s_mov_b64 s[16:17], -1
	s_mov_b64 s[10:11], 0
	s_mov_b64 s[0:1], 0
                                        ; implicit-def: $vgpr4_vgpr5
	s_branch .LBB192_1455
.LBB192_1419:
	s_mov_b64 s[16:17], -1
	s_mov_b64 s[10:11], 0
	s_mov_b64 s[0:1], 0
                                        ; implicit-def: $vgpr4_vgpr5
	s_branch .LBB192_1434
.LBB192_1420:
	s_mov_b64 s[16:17], -1
	s_mov_b64 s[10:11], 0
	s_mov_b64 s[0:1], 0
                                        ; implicit-def: $vgpr4_vgpr5
	s_branch .LBB192_1429
.LBB192_1421:
	s_trap 2
	s_or_b64 s[14:15], s[14:15], exec
	s_cbranch_execz .LBB192_1360
	s_branch .LBB192_1361
.LBB192_1422:
	s_mov_b64 s[16:17], -1
	s_mov_b64 s[10:11], 0
	s_mov_b64 s[0:1], 0
                                        ; implicit-def: $vgpr4_vgpr5
	s_branch .LBB192_1424
.LBB192_1423:
	s_mov_b64 s[0:1], -1
                                        ; implicit-def: $vgpr4_vgpr5
	s_mov_b64 s[10:11], 0
.LBB192_1424:
	s_and_b64 vcc, exec, s[16:17]
	s_cbranch_vccz .LBB192_1428
; %bb.1425:
	s_cmp_eq_u32 s22, 44
	s_cbranch_scc0 .LBB192_1427
; %bb.1426:
	global_load_ubyte v11, v[2:3], off
	s_movk_i32 s9, 0xff
	v_bfrev_b32_e32 v12, 4
	v_mov_b32_e32 v13, 0x7ff80000
	v_bfrev_b32_e32 v14, 28
	s_mov_b64 s[0:1], 0
	s_mov_b64 s[10:11], -1
	s_waitcnt vmcnt(0)
	v_lshlrev_b32_e32 v4, 23, v11
	v_cvt_f64_f32_e32 v[4:5], v4
	v_cmp_ne_u32_e32 vcc, s9, v11
	s_nop 1
	v_cndmask_b32_e32 v4, v12, v4, vcc
	v_cndmask_b32_e32 v5, v13, v5, vcc
	v_cmp_ne_u32_e32 vcc, 0, v11
	s_nop 1
	v_cndmask_b32_e32 v5, v14, v5, vcc
	v_cndmask_b32_e32 v4, 0, v4, vcc
	s_branch .LBB192_1428
.LBB192_1427:
	s_mov_b64 s[0:1], -1
                                        ; implicit-def: $vgpr4_vgpr5
.LBB192_1428:
	s_mov_b64 s[16:17], 0
.LBB192_1429:
	s_and_b64 vcc, exec, s[16:17]
	s_cbranch_vccz .LBB192_1433
; %bb.1430:
	s_cmp_eq_u32 s22, 29
	s_cbranch_scc0 .LBB192_1432
; %bb.1431:
	global_load_dwordx2 v[4:5], v[2:3], off
	s_mov_b64 s[0:1], 0
	s_mov_b64 s[10:11], -1
	s_mov_b64 s[16:17], 0
	s_waitcnt vmcnt(0)
	v_cvt_f64_u32_e32 v[12:13], v5
	v_cvt_f64_u32_e32 v[4:5], v4
	v_ldexp_f64 v[12:13], v[12:13], 32
	v_add_f64 v[4:5], v[12:13], v[4:5]
	s_branch .LBB192_1434
.LBB192_1432:
	s_mov_b64 s[0:1], -1
                                        ; implicit-def: $vgpr4_vgpr5
.LBB192_1433:
	s_mov_b64 s[16:17], 0
.LBB192_1434:
	s_and_b64 vcc, exec, s[16:17]
	s_cbranch_vccz .LBB192_1454
; %bb.1435:
	s_cmp_lt_i32 s22, 27
	s_cbranch_scc1 .LBB192_1438
; %bb.1436:
	s_cmp_gt_i32 s22, 27
	s_cbranch_scc0 .LBB192_1439
; %bb.1437:
	global_load_dword v4, v[2:3], off
	s_mov_b64 s[10:11], 0
	s_waitcnt vmcnt(0)
	v_cvt_f64_u32_e32 v[4:5], v4
	s_branch .LBB192_1440
.LBB192_1438:
	s_mov_b64 s[10:11], -1
                                        ; implicit-def: $vgpr4_vgpr5
	s_branch .LBB192_1443
.LBB192_1439:
	s_mov_b64 s[10:11], -1
                                        ; implicit-def: $vgpr4_vgpr5
.LBB192_1440:
	s_andn2_b64 vcc, exec, s[10:11]
	s_cbranch_vccnz .LBB192_1442
; %bb.1441:
	global_load_ushort v4, v[2:3], off
	s_waitcnt vmcnt(0)
	v_cvt_f64_u32_e32 v[4:5], v4
.LBB192_1442:
	s_mov_b64 s[10:11], 0
.LBB192_1443:
	s_andn2_b64 vcc, exec, s[10:11]
	s_cbranch_vccnz .LBB192_1453
; %bb.1444:
	global_load_ubyte v11, v[2:3], off
	s_movk_i32 s9, 0x7f
	s_mov_b64 s[10:11], 0
	s_waitcnt vmcnt(0)
	v_cmp_lt_i16_e32 vcc, s9, v11
	s_and_saveexec_b64 s[16:17], vcc
	s_xor_b64 s[16:17], exec, s[16:17]
	s_cbranch_execz .LBB192_1448
; %bb.1445:
	s_movk_i32 s9, 0x80
	v_cmp_eq_u16_e32 vcc, s9, v11
	s_mov_b64 s[10:11], -1
	s_and_saveexec_b64 s[18:19], vcc
; %bb.1446:
	s_xor_b64 s[10:11], exec, -1
; %bb.1447:
	s_or_b64 exec, exec, s[18:19]
	s_and_b64 s[10:11], s[10:11], exec
.LBB192_1448:
	s_or_saveexec_b64 s[16:17], s[16:17]
	v_bfrev_b32_e32 v4, 4
	v_mov_b32_e32 v5, 0x7ff80000
	s_xor_b64 exec, exec, s[16:17]
; %bb.1449:
	v_cmp_ne_u16_e32 vcc, 0, v11
	s_andn2_b64 s[10:11], s[10:11], exec
	s_and_b64 s[18:19], vcc, exec
	v_mov_b64_e32 v[4:5], 0
	s_or_b64 s[10:11], s[10:11], s[18:19]
; %bb.1450:
	s_or_b64 exec, exec, s[16:17]
	s_and_saveexec_b64 s[16:17], s[10:11]
	s_cbranch_execz .LBB192_1452
; %bb.1451:
	v_and_b32_e32 v5, 0xffff, v11
	v_lshlrev_b32_e32 v4, 24, v11
	v_and_b32_e32 v11, 7, v5
	v_ffbh_u32_e32 v13, v11
	v_min_u32_e32 v13, 32, v13
	v_subrev_u32_e32 v14, 28, v13
	v_bfe_u32 v12, v5, 3, 4
	v_lshlrev_b32_e32 v5, v14, v5
	v_sub_u32_e32 v13, 29, v13
	v_and_b32_e32 v5, 7, v5
	v_cmp_eq_u32_e32 vcc, 0, v12
	v_and_b32_e32 v4, 0x80000000, v4
	s_nop 0
	v_cndmask_b32_e32 v12, v12, v13, vcc
	v_cndmask_b32_e32 v5, v11, v5, vcc
	v_mov_b32_e32 v11, 0x3b800000
	v_lshlrev_b32_e32 v5, 20, v5
	v_lshl_add_u32 v11, v12, 23, v11
	v_or3_b32 v4, v4, v11, v5
	v_cvt_f64_f32_e32 v[4:5], v4
.LBB192_1452:
	s_or_b64 exec, exec, s[16:17]
.LBB192_1453:
	s_mov_b64 s[10:11], -1
.LBB192_1454:
	s_mov_b64 s[16:17], 0
.LBB192_1455:
	s_and_b64 vcc, exec, s[16:17]
	s_cbranch_vccz .LBB192_1486
; %bb.1456:
	s_cmp_gt_i32 s22, 22
	s_cbranch_scc0 .LBB192_1468
; %bb.1457:
	s_cmp_lt_i32 s22, 24
	s_cbranch_scc1 .LBB192_1469
; %bb.1458:
	s_cmp_gt_i32 s22, 24
	s_cbranch_scc0 .LBB192_1470
; %bb.1459:
	global_load_ubyte v11, v[2:3], off
	s_movk_i32 s6, 0x7f
	s_waitcnt vmcnt(0)
	v_cmp_lt_i16_e32 vcc, s6, v11
	s_mov_b64 s[6:7], 0
	s_and_saveexec_b64 s[10:11], vcc
	s_xor_b64 s[10:11], exec, s[10:11]
	s_cbranch_execz .LBB192_1463
; %bb.1460:
	s_movk_i32 s6, 0x80
	v_cmp_eq_u16_e32 vcc, s6, v11
	s_mov_b64 s[6:7], -1
	s_and_saveexec_b64 s[16:17], vcc
; %bb.1461:
	s_xor_b64 s[6:7], exec, -1
; %bb.1462:
	s_or_b64 exec, exec, s[16:17]
	s_and_b64 s[6:7], s[6:7], exec
.LBB192_1463:
	s_or_saveexec_b64 s[10:11], s[10:11]
	v_bfrev_b32_e32 v4, 4
	v_mov_b32_e32 v5, 0x7ff80000
	s_xor_b64 exec, exec, s[10:11]
; %bb.1464:
	v_cmp_ne_u16_e32 vcc, 0, v11
	s_andn2_b64 s[6:7], s[6:7], exec
	s_and_b64 s[16:17], vcc, exec
	v_mov_b64_e32 v[4:5], 0
	s_or_b64 s[6:7], s[6:7], s[16:17]
; %bb.1465:
	s_or_b64 exec, exec, s[10:11]
	s_and_saveexec_b64 s[10:11], s[6:7]
	s_cbranch_execz .LBB192_1467
; %bb.1466:
	v_and_b32_e32 v5, 0xffff, v11
	v_lshlrev_b32_e32 v4, 24, v11
	v_and_b32_e32 v11, 3, v5
	v_ffbh_u32_e32 v13, v11
	v_min_u32_e32 v13, 32, v13
	v_subrev_u32_e32 v14, 29, v13
	v_bfe_u32 v12, v5, 2, 5
	v_lshlrev_b32_e32 v5, v14, v5
	v_sub_u32_e32 v13, 30, v13
	v_and_b32_e32 v5, 3, v5
	v_cmp_eq_u32_e32 vcc, 0, v12
	v_and_b32_e32 v4, 0x80000000, v4
	s_nop 0
	v_cndmask_b32_e32 v12, v12, v13, vcc
	v_cndmask_b32_e32 v5, v11, v5, vcc
	v_mov_b32_e32 v11, 0x37800000
	v_lshlrev_b32_e32 v5, 21, v5
	v_lshl_add_u32 v11, v12, 23, v11
	v_or3_b32 v4, v4, v11, v5
	v_cvt_f64_f32_e32 v[4:5], v4
.LBB192_1467:
	s_or_b64 exec, exec, s[10:11]
	s_mov_b64 s[6:7], 0
	s_branch .LBB192_1471
.LBB192_1468:
	s_mov_b64 s[6:7], -1
                                        ; implicit-def: $vgpr4_vgpr5
	s_branch .LBB192_1477
.LBB192_1469:
	s_mov_b64 s[6:7], -1
                                        ; implicit-def: $vgpr4_vgpr5
	s_branch .LBB192_1474
.LBB192_1470:
	s_mov_b64 s[6:7], -1
                                        ; implicit-def: $vgpr4_vgpr5
.LBB192_1471:
	s_and_b64 vcc, exec, s[6:7]
	s_cbranch_vccz .LBB192_1473
; %bb.1472:
	global_load_ubyte v4, v[2:3], off
	s_mov_b32 s6, 0x7f800000
	s_waitcnt vmcnt(0)
	v_lshlrev_b32_e32 v4, 24, v4
	v_and_b32_e32 v5, 0x7f000000, v4
	v_ffbh_u32_e32 v11, v5
	v_min_u32_e32 v11, 32, v11
	v_sub_u32_e64 v11, v11, 4 clamp
	v_lshlrev_b32_e32 v13, v11, v5
	v_lshlrev_b32_e32 v11, 23, v11
	v_lshrrev_b32_e32 v13, 4, v13
	v_add_u32_e32 v12, 0x1000000, v5
	v_sub_u32_e32 v11, v13, v11
	v_ashrrev_i32_e32 v12, 8, v12
	v_add_u32_e32 v11, 0x3c000000, v11
	v_and_or_b32 v11, v12, s6, v11
	v_cmp_ne_u32_e32 vcc, 0, v5
	s_brev_b32 s6, 1
	s_nop 0
	v_cndmask_b32_e32 v5, 0, v11, vcc
	v_and_or_b32 v4, v4, s6, v5
	v_cvt_f64_f32_e32 v[4:5], v4
.LBB192_1473:
	s_mov_b64 s[6:7], 0
.LBB192_1474:
	s_andn2_b64 vcc, exec, s[6:7]
	s_cbranch_vccnz .LBB192_1476
; %bb.1475:
	global_load_ubyte v4, v[2:3], off
	s_movk_i32 s6, 0x7f00
	s_brev_b32 s7, 16
	s_waitcnt vmcnt(0)
	v_lshlrev_b16_e32 v5, 8, v4
	v_lshlrev_b32_e32 v4, 25, v4
	v_lshrrev_b32_e32 v11, 4, v4
	v_and_or_b32 v12, v5, s6, 0.5
	v_or_b32_e32 v11, 0x70000000, v11
	v_add_f32_e32 v12, -0.5, v12
	v_mul_f32_e32 v11, 0x7800000, v11
	v_cmp_gt_u32_e32 vcc, s7, v4
	v_bfe_i32 v5, v5, 0, 16
	s_brev_b32 s6, 1
	v_cndmask_b32_e32 v4, v11, v12, vcc
	v_and_or_b32 v4, v5, s6, v4
	v_cvt_f64_f32_e32 v[4:5], v4
.LBB192_1476:
	s_mov_b64 s[6:7], 0
	s_mov_b64 s[10:11], -1
.LBB192_1477:
	s_andn2_b64 vcc, exec, s[6:7]
	s_mov_b64 s[6:7], 0
	s_cbranch_vccnz .LBB192_1486
; %bb.1478:
	s_cmp_gt_i32 s22, 14
	s_cbranch_scc0 .LBB192_1481
; %bb.1479:
	s_cmp_eq_u32 s22, 15
	s_cbranch_scc0 .LBB192_1482
; %bb.1480:
	global_load_ushort v4, v[2:3], off
	s_mov_b64 s[0:1], 0
	s_mov_b64 s[10:11], -1
	s_waitcnt vmcnt(0)
	v_lshlrev_b32_e32 v4, 16, v4
	v_cvt_f64_f32_e32 v[4:5], v4
	s_branch .LBB192_1483
.LBB192_1481:
	s_mov_b64 s[16:17], -1
                                        ; implicit-def: $vgpr4_vgpr5
	s_branch .LBB192_1484
.LBB192_1482:
	s_mov_b64 s[0:1], -1
                                        ; implicit-def: $vgpr4_vgpr5
.LBB192_1483:
	s_mov_b64 s[16:17], 0
.LBB192_1484:
	s_and_b64 vcc, exec, s[16:17]
	s_cbranch_vccz .LBB192_1486
; %bb.1485:
	s_cmp_lg_u32 s22, 11
	s_mov_b64 s[6:7], -1
	s_cselect_b64 s[0:1], -1, 0
.LBB192_1486:
	s_and_b64 vcc, exec, s[0:1]
	s_cbranch_vccnz .LBB192_2019
; %bb.1487:
	s_andn2_b64 vcc, exec, s[6:7]
	s_cbranch_vccnz .LBB192_1489
.LBB192_1488:
	global_load_ubyte v5, v[2:3], off
	v_mov_b32_e32 v11, 0x3ff00000
	v_mov_b32_e32 v4, 0
	s_mov_b64 s[10:11], -1
	s_waitcnt vmcnt(0)
	v_cmp_ne_u16_e32 vcc, 0, v5
	s_nop 1
	v_cndmask_b32_e32 v5, 0, v11, vcc
.LBB192_1489:
	s_mov_b64 s[0:1], 0
.LBB192_1490:
	s_and_b64 vcc, exec, s[0:1]
	s_cbranch_vccz .LBB192_1539
; %bb.1491:
	s_cmp_lt_i32 s22, 5
	s_cbranch_scc1 .LBB192_1496
; %bb.1492:
	s_cmp_lt_i32 s22, 8
	s_cbranch_scc1 .LBB192_1497
	;; [unrolled: 3-line block ×3, first 2 shown]
; %bb.1494:
	s_cmp_gt_i32 s22, 9
	s_cbranch_scc0 .LBB192_1499
; %bb.1495:
	global_load_dwordx2 v[4:5], v[2:3], off
	s_mov_b64 s[0:1], 0
	s_branch .LBB192_1500
.LBB192_1496:
	s_mov_b64 s[0:1], -1
                                        ; implicit-def: $vgpr4_vgpr5
	s_branch .LBB192_1518
.LBB192_1497:
	s_mov_b64 s[0:1], -1
                                        ; implicit-def: $vgpr4_vgpr5
	s_branch .LBB192_1506
.LBB192_1498:
	s_mov_b64 s[0:1], -1
                                        ; implicit-def: $vgpr4_vgpr5
	s_branch .LBB192_1503
.LBB192_1499:
	s_mov_b64 s[0:1], -1
                                        ; implicit-def: $vgpr4_vgpr5
.LBB192_1500:
	s_andn2_b64 vcc, exec, s[0:1]
	s_cbranch_vccnz .LBB192_1502
; %bb.1501:
	global_load_dword v4, v[2:3], off
	s_waitcnt vmcnt(0)
	v_cvt_f64_f32_e32 v[4:5], v4
.LBB192_1502:
	s_mov_b64 s[0:1], 0
.LBB192_1503:
	s_andn2_b64 vcc, exec, s[0:1]
	s_cbranch_vccnz .LBB192_1505
; %bb.1504:
	global_load_dword v4, v[2:3], off
	s_waitcnt vmcnt(0)
	v_cvt_f32_f16_e32 v4, v4
	v_cvt_f64_f32_e32 v[4:5], v4
.LBB192_1505:
	s_mov_b64 s[0:1], 0
.LBB192_1506:
	s_andn2_b64 vcc, exec, s[0:1]
	s_cbranch_vccnz .LBB192_1517
; %bb.1507:
	s_cmp_lt_i32 s22, 6
	s_cbranch_scc1 .LBB192_1510
; %bb.1508:
	s_cmp_gt_i32 s22, 6
	s_cbranch_scc0 .LBB192_1511
; %bb.1509:
	global_load_dwordx2 v[4:5], v[2:3], off
	s_mov_b64 s[0:1], 0
	s_branch .LBB192_1512
.LBB192_1510:
	s_mov_b64 s[0:1], -1
                                        ; implicit-def: $vgpr4_vgpr5
	s_branch .LBB192_1515
.LBB192_1511:
	s_mov_b64 s[0:1], -1
                                        ; implicit-def: $vgpr4_vgpr5
.LBB192_1512:
	s_andn2_b64 vcc, exec, s[0:1]
	s_cbranch_vccnz .LBB192_1514
; %bb.1513:
	global_load_dword v4, v[2:3], off
	s_waitcnt vmcnt(0)
	v_cvt_f64_f32_e32 v[4:5], v4
.LBB192_1514:
	s_mov_b64 s[0:1], 0
.LBB192_1515:
	s_andn2_b64 vcc, exec, s[0:1]
	s_cbranch_vccnz .LBB192_1517
; %bb.1516:
	global_load_ushort v4, v[2:3], off
	s_waitcnt vmcnt(0)
	v_cvt_f32_f16_e32 v4, v4
	v_cvt_f64_f32_e32 v[4:5], v4
.LBB192_1517:
	s_mov_b64 s[0:1], 0
.LBB192_1518:
	s_andn2_b64 vcc, exec, s[0:1]
	s_cbranch_vccnz .LBB192_1538
; %bb.1519:
	s_cmp_lt_i32 s22, 2
	s_cbranch_scc1 .LBB192_1523
; %bb.1520:
	s_cmp_lt_i32 s22, 3
	s_cbranch_scc1 .LBB192_1524
; %bb.1521:
	s_cmp_gt_i32 s22, 3
	s_cbranch_scc0 .LBB192_1525
; %bb.1522:
	global_load_dwordx2 v[4:5], v[2:3], off
	s_mov_b64 s[0:1], 0
	s_waitcnt vmcnt(0)
	v_cvt_f64_i32_e32 v[12:13], v5
	v_cvt_f64_u32_e32 v[4:5], v4
	v_ldexp_f64 v[12:13], v[12:13], 32
	v_add_f64 v[4:5], v[12:13], v[4:5]
	s_branch .LBB192_1526
.LBB192_1523:
	s_mov_b64 s[0:1], -1
                                        ; implicit-def: $vgpr4_vgpr5
	s_branch .LBB192_1532
.LBB192_1524:
	s_mov_b64 s[0:1], -1
                                        ; implicit-def: $vgpr4_vgpr5
	s_branch .LBB192_1529
.LBB192_1525:
	s_mov_b64 s[0:1], -1
                                        ; implicit-def: $vgpr4_vgpr5
.LBB192_1526:
	s_andn2_b64 vcc, exec, s[0:1]
	s_cbranch_vccnz .LBB192_1528
; %bb.1527:
	global_load_dword v4, v[2:3], off
	s_waitcnt vmcnt(0)
	v_cvt_f64_i32_e32 v[4:5], v4
.LBB192_1528:
	s_mov_b64 s[0:1], 0
.LBB192_1529:
	s_andn2_b64 vcc, exec, s[0:1]
	s_cbranch_vccnz .LBB192_1531
; %bb.1530:
	global_load_sshort v4, v[2:3], off
	s_waitcnt vmcnt(0)
	v_cvt_f64_i32_e32 v[4:5], v4
.LBB192_1531:
	s_mov_b64 s[0:1], 0
.LBB192_1532:
	s_andn2_b64 vcc, exec, s[0:1]
	s_cbranch_vccnz .LBB192_1538
; %bb.1533:
	s_cmp_gt_i32 s22, 0
	s_cbranch_scc0 .LBB192_1535
; %bb.1534:
	global_load_sbyte v4, v[2:3], off
	s_mov_b64 s[0:1], 0
	s_waitcnt vmcnt(0)
	v_cvt_f64_i32_e32 v[4:5], v4
	s_branch .LBB192_1536
.LBB192_1535:
	s_mov_b64 s[0:1], -1
                                        ; implicit-def: $vgpr4_vgpr5
.LBB192_1536:
	s_andn2_b64 vcc, exec, s[0:1]
	s_cbranch_vccnz .LBB192_1538
; %bb.1537:
	global_load_ubyte v2, v[2:3], off
	s_waitcnt vmcnt(0)
	v_cvt_f64_u32_e32 v[4:5], v2
.LBB192_1538:
	s_mov_b64 s[10:11], -1
.LBB192_1539:
	s_andn2_b64 vcc, exec, s[10:11]
	s_cbranch_vccnz .LBB192_1973
; %bb.1540:
	s_waitcnt vmcnt(0)
	v_rsq_f64_e32 v[2:3], v[0:1]
	s_mov_b32 s0, 0
	s_mov_b32 s1, 0x3fd80000
	v_mov_b32_e32 v11, 0x180
	v_mul_f64 v[0:1], v[2:3], -v[0:1]
	v_fma_f64 v[0:1], v[0:1], v[2:3], 1.0
	v_mul_f64 v[12:13], v[2:3], v[0:1]
	v_fma_f64 v[0:1], v[0:1], s[0:1], 0.5
	v_mul_lo_u32 v10, s8, v10
	v_fma_f64 v[0:1], v[12:13], v[0:1], v[2:3]
	v_cmp_class_f64_e32 vcc, v[2:3], v11
	v_ashrrev_i32_e32 v11, 31, v10
	s_and_b32 s20, s33, 0xff
	v_cndmask_b32_e32 v1, v3, v1, vcc
	v_cndmask_b32_e32 v0, v2, v0, vcc
	s_cmp_lt_i32 s20, 11
	v_lshl_add_u64 v[12:13], s[4:5], 0, v[10:11]
	s_cbranch_scc1 .LBB192_1618
; %bb.1541:
	s_and_b32 s9, 0xffff, s20
	s_mov_b64 s[16:17], -1
	s_mov_b64 s[6:7], 0
	s_cmp_gt_i32 s9, 25
	s_mov_b64 s[10:11], 0
	s_mov_b64 s[0:1], 0
	s_cbranch_scc0 .LBB192_1574
; %bb.1542:
	s_cmp_gt_i32 s9, 28
	s_cbranch_scc0 .LBB192_1557
; %bb.1543:
	s_cmp_gt_i32 s9, 43
	;; [unrolled: 3-line block ×3, first 2 shown]
	s_cbranch_scc0 .LBB192_1547
; %bb.1545:
	s_mov_b64 s[0:1], -1
	s_mov_b64 s[16:17], 0
	s_cmp_eq_u32 s9, 46
	s_cbranch_scc0 .LBB192_1547
; %bb.1546:
	v_cvt_f32_f64_e32 v2, v[0:1]
	v_bfe_u32 v3, v2, 16, 1
	s_movk_i32 s0, 0x7fff
	v_add3_u32 v3, v2, v3, s0
	v_cmp_o_f32_e32 vcc, v2, v2
	v_mov_b32_e32 v2, 0x7fc0
	s_mov_b64 s[0:1], 0
	v_cndmask_b32_sdwa v2, v2, v3, vcc dst_sel:DWORD dst_unused:UNUSED_PAD src0_sel:DWORD src1_sel:WORD_1
	global_store_dword v[12:13], v2, off
	s_mov_b64 s[10:11], -1
.LBB192_1547:
	s_and_b64 vcc, exec, s[16:17]
	s_cbranch_vccz .LBB192_1552
; %bb.1548:
	s_cmp_eq_u32 s9, 44
	s_mov_b64 s[0:1], -1
	s_cbranch_scc0 .LBB192_1552
; %bb.1549:
	v_cvt_f32_f64_e32 v2, v[0:1]
	v_bfe_u32 v3, v2, 23, 8
	s_movk_i32 s0, 0xff
	v_cmp_ne_u32_e32 vcc, s0, v3
	v_mov_b32_e32 v11, 0xff
	s_and_saveexec_b64 s[10:11], vcc
; %bb.1550:
	s_mov_b32 s0, 0x3fffff
	v_lshrrev_b32_e32 v11, 23, v2
	v_and_b32_e32 v14, 0x400000, v2
	v_and_or_b32 v2, v2, s0, v3
	v_cmp_ne_u32_e32 vcc, 0, v14
	v_cmp_ne_u32_e64 s[0:1], 0, v2
	s_and_b64 s[0:1], vcc, s[0:1]
	s_nop 0
	v_cndmask_b32_e64 v2, 0, 1, s[0:1]
	v_add_u32_e32 v11, v11, v2
; %bb.1551:
	s_or_b64 exec, exec, s[10:11]
	s_mov_b64 s[0:1], 0
	s_mov_b64 s[10:11], -1
	global_store_byte v[12:13], v11, off
.LBB192_1552:
	s_mov_b64 s[16:17], 0
.LBB192_1553:
	s_and_b64 vcc, exec, s[16:17]
	s_cbranch_vccz .LBB192_1556
; %bb.1554:
	s_cmp_eq_u32 s9, 29
	s_mov_b64 s[0:1], -1
	s_cbranch_scc0 .LBB192_1556
; %bb.1555:
	v_trunc_f64_e32 v[2:3], v[0:1]
	s_movk_i32 s0, 0xffe0
	v_ldexp_f64 v[14:15], v[2:3], s0
	v_floor_f64_e32 v[14:15], v[14:15]
	v_fmac_f64_e32 v[2:3], 0xc1f00000, v[14:15]
	v_cvt_u32_f64_e32 v17, v[14:15]
	v_cvt_u32_f64_e32 v16, v[2:3]
	global_store_dwordx2 v[12:13], v[16:17], off
	s_mov_b64 s[0:1], 0
	s_mov_b64 s[10:11], -1
.LBB192_1556:
	s_mov_b64 s[16:17], 0
.LBB192_1557:
	s_and_b64 vcc, exec, s[16:17]
	s_cbranch_vccz .LBB192_1573
; %bb.1558:
	s_cmp_lt_i32 s9, 27
	s_mov_b64 s[10:11], -1
	s_cbranch_scc1 .LBB192_1564
; %bb.1559:
	s_cmp_gt_i32 s9, 27
	v_cvt_u32_f64_e32 v2, v[0:1]
	s_cbranch_scc0 .LBB192_1561
; %bb.1560:
	s_mov_b64 s[10:11], 0
	global_store_dword v[12:13], v2, off
.LBB192_1561:
	s_andn2_b64 vcc, exec, s[10:11]
	s_cbranch_vccnz .LBB192_1563
; %bb.1562:
	global_store_short v[12:13], v2, off
.LBB192_1563:
	s_mov_b64 s[10:11], 0
.LBB192_1564:
	s_andn2_b64 vcc, exec, s[10:11]
	s_cbranch_vccnz .LBB192_1572
; %bb.1565:
	v_cvt_f32_f64_e32 v2, v[0:1]
	v_and_b32_e32 v3, 0x7fffffff, v2
	s_mov_b32 s10, 0x43800000
	v_cmp_gt_u32_e32 vcc, s10, v3
	v_mov_b32_e32 v11, 0x80
	s_and_saveexec_b64 s[10:11], vcc
	s_cbranch_execz .LBB192_1571
; %bb.1566:
	s_mov_b32 s16, 0x3bffffff
	v_cmp_lt_u32_e32 vcc, s16, v3
	s_mov_b64 s[16:17], 0
                                        ; implicit-def: $vgpr3
	s_and_saveexec_b64 s[18:19], vcc
	s_xor_b64 s[18:19], exec, s[18:19]
	s_cbranch_execz .LBB192_2020
; %bb.1567:
	v_bfe_u32 v3, v2, 20, 1
	s_mov_b32 s21, 0x487ffff
	v_add3_u32 v3, v2, v3, s21
	s_mov_b64 s[16:17], exec
	v_lshrrev_b32_e32 v3, 20, v3
	s_andn2_saveexec_b64 s[18:19], s[18:19]
	s_cbranch_execnz .LBB192_2021
.LBB192_1568:
	s_or_b64 exec, exec, s[18:19]
	v_mov_b32_e32 v11, 0
	s_and_saveexec_b64 s[18:19], s[16:17]
.LBB192_1569:
	v_lshrrev_b32_e32 v2, 24, v2
	s_movk_i32 s16, 0x80
	v_and_or_b32 v11, v2, s16, v3
.LBB192_1570:
	s_or_b64 exec, exec, s[18:19]
.LBB192_1571:
	s_or_b64 exec, exec, s[10:11]
	global_store_byte v[12:13], v11, off
.LBB192_1572:
	s_mov_b64 s[10:11], -1
.LBB192_1573:
	s_mov_b64 s[16:17], 0
.LBB192_1574:
	s_and_b64 vcc, exec, s[16:17]
	s_cbranch_vccz .LBB192_1614
; %bb.1575:
	s_cmp_gt_i32 s9, 22
	s_mov_b64 s[6:7], -1
	s_cbranch_scc0 .LBB192_1607
; %bb.1576:
	s_cmp_lt_i32 s9, 24
	s_cbranch_scc1 .LBB192_1596
; %bb.1577:
	s_cmp_gt_i32 s9, 24
	s_cbranch_scc0 .LBB192_1585
; %bb.1578:
	v_cvt_f32_f64_e32 v2, v[0:1]
	v_and_b32_e32 v3, 0x7fffffff, v2
	s_mov_b32 s6, 0x47800000
	v_cmp_gt_u32_e32 vcc, s6, v3
	v_mov_b32_e32 v11, 0x80
	s_and_saveexec_b64 s[6:7], vcc
	s_cbranch_execz .LBB192_1584
; %bb.1579:
	s_mov_b32 s10, 0x37ffffff
	v_cmp_lt_u32_e32 vcc, s10, v3
	s_mov_b64 s[10:11], 0
                                        ; implicit-def: $vgpr3
	s_and_saveexec_b64 s[16:17], vcc
	s_xor_b64 s[16:17], exec, s[16:17]
	s_cbranch_execz .LBB192_2023
; %bb.1580:
	v_bfe_u32 v3, v2, 21, 1
	s_mov_b32 s18, 0x88fffff
	v_add3_u32 v3, v2, v3, s18
	s_mov_b64 s[10:11], exec
	v_lshrrev_b32_e32 v3, 21, v3
	s_andn2_saveexec_b64 s[16:17], s[16:17]
	s_cbranch_execnz .LBB192_2024
.LBB192_1581:
	s_or_b64 exec, exec, s[16:17]
	v_mov_b32_e32 v11, 0
	s_and_saveexec_b64 s[16:17], s[10:11]
.LBB192_1582:
	v_lshrrev_b32_e32 v2, 24, v2
	s_movk_i32 s10, 0x80
	v_and_or_b32 v11, v2, s10, v3
.LBB192_1583:
	s_or_b64 exec, exec, s[16:17]
.LBB192_1584:
	s_or_b64 exec, exec, s[6:7]
	s_mov_b64 s[6:7], 0
	global_store_byte v[12:13], v11, off
.LBB192_1585:
	s_and_b64 vcc, exec, s[6:7]
	s_cbranch_vccz .LBB192_1595
; %bb.1586:
	v_cvt_f32_f64_e32 v2, v[0:1]
	v_and_b32_e32 v11, 0x7fffffff, v2
	s_mov_b32 s6, 0x43f00000
	v_cmp_gt_u32_e32 vcc, s6, v11
                                        ; implicit-def: $vgpr3
	s_and_saveexec_b64 s[6:7], vcc
	s_xor_b64 s[6:7], exec, s[6:7]
	s_cbranch_execz .LBB192_1592
; %bb.1587:
	s_mov_b32 s10, 0x3c7fffff
	v_cmp_lt_u32_e32 vcc, s10, v11
                                        ; implicit-def: $vgpr3
	s_and_saveexec_b64 s[10:11], vcc
	s_xor_b64 s[10:11], exec, s[10:11]
; %bb.1588:
	v_bfe_u32 v3, v2, 20, 1
	s_mov_b32 s16, 0x407ffff
	v_add3_u32 v3, v2, v3, s16
	v_lshrrev_b32_e32 v11, 20, v3
	v_and_b32_e32 v3, 0xff00000, v3
	s_mov_b32 s16, 0x7f00000
	v_mov_b32_e32 v14, 0x7e
	v_cmp_ne_u32_e32 vcc, s16, v3
	s_nop 1
	v_cndmask_b32_e32 v3, v14, v11, vcc
; %bb.1589:
	s_andn2_saveexec_b64 s[10:11], s[10:11]
; %bb.1590:
	s_mov_b32 s16, 0x46800000
	v_add_f32_e64 v3, |v2|, s16
; %bb.1591:
	s_or_b64 exec, exec, s[10:11]
                                        ; implicit-def: $vgpr11
.LBB192_1592:
	s_andn2_saveexec_b64 s[6:7], s[6:7]
; %bb.1593:
	s_mov_b32 s10, 0x7f800000
	v_mov_b32_e32 v3, 0x7e
	v_mov_b32_e32 v14, 0x7f
	v_cmp_lt_u32_e32 vcc, s10, v11
	s_nop 1
	v_cndmask_b32_e32 v3, v3, v14, vcc
; %bb.1594:
	s_or_b64 exec, exec, s[6:7]
	v_lshrrev_b32_e32 v2, 24, v2
	s_movk_i32 s6, 0x80
	v_and_or_b32 v2, v2, s6, v3
	global_store_byte v[12:13], v2, off
.LBB192_1595:
	s_mov_b64 s[6:7], 0
.LBB192_1596:
	s_andn2_b64 vcc, exec, s[6:7]
	s_cbranch_vccnz .LBB192_1606
; %bb.1597:
	v_cvt_f32_f64_e32 v2, v[0:1]
	v_and_b32_e32 v11, 0x7fffffff, v2
	s_mov_b32 s6, 0x47800000
	v_cmp_gt_u32_e32 vcc, s6, v11
                                        ; implicit-def: $vgpr3
	s_and_saveexec_b64 s[6:7], vcc
	s_xor_b64 s[6:7], exec, s[6:7]
	s_cbranch_execz .LBB192_1603
; %bb.1598:
	s_mov_b32 s10, 0x387fffff
	v_cmp_lt_u32_e32 vcc, s10, v11
                                        ; implicit-def: $vgpr3
	s_and_saveexec_b64 s[10:11], vcc
	s_xor_b64 s[10:11], exec, s[10:11]
; %bb.1599:
	v_bfe_u32 v3, v2, 21, 1
	s_mov_b32 s16, 0x80fffff
	v_add3_u32 v3, v2, v3, s16
	v_lshrrev_b32_e32 v3, 21, v3
; %bb.1600:
	s_andn2_saveexec_b64 s[10:11], s[10:11]
; %bb.1601:
	s_mov_b32 s16, 0x43000000
	v_add_f32_e64 v3, |v2|, s16
; %bb.1602:
	s_or_b64 exec, exec, s[10:11]
                                        ; implicit-def: $vgpr11
.LBB192_1603:
	s_andn2_saveexec_b64 s[6:7], s[6:7]
; %bb.1604:
	s_mov_b32 s10, 0x7f800000
	v_mov_b32_e32 v3, 0x7c
	v_mov_b32_e32 v14, 0x7f
	v_cmp_lt_u32_e32 vcc, s10, v11
	s_nop 1
	v_cndmask_b32_e32 v3, v3, v14, vcc
; %bb.1605:
	s_or_b64 exec, exec, s[6:7]
	v_lshrrev_b32_e32 v2, 24, v2
	s_movk_i32 s6, 0x80
	v_and_or_b32 v2, v2, s6, v3
	global_store_byte v[12:13], v2, off
.LBB192_1606:
	s_mov_b64 s[6:7], 0
	s_mov_b64 s[10:11], -1
.LBB192_1607:
	s_andn2_b64 vcc, exec, s[6:7]
	s_mov_b64 s[6:7], 0
	s_cbranch_vccnz .LBB192_1614
; %bb.1608:
	s_cmp_gt_i32 s9, 14
	s_mov_b64 s[16:17], -1
	s_cbranch_scc0 .LBB192_1612
; %bb.1609:
	s_cmp_eq_u32 s9, 15
	s_mov_b64 s[0:1], -1
	s_cbranch_scc0 .LBB192_1611
; %bb.1610:
	v_cvt_f32_f64_e32 v2, v[0:1]
	v_bfe_u32 v3, v2, 16, 1
	s_movk_i32 s0, 0x7fff
	v_add3_u32 v3, v2, v3, s0
	v_cmp_o_f32_e32 vcc, v2, v2
	v_mov_b32_e32 v2, 0x7fc0
	s_mov_b64 s[0:1], 0
	v_cndmask_b32_sdwa v2, v2, v3, vcc dst_sel:DWORD dst_unused:UNUSED_PAD src0_sel:DWORD src1_sel:WORD_1
	global_store_short v[12:13], v2, off
	s_mov_b64 s[10:11], -1
.LBB192_1611:
	s_mov_b64 s[16:17], 0
.LBB192_1612:
	s_and_b64 vcc, exec, s[16:17]
	s_cbranch_vccz .LBB192_1614
; %bb.1613:
	s_cmp_lg_u32 s9, 11
	s_mov_b64 s[6:7], -1
	s_cselect_b64 s[0:1], -1, 0
.LBB192_1614:
	s_and_b64 vcc, exec, s[0:1]
	s_cbranch_vccnz .LBB192_2022
; %bb.1615:
	s_andn2_b64 vcc, exec, s[6:7]
	s_cbranch_vccnz .LBB192_1617
.LBB192_1616:
	v_cmp_neq_f64_e32 vcc, 0, v[0:1]
	s_mov_b64 s[10:11], -1
	s_nop 0
	v_cndmask_b32_e64 v2, 0, 1, vcc
	global_store_byte v[12:13], v2, off
.LBB192_1617:
	s_mov_b64 s[0:1], 0
	s_branch .LBB192_1619
.LBB192_1618:
	s_mov_b64 s[0:1], -1
	s_mov_b64 s[10:11], 0
.LBB192_1619:
	s_and_b64 vcc, exec, s[0:1]
	s_cbranch_vccz .LBB192_1658
; %bb.1620:
	s_and_b32 s6, 0xffff, s20
	s_cmp_lt_i32 s6, 5
	s_mov_b64 s[0:1], -1
	s_cbranch_scc1 .LBB192_1641
; %bb.1621:
	s_cmp_lt_i32 s6, 8
	s_cbranch_scc1 .LBB192_1631
; %bb.1622:
	s_cmp_lt_i32 s6, 9
	s_cbranch_scc1 .LBB192_1628
; %bb.1623:
	s_cmp_gt_i32 s6, 9
	s_cbranch_scc0 .LBB192_1625
; %bb.1624:
	v_mov_b32_e32 v2, 0
	v_mov_b32_e32 v3, v2
	global_store_dwordx4 v[12:13], v[0:3], off
	s_mov_b64 s[0:1], 0
.LBB192_1625:
	s_andn2_b64 vcc, exec, s[0:1]
	s_cbranch_vccnz .LBB192_1627
; %bb.1626:
	v_cvt_f32_f64_e32 v2, v[0:1]
	v_mov_b32_e32 v3, 0
	global_store_dwordx2 v[12:13], v[2:3], off
.LBB192_1627:
	s_mov_b64 s[0:1], 0
.LBB192_1628:
	s_andn2_b64 vcc, exec, s[0:1]
	s_cbranch_vccnz .LBB192_1630
; %bb.1629:
	s_movk_i32 s0, 0x1ff
	v_and_or_b32 v2, v1, s0, v0
	v_cmp_ne_u32_e32 vcc, 0, v2
	v_lshrrev_b32_e32 v3, 8, v1
	s_movk_i32 s0, 0xffe
	v_cndmask_b32_e64 v2, 0, 1, vcc
	v_bfe_u32 v11, v1, 20, 11
	v_and_or_b32 v2, v3, s0, v2
	v_sub_u32_e32 v14, 0x3f1, v11
	v_or_b32_e32 v3, 0x1000, v2
	v_med3_i32 v14, v14, 0, 13
	v_lshrrev_b32_e32 v15, v14, v3
	v_lshlrev_b32_e32 v14, v14, v15
	v_cmp_ne_u32_e32 vcc, v14, v3
	v_add_u32_e32 v11, 0xfffffc10, v11
	v_lshl_or_b32 v14, v11, 12, v2
	v_cndmask_b32_e64 v3, 0, 1, vcc
	v_or_b32_e32 v3, v15, v3
	v_cmp_gt_i32_e32 vcc, 1, v11
	s_movk_i32 s0, 0x40f
	s_nop 0
	v_cndmask_b32_e32 v3, v14, v3, vcc
	v_and_b32_e32 v14, 7, v3
	v_cmp_lt_i32_e32 vcc, 5, v14
	v_lshrrev_b32_e32 v3, 2, v3
	s_nop 0
	v_cndmask_b32_e64 v15, 0, 1, vcc
	v_cmp_eq_u32_e32 vcc, 3, v14
	s_nop 1
	v_cndmask_b32_e64 v14, 0, 1, vcc
	v_or_b32_e32 v14, v14, v15
	v_add_u32_e32 v3, v3, v14
	v_mov_b32_e32 v14, 0x7c00
	v_cmp_gt_i32_e32 vcc, 31, v11
	v_mov_b32_e32 v15, 0x7e00
	s_nop 0
	v_cndmask_b32_e32 v3, v14, v3, vcc
	v_cmp_ne_u32_e32 vcc, 0, v2
	s_nop 1
	v_cndmask_b32_e32 v2, v14, v15, vcc
	v_cmp_eq_u32_e32 vcc, s0, v11
	s_mov_b32 s0, 0x8000
	s_nop 0
	v_cndmask_b32_e32 v2, v3, v2, vcc
	v_and_b32_sdwa v3, v1, s0 dst_sel:DWORD dst_unused:UNUSED_PAD src0_sel:WORD_1 src1_sel:DWORD
	s_mov_b32 s0, 0xffff
	v_bitop3_b32 v2, v3, s0, v2 bitop3:0xc8
	global_store_dword v[12:13], v2, off
.LBB192_1630:
	s_mov_b64 s[0:1], 0
.LBB192_1631:
	s_andn2_b64 vcc, exec, s[0:1]
	s_cbranch_vccnz .LBB192_1640
; %bb.1632:
	s_cmp_lt_i32 s6, 6
	s_mov_b64 s[0:1], -1
	s_cbranch_scc1 .LBB192_1638
; %bb.1633:
	s_cmp_gt_i32 s6, 6
	s_cbranch_scc0 .LBB192_1635
; %bb.1634:
	global_store_dwordx2 v[12:13], v[0:1], off
	s_mov_b64 s[0:1], 0
.LBB192_1635:
	s_andn2_b64 vcc, exec, s[0:1]
	s_cbranch_vccnz .LBB192_1637
; %bb.1636:
	v_cvt_f32_f64_e32 v2, v[0:1]
	global_store_dword v[12:13], v2, off
.LBB192_1637:
	s_mov_b64 s[0:1], 0
.LBB192_1638:
	s_andn2_b64 vcc, exec, s[0:1]
	s_cbranch_vccnz .LBB192_1640
; %bb.1639:
	s_movk_i32 s0, 0x1ff
	v_and_or_b32 v2, v1, s0, v0
	v_cmp_ne_u32_e32 vcc, 0, v2
	v_lshrrev_b32_e32 v3, 8, v1
	s_movk_i32 s0, 0xffe
	v_cndmask_b32_e64 v2, 0, 1, vcc
	v_bfe_u32 v11, v1, 20, 11
	v_and_or_b32 v2, v3, s0, v2
	v_sub_u32_e32 v14, 0x3f1, v11
	v_or_b32_e32 v3, 0x1000, v2
	v_med3_i32 v14, v14, 0, 13
	v_lshrrev_b32_e32 v15, v14, v3
	v_lshlrev_b32_e32 v14, v14, v15
	v_cmp_ne_u32_e32 vcc, v14, v3
	v_add_u32_e32 v11, 0xfffffc10, v11
	v_lshl_or_b32 v14, v11, 12, v2
	v_cndmask_b32_e64 v3, 0, 1, vcc
	v_or_b32_e32 v3, v15, v3
	v_cmp_gt_i32_e32 vcc, 1, v11
	s_movk_i32 s0, 0x40f
	s_nop 0
	v_cndmask_b32_e32 v3, v14, v3, vcc
	v_and_b32_e32 v14, 7, v3
	v_cmp_lt_i32_e32 vcc, 5, v14
	v_lshrrev_b32_e32 v3, 2, v3
	s_nop 0
	v_cndmask_b32_e64 v15, 0, 1, vcc
	v_cmp_eq_u32_e32 vcc, 3, v14
	s_nop 1
	v_cndmask_b32_e64 v14, 0, 1, vcc
	v_or_b32_e32 v14, v14, v15
	v_add_u32_e32 v3, v3, v14
	v_mov_b32_e32 v14, 0x7c00
	v_cmp_gt_i32_e32 vcc, 31, v11
	v_mov_b32_e32 v15, 0x7e00
	s_nop 0
	v_cndmask_b32_e32 v3, v14, v3, vcc
	v_cmp_ne_u32_e32 vcc, 0, v2
	s_nop 1
	v_cndmask_b32_e32 v2, v14, v15, vcc
	v_cmp_eq_u32_e32 vcc, s0, v11
	s_mov_b32 s0, 0x8000
	s_nop 0
	v_cndmask_b32_e32 v2, v3, v2, vcc
	v_lshrrev_b32_e32 v3, 16, v1
	v_and_or_b32 v2, v3, s0, v2
	global_store_short v[12:13], v2, off
.LBB192_1640:
	s_mov_b64 s[0:1], 0
.LBB192_1641:
	s_andn2_b64 vcc, exec, s[0:1]
	s_cbranch_vccnz .LBB192_1657
; %bb.1642:
	s_cmp_lt_i32 s6, 2
	s_mov_b64 s[0:1], -1
	s_cbranch_scc1 .LBB192_1652
; %bb.1643:
	s_cmp_lt_i32 s6, 3
	s_cbranch_scc1 .LBB192_1649
; %bb.1644:
	s_cmp_gt_i32 s6, 3
	s_cbranch_scc0 .LBB192_1646
; %bb.1645:
	v_trunc_f64_e32 v[2:3], v[0:1]
	s_movk_i32 s0, 0xffe0
	v_ldexp_f64 v[14:15], v[2:3], s0
	v_floor_f64_e32 v[14:15], v[14:15]
	v_fmac_f64_e32 v[2:3], 0xc1f00000, v[14:15]
	v_cvt_i32_f64_e32 v17, v[14:15]
	v_cvt_u32_f64_e32 v16, v[2:3]
	global_store_dwordx2 v[12:13], v[16:17], off
	s_mov_b64 s[0:1], 0
.LBB192_1646:
	s_andn2_b64 vcc, exec, s[0:1]
	s_cbranch_vccnz .LBB192_1648
; %bb.1647:
	v_cvt_i32_f64_e32 v2, v[0:1]
	global_store_dword v[12:13], v2, off
.LBB192_1648:
	s_mov_b64 s[0:1], 0
.LBB192_1649:
	s_andn2_b64 vcc, exec, s[0:1]
	s_cbranch_vccnz .LBB192_1651
; %bb.1650:
	v_cvt_i32_f64_e32 v2, v[0:1]
	global_store_short v[12:13], v2, off
.LBB192_1651:
	s_mov_b64 s[0:1], 0
.LBB192_1652:
	s_andn2_b64 vcc, exec, s[0:1]
	s_cbranch_vccnz .LBB192_1657
; %bb.1653:
	s_cmp_gt_i32 s6, 0
	s_mov_b64 s[0:1], -1
	s_cbranch_scc0 .LBB192_1655
; %bb.1654:
	v_cvt_i32_f64_e32 v2, v[0:1]
	global_store_byte v[12:13], v2, off
	s_mov_b64 s[0:1], 0
.LBB192_1655:
	s_andn2_b64 vcc, exec, s[0:1]
	s_cbranch_vccnz .LBB192_1657
; %bb.1656:
	v_trunc_f64_e32 v[0:1], v[0:1]
	s_movk_i32 s0, 0xffe0
	v_ldexp_f64 v[2:3], v[0:1], s0
	v_floor_f64_e32 v[2:3], v[2:3]
	v_fmac_f64_e32 v[0:1], 0xc1f00000, v[2:3]
	v_cvt_u32_f64_e32 v0, v[0:1]
	global_store_byte v[12:13], v0, off
.LBB192_1657:
	s_mov_b64 s[10:11], -1
.LBB192_1658:
	s_andn2_b64 vcc, exec, s[10:11]
	s_cbranch_vccnz .LBB192_1973
; %bb.1659:
	v_rsq_f64_e32 v[0:1], v[8:9]
	s_mov_b32 s0, 0
	s_mov_b32 s1, 0x3fd80000
	s_lshl_b32 s18, s8, 7
	v_mul_f64 v[2:3], v[0:1], -v[8:9]
	v_fma_f64 v[2:3], v[2:3], v[0:1], 1.0
	v_mul_f64 v[8:9], v[0:1], v[2:3]
	v_fma_f64 v[2:3], v[2:3], s[0:1], 0.5
	v_fma_f64 v[2:3], v[8:9], v[2:3], v[0:1]
	v_mov_b32_e32 v8, 0x180
	v_cmp_class_f64_e32 vcc, v[0:1], v8
	v_add_u32_e32 v8, s18, v10
	v_ashrrev_i32_e32 v9, 31, v8
	v_cndmask_b32_e32 v1, v1, v3, vcc
	v_cndmask_b32_e32 v0, v0, v2, vcc
	s_cmp_lt_i32 s20, 11
	v_lshl_add_u64 v[10:11], s[4:5], 0, v[8:9]
	s_cbranch_scc1 .LBB192_1737
; %bb.1660:
	s_and_b32 s19, 0xffff, s20
	s_mov_b64 s[10:11], -1
	s_mov_b64 s[6:7], 0
	s_cmp_gt_i32 s19, 25
	s_mov_b64 s[8:9], 0
	s_mov_b64 s[0:1], 0
	s_cbranch_scc0 .LBB192_1693
; %bb.1661:
	s_cmp_gt_i32 s19, 28
	s_cbranch_scc0 .LBB192_1676
; %bb.1662:
	s_cmp_gt_i32 s19, 43
	s_cbranch_scc0 .LBB192_1672
; %bb.1663:
	s_cmp_gt_i32 s19, 45
	s_cbranch_scc0 .LBB192_1666
; %bb.1664:
	s_mov_b64 s[0:1], -1
	s_mov_b64 s[10:11], 0
	s_cmp_eq_u32 s19, 46
	s_cbranch_scc0 .LBB192_1666
; %bb.1665:
	v_cvt_f32_f64_e32 v2, v[0:1]
	v_bfe_u32 v3, v2, 16, 1
	s_movk_i32 s0, 0x7fff
	v_add3_u32 v3, v2, v3, s0
	v_cmp_o_f32_e32 vcc, v2, v2
	v_mov_b32_e32 v2, 0x7fc0
	s_mov_b64 s[0:1], 0
	v_cndmask_b32_sdwa v2, v2, v3, vcc dst_sel:DWORD dst_unused:UNUSED_PAD src0_sel:DWORD src1_sel:WORD_1
	global_store_dword v[10:11], v2, off
	s_mov_b64 s[8:9], -1
.LBB192_1666:
	s_and_b64 vcc, exec, s[10:11]
	s_cbranch_vccz .LBB192_1671
; %bb.1667:
	s_cmp_eq_u32 s19, 44
	s_mov_b64 s[0:1], -1
	s_cbranch_scc0 .LBB192_1671
; %bb.1668:
	v_cvt_f32_f64_e32 v2, v[0:1]
	v_bfe_u32 v3, v2, 23, 8
	s_movk_i32 s0, 0xff
	v_cmp_ne_u32_e32 vcc, s0, v3
	v_mov_b32_e32 v9, 0xff
	s_and_saveexec_b64 s[8:9], vcc
; %bb.1669:
	s_mov_b32 s0, 0x3fffff
	v_lshrrev_b32_e32 v9, 23, v2
	v_and_b32_e32 v12, 0x400000, v2
	v_and_or_b32 v2, v2, s0, v3
	v_cmp_ne_u32_e32 vcc, 0, v12
	v_cmp_ne_u32_e64 s[0:1], 0, v2
	s_and_b64 s[0:1], vcc, s[0:1]
	s_nop 0
	v_cndmask_b32_e64 v2, 0, 1, s[0:1]
	v_add_u32_e32 v9, v9, v2
; %bb.1670:
	s_or_b64 exec, exec, s[8:9]
	s_mov_b64 s[0:1], 0
	s_mov_b64 s[8:9], -1
	global_store_byte v[10:11], v9, off
.LBB192_1671:
	s_mov_b64 s[10:11], 0
.LBB192_1672:
	s_and_b64 vcc, exec, s[10:11]
	s_cbranch_vccz .LBB192_1675
; %bb.1673:
	s_cmp_eq_u32 s19, 29
	s_mov_b64 s[0:1], -1
	s_cbranch_scc0 .LBB192_1675
; %bb.1674:
	v_trunc_f64_e32 v[2:3], v[0:1]
	s_movk_i32 s0, 0xffe0
	v_ldexp_f64 v[12:13], v[2:3], s0
	v_floor_f64_e32 v[12:13], v[12:13]
	v_fmac_f64_e32 v[2:3], 0xc1f00000, v[12:13]
	v_cvt_u32_f64_e32 v15, v[12:13]
	v_cvt_u32_f64_e32 v14, v[2:3]
	global_store_dwordx2 v[10:11], v[14:15], off
	s_mov_b64 s[0:1], 0
	s_mov_b64 s[8:9], -1
.LBB192_1675:
	s_mov_b64 s[10:11], 0
.LBB192_1676:
	s_and_b64 vcc, exec, s[10:11]
	s_cbranch_vccz .LBB192_1692
; %bb.1677:
	s_cmp_lt_i32 s19, 27
	s_mov_b64 s[8:9], -1
	s_cbranch_scc1 .LBB192_1683
; %bb.1678:
	s_cmp_gt_i32 s19, 27
	v_cvt_u32_f64_e32 v2, v[0:1]
	s_cbranch_scc0 .LBB192_1680
; %bb.1679:
	s_mov_b64 s[8:9], 0
	global_store_dword v[10:11], v2, off
.LBB192_1680:
	s_andn2_b64 vcc, exec, s[8:9]
	s_cbranch_vccnz .LBB192_1682
; %bb.1681:
	global_store_short v[10:11], v2, off
.LBB192_1682:
	s_mov_b64 s[8:9], 0
.LBB192_1683:
	s_andn2_b64 vcc, exec, s[8:9]
	s_cbranch_vccnz .LBB192_1691
; %bb.1684:
	v_cvt_f32_f64_e32 v2, v[0:1]
	v_and_b32_e32 v3, 0x7fffffff, v2
	s_mov_b32 s8, 0x43800000
	v_cmp_gt_u32_e32 vcc, s8, v3
	v_mov_b32_e32 v9, 0x80
	s_and_saveexec_b64 s[8:9], vcc
	s_cbranch_execz .LBB192_1690
; %bb.1685:
	s_mov_b32 s10, 0x3bffffff
	v_cmp_lt_u32_e32 vcc, s10, v3
	s_mov_b64 s[10:11], 0
                                        ; implicit-def: $vgpr3
	s_and_saveexec_b64 s[16:17], vcc
	s_xor_b64 s[16:17], exec, s[16:17]
	s_cbranch_execz .LBB192_2025
; %bb.1686:
	v_bfe_u32 v3, v2, 20, 1
	s_mov_b32 s21, 0x487ffff
	v_add3_u32 v3, v2, v3, s21
	s_mov_b64 s[10:11], exec
	v_lshrrev_b32_e32 v3, 20, v3
	s_andn2_saveexec_b64 s[16:17], s[16:17]
	s_cbranch_execnz .LBB192_2026
.LBB192_1687:
	s_or_b64 exec, exec, s[16:17]
	v_mov_b32_e32 v9, 0
	s_and_saveexec_b64 s[16:17], s[10:11]
.LBB192_1688:
	v_lshrrev_b32_e32 v2, 24, v2
	s_movk_i32 s10, 0x80
	v_and_or_b32 v9, v2, s10, v3
.LBB192_1689:
	s_or_b64 exec, exec, s[16:17]
.LBB192_1690:
	s_or_b64 exec, exec, s[8:9]
	global_store_byte v[10:11], v9, off
.LBB192_1691:
	s_mov_b64 s[8:9], -1
.LBB192_1692:
	s_mov_b64 s[10:11], 0
.LBB192_1693:
	s_and_b64 vcc, exec, s[10:11]
	s_cbranch_vccz .LBB192_1733
; %bb.1694:
	s_cmp_gt_i32 s19, 22
	s_mov_b64 s[6:7], -1
	s_cbranch_scc0 .LBB192_1726
; %bb.1695:
	s_cmp_lt_i32 s19, 24
	s_cbranch_scc1 .LBB192_1715
; %bb.1696:
	s_cmp_gt_i32 s19, 24
	s_cbranch_scc0 .LBB192_1704
; %bb.1697:
	v_cvt_f32_f64_e32 v2, v[0:1]
	v_and_b32_e32 v3, 0x7fffffff, v2
	s_mov_b32 s6, 0x47800000
	v_cmp_gt_u32_e32 vcc, s6, v3
	v_mov_b32_e32 v9, 0x80
	s_and_saveexec_b64 s[6:7], vcc
	s_cbranch_execz .LBB192_1703
; %bb.1698:
	s_mov_b32 s8, 0x37ffffff
	v_cmp_lt_u32_e32 vcc, s8, v3
	s_mov_b64 s[8:9], 0
                                        ; implicit-def: $vgpr3
	s_and_saveexec_b64 s[10:11], vcc
	s_xor_b64 s[10:11], exec, s[10:11]
	s_cbranch_execz .LBB192_2028
; %bb.1699:
	v_bfe_u32 v3, v2, 21, 1
	s_mov_b32 s16, 0x88fffff
	v_add3_u32 v3, v2, v3, s16
	s_mov_b64 s[8:9], exec
	v_lshrrev_b32_e32 v3, 21, v3
	s_andn2_saveexec_b64 s[10:11], s[10:11]
	s_cbranch_execnz .LBB192_2029
.LBB192_1700:
	s_or_b64 exec, exec, s[10:11]
	v_mov_b32_e32 v9, 0
	s_and_saveexec_b64 s[10:11], s[8:9]
.LBB192_1701:
	v_lshrrev_b32_e32 v2, 24, v2
	s_movk_i32 s8, 0x80
	v_and_or_b32 v9, v2, s8, v3
.LBB192_1702:
	s_or_b64 exec, exec, s[10:11]
.LBB192_1703:
	s_or_b64 exec, exec, s[6:7]
	s_mov_b64 s[6:7], 0
	global_store_byte v[10:11], v9, off
.LBB192_1704:
	s_and_b64 vcc, exec, s[6:7]
	s_cbranch_vccz .LBB192_1714
; %bb.1705:
	v_cvt_f32_f64_e32 v2, v[0:1]
	v_and_b32_e32 v9, 0x7fffffff, v2
	s_mov_b32 s6, 0x43f00000
	v_cmp_gt_u32_e32 vcc, s6, v9
                                        ; implicit-def: $vgpr3
	s_and_saveexec_b64 s[6:7], vcc
	s_xor_b64 s[6:7], exec, s[6:7]
	s_cbranch_execz .LBB192_1711
; %bb.1706:
	s_mov_b32 s8, 0x3c7fffff
	v_cmp_lt_u32_e32 vcc, s8, v9
                                        ; implicit-def: $vgpr3
	s_and_saveexec_b64 s[8:9], vcc
	s_xor_b64 s[8:9], exec, s[8:9]
; %bb.1707:
	v_bfe_u32 v3, v2, 20, 1
	s_mov_b32 s10, 0x407ffff
	v_add3_u32 v3, v2, v3, s10
	v_lshrrev_b32_e32 v9, 20, v3
	v_and_b32_e32 v3, 0xff00000, v3
	s_mov_b32 s10, 0x7f00000
	v_mov_b32_e32 v12, 0x7e
	v_cmp_ne_u32_e32 vcc, s10, v3
	s_nop 1
	v_cndmask_b32_e32 v3, v12, v9, vcc
; %bb.1708:
	s_andn2_saveexec_b64 s[8:9], s[8:9]
; %bb.1709:
	s_mov_b32 s10, 0x46800000
	v_add_f32_e64 v3, |v2|, s10
; %bb.1710:
	s_or_b64 exec, exec, s[8:9]
                                        ; implicit-def: $vgpr9
.LBB192_1711:
	s_andn2_saveexec_b64 s[6:7], s[6:7]
; %bb.1712:
	s_mov_b32 s8, 0x7f800000
	v_mov_b32_e32 v3, 0x7e
	v_mov_b32_e32 v12, 0x7f
	v_cmp_lt_u32_e32 vcc, s8, v9
	s_nop 1
	v_cndmask_b32_e32 v3, v3, v12, vcc
; %bb.1713:
	s_or_b64 exec, exec, s[6:7]
	v_lshrrev_b32_e32 v2, 24, v2
	s_movk_i32 s6, 0x80
	v_and_or_b32 v2, v2, s6, v3
	global_store_byte v[10:11], v2, off
.LBB192_1714:
	s_mov_b64 s[6:7], 0
.LBB192_1715:
	s_andn2_b64 vcc, exec, s[6:7]
	s_cbranch_vccnz .LBB192_1725
; %bb.1716:
	v_cvt_f32_f64_e32 v2, v[0:1]
	v_and_b32_e32 v9, 0x7fffffff, v2
	s_mov_b32 s6, 0x47800000
	v_cmp_gt_u32_e32 vcc, s6, v9
                                        ; implicit-def: $vgpr3
	s_and_saveexec_b64 s[6:7], vcc
	s_xor_b64 s[6:7], exec, s[6:7]
	s_cbranch_execz .LBB192_1722
; %bb.1717:
	s_mov_b32 s8, 0x387fffff
	v_cmp_lt_u32_e32 vcc, s8, v9
                                        ; implicit-def: $vgpr3
	s_and_saveexec_b64 s[8:9], vcc
	s_xor_b64 s[8:9], exec, s[8:9]
; %bb.1718:
	v_bfe_u32 v3, v2, 21, 1
	s_mov_b32 s10, 0x80fffff
	v_add3_u32 v3, v2, v3, s10
	v_lshrrev_b32_e32 v3, 21, v3
; %bb.1719:
	s_andn2_saveexec_b64 s[8:9], s[8:9]
; %bb.1720:
	s_mov_b32 s10, 0x43000000
	v_add_f32_e64 v3, |v2|, s10
; %bb.1721:
	s_or_b64 exec, exec, s[8:9]
                                        ; implicit-def: $vgpr9
.LBB192_1722:
	s_andn2_saveexec_b64 s[6:7], s[6:7]
; %bb.1723:
	s_mov_b32 s8, 0x7f800000
	v_mov_b32_e32 v3, 0x7c
	v_mov_b32_e32 v12, 0x7f
	v_cmp_lt_u32_e32 vcc, s8, v9
	s_nop 1
	v_cndmask_b32_e32 v3, v3, v12, vcc
; %bb.1724:
	s_or_b64 exec, exec, s[6:7]
	v_lshrrev_b32_e32 v2, 24, v2
	s_movk_i32 s6, 0x80
	v_and_or_b32 v2, v2, s6, v3
	global_store_byte v[10:11], v2, off
.LBB192_1725:
	s_mov_b64 s[6:7], 0
	s_mov_b64 s[8:9], -1
.LBB192_1726:
	s_andn2_b64 vcc, exec, s[6:7]
	s_mov_b64 s[6:7], 0
	s_cbranch_vccnz .LBB192_1733
; %bb.1727:
	s_cmp_gt_i32 s19, 14
	s_mov_b64 s[10:11], -1
	s_cbranch_scc0 .LBB192_1731
; %bb.1728:
	s_cmp_eq_u32 s19, 15
	s_mov_b64 s[0:1], -1
	s_cbranch_scc0 .LBB192_1730
; %bb.1729:
	v_cvt_f32_f64_e32 v2, v[0:1]
	v_bfe_u32 v3, v2, 16, 1
	s_movk_i32 s0, 0x7fff
	v_add3_u32 v3, v2, v3, s0
	v_cmp_o_f32_e32 vcc, v2, v2
	v_mov_b32_e32 v2, 0x7fc0
	s_mov_b64 s[0:1], 0
	v_cndmask_b32_sdwa v2, v2, v3, vcc dst_sel:DWORD dst_unused:UNUSED_PAD src0_sel:DWORD src1_sel:WORD_1
	global_store_short v[10:11], v2, off
	s_mov_b64 s[8:9], -1
.LBB192_1730:
	s_mov_b64 s[10:11], 0
.LBB192_1731:
	s_and_b64 vcc, exec, s[10:11]
	s_cbranch_vccz .LBB192_1733
; %bb.1732:
	s_cmp_lg_u32 s19, 11
	s_mov_b64 s[6:7], -1
	s_cselect_b64 s[0:1], -1, 0
.LBB192_1733:
	s_and_b64 vcc, exec, s[0:1]
	s_cbranch_vccnz .LBB192_2027
; %bb.1734:
	s_andn2_b64 vcc, exec, s[6:7]
	s_cbranch_vccnz .LBB192_1736
.LBB192_1735:
	v_cmp_neq_f64_e32 vcc, 0, v[0:1]
	s_mov_b64 s[8:9], -1
	s_nop 0
	v_cndmask_b32_e64 v2, 0, 1, vcc
	global_store_byte v[10:11], v2, off
.LBB192_1736:
	s_mov_b64 s[0:1], 0
	s_branch .LBB192_1738
.LBB192_1737:
	s_mov_b64 s[0:1], -1
	s_mov_b64 s[8:9], 0
.LBB192_1738:
	s_and_b64 vcc, exec, s[0:1]
	s_cbranch_vccz .LBB192_1777
; %bb.1739:
	s_and_b32 s6, 0xffff, s20
	s_cmp_lt_i32 s6, 5
	s_mov_b64 s[0:1], -1
	s_cbranch_scc1 .LBB192_1760
; %bb.1740:
	s_cmp_lt_i32 s6, 8
	s_cbranch_scc1 .LBB192_1750
; %bb.1741:
	s_cmp_lt_i32 s6, 9
	s_cbranch_scc1 .LBB192_1747
; %bb.1742:
	s_cmp_gt_i32 s6, 9
	s_cbranch_scc0 .LBB192_1744
; %bb.1743:
	v_mov_b32_e32 v2, 0
	v_mov_b32_e32 v3, v2
	global_store_dwordx4 v[10:11], v[0:3], off
	s_mov_b64 s[0:1], 0
.LBB192_1744:
	s_andn2_b64 vcc, exec, s[0:1]
	s_cbranch_vccnz .LBB192_1746
; %bb.1745:
	v_cvt_f32_f64_e32 v2, v[0:1]
	v_mov_b32_e32 v3, 0
	global_store_dwordx2 v[10:11], v[2:3], off
.LBB192_1746:
	s_mov_b64 s[0:1], 0
.LBB192_1747:
	s_andn2_b64 vcc, exec, s[0:1]
	s_cbranch_vccnz .LBB192_1749
; %bb.1748:
	s_movk_i32 s0, 0x1ff
	v_and_or_b32 v2, v1, s0, v0
	v_cmp_ne_u32_e32 vcc, 0, v2
	v_lshrrev_b32_e32 v3, 8, v1
	s_movk_i32 s0, 0xffe
	v_cndmask_b32_e64 v2, 0, 1, vcc
	v_bfe_u32 v9, v1, 20, 11
	v_and_or_b32 v2, v3, s0, v2
	v_sub_u32_e32 v12, 0x3f1, v9
	v_or_b32_e32 v3, 0x1000, v2
	v_med3_i32 v12, v12, 0, 13
	v_lshrrev_b32_e32 v13, v12, v3
	v_lshlrev_b32_e32 v12, v12, v13
	v_cmp_ne_u32_e32 vcc, v12, v3
	v_add_u32_e32 v9, 0xfffffc10, v9
	v_lshl_or_b32 v12, v9, 12, v2
	v_cndmask_b32_e64 v3, 0, 1, vcc
	v_or_b32_e32 v3, v13, v3
	v_cmp_gt_i32_e32 vcc, 1, v9
	s_movk_i32 s0, 0x40f
	s_nop 0
	v_cndmask_b32_e32 v3, v12, v3, vcc
	v_and_b32_e32 v12, 7, v3
	v_cmp_lt_i32_e32 vcc, 5, v12
	v_lshrrev_b32_e32 v3, 2, v3
	s_nop 0
	v_cndmask_b32_e64 v13, 0, 1, vcc
	v_cmp_eq_u32_e32 vcc, 3, v12
	s_nop 1
	v_cndmask_b32_e64 v12, 0, 1, vcc
	v_or_b32_e32 v12, v12, v13
	v_add_u32_e32 v3, v3, v12
	v_mov_b32_e32 v12, 0x7c00
	v_cmp_gt_i32_e32 vcc, 31, v9
	v_mov_b32_e32 v13, 0x7e00
	s_nop 0
	v_cndmask_b32_e32 v3, v12, v3, vcc
	v_cmp_ne_u32_e32 vcc, 0, v2
	s_nop 1
	v_cndmask_b32_e32 v2, v12, v13, vcc
	v_cmp_eq_u32_e32 vcc, s0, v9
	s_mov_b32 s0, 0x8000
	s_nop 0
	v_cndmask_b32_e32 v2, v3, v2, vcc
	v_and_b32_sdwa v3, v1, s0 dst_sel:DWORD dst_unused:UNUSED_PAD src0_sel:WORD_1 src1_sel:DWORD
	s_mov_b32 s0, 0xffff
	v_bitop3_b32 v2, v3, s0, v2 bitop3:0xc8
	global_store_dword v[10:11], v2, off
.LBB192_1749:
	s_mov_b64 s[0:1], 0
.LBB192_1750:
	s_andn2_b64 vcc, exec, s[0:1]
	s_cbranch_vccnz .LBB192_1759
; %bb.1751:
	s_cmp_lt_i32 s6, 6
	s_mov_b64 s[0:1], -1
	s_cbranch_scc1 .LBB192_1757
; %bb.1752:
	s_cmp_gt_i32 s6, 6
	s_cbranch_scc0 .LBB192_1754
; %bb.1753:
	global_store_dwordx2 v[10:11], v[0:1], off
	s_mov_b64 s[0:1], 0
.LBB192_1754:
	s_andn2_b64 vcc, exec, s[0:1]
	s_cbranch_vccnz .LBB192_1756
; %bb.1755:
	v_cvt_f32_f64_e32 v2, v[0:1]
	global_store_dword v[10:11], v2, off
.LBB192_1756:
	s_mov_b64 s[0:1], 0
.LBB192_1757:
	s_andn2_b64 vcc, exec, s[0:1]
	s_cbranch_vccnz .LBB192_1759
; %bb.1758:
	s_movk_i32 s0, 0x1ff
	v_and_or_b32 v2, v1, s0, v0
	v_cmp_ne_u32_e32 vcc, 0, v2
	v_lshrrev_b32_e32 v3, 8, v1
	s_movk_i32 s0, 0xffe
	v_cndmask_b32_e64 v2, 0, 1, vcc
	v_bfe_u32 v9, v1, 20, 11
	v_and_or_b32 v2, v3, s0, v2
	v_sub_u32_e32 v12, 0x3f1, v9
	v_or_b32_e32 v3, 0x1000, v2
	v_med3_i32 v12, v12, 0, 13
	v_lshrrev_b32_e32 v13, v12, v3
	v_lshlrev_b32_e32 v12, v12, v13
	v_cmp_ne_u32_e32 vcc, v12, v3
	v_add_u32_e32 v9, 0xfffffc10, v9
	v_lshl_or_b32 v12, v9, 12, v2
	v_cndmask_b32_e64 v3, 0, 1, vcc
	v_or_b32_e32 v3, v13, v3
	v_cmp_gt_i32_e32 vcc, 1, v9
	s_movk_i32 s0, 0x40f
	s_nop 0
	v_cndmask_b32_e32 v3, v12, v3, vcc
	v_and_b32_e32 v12, 7, v3
	v_cmp_lt_i32_e32 vcc, 5, v12
	v_lshrrev_b32_e32 v3, 2, v3
	s_nop 0
	v_cndmask_b32_e64 v13, 0, 1, vcc
	v_cmp_eq_u32_e32 vcc, 3, v12
	s_nop 1
	v_cndmask_b32_e64 v12, 0, 1, vcc
	v_or_b32_e32 v12, v12, v13
	v_add_u32_e32 v3, v3, v12
	v_mov_b32_e32 v12, 0x7c00
	v_cmp_gt_i32_e32 vcc, 31, v9
	v_mov_b32_e32 v13, 0x7e00
	s_nop 0
	v_cndmask_b32_e32 v3, v12, v3, vcc
	v_cmp_ne_u32_e32 vcc, 0, v2
	s_nop 1
	v_cndmask_b32_e32 v2, v12, v13, vcc
	v_cmp_eq_u32_e32 vcc, s0, v9
	s_mov_b32 s0, 0x8000
	s_nop 0
	v_cndmask_b32_e32 v2, v3, v2, vcc
	v_lshrrev_b32_e32 v3, 16, v1
	v_and_or_b32 v2, v3, s0, v2
	global_store_short v[10:11], v2, off
.LBB192_1759:
	s_mov_b64 s[0:1], 0
.LBB192_1760:
	s_andn2_b64 vcc, exec, s[0:1]
	s_cbranch_vccnz .LBB192_1776
; %bb.1761:
	s_cmp_lt_i32 s6, 2
	s_mov_b64 s[0:1], -1
	s_cbranch_scc1 .LBB192_1771
; %bb.1762:
	s_cmp_lt_i32 s6, 3
	s_cbranch_scc1 .LBB192_1768
; %bb.1763:
	s_cmp_gt_i32 s6, 3
	s_cbranch_scc0 .LBB192_1765
; %bb.1764:
	v_trunc_f64_e32 v[2:3], v[0:1]
	s_movk_i32 s0, 0xffe0
	v_ldexp_f64 v[12:13], v[2:3], s0
	v_floor_f64_e32 v[12:13], v[12:13]
	v_fmac_f64_e32 v[2:3], 0xc1f00000, v[12:13]
	v_cvt_i32_f64_e32 v15, v[12:13]
	v_cvt_u32_f64_e32 v14, v[2:3]
	global_store_dwordx2 v[10:11], v[14:15], off
	s_mov_b64 s[0:1], 0
.LBB192_1765:
	s_andn2_b64 vcc, exec, s[0:1]
	s_cbranch_vccnz .LBB192_1767
; %bb.1766:
	v_cvt_i32_f64_e32 v2, v[0:1]
	global_store_dword v[10:11], v2, off
.LBB192_1767:
	s_mov_b64 s[0:1], 0
.LBB192_1768:
	s_andn2_b64 vcc, exec, s[0:1]
	s_cbranch_vccnz .LBB192_1770
; %bb.1769:
	v_cvt_i32_f64_e32 v2, v[0:1]
	global_store_short v[10:11], v2, off
.LBB192_1770:
	s_mov_b64 s[0:1], 0
.LBB192_1771:
	s_andn2_b64 vcc, exec, s[0:1]
	s_cbranch_vccnz .LBB192_1776
; %bb.1772:
	s_cmp_gt_i32 s6, 0
	s_mov_b64 s[0:1], -1
	s_cbranch_scc0 .LBB192_1774
; %bb.1773:
	v_cvt_i32_f64_e32 v2, v[0:1]
	global_store_byte v[10:11], v2, off
	s_mov_b64 s[0:1], 0
.LBB192_1774:
	s_andn2_b64 vcc, exec, s[0:1]
	s_cbranch_vccnz .LBB192_1776
; %bb.1775:
	v_trunc_f64_e32 v[0:1], v[0:1]
	s_movk_i32 s0, 0xffe0
	v_ldexp_f64 v[2:3], v[0:1], s0
	v_floor_f64_e32 v[2:3], v[2:3]
	v_fmac_f64_e32 v[0:1], 0xc1f00000, v[2:3]
	v_cvt_u32_f64_e32 v0, v[0:1]
	global_store_byte v[10:11], v0, off
.LBB192_1776:
	s_mov_b64 s[8:9], -1
.LBB192_1777:
	s_andn2_b64 vcc, exec, s[8:9]
	s_cbranch_vccnz .LBB192_1973
; %bb.1778:
	v_rsq_f64_e32 v[0:1], v[6:7]
	s_mov_b32 s0, 0
	s_mov_b32 s1, 0x3fd80000
	s_cmp_lt_i32 s20, 11
	v_mul_f64 v[2:3], v[0:1], -v[6:7]
	v_fma_f64 v[2:3], v[2:3], v[0:1], 1.0
	v_mul_f64 v[6:7], v[0:1], v[2:3]
	v_fma_f64 v[2:3], v[2:3], s[0:1], 0.5
	v_fma_f64 v[2:3], v[6:7], v[2:3], v[0:1]
	v_mov_b32_e32 v6, 0x180
	v_cmp_class_f64_e32 vcc, v[0:1], v6
	v_add_u32_e32 v6, s18, v8
	v_ashrrev_i32_e32 v7, 31, v6
	v_cndmask_b32_e32 v1, v1, v3, vcc
	v_cndmask_b32_e32 v0, v0, v2, vcc
	v_lshl_add_u64 v[8:9], s[4:5], 0, v[6:7]
	s_cbranch_scc1 .LBB192_1856
; %bb.1779:
	s_and_b32 s19, 0xffff, s20
	s_mov_b64 s[10:11], -1
	s_mov_b64 s[6:7], 0
	s_cmp_gt_i32 s19, 25
	s_mov_b64 s[8:9], 0
	s_mov_b64 s[0:1], 0
	s_cbranch_scc0 .LBB192_1812
; %bb.1780:
	s_cmp_gt_i32 s19, 28
	s_cbranch_scc0 .LBB192_1795
; %bb.1781:
	s_cmp_gt_i32 s19, 43
	;; [unrolled: 3-line block ×3, first 2 shown]
	s_cbranch_scc0 .LBB192_1785
; %bb.1783:
	s_mov_b64 s[0:1], -1
	s_mov_b64 s[10:11], 0
	s_cmp_eq_u32 s19, 46
	s_cbranch_scc0 .LBB192_1785
; %bb.1784:
	v_cvt_f32_f64_e32 v2, v[0:1]
	v_bfe_u32 v3, v2, 16, 1
	s_movk_i32 s0, 0x7fff
	v_add3_u32 v3, v2, v3, s0
	v_cmp_o_f32_e32 vcc, v2, v2
	v_mov_b32_e32 v2, 0x7fc0
	s_mov_b64 s[0:1], 0
	v_cndmask_b32_sdwa v2, v2, v3, vcc dst_sel:DWORD dst_unused:UNUSED_PAD src0_sel:DWORD src1_sel:WORD_1
	global_store_dword v[8:9], v2, off
	s_mov_b64 s[8:9], -1
.LBB192_1785:
	s_and_b64 vcc, exec, s[10:11]
	s_cbranch_vccz .LBB192_1790
; %bb.1786:
	s_cmp_eq_u32 s19, 44
	s_mov_b64 s[0:1], -1
	s_cbranch_scc0 .LBB192_1790
; %bb.1787:
	v_cvt_f32_f64_e32 v2, v[0:1]
	v_bfe_u32 v3, v2, 23, 8
	s_movk_i32 s0, 0xff
	v_cmp_ne_u32_e32 vcc, s0, v3
	v_mov_b32_e32 v7, 0xff
	s_and_saveexec_b64 s[8:9], vcc
; %bb.1788:
	s_mov_b32 s0, 0x3fffff
	v_lshrrev_b32_e32 v7, 23, v2
	v_and_b32_e32 v10, 0x400000, v2
	v_and_or_b32 v2, v2, s0, v3
	v_cmp_ne_u32_e32 vcc, 0, v10
	v_cmp_ne_u32_e64 s[0:1], 0, v2
	s_and_b64 s[0:1], vcc, s[0:1]
	s_nop 0
	v_cndmask_b32_e64 v2, 0, 1, s[0:1]
	v_add_u32_e32 v7, v7, v2
; %bb.1789:
	s_or_b64 exec, exec, s[8:9]
	s_mov_b64 s[0:1], 0
	s_mov_b64 s[8:9], -1
	global_store_byte v[8:9], v7, off
.LBB192_1790:
	s_mov_b64 s[10:11], 0
.LBB192_1791:
	s_and_b64 vcc, exec, s[10:11]
	s_cbranch_vccz .LBB192_1794
; %bb.1792:
	s_cmp_eq_u32 s19, 29
	s_mov_b64 s[0:1], -1
	s_cbranch_scc0 .LBB192_1794
; %bb.1793:
	v_trunc_f64_e32 v[2:3], v[0:1]
	s_movk_i32 s0, 0xffe0
	v_ldexp_f64 v[10:11], v[2:3], s0
	v_floor_f64_e32 v[10:11], v[10:11]
	v_fmac_f64_e32 v[2:3], 0xc1f00000, v[10:11]
	v_cvt_u32_f64_e32 v13, v[10:11]
	v_cvt_u32_f64_e32 v12, v[2:3]
	global_store_dwordx2 v[8:9], v[12:13], off
	s_mov_b64 s[0:1], 0
	s_mov_b64 s[8:9], -1
.LBB192_1794:
	s_mov_b64 s[10:11], 0
.LBB192_1795:
	s_and_b64 vcc, exec, s[10:11]
	s_cbranch_vccz .LBB192_1811
; %bb.1796:
	s_cmp_lt_i32 s19, 27
	s_mov_b64 s[8:9], -1
	s_cbranch_scc1 .LBB192_1802
; %bb.1797:
	s_cmp_gt_i32 s19, 27
	v_cvt_u32_f64_e32 v2, v[0:1]
	s_cbranch_scc0 .LBB192_1799
; %bb.1798:
	s_mov_b64 s[8:9], 0
	global_store_dword v[8:9], v2, off
.LBB192_1799:
	s_andn2_b64 vcc, exec, s[8:9]
	s_cbranch_vccnz .LBB192_1801
; %bb.1800:
	global_store_short v[8:9], v2, off
.LBB192_1801:
	s_mov_b64 s[8:9], 0
.LBB192_1802:
	s_andn2_b64 vcc, exec, s[8:9]
	s_cbranch_vccnz .LBB192_1810
; %bb.1803:
	v_cvt_f32_f64_e32 v2, v[0:1]
	v_and_b32_e32 v3, 0x7fffffff, v2
	s_mov_b32 s8, 0x43800000
	v_cmp_gt_u32_e32 vcc, s8, v3
	v_mov_b32_e32 v7, 0x80
	s_and_saveexec_b64 s[8:9], vcc
	s_cbranch_execz .LBB192_1809
; %bb.1804:
	s_mov_b32 s10, 0x3bffffff
	v_cmp_lt_u32_e32 vcc, s10, v3
	s_mov_b64 s[10:11], 0
                                        ; implicit-def: $vgpr3
	s_and_saveexec_b64 s[16:17], vcc
	s_xor_b64 s[16:17], exec, s[16:17]
	s_cbranch_execz .LBB192_2030
; %bb.1805:
	v_bfe_u32 v3, v2, 20, 1
	s_mov_b32 s21, 0x487ffff
	v_add3_u32 v3, v2, v3, s21
	s_mov_b64 s[10:11], exec
	v_lshrrev_b32_e32 v3, 20, v3
	s_andn2_saveexec_b64 s[16:17], s[16:17]
	s_cbranch_execnz .LBB192_2031
.LBB192_1806:
	s_or_b64 exec, exec, s[16:17]
	v_mov_b32_e32 v7, 0
	s_and_saveexec_b64 s[16:17], s[10:11]
.LBB192_1807:
	v_lshrrev_b32_e32 v2, 24, v2
	s_movk_i32 s10, 0x80
	v_and_or_b32 v7, v2, s10, v3
.LBB192_1808:
	s_or_b64 exec, exec, s[16:17]
.LBB192_1809:
	s_or_b64 exec, exec, s[8:9]
	global_store_byte v[8:9], v7, off
.LBB192_1810:
	s_mov_b64 s[8:9], -1
.LBB192_1811:
	s_mov_b64 s[10:11], 0
.LBB192_1812:
	s_and_b64 vcc, exec, s[10:11]
	s_cbranch_vccz .LBB192_1852
; %bb.1813:
	s_cmp_gt_i32 s19, 22
	s_mov_b64 s[6:7], -1
	s_cbranch_scc0 .LBB192_1845
; %bb.1814:
	s_cmp_lt_i32 s19, 24
	s_cbranch_scc1 .LBB192_1834
; %bb.1815:
	s_cmp_gt_i32 s19, 24
	s_cbranch_scc0 .LBB192_1823
; %bb.1816:
	v_cvt_f32_f64_e32 v2, v[0:1]
	v_and_b32_e32 v3, 0x7fffffff, v2
	s_mov_b32 s6, 0x47800000
	v_cmp_gt_u32_e32 vcc, s6, v3
	v_mov_b32_e32 v7, 0x80
	s_and_saveexec_b64 s[6:7], vcc
	s_cbranch_execz .LBB192_1822
; %bb.1817:
	s_mov_b32 s8, 0x37ffffff
	v_cmp_lt_u32_e32 vcc, s8, v3
	s_mov_b64 s[8:9], 0
                                        ; implicit-def: $vgpr3
	s_and_saveexec_b64 s[10:11], vcc
	s_xor_b64 s[10:11], exec, s[10:11]
	s_cbranch_execz .LBB192_2033
; %bb.1818:
	v_bfe_u32 v3, v2, 21, 1
	s_mov_b32 s16, 0x88fffff
	v_add3_u32 v3, v2, v3, s16
	s_mov_b64 s[8:9], exec
	v_lshrrev_b32_e32 v3, 21, v3
	s_andn2_saveexec_b64 s[10:11], s[10:11]
	s_cbranch_execnz .LBB192_2034
.LBB192_1819:
	s_or_b64 exec, exec, s[10:11]
	v_mov_b32_e32 v7, 0
	s_and_saveexec_b64 s[10:11], s[8:9]
.LBB192_1820:
	v_lshrrev_b32_e32 v2, 24, v2
	s_movk_i32 s8, 0x80
	v_and_or_b32 v7, v2, s8, v3
.LBB192_1821:
	s_or_b64 exec, exec, s[10:11]
.LBB192_1822:
	s_or_b64 exec, exec, s[6:7]
	s_mov_b64 s[6:7], 0
	global_store_byte v[8:9], v7, off
.LBB192_1823:
	s_and_b64 vcc, exec, s[6:7]
	s_cbranch_vccz .LBB192_1833
; %bb.1824:
	v_cvt_f32_f64_e32 v2, v[0:1]
	v_and_b32_e32 v7, 0x7fffffff, v2
	s_mov_b32 s6, 0x43f00000
	v_cmp_gt_u32_e32 vcc, s6, v7
                                        ; implicit-def: $vgpr3
	s_and_saveexec_b64 s[6:7], vcc
	s_xor_b64 s[6:7], exec, s[6:7]
	s_cbranch_execz .LBB192_1830
; %bb.1825:
	s_mov_b32 s8, 0x3c7fffff
	v_cmp_lt_u32_e32 vcc, s8, v7
                                        ; implicit-def: $vgpr3
	s_and_saveexec_b64 s[8:9], vcc
	s_xor_b64 s[8:9], exec, s[8:9]
; %bb.1826:
	v_bfe_u32 v3, v2, 20, 1
	s_mov_b32 s10, 0x407ffff
	v_add3_u32 v3, v2, v3, s10
	v_lshrrev_b32_e32 v7, 20, v3
	v_and_b32_e32 v3, 0xff00000, v3
	s_mov_b32 s10, 0x7f00000
	v_mov_b32_e32 v10, 0x7e
	v_cmp_ne_u32_e32 vcc, s10, v3
	s_nop 1
	v_cndmask_b32_e32 v3, v10, v7, vcc
; %bb.1827:
	s_andn2_saveexec_b64 s[8:9], s[8:9]
; %bb.1828:
	s_mov_b32 s10, 0x46800000
	v_add_f32_e64 v3, |v2|, s10
; %bb.1829:
	s_or_b64 exec, exec, s[8:9]
                                        ; implicit-def: $vgpr7
.LBB192_1830:
	s_andn2_saveexec_b64 s[6:7], s[6:7]
; %bb.1831:
	s_mov_b32 s8, 0x7f800000
	v_mov_b32_e32 v3, 0x7e
	v_mov_b32_e32 v10, 0x7f
	v_cmp_lt_u32_e32 vcc, s8, v7
	s_nop 1
	v_cndmask_b32_e32 v3, v3, v10, vcc
; %bb.1832:
	s_or_b64 exec, exec, s[6:7]
	v_lshrrev_b32_e32 v2, 24, v2
	s_movk_i32 s6, 0x80
	v_and_or_b32 v2, v2, s6, v3
	global_store_byte v[8:9], v2, off
.LBB192_1833:
	s_mov_b64 s[6:7], 0
.LBB192_1834:
	s_andn2_b64 vcc, exec, s[6:7]
	s_cbranch_vccnz .LBB192_1844
; %bb.1835:
	v_cvt_f32_f64_e32 v2, v[0:1]
	v_and_b32_e32 v7, 0x7fffffff, v2
	s_mov_b32 s6, 0x47800000
	v_cmp_gt_u32_e32 vcc, s6, v7
                                        ; implicit-def: $vgpr3
	s_and_saveexec_b64 s[6:7], vcc
	s_xor_b64 s[6:7], exec, s[6:7]
	s_cbranch_execz .LBB192_1841
; %bb.1836:
	s_mov_b32 s8, 0x387fffff
	v_cmp_lt_u32_e32 vcc, s8, v7
                                        ; implicit-def: $vgpr3
	s_and_saveexec_b64 s[8:9], vcc
	s_xor_b64 s[8:9], exec, s[8:9]
; %bb.1837:
	v_bfe_u32 v3, v2, 21, 1
	s_mov_b32 s10, 0x80fffff
	v_add3_u32 v3, v2, v3, s10
	v_lshrrev_b32_e32 v3, 21, v3
; %bb.1838:
	s_andn2_saveexec_b64 s[8:9], s[8:9]
; %bb.1839:
	s_mov_b32 s10, 0x43000000
	v_add_f32_e64 v3, |v2|, s10
; %bb.1840:
	s_or_b64 exec, exec, s[8:9]
                                        ; implicit-def: $vgpr7
.LBB192_1841:
	s_andn2_saveexec_b64 s[6:7], s[6:7]
; %bb.1842:
	s_mov_b32 s8, 0x7f800000
	v_mov_b32_e32 v3, 0x7c
	v_mov_b32_e32 v10, 0x7f
	v_cmp_lt_u32_e32 vcc, s8, v7
	s_nop 1
	v_cndmask_b32_e32 v3, v3, v10, vcc
; %bb.1843:
	s_or_b64 exec, exec, s[6:7]
	v_lshrrev_b32_e32 v2, 24, v2
	s_movk_i32 s6, 0x80
	v_and_or_b32 v2, v2, s6, v3
	global_store_byte v[8:9], v2, off
.LBB192_1844:
	s_mov_b64 s[6:7], 0
	s_mov_b64 s[8:9], -1
.LBB192_1845:
	s_andn2_b64 vcc, exec, s[6:7]
	s_mov_b64 s[6:7], 0
	s_cbranch_vccnz .LBB192_1852
; %bb.1846:
	s_cmp_gt_i32 s19, 14
	s_mov_b64 s[10:11], -1
	s_cbranch_scc0 .LBB192_1850
; %bb.1847:
	s_cmp_eq_u32 s19, 15
	s_mov_b64 s[0:1], -1
	s_cbranch_scc0 .LBB192_1849
; %bb.1848:
	v_cvt_f32_f64_e32 v2, v[0:1]
	v_bfe_u32 v3, v2, 16, 1
	s_movk_i32 s0, 0x7fff
	v_add3_u32 v3, v2, v3, s0
	v_cmp_o_f32_e32 vcc, v2, v2
	v_mov_b32_e32 v2, 0x7fc0
	s_mov_b64 s[0:1], 0
	v_cndmask_b32_sdwa v2, v2, v3, vcc dst_sel:DWORD dst_unused:UNUSED_PAD src0_sel:DWORD src1_sel:WORD_1
	global_store_short v[8:9], v2, off
	s_mov_b64 s[8:9], -1
.LBB192_1849:
	s_mov_b64 s[10:11], 0
.LBB192_1850:
	s_and_b64 vcc, exec, s[10:11]
	s_cbranch_vccz .LBB192_1852
; %bb.1851:
	s_cmp_lg_u32 s19, 11
	s_mov_b64 s[6:7], -1
	s_cselect_b64 s[0:1], -1, 0
.LBB192_1852:
	s_and_b64 vcc, exec, s[0:1]
	s_cbranch_vccnz .LBB192_2032
; %bb.1853:
	s_andn2_b64 vcc, exec, s[6:7]
	s_cbranch_vccnz .LBB192_1855
.LBB192_1854:
	v_cmp_neq_f64_e32 vcc, 0, v[0:1]
	s_mov_b64 s[8:9], -1
	s_nop 0
	v_cndmask_b32_e64 v2, 0, 1, vcc
	global_store_byte v[8:9], v2, off
.LBB192_1855:
	s_mov_b64 s[0:1], 0
	s_branch .LBB192_1857
.LBB192_1856:
	s_mov_b64 s[0:1], -1
	s_mov_b64 s[8:9], 0
.LBB192_1857:
	s_and_b64 vcc, exec, s[0:1]
	s_cbranch_vccz .LBB192_1896
; %bb.1858:
	s_and_b32 s6, 0xffff, s20
	s_cmp_lt_i32 s6, 5
	s_mov_b64 s[0:1], -1
	s_cbranch_scc1 .LBB192_1879
; %bb.1859:
	s_cmp_lt_i32 s6, 8
	s_cbranch_scc1 .LBB192_1869
; %bb.1860:
	s_cmp_lt_i32 s6, 9
	s_cbranch_scc1 .LBB192_1866
; %bb.1861:
	s_cmp_gt_i32 s6, 9
	s_cbranch_scc0 .LBB192_1863
; %bb.1862:
	v_mov_b32_e32 v2, 0
	v_mov_b32_e32 v3, v2
	global_store_dwordx4 v[8:9], v[0:3], off
	s_mov_b64 s[0:1], 0
.LBB192_1863:
	s_andn2_b64 vcc, exec, s[0:1]
	s_cbranch_vccnz .LBB192_1865
; %bb.1864:
	v_cvt_f32_f64_e32 v2, v[0:1]
	v_mov_b32_e32 v3, 0
	global_store_dwordx2 v[8:9], v[2:3], off
.LBB192_1865:
	s_mov_b64 s[0:1], 0
.LBB192_1866:
	s_andn2_b64 vcc, exec, s[0:1]
	s_cbranch_vccnz .LBB192_1868
; %bb.1867:
	s_movk_i32 s0, 0x1ff
	v_and_or_b32 v2, v1, s0, v0
	v_cmp_ne_u32_e32 vcc, 0, v2
	v_lshrrev_b32_e32 v3, 8, v1
	s_movk_i32 s0, 0xffe
	v_cndmask_b32_e64 v2, 0, 1, vcc
	v_bfe_u32 v7, v1, 20, 11
	v_and_or_b32 v2, v3, s0, v2
	v_sub_u32_e32 v10, 0x3f1, v7
	v_or_b32_e32 v3, 0x1000, v2
	v_med3_i32 v10, v10, 0, 13
	v_lshrrev_b32_e32 v11, v10, v3
	v_lshlrev_b32_e32 v10, v10, v11
	v_cmp_ne_u32_e32 vcc, v10, v3
	v_add_u32_e32 v7, 0xfffffc10, v7
	v_lshl_or_b32 v10, v7, 12, v2
	v_cndmask_b32_e64 v3, 0, 1, vcc
	v_or_b32_e32 v3, v11, v3
	v_cmp_gt_i32_e32 vcc, 1, v7
	s_movk_i32 s0, 0x40f
	s_nop 0
	v_cndmask_b32_e32 v3, v10, v3, vcc
	v_and_b32_e32 v10, 7, v3
	v_cmp_lt_i32_e32 vcc, 5, v10
	v_lshrrev_b32_e32 v3, 2, v3
	s_nop 0
	v_cndmask_b32_e64 v11, 0, 1, vcc
	v_cmp_eq_u32_e32 vcc, 3, v10
	s_nop 1
	v_cndmask_b32_e64 v10, 0, 1, vcc
	v_or_b32_e32 v10, v10, v11
	v_add_u32_e32 v3, v3, v10
	v_mov_b32_e32 v10, 0x7c00
	v_cmp_gt_i32_e32 vcc, 31, v7
	v_mov_b32_e32 v11, 0x7e00
	s_nop 0
	v_cndmask_b32_e32 v3, v10, v3, vcc
	v_cmp_ne_u32_e32 vcc, 0, v2
	s_nop 1
	v_cndmask_b32_e32 v2, v10, v11, vcc
	v_cmp_eq_u32_e32 vcc, s0, v7
	s_mov_b32 s0, 0x8000
	s_nop 0
	v_cndmask_b32_e32 v2, v3, v2, vcc
	v_and_b32_sdwa v3, v1, s0 dst_sel:DWORD dst_unused:UNUSED_PAD src0_sel:WORD_1 src1_sel:DWORD
	s_mov_b32 s0, 0xffff
	v_bitop3_b32 v2, v3, s0, v2 bitop3:0xc8
	global_store_dword v[8:9], v2, off
.LBB192_1868:
	s_mov_b64 s[0:1], 0
.LBB192_1869:
	s_andn2_b64 vcc, exec, s[0:1]
	s_cbranch_vccnz .LBB192_1878
; %bb.1870:
	s_cmp_lt_i32 s6, 6
	s_mov_b64 s[0:1], -1
	s_cbranch_scc1 .LBB192_1876
; %bb.1871:
	s_cmp_gt_i32 s6, 6
	s_cbranch_scc0 .LBB192_1873
; %bb.1872:
	global_store_dwordx2 v[8:9], v[0:1], off
	s_mov_b64 s[0:1], 0
.LBB192_1873:
	s_andn2_b64 vcc, exec, s[0:1]
	s_cbranch_vccnz .LBB192_1875
; %bb.1874:
	v_cvt_f32_f64_e32 v2, v[0:1]
	global_store_dword v[8:9], v2, off
.LBB192_1875:
	s_mov_b64 s[0:1], 0
.LBB192_1876:
	s_andn2_b64 vcc, exec, s[0:1]
	s_cbranch_vccnz .LBB192_1878
; %bb.1877:
	s_movk_i32 s0, 0x1ff
	v_and_or_b32 v2, v1, s0, v0
	v_cmp_ne_u32_e32 vcc, 0, v2
	v_lshrrev_b32_e32 v3, 8, v1
	s_movk_i32 s0, 0xffe
	v_cndmask_b32_e64 v2, 0, 1, vcc
	v_bfe_u32 v7, v1, 20, 11
	v_and_or_b32 v2, v3, s0, v2
	v_sub_u32_e32 v10, 0x3f1, v7
	v_or_b32_e32 v3, 0x1000, v2
	v_med3_i32 v10, v10, 0, 13
	v_lshrrev_b32_e32 v11, v10, v3
	v_lshlrev_b32_e32 v10, v10, v11
	v_cmp_ne_u32_e32 vcc, v10, v3
	v_add_u32_e32 v7, 0xfffffc10, v7
	v_lshl_or_b32 v10, v7, 12, v2
	v_cndmask_b32_e64 v3, 0, 1, vcc
	v_or_b32_e32 v3, v11, v3
	v_cmp_gt_i32_e32 vcc, 1, v7
	s_movk_i32 s0, 0x40f
	s_nop 0
	v_cndmask_b32_e32 v3, v10, v3, vcc
	v_and_b32_e32 v10, 7, v3
	v_cmp_lt_i32_e32 vcc, 5, v10
	v_lshrrev_b32_e32 v3, 2, v3
	s_nop 0
	v_cndmask_b32_e64 v11, 0, 1, vcc
	v_cmp_eq_u32_e32 vcc, 3, v10
	s_nop 1
	v_cndmask_b32_e64 v10, 0, 1, vcc
	v_or_b32_e32 v10, v10, v11
	v_add_u32_e32 v3, v3, v10
	v_mov_b32_e32 v10, 0x7c00
	v_cmp_gt_i32_e32 vcc, 31, v7
	v_mov_b32_e32 v11, 0x7e00
	s_nop 0
	v_cndmask_b32_e32 v3, v10, v3, vcc
	v_cmp_ne_u32_e32 vcc, 0, v2
	s_nop 1
	v_cndmask_b32_e32 v2, v10, v11, vcc
	v_cmp_eq_u32_e32 vcc, s0, v7
	s_mov_b32 s0, 0x8000
	s_nop 0
	v_cndmask_b32_e32 v2, v3, v2, vcc
	v_lshrrev_b32_e32 v3, 16, v1
	v_and_or_b32 v2, v3, s0, v2
	global_store_short v[8:9], v2, off
.LBB192_1878:
	s_mov_b64 s[0:1], 0
.LBB192_1879:
	s_andn2_b64 vcc, exec, s[0:1]
	s_cbranch_vccnz .LBB192_1895
; %bb.1880:
	s_cmp_lt_i32 s6, 2
	s_mov_b64 s[0:1], -1
	s_cbranch_scc1 .LBB192_1890
; %bb.1881:
	s_cmp_lt_i32 s6, 3
	s_cbranch_scc1 .LBB192_1887
; %bb.1882:
	s_cmp_gt_i32 s6, 3
	s_cbranch_scc0 .LBB192_1884
; %bb.1883:
	v_trunc_f64_e32 v[2:3], v[0:1]
	s_movk_i32 s0, 0xffe0
	v_ldexp_f64 v[10:11], v[2:3], s0
	v_floor_f64_e32 v[10:11], v[10:11]
	v_fmac_f64_e32 v[2:3], 0xc1f00000, v[10:11]
	v_cvt_i32_f64_e32 v13, v[10:11]
	v_cvt_u32_f64_e32 v12, v[2:3]
	global_store_dwordx2 v[8:9], v[12:13], off
	s_mov_b64 s[0:1], 0
.LBB192_1884:
	s_andn2_b64 vcc, exec, s[0:1]
	s_cbranch_vccnz .LBB192_1886
; %bb.1885:
	v_cvt_i32_f64_e32 v2, v[0:1]
	global_store_dword v[8:9], v2, off
.LBB192_1886:
	s_mov_b64 s[0:1], 0
.LBB192_1887:
	s_andn2_b64 vcc, exec, s[0:1]
	s_cbranch_vccnz .LBB192_1889
; %bb.1888:
	v_cvt_i32_f64_e32 v2, v[0:1]
	global_store_short v[8:9], v2, off
.LBB192_1889:
	s_mov_b64 s[0:1], 0
.LBB192_1890:
	s_andn2_b64 vcc, exec, s[0:1]
	s_cbranch_vccnz .LBB192_1895
; %bb.1891:
	s_cmp_gt_i32 s6, 0
	s_mov_b64 s[0:1], -1
	s_cbranch_scc0 .LBB192_1893
; %bb.1892:
	v_cvt_i32_f64_e32 v2, v[0:1]
	global_store_byte v[8:9], v2, off
	s_mov_b64 s[0:1], 0
.LBB192_1893:
	s_andn2_b64 vcc, exec, s[0:1]
	s_cbranch_vccnz .LBB192_1895
; %bb.1894:
	v_trunc_f64_e32 v[0:1], v[0:1]
	s_movk_i32 s0, 0xffe0
	v_ldexp_f64 v[2:3], v[0:1], s0
	v_floor_f64_e32 v[2:3], v[2:3]
	v_fmac_f64_e32 v[0:1], 0xc1f00000, v[2:3]
	v_cvt_u32_f64_e32 v0, v[0:1]
	global_store_byte v[8:9], v0, off
.LBB192_1895:
	s_mov_b64 s[8:9], -1
.LBB192_1896:
	s_andn2_b64 vcc, exec, s[8:9]
	s_cbranch_vccnz .LBB192_1973
; %bb.1897:
	v_rsq_f64_e32 v[0:1], v[4:5]
	s_mov_b32 s0, 0
	s_mov_b32 s1, 0x3fd80000
	s_cmp_lt_i32 s20, 11
	v_mul_f64 v[2:3], v[0:1], -v[4:5]
	v_fma_f64 v[2:3], v[2:3], v[0:1], 1.0
	v_mul_f64 v[4:5], v[0:1], v[2:3]
	v_fma_f64 v[2:3], v[2:3], s[0:1], 0.5
	v_fma_f64 v[2:3], v[4:5], v[2:3], v[0:1]
	v_mov_b32_e32 v4, 0x180
	v_cmp_class_f64_e32 vcc, v[0:1], v4
	s_nop 1
	v_cndmask_b32_e32 v0, v0, v2, vcc
	v_add_u32_e32 v2, s18, v6
	v_cndmask_b32_e32 v1, v1, v3, vcc
	v_ashrrev_i32_e32 v3, 31, v2
	v_lshl_add_u64 v[4:5], s[4:5], 0, v[2:3]
	s_cbranch_scc1 .LBB192_2018
; %bb.1898:
	s_and_b32 s16, 0xffff, s20
	s_mov_b64 s[6:7], -1
	s_mov_b64 s[4:5], 0
	s_cmp_gt_i32 s16, 25
	s_mov_b64 s[0:1], 0
	s_cbranch_scc0 .LBB192_1931
; %bb.1899:
	s_cmp_gt_i32 s16, 28
	s_cbranch_scc0 .LBB192_1915
; %bb.1900:
	s_cmp_gt_i32 s16, 43
	s_cbranch_scc0 .LBB192_1911
; %bb.1901:
	s_cmp_gt_i32 s16, 45
	s_cbranch_scc0 .LBB192_1905
; %bb.1902:
	s_cmp_eq_u32 s16, 46
	s_mov_b64 s[0:1], -1
	s_cbranch_scc0 .LBB192_1904
; %bb.1903:
	v_cvt_f32_f64_e32 v2, v[0:1]
	v_bfe_u32 v3, v2, 16, 1
	s_movk_i32 s0, 0x7fff
	v_add3_u32 v3, v2, v3, s0
	v_cmp_o_f32_e32 vcc, v2, v2
	v_mov_b32_e32 v2, 0x7fc0
	s_mov_b64 s[0:1], 0
	v_cndmask_b32_sdwa v2, v2, v3, vcc dst_sel:DWORD dst_unused:UNUSED_PAD src0_sel:DWORD src1_sel:WORD_1
	global_store_dword v[4:5], v2, off
.LBB192_1904:
	s_mov_b64 s[6:7], 0
.LBB192_1905:
	s_and_b64 vcc, exec, s[6:7]
	s_cbranch_vccz .LBB192_1910
; %bb.1906:
	s_cmp_eq_u32 s16, 44
	s_mov_b64 s[0:1], -1
	s_cbranch_scc0 .LBB192_1910
; %bb.1907:
	v_cvt_f32_f64_e32 v2, v[0:1]
	v_bfe_u32 v3, v2, 23, 8
	s_movk_i32 s0, 0xff
	v_cmp_ne_u32_e32 vcc, s0, v3
	v_mov_b32_e32 v6, 0xff
	s_and_saveexec_b64 s[6:7], vcc
; %bb.1908:
	s_mov_b32 s0, 0x3fffff
	v_lshrrev_b32_e32 v6, 23, v2
	v_and_b32_e32 v7, 0x400000, v2
	v_and_or_b32 v2, v2, s0, v3
	v_cmp_ne_u32_e32 vcc, 0, v7
	v_cmp_ne_u32_e64 s[0:1], 0, v2
	s_and_b64 s[0:1], vcc, s[0:1]
	s_nop 0
	v_cndmask_b32_e64 v2, 0, 1, s[0:1]
	v_add_u32_e32 v6, v6, v2
; %bb.1909:
	s_or_b64 exec, exec, s[6:7]
	s_mov_b64 s[0:1], 0
	global_store_byte v[4:5], v6, off
.LBB192_1910:
	s_mov_b64 s[6:7], 0
.LBB192_1911:
	s_and_b64 vcc, exec, s[6:7]
	s_cbranch_vccz .LBB192_1914
; %bb.1912:
	s_cmp_eq_u32 s16, 29
	s_mov_b64 s[0:1], -1
	s_cbranch_scc0 .LBB192_1914
; %bb.1913:
	v_trunc_f64_e32 v[2:3], v[0:1]
	s_movk_i32 s0, 0xffe0
	v_ldexp_f64 v[6:7], v[2:3], s0
	v_floor_f64_e32 v[6:7], v[6:7]
	v_fmac_f64_e32 v[2:3], 0xc1f00000, v[6:7]
	v_cvt_u32_f64_e32 v9, v[6:7]
	v_cvt_u32_f64_e32 v8, v[2:3]
	global_store_dwordx2 v[4:5], v[8:9], off
	s_mov_b64 s[0:1], 0
.LBB192_1914:
	s_mov_b64 s[6:7], 0
.LBB192_1915:
	s_and_b64 vcc, exec, s[6:7]
	s_cbranch_vccz .LBB192_1930
; %bb.1916:
	s_cmp_lt_i32 s16, 27
	s_mov_b64 s[6:7], -1
	s_cbranch_scc1 .LBB192_1922
; %bb.1917:
	s_cmp_gt_i32 s16, 27
	v_cvt_u32_f64_e32 v2, v[0:1]
	s_cbranch_scc0 .LBB192_1919
; %bb.1918:
	global_store_dword v[4:5], v2, off
	s_mov_b64 s[6:7], 0
.LBB192_1919:
	s_andn2_b64 vcc, exec, s[6:7]
	s_cbranch_vccnz .LBB192_1921
; %bb.1920:
	global_store_short v[4:5], v2, off
.LBB192_1921:
	s_mov_b64 s[6:7], 0
.LBB192_1922:
	s_andn2_b64 vcc, exec, s[6:7]
	s_cbranch_vccnz .LBB192_1930
; %bb.1923:
	v_cvt_f32_f64_e32 v2, v[0:1]
	v_and_b32_e32 v3, 0x7fffffff, v2
	s_mov_b32 s6, 0x43800000
	v_cmp_gt_u32_e32 vcc, s6, v3
	v_mov_b32_e32 v6, 0x80
	s_and_saveexec_b64 s[6:7], vcc
	s_cbranch_execz .LBB192_1929
; %bb.1924:
	s_mov_b32 s8, 0x3bffffff
	v_cmp_lt_u32_e32 vcc, s8, v3
	s_mov_b64 s[8:9], 0
                                        ; implicit-def: $vgpr3
	s_and_saveexec_b64 s[10:11], vcc
	s_xor_b64 s[10:11], exec, s[10:11]
	s_cbranch_execz .LBB192_2035
; %bb.1925:
	v_bfe_u32 v3, v2, 20, 1
	s_mov_b32 s17, 0x487ffff
	v_add3_u32 v3, v2, v3, s17
	s_mov_b64 s[8:9], exec
	v_lshrrev_b32_e32 v3, 20, v3
	s_andn2_saveexec_b64 s[10:11], s[10:11]
	s_cbranch_execnz .LBB192_2036
.LBB192_1926:
	s_or_b64 exec, exec, s[10:11]
	v_mov_b32_e32 v6, 0
	s_and_saveexec_b64 s[10:11], s[8:9]
.LBB192_1927:
	v_lshrrev_b32_e32 v2, 24, v2
	s_movk_i32 s8, 0x80
	v_and_or_b32 v6, v2, s8, v3
.LBB192_1928:
	s_or_b64 exec, exec, s[10:11]
.LBB192_1929:
	s_or_b64 exec, exec, s[6:7]
	global_store_byte v[4:5], v6, off
.LBB192_1930:
	s_mov_b64 s[6:7], 0
.LBB192_1931:
	s_and_b64 vcc, exec, s[6:7]
	s_cbranch_vccz .LBB192_1971
; %bb.1932:
	s_cmp_gt_i32 s16, 22
	s_mov_b64 s[4:5], -1
	s_cbranch_scc0 .LBB192_1964
; %bb.1933:
	s_cmp_lt_i32 s16, 24
	s_cbranch_scc1 .LBB192_1953
; %bb.1934:
	s_cmp_gt_i32 s16, 24
	s_cbranch_scc0 .LBB192_1942
; %bb.1935:
	v_cvt_f32_f64_e32 v2, v[0:1]
	v_and_b32_e32 v3, 0x7fffffff, v2
	s_mov_b32 s4, 0x47800000
	v_cmp_gt_u32_e32 vcc, s4, v3
	v_mov_b32_e32 v6, 0x80
	s_and_saveexec_b64 s[4:5], vcc
	s_cbranch_execz .LBB192_1941
; %bb.1936:
	s_mov_b32 s6, 0x37ffffff
	v_cmp_lt_u32_e32 vcc, s6, v3
	s_mov_b64 s[6:7], 0
                                        ; implicit-def: $vgpr3
	s_and_saveexec_b64 s[8:9], vcc
	s_xor_b64 s[8:9], exec, s[8:9]
	s_cbranch_execz .LBB192_2038
; %bb.1937:
	v_bfe_u32 v3, v2, 21, 1
	s_mov_b32 s10, 0x88fffff
	v_add3_u32 v3, v2, v3, s10
	s_mov_b64 s[6:7], exec
	v_lshrrev_b32_e32 v3, 21, v3
	s_andn2_saveexec_b64 s[8:9], s[8:9]
	s_cbranch_execnz .LBB192_2039
.LBB192_1938:
	s_or_b64 exec, exec, s[8:9]
	v_mov_b32_e32 v6, 0
	s_and_saveexec_b64 s[8:9], s[6:7]
.LBB192_1939:
	v_lshrrev_b32_e32 v2, 24, v2
	s_movk_i32 s6, 0x80
	v_and_or_b32 v6, v2, s6, v3
.LBB192_1940:
	s_or_b64 exec, exec, s[8:9]
.LBB192_1941:
	s_or_b64 exec, exec, s[4:5]
	s_mov_b64 s[4:5], 0
	global_store_byte v[4:5], v6, off
.LBB192_1942:
	s_and_b64 vcc, exec, s[4:5]
	s_cbranch_vccz .LBB192_1952
; %bb.1943:
	v_cvt_f32_f64_e32 v2, v[0:1]
	v_and_b32_e32 v6, 0x7fffffff, v2
	s_mov_b32 s4, 0x43f00000
	v_cmp_gt_u32_e32 vcc, s4, v6
                                        ; implicit-def: $vgpr3
	s_and_saveexec_b64 s[4:5], vcc
	s_xor_b64 s[4:5], exec, s[4:5]
	s_cbranch_execz .LBB192_1949
; %bb.1944:
	s_mov_b32 s6, 0x3c7fffff
	v_cmp_lt_u32_e32 vcc, s6, v6
                                        ; implicit-def: $vgpr3
	s_and_saveexec_b64 s[6:7], vcc
	s_xor_b64 s[6:7], exec, s[6:7]
; %bb.1945:
	v_bfe_u32 v3, v2, 20, 1
	s_mov_b32 s8, 0x407ffff
	v_add3_u32 v3, v2, v3, s8
	v_lshrrev_b32_e32 v6, 20, v3
	v_and_b32_e32 v3, 0xff00000, v3
	s_mov_b32 s8, 0x7f00000
	v_mov_b32_e32 v7, 0x7e
	v_cmp_ne_u32_e32 vcc, s8, v3
	s_nop 1
	v_cndmask_b32_e32 v3, v7, v6, vcc
; %bb.1946:
	s_andn2_saveexec_b64 s[6:7], s[6:7]
; %bb.1947:
	s_mov_b32 s8, 0x46800000
	v_add_f32_e64 v3, |v2|, s8
; %bb.1948:
	s_or_b64 exec, exec, s[6:7]
                                        ; implicit-def: $vgpr6
.LBB192_1949:
	s_andn2_saveexec_b64 s[4:5], s[4:5]
; %bb.1950:
	s_mov_b32 s6, 0x7f800000
	v_mov_b32_e32 v3, 0x7e
	v_mov_b32_e32 v7, 0x7f
	v_cmp_lt_u32_e32 vcc, s6, v6
	s_nop 1
	v_cndmask_b32_e32 v3, v3, v7, vcc
; %bb.1951:
	s_or_b64 exec, exec, s[4:5]
	v_lshrrev_b32_e32 v2, 24, v2
	s_movk_i32 s4, 0x80
	v_and_or_b32 v2, v2, s4, v3
	global_store_byte v[4:5], v2, off
.LBB192_1952:
	s_mov_b64 s[4:5], 0
.LBB192_1953:
	s_andn2_b64 vcc, exec, s[4:5]
	s_cbranch_vccnz .LBB192_1963
; %bb.1954:
	v_cvt_f32_f64_e32 v2, v[0:1]
	v_and_b32_e32 v6, 0x7fffffff, v2
	s_mov_b32 s4, 0x47800000
	v_cmp_gt_u32_e32 vcc, s4, v6
                                        ; implicit-def: $vgpr3
	s_and_saveexec_b64 s[4:5], vcc
	s_xor_b64 s[4:5], exec, s[4:5]
	s_cbranch_execz .LBB192_1960
; %bb.1955:
	s_mov_b32 s6, 0x387fffff
	v_cmp_lt_u32_e32 vcc, s6, v6
                                        ; implicit-def: $vgpr3
	s_and_saveexec_b64 s[6:7], vcc
	s_xor_b64 s[6:7], exec, s[6:7]
; %bb.1956:
	v_bfe_u32 v3, v2, 21, 1
	s_mov_b32 s8, 0x80fffff
	v_add3_u32 v3, v2, v3, s8
	v_lshrrev_b32_e32 v3, 21, v3
; %bb.1957:
	s_andn2_saveexec_b64 s[6:7], s[6:7]
; %bb.1958:
	s_mov_b32 s8, 0x43000000
	v_add_f32_e64 v3, |v2|, s8
; %bb.1959:
	s_or_b64 exec, exec, s[6:7]
                                        ; implicit-def: $vgpr6
.LBB192_1960:
	s_andn2_saveexec_b64 s[4:5], s[4:5]
; %bb.1961:
	s_mov_b32 s6, 0x7f800000
	v_mov_b32_e32 v3, 0x7c
	v_mov_b32_e32 v7, 0x7f
	v_cmp_lt_u32_e32 vcc, s6, v6
	s_nop 1
	v_cndmask_b32_e32 v3, v3, v7, vcc
; %bb.1962:
	s_or_b64 exec, exec, s[4:5]
	v_lshrrev_b32_e32 v2, 24, v2
	s_movk_i32 s4, 0x80
	v_and_or_b32 v2, v2, s4, v3
	global_store_byte v[4:5], v2, off
.LBB192_1963:
	s_mov_b64 s[4:5], 0
.LBB192_1964:
	s_andn2_b64 vcc, exec, s[4:5]
	s_mov_b64 s[4:5], 0
	s_cbranch_vccnz .LBB192_1971
; %bb.1965:
	s_cmp_gt_i32 s16, 14
	s_mov_b64 s[6:7], -1
	s_cbranch_scc0 .LBB192_1969
; %bb.1966:
	s_cmp_eq_u32 s16, 15
	s_mov_b64 s[0:1], -1
	s_cbranch_scc0 .LBB192_1968
; %bb.1967:
	v_cvt_f32_f64_e32 v2, v[0:1]
	v_bfe_u32 v3, v2, 16, 1
	s_movk_i32 s0, 0x7fff
	v_add3_u32 v3, v2, v3, s0
	v_cmp_o_f32_e32 vcc, v2, v2
	v_mov_b32_e32 v2, 0x7fc0
	s_mov_b64 s[0:1], 0
	v_cndmask_b32_sdwa v2, v2, v3, vcc dst_sel:DWORD dst_unused:UNUSED_PAD src0_sel:DWORD src1_sel:WORD_1
	global_store_short v[4:5], v2, off
.LBB192_1968:
	s_mov_b64 s[6:7], 0
.LBB192_1969:
	s_and_b64 vcc, exec, s[6:7]
	s_cbranch_vccz .LBB192_1971
; %bb.1970:
	s_cmp_lg_u32 s16, 11
	s_mov_b64 s[4:5], -1
	s_cselect_b64 s[0:1], -1, 0
.LBB192_1971:
	s_and_b64 vcc, exec, s[0:1]
	s_cbranch_vccnz .LBB192_2037
.LBB192_1972:
	s_mov_b64 s[0:1], 0
	s_branch .LBB192_1974
.LBB192_1973:
	s_mov_b64 s[0:1], 0
	s_mov_b64 s[4:5], 0
                                        ; implicit-def: $sgpr20
                                        ; implicit-def: $vgpr4_vgpr5
                                        ; implicit-def: $vgpr0_vgpr1
.LBB192_1974:
	s_and_b64 s[10:11], s[4:5], exec
	s_andn2_b64 s[4:5], s[12:13], exec
	s_and_b64 s[6:7], s[14:15], exec
	s_and_b64 s[0:1], s[0:1], exec
	s_or_b64 s[12:13], s[4:5], s[6:7]
.LBB192_1975:
	s_or_b64 exec, exec, s[2:3]
	s_and_saveexec_b64 s[2:3], s[12:13]
	s_cbranch_execz .LBB192_1978
; %bb.1976:
	; divergent unreachable
	s_or_b64 exec, exec, s[2:3]
	s_and_saveexec_b64 s[2:3], s[10:11]
	s_xor_b64 s[2:3], exec, s[2:3]
	s_cbranch_execnz .LBB192_1979
.LBB192_1977:
	s_or_b64 exec, exec, s[2:3]
	s_and_saveexec_b64 s[2:3], s[0:1]
	s_cbranch_execnz .LBB192_1980
	s_branch .LBB192_2017
.LBB192_1978:
	s_or_b64 exec, exec, s[2:3]
	s_and_saveexec_b64 s[2:3], s[10:11]
	s_xor_b64 s[2:3], exec, s[2:3]
	s_cbranch_execz .LBB192_1977
.LBB192_1979:
	s_waitcnt vmcnt(0)
	v_cmp_neq_f64_e32 vcc, 0, v[0:1]
	s_nop 1
	v_cndmask_b32_e64 v2, 0, 1, vcc
	global_store_byte v[4:5], v2, off
	s_or_b64 exec, exec, s[2:3]
	s_and_saveexec_b64 s[2:3], s[0:1]
	s_cbranch_execz .LBB192_2017
.LBB192_1980:
	s_sext_i32_i16 s2, s20
	s_cmp_lt_i32 s2, 5
	s_mov_b64 s[0:1], -1
	s_cbranch_scc1 .LBB192_2001
; %bb.1981:
	s_cmp_lt_i32 s2, 8
	s_cbranch_scc1 .LBB192_1991
; %bb.1982:
	s_cmp_lt_i32 s2, 9
	s_cbranch_scc1 .LBB192_1988
; %bb.1983:
	s_cmp_gt_i32 s2, 9
	s_cbranch_scc0 .LBB192_1985
; %bb.1984:
	s_waitcnt vmcnt(0)
	v_mov_b32_e32 v2, 0
	v_mov_b32_e32 v3, v2
	global_store_dwordx4 v[4:5], v[0:3], off
	s_mov_b64 s[0:1], 0
.LBB192_1985:
	s_andn2_b64 vcc, exec, s[0:1]
	s_cbranch_vccnz .LBB192_1987
; %bb.1986:
	s_waitcnt vmcnt(0)
	v_cvt_f32_f64_e32 v2, v[0:1]
	v_mov_b32_e32 v3, 0
	global_store_dwordx2 v[4:5], v[2:3], off
.LBB192_1987:
	s_mov_b64 s[0:1], 0
.LBB192_1988:
	s_andn2_b64 vcc, exec, s[0:1]
	s_cbranch_vccnz .LBB192_1990
; %bb.1989:
	s_movk_i32 s0, 0x1ff
	s_waitcnt vmcnt(0)
	v_and_or_b32 v2, v1, s0, v0
	v_cmp_ne_u32_e32 vcc, 0, v2
	v_lshrrev_b32_e32 v3, 8, v1
	s_movk_i32 s0, 0xffe
	v_cndmask_b32_e64 v2, 0, 1, vcc
	v_bfe_u32 v6, v1, 20, 11
	v_and_or_b32 v2, v3, s0, v2
	v_sub_u32_e32 v7, 0x3f1, v6
	v_or_b32_e32 v3, 0x1000, v2
	v_med3_i32 v7, v7, 0, 13
	v_lshrrev_b32_e32 v8, v7, v3
	v_lshlrev_b32_e32 v7, v7, v8
	v_cmp_ne_u32_e32 vcc, v7, v3
	v_add_u32_e32 v6, 0xfffffc10, v6
	v_lshl_or_b32 v7, v6, 12, v2
	v_cndmask_b32_e64 v3, 0, 1, vcc
	v_or_b32_e32 v3, v8, v3
	v_cmp_gt_i32_e32 vcc, 1, v6
	s_movk_i32 s0, 0x40f
	s_nop 0
	v_cndmask_b32_e32 v3, v7, v3, vcc
	v_and_b32_e32 v7, 7, v3
	v_cmp_lt_i32_e32 vcc, 5, v7
	v_lshrrev_b32_e32 v3, 2, v3
	s_nop 0
	v_cndmask_b32_e64 v8, 0, 1, vcc
	v_cmp_eq_u32_e32 vcc, 3, v7
	s_nop 1
	v_cndmask_b32_e64 v7, 0, 1, vcc
	v_or_b32_e32 v7, v7, v8
	v_add_u32_e32 v3, v3, v7
	v_mov_b32_e32 v7, 0x7c00
	v_cmp_gt_i32_e32 vcc, 31, v6
	v_mov_b32_e32 v8, 0x7e00
	s_nop 0
	v_cndmask_b32_e32 v3, v7, v3, vcc
	v_cmp_ne_u32_e32 vcc, 0, v2
	s_nop 1
	v_cndmask_b32_e32 v2, v7, v8, vcc
	v_cmp_eq_u32_e32 vcc, s0, v6
	s_mov_b32 s0, 0x8000
	s_nop 0
	v_cndmask_b32_e32 v2, v3, v2, vcc
	v_and_b32_sdwa v3, v1, s0 dst_sel:DWORD dst_unused:UNUSED_PAD src0_sel:WORD_1 src1_sel:DWORD
	s_mov_b32 s0, 0xffff
	v_bitop3_b32 v2, v3, s0, v2 bitop3:0xc8
	global_store_dword v[4:5], v2, off
.LBB192_1990:
	s_mov_b64 s[0:1], 0
.LBB192_1991:
	s_andn2_b64 vcc, exec, s[0:1]
	s_cbranch_vccnz .LBB192_2000
; %bb.1992:
	s_sext_i32_i16 s2, s20
	s_cmp_lt_i32 s2, 6
	s_mov_b64 s[0:1], -1
	s_cbranch_scc1 .LBB192_1998
; %bb.1993:
	s_cmp_gt_i32 s2, 6
	s_cbranch_scc0 .LBB192_1995
; %bb.1994:
	s_waitcnt vmcnt(0)
	global_store_dwordx2 v[4:5], v[0:1], off
	s_mov_b64 s[0:1], 0
.LBB192_1995:
	s_andn2_b64 vcc, exec, s[0:1]
	s_cbranch_vccnz .LBB192_1997
; %bb.1996:
	s_waitcnt vmcnt(0)
	v_cvt_f32_f64_e32 v2, v[0:1]
	global_store_dword v[4:5], v2, off
.LBB192_1997:
	s_mov_b64 s[0:1], 0
.LBB192_1998:
	s_andn2_b64 vcc, exec, s[0:1]
	s_cbranch_vccnz .LBB192_2000
; %bb.1999:
	s_movk_i32 s0, 0x1ff
	s_waitcnt vmcnt(0)
	v_and_or_b32 v2, v1, s0, v0
	v_cmp_ne_u32_e32 vcc, 0, v2
	v_lshrrev_b32_e32 v3, 8, v1
	s_movk_i32 s0, 0xffe
	v_cndmask_b32_e64 v2, 0, 1, vcc
	v_bfe_u32 v6, v1, 20, 11
	v_and_or_b32 v2, v3, s0, v2
	v_sub_u32_e32 v7, 0x3f1, v6
	v_or_b32_e32 v3, 0x1000, v2
	v_med3_i32 v7, v7, 0, 13
	v_lshrrev_b32_e32 v8, v7, v3
	v_lshlrev_b32_e32 v7, v7, v8
	v_cmp_ne_u32_e32 vcc, v7, v3
	v_add_u32_e32 v6, 0xfffffc10, v6
	v_lshl_or_b32 v7, v6, 12, v2
	v_cndmask_b32_e64 v3, 0, 1, vcc
	v_or_b32_e32 v3, v8, v3
	v_cmp_gt_i32_e32 vcc, 1, v6
	s_movk_i32 s0, 0x40f
	s_nop 0
	v_cndmask_b32_e32 v3, v7, v3, vcc
	v_and_b32_e32 v7, 7, v3
	v_cmp_lt_i32_e32 vcc, 5, v7
	v_lshrrev_b32_e32 v3, 2, v3
	s_nop 0
	v_cndmask_b32_e64 v8, 0, 1, vcc
	v_cmp_eq_u32_e32 vcc, 3, v7
	s_nop 1
	v_cndmask_b32_e64 v7, 0, 1, vcc
	v_or_b32_e32 v7, v7, v8
	v_add_u32_e32 v3, v3, v7
	v_mov_b32_e32 v7, 0x7c00
	v_cmp_gt_i32_e32 vcc, 31, v6
	v_mov_b32_e32 v8, 0x7e00
	s_nop 0
	v_cndmask_b32_e32 v3, v7, v3, vcc
	v_cmp_ne_u32_e32 vcc, 0, v2
	s_nop 1
	v_cndmask_b32_e32 v2, v7, v8, vcc
	v_cmp_eq_u32_e32 vcc, s0, v6
	s_mov_b32 s0, 0x8000
	s_nop 0
	v_cndmask_b32_e32 v2, v3, v2, vcc
	v_lshrrev_b32_e32 v3, 16, v1
	v_and_or_b32 v2, v3, s0, v2
	global_store_short v[4:5], v2, off
.LBB192_2000:
	s_mov_b64 s[0:1], 0
.LBB192_2001:
	s_andn2_b64 vcc, exec, s[0:1]
	s_cbranch_vccnz .LBB192_2017
; %bb.2002:
	s_sext_i32_i16 s2, s20
	s_cmp_lt_i32 s2, 2
	s_mov_b64 s[0:1], -1
	s_cbranch_scc1 .LBB192_2012
; %bb.2003:
	s_cmp_lt_i32 s2, 3
	s_cbranch_scc1 .LBB192_2009
; %bb.2004:
	s_cmp_gt_i32 s2, 3
	s_cbranch_scc0 .LBB192_2006
; %bb.2005:
	s_waitcnt vmcnt(0)
	v_trunc_f64_e32 v[2:3], v[0:1]
	s_movk_i32 s0, 0xffe0
	v_ldexp_f64 v[6:7], v[2:3], s0
	v_floor_f64_e32 v[6:7], v[6:7]
	v_fmac_f64_e32 v[2:3], 0xc1f00000, v[6:7]
	v_cvt_i32_f64_e32 v9, v[6:7]
	v_cvt_u32_f64_e32 v8, v[2:3]
	global_store_dwordx2 v[4:5], v[8:9], off
	s_mov_b64 s[0:1], 0
.LBB192_2006:
	s_andn2_b64 vcc, exec, s[0:1]
	s_cbranch_vccnz .LBB192_2008
; %bb.2007:
	s_waitcnt vmcnt(0)
	v_cvt_i32_f64_e32 v2, v[0:1]
	global_store_dword v[4:5], v2, off
.LBB192_2008:
	s_mov_b64 s[0:1], 0
.LBB192_2009:
	s_andn2_b64 vcc, exec, s[0:1]
	s_cbranch_vccnz .LBB192_2011
; %bb.2010:
	s_waitcnt vmcnt(0)
	v_cvt_i32_f64_e32 v2, v[0:1]
	global_store_short v[4:5], v2, off
.LBB192_2011:
	s_mov_b64 s[0:1], 0
.LBB192_2012:
	s_andn2_b64 vcc, exec, s[0:1]
	s_cbranch_vccnz .LBB192_2017
; %bb.2013:
	s_sext_i32_i16 s0, s20
	s_cmp_gt_i32 s0, 0
	s_mov_b64 s[0:1], -1
	s_cbranch_scc0 .LBB192_2015
; %bb.2014:
	s_waitcnt vmcnt(0)
	v_cvt_i32_f64_e32 v2, v[0:1]
	global_store_byte v[4:5], v2, off
	s_mov_b64 s[0:1], 0
.LBB192_2015:
	s_andn2_b64 vcc, exec, s[0:1]
	s_cbranch_vccnz .LBB192_2017
; %bb.2016:
	s_waitcnt vmcnt(0)
	v_trunc_f64_e32 v[0:1], v[0:1]
	s_movk_i32 s0, 0xffe0
	v_ldexp_f64 v[2:3], v[0:1], s0
	v_floor_f64_e32 v[2:3], v[2:3]
	v_fmac_f64_e32 v[0:1], 0xc1f00000, v[2:3]
	v_cvt_u32_f64_e32 v0, v[0:1]
	global_store_byte v[4:5], v0, off
	s_endpgm
.LBB192_2017:
	s_endpgm
.LBB192_2018:
	s_mov_b64 s[4:5], 0
	s_mov_b64 s[0:1], -1
	s_branch .LBB192_1974
.LBB192_2019:
	s_trap 2
	s_or_b64 s[14:15], s[14:15], exec
	s_cbranch_execz .LBB192_1488
	s_branch .LBB192_1489
.LBB192_2020:
	s_andn2_saveexec_b64 s[18:19], s[18:19]
	s_cbranch_execz .LBB192_1568
.LBB192_2021:
	s_mov_b32 s21, 0x46000000
	v_add_f32_e64 v3, |v2|, s21
	v_and_b32_e32 v3, 0xff, v3
	v_cmp_ne_u32_e32 vcc, 0, v3
	s_andn2_b64 s[16:17], s[16:17], exec
	s_and_b64 s[22:23], vcc, exec
	s_or_b64 s[16:17], s[16:17], s[22:23]
	s_or_b64 exec, exec, s[18:19]
	v_mov_b32_e32 v11, 0
	s_and_saveexec_b64 s[18:19], s[16:17]
	s_cbranch_execnz .LBB192_1569
	s_branch .LBB192_1570
.LBB192_2022:
	s_trap 2
	s_or_b64 s[14:15], s[14:15], exec
	s_cbranch_execz .LBB192_1616
	s_branch .LBB192_1617
.LBB192_2023:
	s_andn2_saveexec_b64 s[16:17], s[16:17]
	s_cbranch_execz .LBB192_1581
.LBB192_2024:
	s_mov_b32 s18, 0x42800000
	v_add_f32_e64 v3, |v2|, s18
	v_and_b32_e32 v3, 0xff, v3
	v_cmp_ne_u32_e32 vcc, 0, v3
	s_andn2_b64 s[10:11], s[10:11], exec
	s_and_b64 s[18:19], vcc, exec
	s_or_b64 s[10:11], s[10:11], s[18:19]
	s_or_b64 exec, exec, s[16:17]
	v_mov_b32_e32 v11, 0
	s_and_saveexec_b64 s[16:17], s[10:11]
	s_cbranch_execnz .LBB192_1582
	s_branch .LBB192_1583
.LBB192_2025:
	s_andn2_saveexec_b64 s[16:17], s[16:17]
	s_cbranch_execz .LBB192_1687
.LBB192_2026:
	s_mov_b32 s21, 0x46000000
	v_add_f32_e64 v3, |v2|, s21
	v_and_b32_e32 v3, 0xff, v3
	v_cmp_ne_u32_e32 vcc, 0, v3
	s_andn2_b64 s[10:11], s[10:11], exec
	s_and_b64 s[22:23], vcc, exec
	s_or_b64 s[10:11], s[10:11], s[22:23]
	s_or_b64 exec, exec, s[16:17]
	v_mov_b32_e32 v9, 0
	s_and_saveexec_b64 s[16:17], s[10:11]
	s_cbranch_execnz .LBB192_1688
	s_branch .LBB192_1689
.LBB192_2027:
	s_trap 2
	s_or_b64 s[14:15], s[14:15], exec
	s_cbranch_execz .LBB192_1735
	s_branch .LBB192_1736
.LBB192_2028:
	s_andn2_saveexec_b64 s[10:11], s[10:11]
	s_cbranch_execz .LBB192_1700
.LBB192_2029:
	s_mov_b32 s16, 0x42800000
	v_add_f32_e64 v3, |v2|, s16
	v_and_b32_e32 v3, 0xff, v3
	v_cmp_ne_u32_e32 vcc, 0, v3
	s_andn2_b64 s[8:9], s[8:9], exec
	s_and_b64 s[16:17], vcc, exec
	s_or_b64 s[8:9], s[8:9], s[16:17]
	s_or_b64 exec, exec, s[10:11]
	v_mov_b32_e32 v9, 0
	s_and_saveexec_b64 s[10:11], s[8:9]
	s_cbranch_execnz .LBB192_1701
	s_branch .LBB192_1702
.LBB192_2030:
	s_andn2_saveexec_b64 s[16:17], s[16:17]
	s_cbranch_execz .LBB192_1806
.LBB192_2031:
	s_mov_b32 s21, 0x46000000
	v_add_f32_e64 v3, |v2|, s21
	v_and_b32_e32 v3, 0xff, v3
	v_cmp_ne_u32_e32 vcc, 0, v3
	s_andn2_b64 s[10:11], s[10:11], exec
	s_and_b64 s[22:23], vcc, exec
	s_or_b64 s[10:11], s[10:11], s[22:23]
	s_or_b64 exec, exec, s[16:17]
	v_mov_b32_e32 v7, 0
	s_and_saveexec_b64 s[16:17], s[10:11]
	s_cbranch_execnz .LBB192_1807
	s_branch .LBB192_1808
.LBB192_2032:
	s_trap 2
	s_or_b64 s[14:15], s[14:15], exec
	s_cbranch_execz .LBB192_1854
	s_branch .LBB192_1855
.LBB192_2033:
	s_andn2_saveexec_b64 s[10:11], s[10:11]
	s_cbranch_execz .LBB192_1819
.LBB192_2034:
	s_mov_b32 s16, 0x42800000
	v_add_f32_e64 v3, |v2|, s16
	v_and_b32_e32 v3, 0xff, v3
	v_cmp_ne_u32_e32 vcc, 0, v3
	s_andn2_b64 s[8:9], s[8:9], exec
	s_and_b64 s[16:17], vcc, exec
	s_or_b64 s[8:9], s[8:9], s[16:17]
	s_or_b64 exec, exec, s[10:11]
	v_mov_b32_e32 v7, 0
	s_and_saveexec_b64 s[10:11], s[8:9]
	s_cbranch_execnz .LBB192_1820
	s_branch .LBB192_1821
.LBB192_2035:
	s_andn2_saveexec_b64 s[10:11], s[10:11]
	s_cbranch_execz .LBB192_1926
.LBB192_2036:
	s_mov_b32 s17, 0x46000000
	v_add_f32_e64 v3, |v2|, s17
	v_and_b32_e32 v3, 0xff, v3
	v_cmp_ne_u32_e32 vcc, 0, v3
	s_andn2_b64 s[8:9], s[8:9], exec
	s_and_b64 s[18:19], vcc, exec
	s_or_b64 s[8:9], s[8:9], s[18:19]
	s_or_b64 exec, exec, s[10:11]
	v_mov_b32_e32 v6, 0
	s_and_saveexec_b64 s[10:11], s[8:9]
	s_cbranch_execnz .LBB192_1927
	s_branch .LBB192_1928
.LBB192_2037:
	s_mov_b64 s[4:5], 0
	s_or_b64 s[14:15], s[14:15], exec
	s_trap 2
	s_branch .LBB192_1972
.LBB192_2038:
	s_andn2_saveexec_b64 s[8:9], s[8:9]
	s_cbranch_execz .LBB192_1938
.LBB192_2039:
	s_mov_b32 s10, 0x42800000
	v_add_f32_e64 v3, |v2|, s10
	v_and_b32_e32 v3, 0xff, v3
	v_cmp_ne_u32_e32 vcc, 0, v3
	s_andn2_b64 s[6:7], s[6:7], exec
	s_and_b64 s[10:11], vcc, exec
	s_or_b64 s[6:7], s[6:7], s[10:11]
	s_or_b64 exec, exec, s[8:9]
	v_mov_b32_e32 v6, 0
	s_and_saveexec_b64 s[8:9], s[6:7]
	s_cbranch_execnz .LBB192_1939
	s_branch .LBB192_1940
	.section	.rodata,"a",@progbits
	.p2align	6, 0x0
	.amdhsa_kernel _ZN2at6native32elementwise_kernel_manual_unrollILi128ELi4EZNS0_15gpu_kernel_implIZZZNS0_17rsqrt_kernel_cudaERNS_18TensorIteratorBaseEENKUlvE0_clEvENKUlvE_clEvEUldE_EEvS4_RKT_EUlibE_EEviT1_
		.amdhsa_group_segment_fixed_size 0
		.amdhsa_private_segment_fixed_size 0
		.amdhsa_kernarg_size 40
		.amdhsa_user_sgpr_count 2
		.amdhsa_user_sgpr_dispatch_ptr 0
		.amdhsa_user_sgpr_queue_ptr 0
		.amdhsa_user_sgpr_kernarg_segment_ptr 1
		.amdhsa_user_sgpr_dispatch_id 0
		.amdhsa_user_sgpr_kernarg_preload_length 0
		.amdhsa_user_sgpr_kernarg_preload_offset 0
		.amdhsa_user_sgpr_private_segment_size 0
		.amdhsa_uses_dynamic_stack 0
		.amdhsa_enable_private_segment 0
		.amdhsa_system_sgpr_workgroup_id_x 1
		.amdhsa_system_sgpr_workgroup_id_y 0
		.amdhsa_system_sgpr_workgroup_id_z 0
		.amdhsa_system_sgpr_workgroup_info 0
		.amdhsa_system_vgpr_workitem_id 0
		.amdhsa_next_free_vgpr 18
		.amdhsa_next_free_sgpr 44
		.amdhsa_accum_offset 20
		.amdhsa_reserve_vcc 1
		.amdhsa_float_round_mode_32 0
		.amdhsa_float_round_mode_16_64 0
		.amdhsa_float_denorm_mode_32 3
		.amdhsa_float_denorm_mode_16_64 3
		.amdhsa_dx10_clamp 1
		.amdhsa_ieee_mode 1
		.amdhsa_fp16_overflow 0
		.amdhsa_tg_split 0
		.amdhsa_exception_fp_ieee_invalid_op 0
		.amdhsa_exception_fp_denorm_src 0
		.amdhsa_exception_fp_ieee_div_zero 0
		.amdhsa_exception_fp_ieee_overflow 0
		.amdhsa_exception_fp_ieee_underflow 0
		.amdhsa_exception_fp_ieee_inexact 0
		.amdhsa_exception_int_div_zero 0
	.end_amdhsa_kernel
	.section	.text._ZN2at6native32elementwise_kernel_manual_unrollILi128ELi4EZNS0_15gpu_kernel_implIZZZNS0_17rsqrt_kernel_cudaERNS_18TensorIteratorBaseEENKUlvE0_clEvENKUlvE_clEvEUldE_EEvS4_RKT_EUlibE_EEviT1_,"axG",@progbits,_ZN2at6native32elementwise_kernel_manual_unrollILi128ELi4EZNS0_15gpu_kernel_implIZZZNS0_17rsqrt_kernel_cudaERNS_18TensorIteratorBaseEENKUlvE0_clEvENKUlvE_clEvEUldE_EEvS4_RKT_EUlibE_EEviT1_,comdat
.Lfunc_end192:
	.size	_ZN2at6native32elementwise_kernel_manual_unrollILi128ELi4EZNS0_15gpu_kernel_implIZZZNS0_17rsqrt_kernel_cudaERNS_18TensorIteratorBaseEENKUlvE0_clEvENKUlvE_clEvEUldE_EEvS4_RKT_EUlibE_EEviT1_, .Lfunc_end192-_ZN2at6native32elementwise_kernel_manual_unrollILi128ELi4EZNS0_15gpu_kernel_implIZZZNS0_17rsqrt_kernel_cudaERNS_18TensorIteratorBaseEENKUlvE0_clEvENKUlvE_clEvEUldE_EEvS4_RKT_EUlibE_EEviT1_
                                        ; -- End function
	.set _ZN2at6native32elementwise_kernel_manual_unrollILi128ELi4EZNS0_15gpu_kernel_implIZZZNS0_17rsqrt_kernel_cudaERNS_18TensorIteratorBaseEENKUlvE0_clEvENKUlvE_clEvEUldE_EEvS4_RKT_EUlibE_EEviT1_.num_vgpr, 18
	.set _ZN2at6native32elementwise_kernel_manual_unrollILi128ELi4EZNS0_15gpu_kernel_implIZZZNS0_17rsqrt_kernel_cudaERNS_18TensorIteratorBaseEENKUlvE0_clEvENKUlvE_clEvEUldE_EEvS4_RKT_EUlibE_EEviT1_.num_agpr, 0
	.set _ZN2at6native32elementwise_kernel_manual_unrollILi128ELi4EZNS0_15gpu_kernel_implIZZZNS0_17rsqrt_kernel_cudaERNS_18TensorIteratorBaseEENKUlvE0_clEvENKUlvE_clEvEUldE_EEvS4_RKT_EUlibE_EEviT1_.numbered_sgpr, 44
	.set _ZN2at6native32elementwise_kernel_manual_unrollILi128ELi4EZNS0_15gpu_kernel_implIZZZNS0_17rsqrt_kernel_cudaERNS_18TensorIteratorBaseEENKUlvE0_clEvENKUlvE_clEvEUldE_EEvS4_RKT_EUlibE_EEviT1_.num_named_barrier, 0
	.set _ZN2at6native32elementwise_kernel_manual_unrollILi128ELi4EZNS0_15gpu_kernel_implIZZZNS0_17rsqrt_kernel_cudaERNS_18TensorIteratorBaseEENKUlvE0_clEvENKUlvE_clEvEUldE_EEvS4_RKT_EUlibE_EEviT1_.private_seg_size, 0
	.set _ZN2at6native32elementwise_kernel_manual_unrollILi128ELi4EZNS0_15gpu_kernel_implIZZZNS0_17rsqrt_kernel_cudaERNS_18TensorIteratorBaseEENKUlvE0_clEvENKUlvE_clEvEUldE_EEvS4_RKT_EUlibE_EEviT1_.uses_vcc, 1
	.set _ZN2at6native32elementwise_kernel_manual_unrollILi128ELi4EZNS0_15gpu_kernel_implIZZZNS0_17rsqrt_kernel_cudaERNS_18TensorIteratorBaseEENKUlvE0_clEvENKUlvE_clEvEUldE_EEvS4_RKT_EUlibE_EEviT1_.uses_flat_scratch, 0
	.set _ZN2at6native32elementwise_kernel_manual_unrollILi128ELi4EZNS0_15gpu_kernel_implIZZZNS0_17rsqrt_kernel_cudaERNS_18TensorIteratorBaseEENKUlvE0_clEvENKUlvE_clEvEUldE_EEvS4_RKT_EUlibE_EEviT1_.has_dyn_sized_stack, 0
	.set _ZN2at6native32elementwise_kernel_manual_unrollILi128ELi4EZNS0_15gpu_kernel_implIZZZNS0_17rsqrt_kernel_cudaERNS_18TensorIteratorBaseEENKUlvE0_clEvENKUlvE_clEvEUldE_EEvS4_RKT_EUlibE_EEviT1_.has_recursion, 0
	.set _ZN2at6native32elementwise_kernel_manual_unrollILi128ELi4EZNS0_15gpu_kernel_implIZZZNS0_17rsqrt_kernel_cudaERNS_18TensorIteratorBaseEENKUlvE0_clEvENKUlvE_clEvEUldE_EEvS4_RKT_EUlibE_EEviT1_.has_indirect_call, 0
	.section	.AMDGPU.csdata,"",@progbits
; Kernel info:
; codeLenInByte = 36320
; TotalNumSgprs: 50
; NumVgprs: 18
; NumAgprs: 0
; TotalNumVgprs: 18
; ScratchSize: 0
; MemoryBound: 1
; FloatMode: 240
; IeeeMode: 1
; LDSByteSize: 0 bytes/workgroup (compile time only)
; SGPRBlocks: 6
; VGPRBlocks: 2
; NumSGPRsForWavesPerEU: 50
; NumVGPRsForWavesPerEU: 18
; AccumOffset: 20
; Occupancy: 8
; WaveLimiterHint : 0
; COMPUTE_PGM_RSRC2:SCRATCH_EN: 0
; COMPUTE_PGM_RSRC2:USER_SGPR: 2
; COMPUTE_PGM_RSRC2:TRAP_HANDLER: 0
; COMPUTE_PGM_RSRC2:TGID_X_EN: 1
; COMPUTE_PGM_RSRC2:TGID_Y_EN: 0
; COMPUTE_PGM_RSRC2:TGID_Z_EN: 0
; COMPUTE_PGM_RSRC2:TIDIG_COMP_CNT: 0
; COMPUTE_PGM_RSRC3_GFX90A:ACCUM_OFFSET: 4
; COMPUTE_PGM_RSRC3_GFX90A:TG_SPLIT: 0
	.section	.text._ZN2at6native32elementwise_kernel_manual_unrollILi128ELi4EZNS0_15gpu_kernel_implIZZZNS0_17rsqrt_kernel_cudaERNS_18TensorIteratorBaseEENKUlvE0_clEvENKUlvE_clEvEUldE_EEvS4_RKT_EUlibE0_EEviT1_,"axG",@progbits,_ZN2at6native32elementwise_kernel_manual_unrollILi128ELi4EZNS0_15gpu_kernel_implIZZZNS0_17rsqrt_kernel_cudaERNS_18TensorIteratorBaseEENKUlvE0_clEvENKUlvE_clEvEUldE_EEvS4_RKT_EUlibE0_EEviT1_,comdat
	.globl	_ZN2at6native32elementwise_kernel_manual_unrollILi128ELi4EZNS0_15gpu_kernel_implIZZZNS0_17rsqrt_kernel_cudaERNS_18TensorIteratorBaseEENKUlvE0_clEvENKUlvE_clEvEUldE_EEvS4_RKT_EUlibE0_EEviT1_ ; -- Begin function _ZN2at6native32elementwise_kernel_manual_unrollILi128ELi4EZNS0_15gpu_kernel_implIZZZNS0_17rsqrt_kernel_cudaERNS_18TensorIteratorBaseEENKUlvE0_clEvENKUlvE_clEvEUldE_EEvS4_RKT_EUlibE0_EEviT1_
	.p2align	8
	.type	_ZN2at6native32elementwise_kernel_manual_unrollILi128ELi4EZNS0_15gpu_kernel_implIZZZNS0_17rsqrt_kernel_cudaERNS_18TensorIteratorBaseEENKUlvE0_clEvENKUlvE_clEvEUldE_EEvS4_RKT_EUlibE0_EEviT1_,@function
_ZN2at6native32elementwise_kernel_manual_unrollILi128ELi4EZNS0_15gpu_kernel_implIZZZNS0_17rsqrt_kernel_cudaERNS_18TensorIteratorBaseEENKUlvE0_clEvENKUlvE_clEvEUldE_EEvS4_RKT_EUlibE0_EEviT1_: ; @_ZN2at6native32elementwise_kernel_manual_unrollILi128ELi4EZNS0_15gpu_kernel_implIZZZNS0_17rsqrt_kernel_cudaERNS_18TensorIteratorBaseEENKUlvE0_clEvENKUlvE_clEvEUldE_EEvS4_RKT_EUlibE0_EEviT1_
; %bb.0:
	s_load_dword s70, s[0:1], 0x0
	s_load_dword s33, s[0:1], 0x8
	s_add_u32 s34, s0, 8
	s_addc_u32 s35, s1, 0
	v_lshl_or_b32 v10, s2, 9, v0
	v_or_b32_e32 v16, 0x180, v10
	s_waitcnt lgkmcnt(0)
	s_add_i32 s72, s33, -1
	s_cmp_gt_u32 s72, 1
	v_cmp_le_i32_e32 vcc, s70, v16
	s_cselect_b64 s[42:43], -1, 0
	s_mov_b64 s[40:41], 0
	s_mov_b64 s[24:25], 0
	s_and_saveexec_b64 s[2:3], vcc
	s_xor_b64 s[44:45], exec, s[2:3]
	s_cbranch_execz .LBB193_1090
; %bb.1:
	v_mov_b32_e32 v0, 0
	global_load_ushort v0, v0, s[34:35] offset:345
	s_load_dwordx4 s[28:31], s[34:35], 0x4
	s_load_dwordx2 s[46:47], s[34:35], 0x14
	s_load_dwordx4 s[24:27], s[34:35], 0xc4
	s_load_dwordx4 s[20:23], s[34:35], 0x148
	s_cmp_lg_u32 s33, 0
	s_cselect_b64 s[52:53], -1, 0
	s_add_u32 s50, s34, 0xc4
	s_addc_u32 s51, s35, 0
	s_min_u32 s75, s72, 15
	s_cmp_gt_u32 s33, 1
	s_cselect_b64 s[48:49], -1, 0
	v_cmp_gt_i32_e32 vcc, s70, v10
	s_mov_b64 s[4:5], -1
	s_mov_b64 s[62:63], 0
	s_mov_b64 s[56:57], 0
	;; [unrolled: 1-line block ×3, first 2 shown]
	s_waitcnt vmcnt(0)
	v_readfirstlane_b32 s73, v0
	s_and_b32 s2, 0xffff, s73
	s_lshr_b32 s74, s2, 8
	s_and_saveexec_b64 s[58:59], vcc
	s_cbranch_execz .LBB193_267
; %bb.2:
	s_andn2_b64 vcc, exec, s[42:43]
	s_cbranch_vccnz .LBB193_8
; %bb.3:
	s_andn2_b64 vcc, exec, s[52:53]
	s_cbranch_vccnz .LBB193_9
; %bb.4:
	s_add_i32 s57, s75, 1
	s_cmp_eq_u32 s72, 2
	s_cbranch_scc1 .LBB193_10
; %bb.5:
	s_and_b32 s56, s57, 28
	s_mov_b32 s60, 0
	v_mov_b32_e32 v2, 0
	v_mov_b32_e32 v0, 0
	s_mov_b64 s[2:3], s[34:35]
	s_mov_b64 s[54:55], s[50:51]
	v_mov_b32_e32 v4, v10
.LBB193_6:                              ; =>This Inner Loop Header: Depth=1
	s_load_dwordx8 s[12:19], s[2:3], 0x4
	s_load_dwordx4 s[36:39], s[2:3], 0x24
	s_load_dwordx8 s[4:11], s[54:55], 0x0
	s_add_u32 s2, s2, 48
	s_addc_u32 s3, s3, 0
	s_waitcnt lgkmcnt(0)
	v_mul_hi_u32 v1, s13, v4
	v_add_u32_e32 v1, v4, v1
	v_lshrrev_b32_e32 v1, s14, v1
	v_mul_lo_u32 v3, v1, s12
	v_mul_hi_u32 v5, s16, v1
	v_sub_u32_e32 v3, v4, v3
	v_add_u32_e32 v4, v1, v5
	v_lshrrev_b32_e32 v4, s17, v4
	v_mul_lo_u32 v6, v4, s15
	v_mul_hi_u32 v7, s19, v4
	v_sub_u32_e32 v1, v1, v6
	v_add_u32_e32 v6, v4, v7
	v_mul_lo_u32 v5, v3, s5
	v_mul_lo_u32 v3, v3, s4
	;; [unrolled: 1-line block ×4, first 2 shown]
	v_lshrrev_b32_e32 v6, s36, v6
	v_add3_u32 v1, v3, v2, v1
	v_mul_hi_u32 v3, s38, v6
	v_mul_lo_u32 v2, v6, s18
	v_add_u32_e32 v3, v6, v3
	v_sub_u32_e32 v2, v4, v2
	v_lshrrev_b32_e32 v4, s39, v3
	s_add_i32 s60, s60, 4
	v_mul_lo_u32 v3, v4, s37
	s_add_u32 s54, s54, 32
	v_sub_u32_e32 v3, v6, v3
	s_addc_u32 s55, s55, 0
	v_add3_u32 v0, v5, v0, v7
	v_mul_lo_u32 v5, v2, s8
	v_mul_lo_u32 v2, v2, s9
	;; [unrolled: 1-line block ×4, first 2 shown]
	s_cmp_lg_u32 s56, s60
	v_add3_u32 v0, v2, v0, v3
	v_add3_u32 v2, v5, v1, v6
	s_cbranch_scc1 .LBB193_6
; %bb.7:
	v_mov_b32_e32 v1, v0
	s_branch .LBB193_11
.LBB193_8:
                                        ; implicit-def: $vgpr0
                                        ; implicit-def: $vgpr2
	s_branch .LBB193_15
.LBB193_9:
	v_mov_b32_e32 v0, 0
	v_mov_b32_e32 v2, 0
	s_branch .LBB193_14
.LBB193_10:
	v_mov_b32_e32 v2, 0
	s_mov_b32 s56, 0
	v_mov_b32_e32 v1, v2
                                        ; implicit-def: $vgpr0
	v_mov_b32_e32 v4, v10
.LBB193_11:
	s_and_b32 s6, s57, 3
	s_cmp_eq_u32 s6, 0
	s_cbranch_scc1 .LBB193_14
; %bb.12:
	s_lshl_b32 s2, s56, 3
	s_add_u32 s2, s34, s2
	s_addc_u32 s3, s35, 0
	s_add_u32 s2, s2, 0xc4
	s_addc_u32 s3, s3, 0
	s_mul_i32 s4, s56, 12
	s_add_u32 s4, s34, s4
	s_addc_u32 s5, s35, 0
.LBB193_13:                             ; =>This Inner Loop Header: Depth=1
	s_load_dwordx2 s[8:9], s[4:5], 0x4
	s_load_dword s7, s[4:5], 0xc
	s_load_dwordx2 s[10:11], s[2:3], 0x0
	v_mov_b32_e32 v0, v1
	s_add_u32 s4, s4, 12
	s_waitcnt lgkmcnt(0)
	v_mul_hi_u32 v1, s9, v4
	v_add_u32_e32 v1, v4, v1
	v_lshrrev_b32_e32 v1, s7, v1
	s_addc_u32 s5, s5, 0
	v_mul_lo_u32 v3, v1, s8
	s_add_u32 s2, s2, 8
	v_sub_u32_e32 v3, v4, v3
	s_addc_u32 s3, s3, 0
	s_add_i32 s6, s6, -1
	v_mov_b32_e32 v4, v1
	v_mad_u64_u32 v[0:1], s[8:9], v3, s11, v[0:1]
	s_cmp_lg_u32 s6, 0
	v_mad_u64_u32 v[2:3], s[8:9], v3, s10, v[2:3]
	v_mov_b32_e32 v1, v0
	s_cbranch_scc1 .LBB193_13
.LBB193_14:
	s_cbranch_execnz .LBB193_17
.LBB193_15:
	s_waitcnt lgkmcnt(0)
	v_mul_hi_u32 v0, s29, v10
	v_add_u32_e32 v0, v10, v0
	v_lshrrev_b32_e32 v1, s30, v0
	v_mul_lo_u32 v0, v1, s28
	v_sub_u32_e32 v2, v10, v0
	v_mul_lo_u32 v0, v2, s25
	s_andn2_b64 vcc, exec, s[48:49]
	v_mul_lo_u32 v2, v2, s24
	s_cbranch_vccnz .LBB193_17
; %bb.16:
	v_mul_hi_u32 v3, s46, v1
	v_add_u32_e32 v3, v1, v3
	v_lshrrev_b32_e32 v3, s47, v3
	v_mul_lo_u32 v3, v3, s31
	v_sub_u32_e32 v1, v1, v3
	v_mad_u64_u32 v[2:3], s[2:3], v1, s26, v[2:3]
	v_mad_u64_u32 v[0:1], s[2:3], v1, s27, v[0:1]
.LBB193_17:
	v_mov_b32_e32 v1, 0
	s_and_b32 s10, 0xffff, s74
	s_cmp_lt_i32 s10, 11
	s_waitcnt lgkmcnt(0)
	v_lshl_add_u64 v[0:1], s[22:23], 0, v[0:1]
	s_cbranch_scc1 .LBB193_24
; %bb.18:
	s_cmp_gt_i32 s10, 25
	s_cbranch_scc0 .LBB193_33
; %bb.19:
	s_cmp_gt_i32 s10, 28
	s_cbranch_scc0 .LBB193_36
	;; [unrolled: 3-line block ×4, first 2 shown]
; %bb.22:
	s_cmp_eq_u32 s10, 46
	s_mov_b64 s[6:7], 0
	s_cbranch_scc0 .LBB193_42
; %bb.23:
	global_load_dword v3, v[0:1], off
	s_mov_b64 s[2:3], -1
	s_mov_b64 s[4:5], 0
	s_waitcnt vmcnt(0)
	v_lshlrev_b32_e32 v3, 16, v3
	v_cvt_f64_f32_e32 v[4:5], v3
	s_branch .LBB193_44
.LBB193_24:
	s_mov_b64 s[4:5], 0
                                        ; implicit-def: $vgpr4_vgpr5
	s_mov_b64 s[2:3], 0
	s_cbranch_execnz .LBB193_217
.LBB193_25:
	s_andn2_b64 vcc, exec, s[2:3]
	s_cbranch_vccnz .LBB193_264
.LBB193_26:
	s_waitcnt vmcnt(0)
	v_rsq_f64_e32 v[0:1], v[4:5]
	s_mov_b32 s2, 0
	s_mov_b32 s3, 0x3fd80000
	v_mov_b32_e32 v3, 0x180
	v_mul_f64 v[4:5], v[0:1], -v[4:5]
	v_fma_f64 v[4:5], v[4:5], v[0:1], 1.0
	v_mul_f64 v[6:7], v[0:1], v[4:5]
	v_fma_f64 v[4:5], v[4:5], s[2:3], 0.5
	v_fma_f64 v[4:5], v[6:7], v[4:5], v[0:1]
	v_cmp_class_f64_e32 vcc, v[0:1], v3
	v_mov_b32_e32 v3, 0
	s_and_b32 s12, s73, 0xff
	v_cndmask_b32_e32 v1, v1, v5, vcc
	v_cndmask_b32_e32 v0, v0, v4, vcc
	s_cmp_lt_i32 s12, 11
	v_lshl_add_u64 v[4:5], s[20:21], 0, v[2:3]
	s_cbranch_scc1 .LBB193_34
; %bb.27:
	s_and_b32 s13, 0xffff, s12
	s_cmp_gt_i32 s13, 25
	s_cbranch_scc0 .LBB193_37
; %bb.28:
	s_cmp_gt_i32 s13, 28
	s_cbranch_scc0 .LBB193_39
; %bb.29:
	;; [unrolled: 3-line block ×4, first 2 shown]
	s_mov_b64 s[8:9], 0
	s_mov_b64 s[2:3], -1
	s_cmp_eq_u32 s13, 46
	s_mov_b64 s[6:7], 0
	s_cbranch_scc0 .LBB193_48
; %bb.32:
	v_cvt_f32_f64_e32 v2, v[0:1]
	v_bfe_u32 v3, v2, 16, 1
	s_movk_i32 s2, 0x7fff
	v_add3_u32 v3, v2, v3, s2
	v_cmp_o_f32_e32 vcc, v2, v2
	v_mov_b32_e32 v2, 0x7fc0
	s_mov_b64 s[6:7], -1
	v_cndmask_b32_sdwa v2, v2, v3, vcc dst_sel:DWORD dst_unused:UNUSED_PAD src0_sel:DWORD src1_sel:WORD_1
	global_store_dword v[4:5], v2, off
	s_mov_b64 s[2:3], 0
	s_branch .LBB193_48
.LBB193_33:
	s_mov_b64 s[4:5], 0
	s_mov_b64 s[2:3], 0
                                        ; implicit-def: $vgpr4_vgpr5
	s_cbranch_execnz .LBB193_184
	s_branch .LBB193_216
.LBB193_34:
	s_mov_b64 s[2:3], 0
	s_mov_b64 s[6:7], 0
	s_cbranch_execnz .LBB193_117
.LBB193_35:
	s_andn2_b64 vcc, exec, s[6:7]
	s_cbranch_vccnz .LBB193_265
	s_branch .LBB193_155
.LBB193_36:
	s_mov_b64 s[6:7], -1
	s_mov_b64 s[4:5], 0
	s_mov_b64 s[2:3], 0
                                        ; implicit-def: $vgpr4_vgpr5
	s_branch .LBB193_163
.LBB193_37:
	s_mov_b64 s[8:9], -1
	s_mov_b64 s[2:3], 0
	s_mov_b64 s[6:7], 0
	s_branch .LBB193_75
.LBB193_38:
	s_mov_b64 s[6:7], -1
	s_mov_b64 s[4:5], 0
	s_mov_b64 s[2:3], 0
                                        ; implicit-def: $vgpr4_vgpr5
	s_branch .LBB193_158
.LBB193_39:
	s_mov_b64 s[8:9], -1
	s_mov_b64 s[2:3], 0
	s_mov_b64 s[6:7], 0
	s_branch .LBB193_58
.LBB193_40:
	s_mov_b64 s[6:7], -1
	s_mov_b64 s[4:5], 0
	s_branch .LBB193_43
.LBB193_41:
	s_mov_b64 s[8:9], -1
	s_mov_b64 s[2:3], 0
	s_mov_b64 s[6:7], 0
	s_branch .LBB193_54
.LBB193_42:
	s_mov_b64 s[4:5], -1
.LBB193_43:
	s_mov_b64 s[2:3], 0
                                        ; implicit-def: $vgpr4_vgpr5
.LBB193_44:
	s_and_b64 vcc, exec, s[6:7]
	s_cbranch_vccz .LBB193_157
; %bb.45:
	s_cmp_eq_u32 s10, 44
	s_cbranch_scc0 .LBB193_156
; %bb.46:
	global_load_ubyte v3, v[0:1], off
	s_movk_i32 s4, 0xff
	v_bfrev_b32_e32 v6, 4
	v_mov_b32_e32 v7, 0x7ff80000
	v_bfrev_b32_e32 v8, 28
	s_mov_b64 s[2:3], -1
	s_waitcnt vmcnt(0)
	v_lshlrev_b32_e32 v4, 23, v3
	v_cvt_f64_f32_e32 v[4:5], v4
	v_cmp_ne_u32_e32 vcc, s4, v3
	s_mov_b64 s[4:5], 0
	s_nop 0
	v_cndmask_b32_e32 v4, v6, v4, vcc
	v_cndmask_b32_e32 v5, v7, v5, vcc
	v_cmp_ne_u32_e32 vcc, 0, v3
	s_nop 1
	v_cndmask_b32_e32 v5, v8, v5, vcc
	v_cndmask_b32_e32 v4, 0, v4, vcc
	s_branch .LBB193_157
.LBB193_47:
	s_mov_b64 s[8:9], -1
	s_mov_b64 s[2:3], 0
	s_mov_b64 s[6:7], 0
.LBB193_48:
	s_and_b64 vcc, exec, s[8:9]
	s_cbranch_vccz .LBB193_53
; %bb.49:
	s_cmp_eq_u32 s13, 44
	s_mov_b64 s[2:3], -1
	s_cbranch_scc0 .LBB193_53
; %bb.50:
	v_cvt_f32_f64_e32 v2, v[0:1]
	v_bfe_u32 v3, v2, 23, 8
	s_movk_i32 s2, 0xff
	v_cmp_ne_u32_e32 vcc, s2, v3
	v_mov_b32_e32 v6, 0xff
	s_and_saveexec_b64 s[6:7], vcc
; %bb.51:
	s_mov_b32 s2, 0x3fffff
	v_lshrrev_b32_e32 v6, 23, v2
	v_and_b32_e32 v7, 0x400000, v2
	v_and_or_b32 v2, v2, s2, v3
	v_cmp_ne_u32_e32 vcc, 0, v7
	v_cmp_ne_u32_e64 s[2:3], 0, v2
	s_and_b64 s[2:3], vcc, s[2:3]
	s_nop 0
	v_cndmask_b32_e64 v2, 0, 1, s[2:3]
	v_add_u32_e32 v6, v6, v2
; %bb.52:
	s_or_b64 exec, exec, s[6:7]
	s_mov_b64 s[6:7], -1
	s_mov_b64 s[2:3], 0
	global_store_byte v[4:5], v6, off
.LBB193_53:
	s_mov_b64 s[8:9], 0
.LBB193_54:
	s_and_b64 vcc, exec, s[8:9]
	s_cbranch_vccz .LBB193_57
; %bb.55:
	s_cmp_eq_u32 s13, 29
	s_mov_b64 s[2:3], -1
	s_cbranch_scc0 .LBB193_57
; %bb.56:
	v_trunc_f64_e32 v[2:3], v[0:1]
	s_movk_i32 s2, 0xffe0
	v_ldexp_f64 v[6:7], v[2:3], s2
	v_floor_f64_e32 v[6:7], v[6:7]
	v_fmac_f64_e32 v[2:3], 0xc1f00000, v[6:7]
	v_cvt_u32_f64_e32 v9, v[6:7]
	v_cvt_u32_f64_e32 v8, v[2:3]
	global_store_dwordx2 v[4:5], v[8:9], off
	s_mov_b64 s[6:7], -1
	s_mov_b64 s[2:3], 0
.LBB193_57:
	s_mov_b64 s[8:9], 0
.LBB193_58:
	s_and_b64 vcc, exec, s[8:9]
	s_cbranch_vccz .LBB193_74
; %bb.59:
	s_cmp_lt_i32 s13, 27
	s_mov_b64 s[6:7], -1
	s_cbranch_scc1 .LBB193_65
; %bb.60:
	s_cmp_gt_i32 s13, 27
	v_cvt_u32_f64_e32 v2, v[0:1]
	s_cbranch_scc0 .LBB193_62
; %bb.61:
	s_mov_b64 s[6:7], 0
	global_store_dword v[4:5], v2, off
.LBB193_62:
	s_andn2_b64 vcc, exec, s[6:7]
	s_cbranch_vccnz .LBB193_64
; %bb.63:
	global_store_short v[4:5], v2, off
.LBB193_64:
	s_mov_b64 s[6:7], 0
.LBB193_65:
	s_andn2_b64 vcc, exec, s[6:7]
	s_cbranch_vccnz .LBB193_73
; %bb.66:
	v_cvt_f32_f64_e32 v2, v[0:1]
	v_and_b32_e32 v3, 0x7fffffff, v2
	s_mov_b32 s6, 0x43800000
	v_cmp_gt_u32_e32 vcc, s6, v3
	v_mov_b32_e32 v6, 0x80
	s_and_saveexec_b64 s[6:7], vcc
	s_cbranch_execz .LBB193_72
; %bb.67:
	s_mov_b32 s8, 0x3bffffff
	v_cmp_lt_u32_e32 vcc, s8, v3
	s_mov_b64 s[8:9], 0
                                        ; implicit-def: $vgpr3
	s_and_saveexec_b64 s[10:11], vcc
	s_xor_b64 s[10:11], exec, s[10:11]
	s_cbranch_execz .LBB193_309
; %bb.68:
	v_bfe_u32 v3, v2, 20, 1
	s_mov_b32 s14, 0x487ffff
	v_add3_u32 v3, v2, v3, s14
	s_mov_b64 s[8:9], exec
	v_lshrrev_b32_e32 v3, 20, v3
	s_andn2_saveexec_b64 s[10:11], s[10:11]
	s_cbranch_execnz .LBB193_310
.LBB193_69:
	s_or_b64 exec, exec, s[10:11]
	v_mov_b32_e32 v6, 0
	s_and_saveexec_b64 s[10:11], s[8:9]
.LBB193_70:
	v_lshrrev_b32_e32 v2, 24, v2
	s_movk_i32 s8, 0x80
	v_and_or_b32 v6, v2, s8, v3
.LBB193_71:
	s_or_b64 exec, exec, s[10:11]
.LBB193_72:
	s_or_b64 exec, exec, s[6:7]
	global_store_byte v[4:5], v6, off
.LBB193_73:
	s_mov_b64 s[6:7], -1
.LBB193_74:
	s_mov_b64 s[8:9], 0
.LBB193_75:
	s_and_b64 vcc, exec, s[8:9]
	s_cbranch_vccz .LBB193_116
; %bb.76:
	s_cmp_gt_i32 s13, 22
	s_mov_b64 s[8:9], -1
	s_cbranch_scc0 .LBB193_108
; %bb.77:
	s_cmp_lt_i32 s13, 24
	s_mov_b64 s[6:7], -1
	s_cbranch_scc1 .LBB193_97
; %bb.78:
	s_cmp_gt_i32 s13, 24
	s_cbranch_scc0 .LBB193_86
; %bb.79:
	v_cvt_f32_f64_e32 v2, v[0:1]
	v_and_b32_e32 v3, 0x7fffffff, v2
	s_mov_b32 s6, 0x47800000
	v_cmp_gt_u32_e32 vcc, s6, v3
	v_mov_b32_e32 v6, 0x80
	s_and_saveexec_b64 s[6:7], vcc
	s_cbranch_execz .LBB193_85
; %bb.80:
	s_mov_b32 s8, 0x37ffffff
	v_cmp_lt_u32_e32 vcc, s8, v3
	s_mov_b64 s[8:9], 0
                                        ; implicit-def: $vgpr3
	s_and_saveexec_b64 s[10:11], vcc
	s_xor_b64 s[10:11], exec, s[10:11]
	s_cbranch_execz .LBB193_313
; %bb.81:
	v_bfe_u32 v3, v2, 21, 1
	s_mov_b32 s14, 0x88fffff
	v_add3_u32 v3, v2, v3, s14
	s_mov_b64 s[8:9], exec
	v_lshrrev_b32_e32 v3, 21, v3
	s_andn2_saveexec_b64 s[10:11], s[10:11]
	s_cbranch_execnz .LBB193_314
.LBB193_82:
	s_or_b64 exec, exec, s[10:11]
	v_mov_b32_e32 v6, 0
	s_and_saveexec_b64 s[10:11], s[8:9]
.LBB193_83:
	v_lshrrev_b32_e32 v2, 24, v2
	s_movk_i32 s8, 0x80
	v_and_or_b32 v6, v2, s8, v3
.LBB193_84:
	s_or_b64 exec, exec, s[10:11]
.LBB193_85:
	s_or_b64 exec, exec, s[6:7]
	s_mov_b64 s[6:7], 0
	global_store_byte v[4:5], v6, off
.LBB193_86:
	s_and_b64 vcc, exec, s[6:7]
	s_cbranch_vccz .LBB193_96
; %bb.87:
	v_cvt_f32_f64_e32 v2, v[0:1]
	v_and_b32_e32 v6, 0x7fffffff, v2
	s_mov_b32 s6, 0x43f00000
	v_cmp_gt_u32_e32 vcc, s6, v6
                                        ; implicit-def: $vgpr3
	s_and_saveexec_b64 s[6:7], vcc
	s_xor_b64 s[6:7], exec, s[6:7]
	s_cbranch_execz .LBB193_93
; %bb.88:
	s_mov_b32 s8, 0x3c7fffff
	v_cmp_lt_u32_e32 vcc, s8, v6
                                        ; implicit-def: $vgpr3
	s_and_saveexec_b64 s[8:9], vcc
	s_xor_b64 s[8:9], exec, s[8:9]
; %bb.89:
	v_bfe_u32 v3, v2, 20, 1
	s_mov_b32 s10, 0x407ffff
	v_add3_u32 v3, v2, v3, s10
	v_lshrrev_b32_e32 v6, 20, v3
	v_and_b32_e32 v3, 0xff00000, v3
	s_mov_b32 s10, 0x7f00000
	v_mov_b32_e32 v7, 0x7e
	v_cmp_ne_u32_e32 vcc, s10, v3
	s_nop 1
	v_cndmask_b32_e32 v3, v7, v6, vcc
; %bb.90:
	s_andn2_saveexec_b64 s[8:9], s[8:9]
; %bb.91:
	s_mov_b32 s10, 0x46800000
	v_add_f32_e64 v3, |v2|, s10
; %bb.92:
	s_or_b64 exec, exec, s[8:9]
                                        ; implicit-def: $vgpr6
.LBB193_93:
	s_andn2_saveexec_b64 s[6:7], s[6:7]
; %bb.94:
	s_mov_b32 s8, 0x7f800000
	v_mov_b32_e32 v3, 0x7e
	v_mov_b32_e32 v7, 0x7f
	v_cmp_lt_u32_e32 vcc, s8, v6
	s_nop 1
	v_cndmask_b32_e32 v3, v3, v7, vcc
; %bb.95:
	s_or_b64 exec, exec, s[6:7]
	v_lshrrev_b32_e32 v2, 24, v2
	s_movk_i32 s6, 0x80
	v_and_or_b32 v2, v2, s6, v3
	global_store_byte v[4:5], v2, off
.LBB193_96:
	s_mov_b64 s[6:7], 0
.LBB193_97:
	s_andn2_b64 vcc, exec, s[6:7]
	s_cbranch_vccnz .LBB193_107
; %bb.98:
	v_cvt_f32_f64_e32 v2, v[0:1]
	v_and_b32_e32 v6, 0x7fffffff, v2
	s_mov_b32 s6, 0x47800000
	v_cmp_gt_u32_e32 vcc, s6, v6
                                        ; implicit-def: $vgpr3
	s_and_saveexec_b64 s[6:7], vcc
	s_xor_b64 s[6:7], exec, s[6:7]
	s_cbranch_execz .LBB193_104
; %bb.99:
	s_mov_b32 s8, 0x387fffff
	v_cmp_lt_u32_e32 vcc, s8, v6
                                        ; implicit-def: $vgpr3
	s_and_saveexec_b64 s[8:9], vcc
	s_xor_b64 s[8:9], exec, s[8:9]
; %bb.100:
	v_bfe_u32 v3, v2, 21, 1
	s_mov_b32 s10, 0x80fffff
	v_add3_u32 v3, v2, v3, s10
	v_lshrrev_b32_e32 v3, 21, v3
; %bb.101:
	s_andn2_saveexec_b64 s[8:9], s[8:9]
; %bb.102:
	s_mov_b32 s10, 0x43000000
	v_add_f32_e64 v3, |v2|, s10
; %bb.103:
	s_or_b64 exec, exec, s[8:9]
                                        ; implicit-def: $vgpr6
.LBB193_104:
	s_andn2_saveexec_b64 s[6:7], s[6:7]
; %bb.105:
	s_mov_b32 s8, 0x7f800000
	v_mov_b32_e32 v3, 0x7c
	v_mov_b32_e32 v7, 0x7f
	v_cmp_lt_u32_e32 vcc, s8, v6
	s_nop 1
	v_cndmask_b32_e32 v3, v3, v7, vcc
; %bb.106:
	s_or_b64 exec, exec, s[6:7]
	v_lshrrev_b32_e32 v2, 24, v2
	s_movk_i32 s6, 0x80
	v_and_or_b32 v2, v2, s6, v3
	global_store_byte v[4:5], v2, off
.LBB193_107:
	s_mov_b64 s[8:9], 0
	s_mov_b64 s[6:7], -1
.LBB193_108:
	s_andn2_b64 vcc, exec, s[8:9]
	s_cbranch_vccnz .LBB193_116
; %bb.109:
	s_cmp_gt_i32 s13, 14
	s_mov_b64 s[8:9], -1
	s_cbranch_scc0 .LBB193_113
; %bb.110:
	s_cmp_eq_u32 s13, 15
	s_mov_b64 s[2:3], -1
	s_cbranch_scc0 .LBB193_112
; %bb.111:
	v_cvt_f32_f64_e32 v2, v[0:1]
	v_bfe_u32 v3, v2, 16, 1
	s_movk_i32 s2, 0x7fff
	v_add3_u32 v3, v2, v3, s2
	v_cmp_o_f32_e32 vcc, v2, v2
	v_mov_b32_e32 v2, 0x7fc0
	s_mov_b64 s[6:7], -1
	v_cndmask_b32_sdwa v2, v2, v3, vcc dst_sel:DWORD dst_unused:UNUSED_PAD src0_sel:DWORD src1_sel:WORD_1
	global_store_short v[4:5], v2, off
	s_mov_b64 s[2:3], 0
.LBB193_112:
	s_mov_b64 s[8:9], 0
.LBB193_113:
	s_and_b64 vcc, exec, s[8:9]
	s_cbranch_vccz .LBB193_116
; %bb.114:
	s_cmp_eq_u32 s13, 11
	s_mov_b64 s[2:3], -1
	s_cbranch_scc0 .LBB193_116
; %bb.115:
	v_cmp_neq_f64_e32 vcc, 0, v[0:1]
	s_mov_b64 s[2:3], 0
	s_mov_b64 s[6:7], -1
	v_cndmask_b32_e64 v2, 0, 1, vcc
	global_store_byte v[4:5], v2, off
.LBB193_116:
	s_branch .LBB193_35
.LBB193_117:
	s_and_b32 s8, 0xffff, s12
	s_cmp_lt_i32 s8, 5
	s_mov_b64 s[6:7], -1
	s_cbranch_scc1 .LBB193_138
; %bb.118:
	s_cmp_lt_i32 s8, 8
	s_cbranch_scc1 .LBB193_128
; %bb.119:
	s_cmp_lt_i32 s8, 9
	s_cbranch_scc1 .LBB193_125
; %bb.120:
	s_cmp_gt_i32 s8, 9
	s_cbranch_scc0 .LBB193_122
; %bb.121:
	v_mov_b32_e32 v2, 0
	v_mov_b32_e32 v3, v2
	global_store_dwordx4 v[4:5], v[0:3], off
	s_mov_b64 s[6:7], 0
.LBB193_122:
	s_andn2_b64 vcc, exec, s[6:7]
	s_cbranch_vccnz .LBB193_124
; %bb.123:
	v_cvt_f32_f64_e32 v2, v[0:1]
	v_mov_b32_e32 v3, 0
	global_store_dwordx2 v[4:5], v[2:3], off
.LBB193_124:
	s_mov_b64 s[6:7], 0
.LBB193_125:
	s_andn2_b64 vcc, exec, s[6:7]
	s_cbranch_vccnz .LBB193_127
; %bb.126:
	s_movk_i32 s6, 0x1ff
	v_and_or_b32 v2, v1, s6, v0
	v_cmp_ne_u32_e32 vcc, 0, v2
	v_lshrrev_b32_e32 v3, 8, v1
	s_movk_i32 s6, 0xffe
	v_cndmask_b32_e64 v2, 0, 1, vcc
	v_bfe_u32 v6, v1, 20, 11
	v_and_or_b32 v2, v3, s6, v2
	v_sub_u32_e32 v7, 0x3f1, v6
	v_or_b32_e32 v3, 0x1000, v2
	v_med3_i32 v7, v7, 0, 13
	v_lshrrev_b32_e32 v8, v7, v3
	v_lshlrev_b32_e32 v7, v7, v8
	v_cmp_ne_u32_e32 vcc, v7, v3
	v_add_u32_e32 v6, 0xfffffc10, v6
	v_lshl_or_b32 v7, v6, 12, v2
	v_cndmask_b32_e64 v3, 0, 1, vcc
	v_or_b32_e32 v3, v8, v3
	v_cmp_gt_i32_e32 vcc, 1, v6
	s_movk_i32 s6, 0x40f
	s_nop 0
	v_cndmask_b32_e32 v3, v7, v3, vcc
	v_and_b32_e32 v7, 7, v3
	v_cmp_lt_i32_e32 vcc, 5, v7
	v_lshrrev_b32_e32 v3, 2, v3
	s_nop 0
	v_cndmask_b32_e64 v8, 0, 1, vcc
	v_cmp_eq_u32_e32 vcc, 3, v7
	s_nop 1
	v_cndmask_b32_e64 v7, 0, 1, vcc
	v_or_b32_e32 v7, v7, v8
	v_add_u32_e32 v3, v3, v7
	v_mov_b32_e32 v7, 0x7c00
	v_cmp_gt_i32_e32 vcc, 31, v6
	v_mov_b32_e32 v8, 0x7e00
	s_nop 0
	v_cndmask_b32_e32 v3, v7, v3, vcc
	v_cmp_ne_u32_e32 vcc, 0, v2
	s_nop 1
	v_cndmask_b32_e32 v2, v7, v8, vcc
	v_cmp_eq_u32_e32 vcc, s6, v6
	s_mov_b32 s6, 0x8000
	s_nop 0
	v_cndmask_b32_e32 v2, v3, v2, vcc
	v_and_b32_sdwa v3, v1, s6 dst_sel:DWORD dst_unused:UNUSED_PAD src0_sel:WORD_1 src1_sel:DWORD
	s_mov_b32 s6, 0xffff
	v_bitop3_b32 v2, v3, s6, v2 bitop3:0xc8
	global_store_dword v[4:5], v2, off
.LBB193_127:
	s_mov_b64 s[6:7], 0
.LBB193_128:
	s_andn2_b64 vcc, exec, s[6:7]
	s_cbranch_vccnz .LBB193_137
; %bb.129:
	s_cmp_lt_i32 s8, 6
	s_mov_b64 s[6:7], -1
	s_cbranch_scc1 .LBB193_135
; %bb.130:
	s_cmp_gt_i32 s8, 6
	s_cbranch_scc0 .LBB193_132
; %bb.131:
	global_store_dwordx2 v[4:5], v[0:1], off
	s_mov_b64 s[6:7], 0
.LBB193_132:
	s_andn2_b64 vcc, exec, s[6:7]
	s_cbranch_vccnz .LBB193_134
; %bb.133:
	v_cvt_f32_f64_e32 v2, v[0:1]
	global_store_dword v[4:5], v2, off
.LBB193_134:
	s_mov_b64 s[6:7], 0
.LBB193_135:
	s_andn2_b64 vcc, exec, s[6:7]
	s_cbranch_vccnz .LBB193_137
; %bb.136:
	s_movk_i32 s6, 0x1ff
	v_and_or_b32 v2, v1, s6, v0
	v_cmp_ne_u32_e32 vcc, 0, v2
	v_lshrrev_b32_e32 v3, 8, v1
	s_movk_i32 s6, 0xffe
	v_cndmask_b32_e64 v2, 0, 1, vcc
	v_bfe_u32 v6, v1, 20, 11
	v_and_or_b32 v2, v3, s6, v2
	v_sub_u32_e32 v7, 0x3f1, v6
	v_or_b32_e32 v3, 0x1000, v2
	v_med3_i32 v7, v7, 0, 13
	v_lshrrev_b32_e32 v8, v7, v3
	v_lshlrev_b32_e32 v7, v7, v8
	v_cmp_ne_u32_e32 vcc, v7, v3
	v_add_u32_e32 v6, 0xfffffc10, v6
	v_lshl_or_b32 v7, v6, 12, v2
	v_cndmask_b32_e64 v3, 0, 1, vcc
	v_or_b32_e32 v3, v8, v3
	v_cmp_gt_i32_e32 vcc, 1, v6
	s_movk_i32 s6, 0x40f
	s_nop 0
	v_cndmask_b32_e32 v3, v7, v3, vcc
	v_and_b32_e32 v7, 7, v3
	v_cmp_lt_i32_e32 vcc, 5, v7
	v_lshrrev_b32_e32 v3, 2, v3
	s_nop 0
	v_cndmask_b32_e64 v8, 0, 1, vcc
	v_cmp_eq_u32_e32 vcc, 3, v7
	s_nop 1
	v_cndmask_b32_e64 v7, 0, 1, vcc
	v_or_b32_e32 v7, v7, v8
	v_add_u32_e32 v3, v3, v7
	v_mov_b32_e32 v7, 0x7c00
	v_cmp_gt_i32_e32 vcc, 31, v6
	v_mov_b32_e32 v8, 0x7e00
	s_nop 0
	v_cndmask_b32_e32 v3, v7, v3, vcc
	v_cmp_ne_u32_e32 vcc, 0, v2
	s_nop 1
	v_cndmask_b32_e32 v2, v7, v8, vcc
	v_cmp_eq_u32_e32 vcc, s6, v6
	s_mov_b32 s6, 0x8000
	s_nop 0
	v_cndmask_b32_e32 v2, v3, v2, vcc
	v_lshrrev_b32_e32 v3, 16, v1
	v_and_or_b32 v2, v3, s6, v2
	global_store_short v[4:5], v2, off
.LBB193_137:
	s_mov_b64 s[6:7], 0
.LBB193_138:
	s_andn2_b64 vcc, exec, s[6:7]
	s_cbranch_vccnz .LBB193_154
; %bb.139:
	s_cmp_lt_i32 s8, 2
	s_mov_b64 s[6:7], -1
	s_cbranch_scc1 .LBB193_149
; %bb.140:
	s_cmp_lt_i32 s8, 3
	s_cbranch_scc1 .LBB193_146
; %bb.141:
	s_cmp_gt_i32 s8, 3
	s_cbranch_scc0 .LBB193_143
; %bb.142:
	v_trunc_f64_e32 v[2:3], v[0:1]
	s_movk_i32 s6, 0xffe0
	v_ldexp_f64 v[6:7], v[2:3], s6
	v_floor_f64_e32 v[6:7], v[6:7]
	v_fmac_f64_e32 v[2:3], 0xc1f00000, v[6:7]
	v_cvt_i32_f64_e32 v9, v[6:7]
	v_cvt_u32_f64_e32 v8, v[2:3]
	global_store_dwordx2 v[4:5], v[8:9], off
	s_mov_b64 s[6:7], 0
.LBB193_143:
	s_andn2_b64 vcc, exec, s[6:7]
	s_cbranch_vccnz .LBB193_145
; %bb.144:
	v_cvt_i32_f64_e32 v2, v[0:1]
	global_store_dword v[4:5], v2, off
.LBB193_145:
	s_mov_b64 s[6:7], 0
.LBB193_146:
	s_andn2_b64 vcc, exec, s[6:7]
	s_cbranch_vccnz .LBB193_148
; %bb.147:
	v_cvt_i32_f64_e32 v2, v[0:1]
	global_store_short v[4:5], v2, off
.LBB193_148:
	s_mov_b64 s[6:7], 0
.LBB193_149:
	s_andn2_b64 vcc, exec, s[6:7]
	s_cbranch_vccnz .LBB193_154
; %bb.150:
	s_cmp_gt_i32 s8, 0
	s_mov_b64 s[6:7], -1
	s_cbranch_scc0 .LBB193_152
; %bb.151:
	v_cvt_i32_f64_e32 v2, v[0:1]
	global_store_byte v[4:5], v2, off
	s_mov_b64 s[6:7], 0
.LBB193_152:
	s_andn2_b64 vcc, exec, s[6:7]
	s_cbranch_vccnz .LBB193_154
; %bb.153:
	v_trunc_f64_e32 v[0:1], v[0:1]
	s_movk_i32 s6, 0xffe0
	v_ldexp_f64 v[2:3], v[0:1], s6
	v_floor_f64_e32 v[2:3], v[2:3]
	v_fmac_f64_e32 v[0:1], 0xc1f00000, v[2:3]
	v_cvt_u32_f64_e32 v0, v[0:1]
	global_store_byte v[4:5], v0, off
.LBB193_154:
.LBB193_155:
	v_add_u32_e32 v10, 0x80, v10
	s_mov_b64 s[6:7], -1
	s_branch .LBB193_266
.LBB193_156:
	s_mov_b64 s[4:5], -1
                                        ; implicit-def: $vgpr4_vgpr5
.LBB193_157:
	s_mov_b64 s[6:7], 0
.LBB193_158:
	s_and_b64 vcc, exec, s[6:7]
	s_cbranch_vccz .LBB193_162
; %bb.159:
	s_cmp_eq_u32 s10, 29
	s_cbranch_scc0 .LBB193_161
; %bb.160:
	global_load_dwordx2 v[4:5], v[0:1], off
	s_mov_b64 s[2:3], -1
	s_mov_b64 s[4:5], 0
	s_mov_b64 s[6:7], 0
	s_waitcnt vmcnt(0)
	v_cvt_f64_u32_e32 v[6:7], v5
	v_cvt_f64_u32_e32 v[4:5], v4
	v_ldexp_f64 v[6:7], v[6:7], 32
	v_add_f64 v[4:5], v[6:7], v[4:5]
	s_branch .LBB193_163
.LBB193_161:
	s_mov_b64 s[4:5], -1
                                        ; implicit-def: $vgpr4_vgpr5
.LBB193_162:
	s_mov_b64 s[6:7], 0
.LBB193_163:
	s_and_b64 vcc, exec, s[6:7]
	s_cbranch_vccz .LBB193_183
; %bb.164:
	s_cmp_lt_i32 s10, 27
	s_cbranch_scc1 .LBB193_167
; %bb.165:
	s_cmp_gt_i32 s10, 27
	s_cbranch_scc0 .LBB193_168
; %bb.166:
	global_load_dword v3, v[0:1], off
	s_mov_b64 s[2:3], 0
	s_waitcnt vmcnt(0)
	v_cvt_f64_u32_e32 v[4:5], v3
	s_branch .LBB193_169
.LBB193_167:
	s_mov_b64 s[2:3], -1
                                        ; implicit-def: $vgpr4_vgpr5
	s_branch .LBB193_172
.LBB193_168:
	s_mov_b64 s[2:3], -1
                                        ; implicit-def: $vgpr4_vgpr5
.LBB193_169:
	s_andn2_b64 vcc, exec, s[2:3]
	s_cbranch_vccnz .LBB193_171
; %bb.170:
	global_load_ushort v3, v[0:1], off
	s_waitcnt vmcnt(0)
	v_cvt_f64_u32_e32 v[4:5], v3
.LBB193_171:
	s_mov_b64 s[2:3], 0
.LBB193_172:
	s_andn2_b64 vcc, exec, s[2:3]
	s_cbranch_vccnz .LBB193_182
; %bb.173:
	global_load_ubyte v3, v[0:1], off
	s_movk_i32 s2, 0x7f
	s_waitcnt vmcnt(0)
	v_cmp_lt_i16_e32 vcc, s2, v3
	s_mov_b64 s[2:3], 0
	s_and_saveexec_b64 s[6:7], vcc
	s_xor_b64 s[6:7], exec, s[6:7]
	s_cbranch_execz .LBB193_177
; %bb.174:
	s_movk_i32 s2, 0x80
	v_cmp_eq_u16_e32 vcc, s2, v3
	s_mov_b64 s[2:3], -1
	s_and_saveexec_b64 s[8:9], vcc
; %bb.175:
	s_xor_b64 s[2:3], exec, -1
; %bb.176:
	s_or_b64 exec, exec, s[8:9]
	s_and_b64 s[2:3], s[2:3], exec
.LBB193_177:
	s_or_saveexec_b64 s[6:7], s[6:7]
	v_bfrev_b32_e32 v4, 4
	v_mov_b32_e32 v5, 0x7ff80000
	s_xor_b64 exec, exec, s[6:7]
; %bb.178:
	v_cmp_ne_u16_e32 vcc, 0, v3
	s_andn2_b64 s[2:3], s[2:3], exec
	s_and_b64 s[8:9], vcc, exec
	v_mov_b64_e32 v[4:5], 0
	s_or_b64 s[2:3], s[2:3], s[8:9]
; %bb.179:
	s_or_b64 exec, exec, s[6:7]
	s_and_saveexec_b64 s[6:7], s[2:3]
	s_cbranch_execz .LBB193_181
; %bb.180:
	v_lshlrev_b32_e32 v4, 24, v3
	v_and_b32_e32 v3, 0xffff, v3
	v_and_b32_e32 v5, 7, v3
	v_ffbh_u32_e32 v7, v5
	v_min_u32_e32 v7, 32, v7
	v_subrev_u32_e32 v8, 28, v7
	v_bfe_u32 v6, v3, 3, 4
	v_lshlrev_b32_e32 v3, v8, v3
	v_sub_u32_e32 v7, 29, v7
	v_and_b32_e32 v3, 7, v3
	v_cmp_eq_u32_e32 vcc, 0, v6
	v_and_b32_e32 v4, 0x80000000, v4
	s_nop 0
	v_cndmask_b32_e32 v6, v6, v7, vcc
	v_cndmask_b32_e32 v3, v5, v3, vcc
	v_mov_b32_e32 v5, 0x3b800000
	v_lshlrev_b32_e32 v3, 20, v3
	v_lshl_add_u32 v5, v6, 23, v5
	v_or3_b32 v3, v4, v5, v3
	v_cvt_f64_f32_e32 v[4:5], v3
.LBB193_181:
	s_or_b64 exec, exec, s[6:7]
.LBB193_182:
	s_mov_b64 s[2:3], -1
.LBB193_183:
	s_branch .LBB193_216
.LBB193_184:
	s_cmp_gt_i32 s10, 22
	s_cbranch_scc0 .LBB193_196
; %bb.185:
	s_cmp_lt_i32 s10, 24
	s_cbranch_scc1 .LBB193_197
; %bb.186:
	s_cmp_gt_i32 s10, 24
	s_cbranch_scc0 .LBB193_198
; %bb.187:
	global_load_ubyte v3, v[0:1], off
	s_movk_i32 s2, 0x7f
	s_waitcnt vmcnt(0)
	v_cmp_lt_i16_e32 vcc, s2, v3
	s_mov_b64 s[2:3], 0
	s_and_saveexec_b64 s[6:7], vcc
	s_xor_b64 s[6:7], exec, s[6:7]
	s_cbranch_execz .LBB193_191
; %bb.188:
	s_movk_i32 s2, 0x80
	v_cmp_eq_u16_e32 vcc, s2, v3
	s_mov_b64 s[2:3], -1
	s_and_saveexec_b64 s[8:9], vcc
; %bb.189:
	s_xor_b64 s[2:3], exec, -1
; %bb.190:
	s_or_b64 exec, exec, s[8:9]
	s_and_b64 s[2:3], s[2:3], exec
.LBB193_191:
	s_or_saveexec_b64 s[6:7], s[6:7]
	v_bfrev_b32_e32 v4, 4
	v_mov_b32_e32 v5, 0x7ff80000
	s_xor_b64 exec, exec, s[6:7]
; %bb.192:
	v_cmp_ne_u16_e32 vcc, 0, v3
	s_andn2_b64 s[2:3], s[2:3], exec
	s_and_b64 s[8:9], vcc, exec
	v_mov_b64_e32 v[4:5], 0
	s_or_b64 s[2:3], s[2:3], s[8:9]
; %bb.193:
	s_or_b64 exec, exec, s[6:7]
	s_and_saveexec_b64 s[6:7], s[2:3]
	s_cbranch_execz .LBB193_195
; %bb.194:
	v_lshlrev_b32_e32 v4, 24, v3
	v_and_b32_e32 v3, 0xffff, v3
	v_and_b32_e32 v5, 3, v3
	v_ffbh_u32_e32 v7, v5
	v_min_u32_e32 v7, 32, v7
	v_subrev_u32_e32 v8, 29, v7
	v_bfe_u32 v6, v3, 2, 5
	v_lshlrev_b32_e32 v3, v8, v3
	v_sub_u32_e32 v7, 30, v7
	v_and_b32_e32 v3, 3, v3
	v_cmp_eq_u32_e32 vcc, 0, v6
	v_and_b32_e32 v4, 0x80000000, v4
	s_nop 0
	v_cndmask_b32_e32 v6, v6, v7, vcc
	v_cndmask_b32_e32 v3, v5, v3, vcc
	v_mov_b32_e32 v5, 0x37800000
	v_lshlrev_b32_e32 v3, 21, v3
	v_lshl_add_u32 v5, v6, 23, v5
	v_or3_b32 v3, v4, v5, v3
	v_cvt_f64_f32_e32 v[4:5], v3
.LBB193_195:
	s_or_b64 exec, exec, s[6:7]
	s_mov_b64 s[2:3], 0
	s_branch .LBB193_199
.LBB193_196:
	s_mov_b64 s[6:7], -1
                                        ; implicit-def: $vgpr4_vgpr5
	s_branch .LBB193_205
.LBB193_197:
	s_mov_b64 s[2:3], -1
                                        ; implicit-def: $vgpr4_vgpr5
	s_branch .LBB193_202
.LBB193_198:
	s_mov_b64 s[2:3], -1
                                        ; implicit-def: $vgpr4_vgpr5
.LBB193_199:
	s_and_b64 vcc, exec, s[2:3]
	s_cbranch_vccz .LBB193_201
; %bb.200:
	global_load_ubyte v3, v[0:1], off
	s_mov_b32 s2, 0x7f800000
	s_waitcnt vmcnt(0)
	v_lshlrev_b32_e32 v3, 24, v3
	v_and_b32_e32 v4, 0x7f000000, v3
	v_ffbh_u32_e32 v5, v4
	v_min_u32_e32 v5, 32, v5
	v_sub_u32_e64 v5, v5, 4 clamp
	v_lshlrev_b32_e32 v7, v5, v4
	v_lshlrev_b32_e32 v5, 23, v5
	v_lshrrev_b32_e32 v7, 4, v7
	v_add_u32_e32 v6, 0x1000000, v4
	v_sub_u32_e32 v5, v7, v5
	v_ashrrev_i32_e32 v6, 8, v6
	v_add_u32_e32 v5, 0x3c000000, v5
	v_and_or_b32 v5, v6, s2, v5
	v_cmp_ne_u32_e32 vcc, 0, v4
	s_brev_b32 s2, 1
	s_nop 0
	v_cndmask_b32_e32 v4, 0, v5, vcc
	v_and_or_b32 v3, v3, s2, v4
	v_cvt_f64_f32_e32 v[4:5], v3
.LBB193_201:
	s_mov_b64 s[2:3], 0
.LBB193_202:
	s_andn2_b64 vcc, exec, s[2:3]
	s_cbranch_vccnz .LBB193_204
; %bb.203:
	global_load_ubyte v3, v[0:1], off
	s_movk_i32 s2, 0x7f00
	s_brev_b32 s3, 16
	s_waitcnt vmcnt(0)
	v_lshlrev_b16_e32 v4, 8, v3
	v_lshlrev_b32_e32 v3, 25, v3
	v_lshrrev_b32_e32 v5, 4, v3
	v_and_or_b32 v6, v4, s2, 0.5
	v_or_b32_e32 v5, 0x70000000, v5
	v_add_f32_e32 v6, -0.5, v6
	v_mul_f32_e32 v5, 0x7800000, v5
	v_cmp_gt_u32_e32 vcc, s3, v3
	v_bfe_i32 v4, v4, 0, 16
	s_brev_b32 s2, 1
	v_cndmask_b32_e32 v3, v5, v6, vcc
	v_and_or_b32 v3, v4, s2, v3
	v_cvt_f64_f32_e32 v[4:5], v3
.LBB193_204:
	s_mov_b64 s[6:7], 0
	s_mov_b64 s[2:3], -1
.LBB193_205:
	s_andn2_b64 vcc, exec, s[6:7]
	s_cbranch_vccnz .LBB193_216
; %bb.206:
	s_cmp_gt_i32 s10, 14
	s_cbranch_scc0 .LBB193_209
; %bb.207:
	s_cmp_eq_u32 s10, 15
	s_cbranch_scc0 .LBB193_210
; %bb.208:
	global_load_ushort v3, v[0:1], off
	s_mov_b64 s[2:3], -1
	s_mov_b64 s[4:5], 0
	s_waitcnt vmcnt(0)
	v_lshlrev_b32_e32 v3, 16, v3
	v_cvt_f64_f32_e32 v[4:5], v3
	s_branch .LBB193_211
.LBB193_209:
	s_mov_b64 s[6:7], -1
                                        ; implicit-def: $vgpr4_vgpr5
	s_branch .LBB193_212
.LBB193_210:
	s_mov_b64 s[4:5], -1
                                        ; implicit-def: $vgpr4_vgpr5
.LBB193_211:
	s_mov_b64 s[6:7], 0
.LBB193_212:
	s_and_b64 vcc, exec, s[6:7]
	s_cbranch_vccz .LBB193_216
; %bb.213:
	s_cmp_eq_u32 s10, 11
	s_cbranch_scc0 .LBB193_215
; %bb.214:
	global_load_ubyte v3, v[0:1], off
	v_mov_b32_e32 v5, 0x3ff00000
	v_mov_b32_e32 v4, 0
	s_mov_b64 s[2:3], -1
	s_mov_b64 s[4:5], 0
	s_waitcnt vmcnt(0)
	v_cmp_ne_u16_e32 vcc, 0, v3
	s_nop 1
	v_cndmask_b32_e32 v5, 0, v5, vcc
	s_branch .LBB193_216
.LBB193_215:
	s_mov_b64 s[4:5], -1
                                        ; implicit-def: $vgpr4_vgpr5
.LBB193_216:
	s_branch .LBB193_25
.LBB193_217:
	s_cmp_lt_i32 s10, 5
	s_cbranch_scc1 .LBB193_222
; %bb.218:
	s_cmp_lt_i32 s10, 8
	s_cbranch_scc1 .LBB193_223
; %bb.219:
	;; [unrolled: 3-line block ×3, first 2 shown]
	s_cmp_gt_i32 s10, 9
	s_cbranch_scc0 .LBB193_225
; %bb.221:
	global_load_dwordx2 v[4:5], v[0:1], off
	s_mov_b64 s[2:3], 0
	s_branch .LBB193_226
.LBB193_222:
                                        ; implicit-def: $vgpr4_vgpr5
	s_branch .LBB193_244
.LBB193_223:
	s_mov_b64 s[2:3], -1
                                        ; implicit-def: $vgpr4_vgpr5
	s_branch .LBB193_232
.LBB193_224:
	s_mov_b64 s[2:3], -1
                                        ; implicit-def: $vgpr4_vgpr5
	s_branch .LBB193_229
.LBB193_225:
	s_mov_b64 s[2:3], -1
                                        ; implicit-def: $vgpr4_vgpr5
.LBB193_226:
	s_andn2_b64 vcc, exec, s[2:3]
	s_cbranch_vccnz .LBB193_228
; %bb.227:
	global_load_dword v3, v[0:1], off
	s_waitcnt vmcnt(0)
	v_cvt_f64_f32_e32 v[4:5], v3
.LBB193_228:
	s_mov_b64 s[2:3], 0
.LBB193_229:
	s_andn2_b64 vcc, exec, s[2:3]
	s_cbranch_vccnz .LBB193_231
; %bb.230:
	global_load_dword v3, v[0:1], off
	s_waitcnt vmcnt(0)
	v_cvt_f32_f16_e32 v3, v3
	v_cvt_f64_f32_e32 v[4:5], v3
.LBB193_231:
	s_mov_b64 s[2:3], 0
.LBB193_232:
	s_andn2_b64 vcc, exec, s[2:3]
	s_cbranch_vccnz .LBB193_243
; %bb.233:
	s_cmp_lt_i32 s10, 6
	s_cbranch_scc1 .LBB193_236
; %bb.234:
	s_cmp_gt_i32 s10, 6
	s_cbranch_scc0 .LBB193_237
; %bb.235:
	global_load_dwordx2 v[4:5], v[0:1], off
	s_mov_b64 s[2:3], 0
	s_branch .LBB193_238
.LBB193_236:
	s_mov_b64 s[2:3], -1
                                        ; implicit-def: $vgpr4_vgpr5
	s_branch .LBB193_241
.LBB193_237:
	s_mov_b64 s[2:3], -1
                                        ; implicit-def: $vgpr4_vgpr5
.LBB193_238:
	s_andn2_b64 vcc, exec, s[2:3]
	s_cbranch_vccnz .LBB193_240
; %bb.239:
	global_load_dword v3, v[0:1], off
	s_waitcnt vmcnt(0)
	v_cvt_f64_f32_e32 v[4:5], v3
.LBB193_240:
	s_mov_b64 s[2:3], 0
.LBB193_241:
	s_andn2_b64 vcc, exec, s[2:3]
	s_cbranch_vccnz .LBB193_243
; %bb.242:
	global_load_ushort v3, v[0:1], off
	s_waitcnt vmcnt(0)
	v_cvt_f32_f16_e32 v3, v3
	v_cvt_f64_f32_e32 v[4:5], v3
.LBB193_243:
	s_cbranch_execnz .LBB193_263
.LBB193_244:
	s_cmp_lt_i32 s10, 2
	s_cbranch_scc1 .LBB193_248
; %bb.245:
	s_cmp_lt_i32 s10, 3
	s_cbranch_scc1 .LBB193_249
; %bb.246:
	s_cmp_gt_i32 s10, 3
	s_cbranch_scc0 .LBB193_250
; %bb.247:
	global_load_dwordx2 v[4:5], v[0:1], off
	s_mov_b64 s[2:3], 0
	s_waitcnt vmcnt(0)
	v_cvt_f64_i32_e32 v[6:7], v5
	v_cvt_f64_u32_e32 v[4:5], v4
	v_ldexp_f64 v[6:7], v[6:7], 32
	v_add_f64 v[4:5], v[6:7], v[4:5]
	s_branch .LBB193_251
.LBB193_248:
	s_mov_b64 s[2:3], -1
                                        ; implicit-def: $vgpr4_vgpr5
	s_branch .LBB193_257
.LBB193_249:
	s_mov_b64 s[2:3], -1
                                        ; implicit-def: $vgpr4_vgpr5
	s_branch .LBB193_254
.LBB193_250:
	s_mov_b64 s[2:3], -1
                                        ; implicit-def: $vgpr4_vgpr5
.LBB193_251:
	s_andn2_b64 vcc, exec, s[2:3]
	s_cbranch_vccnz .LBB193_253
; %bb.252:
	global_load_dword v3, v[0:1], off
	s_waitcnt vmcnt(0)
	v_cvt_f64_i32_e32 v[4:5], v3
.LBB193_253:
	s_mov_b64 s[2:3], 0
.LBB193_254:
	s_andn2_b64 vcc, exec, s[2:3]
	s_cbranch_vccnz .LBB193_256
; %bb.255:
	global_load_sshort v3, v[0:1], off
	s_waitcnt vmcnt(0)
	v_cvt_f64_i32_e32 v[4:5], v3
.LBB193_256:
	s_mov_b64 s[2:3], 0
.LBB193_257:
	s_andn2_b64 vcc, exec, s[2:3]
	s_cbranch_vccnz .LBB193_263
; %bb.258:
	s_cmp_gt_i32 s10, 0
	s_cbranch_scc0 .LBB193_260
; %bb.259:
	global_load_sbyte v3, v[0:1], off
	s_mov_b64 s[2:3], 0
	s_waitcnt vmcnt(0)
	v_cvt_f64_i32_e32 v[4:5], v3
	s_branch .LBB193_261
.LBB193_260:
	s_mov_b64 s[2:3], -1
                                        ; implicit-def: $vgpr4_vgpr5
.LBB193_261:
	s_andn2_b64 vcc, exec, s[2:3]
	s_cbranch_vccnz .LBB193_263
; %bb.262:
	global_load_ubyte v0, v[0:1], off
	s_waitcnt vmcnt(0)
	v_cvt_f64_u32_e32 v[4:5], v0
.LBB193_263:
	s_branch .LBB193_26
.LBB193_264:
	s_mov_b64 s[2:3], 0
.LBB193_265:
	s_mov_b64 s[6:7], 0
                                        ; implicit-def: $vgpr10
.LBB193_266:
	s_and_b64 s[54:55], s[2:3], exec
	s_and_b64 s[56:57], s[4:5], exec
	s_orn2_b64 s[4:5], s[6:7], exec
.LBB193_267:
	s_or_b64 exec, exec, s[58:59]
	s_mov_b64 s[8:9], 0
	s_mov_b64 s[2:3], 0
                                        ; implicit-def: $vgpr0_vgpr1
                                        ; implicit-def: $vgpr2
                                        ; implicit-def: $vgpr6_vgpr7
	s_and_saveexec_b64 s[58:59], s[4:5]
	s_cbranch_execz .LBB193_275
; %bb.268:
	v_cmp_gt_i32_e32 vcc, s70, v10
	s_mov_b64 s[2:3], -1
	s_mov_b64 s[60:61], s[56:57]
	s_mov_b64 s[62:63], s[54:55]
	s_and_saveexec_b64 s[64:65], vcc
	s_cbranch_execz .LBB193_544
; %bb.269:
	s_andn2_b64 vcc, exec, s[42:43]
	s_cbranch_vccnz .LBB193_278
; %bb.270:
	s_andn2_b64 vcc, exec, s[52:53]
	s_cbranch_vccnz .LBB193_279
; %bb.271:
	s_add_i32 s63, s75, 1
	s_cmp_eq_u32 s72, 2
	s_cbranch_scc1 .LBB193_280
; %bb.272:
	s_and_b32 s62, s63, 28
	s_mov_b32 s66, 0
	v_mov_b32_e32 v2, 0
	v_mov_b32_e32 v0, 0
	s_mov_b64 s[2:3], s[34:35]
	s_mov_b64 s[60:61], s[50:51]
	s_waitcnt vmcnt(0)
	v_mov_b32_e32 v4, v10
.LBB193_273:                            ; =>This Inner Loop Header: Depth=1
	s_load_dwordx8 s[12:19], s[2:3], 0x4
	s_load_dwordx4 s[36:39], s[2:3], 0x24
	s_load_dwordx8 s[4:11], s[60:61], 0x0
	s_add_u32 s2, s2, 48
	s_addc_u32 s3, s3, 0
	s_waitcnt lgkmcnt(0)
	v_mul_hi_u32 v1, s13, v4
	v_add_u32_e32 v1, v4, v1
	v_lshrrev_b32_e32 v1, s14, v1
	v_mul_lo_u32 v3, v1, s12
	v_mul_hi_u32 v5, s16, v1
	v_sub_u32_e32 v3, v4, v3
	v_add_u32_e32 v4, v1, v5
	v_lshrrev_b32_e32 v4, s17, v4
	v_mul_lo_u32 v6, v4, s15
	v_mul_hi_u32 v7, s19, v4
	v_sub_u32_e32 v1, v1, v6
	v_add_u32_e32 v6, v4, v7
	v_mul_lo_u32 v5, v3, s5
	v_mul_lo_u32 v3, v3, s4
	;; [unrolled: 1-line block ×4, first 2 shown]
	v_lshrrev_b32_e32 v6, s36, v6
	v_add3_u32 v1, v3, v2, v1
	v_mul_hi_u32 v3, s38, v6
	v_mul_lo_u32 v2, v6, s18
	v_add_u32_e32 v3, v6, v3
	v_sub_u32_e32 v2, v4, v2
	v_lshrrev_b32_e32 v4, s39, v3
	s_add_i32 s66, s66, 4
	v_mul_lo_u32 v3, v4, s37
	s_add_u32 s60, s60, 32
	v_sub_u32_e32 v3, v6, v3
	s_addc_u32 s61, s61, 0
	v_add3_u32 v0, v5, v0, v7
	v_mul_lo_u32 v5, v2, s8
	v_mul_lo_u32 v2, v2, s9
	;; [unrolled: 1-line block ×4, first 2 shown]
	s_cmp_eq_u32 s62, s66
	v_add3_u32 v0, v2, v0, v3
	v_add3_u32 v2, v5, v1, v6
	s_cbranch_scc0 .LBB193_273
; %bb.274:
	v_mov_b32_e32 v1, v0
	s_branch .LBB193_281
.LBB193_275:
	s_or_b64 exec, exec, s[58:59]
	s_mov_b64 s[4:5], 0
	s_and_saveexec_b64 s[6:7], s[56:57]
	s_cbranch_execnz .LBB193_922
.LBB193_276:
	s_or_b64 exec, exec, s[6:7]
	s_and_saveexec_b64 s[6:7], s[62:63]
	s_xor_b64 s[6:7], exec, s[6:7]
	s_cbranch_execz .LBB193_923
.LBB193_277:
	global_load_ubyte v3, v[0:1], off
	s_waitcnt vmcnt(1)
	v_mov_b32_e32 v4, 0x3ff00000
	v_mov_b32_e32 v6, 0
	s_or_b64 s[2:3], s[2:3], exec
	s_waitcnt vmcnt(0)
	v_cmp_ne_u16_e32 vcc, 0, v3
	s_nop 1
	v_cndmask_b32_e32 v7, 0, v4, vcc
	s_or_b64 exec, exec, s[6:7]
	s_and_saveexec_b64 s[6:7], s[8:9]
	s_cbranch_execz .LBB193_969
	s_branch .LBB193_924
.LBB193_278:
                                        ; implicit-def: $vgpr0
                                        ; implicit-def: $vgpr2
	s_andn2_b64 vcc, exec, s[2:3]
	s_cbranch_vccz .LBB193_285
	s_branch .LBB193_287
.LBB193_279:
	v_mov_b32_e32 v0, 0
	v_mov_b32_e32 v2, 0
	s_branch .LBB193_284
.LBB193_280:
	v_mov_b32_e32 v2, 0
	s_mov_b32 s62, 0
	v_mov_b32_e32 v1, v2
                                        ; implicit-def: $vgpr0
	s_waitcnt vmcnt(0)
	v_mov_b32_e32 v4, v10
.LBB193_281:
	s_and_b32 s6, s63, 3
	s_cmp_eq_u32 s6, 0
	s_cbranch_scc1 .LBB193_284
; %bb.282:
	s_lshl_b32 s2, s62, 3
	s_add_u32 s2, s34, s2
	s_addc_u32 s3, s35, 0
	s_add_u32 s2, s2, 0xc4
	s_addc_u32 s3, s3, 0
	s_mul_i32 s4, s62, 12
	s_add_u32 s4, s34, s4
	s_addc_u32 s5, s35, 0
.LBB193_283:                            ; =>This Inner Loop Header: Depth=1
	s_load_dwordx2 s[8:9], s[4:5], 0x4
	s_load_dword s7, s[4:5], 0xc
	s_load_dwordx2 s[10:11], s[2:3], 0x0
	v_mov_b32_e32 v0, v1
	s_add_u32 s4, s4, 12
	s_waitcnt lgkmcnt(0)
	v_mul_hi_u32 v1, s9, v4
	v_add_u32_e32 v1, v4, v1
	v_lshrrev_b32_e32 v1, s7, v1
	s_addc_u32 s5, s5, 0
	v_mul_lo_u32 v3, v1, s8
	s_add_u32 s2, s2, 8
	v_sub_u32_e32 v3, v4, v3
	s_addc_u32 s3, s3, 0
	s_add_i32 s6, s6, -1
	v_mov_b32_e32 v4, v1
	v_mad_u64_u32 v[0:1], s[8:9], v3, s11, v[0:1]
	s_cmp_lg_u32 s6, 0
	v_mad_u64_u32 v[2:3], s[8:9], v3, s10, v[2:3]
	v_mov_b32_e32 v1, v0
	s_cbranch_scc1 .LBB193_283
.LBB193_284:
	s_cbranch_execnz .LBB193_287
.LBB193_285:
	s_waitcnt lgkmcnt(0)
	v_mul_hi_u32 v0, s29, v10
	v_add_u32_e32 v0, v10, v0
	v_lshrrev_b32_e32 v1, s30, v0
	v_mul_lo_u32 v0, v1, s28
	v_sub_u32_e32 v2, v10, v0
	v_mul_lo_u32 v0, v2, s25
	s_andn2_b64 vcc, exec, s[48:49]
	v_mul_lo_u32 v2, v2, s24
	s_cbranch_vccnz .LBB193_287
; %bb.286:
	v_mul_hi_u32 v3, s46, v1
	v_add_u32_e32 v3, v1, v3
	v_lshrrev_b32_e32 v3, s47, v3
	v_mul_lo_u32 v3, v3, s31
	v_sub_u32_e32 v1, v1, v3
	v_mad_u64_u32 v[2:3], s[2:3], v1, s26, v[2:3]
	v_mad_u64_u32 v[0:1], s[2:3], v1, s27, v[0:1]
.LBB193_287:
	v_mov_b32_e32 v1, 0
	s_and_b32 s10, 0xffff, s74
	s_cmp_lt_i32 s10, 11
	s_waitcnt lgkmcnt(0)
	v_lshl_add_u64 v[0:1], s[22:23], 0, v[0:1]
	s_cbranch_scc1 .LBB193_294
; %bb.288:
	s_cmp_gt_i32 s10, 25
	s_cbranch_scc0 .LBB193_303
; %bb.289:
	s_cmp_gt_i32 s10, 28
	s_cbranch_scc0 .LBB193_305
	;; [unrolled: 3-line block ×4, first 2 shown]
; %bb.292:
	s_cmp_eq_u32 s10, 46
	s_mov_b64 s[6:7], 0
	s_cbranch_scc0 .LBB193_315
; %bb.293:
	global_load_dword v3, v[0:1], off
	s_mov_b64 s[2:3], -1
	s_mov_b64 s[4:5], 0
	s_waitcnt vmcnt(0)
	v_lshlrev_b32_e32 v3, 16, v3
	v_cvt_f64_f32_e32 v[4:5], v3
	s_branch .LBB193_316
.LBB193_294:
	s_mov_b64 s[2:3], 0
                                        ; implicit-def: $vgpr4_vgpr5
	s_mov_b64 s[4:5], s[56:57]
	s_cbranch_execnz .LBB193_493
.LBB193_295:
	s_andn2_b64 vcc, exec, s[2:3]
	s_cbranch_vccnz .LBB193_541
.LBB193_296:
	s_waitcnt vmcnt(0)
	v_rsq_f64_e32 v[0:1], v[4:5]
	s_mov_b32 s2, 0
	s_mov_b32 s3, 0x3fd80000
	v_mov_b32_e32 v3, 0x180
	v_mul_f64 v[4:5], v[0:1], -v[4:5]
	v_fma_f64 v[4:5], v[4:5], v[0:1], 1.0
	v_mul_f64 v[6:7], v[0:1], v[4:5]
	v_fma_f64 v[4:5], v[4:5], s[2:3], 0.5
	v_fma_f64 v[4:5], v[6:7], v[4:5], v[0:1]
	v_cmp_class_f64_e32 vcc, v[0:1], v3
	v_mov_b32_e32 v3, 0
	s_and_b32 s12, s73, 0xff
	v_cndmask_b32_e32 v1, v1, v5, vcc
	v_cndmask_b32_e32 v0, v0, v4, vcc
	s_cmp_lt_i32 s12, 11
	v_lshl_add_u64 v[4:5], s[20:21], 0, v[2:3]
	s_cbranch_scc1 .LBB193_304
; %bb.297:
	s_and_b32 s13, 0xffff, s12
	s_cmp_gt_i32 s13, 25
	s_cbranch_scc0 .LBB193_306
; %bb.298:
	s_cmp_gt_i32 s13, 28
	s_cbranch_scc0 .LBB193_308
; %bb.299:
	;; [unrolled: 3-line block ×4, first 2 shown]
	s_mov_b64 s[8:9], 0
	s_mov_b64 s[2:3], -1
	s_cmp_eq_u32 s13, 46
	s_mov_b64 s[6:7], 0
	s_cbranch_scc0 .LBB193_320
; %bb.302:
	v_cvt_f32_f64_e32 v2, v[0:1]
	v_bfe_u32 v3, v2, 16, 1
	s_movk_i32 s2, 0x7fff
	v_add3_u32 v3, v2, v3, s2
	v_cmp_o_f32_e32 vcc, v2, v2
	v_mov_b32_e32 v2, 0x7fc0
	s_mov_b64 s[6:7], -1
	v_cndmask_b32_sdwa v2, v2, v3, vcc dst_sel:DWORD dst_unused:UNUSED_PAD src0_sel:DWORD src1_sel:WORD_1
	global_store_dword v[4:5], v2, off
	s_mov_b64 s[2:3], 0
	s_branch .LBB193_320
.LBB193_303:
	s_mov_b64 s[6:7], -1
	s_mov_b64 s[2:3], 0
	s_mov_b64 s[4:5], s[56:57]
                                        ; implicit-def: $vgpr4_vgpr5
	s_branch .LBB193_459
.LBB193_304:
	s_mov_b64 s[8:9], -1
	s_mov_b64 s[6:7], 0
	s_mov_b64 s[2:3], s[54:55]
	s_branch .LBB193_389
.LBB193_305:
	s_mov_b64 s[6:7], -1
	s_mov_b64 s[2:3], 0
	s_mov_b64 s[4:5], s[56:57]
                                        ; implicit-def: $vgpr4_vgpr5
	s_branch .LBB193_438
.LBB193_306:
	s_mov_b64 s[8:9], -1
	s_mov_b64 s[6:7], 0
	s_mov_b64 s[2:3], s[54:55]
	s_branch .LBB193_347
.LBB193_307:
	s_mov_b64 s[6:7], -1
	s_mov_b64 s[2:3], 0
	s_mov_b64 s[4:5], s[56:57]
                                        ; implicit-def: $vgpr4_vgpr5
	s_branch .LBB193_433
.LBB193_308:
	s_mov_b64 s[8:9], -1
	s_mov_b64 s[6:7], 0
	s_mov_b64 s[2:3], s[54:55]
	s_branch .LBB193_330
.LBB193_309:
	s_andn2_saveexec_b64 s[10:11], s[10:11]
	s_cbranch_execz .LBB193_69
.LBB193_310:
	s_mov_b32 s14, 0x46000000
	v_add_f32_e64 v3, |v2|, s14
	v_and_b32_e32 v3, 0xff, v3
	v_cmp_ne_u32_e32 vcc, 0, v3
	s_andn2_b64 s[8:9], s[8:9], exec
	s_and_b64 s[14:15], vcc, exec
	s_or_b64 s[8:9], s[8:9], s[14:15]
	s_or_b64 exec, exec, s[10:11]
	v_mov_b32_e32 v6, 0
	s_and_saveexec_b64 s[10:11], s[8:9]
	s_cbranch_execnz .LBB193_70
	s_branch .LBB193_71
.LBB193_311:
	s_mov_b64 s[6:7], -1
	s_mov_b64 s[2:3], 0
	s_mov_b64 s[4:5], s[56:57]
                                        ; implicit-def: $vgpr4_vgpr5
	s_branch .LBB193_316
.LBB193_312:
	s_mov_b64 s[8:9], -1
	s_mov_b64 s[6:7], 0
	s_mov_b64 s[2:3], s[54:55]
	s_branch .LBB193_326
.LBB193_313:
	s_andn2_saveexec_b64 s[10:11], s[10:11]
	s_cbranch_execz .LBB193_82
.LBB193_314:
	s_mov_b32 s14, 0x42800000
	v_add_f32_e64 v3, |v2|, s14
	v_and_b32_e32 v3, 0xff, v3
	v_cmp_ne_u32_e32 vcc, 0, v3
	s_andn2_b64 s[8:9], s[8:9], exec
	s_and_b64 s[14:15], vcc, exec
	s_or_b64 s[8:9], s[8:9], s[14:15]
	s_or_b64 exec, exec, s[10:11]
	v_mov_b32_e32 v6, 0
	s_and_saveexec_b64 s[10:11], s[8:9]
	s_cbranch_execnz .LBB193_83
	s_branch .LBB193_84
.LBB193_315:
	s_mov_b64 s[4:5], -1
                                        ; implicit-def: $vgpr4_vgpr5
	s_mov_b64 s[2:3], 0
.LBB193_316:
	s_and_b64 vcc, exec, s[6:7]
	s_cbranch_vccz .LBB193_432
; %bb.317:
	s_cmp_eq_u32 s10, 44
	s_cbranch_scc0 .LBB193_431
; %bb.318:
	global_load_ubyte v3, v[0:1], off
	s_movk_i32 s4, 0xff
	v_bfrev_b32_e32 v6, 4
	v_mov_b32_e32 v7, 0x7ff80000
	v_bfrev_b32_e32 v8, 28
	s_mov_b64 s[2:3], -1
	s_waitcnt vmcnt(0)
	v_lshlrev_b32_e32 v4, 23, v3
	v_cvt_f64_f32_e32 v[4:5], v4
	v_cmp_ne_u32_e32 vcc, s4, v3
	s_mov_b64 s[4:5], 0
	s_nop 0
	v_cndmask_b32_e32 v4, v6, v4, vcc
	v_cndmask_b32_e32 v5, v7, v5, vcc
	v_cmp_ne_u32_e32 vcc, 0, v3
	s_nop 1
	v_cndmask_b32_e32 v5, v8, v5, vcc
	v_cndmask_b32_e32 v4, 0, v4, vcc
	s_branch .LBB193_432
.LBB193_319:
	s_mov_b64 s[8:9], -1
	s_mov_b64 s[6:7], 0
	s_mov_b64 s[2:3], s[54:55]
.LBB193_320:
	s_and_b64 vcc, exec, s[8:9]
	s_cbranch_vccz .LBB193_325
; %bb.321:
	s_cmp_eq_u32 s13, 44
	s_mov_b64 s[2:3], -1
	s_cbranch_scc0 .LBB193_325
; %bb.322:
	v_cvt_f32_f64_e32 v2, v[0:1]
	v_bfe_u32 v3, v2, 23, 8
	s_movk_i32 s2, 0xff
	v_cmp_ne_u32_e32 vcc, s2, v3
	v_mov_b32_e32 v6, 0xff
	s_and_saveexec_b64 s[6:7], vcc
; %bb.323:
	s_mov_b32 s2, 0x3fffff
	v_lshrrev_b32_e32 v6, 23, v2
	v_and_b32_e32 v7, 0x400000, v2
	v_and_or_b32 v2, v2, s2, v3
	v_cmp_ne_u32_e32 vcc, 0, v7
	v_cmp_ne_u32_e64 s[2:3], 0, v2
	s_and_b64 s[2:3], vcc, s[2:3]
	s_nop 0
	v_cndmask_b32_e64 v2, 0, 1, s[2:3]
	v_add_u32_e32 v6, v6, v2
; %bb.324:
	s_or_b64 exec, exec, s[6:7]
	s_mov_b64 s[6:7], -1
	s_mov_b64 s[2:3], 0
	global_store_byte v[4:5], v6, off
.LBB193_325:
	s_mov_b64 s[8:9], 0
.LBB193_326:
	s_and_b64 vcc, exec, s[8:9]
	s_cbranch_vccz .LBB193_329
; %bb.327:
	s_cmp_eq_u32 s13, 29
	s_mov_b64 s[2:3], -1
	s_cbranch_scc0 .LBB193_329
; %bb.328:
	v_trunc_f64_e32 v[2:3], v[0:1]
	s_movk_i32 s2, 0xffe0
	v_ldexp_f64 v[6:7], v[2:3], s2
	v_floor_f64_e32 v[6:7], v[6:7]
	v_fmac_f64_e32 v[2:3], 0xc1f00000, v[6:7]
	v_cvt_u32_f64_e32 v9, v[6:7]
	v_cvt_u32_f64_e32 v8, v[2:3]
	global_store_dwordx2 v[4:5], v[8:9], off
	s_mov_b64 s[6:7], -1
	s_mov_b64 s[2:3], 0
.LBB193_329:
	s_mov_b64 s[8:9], 0
.LBB193_330:
	s_and_b64 vcc, exec, s[8:9]
	s_cbranch_vccz .LBB193_346
; %bb.331:
	s_cmp_lt_i32 s13, 27
	s_mov_b64 s[6:7], -1
	s_cbranch_scc1 .LBB193_337
; %bb.332:
	s_cmp_gt_i32 s13, 27
	v_cvt_u32_f64_e32 v2, v[0:1]
	s_cbranch_scc0 .LBB193_334
; %bb.333:
	s_mov_b64 s[6:7], 0
	global_store_dword v[4:5], v2, off
.LBB193_334:
	s_andn2_b64 vcc, exec, s[6:7]
	s_cbranch_vccnz .LBB193_336
; %bb.335:
	global_store_short v[4:5], v2, off
.LBB193_336:
	s_mov_b64 s[6:7], 0
.LBB193_337:
	s_andn2_b64 vcc, exec, s[6:7]
	s_cbranch_vccnz .LBB193_345
; %bb.338:
	v_cvt_f32_f64_e32 v2, v[0:1]
	v_and_b32_e32 v3, 0x7fffffff, v2
	s_mov_b32 s6, 0x43800000
	v_cmp_gt_u32_e32 vcc, s6, v3
	v_mov_b32_e32 v6, 0x80
	s_and_saveexec_b64 s[6:7], vcc
	s_cbranch_execz .LBB193_344
; %bb.339:
	s_mov_b32 s8, 0x3bffffff
	v_cmp_lt_u32_e32 vcc, s8, v3
	s_mov_b64 s[8:9], 0
                                        ; implicit-def: $vgpr3
	s_and_saveexec_b64 s[10:11], vcc
	s_xor_b64 s[10:11], exec, s[10:11]
	s_cbranch_execz .LBB193_573
; %bb.340:
	v_bfe_u32 v3, v2, 20, 1
	s_mov_b32 s14, 0x487ffff
	v_add3_u32 v3, v2, v3, s14
	s_mov_b64 s[8:9], exec
	v_lshrrev_b32_e32 v3, 20, v3
	s_andn2_saveexec_b64 s[10:11], s[10:11]
	s_cbranch_execnz .LBB193_574
.LBB193_341:
	s_or_b64 exec, exec, s[10:11]
	v_mov_b32_e32 v6, 0
	s_and_saveexec_b64 s[10:11], s[8:9]
.LBB193_342:
	v_lshrrev_b32_e32 v2, 24, v2
	s_movk_i32 s8, 0x80
	v_and_or_b32 v6, v2, s8, v3
.LBB193_343:
	s_or_b64 exec, exec, s[10:11]
.LBB193_344:
	s_or_b64 exec, exec, s[6:7]
	global_store_byte v[4:5], v6, off
.LBB193_345:
	s_mov_b64 s[6:7], -1
.LBB193_346:
	s_mov_b64 s[8:9], 0
.LBB193_347:
	s_and_b64 vcc, exec, s[8:9]
	s_cbranch_vccz .LBB193_388
; %bb.348:
	s_cmp_gt_i32 s13, 22
	s_mov_b64 s[8:9], -1
	s_cbranch_scc0 .LBB193_380
; %bb.349:
	s_cmp_lt_i32 s13, 24
	s_mov_b64 s[6:7], -1
	s_cbranch_scc1 .LBB193_369
; %bb.350:
	s_cmp_gt_i32 s13, 24
	s_cbranch_scc0 .LBB193_358
; %bb.351:
	v_cvt_f32_f64_e32 v2, v[0:1]
	v_and_b32_e32 v3, 0x7fffffff, v2
	s_mov_b32 s6, 0x47800000
	v_cmp_gt_u32_e32 vcc, s6, v3
	v_mov_b32_e32 v6, 0x80
	s_and_saveexec_b64 s[6:7], vcc
	s_cbranch_execz .LBB193_357
; %bb.352:
	s_mov_b32 s8, 0x37ffffff
	v_cmp_lt_u32_e32 vcc, s8, v3
	s_mov_b64 s[8:9], 0
                                        ; implicit-def: $vgpr3
	s_and_saveexec_b64 s[10:11], vcc
	s_xor_b64 s[10:11], exec, s[10:11]
	s_cbranch_execz .LBB193_576
; %bb.353:
	v_bfe_u32 v3, v2, 21, 1
	s_mov_b32 s14, 0x88fffff
	v_add3_u32 v3, v2, v3, s14
	s_mov_b64 s[8:9], exec
	v_lshrrev_b32_e32 v3, 21, v3
	s_andn2_saveexec_b64 s[10:11], s[10:11]
	s_cbranch_execnz .LBB193_577
.LBB193_354:
	s_or_b64 exec, exec, s[10:11]
	v_mov_b32_e32 v6, 0
	s_and_saveexec_b64 s[10:11], s[8:9]
.LBB193_355:
	v_lshrrev_b32_e32 v2, 24, v2
	s_movk_i32 s8, 0x80
	v_and_or_b32 v6, v2, s8, v3
.LBB193_356:
	s_or_b64 exec, exec, s[10:11]
.LBB193_357:
	s_or_b64 exec, exec, s[6:7]
	s_mov_b64 s[6:7], 0
	global_store_byte v[4:5], v6, off
.LBB193_358:
	s_and_b64 vcc, exec, s[6:7]
	s_cbranch_vccz .LBB193_368
; %bb.359:
	v_cvt_f32_f64_e32 v2, v[0:1]
	v_and_b32_e32 v6, 0x7fffffff, v2
	s_mov_b32 s6, 0x43f00000
	v_cmp_gt_u32_e32 vcc, s6, v6
                                        ; implicit-def: $vgpr3
	s_and_saveexec_b64 s[6:7], vcc
	s_xor_b64 s[6:7], exec, s[6:7]
	s_cbranch_execz .LBB193_365
; %bb.360:
	s_mov_b32 s8, 0x3c7fffff
	v_cmp_lt_u32_e32 vcc, s8, v6
                                        ; implicit-def: $vgpr3
	s_and_saveexec_b64 s[8:9], vcc
	s_xor_b64 s[8:9], exec, s[8:9]
; %bb.361:
	v_bfe_u32 v3, v2, 20, 1
	s_mov_b32 s10, 0x407ffff
	v_add3_u32 v3, v2, v3, s10
	v_lshrrev_b32_e32 v6, 20, v3
	v_and_b32_e32 v3, 0xff00000, v3
	s_mov_b32 s10, 0x7f00000
	v_mov_b32_e32 v7, 0x7e
	v_cmp_ne_u32_e32 vcc, s10, v3
	s_nop 1
	v_cndmask_b32_e32 v3, v7, v6, vcc
; %bb.362:
	s_andn2_saveexec_b64 s[8:9], s[8:9]
; %bb.363:
	s_mov_b32 s10, 0x46800000
	v_add_f32_e64 v3, |v2|, s10
; %bb.364:
	s_or_b64 exec, exec, s[8:9]
                                        ; implicit-def: $vgpr6
.LBB193_365:
	s_andn2_saveexec_b64 s[6:7], s[6:7]
; %bb.366:
	s_mov_b32 s8, 0x7f800000
	v_mov_b32_e32 v3, 0x7e
	v_mov_b32_e32 v7, 0x7f
	v_cmp_lt_u32_e32 vcc, s8, v6
	s_nop 1
	v_cndmask_b32_e32 v3, v3, v7, vcc
; %bb.367:
	s_or_b64 exec, exec, s[6:7]
	v_lshrrev_b32_e32 v2, 24, v2
	s_movk_i32 s6, 0x80
	v_and_or_b32 v2, v2, s6, v3
	global_store_byte v[4:5], v2, off
.LBB193_368:
	s_mov_b64 s[6:7], 0
.LBB193_369:
	s_andn2_b64 vcc, exec, s[6:7]
	s_cbranch_vccnz .LBB193_379
; %bb.370:
	v_cvt_f32_f64_e32 v2, v[0:1]
	v_and_b32_e32 v6, 0x7fffffff, v2
	s_mov_b32 s6, 0x47800000
	v_cmp_gt_u32_e32 vcc, s6, v6
                                        ; implicit-def: $vgpr3
	s_and_saveexec_b64 s[6:7], vcc
	s_xor_b64 s[6:7], exec, s[6:7]
	s_cbranch_execz .LBB193_376
; %bb.371:
	s_mov_b32 s8, 0x387fffff
	v_cmp_lt_u32_e32 vcc, s8, v6
                                        ; implicit-def: $vgpr3
	s_and_saveexec_b64 s[8:9], vcc
	s_xor_b64 s[8:9], exec, s[8:9]
; %bb.372:
	v_bfe_u32 v3, v2, 21, 1
	s_mov_b32 s10, 0x80fffff
	v_add3_u32 v3, v2, v3, s10
	v_lshrrev_b32_e32 v3, 21, v3
; %bb.373:
	s_andn2_saveexec_b64 s[8:9], s[8:9]
; %bb.374:
	s_mov_b32 s10, 0x43000000
	v_add_f32_e64 v3, |v2|, s10
; %bb.375:
	s_or_b64 exec, exec, s[8:9]
                                        ; implicit-def: $vgpr6
.LBB193_376:
	s_andn2_saveexec_b64 s[6:7], s[6:7]
; %bb.377:
	s_mov_b32 s8, 0x7f800000
	v_mov_b32_e32 v3, 0x7c
	v_mov_b32_e32 v7, 0x7f
	v_cmp_lt_u32_e32 vcc, s8, v6
	s_nop 1
	v_cndmask_b32_e32 v3, v3, v7, vcc
; %bb.378:
	s_or_b64 exec, exec, s[6:7]
	v_lshrrev_b32_e32 v2, 24, v2
	s_movk_i32 s6, 0x80
	v_and_or_b32 v2, v2, s6, v3
	global_store_byte v[4:5], v2, off
.LBB193_379:
	s_mov_b64 s[8:9], 0
	s_mov_b64 s[6:7], -1
.LBB193_380:
	s_andn2_b64 vcc, exec, s[8:9]
	s_cbranch_vccnz .LBB193_388
; %bb.381:
	s_cmp_gt_i32 s13, 14
	s_mov_b64 s[8:9], -1
	s_cbranch_scc0 .LBB193_385
; %bb.382:
	s_cmp_eq_u32 s13, 15
	s_mov_b64 s[2:3], -1
	s_cbranch_scc0 .LBB193_384
; %bb.383:
	v_cvt_f32_f64_e32 v2, v[0:1]
	v_bfe_u32 v3, v2, 16, 1
	s_movk_i32 s2, 0x7fff
	v_add3_u32 v3, v2, v3, s2
	v_cmp_o_f32_e32 vcc, v2, v2
	v_mov_b32_e32 v2, 0x7fc0
	s_mov_b64 s[6:7], -1
	v_cndmask_b32_sdwa v2, v2, v3, vcc dst_sel:DWORD dst_unused:UNUSED_PAD src0_sel:DWORD src1_sel:WORD_1
	global_store_short v[4:5], v2, off
	s_mov_b64 s[2:3], 0
.LBB193_384:
	s_mov_b64 s[8:9], 0
.LBB193_385:
	s_and_b64 vcc, exec, s[8:9]
	s_cbranch_vccz .LBB193_388
; %bb.386:
	s_cmp_eq_u32 s13, 11
	s_mov_b64 s[2:3], -1
	s_cbranch_scc0 .LBB193_388
; %bb.387:
	v_cmp_neq_f64_e32 vcc, 0, v[0:1]
	s_mov_b64 s[2:3], 0
	s_mov_b64 s[6:7], -1
	v_cndmask_b32_e64 v2, 0, 1, vcc
	global_store_byte v[4:5], v2, off
.LBB193_388:
	s_mov_b64 s[8:9], 0
.LBB193_389:
	s_and_b64 vcc, exec, s[8:9]
	s_cbranch_vccz .LBB193_428
; %bb.390:
	s_and_b32 s8, 0xffff, s12
	s_cmp_lt_i32 s8, 5
	s_mov_b64 s[6:7], -1
	s_cbranch_scc1 .LBB193_411
; %bb.391:
	s_cmp_lt_i32 s8, 8
	s_cbranch_scc1 .LBB193_401
; %bb.392:
	s_cmp_lt_i32 s8, 9
	s_cbranch_scc1 .LBB193_398
; %bb.393:
	s_cmp_gt_i32 s8, 9
	s_cbranch_scc0 .LBB193_395
; %bb.394:
	v_mov_b32_e32 v2, 0
	v_mov_b32_e32 v3, v2
	s_mov_b64 s[6:7], 0
	global_store_dwordx4 v[4:5], v[0:3], off
.LBB193_395:
	s_andn2_b64 vcc, exec, s[6:7]
	s_cbranch_vccnz .LBB193_397
; %bb.396:
	v_cvt_f32_f64_e32 v2, v[0:1]
	v_mov_b32_e32 v3, 0
	global_store_dwordx2 v[4:5], v[2:3], off
.LBB193_397:
	s_mov_b64 s[6:7], 0
.LBB193_398:
	s_andn2_b64 vcc, exec, s[6:7]
	s_cbranch_vccnz .LBB193_400
; %bb.399:
	s_movk_i32 s6, 0x1ff
	v_and_or_b32 v2, v1, s6, v0
	v_cmp_ne_u32_e32 vcc, 0, v2
	v_lshrrev_b32_e32 v3, 8, v1
	s_movk_i32 s6, 0xffe
	v_cndmask_b32_e64 v2, 0, 1, vcc
	v_bfe_u32 v6, v1, 20, 11
	v_and_or_b32 v2, v3, s6, v2
	v_sub_u32_e32 v7, 0x3f1, v6
	v_or_b32_e32 v3, 0x1000, v2
	v_med3_i32 v7, v7, 0, 13
	v_lshrrev_b32_e32 v8, v7, v3
	v_lshlrev_b32_e32 v7, v7, v8
	v_cmp_ne_u32_e32 vcc, v7, v3
	v_add_u32_e32 v6, 0xfffffc10, v6
	v_lshl_or_b32 v7, v6, 12, v2
	v_cndmask_b32_e64 v3, 0, 1, vcc
	v_or_b32_e32 v3, v8, v3
	v_cmp_gt_i32_e32 vcc, 1, v6
	s_movk_i32 s6, 0x40f
	s_nop 0
	v_cndmask_b32_e32 v3, v7, v3, vcc
	v_and_b32_e32 v7, 7, v3
	v_cmp_lt_i32_e32 vcc, 5, v7
	v_lshrrev_b32_e32 v3, 2, v3
	s_nop 0
	v_cndmask_b32_e64 v8, 0, 1, vcc
	v_cmp_eq_u32_e32 vcc, 3, v7
	s_nop 1
	v_cndmask_b32_e64 v7, 0, 1, vcc
	v_or_b32_e32 v7, v7, v8
	v_add_u32_e32 v3, v3, v7
	v_mov_b32_e32 v7, 0x7c00
	v_cmp_gt_i32_e32 vcc, 31, v6
	v_mov_b32_e32 v8, 0x7e00
	s_nop 0
	v_cndmask_b32_e32 v3, v7, v3, vcc
	v_cmp_ne_u32_e32 vcc, 0, v2
	s_nop 1
	v_cndmask_b32_e32 v2, v7, v8, vcc
	v_cmp_eq_u32_e32 vcc, s6, v6
	s_mov_b32 s6, 0x8000
	s_nop 0
	v_cndmask_b32_e32 v2, v3, v2, vcc
	v_and_b32_sdwa v3, v1, s6 dst_sel:DWORD dst_unused:UNUSED_PAD src0_sel:WORD_1 src1_sel:DWORD
	s_mov_b32 s6, 0xffff
	v_bitop3_b32 v2, v3, s6, v2 bitop3:0xc8
	global_store_dword v[4:5], v2, off
.LBB193_400:
	s_mov_b64 s[6:7], 0
.LBB193_401:
	s_andn2_b64 vcc, exec, s[6:7]
	s_cbranch_vccnz .LBB193_410
; %bb.402:
	s_cmp_lt_i32 s8, 6
	s_mov_b64 s[6:7], -1
	s_cbranch_scc1 .LBB193_408
; %bb.403:
	s_cmp_gt_i32 s8, 6
	s_cbranch_scc0 .LBB193_405
; %bb.404:
	s_mov_b64 s[6:7], 0
	global_store_dwordx2 v[4:5], v[0:1], off
.LBB193_405:
	s_andn2_b64 vcc, exec, s[6:7]
	s_cbranch_vccnz .LBB193_407
; %bb.406:
	v_cvt_f32_f64_e32 v2, v[0:1]
	global_store_dword v[4:5], v2, off
.LBB193_407:
	s_mov_b64 s[6:7], 0
.LBB193_408:
	s_andn2_b64 vcc, exec, s[6:7]
	s_cbranch_vccnz .LBB193_410
; %bb.409:
	s_movk_i32 s6, 0x1ff
	v_and_or_b32 v2, v1, s6, v0
	v_cmp_ne_u32_e32 vcc, 0, v2
	v_lshrrev_b32_e32 v3, 8, v1
	s_movk_i32 s6, 0xffe
	v_cndmask_b32_e64 v2, 0, 1, vcc
	v_bfe_u32 v6, v1, 20, 11
	v_and_or_b32 v2, v3, s6, v2
	v_sub_u32_e32 v7, 0x3f1, v6
	v_or_b32_e32 v3, 0x1000, v2
	v_med3_i32 v7, v7, 0, 13
	v_lshrrev_b32_e32 v8, v7, v3
	v_lshlrev_b32_e32 v7, v7, v8
	v_cmp_ne_u32_e32 vcc, v7, v3
	v_add_u32_e32 v6, 0xfffffc10, v6
	v_lshl_or_b32 v7, v6, 12, v2
	v_cndmask_b32_e64 v3, 0, 1, vcc
	v_or_b32_e32 v3, v8, v3
	v_cmp_gt_i32_e32 vcc, 1, v6
	s_movk_i32 s6, 0x40f
	s_nop 0
	v_cndmask_b32_e32 v3, v7, v3, vcc
	v_and_b32_e32 v7, 7, v3
	v_cmp_lt_i32_e32 vcc, 5, v7
	v_lshrrev_b32_e32 v3, 2, v3
	s_nop 0
	v_cndmask_b32_e64 v8, 0, 1, vcc
	v_cmp_eq_u32_e32 vcc, 3, v7
	s_nop 1
	v_cndmask_b32_e64 v7, 0, 1, vcc
	v_or_b32_e32 v7, v7, v8
	v_add_u32_e32 v3, v3, v7
	v_mov_b32_e32 v7, 0x7c00
	v_cmp_gt_i32_e32 vcc, 31, v6
	v_mov_b32_e32 v8, 0x7e00
	s_nop 0
	v_cndmask_b32_e32 v3, v7, v3, vcc
	v_cmp_ne_u32_e32 vcc, 0, v2
	s_nop 1
	v_cndmask_b32_e32 v2, v7, v8, vcc
	v_cmp_eq_u32_e32 vcc, s6, v6
	s_mov_b32 s6, 0x8000
	s_nop 0
	v_cndmask_b32_e32 v2, v3, v2, vcc
	v_lshrrev_b32_e32 v3, 16, v1
	v_and_or_b32 v2, v3, s6, v2
	global_store_short v[4:5], v2, off
.LBB193_410:
	s_mov_b64 s[6:7], 0
.LBB193_411:
	s_andn2_b64 vcc, exec, s[6:7]
	s_cbranch_vccnz .LBB193_427
; %bb.412:
	s_cmp_lt_i32 s8, 2
	s_mov_b64 s[6:7], -1
	s_cbranch_scc1 .LBB193_422
; %bb.413:
	s_cmp_lt_i32 s8, 3
	s_cbranch_scc1 .LBB193_419
; %bb.414:
	s_cmp_gt_i32 s8, 3
	s_cbranch_scc0 .LBB193_416
; %bb.415:
	v_trunc_f64_e32 v[2:3], v[0:1]
	s_movk_i32 s6, 0xffe0
	v_ldexp_f64 v[6:7], v[2:3], s6
	v_floor_f64_e32 v[6:7], v[6:7]
	v_fmac_f64_e32 v[2:3], 0xc1f00000, v[6:7]
	v_cvt_i32_f64_e32 v9, v[6:7]
	v_cvt_u32_f64_e32 v8, v[2:3]
	s_mov_b64 s[6:7], 0
	global_store_dwordx2 v[4:5], v[8:9], off
.LBB193_416:
	s_andn2_b64 vcc, exec, s[6:7]
	s_cbranch_vccnz .LBB193_418
; %bb.417:
	v_cvt_i32_f64_e32 v2, v[0:1]
	global_store_dword v[4:5], v2, off
.LBB193_418:
	s_mov_b64 s[6:7], 0
.LBB193_419:
	s_andn2_b64 vcc, exec, s[6:7]
	s_cbranch_vccnz .LBB193_421
; %bb.420:
	v_cvt_i32_f64_e32 v2, v[0:1]
	global_store_short v[4:5], v2, off
.LBB193_421:
	s_mov_b64 s[6:7], 0
.LBB193_422:
	s_andn2_b64 vcc, exec, s[6:7]
	s_cbranch_vccnz .LBB193_427
; %bb.423:
	s_cmp_gt_i32 s8, 0
	s_mov_b64 s[6:7], -1
	s_cbranch_scc0 .LBB193_425
; %bb.424:
	v_cvt_i32_f64_e32 v2, v[0:1]
	s_mov_b64 s[6:7], 0
	global_store_byte v[4:5], v2, off
.LBB193_425:
	s_andn2_b64 vcc, exec, s[6:7]
	s_cbranch_vccnz .LBB193_427
; %bb.426:
	v_trunc_f64_e32 v[0:1], v[0:1]
	s_movk_i32 s6, 0xffe0
	v_ldexp_f64 v[2:3], v[0:1], s6
	v_floor_f64_e32 v[2:3], v[2:3]
	v_fmac_f64_e32 v[0:1], 0xc1f00000, v[2:3]
	v_cvt_u32_f64_e32 v0, v[0:1]
	global_store_byte v[4:5], v0, off
.LBB193_427:
	s_mov_b64 s[6:7], -1
.LBB193_428:
	s_andn2_b64 vcc, exec, s[6:7]
	s_cbranch_vccnz .LBB193_430
; %bb.429:
	v_add_u32_e32 v10, 0x80, v10
	s_mov_b64 s[6:7], -1
	s_branch .LBB193_543
.LBB193_430:
	s_mov_b64 s[6:7], 0
	s_branch .LBB193_542
.LBB193_431:
	s_mov_b64 s[4:5], -1
                                        ; implicit-def: $vgpr4_vgpr5
.LBB193_432:
	s_mov_b64 s[6:7], 0
.LBB193_433:
	s_and_b64 vcc, exec, s[6:7]
	s_cbranch_vccz .LBB193_437
; %bb.434:
	s_cmp_eq_u32 s10, 29
	s_cbranch_scc0 .LBB193_436
; %bb.435:
	global_load_dwordx2 v[4:5], v[0:1], off
	s_mov_b64 s[2:3], -1
	s_mov_b64 s[4:5], 0
	s_mov_b64 s[6:7], 0
	s_waitcnt vmcnt(0)
	v_cvt_f64_u32_e32 v[6:7], v5
	v_cvt_f64_u32_e32 v[4:5], v4
	v_ldexp_f64 v[6:7], v[6:7], 32
	v_add_f64 v[4:5], v[6:7], v[4:5]
	s_branch .LBB193_438
.LBB193_436:
	s_mov_b64 s[4:5], -1
                                        ; implicit-def: $vgpr4_vgpr5
.LBB193_437:
	s_mov_b64 s[6:7], 0
.LBB193_438:
	s_and_b64 vcc, exec, s[6:7]
	s_cbranch_vccz .LBB193_458
; %bb.439:
	s_cmp_lt_i32 s10, 27
	s_cbranch_scc1 .LBB193_442
; %bb.440:
	s_cmp_gt_i32 s10, 27
	s_cbranch_scc0 .LBB193_443
; %bb.441:
	global_load_dword v3, v[0:1], off
	s_mov_b64 s[2:3], 0
	s_waitcnt vmcnt(0)
	v_cvt_f64_u32_e32 v[4:5], v3
	s_branch .LBB193_444
.LBB193_442:
	s_mov_b64 s[2:3], -1
                                        ; implicit-def: $vgpr4_vgpr5
	s_branch .LBB193_447
.LBB193_443:
	s_mov_b64 s[2:3], -1
                                        ; implicit-def: $vgpr4_vgpr5
.LBB193_444:
	s_andn2_b64 vcc, exec, s[2:3]
	s_cbranch_vccnz .LBB193_446
; %bb.445:
	global_load_ushort v3, v[0:1], off
	s_waitcnt vmcnt(0)
	v_cvt_f64_u32_e32 v[4:5], v3
.LBB193_446:
	s_mov_b64 s[2:3], 0
.LBB193_447:
	s_andn2_b64 vcc, exec, s[2:3]
	s_cbranch_vccnz .LBB193_457
; %bb.448:
	global_load_ubyte v3, v[0:1], off
	s_movk_i32 s2, 0x7f
	s_waitcnt vmcnt(0)
	v_cmp_lt_i16_e32 vcc, s2, v3
	s_mov_b64 s[2:3], 0
	s_and_saveexec_b64 s[6:7], vcc
	s_xor_b64 s[6:7], exec, s[6:7]
	s_cbranch_execz .LBB193_452
; %bb.449:
	s_movk_i32 s2, 0x80
	v_cmp_eq_u16_e32 vcc, s2, v3
	s_mov_b64 s[2:3], -1
	s_and_saveexec_b64 s[8:9], vcc
; %bb.450:
	s_xor_b64 s[2:3], exec, -1
; %bb.451:
	s_or_b64 exec, exec, s[8:9]
	s_and_b64 s[2:3], s[2:3], exec
.LBB193_452:
	s_or_saveexec_b64 s[6:7], s[6:7]
	v_bfrev_b32_e32 v4, 4
	v_mov_b32_e32 v5, 0x7ff80000
	s_xor_b64 exec, exec, s[6:7]
; %bb.453:
	v_cmp_ne_u16_e32 vcc, 0, v3
	s_andn2_b64 s[2:3], s[2:3], exec
	s_and_b64 s[8:9], vcc, exec
	v_mov_b64_e32 v[4:5], 0
	s_or_b64 s[2:3], s[2:3], s[8:9]
; %bb.454:
	s_or_b64 exec, exec, s[6:7]
	s_and_saveexec_b64 s[6:7], s[2:3]
	s_cbranch_execz .LBB193_456
; %bb.455:
	v_lshlrev_b32_e32 v4, 24, v3
	v_and_b32_e32 v3, 0xffff, v3
	v_and_b32_e32 v5, 7, v3
	v_ffbh_u32_e32 v7, v5
	v_min_u32_e32 v7, 32, v7
	v_subrev_u32_e32 v8, 28, v7
	v_bfe_u32 v6, v3, 3, 4
	v_lshlrev_b32_e32 v3, v8, v3
	v_sub_u32_e32 v7, 29, v7
	v_and_b32_e32 v3, 7, v3
	v_cmp_eq_u32_e32 vcc, 0, v6
	v_and_b32_e32 v4, 0x80000000, v4
	s_nop 0
	v_cndmask_b32_e32 v6, v6, v7, vcc
	v_cndmask_b32_e32 v3, v5, v3, vcc
	v_mov_b32_e32 v5, 0x3b800000
	v_lshlrev_b32_e32 v3, 20, v3
	v_lshl_add_u32 v5, v6, 23, v5
	v_or3_b32 v3, v4, v5, v3
	v_cvt_f64_f32_e32 v[4:5], v3
.LBB193_456:
	s_or_b64 exec, exec, s[6:7]
.LBB193_457:
	s_mov_b64 s[2:3], -1
.LBB193_458:
	s_mov_b64 s[6:7], 0
.LBB193_459:
	s_and_b64 vcc, exec, s[6:7]
	s_cbranch_vccz .LBB193_492
; %bb.460:
	s_cmp_gt_i32 s10, 22
	s_cbranch_scc0 .LBB193_472
; %bb.461:
	s_cmp_lt_i32 s10, 24
	s_cbranch_scc1 .LBB193_473
; %bb.462:
	s_cmp_gt_i32 s10, 24
	s_cbranch_scc0 .LBB193_474
; %bb.463:
	global_load_ubyte v3, v[0:1], off
	s_movk_i32 s2, 0x7f
	s_waitcnt vmcnt(0)
	v_cmp_lt_i16_e32 vcc, s2, v3
	s_mov_b64 s[2:3], 0
	s_and_saveexec_b64 s[6:7], vcc
	s_xor_b64 s[6:7], exec, s[6:7]
	s_cbranch_execz .LBB193_467
; %bb.464:
	s_movk_i32 s2, 0x80
	v_cmp_eq_u16_e32 vcc, s2, v3
	s_mov_b64 s[2:3], -1
	s_and_saveexec_b64 s[8:9], vcc
; %bb.465:
	s_xor_b64 s[2:3], exec, -1
; %bb.466:
	s_or_b64 exec, exec, s[8:9]
	s_and_b64 s[2:3], s[2:3], exec
.LBB193_467:
	s_or_saveexec_b64 s[6:7], s[6:7]
	v_bfrev_b32_e32 v4, 4
	v_mov_b32_e32 v5, 0x7ff80000
	s_xor_b64 exec, exec, s[6:7]
; %bb.468:
	v_cmp_ne_u16_e32 vcc, 0, v3
	s_andn2_b64 s[2:3], s[2:3], exec
	s_and_b64 s[8:9], vcc, exec
	v_mov_b64_e32 v[4:5], 0
	s_or_b64 s[2:3], s[2:3], s[8:9]
; %bb.469:
	s_or_b64 exec, exec, s[6:7]
	s_and_saveexec_b64 s[6:7], s[2:3]
	s_cbranch_execz .LBB193_471
; %bb.470:
	v_lshlrev_b32_e32 v4, 24, v3
	v_and_b32_e32 v3, 0xffff, v3
	v_and_b32_e32 v5, 3, v3
	v_ffbh_u32_e32 v7, v5
	v_min_u32_e32 v7, 32, v7
	v_subrev_u32_e32 v8, 29, v7
	v_bfe_u32 v6, v3, 2, 5
	v_lshlrev_b32_e32 v3, v8, v3
	v_sub_u32_e32 v7, 30, v7
	v_and_b32_e32 v3, 3, v3
	v_cmp_eq_u32_e32 vcc, 0, v6
	v_and_b32_e32 v4, 0x80000000, v4
	s_nop 0
	v_cndmask_b32_e32 v6, v6, v7, vcc
	v_cndmask_b32_e32 v3, v5, v3, vcc
	v_mov_b32_e32 v5, 0x37800000
	v_lshlrev_b32_e32 v3, 21, v3
	v_lshl_add_u32 v5, v6, 23, v5
	v_or3_b32 v3, v4, v5, v3
	v_cvt_f64_f32_e32 v[4:5], v3
.LBB193_471:
	s_or_b64 exec, exec, s[6:7]
	s_mov_b64 s[2:3], 0
	s_branch .LBB193_475
.LBB193_472:
	s_mov_b64 s[6:7], -1
                                        ; implicit-def: $vgpr4_vgpr5
	s_branch .LBB193_481
.LBB193_473:
	s_mov_b64 s[2:3], -1
                                        ; implicit-def: $vgpr4_vgpr5
	s_branch .LBB193_478
.LBB193_474:
	s_mov_b64 s[2:3], -1
                                        ; implicit-def: $vgpr4_vgpr5
.LBB193_475:
	s_and_b64 vcc, exec, s[2:3]
	s_cbranch_vccz .LBB193_477
; %bb.476:
	global_load_ubyte v3, v[0:1], off
	s_mov_b32 s2, 0x7f800000
	s_waitcnt vmcnt(0)
	v_lshlrev_b32_e32 v3, 24, v3
	v_and_b32_e32 v4, 0x7f000000, v3
	v_ffbh_u32_e32 v5, v4
	v_min_u32_e32 v5, 32, v5
	v_sub_u32_e64 v5, v5, 4 clamp
	v_lshlrev_b32_e32 v7, v5, v4
	v_lshlrev_b32_e32 v5, 23, v5
	v_lshrrev_b32_e32 v7, 4, v7
	v_add_u32_e32 v6, 0x1000000, v4
	v_sub_u32_e32 v5, v7, v5
	v_ashrrev_i32_e32 v6, 8, v6
	v_add_u32_e32 v5, 0x3c000000, v5
	v_and_or_b32 v5, v6, s2, v5
	v_cmp_ne_u32_e32 vcc, 0, v4
	s_brev_b32 s2, 1
	s_nop 0
	v_cndmask_b32_e32 v4, 0, v5, vcc
	v_and_or_b32 v3, v3, s2, v4
	v_cvt_f64_f32_e32 v[4:5], v3
.LBB193_477:
	s_mov_b64 s[2:3], 0
.LBB193_478:
	s_andn2_b64 vcc, exec, s[2:3]
	s_cbranch_vccnz .LBB193_480
; %bb.479:
	global_load_ubyte v3, v[0:1], off
	s_movk_i32 s2, 0x7f00
	s_brev_b32 s3, 16
	s_waitcnt vmcnt(0)
	v_lshlrev_b16_e32 v4, 8, v3
	v_lshlrev_b32_e32 v3, 25, v3
	v_lshrrev_b32_e32 v5, 4, v3
	v_and_or_b32 v6, v4, s2, 0.5
	v_or_b32_e32 v5, 0x70000000, v5
	v_add_f32_e32 v6, -0.5, v6
	v_mul_f32_e32 v5, 0x7800000, v5
	v_cmp_gt_u32_e32 vcc, s3, v3
	v_bfe_i32 v4, v4, 0, 16
	s_brev_b32 s2, 1
	v_cndmask_b32_e32 v3, v5, v6, vcc
	v_and_or_b32 v3, v4, s2, v3
	v_cvt_f64_f32_e32 v[4:5], v3
.LBB193_480:
	s_mov_b64 s[6:7], 0
	s_mov_b64 s[2:3], -1
.LBB193_481:
	s_andn2_b64 vcc, exec, s[6:7]
	s_cbranch_vccnz .LBB193_492
; %bb.482:
	s_cmp_gt_i32 s10, 14
	s_cbranch_scc0 .LBB193_485
; %bb.483:
	s_cmp_eq_u32 s10, 15
	s_cbranch_scc0 .LBB193_486
; %bb.484:
	global_load_ushort v3, v[0:1], off
	s_mov_b64 s[2:3], -1
	s_mov_b64 s[4:5], 0
	s_waitcnt vmcnt(0)
	v_lshlrev_b32_e32 v3, 16, v3
	v_cvt_f64_f32_e32 v[4:5], v3
	s_branch .LBB193_487
.LBB193_485:
	s_mov_b64 s[6:7], -1
                                        ; implicit-def: $vgpr4_vgpr5
	s_branch .LBB193_488
.LBB193_486:
	s_mov_b64 s[4:5], -1
                                        ; implicit-def: $vgpr4_vgpr5
.LBB193_487:
	s_mov_b64 s[6:7], 0
.LBB193_488:
	s_and_b64 vcc, exec, s[6:7]
	s_cbranch_vccz .LBB193_492
; %bb.489:
	s_cmp_eq_u32 s10, 11
	s_cbranch_scc0 .LBB193_491
; %bb.490:
	global_load_ubyte v3, v[0:1], off
	s_waitcnt vmcnt(1)
	v_mov_b32_e32 v5, 0x3ff00000
	v_mov_b32_e32 v4, 0
	s_mov_b64 s[2:3], -1
	s_mov_b64 s[4:5], 0
	s_waitcnt vmcnt(0)
	v_cmp_ne_u16_e32 vcc, 0, v3
	s_nop 1
	v_cndmask_b32_e32 v5, 0, v5, vcc
	s_branch .LBB193_492
.LBB193_491:
	s_mov_b64 s[4:5], -1
                                        ; implicit-def: $vgpr4_vgpr5
.LBB193_492:
	s_branch .LBB193_295
.LBB193_493:
	s_cmp_lt_i32 s10, 5
	s_cbranch_scc1 .LBB193_498
; %bb.494:
	s_cmp_lt_i32 s10, 8
	s_cbranch_scc1 .LBB193_499
; %bb.495:
	;; [unrolled: 3-line block ×3, first 2 shown]
	s_cmp_gt_i32 s10, 9
	s_cbranch_scc0 .LBB193_501
; %bb.497:
	global_load_dwordx2 v[4:5], v[0:1], off
	s_mov_b64 s[2:3], 0
	s_branch .LBB193_502
.LBB193_498:
	s_mov_b64 s[2:3], -1
                                        ; implicit-def: $vgpr4_vgpr5
	s_branch .LBB193_520
.LBB193_499:
	s_mov_b64 s[2:3], -1
                                        ; implicit-def: $vgpr4_vgpr5
	s_branch .LBB193_508
.LBB193_500:
	s_mov_b64 s[2:3], -1
                                        ; implicit-def: $vgpr4_vgpr5
	s_branch .LBB193_505
.LBB193_501:
	s_mov_b64 s[2:3], -1
                                        ; implicit-def: $vgpr4_vgpr5
.LBB193_502:
	s_andn2_b64 vcc, exec, s[2:3]
	s_cbranch_vccnz .LBB193_504
; %bb.503:
	global_load_dword v3, v[0:1], off
	s_waitcnt vmcnt(0)
	v_cvt_f64_f32_e32 v[4:5], v3
.LBB193_504:
	s_mov_b64 s[2:3], 0
.LBB193_505:
	s_andn2_b64 vcc, exec, s[2:3]
	s_cbranch_vccnz .LBB193_507
; %bb.506:
	global_load_dword v3, v[0:1], off
	s_waitcnt vmcnt(0)
	v_cvt_f32_f16_e32 v3, v3
	v_cvt_f64_f32_e32 v[4:5], v3
.LBB193_507:
	s_mov_b64 s[2:3], 0
.LBB193_508:
	s_andn2_b64 vcc, exec, s[2:3]
	s_cbranch_vccnz .LBB193_519
; %bb.509:
	s_cmp_lt_i32 s10, 6
	s_cbranch_scc1 .LBB193_512
; %bb.510:
	s_cmp_gt_i32 s10, 6
	s_cbranch_scc0 .LBB193_513
; %bb.511:
	global_load_dwordx2 v[4:5], v[0:1], off
	s_mov_b64 s[2:3], 0
	s_branch .LBB193_514
.LBB193_512:
	s_mov_b64 s[2:3], -1
                                        ; implicit-def: $vgpr4_vgpr5
	s_branch .LBB193_517
.LBB193_513:
	s_mov_b64 s[2:3], -1
                                        ; implicit-def: $vgpr4_vgpr5
.LBB193_514:
	s_andn2_b64 vcc, exec, s[2:3]
	s_cbranch_vccnz .LBB193_516
; %bb.515:
	global_load_dword v3, v[0:1], off
	s_waitcnt vmcnt(0)
	v_cvt_f64_f32_e32 v[4:5], v3
.LBB193_516:
	s_mov_b64 s[2:3], 0
.LBB193_517:
	s_andn2_b64 vcc, exec, s[2:3]
	s_cbranch_vccnz .LBB193_519
; %bb.518:
	global_load_ushort v3, v[0:1], off
	s_waitcnt vmcnt(0)
	v_cvt_f32_f16_e32 v3, v3
	v_cvt_f64_f32_e32 v[4:5], v3
.LBB193_519:
	s_mov_b64 s[2:3], 0
.LBB193_520:
	s_andn2_b64 vcc, exec, s[2:3]
	s_cbranch_vccnz .LBB193_540
; %bb.521:
	s_cmp_lt_i32 s10, 2
	s_cbranch_scc1 .LBB193_525
; %bb.522:
	s_cmp_lt_i32 s10, 3
	s_cbranch_scc1 .LBB193_526
; %bb.523:
	s_cmp_gt_i32 s10, 3
	s_cbranch_scc0 .LBB193_527
; %bb.524:
	global_load_dwordx2 v[4:5], v[0:1], off
	s_mov_b64 s[2:3], 0
	s_waitcnt vmcnt(0)
	v_cvt_f64_i32_e32 v[6:7], v5
	v_cvt_f64_u32_e32 v[4:5], v4
	v_ldexp_f64 v[6:7], v[6:7], 32
	v_add_f64 v[4:5], v[6:7], v[4:5]
	s_branch .LBB193_528
.LBB193_525:
	s_mov_b64 s[2:3], -1
                                        ; implicit-def: $vgpr4_vgpr5
	s_branch .LBB193_534
.LBB193_526:
	s_mov_b64 s[2:3], -1
                                        ; implicit-def: $vgpr4_vgpr5
	s_branch .LBB193_531
.LBB193_527:
	s_mov_b64 s[2:3], -1
                                        ; implicit-def: $vgpr4_vgpr5
.LBB193_528:
	s_andn2_b64 vcc, exec, s[2:3]
	s_cbranch_vccnz .LBB193_530
; %bb.529:
	global_load_dword v3, v[0:1], off
	s_waitcnt vmcnt(0)
	v_cvt_f64_i32_e32 v[4:5], v3
.LBB193_530:
	s_mov_b64 s[2:3], 0
.LBB193_531:
	s_andn2_b64 vcc, exec, s[2:3]
	s_cbranch_vccnz .LBB193_533
; %bb.532:
	global_load_sshort v3, v[0:1], off
	s_waitcnt vmcnt(0)
	v_cvt_f64_i32_e32 v[4:5], v3
.LBB193_533:
	s_mov_b64 s[2:3], 0
.LBB193_534:
	s_andn2_b64 vcc, exec, s[2:3]
	s_cbranch_vccnz .LBB193_540
; %bb.535:
	s_cmp_gt_i32 s10, 0
	s_cbranch_scc0 .LBB193_537
; %bb.536:
	global_load_sbyte v3, v[0:1], off
	s_mov_b64 s[2:3], 0
	s_waitcnt vmcnt(0)
	v_cvt_f64_i32_e32 v[4:5], v3
	s_branch .LBB193_538
.LBB193_537:
	s_mov_b64 s[2:3], -1
                                        ; implicit-def: $vgpr4_vgpr5
.LBB193_538:
	s_andn2_b64 vcc, exec, s[2:3]
	s_cbranch_vccnz .LBB193_540
; %bb.539:
	global_load_ubyte v0, v[0:1], off
	s_waitcnt vmcnt(0)
	v_cvt_f64_u32_e32 v[4:5], v0
.LBB193_540:
	s_branch .LBB193_296
.LBB193_541:
	s_mov_b64 s[6:7], 0
	s_mov_b64 s[2:3], s[54:55]
.LBB193_542:
                                        ; implicit-def: $vgpr10
.LBB193_543:
	s_andn2_b64 s[8:9], s[54:55], exec
	s_and_b64 s[2:3], s[2:3], exec
	s_or_b64 s[62:63], s[8:9], s[2:3]
	s_andn2_b64 s[2:3], s[56:57], exec
	s_and_b64 s[4:5], s[4:5], exec
	s_or_b64 s[60:61], s[2:3], s[4:5]
	s_orn2_b64 s[2:3], s[6:7], exec
.LBB193_544:
	s_or_b64 exec, exec, s[64:65]
	s_mov_b64 s[4:5], 0
	s_mov_b64 s[6:7], 0
	;; [unrolled: 1-line block ×3, first 2 shown]
                                        ; implicit-def: $vgpr0_vgpr1
                                        ; implicit-def: $vgpr2
                                        ; implicit-def: $vgpr6_vgpr7
	s_and_saveexec_b64 s[64:65], s[2:3]
	s_cbranch_execz .LBB193_921
; %bb.545:
	v_cmp_gt_i32_e32 vcc, s70, v10
	s_mov_b64 s[6:7], -1
	s_mov_b64 s[2:3], s[60:61]
	s_mov_b64 s[68:69], s[62:63]
	s_and_saveexec_b64 s[66:67], vcc
	s_cbranch_execz .LBB193_820
; %bb.546:
	s_andn2_b64 vcc, exec, s[42:43]
	s_cbranch_vccnz .LBB193_552
; %bb.547:
	s_andn2_b64 vcc, exec, s[52:53]
	s_cbranch_vccnz .LBB193_553
; %bb.548:
	s_add_i32 s76, s75, 1
	s_cmp_eq_u32 s72, 2
	s_cbranch_scc1 .LBB193_554
; %bb.549:
	s_and_b32 s71, s76, 28
	s_mov_b32 s77, 0
	v_mov_b32_e32 v2, 0
	v_mov_b32_e32 v0, 0
	s_mov_b64 s[2:3], s[34:35]
	s_mov_b64 s[68:69], s[50:51]
	s_waitcnt vmcnt(0)
	v_mov_b32_e32 v4, v10
.LBB193_550:                            ; =>This Inner Loop Header: Depth=1
	s_load_dwordx8 s[12:19], s[2:3], 0x4
	s_load_dwordx4 s[36:39], s[2:3], 0x24
	s_load_dwordx8 s[4:11], s[68:69], 0x0
	s_add_u32 s2, s2, 48
	s_addc_u32 s3, s3, 0
	s_waitcnt lgkmcnt(0)
	v_mul_hi_u32 v1, s13, v4
	v_add_u32_e32 v1, v4, v1
	v_lshrrev_b32_e32 v1, s14, v1
	v_mul_lo_u32 v3, v1, s12
	v_mul_hi_u32 v5, s16, v1
	v_sub_u32_e32 v3, v4, v3
	v_add_u32_e32 v4, v1, v5
	v_lshrrev_b32_e32 v4, s17, v4
	v_mul_lo_u32 v6, v4, s15
	v_mul_hi_u32 v7, s19, v4
	v_sub_u32_e32 v1, v1, v6
	v_add_u32_e32 v6, v4, v7
	v_mul_lo_u32 v5, v3, s5
	v_mul_lo_u32 v3, v3, s4
	v_mul_lo_u32 v7, v1, s7
	v_mul_lo_u32 v1, v1, s6
	v_lshrrev_b32_e32 v6, s36, v6
	v_add3_u32 v1, v3, v2, v1
	v_mul_hi_u32 v3, s38, v6
	v_mul_lo_u32 v2, v6, s18
	v_add_u32_e32 v3, v6, v3
	v_sub_u32_e32 v2, v4, v2
	v_lshrrev_b32_e32 v4, s39, v3
	s_add_i32 s77, s77, 4
	v_mul_lo_u32 v3, v4, s37
	s_add_u32 s68, s68, 32
	v_sub_u32_e32 v3, v6, v3
	s_addc_u32 s69, s69, 0
	v_add3_u32 v0, v5, v0, v7
	v_mul_lo_u32 v5, v2, s8
	v_mul_lo_u32 v2, v2, s9
	;; [unrolled: 1-line block ×4, first 2 shown]
	s_cmp_eq_u32 s71, s77
	v_add3_u32 v0, v2, v0, v3
	v_add3_u32 v2, v5, v1, v6
	s_cbranch_scc0 .LBB193_550
; %bb.551:
	v_mov_b32_e32 v1, v0
	s_branch .LBB193_555
.LBB193_552:
	s_mov_b64 s[2:3], -1
                                        ; implicit-def: $vgpr0
                                        ; implicit-def: $vgpr2
	s_branch .LBB193_559
.LBB193_553:
	v_mov_b32_e32 v0, 0
	v_mov_b32_e32 v2, 0
	s_branch .LBB193_558
.LBB193_554:
	v_mov_b32_e32 v2, 0
	s_mov_b32 s71, 0
	v_mov_b32_e32 v1, v2
                                        ; implicit-def: $vgpr0
	s_waitcnt vmcnt(0)
	v_mov_b32_e32 v4, v10
.LBB193_555:
	s_and_b32 s6, s76, 3
	s_cmp_eq_u32 s6, 0
	s_cbranch_scc1 .LBB193_558
; %bb.556:
	s_lshl_b32 s2, s71, 3
	s_add_u32 s2, s34, s2
	s_addc_u32 s3, s35, 0
	s_add_u32 s2, s2, 0xc4
	s_addc_u32 s3, s3, 0
	s_mul_i32 s4, s71, 12
	s_add_u32 s4, s34, s4
	s_addc_u32 s5, s35, 0
.LBB193_557:                            ; =>This Inner Loop Header: Depth=1
	s_load_dwordx2 s[8:9], s[4:5], 0x4
	s_load_dword s7, s[4:5], 0xc
	s_load_dwordx2 s[10:11], s[2:3], 0x0
	v_mov_b32_e32 v0, v1
	s_add_u32 s4, s4, 12
	s_waitcnt lgkmcnt(0)
	v_mul_hi_u32 v1, s9, v4
	v_add_u32_e32 v1, v4, v1
	v_lshrrev_b32_e32 v1, s7, v1
	s_addc_u32 s5, s5, 0
	v_mul_lo_u32 v3, v1, s8
	s_add_u32 s2, s2, 8
	v_sub_u32_e32 v3, v4, v3
	s_addc_u32 s3, s3, 0
	s_add_i32 s6, s6, -1
	v_mov_b32_e32 v4, v1
	v_mad_u64_u32 v[0:1], s[8:9], v3, s11, v[0:1]
	s_cmp_lg_u32 s6, 0
	v_mad_u64_u32 v[2:3], s[8:9], v3, s10, v[2:3]
	v_mov_b32_e32 v1, v0
	s_cbranch_scc1 .LBB193_557
.LBB193_558:
	s_mov_b64 s[2:3], 0
.LBB193_559:
	s_andn2_b64 vcc, exec, s[2:3]
	s_cbranch_vccnz .LBB193_562
; %bb.560:
	s_waitcnt lgkmcnt(0)
	v_mul_hi_u32 v0, s29, v10
	v_add_u32_e32 v0, v10, v0
	v_lshrrev_b32_e32 v1, s30, v0
	v_mul_lo_u32 v0, v1, s28
	v_sub_u32_e32 v2, v10, v0
	v_mul_lo_u32 v0, v2, s25
	s_andn2_b64 vcc, exec, s[48:49]
	v_mul_lo_u32 v2, v2, s24
	s_cbranch_vccnz .LBB193_562
; %bb.561:
	v_mul_hi_u32 v3, s46, v1
	v_add_u32_e32 v3, v1, v3
	v_lshrrev_b32_e32 v3, s47, v3
	v_mul_lo_u32 v3, v3, s31
	v_sub_u32_e32 v1, v1, v3
	v_mad_u64_u32 v[2:3], s[2:3], v1, s26, v[2:3]
	v_mad_u64_u32 v[0:1], s[2:3], v1, s27, v[0:1]
.LBB193_562:
	v_mov_b32_e32 v1, 0
	s_and_b32 s10, 0xffff, s74
	s_cmp_lt_i32 s10, 11
	s_waitcnt lgkmcnt(0)
	v_lshl_add_u64 v[0:1], s[22:23], 0, v[0:1]
	s_cbranch_scc1 .LBB193_569
; %bb.563:
	s_cmp_gt_i32 s10, 25
	s_cbranch_scc0 .LBB193_570
; %bb.564:
	s_cmp_gt_i32 s10, 28
	s_cbranch_scc0 .LBB193_571
	;; [unrolled: 3-line block ×4, first 2 shown]
; %bb.567:
	s_cmp_eq_u32 s10, 46
	s_mov_b64 s[6:7], 0
	s_cbranch_scc0 .LBB193_578
; %bb.568:
	global_load_dword v3, v[0:1], off
	s_mov_b64 s[2:3], -1
	s_mov_b64 s[4:5], 0
	s_waitcnt vmcnt(0)
	v_lshlrev_b32_e32 v3, 16, v3
	v_cvt_f64_f32_e32 v[4:5], v3
	s_branch .LBB193_579
.LBB193_569:
	s_mov_b64 s[6:7], -1
	s_mov_b64 s[2:3], 0
                                        ; implicit-def: $vgpr4_vgpr5
	s_mov_b64 s[4:5], s[60:61]
	s_branch .LBB193_644
.LBB193_570:
	s_mov_b64 s[6:7], -1
	s_mov_b64 s[2:3], 0
	s_mov_b64 s[4:5], s[60:61]
                                        ; implicit-def: $vgpr4_vgpr5
	s_branch .LBB193_610
.LBB193_571:
	s_mov_b64 s[6:7], -1
	s_mov_b64 s[2:3], 0
	s_mov_b64 s[4:5], s[60:61]
                                        ; implicit-def: $vgpr4_vgpr5
	s_branch .LBB193_589
.LBB193_572:
	s_mov_b64 s[6:7], -1
	s_mov_b64 s[2:3], 0
	s_mov_b64 s[4:5], s[60:61]
                                        ; implicit-def: $vgpr4_vgpr5
	s_branch .LBB193_584
.LBB193_573:
	s_andn2_saveexec_b64 s[10:11], s[10:11]
	s_cbranch_execz .LBB193_341
.LBB193_574:
	s_mov_b32 s14, 0x46000000
	v_add_f32_e64 v3, |v2|, s14
	v_and_b32_e32 v3, 0xff, v3
	v_cmp_ne_u32_e32 vcc, 0, v3
	s_andn2_b64 s[8:9], s[8:9], exec
	s_and_b64 s[14:15], vcc, exec
	s_or_b64 s[8:9], s[8:9], s[14:15]
	s_or_b64 exec, exec, s[10:11]
	v_mov_b32_e32 v6, 0
	s_and_saveexec_b64 s[10:11], s[8:9]
	s_cbranch_execnz .LBB193_342
	s_branch .LBB193_343
.LBB193_575:
	s_mov_b64 s[6:7], -1
	s_mov_b64 s[2:3], 0
	s_mov_b64 s[4:5], s[60:61]
                                        ; implicit-def: $vgpr4_vgpr5
	s_branch .LBB193_579
.LBB193_576:
	s_andn2_saveexec_b64 s[10:11], s[10:11]
	s_cbranch_execz .LBB193_354
.LBB193_577:
	s_mov_b32 s14, 0x42800000
	v_add_f32_e64 v3, |v2|, s14
	v_and_b32_e32 v3, 0xff, v3
	v_cmp_ne_u32_e32 vcc, 0, v3
	s_andn2_b64 s[8:9], s[8:9], exec
	s_and_b64 s[14:15], vcc, exec
	s_or_b64 s[8:9], s[8:9], s[14:15]
	s_or_b64 exec, exec, s[10:11]
	v_mov_b32_e32 v6, 0
	s_and_saveexec_b64 s[10:11], s[8:9]
	s_cbranch_execnz .LBB193_355
	s_branch .LBB193_356
.LBB193_578:
	s_mov_b64 s[4:5], -1
                                        ; implicit-def: $vgpr4_vgpr5
	s_mov_b64 s[2:3], 0
.LBB193_579:
	s_and_b64 vcc, exec, s[6:7]
	s_cbranch_vccz .LBB193_583
; %bb.580:
	s_cmp_eq_u32 s10, 44
	s_cbranch_scc0 .LBB193_582
; %bb.581:
	global_load_ubyte v3, v[0:1], off
	s_movk_i32 s4, 0xff
	v_bfrev_b32_e32 v6, 4
	v_mov_b32_e32 v7, 0x7ff80000
	v_bfrev_b32_e32 v8, 28
	s_mov_b64 s[2:3], -1
	s_waitcnt vmcnt(0)
	v_lshlrev_b32_e32 v4, 23, v3
	v_cvt_f64_f32_e32 v[4:5], v4
	v_cmp_ne_u32_e32 vcc, s4, v3
	s_mov_b64 s[4:5], 0
	s_nop 0
	v_cndmask_b32_e32 v4, v6, v4, vcc
	v_cndmask_b32_e32 v5, v7, v5, vcc
	v_cmp_ne_u32_e32 vcc, 0, v3
	s_nop 1
	v_cndmask_b32_e32 v5, v8, v5, vcc
	v_cndmask_b32_e32 v4, 0, v4, vcc
	s_branch .LBB193_583
.LBB193_582:
	s_mov_b64 s[4:5], -1
                                        ; implicit-def: $vgpr4_vgpr5
.LBB193_583:
	s_mov_b64 s[6:7], 0
.LBB193_584:
	s_and_b64 vcc, exec, s[6:7]
	s_cbranch_vccz .LBB193_588
; %bb.585:
	s_cmp_eq_u32 s10, 29
	s_cbranch_scc0 .LBB193_587
; %bb.586:
	global_load_dwordx2 v[4:5], v[0:1], off
	s_mov_b64 s[2:3], -1
	s_mov_b64 s[4:5], 0
	s_mov_b64 s[6:7], 0
	s_waitcnt vmcnt(0)
	v_cvt_f64_u32_e32 v[6:7], v5
	v_cvt_f64_u32_e32 v[4:5], v4
	v_ldexp_f64 v[6:7], v[6:7], 32
	v_add_f64 v[4:5], v[6:7], v[4:5]
	s_branch .LBB193_589
.LBB193_587:
	s_mov_b64 s[4:5], -1
                                        ; implicit-def: $vgpr4_vgpr5
.LBB193_588:
	s_mov_b64 s[6:7], 0
.LBB193_589:
	s_and_b64 vcc, exec, s[6:7]
	s_cbranch_vccz .LBB193_609
; %bb.590:
	s_cmp_lt_i32 s10, 27
	s_cbranch_scc1 .LBB193_593
; %bb.591:
	s_cmp_gt_i32 s10, 27
	s_cbranch_scc0 .LBB193_594
; %bb.592:
	global_load_dword v3, v[0:1], off
	s_mov_b64 s[2:3], 0
	s_waitcnt vmcnt(0)
	v_cvt_f64_u32_e32 v[4:5], v3
	s_branch .LBB193_595
.LBB193_593:
	s_mov_b64 s[2:3], -1
                                        ; implicit-def: $vgpr4_vgpr5
	s_branch .LBB193_598
.LBB193_594:
	s_mov_b64 s[2:3], -1
                                        ; implicit-def: $vgpr4_vgpr5
.LBB193_595:
	s_andn2_b64 vcc, exec, s[2:3]
	s_cbranch_vccnz .LBB193_597
; %bb.596:
	global_load_ushort v3, v[0:1], off
	s_waitcnt vmcnt(0)
	v_cvt_f64_u32_e32 v[4:5], v3
.LBB193_597:
	s_mov_b64 s[2:3], 0
.LBB193_598:
	s_andn2_b64 vcc, exec, s[2:3]
	s_cbranch_vccnz .LBB193_608
; %bb.599:
	global_load_ubyte v3, v[0:1], off
	s_movk_i32 s2, 0x7f
	s_waitcnt vmcnt(0)
	v_cmp_lt_i16_e32 vcc, s2, v3
	s_mov_b64 s[2:3], 0
	s_and_saveexec_b64 s[6:7], vcc
	s_xor_b64 s[6:7], exec, s[6:7]
	s_cbranch_execz .LBB193_603
; %bb.600:
	s_movk_i32 s2, 0x80
	v_cmp_eq_u16_e32 vcc, s2, v3
	s_mov_b64 s[2:3], -1
	s_and_saveexec_b64 s[8:9], vcc
; %bb.601:
	s_xor_b64 s[2:3], exec, -1
; %bb.602:
	s_or_b64 exec, exec, s[8:9]
	s_and_b64 s[2:3], s[2:3], exec
.LBB193_603:
	s_or_saveexec_b64 s[6:7], s[6:7]
	v_bfrev_b32_e32 v4, 4
	v_mov_b32_e32 v5, 0x7ff80000
	s_xor_b64 exec, exec, s[6:7]
; %bb.604:
	v_cmp_ne_u16_e32 vcc, 0, v3
	s_andn2_b64 s[2:3], s[2:3], exec
	s_and_b64 s[8:9], vcc, exec
	v_mov_b64_e32 v[4:5], 0
	s_or_b64 s[2:3], s[2:3], s[8:9]
; %bb.605:
	s_or_b64 exec, exec, s[6:7]
	s_and_saveexec_b64 s[6:7], s[2:3]
	s_cbranch_execz .LBB193_607
; %bb.606:
	v_lshlrev_b32_e32 v4, 24, v3
	v_and_b32_e32 v3, 0xffff, v3
	v_and_b32_e32 v5, 7, v3
	v_ffbh_u32_e32 v7, v5
	v_min_u32_e32 v7, 32, v7
	v_subrev_u32_e32 v8, 28, v7
	v_bfe_u32 v6, v3, 3, 4
	v_lshlrev_b32_e32 v3, v8, v3
	v_sub_u32_e32 v7, 29, v7
	v_and_b32_e32 v3, 7, v3
	v_cmp_eq_u32_e32 vcc, 0, v6
	v_and_b32_e32 v4, 0x80000000, v4
	s_nop 0
	v_cndmask_b32_e32 v6, v6, v7, vcc
	v_cndmask_b32_e32 v3, v5, v3, vcc
	v_mov_b32_e32 v5, 0x3b800000
	v_lshlrev_b32_e32 v3, 20, v3
	v_lshl_add_u32 v5, v6, 23, v5
	v_or3_b32 v3, v4, v5, v3
	v_cvt_f64_f32_e32 v[4:5], v3
.LBB193_607:
	s_or_b64 exec, exec, s[6:7]
.LBB193_608:
	s_mov_b64 s[2:3], -1
.LBB193_609:
	s_mov_b64 s[6:7], 0
.LBB193_610:
	s_and_b64 vcc, exec, s[6:7]
	s_cbranch_vccz .LBB193_643
; %bb.611:
	s_cmp_gt_i32 s10, 22
	s_cbranch_scc0 .LBB193_623
; %bb.612:
	s_cmp_lt_i32 s10, 24
	s_cbranch_scc1 .LBB193_624
; %bb.613:
	s_cmp_gt_i32 s10, 24
	s_cbranch_scc0 .LBB193_625
; %bb.614:
	global_load_ubyte v3, v[0:1], off
	s_movk_i32 s2, 0x7f
	s_waitcnt vmcnt(0)
	v_cmp_lt_i16_e32 vcc, s2, v3
	s_mov_b64 s[2:3], 0
	s_and_saveexec_b64 s[6:7], vcc
	s_xor_b64 s[6:7], exec, s[6:7]
	s_cbranch_execz .LBB193_618
; %bb.615:
	s_movk_i32 s2, 0x80
	v_cmp_eq_u16_e32 vcc, s2, v3
	s_mov_b64 s[2:3], -1
	s_and_saveexec_b64 s[8:9], vcc
; %bb.616:
	s_xor_b64 s[2:3], exec, -1
; %bb.617:
	s_or_b64 exec, exec, s[8:9]
	s_and_b64 s[2:3], s[2:3], exec
.LBB193_618:
	s_or_saveexec_b64 s[6:7], s[6:7]
	v_bfrev_b32_e32 v4, 4
	v_mov_b32_e32 v5, 0x7ff80000
	s_xor_b64 exec, exec, s[6:7]
; %bb.619:
	v_cmp_ne_u16_e32 vcc, 0, v3
	s_andn2_b64 s[2:3], s[2:3], exec
	s_and_b64 s[8:9], vcc, exec
	v_mov_b64_e32 v[4:5], 0
	s_or_b64 s[2:3], s[2:3], s[8:9]
; %bb.620:
	s_or_b64 exec, exec, s[6:7]
	s_and_saveexec_b64 s[6:7], s[2:3]
	s_cbranch_execz .LBB193_622
; %bb.621:
	v_lshlrev_b32_e32 v4, 24, v3
	v_and_b32_e32 v3, 0xffff, v3
	v_and_b32_e32 v5, 3, v3
	v_ffbh_u32_e32 v7, v5
	v_min_u32_e32 v7, 32, v7
	v_subrev_u32_e32 v8, 29, v7
	v_bfe_u32 v6, v3, 2, 5
	v_lshlrev_b32_e32 v3, v8, v3
	v_sub_u32_e32 v7, 30, v7
	v_and_b32_e32 v3, 3, v3
	v_cmp_eq_u32_e32 vcc, 0, v6
	v_and_b32_e32 v4, 0x80000000, v4
	s_nop 0
	v_cndmask_b32_e32 v6, v6, v7, vcc
	v_cndmask_b32_e32 v3, v5, v3, vcc
	v_mov_b32_e32 v5, 0x37800000
	v_lshlrev_b32_e32 v3, 21, v3
	v_lshl_add_u32 v5, v6, 23, v5
	v_or3_b32 v3, v4, v5, v3
	v_cvt_f64_f32_e32 v[4:5], v3
.LBB193_622:
	s_or_b64 exec, exec, s[6:7]
	s_mov_b64 s[2:3], 0
	s_branch .LBB193_626
.LBB193_623:
	s_mov_b64 s[6:7], -1
                                        ; implicit-def: $vgpr4_vgpr5
	s_branch .LBB193_632
.LBB193_624:
	s_mov_b64 s[2:3], -1
                                        ; implicit-def: $vgpr4_vgpr5
	s_branch .LBB193_629
.LBB193_625:
	s_mov_b64 s[2:3], -1
                                        ; implicit-def: $vgpr4_vgpr5
.LBB193_626:
	s_and_b64 vcc, exec, s[2:3]
	s_cbranch_vccz .LBB193_628
; %bb.627:
	global_load_ubyte v3, v[0:1], off
	s_mov_b32 s2, 0x7f800000
	s_waitcnt vmcnt(0)
	v_lshlrev_b32_e32 v3, 24, v3
	v_and_b32_e32 v4, 0x7f000000, v3
	v_ffbh_u32_e32 v5, v4
	v_min_u32_e32 v5, 32, v5
	v_sub_u32_e64 v5, v5, 4 clamp
	v_lshlrev_b32_e32 v7, v5, v4
	v_lshlrev_b32_e32 v5, 23, v5
	v_lshrrev_b32_e32 v7, 4, v7
	v_add_u32_e32 v6, 0x1000000, v4
	v_sub_u32_e32 v5, v7, v5
	v_ashrrev_i32_e32 v6, 8, v6
	v_add_u32_e32 v5, 0x3c000000, v5
	v_and_or_b32 v5, v6, s2, v5
	v_cmp_ne_u32_e32 vcc, 0, v4
	s_brev_b32 s2, 1
	s_nop 0
	v_cndmask_b32_e32 v4, 0, v5, vcc
	v_and_or_b32 v3, v3, s2, v4
	v_cvt_f64_f32_e32 v[4:5], v3
.LBB193_628:
	s_mov_b64 s[2:3], 0
.LBB193_629:
	s_andn2_b64 vcc, exec, s[2:3]
	s_cbranch_vccnz .LBB193_631
; %bb.630:
	global_load_ubyte v3, v[0:1], off
	s_movk_i32 s2, 0x7f00
	s_brev_b32 s3, 16
	s_waitcnt vmcnt(0)
	v_lshlrev_b16_e32 v4, 8, v3
	v_lshlrev_b32_e32 v3, 25, v3
	v_lshrrev_b32_e32 v5, 4, v3
	v_and_or_b32 v6, v4, s2, 0.5
	v_or_b32_e32 v5, 0x70000000, v5
	v_add_f32_e32 v6, -0.5, v6
	v_mul_f32_e32 v5, 0x7800000, v5
	v_cmp_gt_u32_e32 vcc, s3, v3
	v_bfe_i32 v4, v4, 0, 16
	s_brev_b32 s2, 1
	v_cndmask_b32_e32 v3, v5, v6, vcc
	v_and_or_b32 v3, v4, s2, v3
	v_cvt_f64_f32_e32 v[4:5], v3
.LBB193_631:
	s_mov_b64 s[6:7], 0
	s_mov_b64 s[2:3], -1
.LBB193_632:
	s_andn2_b64 vcc, exec, s[6:7]
	s_cbranch_vccnz .LBB193_643
; %bb.633:
	s_cmp_gt_i32 s10, 14
	s_cbranch_scc0 .LBB193_636
; %bb.634:
	s_cmp_eq_u32 s10, 15
	s_cbranch_scc0 .LBB193_637
; %bb.635:
	global_load_ushort v3, v[0:1], off
	s_mov_b64 s[2:3], -1
	s_mov_b64 s[4:5], 0
	s_waitcnt vmcnt(0)
	v_lshlrev_b32_e32 v3, 16, v3
	v_cvt_f64_f32_e32 v[4:5], v3
	s_branch .LBB193_638
.LBB193_636:
	s_mov_b64 s[6:7], -1
                                        ; implicit-def: $vgpr4_vgpr5
	s_branch .LBB193_639
.LBB193_637:
	s_mov_b64 s[4:5], -1
                                        ; implicit-def: $vgpr4_vgpr5
.LBB193_638:
	s_mov_b64 s[6:7], 0
.LBB193_639:
	s_and_b64 vcc, exec, s[6:7]
	s_cbranch_vccz .LBB193_643
; %bb.640:
	s_cmp_eq_u32 s10, 11
	s_cbranch_scc0 .LBB193_642
; %bb.641:
	global_load_ubyte v3, v[0:1], off
	s_waitcnt vmcnt(1)
	v_mov_b32_e32 v5, 0x3ff00000
	v_mov_b32_e32 v4, 0
	s_mov_b64 s[2:3], -1
	s_mov_b64 s[4:5], 0
	s_waitcnt vmcnt(0)
	v_cmp_ne_u16_e32 vcc, 0, v3
	s_nop 1
	v_cndmask_b32_e32 v5, 0, v5, vcc
	s_branch .LBB193_643
.LBB193_642:
	s_mov_b64 s[4:5], -1
                                        ; implicit-def: $vgpr4_vgpr5
.LBB193_643:
	s_mov_b64 s[6:7], 0
.LBB193_644:
	s_and_b64 vcc, exec, s[6:7]
	s_cbranch_vccz .LBB193_693
; %bb.645:
	s_cmp_lt_i32 s10, 5
	s_cbranch_scc1 .LBB193_650
; %bb.646:
	s_cmp_lt_i32 s10, 8
	s_cbranch_scc1 .LBB193_651
; %bb.647:
	s_cmp_lt_i32 s10, 9
	s_cbranch_scc1 .LBB193_652
; %bb.648:
	s_cmp_gt_i32 s10, 9
	s_cbranch_scc0 .LBB193_653
; %bb.649:
	global_load_dwordx2 v[4:5], v[0:1], off
	s_mov_b64 s[2:3], 0
	s_branch .LBB193_654
.LBB193_650:
	s_mov_b64 s[2:3], -1
                                        ; implicit-def: $vgpr4_vgpr5
	s_branch .LBB193_672
.LBB193_651:
	s_mov_b64 s[2:3], -1
                                        ; implicit-def: $vgpr4_vgpr5
	s_branch .LBB193_660
.LBB193_652:
	s_mov_b64 s[2:3], -1
                                        ; implicit-def: $vgpr4_vgpr5
	s_branch .LBB193_657
.LBB193_653:
	s_mov_b64 s[2:3], -1
                                        ; implicit-def: $vgpr4_vgpr5
.LBB193_654:
	s_andn2_b64 vcc, exec, s[2:3]
	s_cbranch_vccnz .LBB193_656
; %bb.655:
	global_load_dword v3, v[0:1], off
	s_waitcnt vmcnt(0)
	v_cvt_f64_f32_e32 v[4:5], v3
.LBB193_656:
	s_mov_b64 s[2:3], 0
.LBB193_657:
	s_andn2_b64 vcc, exec, s[2:3]
	s_cbranch_vccnz .LBB193_659
; %bb.658:
	global_load_dword v3, v[0:1], off
	s_waitcnt vmcnt(0)
	v_cvt_f32_f16_e32 v3, v3
	v_cvt_f64_f32_e32 v[4:5], v3
.LBB193_659:
	s_mov_b64 s[2:3], 0
.LBB193_660:
	s_andn2_b64 vcc, exec, s[2:3]
	s_cbranch_vccnz .LBB193_671
; %bb.661:
	s_cmp_lt_i32 s10, 6
	s_cbranch_scc1 .LBB193_664
; %bb.662:
	s_cmp_gt_i32 s10, 6
	s_cbranch_scc0 .LBB193_665
; %bb.663:
	global_load_dwordx2 v[4:5], v[0:1], off
	s_mov_b64 s[2:3], 0
	s_branch .LBB193_666
.LBB193_664:
	s_mov_b64 s[2:3], -1
                                        ; implicit-def: $vgpr4_vgpr5
	s_branch .LBB193_669
.LBB193_665:
	s_mov_b64 s[2:3], -1
                                        ; implicit-def: $vgpr4_vgpr5
.LBB193_666:
	s_andn2_b64 vcc, exec, s[2:3]
	s_cbranch_vccnz .LBB193_668
; %bb.667:
	global_load_dword v3, v[0:1], off
	s_waitcnt vmcnt(0)
	v_cvt_f64_f32_e32 v[4:5], v3
.LBB193_668:
	s_mov_b64 s[2:3], 0
.LBB193_669:
	s_andn2_b64 vcc, exec, s[2:3]
	s_cbranch_vccnz .LBB193_671
; %bb.670:
	global_load_ushort v3, v[0:1], off
	s_waitcnt vmcnt(0)
	v_cvt_f32_f16_e32 v3, v3
	v_cvt_f64_f32_e32 v[4:5], v3
.LBB193_671:
	s_mov_b64 s[2:3], 0
.LBB193_672:
	s_andn2_b64 vcc, exec, s[2:3]
	s_cbranch_vccnz .LBB193_692
; %bb.673:
	s_cmp_lt_i32 s10, 2
	s_cbranch_scc1 .LBB193_677
; %bb.674:
	s_cmp_lt_i32 s10, 3
	s_cbranch_scc1 .LBB193_678
; %bb.675:
	s_cmp_gt_i32 s10, 3
	s_cbranch_scc0 .LBB193_679
; %bb.676:
	global_load_dwordx2 v[4:5], v[0:1], off
	s_mov_b64 s[2:3], 0
	s_waitcnt vmcnt(0)
	v_cvt_f64_i32_e32 v[6:7], v5
	v_cvt_f64_u32_e32 v[4:5], v4
	v_ldexp_f64 v[6:7], v[6:7], 32
	v_add_f64 v[4:5], v[6:7], v[4:5]
	s_branch .LBB193_680
.LBB193_677:
	s_mov_b64 s[2:3], -1
                                        ; implicit-def: $vgpr4_vgpr5
	s_branch .LBB193_686
.LBB193_678:
	s_mov_b64 s[2:3], -1
                                        ; implicit-def: $vgpr4_vgpr5
	s_branch .LBB193_683
.LBB193_679:
	s_mov_b64 s[2:3], -1
                                        ; implicit-def: $vgpr4_vgpr5
.LBB193_680:
	s_andn2_b64 vcc, exec, s[2:3]
	s_cbranch_vccnz .LBB193_682
; %bb.681:
	global_load_dword v3, v[0:1], off
	s_waitcnt vmcnt(0)
	v_cvt_f64_i32_e32 v[4:5], v3
.LBB193_682:
	s_mov_b64 s[2:3], 0
.LBB193_683:
	s_andn2_b64 vcc, exec, s[2:3]
	s_cbranch_vccnz .LBB193_685
; %bb.684:
	global_load_sshort v3, v[0:1], off
	s_waitcnt vmcnt(0)
	v_cvt_f64_i32_e32 v[4:5], v3
.LBB193_685:
	s_mov_b64 s[2:3], 0
.LBB193_686:
	s_andn2_b64 vcc, exec, s[2:3]
	s_cbranch_vccnz .LBB193_692
; %bb.687:
	s_cmp_gt_i32 s10, 0
	s_cbranch_scc0 .LBB193_689
; %bb.688:
	global_load_sbyte v3, v[0:1], off
	s_mov_b64 s[2:3], 0
	s_waitcnt vmcnt(0)
	v_cvt_f64_i32_e32 v[4:5], v3
	s_branch .LBB193_690
.LBB193_689:
	s_mov_b64 s[2:3], -1
                                        ; implicit-def: $vgpr4_vgpr5
.LBB193_690:
	s_andn2_b64 vcc, exec, s[2:3]
	s_cbranch_vccnz .LBB193_692
; %bb.691:
	global_load_ubyte v0, v[0:1], off
	s_waitcnt vmcnt(0)
	v_cvt_f64_u32_e32 v[4:5], v0
.LBB193_692:
	s_mov_b64 s[2:3], -1
.LBB193_693:
	s_andn2_b64 vcc, exec, s[2:3]
	s_cbranch_vccnz .LBB193_701
; %bb.694:
	s_waitcnt vmcnt(0)
	v_rsq_f64_e32 v[0:1], v[4:5]
	s_mov_b32 s2, 0
	s_mov_b32 s3, 0x3fd80000
	v_mov_b32_e32 v3, 0x180
	v_mul_f64 v[4:5], v[0:1], -v[4:5]
	v_fma_f64 v[4:5], v[4:5], v[0:1], 1.0
	v_mul_f64 v[6:7], v[0:1], v[4:5]
	v_fma_f64 v[4:5], v[4:5], s[2:3], 0.5
	v_fma_f64 v[4:5], v[6:7], v[4:5], v[0:1]
	v_cmp_class_f64_e32 vcc, v[0:1], v3
	v_mov_b32_e32 v3, 0
	s_and_b32 s12, s73, 0xff
	v_cndmask_b32_e32 v1, v1, v5, vcc
	v_cndmask_b32_e32 v0, v0, v4, vcc
	s_cmp_lt_i32 s12, 11
	v_lshl_add_u64 v[4:5], s[20:21], 0, v[2:3]
	s_cbranch_scc1 .LBB193_702
; %bb.695:
	s_and_b32 s13, 0xffff, s12
	s_cmp_gt_i32 s13, 25
	s_cbranch_scc0 .LBB193_703
; %bb.696:
	s_cmp_gt_i32 s13, 28
	s_cbranch_scc0 .LBB193_704
; %bb.697:
	;; [unrolled: 3-line block ×4, first 2 shown]
	s_mov_b64 s[8:9], 0
	s_mov_b64 s[2:3], -1
	s_cmp_eq_u32 s13, 46
	s_mov_b64 s[6:7], 0
	s_cbranch_scc0 .LBB193_707
; %bb.700:
	v_cvt_f32_f64_e32 v2, v[0:1]
	v_bfe_u32 v3, v2, 16, 1
	s_movk_i32 s2, 0x7fff
	v_add3_u32 v3, v2, v3, s2
	v_cmp_o_f32_e32 vcc, v2, v2
	v_mov_b32_e32 v2, 0x7fc0
	s_mov_b64 s[6:7], -1
	v_cndmask_b32_sdwa v2, v2, v3, vcc dst_sel:DWORD dst_unused:UNUSED_PAD src0_sel:DWORD src1_sel:WORD_1
	global_store_dword v[4:5], v2, off
	s_mov_b64 s[2:3], 0
	s_branch .LBB193_707
.LBB193_701:
	s_mov_b64 s[6:7], 0
	s_mov_b64 s[2:3], s[62:63]
	s_branch .LBB193_818
.LBB193_702:
	s_mov_b64 s[8:9], -1
	s_mov_b64 s[6:7], 0
	s_mov_b64 s[2:3], s[62:63]
	s_branch .LBB193_776
.LBB193_703:
	s_mov_b64 s[8:9], -1
	s_mov_b64 s[6:7], 0
	s_mov_b64 s[2:3], s[62:63]
	s_branch .LBB193_734
.LBB193_704:
	s_mov_b64 s[8:9], -1
	s_mov_b64 s[6:7], 0
	s_mov_b64 s[2:3], s[62:63]
	s_branch .LBB193_717
.LBB193_705:
	s_mov_b64 s[8:9], -1
	s_mov_b64 s[6:7], 0
	s_mov_b64 s[2:3], s[62:63]
	s_branch .LBB193_713
.LBB193_706:
	s_mov_b64 s[8:9], -1
	s_mov_b64 s[6:7], 0
	s_mov_b64 s[2:3], s[62:63]
.LBB193_707:
	s_and_b64 vcc, exec, s[8:9]
	s_cbranch_vccz .LBB193_712
; %bb.708:
	s_cmp_eq_u32 s13, 44
	s_mov_b64 s[2:3], -1
	s_cbranch_scc0 .LBB193_712
; %bb.709:
	v_cvt_f32_f64_e32 v2, v[0:1]
	v_bfe_u32 v3, v2, 23, 8
	s_movk_i32 s2, 0xff
	v_cmp_ne_u32_e32 vcc, s2, v3
	v_mov_b32_e32 v6, 0xff
	s_and_saveexec_b64 s[6:7], vcc
; %bb.710:
	s_mov_b32 s2, 0x3fffff
	v_lshrrev_b32_e32 v6, 23, v2
	v_and_b32_e32 v7, 0x400000, v2
	v_and_or_b32 v2, v2, s2, v3
	v_cmp_ne_u32_e32 vcc, 0, v7
	v_cmp_ne_u32_e64 s[2:3], 0, v2
	s_and_b64 s[2:3], vcc, s[2:3]
	s_nop 0
	v_cndmask_b32_e64 v2, 0, 1, s[2:3]
	v_add_u32_e32 v6, v6, v2
; %bb.711:
	s_or_b64 exec, exec, s[6:7]
	s_mov_b64 s[6:7], -1
	s_mov_b64 s[2:3], 0
	global_store_byte v[4:5], v6, off
.LBB193_712:
	s_mov_b64 s[8:9], 0
.LBB193_713:
	s_and_b64 vcc, exec, s[8:9]
	s_cbranch_vccz .LBB193_716
; %bb.714:
	s_cmp_eq_u32 s13, 29
	s_mov_b64 s[2:3], -1
	s_cbranch_scc0 .LBB193_716
; %bb.715:
	v_trunc_f64_e32 v[2:3], v[0:1]
	s_movk_i32 s2, 0xffe0
	v_ldexp_f64 v[6:7], v[2:3], s2
	v_floor_f64_e32 v[6:7], v[6:7]
	v_fmac_f64_e32 v[2:3], 0xc1f00000, v[6:7]
	v_cvt_u32_f64_e32 v9, v[6:7]
	v_cvt_u32_f64_e32 v8, v[2:3]
	global_store_dwordx2 v[4:5], v[8:9], off
	s_mov_b64 s[6:7], -1
	s_mov_b64 s[2:3], 0
.LBB193_716:
	s_mov_b64 s[8:9], 0
.LBB193_717:
	s_and_b64 vcc, exec, s[8:9]
	s_cbranch_vccz .LBB193_733
; %bb.718:
	s_cmp_lt_i32 s13, 27
	s_mov_b64 s[6:7], -1
	s_cbranch_scc1 .LBB193_724
; %bb.719:
	s_cmp_gt_i32 s13, 27
	v_cvt_u32_f64_e32 v2, v[0:1]
	s_cbranch_scc0 .LBB193_721
; %bb.720:
	s_mov_b64 s[6:7], 0
	global_store_dword v[4:5], v2, off
.LBB193_721:
	s_andn2_b64 vcc, exec, s[6:7]
	s_cbranch_vccnz .LBB193_723
; %bb.722:
	global_store_short v[4:5], v2, off
.LBB193_723:
	s_mov_b64 s[6:7], 0
.LBB193_724:
	s_andn2_b64 vcc, exec, s[6:7]
	s_cbranch_vccnz .LBB193_732
; %bb.725:
	v_cvt_f32_f64_e32 v2, v[0:1]
	v_and_b32_e32 v3, 0x7fffffff, v2
	s_mov_b32 s6, 0x43800000
	v_cmp_gt_u32_e32 vcc, s6, v3
	v_mov_b32_e32 v6, 0x80
	s_and_saveexec_b64 s[6:7], vcc
	s_cbranch_execz .LBB193_731
; %bb.726:
	s_mov_b32 s8, 0x3bffffff
	v_cmp_lt_u32_e32 vcc, s8, v3
	s_mov_b64 s[8:9], 0
                                        ; implicit-def: $vgpr3
	s_and_saveexec_b64 s[10:11], vcc
	s_xor_b64 s[10:11], exec, s[10:11]
	s_cbranch_execz .LBB193_849
; %bb.727:
	v_bfe_u32 v3, v2, 20, 1
	s_mov_b32 s14, 0x487ffff
	v_add3_u32 v3, v2, v3, s14
	s_mov_b64 s[8:9], exec
	v_lshrrev_b32_e32 v3, 20, v3
	s_andn2_saveexec_b64 s[10:11], s[10:11]
	s_cbranch_execnz .LBB193_850
.LBB193_728:
	s_or_b64 exec, exec, s[10:11]
	v_mov_b32_e32 v6, 0
	s_and_saveexec_b64 s[10:11], s[8:9]
.LBB193_729:
	v_lshrrev_b32_e32 v2, 24, v2
	s_movk_i32 s8, 0x80
	v_and_or_b32 v6, v2, s8, v3
.LBB193_730:
	s_or_b64 exec, exec, s[10:11]
.LBB193_731:
	s_or_b64 exec, exec, s[6:7]
	global_store_byte v[4:5], v6, off
.LBB193_732:
	s_mov_b64 s[6:7], -1
.LBB193_733:
	s_mov_b64 s[8:9], 0
.LBB193_734:
	s_and_b64 vcc, exec, s[8:9]
	s_cbranch_vccz .LBB193_775
; %bb.735:
	s_cmp_gt_i32 s13, 22
	s_mov_b64 s[8:9], -1
	s_cbranch_scc0 .LBB193_767
; %bb.736:
	s_cmp_lt_i32 s13, 24
	s_mov_b64 s[6:7], -1
	s_cbranch_scc1 .LBB193_756
; %bb.737:
	s_cmp_gt_i32 s13, 24
	s_cbranch_scc0 .LBB193_745
; %bb.738:
	v_cvt_f32_f64_e32 v2, v[0:1]
	v_and_b32_e32 v3, 0x7fffffff, v2
	s_mov_b32 s6, 0x47800000
	v_cmp_gt_u32_e32 vcc, s6, v3
	v_mov_b32_e32 v6, 0x80
	s_and_saveexec_b64 s[6:7], vcc
	s_cbranch_execz .LBB193_744
; %bb.739:
	s_mov_b32 s8, 0x37ffffff
	v_cmp_lt_u32_e32 vcc, s8, v3
	s_mov_b64 s[8:9], 0
                                        ; implicit-def: $vgpr3
	s_and_saveexec_b64 s[10:11], vcc
	s_xor_b64 s[10:11], exec, s[10:11]
	s_cbranch_execz .LBB193_852
; %bb.740:
	v_bfe_u32 v3, v2, 21, 1
	s_mov_b32 s14, 0x88fffff
	v_add3_u32 v3, v2, v3, s14
	s_mov_b64 s[8:9], exec
	v_lshrrev_b32_e32 v3, 21, v3
	s_andn2_saveexec_b64 s[10:11], s[10:11]
	s_cbranch_execnz .LBB193_853
.LBB193_741:
	s_or_b64 exec, exec, s[10:11]
	v_mov_b32_e32 v6, 0
	s_and_saveexec_b64 s[10:11], s[8:9]
.LBB193_742:
	v_lshrrev_b32_e32 v2, 24, v2
	s_movk_i32 s8, 0x80
	v_and_or_b32 v6, v2, s8, v3
.LBB193_743:
	s_or_b64 exec, exec, s[10:11]
.LBB193_744:
	s_or_b64 exec, exec, s[6:7]
	s_mov_b64 s[6:7], 0
	global_store_byte v[4:5], v6, off
.LBB193_745:
	s_and_b64 vcc, exec, s[6:7]
	s_cbranch_vccz .LBB193_755
; %bb.746:
	v_cvt_f32_f64_e32 v2, v[0:1]
	v_and_b32_e32 v6, 0x7fffffff, v2
	s_mov_b32 s6, 0x43f00000
	v_cmp_gt_u32_e32 vcc, s6, v6
                                        ; implicit-def: $vgpr3
	s_and_saveexec_b64 s[6:7], vcc
	s_xor_b64 s[6:7], exec, s[6:7]
	s_cbranch_execz .LBB193_752
; %bb.747:
	s_mov_b32 s8, 0x3c7fffff
	v_cmp_lt_u32_e32 vcc, s8, v6
                                        ; implicit-def: $vgpr3
	s_and_saveexec_b64 s[8:9], vcc
	s_xor_b64 s[8:9], exec, s[8:9]
; %bb.748:
	v_bfe_u32 v3, v2, 20, 1
	s_mov_b32 s10, 0x407ffff
	v_add3_u32 v3, v2, v3, s10
	v_lshrrev_b32_e32 v6, 20, v3
	v_and_b32_e32 v3, 0xff00000, v3
	s_mov_b32 s10, 0x7f00000
	v_mov_b32_e32 v7, 0x7e
	v_cmp_ne_u32_e32 vcc, s10, v3
	s_nop 1
	v_cndmask_b32_e32 v3, v7, v6, vcc
; %bb.749:
	s_andn2_saveexec_b64 s[8:9], s[8:9]
; %bb.750:
	s_mov_b32 s10, 0x46800000
	v_add_f32_e64 v3, |v2|, s10
; %bb.751:
	s_or_b64 exec, exec, s[8:9]
                                        ; implicit-def: $vgpr6
.LBB193_752:
	s_andn2_saveexec_b64 s[6:7], s[6:7]
; %bb.753:
	s_mov_b32 s8, 0x7f800000
	v_mov_b32_e32 v3, 0x7e
	v_mov_b32_e32 v7, 0x7f
	v_cmp_lt_u32_e32 vcc, s8, v6
	s_nop 1
	v_cndmask_b32_e32 v3, v3, v7, vcc
; %bb.754:
	s_or_b64 exec, exec, s[6:7]
	v_lshrrev_b32_e32 v2, 24, v2
	s_movk_i32 s6, 0x80
	v_and_or_b32 v2, v2, s6, v3
	global_store_byte v[4:5], v2, off
.LBB193_755:
	s_mov_b64 s[6:7], 0
.LBB193_756:
	s_andn2_b64 vcc, exec, s[6:7]
	s_cbranch_vccnz .LBB193_766
; %bb.757:
	v_cvt_f32_f64_e32 v2, v[0:1]
	v_and_b32_e32 v6, 0x7fffffff, v2
	s_mov_b32 s6, 0x47800000
	v_cmp_gt_u32_e32 vcc, s6, v6
                                        ; implicit-def: $vgpr3
	s_and_saveexec_b64 s[6:7], vcc
	s_xor_b64 s[6:7], exec, s[6:7]
	s_cbranch_execz .LBB193_763
; %bb.758:
	s_mov_b32 s8, 0x387fffff
	v_cmp_lt_u32_e32 vcc, s8, v6
                                        ; implicit-def: $vgpr3
	s_and_saveexec_b64 s[8:9], vcc
	s_xor_b64 s[8:9], exec, s[8:9]
; %bb.759:
	v_bfe_u32 v3, v2, 21, 1
	s_mov_b32 s10, 0x80fffff
	v_add3_u32 v3, v2, v3, s10
	v_lshrrev_b32_e32 v3, 21, v3
; %bb.760:
	s_andn2_saveexec_b64 s[8:9], s[8:9]
; %bb.761:
	s_mov_b32 s10, 0x43000000
	v_add_f32_e64 v3, |v2|, s10
; %bb.762:
	s_or_b64 exec, exec, s[8:9]
                                        ; implicit-def: $vgpr6
.LBB193_763:
	s_andn2_saveexec_b64 s[6:7], s[6:7]
; %bb.764:
	s_mov_b32 s8, 0x7f800000
	v_mov_b32_e32 v3, 0x7c
	v_mov_b32_e32 v7, 0x7f
	v_cmp_lt_u32_e32 vcc, s8, v6
	s_nop 1
	v_cndmask_b32_e32 v3, v3, v7, vcc
; %bb.765:
	s_or_b64 exec, exec, s[6:7]
	v_lshrrev_b32_e32 v2, 24, v2
	s_movk_i32 s6, 0x80
	v_and_or_b32 v2, v2, s6, v3
	global_store_byte v[4:5], v2, off
.LBB193_766:
	s_mov_b64 s[8:9], 0
	s_mov_b64 s[6:7], -1
.LBB193_767:
	s_andn2_b64 vcc, exec, s[8:9]
	s_cbranch_vccnz .LBB193_775
; %bb.768:
	s_cmp_gt_i32 s13, 14
	s_mov_b64 s[8:9], -1
	s_cbranch_scc0 .LBB193_772
; %bb.769:
	s_cmp_eq_u32 s13, 15
	s_mov_b64 s[2:3], -1
	s_cbranch_scc0 .LBB193_771
; %bb.770:
	v_cvt_f32_f64_e32 v2, v[0:1]
	v_bfe_u32 v3, v2, 16, 1
	s_movk_i32 s2, 0x7fff
	v_add3_u32 v3, v2, v3, s2
	v_cmp_o_f32_e32 vcc, v2, v2
	v_mov_b32_e32 v2, 0x7fc0
	s_mov_b64 s[6:7], -1
	v_cndmask_b32_sdwa v2, v2, v3, vcc dst_sel:DWORD dst_unused:UNUSED_PAD src0_sel:DWORD src1_sel:WORD_1
	global_store_short v[4:5], v2, off
	s_mov_b64 s[2:3], 0
.LBB193_771:
	s_mov_b64 s[8:9], 0
.LBB193_772:
	s_and_b64 vcc, exec, s[8:9]
	s_cbranch_vccz .LBB193_775
; %bb.773:
	s_cmp_eq_u32 s13, 11
	s_mov_b64 s[2:3], -1
	s_cbranch_scc0 .LBB193_775
; %bb.774:
	v_cmp_neq_f64_e32 vcc, 0, v[0:1]
	s_mov_b64 s[2:3], 0
	s_mov_b64 s[6:7], -1
	v_cndmask_b32_e64 v2, 0, 1, vcc
	global_store_byte v[4:5], v2, off
.LBB193_775:
	s_mov_b64 s[8:9], 0
.LBB193_776:
	s_and_b64 vcc, exec, s[8:9]
	s_cbranch_vccz .LBB193_815
; %bb.777:
	s_and_b32 s8, 0xffff, s12
	s_cmp_lt_i32 s8, 5
	s_mov_b64 s[6:7], -1
	s_cbranch_scc1 .LBB193_798
; %bb.778:
	s_cmp_lt_i32 s8, 8
	s_cbranch_scc1 .LBB193_788
; %bb.779:
	s_cmp_lt_i32 s8, 9
	s_cbranch_scc1 .LBB193_785
; %bb.780:
	s_cmp_gt_i32 s8, 9
	s_cbranch_scc0 .LBB193_782
; %bb.781:
	v_mov_b32_e32 v2, 0
	v_mov_b32_e32 v3, v2
	s_mov_b64 s[6:7], 0
	global_store_dwordx4 v[4:5], v[0:3], off
.LBB193_782:
	s_andn2_b64 vcc, exec, s[6:7]
	s_cbranch_vccnz .LBB193_784
; %bb.783:
	v_cvt_f32_f64_e32 v2, v[0:1]
	v_mov_b32_e32 v3, 0
	global_store_dwordx2 v[4:5], v[2:3], off
.LBB193_784:
	s_mov_b64 s[6:7], 0
.LBB193_785:
	s_andn2_b64 vcc, exec, s[6:7]
	s_cbranch_vccnz .LBB193_787
; %bb.786:
	s_movk_i32 s6, 0x1ff
	v_and_or_b32 v2, v1, s6, v0
	v_cmp_ne_u32_e32 vcc, 0, v2
	v_lshrrev_b32_e32 v3, 8, v1
	s_movk_i32 s6, 0xffe
	v_cndmask_b32_e64 v2, 0, 1, vcc
	v_bfe_u32 v6, v1, 20, 11
	v_and_or_b32 v2, v3, s6, v2
	v_sub_u32_e32 v7, 0x3f1, v6
	v_or_b32_e32 v3, 0x1000, v2
	v_med3_i32 v7, v7, 0, 13
	v_lshrrev_b32_e32 v8, v7, v3
	v_lshlrev_b32_e32 v7, v7, v8
	v_cmp_ne_u32_e32 vcc, v7, v3
	v_add_u32_e32 v6, 0xfffffc10, v6
	v_lshl_or_b32 v7, v6, 12, v2
	v_cndmask_b32_e64 v3, 0, 1, vcc
	v_or_b32_e32 v3, v8, v3
	v_cmp_gt_i32_e32 vcc, 1, v6
	s_movk_i32 s6, 0x40f
	s_nop 0
	v_cndmask_b32_e32 v3, v7, v3, vcc
	v_and_b32_e32 v7, 7, v3
	v_cmp_lt_i32_e32 vcc, 5, v7
	v_lshrrev_b32_e32 v3, 2, v3
	s_nop 0
	v_cndmask_b32_e64 v8, 0, 1, vcc
	v_cmp_eq_u32_e32 vcc, 3, v7
	s_nop 1
	v_cndmask_b32_e64 v7, 0, 1, vcc
	v_or_b32_e32 v7, v7, v8
	v_add_u32_e32 v3, v3, v7
	v_mov_b32_e32 v7, 0x7c00
	v_cmp_gt_i32_e32 vcc, 31, v6
	v_mov_b32_e32 v8, 0x7e00
	s_nop 0
	v_cndmask_b32_e32 v3, v7, v3, vcc
	v_cmp_ne_u32_e32 vcc, 0, v2
	s_nop 1
	v_cndmask_b32_e32 v2, v7, v8, vcc
	v_cmp_eq_u32_e32 vcc, s6, v6
	s_mov_b32 s6, 0x8000
	s_nop 0
	v_cndmask_b32_e32 v2, v3, v2, vcc
	v_and_b32_sdwa v3, v1, s6 dst_sel:DWORD dst_unused:UNUSED_PAD src0_sel:WORD_1 src1_sel:DWORD
	s_mov_b32 s6, 0xffff
	v_bitop3_b32 v2, v3, s6, v2 bitop3:0xc8
	global_store_dword v[4:5], v2, off
.LBB193_787:
	s_mov_b64 s[6:7], 0
.LBB193_788:
	s_andn2_b64 vcc, exec, s[6:7]
	s_cbranch_vccnz .LBB193_797
; %bb.789:
	s_cmp_lt_i32 s8, 6
	s_mov_b64 s[6:7], -1
	s_cbranch_scc1 .LBB193_795
; %bb.790:
	s_cmp_gt_i32 s8, 6
	s_cbranch_scc0 .LBB193_792
; %bb.791:
	s_mov_b64 s[6:7], 0
	global_store_dwordx2 v[4:5], v[0:1], off
.LBB193_792:
	s_andn2_b64 vcc, exec, s[6:7]
	s_cbranch_vccnz .LBB193_794
; %bb.793:
	v_cvt_f32_f64_e32 v2, v[0:1]
	global_store_dword v[4:5], v2, off
.LBB193_794:
	s_mov_b64 s[6:7], 0
.LBB193_795:
	s_andn2_b64 vcc, exec, s[6:7]
	s_cbranch_vccnz .LBB193_797
; %bb.796:
	s_movk_i32 s6, 0x1ff
	v_and_or_b32 v2, v1, s6, v0
	v_cmp_ne_u32_e32 vcc, 0, v2
	v_lshrrev_b32_e32 v3, 8, v1
	s_movk_i32 s6, 0xffe
	v_cndmask_b32_e64 v2, 0, 1, vcc
	v_bfe_u32 v6, v1, 20, 11
	v_and_or_b32 v2, v3, s6, v2
	v_sub_u32_e32 v7, 0x3f1, v6
	v_or_b32_e32 v3, 0x1000, v2
	v_med3_i32 v7, v7, 0, 13
	v_lshrrev_b32_e32 v8, v7, v3
	v_lshlrev_b32_e32 v7, v7, v8
	v_cmp_ne_u32_e32 vcc, v7, v3
	v_add_u32_e32 v6, 0xfffffc10, v6
	v_lshl_or_b32 v7, v6, 12, v2
	v_cndmask_b32_e64 v3, 0, 1, vcc
	v_or_b32_e32 v3, v8, v3
	v_cmp_gt_i32_e32 vcc, 1, v6
	s_movk_i32 s6, 0x40f
	s_nop 0
	v_cndmask_b32_e32 v3, v7, v3, vcc
	v_and_b32_e32 v7, 7, v3
	v_cmp_lt_i32_e32 vcc, 5, v7
	v_lshrrev_b32_e32 v3, 2, v3
	s_nop 0
	v_cndmask_b32_e64 v8, 0, 1, vcc
	v_cmp_eq_u32_e32 vcc, 3, v7
	s_nop 1
	v_cndmask_b32_e64 v7, 0, 1, vcc
	v_or_b32_e32 v7, v7, v8
	v_add_u32_e32 v3, v3, v7
	v_mov_b32_e32 v7, 0x7c00
	v_cmp_gt_i32_e32 vcc, 31, v6
	v_mov_b32_e32 v8, 0x7e00
	s_nop 0
	v_cndmask_b32_e32 v3, v7, v3, vcc
	v_cmp_ne_u32_e32 vcc, 0, v2
	s_nop 1
	v_cndmask_b32_e32 v2, v7, v8, vcc
	v_cmp_eq_u32_e32 vcc, s6, v6
	s_mov_b32 s6, 0x8000
	s_nop 0
	v_cndmask_b32_e32 v2, v3, v2, vcc
	v_lshrrev_b32_e32 v3, 16, v1
	v_and_or_b32 v2, v3, s6, v2
	global_store_short v[4:5], v2, off
.LBB193_797:
	s_mov_b64 s[6:7], 0
.LBB193_798:
	s_andn2_b64 vcc, exec, s[6:7]
	s_cbranch_vccnz .LBB193_814
; %bb.799:
	s_cmp_lt_i32 s8, 2
	s_mov_b64 s[6:7], -1
	s_cbranch_scc1 .LBB193_809
; %bb.800:
	s_cmp_lt_i32 s8, 3
	s_cbranch_scc1 .LBB193_806
; %bb.801:
	s_cmp_gt_i32 s8, 3
	s_cbranch_scc0 .LBB193_803
; %bb.802:
	v_trunc_f64_e32 v[2:3], v[0:1]
	s_movk_i32 s6, 0xffe0
	v_ldexp_f64 v[6:7], v[2:3], s6
	v_floor_f64_e32 v[6:7], v[6:7]
	v_fmac_f64_e32 v[2:3], 0xc1f00000, v[6:7]
	v_cvt_i32_f64_e32 v9, v[6:7]
	v_cvt_u32_f64_e32 v8, v[2:3]
	s_mov_b64 s[6:7], 0
	global_store_dwordx2 v[4:5], v[8:9], off
.LBB193_803:
	s_andn2_b64 vcc, exec, s[6:7]
	s_cbranch_vccnz .LBB193_805
; %bb.804:
	v_cvt_i32_f64_e32 v2, v[0:1]
	global_store_dword v[4:5], v2, off
.LBB193_805:
	s_mov_b64 s[6:7], 0
.LBB193_806:
	s_andn2_b64 vcc, exec, s[6:7]
	s_cbranch_vccnz .LBB193_808
; %bb.807:
	v_cvt_i32_f64_e32 v2, v[0:1]
	global_store_short v[4:5], v2, off
.LBB193_808:
	s_mov_b64 s[6:7], 0
.LBB193_809:
	s_andn2_b64 vcc, exec, s[6:7]
	s_cbranch_vccnz .LBB193_814
; %bb.810:
	s_cmp_gt_i32 s8, 0
	s_mov_b64 s[6:7], -1
	s_cbranch_scc0 .LBB193_812
; %bb.811:
	v_cvt_i32_f64_e32 v2, v[0:1]
	s_mov_b64 s[6:7], 0
	global_store_byte v[4:5], v2, off
.LBB193_812:
	s_andn2_b64 vcc, exec, s[6:7]
	s_cbranch_vccnz .LBB193_814
; %bb.813:
	v_trunc_f64_e32 v[0:1], v[0:1]
	s_movk_i32 s6, 0xffe0
	v_ldexp_f64 v[2:3], v[0:1], s6
	v_floor_f64_e32 v[2:3], v[2:3]
	v_fmac_f64_e32 v[0:1], 0xc1f00000, v[2:3]
	v_cvt_u32_f64_e32 v0, v[0:1]
	global_store_byte v[4:5], v0, off
.LBB193_814:
	s_mov_b64 s[6:7], -1
.LBB193_815:
	s_andn2_b64 vcc, exec, s[6:7]
	s_cbranch_vccnz .LBB193_817
; %bb.816:
	v_add_u32_e32 v10, 0x80, v10
	s_mov_b64 s[6:7], -1
	s_branch .LBB193_819
.LBB193_817:
	s_mov_b64 s[6:7], 0
.LBB193_818:
                                        ; implicit-def: $vgpr10
.LBB193_819:
	s_andn2_b64 s[8:9], s[62:63], exec
	s_and_b64 s[2:3], s[2:3], exec
	s_or_b64 s[68:69], s[8:9], s[2:3]
	s_andn2_b64 s[2:3], s[60:61], exec
	s_and_b64 s[4:5], s[4:5], exec
	s_or_b64 s[2:3], s[2:3], s[4:5]
	s_orn2_b64 s[6:7], s[6:7], exec
.LBB193_820:
	s_or_b64 exec, exec, s[66:67]
	s_mov_b64 s[4:5], 0
	s_mov_b64 s[10:11], 0
	;; [unrolled: 1-line block ×3, first 2 shown]
                                        ; implicit-def: $vgpr0_vgpr1
                                        ; implicit-def: $vgpr2
                                        ; implicit-def: $vgpr6_vgpr7
	s_and_saveexec_b64 s[66:67], s[6:7]
	s_cbranch_execz .LBB193_920
; %bb.821:
	v_cmp_gt_i32_e32 vcc, s70, v10
	s_mov_b64 s[6:7], 0
	s_mov_b64 s[12:13], s[2:3]
                                        ; implicit-def: $vgpr0_vgpr1
                                        ; implicit-def: $vgpr2
                                        ; implicit-def: $vgpr6_vgpr7
	s_and_saveexec_b64 s[70:71], vcc
	s_cbranch_execz .LBB193_919
; %bb.822:
	s_andn2_b64 vcc, exec, s[42:43]
	s_cbranch_vccnz .LBB193_828
; %bb.823:
	s_andn2_b64 vcc, exec, s[52:53]
	s_cbranch_vccnz .LBB193_829
; %bb.824:
	s_add_i32 s76, s75, 1
	s_cmp_eq_u32 s72, 2
	s_cbranch_scc1 .LBB193_830
; %bb.825:
	s_and_b32 s75, s76, 28
	s_mov_b32 s77, 0
	v_mov_b32_e32 v2, 0
	v_mov_b32_e32 v0, 0
	s_mov_b64 s[52:53], s[34:35]
	s_waitcnt vmcnt(0)
	v_mov_b32_e32 v4, v10
.LBB193_826:                            ; =>This Inner Loop Header: Depth=1
	s_load_dwordx8 s[12:19], s[52:53], 0x4
	s_load_dwordx4 s[36:39], s[52:53], 0x24
	s_load_dwordx8 s[4:11], s[50:51], 0x0
	s_add_u32 s52, s52, 48
	s_addc_u32 s53, s53, 0
	s_waitcnt lgkmcnt(0)
	v_mul_hi_u32 v1, s13, v4
	v_add_u32_e32 v1, v4, v1
	v_lshrrev_b32_e32 v1, s14, v1
	v_mul_lo_u32 v3, v1, s12
	v_mul_hi_u32 v5, s16, v1
	v_sub_u32_e32 v3, v4, v3
	v_add_u32_e32 v4, v1, v5
	v_lshrrev_b32_e32 v4, s17, v4
	v_mul_lo_u32 v6, v4, s15
	v_mul_hi_u32 v7, s19, v4
	v_sub_u32_e32 v1, v1, v6
	v_add_u32_e32 v6, v4, v7
	v_mul_lo_u32 v5, v3, s5
	v_mul_lo_u32 v3, v3, s4
	v_mul_lo_u32 v7, v1, s7
	v_mul_lo_u32 v1, v1, s6
	v_lshrrev_b32_e32 v6, s36, v6
	v_add3_u32 v1, v3, v2, v1
	v_mul_hi_u32 v3, s38, v6
	v_mul_lo_u32 v2, v6, s18
	v_add_u32_e32 v3, v6, v3
	v_sub_u32_e32 v2, v4, v2
	v_lshrrev_b32_e32 v4, s39, v3
	s_add_i32 s77, s77, 4
	v_mul_lo_u32 v3, v4, s37
	s_add_u32 s50, s50, 32
	v_sub_u32_e32 v3, v6, v3
	s_addc_u32 s51, s51, 0
	v_add3_u32 v0, v5, v0, v7
	v_mul_lo_u32 v5, v2, s8
	v_mul_lo_u32 v2, v2, s9
	;; [unrolled: 1-line block ×4, first 2 shown]
	s_cmp_eq_u32 s75, s77
	v_add3_u32 v0, v2, v0, v3
	v_add3_u32 v2, v5, v1, v6
	s_cbranch_scc0 .LBB193_826
; %bb.827:
	v_mov_b32_e32 v1, v0
	s_branch .LBB193_831
.LBB193_828:
	s_mov_b64 s[4:5], -1
                                        ; implicit-def: $vgpr0
                                        ; implicit-def: $vgpr2
	s_branch .LBB193_835
.LBB193_829:
	v_mov_b32_e32 v0, 0
	v_mov_b32_e32 v2, 0
	s_branch .LBB193_834
.LBB193_830:
	v_mov_b32_e32 v2, 0
	s_mov_b32 s75, 0
	v_mov_b32_e32 v1, v2
                                        ; implicit-def: $vgpr0
	s_waitcnt vmcnt(0)
	v_mov_b32_e32 v4, v10
.LBB193_831:
	s_and_b32 s8, s76, 3
	s_cmp_eq_u32 s8, 0
	s_cbranch_scc1 .LBB193_834
; %bb.832:
	s_lshl_b32 s4, s75, 3
	s_add_u32 s4, s34, s4
	s_addc_u32 s5, s35, 0
	s_add_u32 s4, s4, 0xc4
	s_addc_u32 s5, s5, 0
	s_mul_i32 s6, s75, 12
	s_add_u32 s6, s34, s6
	s_addc_u32 s7, s35, 0
.LBB193_833:                            ; =>This Inner Loop Header: Depth=1
	s_load_dwordx2 s[10:11], s[6:7], 0x4
	s_load_dword s9, s[6:7], 0xc
	s_load_dwordx2 s[12:13], s[4:5], 0x0
	v_mov_b32_e32 v0, v1
	s_add_u32 s6, s6, 12
	s_waitcnt lgkmcnt(0)
	v_mul_hi_u32 v1, s11, v4
	v_add_u32_e32 v1, v4, v1
	v_lshrrev_b32_e32 v1, s9, v1
	s_addc_u32 s7, s7, 0
	v_mul_lo_u32 v3, v1, s10
	s_add_u32 s4, s4, 8
	v_sub_u32_e32 v3, v4, v3
	s_addc_u32 s5, s5, 0
	s_add_i32 s8, s8, -1
	v_mov_b32_e32 v4, v1
	v_mad_u64_u32 v[0:1], s[10:11], v3, s13, v[0:1]
	s_cmp_lg_u32 s8, 0
	v_mad_u64_u32 v[2:3], s[10:11], v3, s12, v[2:3]
	v_mov_b32_e32 v1, v0
	s_cbranch_scc1 .LBB193_833
.LBB193_834:
	s_mov_b64 s[4:5], 0
.LBB193_835:
	s_andn2_b64 vcc, exec, s[4:5]
	s_cbranch_vccnz .LBB193_838
; %bb.836:
	s_waitcnt lgkmcnt(0)
	v_mul_hi_u32 v0, s29, v10
	v_add_u32_e32 v0, v10, v0
	v_lshrrev_b32_e32 v1, s30, v0
	v_mul_lo_u32 v0, v1, s28
	v_sub_u32_e32 v2, v10, v0
	v_mul_lo_u32 v0, v2, s25
	s_andn2_b64 vcc, exec, s[48:49]
	v_mul_lo_u32 v2, v2, s24
	s_cbranch_vccnz .LBB193_838
; %bb.837:
	v_mul_hi_u32 v3, s46, v1
	v_add_u32_e32 v3, v1, v3
	v_lshrrev_b32_e32 v3, s47, v3
	v_mul_lo_u32 v3, v3, s31
	v_sub_u32_e32 v1, v1, v3
	v_mad_u64_u32 v[2:3], s[4:5], v1, s26, v[2:3]
	v_mad_u64_u32 v[0:1], s[4:5], v1, s27, v[0:1]
.LBB193_838:
	v_mov_b32_e32 v1, 0
	s_and_b32 s14, 0xffff, s74
	s_cmp_lt_i32 s14, 11
	s_waitcnt lgkmcnt(0)
	v_lshl_add_u64 v[0:1], s[22:23], 0, v[0:1]
	s_cbranch_scc1 .LBB193_845
; %bb.839:
	s_cmp_gt_i32 s14, 25
	s_mov_b64 s[6:7], 0
	s_cbranch_scc0 .LBB193_846
; %bb.840:
	s_cmp_gt_i32 s14, 28
	s_cbranch_scc0 .LBB193_847
; %bb.841:
	s_cmp_gt_i32 s14, 43
	s_cbranch_scc0 .LBB193_848
; %bb.842:
	s_cmp_gt_i32 s14, 45
	s_cbranch_scc0 .LBB193_851
; %bb.843:
	s_cmp_eq_u32 s14, 46
	s_mov_b64 s[10:11], 0
	s_cbranch_scc0 .LBB193_854
; %bb.844:
	global_load_dword v3, v[0:1], off
	s_mov_b64 s[4:5], 0
	s_mov_b64 s[8:9], -1
	s_waitcnt vmcnt(0)
	v_lshlrev_b32_e32 v3, 16, v3
	v_cvt_f64_f32_e32 v[6:7], v3
	s_branch .LBB193_855
.LBB193_845:
	s_mov_b64 s[10:11], -1
	s_mov_b64 s[8:9], 0
	s_mov_b64 s[6:7], 0
	;; [unrolled: 1-line block ×3, first 2 shown]
                                        ; implicit-def: $vgpr6_vgpr7
	s_branch .LBB193_918
.LBB193_846:
	s_mov_b64 s[10:11], -1
	s_mov_b64 s[8:9], 0
	s_mov_b64 s[4:5], s[2:3]
                                        ; implicit-def: $vgpr6_vgpr7
	s_branch .LBB193_886
.LBB193_847:
	s_mov_b64 s[10:11], -1
	s_mov_b64 s[8:9], 0
	s_mov_b64 s[4:5], s[2:3]
                                        ; implicit-def: $vgpr6_vgpr7
	s_branch .LBB193_865
.LBB193_848:
	s_mov_b64 s[10:11], -1
	s_mov_b64 s[8:9], 0
	s_mov_b64 s[4:5], s[2:3]
                                        ; implicit-def: $vgpr6_vgpr7
	s_branch .LBB193_860
.LBB193_849:
	s_andn2_saveexec_b64 s[10:11], s[10:11]
	s_cbranch_execz .LBB193_728
.LBB193_850:
	s_mov_b32 s14, 0x46000000
	v_add_f32_e64 v3, |v2|, s14
	v_and_b32_e32 v3, 0xff, v3
	v_cmp_ne_u32_e32 vcc, 0, v3
	s_andn2_b64 s[8:9], s[8:9], exec
	s_and_b64 s[14:15], vcc, exec
	s_or_b64 s[8:9], s[8:9], s[14:15]
	s_or_b64 exec, exec, s[10:11]
	v_mov_b32_e32 v6, 0
	s_and_saveexec_b64 s[10:11], s[8:9]
	s_cbranch_execnz .LBB193_729
	s_branch .LBB193_730
.LBB193_851:
	s_mov_b64 s[10:11], -1
	s_mov_b64 s[8:9], 0
	s_mov_b64 s[4:5], s[2:3]
                                        ; implicit-def: $vgpr6_vgpr7
	s_branch .LBB193_855
.LBB193_852:
	s_andn2_saveexec_b64 s[10:11], s[10:11]
	s_cbranch_execz .LBB193_741
.LBB193_853:
	s_mov_b32 s14, 0x42800000
	v_add_f32_e64 v3, |v2|, s14
	v_and_b32_e32 v3, 0xff, v3
	v_cmp_ne_u32_e32 vcc, 0, v3
	s_andn2_b64 s[8:9], s[8:9], exec
	s_and_b64 s[14:15], vcc, exec
	s_or_b64 s[8:9], s[8:9], s[14:15]
	s_or_b64 exec, exec, s[10:11]
	v_mov_b32_e32 v6, 0
	s_and_saveexec_b64 s[10:11], s[8:9]
	s_cbranch_execnz .LBB193_742
	s_branch .LBB193_743
.LBB193_854:
	s_mov_b64 s[4:5], -1
                                        ; implicit-def: $vgpr6_vgpr7
	s_mov_b64 s[8:9], 0
.LBB193_855:
	s_and_b64 vcc, exec, s[10:11]
	s_cbranch_vccz .LBB193_859
; %bb.856:
	s_cmp_eq_u32 s14, 44
	s_cbranch_scc0 .LBB193_858
; %bb.857:
	global_load_ubyte v3, v[0:1], off
	s_movk_i32 s8, 0xff
	v_bfrev_b32_e32 v6, 4
	v_mov_b32_e32 v7, 0x7ff80000
	v_bfrev_b32_e32 v8, 28
	s_mov_b64 s[4:5], 0
	s_waitcnt vmcnt(0)
	v_lshlrev_b32_e32 v4, 23, v3
	v_cvt_f64_f32_e32 v[4:5], v4
	v_cmp_ne_u32_e32 vcc, s8, v3
	s_mov_b64 s[8:9], -1
	s_nop 0
	v_cndmask_b32_e32 v4, v6, v4, vcc
	v_cndmask_b32_e32 v5, v7, v5, vcc
	v_cmp_ne_u32_e32 vcc, 0, v3
	s_nop 1
	v_cndmask_b32_e32 v7, v8, v5, vcc
	v_cndmask_b32_e32 v6, 0, v4, vcc
	s_branch .LBB193_859
.LBB193_858:
	s_mov_b64 s[4:5], -1
                                        ; implicit-def: $vgpr6_vgpr7
.LBB193_859:
	s_mov_b64 s[10:11], 0
.LBB193_860:
	s_and_b64 vcc, exec, s[10:11]
	s_cbranch_vccz .LBB193_864
; %bb.861:
	s_cmp_eq_u32 s14, 29
	s_cbranch_scc0 .LBB193_863
; %bb.862:
	global_load_dwordx2 v[4:5], v[0:1], off
	s_mov_b64 s[4:5], 0
	s_mov_b64 s[8:9], -1
	s_mov_b64 s[10:11], 0
	s_waitcnt vmcnt(0)
	v_cvt_f64_u32_e32 v[6:7], v5
	v_cvt_f64_u32_e32 v[4:5], v4
	v_ldexp_f64 v[6:7], v[6:7], 32
	v_add_f64 v[6:7], v[6:7], v[4:5]
	s_branch .LBB193_865
.LBB193_863:
	s_mov_b64 s[4:5], -1
                                        ; implicit-def: $vgpr6_vgpr7
.LBB193_864:
	s_mov_b64 s[10:11], 0
.LBB193_865:
	s_and_b64 vcc, exec, s[10:11]
	s_cbranch_vccz .LBB193_885
; %bb.866:
	s_cmp_lt_i32 s14, 27
	s_cbranch_scc1 .LBB193_869
; %bb.867:
	s_cmp_gt_i32 s14, 27
	s_cbranch_scc0 .LBB193_870
; %bb.868:
	global_load_dword v3, v[0:1], off
	s_mov_b64 s[8:9], 0
	s_waitcnt vmcnt(0)
	v_cvt_f64_u32_e32 v[6:7], v3
	s_branch .LBB193_871
.LBB193_869:
	s_mov_b64 s[8:9], -1
                                        ; implicit-def: $vgpr6_vgpr7
	s_branch .LBB193_874
.LBB193_870:
	s_mov_b64 s[8:9], -1
                                        ; implicit-def: $vgpr6_vgpr7
.LBB193_871:
	s_andn2_b64 vcc, exec, s[8:9]
	s_cbranch_vccnz .LBB193_873
; %bb.872:
	global_load_ushort v3, v[0:1], off
	s_waitcnt vmcnt(0)
	v_cvt_f64_u32_e32 v[6:7], v3
.LBB193_873:
	s_mov_b64 s[8:9], 0
.LBB193_874:
	s_andn2_b64 vcc, exec, s[8:9]
	s_cbranch_vccnz .LBB193_884
; %bb.875:
	global_load_ubyte v3, v[0:1], off
	s_movk_i32 s8, 0x7f
	s_waitcnt vmcnt(0)
	v_cmp_lt_i16_e32 vcc, s8, v3
	s_mov_b64 s[8:9], 0
	s_and_saveexec_b64 s[10:11], vcc
	s_xor_b64 s[10:11], exec, s[10:11]
	s_cbranch_execz .LBB193_879
; %bb.876:
	s_movk_i32 s8, 0x80
	v_cmp_eq_u16_e32 vcc, s8, v3
	s_mov_b64 s[8:9], -1
	s_and_saveexec_b64 s[12:13], vcc
; %bb.877:
	s_xor_b64 s[8:9], exec, -1
; %bb.878:
	s_or_b64 exec, exec, s[12:13]
	s_and_b64 s[8:9], s[8:9], exec
.LBB193_879:
	s_or_saveexec_b64 s[10:11], s[10:11]
	v_bfrev_b32_e32 v6, 4
	v_mov_b32_e32 v7, 0x7ff80000
	s_xor_b64 exec, exec, s[10:11]
; %bb.880:
	v_cmp_ne_u16_e32 vcc, 0, v3
	s_andn2_b64 s[8:9], s[8:9], exec
	s_and_b64 s[12:13], vcc, exec
	v_mov_b64_e32 v[6:7], 0
	s_or_b64 s[8:9], s[8:9], s[12:13]
; %bb.881:
	s_or_b64 exec, exec, s[10:11]
	s_and_saveexec_b64 s[10:11], s[8:9]
	s_cbranch_execz .LBB193_883
; %bb.882:
	v_lshlrev_b32_e32 v4, 24, v3
	v_and_b32_e32 v3, 0xffff, v3
	v_and_b32_e32 v5, 7, v3
	v_ffbh_u32_e32 v7, v5
	v_min_u32_e32 v7, 32, v7
	v_subrev_u32_e32 v8, 28, v7
	v_bfe_u32 v6, v3, 3, 4
	v_lshlrev_b32_e32 v3, v8, v3
	v_sub_u32_e32 v7, 29, v7
	v_and_b32_e32 v3, 7, v3
	v_cmp_eq_u32_e32 vcc, 0, v6
	v_and_b32_e32 v4, 0x80000000, v4
	s_nop 0
	v_cndmask_b32_e32 v6, v6, v7, vcc
	v_cndmask_b32_e32 v3, v5, v3, vcc
	v_mov_b32_e32 v5, 0x3b800000
	v_lshlrev_b32_e32 v3, 20, v3
	v_lshl_add_u32 v5, v6, 23, v5
	v_or3_b32 v3, v4, v5, v3
	v_cvt_f64_f32_e32 v[6:7], v3
.LBB193_883:
	s_or_b64 exec, exec, s[10:11]
.LBB193_884:
	s_mov_b64 s[8:9], -1
.LBB193_885:
	s_mov_b64 s[10:11], 0
.LBB193_886:
	s_and_b64 vcc, exec, s[10:11]
	s_cbranch_vccz .LBB193_917
; %bb.887:
	s_cmp_gt_i32 s14, 22
	s_cbranch_scc0 .LBB193_899
; %bb.888:
	s_cmp_lt_i32 s14, 24
	s_cbranch_scc1 .LBB193_900
; %bb.889:
	s_cmp_gt_i32 s14, 24
	s_cbranch_scc0 .LBB193_901
; %bb.890:
	global_load_ubyte v3, v[0:1], off
	s_movk_i32 s6, 0x7f
	s_waitcnt vmcnt(0)
	v_cmp_lt_i16_e32 vcc, s6, v3
	s_mov_b64 s[6:7], 0
	s_and_saveexec_b64 s[8:9], vcc
	s_xor_b64 s[8:9], exec, s[8:9]
	s_cbranch_execz .LBB193_894
; %bb.891:
	s_movk_i32 s6, 0x80
	v_cmp_eq_u16_e32 vcc, s6, v3
	s_mov_b64 s[6:7], -1
	s_and_saveexec_b64 s[10:11], vcc
; %bb.892:
	s_xor_b64 s[6:7], exec, -1
; %bb.893:
	s_or_b64 exec, exec, s[10:11]
	s_and_b64 s[6:7], s[6:7], exec
.LBB193_894:
	s_or_saveexec_b64 s[8:9], s[8:9]
	v_bfrev_b32_e32 v6, 4
	v_mov_b32_e32 v7, 0x7ff80000
	s_xor_b64 exec, exec, s[8:9]
; %bb.895:
	v_cmp_ne_u16_e32 vcc, 0, v3
	s_andn2_b64 s[6:7], s[6:7], exec
	s_and_b64 s[10:11], vcc, exec
	v_mov_b64_e32 v[6:7], 0
	s_or_b64 s[6:7], s[6:7], s[10:11]
; %bb.896:
	s_or_b64 exec, exec, s[8:9]
	s_and_saveexec_b64 s[8:9], s[6:7]
	s_cbranch_execz .LBB193_898
; %bb.897:
	v_lshlrev_b32_e32 v4, 24, v3
	v_and_b32_e32 v3, 0xffff, v3
	v_and_b32_e32 v5, 3, v3
	v_ffbh_u32_e32 v7, v5
	v_min_u32_e32 v7, 32, v7
	v_subrev_u32_e32 v8, 29, v7
	v_bfe_u32 v6, v3, 2, 5
	v_lshlrev_b32_e32 v3, v8, v3
	v_sub_u32_e32 v7, 30, v7
	v_and_b32_e32 v3, 3, v3
	v_cmp_eq_u32_e32 vcc, 0, v6
	v_and_b32_e32 v4, 0x80000000, v4
	s_nop 0
	v_cndmask_b32_e32 v6, v6, v7, vcc
	v_cndmask_b32_e32 v3, v5, v3, vcc
	v_mov_b32_e32 v5, 0x37800000
	v_lshlrev_b32_e32 v3, 21, v3
	v_lshl_add_u32 v5, v6, 23, v5
	v_or3_b32 v3, v4, v5, v3
	v_cvt_f64_f32_e32 v[6:7], v3
.LBB193_898:
	s_or_b64 exec, exec, s[8:9]
	s_mov_b64 s[6:7], 0
	s_branch .LBB193_902
.LBB193_899:
	s_mov_b64 s[6:7], -1
                                        ; implicit-def: $vgpr6_vgpr7
	s_branch .LBB193_908
.LBB193_900:
	s_mov_b64 s[6:7], -1
                                        ; implicit-def: $vgpr6_vgpr7
	s_branch .LBB193_905
.LBB193_901:
	s_mov_b64 s[6:7], -1
                                        ; implicit-def: $vgpr6_vgpr7
.LBB193_902:
	s_and_b64 vcc, exec, s[6:7]
	s_cbranch_vccz .LBB193_904
; %bb.903:
	global_load_ubyte v3, v[0:1], off
	s_mov_b32 s6, 0x7f800000
	s_waitcnt vmcnt(0)
	v_lshlrev_b32_e32 v3, 24, v3
	v_and_b32_e32 v4, 0x7f000000, v3
	v_ffbh_u32_e32 v5, v4
	v_min_u32_e32 v5, 32, v5
	v_sub_u32_e64 v5, v5, 4 clamp
	v_lshlrev_b32_e32 v7, v5, v4
	v_lshlrev_b32_e32 v5, 23, v5
	v_lshrrev_b32_e32 v7, 4, v7
	v_add_u32_e32 v6, 0x1000000, v4
	v_sub_u32_e32 v5, v7, v5
	v_ashrrev_i32_e32 v6, 8, v6
	v_add_u32_e32 v5, 0x3c000000, v5
	v_and_or_b32 v5, v6, s6, v5
	v_cmp_ne_u32_e32 vcc, 0, v4
	s_brev_b32 s6, 1
	s_nop 0
	v_cndmask_b32_e32 v4, 0, v5, vcc
	v_and_or_b32 v3, v3, s6, v4
	v_cvt_f64_f32_e32 v[6:7], v3
.LBB193_904:
	s_mov_b64 s[6:7], 0
.LBB193_905:
	s_andn2_b64 vcc, exec, s[6:7]
	s_cbranch_vccnz .LBB193_907
; %bb.906:
	global_load_ubyte v3, v[0:1], off
	s_movk_i32 s6, 0x7f00
	s_brev_b32 s7, 16
	s_waitcnt vmcnt(0)
	v_lshlrev_b16_e32 v4, 8, v3
	v_lshlrev_b32_e32 v3, 25, v3
	v_lshrrev_b32_e32 v5, 4, v3
	v_and_or_b32 v6, v4, s6, 0.5
	v_or_b32_e32 v5, 0x70000000, v5
	v_add_f32_e32 v6, -0.5, v6
	v_mul_f32_e32 v5, 0x7800000, v5
	v_cmp_gt_u32_e32 vcc, s7, v3
	v_bfe_i32 v4, v4, 0, 16
	s_brev_b32 s6, 1
	v_cndmask_b32_e32 v3, v5, v6, vcc
	v_and_or_b32 v3, v4, s6, v3
	v_cvt_f64_f32_e32 v[6:7], v3
.LBB193_907:
	s_mov_b64 s[6:7], 0
	s_mov_b64 s[8:9], -1
.LBB193_908:
	s_andn2_b64 vcc, exec, s[6:7]
	s_mov_b64 s[6:7], 0
	s_cbranch_vccnz .LBB193_917
; %bb.909:
	s_cmp_gt_i32 s14, 14
	s_cbranch_scc0 .LBB193_912
; %bb.910:
	s_cmp_eq_u32 s14, 15
	s_cbranch_scc0 .LBB193_913
; %bb.911:
	global_load_ushort v3, v[0:1], off
	s_mov_b64 s[4:5], 0
	s_mov_b64 s[8:9], -1
	s_waitcnt vmcnt(0)
	v_lshlrev_b32_e32 v3, 16, v3
	v_cvt_f64_f32_e32 v[6:7], v3
	s_branch .LBB193_914
.LBB193_912:
	s_mov_b64 s[10:11], -1
                                        ; implicit-def: $vgpr6_vgpr7
	s_branch .LBB193_915
.LBB193_913:
	s_mov_b64 s[4:5], -1
                                        ; implicit-def: $vgpr6_vgpr7
.LBB193_914:
	s_mov_b64 s[10:11], 0
.LBB193_915:
	s_and_b64 vcc, exec, s[10:11]
	s_cbranch_vccz .LBB193_917
; %bb.916:
	s_cmp_lg_u32 s14, 11
	s_cselect_b64 s[10:11], -1, 0
	s_andn2_b64 s[4:5], s[4:5], exec
	s_and_b64 s[10:11], s[10:11], exec
	s_mov_b64 s[6:7], -1
	s_or_b64 s[4:5], s[4:5], s[10:11]
.LBB193_917:
	s_mov_b64 s[10:11], 0
.LBB193_918:
	s_andn2_b64 s[12:13], s[2:3], exec
	s_and_b64 s[4:5], s[4:5], exec
	s_and_b64 s[8:9], s[8:9], exec
	;; [unrolled: 1-line block ×4, first 2 shown]
	s_or_b64 s[12:13], s[12:13], s[4:5]
.LBB193_919:
	s_or_b64 exec, exec, s[70:71]
	s_and_b64 s[4:5], s[6:7], exec
	s_andn2_b64 s[2:3], s[2:3], exec
	s_and_b64 s[6:7], s[12:13], exec
	s_and_b64 s[8:9], s[8:9], exec
	;; [unrolled: 1-line block ×3, first 2 shown]
	s_or_b64 s[2:3], s[2:3], s[6:7]
.LBB193_920:
	s_or_b64 exec, exec, s[66:67]
	s_andn2_b64 s[6:7], s[62:63], exec
	s_and_b64 s[12:13], s[68:69], exec
	s_or_b64 s[62:63], s[6:7], s[12:13]
	s_and_b64 s[6:7], s[10:11], exec
	s_andn2_b64 s[10:11], s[60:61], exec
	s_and_b64 s[2:3], s[2:3], exec
	s_and_b64 s[8:9], s[8:9], exec
	;; [unrolled: 1-line block ×3, first 2 shown]
	s_or_b64 s[60:61], s[10:11], s[2:3]
.LBB193_921:
	s_or_b64 exec, exec, s[64:65]
	s_andn2_b64 s[2:3], s[54:55], exec
	s_and_b64 s[10:11], s[62:63], exec
	s_or_b64 s[54:55], s[2:3], s[10:11]
	s_and_b64 s[2:3], s[8:9], exec
	s_and_b64 s[8:9], s[6:7], exec
	;; [unrolled: 1-line block ×3, first 2 shown]
	s_andn2_b64 s[4:5], s[56:57], exec
	s_and_b64 s[6:7], s[60:61], exec
	s_or_b64 s[56:57], s[4:5], s[6:7]
	s_or_b64 exec, exec, s[58:59]
	s_mov_b64 s[4:5], 0
	s_and_saveexec_b64 s[6:7], s[56:57]
	s_cbranch_execz .LBB193_276
.LBB193_922:
	s_mov_b64 s[4:5], exec
	s_andn2_b64 s[62:63], s[62:63], exec
	s_trap 2
	s_or_b64 exec, exec, s[6:7]
	s_and_saveexec_b64 s[6:7], s[62:63]
	s_xor_b64 s[6:7], exec, s[6:7]
	s_cbranch_execnz .LBB193_277
.LBB193_923:
	s_or_b64 exec, exec, s[6:7]
	s_and_saveexec_b64 s[6:7], s[8:9]
	s_cbranch_execz .LBB193_969
.LBB193_924:
	s_sext_i32_i16 s8, s74
	s_cmp_lt_i32 s8, 5
	s_cbranch_scc1 .LBB193_929
; %bb.925:
	s_cmp_lt_i32 s8, 8
	s_cbranch_scc1 .LBB193_930
; %bb.926:
	;; [unrolled: 3-line block ×3, first 2 shown]
	s_cmp_gt_i32 s8, 9
	s_cbranch_scc0 .LBB193_932
; %bb.928:
	global_load_dwordx2 v[6:7], v[0:1], off
	s_mov_b64 s[8:9], 0
	s_branch .LBB193_933
.LBB193_929:
                                        ; implicit-def: $vgpr6_vgpr7
	s_branch .LBB193_950
.LBB193_930:
                                        ; implicit-def: $vgpr6_vgpr7
	s_branch .LBB193_939
.LBB193_931:
	s_mov_b64 s[8:9], -1
                                        ; implicit-def: $vgpr6_vgpr7
	s_branch .LBB193_936
.LBB193_932:
	s_mov_b64 s[8:9], -1
                                        ; implicit-def: $vgpr6_vgpr7
.LBB193_933:
	s_andn2_b64 vcc, exec, s[8:9]
	s_cbranch_vccnz .LBB193_935
; %bb.934:
	global_load_dword v3, v[0:1], off
	s_waitcnt vmcnt(0)
	v_cvt_f64_f32_e32 v[6:7], v3
.LBB193_935:
	s_mov_b64 s[8:9], 0
.LBB193_936:
	s_andn2_b64 vcc, exec, s[8:9]
	s_cbranch_vccnz .LBB193_938
; %bb.937:
	global_load_dword v3, v[0:1], off
	s_waitcnt vmcnt(0)
	v_cvt_f32_f16_e32 v3, v3
	v_cvt_f64_f32_e32 v[6:7], v3
.LBB193_938:
	s_cbranch_execnz .LBB193_949
.LBB193_939:
	s_sext_i32_i16 s8, s74
	s_cmp_lt_i32 s8, 6
	s_cbranch_scc1 .LBB193_942
; %bb.940:
	s_cmp_gt_i32 s8, 6
	s_cbranch_scc0 .LBB193_943
; %bb.941:
	global_load_dwordx2 v[6:7], v[0:1], off
	s_mov_b64 s[8:9], 0
	s_branch .LBB193_944
.LBB193_942:
	s_mov_b64 s[8:9], -1
                                        ; implicit-def: $vgpr6_vgpr7
	s_branch .LBB193_947
.LBB193_943:
	s_mov_b64 s[8:9], -1
                                        ; implicit-def: $vgpr6_vgpr7
.LBB193_944:
	s_andn2_b64 vcc, exec, s[8:9]
	s_cbranch_vccnz .LBB193_946
; %bb.945:
	global_load_dword v3, v[0:1], off
	s_waitcnt vmcnt(0)
	v_cvt_f64_f32_e32 v[6:7], v3
.LBB193_946:
	s_mov_b64 s[8:9], 0
.LBB193_947:
	s_andn2_b64 vcc, exec, s[8:9]
	s_cbranch_vccnz .LBB193_949
; %bb.948:
	global_load_ushort v3, v[0:1], off
	s_waitcnt vmcnt(0)
	v_cvt_f32_f16_e32 v3, v3
	v_cvt_f64_f32_e32 v[6:7], v3
.LBB193_949:
	s_cbranch_execnz .LBB193_968
.LBB193_950:
	s_sext_i32_i16 s8, s74
	s_cmp_lt_i32 s8, 2
	s_cbranch_scc1 .LBB193_954
; %bb.951:
	s_cmp_lt_i32 s8, 3
	s_cbranch_scc1 .LBB193_955
; %bb.952:
	s_cmp_gt_i32 s8, 3
	s_cbranch_scc0 .LBB193_956
; %bb.953:
	global_load_dwordx2 v[4:5], v[0:1], off
	s_mov_b64 s[8:9], 0
	s_waitcnt vmcnt(0)
	v_cvt_f64_i32_e32 v[6:7], v5
	v_cvt_f64_u32_e32 v[4:5], v4
	v_ldexp_f64 v[6:7], v[6:7], 32
	v_add_f64 v[6:7], v[6:7], v[4:5]
	s_branch .LBB193_957
.LBB193_954:
                                        ; implicit-def: $vgpr6_vgpr7
	s_branch .LBB193_963
.LBB193_955:
	s_mov_b64 s[8:9], -1
                                        ; implicit-def: $vgpr6_vgpr7
	s_branch .LBB193_960
.LBB193_956:
	s_mov_b64 s[8:9], -1
                                        ; implicit-def: $vgpr6_vgpr7
.LBB193_957:
	s_andn2_b64 vcc, exec, s[8:9]
	s_cbranch_vccnz .LBB193_959
; %bb.958:
	global_load_dword v3, v[0:1], off
	s_waitcnt vmcnt(0)
	v_cvt_f64_i32_e32 v[6:7], v3
.LBB193_959:
	s_mov_b64 s[8:9], 0
.LBB193_960:
	s_andn2_b64 vcc, exec, s[8:9]
	s_cbranch_vccnz .LBB193_962
; %bb.961:
	global_load_sshort v3, v[0:1], off
	s_waitcnt vmcnt(0)
	v_cvt_f64_i32_e32 v[6:7], v3
.LBB193_962:
	s_cbranch_execnz .LBB193_968
.LBB193_963:
	s_sext_i32_i16 s8, s74
	s_cmp_gt_i32 s8, 0
	s_cbranch_scc0 .LBB193_965
; %bb.964:
	global_load_sbyte v3, v[0:1], off
	s_mov_b64 s[8:9], 0
	s_waitcnt vmcnt(0)
	v_cvt_f64_i32_e32 v[6:7], v3
	s_branch .LBB193_966
.LBB193_965:
	s_mov_b64 s[8:9], -1
                                        ; implicit-def: $vgpr6_vgpr7
.LBB193_966:
	s_andn2_b64 vcc, exec, s[8:9]
	s_cbranch_vccnz .LBB193_968
; %bb.967:
	global_load_ubyte v0, v[0:1], off
	s_waitcnt vmcnt(0)
	v_cvt_f64_u32_e32 v[6:7], v0
.LBB193_968:
	s_or_b64 s[2:3], s[2:3], exec
.LBB193_969:
	s_or_b64 exec, exec, s[6:7]
	s_mov_b64 s[10:11], 0
	s_mov_b64 s[8:9], 0
                                        ; implicit-def: $sgpr16
                                        ; implicit-def: $vgpr4_vgpr5
                                        ; implicit-def: $vgpr0_vgpr1
	s_and_saveexec_b64 s[6:7], s[2:3]
	s_cbranch_execz .LBB193_1044
; %bb.970:
	s_waitcnt vmcnt(0)
	v_rsq_f64_e32 v[0:1], v[6:7]
	s_mov_b32 s2, 0
	s_mov_b32 s3, 0x3fd80000
	v_mov_b32_e32 v3, 0x180
	v_mul_f64 v[4:5], v[0:1], -v[6:7]
	v_fma_f64 v[4:5], v[4:5], v[0:1], 1.0
	v_mul_f64 v[6:7], v[0:1], v[4:5]
	v_fma_f64 v[4:5], v[4:5], s[2:3], 0.5
	v_fma_f64 v[4:5], v[6:7], v[4:5], v[0:1]
	v_cmp_class_f64_e32 vcc, v[0:1], v3
	v_mov_b32_e32 v3, 0
	s_and_b32 s16, s73, 0xff
	v_cndmask_b32_e32 v1, v1, v5, vcc
	v_cndmask_b32_e32 v0, v0, v4, vcc
	s_cmp_lt_i32 s16, 11
	s_waitcnt lgkmcnt(0)
	v_lshl_add_u64 v[4:5], s[20:21], 0, v[2:3]
	s_cbranch_scc1 .LBB193_1047
; %bb.971:
	s_and_b32 s17, 0xffff, s16
	s_mov_b64 s[10:11], -1
	s_cmp_gt_i32 s17, 25
	s_mov_b64 s[2:3], s[54:55]
	s_cbranch_scc0 .LBB193_1004
; %bb.972:
	s_mov_b64 s[8:9], -1
	s_cmp_gt_i32 s17, 28
	s_mov_b64 s[2:3], s[54:55]
	s_cbranch_scc0 .LBB193_988
; %bb.973:
	s_cmp_gt_i32 s17, 43
	s_mov_b64 s[2:3], s[54:55]
	s_cbranch_scc0 .LBB193_984
; %bb.974:
	;; [unrolled: 4-line block ×3, first 2 shown]
	s_cmp_eq_u32 s17, 46
	s_mov_b64 s[2:3], -1
	s_cbranch_scc0 .LBB193_977
; %bb.976:
	v_cvt_f32_f64_e32 v2, v[0:1]
	v_bfe_u32 v3, v2, 16, 1
	s_movk_i32 s2, 0x7fff
	v_add3_u32 v3, v2, v3, s2
	v_cmp_o_f32_e32 vcc, v2, v2
	v_mov_b32_e32 v2, 0x7fc0
	s_mov_b64 s[2:3], 0
	v_cndmask_b32_sdwa v2, v2, v3, vcc dst_sel:DWORD dst_unused:UNUSED_PAD src0_sel:DWORD src1_sel:WORD_1
	global_store_dword v[4:5], v2, off
.LBB193_977:
	s_mov_b64 s[8:9], 0
.LBB193_978:
	s_and_b64 vcc, exec, s[8:9]
	s_cbranch_vccz .LBB193_983
; %bb.979:
	s_cmp_eq_u32 s17, 44
	s_mov_b64 s[2:3], -1
	s_cbranch_scc0 .LBB193_983
; %bb.980:
	v_cvt_f32_f64_e32 v2, v[0:1]
	v_bfe_u32 v3, v2, 23, 8
	s_movk_i32 s2, 0xff
	v_cmp_ne_u32_e32 vcc, s2, v3
	v_mov_b32_e32 v6, 0xff
	s_and_saveexec_b64 s[8:9], vcc
; %bb.981:
	s_mov_b32 s2, 0x3fffff
	v_lshrrev_b32_e32 v6, 23, v2
	v_and_b32_e32 v7, 0x400000, v2
	v_and_or_b32 v2, v2, s2, v3
	v_cmp_ne_u32_e32 vcc, 0, v7
	v_cmp_ne_u32_e64 s[2:3], 0, v2
	s_and_b64 s[2:3], vcc, s[2:3]
	s_nop 0
	v_cndmask_b32_e64 v2, 0, 1, s[2:3]
	v_add_u32_e32 v6, v6, v2
; %bb.982:
	s_or_b64 exec, exec, s[8:9]
	s_mov_b64 s[2:3], 0
	global_store_byte v[4:5], v6, off
.LBB193_983:
	s_mov_b64 s[8:9], 0
.LBB193_984:
	s_and_b64 vcc, exec, s[8:9]
	s_cbranch_vccz .LBB193_987
; %bb.985:
	s_cmp_eq_u32 s17, 29
	s_mov_b64 s[2:3], -1
	s_cbranch_scc0 .LBB193_987
; %bb.986:
	v_trunc_f64_e32 v[2:3], v[0:1]
	s_movk_i32 s2, 0xffe0
	v_ldexp_f64 v[6:7], v[2:3], s2
	v_floor_f64_e32 v[6:7], v[6:7]
	v_fmac_f64_e32 v[2:3], 0xc1f00000, v[6:7]
	v_cvt_u32_f64_e32 v9, v[6:7]
	v_cvt_u32_f64_e32 v8, v[2:3]
	global_store_dwordx2 v[4:5], v[8:9], off
	s_mov_b64 s[2:3], 0
.LBB193_987:
	s_mov_b64 s[8:9], 0
.LBB193_988:
	s_and_b64 vcc, exec, s[8:9]
	s_cbranch_vccz .LBB193_1003
; %bb.989:
	s_cmp_lt_i32 s17, 27
	s_mov_b64 s[8:9], -1
	s_cbranch_scc1 .LBB193_995
; %bb.990:
	s_cmp_gt_i32 s17, 27
	s_cbranch_scc0 .LBB193_992
; %bb.991:
	v_cvt_u32_f64_e32 v2, v[0:1]
	s_mov_b64 s[8:9], 0
	global_store_dword v[4:5], v2, off
.LBB193_992:
	s_andn2_b64 vcc, exec, s[8:9]
	s_cbranch_vccnz .LBB193_994
; %bb.993:
	v_cvt_u32_f64_e32 v2, v[0:1]
	global_store_short v[4:5], v2, off
.LBB193_994:
	s_mov_b64 s[8:9], 0
.LBB193_995:
	s_andn2_b64 vcc, exec, s[8:9]
	s_cbranch_vccnz .LBB193_1003
; %bb.996:
	v_cvt_f32_f64_e32 v2, v[0:1]
	v_and_b32_e32 v3, 0x7fffffff, v2
	s_mov_b32 s8, 0x43800000
	v_cmp_gt_u32_e32 vcc, s8, v3
	v_mov_b32_e32 v6, 0x80
	s_and_saveexec_b64 s[8:9], vcc
	s_cbranch_execz .LBB193_1002
; %bb.997:
	s_mov_b32 s10, 0x3bffffff
	v_cmp_lt_u32_e32 vcc, s10, v3
	s_mov_b64 s[10:11], 0
                                        ; implicit-def: $vgpr3
	s_and_saveexec_b64 s[12:13], vcc
	s_xor_b64 s[12:13], exec, s[12:13]
	s_cbranch_execz .LBB193_1160
; %bb.998:
	v_bfe_u32 v3, v2, 20, 1
	s_mov_b32 s14, 0x487ffff
	v_add3_u32 v3, v2, v3, s14
	s_mov_b64 s[10:11], exec
	v_lshrrev_b32_e32 v3, 20, v3
	s_andn2_saveexec_b64 s[12:13], s[12:13]
	s_cbranch_execnz .LBB193_1161
.LBB193_999:
	s_or_b64 exec, exec, s[12:13]
	v_mov_b32_e32 v6, 0
	s_and_saveexec_b64 s[12:13], s[10:11]
.LBB193_1000:
	v_lshrrev_b32_e32 v2, 24, v2
	s_movk_i32 s10, 0x80
	v_and_or_b32 v6, v2, s10, v3
.LBB193_1001:
	s_or_b64 exec, exec, s[12:13]
.LBB193_1002:
	s_or_b64 exec, exec, s[8:9]
	global_store_byte v[4:5], v6, off
.LBB193_1003:
	s_mov_b64 s[10:11], 0
.LBB193_1004:
	s_mov_b64 s[8:9], 0
	s_and_b64 vcc, exec, s[10:11]
	s_cbranch_vccz .LBB193_1048
; %bb.1005:
	s_cmp_gt_i32 s17, 22
	s_mov_b64 s[10:11], -1
	s_cbranch_scc0 .LBB193_1037
; %bb.1006:
	s_cmp_lt_i32 s17, 24
	s_cbranch_scc1 .LBB193_1026
; %bb.1007:
	s_cmp_gt_i32 s17, 24
	s_cbranch_scc0 .LBB193_1015
; %bb.1008:
	v_cvt_f32_f64_e32 v2, v[0:1]
	v_and_b32_e32 v3, 0x7fffffff, v2
	s_mov_b32 s10, 0x47800000
	v_cmp_gt_u32_e32 vcc, s10, v3
	v_mov_b32_e32 v6, 0x80
	s_and_saveexec_b64 s[10:11], vcc
	s_cbranch_execz .LBB193_1014
; %bb.1009:
	s_mov_b32 s12, 0x37ffffff
	v_cmp_lt_u32_e32 vcc, s12, v3
	s_mov_b64 s[12:13], 0
                                        ; implicit-def: $vgpr3
	s_and_saveexec_b64 s[14:15], vcc
	s_xor_b64 s[14:15], exec, s[14:15]
	s_cbranch_execz .LBB193_1285
; %bb.1010:
	v_bfe_u32 v3, v2, 21, 1
	s_mov_b32 s18, 0x88fffff
	v_add3_u32 v3, v2, v3, s18
	s_mov_b64 s[12:13], exec
	v_lshrrev_b32_e32 v3, 21, v3
	s_andn2_saveexec_b64 s[14:15], s[14:15]
	s_cbranch_execnz .LBB193_1286
.LBB193_1011:
	s_or_b64 exec, exec, s[14:15]
	v_mov_b32_e32 v6, 0
	s_and_saveexec_b64 s[14:15], s[12:13]
.LBB193_1012:
	v_lshrrev_b32_e32 v2, 24, v2
	s_movk_i32 s12, 0x80
	v_and_or_b32 v6, v2, s12, v3
.LBB193_1013:
	s_or_b64 exec, exec, s[14:15]
.LBB193_1014:
	s_or_b64 exec, exec, s[10:11]
	s_mov_b64 s[10:11], 0
	global_store_byte v[4:5], v6, off
.LBB193_1015:
	s_and_b64 vcc, exec, s[10:11]
	s_cbranch_vccz .LBB193_1025
; %bb.1016:
	v_cvt_f32_f64_e32 v2, v[0:1]
	v_and_b32_e32 v6, 0x7fffffff, v2
	s_mov_b32 s10, 0x43f00000
	v_cmp_gt_u32_e32 vcc, s10, v6
                                        ; implicit-def: $vgpr3
	s_and_saveexec_b64 s[10:11], vcc
	s_xor_b64 s[10:11], exec, s[10:11]
	s_cbranch_execz .LBB193_1022
; %bb.1017:
	s_mov_b32 s12, 0x3c7fffff
	v_cmp_lt_u32_e32 vcc, s12, v6
                                        ; implicit-def: $vgpr3
	s_and_saveexec_b64 s[12:13], vcc
	s_xor_b64 s[12:13], exec, s[12:13]
; %bb.1018:
	v_bfe_u32 v3, v2, 20, 1
	s_mov_b32 s14, 0x407ffff
	v_add3_u32 v3, v2, v3, s14
	v_lshrrev_b32_e32 v6, 20, v3
	v_and_b32_e32 v3, 0xff00000, v3
	s_mov_b32 s14, 0x7f00000
	v_mov_b32_e32 v7, 0x7e
	v_cmp_ne_u32_e32 vcc, s14, v3
	s_nop 1
	v_cndmask_b32_e32 v3, v7, v6, vcc
; %bb.1019:
	s_andn2_saveexec_b64 s[12:13], s[12:13]
; %bb.1020:
	s_mov_b32 s14, 0x46800000
	v_add_f32_e64 v3, |v2|, s14
; %bb.1021:
	s_or_b64 exec, exec, s[12:13]
                                        ; implicit-def: $vgpr6
.LBB193_1022:
	s_andn2_saveexec_b64 s[10:11], s[10:11]
; %bb.1023:
	s_mov_b32 s12, 0x7f800000
	v_mov_b32_e32 v3, 0x7e
	v_mov_b32_e32 v7, 0x7f
	v_cmp_lt_u32_e32 vcc, s12, v6
	s_nop 1
	v_cndmask_b32_e32 v3, v3, v7, vcc
; %bb.1024:
	s_or_b64 exec, exec, s[10:11]
	v_lshrrev_b32_e32 v2, 24, v2
	s_movk_i32 s10, 0x80
	v_and_or_b32 v2, v2, s10, v3
	global_store_byte v[4:5], v2, off
.LBB193_1025:
	s_mov_b64 s[10:11], 0
.LBB193_1026:
	s_andn2_b64 vcc, exec, s[10:11]
	s_cbranch_vccnz .LBB193_1036
; %bb.1027:
	v_cvt_f32_f64_e32 v2, v[0:1]
	v_and_b32_e32 v6, 0x7fffffff, v2
	s_mov_b32 s10, 0x47800000
	v_cmp_gt_u32_e32 vcc, s10, v6
                                        ; implicit-def: $vgpr3
	s_and_saveexec_b64 s[10:11], vcc
	s_xor_b64 s[10:11], exec, s[10:11]
	s_cbranch_execz .LBB193_1033
; %bb.1028:
	s_mov_b32 s12, 0x387fffff
	v_cmp_lt_u32_e32 vcc, s12, v6
                                        ; implicit-def: $vgpr3
	s_and_saveexec_b64 s[12:13], vcc
	s_xor_b64 s[12:13], exec, s[12:13]
; %bb.1029:
	v_bfe_u32 v3, v2, 21, 1
	s_mov_b32 s14, 0x80fffff
	v_add3_u32 v3, v2, v3, s14
	v_lshrrev_b32_e32 v3, 21, v3
; %bb.1030:
	s_andn2_saveexec_b64 s[12:13], s[12:13]
; %bb.1031:
	s_mov_b32 s14, 0x43000000
	v_add_f32_e64 v3, |v2|, s14
; %bb.1032:
	s_or_b64 exec, exec, s[12:13]
                                        ; implicit-def: $vgpr6
.LBB193_1033:
	s_andn2_saveexec_b64 s[10:11], s[10:11]
; %bb.1034:
	s_mov_b32 s12, 0x7f800000
	v_mov_b32_e32 v3, 0x7c
	v_mov_b32_e32 v7, 0x7f
	v_cmp_lt_u32_e32 vcc, s12, v6
	s_nop 1
	v_cndmask_b32_e32 v3, v3, v7, vcc
; %bb.1035:
	s_or_b64 exec, exec, s[10:11]
	v_lshrrev_b32_e32 v2, 24, v2
	s_movk_i32 s10, 0x80
	v_and_or_b32 v2, v2, s10, v3
	global_store_byte v[4:5], v2, off
.LBB193_1036:
	s_mov_b64 s[10:11], 0
.LBB193_1037:
	s_andn2_b64 vcc, exec, s[10:11]
	s_mov_b64 s[10:11], 0
	s_cbranch_vccnz .LBB193_1049
; %bb.1038:
	s_cmp_gt_i32 s17, 14
	s_mov_b64 s[12:13], -1
	s_cbranch_scc0 .LBB193_1042
; %bb.1039:
	s_cmp_eq_u32 s17, 15
	s_mov_b64 s[2:3], -1
	s_cbranch_scc0 .LBB193_1041
; %bb.1040:
	v_cvt_f32_f64_e32 v2, v[0:1]
	v_bfe_u32 v3, v2, 16, 1
	s_movk_i32 s2, 0x7fff
	v_add3_u32 v3, v2, v3, s2
	v_cmp_o_f32_e32 vcc, v2, v2
	v_mov_b32_e32 v2, 0x7fc0
	s_mov_b64 s[2:3], 0
	v_cndmask_b32_sdwa v2, v2, v3, vcc dst_sel:DWORD dst_unused:UNUSED_PAD src0_sel:DWORD src1_sel:WORD_1
	global_store_short v[4:5], v2, off
.LBB193_1041:
	s_mov_b64 s[12:13], 0
.LBB193_1042:
	s_and_b64 vcc, exec, s[12:13]
	s_cbranch_vccz .LBB193_1049
; %bb.1043:
	s_cmp_lg_u32 s17, 11
	s_cselect_b64 s[12:13], -1, 0
	s_andn2_b64 s[2:3], s[2:3], exec
	s_and_b64 s[12:13], s[12:13], exec
	s_mov_b64 s[10:11], -1
	s_or_b64 s[2:3], s[2:3], s[12:13]
	s_branch .LBB193_1049
.LBB193_1044:
	s_or_b64 exec, exec, s[6:7]
	s_and_saveexec_b64 s[2:3], s[54:55]
	s_cbranch_execnz .LBB193_1050
.LBB193_1045:
	s_or_b64 exec, exec, s[2:3]
	s_and_saveexec_b64 s[2:3], s[10:11]
	s_xor_b64 s[2:3], exec, s[2:3]
	s_cbranch_execz .LBB193_1051
.LBB193_1046:
	v_cmp_neq_f64_e32 vcc, 0, v[0:1]
	s_nop 1
	v_cndmask_b32_e64 v2, 0, 1, vcc
	s_waitcnt vmcnt(0)
	global_store_byte v[4:5], v2, off
	s_or_b64 exec, exec, s[2:3]
	s_and_saveexec_b64 s[2:3], s[8:9]
	s_xor_b64 s[2:3], exec, s[2:3]
	s_cbranch_execz .LBB193_1089
	s_branch .LBB193_1052
.LBB193_1047:
	s_mov_b64 s[8:9], -1
	s_mov_b64 s[2:3], s[54:55]
	s_branch .LBB193_1049
.LBB193_1048:
	s_mov_b64 s[10:11], 0
.LBB193_1049:
	s_andn2_b64 s[12:13], s[54:55], exec
	s_and_b64 s[2:3], s[2:3], exec
	s_and_b64 s[8:9], s[8:9], exec
	;; [unrolled: 1-line block ×3, first 2 shown]
	s_or_b64 s[54:55], s[12:13], s[2:3]
	s_or_b64 exec, exec, s[6:7]
	s_and_saveexec_b64 s[2:3], s[54:55]
	s_cbranch_execz .LBB193_1045
.LBB193_1050:
	s_or_b64 s[4:5], s[4:5], exec
	s_andn2_b64 s[10:11], s[10:11], exec
	s_trap 2
	s_or_b64 exec, exec, s[2:3]
	s_and_saveexec_b64 s[2:3], s[10:11]
	s_xor_b64 s[2:3], exec, s[2:3]
	s_cbranch_execnz .LBB193_1046
.LBB193_1051:
	s_or_b64 exec, exec, s[2:3]
	s_and_saveexec_b64 s[2:3], s[8:9]
	s_xor_b64 s[2:3], exec, s[2:3]
	s_cbranch_execz .LBB193_1089
.LBB193_1052:
	s_sext_i32_i16 s8, s16
	s_cmp_lt_i32 s8, 5
	s_mov_b64 s[6:7], -1
	s_cbranch_scc1 .LBB193_1073
; %bb.1053:
	s_cmp_lt_i32 s8, 8
	s_cbranch_scc1 .LBB193_1063
; %bb.1054:
	s_cmp_lt_i32 s8, 9
	s_cbranch_scc1 .LBB193_1060
; %bb.1055:
	s_cmp_gt_i32 s8, 9
	s_cbranch_scc0 .LBB193_1057
; %bb.1056:
	v_mov_b32_e32 v2, 0
	v_mov_b32_e32 v3, v2
	s_mov_b64 s[6:7], 0
	s_waitcnt vmcnt(0)
	global_store_dwordx4 v[4:5], v[0:3], off
.LBB193_1057:
	s_andn2_b64 vcc, exec, s[6:7]
	s_cbranch_vccnz .LBB193_1059
; %bb.1058:
	v_cvt_f32_f64_e32 v2, v[0:1]
	v_mov_b32_e32 v3, 0
	s_waitcnt vmcnt(0)
	global_store_dwordx2 v[4:5], v[2:3], off
.LBB193_1059:
	s_mov_b64 s[6:7], 0
.LBB193_1060:
	s_andn2_b64 vcc, exec, s[6:7]
	s_cbranch_vccnz .LBB193_1062
; %bb.1061:
	s_movk_i32 s6, 0x1ff
	v_and_or_b32 v2, v1, s6, v0
	v_cmp_ne_u32_e32 vcc, 0, v2
	v_lshrrev_b32_e32 v3, 8, v1
	s_movk_i32 s6, 0xffe
	v_cndmask_b32_e64 v2, 0, 1, vcc
	s_waitcnt vmcnt(0)
	v_bfe_u32 v6, v1, 20, 11
	v_and_or_b32 v2, v3, s6, v2
	v_sub_u32_e32 v7, 0x3f1, v6
	v_or_b32_e32 v3, 0x1000, v2
	v_med3_i32 v7, v7, 0, 13
	v_lshrrev_b32_e32 v8, v7, v3
	v_lshlrev_b32_e32 v7, v7, v8
	v_cmp_ne_u32_e32 vcc, v7, v3
	v_add_u32_e32 v6, 0xfffffc10, v6
	v_lshl_or_b32 v7, v6, 12, v2
	v_cndmask_b32_e64 v3, 0, 1, vcc
	v_or_b32_e32 v3, v8, v3
	v_cmp_gt_i32_e32 vcc, 1, v6
	s_movk_i32 s6, 0x40f
	s_nop 0
	v_cndmask_b32_e32 v3, v7, v3, vcc
	v_and_b32_e32 v7, 7, v3
	v_cmp_lt_i32_e32 vcc, 5, v7
	v_lshrrev_b32_e32 v3, 2, v3
	s_nop 0
	v_cndmask_b32_e64 v8, 0, 1, vcc
	v_cmp_eq_u32_e32 vcc, 3, v7
	s_nop 1
	v_cndmask_b32_e64 v7, 0, 1, vcc
	v_or_b32_e32 v7, v7, v8
	v_add_u32_e32 v3, v3, v7
	v_mov_b32_e32 v7, 0x7c00
	v_cmp_gt_i32_e32 vcc, 31, v6
	v_mov_b32_e32 v8, 0x7e00
	s_nop 0
	v_cndmask_b32_e32 v3, v7, v3, vcc
	v_cmp_ne_u32_e32 vcc, 0, v2
	s_nop 1
	v_cndmask_b32_e32 v2, v7, v8, vcc
	v_cmp_eq_u32_e32 vcc, s6, v6
	s_mov_b32 s6, 0x8000
	s_nop 0
	v_cndmask_b32_e32 v2, v3, v2, vcc
	v_and_b32_sdwa v3, v1, s6 dst_sel:DWORD dst_unused:UNUSED_PAD src0_sel:WORD_1 src1_sel:DWORD
	s_mov_b32 s6, 0xffff
	v_bitop3_b32 v2, v3, s6, v2 bitop3:0xc8
	global_store_dword v[4:5], v2, off
.LBB193_1062:
	s_mov_b64 s[6:7], 0
.LBB193_1063:
	s_andn2_b64 vcc, exec, s[6:7]
	s_cbranch_vccnz .LBB193_1072
; %bb.1064:
	s_sext_i32_i16 s8, s16
	s_cmp_lt_i32 s8, 6
	s_mov_b64 s[6:7], -1
	s_cbranch_scc1 .LBB193_1070
; %bb.1065:
	s_cmp_gt_i32 s8, 6
	s_cbranch_scc0 .LBB193_1067
; %bb.1066:
	s_mov_b64 s[6:7], 0
	s_waitcnt vmcnt(0)
	global_store_dwordx2 v[4:5], v[0:1], off
.LBB193_1067:
	s_andn2_b64 vcc, exec, s[6:7]
	s_cbranch_vccnz .LBB193_1069
; %bb.1068:
	v_cvt_f32_f64_e32 v2, v[0:1]
	s_waitcnt vmcnt(0)
	global_store_dword v[4:5], v2, off
.LBB193_1069:
	s_mov_b64 s[6:7], 0
.LBB193_1070:
	s_andn2_b64 vcc, exec, s[6:7]
	s_cbranch_vccnz .LBB193_1072
; %bb.1071:
	s_movk_i32 s6, 0x1ff
	v_and_or_b32 v2, v1, s6, v0
	v_cmp_ne_u32_e32 vcc, 0, v2
	v_lshrrev_b32_e32 v3, 8, v1
	s_movk_i32 s6, 0xffe
	v_cndmask_b32_e64 v2, 0, 1, vcc
	s_waitcnt vmcnt(0)
	v_bfe_u32 v6, v1, 20, 11
	v_and_or_b32 v2, v3, s6, v2
	v_sub_u32_e32 v7, 0x3f1, v6
	v_or_b32_e32 v3, 0x1000, v2
	v_med3_i32 v7, v7, 0, 13
	v_lshrrev_b32_e32 v8, v7, v3
	v_lshlrev_b32_e32 v7, v7, v8
	v_cmp_ne_u32_e32 vcc, v7, v3
	v_add_u32_e32 v6, 0xfffffc10, v6
	v_lshl_or_b32 v7, v6, 12, v2
	v_cndmask_b32_e64 v3, 0, 1, vcc
	v_or_b32_e32 v3, v8, v3
	v_cmp_gt_i32_e32 vcc, 1, v6
	s_movk_i32 s6, 0x40f
	s_nop 0
	v_cndmask_b32_e32 v3, v7, v3, vcc
	v_and_b32_e32 v7, 7, v3
	v_cmp_lt_i32_e32 vcc, 5, v7
	v_lshrrev_b32_e32 v3, 2, v3
	s_nop 0
	v_cndmask_b32_e64 v8, 0, 1, vcc
	v_cmp_eq_u32_e32 vcc, 3, v7
	s_nop 1
	v_cndmask_b32_e64 v7, 0, 1, vcc
	v_or_b32_e32 v7, v7, v8
	v_add_u32_e32 v3, v3, v7
	v_mov_b32_e32 v7, 0x7c00
	v_cmp_gt_i32_e32 vcc, 31, v6
	v_mov_b32_e32 v8, 0x7e00
	s_nop 0
	v_cndmask_b32_e32 v3, v7, v3, vcc
	v_cmp_ne_u32_e32 vcc, 0, v2
	s_nop 1
	v_cndmask_b32_e32 v2, v7, v8, vcc
	v_cmp_eq_u32_e32 vcc, s6, v6
	s_mov_b32 s6, 0x8000
	s_nop 0
	v_cndmask_b32_e32 v2, v3, v2, vcc
	v_lshrrev_b32_e32 v3, 16, v1
	v_and_or_b32 v2, v3, s6, v2
	global_store_short v[4:5], v2, off
.LBB193_1072:
	s_mov_b64 s[6:7], 0
.LBB193_1073:
	s_andn2_b64 vcc, exec, s[6:7]
	s_cbranch_vccnz .LBB193_1089
; %bb.1074:
	s_sext_i32_i16 s8, s16
	s_cmp_lt_i32 s8, 2
	s_mov_b64 s[6:7], -1
	s_cbranch_scc1 .LBB193_1084
; %bb.1075:
	s_cmp_lt_i32 s8, 3
	s_cbranch_scc1 .LBB193_1081
; %bb.1076:
	s_cmp_gt_i32 s8, 3
	s_cbranch_scc0 .LBB193_1078
; %bb.1077:
	v_trunc_f64_e32 v[2:3], v[0:1]
	s_movk_i32 s6, 0xffe0
	s_waitcnt vmcnt(0)
	v_ldexp_f64 v[6:7], v[2:3], s6
	v_floor_f64_e32 v[6:7], v[6:7]
	v_fmac_f64_e32 v[2:3], 0xc1f00000, v[6:7]
	v_cvt_i32_f64_e32 v9, v[6:7]
	v_cvt_u32_f64_e32 v8, v[2:3]
	s_mov_b64 s[6:7], 0
	global_store_dwordx2 v[4:5], v[8:9], off
.LBB193_1078:
	s_andn2_b64 vcc, exec, s[6:7]
	s_cbranch_vccnz .LBB193_1080
; %bb.1079:
	v_cvt_i32_f64_e32 v2, v[0:1]
	s_waitcnt vmcnt(0)
	global_store_dword v[4:5], v2, off
.LBB193_1080:
	s_mov_b64 s[6:7], 0
.LBB193_1081:
	s_andn2_b64 vcc, exec, s[6:7]
	s_cbranch_vccnz .LBB193_1083
; %bb.1082:
	v_cvt_i32_f64_e32 v2, v[0:1]
	s_waitcnt vmcnt(0)
	global_store_short v[4:5], v2, off
.LBB193_1083:
	s_mov_b64 s[6:7], 0
.LBB193_1084:
	s_andn2_b64 vcc, exec, s[6:7]
	s_cbranch_vccnz .LBB193_1089
; %bb.1085:
	s_sext_i32_i16 s6, s16
	s_cmp_gt_i32 s6, 0
	s_mov_b64 s[6:7], -1
	s_cbranch_scc0 .LBB193_1087
; %bb.1086:
	v_cvt_i32_f64_e32 v2, v[0:1]
	s_mov_b64 s[6:7], 0
	s_waitcnt vmcnt(0)
	global_store_byte v[4:5], v2, off
.LBB193_1087:
	s_andn2_b64 vcc, exec, s[6:7]
	s_cbranch_vccnz .LBB193_1089
; %bb.1088:
	v_trunc_f64_e32 v[0:1], v[0:1]
	s_movk_i32 s6, 0xffe0
	v_ldexp_f64 v[2:3], v[0:1], s6
	v_floor_f64_e32 v[2:3], v[2:3]
	v_fmac_f64_e32 v[0:1], 0xc1f00000, v[2:3]
	v_cvt_u32_f64_e32 v0, v[0:1]
	s_waitcnt vmcnt(0)
	global_store_byte v[4:5], v0, off
.LBB193_1089:
	s_or_b64 exec, exec, s[2:3]
	s_waitcnt lgkmcnt(0)
	s_and_b64 s[24:25], s[4:5], exec
                                        ; implicit-def: $vgpr16
                                        ; implicit-def: $vgpr10
.LBB193_1090:
	s_or_saveexec_b64 s[26:27], s[44:45]
	s_mov_b64 s[6:7], 0
                                        ; implicit-def: $vgpr4_vgpr5
                                        ; implicit-def: $sgpr14
                                        ; implicit-def: $vgpr0_vgpr1
	s_xor_b64 exec, exec, s[26:27]
	s_cbranch_execz .LBB193_2094
; %bb.1091:
	v_cndmask_b32_e64 v0, 0, 1, s[42:43]
	v_cmp_ne_u32_e64 s[2:3], 1, v0
	s_andn2_b64 vcc, exec, s[42:43]
	s_cbranch_vccnz .LBB193_1097
; %bb.1092:
	s_cmp_lg_u32 s33, 0
	s_mov_b32 s36, 0
	s_cbranch_scc0 .LBB193_1098
; %bb.1093:
	s_min_u32 s37, s72, 15
	s_add_i32 s37, s37, 1
	s_cmp_eq_u32 s72, 2
	s_cbranch_scc1 .LBB193_1099
; %bb.1094:
	s_and_b32 s36, s37, 28
	s_add_u32 s28, s34, 0xc4
	s_addc_u32 s29, s35, 0
	s_mov_b32 s38, 0
	v_mov_b32_e32 v2, 0
	v_mov_b32_e32 v0, 0
	s_mov_b64 s[30:31], s[34:35]
	s_waitcnt vmcnt(0)
	v_mov_b32_e32 v4, v10
.LBB193_1095:                           ; =>This Inner Loop Header: Depth=1
	s_load_dwordx8 s[12:19], s[30:31], 0x4
	s_load_dwordx4 s[20:23], s[30:31], 0x24
	s_load_dwordx8 s[4:11], s[28:29], 0x0
	s_add_u32 s30, s30, 48
	s_addc_u32 s31, s31, 0
	s_waitcnt lgkmcnt(0)
	v_mul_hi_u32 v1, s13, v4
	v_add_u32_e32 v1, v4, v1
	v_lshrrev_b32_e32 v1, s14, v1
	v_mul_lo_u32 v3, v1, s12
	v_mul_hi_u32 v5, s16, v1
	v_sub_u32_e32 v3, v4, v3
	v_add_u32_e32 v4, v1, v5
	v_lshrrev_b32_e32 v4, s17, v4
	v_mul_lo_u32 v6, v4, s15
	v_mul_hi_u32 v7, s19, v4
	v_sub_u32_e32 v1, v1, v6
	v_add_u32_e32 v6, v4, v7
	v_mul_lo_u32 v5, v3, s5
	v_mul_lo_u32 v3, v3, s4
	v_mul_lo_u32 v7, v1, s7
	v_mul_lo_u32 v1, v1, s6
	v_lshrrev_b32_e32 v6, s20, v6
	v_add3_u32 v1, v3, v2, v1
	v_mul_hi_u32 v3, s22, v6
	v_mul_lo_u32 v2, v6, s18
	v_add_u32_e32 v3, v6, v3
	v_sub_u32_e32 v2, v4, v2
	v_lshrrev_b32_e32 v4, s23, v3
	s_add_i32 s38, s38, 4
	v_mul_lo_u32 v3, v4, s21
	s_add_u32 s28, s28, 32
	v_sub_u32_e32 v3, v6, v3
	s_addc_u32 s29, s29, 0
	v_add3_u32 v0, v5, v0, v7
	v_mul_lo_u32 v5, v2, s8
	v_mul_lo_u32 v2, v2, s9
	;; [unrolled: 1-line block ×4, first 2 shown]
	s_cmp_lg_u32 s36, s38
	v_add3_u32 v0, v2, v0, v3
	v_add3_u32 v2, v5, v1, v6
	s_cbranch_scc1 .LBB193_1095
; %bb.1096:
	v_mov_b32_e32 v1, v0
	s_and_b32 s8, s37, 3
	s_cmp_eq_u32 s8, 0
	s_cbranch_scc0 .LBB193_1100
	s_branch .LBB193_1102
.LBB193_1097:
                                        ; implicit-def: $vgpr0
                                        ; implicit-def: $vgpr2
	s_branch .LBB193_1103
.LBB193_1098:
	v_mov_b32_e32 v0, 0
	v_mov_b32_e32 v2, 0
	s_branch .LBB193_1102
.LBB193_1099:
	v_mov_b32_e32 v2, 0
                                        ; implicit-def: $vgpr0
	v_mov_b32_e32 v1, v2
	s_waitcnt vmcnt(0)
	v_mov_b32_e32 v4, v10
	s_and_b32 s8, s37, 3
	s_cmp_eq_u32 s8, 0
	s_cbranch_scc1 .LBB193_1102
.LBB193_1100:
	s_lshl_b32 s4, s36, 3
	s_add_u32 s4, s34, s4
	s_addc_u32 s5, s35, 0
	s_add_u32 s4, s4, 0xc4
	s_addc_u32 s5, s5, 0
	s_mul_i32 s6, s36, 12
	s_add_u32 s6, s34, s6
	s_addc_u32 s7, s35, 0
.LBB193_1101:                           ; =>This Inner Loop Header: Depth=1
	s_load_dwordx2 s[10:11], s[6:7], 0x4
	s_load_dword s9, s[6:7], 0xc
	s_load_dwordx2 s[12:13], s[4:5], 0x0
	v_mov_b32_e32 v0, v1
	s_add_u32 s6, s6, 12
	s_waitcnt lgkmcnt(0)
	v_mul_hi_u32 v1, s11, v4
	v_add_u32_e32 v1, v4, v1
	v_lshrrev_b32_e32 v1, s9, v1
	s_addc_u32 s7, s7, 0
	v_mul_lo_u32 v3, v1, s10
	s_add_u32 s4, s4, 8
	v_sub_u32_e32 v3, v4, v3
	s_addc_u32 s5, s5, 0
	s_add_i32 s8, s8, -1
	v_mov_b32_e32 v4, v1
	v_mad_u64_u32 v[0:1], s[10:11], v3, s13, v[0:1]
	s_cmp_lg_u32 s8, 0
	v_mad_u64_u32 v[2:3], s[10:11], v3, s12, v[2:3]
	v_mov_b32_e32 v1, v0
	s_cbranch_scc1 .LBB193_1101
.LBB193_1102:
	s_cbranch_execnz .LBB193_1105
.LBB193_1103:
	s_load_dwordx4 s[4:7], s[34:35], 0x4
	s_load_dwordx2 s[8:9], s[34:35], 0xc4
	s_cmp_lt_u32 s33, 2
	s_waitcnt lgkmcnt(0)
	v_mul_hi_u32 v0, s5, v10
	v_add_u32_e32 v0, v10, v0
	v_lshrrev_b32_e32 v1, s6, v0
	v_mul_lo_u32 v0, v1, s4
	v_sub_u32_e32 v2, v10, v0
	v_mul_lo_u32 v0, v2, s9
	v_mul_lo_u32 v2, v2, s8
	s_cbranch_scc1 .LBB193_1105
; %bb.1104:
	s_load_dwordx4 s[4:7], s[34:35], 0x10
	s_load_dwordx2 s[8:9], s[34:35], 0xcc
	s_waitcnt lgkmcnt(0)
	v_mul_hi_u32 v3, s5, v1
	v_add_u32_e32 v3, v1, v3
	v_lshrrev_b32_e32 v3, s6, v3
	v_mul_lo_u32 v3, v3, s4
	v_sub_u32_e32 v1, v1, v3
	v_mad_u64_u32 v[2:3], s[4:5], v1, s8, v[2:3]
	v_mad_u64_u32 v[0:1], s[4:5], v1, s9, v[0:1]
.LBB193_1105:
	s_and_b64 vcc, exec, s[2:3]
	v_add_u32_e32 v3, 0x80, v10
	s_cbranch_vccnz .LBB193_1111
; %bb.1106:
	s_cmp_lg_u32 s33, 0
	s_mov_b32 s36, 0
	s_cbranch_scc0 .LBB193_1112
; %bb.1107:
	s_min_u32 s37, s72, 15
	s_add_i32 s37, s37, 1
	s_cmp_eq_u32 s72, 2
	s_cbranch_scc1 .LBB193_1113
; %bb.1108:
	s_and_b32 s36, s37, 28
	s_add_u32 s28, s34, 0xc4
	s_addc_u32 s29, s35, 0
	s_mov_b32 s38, 0
	v_mov_b32_e32 v8, 0
	v_mov_b32_e32 v14, 0
	s_mov_b64 s[30:31], s[34:35]
	s_waitcnt vmcnt(0)
	v_mov_b32_e32 v4, v3
.LBB193_1109:                           ; =>This Inner Loop Header: Depth=1
	s_load_dwordx8 s[12:19], s[30:31], 0x4
	s_load_dwordx4 s[20:23], s[30:31], 0x24
	s_load_dwordx8 s[4:11], s[28:29], 0x0
	s_add_u32 s30, s30, 48
	s_addc_u32 s31, s31, 0
	s_waitcnt lgkmcnt(0)
	v_mul_hi_u32 v1, s13, v4
	v_add_u32_e32 v1, v4, v1
	v_lshrrev_b32_e32 v1, s14, v1
	v_mul_lo_u32 v5, v1, s12
	v_mul_hi_u32 v6, s16, v1
	v_sub_u32_e32 v4, v4, v5
	v_add_u32_e32 v5, v1, v6
	v_lshrrev_b32_e32 v5, s17, v5
	v_mul_lo_u32 v7, v5, s15
	v_mul_hi_u32 v9, s19, v5
	v_sub_u32_e32 v1, v1, v7
	v_add_u32_e32 v7, v5, v9
	v_mul_lo_u32 v6, v4, s5
	v_mul_lo_u32 v4, v4, s4
	;; [unrolled: 1-line block ×4, first 2 shown]
	v_lshrrev_b32_e32 v7, s20, v7
	v_add3_u32 v1, v4, v8, v1
	v_mul_lo_u32 v4, v7, s18
	v_mul_hi_u32 v8, s22, v7
	v_sub_u32_e32 v4, v5, v4
	v_add_u32_e32 v5, v7, v8
	v_add3_u32 v6, v6, v14, v9
	v_mul_lo_u32 v8, v4, s8
	v_mul_lo_u32 v9, v4, s9
	v_lshrrev_b32_e32 v4, s23, v5
	s_add_i32 s38, s38, 4
	v_mul_lo_u32 v5, v4, s21
	s_add_u32 s28, s28, 32
	v_sub_u32_e32 v5, v7, v5
	s_addc_u32 s29, s29, 0
	v_mul_lo_u32 v7, v5, s10
	v_mul_lo_u32 v5, v5, s11
	s_cmp_lg_u32 s36, s38
	v_add3_u32 v14, v9, v6, v5
	v_add3_u32 v8, v8, v1, v7
	s_cbranch_scc1 .LBB193_1109
; %bb.1110:
	v_mov_b32_e32 v1, v14
	s_and_b32 s8, s37, 3
	s_cmp_eq_u32 s8, 0
	s_cbranch_scc0 .LBB193_1114
	s_branch .LBB193_1116
.LBB193_1111:
                                        ; implicit-def: $vgpr14
                                        ; implicit-def: $vgpr8
	s_branch .LBB193_1117
.LBB193_1112:
	v_mov_b32_e32 v14, 0
	v_mov_b32_e32 v8, 0
	s_branch .LBB193_1116
.LBB193_1113:
	v_mov_b32_e32 v8, 0
                                        ; implicit-def: $vgpr14
	v_mov_b32_e32 v1, v8
	s_waitcnt vmcnt(0)
	v_mov_b32_e32 v4, v3
	s_and_b32 s8, s37, 3
	s_cmp_eq_u32 s8, 0
	s_cbranch_scc1 .LBB193_1116
.LBB193_1114:
	s_lshl_b32 s4, s36, 3
	s_add_u32 s4, s34, s4
	s_addc_u32 s5, s35, 0
	s_add_u32 s4, s4, 0xc4
	s_addc_u32 s5, s5, 0
	s_mul_i32 s6, s36, 12
	s_add_u32 s6, s34, s6
	s_addc_u32 s7, s35, 0
.LBB193_1115:                           ; =>This Inner Loop Header: Depth=1
	s_load_dwordx2 s[10:11], s[6:7], 0x4
	s_load_dword s9, s[6:7], 0xc
	s_load_dwordx2 s[12:13], s[4:5], 0x0
	v_mov_b32_e32 v6, v1
	s_add_u32 s6, s6, 12
	s_waitcnt lgkmcnt(0)
	v_mul_hi_u32 v1, s11, v4
	v_add_u32_e32 v1, v4, v1
	v_lshrrev_b32_e32 v1, s9, v1
	s_addc_u32 s7, s7, 0
	v_mul_lo_u32 v5, v1, s10
	s_add_u32 s4, s4, 8
	v_sub_u32_e32 v5, v4, v5
	s_addc_u32 s5, s5, 0
	s_add_i32 s8, s8, -1
	v_mad_u64_u32 v[14:15], s[10:11], v5, s13, v[6:7]
	s_cmp_lg_u32 s8, 0
	v_mov_b32_e32 v4, v1
	v_mad_u64_u32 v[8:9], s[10:11], v5, s12, v[8:9]
	v_mov_b32_e32 v1, v14
	s_cbranch_scc1 .LBB193_1115
.LBB193_1116:
	s_cbranch_execnz .LBB193_1119
.LBB193_1117:
	s_load_dwordx4 s[4:7], s[34:35], 0x4
	s_load_dwordx2 s[8:9], s[34:35], 0xc4
	s_cmp_lt_u32 s33, 2
	s_waitcnt lgkmcnt(0)
	v_mul_hi_u32 v1, s5, v3
	v_add_u32_e32 v1, v3, v1
	v_lshrrev_b32_e32 v1, s6, v1
	s_waitcnt vmcnt(0)
	v_mul_lo_u32 v4, v1, s4
	v_sub_u32_e32 v3, v3, v4
	v_mul_lo_u32 v14, v3, s9
	v_mul_lo_u32 v8, v3, s8
	s_cbranch_scc1 .LBB193_1119
; %bb.1118:
	s_load_dwordx4 s[4:7], s[34:35], 0x10
	s_load_dwordx2 s[8:9], s[34:35], 0xcc
	s_waitcnt lgkmcnt(0)
	v_mul_hi_u32 v3, s5, v1
	v_add_u32_e32 v3, v1, v3
	v_lshrrev_b32_e32 v3, s6, v3
	v_mul_lo_u32 v3, v3, s4
	v_sub_u32_e32 v1, v1, v3
	v_mad_u64_u32 v[8:9], s[4:5], v1, s8, v[8:9]
	v_mad_u64_u32 v[14:15], s[4:5], v1, s9, v[14:15]
.LBB193_1119:
	s_and_b64 vcc, exec, s[2:3]
	v_add_u32_e32 v3, 0x100, v10
	s_cbranch_vccnz .LBB193_1125
; %bb.1120:
	s_cmp_lg_u32 s33, 0
	s_mov_b32 s36, 0
	s_cbranch_scc0 .LBB193_1126
; %bb.1121:
	s_min_u32 s37, s72, 15
	s_add_i32 s37, s37, 1
	s_cmp_eq_u32 s72, 2
	s_cbranch_scc1 .LBB193_1127
; %bb.1122:
	s_and_b32 s36, s37, 28
	s_add_u32 s28, s34, 0xc4
	s_addc_u32 s29, s35, 0
	s_mov_b32 s38, 0
	s_waitcnt vmcnt(0)
	v_mov_b32_e32 v6, 0
	v_mov_b32_e32 v12, 0
	s_mov_b64 s[30:31], s[34:35]
	v_mov_b32_e32 v4, v3
.LBB193_1123:                           ; =>This Inner Loop Header: Depth=1
	s_load_dwordx8 s[12:19], s[30:31], 0x4
	s_load_dwordx4 s[20:23], s[30:31], 0x24
	s_load_dwordx8 s[4:11], s[28:29], 0x0
	s_add_u32 s30, s30, 48
	s_addc_u32 s31, s31, 0
	s_waitcnt lgkmcnt(0)
	v_mul_hi_u32 v1, s13, v4
	v_add_u32_e32 v1, v4, v1
	v_lshrrev_b32_e32 v1, s14, v1
	v_mul_lo_u32 v5, v1, s12
	v_mul_hi_u32 v7, s16, v1
	v_sub_u32_e32 v4, v4, v5
	v_add_u32_e32 v5, v1, v7
	v_lshrrev_b32_e32 v5, s17, v5
	v_mul_lo_u32 v9, v5, s15
	v_mul_hi_u32 v10, s19, v5
	v_sub_u32_e32 v1, v1, v9
	v_add_u32_e32 v9, v5, v10
	v_mul_lo_u32 v7, v4, s5
	v_mul_lo_u32 v4, v4, s4
	;; [unrolled: 1-line block ×4, first 2 shown]
	v_lshrrev_b32_e32 v9, s20, v9
	v_add3_u32 v1, v4, v6, v1
	v_add3_u32 v6, v7, v12, v10
	v_mul_lo_u32 v4, v9, s18
	v_mul_hi_u32 v7, s22, v9
	v_sub_u32_e32 v4, v5, v4
	v_add_u32_e32 v5, v9, v7
	v_mul_lo_u32 v7, v4, s8
	v_mul_lo_u32 v10, v4, s9
	v_lshrrev_b32_e32 v4, s23, v5
	s_add_i32 s38, s38, 4
	v_mul_lo_u32 v5, v4, s21
	s_add_u32 s28, s28, 32
	v_sub_u32_e32 v5, v9, v5
	s_addc_u32 s29, s29, 0
	v_mul_lo_u32 v9, v5, s10
	v_mul_lo_u32 v5, v5, s11
	s_cmp_lg_u32 s36, s38
	v_add3_u32 v12, v10, v6, v5
	v_add3_u32 v6, v7, v1, v9
	s_cbranch_scc1 .LBB193_1123
; %bb.1124:
	v_mov_b32_e32 v1, v12
	s_and_b32 s8, s37, 3
	s_cmp_eq_u32 s8, 0
	s_cbranch_scc0 .LBB193_1128
	s_branch .LBB193_1130
.LBB193_1125:
                                        ; implicit-def: $vgpr12
                                        ; implicit-def: $vgpr6
	s_branch .LBB193_1131
.LBB193_1126:
	v_mov_b32_e32 v12, 0
	s_waitcnt vmcnt(0)
	v_mov_b32_e32 v6, 0
	s_branch .LBB193_1130
.LBB193_1127:
	s_waitcnt vmcnt(0)
	v_mov_b32_e32 v6, 0
                                        ; implicit-def: $vgpr12
	v_mov_b32_e32 v1, v6
	v_mov_b32_e32 v4, v3
	s_and_b32 s8, s37, 3
	s_cmp_eq_u32 s8, 0
	s_cbranch_scc1 .LBB193_1130
.LBB193_1128:
	s_lshl_b32 s4, s36, 3
	s_add_u32 s4, s34, s4
	s_addc_u32 s5, s35, 0
	s_add_u32 s4, s4, 0xc4
	s_addc_u32 s5, s5, 0
	s_mul_i32 s6, s36, 12
	s_add_u32 s6, s34, s6
	s_addc_u32 s7, s35, 0
.LBB193_1129:                           ; =>This Inner Loop Header: Depth=1
	s_load_dwordx2 s[10:11], s[6:7], 0x4
	s_load_dword s9, s[6:7], 0xc
	s_load_dwordx2 s[12:13], s[4:5], 0x0
	v_mov_b32_e32 v10, v1
	s_add_u32 s6, s6, 12
	s_waitcnt lgkmcnt(0)
	v_mul_hi_u32 v1, s11, v4
	v_add_u32_e32 v1, v4, v1
	v_lshrrev_b32_e32 v1, s9, v1
	s_addc_u32 s7, s7, 0
	v_mul_lo_u32 v5, v1, s10
	s_add_u32 s4, s4, 8
	v_sub_u32_e32 v5, v4, v5
	s_addc_u32 s5, s5, 0
	s_add_i32 s8, s8, -1
	v_mad_u64_u32 v[12:13], s[10:11], v5, s13, v[10:11]
	s_cmp_lg_u32 s8, 0
	v_mov_b32_e32 v4, v1
	v_mad_u64_u32 v[6:7], s[10:11], v5, s12, v[6:7]
	v_mov_b32_e32 v1, v12
	s_cbranch_scc1 .LBB193_1129
.LBB193_1130:
	s_cbranch_execnz .LBB193_1133
.LBB193_1131:
	s_load_dwordx4 s[4:7], s[34:35], 0x4
	s_load_dwordx2 s[8:9], s[34:35], 0xc4
	s_cmp_lt_u32 s33, 2
	s_waitcnt lgkmcnt(0)
	v_mul_hi_u32 v1, s5, v3
	v_add_u32_e32 v1, v3, v1
	v_lshrrev_b32_e32 v1, s6, v1
	s_waitcnt vmcnt(0)
	v_mul_lo_u32 v4, v1, s4
	v_sub_u32_e32 v3, v3, v4
	v_mul_lo_u32 v12, v3, s9
	v_mul_lo_u32 v6, v3, s8
	s_cbranch_scc1 .LBB193_1133
; %bb.1132:
	s_load_dwordx4 s[4:7], s[34:35], 0x10
	s_load_dwordx2 s[8:9], s[34:35], 0xcc
	s_waitcnt lgkmcnt(0)
	v_mul_hi_u32 v3, s5, v1
	v_add_u32_e32 v3, v1, v3
	v_lshrrev_b32_e32 v3, s6, v3
	v_mul_lo_u32 v3, v3, s4
	v_sub_u32_e32 v1, v1, v3
	v_mad_u64_u32 v[6:7], s[4:5], v1, s8, v[6:7]
	v_mad_u64_u32 v[12:13], s[4:5], v1, s9, v[12:13]
.LBB193_1133:
	s_and_b64 vcc, exec, s[2:3]
	s_cbranch_vccnz .LBB193_1139
; %bb.1134:
	s_cmp_lg_u32 s33, 0
	s_mov_b32 s30, 0
	s_cbranch_scc0 .LBB193_1140
; %bb.1135:
	s_min_u32 s31, s72, 15
	s_add_i32 s31, s31, 1
	s_cmp_eq_u32 s72, 2
	s_cbranch_scc1 .LBB193_1141
; %bb.1136:
	s_and_b32 s30, s31, 28
	s_add_u32 s2, s34, 0xc4
	s_addc_u32 s3, s35, 0
	s_mov_b32 s36, 0
	s_waitcnt vmcnt(0)
	v_mov_b32_e32 v4, 0
	v_mov_b32_e32 v10, 0
	s_mov_b64 s[28:29], s[34:35]
	v_mov_b32_e32 v3, v16
.LBB193_1137:                           ; =>This Inner Loop Header: Depth=1
	s_load_dwordx8 s[12:19], s[28:29], 0x4
	s_load_dwordx4 s[20:23], s[28:29], 0x24
	s_load_dwordx8 s[4:11], s[2:3], 0x0
	s_add_u32 s28, s28, 48
	s_addc_u32 s29, s29, 0
	s_waitcnt lgkmcnt(0)
	v_mul_hi_u32 v1, s13, v3
	v_add_u32_e32 v1, v3, v1
	v_lshrrev_b32_e32 v1, s14, v1
	v_mul_lo_u32 v5, v1, s12
	v_mul_hi_u32 v7, s16, v1
	v_sub_u32_e32 v3, v3, v5
	v_add_u32_e32 v5, v1, v7
	v_lshrrev_b32_e32 v5, s17, v5
	v_mul_lo_u32 v9, v5, s15
	v_mul_hi_u32 v11, s19, v5
	v_sub_u32_e32 v1, v1, v9
	v_add_u32_e32 v9, v5, v11
	v_mul_lo_u32 v7, v3, s5
	v_mul_lo_u32 v3, v3, s4
	;; [unrolled: 1-line block ×4, first 2 shown]
	v_lshrrev_b32_e32 v9, s20, v9
	v_add3_u32 v1, v3, v4, v1
	v_add3_u32 v4, v7, v10, v11
	v_mul_lo_u32 v3, v9, s18
	v_mul_hi_u32 v7, s22, v9
	v_sub_u32_e32 v3, v5, v3
	v_add_u32_e32 v5, v9, v7
	v_mul_lo_u32 v7, v3, s8
	v_mul_lo_u32 v10, v3, s9
	v_lshrrev_b32_e32 v3, s23, v5
	s_add_i32 s36, s36, 4
	v_mul_lo_u32 v5, v3, s21
	s_add_u32 s2, s2, 32
	v_sub_u32_e32 v5, v9, v5
	s_addc_u32 s3, s3, 0
	v_mul_lo_u32 v9, v5, s10
	v_mul_lo_u32 v5, v5, s11
	s_cmp_lg_u32 s30, s36
	v_add3_u32 v10, v10, v4, v5
	v_add3_u32 v4, v7, v1, v9
	s_cbranch_scc1 .LBB193_1137
; %bb.1138:
	v_mov_b32_e32 v1, v10
	s_and_b32 s6, s31, 3
	s_cmp_eq_u32 s6, 0
	s_cbranch_scc0 .LBB193_1142
	s_branch .LBB193_1144
.LBB193_1139:
                                        ; implicit-def: $vgpr10
                                        ; implicit-def: $vgpr4
	s_branch .LBB193_1145
.LBB193_1140:
	v_mov_b32_e32 v10, 0
	s_waitcnt vmcnt(0)
	v_mov_b32_e32 v4, 0
	s_branch .LBB193_1144
.LBB193_1141:
	s_waitcnt vmcnt(0)
	v_mov_b32_e32 v4, 0
                                        ; implicit-def: $vgpr10
	v_mov_b32_e32 v1, v4
	v_mov_b32_e32 v3, v16
	s_and_b32 s6, s31, 3
	s_cmp_eq_u32 s6, 0
	s_cbranch_scc1 .LBB193_1144
.LBB193_1142:
	s_lshl_b32 s2, s30, 3
	s_add_u32 s2, s34, s2
	s_addc_u32 s3, s35, 0
	s_add_u32 s2, s2, 0xc4
	s_addc_u32 s3, s3, 0
	s_mul_i32 s4, s30, 12
	s_add_u32 s4, s34, s4
	s_addc_u32 s5, s35, 0
.LBB193_1143:                           ; =>This Inner Loop Header: Depth=1
	s_load_dwordx2 s[8:9], s[4:5], 0x4
	s_load_dword s7, s[4:5], 0xc
	s_load_dwordx2 s[10:11], s[2:3], 0x0
	v_mov_b32_e32 v10, v1
	s_add_u32 s4, s4, 12
	s_waitcnt lgkmcnt(0)
	v_mul_hi_u32 v1, s9, v3
	v_add_u32_e32 v1, v3, v1
	v_lshrrev_b32_e32 v1, s7, v1
	s_addc_u32 s5, s5, 0
	v_mul_lo_u32 v5, v1, s8
	s_add_u32 s2, s2, 8
	v_sub_u32_e32 v5, v3, v5
	s_addc_u32 s3, s3, 0
	s_add_i32 s6, s6, -1
	v_mad_u64_u32 v[10:11], s[8:9], v5, s11, v[10:11]
	s_cmp_lg_u32 s6, 0
	v_mov_b32_e32 v3, v1
	v_mad_u64_u32 v[4:5], s[8:9], v5, s10, v[4:5]
	v_mov_b32_e32 v1, v10
	s_cbranch_scc1 .LBB193_1143
.LBB193_1144:
	s_cbranch_execnz .LBB193_1147
.LBB193_1145:
	s_load_dwordx4 s[4:7], s[34:35], 0x4
	s_load_dwordx2 s[2:3], s[34:35], 0xc4
	s_cmp_lt_u32 s33, 2
	s_waitcnt lgkmcnt(0)
	v_mul_hi_u32 v1, s5, v16
	v_add_u32_e32 v1, v16, v1
	v_lshrrev_b32_e32 v1, s6, v1
	v_mul_lo_u32 v3, v1, s4
	v_sub_u32_e32 v3, v16, v3
	v_mul_lo_u32 v10, v3, s3
	s_waitcnt vmcnt(0)
	v_mul_lo_u32 v4, v3, s2
	s_cbranch_scc1 .LBB193_1147
; %bb.1146:
	s_load_dwordx4 s[4:7], s[34:35], 0x10
	s_load_dwordx2 s[2:3], s[34:35], 0xcc
	s_waitcnt lgkmcnt(0)
	v_mul_hi_u32 v3, s5, v1
	v_add_u32_e32 v3, v1, v3
	v_lshrrev_b32_e32 v3, s6, v3
	v_mul_lo_u32 v3, v3, s4
	v_sub_u32_e32 v1, v1, v3
	v_mad_u64_u32 v[4:5], s[4:5], v1, s2, v[4:5]
	v_mad_u64_u32 v[10:11], s[2:3], v1, s3, v[10:11]
.LBB193_1147:
	s_load_dword s16, s[0:1], 0x160
	s_load_dwordx4 s[4:7], s[34:35], 0x148
	v_mov_b32_e32 v1, 0
	s_waitcnt lgkmcnt(0)
	s_bfe_u32 s14, s16, 0x80010
	s_cmp_lt_i32 s14, 11
	v_lshl_add_u64 v[16:17], s[6:7], 0, v[0:1]
	s_cbranch_scc1 .LBB193_1154
; %bb.1148:
	s_and_b32 s15, 0xffff, s14
	s_cmp_gt_i32 s15, 25
	s_mov_b64 s[8:9], 0
	s_cbranch_scc0 .LBB193_1156
; %bb.1149:
	s_cmp_gt_i32 s15, 28
	s_cbranch_scc0 .LBB193_1157
; %bb.1150:
	s_cmp_gt_i32 s15, 43
	;; [unrolled: 3-line block ×3, first 2 shown]
	s_cbranch_scc0 .LBB193_1159
; %bb.1152:
	s_cmp_eq_u32 s15, 46
	s_mov_b64 s[2:3], 0
	s_cbranch_scc0 .LBB193_1162
; %bb.1153:
	global_load_dword v0, v[16:17], off
	s_mov_b64 s[0:1], 0
	s_mov_b64 s[10:11], -1
	s_waitcnt vmcnt(0)
	v_lshlrev_b32_e32 v0, 16, v0
	v_cvt_f64_f32_e32 v[0:1], v0
	s_branch .LBB193_1163
.LBB193_1154:
	s_mov_b64 s[10:11], 0
                                        ; implicit-def: $vgpr0_vgpr1
	s_mov_b64 s[2:3], s[24:25]
	s_cbranch_execnz .LBB193_1226
.LBB193_1155:
	s_andn2_b64 vcc, exec, s[10:11]
	s_cbranch_vccz .LBB193_1271
	s_branch .LBB193_2092
.LBB193_1156:
	s_mov_b64 s[10:11], 0
	s_mov_b64 s[0:1], 0
                                        ; implicit-def: $vgpr0_vgpr1
	s_cbranch_execnz .LBB193_1193
	s_branch .LBB193_1222
.LBB193_1157:
	s_mov_b64 s[2:3], -1
	s_mov_b64 s[10:11], 0
	s_mov_b64 s[0:1], 0
                                        ; implicit-def: $vgpr0_vgpr1
	s_branch .LBB193_1172
.LBB193_1158:
	s_mov_b64 s[10:11], 0
	s_mov_b64 s[0:1], 0
                                        ; implicit-def: $vgpr0_vgpr1
	s_cbranch_execnz .LBB193_1168
	s_branch .LBB193_1171
.LBB193_1159:
	s_mov_b64 s[2:3], -1
	s_mov_b64 s[10:11], 0
	s_mov_b64 s[0:1], 0
                                        ; implicit-def: $vgpr0_vgpr1
	s_branch .LBB193_1163
.LBB193_1160:
	s_andn2_saveexec_b64 s[12:13], s[12:13]
	s_cbranch_execz .LBB193_999
.LBB193_1161:
	s_mov_b32 s14, 0x46000000
	v_add_f32_e64 v3, |v2|, s14
	v_and_b32_e32 v3, 0xff, v3
	v_cmp_ne_u32_e32 vcc, 0, v3
	s_andn2_b64 s[10:11], s[10:11], exec
	s_and_b64 s[14:15], vcc, exec
	s_or_b64 s[10:11], s[10:11], s[14:15]
	s_or_b64 exec, exec, s[12:13]
	v_mov_b32_e32 v6, 0
	s_and_saveexec_b64 s[12:13], s[10:11]
	s_cbranch_execnz .LBB193_1000
	s_branch .LBB193_1001
.LBB193_1162:
	s_mov_b64 s[0:1], -1
                                        ; implicit-def: $vgpr0_vgpr1
	s_mov_b64 s[10:11], 0
.LBB193_1163:
	s_and_b64 vcc, exec, s[2:3]
	s_cbranch_vccz .LBB193_1166
; %bb.1164:
	s_cmp_eq_u32 s15, 44
	s_cbranch_scc0 .LBB193_1167
; %bb.1165:
	global_load_ubyte v3, v[16:17], off
	s_movk_i32 s2, 0xff
	s_waitcnt vmcnt(1)
	v_bfrev_b32_e32 v5, 4
	v_mov_b32_e32 v7, 0x7ff80000
	v_bfrev_b32_e32 v9, 28
	s_mov_b64 s[0:1], 0
	s_mov_b64 s[10:11], -1
	s_waitcnt vmcnt(0)
	v_lshlrev_b32_e32 v0, 23, v3
	v_cvt_f64_f32_e32 v[0:1], v0
	v_cmp_ne_u32_e32 vcc, s2, v3
	s_nop 1
	v_cndmask_b32_e32 v0, v5, v0, vcc
	v_cndmask_b32_e32 v1, v7, v1, vcc
	v_cmp_ne_u32_e32 vcc, 0, v3
	s_nop 1
	v_cndmask_b32_e32 v1, v9, v1, vcc
	v_cndmask_b32_e32 v0, 0, v0, vcc
.LBB193_1166:
	s_branch .LBB193_1171
.LBB193_1167:
	s_mov_b64 s[0:1], -1
                                        ; implicit-def: $vgpr0_vgpr1
	s_branch .LBB193_1171
.LBB193_1168:
	s_cmp_eq_u32 s15, 29
	s_cbranch_scc0 .LBB193_1170
; %bb.1169:
	global_load_dwordx2 v[0:1], v[16:17], off
	s_mov_b64 s[0:1], 0
	s_mov_b64 s[10:11], -1
	s_mov_b64 s[2:3], 0
	s_waitcnt vmcnt(0)
	v_cvt_f64_u32_e32 v[18:19], v1
	v_cvt_f64_u32_e32 v[0:1], v0
	v_ldexp_f64 v[18:19], v[18:19], 32
	v_add_f64 v[0:1], v[18:19], v[0:1]
	s_branch .LBB193_1172
.LBB193_1170:
	s_mov_b64 s[0:1], -1
                                        ; implicit-def: $vgpr0_vgpr1
.LBB193_1171:
	s_mov_b64 s[2:3], 0
.LBB193_1172:
	s_and_b64 vcc, exec, s[2:3]
	s_cbranch_vccz .LBB193_1192
; %bb.1173:
	s_cmp_lt_i32 s15, 27
	s_cbranch_scc1 .LBB193_1176
; %bb.1174:
	s_cmp_gt_i32 s15, 27
	s_cbranch_scc0 .LBB193_1177
; %bb.1175:
	global_load_dword v0, v[16:17], off
	s_mov_b64 s[2:3], 0
	s_waitcnt vmcnt(0)
	v_cvt_f64_u32_e32 v[0:1], v0
	s_branch .LBB193_1178
.LBB193_1176:
	s_mov_b64 s[2:3], -1
                                        ; implicit-def: $vgpr0_vgpr1
	s_branch .LBB193_1181
.LBB193_1177:
	s_mov_b64 s[2:3], -1
                                        ; implicit-def: $vgpr0_vgpr1
.LBB193_1178:
	s_andn2_b64 vcc, exec, s[2:3]
	s_cbranch_vccnz .LBB193_1180
; %bb.1179:
	global_load_ushort v0, v[16:17], off
	s_waitcnt vmcnt(0)
	v_cvt_f64_u32_e32 v[0:1], v0
.LBB193_1180:
	s_mov_b64 s[2:3], 0
.LBB193_1181:
	s_andn2_b64 vcc, exec, s[2:3]
	s_cbranch_vccnz .LBB193_1191
; %bb.1182:
	global_load_ubyte v3, v[16:17], off
	s_movk_i32 s2, 0x7f
	s_waitcnt vmcnt(0)
	v_cmp_lt_i16_e32 vcc, s2, v3
	s_mov_b64 s[2:3], 0
	s_and_saveexec_b64 s[10:11], vcc
	s_xor_b64 s[10:11], exec, s[10:11]
	s_cbranch_execz .LBB193_1186
; %bb.1183:
	s_movk_i32 s2, 0x80
	v_cmp_eq_u16_e32 vcc, s2, v3
	s_mov_b64 s[2:3], -1
	s_and_saveexec_b64 s[12:13], vcc
; %bb.1184:
	s_xor_b64 s[2:3], exec, -1
; %bb.1185:
	s_or_b64 exec, exec, s[12:13]
	s_and_b64 s[2:3], s[2:3], exec
.LBB193_1186:
	s_or_saveexec_b64 s[10:11], s[10:11]
	v_bfrev_b32_e32 v0, 4
	v_mov_b32_e32 v1, 0x7ff80000
	s_xor_b64 exec, exec, s[10:11]
; %bb.1187:
	v_cmp_ne_u16_e32 vcc, 0, v3
	s_andn2_b64 s[2:3], s[2:3], exec
	s_and_b64 s[12:13], vcc, exec
	v_mov_b64_e32 v[0:1], 0
	s_or_b64 s[2:3], s[2:3], s[12:13]
; %bb.1188:
	s_or_b64 exec, exec, s[10:11]
	s_and_saveexec_b64 s[10:11], s[2:3]
	s_cbranch_execz .LBB193_1190
; %bb.1189:
	v_and_b32_e32 v1, 0xffff, v3
	v_lshlrev_b32_e32 v0, 24, v3
	v_and_b32_e32 v3, 7, v1
	v_ffbh_u32_e32 v7, v3
	v_min_u32_e32 v7, 32, v7
	v_subrev_u32_e32 v9, 28, v7
	v_bfe_u32 v5, v1, 3, 4
	v_lshlrev_b32_e32 v1, v9, v1
	v_sub_u32_e32 v7, 29, v7
	v_and_b32_e32 v1, 7, v1
	v_cmp_eq_u32_e32 vcc, 0, v5
	v_and_b32_e32 v0, 0x80000000, v0
	s_nop 0
	v_cndmask_b32_e32 v5, v5, v7, vcc
	v_cndmask_b32_e32 v1, v3, v1, vcc
	v_mov_b32_e32 v3, 0x3b800000
	v_lshlrev_b32_e32 v1, 20, v1
	v_lshl_add_u32 v3, v5, 23, v3
	v_or3_b32 v0, v0, v3, v1
	v_cvt_f64_f32_e32 v[0:1], v0
.LBB193_1190:
	s_or_b64 exec, exec, s[10:11]
.LBB193_1191:
	s_mov_b64 s[10:11], -1
.LBB193_1192:
	s_branch .LBB193_1222
.LBB193_1193:
	s_cmp_gt_i32 s15, 22
	s_cbranch_scc0 .LBB193_1205
; %bb.1194:
	s_cmp_lt_i32 s15, 24
	s_cbranch_scc1 .LBB193_1206
; %bb.1195:
	s_cmp_gt_i32 s15, 24
	s_cbranch_scc0 .LBB193_1207
; %bb.1196:
	global_load_ubyte v3, v[16:17], off
	s_movk_i32 s2, 0x7f
	s_waitcnt vmcnt(0)
	v_cmp_lt_i16_e32 vcc, s2, v3
	s_mov_b64 s[2:3], 0
	s_and_saveexec_b64 s[8:9], vcc
	s_xor_b64 s[8:9], exec, s[8:9]
	s_cbranch_execz .LBB193_1200
; %bb.1197:
	s_movk_i32 s2, 0x80
	v_cmp_eq_u16_e32 vcc, s2, v3
	s_mov_b64 s[2:3], -1
	s_and_saveexec_b64 s[10:11], vcc
; %bb.1198:
	s_xor_b64 s[2:3], exec, -1
; %bb.1199:
	s_or_b64 exec, exec, s[10:11]
	s_and_b64 s[2:3], s[2:3], exec
.LBB193_1200:
	s_or_saveexec_b64 s[8:9], s[8:9]
	v_bfrev_b32_e32 v0, 4
	v_mov_b32_e32 v1, 0x7ff80000
	s_xor_b64 exec, exec, s[8:9]
; %bb.1201:
	v_cmp_ne_u16_e32 vcc, 0, v3
	s_andn2_b64 s[2:3], s[2:3], exec
	s_and_b64 s[10:11], vcc, exec
	v_mov_b64_e32 v[0:1], 0
	s_or_b64 s[2:3], s[2:3], s[10:11]
; %bb.1202:
	s_or_b64 exec, exec, s[8:9]
	s_and_saveexec_b64 s[8:9], s[2:3]
	s_cbranch_execz .LBB193_1204
; %bb.1203:
	v_and_b32_e32 v1, 0xffff, v3
	v_lshlrev_b32_e32 v0, 24, v3
	v_and_b32_e32 v3, 3, v1
	v_ffbh_u32_e32 v7, v3
	v_min_u32_e32 v7, 32, v7
	v_subrev_u32_e32 v9, 29, v7
	v_bfe_u32 v5, v1, 2, 5
	v_lshlrev_b32_e32 v1, v9, v1
	v_sub_u32_e32 v7, 30, v7
	v_and_b32_e32 v1, 3, v1
	v_cmp_eq_u32_e32 vcc, 0, v5
	v_and_b32_e32 v0, 0x80000000, v0
	s_nop 0
	v_cndmask_b32_e32 v5, v5, v7, vcc
	v_cndmask_b32_e32 v1, v3, v1, vcc
	v_mov_b32_e32 v3, 0x37800000
	v_lshlrev_b32_e32 v1, 21, v1
	v_lshl_add_u32 v3, v5, 23, v3
	v_or3_b32 v0, v0, v3, v1
	v_cvt_f64_f32_e32 v[0:1], v0
.LBB193_1204:
	s_or_b64 exec, exec, s[8:9]
	s_mov_b64 s[2:3], 0
	s_branch .LBB193_1208
.LBB193_1205:
                                        ; implicit-def: $vgpr0_vgpr1
	s_mov_b64 s[8:9], 0
	s_branch .LBB193_1214
.LBB193_1206:
	s_mov_b64 s[2:3], -1
                                        ; implicit-def: $vgpr0_vgpr1
	s_branch .LBB193_1211
.LBB193_1207:
	s_mov_b64 s[2:3], -1
                                        ; implicit-def: $vgpr0_vgpr1
.LBB193_1208:
	s_and_b64 vcc, exec, s[2:3]
	s_cbranch_vccz .LBB193_1210
; %bb.1209:
	global_load_ubyte v0, v[16:17], off
	s_mov_b32 s2, 0x7f800000
	s_waitcnt vmcnt(0)
	v_lshlrev_b32_e32 v0, 24, v0
	v_and_b32_e32 v1, 0x7f000000, v0
	v_ffbh_u32_e32 v3, v1
	v_min_u32_e32 v3, 32, v3
	v_sub_u32_e64 v3, v3, 4 clamp
	v_lshlrev_b32_e32 v7, v3, v1
	v_lshlrev_b32_e32 v3, 23, v3
	v_lshrrev_b32_e32 v7, 4, v7
	v_add_u32_e32 v5, 0x1000000, v1
	v_sub_u32_e32 v3, v7, v3
	v_ashrrev_i32_e32 v5, 8, v5
	v_add_u32_e32 v3, 0x3c000000, v3
	v_and_or_b32 v3, v5, s2, v3
	v_cmp_ne_u32_e32 vcc, 0, v1
	s_brev_b32 s2, 1
	s_nop 0
	v_cndmask_b32_e32 v1, 0, v3, vcc
	v_and_or_b32 v0, v0, s2, v1
	v_cvt_f64_f32_e32 v[0:1], v0
.LBB193_1210:
	s_mov_b64 s[2:3], 0
.LBB193_1211:
	s_andn2_b64 vcc, exec, s[2:3]
	s_cbranch_vccnz .LBB193_1213
; %bb.1212:
	global_load_ubyte v0, v[16:17], off
	s_movk_i32 s2, 0x7f00
	s_brev_b32 s3, 16
	s_waitcnt vmcnt(0)
	v_lshlrev_b16_e32 v1, 8, v0
	v_lshlrev_b32_e32 v0, 25, v0
	v_lshrrev_b32_e32 v3, 4, v0
	v_and_or_b32 v5, v1, s2, 0.5
	v_or_b32_e32 v3, 0x70000000, v3
	v_add_f32_e32 v5, -0.5, v5
	v_mul_f32_e32 v3, 0x7800000, v3
	v_cmp_gt_u32_e32 vcc, s3, v0
	v_bfe_i32 v1, v1, 0, 16
	s_brev_b32 s2, 1
	v_cndmask_b32_e32 v0, v3, v5, vcc
	v_and_or_b32 v0, v1, s2, v0
	v_cvt_f64_f32_e32 v[0:1], v0
.LBB193_1213:
	s_mov_b64 s[10:11], -1
	s_mov_b64 s[8:9], 0
	s_cbranch_execnz .LBB193_1222
.LBB193_1214:
	s_cmp_gt_i32 s15, 14
	s_cbranch_scc0 .LBB193_1217
; %bb.1215:
	s_cmp_eq_u32 s15, 15
	s_cbranch_scc0 .LBB193_1218
; %bb.1216:
	global_load_ushort v0, v[16:17], off
	s_mov_b64 s[0:1], 0
	s_mov_b64 s[10:11], -1
	s_waitcnt vmcnt(0)
	v_lshlrev_b32_e32 v0, 16, v0
	v_cvt_f64_f32_e32 v[0:1], v0
	s_branch .LBB193_1219
.LBB193_1217:
	s_mov_b64 s[2:3], -1
                                        ; implicit-def: $vgpr0_vgpr1
	s_branch .LBB193_1220
.LBB193_1218:
	s_mov_b64 s[0:1], -1
                                        ; implicit-def: $vgpr0_vgpr1
.LBB193_1219:
	s_mov_b64 s[2:3], 0
.LBB193_1220:
	s_and_b64 vcc, exec, s[2:3]
	s_cbranch_vccz .LBB193_1222
; %bb.1221:
	s_cmp_lg_u32 s15, 11
	s_mov_b64 s[8:9], -1
	s_cselect_b64 s[0:1], -1, 0
.LBB193_1222:
	s_and_b64 vcc, exec, s[0:1]
	s_mov_b64 s[2:3], s[24:25]
	s_cbranch_vccnz .LBB193_1283
; %bb.1223:
	s_andn2_b64 vcc, exec, s[8:9]
	s_cbranch_vccnz .LBB193_1225
.LBB193_1224:
	global_load_ubyte v1, v[16:17], off
	v_mov_b32_e32 v3, 0x3ff00000
	v_mov_b32_e32 v0, 0
	s_mov_b64 s[10:11], -1
	s_waitcnt vmcnt(0)
	v_cmp_ne_u16_e32 vcc, 0, v1
	s_nop 1
	v_cndmask_b32_e32 v1, 0, v3, vcc
.LBB193_1225:
	s_branch .LBB193_1155
.LBB193_1226:
	s_and_b32 s8, 0xffff, s14
	s_cmp_lt_i32 s8, 5
	s_cbranch_scc1 .LBB193_1231
; %bb.1227:
	s_cmp_lt_i32 s8, 8
	s_cbranch_scc1 .LBB193_1232
; %bb.1228:
	;; [unrolled: 3-line block ×3, first 2 shown]
	s_cmp_gt_i32 s8, 9
	s_cbranch_scc0 .LBB193_1234
; %bb.1230:
	global_load_dwordx2 v[0:1], v[16:17], off
	s_mov_b64 s[0:1], 0
	s_branch .LBB193_1235
.LBB193_1231:
                                        ; implicit-def: $vgpr0_vgpr1
	s_branch .LBB193_1252
.LBB193_1232:
                                        ; implicit-def: $vgpr0_vgpr1
	s_branch .LBB193_1241
.LBB193_1233:
	s_mov_b64 s[0:1], -1
                                        ; implicit-def: $vgpr0_vgpr1
	s_branch .LBB193_1238
.LBB193_1234:
	s_mov_b64 s[0:1], -1
                                        ; implicit-def: $vgpr0_vgpr1
.LBB193_1235:
	s_andn2_b64 vcc, exec, s[0:1]
	s_cbranch_vccnz .LBB193_1237
; %bb.1236:
	global_load_dword v0, v[16:17], off
	s_waitcnt vmcnt(0)
	v_cvt_f64_f32_e32 v[0:1], v0
.LBB193_1237:
	s_mov_b64 s[0:1], 0
.LBB193_1238:
	s_andn2_b64 vcc, exec, s[0:1]
	s_cbranch_vccnz .LBB193_1240
; %bb.1239:
	global_load_dword v0, v[16:17], off
	s_waitcnt vmcnt(0)
	v_cvt_f32_f16_e32 v0, v0
	v_cvt_f64_f32_e32 v[0:1], v0
.LBB193_1240:
	s_cbranch_execnz .LBB193_1251
.LBB193_1241:
	s_cmp_lt_i32 s8, 6
	s_cbranch_scc1 .LBB193_1244
; %bb.1242:
	s_cmp_gt_i32 s8, 6
	s_cbranch_scc0 .LBB193_1245
; %bb.1243:
	global_load_dwordx2 v[0:1], v[16:17], off
	s_mov_b64 s[0:1], 0
	s_branch .LBB193_1246
.LBB193_1244:
	s_mov_b64 s[0:1], -1
                                        ; implicit-def: $vgpr0_vgpr1
	s_branch .LBB193_1249
.LBB193_1245:
	s_mov_b64 s[0:1], -1
                                        ; implicit-def: $vgpr0_vgpr1
.LBB193_1246:
	s_andn2_b64 vcc, exec, s[0:1]
	s_cbranch_vccnz .LBB193_1248
; %bb.1247:
	global_load_dword v0, v[16:17], off
	s_waitcnt vmcnt(0)
	v_cvt_f64_f32_e32 v[0:1], v0
.LBB193_1248:
	s_mov_b64 s[0:1], 0
.LBB193_1249:
	s_andn2_b64 vcc, exec, s[0:1]
	s_cbranch_vccnz .LBB193_1251
; %bb.1250:
	global_load_ushort v0, v[16:17], off
	s_waitcnt vmcnt(0)
	v_cvt_f32_f16_e32 v0, v0
	v_cvt_f64_f32_e32 v[0:1], v0
.LBB193_1251:
	s_cbranch_execnz .LBB193_1270
.LBB193_1252:
	s_cmp_lt_i32 s8, 2
	s_cbranch_scc1 .LBB193_1256
; %bb.1253:
	s_cmp_lt_i32 s8, 3
	s_cbranch_scc1 .LBB193_1257
; %bb.1254:
	s_cmp_gt_i32 s8, 3
	s_cbranch_scc0 .LBB193_1258
; %bb.1255:
	global_load_dwordx2 v[0:1], v[16:17], off
	s_mov_b64 s[0:1], 0
	s_waitcnt vmcnt(0)
	v_cvt_f64_i32_e32 v[18:19], v1
	v_cvt_f64_u32_e32 v[0:1], v0
	v_ldexp_f64 v[18:19], v[18:19], 32
	v_add_f64 v[0:1], v[18:19], v[0:1]
	s_branch .LBB193_1259
.LBB193_1256:
                                        ; implicit-def: $vgpr0_vgpr1
	s_branch .LBB193_1265
.LBB193_1257:
	s_mov_b64 s[0:1], -1
                                        ; implicit-def: $vgpr0_vgpr1
	s_branch .LBB193_1262
.LBB193_1258:
	s_mov_b64 s[0:1], -1
                                        ; implicit-def: $vgpr0_vgpr1
.LBB193_1259:
	s_andn2_b64 vcc, exec, s[0:1]
	s_cbranch_vccnz .LBB193_1261
; %bb.1260:
	global_load_dword v0, v[16:17], off
	s_waitcnt vmcnt(0)
	v_cvt_f64_i32_e32 v[0:1], v0
.LBB193_1261:
	s_mov_b64 s[0:1], 0
.LBB193_1262:
	s_andn2_b64 vcc, exec, s[0:1]
	s_cbranch_vccnz .LBB193_1264
; %bb.1263:
	global_load_sshort v0, v[16:17], off
	s_waitcnt vmcnt(0)
	v_cvt_f64_i32_e32 v[0:1], v0
.LBB193_1264:
	s_cbranch_execnz .LBB193_1270
.LBB193_1265:
	s_cmp_gt_i32 s8, 0
	s_cbranch_scc0 .LBB193_1267
; %bb.1266:
	global_load_sbyte v0, v[16:17], off
	s_mov_b64 s[0:1], 0
	s_waitcnt vmcnt(0)
	v_cvt_f64_i32_e32 v[0:1], v0
	s_branch .LBB193_1268
.LBB193_1267:
	s_mov_b64 s[0:1], -1
                                        ; implicit-def: $vgpr0_vgpr1
.LBB193_1268:
	s_andn2_b64 vcc, exec, s[0:1]
	s_cbranch_vccnz .LBB193_1270
; %bb.1269:
	global_load_ubyte v0, v[16:17], off
	s_waitcnt vmcnt(0)
	v_cvt_f64_u32_e32 v[0:1], v0
.LBB193_1270:
.LBB193_1271:
	s_lshr_b32 s0, s16, 16
	v_mov_b32_e32 v15, 0
	s_and_b32 s17, s0, 0xff
	s_cmp_lt_i32 s17, 11
	v_lshl_add_u64 v[16:17], s[6:7], 0, v[14:15]
	s_cbranch_scc1 .LBB193_1278
; %bb.1272:
	s_and_b32 s18, 0xffff, s17
	s_cmp_gt_i32 s18, 25
	s_mov_b64 s[8:9], 0
	s_cbranch_scc0 .LBB193_1280
; %bb.1273:
	s_cmp_gt_i32 s18, 28
	s_cbranch_scc0 .LBB193_1281
; %bb.1274:
	s_cmp_gt_i32 s18, 43
	;; [unrolled: 3-line block ×3, first 2 shown]
	s_cbranch_scc0 .LBB193_1284
; %bb.1276:
	s_cmp_eq_u32 s18, 46
	s_mov_b64 s[12:13], 0
	s_cbranch_scc0 .LBB193_1287
; %bb.1277:
	global_load_dword v3, v[16:17], off
	s_mov_b64 s[0:1], 0
	s_mov_b64 s[10:11], -1
	s_waitcnt vmcnt(0)
	v_lshlrev_b32_e32 v3, 16, v3
	v_cvt_f64_f32_e32 v[14:15], v3
	s_branch .LBB193_1288
.LBB193_1278:
	s_mov_b64 s[10:11], 0
                                        ; implicit-def: $vgpr14_vgpr15
	s_cbranch_execnz .LBB193_1353
.LBB193_1279:
	s_andn2_b64 vcc, exec, s[10:11]
	s_cbranch_vccnz .LBB193_2092
	s_branch .LBB193_1400
.LBB193_1280:
	s_mov_b64 s[10:11], 0
	s_mov_b64 s[0:1], 0
                                        ; implicit-def: $vgpr14_vgpr15
	s_cbranch_execnz .LBB193_1319
	s_branch .LBB193_1349
.LBB193_1281:
	s_mov_b64 s[12:13], -1
	s_mov_b64 s[10:11], 0
	s_mov_b64 s[0:1], 0
                                        ; implicit-def: $vgpr14_vgpr15
	s_branch .LBB193_1298
.LBB193_1282:
	s_mov_b64 s[12:13], -1
	s_mov_b64 s[10:11], 0
	s_mov_b64 s[0:1], 0
                                        ; implicit-def: $vgpr14_vgpr15
	s_branch .LBB193_1293
.LBB193_1283:
	s_or_b64 s[2:3], s[24:25], exec
	s_trap 2
	s_cbranch_execz .LBB193_1224
	s_branch .LBB193_1225
.LBB193_1284:
	s_mov_b64 s[12:13], -1
	s_mov_b64 s[10:11], 0
	s_mov_b64 s[0:1], 0
                                        ; implicit-def: $vgpr14_vgpr15
	s_branch .LBB193_1288
.LBB193_1285:
	s_andn2_saveexec_b64 s[14:15], s[14:15]
	s_cbranch_execz .LBB193_1011
.LBB193_1286:
	s_mov_b32 s18, 0x42800000
	v_add_f32_e64 v3, |v2|, s18
	v_and_b32_e32 v3, 0xff, v3
	v_cmp_ne_u32_e32 vcc, 0, v3
	s_andn2_b64 s[12:13], s[12:13], exec
	s_and_b64 s[18:19], vcc, exec
	s_or_b64 s[12:13], s[12:13], s[18:19]
	s_or_b64 exec, exec, s[14:15]
	v_mov_b32_e32 v6, 0
	s_and_saveexec_b64 s[14:15], s[12:13]
	s_cbranch_execnz .LBB193_1012
	s_branch .LBB193_1013
.LBB193_1287:
	s_mov_b64 s[0:1], -1
                                        ; implicit-def: $vgpr14_vgpr15
	s_mov_b64 s[10:11], 0
.LBB193_1288:
	s_and_b64 vcc, exec, s[12:13]
	s_cbranch_vccz .LBB193_1292
; %bb.1289:
	s_cmp_eq_u32 s18, 44
	s_cbranch_scc0 .LBB193_1291
; %bb.1290:
	global_load_ubyte v3, v[16:17], off
	s_movk_i32 s10, 0xff
	s_waitcnt vmcnt(1)
	v_bfrev_b32_e32 v5, 4
	v_mov_b32_e32 v7, 0x7ff80000
	v_bfrev_b32_e32 v9, 28
	s_mov_b64 s[0:1], 0
	s_waitcnt vmcnt(0)
	v_lshlrev_b32_e32 v11, 23, v3
	v_cvt_f64_f32_e32 v[14:15], v11
	v_cmp_ne_u32_e32 vcc, s10, v3
	s_mov_b64 s[10:11], -1
	s_nop 0
	v_cndmask_b32_e32 v5, v5, v14, vcc
	v_cndmask_b32_e32 v7, v7, v15, vcc
	v_cmp_ne_u32_e32 vcc, 0, v3
	s_nop 1
	v_cndmask_b32_e32 v15, v9, v7, vcc
	v_cndmask_b32_e32 v14, 0, v5, vcc
	s_branch .LBB193_1292
.LBB193_1291:
	s_mov_b64 s[0:1], -1
                                        ; implicit-def: $vgpr14_vgpr15
.LBB193_1292:
	s_mov_b64 s[12:13], 0
.LBB193_1293:
	s_and_b64 vcc, exec, s[12:13]
	s_cbranch_vccz .LBB193_1297
; %bb.1294:
	s_cmp_eq_u32 s18, 29
	s_cbranch_scc0 .LBB193_1296
; %bb.1295:
	global_load_dwordx2 v[14:15], v[16:17], off
	s_mov_b64 s[0:1], 0
	s_mov_b64 s[10:11], -1
	s_mov_b64 s[12:13], 0
	s_waitcnt vmcnt(0)
	v_cvt_f64_u32_e32 v[18:19], v15
	v_cvt_f64_u32_e32 v[14:15], v14
	v_ldexp_f64 v[18:19], v[18:19], 32
	v_add_f64 v[14:15], v[18:19], v[14:15]
	s_branch .LBB193_1298
.LBB193_1296:
	s_mov_b64 s[0:1], -1
                                        ; implicit-def: $vgpr14_vgpr15
.LBB193_1297:
	s_mov_b64 s[12:13], 0
.LBB193_1298:
	s_and_b64 vcc, exec, s[12:13]
	s_cbranch_vccz .LBB193_1318
; %bb.1299:
	s_cmp_lt_i32 s18, 27
	s_cbranch_scc1 .LBB193_1302
; %bb.1300:
	s_cmp_gt_i32 s18, 27
	s_cbranch_scc0 .LBB193_1303
; %bb.1301:
	global_load_dword v3, v[16:17], off
	s_mov_b64 s[10:11], 0
	s_waitcnt vmcnt(0)
	v_cvt_f64_u32_e32 v[14:15], v3
	s_branch .LBB193_1304
.LBB193_1302:
	s_mov_b64 s[10:11], -1
                                        ; implicit-def: $vgpr14_vgpr15
	s_branch .LBB193_1307
.LBB193_1303:
	s_mov_b64 s[10:11], -1
                                        ; implicit-def: $vgpr14_vgpr15
.LBB193_1304:
	s_andn2_b64 vcc, exec, s[10:11]
	s_cbranch_vccnz .LBB193_1306
; %bb.1305:
	global_load_ushort v3, v[16:17], off
	s_waitcnt vmcnt(0)
	v_cvt_f64_u32_e32 v[14:15], v3
.LBB193_1306:
	s_mov_b64 s[10:11], 0
.LBB193_1307:
	s_andn2_b64 vcc, exec, s[10:11]
	s_cbranch_vccnz .LBB193_1317
; %bb.1308:
	global_load_ubyte v3, v[16:17], off
	s_movk_i32 s10, 0x7f
	s_waitcnt vmcnt(0)
	v_cmp_lt_i16_e32 vcc, s10, v3
	s_mov_b64 s[10:11], 0
	s_and_saveexec_b64 s[12:13], vcc
	s_xor_b64 s[12:13], exec, s[12:13]
	s_cbranch_execz .LBB193_1312
; %bb.1309:
	s_movk_i32 s10, 0x80
	v_cmp_eq_u16_e32 vcc, s10, v3
	s_mov_b64 s[10:11], -1
	s_and_saveexec_b64 s[14:15], vcc
; %bb.1310:
	s_xor_b64 s[10:11], exec, -1
; %bb.1311:
	s_or_b64 exec, exec, s[14:15]
	s_and_b64 s[10:11], s[10:11], exec
.LBB193_1312:
	s_or_saveexec_b64 s[12:13], s[12:13]
	v_bfrev_b32_e32 v14, 4
	v_mov_b32_e32 v15, 0x7ff80000
	s_xor_b64 exec, exec, s[12:13]
; %bb.1313:
	v_cmp_ne_u16_e32 vcc, 0, v3
	s_andn2_b64 s[10:11], s[10:11], exec
	s_and_b64 s[14:15], vcc, exec
	v_mov_b64_e32 v[14:15], 0
	s_or_b64 s[10:11], s[10:11], s[14:15]
; %bb.1314:
	s_or_b64 exec, exec, s[12:13]
	s_and_saveexec_b64 s[12:13], s[10:11]
	s_cbranch_execz .LBB193_1316
; %bb.1315:
	v_lshlrev_b32_e32 v5, 24, v3
	v_and_b32_e32 v3, 0xffff, v3
	v_and_b32_e32 v7, 7, v3
	v_ffbh_u32_e32 v11, v7
	v_min_u32_e32 v11, 32, v11
	v_subrev_u32_e32 v13, 28, v11
	v_bfe_u32 v9, v3, 3, 4
	v_lshlrev_b32_e32 v3, v13, v3
	v_sub_u32_e32 v11, 29, v11
	v_and_b32_e32 v3, 7, v3
	v_cmp_eq_u32_e32 vcc, 0, v9
	v_and_b32_e32 v5, 0x80000000, v5
	s_nop 0
	v_cndmask_b32_e32 v9, v9, v11, vcc
	v_cndmask_b32_e32 v3, v7, v3, vcc
	v_mov_b32_e32 v7, 0x3b800000
	v_lshlrev_b32_e32 v3, 20, v3
	v_lshl_add_u32 v7, v9, 23, v7
	v_or3_b32 v3, v5, v7, v3
	v_cvt_f64_f32_e32 v[14:15], v3
.LBB193_1316:
	s_or_b64 exec, exec, s[12:13]
.LBB193_1317:
	s_mov_b64 s[10:11], -1
.LBB193_1318:
	s_branch .LBB193_1349
.LBB193_1319:
	s_cmp_gt_i32 s18, 22
	s_cbranch_scc0 .LBB193_1331
; %bb.1320:
	s_cmp_lt_i32 s18, 24
	s_cbranch_scc1 .LBB193_1332
; %bb.1321:
	s_cmp_gt_i32 s18, 24
	s_cbranch_scc0 .LBB193_1333
; %bb.1322:
	global_load_ubyte v3, v[16:17], off
	s_movk_i32 s8, 0x7f
	s_waitcnt vmcnt(0)
	v_cmp_lt_i16_e32 vcc, s8, v3
	s_mov_b64 s[8:9], 0
	s_and_saveexec_b64 s[10:11], vcc
	s_xor_b64 s[10:11], exec, s[10:11]
	s_cbranch_execz .LBB193_1326
; %bb.1323:
	s_movk_i32 s8, 0x80
	v_cmp_eq_u16_e32 vcc, s8, v3
	s_mov_b64 s[8:9], -1
	s_and_saveexec_b64 s[12:13], vcc
; %bb.1324:
	s_xor_b64 s[8:9], exec, -1
; %bb.1325:
	s_or_b64 exec, exec, s[12:13]
	s_and_b64 s[8:9], s[8:9], exec
.LBB193_1326:
	s_or_saveexec_b64 s[10:11], s[10:11]
	v_bfrev_b32_e32 v14, 4
	v_mov_b32_e32 v15, 0x7ff80000
	s_xor_b64 exec, exec, s[10:11]
; %bb.1327:
	v_cmp_ne_u16_e32 vcc, 0, v3
	s_andn2_b64 s[8:9], s[8:9], exec
	s_and_b64 s[12:13], vcc, exec
	v_mov_b64_e32 v[14:15], 0
	s_or_b64 s[8:9], s[8:9], s[12:13]
; %bb.1328:
	s_or_b64 exec, exec, s[10:11]
	s_and_saveexec_b64 s[10:11], s[8:9]
	s_cbranch_execz .LBB193_1330
; %bb.1329:
	v_lshlrev_b32_e32 v5, 24, v3
	v_and_b32_e32 v3, 0xffff, v3
	v_and_b32_e32 v7, 3, v3
	v_ffbh_u32_e32 v11, v7
	v_min_u32_e32 v11, 32, v11
	v_subrev_u32_e32 v13, 29, v11
	v_bfe_u32 v9, v3, 2, 5
	v_lshlrev_b32_e32 v3, v13, v3
	v_sub_u32_e32 v11, 30, v11
	v_and_b32_e32 v3, 3, v3
	v_cmp_eq_u32_e32 vcc, 0, v9
	v_and_b32_e32 v5, 0x80000000, v5
	s_nop 0
	v_cndmask_b32_e32 v9, v9, v11, vcc
	v_cndmask_b32_e32 v3, v7, v3, vcc
	v_mov_b32_e32 v7, 0x37800000
	v_lshlrev_b32_e32 v3, 21, v3
	v_lshl_add_u32 v7, v9, 23, v7
	v_or3_b32 v3, v5, v7, v3
	v_cvt_f64_f32_e32 v[14:15], v3
.LBB193_1330:
	s_or_b64 exec, exec, s[10:11]
	s_mov_b64 s[8:9], 0
	s_branch .LBB193_1334
.LBB193_1331:
	s_mov_b64 s[8:9], -1
                                        ; implicit-def: $vgpr14_vgpr15
	s_branch .LBB193_1340
.LBB193_1332:
	s_mov_b64 s[8:9], -1
                                        ; implicit-def: $vgpr14_vgpr15
	s_branch .LBB193_1337
.LBB193_1333:
	s_mov_b64 s[8:9], -1
                                        ; implicit-def: $vgpr14_vgpr15
.LBB193_1334:
	s_and_b64 vcc, exec, s[8:9]
	s_cbranch_vccz .LBB193_1336
; %bb.1335:
	global_load_ubyte v3, v[16:17], off
	s_mov_b32 s8, 0x7f800000
	s_waitcnt vmcnt(0)
	v_lshlrev_b32_e32 v3, 24, v3
	v_and_b32_e32 v5, 0x7f000000, v3
	v_ffbh_u32_e32 v7, v5
	v_min_u32_e32 v7, 32, v7
	v_sub_u32_e64 v7, v7, 4 clamp
	v_lshlrev_b32_e32 v11, v7, v5
	v_lshlrev_b32_e32 v7, 23, v7
	v_lshrrev_b32_e32 v11, 4, v11
	v_add_u32_e32 v9, 0x1000000, v5
	v_sub_u32_e32 v7, v11, v7
	v_ashrrev_i32_e32 v9, 8, v9
	v_add_u32_e32 v7, 0x3c000000, v7
	v_and_or_b32 v7, v9, s8, v7
	v_cmp_ne_u32_e32 vcc, 0, v5
	s_brev_b32 s8, 1
	s_nop 0
	v_cndmask_b32_e32 v5, 0, v7, vcc
	v_and_or_b32 v3, v3, s8, v5
	v_cvt_f64_f32_e32 v[14:15], v3
.LBB193_1336:
	s_mov_b64 s[8:9], 0
.LBB193_1337:
	s_andn2_b64 vcc, exec, s[8:9]
	s_cbranch_vccnz .LBB193_1339
; %bb.1338:
	global_load_ubyte v3, v[16:17], off
	s_movk_i32 s8, 0x7f00
	s_brev_b32 s9, 16
	s_waitcnt vmcnt(0)
	v_lshlrev_b16_e32 v5, 8, v3
	v_lshlrev_b32_e32 v3, 25, v3
	v_lshrrev_b32_e32 v7, 4, v3
	v_and_or_b32 v9, v5, s8, 0.5
	v_or_b32_e32 v7, 0x70000000, v7
	v_add_f32_e32 v9, -0.5, v9
	v_mul_f32_e32 v7, 0x7800000, v7
	v_cmp_gt_u32_e32 vcc, s9, v3
	v_bfe_i32 v5, v5, 0, 16
	s_brev_b32 s8, 1
	v_cndmask_b32_e32 v3, v7, v9, vcc
	v_and_or_b32 v3, v5, s8, v3
	v_cvt_f64_f32_e32 v[14:15], v3
.LBB193_1339:
	s_mov_b64 s[8:9], 0
	s_mov_b64 s[10:11], -1
.LBB193_1340:
	s_andn2_b64 vcc, exec, s[8:9]
	s_mov_b64 s[8:9], 0
	s_cbranch_vccnz .LBB193_1349
; %bb.1341:
	s_cmp_gt_i32 s18, 14
	s_cbranch_scc0 .LBB193_1344
; %bb.1342:
	s_cmp_eq_u32 s18, 15
	s_cbranch_scc0 .LBB193_1345
; %bb.1343:
	global_load_ushort v3, v[16:17], off
	s_mov_b64 s[0:1], 0
	s_mov_b64 s[10:11], -1
	s_waitcnt vmcnt(0)
	v_lshlrev_b32_e32 v3, 16, v3
	v_cvt_f64_f32_e32 v[14:15], v3
	s_branch .LBB193_1346
.LBB193_1344:
	s_mov_b64 s[12:13], -1
                                        ; implicit-def: $vgpr14_vgpr15
	s_branch .LBB193_1347
.LBB193_1345:
	s_mov_b64 s[0:1], -1
                                        ; implicit-def: $vgpr14_vgpr15
.LBB193_1346:
	s_mov_b64 s[12:13], 0
.LBB193_1347:
	s_and_b64 vcc, exec, s[12:13]
	s_cbranch_vccz .LBB193_1349
; %bb.1348:
	s_cmp_lg_u32 s18, 11
	s_mov_b64 s[8:9], -1
	s_cselect_b64 s[0:1], -1, 0
.LBB193_1349:
	s_and_b64 vcc, exec, s[0:1]
	s_cbranch_vccnz .LBB193_1412
; %bb.1350:
	s_andn2_b64 vcc, exec, s[8:9]
	s_cbranch_vccnz .LBB193_1352
.LBB193_1351:
	global_load_ubyte v3, v[16:17], off
	s_waitcnt vmcnt(1)
	v_mov_b32_e32 v5, 0x3ff00000
	v_mov_b32_e32 v14, 0
	s_mov_b64 s[10:11], -1
	s_waitcnt vmcnt(0)
	v_cmp_ne_u16_e32 vcc, 0, v3
	s_nop 1
	v_cndmask_b32_e32 v15, 0, v5, vcc
.LBB193_1352:
	s_branch .LBB193_1279
.LBB193_1353:
	s_and_b32 s8, 0xffff, s17
	s_cmp_lt_i32 s8, 5
	s_cbranch_scc1 .LBB193_1358
; %bb.1354:
	s_cmp_lt_i32 s8, 8
	s_cbranch_scc1 .LBB193_1359
; %bb.1355:
	;; [unrolled: 3-line block ×3, first 2 shown]
	s_cmp_gt_i32 s8, 9
	s_cbranch_scc0 .LBB193_1361
; %bb.1357:
	global_load_dwordx2 v[14:15], v[16:17], off
	s_mov_b64 s[0:1], 0
	s_branch .LBB193_1362
.LBB193_1358:
                                        ; implicit-def: $vgpr14_vgpr15
	s_branch .LBB193_1380
.LBB193_1359:
	s_mov_b64 s[0:1], -1
                                        ; implicit-def: $vgpr14_vgpr15
	s_branch .LBB193_1368
.LBB193_1360:
	s_mov_b64 s[0:1], -1
                                        ; implicit-def: $vgpr14_vgpr15
	s_branch .LBB193_1365
.LBB193_1361:
	s_mov_b64 s[0:1], -1
                                        ; implicit-def: $vgpr14_vgpr15
.LBB193_1362:
	s_andn2_b64 vcc, exec, s[0:1]
	s_cbranch_vccnz .LBB193_1364
; %bb.1363:
	global_load_dword v3, v[16:17], off
	s_waitcnt vmcnt(0)
	v_cvt_f64_f32_e32 v[14:15], v3
.LBB193_1364:
	s_mov_b64 s[0:1], 0
.LBB193_1365:
	s_andn2_b64 vcc, exec, s[0:1]
	s_cbranch_vccnz .LBB193_1367
; %bb.1366:
	global_load_dword v3, v[16:17], off
	s_waitcnt vmcnt(0)
	v_cvt_f32_f16_e32 v3, v3
	v_cvt_f64_f32_e32 v[14:15], v3
.LBB193_1367:
	s_mov_b64 s[0:1], 0
.LBB193_1368:
	s_andn2_b64 vcc, exec, s[0:1]
	s_cbranch_vccnz .LBB193_1379
; %bb.1369:
	s_cmp_lt_i32 s8, 6
	s_cbranch_scc1 .LBB193_1372
; %bb.1370:
	s_cmp_gt_i32 s8, 6
	s_cbranch_scc0 .LBB193_1373
; %bb.1371:
	global_load_dwordx2 v[14:15], v[16:17], off
	s_mov_b64 s[0:1], 0
	s_branch .LBB193_1374
.LBB193_1372:
	s_mov_b64 s[0:1], -1
                                        ; implicit-def: $vgpr14_vgpr15
	s_branch .LBB193_1377
.LBB193_1373:
	s_mov_b64 s[0:1], -1
                                        ; implicit-def: $vgpr14_vgpr15
.LBB193_1374:
	s_andn2_b64 vcc, exec, s[0:1]
	s_cbranch_vccnz .LBB193_1376
; %bb.1375:
	global_load_dword v3, v[16:17], off
	s_waitcnt vmcnt(0)
	v_cvt_f64_f32_e32 v[14:15], v3
.LBB193_1376:
	s_mov_b64 s[0:1], 0
.LBB193_1377:
	s_andn2_b64 vcc, exec, s[0:1]
	s_cbranch_vccnz .LBB193_1379
; %bb.1378:
	global_load_ushort v3, v[16:17], off
	s_waitcnt vmcnt(0)
	v_cvt_f32_f16_e32 v3, v3
	v_cvt_f64_f32_e32 v[14:15], v3
.LBB193_1379:
	s_cbranch_execnz .LBB193_1399
.LBB193_1380:
	s_cmp_lt_i32 s8, 2
	s_cbranch_scc1 .LBB193_1384
; %bb.1381:
	s_cmp_lt_i32 s8, 3
	s_cbranch_scc1 .LBB193_1385
; %bb.1382:
	s_cmp_gt_i32 s8, 3
	s_cbranch_scc0 .LBB193_1386
; %bb.1383:
	global_load_dwordx2 v[14:15], v[16:17], off
	s_mov_b64 s[0:1], 0
	s_waitcnt vmcnt(0)
	v_cvt_f64_i32_e32 v[18:19], v15
	v_cvt_f64_u32_e32 v[14:15], v14
	v_ldexp_f64 v[18:19], v[18:19], 32
	v_add_f64 v[14:15], v[18:19], v[14:15]
	s_branch .LBB193_1387
.LBB193_1384:
	s_mov_b64 s[0:1], -1
                                        ; implicit-def: $vgpr14_vgpr15
	s_branch .LBB193_1393
.LBB193_1385:
	s_mov_b64 s[0:1], -1
                                        ; implicit-def: $vgpr14_vgpr15
	s_branch .LBB193_1390
.LBB193_1386:
	s_mov_b64 s[0:1], -1
                                        ; implicit-def: $vgpr14_vgpr15
.LBB193_1387:
	s_andn2_b64 vcc, exec, s[0:1]
	s_cbranch_vccnz .LBB193_1389
; %bb.1388:
	global_load_dword v3, v[16:17], off
	s_waitcnt vmcnt(0)
	v_cvt_f64_i32_e32 v[14:15], v3
.LBB193_1389:
	s_mov_b64 s[0:1], 0
.LBB193_1390:
	s_andn2_b64 vcc, exec, s[0:1]
	s_cbranch_vccnz .LBB193_1392
; %bb.1391:
	global_load_sshort v3, v[16:17], off
	s_waitcnt vmcnt(0)
	v_cvt_f64_i32_e32 v[14:15], v3
.LBB193_1392:
	s_mov_b64 s[0:1], 0
.LBB193_1393:
	s_andn2_b64 vcc, exec, s[0:1]
	s_cbranch_vccnz .LBB193_1399
; %bb.1394:
	s_cmp_gt_i32 s8, 0
	s_cbranch_scc0 .LBB193_1396
; %bb.1395:
	global_load_sbyte v3, v[16:17], off
	s_mov_b64 s[0:1], 0
	s_waitcnt vmcnt(0)
	v_cvt_f64_i32_e32 v[14:15], v3
	s_branch .LBB193_1397
.LBB193_1396:
	s_mov_b64 s[0:1], -1
                                        ; implicit-def: $vgpr14_vgpr15
.LBB193_1397:
	s_andn2_b64 vcc, exec, s[0:1]
	s_cbranch_vccnz .LBB193_1399
; %bb.1398:
	global_load_ubyte v3, v[16:17], off
	s_waitcnt vmcnt(0)
	v_cvt_f64_u32_e32 v[14:15], v3
.LBB193_1399:
.LBB193_1400:
	v_mov_b32_e32 v13, 0
	s_cmp_lt_i32 s17, 11
	v_lshl_add_u64 v[16:17], s[6:7], 0, v[12:13]
	s_cbranch_scc1 .LBB193_1407
; %bb.1401:
	s_and_b32 s18, 0xffff, s17
	s_cmp_gt_i32 s18, 25
	s_mov_b64 s[8:9], 0
	s_cbranch_scc0 .LBB193_1409
; %bb.1402:
	s_cmp_gt_i32 s18, 28
	s_cbranch_scc0 .LBB193_1410
; %bb.1403:
	s_cmp_gt_i32 s18, 43
	;; [unrolled: 3-line block ×3, first 2 shown]
	s_cbranch_scc0 .LBB193_1413
; %bb.1405:
	s_cmp_eq_u32 s18, 46
	s_mov_b64 s[12:13], 0
	s_cbranch_scc0 .LBB193_1414
; %bb.1406:
	global_load_dword v3, v[16:17], off
	s_mov_b64 s[0:1], 0
	s_mov_b64 s[10:11], -1
	s_waitcnt vmcnt(0)
	v_lshlrev_b32_e32 v3, 16, v3
	v_cvt_f64_f32_e32 v[12:13], v3
	s_branch .LBB193_1415
.LBB193_1407:
	s_mov_b64 s[10:11], 0
                                        ; implicit-def: $vgpr12_vgpr13
	s_cbranch_execnz .LBB193_1481
.LBB193_1408:
	s_andn2_b64 vcc, exec, s[10:11]
	s_cbranch_vccnz .LBB193_2092
	s_branch .LBB193_1529
.LBB193_1409:
	s_mov_b64 s[12:13], -1
	s_mov_b64 s[10:11], 0
	s_mov_b64 s[0:1], 0
                                        ; implicit-def: $vgpr12_vgpr13
	s_branch .LBB193_1446
.LBB193_1410:
	s_mov_b64 s[12:13], -1
	s_mov_b64 s[10:11], 0
	s_mov_b64 s[0:1], 0
                                        ; implicit-def: $vgpr12_vgpr13
	s_branch .LBB193_1425
.LBB193_1411:
	s_mov_b64 s[12:13], -1
	s_mov_b64 s[10:11], 0
	s_mov_b64 s[0:1], 0
                                        ; implicit-def: $vgpr12_vgpr13
	s_branch .LBB193_1420
.LBB193_1412:
	s_trap 2
	s_or_b64 s[2:3], s[2:3], exec
	s_cbranch_execz .LBB193_1351
	s_branch .LBB193_1352
.LBB193_1413:
	s_mov_b64 s[12:13], -1
	s_mov_b64 s[10:11], 0
	s_mov_b64 s[0:1], 0
                                        ; implicit-def: $vgpr12_vgpr13
	s_branch .LBB193_1415
.LBB193_1414:
	s_mov_b64 s[0:1], -1
                                        ; implicit-def: $vgpr12_vgpr13
	s_mov_b64 s[10:11], 0
.LBB193_1415:
	s_and_b64 vcc, exec, s[12:13]
	s_cbranch_vccz .LBB193_1419
; %bb.1416:
	s_cmp_eq_u32 s18, 44
	s_cbranch_scc0 .LBB193_1418
; %bb.1417:
	global_load_ubyte v3, v[16:17], off
	s_movk_i32 s10, 0xff
	s_waitcnt vmcnt(1)
	v_bfrev_b32_e32 v5, 4
	v_mov_b32_e32 v7, 0x7ff80000
	v_bfrev_b32_e32 v9, 28
	s_mov_b64 s[0:1], 0
	s_waitcnt vmcnt(0)
	v_lshlrev_b32_e32 v11, 23, v3
	v_cvt_f64_f32_e32 v[12:13], v11
	v_cmp_ne_u32_e32 vcc, s10, v3
	s_mov_b64 s[10:11], -1
	s_nop 0
	v_cndmask_b32_e32 v5, v5, v12, vcc
	v_cndmask_b32_e32 v7, v7, v13, vcc
	v_cmp_ne_u32_e32 vcc, 0, v3
	s_nop 1
	v_cndmask_b32_e32 v13, v9, v7, vcc
	v_cndmask_b32_e32 v12, 0, v5, vcc
	s_branch .LBB193_1419
.LBB193_1418:
	s_mov_b64 s[0:1], -1
                                        ; implicit-def: $vgpr12_vgpr13
.LBB193_1419:
	s_mov_b64 s[12:13], 0
.LBB193_1420:
	s_and_b64 vcc, exec, s[12:13]
	s_cbranch_vccz .LBB193_1424
; %bb.1421:
	s_cmp_eq_u32 s18, 29
	s_cbranch_scc0 .LBB193_1423
; %bb.1422:
	global_load_dwordx2 v[12:13], v[16:17], off
	s_mov_b64 s[0:1], 0
	s_mov_b64 s[10:11], -1
	s_mov_b64 s[12:13], 0
	s_waitcnt vmcnt(0)
	v_cvt_f64_u32_e32 v[18:19], v13
	v_cvt_f64_u32_e32 v[12:13], v12
	v_ldexp_f64 v[18:19], v[18:19], 32
	v_add_f64 v[12:13], v[18:19], v[12:13]
	s_branch .LBB193_1425
.LBB193_1423:
	s_mov_b64 s[0:1], -1
                                        ; implicit-def: $vgpr12_vgpr13
.LBB193_1424:
	s_mov_b64 s[12:13], 0
.LBB193_1425:
	s_and_b64 vcc, exec, s[12:13]
	s_cbranch_vccz .LBB193_1445
; %bb.1426:
	s_cmp_lt_i32 s18, 27
	s_cbranch_scc1 .LBB193_1429
; %bb.1427:
	s_cmp_gt_i32 s18, 27
	s_cbranch_scc0 .LBB193_1430
; %bb.1428:
	global_load_dword v3, v[16:17], off
	s_mov_b64 s[10:11], 0
	s_waitcnt vmcnt(0)
	v_cvt_f64_u32_e32 v[12:13], v3
	s_branch .LBB193_1431
.LBB193_1429:
	s_mov_b64 s[10:11], -1
                                        ; implicit-def: $vgpr12_vgpr13
	s_branch .LBB193_1434
.LBB193_1430:
	s_mov_b64 s[10:11], -1
                                        ; implicit-def: $vgpr12_vgpr13
.LBB193_1431:
	s_andn2_b64 vcc, exec, s[10:11]
	s_cbranch_vccnz .LBB193_1433
; %bb.1432:
	global_load_ushort v3, v[16:17], off
	s_waitcnt vmcnt(0)
	v_cvt_f64_u32_e32 v[12:13], v3
.LBB193_1433:
	s_mov_b64 s[10:11], 0
.LBB193_1434:
	s_andn2_b64 vcc, exec, s[10:11]
	s_cbranch_vccnz .LBB193_1444
; %bb.1435:
	global_load_ubyte v3, v[16:17], off
	s_movk_i32 s10, 0x7f
	s_waitcnt vmcnt(0)
	v_cmp_lt_i16_e32 vcc, s10, v3
	s_mov_b64 s[10:11], 0
	s_and_saveexec_b64 s[12:13], vcc
	s_xor_b64 s[12:13], exec, s[12:13]
	s_cbranch_execz .LBB193_1439
; %bb.1436:
	s_movk_i32 s10, 0x80
	v_cmp_eq_u16_e32 vcc, s10, v3
	s_mov_b64 s[10:11], -1
	s_and_saveexec_b64 s[14:15], vcc
; %bb.1437:
	s_xor_b64 s[10:11], exec, -1
; %bb.1438:
	s_or_b64 exec, exec, s[14:15]
	s_and_b64 s[10:11], s[10:11], exec
.LBB193_1439:
	s_or_saveexec_b64 s[12:13], s[12:13]
	v_bfrev_b32_e32 v12, 4
	v_mov_b32_e32 v13, 0x7ff80000
	s_xor_b64 exec, exec, s[12:13]
; %bb.1440:
	v_cmp_ne_u16_e32 vcc, 0, v3
	s_andn2_b64 s[10:11], s[10:11], exec
	s_and_b64 s[14:15], vcc, exec
	v_mov_b64_e32 v[12:13], 0
	s_or_b64 s[10:11], s[10:11], s[14:15]
; %bb.1441:
	s_or_b64 exec, exec, s[12:13]
	s_and_saveexec_b64 s[12:13], s[10:11]
	s_cbranch_execz .LBB193_1443
; %bb.1442:
	v_lshlrev_b32_e32 v5, 24, v3
	v_and_b32_e32 v3, 0xffff, v3
	v_and_b32_e32 v7, 7, v3
	v_ffbh_u32_e32 v11, v7
	v_min_u32_e32 v11, 32, v11
	v_subrev_u32_e32 v12, 28, v11
	v_bfe_u32 v9, v3, 3, 4
	v_lshlrev_b32_e32 v3, v12, v3
	v_sub_u32_e32 v11, 29, v11
	v_and_b32_e32 v3, 7, v3
	v_cmp_eq_u32_e32 vcc, 0, v9
	v_and_b32_e32 v5, 0x80000000, v5
	s_nop 0
	v_cndmask_b32_e32 v9, v9, v11, vcc
	v_cndmask_b32_e32 v3, v7, v3, vcc
	v_mov_b32_e32 v7, 0x3b800000
	v_lshlrev_b32_e32 v3, 20, v3
	v_lshl_add_u32 v7, v9, 23, v7
	v_or3_b32 v3, v5, v7, v3
	v_cvt_f64_f32_e32 v[12:13], v3
.LBB193_1443:
	s_or_b64 exec, exec, s[12:13]
.LBB193_1444:
	s_mov_b64 s[10:11], -1
.LBB193_1445:
	s_mov_b64 s[12:13], 0
.LBB193_1446:
	s_and_b64 vcc, exec, s[12:13]
	s_cbranch_vccz .LBB193_1477
; %bb.1447:
	s_cmp_gt_i32 s18, 22
	s_cbranch_scc0 .LBB193_1459
; %bb.1448:
	s_cmp_lt_i32 s18, 24
	s_cbranch_scc1 .LBB193_1460
; %bb.1449:
	s_cmp_gt_i32 s18, 24
	s_cbranch_scc0 .LBB193_1461
; %bb.1450:
	global_load_ubyte v3, v[16:17], off
	s_movk_i32 s8, 0x7f
	s_waitcnt vmcnt(0)
	v_cmp_lt_i16_e32 vcc, s8, v3
	s_mov_b64 s[8:9], 0
	s_and_saveexec_b64 s[10:11], vcc
	s_xor_b64 s[10:11], exec, s[10:11]
	s_cbranch_execz .LBB193_1454
; %bb.1451:
	s_movk_i32 s8, 0x80
	v_cmp_eq_u16_e32 vcc, s8, v3
	s_mov_b64 s[8:9], -1
	s_and_saveexec_b64 s[12:13], vcc
; %bb.1452:
	s_xor_b64 s[8:9], exec, -1
; %bb.1453:
	s_or_b64 exec, exec, s[12:13]
	s_and_b64 s[8:9], s[8:9], exec
.LBB193_1454:
	s_or_saveexec_b64 s[10:11], s[10:11]
	v_bfrev_b32_e32 v12, 4
	v_mov_b32_e32 v13, 0x7ff80000
	s_xor_b64 exec, exec, s[10:11]
; %bb.1455:
	v_cmp_ne_u16_e32 vcc, 0, v3
	s_andn2_b64 s[8:9], s[8:9], exec
	s_and_b64 s[12:13], vcc, exec
	v_mov_b64_e32 v[12:13], 0
	s_or_b64 s[8:9], s[8:9], s[12:13]
; %bb.1456:
	s_or_b64 exec, exec, s[10:11]
	s_and_saveexec_b64 s[10:11], s[8:9]
	s_cbranch_execz .LBB193_1458
; %bb.1457:
	v_lshlrev_b32_e32 v5, 24, v3
	v_and_b32_e32 v3, 0xffff, v3
	v_and_b32_e32 v7, 3, v3
	v_ffbh_u32_e32 v11, v7
	v_min_u32_e32 v11, 32, v11
	v_subrev_u32_e32 v12, 29, v11
	v_bfe_u32 v9, v3, 2, 5
	v_lshlrev_b32_e32 v3, v12, v3
	v_sub_u32_e32 v11, 30, v11
	v_and_b32_e32 v3, 3, v3
	v_cmp_eq_u32_e32 vcc, 0, v9
	v_and_b32_e32 v5, 0x80000000, v5
	s_nop 0
	v_cndmask_b32_e32 v9, v9, v11, vcc
	v_cndmask_b32_e32 v3, v7, v3, vcc
	v_mov_b32_e32 v7, 0x37800000
	v_lshlrev_b32_e32 v3, 21, v3
	v_lshl_add_u32 v7, v9, 23, v7
	v_or3_b32 v3, v5, v7, v3
	v_cvt_f64_f32_e32 v[12:13], v3
.LBB193_1458:
	s_or_b64 exec, exec, s[10:11]
	s_mov_b64 s[8:9], 0
	s_branch .LBB193_1462
.LBB193_1459:
	s_mov_b64 s[8:9], -1
                                        ; implicit-def: $vgpr12_vgpr13
	s_branch .LBB193_1468
.LBB193_1460:
	s_mov_b64 s[8:9], -1
                                        ; implicit-def: $vgpr12_vgpr13
	s_branch .LBB193_1465
.LBB193_1461:
	s_mov_b64 s[8:9], -1
                                        ; implicit-def: $vgpr12_vgpr13
.LBB193_1462:
	s_and_b64 vcc, exec, s[8:9]
	s_cbranch_vccz .LBB193_1464
; %bb.1463:
	global_load_ubyte v3, v[16:17], off
	s_mov_b32 s8, 0x7f800000
	s_waitcnt vmcnt(0)
	v_lshlrev_b32_e32 v3, 24, v3
	v_and_b32_e32 v5, 0x7f000000, v3
	v_ffbh_u32_e32 v7, v5
	v_min_u32_e32 v7, 32, v7
	v_sub_u32_e64 v7, v7, 4 clamp
	v_lshlrev_b32_e32 v11, v7, v5
	v_lshlrev_b32_e32 v7, 23, v7
	v_lshrrev_b32_e32 v11, 4, v11
	v_add_u32_e32 v9, 0x1000000, v5
	v_sub_u32_e32 v7, v11, v7
	v_ashrrev_i32_e32 v9, 8, v9
	v_add_u32_e32 v7, 0x3c000000, v7
	v_and_or_b32 v7, v9, s8, v7
	v_cmp_ne_u32_e32 vcc, 0, v5
	s_brev_b32 s8, 1
	s_nop 0
	v_cndmask_b32_e32 v5, 0, v7, vcc
	v_and_or_b32 v3, v3, s8, v5
	v_cvt_f64_f32_e32 v[12:13], v3
.LBB193_1464:
	s_mov_b64 s[8:9], 0
.LBB193_1465:
	s_andn2_b64 vcc, exec, s[8:9]
	s_cbranch_vccnz .LBB193_1467
; %bb.1466:
	global_load_ubyte v3, v[16:17], off
	s_movk_i32 s8, 0x7f00
	s_brev_b32 s9, 16
	s_waitcnt vmcnt(0)
	v_lshlrev_b16_e32 v5, 8, v3
	v_lshlrev_b32_e32 v3, 25, v3
	v_lshrrev_b32_e32 v7, 4, v3
	v_and_or_b32 v9, v5, s8, 0.5
	v_or_b32_e32 v7, 0x70000000, v7
	v_add_f32_e32 v9, -0.5, v9
	v_mul_f32_e32 v7, 0x7800000, v7
	v_cmp_gt_u32_e32 vcc, s9, v3
	v_bfe_i32 v5, v5, 0, 16
	s_brev_b32 s8, 1
	v_cndmask_b32_e32 v3, v7, v9, vcc
	v_and_or_b32 v3, v5, s8, v3
	v_cvt_f64_f32_e32 v[12:13], v3
.LBB193_1467:
	s_mov_b64 s[8:9], 0
	s_mov_b64 s[10:11], -1
.LBB193_1468:
	s_andn2_b64 vcc, exec, s[8:9]
	s_mov_b64 s[8:9], 0
	s_cbranch_vccnz .LBB193_1477
; %bb.1469:
	s_cmp_gt_i32 s18, 14
	s_cbranch_scc0 .LBB193_1472
; %bb.1470:
	s_cmp_eq_u32 s18, 15
	s_cbranch_scc0 .LBB193_1473
; %bb.1471:
	global_load_ushort v3, v[16:17], off
	s_mov_b64 s[0:1], 0
	s_mov_b64 s[10:11], -1
	s_waitcnt vmcnt(0)
	v_lshlrev_b32_e32 v3, 16, v3
	v_cvt_f64_f32_e32 v[12:13], v3
	s_branch .LBB193_1474
.LBB193_1472:
	s_mov_b64 s[12:13], -1
                                        ; implicit-def: $vgpr12_vgpr13
	s_branch .LBB193_1475
.LBB193_1473:
	s_mov_b64 s[0:1], -1
                                        ; implicit-def: $vgpr12_vgpr13
.LBB193_1474:
	s_mov_b64 s[12:13], 0
.LBB193_1475:
	s_and_b64 vcc, exec, s[12:13]
	s_cbranch_vccz .LBB193_1477
; %bb.1476:
	s_cmp_lg_u32 s18, 11
	s_mov_b64 s[8:9], -1
	s_cselect_b64 s[0:1], -1, 0
.LBB193_1477:
	s_and_b64 vcc, exec, s[0:1]
	s_cbranch_vccnz .LBB193_1540
; %bb.1478:
	s_andn2_b64 vcc, exec, s[8:9]
	s_cbranch_vccnz .LBB193_1480
.LBB193_1479:
	global_load_ubyte v3, v[16:17], off
	s_waitcnt vmcnt(1)
	v_mov_b32_e32 v5, 0x3ff00000
	v_mov_b32_e32 v12, 0
	s_mov_b64 s[10:11], -1
	s_waitcnt vmcnt(0)
	v_cmp_ne_u16_e32 vcc, 0, v3
	s_nop 1
	v_cndmask_b32_e32 v13, 0, v5, vcc
.LBB193_1480:
	s_branch .LBB193_1408
.LBB193_1481:
	s_and_b32 s8, 0xffff, s17
	s_cmp_lt_i32 s8, 5
	s_cbranch_scc1 .LBB193_1486
; %bb.1482:
	s_cmp_lt_i32 s8, 8
	s_cbranch_scc1 .LBB193_1487
; %bb.1483:
	;; [unrolled: 3-line block ×3, first 2 shown]
	s_cmp_gt_i32 s8, 9
	s_cbranch_scc0 .LBB193_1489
; %bb.1485:
	global_load_dwordx2 v[12:13], v[16:17], off
	s_mov_b64 s[0:1], 0
	s_branch .LBB193_1490
.LBB193_1486:
	s_mov_b64 s[0:1], -1
                                        ; implicit-def: $vgpr12_vgpr13
	s_branch .LBB193_1508
.LBB193_1487:
	s_mov_b64 s[0:1], -1
                                        ; implicit-def: $vgpr12_vgpr13
	s_branch .LBB193_1496
.LBB193_1488:
	s_mov_b64 s[0:1], -1
                                        ; implicit-def: $vgpr12_vgpr13
	s_branch .LBB193_1493
.LBB193_1489:
	s_mov_b64 s[0:1], -1
                                        ; implicit-def: $vgpr12_vgpr13
.LBB193_1490:
	s_andn2_b64 vcc, exec, s[0:1]
	s_cbranch_vccnz .LBB193_1492
; %bb.1491:
	global_load_dword v3, v[16:17], off
	s_waitcnt vmcnt(0)
	v_cvt_f64_f32_e32 v[12:13], v3
.LBB193_1492:
	s_mov_b64 s[0:1], 0
.LBB193_1493:
	s_andn2_b64 vcc, exec, s[0:1]
	s_cbranch_vccnz .LBB193_1495
; %bb.1494:
	global_load_dword v3, v[16:17], off
	s_waitcnt vmcnt(0)
	v_cvt_f32_f16_e32 v3, v3
	v_cvt_f64_f32_e32 v[12:13], v3
.LBB193_1495:
	s_mov_b64 s[0:1], 0
.LBB193_1496:
	s_andn2_b64 vcc, exec, s[0:1]
	s_cbranch_vccnz .LBB193_1507
; %bb.1497:
	s_cmp_lt_i32 s8, 6
	s_cbranch_scc1 .LBB193_1500
; %bb.1498:
	s_cmp_gt_i32 s8, 6
	s_cbranch_scc0 .LBB193_1501
; %bb.1499:
	global_load_dwordx2 v[12:13], v[16:17], off
	s_mov_b64 s[0:1], 0
	s_branch .LBB193_1502
.LBB193_1500:
	s_mov_b64 s[0:1], -1
                                        ; implicit-def: $vgpr12_vgpr13
	s_branch .LBB193_1505
.LBB193_1501:
	s_mov_b64 s[0:1], -1
                                        ; implicit-def: $vgpr12_vgpr13
.LBB193_1502:
	s_andn2_b64 vcc, exec, s[0:1]
	s_cbranch_vccnz .LBB193_1504
; %bb.1503:
	global_load_dword v3, v[16:17], off
	s_waitcnt vmcnt(0)
	v_cvt_f64_f32_e32 v[12:13], v3
.LBB193_1504:
	s_mov_b64 s[0:1], 0
.LBB193_1505:
	s_andn2_b64 vcc, exec, s[0:1]
	s_cbranch_vccnz .LBB193_1507
; %bb.1506:
	global_load_ushort v3, v[16:17], off
	s_waitcnt vmcnt(0)
	v_cvt_f32_f16_e32 v3, v3
	v_cvt_f64_f32_e32 v[12:13], v3
.LBB193_1507:
	s_mov_b64 s[0:1], 0
.LBB193_1508:
	s_andn2_b64 vcc, exec, s[0:1]
	s_cbranch_vccnz .LBB193_1528
; %bb.1509:
	s_cmp_lt_i32 s8, 2
	s_cbranch_scc1 .LBB193_1513
; %bb.1510:
	s_cmp_lt_i32 s8, 3
	s_cbranch_scc1 .LBB193_1514
; %bb.1511:
	s_cmp_gt_i32 s8, 3
	s_cbranch_scc0 .LBB193_1515
; %bb.1512:
	global_load_dwordx2 v[12:13], v[16:17], off
	s_mov_b64 s[0:1], 0
	s_waitcnt vmcnt(0)
	v_cvt_f64_i32_e32 v[18:19], v13
	v_cvt_f64_u32_e32 v[12:13], v12
	v_ldexp_f64 v[18:19], v[18:19], 32
	v_add_f64 v[12:13], v[18:19], v[12:13]
	s_branch .LBB193_1516
.LBB193_1513:
	s_mov_b64 s[0:1], -1
                                        ; implicit-def: $vgpr12_vgpr13
	s_branch .LBB193_1522
.LBB193_1514:
	s_mov_b64 s[0:1], -1
                                        ; implicit-def: $vgpr12_vgpr13
	s_branch .LBB193_1519
.LBB193_1515:
	s_mov_b64 s[0:1], -1
                                        ; implicit-def: $vgpr12_vgpr13
.LBB193_1516:
	s_andn2_b64 vcc, exec, s[0:1]
	s_cbranch_vccnz .LBB193_1518
; %bb.1517:
	global_load_dword v3, v[16:17], off
	s_waitcnt vmcnt(0)
	v_cvt_f64_i32_e32 v[12:13], v3
.LBB193_1518:
	s_mov_b64 s[0:1], 0
.LBB193_1519:
	s_andn2_b64 vcc, exec, s[0:1]
	s_cbranch_vccnz .LBB193_1521
; %bb.1520:
	global_load_sshort v3, v[16:17], off
	s_waitcnt vmcnt(0)
	v_cvt_f64_i32_e32 v[12:13], v3
.LBB193_1521:
	s_mov_b64 s[0:1], 0
.LBB193_1522:
	s_andn2_b64 vcc, exec, s[0:1]
	s_cbranch_vccnz .LBB193_1528
; %bb.1523:
	s_cmp_gt_i32 s8, 0
	s_cbranch_scc0 .LBB193_1525
; %bb.1524:
	global_load_sbyte v3, v[16:17], off
	s_mov_b64 s[0:1], 0
	s_waitcnt vmcnt(0)
	v_cvt_f64_i32_e32 v[12:13], v3
	s_branch .LBB193_1526
.LBB193_1525:
	s_mov_b64 s[0:1], -1
                                        ; implicit-def: $vgpr12_vgpr13
.LBB193_1526:
	s_andn2_b64 vcc, exec, s[0:1]
	s_cbranch_vccnz .LBB193_1528
; %bb.1527:
	global_load_ubyte v3, v[16:17], off
	s_waitcnt vmcnt(0)
	v_cvt_f64_u32_e32 v[12:13], v3
.LBB193_1528:
.LBB193_1529:
	v_mov_b32_e32 v11, 0
	s_cmp_lt_i32 s17, 11
	v_lshl_add_u64 v[16:17], s[6:7], 0, v[10:11]
	s_cbranch_scc1 .LBB193_1536
; %bb.1530:
	s_and_b32 s14, 0xffff, s17
	s_cmp_gt_i32 s14, 25
	s_mov_b64 s[6:7], 0
	s_cbranch_scc0 .LBB193_1537
; %bb.1531:
	s_cmp_gt_i32 s14, 28
	s_cbranch_scc0 .LBB193_1538
; %bb.1532:
	s_cmp_gt_i32 s14, 43
	;; [unrolled: 3-line block ×3, first 2 shown]
	s_cbranch_scc0 .LBB193_1541
; %bb.1534:
	s_cmp_eq_u32 s14, 46
	s_mov_b64 s[10:11], 0
	s_cbranch_scc0 .LBB193_1542
; %bb.1535:
	global_load_dword v3, v[16:17], off
	s_mov_b64 s[0:1], 0
	s_mov_b64 s[8:9], -1
	s_waitcnt vmcnt(0)
	v_lshlrev_b32_e32 v3, 16, v3
	v_cvt_f64_f32_e32 v[10:11], v3
	s_branch .LBB193_1543
.LBB193_1536:
	s_mov_b64 s[0:1], -1
	s_mov_b64 s[8:9], 0
                                        ; implicit-def: $vgpr10_vgpr11
	s_branch .LBB193_1609
.LBB193_1537:
	s_mov_b64 s[10:11], -1
	s_mov_b64 s[8:9], 0
	s_mov_b64 s[0:1], 0
                                        ; implicit-def: $vgpr10_vgpr11
	s_branch .LBB193_1574
.LBB193_1538:
	s_mov_b64 s[10:11], -1
	s_mov_b64 s[8:9], 0
	s_mov_b64 s[0:1], 0
                                        ; implicit-def: $vgpr10_vgpr11
	s_branch .LBB193_1553
.LBB193_1539:
	s_mov_b64 s[10:11], -1
	s_mov_b64 s[8:9], 0
	s_mov_b64 s[0:1], 0
                                        ; implicit-def: $vgpr10_vgpr11
	s_branch .LBB193_1548
.LBB193_1540:
	s_trap 2
	s_or_b64 s[2:3], s[2:3], exec
	s_cbranch_execz .LBB193_1479
	s_branch .LBB193_1480
.LBB193_1541:
	s_mov_b64 s[10:11], -1
	s_mov_b64 s[8:9], 0
	s_mov_b64 s[0:1], 0
                                        ; implicit-def: $vgpr10_vgpr11
	s_branch .LBB193_1543
.LBB193_1542:
	s_mov_b64 s[0:1], -1
                                        ; implicit-def: $vgpr10_vgpr11
	s_mov_b64 s[8:9], 0
.LBB193_1543:
	s_and_b64 vcc, exec, s[10:11]
	s_cbranch_vccz .LBB193_1547
; %bb.1544:
	s_cmp_eq_u32 s14, 44
	s_cbranch_scc0 .LBB193_1546
; %bb.1545:
	global_load_ubyte v3, v[16:17], off
	s_movk_i32 s8, 0xff
	s_waitcnt vmcnt(1)
	v_bfrev_b32_e32 v5, 4
	v_mov_b32_e32 v7, 0x7ff80000
	v_bfrev_b32_e32 v9, 28
	s_mov_b64 s[0:1], 0
	s_waitcnt vmcnt(0)
	v_lshlrev_b32_e32 v10, 23, v3
	v_cvt_f64_f32_e32 v[10:11], v10
	v_cmp_ne_u32_e32 vcc, s8, v3
	s_mov_b64 s[8:9], -1
	s_nop 0
	v_cndmask_b32_e32 v5, v5, v10, vcc
	v_cndmask_b32_e32 v7, v7, v11, vcc
	v_cmp_ne_u32_e32 vcc, 0, v3
	s_nop 1
	v_cndmask_b32_e32 v11, v9, v7, vcc
	v_cndmask_b32_e32 v10, 0, v5, vcc
	s_branch .LBB193_1547
.LBB193_1546:
	s_mov_b64 s[0:1], -1
                                        ; implicit-def: $vgpr10_vgpr11
.LBB193_1547:
	s_mov_b64 s[10:11], 0
.LBB193_1548:
	s_and_b64 vcc, exec, s[10:11]
	s_cbranch_vccz .LBB193_1552
; %bb.1549:
	s_cmp_eq_u32 s14, 29
	s_cbranch_scc0 .LBB193_1551
; %bb.1550:
	global_load_dwordx2 v[10:11], v[16:17], off
	s_mov_b64 s[0:1], 0
	s_mov_b64 s[8:9], -1
	s_mov_b64 s[10:11], 0
	s_waitcnt vmcnt(0)
	v_cvt_f64_u32_e32 v[18:19], v11
	v_cvt_f64_u32_e32 v[10:11], v10
	v_ldexp_f64 v[18:19], v[18:19], 32
	v_add_f64 v[10:11], v[18:19], v[10:11]
	s_branch .LBB193_1553
.LBB193_1551:
	s_mov_b64 s[0:1], -1
                                        ; implicit-def: $vgpr10_vgpr11
.LBB193_1552:
	s_mov_b64 s[10:11], 0
.LBB193_1553:
	s_and_b64 vcc, exec, s[10:11]
	s_cbranch_vccz .LBB193_1573
; %bb.1554:
	s_cmp_lt_i32 s14, 27
	s_cbranch_scc1 .LBB193_1557
; %bb.1555:
	s_cmp_gt_i32 s14, 27
	s_cbranch_scc0 .LBB193_1558
; %bb.1556:
	global_load_dword v3, v[16:17], off
	s_mov_b64 s[8:9], 0
	s_waitcnt vmcnt(0)
	v_cvt_f64_u32_e32 v[10:11], v3
	s_branch .LBB193_1559
.LBB193_1557:
	s_mov_b64 s[8:9], -1
                                        ; implicit-def: $vgpr10_vgpr11
	s_branch .LBB193_1562
.LBB193_1558:
	s_mov_b64 s[8:9], -1
                                        ; implicit-def: $vgpr10_vgpr11
.LBB193_1559:
	s_andn2_b64 vcc, exec, s[8:9]
	s_cbranch_vccnz .LBB193_1561
; %bb.1560:
	global_load_ushort v3, v[16:17], off
	s_waitcnt vmcnt(0)
	v_cvt_f64_u32_e32 v[10:11], v3
.LBB193_1561:
	s_mov_b64 s[8:9], 0
.LBB193_1562:
	s_andn2_b64 vcc, exec, s[8:9]
	s_cbranch_vccnz .LBB193_1572
; %bb.1563:
	global_load_ubyte v3, v[16:17], off
	s_movk_i32 s8, 0x7f
	s_waitcnt vmcnt(0)
	v_cmp_lt_i16_e32 vcc, s8, v3
	s_mov_b64 s[8:9], 0
	s_and_saveexec_b64 s[10:11], vcc
	s_xor_b64 s[10:11], exec, s[10:11]
	s_cbranch_execz .LBB193_1567
; %bb.1564:
	s_movk_i32 s8, 0x80
	v_cmp_eq_u16_e32 vcc, s8, v3
	s_mov_b64 s[8:9], -1
	s_and_saveexec_b64 s[12:13], vcc
; %bb.1565:
	s_xor_b64 s[8:9], exec, -1
; %bb.1566:
	s_or_b64 exec, exec, s[12:13]
	s_and_b64 s[8:9], s[8:9], exec
.LBB193_1567:
	s_or_saveexec_b64 s[10:11], s[10:11]
	v_bfrev_b32_e32 v10, 4
	v_mov_b32_e32 v11, 0x7ff80000
	s_xor_b64 exec, exec, s[10:11]
; %bb.1568:
	v_cmp_ne_u16_e32 vcc, 0, v3
	s_andn2_b64 s[8:9], s[8:9], exec
	s_and_b64 s[12:13], vcc, exec
	v_mov_b64_e32 v[10:11], 0
	s_or_b64 s[8:9], s[8:9], s[12:13]
; %bb.1569:
	s_or_b64 exec, exec, s[10:11]
	s_and_saveexec_b64 s[10:11], s[8:9]
	s_cbranch_execz .LBB193_1571
; %bb.1570:
	v_lshlrev_b32_e32 v5, 24, v3
	v_and_b32_e32 v3, 0xffff, v3
	v_and_b32_e32 v7, 7, v3
	v_ffbh_u32_e32 v10, v7
	v_min_u32_e32 v10, 32, v10
	v_subrev_u32_e32 v11, 28, v10
	v_bfe_u32 v9, v3, 3, 4
	v_lshlrev_b32_e32 v3, v11, v3
	v_sub_u32_e32 v10, 29, v10
	v_and_b32_e32 v3, 7, v3
	v_cmp_eq_u32_e32 vcc, 0, v9
	v_and_b32_e32 v5, 0x80000000, v5
	s_nop 0
	v_cndmask_b32_e32 v9, v9, v10, vcc
	v_cndmask_b32_e32 v3, v7, v3, vcc
	v_mov_b32_e32 v7, 0x3b800000
	v_lshlrev_b32_e32 v3, 20, v3
	v_lshl_add_u32 v7, v9, 23, v7
	v_or3_b32 v3, v5, v7, v3
	v_cvt_f64_f32_e32 v[10:11], v3
.LBB193_1571:
	s_or_b64 exec, exec, s[10:11]
.LBB193_1572:
	s_mov_b64 s[8:9], -1
.LBB193_1573:
	s_mov_b64 s[10:11], 0
.LBB193_1574:
	s_and_b64 vcc, exec, s[10:11]
	s_cbranch_vccz .LBB193_1605
; %bb.1575:
	s_cmp_gt_i32 s14, 22
	s_cbranch_scc0 .LBB193_1587
; %bb.1576:
	s_cmp_lt_i32 s14, 24
	s_cbranch_scc1 .LBB193_1588
; %bb.1577:
	s_cmp_gt_i32 s14, 24
	s_cbranch_scc0 .LBB193_1589
; %bb.1578:
	global_load_ubyte v3, v[16:17], off
	s_movk_i32 s6, 0x7f
	s_waitcnt vmcnt(0)
	v_cmp_lt_i16_e32 vcc, s6, v3
	s_mov_b64 s[6:7], 0
	s_and_saveexec_b64 s[8:9], vcc
	s_xor_b64 s[8:9], exec, s[8:9]
	s_cbranch_execz .LBB193_1582
; %bb.1579:
	s_movk_i32 s6, 0x80
	v_cmp_eq_u16_e32 vcc, s6, v3
	s_mov_b64 s[6:7], -1
	s_and_saveexec_b64 s[10:11], vcc
; %bb.1580:
	s_xor_b64 s[6:7], exec, -1
; %bb.1581:
	s_or_b64 exec, exec, s[10:11]
	s_and_b64 s[6:7], s[6:7], exec
.LBB193_1582:
	s_or_saveexec_b64 s[8:9], s[8:9]
	v_bfrev_b32_e32 v10, 4
	v_mov_b32_e32 v11, 0x7ff80000
	s_xor_b64 exec, exec, s[8:9]
; %bb.1583:
	v_cmp_ne_u16_e32 vcc, 0, v3
	s_andn2_b64 s[6:7], s[6:7], exec
	s_and_b64 s[10:11], vcc, exec
	v_mov_b64_e32 v[10:11], 0
	s_or_b64 s[6:7], s[6:7], s[10:11]
; %bb.1584:
	s_or_b64 exec, exec, s[8:9]
	s_and_saveexec_b64 s[8:9], s[6:7]
	s_cbranch_execz .LBB193_1586
; %bb.1585:
	v_lshlrev_b32_e32 v5, 24, v3
	v_and_b32_e32 v3, 0xffff, v3
	v_and_b32_e32 v7, 3, v3
	v_ffbh_u32_e32 v10, v7
	v_min_u32_e32 v10, 32, v10
	v_subrev_u32_e32 v11, 29, v10
	v_bfe_u32 v9, v3, 2, 5
	v_lshlrev_b32_e32 v3, v11, v3
	v_sub_u32_e32 v10, 30, v10
	v_and_b32_e32 v3, 3, v3
	v_cmp_eq_u32_e32 vcc, 0, v9
	v_and_b32_e32 v5, 0x80000000, v5
	s_nop 0
	v_cndmask_b32_e32 v9, v9, v10, vcc
	v_cndmask_b32_e32 v3, v7, v3, vcc
	v_mov_b32_e32 v7, 0x37800000
	v_lshlrev_b32_e32 v3, 21, v3
	v_lshl_add_u32 v7, v9, 23, v7
	v_or3_b32 v3, v5, v7, v3
	v_cvt_f64_f32_e32 v[10:11], v3
.LBB193_1586:
	s_or_b64 exec, exec, s[8:9]
	s_mov_b64 s[6:7], 0
	s_branch .LBB193_1590
.LBB193_1587:
	s_mov_b64 s[6:7], -1
                                        ; implicit-def: $vgpr10_vgpr11
	s_branch .LBB193_1596
.LBB193_1588:
	s_mov_b64 s[6:7], -1
                                        ; implicit-def: $vgpr10_vgpr11
	s_branch .LBB193_1593
.LBB193_1589:
	s_mov_b64 s[6:7], -1
                                        ; implicit-def: $vgpr10_vgpr11
.LBB193_1590:
	s_and_b64 vcc, exec, s[6:7]
	s_cbranch_vccz .LBB193_1592
; %bb.1591:
	global_load_ubyte v3, v[16:17], off
	s_mov_b32 s6, 0x7f800000
	s_waitcnt vmcnt(0)
	v_lshlrev_b32_e32 v3, 24, v3
	v_and_b32_e32 v5, 0x7f000000, v3
	v_ffbh_u32_e32 v7, v5
	v_min_u32_e32 v7, 32, v7
	v_sub_u32_e64 v7, v7, 4 clamp
	v_lshlrev_b32_e32 v10, v7, v5
	v_lshlrev_b32_e32 v7, 23, v7
	v_lshrrev_b32_e32 v10, 4, v10
	v_add_u32_e32 v9, 0x1000000, v5
	v_sub_u32_e32 v7, v10, v7
	v_ashrrev_i32_e32 v9, 8, v9
	v_add_u32_e32 v7, 0x3c000000, v7
	v_and_or_b32 v7, v9, s6, v7
	v_cmp_ne_u32_e32 vcc, 0, v5
	s_brev_b32 s6, 1
	s_nop 0
	v_cndmask_b32_e32 v5, 0, v7, vcc
	v_and_or_b32 v3, v3, s6, v5
	v_cvt_f64_f32_e32 v[10:11], v3
.LBB193_1592:
	s_mov_b64 s[6:7], 0
.LBB193_1593:
	s_andn2_b64 vcc, exec, s[6:7]
	s_cbranch_vccnz .LBB193_1595
; %bb.1594:
	global_load_ubyte v3, v[16:17], off
	s_movk_i32 s6, 0x7f00
	s_brev_b32 s7, 16
	s_waitcnt vmcnt(0)
	v_lshlrev_b16_e32 v5, 8, v3
	v_lshlrev_b32_e32 v3, 25, v3
	v_lshrrev_b32_e32 v7, 4, v3
	v_and_or_b32 v9, v5, s6, 0.5
	v_or_b32_e32 v7, 0x70000000, v7
	v_add_f32_e32 v9, -0.5, v9
	v_mul_f32_e32 v7, 0x7800000, v7
	v_cmp_gt_u32_e32 vcc, s7, v3
	v_bfe_i32 v5, v5, 0, 16
	s_brev_b32 s6, 1
	v_cndmask_b32_e32 v3, v7, v9, vcc
	v_and_or_b32 v3, v5, s6, v3
	v_cvt_f64_f32_e32 v[10:11], v3
.LBB193_1595:
	s_mov_b64 s[6:7], 0
	s_mov_b64 s[8:9], -1
.LBB193_1596:
	s_andn2_b64 vcc, exec, s[6:7]
	s_mov_b64 s[6:7], 0
	s_cbranch_vccnz .LBB193_1605
; %bb.1597:
	s_cmp_gt_i32 s14, 14
	s_cbranch_scc0 .LBB193_1600
; %bb.1598:
	s_cmp_eq_u32 s14, 15
	s_cbranch_scc0 .LBB193_1601
; %bb.1599:
	global_load_ushort v3, v[16:17], off
	s_mov_b64 s[0:1], 0
	s_mov_b64 s[8:9], -1
	s_waitcnt vmcnt(0)
	v_lshlrev_b32_e32 v3, 16, v3
	v_cvt_f64_f32_e32 v[10:11], v3
	s_branch .LBB193_1602
.LBB193_1600:
	s_mov_b64 s[10:11], -1
                                        ; implicit-def: $vgpr10_vgpr11
	s_branch .LBB193_1603
.LBB193_1601:
	s_mov_b64 s[0:1], -1
                                        ; implicit-def: $vgpr10_vgpr11
.LBB193_1602:
	s_mov_b64 s[10:11], 0
.LBB193_1603:
	s_and_b64 vcc, exec, s[10:11]
	s_cbranch_vccz .LBB193_1605
; %bb.1604:
	s_cmp_lg_u32 s14, 11
	s_mov_b64 s[6:7], -1
	s_cselect_b64 s[0:1], -1, 0
.LBB193_1605:
	s_and_b64 vcc, exec, s[0:1]
	s_cbranch_vccnz .LBB193_2138
; %bb.1606:
	s_andn2_b64 vcc, exec, s[6:7]
	s_cbranch_vccnz .LBB193_1608
.LBB193_1607:
	global_load_ubyte v3, v[16:17], off
	s_waitcnt vmcnt(1)
	v_mov_b32_e32 v5, 0x3ff00000
	v_mov_b32_e32 v10, 0
	s_mov_b64 s[8:9], -1
	s_waitcnt vmcnt(0)
	v_cmp_ne_u16_e32 vcc, 0, v3
	s_nop 1
	v_cndmask_b32_e32 v11, 0, v5, vcc
.LBB193_1608:
	s_mov_b64 s[0:1], 0
.LBB193_1609:
	s_and_b64 vcc, exec, s[0:1]
	s_cbranch_vccz .LBB193_1658
; %bb.1610:
	s_and_b32 s6, 0xffff, s17
	s_cmp_lt_i32 s6, 5
	s_cbranch_scc1 .LBB193_1615
; %bb.1611:
	s_cmp_lt_i32 s6, 8
	s_cbranch_scc1 .LBB193_1616
; %bb.1612:
	;; [unrolled: 3-line block ×3, first 2 shown]
	s_cmp_gt_i32 s6, 9
	s_cbranch_scc0 .LBB193_1618
; %bb.1614:
	global_load_dwordx2 v[10:11], v[16:17], off
	s_mov_b64 s[0:1], 0
	s_branch .LBB193_1619
.LBB193_1615:
	s_mov_b64 s[0:1], -1
                                        ; implicit-def: $vgpr10_vgpr11
	s_branch .LBB193_1637
.LBB193_1616:
	s_mov_b64 s[0:1], -1
                                        ; implicit-def: $vgpr10_vgpr11
	s_branch .LBB193_1625
.LBB193_1617:
	s_mov_b64 s[0:1], -1
                                        ; implicit-def: $vgpr10_vgpr11
	s_branch .LBB193_1622
.LBB193_1618:
	s_mov_b64 s[0:1], -1
                                        ; implicit-def: $vgpr10_vgpr11
.LBB193_1619:
	s_andn2_b64 vcc, exec, s[0:1]
	s_cbranch_vccnz .LBB193_1621
; %bb.1620:
	global_load_dword v3, v[16:17], off
	s_waitcnt vmcnt(0)
	v_cvt_f64_f32_e32 v[10:11], v3
.LBB193_1621:
	s_mov_b64 s[0:1], 0
.LBB193_1622:
	s_andn2_b64 vcc, exec, s[0:1]
	s_cbranch_vccnz .LBB193_1624
; %bb.1623:
	global_load_dword v3, v[16:17], off
	s_waitcnt vmcnt(0)
	v_cvt_f32_f16_e32 v3, v3
	v_cvt_f64_f32_e32 v[10:11], v3
.LBB193_1624:
	s_mov_b64 s[0:1], 0
.LBB193_1625:
	s_andn2_b64 vcc, exec, s[0:1]
	s_cbranch_vccnz .LBB193_1636
; %bb.1626:
	s_cmp_lt_i32 s6, 6
	s_cbranch_scc1 .LBB193_1629
; %bb.1627:
	s_cmp_gt_i32 s6, 6
	s_cbranch_scc0 .LBB193_1630
; %bb.1628:
	global_load_dwordx2 v[10:11], v[16:17], off
	s_mov_b64 s[0:1], 0
	s_branch .LBB193_1631
.LBB193_1629:
	s_mov_b64 s[0:1], -1
                                        ; implicit-def: $vgpr10_vgpr11
	s_branch .LBB193_1634
.LBB193_1630:
	s_mov_b64 s[0:1], -1
                                        ; implicit-def: $vgpr10_vgpr11
.LBB193_1631:
	s_andn2_b64 vcc, exec, s[0:1]
	s_cbranch_vccnz .LBB193_1633
; %bb.1632:
	global_load_dword v3, v[16:17], off
	s_waitcnt vmcnt(0)
	v_cvt_f64_f32_e32 v[10:11], v3
.LBB193_1633:
	s_mov_b64 s[0:1], 0
.LBB193_1634:
	s_andn2_b64 vcc, exec, s[0:1]
	s_cbranch_vccnz .LBB193_1636
; %bb.1635:
	global_load_ushort v3, v[16:17], off
	s_waitcnt vmcnt(0)
	v_cvt_f32_f16_e32 v3, v3
	v_cvt_f64_f32_e32 v[10:11], v3
.LBB193_1636:
	s_mov_b64 s[0:1], 0
.LBB193_1637:
	s_andn2_b64 vcc, exec, s[0:1]
	s_cbranch_vccnz .LBB193_1657
; %bb.1638:
	s_cmp_lt_i32 s6, 2
	s_cbranch_scc1 .LBB193_1642
; %bb.1639:
	s_cmp_lt_i32 s6, 3
	s_cbranch_scc1 .LBB193_1643
; %bb.1640:
	s_cmp_gt_i32 s6, 3
	s_cbranch_scc0 .LBB193_1644
; %bb.1641:
	global_load_dwordx2 v[10:11], v[16:17], off
	s_mov_b64 s[0:1], 0
	s_waitcnt vmcnt(0)
	v_cvt_f64_i32_e32 v[18:19], v11
	v_cvt_f64_u32_e32 v[10:11], v10
	v_ldexp_f64 v[18:19], v[18:19], 32
	v_add_f64 v[10:11], v[18:19], v[10:11]
	s_branch .LBB193_1645
.LBB193_1642:
	s_mov_b64 s[0:1], -1
                                        ; implicit-def: $vgpr10_vgpr11
	s_branch .LBB193_1651
.LBB193_1643:
	s_mov_b64 s[0:1], -1
                                        ; implicit-def: $vgpr10_vgpr11
	s_branch .LBB193_1648
.LBB193_1644:
	s_mov_b64 s[0:1], -1
                                        ; implicit-def: $vgpr10_vgpr11
.LBB193_1645:
	s_andn2_b64 vcc, exec, s[0:1]
	s_cbranch_vccnz .LBB193_1647
; %bb.1646:
	global_load_dword v3, v[16:17], off
	s_waitcnt vmcnt(0)
	v_cvt_f64_i32_e32 v[10:11], v3
.LBB193_1647:
	s_mov_b64 s[0:1], 0
.LBB193_1648:
	s_andn2_b64 vcc, exec, s[0:1]
	s_cbranch_vccnz .LBB193_1650
; %bb.1649:
	global_load_sshort v3, v[16:17], off
	s_waitcnt vmcnt(0)
	v_cvt_f64_i32_e32 v[10:11], v3
.LBB193_1650:
	s_mov_b64 s[0:1], 0
.LBB193_1651:
	s_andn2_b64 vcc, exec, s[0:1]
	s_cbranch_vccnz .LBB193_1657
; %bb.1652:
	s_cmp_gt_i32 s6, 0
	s_cbranch_scc0 .LBB193_1654
; %bb.1653:
	global_load_sbyte v3, v[16:17], off
	s_mov_b64 s[0:1], 0
	s_waitcnt vmcnt(0)
	v_cvt_f64_i32_e32 v[10:11], v3
	s_branch .LBB193_1655
.LBB193_1654:
	s_mov_b64 s[0:1], -1
                                        ; implicit-def: $vgpr10_vgpr11
.LBB193_1655:
	s_andn2_b64 vcc, exec, s[0:1]
	s_cbranch_vccnz .LBB193_1657
; %bb.1656:
	global_load_ubyte v3, v[16:17], off
	s_waitcnt vmcnt(0)
	v_cvt_f64_u32_e32 v[10:11], v3
.LBB193_1657:
	s_mov_b64 s[8:9], -1
.LBB193_1658:
	s_andn2_b64 vcc, exec, s[8:9]
	s_cbranch_vccnz .LBB193_2092
; %bb.1659:
	s_waitcnt vmcnt(0)
	v_rsq_f64_e32 v[16:17], v[0:1]
	s_mov_b32 s0, 0
	s_mov_b32 s1, 0x3fd80000
	v_mov_b32_e32 v3, 0x180
	v_mul_f64 v[0:1], v[16:17], -v[0:1]
	v_fma_f64 v[0:1], v[0:1], v[16:17], 1.0
	v_mul_f64 v[18:19], v[16:17], v[0:1]
	v_fma_f64 v[0:1], v[0:1], s[0:1], 0.5
	s_bfe_u32 s14, s16, 0x80008
	v_fma_f64 v[0:1], v[18:19], v[0:1], v[16:17]
	v_cmp_class_f64_e32 vcc, v[16:17], v3
	v_mov_b32_e32 v3, 0
	s_cmp_lt_i32 s14, 11
	v_cndmask_b32_e32 v1, v17, v1, vcc
	v_cndmask_b32_e32 v0, v16, v0, vcc
	v_lshl_add_u64 v[16:17], s[4:5], 0, v[2:3]
	s_cbranch_scc1 .LBB193_1737
; %bb.1660:
	s_and_b32 s15, 0xffff, s14
	s_mov_b64 s[10:11], -1
	s_mov_b64 s[6:7], 0
	s_cmp_gt_i32 s15, 25
	s_mov_b64 s[8:9], 0
	s_mov_b64 s[0:1], 0
	s_cbranch_scc0 .LBB193_1693
; %bb.1661:
	s_cmp_gt_i32 s15, 28
	s_cbranch_scc0 .LBB193_1676
; %bb.1662:
	s_cmp_gt_i32 s15, 43
	s_cbranch_scc0 .LBB193_1672
; %bb.1663:
	s_cmp_gt_i32 s15, 45
	s_cbranch_scc0 .LBB193_1666
; %bb.1664:
	s_mov_b64 s[0:1], -1
	s_mov_b64 s[10:11], 0
	s_cmp_eq_u32 s15, 46
	s_cbranch_scc0 .LBB193_1666
; %bb.1665:
	v_cvt_f32_f64_e32 v2, v[0:1]
	v_bfe_u32 v3, v2, 16, 1
	s_movk_i32 s0, 0x7fff
	v_add3_u32 v3, v2, v3, s0
	v_cmp_o_f32_e32 vcc, v2, v2
	v_mov_b32_e32 v2, 0x7fc0
	s_mov_b64 s[0:1], 0
	v_cndmask_b32_sdwa v2, v2, v3, vcc dst_sel:DWORD dst_unused:UNUSED_PAD src0_sel:DWORD src1_sel:WORD_1
	global_store_dword v[16:17], v2, off
	s_mov_b64 s[8:9], -1
.LBB193_1666:
	s_and_b64 vcc, exec, s[10:11]
	s_cbranch_vccz .LBB193_1671
; %bb.1667:
	s_cmp_eq_u32 s15, 44
	s_mov_b64 s[0:1], -1
	s_cbranch_scc0 .LBB193_1671
; %bb.1668:
	v_cvt_f32_f64_e32 v2, v[0:1]
	v_bfe_u32 v3, v2, 23, 8
	s_movk_i32 s0, 0xff
	v_cmp_ne_u32_e32 vcc, s0, v3
	v_mov_b32_e32 v5, 0xff
	s_and_saveexec_b64 s[8:9], vcc
; %bb.1669:
	s_mov_b32 s0, 0x3fffff
	v_lshrrev_b32_e32 v5, 23, v2
	v_and_b32_e32 v7, 0x400000, v2
	v_and_or_b32 v2, v2, s0, v3
	v_cmp_ne_u32_e32 vcc, 0, v7
	v_cmp_ne_u32_e64 s[0:1], 0, v2
	s_and_b64 s[0:1], vcc, s[0:1]
	s_nop 0
	v_cndmask_b32_e64 v2, 0, 1, s[0:1]
	v_add_u32_e32 v5, v5, v2
; %bb.1670:
	s_or_b64 exec, exec, s[8:9]
	s_mov_b64 s[0:1], 0
	s_mov_b64 s[8:9], -1
	global_store_byte v[16:17], v5, off
.LBB193_1671:
	s_mov_b64 s[10:11], 0
.LBB193_1672:
	s_and_b64 vcc, exec, s[10:11]
	s_cbranch_vccz .LBB193_1675
; %bb.1673:
	s_cmp_eq_u32 s15, 29
	s_mov_b64 s[0:1], -1
	s_cbranch_scc0 .LBB193_1675
; %bb.1674:
	v_trunc_f64_e32 v[2:3], v[0:1]
	s_movk_i32 s0, 0xffe0
	v_ldexp_f64 v[18:19], v[2:3], s0
	v_floor_f64_e32 v[18:19], v[18:19]
	v_fmac_f64_e32 v[2:3], 0xc1f00000, v[18:19]
	v_cvt_u32_f64_e32 v21, v[18:19]
	v_cvt_u32_f64_e32 v20, v[2:3]
	global_store_dwordx2 v[16:17], v[20:21], off
	s_mov_b64 s[0:1], 0
	s_mov_b64 s[8:9], -1
.LBB193_1675:
	s_mov_b64 s[10:11], 0
.LBB193_1676:
	s_and_b64 vcc, exec, s[10:11]
	s_cbranch_vccz .LBB193_1692
; %bb.1677:
	s_cmp_lt_i32 s15, 27
	s_mov_b64 s[8:9], -1
	s_cbranch_scc1 .LBB193_1683
; %bb.1678:
	s_cmp_gt_i32 s15, 27
	v_cvt_u32_f64_e32 v2, v[0:1]
	s_cbranch_scc0 .LBB193_1680
; %bb.1679:
	s_mov_b64 s[8:9], 0
	global_store_dword v[16:17], v2, off
.LBB193_1680:
	s_andn2_b64 vcc, exec, s[8:9]
	s_cbranch_vccnz .LBB193_1682
; %bb.1681:
	global_store_short v[16:17], v2, off
.LBB193_1682:
	s_mov_b64 s[8:9], 0
.LBB193_1683:
	s_andn2_b64 vcc, exec, s[8:9]
	s_cbranch_vccnz .LBB193_1691
; %bb.1684:
	v_cvt_f32_f64_e32 v2, v[0:1]
	v_and_b32_e32 v3, 0x7fffffff, v2
	s_mov_b32 s8, 0x43800000
	v_cmp_gt_u32_e32 vcc, s8, v3
	v_mov_b32_e32 v5, 0x80
	s_and_saveexec_b64 s[8:9], vcc
	s_cbranch_execz .LBB193_1690
; %bb.1685:
	s_mov_b32 s10, 0x3bffffff
	v_cmp_lt_u32_e32 vcc, s10, v3
	s_mov_b64 s[10:11], 0
                                        ; implicit-def: $vgpr3
	s_and_saveexec_b64 s[12:13], vcc
	s_xor_b64 s[12:13], exec, s[12:13]
	s_cbranch_execz .LBB193_2139
; %bb.1686:
	v_bfe_u32 v3, v2, 20, 1
	s_mov_b32 s17, 0x487ffff
	v_add3_u32 v3, v2, v3, s17
	s_mov_b64 s[10:11], exec
	v_lshrrev_b32_e32 v3, 20, v3
	s_andn2_saveexec_b64 s[12:13], s[12:13]
	s_cbranch_execnz .LBB193_2140
.LBB193_1687:
	s_or_b64 exec, exec, s[12:13]
	v_mov_b32_e32 v5, 0
	s_and_saveexec_b64 s[12:13], s[10:11]
.LBB193_1688:
	v_lshrrev_b32_e32 v2, 24, v2
	s_movk_i32 s10, 0x80
	v_and_or_b32 v5, v2, s10, v3
.LBB193_1689:
	s_or_b64 exec, exec, s[12:13]
.LBB193_1690:
	s_or_b64 exec, exec, s[8:9]
	global_store_byte v[16:17], v5, off
.LBB193_1691:
	s_mov_b64 s[8:9], -1
.LBB193_1692:
	s_mov_b64 s[10:11], 0
.LBB193_1693:
	s_and_b64 vcc, exec, s[10:11]
	s_cbranch_vccz .LBB193_1733
; %bb.1694:
	s_cmp_gt_i32 s15, 22
	s_mov_b64 s[6:7], -1
	s_cbranch_scc0 .LBB193_1726
; %bb.1695:
	s_cmp_lt_i32 s15, 24
	s_cbranch_scc1 .LBB193_1715
; %bb.1696:
	s_cmp_gt_i32 s15, 24
	s_cbranch_scc0 .LBB193_1704
; %bb.1697:
	v_cvt_f32_f64_e32 v2, v[0:1]
	v_and_b32_e32 v3, 0x7fffffff, v2
	s_mov_b32 s6, 0x47800000
	v_cmp_gt_u32_e32 vcc, s6, v3
	v_mov_b32_e32 v5, 0x80
	s_and_saveexec_b64 s[6:7], vcc
	s_cbranch_execz .LBB193_1703
; %bb.1698:
	s_mov_b32 s8, 0x37ffffff
	v_cmp_lt_u32_e32 vcc, s8, v3
	s_mov_b64 s[8:9], 0
                                        ; implicit-def: $vgpr3
	s_and_saveexec_b64 s[10:11], vcc
	s_xor_b64 s[10:11], exec, s[10:11]
	s_cbranch_execz .LBB193_2142
; %bb.1699:
	v_bfe_u32 v3, v2, 21, 1
	s_mov_b32 s12, 0x88fffff
	v_add3_u32 v3, v2, v3, s12
	s_mov_b64 s[8:9], exec
	v_lshrrev_b32_e32 v3, 21, v3
	s_andn2_saveexec_b64 s[10:11], s[10:11]
	s_cbranch_execnz .LBB193_2143
.LBB193_1700:
	s_or_b64 exec, exec, s[10:11]
	v_mov_b32_e32 v5, 0
	s_and_saveexec_b64 s[10:11], s[8:9]
.LBB193_1701:
	v_lshrrev_b32_e32 v2, 24, v2
	s_movk_i32 s8, 0x80
	v_and_or_b32 v5, v2, s8, v3
.LBB193_1702:
	s_or_b64 exec, exec, s[10:11]
.LBB193_1703:
	s_or_b64 exec, exec, s[6:7]
	s_mov_b64 s[6:7], 0
	global_store_byte v[16:17], v5, off
.LBB193_1704:
	s_and_b64 vcc, exec, s[6:7]
	s_cbranch_vccz .LBB193_1714
; %bb.1705:
	v_cvt_f32_f64_e32 v2, v[0:1]
	v_and_b32_e32 v5, 0x7fffffff, v2
	s_mov_b32 s6, 0x43f00000
	v_cmp_gt_u32_e32 vcc, s6, v5
                                        ; implicit-def: $vgpr3
	s_and_saveexec_b64 s[6:7], vcc
	s_xor_b64 s[6:7], exec, s[6:7]
	s_cbranch_execz .LBB193_1711
; %bb.1706:
	s_mov_b32 s8, 0x3c7fffff
	v_cmp_lt_u32_e32 vcc, s8, v5
                                        ; implicit-def: $vgpr3
	s_and_saveexec_b64 s[8:9], vcc
	s_xor_b64 s[8:9], exec, s[8:9]
; %bb.1707:
	v_bfe_u32 v3, v2, 20, 1
	s_mov_b32 s10, 0x407ffff
	v_add3_u32 v3, v2, v3, s10
	v_lshrrev_b32_e32 v5, 20, v3
	v_and_b32_e32 v3, 0xff00000, v3
	s_mov_b32 s10, 0x7f00000
	v_mov_b32_e32 v7, 0x7e
	v_cmp_ne_u32_e32 vcc, s10, v3
	s_nop 1
	v_cndmask_b32_e32 v3, v7, v5, vcc
; %bb.1708:
	s_andn2_saveexec_b64 s[8:9], s[8:9]
; %bb.1709:
	s_mov_b32 s10, 0x46800000
	v_add_f32_e64 v3, |v2|, s10
; %bb.1710:
	s_or_b64 exec, exec, s[8:9]
                                        ; implicit-def: $vgpr5
.LBB193_1711:
	s_andn2_saveexec_b64 s[6:7], s[6:7]
; %bb.1712:
	s_mov_b32 s8, 0x7f800000
	v_mov_b32_e32 v3, 0x7e
	v_mov_b32_e32 v7, 0x7f
	v_cmp_lt_u32_e32 vcc, s8, v5
	s_nop 1
	v_cndmask_b32_e32 v3, v3, v7, vcc
; %bb.1713:
	s_or_b64 exec, exec, s[6:7]
	v_lshrrev_b32_e32 v2, 24, v2
	s_movk_i32 s6, 0x80
	v_and_or_b32 v2, v2, s6, v3
	global_store_byte v[16:17], v2, off
.LBB193_1714:
	s_mov_b64 s[6:7], 0
.LBB193_1715:
	s_andn2_b64 vcc, exec, s[6:7]
	s_cbranch_vccnz .LBB193_1725
; %bb.1716:
	v_cvt_f32_f64_e32 v2, v[0:1]
	v_and_b32_e32 v5, 0x7fffffff, v2
	s_mov_b32 s6, 0x47800000
	v_cmp_gt_u32_e32 vcc, s6, v5
                                        ; implicit-def: $vgpr3
	s_and_saveexec_b64 s[6:7], vcc
	s_xor_b64 s[6:7], exec, s[6:7]
	s_cbranch_execz .LBB193_1722
; %bb.1717:
	s_mov_b32 s8, 0x387fffff
	v_cmp_lt_u32_e32 vcc, s8, v5
                                        ; implicit-def: $vgpr3
	s_and_saveexec_b64 s[8:9], vcc
	s_xor_b64 s[8:9], exec, s[8:9]
; %bb.1718:
	v_bfe_u32 v3, v2, 21, 1
	s_mov_b32 s10, 0x80fffff
	v_add3_u32 v3, v2, v3, s10
	v_lshrrev_b32_e32 v3, 21, v3
; %bb.1719:
	s_andn2_saveexec_b64 s[8:9], s[8:9]
; %bb.1720:
	s_mov_b32 s10, 0x43000000
	v_add_f32_e64 v3, |v2|, s10
; %bb.1721:
	s_or_b64 exec, exec, s[8:9]
                                        ; implicit-def: $vgpr5
.LBB193_1722:
	s_andn2_saveexec_b64 s[6:7], s[6:7]
; %bb.1723:
	s_mov_b32 s8, 0x7f800000
	v_mov_b32_e32 v3, 0x7c
	v_mov_b32_e32 v7, 0x7f
	v_cmp_lt_u32_e32 vcc, s8, v5
	s_nop 1
	v_cndmask_b32_e32 v3, v3, v7, vcc
; %bb.1724:
	s_or_b64 exec, exec, s[6:7]
	v_lshrrev_b32_e32 v2, 24, v2
	s_movk_i32 s6, 0x80
	v_and_or_b32 v2, v2, s6, v3
	global_store_byte v[16:17], v2, off
.LBB193_1725:
	s_mov_b64 s[6:7], 0
	s_mov_b64 s[8:9], -1
.LBB193_1726:
	s_andn2_b64 vcc, exec, s[6:7]
	s_mov_b64 s[6:7], 0
	s_cbranch_vccnz .LBB193_1733
; %bb.1727:
	s_cmp_gt_i32 s15, 14
	s_mov_b64 s[10:11], -1
	s_cbranch_scc0 .LBB193_1731
; %bb.1728:
	s_cmp_eq_u32 s15, 15
	s_mov_b64 s[0:1], -1
	s_cbranch_scc0 .LBB193_1730
; %bb.1729:
	v_cvt_f32_f64_e32 v2, v[0:1]
	v_bfe_u32 v3, v2, 16, 1
	s_movk_i32 s0, 0x7fff
	v_add3_u32 v3, v2, v3, s0
	v_cmp_o_f32_e32 vcc, v2, v2
	v_mov_b32_e32 v2, 0x7fc0
	s_mov_b64 s[0:1], 0
	v_cndmask_b32_sdwa v2, v2, v3, vcc dst_sel:DWORD dst_unused:UNUSED_PAD src0_sel:DWORD src1_sel:WORD_1
	global_store_short v[16:17], v2, off
	s_mov_b64 s[8:9], -1
.LBB193_1730:
	s_mov_b64 s[10:11], 0
.LBB193_1731:
	s_and_b64 vcc, exec, s[10:11]
	s_cbranch_vccz .LBB193_1733
; %bb.1732:
	s_cmp_lg_u32 s15, 11
	s_mov_b64 s[6:7], -1
	s_cselect_b64 s[0:1], -1, 0
.LBB193_1733:
	s_and_b64 vcc, exec, s[0:1]
	s_cbranch_vccnz .LBB193_2141
; %bb.1734:
	s_andn2_b64 vcc, exec, s[6:7]
	s_cbranch_vccnz .LBB193_1736
.LBB193_1735:
	v_cmp_neq_f64_e32 vcc, 0, v[0:1]
	s_mov_b64 s[8:9], -1
	s_nop 0
	v_cndmask_b32_e64 v2, 0, 1, vcc
	global_store_byte v[16:17], v2, off
.LBB193_1736:
	s_mov_b64 s[0:1], 0
	s_branch .LBB193_1738
.LBB193_1737:
	s_mov_b64 s[0:1], -1
	s_mov_b64 s[8:9], 0
.LBB193_1738:
	s_and_b64 vcc, exec, s[0:1]
	s_cbranch_vccz .LBB193_1777
; %bb.1739:
	s_and_b32 s6, 0xffff, s14
	s_cmp_lt_i32 s6, 5
	s_mov_b64 s[0:1], -1
	s_cbranch_scc1 .LBB193_1760
; %bb.1740:
	s_cmp_lt_i32 s6, 8
	s_cbranch_scc1 .LBB193_1750
; %bb.1741:
	s_cmp_lt_i32 s6, 9
	s_cbranch_scc1 .LBB193_1747
; %bb.1742:
	s_cmp_gt_i32 s6, 9
	s_cbranch_scc0 .LBB193_1744
; %bb.1743:
	v_mov_b32_e32 v2, 0
	v_mov_b32_e32 v3, v2
	global_store_dwordx4 v[16:17], v[0:3], off
	s_mov_b64 s[0:1], 0
.LBB193_1744:
	s_andn2_b64 vcc, exec, s[0:1]
	s_cbranch_vccnz .LBB193_1746
; %bb.1745:
	v_cvt_f32_f64_e32 v2, v[0:1]
	v_mov_b32_e32 v3, 0
	global_store_dwordx2 v[16:17], v[2:3], off
.LBB193_1746:
	s_mov_b64 s[0:1], 0
.LBB193_1747:
	s_andn2_b64 vcc, exec, s[0:1]
	s_cbranch_vccnz .LBB193_1749
; %bb.1748:
	s_movk_i32 s0, 0x1ff
	v_and_or_b32 v2, v1, s0, v0
	v_cmp_ne_u32_e32 vcc, 0, v2
	v_lshrrev_b32_e32 v3, 8, v1
	s_movk_i32 s0, 0xffe
	v_cndmask_b32_e64 v2, 0, 1, vcc
	v_bfe_u32 v5, v1, 20, 11
	v_and_or_b32 v2, v3, s0, v2
	v_sub_u32_e32 v7, 0x3f1, v5
	v_or_b32_e32 v3, 0x1000, v2
	v_med3_i32 v7, v7, 0, 13
	v_lshrrev_b32_e32 v9, v7, v3
	v_lshlrev_b32_e32 v7, v7, v9
	v_cmp_ne_u32_e32 vcc, v7, v3
	v_add_u32_e32 v5, 0xfffffc10, v5
	v_lshl_or_b32 v7, v5, 12, v2
	v_cndmask_b32_e64 v3, 0, 1, vcc
	v_or_b32_e32 v3, v9, v3
	v_cmp_gt_i32_e32 vcc, 1, v5
	s_movk_i32 s0, 0x40f
	s_nop 0
	v_cndmask_b32_e32 v3, v7, v3, vcc
	v_and_b32_e32 v7, 7, v3
	v_cmp_lt_i32_e32 vcc, 5, v7
	v_lshrrev_b32_e32 v3, 2, v3
	s_nop 0
	v_cndmask_b32_e64 v9, 0, 1, vcc
	v_cmp_eq_u32_e32 vcc, 3, v7
	s_nop 1
	v_cndmask_b32_e64 v7, 0, 1, vcc
	v_or_b32_e32 v7, v7, v9
	v_add_u32_e32 v3, v3, v7
	v_mov_b32_e32 v7, 0x7c00
	v_cmp_gt_i32_e32 vcc, 31, v5
	v_mov_b32_e32 v9, 0x7e00
	s_nop 0
	v_cndmask_b32_e32 v3, v7, v3, vcc
	v_cmp_ne_u32_e32 vcc, 0, v2
	s_nop 1
	v_cndmask_b32_e32 v2, v7, v9, vcc
	v_cmp_eq_u32_e32 vcc, s0, v5
	s_mov_b32 s0, 0x8000
	s_nop 0
	v_cndmask_b32_e32 v2, v3, v2, vcc
	v_and_b32_sdwa v3, v1, s0 dst_sel:DWORD dst_unused:UNUSED_PAD src0_sel:WORD_1 src1_sel:DWORD
	s_mov_b32 s0, 0xffff
	v_bitop3_b32 v2, v3, s0, v2 bitop3:0xc8
	global_store_dword v[16:17], v2, off
.LBB193_1749:
	s_mov_b64 s[0:1], 0
.LBB193_1750:
	s_andn2_b64 vcc, exec, s[0:1]
	s_cbranch_vccnz .LBB193_1759
; %bb.1751:
	s_cmp_lt_i32 s6, 6
	s_mov_b64 s[0:1], -1
	s_cbranch_scc1 .LBB193_1757
; %bb.1752:
	s_cmp_gt_i32 s6, 6
	s_cbranch_scc0 .LBB193_1754
; %bb.1753:
	global_store_dwordx2 v[16:17], v[0:1], off
	s_mov_b64 s[0:1], 0
.LBB193_1754:
	s_andn2_b64 vcc, exec, s[0:1]
	s_cbranch_vccnz .LBB193_1756
; %bb.1755:
	v_cvt_f32_f64_e32 v2, v[0:1]
	global_store_dword v[16:17], v2, off
.LBB193_1756:
	s_mov_b64 s[0:1], 0
.LBB193_1757:
	s_andn2_b64 vcc, exec, s[0:1]
	s_cbranch_vccnz .LBB193_1759
; %bb.1758:
	s_movk_i32 s0, 0x1ff
	v_and_or_b32 v2, v1, s0, v0
	v_cmp_ne_u32_e32 vcc, 0, v2
	v_lshrrev_b32_e32 v3, 8, v1
	s_movk_i32 s0, 0xffe
	v_cndmask_b32_e64 v2, 0, 1, vcc
	v_bfe_u32 v5, v1, 20, 11
	v_and_or_b32 v2, v3, s0, v2
	v_sub_u32_e32 v7, 0x3f1, v5
	v_or_b32_e32 v3, 0x1000, v2
	v_med3_i32 v7, v7, 0, 13
	v_lshrrev_b32_e32 v9, v7, v3
	v_lshlrev_b32_e32 v7, v7, v9
	v_cmp_ne_u32_e32 vcc, v7, v3
	v_add_u32_e32 v5, 0xfffffc10, v5
	v_lshl_or_b32 v7, v5, 12, v2
	v_cndmask_b32_e64 v3, 0, 1, vcc
	v_or_b32_e32 v3, v9, v3
	v_cmp_gt_i32_e32 vcc, 1, v5
	s_movk_i32 s0, 0x40f
	s_nop 0
	v_cndmask_b32_e32 v3, v7, v3, vcc
	v_and_b32_e32 v7, 7, v3
	v_cmp_lt_i32_e32 vcc, 5, v7
	v_lshrrev_b32_e32 v3, 2, v3
	s_nop 0
	v_cndmask_b32_e64 v9, 0, 1, vcc
	v_cmp_eq_u32_e32 vcc, 3, v7
	s_nop 1
	v_cndmask_b32_e64 v7, 0, 1, vcc
	v_or_b32_e32 v7, v7, v9
	v_add_u32_e32 v3, v3, v7
	v_mov_b32_e32 v7, 0x7c00
	v_cmp_gt_i32_e32 vcc, 31, v5
	v_mov_b32_e32 v9, 0x7e00
	s_nop 0
	v_cndmask_b32_e32 v3, v7, v3, vcc
	v_cmp_ne_u32_e32 vcc, 0, v2
	s_nop 1
	v_cndmask_b32_e32 v2, v7, v9, vcc
	v_cmp_eq_u32_e32 vcc, s0, v5
	s_mov_b32 s0, 0x8000
	s_nop 0
	v_cndmask_b32_e32 v2, v3, v2, vcc
	v_lshrrev_b32_e32 v3, 16, v1
	v_and_or_b32 v2, v3, s0, v2
	global_store_short v[16:17], v2, off
.LBB193_1759:
	s_mov_b64 s[0:1], 0
.LBB193_1760:
	s_andn2_b64 vcc, exec, s[0:1]
	s_cbranch_vccnz .LBB193_1776
; %bb.1761:
	s_cmp_lt_i32 s6, 2
	s_mov_b64 s[0:1], -1
	s_cbranch_scc1 .LBB193_1771
; %bb.1762:
	s_cmp_lt_i32 s6, 3
	s_cbranch_scc1 .LBB193_1768
; %bb.1763:
	s_cmp_gt_i32 s6, 3
	s_cbranch_scc0 .LBB193_1765
; %bb.1764:
	v_trunc_f64_e32 v[2:3], v[0:1]
	s_movk_i32 s0, 0xffe0
	v_ldexp_f64 v[18:19], v[2:3], s0
	v_floor_f64_e32 v[18:19], v[18:19]
	v_fmac_f64_e32 v[2:3], 0xc1f00000, v[18:19]
	v_cvt_i32_f64_e32 v21, v[18:19]
	v_cvt_u32_f64_e32 v20, v[2:3]
	global_store_dwordx2 v[16:17], v[20:21], off
	s_mov_b64 s[0:1], 0
.LBB193_1765:
	s_andn2_b64 vcc, exec, s[0:1]
	s_cbranch_vccnz .LBB193_1767
; %bb.1766:
	v_cvt_i32_f64_e32 v2, v[0:1]
	global_store_dword v[16:17], v2, off
.LBB193_1767:
	s_mov_b64 s[0:1], 0
.LBB193_1768:
	s_andn2_b64 vcc, exec, s[0:1]
	s_cbranch_vccnz .LBB193_1770
; %bb.1769:
	v_cvt_i32_f64_e32 v2, v[0:1]
	global_store_short v[16:17], v2, off
.LBB193_1770:
	s_mov_b64 s[0:1], 0
.LBB193_1771:
	s_andn2_b64 vcc, exec, s[0:1]
	s_cbranch_vccnz .LBB193_1776
; %bb.1772:
	s_cmp_gt_i32 s6, 0
	s_mov_b64 s[0:1], -1
	s_cbranch_scc0 .LBB193_1774
; %bb.1773:
	v_cvt_i32_f64_e32 v2, v[0:1]
	global_store_byte v[16:17], v2, off
	s_mov_b64 s[0:1], 0
.LBB193_1774:
	s_andn2_b64 vcc, exec, s[0:1]
	s_cbranch_vccnz .LBB193_1776
; %bb.1775:
	v_trunc_f64_e32 v[0:1], v[0:1]
	s_movk_i32 s0, 0xffe0
	v_ldexp_f64 v[2:3], v[0:1], s0
	v_floor_f64_e32 v[2:3], v[2:3]
	v_fmac_f64_e32 v[0:1], 0xc1f00000, v[2:3]
	v_cvt_u32_f64_e32 v0, v[0:1]
	global_store_byte v[16:17], v0, off
.LBB193_1776:
	s_mov_b64 s[8:9], -1
.LBB193_1777:
	s_andn2_b64 vcc, exec, s[8:9]
	s_cbranch_vccnz .LBB193_2092
; %bb.1778:
	v_rsq_f64_e32 v[0:1], v[14:15]
	s_lshr_b32 s0, s16, 8
	s_and_b32 s14, s0, 0xff
	s_mov_b32 s0, 0
	v_mul_f64 v[2:3], v[0:1], -v[14:15]
	v_fma_f64 v[2:3], v[2:3], v[0:1], 1.0
	s_mov_b32 s1, 0x3fd80000
	v_mul_f64 v[14:15], v[0:1], v[2:3]
	v_fma_f64 v[2:3], v[2:3], s[0:1], 0.5
	v_mov_b32_e32 v5, 0x180
	v_fma_f64 v[2:3], v[14:15], v[2:3], v[0:1]
	v_cmp_class_f64_e32 vcc, v[0:1], v5
	v_mov_b32_e32 v9, 0
	s_cmp_lt_i32 s14, 11
	v_cndmask_b32_e32 v1, v1, v3, vcc
	v_cndmask_b32_e32 v0, v0, v2, vcc
	v_lshl_add_u64 v[8:9], s[4:5], 0, v[8:9]
	s_cbranch_scc1 .LBB193_1856
; %bb.1779:
	s_and_b32 s15, 0xffff, s14
	s_mov_b64 s[10:11], -1
	s_mov_b64 s[6:7], 0
	s_cmp_gt_i32 s15, 25
	s_mov_b64 s[8:9], 0
	s_mov_b64 s[0:1], 0
	s_cbranch_scc0 .LBB193_1812
; %bb.1780:
	s_cmp_gt_i32 s15, 28
	s_cbranch_scc0 .LBB193_1795
; %bb.1781:
	s_cmp_gt_i32 s15, 43
	;; [unrolled: 3-line block ×3, first 2 shown]
	s_cbranch_scc0 .LBB193_1785
; %bb.1783:
	s_mov_b64 s[0:1], -1
	s_mov_b64 s[10:11], 0
	s_cmp_eq_u32 s15, 46
	s_cbranch_scc0 .LBB193_1785
; %bb.1784:
	v_cvt_f32_f64_e32 v2, v[0:1]
	v_bfe_u32 v3, v2, 16, 1
	s_movk_i32 s0, 0x7fff
	v_add3_u32 v3, v2, v3, s0
	v_cmp_o_f32_e32 vcc, v2, v2
	v_mov_b32_e32 v2, 0x7fc0
	s_mov_b64 s[0:1], 0
	v_cndmask_b32_sdwa v2, v2, v3, vcc dst_sel:DWORD dst_unused:UNUSED_PAD src0_sel:DWORD src1_sel:WORD_1
	global_store_dword v[8:9], v2, off
	s_mov_b64 s[8:9], -1
.LBB193_1785:
	s_and_b64 vcc, exec, s[10:11]
	s_cbranch_vccz .LBB193_1790
; %bb.1786:
	s_cmp_eq_u32 s15, 44
	s_mov_b64 s[0:1], -1
	s_cbranch_scc0 .LBB193_1790
; %bb.1787:
	v_cvt_f32_f64_e32 v2, v[0:1]
	v_bfe_u32 v3, v2, 23, 8
	s_movk_i32 s0, 0xff
	v_cmp_ne_u32_e32 vcc, s0, v3
	v_mov_b32_e32 v5, 0xff
	s_and_saveexec_b64 s[8:9], vcc
; %bb.1788:
	s_mov_b32 s0, 0x3fffff
	v_lshrrev_b32_e32 v5, 23, v2
	v_and_b32_e32 v7, 0x400000, v2
	v_and_or_b32 v2, v2, s0, v3
	v_cmp_ne_u32_e32 vcc, 0, v7
	v_cmp_ne_u32_e64 s[0:1], 0, v2
	s_and_b64 s[0:1], vcc, s[0:1]
	s_nop 0
	v_cndmask_b32_e64 v2, 0, 1, s[0:1]
	v_add_u32_e32 v5, v5, v2
; %bb.1789:
	s_or_b64 exec, exec, s[8:9]
	s_mov_b64 s[0:1], 0
	s_mov_b64 s[8:9], -1
	global_store_byte v[8:9], v5, off
.LBB193_1790:
	s_mov_b64 s[10:11], 0
.LBB193_1791:
	s_and_b64 vcc, exec, s[10:11]
	s_cbranch_vccz .LBB193_1794
; %bb.1792:
	s_cmp_eq_u32 s15, 29
	s_mov_b64 s[0:1], -1
	s_cbranch_scc0 .LBB193_1794
; %bb.1793:
	v_trunc_f64_e32 v[2:3], v[0:1]
	s_movk_i32 s0, 0xffe0
	v_ldexp_f64 v[14:15], v[2:3], s0
	v_floor_f64_e32 v[14:15], v[14:15]
	v_fmac_f64_e32 v[2:3], 0xc1f00000, v[14:15]
	v_cvt_u32_f64_e32 v17, v[14:15]
	v_cvt_u32_f64_e32 v16, v[2:3]
	global_store_dwordx2 v[8:9], v[16:17], off
	s_mov_b64 s[0:1], 0
	s_mov_b64 s[8:9], -1
.LBB193_1794:
	s_mov_b64 s[10:11], 0
.LBB193_1795:
	s_and_b64 vcc, exec, s[10:11]
	s_cbranch_vccz .LBB193_1811
; %bb.1796:
	s_cmp_lt_i32 s15, 27
	s_mov_b64 s[8:9], -1
	s_cbranch_scc1 .LBB193_1802
; %bb.1797:
	s_cmp_gt_i32 s15, 27
	s_cbranch_scc0 .LBB193_1799
; %bb.1798:
	v_cvt_u32_f64_e32 v2, v[0:1]
	s_mov_b64 s[8:9], 0
	global_store_dword v[8:9], v2, off
.LBB193_1799:
	s_andn2_b64 vcc, exec, s[8:9]
	s_cbranch_vccnz .LBB193_1801
; %bb.1800:
	v_cvt_u32_f64_e32 v2, v[0:1]
	global_store_short v[8:9], v2, off
.LBB193_1801:
	s_mov_b64 s[8:9], 0
.LBB193_1802:
	s_andn2_b64 vcc, exec, s[8:9]
	s_cbranch_vccnz .LBB193_1810
; %bb.1803:
	v_cvt_f32_f64_e32 v2, v[0:1]
	v_and_b32_e32 v3, 0x7fffffff, v2
	s_mov_b32 s8, 0x43800000
	v_cmp_gt_u32_e32 vcc, s8, v3
	v_mov_b32_e32 v5, 0x80
	s_and_saveexec_b64 s[8:9], vcc
	s_cbranch_execz .LBB193_1809
; %bb.1804:
	s_mov_b32 s10, 0x3bffffff
	v_cmp_lt_u32_e32 vcc, s10, v3
	s_mov_b64 s[10:11], 0
                                        ; implicit-def: $vgpr3
	s_and_saveexec_b64 s[12:13], vcc
	s_xor_b64 s[12:13], exec, s[12:13]
	s_cbranch_execz .LBB193_2144
; %bb.1805:
	v_bfe_u32 v3, v2, 20, 1
	s_mov_b32 s16, 0x487ffff
	v_add3_u32 v3, v2, v3, s16
	s_mov_b64 s[10:11], exec
	v_lshrrev_b32_e32 v3, 20, v3
	s_andn2_saveexec_b64 s[12:13], s[12:13]
	s_cbranch_execnz .LBB193_2145
.LBB193_1806:
	s_or_b64 exec, exec, s[12:13]
	v_mov_b32_e32 v5, 0
	s_and_saveexec_b64 s[12:13], s[10:11]
.LBB193_1807:
	v_lshrrev_b32_e32 v2, 24, v2
	s_movk_i32 s10, 0x80
	v_and_or_b32 v5, v2, s10, v3
.LBB193_1808:
	s_or_b64 exec, exec, s[12:13]
.LBB193_1809:
	s_or_b64 exec, exec, s[8:9]
	global_store_byte v[8:9], v5, off
.LBB193_1810:
	s_mov_b64 s[8:9], -1
.LBB193_1811:
	s_mov_b64 s[10:11], 0
.LBB193_1812:
	s_and_b64 vcc, exec, s[10:11]
	s_cbranch_vccz .LBB193_1852
; %bb.1813:
	s_cmp_gt_i32 s15, 22
	s_mov_b64 s[6:7], -1
	s_cbranch_scc0 .LBB193_1845
; %bb.1814:
	s_cmp_lt_i32 s15, 24
	s_cbranch_scc1 .LBB193_1834
; %bb.1815:
	s_cmp_gt_i32 s15, 24
	s_cbranch_scc0 .LBB193_1823
; %bb.1816:
	v_cvt_f32_f64_e32 v2, v[0:1]
	v_and_b32_e32 v3, 0x7fffffff, v2
	s_mov_b32 s6, 0x47800000
	v_cmp_gt_u32_e32 vcc, s6, v3
	v_mov_b32_e32 v5, 0x80
	s_and_saveexec_b64 s[6:7], vcc
	s_cbranch_execz .LBB193_1822
; %bb.1817:
	s_mov_b32 s8, 0x37ffffff
	v_cmp_lt_u32_e32 vcc, s8, v3
	s_mov_b64 s[8:9], 0
                                        ; implicit-def: $vgpr3
	s_and_saveexec_b64 s[10:11], vcc
	s_xor_b64 s[10:11], exec, s[10:11]
	s_cbranch_execz .LBB193_2147
; %bb.1818:
	v_bfe_u32 v3, v2, 21, 1
	s_mov_b32 s12, 0x88fffff
	v_add3_u32 v3, v2, v3, s12
	s_mov_b64 s[8:9], exec
	v_lshrrev_b32_e32 v3, 21, v3
	s_andn2_saveexec_b64 s[10:11], s[10:11]
	s_cbranch_execnz .LBB193_2148
.LBB193_1819:
	s_or_b64 exec, exec, s[10:11]
	v_mov_b32_e32 v5, 0
	s_and_saveexec_b64 s[10:11], s[8:9]
.LBB193_1820:
	v_lshrrev_b32_e32 v2, 24, v2
	s_movk_i32 s8, 0x80
	v_and_or_b32 v5, v2, s8, v3
.LBB193_1821:
	s_or_b64 exec, exec, s[10:11]
.LBB193_1822:
	s_or_b64 exec, exec, s[6:7]
	s_mov_b64 s[6:7], 0
	global_store_byte v[8:9], v5, off
.LBB193_1823:
	s_and_b64 vcc, exec, s[6:7]
	s_cbranch_vccz .LBB193_1833
; %bb.1824:
	v_cvt_f32_f64_e32 v2, v[0:1]
	v_and_b32_e32 v5, 0x7fffffff, v2
	s_mov_b32 s6, 0x43f00000
	v_cmp_gt_u32_e32 vcc, s6, v5
                                        ; implicit-def: $vgpr3
	s_and_saveexec_b64 s[6:7], vcc
	s_xor_b64 s[6:7], exec, s[6:7]
	s_cbranch_execz .LBB193_1830
; %bb.1825:
	s_mov_b32 s8, 0x3c7fffff
	v_cmp_lt_u32_e32 vcc, s8, v5
                                        ; implicit-def: $vgpr3
	s_and_saveexec_b64 s[8:9], vcc
	s_xor_b64 s[8:9], exec, s[8:9]
; %bb.1826:
	v_bfe_u32 v3, v2, 20, 1
	s_mov_b32 s10, 0x407ffff
	v_add3_u32 v3, v2, v3, s10
	v_lshrrev_b32_e32 v5, 20, v3
	v_and_b32_e32 v3, 0xff00000, v3
	s_mov_b32 s10, 0x7f00000
	v_mov_b32_e32 v7, 0x7e
	v_cmp_ne_u32_e32 vcc, s10, v3
	s_nop 1
	v_cndmask_b32_e32 v3, v7, v5, vcc
; %bb.1827:
	s_andn2_saveexec_b64 s[8:9], s[8:9]
; %bb.1828:
	s_mov_b32 s10, 0x46800000
	v_add_f32_e64 v3, |v2|, s10
; %bb.1829:
	s_or_b64 exec, exec, s[8:9]
                                        ; implicit-def: $vgpr5
.LBB193_1830:
	s_andn2_saveexec_b64 s[6:7], s[6:7]
; %bb.1831:
	s_mov_b32 s8, 0x7f800000
	v_mov_b32_e32 v3, 0x7e
	v_mov_b32_e32 v7, 0x7f
	v_cmp_lt_u32_e32 vcc, s8, v5
	s_nop 1
	v_cndmask_b32_e32 v3, v3, v7, vcc
; %bb.1832:
	s_or_b64 exec, exec, s[6:7]
	v_lshrrev_b32_e32 v2, 24, v2
	s_movk_i32 s6, 0x80
	v_and_or_b32 v2, v2, s6, v3
	global_store_byte v[8:9], v2, off
.LBB193_1833:
	s_mov_b64 s[6:7], 0
.LBB193_1834:
	s_andn2_b64 vcc, exec, s[6:7]
	s_cbranch_vccnz .LBB193_1844
; %bb.1835:
	v_cvt_f32_f64_e32 v2, v[0:1]
	v_and_b32_e32 v5, 0x7fffffff, v2
	s_mov_b32 s6, 0x47800000
	v_cmp_gt_u32_e32 vcc, s6, v5
                                        ; implicit-def: $vgpr3
	s_and_saveexec_b64 s[6:7], vcc
	s_xor_b64 s[6:7], exec, s[6:7]
	s_cbranch_execz .LBB193_1841
; %bb.1836:
	s_mov_b32 s8, 0x387fffff
	v_cmp_lt_u32_e32 vcc, s8, v5
                                        ; implicit-def: $vgpr3
	s_and_saveexec_b64 s[8:9], vcc
	s_xor_b64 s[8:9], exec, s[8:9]
; %bb.1837:
	v_bfe_u32 v3, v2, 21, 1
	s_mov_b32 s10, 0x80fffff
	v_add3_u32 v3, v2, v3, s10
	v_lshrrev_b32_e32 v3, 21, v3
; %bb.1838:
	s_andn2_saveexec_b64 s[8:9], s[8:9]
; %bb.1839:
	s_mov_b32 s10, 0x43000000
	v_add_f32_e64 v3, |v2|, s10
; %bb.1840:
	s_or_b64 exec, exec, s[8:9]
                                        ; implicit-def: $vgpr5
.LBB193_1841:
	s_andn2_saveexec_b64 s[6:7], s[6:7]
; %bb.1842:
	s_mov_b32 s8, 0x7f800000
	v_mov_b32_e32 v3, 0x7c
	v_mov_b32_e32 v7, 0x7f
	v_cmp_lt_u32_e32 vcc, s8, v5
	s_nop 1
	v_cndmask_b32_e32 v3, v3, v7, vcc
; %bb.1843:
	s_or_b64 exec, exec, s[6:7]
	v_lshrrev_b32_e32 v2, 24, v2
	s_movk_i32 s6, 0x80
	v_and_or_b32 v2, v2, s6, v3
	global_store_byte v[8:9], v2, off
.LBB193_1844:
	s_mov_b64 s[6:7], 0
	s_mov_b64 s[8:9], -1
.LBB193_1845:
	s_andn2_b64 vcc, exec, s[6:7]
	s_mov_b64 s[6:7], 0
	s_cbranch_vccnz .LBB193_1852
; %bb.1846:
	s_cmp_gt_i32 s15, 14
	s_mov_b64 s[10:11], -1
	s_cbranch_scc0 .LBB193_1850
; %bb.1847:
	s_cmp_eq_u32 s15, 15
	s_mov_b64 s[0:1], -1
	s_cbranch_scc0 .LBB193_1849
; %bb.1848:
	v_cvt_f32_f64_e32 v2, v[0:1]
	v_bfe_u32 v3, v2, 16, 1
	s_movk_i32 s0, 0x7fff
	v_add3_u32 v3, v2, v3, s0
	v_cmp_o_f32_e32 vcc, v2, v2
	v_mov_b32_e32 v2, 0x7fc0
	s_mov_b64 s[0:1], 0
	v_cndmask_b32_sdwa v2, v2, v3, vcc dst_sel:DWORD dst_unused:UNUSED_PAD src0_sel:DWORD src1_sel:WORD_1
	global_store_short v[8:9], v2, off
	s_mov_b64 s[8:9], -1
.LBB193_1849:
	s_mov_b64 s[10:11], 0
.LBB193_1850:
	s_and_b64 vcc, exec, s[10:11]
	s_cbranch_vccz .LBB193_1852
; %bb.1851:
	s_cmp_lg_u32 s15, 11
	s_mov_b64 s[6:7], -1
	s_cselect_b64 s[0:1], -1, 0
.LBB193_1852:
	s_and_b64 vcc, exec, s[0:1]
	s_cbranch_vccnz .LBB193_2146
; %bb.1853:
	s_andn2_b64 vcc, exec, s[6:7]
	s_cbranch_vccnz .LBB193_1855
.LBB193_1854:
	v_cmp_neq_f64_e32 vcc, 0, v[0:1]
	s_mov_b64 s[8:9], -1
	s_nop 0
	v_cndmask_b32_e64 v2, 0, 1, vcc
	global_store_byte v[8:9], v2, off
.LBB193_1855:
	s_mov_b64 s[0:1], 0
	s_branch .LBB193_1857
.LBB193_1856:
	s_mov_b64 s[0:1], -1
	s_mov_b64 s[8:9], 0
.LBB193_1857:
	s_and_b64 vcc, exec, s[0:1]
	s_cbranch_vccz .LBB193_1896
; %bb.1858:
	s_and_b32 s6, 0xffff, s14
	s_cmp_lt_i32 s6, 5
	s_mov_b64 s[0:1], -1
	s_cbranch_scc1 .LBB193_1879
; %bb.1859:
	s_cmp_lt_i32 s6, 8
	s_cbranch_scc1 .LBB193_1869
; %bb.1860:
	s_cmp_lt_i32 s6, 9
	s_cbranch_scc1 .LBB193_1866
; %bb.1861:
	s_cmp_gt_i32 s6, 9
	s_cbranch_scc0 .LBB193_1863
; %bb.1862:
	v_mov_b32_e32 v2, 0
	v_mov_b32_e32 v3, v2
	global_store_dwordx4 v[8:9], v[0:3], off
	s_mov_b64 s[0:1], 0
.LBB193_1863:
	s_andn2_b64 vcc, exec, s[0:1]
	s_cbranch_vccnz .LBB193_1865
; %bb.1864:
	v_cvt_f32_f64_e32 v2, v[0:1]
	v_mov_b32_e32 v3, 0
	global_store_dwordx2 v[8:9], v[2:3], off
.LBB193_1865:
	s_mov_b64 s[0:1], 0
.LBB193_1866:
	s_andn2_b64 vcc, exec, s[0:1]
	s_cbranch_vccnz .LBB193_1868
; %bb.1867:
	s_movk_i32 s0, 0x1ff
	v_and_or_b32 v2, v1, s0, v0
	v_cmp_ne_u32_e32 vcc, 0, v2
	v_lshrrev_b32_e32 v3, 8, v1
	s_movk_i32 s0, 0xffe
	v_cndmask_b32_e64 v2, 0, 1, vcc
	v_bfe_u32 v5, v1, 20, 11
	v_and_or_b32 v2, v3, s0, v2
	v_sub_u32_e32 v7, 0x3f1, v5
	v_or_b32_e32 v3, 0x1000, v2
	v_med3_i32 v7, v7, 0, 13
	v_lshrrev_b32_e32 v14, v7, v3
	v_lshlrev_b32_e32 v7, v7, v14
	v_cmp_ne_u32_e32 vcc, v7, v3
	v_add_u32_e32 v5, 0xfffffc10, v5
	v_lshl_or_b32 v7, v5, 12, v2
	v_cndmask_b32_e64 v3, 0, 1, vcc
	v_or_b32_e32 v3, v14, v3
	v_cmp_gt_i32_e32 vcc, 1, v5
	s_movk_i32 s0, 0x40f
	s_nop 0
	v_cndmask_b32_e32 v3, v7, v3, vcc
	v_and_b32_e32 v7, 7, v3
	v_cmp_lt_i32_e32 vcc, 5, v7
	v_lshrrev_b32_e32 v3, 2, v3
	s_nop 0
	v_cndmask_b32_e64 v14, 0, 1, vcc
	v_cmp_eq_u32_e32 vcc, 3, v7
	s_nop 1
	v_cndmask_b32_e64 v7, 0, 1, vcc
	v_or_b32_e32 v7, v7, v14
	v_add_u32_e32 v3, v3, v7
	v_mov_b32_e32 v7, 0x7c00
	v_cmp_gt_i32_e32 vcc, 31, v5
	v_mov_b32_e32 v14, 0x7e00
	s_nop 0
	v_cndmask_b32_e32 v3, v7, v3, vcc
	v_cmp_ne_u32_e32 vcc, 0, v2
	s_nop 1
	v_cndmask_b32_e32 v2, v7, v14, vcc
	v_cmp_eq_u32_e32 vcc, s0, v5
	s_mov_b32 s0, 0x8000
	s_nop 0
	v_cndmask_b32_e32 v2, v3, v2, vcc
	v_and_b32_sdwa v3, v1, s0 dst_sel:DWORD dst_unused:UNUSED_PAD src0_sel:WORD_1 src1_sel:DWORD
	s_mov_b32 s0, 0xffff
	v_bitop3_b32 v2, v3, s0, v2 bitop3:0xc8
	global_store_dword v[8:9], v2, off
.LBB193_1868:
	s_mov_b64 s[0:1], 0
.LBB193_1869:
	s_andn2_b64 vcc, exec, s[0:1]
	s_cbranch_vccnz .LBB193_1878
; %bb.1870:
	s_cmp_lt_i32 s6, 6
	s_mov_b64 s[0:1], -1
	s_cbranch_scc1 .LBB193_1876
; %bb.1871:
	s_cmp_gt_i32 s6, 6
	s_cbranch_scc0 .LBB193_1873
; %bb.1872:
	global_store_dwordx2 v[8:9], v[0:1], off
	s_mov_b64 s[0:1], 0
.LBB193_1873:
	s_andn2_b64 vcc, exec, s[0:1]
	s_cbranch_vccnz .LBB193_1875
; %bb.1874:
	v_cvt_f32_f64_e32 v2, v[0:1]
	global_store_dword v[8:9], v2, off
.LBB193_1875:
	s_mov_b64 s[0:1], 0
.LBB193_1876:
	s_andn2_b64 vcc, exec, s[0:1]
	s_cbranch_vccnz .LBB193_1878
; %bb.1877:
	s_movk_i32 s0, 0x1ff
	v_and_or_b32 v2, v1, s0, v0
	v_cmp_ne_u32_e32 vcc, 0, v2
	v_lshrrev_b32_e32 v3, 8, v1
	s_movk_i32 s0, 0xffe
	v_cndmask_b32_e64 v2, 0, 1, vcc
	v_bfe_u32 v5, v1, 20, 11
	v_and_or_b32 v2, v3, s0, v2
	v_sub_u32_e32 v7, 0x3f1, v5
	v_or_b32_e32 v3, 0x1000, v2
	v_med3_i32 v7, v7, 0, 13
	v_lshrrev_b32_e32 v14, v7, v3
	v_lshlrev_b32_e32 v7, v7, v14
	v_cmp_ne_u32_e32 vcc, v7, v3
	v_add_u32_e32 v5, 0xfffffc10, v5
	v_lshl_or_b32 v7, v5, 12, v2
	v_cndmask_b32_e64 v3, 0, 1, vcc
	v_or_b32_e32 v3, v14, v3
	v_cmp_gt_i32_e32 vcc, 1, v5
	s_movk_i32 s0, 0x40f
	s_nop 0
	v_cndmask_b32_e32 v3, v7, v3, vcc
	v_and_b32_e32 v7, 7, v3
	v_cmp_lt_i32_e32 vcc, 5, v7
	v_lshrrev_b32_e32 v3, 2, v3
	s_nop 0
	v_cndmask_b32_e64 v14, 0, 1, vcc
	v_cmp_eq_u32_e32 vcc, 3, v7
	s_nop 1
	v_cndmask_b32_e64 v7, 0, 1, vcc
	v_or_b32_e32 v7, v7, v14
	v_add_u32_e32 v3, v3, v7
	v_mov_b32_e32 v7, 0x7c00
	v_cmp_gt_i32_e32 vcc, 31, v5
	v_mov_b32_e32 v14, 0x7e00
	s_nop 0
	v_cndmask_b32_e32 v3, v7, v3, vcc
	v_cmp_ne_u32_e32 vcc, 0, v2
	s_nop 1
	v_cndmask_b32_e32 v2, v7, v14, vcc
	v_cmp_eq_u32_e32 vcc, s0, v5
	s_mov_b32 s0, 0x8000
	s_nop 0
	v_cndmask_b32_e32 v2, v3, v2, vcc
	v_lshrrev_b32_e32 v3, 16, v1
	v_and_or_b32 v2, v3, s0, v2
	global_store_short v[8:9], v2, off
.LBB193_1878:
	s_mov_b64 s[0:1], 0
.LBB193_1879:
	s_andn2_b64 vcc, exec, s[0:1]
	s_cbranch_vccnz .LBB193_1895
; %bb.1880:
	s_cmp_lt_i32 s6, 2
	s_mov_b64 s[0:1], -1
	s_cbranch_scc1 .LBB193_1890
; %bb.1881:
	s_cmp_lt_i32 s6, 3
	s_cbranch_scc1 .LBB193_1887
; %bb.1882:
	s_cmp_gt_i32 s6, 3
	s_cbranch_scc0 .LBB193_1884
; %bb.1883:
	v_trunc_f64_e32 v[2:3], v[0:1]
	s_movk_i32 s0, 0xffe0
	v_ldexp_f64 v[14:15], v[2:3], s0
	v_floor_f64_e32 v[14:15], v[14:15]
	v_fmac_f64_e32 v[2:3], 0xc1f00000, v[14:15]
	v_cvt_i32_f64_e32 v17, v[14:15]
	v_cvt_u32_f64_e32 v16, v[2:3]
	global_store_dwordx2 v[8:9], v[16:17], off
	s_mov_b64 s[0:1], 0
.LBB193_1884:
	s_andn2_b64 vcc, exec, s[0:1]
	s_cbranch_vccnz .LBB193_1886
; %bb.1885:
	v_cvt_i32_f64_e32 v2, v[0:1]
	global_store_dword v[8:9], v2, off
.LBB193_1886:
	s_mov_b64 s[0:1], 0
.LBB193_1887:
	s_andn2_b64 vcc, exec, s[0:1]
	s_cbranch_vccnz .LBB193_1889
; %bb.1888:
	v_cvt_i32_f64_e32 v2, v[0:1]
	global_store_short v[8:9], v2, off
.LBB193_1889:
	s_mov_b64 s[0:1], 0
.LBB193_1890:
	s_andn2_b64 vcc, exec, s[0:1]
	s_cbranch_vccnz .LBB193_1895
; %bb.1891:
	s_cmp_gt_i32 s6, 0
	s_mov_b64 s[0:1], -1
	s_cbranch_scc0 .LBB193_1893
; %bb.1892:
	v_cvt_i32_f64_e32 v2, v[0:1]
	global_store_byte v[8:9], v2, off
	s_mov_b64 s[0:1], 0
.LBB193_1893:
	s_andn2_b64 vcc, exec, s[0:1]
	s_cbranch_vccnz .LBB193_1895
; %bb.1894:
	v_trunc_f64_e32 v[0:1], v[0:1]
	s_movk_i32 s0, 0xffe0
	v_ldexp_f64 v[2:3], v[0:1], s0
	v_floor_f64_e32 v[2:3], v[2:3]
	v_fmac_f64_e32 v[0:1], 0xc1f00000, v[2:3]
	v_cvt_u32_f64_e32 v0, v[0:1]
	global_store_byte v[8:9], v0, off
.LBB193_1895:
	s_mov_b64 s[8:9], -1
.LBB193_1896:
	s_andn2_b64 vcc, exec, s[8:9]
	s_cbranch_vccnz .LBB193_2092
; %bb.1897:
	v_rsq_f64_e32 v[0:1], v[12:13]
	s_mov_b32 s0, 0
	s_mov_b32 s1, 0x3fd80000
	v_mov_b32_e32 v5, 0x180
	v_mul_f64 v[2:3], v[0:1], -v[12:13]
	v_fma_f64 v[2:3], v[2:3], v[0:1], 1.0
	v_mul_f64 v[8:9], v[0:1], v[2:3]
	v_fma_f64 v[2:3], v[2:3], s[0:1], 0.5
	v_fma_f64 v[2:3], v[8:9], v[2:3], v[0:1]
	v_cmp_class_f64_e32 vcc, v[0:1], v5
	v_mov_b32_e32 v7, 0
	s_cmp_lt_i32 s14, 11
	v_cndmask_b32_e32 v1, v1, v3, vcc
	v_cndmask_b32_e32 v0, v0, v2, vcc
	v_lshl_add_u64 v[6:7], s[4:5], 0, v[6:7]
	s_cbranch_scc1 .LBB193_1975
; %bb.1898:
	s_and_b32 s15, 0xffff, s14
	s_mov_b64 s[10:11], -1
	s_mov_b64 s[6:7], 0
	s_cmp_gt_i32 s15, 25
	s_mov_b64 s[8:9], 0
	s_mov_b64 s[0:1], 0
	s_cbranch_scc0 .LBB193_1931
; %bb.1899:
	s_cmp_gt_i32 s15, 28
	s_cbranch_scc0 .LBB193_1914
; %bb.1900:
	s_cmp_gt_i32 s15, 43
	;; [unrolled: 3-line block ×3, first 2 shown]
	s_cbranch_scc0 .LBB193_1904
; %bb.1902:
	s_mov_b64 s[0:1], -1
	s_mov_b64 s[10:11], 0
	s_cmp_eq_u32 s15, 46
	s_cbranch_scc0 .LBB193_1904
; %bb.1903:
	v_cvt_f32_f64_e32 v2, v[0:1]
	v_bfe_u32 v3, v2, 16, 1
	s_movk_i32 s0, 0x7fff
	v_add3_u32 v3, v2, v3, s0
	v_cmp_o_f32_e32 vcc, v2, v2
	v_mov_b32_e32 v2, 0x7fc0
	s_mov_b64 s[0:1], 0
	v_cndmask_b32_sdwa v2, v2, v3, vcc dst_sel:DWORD dst_unused:UNUSED_PAD src0_sel:DWORD src1_sel:WORD_1
	global_store_dword v[6:7], v2, off
	s_mov_b64 s[8:9], -1
.LBB193_1904:
	s_and_b64 vcc, exec, s[10:11]
	s_cbranch_vccz .LBB193_1909
; %bb.1905:
	s_cmp_eq_u32 s15, 44
	s_mov_b64 s[0:1], -1
	s_cbranch_scc0 .LBB193_1909
; %bb.1906:
	v_cvt_f32_f64_e32 v2, v[0:1]
	v_bfe_u32 v3, v2, 23, 8
	s_movk_i32 s0, 0xff
	v_cmp_ne_u32_e32 vcc, s0, v3
	v_mov_b32_e32 v5, 0xff
	s_and_saveexec_b64 s[8:9], vcc
; %bb.1907:
	s_mov_b32 s0, 0x3fffff
	v_lshrrev_b32_e32 v5, 23, v2
	v_and_b32_e32 v8, 0x400000, v2
	v_and_or_b32 v2, v2, s0, v3
	v_cmp_ne_u32_e32 vcc, 0, v8
	v_cmp_ne_u32_e64 s[0:1], 0, v2
	s_and_b64 s[0:1], vcc, s[0:1]
	s_nop 0
	v_cndmask_b32_e64 v2, 0, 1, s[0:1]
	v_add_u32_e32 v5, v5, v2
; %bb.1908:
	s_or_b64 exec, exec, s[8:9]
	s_mov_b64 s[0:1], 0
	s_mov_b64 s[8:9], -1
	global_store_byte v[6:7], v5, off
.LBB193_1909:
	s_mov_b64 s[10:11], 0
.LBB193_1910:
	s_and_b64 vcc, exec, s[10:11]
	s_cbranch_vccz .LBB193_1913
; %bb.1911:
	s_cmp_eq_u32 s15, 29
	s_mov_b64 s[0:1], -1
	s_cbranch_scc0 .LBB193_1913
; %bb.1912:
	v_trunc_f64_e32 v[2:3], v[0:1]
	s_movk_i32 s0, 0xffe0
	v_ldexp_f64 v[8:9], v[2:3], s0
	v_floor_f64_e32 v[8:9], v[8:9]
	v_fmac_f64_e32 v[2:3], 0xc1f00000, v[8:9]
	v_cvt_u32_f64_e32 v13, v[8:9]
	v_cvt_u32_f64_e32 v12, v[2:3]
	global_store_dwordx2 v[6:7], v[12:13], off
	s_mov_b64 s[0:1], 0
	s_mov_b64 s[8:9], -1
.LBB193_1913:
	s_mov_b64 s[10:11], 0
.LBB193_1914:
	s_and_b64 vcc, exec, s[10:11]
	s_cbranch_vccz .LBB193_1930
; %bb.1915:
	s_cmp_lt_i32 s15, 27
	s_mov_b64 s[8:9], -1
	s_cbranch_scc1 .LBB193_1921
; %bb.1916:
	s_cmp_gt_i32 s15, 27
	v_cvt_u32_f64_e32 v2, v[0:1]
	s_cbranch_scc0 .LBB193_1918
; %bb.1917:
	s_mov_b64 s[8:9], 0
	global_store_dword v[6:7], v2, off
.LBB193_1918:
	s_andn2_b64 vcc, exec, s[8:9]
	s_cbranch_vccnz .LBB193_1920
; %bb.1919:
	global_store_short v[6:7], v2, off
.LBB193_1920:
	s_mov_b64 s[8:9], 0
.LBB193_1921:
	s_andn2_b64 vcc, exec, s[8:9]
	s_cbranch_vccnz .LBB193_1929
; %bb.1922:
	v_cvt_f32_f64_e32 v2, v[0:1]
	v_and_b32_e32 v3, 0x7fffffff, v2
	s_mov_b32 s8, 0x43800000
	v_cmp_gt_u32_e32 vcc, s8, v3
	v_mov_b32_e32 v5, 0x80
	s_and_saveexec_b64 s[8:9], vcc
	s_cbranch_execz .LBB193_1928
; %bb.1923:
	s_mov_b32 s10, 0x3bffffff
	v_cmp_lt_u32_e32 vcc, s10, v3
	s_mov_b64 s[10:11], 0
                                        ; implicit-def: $vgpr3
	s_and_saveexec_b64 s[12:13], vcc
	s_xor_b64 s[12:13], exec, s[12:13]
	s_cbranch_execz .LBB193_2149
; %bb.1924:
	v_bfe_u32 v3, v2, 20, 1
	s_mov_b32 s16, 0x487ffff
	v_add3_u32 v3, v2, v3, s16
	s_mov_b64 s[10:11], exec
	v_lshrrev_b32_e32 v3, 20, v3
	s_andn2_saveexec_b64 s[12:13], s[12:13]
	s_cbranch_execnz .LBB193_2150
.LBB193_1925:
	s_or_b64 exec, exec, s[12:13]
	v_mov_b32_e32 v5, 0
	s_and_saveexec_b64 s[12:13], s[10:11]
.LBB193_1926:
	v_lshrrev_b32_e32 v2, 24, v2
	s_movk_i32 s10, 0x80
	v_and_or_b32 v5, v2, s10, v3
.LBB193_1927:
	s_or_b64 exec, exec, s[12:13]
.LBB193_1928:
	s_or_b64 exec, exec, s[8:9]
	global_store_byte v[6:7], v5, off
.LBB193_1929:
	s_mov_b64 s[8:9], -1
.LBB193_1930:
	s_mov_b64 s[10:11], 0
.LBB193_1931:
	s_and_b64 vcc, exec, s[10:11]
	s_cbranch_vccz .LBB193_1971
; %bb.1932:
	s_cmp_gt_i32 s15, 22
	s_mov_b64 s[6:7], -1
	s_cbranch_scc0 .LBB193_1964
; %bb.1933:
	s_cmp_lt_i32 s15, 24
	s_cbranch_scc1 .LBB193_1953
; %bb.1934:
	s_cmp_gt_i32 s15, 24
	s_cbranch_scc0 .LBB193_1942
; %bb.1935:
	v_cvt_f32_f64_e32 v2, v[0:1]
	v_and_b32_e32 v3, 0x7fffffff, v2
	s_mov_b32 s6, 0x47800000
	v_cmp_gt_u32_e32 vcc, s6, v3
	v_mov_b32_e32 v5, 0x80
	s_and_saveexec_b64 s[6:7], vcc
	s_cbranch_execz .LBB193_1941
; %bb.1936:
	s_mov_b32 s8, 0x37ffffff
	v_cmp_lt_u32_e32 vcc, s8, v3
	s_mov_b64 s[8:9], 0
                                        ; implicit-def: $vgpr3
	s_and_saveexec_b64 s[10:11], vcc
	s_xor_b64 s[10:11], exec, s[10:11]
	s_cbranch_execz .LBB193_2152
; %bb.1937:
	v_bfe_u32 v3, v2, 21, 1
	s_mov_b32 s12, 0x88fffff
	v_add3_u32 v3, v2, v3, s12
	s_mov_b64 s[8:9], exec
	v_lshrrev_b32_e32 v3, 21, v3
	s_andn2_saveexec_b64 s[10:11], s[10:11]
	s_cbranch_execnz .LBB193_2153
.LBB193_1938:
	s_or_b64 exec, exec, s[10:11]
	v_mov_b32_e32 v5, 0
	s_and_saveexec_b64 s[10:11], s[8:9]
.LBB193_1939:
	v_lshrrev_b32_e32 v2, 24, v2
	s_movk_i32 s8, 0x80
	v_and_or_b32 v5, v2, s8, v3
.LBB193_1940:
	s_or_b64 exec, exec, s[10:11]
.LBB193_1941:
	s_or_b64 exec, exec, s[6:7]
	s_mov_b64 s[6:7], 0
	global_store_byte v[6:7], v5, off
.LBB193_1942:
	s_and_b64 vcc, exec, s[6:7]
	s_cbranch_vccz .LBB193_1952
; %bb.1943:
	v_cvt_f32_f64_e32 v2, v[0:1]
	v_and_b32_e32 v5, 0x7fffffff, v2
	s_mov_b32 s6, 0x43f00000
	v_cmp_gt_u32_e32 vcc, s6, v5
                                        ; implicit-def: $vgpr3
	s_and_saveexec_b64 s[6:7], vcc
	s_xor_b64 s[6:7], exec, s[6:7]
	s_cbranch_execz .LBB193_1949
; %bb.1944:
	s_mov_b32 s8, 0x3c7fffff
	v_cmp_lt_u32_e32 vcc, s8, v5
                                        ; implicit-def: $vgpr3
	s_and_saveexec_b64 s[8:9], vcc
	s_xor_b64 s[8:9], exec, s[8:9]
; %bb.1945:
	v_bfe_u32 v3, v2, 20, 1
	s_mov_b32 s10, 0x407ffff
	v_add3_u32 v3, v2, v3, s10
	v_lshrrev_b32_e32 v5, 20, v3
	v_and_b32_e32 v3, 0xff00000, v3
	s_mov_b32 s10, 0x7f00000
	v_mov_b32_e32 v8, 0x7e
	v_cmp_ne_u32_e32 vcc, s10, v3
	s_nop 1
	v_cndmask_b32_e32 v3, v8, v5, vcc
; %bb.1946:
	s_andn2_saveexec_b64 s[8:9], s[8:9]
; %bb.1947:
	s_mov_b32 s10, 0x46800000
	v_add_f32_e64 v3, |v2|, s10
; %bb.1948:
	s_or_b64 exec, exec, s[8:9]
                                        ; implicit-def: $vgpr5
.LBB193_1949:
	s_andn2_saveexec_b64 s[6:7], s[6:7]
; %bb.1950:
	s_mov_b32 s8, 0x7f800000
	v_mov_b32_e32 v3, 0x7e
	v_mov_b32_e32 v8, 0x7f
	v_cmp_lt_u32_e32 vcc, s8, v5
	s_nop 1
	v_cndmask_b32_e32 v3, v3, v8, vcc
; %bb.1951:
	s_or_b64 exec, exec, s[6:7]
	v_lshrrev_b32_e32 v2, 24, v2
	s_movk_i32 s6, 0x80
	v_and_or_b32 v2, v2, s6, v3
	global_store_byte v[6:7], v2, off
.LBB193_1952:
	s_mov_b64 s[6:7], 0
.LBB193_1953:
	s_andn2_b64 vcc, exec, s[6:7]
	s_cbranch_vccnz .LBB193_1963
; %bb.1954:
	v_cvt_f32_f64_e32 v2, v[0:1]
	v_and_b32_e32 v5, 0x7fffffff, v2
	s_mov_b32 s6, 0x47800000
	v_cmp_gt_u32_e32 vcc, s6, v5
                                        ; implicit-def: $vgpr3
	s_and_saveexec_b64 s[6:7], vcc
	s_xor_b64 s[6:7], exec, s[6:7]
	s_cbranch_execz .LBB193_1960
; %bb.1955:
	s_mov_b32 s8, 0x387fffff
	v_cmp_lt_u32_e32 vcc, s8, v5
                                        ; implicit-def: $vgpr3
	s_and_saveexec_b64 s[8:9], vcc
	s_xor_b64 s[8:9], exec, s[8:9]
; %bb.1956:
	v_bfe_u32 v3, v2, 21, 1
	s_mov_b32 s10, 0x80fffff
	v_add3_u32 v3, v2, v3, s10
	v_lshrrev_b32_e32 v3, 21, v3
; %bb.1957:
	s_andn2_saveexec_b64 s[8:9], s[8:9]
; %bb.1958:
	s_mov_b32 s10, 0x43000000
	v_add_f32_e64 v3, |v2|, s10
; %bb.1959:
	s_or_b64 exec, exec, s[8:9]
                                        ; implicit-def: $vgpr5
.LBB193_1960:
	s_andn2_saveexec_b64 s[6:7], s[6:7]
; %bb.1961:
	s_mov_b32 s8, 0x7f800000
	v_mov_b32_e32 v3, 0x7c
	v_mov_b32_e32 v8, 0x7f
	v_cmp_lt_u32_e32 vcc, s8, v5
	s_nop 1
	v_cndmask_b32_e32 v3, v3, v8, vcc
; %bb.1962:
	s_or_b64 exec, exec, s[6:7]
	v_lshrrev_b32_e32 v2, 24, v2
	s_movk_i32 s6, 0x80
	v_and_or_b32 v2, v2, s6, v3
	global_store_byte v[6:7], v2, off
.LBB193_1963:
	s_mov_b64 s[6:7], 0
	s_mov_b64 s[8:9], -1
.LBB193_1964:
	s_andn2_b64 vcc, exec, s[6:7]
	s_mov_b64 s[6:7], 0
	s_cbranch_vccnz .LBB193_1971
; %bb.1965:
	s_cmp_gt_i32 s15, 14
	s_mov_b64 s[10:11], -1
	s_cbranch_scc0 .LBB193_1969
; %bb.1966:
	s_cmp_eq_u32 s15, 15
	s_mov_b64 s[0:1], -1
	s_cbranch_scc0 .LBB193_1968
; %bb.1967:
	v_cvt_f32_f64_e32 v2, v[0:1]
	v_bfe_u32 v3, v2, 16, 1
	s_movk_i32 s0, 0x7fff
	v_add3_u32 v3, v2, v3, s0
	v_cmp_o_f32_e32 vcc, v2, v2
	v_mov_b32_e32 v2, 0x7fc0
	s_mov_b64 s[0:1], 0
	v_cndmask_b32_sdwa v2, v2, v3, vcc dst_sel:DWORD dst_unused:UNUSED_PAD src0_sel:DWORD src1_sel:WORD_1
	global_store_short v[6:7], v2, off
	s_mov_b64 s[8:9], -1
.LBB193_1968:
	s_mov_b64 s[10:11], 0
.LBB193_1969:
	s_and_b64 vcc, exec, s[10:11]
	s_cbranch_vccz .LBB193_1971
; %bb.1970:
	s_cmp_lg_u32 s15, 11
	s_mov_b64 s[6:7], -1
	s_cselect_b64 s[0:1], -1, 0
.LBB193_1971:
	s_and_b64 vcc, exec, s[0:1]
	s_cbranch_vccnz .LBB193_2151
; %bb.1972:
	s_andn2_b64 vcc, exec, s[6:7]
	s_cbranch_vccnz .LBB193_1974
.LBB193_1973:
	v_cmp_neq_f64_e32 vcc, 0, v[0:1]
	s_mov_b64 s[8:9], -1
	s_nop 0
	v_cndmask_b32_e64 v2, 0, 1, vcc
	global_store_byte v[6:7], v2, off
.LBB193_1974:
	s_mov_b64 s[0:1], 0
	s_branch .LBB193_1976
.LBB193_1975:
	s_mov_b64 s[0:1], -1
	s_mov_b64 s[8:9], 0
.LBB193_1976:
	s_and_b64 vcc, exec, s[0:1]
	s_cbranch_vccz .LBB193_2015
; %bb.1977:
	s_and_b32 s6, 0xffff, s14
	s_cmp_lt_i32 s6, 5
	s_mov_b64 s[0:1], -1
	s_cbranch_scc1 .LBB193_1998
; %bb.1978:
	s_cmp_lt_i32 s6, 8
	s_cbranch_scc1 .LBB193_1988
; %bb.1979:
	s_cmp_lt_i32 s6, 9
	s_cbranch_scc1 .LBB193_1985
; %bb.1980:
	s_cmp_gt_i32 s6, 9
	s_cbranch_scc0 .LBB193_1982
; %bb.1981:
	v_mov_b32_e32 v2, 0
	v_mov_b32_e32 v3, v2
	global_store_dwordx4 v[6:7], v[0:3], off
	s_mov_b64 s[0:1], 0
.LBB193_1982:
	s_andn2_b64 vcc, exec, s[0:1]
	s_cbranch_vccnz .LBB193_1984
; %bb.1983:
	v_cvt_f32_f64_e32 v2, v[0:1]
	v_mov_b32_e32 v3, 0
	global_store_dwordx2 v[6:7], v[2:3], off
.LBB193_1984:
	s_mov_b64 s[0:1], 0
.LBB193_1985:
	s_andn2_b64 vcc, exec, s[0:1]
	s_cbranch_vccnz .LBB193_1987
; %bb.1986:
	s_movk_i32 s0, 0x1ff
	v_and_or_b32 v2, v1, s0, v0
	v_cmp_ne_u32_e32 vcc, 0, v2
	v_lshrrev_b32_e32 v3, 8, v1
	s_movk_i32 s0, 0xffe
	v_cndmask_b32_e64 v2, 0, 1, vcc
	v_bfe_u32 v5, v1, 20, 11
	v_and_or_b32 v2, v3, s0, v2
	v_sub_u32_e32 v8, 0x3f1, v5
	v_or_b32_e32 v3, 0x1000, v2
	v_med3_i32 v8, v8, 0, 13
	v_lshrrev_b32_e32 v9, v8, v3
	v_lshlrev_b32_e32 v8, v8, v9
	v_cmp_ne_u32_e32 vcc, v8, v3
	v_add_u32_e32 v5, 0xfffffc10, v5
	v_lshl_or_b32 v8, v5, 12, v2
	v_cndmask_b32_e64 v3, 0, 1, vcc
	v_or_b32_e32 v3, v9, v3
	v_cmp_gt_i32_e32 vcc, 1, v5
	s_movk_i32 s0, 0x40f
	s_nop 0
	v_cndmask_b32_e32 v3, v8, v3, vcc
	v_and_b32_e32 v8, 7, v3
	v_cmp_lt_i32_e32 vcc, 5, v8
	v_lshrrev_b32_e32 v3, 2, v3
	s_nop 0
	v_cndmask_b32_e64 v9, 0, 1, vcc
	v_cmp_eq_u32_e32 vcc, 3, v8
	s_nop 1
	v_cndmask_b32_e64 v8, 0, 1, vcc
	v_or_b32_e32 v8, v8, v9
	v_add_u32_e32 v3, v3, v8
	v_mov_b32_e32 v8, 0x7c00
	v_cmp_gt_i32_e32 vcc, 31, v5
	v_mov_b32_e32 v9, 0x7e00
	s_nop 0
	v_cndmask_b32_e32 v3, v8, v3, vcc
	v_cmp_ne_u32_e32 vcc, 0, v2
	s_nop 1
	v_cndmask_b32_e32 v2, v8, v9, vcc
	v_cmp_eq_u32_e32 vcc, s0, v5
	s_mov_b32 s0, 0x8000
	s_nop 0
	v_cndmask_b32_e32 v2, v3, v2, vcc
	v_and_b32_sdwa v3, v1, s0 dst_sel:DWORD dst_unused:UNUSED_PAD src0_sel:WORD_1 src1_sel:DWORD
	s_mov_b32 s0, 0xffff
	v_bitop3_b32 v2, v3, s0, v2 bitop3:0xc8
	global_store_dword v[6:7], v2, off
.LBB193_1987:
	s_mov_b64 s[0:1], 0
.LBB193_1988:
	s_andn2_b64 vcc, exec, s[0:1]
	s_cbranch_vccnz .LBB193_1997
; %bb.1989:
	s_cmp_lt_i32 s6, 6
	s_mov_b64 s[0:1], -1
	s_cbranch_scc1 .LBB193_1995
; %bb.1990:
	s_cmp_gt_i32 s6, 6
	s_cbranch_scc0 .LBB193_1992
; %bb.1991:
	global_store_dwordx2 v[6:7], v[0:1], off
	s_mov_b64 s[0:1], 0
.LBB193_1992:
	s_andn2_b64 vcc, exec, s[0:1]
	s_cbranch_vccnz .LBB193_1994
; %bb.1993:
	v_cvt_f32_f64_e32 v2, v[0:1]
	global_store_dword v[6:7], v2, off
.LBB193_1994:
	s_mov_b64 s[0:1], 0
.LBB193_1995:
	s_andn2_b64 vcc, exec, s[0:1]
	s_cbranch_vccnz .LBB193_1997
; %bb.1996:
	s_movk_i32 s0, 0x1ff
	v_and_or_b32 v2, v1, s0, v0
	v_cmp_ne_u32_e32 vcc, 0, v2
	v_lshrrev_b32_e32 v3, 8, v1
	s_movk_i32 s0, 0xffe
	v_cndmask_b32_e64 v2, 0, 1, vcc
	v_bfe_u32 v5, v1, 20, 11
	v_and_or_b32 v2, v3, s0, v2
	v_sub_u32_e32 v8, 0x3f1, v5
	v_or_b32_e32 v3, 0x1000, v2
	v_med3_i32 v8, v8, 0, 13
	v_lshrrev_b32_e32 v9, v8, v3
	v_lshlrev_b32_e32 v8, v8, v9
	v_cmp_ne_u32_e32 vcc, v8, v3
	v_add_u32_e32 v5, 0xfffffc10, v5
	v_lshl_or_b32 v8, v5, 12, v2
	v_cndmask_b32_e64 v3, 0, 1, vcc
	v_or_b32_e32 v3, v9, v3
	v_cmp_gt_i32_e32 vcc, 1, v5
	s_movk_i32 s0, 0x40f
	s_nop 0
	v_cndmask_b32_e32 v3, v8, v3, vcc
	v_and_b32_e32 v8, 7, v3
	v_cmp_lt_i32_e32 vcc, 5, v8
	v_lshrrev_b32_e32 v3, 2, v3
	s_nop 0
	v_cndmask_b32_e64 v9, 0, 1, vcc
	v_cmp_eq_u32_e32 vcc, 3, v8
	s_nop 1
	v_cndmask_b32_e64 v8, 0, 1, vcc
	v_or_b32_e32 v8, v8, v9
	v_add_u32_e32 v3, v3, v8
	v_mov_b32_e32 v8, 0x7c00
	v_cmp_gt_i32_e32 vcc, 31, v5
	v_mov_b32_e32 v9, 0x7e00
	s_nop 0
	v_cndmask_b32_e32 v3, v8, v3, vcc
	v_cmp_ne_u32_e32 vcc, 0, v2
	s_nop 1
	v_cndmask_b32_e32 v2, v8, v9, vcc
	v_cmp_eq_u32_e32 vcc, s0, v5
	s_mov_b32 s0, 0x8000
	s_nop 0
	v_cndmask_b32_e32 v2, v3, v2, vcc
	v_lshrrev_b32_e32 v3, 16, v1
	v_and_or_b32 v2, v3, s0, v2
	global_store_short v[6:7], v2, off
.LBB193_1997:
	s_mov_b64 s[0:1], 0
.LBB193_1998:
	s_andn2_b64 vcc, exec, s[0:1]
	s_cbranch_vccnz .LBB193_2014
; %bb.1999:
	s_cmp_lt_i32 s6, 2
	s_mov_b64 s[0:1], -1
	s_cbranch_scc1 .LBB193_2009
; %bb.2000:
	s_cmp_lt_i32 s6, 3
	s_cbranch_scc1 .LBB193_2006
; %bb.2001:
	s_cmp_gt_i32 s6, 3
	s_cbranch_scc0 .LBB193_2003
; %bb.2002:
	v_trunc_f64_e32 v[2:3], v[0:1]
	s_movk_i32 s0, 0xffe0
	v_ldexp_f64 v[8:9], v[2:3], s0
	v_floor_f64_e32 v[8:9], v[8:9]
	v_fmac_f64_e32 v[2:3], 0xc1f00000, v[8:9]
	v_cvt_i32_f64_e32 v13, v[8:9]
	v_cvt_u32_f64_e32 v12, v[2:3]
	global_store_dwordx2 v[6:7], v[12:13], off
	s_mov_b64 s[0:1], 0
.LBB193_2003:
	s_andn2_b64 vcc, exec, s[0:1]
	s_cbranch_vccnz .LBB193_2005
; %bb.2004:
	v_cvt_i32_f64_e32 v2, v[0:1]
	global_store_dword v[6:7], v2, off
.LBB193_2005:
	s_mov_b64 s[0:1], 0
.LBB193_2006:
	s_andn2_b64 vcc, exec, s[0:1]
	s_cbranch_vccnz .LBB193_2008
; %bb.2007:
	v_cvt_i32_f64_e32 v2, v[0:1]
	global_store_short v[6:7], v2, off
.LBB193_2008:
	s_mov_b64 s[0:1], 0
.LBB193_2009:
	s_andn2_b64 vcc, exec, s[0:1]
	s_cbranch_vccnz .LBB193_2014
; %bb.2010:
	s_cmp_gt_i32 s6, 0
	s_mov_b64 s[0:1], -1
	s_cbranch_scc0 .LBB193_2012
; %bb.2011:
	v_cvt_i32_f64_e32 v2, v[0:1]
	global_store_byte v[6:7], v2, off
	s_mov_b64 s[0:1], 0
.LBB193_2012:
	s_andn2_b64 vcc, exec, s[0:1]
	s_cbranch_vccnz .LBB193_2014
; %bb.2013:
	v_trunc_f64_e32 v[0:1], v[0:1]
	s_movk_i32 s0, 0xffe0
	v_ldexp_f64 v[2:3], v[0:1], s0
	v_floor_f64_e32 v[2:3], v[2:3]
	v_fmac_f64_e32 v[0:1], 0xc1f00000, v[2:3]
	v_cvt_u32_f64_e32 v0, v[0:1]
	global_store_byte v[6:7], v0, off
.LBB193_2014:
	s_mov_b64 s[8:9], -1
.LBB193_2015:
	s_andn2_b64 vcc, exec, s[8:9]
	s_cbranch_vccnz .LBB193_2092
; %bb.2016:
	v_rsq_f64_e32 v[0:1], v[10:11]
	s_mov_b32 s0, 0
	s_mov_b32 s1, 0x3fd80000
	v_mov_b32_e32 v5, 0x180
	v_mul_f64 v[2:3], v[0:1], -v[10:11]
	v_fma_f64 v[2:3], v[2:3], v[0:1], 1.0
	v_mul_f64 v[6:7], v[0:1], v[2:3]
	v_fma_f64 v[2:3], v[2:3], s[0:1], 0.5
	v_fma_f64 v[2:3], v[6:7], v[2:3], v[0:1]
	v_cmp_class_f64_e32 vcc, v[0:1], v5
	v_mov_b32_e32 v5, 0
	s_cmp_lt_i32 s14, 11
	v_cndmask_b32_e32 v1, v1, v3, vcc
	v_cndmask_b32_e32 v0, v0, v2, vcc
	v_lshl_add_u64 v[4:5], s[4:5], 0, v[4:5]
	s_cbranch_scc1 .LBB193_2137
; %bb.2017:
	s_and_b32 s12, 0xffff, s14
	s_mov_b64 s[6:7], -1
	s_mov_b64 s[4:5], 0
	s_cmp_gt_i32 s12, 25
	s_mov_b64 s[0:1], 0
	s_cbranch_scc0 .LBB193_2050
; %bb.2018:
	s_cmp_gt_i32 s12, 28
	s_cbranch_scc0 .LBB193_2034
; %bb.2019:
	s_cmp_gt_i32 s12, 43
	;; [unrolled: 3-line block ×3, first 2 shown]
	s_cbranch_scc0 .LBB193_2024
; %bb.2021:
	s_cmp_eq_u32 s12, 46
	s_mov_b64 s[0:1], -1
	s_cbranch_scc0 .LBB193_2023
; %bb.2022:
	v_cvt_f32_f64_e32 v2, v[0:1]
	v_bfe_u32 v3, v2, 16, 1
	s_movk_i32 s0, 0x7fff
	v_add3_u32 v3, v2, v3, s0
	v_cmp_o_f32_e32 vcc, v2, v2
	v_mov_b32_e32 v2, 0x7fc0
	s_mov_b64 s[0:1], 0
	v_cndmask_b32_sdwa v2, v2, v3, vcc dst_sel:DWORD dst_unused:UNUSED_PAD src0_sel:DWORD src1_sel:WORD_1
	global_store_dword v[4:5], v2, off
.LBB193_2023:
	s_mov_b64 s[6:7], 0
.LBB193_2024:
	s_and_b64 vcc, exec, s[6:7]
	s_cbranch_vccz .LBB193_2029
; %bb.2025:
	s_cmp_eq_u32 s12, 44
	s_mov_b64 s[0:1], -1
	s_cbranch_scc0 .LBB193_2029
; %bb.2026:
	v_cvt_f32_f64_e32 v2, v[0:1]
	v_bfe_u32 v3, v2, 23, 8
	s_movk_i32 s0, 0xff
	v_cmp_ne_u32_e32 vcc, s0, v3
	v_mov_b32_e32 v6, 0xff
	s_and_saveexec_b64 s[6:7], vcc
; %bb.2027:
	s_mov_b32 s0, 0x3fffff
	v_lshrrev_b32_e32 v6, 23, v2
	v_and_b32_e32 v7, 0x400000, v2
	v_and_or_b32 v2, v2, s0, v3
	v_cmp_ne_u32_e32 vcc, 0, v7
	v_cmp_ne_u32_e64 s[0:1], 0, v2
	s_and_b64 s[0:1], vcc, s[0:1]
	s_nop 0
	v_cndmask_b32_e64 v2, 0, 1, s[0:1]
	v_add_u32_e32 v6, v6, v2
; %bb.2028:
	s_or_b64 exec, exec, s[6:7]
	s_mov_b64 s[0:1], 0
	global_store_byte v[4:5], v6, off
.LBB193_2029:
	s_mov_b64 s[6:7], 0
.LBB193_2030:
	s_and_b64 vcc, exec, s[6:7]
	s_cbranch_vccz .LBB193_2033
; %bb.2031:
	s_cmp_eq_u32 s12, 29
	s_mov_b64 s[0:1], -1
	s_cbranch_scc0 .LBB193_2033
; %bb.2032:
	v_trunc_f64_e32 v[2:3], v[0:1]
	s_movk_i32 s0, 0xffe0
	v_ldexp_f64 v[6:7], v[2:3], s0
	v_floor_f64_e32 v[6:7], v[6:7]
	v_fmac_f64_e32 v[2:3], 0xc1f00000, v[6:7]
	v_cvt_u32_f64_e32 v9, v[6:7]
	v_cvt_u32_f64_e32 v8, v[2:3]
	global_store_dwordx2 v[4:5], v[8:9], off
	s_mov_b64 s[0:1], 0
.LBB193_2033:
	s_mov_b64 s[6:7], 0
.LBB193_2034:
	s_and_b64 vcc, exec, s[6:7]
	s_cbranch_vccz .LBB193_2049
; %bb.2035:
	s_cmp_lt_i32 s12, 27
	s_mov_b64 s[6:7], -1
	s_cbranch_scc1 .LBB193_2041
; %bb.2036:
	s_cmp_gt_i32 s12, 27
	s_cbranch_scc0 .LBB193_2038
; %bb.2037:
	v_cvt_u32_f64_e32 v2, v[0:1]
	global_store_dword v[4:5], v2, off
	s_mov_b64 s[6:7], 0
.LBB193_2038:
	s_andn2_b64 vcc, exec, s[6:7]
	s_cbranch_vccnz .LBB193_2040
; %bb.2039:
	v_cvt_u32_f64_e32 v2, v[0:1]
	global_store_short v[4:5], v2, off
.LBB193_2040:
	s_mov_b64 s[6:7], 0
.LBB193_2041:
	s_andn2_b64 vcc, exec, s[6:7]
	s_cbranch_vccnz .LBB193_2049
; %bb.2042:
	v_cvt_f32_f64_e32 v2, v[0:1]
	v_and_b32_e32 v3, 0x7fffffff, v2
	s_mov_b32 s6, 0x43800000
	v_cmp_gt_u32_e32 vcc, s6, v3
	v_mov_b32_e32 v6, 0x80
	s_and_saveexec_b64 s[6:7], vcc
	s_cbranch_execz .LBB193_2048
; %bb.2043:
	s_mov_b32 s8, 0x3bffffff
	v_cmp_lt_u32_e32 vcc, s8, v3
	s_mov_b64 s[8:9], 0
                                        ; implicit-def: $vgpr3
	s_and_saveexec_b64 s[10:11], vcc
	s_xor_b64 s[10:11], exec, s[10:11]
	s_cbranch_execz .LBB193_2154
; %bb.2044:
	v_bfe_u32 v3, v2, 20, 1
	s_mov_b32 s13, 0x487ffff
	v_add3_u32 v3, v2, v3, s13
	s_mov_b64 s[8:9], exec
	v_lshrrev_b32_e32 v3, 20, v3
	s_andn2_saveexec_b64 s[10:11], s[10:11]
	s_cbranch_execnz .LBB193_2155
.LBB193_2045:
	s_or_b64 exec, exec, s[10:11]
	v_mov_b32_e32 v6, 0
	s_and_saveexec_b64 s[10:11], s[8:9]
.LBB193_2046:
	v_lshrrev_b32_e32 v2, 24, v2
	s_movk_i32 s8, 0x80
	v_and_or_b32 v6, v2, s8, v3
.LBB193_2047:
	s_or_b64 exec, exec, s[10:11]
.LBB193_2048:
	s_or_b64 exec, exec, s[6:7]
	global_store_byte v[4:5], v6, off
.LBB193_2049:
	s_mov_b64 s[6:7], 0
.LBB193_2050:
	s_and_b64 vcc, exec, s[6:7]
	s_cbranch_vccz .LBB193_2090
; %bb.2051:
	s_cmp_gt_i32 s12, 22
	s_mov_b64 s[4:5], -1
	s_cbranch_scc0 .LBB193_2083
; %bb.2052:
	s_cmp_lt_i32 s12, 24
	s_cbranch_scc1 .LBB193_2072
; %bb.2053:
	s_cmp_gt_i32 s12, 24
	s_cbranch_scc0 .LBB193_2061
; %bb.2054:
	v_cvt_f32_f64_e32 v2, v[0:1]
	v_and_b32_e32 v3, 0x7fffffff, v2
	s_mov_b32 s4, 0x47800000
	v_cmp_gt_u32_e32 vcc, s4, v3
	v_mov_b32_e32 v6, 0x80
	s_and_saveexec_b64 s[4:5], vcc
	s_cbranch_execz .LBB193_2060
; %bb.2055:
	s_mov_b32 s6, 0x37ffffff
	v_cmp_lt_u32_e32 vcc, s6, v3
	s_mov_b64 s[6:7], 0
                                        ; implicit-def: $vgpr3
	s_and_saveexec_b64 s[8:9], vcc
	s_xor_b64 s[8:9], exec, s[8:9]
	s_cbranch_execz .LBB193_2157
; %bb.2056:
	v_bfe_u32 v3, v2, 21, 1
	s_mov_b32 s10, 0x88fffff
	v_add3_u32 v3, v2, v3, s10
	s_mov_b64 s[6:7], exec
	v_lshrrev_b32_e32 v3, 21, v3
	s_andn2_saveexec_b64 s[8:9], s[8:9]
	s_cbranch_execnz .LBB193_2158
.LBB193_2057:
	s_or_b64 exec, exec, s[8:9]
	v_mov_b32_e32 v6, 0
	s_and_saveexec_b64 s[8:9], s[6:7]
.LBB193_2058:
	v_lshrrev_b32_e32 v2, 24, v2
	s_movk_i32 s6, 0x80
	v_and_or_b32 v6, v2, s6, v3
.LBB193_2059:
	s_or_b64 exec, exec, s[8:9]
.LBB193_2060:
	s_or_b64 exec, exec, s[4:5]
	s_mov_b64 s[4:5], 0
	global_store_byte v[4:5], v6, off
.LBB193_2061:
	s_and_b64 vcc, exec, s[4:5]
	s_cbranch_vccz .LBB193_2071
; %bb.2062:
	v_cvt_f32_f64_e32 v2, v[0:1]
	v_and_b32_e32 v6, 0x7fffffff, v2
	s_mov_b32 s4, 0x43f00000
	v_cmp_gt_u32_e32 vcc, s4, v6
                                        ; implicit-def: $vgpr3
	s_and_saveexec_b64 s[4:5], vcc
	s_xor_b64 s[4:5], exec, s[4:5]
	s_cbranch_execz .LBB193_2068
; %bb.2063:
	s_mov_b32 s6, 0x3c7fffff
	v_cmp_lt_u32_e32 vcc, s6, v6
                                        ; implicit-def: $vgpr3
	s_and_saveexec_b64 s[6:7], vcc
	s_xor_b64 s[6:7], exec, s[6:7]
; %bb.2064:
	v_bfe_u32 v3, v2, 20, 1
	s_mov_b32 s8, 0x407ffff
	v_add3_u32 v3, v2, v3, s8
	v_lshrrev_b32_e32 v6, 20, v3
	v_and_b32_e32 v3, 0xff00000, v3
	s_mov_b32 s8, 0x7f00000
	v_mov_b32_e32 v7, 0x7e
	v_cmp_ne_u32_e32 vcc, s8, v3
	s_nop 1
	v_cndmask_b32_e32 v3, v7, v6, vcc
; %bb.2065:
	s_andn2_saveexec_b64 s[6:7], s[6:7]
; %bb.2066:
	s_mov_b32 s8, 0x46800000
	v_add_f32_e64 v3, |v2|, s8
; %bb.2067:
	s_or_b64 exec, exec, s[6:7]
                                        ; implicit-def: $vgpr6
.LBB193_2068:
	s_andn2_saveexec_b64 s[4:5], s[4:5]
; %bb.2069:
	s_mov_b32 s6, 0x7f800000
	v_mov_b32_e32 v3, 0x7e
	v_mov_b32_e32 v7, 0x7f
	v_cmp_lt_u32_e32 vcc, s6, v6
	s_nop 1
	v_cndmask_b32_e32 v3, v3, v7, vcc
; %bb.2070:
	s_or_b64 exec, exec, s[4:5]
	v_lshrrev_b32_e32 v2, 24, v2
	s_movk_i32 s4, 0x80
	v_and_or_b32 v2, v2, s4, v3
	global_store_byte v[4:5], v2, off
.LBB193_2071:
	s_mov_b64 s[4:5], 0
.LBB193_2072:
	s_andn2_b64 vcc, exec, s[4:5]
	s_cbranch_vccnz .LBB193_2082
; %bb.2073:
	v_cvt_f32_f64_e32 v2, v[0:1]
	v_and_b32_e32 v6, 0x7fffffff, v2
	s_mov_b32 s4, 0x47800000
	v_cmp_gt_u32_e32 vcc, s4, v6
                                        ; implicit-def: $vgpr3
	s_and_saveexec_b64 s[4:5], vcc
	s_xor_b64 s[4:5], exec, s[4:5]
	s_cbranch_execz .LBB193_2079
; %bb.2074:
	s_mov_b32 s6, 0x387fffff
	v_cmp_lt_u32_e32 vcc, s6, v6
                                        ; implicit-def: $vgpr3
	s_and_saveexec_b64 s[6:7], vcc
	s_xor_b64 s[6:7], exec, s[6:7]
; %bb.2075:
	v_bfe_u32 v3, v2, 21, 1
	s_mov_b32 s8, 0x80fffff
	v_add3_u32 v3, v2, v3, s8
	v_lshrrev_b32_e32 v3, 21, v3
; %bb.2076:
	s_andn2_saveexec_b64 s[6:7], s[6:7]
; %bb.2077:
	s_mov_b32 s8, 0x43000000
	v_add_f32_e64 v3, |v2|, s8
; %bb.2078:
	s_or_b64 exec, exec, s[6:7]
                                        ; implicit-def: $vgpr6
.LBB193_2079:
	s_andn2_saveexec_b64 s[4:5], s[4:5]
; %bb.2080:
	s_mov_b32 s6, 0x7f800000
	v_mov_b32_e32 v3, 0x7c
	v_mov_b32_e32 v7, 0x7f
	v_cmp_lt_u32_e32 vcc, s6, v6
	s_nop 1
	v_cndmask_b32_e32 v3, v3, v7, vcc
; %bb.2081:
	s_or_b64 exec, exec, s[4:5]
	v_lshrrev_b32_e32 v2, 24, v2
	s_movk_i32 s4, 0x80
	v_and_or_b32 v2, v2, s4, v3
	global_store_byte v[4:5], v2, off
.LBB193_2082:
	s_mov_b64 s[4:5], 0
.LBB193_2083:
	s_andn2_b64 vcc, exec, s[4:5]
	s_mov_b64 s[4:5], 0
	s_cbranch_vccnz .LBB193_2090
; %bb.2084:
	s_cmp_gt_i32 s12, 14
	s_mov_b64 s[6:7], -1
	s_cbranch_scc0 .LBB193_2088
; %bb.2085:
	s_cmp_eq_u32 s12, 15
	s_mov_b64 s[0:1], -1
	s_cbranch_scc0 .LBB193_2087
; %bb.2086:
	v_cvt_f32_f64_e32 v2, v[0:1]
	v_bfe_u32 v3, v2, 16, 1
	s_movk_i32 s0, 0x7fff
	v_add3_u32 v3, v2, v3, s0
	v_cmp_o_f32_e32 vcc, v2, v2
	v_mov_b32_e32 v2, 0x7fc0
	s_mov_b64 s[0:1], 0
	v_cndmask_b32_sdwa v2, v2, v3, vcc dst_sel:DWORD dst_unused:UNUSED_PAD src0_sel:DWORD src1_sel:WORD_1
	global_store_short v[4:5], v2, off
.LBB193_2087:
	s_mov_b64 s[6:7], 0
.LBB193_2088:
	s_and_b64 vcc, exec, s[6:7]
	s_cbranch_vccz .LBB193_2090
; %bb.2089:
	s_cmp_lg_u32 s12, 11
	s_mov_b64 s[4:5], -1
	s_cselect_b64 s[0:1], -1, 0
.LBB193_2090:
	s_and_b64 vcc, exec, s[0:1]
	s_cbranch_vccnz .LBB193_2156
.LBB193_2091:
	s_mov_b64 s[0:1], 0
	s_branch .LBB193_2093
.LBB193_2092:
	s_mov_b64 s[0:1], 0
	s_mov_b64 s[4:5], 0
                                        ; implicit-def: $vgpr4_vgpr5
                                        ; implicit-def: $sgpr14
                                        ; implicit-def: $vgpr0_vgpr1
.LBB193_2093:
	s_and_b64 s[6:7], s[0:1], exec
	s_andn2_b64 s[0:1], s[24:25], exec
	s_and_b64 s[2:3], s[2:3], exec
	s_and_b64 s[40:41], s[4:5], exec
	s_or_b64 s[24:25], s[0:1], s[2:3]
.LBB193_2094:
	s_or_b64 exec, exec, s[26:27]
	s_and_saveexec_b64 s[0:1], s[24:25]
	s_cbranch_execz .LBB193_2097
; %bb.2095:
	; divergent unreachable
	s_or_b64 exec, exec, s[0:1]
	s_and_saveexec_b64 s[0:1], s[40:41]
	s_xor_b64 s[0:1], exec, s[0:1]
	s_cbranch_execnz .LBB193_2098
.LBB193_2096:
	s_or_b64 exec, exec, s[0:1]
	s_and_saveexec_b64 s[0:1], s[6:7]
	s_cbranch_execnz .LBB193_2099
	s_branch .LBB193_2136
.LBB193_2097:
	s_or_b64 exec, exec, s[0:1]
	s_and_saveexec_b64 s[0:1], s[40:41]
	s_xor_b64 s[0:1], exec, s[0:1]
	s_cbranch_execz .LBB193_2096
.LBB193_2098:
	s_waitcnt vmcnt(0)
	v_cmp_neq_f64_e32 vcc, 0, v[0:1]
	s_nop 1
	v_cndmask_b32_e64 v2, 0, 1, vcc
	global_store_byte v[4:5], v2, off
	s_or_b64 exec, exec, s[0:1]
	s_and_saveexec_b64 s[0:1], s[6:7]
	s_cbranch_execz .LBB193_2136
.LBB193_2099:
	s_sext_i32_i16 s2, s14
	s_cmp_lt_i32 s2, 5
	s_mov_b64 s[0:1], -1
	s_cbranch_scc1 .LBB193_2120
; %bb.2100:
	s_cmp_lt_i32 s2, 8
	s_cbranch_scc1 .LBB193_2110
; %bb.2101:
	s_cmp_lt_i32 s2, 9
	s_cbranch_scc1 .LBB193_2107
; %bb.2102:
	s_cmp_gt_i32 s2, 9
	s_cbranch_scc0 .LBB193_2104
; %bb.2103:
	v_mov_b32_e32 v2, 0
	v_mov_b32_e32 v3, v2
	s_waitcnt vmcnt(0)
	global_store_dwordx4 v[4:5], v[0:3], off
	s_mov_b64 s[0:1], 0
.LBB193_2104:
	s_andn2_b64 vcc, exec, s[0:1]
	s_cbranch_vccnz .LBB193_2106
; %bb.2105:
	s_waitcnt vmcnt(0)
	v_cvt_f32_f64_e32 v2, v[0:1]
	v_mov_b32_e32 v3, 0
	global_store_dwordx2 v[4:5], v[2:3], off
.LBB193_2106:
	s_mov_b64 s[0:1], 0
.LBB193_2107:
	s_andn2_b64 vcc, exec, s[0:1]
	s_cbranch_vccnz .LBB193_2109
; %bb.2108:
	s_movk_i32 s0, 0x1ff
	s_waitcnt vmcnt(0)
	v_and_or_b32 v2, v1, s0, v0
	v_cmp_ne_u32_e32 vcc, 0, v2
	v_lshrrev_b32_e32 v3, 8, v1
	s_movk_i32 s0, 0xffe
	v_cndmask_b32_e64 v2, 0, 1, vcc
	v_bfe_u32 v6, v1, 20, 11
	v_and_or_b32 v2, v3, s0, v2
	v_sub_u32_e32 v7, 0x3f1, v6
	v_or_b32_e32 v3, 0x1000, v2
	v_med3_i32 v7, v7, 0, 13
	v_lshrrev_b32_e32 v8, v7, v3
	v_lshlrev_b32_e32 v7, v7, v8
	v_cmp_ne_u32_e32 vcc, v7, v3
	v_add_u32_e32 v6, 0xfffffc10, v6
	v_lshl_or_b32 v7, v6, 12, v2
	v_cndmask_b32_e64 v3, 0, 1, vcc
	v_or_b32_e32 v3, v8, v3
	v_cmp_gt_i32_e32 vcc, 1, v6
	s_movk_i32 s0, 0x40f
	s_nop 0
	v_cndmask_b32_e32 v3, v7, v3, vcc
	v_and_b32_e32 v7, 7, v3
	v_cmp_lt_i32_e32 vcc, 5, v7
	v_lshrrev_b32_e32 v3, 2, v3
	s_nop 0
	v_cndmask_b32_e64 v8, 0, 1, vcc
	v_cmp_eq_u32_e32 vcc, 3, v7
	s_nop 1
	v_cndmask_b32_e64 v7, 0, 1, vcc
	v_or_b32_e32 v7, v7, v8
	v_add_u32_e32 v3, v3, v7
	v_mov_b32_e32 v7, 0x7c00
	v_cmp_gt_i32_e32 vcc, 31, v6
	v_mov_b32_e32 v8, 0x7e00
	s_nop 0
	v_cndmask_b32_e32 v3, v7, v3, vcc
	v_cmp_ne_u32_e32 vcc, 0, v2
	s_nop 1
	v_cndmask_b32_e32 v2, v7, v8, vcc
	v_cmp_eq_u32_e32 vcc, s0, v6
	s_mov_b32 s0, 0x8000
	s_nop 0
	v_cndmask_b32_e32 v2, v3, v2, vcc
	v_and_b32_sdwa v3, v1, s0 dst_sel:DWORD dst_unused:UNUSED_PAD src0_sel:WORD_1 src1_sel:DWORD
	s_mov_b32 s0, 0xffff
	v_bitop3_b32 v2, v3, s0, v2 bitop3:0xc8
	global_store_dword v[4:5], v2, off
.LBB193_2109:
	s_mov_b64 s[0:1], 0
.LBB193_2110:
	s_andn2_b64 vcc, exec, s[0:1]
	s_cbranch_vccnz .LBB193_2119
; %bb.2111:
	s_sext_i32_i16 s2, s14
	s_cmp_lt_i32 s2, 6
	s_mov_b64 s[0:1], -1
	s_cbranch_scc1 .LBB193_2117
; %bb.2112:
	s_cmp_gt_i32 s2, 6
	s_cbranch_scc0 .LBB193_2114
; %bb.2113:
	s_waitcnt vmcnt(0)
	global_store_dwordx2 v[4:5], v[0:1], off
	s_mov_b64 s[0:1], 0
.LBB193_2114:
	s_andn2_b64 vcc, exec, s[0:1]
	s_cbranch_vccnz .LBB193_2116
; %bb.2115:
	s_waitcnt vmcnt(0)
	v_cvt_f32_f64_e32 v2, v[0:1]
	global_store_dword v[4:5], v2, off
.LBB193_2116:
	s_mov_b64 s[0:1], 0
.LBB193_2117:
	s_andn2_b64 vcc, exec, s[0:1]
	s_cbranch_vccnz .LBB193_2119
; %bb.2118:
	s_movk_i32 s0, 0x1ff
	s_waitcnt vmcnt(0)
	v_and_or_b32 v2, v1, s0, v0
	v_cmp_ne_u32_e32 vcc, 0, v2
	v_lshrrev_b32_e32 v3, 8, v1
	s_movk_i32 s0, 0xffe
	v_cndmask_b32_e64 v2, 0, 1, vcc
	v_bfe_u32 v6, v1, 20, 11
	v_and_or_b32 v2, v3, s0, v2
	v_sub_u32_e32 v7, 0x3f1, v6
	v_or_b32_e32 v3, 0x1000, v2
	v_med3_i32 v7, v7, 0, 13
	v_lshrrev_b32_e32 v8, v7, v3
	v_lshlrev_b32_e32 v7, v7, v8
	v_cmp_ne_u32_e32 vcc, v7, v3
	v_add_u32_e32 v6, 0xfffffc10, v6
	v_lshl_or_b32 v7, v6, 12, v2
	v_cndmask_b32_e64 v3, 0, 1, vcc
	v_or_b32_e32 v3, v8, v3
	v_cmp_gt_i32_e32 vcc, 1, v6
	s_movk_i32 s0, 0x40f
	s_nop 0
	v_cndmask_b32_e32 v3, v7, v3, vcc
	v_and_b32_e32 v7, 7, v3
	v_cmp_lt_i32_e32 vcc, 5, v7
	v_lshrrev_b32_e32 v3, 2, v3
	s_nop 0
	v_cndmask_b32_e64 v8, 0, 1, vcc
	v_cmp_eq_u32_e32 vcc, 3, v7
	s_nop 1
	v_cndmask_b32_e64 v7, 0, 1, vcc
	v_or_b32_e32 v7, v7, v8
	v_add_u32_e32 v3, v3, v7
	v_mov_b32_e32 v7, 0x7c00
	v_cmp_gt_i32_e32 vcc, 31, v6
	v_mov_b32_e32 v8, 0x7e00
	s_nop 0
	v_cndmask_b32_e32 v3, v7, v3, vcc
	v_cmp_ne_u32_e32 vcc, 0, v2
	s_nop 1
	v_cndmask_b32_e32 v2, v7, v8, vcc
	v_cmp_eq_u32_e32 vcc, s0, v6
	s_mov_b32 s0, 0x8000
	s_nop 0
	v_cndmask_b32_e32 v2, v3, v2, vcc
	v_lshrrev_b32_e32 v3, 16, v1
	v_and_or_b32 v2, v3, s0, v2
	global_store_short v[4:5], v2, off
.LBB193_2119:
	s_mov_b64 s[0:1], 0
.LBB193_2120:
	s_andn2_b64 vcc, exec, s[0:1]
	s_cbranch_vccnz .LBB193_2136
; %bb.2121:
	s_sext_i32_i16 s2, s14
	s_cmp_lt_i32 s2, 2
	s_mov_b64 s[0:1], -1
	s_cbranch_scc1 .LBB193_2131
; %bb.2122:
	s_cmp_lt_i32 s2, 3
	s_cbranch_scc1 .LBB193_2128
; %bb.2123:
	s_cmp_gt_i32 s2, 3
	s_cbranch_scc0 .LBB193_2125
; %bb.2124:
	s_waitcnt vmcnt(0)
	v_trunc_f64_e32 v[2:3], v[0:1]
	s_movk_i32 s0, 0xffe0
	v_ldexp_f64 v[6:7], v[2:3], s0
	v_floor_f64_e32 v[6:7], v[6:7]
	v_fmac_f64_e32 v[2:3], 0xc1f00000, v[6:7]
	v_cvt_i32_f64_e32 v9, v[6:7]
	v_cvt_u32_f64_e32 v8, v[2:3]
	global_store_dwordx2 v[4:5], v[8:9], off
	s_mov_b64 s[0:1], 0
.LBB193_2125:
	s_andn2_b64 vcc, exec, s[0:1]
	s_cbranch_vccnz .LBB193_2127
; %bb.2126:
	s_waitcnt vmcnt(0)
	v_cvt_i32_f64_e32 v2, v[0:1]
	global_store_dword v[4:5], v2, off
.LBB193_2127:
	s_mov_b64 s[0:1], 0
.LBB193_2128:
	s_andn2_b64 vcc, exec, s[0:1]
	s_cbranch_vccnz .LBB193_2130
; %bb.2129:
	s_waitcnt vmcnt(0)
	v_cvt_i32_f64_e32 v2, v[0:1]
	global_store_short v[4:5], v2, off
.LBB193_2130:
	s_mov_b64 s[0:1], 0
.LBB193_2131:
	s_andn2_b64 vcc, exec, s[0:1]
	s_cbranch_vccnz .LBB193_2136
; %bb.2132:
	s_sext_i32_i16 s0, s14
	s_cmp_gt_i32 s0, 0
	s_mov_b64 s[0:1], -1
	s_cbranch_scc0 .LBB193_2134
; %bb.2133:
	s_waitcnt vmcnt(0)
	v_cvt_i32_f64_e32 v2, v[0:1]
	global_store_byte v[4:5], v2, off
	s_mov_b64 s[0:1], 0
.LBB193_2134:
	s_andn2_b64 vcc, exec, s[0:1]
	s_cbranch_vccnz .LBB193_2136
; %bb.2135:
	s_waitcnt vmcnt(0)
	v_trunc_f64_e32 v[0:1], v[0:1]
	s_movk_i32 s0, 0xffe0
	v_ldexp_f64 v[2:3], v[0:1], s0
	v_floor_f64_e32 v[2:3], v[2:3]
	v_fmac_f64_e32 v[0:1], 0xc1f00000, v[2:3]
	v_cvt_u32_f64_e32 v0, v[0:1]
	global_store_byte v[4:5], v0, off
	s_endpgm
.LBB193_2136:
	s_endpgm
.LBB193_2137:
	s_mov_b64 s[4:5], 0
	s_mov_b64 s[0:1], -1
	s_branch .LBB193_2093
.LBB193_2138:
	s_trap 2
	s_or_b64 s[2:3], s[2:3], exec
	s_cbranch_execz .LBB193_1607
	s_branch .LBB193_1608
.LBB193_2139:
	s_andn2_saveexec_b64 s[12:13], s[12:13]
	s_cbranch_execz .LBB193_1687
.LBB193_2140:
	s_mov_b32 s17, 0x46000000
	v_add_f32_e64 v3, |v2|, s17
	v_and_b32_e32 v3, 0xff, v3
	v_cmp_ne_u32_e32 vcc, 0, v3
	s_andn2_b64 s[10:11], s[10:11], exec
	s_and_b64 s[18:19], vcc, exec
	s_or_b64 s[10:11], s[10:11], s[18:19]
	s_or_b64 exec, exec, s[12:13]
	v_mov_b32_e32 v5, 0
	s_and_saveexec_b64 s[12:13], s[10:11]
	s_cbranch_execnz .LBB193_1688
	s_branch .LBB193_1689
.LBB193_2141:
	s_trap 2
	s_or_b64 s[2:3], s[2:3], exec
	s_cbranch_execz .LBB193_1735
	s_branch .LBB193_1736
.LBB193_2142:
	s_andn2_saveexec_b64 s[10:11], s[10:11]
	s_cbranch_execz .LBB193_1700
.LBB193_2143:
	s_mov_b32 s12, 0x42800000
	v_add_f32_e64 v3, |v2|, s12
	v_and_b32_e32 v3, 0xff, v3
	v_cmp_ne_u32_e32 vcc, 0, v3
	s_andn2_b64 s[8:9], s[8:9], exec
	s_and_b64 s[12:13], vcc, exec
	s_or_b64 s[8:9], s[8:9], s[12:13]
	s_or_b64 exec, exec, s[10:11]
	v_mov_b32_e32 v5, 0
	s_and_saveexec_b64 s[10:11], s[8:9]
	s_cbranch_execnz .LBB193_1701
	s_branch .LBB193_1702
.LBB193_2144:
	s_andn2_saveexec_b64 s[12:13], s[12:13]
	s_cbranch_execz .LBB193_1806
.LBB193_2145:
	s_mov_b32 s16, 0x46000000
	v_add_f32_e64 v3, |v2|, s16
	v_and_b32_e32 v3, 0xff, v3
	v_cmp_ne_u32_e32 vcc, 0, v3
	s_andn2_b64 s[10:11], s[10:11], exec
	s_and_b64 s[16:17], vcc, exec
	s_or_b64 s[10:11], s[10:11], s[16:17]
	s_or_b64 exec, exec, s[12:13]
	v_mov_b32_e32 v5, 0
	s_and_saveexec_b64 s[12:13], s[10:11]
	s_cbranch_execnz .LBB193_1807
	s_branch .LBB193_1808
.LBB193_2146:
	s_trap 2
	s_or_b64 s[2:3], s[2:3], exec
	s_cbranch_execz .LBB193_1854
	s_branch .LBB193_1855
.LBB193_2147:
	s_andn2_saveexec_b64 s[10:11], s[10:11]
	s_cbranch_execz .LBB193_1819
.LBB193_2148:
	s_mov_b32 s12, 0x42800000
	v_add_f32_e64 v3, |v2|, s12
	v_and_b32_e32 v3, 0xff, v3
	v_cmp_ne_u32_e32 vcc, 0, v3
	s_andn2_b64 s[8:9], s[8:9], exec
	s_and_b64 s[12:13], vcc, exec
	s_or_b64 s[8:9], s[8:9], s[12:13]
	s_or_b64 exec, exec, s[10:11]
	v_mov_b32_e32 v5, 0
	s_and_saveexec_b64 s[10:11], s[8:9]
	s_cbranch_execnz .LBB193_1820
	s_branch .LBB193_1821
.LBB193_2149:
	s_andn2_saveexec_b64 s[12:13], s[12:13]
	s_cbranch_execz .LBB193_1925
.LBB193_2150:
	s_mov_b32 s16, 0x46000000
	v_add_f32_e64 v3, |v2|, s16
	v_and_b32_e32 v3, 0xff, v3
	v_cmp_ne_u32_e32 vcc, 0, v3
	s_andn2_b64 s[10:11], s[10:11], exec
	s_and_b64 s[16:17], vcc, exec
	s_or_b64 s[10:11], s[10:11], s[16:17]
	s_or_b64 exec, exec, s[12:13]
	v_mov_b32_e32 v5, 0
	s_and_saveexec_b64 s[12:13], s[10:11]
	s_cbranch_execnz .LBB193_1926
	s_branch .LBB193_1927
.LBB193_2151:
	s_trap 2
	s_or_b64 s[2:3], s[2:3], exec
	s_cbranch_execz .LBB193_1973
	s_branch .LBB193_1974
.LBB193_2152:
	s_andn2_saveexec_b64 s[10:11], s[10:11]
	s_cbranch_execz .LBB193_1938
.LBB193_2153:
	s_mov_b32 s12, 0x42800000
	v_add_f32_e64 v3, |v2|, s12
	v_and_b32_e32 v3, 0xff, v3
	v_cmp_ne_u32_e32 vcc, 0, v3
	s_andn2_b64 s[8:9], s[8:9], exec
	s_and_b64 s[12:13], vcc, exec
	s_or_b64 s[8:9], s[8:9], s[12:13]
	s_or_b64 exec, exec, s[10:11]
	v_mov_b32_e32 v5, 0
	s_and_saveexec_b64 s[10:11], s[8:9]
	s_cbranch_execnz .LBB193_1939
	s_branch .LBB193_1940
.LBB193_2154:
	s_andn2_saveexec_b64 s[10:11], s[10:11]
	s_cbranch_execz .LBB193_2045
.LBB193_2155:
	s_mov_b32 s13, 0x46000000
	v_add_f32_e64 v3, |v2|, s13
	v_and_b32_e32 v3, 0xff, v3
	v_cmp_ne_u32_e32 vcc, 0, v3
	s_andn2_b64 s[8:9], s[8:9], exec
	s_and_b64 s[16:17], vcc, exec
	s_or_b64 s[8:9], s[8:9], s[16:17]
	s_or_b64 exec, exec, s[10:11]
	v_mov_b32_e32 v6, 0
	s_and_saveexec_b64 s[10:11], s[8:9]
	s_cbranch_execnz .LBB193_2046
	s_branch .LBB193_2047
.LBB193_2156:
	s_mov_b64 s[4:5], 0
	s_or_b64 s[2:3], s[2:3], exec
	s_trap 2
	s_branch .LBB193_2091
.LBB193_2157:
	s_andn2_saveexec_b64 s[8:9], s[8:9]
	s_cbranch_execz .LBB193_2057
.LBB193_2158:
	s_mov_b32 s10, 0x42800000
	v_add_f32_e64 v3, |v2|, s10
	v_and_b32_e32 v3, 0xff, v3
	v_cmp_ne_u32_e32 vcc, 0, v3
	s_andn2_b64 s[6:7], s[6:7], exec
	s_and_b64 s[10:11], vcc, exec
	s_or_b64 s[6:7], s[6:7], s[10:11]
	s_or_b64 exec, exec, s[8:9]
	v_mov_b32_e32 v6, 0
	s_and_saveexec_b64 s[8:9], s[6:7]
	s_cbranch_execnz .LBB193_2058
	s_branch .LBB193_2059
	.section	.rodata,"a",@progbits
	.p2align	6, 0x0
	.amdhsa_kernel _ZN2at6native32elementwise_kernel_manual_unrollILi128ELi4EZNS0_15gpu_kernel_implIZZZNS0_17rsqrt_kernel_cudaERNS_18TensorIteratorBaseEENKUlvE0_clEvENKUlvE_clEvEUldE_EEvS4_RKT_EUlibE0_EEviT1_
		.amdhsa_group_segment_fixed_size 0
		.amdhsa_private_segment_fixed_size 0
		.amdhsa_kernarg_size 360
		.amdhsa_user_sgpr_count 2
		.amdhsa_user_sgpr_dispatch_ptr 0
		.amdhsa_user_sgpr_queue_ptr 0
		.amdhsa_user_sgpr_kernarg_segment_ptr 1
		.amdhsa_user_sgpr_dispatch_id 0
		.amdhsa_user_sgpr_kernarg_preload_length 0
		.amdhsa_user_sgpr_kernarg_preload_offset 0
		.amdhsa_user_sgpr_private_segment_size 0
		.amdhsa_uses_dynamic_stack 0
		.amdhsa_enable_private_segment 0
		.amdhsa_system_sgpr_workgroup_id_x 1
		.amdhsa_system_sgpr_workgroup_id_y 0
		.amdhsa_system_sgpr_workgroup_id_z 0
		.amdhsa_system_sgpr_workgroup_info 0
		.amdhsa_system_vgpr_workitem_id 0
		.amdhsa_next_free_vgpr 22
		.amdhsa_next_free_sgpr 78
		.amdhsa_accum_offset 24
		.amdhsa_reserve_vcc 1
		.amdhsa_float_round_mode_32 0
		.amdhsa_float_round_mode_16_64 0
		.amdhsa_float_denorm_mode_32 3
		.amdhsa_float_denorm_mode_16_64 3
		.amdhsa_dx10_clamp 1
		.amdhsa_ieee_mode 1
		.amdhsa_fp16_overflow 0
		.amdhsa_tg_split 0
		.amdhsa_exception_fp_ieee_invalid_op 0
		.amdhsa_exception_fp_denorm_src 0
		.amdhsa_exception_fp_ieee_div_zero 0
		.amdhsa_exception_fp_ieee_overflow 0
		.amdhsa_exception_fp_ieee_underflow 0
		.amdhsa_exception_fp_ieee_inexact 0
		.amdhsa_exception_int_div_zero 0
	.end_amdhsa_kernel
	.section	.text._ZN2at6native32elementwise_kernel_manual_unrollILi128ELi4EZNS0_15gpu_kernel_implIZZZNS0_17rsqrt_kernel_cudaERNS_18TensorIteratorBaseEENKUlvE0_clEvENKUlvE_clEvEUldE_EEvS4_RKT_EUlibE0_EEviT1_,"axG",@progbits,_ZN2at6native32elementwise_kernel_manual_unrollILi128ELi4EZNS0_15gpu_kernel_implIZZZNS0_17rsqrt_kernel_cudaERNS_18TensorIteratorBaseEENKUlvE0_clEvENKUlvE_clEvEUldE_EEvS4_RKT_EUlibE0_EEviT1_,comdat
.Lfunc_end193:
	.size	_ZN2at6native32elementwise_kernel_manual_unrollILi128ELi4EZNS0_15gpu_kernel_implIZZZNS0_17rsqrt_kernel_cudaERNS_18TensorIteratorBaseEENKUlvE0_clEvENKUlvE_clEvEUldE_EEvS4_RKT_EUlibE0_EEviT1_, .Lfunc_end193-_ZN2at6native32elementwise_kernel_manual_unrollILi128ELi4EZNS0_15gpu_kernel_implIZZZNS0_17rsqrt_kernel_cudaERNS_18TensorIteratorBaseEENKUlvE0_clEvENKUlvE_clEvEUldE_EEvS4_RKT_EUlibE0_EEviT1_
                                        ; -- End function
	.set _ZN2at6native32elementwise_kernel_manual_unrollILi128ELi4EZNS0_15gpu_kernel_implIZZZNS0_17rsqrt_kernel_cudaERNS_18TensorIteratorBaseEENKUlvE0_clEvENKUlvE_clEvEUldE_EEvS4_RKT_EUlibE0_EEviT1_.num_vgpr, 22
	.set _ZN2at6native32elementwise_kernel_manual_unrollILi128ELi4EZNS0_15gpu_kernel_implIZZZNS0_17rsqrt_kernel_cudaERNS_18TensorIteratorBaseEENKUlvE0_clEvENKUlvE_clEvEUldE_EEvS4_RKT_EUlibE0_EEviT1_.num_agpr, 0
	.set _ZN2at6native32elementwise_kernel_manual_unrollILi128ELi4EZNS0_15gpu_kernel_implIZZZNS0_17rsqrt_kernel_cudaERNS_18TensorIteratorBaseEENKUlvE0_clEvENKUlvE_clEvEUldE_EEvS4_RKT_EUlibE0_EEviT1_.numbered_sgpr, 78
	.set _ZN2at6native32elementwise_kernel_manual_unrollILi128ELi4EZNS0_15gpu_kernel_implIZZZNS0_17rsqrt_kernel_cudaERNS_18TensorIteratorBaseEENKUlvE0_clEvENKUlvE_clEvEUldE_EEvS4_RKT_EUlibE0_EEviT1_.num_named_barrier, 0
	.set _ZN2at6native32elementwise_kernel_manual_unrollILi128ELi4EZNS0_15gpu_kernel_implIZZZNS0_17rsqrt_kernel_cudaERNS_18TensorIteratorBaseEENKUlvE0_clEvENKUlvE_clEvEUldE_EEvS4_RKT_EUlibE0_EEviT1_.private_seg_size, 0
	.set _ZN2at6native32elementwise_kernel_manual_unrollILi128ELi4EZNS0_15gpu_kernel_implIZZZNS0_17rsqrt_kernel_cudaERNS_18TensorIteratorBaseEENKUlvE0_clEvENKUlvE_clEvEUldE_EEvS4_RKT_EUlibE0_EEviT1_.uses_vcc, 1
	.set _ZN2at6native32elementwise_kernel_manual_unrollILi128ELi4EZNS0_15gpu_kernel_implIZZZNS0_17rsqrt_kernel_cudaERNS_18TensorIteratorBaseEENKUlvE0_clEvENKUlvE_clEvEUldE_EEvS4_RKT_EUlibE0_EEviT1_.uses_flat_scratch, 0
	.set _ZN2at6native32elementwise_kernel_manual_unrollILi128ELi4EZNS0_15gpu_kernel_implIZZZNS0_17rsqrt_kernel_cudaERNS_18TensorIteratorBaseEENKUlvE0_clEvENKUlvE_clEvEUldE_EEvS4_RKT_EUlibE0_EEviT1_.has_dyn_sized_stack, 0
	.set _ZN2at6native32elementwise_kernel_manual_unrollILi128ELi4EZNS0_15gpu_kernel_implIZZZNS0_17rsqrt_kernel_cudaERNS_18TensorIteratorBaseEENKUlvE0_clEvENKUlvE_clEvEUldE_EEvS4_RKT_EUlibE0_EEviT1_.has_recursion, 0
	.set _ZN2at6native32elementwise_kernel_manual_unrollILi128ELi4EZNS0_15gpu_kernel_implIZZZNS0_17rsqrt_kernel_cudaERNS_18TensorIteratorBaseEENKUlvE0_clEvENKUlvE_clEvEUldE_EEvS4_RKT_EUlibE0_EEviT1_.has_indirect_call, 0
	.section	.AMDGPU.csdata,"",@progbits
; Kernel info:
; codeLenInByte = 41892
; TotalNumSgprs: 84
; NumVgprs: 22
; NumAgprs: 0
; TotalNumVgprs: 22
; ScratchSize: 0
; MemoryBound: 1
; FloatMode: 240
; IeeeMode: 1
; LDSByteSize: 0 bytes/workgroup (compile time only)
; SGPRBlocks: 10
; VGPRBlocks: 2
; NumSGPRsForWavesPerEU: 84
; NumVGPRsForWavesPerEU: 22
; AccumOffset: 24
; Occupancy: 8
; WaveLimiterHint : 1
; COMPUTE_PGM_RSRC2:SCRATCH_EN: 0
; COMPUTE_PGM_RSRC2:USER_SGPR: 2
; COMPUTE_PGM_RSRC2:TRAP_HANDLER: 0
; COMPUTE_PGM_RSRC2:TGID_X_EN: 1
; COMPUTE_PGM_RSRC2:TGID_Y_EN: 0
; COMPUTE_PGM_RSRC2:TGID_Z_EN: 0
; COMPUTE_PGM_RSRC2:TIDIG_COMP_CNT: 0
; COMPUTE_PGM_RSRC3_GFX90A:ACCUM_OFFSET: 5
; COMPUTE_PGM_RSRC3_GFX90A:TG_SPLIT: 0
	.section	.text._ZN2at6native29vectorized_elementwise_kernelILi16EZZZNS0_17rsqrt_kernel_cudaERNS_18TensorIteratorBaseEENKUlvE0_clEvENKUlvE0_clEvEUlfE_St5arrayIPcLm2EEEEviT0_T1_,"axG",@progbits,_ZN2at6native29vectorized_elementwise_kernelILi16EZZZNS0_17rsqrt_kernel_cudaERNS_18TensorIteratorBaseEENKUlvE0_clEvENKUlvE0_clEvEUlfE_St5arrayIPcLm2EEEEviT0_T1_,comdat
	.globl	_ZN2at6native29vectorized_elementwise_kernelILi16EZZZNS0_17rsqrt_kernel_cudaERNS_18TensorIteratorBaseEENKUlvE0_clEvENKUlvE0_clEvEUlfE_St5arrayIPcLm2EEEEviT0_T1_ ; -- Begin function _ZN2at6native29vectorized_elementwise_kernelILi16EZZZNS0_17rsqrt_kernel_cudaERNS_18TensorIteratorBaseEENKUlvE0_clEvENKUlvE0_clEvEUlfE_St5arrayIPcLm2EEEEviT0_T1_
	.p2align	8
	.type	_ZN2at6native29vectorized_elementwise_kernelILi16EZZZNS0_17rsqrt_kernel_cudaERNS_18TensorIteratorBaseEENKUlvE0_clEvENKUlvE0_clEvEUlfE_St5arrayIPcLm2EEEEviT0_T1_,@function
_ZN2at6native29vectorized_elementwise_kernelILi16EZZZNS0_17rsqrt_kernel_cudaERNS_18TensorIteratorBaseEENKUlvE0_clEvENKUlvE0_clEvEUlfE_St5arrayIPcLm2EEEEviT0_T1_: ; @_ZN2at6native29vectorized_elementwise_kernelILi16EZZZNS0_17rsqrt_kernel_cudaERNS_18TensorIteratorBaseEENKUlvE0_clEvENKUlvE0_clEvEUlfE_St5arrayIPcLm2EEEEviT0_T1_
; %bb.0:
	s_load_dword s3, s[0:1], 0x0
	s_load_dwordx4 s[4:7], s[0:1], 0x8
	s_lshl_b32 s2, s2, 10
	s_mov_b64 s[0:1], -1
	s_waitcnt lgkmcnt(0)
	s_sub_i32 s10, s3, s2
	s_cmpk_gt_i32 s10, 0x3ff
	s_cbranch_scc0 .LBB194_2
; %bb.1:
	s_ashr_i32 s3, s2, 31
	s_lshl_b64 s[0:1], s[2:3], 2
	s_add_u32 s8, s6, s0
	s_addc_u32 s9, s7, s1
	v_lshlrev_b32_e32 v1, 4, v0
	global_load_dwordx4 v[2:5], v1, s[8:9]
	s_mov_b32 s8, 0
	s_mov_b32 s9, 0x3fd80000
	v_mov_b32_e32 v26, 0x180
	s_add_u32 s0, s4, s0
	s_addc_u32 s1, s5, s1
	s_waitcnt vmcnt(0)
	v_cvt_f64_f32_e32 v[8:9], v3
	v_cvt_f64_f32_e32 v[2:3], v2
	v_rsq_f64_e32 v[10:11], v[2:3]
	v_cvt_f64_f32_e32 v[6:7], v5
	v_cvt_f64_f32_e32 v[4:5], v4
	v_rsq_f64_e32 v[12:13], v[8:9]
	v_rsq_f64_e32 v[14:15], v[4:5]
	v_rsq_f64_e32 v[16:17], v[6:7]
	v_mul_f64 v[2:3], v[10:11], -v[2:3]
	v_mul_f64 v[8:9], v[12:13], -v[8:9]
	v_fma_f64 v[2:3], v[2:3], v[10:11], 1.0
	v_mul_f64 v[4:5], v[14:15], -v[4:5]
	v_fma_f64 v[8:9], v[8:9], v[12:13], 1.0
	v_mul_f64 v[18:19], v[10:11], v[2:3]
	v_fma_f64 v[2:3], v[2:3], s[8:9], 0.5
	v_mul_f64 v[6:7], v[16:17], -v[6:7]
	v_fma_f64 v[4:5], v[4:5], v[14:15], 1.0
	v_mul_f64 v[20:21], v[12:13], v[8:9]
	v_fma_f64 v[8:9], v[8:9], s[8:9], 0.5
	v_fma_f64 v[2:3], v[18:19], v[2:3], v[10:11]
	v_cmp_class_f64_e32 vcc, v[10:11], v26
	v_fma_f64 v[6:7], v[6:7], v[16:17], 1.0
	v_mul_f64 v[22:23], v[14:15], v[4:5]
	v_fma_f64 v[4:5], v[4:5], s[8:9], 0.5
	v_fma_f64 v[8:9], v[20:21], v[8:9], v[12:13]
	v_cndmask_b32_e32 v11, v11, v3, vcc
	v_cndmask_b32_e32 v10, v10, v2, vcc
	v_cmp_class_f64_e32 vcc, v[12:13], v26
	v_mul_f64 v[24:25], v[16:17], v[6:7]
	v_fma_f64 v[6:7], v[6:7], s[8:9], 0.5
	v_fma_f64 v[4:5], v[22:23], v[4:5], v[14:15]
	v_cndmask_b32_e32 v3, v13, v9, vcc
	v_cndmask_b32_e32 v2, v12, v8, vcc
	v_cmp_class_f64_e32 vcc, v[14:15], v26
	v_fma_f64 v[6:7], v[24:25], v[6:7], v[16:17]
	v_cvt_f32_f64_e32 v3, v[2:3]
	v_cndmask_b32_e32 v9, v15, v5, vcc
	v_cndmask_b32_e32 v8, v14, v4, vcc
	v_cmp_class_f64_e32 vcc, v[16:17], v26
	v_cvt_f32_f64_e32 v2, v[10:11]
	s_nop 0
	v_cndmask_b32_e32 v5, v17, v7, vcc
	v_cndmask_b32_e32 v4, v16, v6, vcc
	v_cvt_f32_f64_e32 v5, v[4:5]
	v_cvt_f32_f64_e32 v4, v[8:9]
	global_store_dwordx4 v1, v[2:5], s[0:1]
	s_mov_b64 s[0:1], 0
.LBB194_2:
	s_andn2_b64 vcc, exec, s[0:1]
	s_cbranch_vccnz .LBB194_23
; %bb.3:
	v_cmp_gt_i32_e32 vcc, s10, v0
	v_mov_b64_e32 v[10:11], 0
	v_or_b32_e32 v6, s2, v0
	v_mov_b64_e32 v[14:15], 0
	v_mov_b32_e32 v1, v0
	s_and_saveexec_b64 s[0:1], vcc
	s_cbranch_execz .LBB194_5
; %bb.4:
	v_mov_b32_e32 v7, 0
	v_lshl_add_u64 v[2:3], v[6:7], 2, s[6:7]
	global_load_dword v2, v[2:3], off
	v_or_b32_e32 v1, 0x100, v0
	s_waitcnt vmcnt(0)
	v_cvt_f64_f32_e32 v[14:15], v2
.LBB194_5:
	s_or_b64 exec, exec, s[0:1]
	v_cmp_gt_i32_e64 s[0:1], s10, v1
	s_and_saveexec_b64 s[8:9], s[0:1]
	s_cbranch_execz .LBB194_7
; %bb.6:
	v_add_u32_e32 v2, s2, v1
	v_mov_b32_e32 v3, 0
	v_lshl_add_u64 v[2:3], v[2:3], 2, s[6:7]
	global_load_dword v2, v[2:3], off
	v_add_u32_e32 v1, 0x100, v1
	s_waitcnt vmcnt(0)
	v_cvt_f64_f32_e32 v[10:11], v2
.LBB194_7:
	s_or_b64 exec, exec, s[8:9]
	v_cmp_gt_i32_e64 s[0:1], s10, v1
	v_mov_b64_e32 v[8:9], 0
	v_mov_b64_e32 v[12:13], 0
	s_and_saveexec_b64 s[8:9], s[0:1]
	s_cbranch_execz .LBB194_9
; %bb.8:
	v_add_u32_e32 v2, s2, v1
	v_mov_b32_e32 v3, 0
	v_lshl_add_u64 v[2:3], v[2:3], 2, s[6:7]
	global_load_dword v2, v[2:3], off
	v_add_u32_e32 v1, 0x100, v1
	s_waitcnt vmcnt(0)
	v_cvt_f64_f32_e32 v[12:13], v2
.LBB194_9:
	s_or_b64 exec, exec, s[8:9]
	v_cmp_gt_i32_e64 s[0:1], s10, v1
	s_and_saveexec_b64 s[8:9], s[0:1]
	s_cbranch_execz .LBB194_11
; %bb.10:
	v_add_u32_e32 v2, s2, v1
	v_mov_b32_e32 v3, 0
	v_lshl_add_u64 v[2:3], v[2:3], 2, s[6:7]
	global_load_dword v1, v[2:3], off
	s_waitcnt vmcnt(0)
	v_cvt_f64_f32_e32 v[8:9], v1
.LBB194_11:
	s_or_b64 exec, exec, s[8:9]
	v_mov_b32_e32 v2, 0
	v_mov_b32_e32 v3, v2
	;; [unrolled: 1-line block ×4, first 2 shown]
	s_and_saveexec_b64 s[6:7], vcc
	s_cbranch_execz .LBB194_13
; %bb.12:
	v_rsq_f64_e32 v[4:5], v[14:15]
	s_mov_b32 s0, 0
	s_mov_b32 s1, 0x3fd80000
	v_mov_b32_e32 v1, 0x180
	v_mul_f64 v[14:15], v[4:5], -v[14:15]
	v_fma_f64 v[14:15], v[14:15], v[4:5], 1.0
	v_mul_f64 v[16:17], v[4:5], v[14:15]
	v_fma_f64 v[14:15], v[14:15], s[0:1], 0.5
	v_fma_f64 v[14:15], v[16:17], v[14:15], v[4:5]
	v_cmp_class_f64_e64 s[0:1], v[4:5], v1
	v_mov_b32_e32 v16, v2
	v_mov_b32_e32 v17, v2
	v_cndmask_b32_e64 v5, v5, v15, s[0:1]
	v_cndmask_b32_e64 v4, v4, v14, s[0:1]
	v_cvt_f32_f64_e32 v14, v[4:5]
	v_mov_b32_e32 v15, v2
	v_mov_b64_e32 v[2:3], v[14:15]
	v_mov_b64_e32 v[4:5], v[16:17]
.LBB194_13:
	s_or_b64 exec, exec, s[6:7]
	v_or_b32_e32 v1, 0x100, v0
	v_cmp_gt_i32_e64 s[0:1], s10, v1
	s_and_saveexec_b64 s[6:7], s[0:1]
	s_cbranch_execz .LBB194_15
; %bb.14:
	v_rsq_f64_e32 v[14:15], v[10:11]
	s_mov_b32 s0, 0
	s_mov_b32 s1, 0x3fd80000
	v_mov_b32_e32 v3, 0x180
	v_mul_f64 v[10:11], v[14:15], -v[10:11]
	v_fma_f64 v[10:11], v[10:11], v[14:15], 1.0
	v_mul_f64 v[16:17], v[14:15], v[10:11]
	v_fma_f64 v[10:11], v[10:11], s[0:1], 0.5
	v_fma_f64 v[10:11], v[16:17], v[10:11], v[14:15]
	v_cmp_class_f64_e64 s[0:1], v[14:15], v3
	s_nop 1
	v_cndmask_b32_e64 v11, v15, v11, s[0:1]
	v_cndmask_b32_e64 v10, v14, v10, s[0:1]
	v_cvt_f32_f64_e32 v3, v[10:11]
.LBB194_15:
	s_or_b64 exec, exec, s[6:7]
	v_or_b32_e32 v7, 0x200, v0
	v_cmp_gt_i32_e64 s[0:1], s10, v7
	s_and_saveexec_b64 s[6:7], s[0:1]
	s_cbranch_execz .LBB194_17
; %bb.16:
	v_rsq_f64_e32 v[10:11], v[12:13]
	s_mov_b32 s0, 0
	s_mov_b32 s1, 0x3fd80000
	v_mov_b32_e32 v4, 0x180
	v_mul_f64 v[12:13], v[10:11], -v[12:13]
	v_fma_f64 v[12:13], v[12:13], v[10:11], 1.0
	v_mul_f64 v[14:15], v[10:11], v[12:13]
	v_fma_f64 v[12:13], v[12:13], s[0:1], 0.5
	v_fma_f64 v[12:13], v[14:15], v[12:13], v[10:11]
	v_cmp_class_f64_e64 s[0:1], v[10:11], v4
	s_nop 1
	v_cndmask_b32_e64 v11, v11, v13, s[0:1]
	v_cndmask_b32_e64 v10, v10, v12, s[0:1]
	v_cvt_f32_f64_e32 v4, v[10:11]
.LBB194_17:
	s_or_b64 exec, exec, s[6:7]
	v_or_b32_e32 v7, 0x300, v0
	v_cmp_gt_i32_e64 s[0:1], s10, v7
	s_and_saveexec_b64 s[6:7], s[0:1]
	s_cbranch_execnz .LBB194_24
; %bb.18:
	s_or_b64 exec, exec, s[6:7]
	s_and_saveexec_b64 s[0:1], vcc
	s_xor_b64 s[0:1], exec, s[0:1]
	s_cbranch_execnz .LBB194_25
.LBB194_19:
	s_or_b64 exec, exec, s[0:1]
	v_cmp_gt_i32_e32 vcc, s10, v0
	s_and_saveexec_b64 s[0:1], vcc
	s_cbranch_execnz .LBB194_26
.LBB194_20:
	s_or_b64 exec, exec, s[0:1]
	v_cmp_gt_i32_e32 vcc, s10, v0
	s_and_saveexec_b64 s[0:1], vcc
	s_cbranch_execnz .LBB194_27
.LBB194_21:
	s_or_b64 exec, exec, s[0:1]
	v_cmp_gt_i32_e32 vcc, s10, v0
	s_and_saveexec_b64 s[0:1], vcc
	s_cbranch_execz .LBB194_23
.LBB194_22:
	v_add_u32_e32 v0, s2, v0
	v_mov_b32_e32 v1, 0
	v_lshl_add_u64 v[0:1], v[0:1], 2, s[4:5]
	global_store_dword v[0:1], v5, off
.LBB194_23:
	s_endpgm
.LBB194_24:
	v_rsq_f64_e32 v[10:11], v[8:9]
	s_mov_b32 s0, 0
	s_mov_b32 s1, 0x3fd80000
	v_mov_b32_e32 v5, 0x180
	v_mul_f64 v[8:9], v[10:11], -v[8:9]
	v_fma_f64 v[8:9], v[8:9], v[10:11], 1.0
	v_mul_f64 v[12:13], v[10:11], v[8:9]
	v_fma_f64 v[8:9], v[8:9], s[0:1], 0.5
	v_fma_f64 v[8:9], v[12:13], v[8:9], v[10:11]
	v_cmp_class_f64_e64 s[0:1], v[10:11], v5
	s_nop 1
	v_cndmask_b32_e64 v9, v11, v9, s[0:1]
	v_cndmask_b32_e64 v8, v10, v8, s[0:1]
	v_cvt_f32_f64_e32 v5, v[8:9]
	s_or_b64 exec, exec, s[6:7]
	s_and_saveexec_b64 s[0:1], vcc
	s_xor_b64 s[0:1], exec, s[0:1]
	s_cbranch_execz .LBB194_19
.LBB194_25:
	v_mov_b32_e32 v7, 0
	v_lshl_add_u64 v[6:7], v[6:7], 2, s[4:5]
	v_mov_b32_e32 v0, v1
	global_store_dword v[6:7], v2, off
	s_or_b64 exec, exec, s[0:1]
	v_cmp_gt_i32_e32 vcc, s10, v0
	s_and_saveexec_b64 s[0:1], vcc
	s_cbranch_execz .LBB194_20
.LBB194_26:
	v_add_u32_e32 v6, s2, v0
	v_mov_b32_e32 v7, 0
	v_lshl_add_u64 v[6:7], v[6:7], 2, s[4:5]
	v_add_u32_e32 v0, 0x100, v0
	global_store_dword v[6:7], v3, off
	s_or_b64 exec, exec, s[0:1]
	v_cmp_gt_i32_e32 vcc, s10, v0
	s_and_saveexec_b64 s[0:1], vcc
	s_cbranch_execz .LBB194_21
.LBB194_27:
	v_add_u32_e32 v2, s2, v0
	v_mov_b32_e32 v3, 0
	v_lshl_add_u64 v[2:3], v[2:3], 2, s[4:5]
	v_add_u32_e32 v0, 0x100, v0
	global_store_dword v[2:3], v4, off
	s_or_b64 exec, exec, s[0:1]
	v_cmp_gt_i32_e32 vcc, s10, v0
	s_and_saveexec_b64 s[0:1], vcc
	s_cbranch_execnz .LBB194_22
	s_branch .LBB194_23
	.section	.rodata,"a",@progbits
	.p2align	6, 0x0
	.amdhsa_kernel _ZN2at6native29vectorized_elementwise_kernelILi16EZZZNS0_17rsqrt_kernel_cudaERNS_18TensorIteratorBaseEENKUlvE0_clEvENKUlvE0_clEvEUlfE_St5arrayIPcLm2EEEEviT0_T1_
		.amdhsa_group_segment_fixed_size 0
		.amdhsa_private_segment_fixed_size 0
		.amdhsa_kernarg_size 24
		.amdhsa_user_sgpr_count 2
		.amdhsa_user_sgpr_dispatch_ptr 0
		.amdhsa_user_sgpr_queue_ptr 0
		.amdhsa_user_sgpr_kernarg_segment_ptr 1
		.amdhsa_user_sgpr_dispatch_id 0
		.amdhsa_user_sgpr_kernarg_preload_length 0
		.amdhsa_user_sgpr_kernarg_preload_offset 0
		.amdhsa_user_sgpr_private_segment_size 0
		.amdhsa_uses_dynamic_stack 0
		.amdhsa_enable_private_segment 0
		.amdhsa_system_sgpr_workgroup_id_x 1
		.amdhsa_system_sgpr_workgroup_id_y 0
		.amdhsa_system_sgpr_workgroup_id_z 0
		.amdhsa_system_sgpr_workgroup_info 0
		.amdhsa_system_vgpr_workitem_id 0
		.amdhsa_next_free_vgpr 27
		.amdhsa_next_free_sgpr 11
		.amdhsa_accum_offset 28
		.amdhsa_reserve_vcc 1
		.amdhsa_float_round_mode_32 0
		.amdhsa_float_round_mode_16_64 0
		.amdhsa_float_denorm_mode_32 3
		.amdhsa_float_denorm_mode_16_64 3
		.amdhsa_dx10_clamp 1
		.amdhsa_ieee_mode 1
		.amdhsa_fp16_overflow 0
		.amdhsa_tg_split 0
		.amdhsa_exception_fp_ieee_invalid_op 0
		.amdhsa_exception_fp_denorm_src 0
		.amdhsa_exception_fp_ieee_div_zero 0
		.amdhsa_exception_fp_ieee_overflow 0
		.amdhsa_exception_fp_ieee_underflow 0
		.amdhsa_exception_fp_ieee_inexact 0
		.amdhsa_exception_int_div_zero 0
	.end_amdhsa_kernel
	.section	.text._ZN2at6native29vectorized_elementwise_kernelILi16EZZZNS0_17rsqrt_kernel_cudaERNS_18TensorIteratorBaseEENKUlvE0_clEvENKUlvE0_clEvEUlfE_St5arrayIPcLm2EEEEviT0_T1_,"axG",@progbits,_ZN2at6native29vectorized_elementwise_kernelILi16EZZZNS0_17rsqrt_kernel_cudaERNS_18TensorIteratorBaseEENKUlvE0_clEvENKUlvE0_clEvEUlfE_St5arrayIPcLm2EEEEviT0_T1_,comdat
.Lfunc_end194:
	.size	_ZN2at6native29vectorized_elementwise_kernelILi16EZZZNS0_17rsqrt_kernel_cudaERNS_18TensorIteratorBaseEENKUlvE0_clEvENKUlvE0_clEvEUlfE_St5arrayIPcLm2EEEEviT0_T1_, .Lfunc_end194-_ZN2at6native29vectorized_elementwise_kernelILi16EZZZNS0_17rsqrt_kernel_cudaERNS_18TensorIteratorBaseEENKUlvE0_clEvENKUlvE0_clEvEUlfE_St5arrayIPcLm2EEEEviT0_T1_
                                        ; -- End function
	.set _ZN2at6native29vectorized_elementwise_kernelILi16EZZZNS0_17rsqrt_kernel_cudaERNS_18TensorIteratorBaseEENKUlvE0_clEvENKUlvE0_clEvEUlfE_St5arrayIPcLm2EEEEviT0_T1_.num_vgpr, 27
	.set _ZN2at6native29vectorized_elementwise_kernelILi16EZZZNS0_17rsqrt_kernel_cudaERNS_18TensorIteratorBaseEENKUlvE0_clEvENKUlvE0_clEvEUlfE_St5arrayIPcLm2EEEEviT0_T1_.num_agpr, 0
	.set _ZN2at6native29vectorized_elementwise_kernelILi16EZZZNS0_17rsqrt_kernel_cudaERNS_18TensorIteratorBaseEENKUlvE0_clEvENKUlvE0_clEvEUlfE_St5arrayIPcLm2EEEEviT0_T1_.numbered_sgpr, 11
	.set _ZN2at6native29vectorized_elementwise_kernelILi16EZZZNS0_17rsqrt_kernel_cudaERNS_18TensorIteratorBaseEENKUlvE0_clEvENKUlvE0_clEvEUlfE_St5arrayIPcLm2EEEEviT0_T1_.num_named_barrier, 0
	.set _ZN2at6native29vectorized_elementwise_kernelILi16EZZZNS0_17rsqrt_kernel_cudaERNS_18TensorIteratorBaseEENKUlvE0_clEvENKUlvE0_clEvEUlfE_St5arrayIPcLm2EEEEviT0_T1_.private_seg_size, 0
	.set _ZN2at6native29vectorized_elementwise_kernelILi16EZZZNS0_17rsqrt_kernel_cudaERNS_18TensorIteratorBaseEENKUlvE0_clEvENKUlvE0_clEvEUlfE_St5arrayIPcLm2EEEEviT0_T1_.uses_vcc, 1
	.set _ZN2at6native29vectorized_elementwise_kernelILi16EZZZNS0_17rsqrt_kernel_cudaERNS_18TensorIteratorBaseEENKUlvE0_clEvENKUlvE0_clEvEUlfE_St5arrayIPcLm2EEEEviT0_T1_.uses_flat_scratch, 0
	.set _ZN2at6native29vectorized_elementwise_kernelILi16EZZZNS0_17rsqrt_kernel_cudaERNS_18TensorIteratorBaseEENKUlvE0_clEvENKUlvE0_clEvEUlfE_St5arrayIPcLm2EEEEviT0_T1_.has_dyn_sized_stack, 0
	.set _ZN2at6native29vectorized_elementwise_kernelILi16EZZZNS0_17rsqrt_kernel_cudaERNS_18TensorIteratorBaseEENKUlvE0_clEvENKUlvE0_clEvEUlfE_St5arrayIPcLm2EEEEviT0_T1_.has_recursion, 0
	.set _ZN2at6native29vectorized_elementwise_kernelILi16EZZZNS0_17rsqrt_kernel_cudaERNS_18TensorIteratorBaseEENKUlvE0_clEvENKUlvE0_clEvEUlfE_St5arrayIPcLm2EEEEviT0_T1_.has_indirect_call, 0
	.section	.AMDGPU.csdata,"",@progbits
; Kernel info:
; codeLenInByte = 1384
; TotalNumSgprs: 17
; NumVgprs: 27
; NumAgprs: 0
; TotalNumVgprs: 27
; ScratchSize: 0
; MemoryBound: 0
; FloatMode: 240
; IeeeMode: 1
; LDSByteSize: 0 bytes/workgroup (compile time only)
; SGPRBlocks: 2
; VGPRBlocks: 3
; NumSGPRsForWavesPerEU: 17
; NumVGPRsForWavesPerEU: 27
; AccumOffset: 28
; Occupancy: 8
; WaveLimiterHint : 0
; COMPUTE_PGM_RSRC2:SCRATCH_EN: 0
; COMPUTE_PGM_RSRC2:USER_SGPR: 2
; COMPUTE_PGM_RSRC2:TRAP_HANDLER: 0
; COMPUTE_PGM_RSRC2:TGID_X_EN: 1
; COMPUTE_PGM_RSRC2:TGID_Y_EN: 0
; COMPUTE_PGM_RSRC2:TGID_Z_EN: 0
; COMPUTE_PGM_RSRC2:TIDIG_COMP_CNT: 0
; COMPUTE_PGM_RSRC3_GFX90A:ACCUM_OFFSET: 6
; COMPUTE_PGM_RSRC3_GFX90A:TG_SPLIT: 0
	.section	.text._ZN2at6native29vectorized_elementwise_kernelILi8EZZZNS0_17rsqrt_kernel_cudaERNS_18TensorIteratorBaseEENKUlvE0_clEvENKUlvE0_clEvEUlfE_St5arrayIPcLm2EEEEviT0_T1_,"axG",@progbits,_ZN2at6native29vectorized_elementwise_kernelILi8EZZZNS0_17rsqrt_kernel_cudaERNS_18TensorIteratorBaseEENKUlvE0_clEvENKUlvE0_clEvEUlfE_St5arrayIPcLm2EEEEviT0_T1_,comdat
	.globl	_ZN2at6native29vectorized_elementwise_kernelILi8EZZZNS0_17rsqrt_kernel_cudaERNS_18TensorIteratorBaseEENKUlvE0_clEvENKUlvE0_clEvEUlfE_St5arrayIPcLm2EEEEviT0_T1_ ; -- Begin function _ZN2at6native29vectorized_elementwise_kernelILi8EZZZNS0_17rsqrt_kernel_cudaERNS_18TensorIteratorBaseEENKUlvE0_clEvENKUlvE0_clEvEUlfE_St5arrayIPcLm2EEEEviT0_T1_
	.p2align	8
	.type	_ZN2at6native29vectorized_elementwise_kernelILi8EZZZNS0_17rsqrt_kernel_cudaERNS_18TensorIteratorBaseEENKUlvE0_clEvENKUlvE0_clEvEUlfE_St5arrayIPcLm2EEEEviT0_T1_,@function
_ZN2at6native29vectorized_elementwise_kernelILi8EZZZNS0_17rsqrt_kernel_cudaERNS_18TensorIteratorBaseEENKUlvE0_clEvENKUlvE0_clEvEUlfE_St5arrayIPcLm2EEEEviT0_T1_: ; @_ZN2at6native29vectorized_elementwise_kernelILi8EZZZNS0_17rsqrt_kernel_cudaERNS_18TensorIteratorBaseEENKUlvE0_clEvENKUlvE0_clEvEUlfE_St5arrayIPcLm2EEEEviT0_T1_
; %bb.0:
	s_load_dword s3, s[0:1], 0x0
	s_load_dwordx4 s[4:7], s[0:1], 0x8
	s_lshl_b32 s2, s2, 10
	s_mov_b64 s[0:1], -1
	s_waitcnt lgkmcnt(0)
	s_sub_i32 s10, s3, s2
	s_cmpk_gt_i32 s10, 0x3ff
	s_cbranch_scc0 .LBB195_2
; %bb.1:
	s_ashr_i32 s3, s2, 31
	s_lshl_b64 s[0:1], s[2:3], 2
	s_add_u32 s8, s6, s0
	s_addc_u32 s9, s7, s1
	v_lshlrev_b32_e32 v1, 4, v0
	global_load_dwordx4 v[2:5], v1, s[8:9]
	s_mov_b32 s8, 0
	s_mov_b32 s9, 0x3fd80000
	v_mov_b32_e32 v26, 0x180
	s_add_u32 s0, s4, s0
	s_addc_u32 s1, s5, s1
	s_waitcnt vmcnt(0)
	v_cvt_f64_f32_e32 v[8:9], v3
	v_cvt_f64_f32_e32 v[2:3], v2
	v_rsq_f64_e32 v[10:11], v[2:3]
	v_cvt_f64_f32_e32 v[6:7], v5
	v_cvt_f64_f32_e32 v[4:5], v4
	v_rsq_f64_e32 v[12:13], v[8:9]
	v_rsq_f64_e32 v[14:15], v[4:5]
	;; [unrolled: 1-line block ×3, first 2 shown]
	v_mul_f64 v[2:3], v[10:11], -v[2:3]
	v_mul_f64 v[8:9], v[12:13], -v[8:9]
	v_fma_f64 v[2:3], v[2:3], v[10:11], 1.0
	v_mul_f64 v[4:5], v[14:15], -v[4:5]
	v_fma_f64 v[8:9], v[8:9], v[12:13], 1.0
	v_mul_f64 v[18:19], v[10:11], v[2:3]
	v_fma_f64 v[2:3], v[2:3], s[8:9], 0.5
	v_mul_f64 v[6:7], v[16:17], -v[6:7]
	v_fma_f64 v[4:5], v[4:5], v[14:15], 1.0
	v_mul_f64 v[20:21], v[12:13], v[8:9]
	v_fma_f64 v[8:9], v[8:9], s[8:9], 0.5
	v_fma_f64 v[2:3], v[18:19], v[2:3], v[10:11]
	v_cmp_class_f64_e32 vcc, v[10:11], v26
	v_fma_f64 v[6:7], v[6:7], v[16:17], 1.0
	v_mul_f64 v[22:23], v[14:15], v[4:5]
	v_fma_f64 v[4:5], v[4:5], s[8:9], 0.5
	v_fma_f64 v[8:9], v[20:21], v[8:9], v[12:13]
	v_cndmask_b32_e32 v11, v11, v3, vcc
	v_cndmask_b32_e32 v10, v10, v2, vcc
	v_cmp_class_f64_e32 vcc, v[12:13], v26
	v_mul_f64 v[24:25], v[16:17], v[6:7]
	v_fma_f64 v[6:7], v[6:7], s[8:9], 0.5
	v_fma_f64 v[4:5], v[22:23], v[4:5], v[14:15]
	v_cndmask_b32_e32 v3, v13, v9, vcc
	v_cndmask_b32_e32 v2, v12, v8, vcc
	v_cmp_class_f64_e32 vcc, v[14:15], v26
	v_fma_f64 v[6:7], v[24:25], v[6:7], v[16:17]
	v_cvt_f32_f64_e32 v3, v[2:3]
	v_cndmask_b32_e32 v9, v15, v5, vcc
	v_cndmask_b32_e32 v8, v14, v4, vcc
	v_cmp_class_f64_e32 vcc, v[16:17], v26
	v_cvt_f32_f64_e32 v2, v[10:11]
	s_nop 0
	v_cndmask_b32_e32 v5, v17, v7, vcc
	v_cndmask_b32_e32 v4, v16, v6, vcc
	v_cvt_f32_f64_e32 v5, v[4:5]
	v_cvt_f32_f64_e32 v4, v[8:9]
	global_store_dwordx4 v1, v[2:5], s[0:1]
	s_mov_b64 s[0:1], 0
.LBB195_2:
	s_andn2_b64 vcc, exec, s[0:1]
	s_cbranch_vccnz .LBB195_23
; %bb.3:
	v_cmp_gt_i32_e32 vcc, s10, v0
	v_mov_b64_e32 v[10:11], 0
	v_or_b32_e32 v6, s2, v0
	v_mov_b64_e32 v[14:15], 0
	v_mov_b32_e32 v1, v0
	s_and_saveexec_b64 s[0:1], vcc
	s_cbranch_execz .LBB195_5
; %bb.4:
	v_mov_b32_e32 v7, 0
	v_lshl_add_u64 v[2:3], v[6:7], 2, s[6:7]
	global_load_dword v2, v[2:3], off
	v_or_b32_e32 v1, 0x100, v0
	s_waitcnt vmcnt(0)
	v_cvt_f64_f32_e32 v[14:15], v2
.LBB195_5:
	s_or_b64 exec, exec, s[0:1]
	v_cmp_gt_i32_e64 s[0:1], s10, v1
	s_and_saveexec_b64 s[8:9], s[0:1]
	s_cbranch_execz .LBB195_7
; %bb.6:
	v_add_u32_e32 v2, s2, v1
	v_mov_b32_e32 v3, 0
	v_lshl_add_u64 v[2:3], v[2:3], 2, s[6:7]
	global_load_dword v2, v[2:3], off
	v_add_u32_e32 v1, 0x100, v1
	s_waitcnt vmcnt(0)
	v_cvt_f64_f32_e32 v[10:11], v2
.LBB195_7:
	s_or_b64 exec, exec, s[8:9]
	v_cmp_gt_i32_e64 s[0:1], s10, v1
	v_mov_b64_e32 v[8:9], 0
	v_mov_b64_e32 v[12:13], 0
	s_and_saveexec_b64 s[8:9], s[0:1]
	s_cbranch_execz .LBB195_9
; %bb.8:
	v_add_u32_e32 v2, s2, v1
	v_mov_b32_e32 v3, 0
	v_lshl_add_u64 v[2:3], v[2:3], 2, s[6:7]
	global_load_dword v2, v[2:3], off
	v_add_u32_e32 v1, 0x100, v1
	s_waitcnt vmcnt(0)
	v_cvt_f64_f32_e32 v[12:13], v2
.LBB195_9:
	s_or_b64 exec, exec, s[8:9]
	v_cmp_gt_i32_e64 s[0:1], s10, v1
	s_and_saveexec_b64 s[8:9], s[0:1]
	s_cbranch_execz .LBB195_11
; %bb.10:
	v_add_u32_e32 v2, s2, v1
	v_mov_b32_e32 v3, 0
	v_lshl_add_u64 v[2:3], v[2:3], 2, s[6:7]
	global_load_dword v1, v[2:3], off
	s_waitcnt vmcnt(0)
	v_cvt_f64_f32_e32 v[8:9], v1
.LBB195_11:
	s_or_b64 exec, exec, s[8:9]
	v_mov_b32_e32 v2, 0
	v_mov_b32_e32 v3, v2
	;; [unrolled: 1-line block ×4, first 2 shown]
	s_and_saveexec_b64 s[6:7], vcc
	s_cbranch_execz .LBB195_13
; %bb.12:
	v_rsq_f64_e32 v[4:5], v[14:15]
	s_mov_b32 s0, 0
	s_mov_b32 s1, 0x3fd80000
	v_mov_b32_e32 v1, 0x180
	v_mul_f64 v[14:15], v[4:5], -v[14:15]
	v_fma_f64 v[14:15], v[14:15], v[4:5], 1.0
	v_mul_f64 v[16:17], v[4:5], v[14:15]
	v_fma_f64 v[14:15], v[14:15], s[0:1], 0.5
	v_fma_f64 v[14:15], v[16:17], v[14:15], v[4:5]
	v_cmp_class_f64_e64 s[0:1], v[4:5], v1
	v_mov_b32_e32 v16, v2
	v_mov_b32_e32 v17, v2
	v_cndmask_b32_e64 v5, v5, v15, s[0:1]
	v_cndmask_b32_e64 v4, v4, v14, s[0:1]
	v_cvt_f32_f64_e32 v14, v[4:5]
	v_mov_b32_e32 v15, v2
	v_mov_b64_e32 v[2:3], v[14:15]
	v_mov_b64_e32 v[4:5], v[16:17]
.LBB195_13:
	s_or_b64 exec, exec, s[6:7]
	v_or_b32_e32 v1, 0x100, v0
	v_cmp_gt_i32_e64 s[0:1], s10, v1
	s_and_saveexec_b64 s[6:7], s[0:1]
	s_cbranch_execz .LBB195_15
; %bb.14:
	v_rsq_f64_e32 v[14:15], v[10:11]
	s_mov_b32 s0, 0
	s_mov_b32 s1, 0x3fd80000
	v_mov_b32_e32 v3, 0x180
	v_mul_f64 v[10:11], v[14:15], -v[10:11]
	v_fma_f64 v[10:11], v[10:11], v[14:15], 1.0
	v_mul_f64 v[16:17], v[14:15], v[10:11]
	v_fma_f64 v[10:11], v[10:11], s[0:1], 0.5
	v_fma_f64 v[10:11], v[16:17], v[10:11], v[14:15]
	v_cmp_class_f64_e64 s[0:1], v[14:15], v3
	s_nop 1
	v_cndmask_b32_e64 v11, v15, v11, s[0:1]
	v_cndmask_b32_e64 v10, v14, v10, s[0:1]
	v_cvt_f32_f64_e32 v3, v[10:11]
.LBB195_15:
	s_or_b64 exec, exec, s[6:7]
	v_or_b32_e32 v7, 0x200, v0
	v_cmp_gt_i32_e64 s[0:1], s10, v7
	s_and_saveexec_b64 s[6:7], s[0:1]
	s_cbranch_execz .LBB195_17
; %bb.16:
	v_rsq_f64_e32 v[10:11], v[12:13]
	s_mov_b32 s0, 0
	s_mov_b32 s1, 0x3fd80000
	v_mov_b32_e32 v4, 0x180
	v_mul_f64 v[12:13], v[10:11], -v[12:13]
	v_fma_f64 v[12:13], v[12:13], v[10:11], 1.0
	v_mul_f64 v[14:15], v[10:11], v[12:13]
	v_fma_f64 v[12:13], v[12:13], s[0:1], 0.5
	v_fma_f64 v[12:13], v[14:15], v[12:13], v[10:11]
	v_cmp_class_f64_e64 s[0:1], v[10:11], v4
	s_nop 1
	v_cndmask_b32_e64 v11, v11, v13, s[0:1]
	v_cndmask_b32_e64 v10, v10, v12, s[0:1]
	v_cvt_f32_f64_e32 v4, v[10:11]
.LBB195_17:
	s_or_b64 exec, exec, s[6:7]
	v_or_b32_e32 v7, 0x300, v0
	v_cmp_gt_i32_e64 s[0:1], s10, v7
	s_and_saveexec_b64 s[6:7], s[0:1]
	s_cbranch_execnz .LBB195_24
; %bb.18:
	s_or_b64 exec, exec, s[6:7]
	s_and_saveexec_b64 s[0:1], vcc
	s_xor_b64 s[0:1], exec, s[0:1]
	s_cbranch_execnz .LBB195_25
.LBB195_19:
	s_or_b64 exec, exec, s[0:1]
	v_cmp_gt_i32_e32 vcc, s10, v0
	s_and_saveexec_b64 s[0:1], vcc
	s_cbranch_execnz .LBB195_26
.LBB195_20:
	s_or_b64 exec, exec, s[0:1]
	v_cmp_gt_i32_e32 vcc, s10, v0
	s_and_saveexec_b64 s[0:1], vcc
	s_cbranch_execnz .LBB195_27
.LBB195_21:
	s_or_b64 exec, exec, s[0:1]
	v_cmp_gt_i32_e32 vcc, s10, v0
	s_and_saveexec_b64 s[0:1], vcc
	s_cbranch_execz .LBB195_23
.LBB195_22:
	v_add_u32_e32 v0, s2, v0
	v_mov_b32_e32 v1, 0
	v_lshl_add_u64 v[0:1], v[0:1], 2, s[4:5]
	global_store_dword v[0:1], v5, off
.LBB195_23:
	s_endpgm
.LBB195_24:
	v_rsq_f64_e32 v[10:11], v[8:9]
	s_mov_b32 s0, 0
	s_mov_b32 s1, 0x3fd80000
	v_mov_b32_e32 v5, 0x180
	v_mul_f64 v[8:9], v[10:11], -v[8:9]
	v_fma_f64 v[8:9], v[8:9], v[10:11], 1.0
	v_mul_f64 v[12:13], v[10:11], v[8:9]
	v_fma_f64 v[8:9], v[8:9], s[0:1], 0.5
	v_fma_f64 v[8:9], v[12:13], v[8:9], v[10:11]
	v_cmp_class_f64_e64 s[0:1], v[10:11], v5
	s_nop 1
	v_cndmask_b32_e64 v9, v11, v9, s[0:1]
	v_cndmask_b32_e64 v8, v10, v8, s[0:1]
	v_cvt_f32_f64_e32 v5, v[8:9]
	s_or_b64 exec, exec, s[6:7]
	s_and_saveexec_b64 s[0:1], vcc
	s_xor_b64 s[0:1], exec, s[0:1]
	s_cbranch_execz .LBB195_19
.LBB195_25:
	v_mov_b32_e32 v7, 0
	v_lshl_add_u64 v[6:7], v[6:7], 2, s[4:5]
	v_mov_b32_e32 v0, v1
	global_store_dword v[6:7], v2, off
	s_or_b64 exec, exec, s[0:1]
	v_cmp_gt_i32_e32 vcc, s10, v0
	s_and_saveexec_b64 s[0:1], vcc
	s_cbranch_execz .LBB195_20
.LBB195_26:
	v_add_u32_e32 v6, s2, v0
	v_mov_b32_e32 v7, 0
	v_lshl_add_u64 v[6:7], v[6:7], 2, s[4:5]
	v_add_u32_e32 v0, 0x100, v0
	global_store_dword v[6:7], v3, off
	s_or_b64 exec, exec, s[0:1]
	v_cmp_gt_i32_e32 vcc, s10, v0
	s_and_saveexec_b64 s[0:1], vcc
	s_cbranch_execz .LBB195_21
.LBB195_27:
	v_add_u32_e32 v2, s2, v0
	v_mov_b32_e32 v3, 0
	v_lshl_add_u64 v[2:3], v[2:3], 2, s[4:5]
	v_add_u32_e32 v0, 0x100, v0
	global_store_dword v[2:3], v4, off
	s_or_b64 exec, exec, s[0:1]
	v_cmp_gt_i32_e32 vcc, s10, v0
	s_and_saveexec_b64 s[0:1], vcc
	s_cbranch_execnz .LBB195_22
	s_branch .LBB195_23
	.section	.rodata,"a",@progbits
	.p2align	6, 0x0
	.amdhsa_kernel _ZN2at6native29vectorized_elementwise_kernelILi8EZZZNS0_17rsqrt_kernel_cudaERNS_18TensorIteratorBaseEENKUlvE0_clEvENKUlvE0_clEvEUlfE_St5arrayIPcLm2EEEEviT0_T1_
		.amdhsa_group_segment_fixed_size 0
		.amdhsa_private_segment_fixed_size 0
		.amdhsa_kernarg_size 24
		.amdhsa_user_sgpr_count 2
		.amdhsa_user_sgpr_dispatch_ptr 0
		.amdhsa_user_sgpr_queue_ptr 0
		.amdhsa_user_sgpr_kernarg_segment_ptr 1
		.amdhsa_user_sgpr_dispatch_id 0
		.amdhsa_user_sgpr_kernarg_preload_length 0
		.amdhsa_user_sgpr_kernarg_preload_offset 0
		.amdhsa_user_sgpr_private_segment_size 0
		.amdhsa_uses_dynamic_stack 0
		.amdhsa_enable_private_segment 0
		.amdhsa_system_sgpr_workgroup_id_x 1
		.amdhsa_system_sgpr_workgroup_id_y 0
		.amdhsa_system_sgpr_workgroup_id_z 0
		.amdhsa_system_sgpr_workgroup_info 0
		.amdhsa_system_vgpr_workitem_id 0
		.amdhsa_next_free_vgpr 27
		.amdhsa_next_free_sgpr 11
		.amdhsa_accum_offset 28
		.amdhsa_reserve_vcc 1
		.amdhsa_float_round_mode_32 0
		.amdhsa_float_round_mode_16_64 0
		.amdhsa_float_denorm_mode_32 3
		.amdhsa_float_denorm_mode_16_64 3
		.amdhsa_dx10_clamp 1
		.amdhsa_ieee_mode 1
		.amdhsa_fp16_overflow 0
		.amdhsa_tg_split 0
		.amdhsa_exception_fp_ieee_invalid_op 0
		.amdhsa_exception_fp_denorm_src 0
		.amdhsa_exception_fp_ieee_div_zero 0
		.amdhsa_exception_fp_ieee_overflow 0
		.amdhsa_exception_fp_ieee_underflow 0
		.amdhsa_exception_fp_ieee_inexact 0
		.amdhsa_exception_int_div_zero 0
	.end_amdhsa_kernel
	.section	.text._ZN2at6native29vectorized_elementwise_kernelILi8EZZZNS0_17rsqrt_kernel_cudaERNS_18TensorIteratorBaseEENKUlvE0_clEvENKUlvE0_clEvEUlfE_St5arrayIPcLm2EEEEviT0_T1_,"axG",@progbits,_ZN2at6native29vectorized_elementwise_kernelILi8EZZZNS0_17rsqrt_kernel_cudaERNS_18TensorIteratorBaseEENKUlvE0_clEvENKUlvE0_clEvEUlfE_St5arrayIPcLm2EEEEviT0_T1_,comdat
.Lfunc_end195:
	.size	_ZN2at6native29vectorized_elementwise_kernelILi8EZZZNS0_17rsqrt_kernel_cudaERNS_18TensorIteratorBaseEENKUlvE0_clEvENKUlvE0_clEvEUlfE_St5arrayIPcLm2EEEEviT0_T1_, .Lfunc_end195-_ZN2at6native29vectorized_elementwise_kernelILi8EZZZNS0_17rsqrt_kernel_cudaERNS_18TensorIteratorBaseEENKUlvE0_clEvENKUlvE0_clEvEUlfE_St5arrayIPcLm2EEEEviT0_T1_
                                        ; -- End function
	.set _ZN2at6native29vectorized_elementwise_kernelILi8EZZZNS0_17rsqrt_kernel_cudaERNS_18TensorIteratorBaseEENKUlvE0_clEvENKUlvE0_clEvEUlfE_St5arrayIPcLm2EEEEviT0_T1_.num_vgpr, 27
	.set _ZN2at6native29vectorized_elementwise_kernelILi8EZZZNS0_17rsqrt_kernel_cudaERNS_18TensorIteratorBaseEENKUlvE0_clEvENKUlvE0_clEvEUlfE_St5arrayIPcLm2EEEEviT0_T1_.num_agpr, 0
	.set _ZN2at6native29vectorized_elementwise_kernelILi8EZZZNS0_17rsqrt_kernel_cudaERNS_18TensorIteratorBaseEENKUlvE0_clEvENKUlvE0_clEvEUlfE_St5arrayIPcLm2EEEEviT0_T1_.numbered_sgpr, 11
	.set _ZN2at6native29vectorized_elementwise_kernelILi8EZZZNS0_17rsqrt_kernel_cudaERNS_18TensorIteratorBaseEENKUlvE0_clEvENKUlvE0_clEvEUlfE_St5arrayIPcLm2EEEEviT0_T1_.num_named_barrier, 0
	.set _ZN2at6native29vectorized_elementwise_kernelILi8EZZZNS0_17rsqrt_kernel_cudaERNS_18TensorIteratorBaseEENKUlvE0_clEvENKUlvE0_clEvEUlfE_St5arrayIPcLm2EEEEviT0_T1_.private_seg_size, 0
	.set _ZN2at6native29vectorized_elementwise_kernelILi8EZZZNS0_17rsqrt_kernel_cudaERNS_18TensorIteratorBaseEENKUlvE0_clEvENKUlvE0_clEvEUlfE_St5arrayIPcLm2EEEEviT0_T1_.uses_vcc, 1
	.set _ZN2at6native29vectorized_elementwise_kernelILi8EZZZNS0_17rsqrt_kernel_cudaERNS_18TensorIteratorBaseEENKUlvE0_clEvENKUlvE0_clEvEUlfE_St5arrayIPcLm2EEEEviT0_T1_.uses_flat_scratch, 0
	.set _ZN2at6native29vectorized_elementwise_kernelILi8EZZZNS0_17rsqrt_kernel_cudaERNS_18TensorIteratorBaseEENKUlvE0_clEvENKUlvE0_clEvEUlfE_St5arrayIPcLm2EEEEviT0_T1_.has_dyn_sized_stack, 0
	.set _ZN2at6native29vectorized_elementwise_kernelILi8EZZZNS0_17rsqrt_kernel_cudaERNS_18TensorIteratorBaseEENKUlvE0_clEvENKUlvE0_clEvEUlfE_St5arrayIPcLm2EEEEviT0_T1_.has_recursion, 0
	.set _ZN2at6native29vectorized_elementwise_kernelILi8EZZZNS0_17rsqrt_kernel_cudaERNS_18TensorIteratorBaseEENKUlvE0_clEvENKUlvE0_clEvEUlfE_St5arrayIPcLm2EEEEviT0_T1_.has_indirect_call, 0
	.section	.AMDGPU.csdata,"",@progbits
; Kernel info:
; codeLenInByte = 1384
; TotalNumSgprs: 17
; NumVgprs: 27
; NumAgprs: 0
; TotalNumVgprs: 27
; ScratchSize: 0
; MemoryBound: 0
; FloatMode: 240
; IeeeMode: 1
; LDSByteSize: 0 bytes/workgroup (compile time only)
; SGPRBlocks: 2
; VGPRBlocks: 3
; NumSGPRsForWavesPerEU: 17
; NumVGPRsForWavesPerEU: 27
; AccumOffset: 28
; Occupancy: 8
; WaveLimiterHint : 0
; COMPUTE_PGM_RSRC2:SCRATCH_EN: 0
; COMPUTE_PGM_RSRC2:USER_SGPR: 2
; COMPUTE_PGM_RSRC2:TRAP_HANDLER: 0
; COMPUTE_PGM_RSRC2:TGID_X_EN: 1
; COMPUTE_PGM_RSRC2:TGID_Y_EN: 0
; COMPUTE_PGM_RSRC2:TGID_Z_EN: 0
; COMPUTE_PGM_RSRC2:TIDIG_COMP_CNT: 0
; COMPUTE_PGM_RSRC3_GFX90A:ACCUM_OFFSET: 6
; COMPUTE_PGM_RSRC3_GFX90A:TG_SPLIT: 0
	.section	.text._ZN2at6native29vectorized_elementwise_kernelILi4EZZZNS0_17rsqrt_kernel_cudaERNS_18TensorIteratorBaseEENKUlvE0_clEvENKUlvE0_clEvEUlfE_St5arrayIPcLm2EEEEviT0_T1_,"axG",@progbits,_ZN2at6native29vectorized_elementwise_kernelILi4EZZZNS0_17rsqrt_kernel_cudaERNS_18TensorIteratorBaseEENKUlvE0_clEvENKUlvE0_clEvEUlfE_St5arrayIPcLm2EEEEviT0_T1_,comdat
	.globl	_ZN2at6native29vectorized_elementwise_kernelILi4EZZZNS0_17rsqrt_kernel_cudaERNS_18TensorIteratorBaseEENKUlvE0_clEvENKUlvE0_clEvEUlfE_St5arrayIPcLm2EEEEviT0_T1_ ; -- Begin function _ZN2at6native29vectorized_elementwise_kernelILi4EZZZNS0_17rsqrt_kernel_cudaERNS_18TensorIteratorBaseEENKUlvE0_clEvENKUlvE0_clEvEUlfE_St5arrayIPcLm2EEEEviT0_T1_
	.p2align	8
	.type	_ZN2at6native29vectorized_elementwise_kernelILi4EZZZNS0_17rsqrt_kernel_cudaERNS_18TensorIteratorBaseEENKUlvE0_clEvENKUlvE0_clEvEUlfE_St5arrayIPcLm2EEEEviT0_T1_,@function
_ZN2at6native29vectorized_elementwise_kernelILi4EZZZNS0_17rsqrt_kernel_cudaERNS_18TensorIteratorBaseEENKUlvE0_clEvENKUlvE0_clEvEUlfE_St5arrayIPcLm2EEEEviT0_T1_: ; @_ZN2at6native29vectorized_elementwise_kernelILi4EZZZNS0_17rsqrt_kernel_cudaERNS_18TensorIteratorBaseEENKUlvE0_clEvENKUlvE0_clEvEUlfE_St5arrayIPcLm2EEEEviT0_T1_
; %bb.0:
	s_load_dword s3, s[0:1], 0x0
	s_load_dwordx4 s[4:7], s[0:1], 0x8
	s_lshl_b32 s2, s2, 10
	s_mov_b64 s[0:1], -1
	s_waitcnt lgkmcnt(0)
	s_sub_i32 s10, s3, s2
	s_cmpk_gt_i32 s10, 0x3ff
	s_cbranch_scc0 .LBB196_2
; %bb.1:
	s_ashr_i32 s3, s2, 31
	s_lshl_b64 s[0:1], s[2:3], 2
	s_add_u32 s8, s6, s0
	s_addc_u32 s9, s7, s1
	v_lshlrev_b32_e32 v1, 4, v0
	global_load_dwordx4 v[2:5], v1, s[8:9]
	s_mov_b32 s8, 0
	s_mov_b32 s9, 0x3fd80000
	v_mov_b32_e32 v26, 0x180
	s_add_u32 s0, s4, s0
	s_addc_u32 s1, s5, s1
	s_waitcnt vmcnt(0)
	v_cvt_f64_f32_e32 v[8:9], v3
	v_cvt_f64_f32_e32 v[2:3], v2
	v_rsq_f64_e32 v[10:11], v[2:3]
	v_cvt_f64_f32_e32 v[6:7], v5
	v_cvt_f64_f32_e32 v[4:5], v4
	v_rsq_f64_e32 v[12:13], v[8:9]
	v_rsq_f64_e32 v[14:15], v[4:5]
	;; [unrolled: 1-line block ×3, first 2 shown]
	v_mul_f64 v[2:3], v[10:11], -v[2:3]
	v_mul_f64 v[8:9], v[12:13], -v[8:9]
	v_fma_f64 v[2:3], v[2:3], v[10:11], 1.0
	v_mul_f64 v[4:5], v[14:15], -v[4:5]
	v_fma_f64 v[8:9], v[8:9], v[12:13], 1.0
	v_mul_f64 v[18:19], v[10:11], v[2:3]
	v_fma_f64 v[2:3], v[2:3], s[8:9], 0.5
	v_mul_f64 v[6:7], v[16:17], -v[6:7]
	v_fma_f64 v[4:5], v[4:5], v[14:15], 1.0
	v_mul_f64 v[20:21], v[12:13], v[8:9]
	v_fma_f64 v[8:9], v[8:9], s[8:9], 0.5
	v_fma_f64 v[2:3], v[18:19], v[2:3], v[10:11]
	v_cmp_class_f64_e32 vcc, v[10:11], v26
	v_fma_f64 v[6:7], v[6:7], v[16:17], 1.0
	v_mul_f64 v[22:23], v[14:15], v[4:5]
	v_fma_f64 v[4:5], v[4:5], s[8:9], 0.5
	v_fma_f64 v[8:9], v[20:21], v[8:9], v[12:13]
	v_cndmask_b32_e32 v11, v11, v3, vcc
	v_cndmask_b32_e32 v10, v10, v2, vcc
	v_cmp_class_f64_e32 vcc, v[12:13], v26
	v_mul_f64 v[24:25], v[16:17], v[6:7]
	v_fma_f64 v[6:7], v[6:7], s[8:9], 0.5
	v_fma_f64 v[4:5], v[22:23], v[4:5], v[14:15]
	v_cndmask_b32_e32 v3, v13, v9, vcc
	v_cndmask_b32_e32 v2, v12, v8, vcc
	v_cmp_class_f64_e32 vcc, v[14:15], v26
	v_fma_f64 v[6:7], v[24:25], v[6:7], v[16:17]
	v_cvt_f32_f64_e32 v3, v[2:3]
	v_cndmask_b32_e32 v9, v15, v5, vcc
	v_cndmask_b32_e32 v8, v14, v4, vcc
	v_cmp_class_f64_e32 vcc, v[16:17], v26
	v_cvt_f32_f64_e32 v2, v[10:11]
	s_nop 0
	v_cndmask_b32_e32 v5, v17, v7, vcc
	v_cndmask_b32_e32 v4, v16, v6, vcc
	v_cvt_f32_f64_e32 v5, v[4:5]
	v_cvt_f32_f64_e32 v4, v[8:9]
	global_store_dwordx4 v1, v[2:5], s[0:1]
	s_mov_b64 s[0:1], 0
.LBB196_2:
	s_andn2_b64 vcc, exec, s[0:1]
	s_cbranch_vccnz .LBB196_23
; %bb.3:
	v_cmp_gt_i32_e32 vcc, s10, v0
	v_mov_b64_e32 v[10:11], 0
	v_or_b32_e32 v6, s2, v0
	v_mov_b64_e32 v[14:15], 0
	v_mov_b32_e32 v1, v0
	s_and_saveexec_b64 s[0:1], vcc
	s_cbranch_execz .LBB196_5
; %bb.4:
	v_mov_b32_e32 v7, 0
	v_lshl_add_u64 v[2:3], v[6:7], 2, s[6:7]
	global_load_dword v2, v[2:3], off
	v_or_b32_e32 v1, 0x100, v0
	s_waitcnt vmcnt(0)
	v_cvt_f64_f32_e32 v[14:15], v2
.LBB196_5:
	s_or_b64 exec, exec, s[0:1]
	v_cmp_gt_i32_e64 s[0:1], s10, v1
	s_and_saveexec_b64 s[8:9], s[0:1]
	s_cbranch_execz .LBB196_7
; %bb.6:
	v_add_u32_e32 v2, s2, v1
	v_mov_b32_e32 v3, 0
	v_lshl_add_u64 v[2:3], v[2:3], 2, s[6:7]
	global_load_dword v2, v[2:3], off
	v_add_u32_e32 v1, 0x100, v1
	s_waitcnt vmcnt(0)
	v_cvt_f64_f32_e32 v[10:11], v2
.LBB196_7:
	s_or_b64 exec, exec, s[8:9]
	v_cmp_gt_i32_e64 s[0:1], s10, v1
	v_mov_b64_e32 v[8:9], 0
	v_mov_b64_e32 v[12:13], 0
	s_and_saveexec_b64 s[8:9], s[0:1]
	s_cbranch_execz .LBB196_9
; %bb.8:
	v_add_u32_e32 v2, s2, v1
	v_mov_b32_e32 v3, 0
	v_lshl_add_u64 v[2:3], v[2:3], 2, s[6:7]
	global_load_dword v2, v[2:3], off
	v_add_u32_e32 v1, 0x100, v1
	s_waitcnt vmcnt(0)
	v_cvt_f64_f32_e32 v[12:13], v2
.LBB196_9:
	s_or_b64 exec, exec, s[8:9]
	v_cmp_gt_i32_e64 s[0:1], s10, v1
	s_and_saveexec_b64 s[8:9], s[0:1]
	s_cbranch_execz .LBB196_11
; %bb.10:
	v_add_u32_e32 v2, s2, v1
	v_mov_b32_e32 v3, 0
	v_lshl_add_u64 v[2:3], v[2:3], 2, s[6:7]
	global_load_dword v1, v[2:3], off
	s_waitcnt vmcnt(0)
	v_cvt_f64_f32_e32 v[8:9], v1
.LBB196_11:
	s_or_b64 exec, exec, s[8:9]
	v_mov_b32_e32 v2, 0
	v_mov_b32_e32 v3, v2
	v_mov_b32_e32 v4, v2
	v_mov_b32_e32 v5, v2
	s_and_saveexec_b64 s[6:7], vcc
	s_cbranch_execz .LBB196_13
; %bb.12:
	v_rsq_f64_e32 v[4:5], v[14:15]
	s_mov_b32 s0, 0
	s_mov_b32 s1, 0x3fd80000
	v_mov_b32_e32 v1, 0x180
	v_mul_f64 v[14:15], v[4:5], -v[14:15]
	v_fma_f64 v[14:15], v[14:15], v[4:5], 1.0
	v_mul_f64 v[16:17], v[4:5], v[14:15]
	v_fma_f64 v[14:15], v[14:15], s[0:1], 0.5
	v_fma_f64 v[14:15], v[16:17], v[14:15], v[4:5]
	v_cmp_class_f64_e64 s[0:1], v[4:5], v1
	v_mov_b32_e32 v16, v2
	v_mov_b32_e32 v17, v2
	v_cndmask_b32_e64 v5, v5, v15, s[0:1]
	v_cndmask_b32_e64 v4, v4, v14, s[0:1]
	v_cvt_f32_f64_e32 v14, v[4:5]
	v_mov_b32_e32 v15, v2
	v_mov_b64_e32 v[2:3], v[14:15]
	v_mov_b64_e32 v[4:5], v[16:17]
.LBB196_13:
	s_or_b64 exec, exec, s[6:7]
	v_or_b32_e32 v1, 0x100, v0
	v_cmp_gt_i32_e64 s[0:1], s10, v1
	s_and_saveexec_b64 s[6:7], s[0:1]
	s_cbranch_execz .LBB196_15
; %bb.14:
	v_rsq_f64_e32 v[14:15], v[10:11]
	s_mov_b32 s0, 0
	s_mov_b32 s1, 0x3fd80000
	v_mov_b32_e32 v3, 0x180
	v_mul_f64 v[10:11], v[14:15], -v[10:11]
	v_fma_f64 v[10:11], v[10:11], v[14:15], 1.0
	v_mul_f64 v[16:17], v[14:15], v[10:11]
	v_fma_f64 v[10:11], v[10:11], s[0:1], 0.5
	v_fma_f64 v[10:11], v[16:17], v[10:11], v[14:15]
	v_cmp_class_f64_e64 s[0:1], v[14:15], v3
	s_nop 1
	v_cndmask_b32_e64 v11, v15, v11, s[0:1]
	v_cndmask_b32_e64 v10, v14, v10, s[0:1]
	v_cvt_f32_f64_e32 v3, v[10:11]
.LBB196_15:
	s_or_b64 exec, exec, s[6:7]
	v_or_b32_e32 v7, 0x200, v0
	v_cmp_gt_i32_e64 s[0:1], s10, v7
	s_and_saveexec_b64 s[6:7], s[0:1]
	s_cbranch_execz .LBB196_17
; %bb.16:
	v_rsq_f64_e32 v[10:11], v[12:13]
	s_mov_b32 s0, 0
	s_mov_b32 s1, 0x3fd80000
	v_mov_b32_e32 v4, 0x180
	v_mul_f64 v[12:13], v[10:11], -v[12:13]
	v_fma_f64 v[12:13], v[12:13], v[10:11], 1.0
	v_mul_f64 v[14:15], v[10:11], v[12:13]
	v_fma_f64 v[12:13], v[12:13], s[0:1], 0.5
	v_fma_f64 v[12:13], v[14:15], v[12:13], v[10:11]
	v_cmp_class_f64_e64 s[0:1], v[10:11], v4
	s_nop 1
	v_cndmask_b32_e64 v11, v11, v13, s[0:1]
	v_cndmask_b32_e64 v10, v10, v12, s[0:1]
	v_cvt_f32_f64_e32 v4, v[10:11]
.LBB196_17:
	s_or_b64 exec, exec, s[6:7]
	v_or_b32_e32 v7, 0x300, v0
	v_cmp_gt_i32_e64 s[0:1], s10, v7
	s_and_saveexec_b64 s[6:7], s[0:1]
	s_cbranch_execnz .LBB196_24
; %bb.18:
	s_or_b64 exec, exec, s[6:7]
	s_and_saveexec_b64 s[0:1], vcc
	s_xor_b64 s[0:1], exec, s[0:1]
	s_cbranch_execnz .LBB196_25
.LBB196_19:
	s_or_b64 exec, exec, s[0:1]
	v_cmp_gt_i32_e32 vcc, s10, v0
	s_and_saveexec_b64 s[0:1], vcc
	s_cbranch_execnz .LBB196_26
.LBB196_20:
	s_or_b64 exec, exec, s[0:1]
	v_cmp_gt_i32_e32 vcc, s10, v0
	s_and_saveexec_b64 s[0:1], vcc
	s_cbranch_execnz .LBB196_27
.LBB196_21:
	s_or_b64 exec, exec, s[0:1]
	v_cmp_gt_i32_e32 vcc, s10, v0
	s_and_saveexec_b64 s[0:1], vcc
	s_cbranch_execz .LBB196_23
.LBB196_22:
	v_add_u32_e32 v0, s2, v0
	v_mov_b32_e32 v1, 0
	v_lshl_add_u64 v[0:1], v[0:1], 2, s[4:5]
	global_store_dword v[0:1], v5, off
.LBB196_23:
	s_endpgm
.LBB196_24:
	v_rsq_f64_e32 v[10:11], v[8:9]
	s_mov_b32 s0, 0
	s_mov_b32 s1, 0x3fd80000
	v_mov_b32_e32 v5, 0x180
	v_mul_f64 v[8:9], v[10:11], -v[8:9]
	v_fma_f64 v[8:9], v[8:9], v[10:11], 1.0
	v_mul_f64 v[12:13], v[10:11], v[8:9]
	v_fma_f64 v[8:9], v[8:9], s[0:1], 0.5
	v_fma_f64 v[8:9], v[12:13], v[8:9], v[10:11]
	v_cmp_class_f64_e64 s[0:1], v[10:11], v5
	s_nop 1
	v_cndmask_b32_e64 v9, v11, v9, s[0:1]
	v_cndmask_b32_e64 v8, v10, v8, s[0:1]
	v_cvt_f32_f64_e32 v5, v[8:9]
	s_or_b64 exec, exec, s[6:7]
	s_and_saveexec_b64 s[0:1], vcc
	s_xor_b64 s[0:1], exec, s[0:1]
	s_cbranch_execz .LBB196_19
.LBB196_25:
	v_mov_b32_e32 v7, 0
	v_lshl_add_u64 v[6:7], v[6:7], 2, s[4:5]
	v_mov_b32_e32 v0, v1
	global_store_dword v[6:7], v2, off
	s_or_b64 exec, exec, s[0:1]
	v_cmp_gt_i32_e32 vcc, s10, v0
	s_and_saveexec_b64 s[0:1], vcc
	s_cbranch_execz .LBB196_20
.LBB196_26:
	v_add_u32_e32 v6, s2, v0
	v_mov_b32_e32 v7, 0
	v_lshl_add_u64 v[6:7], v[6:7], 2, s[4:5]
	v_add_u32_e32 v0, 0x100, v0
	global_store_dword v[6:7], v3, off
	s_or_b64 exec, exec, s[0:1]
	v_cmp_gt_i32_e32 vcc, s10, v0
	s_and_saveexec_b64 s[0:1], vcc
	s_cbranch_execz .LBB196_21
.LBB196_27:
	v_add_u32_e32 v2, s2, v0
	v_mov_b32_e32 v3, 0
	v_lshl_add_u64 v[2:3], v[2:3], 2, s[4:5]
	v_add_u32_e32 v0, 0x100, v0
	global_store_dword v[2:3], v4, off
	s_or_b64 exec, exec, s[0:1]
	v_cmp_gt_i32_e32 vcc, s10, v0
	s_and_saveexec_b64 s[0:1], vcc
	s_cbranch_execnz .LBB196_22
	s_branch .LBB196_23
	.section	.rodata,"a",@progbits
	.p2align	6, 0x0
	.amdhsa_kernel _ZN2at6native29vectorized_elementwise_kernelILi4EZZZNS0_17rsqrt_kernel_cudaERNS_18TensorIteratorBaseEENKUlvE0_clEvENKUlvE0_clEvEUlfE_St5arrayIPcLm2EEEEviT0_T1_
		.amdhsa_group_segment_fixed_size 0
		.amdhsa_private_segment_fixed_size 0
		.amdhsa_kernarg_size 24
		.amdhsa_user_sgpr_count 2
		.amdhsa_user_sgpr_dispatch_ptr 0
		.amdhsa_user_sgpr_queue_ptr 0
		.amdhsa_user_sgpr_kernarg_segment_ptr 1
		.amdhsa_user_sgpr_dispatch_id 0
		.amdhsa_user_sgpr_kernarg_preload_length 0
		.amdhsa_user_sgpr_kernarg_preload_offset 0
		.amdhsa_user_sgpr_private_segment_size 0
		.amdhsa_uses_dynamic_stack 0
		.amdhsa_enable_private_segment 0
		.amdhsa_system_sgpr_workgroup_id_x 1
		.amdhsa_system_sgpr_workgroup_id_y 0
		.amdhsa_system_sgpr_workgroup_id_z 0
		.amdhsa_system_sgpr_workgroup_info 0
		.amdhsa_system_vgpr_workitem_id 0
		.amdhsa_next_free_vgpr 27
		.amdhsa_next_free_sgpr 11
		.amdhsa_accum_offset 28
		.amdhsa_reserve_vcc 1
		.amdhsa_float_round_mode_32 0
		.amdhsa_float_round_mode_16_64 0
		.amdhsa_float_denorm_mode_32 3
		.amdhsa_float_denorm_mode_16_64 3
		.amdhsa_dx10_clamp 1
		.amdhsa_ieee_mode 1
		.amdhsa_fp16_overflow 0
		.amdhsa_tg_split 0
		.amdhsa_exception_fp_ieee_invalid_op 0
		.amdhsa_exception_fp_denorm_src 0
		.amdhsa_exception_fp_ieee_div_zero 0
		.amdhsa_exception_fp_ieee_overflow 0
		.amdhsa_exception_fp_ieee_underflow 0
		.amdhsa_exception_fp_ieee_inexact 0
		.amdhsa_exception_int_div_zero 0
	.end_amdhsa_kernel
	.section	.text._ZN2at6native29vectorized_elementwise_kernelILi4EZZZNS0_17rsqrt_kernel_cudaERNS_18TensorIteratorBaseEENKUlvE0_clEvENKUlvE0_clEvEUlfE_St5arrayIPcLm2EEEEviT0_T1_,"axG",@progbits,_ZN2at6native29vectorized_elementwise_kernelILi4EZZZNS0_17rsqrt_kernel_cudaERNS_18TensorIteratorBaseEENKUlvE0_clEvENKUlvE0_clEvEUlfE_St5arrayIPcLm2EEEEviT0_T1_,comdat
.Lfunc_end196:
	.size	_ZN2at6native29vectorized_elementwise_kernelILi4EZZZNS0_17rsqrt_kernel_cudaERNS_18TensorIteratorBaseEENKUlvE0_clEvENKUlvE0_clEvEUlfE_St5arrayIPcLm2EEEEviT0_T1_, .Lfunc_end196-_ZN2at6native29vectorized_elementwise_kernelILi4EZZZNS0_17rsqrt_kernel_cudaERNS_18TensorIteratorBaseEENKUlvE0_clEvENKUlvE0_clEvEUlfE_St5arrayIPcLm2EEEEviT0_T1_
                                        ; -- End function
	.set _ZN2at6native29vectorized_elementwise_kernelILi4EZZZNS0_17rsqrt_kernel_cudaERNS_18TensorIteratorBaseEENKUlvE0_clEvENKUlvE0_clEvEUlfE_St5arrayIPcLm2EEEEviT0_T1_.num_vgpr, 27
	.set _ZN2at6native29vectorized_elementwise_kernelILi4EZZZNS0_17rsqrt_kernel_cudaERNS_18TensorIteratorBaseEENKUlvE0_clEvENKUlvE0_clEvEUlfE_St5arrayIPcLm2EEEEviT0_T1_.num_agpr, 0
	.set _ZN2at6native29vectorized_elementwise_kernelILi4EZZZNS0_17rsqrt_kernel_cudaERNS_18TensorIteratorBaseEENKUlvE0_clEvENKUlvE0_clEvEUlfE_St5arrayIPcLm2EEEEviT0_T1_.numbered_sgpr, 11
	.set _ZN2at6native29vectorized_elementwise_kernelILi4EZZZNS0_17rsqrt_kernel_cudaERNS_18TensorIteratorBaseEENKUlvE0_clEvENKUlvE0_clEvEUlfE_St5arrayIPcLm2EEEEviT0_T1_.num_named_barrier, 0
	.set _ZN2at6native29vectorized_elementwise_kernelILi4EZZZNS0_17rsqrt_kernel_cudaERNS_18TensorIteratorBaseEENKUlvE0_clEvENKUlvE0_clEvEUlfE_St5arrayIPcLm2EEEEviT0_T1_.private_seg_size, 0
	.set _ZN2at6native29vectorized_elementwise_kernelILi4EZZZNS0_17rsqrt_kernel_cudaERNS_18TensorIteratorBaseEENKUlvE0_clEvENKUlvE0_clEvEUlfE_St5arrayIPcLm2EEEEviT0_T1_.uses_vcc, 1
	.set _ZN2at6native29vectorized_elementwise_kernelILi4EZZZNS0_17rsqrt_kernel_cudaERNS_18TensorIteratorBaseEENKUlvE0_clEvENKUlvE0_clEvEUlfE_St5arrayIPcLm2EEEEviT0_T1_.uses_flat_scratch, 0
	.set _ZN2at6native29vectorized_elementwise_kernelILi4EZZZNS0_17rsqrt_kernel_cudaERNS_18TensorIteratorBaseEENKUlvE0_clEvENKUlvE0_clEvEUlfE_St5arrayIPcLm2EEEEviT0_T1_.has_dyn_sized_stack, 0
	.set _ZN2at6native29vectorized_elementwise_kernelILi4EZZZNS0_17rsqrt_kernel_cudaERNS_18TensorIteratorBaseEENKUlvE0_clEvENKUlvE0_clEvEUlfE_St5arrayIPcLm2EEEEviT0_T1_.has_recursion, 0
	.set _ZN2at6native29vectorized_elementwise_kernelILi4EZZZNS0_17rsqrt_kernel_cudaERNS_18TensorIteratorBaseEENKUlvE0_clEvENKUlvE0_clEvEUlfE_St5arrayIPcLm2EEEEviT0_T1_.has_indirect_call, 0
	.section	.AMDGPU.csdata,"",@progbits
; Kernel info:
; codeLenInByte = 1384
; TotalNumSgprs: 17
; NumVgprs: 27
; NumAgprs: 0
; TotalNumVgprs: 27
; ScratchSize: 0
; MemoryBound: 0
; FloatMode: 240
; IeeeMode: 1
; LDSByteSize: 0 bytes/workgroup (compile time only)
; SGPRBlocks: 2
; VGPRBlocks: 3
; NumSGPRsForWavesPerEU: 17
; NumVGPRsForWavesPerEU: 27
; AccumOffset: 28
; Occupancy: 8
; WaveLimiterHint : 0
; COMPUTE_PGM_RSRC2:SCRATCH_EN: 0
; COMPUTE_PGM_RSRC2:USER_SGPR: 2
; COMPUTE_PGM_RSRC2:TRAP_HANDLER: 0
; COMPUTE_PGM_RSRC2:TGID_X_EN: 1
; COMPUTE_PGM_RSRC2:TGID_Y_EN: 0
; COMPUTE_PGM_RSRC2:TGID_Z_EN: 0
; COMPUTE_PGM_RSRC2:TIDIG_COMP_CNT: 0
; COMPUTE_PGM_RSRC3_GFX90A:ACCUM_OFFSET: 6
; COMPUTE_PGM_RSRC3_GFX90A:TG_SPLIT: 0
	.section	.text._ZN2at6native29vectorized_elementwise_kernelILi2EZZZNS0_17rsqrt_kernel_cudaERNS_18TensorIteratorBaseEENKUlvE0_clEvENKUlvE0_clEvEUlfE_St5arrayIPcLm2EEEEviT0_T1_,"axG",@progbits,_ZN2at6native29vectorized_elementwise_kernelILi2EZZZNS0_17rsqrt_kernel_cudaERNS_18TensorIteratorBaseEENKUlvE0_clEvENKUlvE0_clEvEUlfE_St5arrayIPcLm2EEEEviT0_T1_,comdat
	.globl	_ZN2at6native29vectorized_elementwise_kernelILi2EZZZNS0_17rsqrt_kernel_cudaERNS_18TensorIteratorBaseEENKUlvE0_clEvENKUlvE0_clEvEUlfE_St5arrayIPcLm2EEEEviT0_T1_ ; -- Begin function _ZN2at6native29vectorized_elementwise_kernelILi2EZZZNS0_17rsqrt_kernel_cudaERNS_18TensorIteratorBaseEENKUlvE0_clEvENKUlvE0_clEvEUlfE_St5arrayIPcLm2EEEEviT0_T1_
	.p2align	8
	.type	_ZN2at6native29vectorized_elementwise_kernelILi2EZZZNS0_17rsqrt_kernel_cudaERNS_18TensorIteratorBaseEENKUlvE0_clEvENKUlvE0_clEvEUlfE_St5arrayIPcLm2EEEEviT0_T1_,@function
_ZN2at6native29vectorized_elementwise_kernelILi2EZZZNS0_17rsqrt_kernel_cudaERNS_18TensorIteratorBaseEENKUlvE0_clEvENKUlvE0_clEvEUlfE_St5arrayIPcLm2EEEEviT0_T1_: ; @_ZN2at6native29vectorized_elementwise_kernelILi2EZZZNS0_17rsqrt_kernel_cudaERNS_18TensorIteratorBaseEENKUlvE0_clEvENKUlvE0_clEvEUlfE_St5arrayIPcLm2EEEEviT0_T1_
; %bb.0:
	s_load_dword s3, s[0:1], 0x0
	s_load_dwordx4 s[4:7], s[0:1], 0x8
	s_lshl_b32 s2, s2, 10
	s_mov_b64 s[0:1], -1
	s_waitcnt lgkmcnt(0)
	s_sub_i32 s10, s3, s2
	s_cmpk_gt_i32 s10, 0x3ff
	s_cbranch_scc0 .LBB197_2
; %bb.1:
	s_ashr_i32 s3, s2, 31
	s_lshl_b64 s[0:1], s[2:3], 2
	s_add_u32 s8, s6, s0
	s_addc_u32 s9, s7, s1
	v_lshlrev_b32_e32 v1, 3, v0
	global_load_dwordx2 v[2:3], v1, s[8:9]
	global_load_dwordx2 v[4:5], v1, s[8:9] offset:2048
	s_mov_b32 s8, 0
	s_mov_b32 s9, 0x3fd80000
	v_mov_b32_e32 v26, 0x180
	s_add_u32 s0, s4, s0
	s_addc_u32 s1, s5, s1
	s_waitcnt vmcnt(1)
	v_cvt_f64_f32_e32 v[6:7], v2
	v_cvt_f64_f32_e32 v[2:3], v3
	v_rsq_f64_e32 v[10:11], v[6:7]
	s_waitcnt vmcnt(0)
	v_cvt_f64_f32_e32 v[8:9], v4
	v_rsq_f64_e32 v[12:13], v[2:3]
	v_cvt_f64_f32_e32 v[4:5], v5
	v_rsq_f64_e32 v[14:15], v[8:9]
	v_rsq_f64_e32 v[16:17], v[4:5]
	v_mul_f64 v[6:7], v[10:11], -v[6:7]
	v_mul_f64 v[2:3], v[12:13], -v[2:3]
	v_fma_f64 v[6:7], v[6:7], v[10:11], 1.0
	v_mul_f64 v[8:9], v[14:15], -v[8:9]
	v_fma_f64 v[2:3], v[2:3], v[12:13], 1.0
	v_mul_f64 v[18:19], v[10:11], v[6:7]
	v_fma_f64 v[6:7], v[6:7], s[8:9], 0.5
	v_mul_f64 v[4:5], v[16:17], -v[4:5]
	v_fma_f64 v[8:9], v[8:9], v[14:15], 1.0
	v_mul_f64 v[20:21], v[12:13], v[2:3]
	v_fma_f64 v[2:3], v[2:3], s[8:9], 0.5
	v_fma_f64 v[6:7], v[18:19], v[6:7], v[10:11]
	v_cmp_class_f64_e32 vcc, v[10:11], v26
	v_fma_f64 v[4:5], v[4:5], v[16:17], 1.0
	v_mul_f64 v[22:23], v[14:15], v[8:9]
	v_fma_f64 v[8:9], v[8:9], s[8:9], 0.5
	v_fma_f64 v[2:3], v[20:21], v[2:3], v[12:13]
	v_cndmask_b32_e32 v7, v11, v7, vcc
	v_cndmask_b32_e32 v6, v10, v6, vcc
	v_cmp_class_f64_e32 vcc, v[12:13], v26
	v_mul_f64 v[24:25], v[16:17], v[4:5]
	v_fma_f64 v[4:5], v[4:5], s[8:9], 0.5
	v_fma_f64 v[8:9], v[22:23], v[8:9], v[14:15]
	v_cndmask_b32_e32 v3, v13, v3, vcc
	v_cndmask_b32_e32 v2, v12, v2, vcc
	v_cmp_class_f64_e32 vcc, v[14:15], v26
	v_fma_f64 v[4:5], v[24:25], v[4:5], v[16:17]
	v_cvt_f32_f64_e32 v6, v[6:7]
	v_cndmask_b32_e32 v9, v15, v9, vcc
	v_cndmask_b32_e32 v8, v14, v8, vcc
	v_cmp_class_f64_e32 vcc, v[16:17], v26
	v_cvt_f32_f64_e32 v7, v[2:3]
	v_cvt_f32_f64_e32 v2, v[8:9]
	v_cndmask_b32_e32 v5, v17, v5, vcc
	v_cndmask_b32_e32 v4, v16, v4, vcc
	v_cvt_f32_f64_e32 v3, v[4:5]
	global_store_dwordx2 v1, v[6:7], s[0:1]
	global_store_dwordx2 v1, v[2:3], s[0:1] offset:2048
	s_mov_b64 s[0:1], 0
.LBB197_2:
	s_andn2_b64 vcc, exec, s[0:1]
	s_cbranch_vccnz .LBB197_23
; %bb.3:
	v_cmp_gt_i32_e32 vcc, s10, v0
	v_mov_b64_e32 v[10:11], 0
	v_or_b32_e32 v6, s2, v0
	v_mov_b64_e32 v[14:15], 0
	v_mov_b32_e32 v1, v0
	s_and_saveexec_b64 s[0:1], vcc
	s_cbranch_execz .LBB197_5
; %bb.4:
	v_mov_b32_e32 v7, 0
	v_lshl_add_u64 v[2:3], v[6:7], 2, s[6:7]
	global_load_dword v2, v[2:3], off
	v_or_b32_e32 v1, 0x100, v0
	s_waitcnt vmcnt(0)
	v_cvt_f64_f32_e32 v[14:15], v2
.LBB197_5:
	s_or_b64 exec, exec, s[0:1]
	v_cmp_gt_i32_e64 s[0:1], s10, v1
	s_and_saveexec_b64 s[8:9], s[0:1]
	s_cbranch_execz .LBB197_7
; %bb.6:
	v_add_u32_e32 v2, s2, v1
	v_mov_b32_e32 v3, 0
	v_lshl_add_u64 v[2:3], v[2:3], 2, s[6:7]
	global_load_dword v2, v[2:3], off
	v_add_u32_e32 v1, 0x100, v1
	s_waitcnt vmcnt(0)
	v_cvt_f64_f32_e32 v[10:11], v2
.LBB197_7:
	s_or_b64 exec, exec, s[8:9]
	v_cmp_gt_i32_e64 s[0:1], s10, v1
	v_mov_b64_e32 v[8:9], 0
	v_mov_b64_e32 v[12:13], 0
	s_and_saveexec_b64 s[8:9], s[0:1]
	s_cbranch_execz .LBB197_9
; %bb.8:
	v_add_u32_e32 v2, s2, v1
	v_mov_b32_e32 v3, 0
	v_lshl_add_u64 v[2:3], v[2:3], 2, s[6:7]
	global_load_dword v2, v[2:3], off
	v_add_u32_e32 v1, 0x100, v1
	s_waitcnt vmcnt(0)
	v_cvt_f64_f32_e32 v[12:13], v2
.LBB197_9:
	s_or_b64 exec, exec, s[8:9]
	v_cmp_gt_i32_e64 s[0:1], s10, v1
	s_and_saveexec_b64 s[8:9], s[0:1]
	s_cbranch_execz .LBB197_11
; %bb.10:
	v_add_u32_e32 v2, s2, v1
	v_mov_b32_e32 v3, 0
	v_lshl_add_u64 v[2:3], v[2:3], 2, s[6:7]
	global_load_dword v1, v[2:3], off
	s_waitcnt vmcnt(0)
	v_cvt_f64_f32_e32 v[8:9], v1
.LBB197_11:
	s_or_b64 exec, exec, s[8:9]
	v_mov_b32_e32 v2, 0
	v_mov_b32_e32 v3, v2
	;; [unrolled: 1-line block ×4, first 2 shown]
	s_and_saveexec_b64 s[6:7], vcc
	s_cbranch_execz .LBB197_13
; %bb.12:
	v_rsq_f64_e32 v[4:5], v[14:15]
	s_mov_b32 s0, 0
	s_mov_b32 s1, 0x3fd80000
	v_mov_b32_e32 v1, 0x180
	v_mul_f64 v[14:15], v[4:5], -v[14:15]
	v_fma_f64 v[14:15], v[14:15], v[4:5], 1.0
	v_mul_f64 v[16:17], v[4:5], v[14:15]
	v_fma_f64 v[14:15], v[14:15], s[0:1], 0.5
	v_fma_f64 v[14:15], v[16:17], v[14:15], v[4:5]
	v_cmp_class_f64_e64 s[0:1], v[4:5], v1
	v_mov_b32_e32 v16, v2
	v_mov_b32_e32 v17, v2
	v_cndmask_b32_e64 v5, v5, v15, s[0:1]
	v_cndmask_b32_e64 v4, v4, v14, s[0:1]
	v_cvt_f32_f64_e32 v14, v[4:5]
	v_mov_b32_e32 v15, v2
	v_mov_b64_e32 v[2:3], v[14:15]
	v_mov_b64_e32 v[4:5], v[16:17]
.LBB197_13:
	s_or_b64 exec, exec, s[6:7]
	v_or_b32_e32 v1, 0x100, v0
	v_cmp_gt_i32_e64 s[0:1], s10, v1
	s_and_saveexec_b64 s[6:7], s[0:1]
	s_cbranch_execz .LBB197_15
; %bb.14:
	v_rsq_f64_e32 v[14:15], v[10:11]
	s_mov_b32 s0, 0
	s_mov_b32 s1, 0x3fd80000
	v_mov_b32_e32 v3, 0x180
	v_mul_f64 v[10:11], v[14:15], -v[10:11]
	v_fma_f64 v[10:11], v[10:11], v[14:15], 1.0
	v_mul_f64 v[16:17], v[14:15], v[10:11]
	v_fma_f64 v[10:11], v[10:11], s[0:1], 0.5
	v_fma_f64 v[10:11], v[16:17], v[10:11], v[14:15]
	v_cmp_class_f64_e64 s[0:1], v[14:15], v3
	s_nop 1
	v_cndmask_b32_e64 v11, v15, v11, s[0:1]
	v_cndmask_b32_e64 v10, v14, v10, s[0:1]
	v_cvt_f32_f64_e32 v3, v[10:11]
.LBB197_15:
	s_or_b64 exec, exec, s[6:7]
	v_or_b32_e32 v7, 0x200, v0
	v_cmp_gt_i32_e64 s[0:1], s10, v7
	s_and_saveexec_b64 s[6:7], s[0:1]
	s_cbranch_execz .LBB197_17
; %bb.16:
	v_rsq_f64_e32 v[10:11], v[12:13]
	s_mov_b32 s0, 0
	s_mov_b32 s1, 0x3fd80000
	v_mov_b32_e32 v4, 0x180
	v_mul_f64 v[12:13], v[10:11], -v[12:13]
	v_fma_f64 v[12:13], v[12:13], v[10:11], 1.0
	v_mul_f64 v[14:15], v[10:11], v[12:13]
	v_fma_f64 v[12:13], v[12:13], s[0:1], 0.5
	v_fma_f64 v[12:13], v[14:15], v[12:13], v[10:11]
	v_cmp_class_f64_e64 s[0:1], v[10:11], v4
	s_nop 1
	v_cndmask_b32_e64 v11, v11, v13, s[0:1]
	v_cndmask_b32_e64 v10, v10, v12, s[0:1]
	v_cvt_f32_f64_e32 v4, v[10:11]
.LBB197_17:
	s_or_b64 exec, exec, s[6:7]
	v_or_b32_e32 v7, 0x300, v0
	v_cmp_gt_i32_e64 s[0:1], s10, v7
	s_and_saveexec_b64 s[6:7], s[0:1]
	s_cbranch_execnz .LBB197_24
; %bb.18:
	s_or_b64 exec, exec, s[6:7]
	s_and_saveexec_b64 s[0:1], vcc
	s_xor_b64 s[0:1], exec, s[0:1]
	s_cbranch_execnz .LBB197_25
.LBB197_19:
	s_or_b64 exec, exec, s[0:1]
	v_cmp_gt_i32_e32 vcc, s10, v0
	s_and_saveexec_b64 s[0:1], vcc
	s_cbranch_execnz .LBB197_26
.LBB197_20:
	s_or_b64 exec, exec, s[0:1]
	v_cmp_gt_i32_e32 vcc, s10, v0
	s_and_saveexec_b64 s[0:1], vcc
	s_cbranch_execnz .LBB197_27
.LBB197_21:
	s_or_b64 exec, exec, s[0:1]
	v_cmp_gt_i32_e32 vcc, s10, v0
	s_and_saveexec_b64 s[0:1], vcc
	s_cbranch_execz .LBB197_23
.LBB197_22:
	v_add_u32_e32 v0, s2, v0
	v_mov_b32_e32 v1, 0
	v_lshl_add_u64 v[0:1], v[0:1], 2, s[4:5]
	global_store_dword v[0:1], v5, off
.LBB197_23:
	s_endpgm
.LBB197_24:
	v_rsq_f64_e32 v[10:11], v[8:9]
	s_mov_b32 s0, 0
	s_mov_b32 s1, 0x3fd80000
	v_mov_b32_e32 v5, 0x180
	v_mul_f64 v[8:9], v[10:11], -v[8:9]
	v_fma_f64 v[8:9], v[8:9], v[10:11], 1.0
	v_mul_f64 v[12:13], v[10:11], v[8:9]
	v_fma_f64 v[8:9], v[8:9], s[0:1], 0.5
	v_fma_f64 v[8:9], v[12:13], v[8:9], v[10:11]
	v_cmp_class_f64_e64 s[0:1], v[10:11], v5
	s_nop 1
	v_cndmask_b32_e64 v9, v11, v9, s[0:1]
	v_cndmask_b32_e64 v8, v10, v8, s[0:1]
	v_cvt_f32_f64_e32 v5, v[8:9]
	s_or_b64 exec, exec, s[6:7]
	s_and_saveexec_b64 s[0:1], vcc
	s_xor_b64 s[0:1], exec, s[0:1]
	s_cbranch_execz .LBB197_19
.LBB197_25:
	v_mov_b32_e32 v7, 0
	v_lshl_add_u64 v[6:7], v[6:7], 2, s[4:5]
	v_mov_b32_e32 v0, v1
	global_store_dword v[6:7], v2, off
	s_or_b64 exec, exec, s[0:1]
	v_cmp_gt_i32_e32 vcc, s10, v0
	s_and_saveexec_b64 s[0:1], vcc
	s_cbranch_execz .LBB197_20
.LBB197_26:
	v_add_u32_e32 v6, s2, v0
	v_mov_b32_e32 v7, 0
	v_lshl_add_u64 v[6:7], v[6:7], 2, s[4:5]
	v_add_u32_e32 v0, 0x100, v0
	global_store_dword v[6:7], v3, off
	s_or_b64 exec, exec, s[0:1]
	v_cmp_gt_i32_e32 vcc, s10, v0
	s_and_saveexec_b64 s[0:1], vcc
	s_cbranch_execz .LBB197_21
.LBB197_27:
	v_add_u32_e32 v2, s2, v0
	v_mov_b32_e32 v3, 0
	v_lshl_add_u64 v[2:3], v[2:3], 2, s[4:5]
	v_add_u32_e32 v0, 0x100, v0
	global_store_dword v[2:3], v4, off
	s_or_b64 exec, exec, s[0:1]
	v_cmp_gt_i32_e32 vcc, s10, v0
	s_and_saveexec_b64 s[0:1], vcc
	s_cbranch_execnz .LBB197_22
	s_branch .LBB197_23
	.section	.rodata,"a",@progbits
	.p2align	6, 0x0
	.amdhsa_kernel _ZN2at6native29vectorized_elementwise_kernelILi2EZZZNS0_17rsqrt_kernel_cudaERNS_18TensorIteratorBaseEENKUlvE0_clEvENKUlvE0_clEvEUlfE_St5arrayIPcLm2EEEEviT0_T1_
		.amdhsa_group_segment_fixed_size 0
		.amdhsa_private_segment_fixed_size 0
		.amdhsa_kernarg_size 24
		.amdhsa_user_sgpr_count 2
		.amdhsa_user_sgpr_dispatch_ptr 0
		.amdhsa_user_sgpr_queue_ptr 0
		.amdhsa_user_sgpr_kernarg_segment_ptr 1
		.amdhsa_user_sgpr_dispatch_id 0
		.amdhsa_user_sgpr_kernarg_preload_length 0
		.amdhsa_user_sgpr_kernarg_preload_offset 0
		.amdhsa_user_sgpr_private_segment_size 0
		.amdhsa_uses_dynamic_stack 0
		.amdhsa_enable_private_segment 0
		.amdhsa_system_sgpr_workgroup_id_x 1
		.amdhsa_system_sgpr_workgroup_id_y 0
		.amdhsa_system_sgpr_workgroup_id_z 0
		.amdhsa_system_sgpr_workgroup_info 0
		.amdhsa_system_vgpr_workitem_id 0
		.amdhsa_next_free_vgpr 27
		.amdhsa_next_free_sgpr 11
		.amdhsa_accum_offset 28
		.amdhsa_reserve_vcc 1
		.amdhsa_float_round_mode_32 0
		.amdhsa_float_round_mode_16_64 0
		.amdhsa_float_denorm_mode_32 3
		.amdhsa_float_denorm_mode_16_64 3
		.amdhsa_dx10_clamp 1
		.amdhsa_ieee_mode 1
		.amdhsa_fp16_overflow 0
		.amdhsa_tg_split 0
		.amdhsa_exception_fp_ieee_invalid_op 0
		.amdhsa_exception_fp_denorm_src 0
		.amdhsa_exception_fp_ieee_div_zero 0
		.amdhsa_exception_fp_ieee_overflow 0
		.amdhsa_exception_fp_ieee_underflow 0
		.amdhsa_exception_fp_ieee_inexact 0
		.amdhsa_exception_int_div_zero 0
	.end_amdhsa_kernel
	.section	.text._ZN2at6native29vectorized_elementwise_kernelILi2EZZZNS0_17rsqrt_kernel_cudaERNS_18TensorIteratorBaseEENKUlvE0_clEvENKUlvE0_clEvEUlfE_St5arrayIPcLm2EEEEviT0_T1_,"axG",@progbits,_ZN2at6native29vectorized_elementwise_kernelILi2EZZZNS0_17rsqrt_kernel_cudaERNS_18TensorIteratorBaseEENKUlvE0_clEvENKUlvE0_clEvEUlfE_St5arrayIPcLm2EEEEviT0_T1_,comdat
.Lfunc_end197:
	.size	_ZN2at6native29vectorized_elementwise_kernelILi2EZZZNS0_17rsqrt_kernel_cudaERNS_18TensorIteratorBaseEENKUlvE0_clEvENKUlvE0_clEvEUlfE_St5arrayIPcLm2EEEEviT0_T1_, .Lfunc_end197-_ZN2at6native29vectorized_elementwise_kernelILi2EZZZNS0_17rsqrt_kernel_cudaERNS_18TensorIteratorBaseEENKUlvE0_clEvENKUlvE0_clEvEUlfE_St5arrayIPcLm2EEEEviT0_T1_
                                        ; -- End function
	.set _ZN2at6native29vectorized_elementwise_kernelILi2EZZZNS0_17rsqrt_kernel_cudaERNS_18TensorIteratorBaseEENKUlvE0_clEvENKUlvE0_clEvEUlfE_St5arrayIPcLm2EEEEviT0_T1_.num_vgpr, 27
	.set _ZN2at6native29vectorized_elementwise_kernelILi2EZZZNS0_17rsqrt_kernel_cudaERNS_18TensorIteratorBaseEENKUlvE0_clEvENKUlvE0_clEvEUlfE_St5arrayIPcLm2EEEEviT0_T1_.num_agpr, 0
	.set _ZN2at6native29vectorized_elementwise_kernelILi2EZZZNS0_17rsqrt_kernel_cudaERNS_18TensorIteratorBaseEENKUlvE0_clEvENKUlvE0_clEvEUlfE_St5arrayIPcLm2EEEEviT0_T1_.numbered_sgpr, 11
	.set _ZN2at6native29vectorized_elementwise_kernelILi2EZZZNS0_17rsqrt_kernel_cudaERNS_18TensorIteratorBaseEENKUlvE0_clEvENKUlvE0_clEvEUlfE_St5arrayIPcLm2EEEEviT0_T1_.num_named_barrier, 0
	.set _ZN2at6native29vectorized_elementwise_kernelILi2EZZZNS0_17rsqrt_kernel_cudaERNS_18TensorIteratorBaseEENKUlvE0_clEvENKUlvE0_clEvEUlfE_St5arrayIPcLm2EEEEviT0_T1_.private_seg_size, 0
	.set _ZN2at6native29vectorized_elementwise_kernelILi2EZZZNS0_17rsqrt_kernel_cudaERNS_18TensorIteratorBaseEENKUlvE0_clEvENKUlvE0_clEvEUlfE_St5arrayIPcLm2EEEEviT0_T1_.uses_vcc, 1
	.set _ZN2at6native29vectorized_elementwise_kernelILi2EZZZNS0_17rsqrt_kernel_cudaERNS_18TensorIteratorBaseEENKUlvE0_clEvENKUlvE0_clEvEUlfE_St5arrayIPcLm2EEEEviT0_T1_.uses_flat_scratch, 0
	.set _ZN2at6native29vectorized_elementwise_kernelILi2EZZZNS0_17rsqrt_kernel_cudaERNS_18TensorIteratorBaseEENKUlvE0_clEvENKUlvE0_clEvEUlfE_St5arrayIPcLm2EEEEviT0_T1_.has_dyn_sized_stack, 0
	.set _ZN2at6native29vectorized_elementwise_kernelILi2EZZZNS0_17rsqrt_kernel_cudaERNS_18TensorIteratorBaseEENKUlvE0_clEvENKUlvE0_clEvEUlfE_St5arrayIPcLm2EEEEviT0_T1_.has_recursion, 0
	.set _ZN2at6native29vectorized_elementwise_kernelILi2EZZZNS0_17rsqrt_kernel_cudaERNS_18TensorIteratorBaseEENKUlvE0_clEvENKUlvE0_clEvEUlfE_St5arrayIPcLm2EEEEviT0_T1_.has_indirect_call, 0
	.section	.AMDGPU.csdata,"",@progbits
; Kernel info:
; codeLenInByte = 1400
; TotalNumSgprs: 17
; NumVgprs: 27
; NumAgprs: 0
; TotalNumVgprs: 27
; ScratchSize: 0
; MemoryBound: 0
; FloatMode: 240
; IeeeMode: 1
; LDSByteSize: 0 bytes/workgroup (compile time only)
; SGPRBlocks: 2
; VGPRBlocks: 3
; NumSGPRsForWavesPerEU: 17
; NumVGPRsForWavesPerEU: 27
; AccumOffset: 28
; Occupancy: 8
; WaveLimiterHint : 1
; COMPUTE_PGM_RSRC2:SCRATCH_EN: 0
; COMPUTE_PGM_RSRC2:USER_SGPR: 2
; COMPUTE_PGM_RSRC2:TRAP_HANDLER: 0
; COMPUTE_PGM_RSRC2:TGID_X_EN: 1
; COMPUTE_PGM_RSRC2:TGID_Y_EN: 0
; COMPUTE_PGM_RSRC2:TGID_Z_EN: 0
; COMPUTE_PGM_RSRC2:TIDIG_COMP_CNT: 0
; COMPUTE_PGM_RSRC3_GFX90A:ACCUM_OFFSET: 6
; COMPUTE_PGM_RSRC3_GFX90A:TG_SPLIT: 0
	.section	.text._ZN2at6native27unrolled_elementwise_kernelIZZZNS0_17rsqrt_kernel_cudaERNS_18TensorIteratorBaseEENKUlvE0_clEvENKUlvE0_clEvEUlfE_St5arrayIPcLm2EELi4E23TrivialOffsetCalculatorILi1EjESB_NS0_6memory15LoadWithoutCastENSC_16StoreWithoutCastEEEviT_T0_T2_T3_T4_T5_,"axG",@progbits,_ZN2at6native27unrolled_elementwise_kernelIZZZNS0_17rsqrt_kernel_cudaERNS_18TensorIteratorBaseEENKUlvE0_clEvENKUlvE0_clEvEUlfE_St5arrayIPcLm2EELi4E23TrivialOffsetCalculatorILi1EjESB_NS0_6memory15LoadWithoutCastENSC_16StoreWithoutCastEEEviT_T0_T2_T3_T4_T5_,comdat
	.globl	_ZN2at6native27unrolled_elementwise_kernelIZZZNS0_17rsqrt_kernel_cudaERNS_18TensorIteratorBaseEENKUlvE0_clEvENKUlvE0_clEvEUlfE_St5arrayIPcLm2EELi4E23TrivialOffsetCalculatorILi1EjESB_NS0_6memory15LoadWithoutCastENSC_16StoreWithoutCastEEEviT_T0_T2_T3_T4_T5_ ; -- Begin function _ZN2at6native27unrolled_elementwise_kernelIZZZNS0_17rsqrt_kernel_cudaERNS_18TensorIteratorBaseEENKUlvE0_clEvENKUlvE0_clEvEUlfE_St5arrayIPcLm2EELi4E23TrivialOffsetCalculatorILi1EjESB_NS0_6memory15LoadWithoutCastENSC_16StoreWithoutCastEEEviT_T0_T2_T3_T4_T5_
	.p2align	8
	.type	_ZN2at6native27unrolled_elementwise_kernelIZZZNS0_17rsqrt_kernel_cudaERNS_18TensorIteratorBaseEENKUlvE0_clEvENKUlvE0_clEvEUlfE_St5arrayIPcLm2EELi4E23TrivialOffsetCalculatorILi1EjESB_NS0_6memory15LoadWithoutCastENSC_16StoreWithoutCastEEEviT_T0_T2_T3_T4_T5_,@function
_ZN2at6native27unrolled_elementwise_kernelIZZZNS0_17rsqrt_kernel_cudaERNS_18TensorIteratorBaseEENKUlvE0_clEvENKUlvE0_clEvEUlfE_St5arrayIPcLm2EELi4E23TrivialOffsetCalculatorILi1EjESB_NS0_6memory15LoadWithoutCastENSC_16StoreWithoutCastEEEviT_T0_T2_T3_T4_T5_: ; @_ZN2at6native27unrolled_elementwise_kernelIZZZNS0_17rsqrt_kernel_cudaERNS_18TensorIteratorBaseEENKUlvE0_clEvENKUlvE0_clEvEUlfE_St5arrayIPcLm2EELi4E23TrivialOffsetCalculatorILi1EjESB_NS0_6memory15LoadWithoutCastENSC_16StoreWithoutCastEEEviT_T0_T2_T3_T4_T5_
; %bb.0:
	s_load_dword s3, s[0:1], 0x0
	s_load_dwordx4 s[4:7], s[0:1], 0x8
	s_lshl_b32 s8, s2, 10
	v_mov_b64_e32 v[10:11], 0
	v_or_b32_e32 v6, s8, v0
	s_waitcnt lgkmcnt(0)
	s_sub_i32 s9, s3, s8
	v_cmp_gt_i32_e32 vcc, s9, v0
	v_mov_b64_e32 v[14:15], 0
	v_mov_b32_e32 v1, v0
	s_and_saveexec_b64 s[0:1], vcc
	s_cbranch_execz .LBB198_2
; %bb.1:
	v_mov_b32_e32 v7, 0
	v_lshl_add_u64 v[2:3], v[6:7], 2, s[6:7]
	global_load_dword v2, v[2:3], off
	v_or_b32_e32 v1, 0x100, v0
	s_waitcnt vmcnt(0)
	v_cvt_f64_f32_e32 v[14:15], v2
.LBB198_2:
	s_or_b64 exec, exec, s[0:1]
	v_cmp_gt_i32_e64 s[0:1], s9, v1
	s_and_saveexec_b64 s[2:3], s[0:1]
	s_cbranch_execz .LBB198_4
; %bb.3:
	v_add_u32_e32 v2, s8, v1
	v_mov_b32_e32 v3, 0
	v_lshl_add_u64 v[2:3], v[2:3], 2, s[6:7]
	global_load_dword v2, v[2:3], off
	v_add_u32_e32 v1, 0x100, v1
	s_waitcnt vmcnt(0)
	v_cvt_f64_f32_e32 v[10:11], v2
.LBB198_4:
	s_or_b64 exec, exec, s[2:3]
	v_cmp_gt_i32_e64 s[0:1], s9, v1
	v_mov_b64_e32 v[8:9], 0
	v_mov_b64_e32 v[12:13], 0
	s_and_saveexec_b64 s[2:3], s[0:1]
	s_cbranch_execz .LBB198_6
; %bb.5:
	v_add_u32_e32 v2, s8, v1
	v_mov_b32_e32 v3, 0
	v_lshl_add_u64 v[2:3], v[2:3], 2, s[6:7]
	global_load_dword v2, v[2:3], off
	v_add_u32_e32 v1, 0x100, v1
	s_waitcnt vmcnt(0)
	v_cvt_f64_f32_e32 v[12:13], v2
.LBB198_6:
	s_or_b64 exec, exec, s[2:3]
	v_cmp_gt_i32_e64 s[0:1], s9, v1
	s_and_saveexec_b64 s[2:3], s[0:1]
	s_cbranch_execz .LBB198_8
; %bb.7:
	v_add_u32_e32 v2, s8, v1
	v_mov_b32_e32 v3, 0
	v_lshl_add_u64 v[2:3], v[2:3], 2, s[6:7]
	global_load_dword v1, v[2:3], off
	s_waitcnt vmcnt(0)
	v_cvt_f64_f32_e32 v[8:9], v1
.LBB198_8:
	s_or_b64 exec, exec, s[2:3]
	v_mov_b32_e32 v2, 0
	v_mov_b32_e32 v3, v2
	;; [unrolled: 1-line block ×4, first 2 shown]
	s_and_saveexec_b64 s[2:3], vcc
	s_cbranch_execz .LBB198_10
; %bb.9:
	v_rsq_f64_e32 v[4:5], v[14:15]
	s_mov_b32 s0, 0
	s_mov_b32 s1, 0x3fd80000
	v_mov_b32_e32 v1, 0x180
	v_mul_f64 v[14:15], v[4:5], -v[14:15]
	v_fma_f64 v[14:15], v[14:15], v[4:5], 1.0
	v_mul_f64 v[16:17], v[4:5], v[14:15]
	v_fma_f64 v[14:15], v[14:15], s[0:1], 0.5
	v_fma_f64 v[14:15], v[16:17], v[14:15], v[4:5]
	v_cmp_class_f64_e64 s[0:1], v[4:5], v1
	v_mov_b32_e32 v16, v2
	v_mov_b32_e32 v17, v2
	v_cndmask_b32_e64 v5, v5, v15, s[0:1]
	v_cndmask_b32_e64 v4, v4, v14, s[0:1]
	v_cvt_f32_f64_e32 v14, v[4:5]
	v_mov_b32_e32 v15, v2
	v_mov_b64_e32 v[2:3], v[14:15]
	v_mov_b64_e32 v[4:5], v[16:17]
.LBB198_10:
	s_or_b64 exec, exec, s[2:3]
	v_or_b32_e32 v1, 0x100, v0
	v_cmp_gt_i32_e64 s[0:1], s9, v1
	s_and_saveexec_b64 s[2:3], s[0:1]
	s_cbranch_execz .LBB198_12
; %bb.11:
	v_rsq_f64_e32 v[14:15], v[10:11]
	s_mov_b32 s0, 0
	s_mov_b32 s1, 0x3fd80000
	v_mov_b32_e32 v3, 0x180
	v_mul_f64 v[10:11], v[14:15], -v[10:11]
	v_fma_f64 v[10:11], v[10:11], v[14:15], 1.0
	v_mul_f64 v[16:17], v[14:15], v[10:11]
	v_fma_f64 v[10:11], v[10:11], s[0:1], 0.5
	v_fma_f64 v[10:11], v[16:17], v[10:11], v[14:15]
	v_cmp_class_f64_e64 s[0:1], v[14:15], v3
	s_nop 1
	v_cndmask_b32_e64 v11, v15, v11, s[0:1]
	v_cndmask_b32_e64 v10, v14, v10, s[0:1]
	v_cvt_f32_f64_e32 v3, v[10:11]
.LBB198_12:
	s_or_b64 exec, exec, s[2:3]
	v_or_b32_e32 v7, 0x200, v0
	v_cmp_gt_i32_e64 s[0:1], s9, v7
	s_and_saveexec_b64 s[2:3], s[0:1]
	s_cbranch_execz .LBB198_14
; %bb.13:
	v_rsq_f64_e32 v[10:11], v[12:13]
	s_mov_b32 s0, 0
	s_mov_b32 s1, 0x3fd80000
	v_mov_b32_e32 v4, 0x180
	v_mul_f64 v[12:13], v[10:11], -v[12:13]
	v_fma_f64 v[12:13], v[12:13], v[10:11], 1.0
	v_mul_f64 v[14:15], v[10:11], v[12:13]
	v_fma_f64 v[12:13], v[12:13], s[0:1], 0.5
	v_fma_f64 v[12:13], v[14:15], v[12:13], v[10:11]
	v_cmp_class_f64_e64 s[0:1], v[10:11], v4
	s_nop 1
	v_cndmask_b32_e64 v11, v11, v13, s[0:1]
	v_cndmask_b32_e64 v10, v10, v12, s[0:1]
	v_cvt_f32_f64_e32 v4, v[10:11]
.LBB198_14:
	s_or_b64 exec, exec, s[2:3]
	v_or_b32_e32 v7, 0x300, v0
	v_cmp_gt_i32_e64 s[0:1], s9, v7
	s_and_saveexec_b64 s[2:3], s[0:1]
	s_cbranch_execnz .LBB198_20
; %bb.15:
	s_or_b64 exec, exec, s[2:3]
	s_and_saveexec_b64 s[0:1], vcc
	s_xor_b64 s[0:1], exec, s[0:1]
	s_cbranch_execnz .LBB198_21
.LBB198_16:
	s_or_b64 exec, exec, s[0:1]
	v_cmp_gt_i32_e32 vcc, s9, v0
	s_and_saveexec_b64 s[0:1], vcc
	s_cbranch_execnz .LBB198_22
.LBB198_17:
	s_or_b64 exec, exec, s[0:1]
	v_cmp_gt_i32_e32 vcc, s9, v0
	s_and_saveexec_b64 s[0:1], vcc
	s_cbranch_execnz .LBB198_23
.LBB198_18:
	s_or_b64 exec, exec, s[0:1]
	v_cmp_gt_i32_e32 vcc, s9, v0
	s_and_saveexec_b64 s[0:1], vcc
	s_cbranch_execnz .LBB198_24
.LBB198_19:
	s_endpgm
.LBB198_20:
	v_rsq_f64_e32 v[10:11], v[8:9]
	s_mov_b32 s0, 0
	s_mov_b32 s1, 0x3fd80000
	v_mov_b32_e32 v5, 0x180
	v_mul_f64 v[8:9], v[10:11], -v[8:9]
	v_fma_f64 v[8:9], v[8:9], v[10:11], 1.0
	v_mul_f64 v[12:13], v[10:11], v[8:9]
	v_fma_f64 v[8:9], v[8:9], s[0:1], 0.5
	v_fma_f64 v[8:9], v[12:13], v[8:9], v[10:11]
	v_cmp_class_f64_e64 s[0:1], v[10:11], v5
	s_nop 1
	v_cndmask_b32_e64 v9, v11, v9, s[0:1]
	v_cndmask_b32_e64 v8, v10, v8, s[0:1]
	v_cvt_f32_f64_e32 v5, v[8:9]
	s_or_b64 exec, exec, s[2:3]
	s_and_saveexec_b64 s[0:1], vcc
	s_xor_b64 s[0:1], exec, s[0:1]
	s_cbranch_execz .LBB198_16
.LBB198_21:
	v_mov_b32_e32 v7, 0
	v_lshl_add_u64 v[6:7], v[6:7], 2, s[4:5]
	v_mov_b32_e32 v0, v1
	global_store_dword v[6:7], v2, off
	s_or_b64 exec, exec, s[0:1]
	v_cmp_gt_i32_e32 vcc, s9, v0
	s_and_saveexec_b64 s[0:1], vcc
	s_cbranch_execz .LBB198_17
.LBB198_22:
	v_add_u32_e32 v2, 0x100, v0
	v_add_u32_e32 v0, s8, v0
	v_mov_b32_e32 v1, 0
	v_lshl_add_u64 v[0:1], v[0:1], 2, s[4:5]
	global_store_dword v[0:1], v3, off
	v_mov_b32_e32 v0, v2
	s_or_b64 exec, exec, s[0:1]
	v_cmp_gt_i32_e32 vcc, s9, v0
	s_and_saveexec_b64 s[0:1], vcc
	s_cbranch_execz .LBB198_18
.LBB198_23:
	v_add_u32_e32 v2, 0x100, v0
	v_add_u32_e32 v0, s8, v0
	v_mov_b32_e32 v1, 0
	v_lshl_add_u64 v[0:1], v[0:1], 2, s[4:5]
	global_store_dword v[0:1], v4, off
	v_mov_b32_e32 v0, v2
	s_or_b64 exec, exec, s[0:1]
	v_cmp_gt_i32_e32 vcc, s9, v0
	s_and_saveexec_b64 s[0:1], vcc
	s_cbranch_execz .LBB198_19
.LBB198_24:
	v_add_u32_e32 v0, s8, v0
	v_mov_b32_e32 v1, 0
	v_lshl_add_u64 v[0:1], v[0:1], 2, s[4:5]
	global_store_dword v[0:1], v5, off
	s_endpgm
	.section	.rodata,"a",@progbits
	.p2align	6, 0x0
	.amdhsa_kernel _ZN2at6native27unrolled_elementwise_kernelIZZZNS0_17rsqrt_kernel_cudaERNS_18TensorIteratorBaseEENKUlvE0_clEvENKUlvE0_clEvEUlfE_St5arrayIPcLm2EELi4E23TrivialOffsetCalculatorILi1EjESB_NS0_6memory15LoadWithoutCastENSC_16StoreWithoutCastEEEviT_T0_T2_T3_T4_T5_
		.amdhsa_group_segment_fixed_size 0
		.amdhsa_private_segment_fixed_size 0
		.amdhsa_kernarg_size 28
		.amdhsa_user_sgpr_count 2
		.amdhsa_user_sgpr_dispatch_ptr 0
		.amdhsa_user_sgpr_queue_ptr 0
		.amdhsa_user_sgpr_kernarg_segment_ptr 1
		.amdhsa_user_sgpr_dispatch_id 0
		.amdhsa_user_sgpr_kernarg_preload_length 0
		.amdhsa_user_sgpr_kernarg_preload_offset 0
		.amdhsa_user_sgpr_private_segment_size 0
		.amdhsa_uses_dynamic_stack 0
		.amdhsa_enable_private_segment 0
		.amdhsa_system_sgpr_workgroup_id_x 1
		.amdhsa_system_sgpr_workgroup_id_y 0
		.amdhsa_system_sgpr_workgroup_id_z 0
		.amdhsa_system_sgpr_workgroup_info 0
		.amdhsa_system_vgpr_workitem_id 0
		.amdhsa_next_free_vgpr 18
		.amdhsa_next_free_sgpr 10
		.amdhsa_accum_offset 20
		.amdhsa_reserve_vcc 1
		.amdhsa_float_round_mode_32 0
		.amdhsa_float_round_mode_16_64 0
		.amdhsa_float_denorm_mode_32 3
		.amdhsa_float_denorm_mode_16_64 3
		.amdhsa_dx10_clamp 1
		.amdhsa_ieee_mode 1
		.amdhsa_fp16_overflow 0
		.amdhsa_tg_split 0
		.amdhsa_exception_fp_ieee_invalid_op 0
		.amdhsa_exception_fp_denorm_src 0
		.amdhsa_exception_fp_ieee_div_zero 0
		.amdhsa_exception_fp_ieee_overflow 0
		.amdhsa_exception_fp_ieee_underflow 0
		.amdhsa_exception_fp_ieee_inexact 0
		.amdhsa_exception_int_div_zero 0
	.end_amdhsa_kernel
	.section	.text._ZN2at6native27unrolled_elementwise_kernelIZZZNS0_17rsqrt_kernel_cudaERNS_18TensorIteratorBaseEENKUlvE0_clEvENKUlvE0_clEvEUlfE_St5arrayIPcLm2EELi4E23TrivialOffsetCalculatorILi1EjESB_NS0_6memory15LoadWithoutCastENSC_16StoreWithoutCastEEEviT_T0_T2_T3_T4_T5_,"axG",@progbits,_ZN2at6native27unrolled_elementwise_kernelIZZZNS0_17rsqrt_kernel_cudaERNS_18TensorIteratorBaseEENKUlvE0_clEvENKUlvE0_clEvEUlfE_St5arrayIPcLm2EELi4E23TrivialOffsetCalculatorILi1EjESB_NS0_6memory15LoadWithoutCastENSC_16StoreWithoutCastEEEviT_T0_T2_T3_T4_T5_,comdat
.Lfunc_end198:
	.size	_ZN2at6native27unrolled_elementwise_kernelIZZZNS0_17rsqrt_kernel_cudaERNS_18TensorIteratorBaseEENKUlvE0_clEvENKUlvE0_clEvEUlfE_St5arrayIPcLm2EELi4E23TrivialOffsetCalculatorILi1EjESB_NS0_6memory15LoadWithoutCastENSC_16StoreWithoutCastEEEviT_T0_T2_T3_T4_T5_, .Lfunc_end198-_ZN2at6native27unrolled_elementwise_kernelIZZZNS0_17rsqrt_kernel_cudaERNS_18TensorIteratorBaseEENKUlvE0_clEvENKUlvE0_clEvEUlfE_St5arrayIPcLm2EELi4E23TrivialOffsetCalculatorILi1EjESB_NS0_6memory15LoadWithoutCastENSC_16StoreWithoutCastEEEviT_T0_T2_T3_T4_T5_
                                        ; -- End function
	.set _ZN2at6native27unrolled_elementwise_kernelIZZZNS0_17rsqrt_kernel_cudaERNS_18TensorIteratorBaseEENKUlvE0_clEvENKUlvE0_clEvEUlfE_St5arrayIPcLm2EELi4E23TrivialOffsetCalculatorILi1EjESB_NS0_6memory15LoadWithoutCastENSC_16StoreWithoutCastEEEviT_T0_T2_T3_T4_T5_.num_vgpr, 18
	.set _ZN2at6native27unrolled_elementwise_kernelIZZZNS0_17rsqrt_kernel_cudaERNS_18TensorIteratorBaseEENKUlvE0_clEvENKUlvE0_clEvEUlfE_St5arrayIPcLm2EELi4E23TrivialOffsetCalculatorILi1EjESB_NS0_6memory15LoadWithoutCastENSC_16StoreWithoutCastEEEviT_T0_T2_T3_T4_T5_.num_agpr, 0
	.set _ZN2at6native27unrolled_elementwise_kernelIZZZNS0_17rsqrt_kernel_cudaERNS_18TensorIteratorBaseEENKUlvE0_clEvENKUlvE0_clEvEUlfE_St5arrayIPcLm2EELi4E23TrivialOffsetCalculatorILi1EjESB_NS0_6memory15LoadWithoutCastENSC_16StoreWithoutCastEEEviT_T0_T2_T3_T4_T5_.numbered_sgpr, 10
	.set _ZN2at6native27unrolled_elementwise_kernelIZZZNS0_17rsqrt_kernel_cudaERNS_18TensorIteratorBaseEENKUlvE0_clEvENKUlvE0_clEvEUlfE_St5arrayIPcLm2EELi4E23TrivialOffsetCalculatorILi1EjESB_NS0_6memory15LoadWithoutCastENSC_16StoreWithoutCastEEEviT_T0_T2_T3_T4_T5_.num_named_barrier, 0
	.set _ZN2at6native27unrolled_elementwise_kernelIZZZNS0_17rsqrt_kernel_cudaERNS_18TensorIteratorBaseEENKUlvE0_clEvENKUlvE0_clEvEUlfE_St5arrayIPcLm2EELi4E23TrivialOffsetCalculatorILi1EjESB_NS0_6memory15LoadWithoutCastENSC_16StoreWithoutCastEEEviT_T0_T2_T3_T4_T5_.private_seg_size, 0
	.set _ZN2at6native27unrolled_elementwise_kernelIZZZNS0_17rsqrt_kernel_cudaERNS_18TensorIteratorBaseEENKUlvE0_clEvENKUlvE0_clEvEUlfE_St5arrayIPcLm2EELi4E23TrivialOffsetCalculatorILi1EjESB_NS0_6memory15LoadWithoutCastENSC_16StoreWithoutCastEEEviT_T0_T2_T3_T4_T5_.uses_vcc, 1
	.set _ZN2at6native27unrolled_elementwise_kernelIZZZNS0_17rsqrt_kernel_cudaERNS_18TensorIteratorBaseEENKUlvE0_clEvENKUlvE0_clEvEUlfE_St5arrayIPcLm2EELi4E23TrivialOffsetCalculatorILi1EjESB_NS0_6memory15LoadWithoutCastENSC_16StoreWithoutCastEEEviT_T0_T2_T3_T4_T5_.uses_flat_scratch, 0
	.set _ZN2at6native27unrolled_elementwise_kernelIZZZNS0_17rsqrt_kernel_cudaERNS_18TensorIteratorBaseEENKUlvE0_clEvENKUlvE0_clEvEUlfE_St5arrayIPcLm2EELi4E23TrivialOffsetCalculatorILi1EjESB_NS0_6memory15LoadWithoutCastENSC_16StoreWithoutCastEEEviT_T0_T2_T3_T4_T5_.has_dyn_sized_stack, 0
	.set _ZN2at6native27unrolled_elementwise_kernelIZZZNS0_17rsqrt_kernel_cudaERNS_18TensorIteratorBaseEENKUlvE0_clEvENKUlvE0_clEvEUlfE_St5arrayIPcLm2EELi4E23TrivialOffsetCalculatorILi1EjESB_NS0_6memory15LoadWithoutCastENSC_16StoreWithoutCastEEEviT_T0_T2_T3_T4_T5_.has_recursion, 0
	.set _ZN2at6native27unrolled_elementwise_kernelIZZZNS0_17rsqrt_kernel_cudaERNS_18TensorIteratorBaseEENKUlvE0_clEvENKUlvE0_clEvEUlfE_St5arrayIPcLm2EELi4E23TrivialOffsetCalculatorILi1EjESB_NS0_6memory15LoadWithoutCastENSC_16StoreWithoutCastEEEviT_T0_T2_T3_T4_T5_.has_indirect_call, 0
	.section	.AMDGPU.csdata,"",@progbits
; Kernel info:
; codeLenInByte = 1040
; TotalNumSgprs: 16
; NumVgprs: 18
; NumAgprs: 0
; TotalNumVgprs: 18
; ScratchSize: 0
; MemoryBound: 0
; FloatMode: 240
; IeeeMode: 1
; LDSByteSize: 0 bytes/workgroup (compile time only)
; SGPRBlocks: 1
; VGPRBlocks: 2
; NumSGPRsForWavesPerEU: 16
; NumVGPRsForWavesPerEU: 18
; AccumOffset: 20
; Occupancy: 8
; WaveLimiterHint : 0
; COMPUTE_PGM_RSRC2:SCRATCH_EN: 0
; COMPUTE_PGM_RSRC2:USER_SGPR: 2
; COMPUTE_PGM_RSRC2:TRAP_HANDLER: 0
; COMPUTE_PGM_RSRC2:TGID_X_EN: 1
; COMPUTE_PGM_RSRC2:TGID_Y_EN: 0
; COMPUTE_PGM_RSRC2:TGID_Z_EN: 0
; COMPUTE_PGM_RSRC2:TIDIG_COMP_CNT: 0
; COMPUTE_PGM_RSRC3_GFX90A:ACCUM_OFFSET: 4
; COMPUTE_PGM_RSRC3_GFX90A:TG_SPLIT: 0
	.section	.text._ZN2at6native32elementwise_kernel_manual_unrollILi128ELi4EZNS0_22gpu_kernel_impl_nocastIZZZNS0_17rsqrt_kernel_cudaERNS_18TensorIteratorBaseEENKUlvE0_clEvENKUlvE0_clEvEUlfE_EEvS4_RKT_EUlibE_EEviT1_,"axG",@progbits,_ZN2at6native32elementwise_kernel_manual_unrollILi128ELi4EZNS0_22gpu_kernel_impl_nocastIZZZNS0_17rsqrt_kernel_cudaERNS_18TensorIteratorBaseEENKUlvE0_clEvENKUlvE0_clEvEUlfE_EEvS4_RKT_EUlibE_EEviT1_,comdat
	.globl	_ZN2at6native32elementwise_kernel_manual_unrollILi128ELi4EZNS0_22gpu_kernel_impl_nocastIZZZNS0_17rsqrt_kernel_cudaERNS_18TensorIteratorBaseEENKUlvE0_clEvENKUlvE0_clEvEUlfE_EEvS4_RKT_EUlibE_EEviT1_ ; -- Begin function _ZN2at6native32elementwise_kernel_manual_unrollILi128ELi4EZNS0_22gpu_kernel_impl_nocastIZZZNS0_17rsqrt_kernel_cudaERNS_18TensorIteratorBaseEENKUlvE0_clEvENKUlvE0_clEvEUlfE_EEvS4_RKT_EUlibE_EEviT1_
	.p2align	8
	.type	_ZN2at6native32elementwise_kernel_manual_unrollILi128ELi4EZNS0_22gpu_kernel_impl_nocastIZZZNS0_17rsqrt_kernel_cudaERNS_18TensorIteratorBaseEENKUlvE0_clEvENKUlvE0_clEvEUlfE_EEvS4_RKT_EUlibE_EEviT1_,@function
_ZN2at6native32elementwise_kernel_manual_unrollILi128ELi4EZNS0_22gpu_kernel_impl_nocastIZZZNS0_17rsqrt_kernel_cudaERNS_18TensorIteratorBaseEENKUlvE0_clEvENKUlvE0_clEvEUlfE_EEvS4_RKT_EUlibE_EEviT1_: ; @_ZN2at6native32elementwise_kernel_manual_unrollILi128ELi4EZNS0_22gpu_kernel_impl_nocastIZZZNS0_17rsqrt_kernel_cudaERNS_18TensorIteratorBaseEENKUlvE0_clEvENKUlvE0_clEvEUlfE_EEvS4_RKT_EUlibE_EEviT1_
; %bb.0:
	s_load_dword s55, s[0:1], 0x0
	s_load_dword s33, s[0:1], 0x8
	s_add_u32 s34, s0, 8
	s_addc_u32 s35, s1, 0
	v_lshl_or_b32 v8, s2, 9, v0
	v_or_b32_e32 v16, 0x180, v8
	s_waitcnt lgkmcnt(0)
	s_add_i32 s54, s33, -1
	s_cmp_gt_u32 s54, 1
	v_cmp_le_i32_e32 vcc, s55, v16
	s_cselect_b64 s[36:37], -1, 0
	s_and_saveexec_b64 s[0:1], vcc
	s_xor_b64 s[38:39], exec, s[0:1]
	s_cbranch_execz .LBB199_8
; %bb.1:
	s_load_dwordx4 s[24:27], s[34:35], 0x4
	s_load_dwordx2 s[40:41], s[34:35], 0x14
	s_load_dwordx4 s[20:23], s[34:35], 0xc4
	s_load_dwordx4 s[16:19], s[34:35], 0x148
	s_cmp_lg_u32 s33, 0
	s_cselect_b64 s[46:47], -1, 0
	s_add_u32 s44, s34, 0xc4
	s_addc_u32 s45, s35, 0
	s_min_u32 s56, s54, 15
	s_cmp_gt_u32 s33, 1
	s_cselect_b64 s[42:43], -1, 0
	v_cmp_gt_i32_e32 vcc, s55, v8
	s_and_saveexec_b64 s[48:49], vcc
	s_cbranch_execz .LBB199_15
; %bb.2:
	s_andn2_b64 vcc, exec, s[36:37]
	s_cbranch_vccnz .LBB199_23
; %bb.3:
	s_andn2_b64 vcc, exec, s[46:47]
	s_cbranch_vccnz .LBB199_75
; %bb.4:
	s_add_i32 s58, s56, 1
	s_cmp_eq_u32 s54, 2
	s_cbranch_scc1 .LBB199_77
; %bb.5:
	s_and_b32 s57, s58, 28
	s_mov_b32 s59, 0
	v_mov_b32_e32 v0, 0
	v_mov_b32_e32 v2, 0
	s_mov_b64 s[50:51], s[34:35]
	s_mov_b64 s[52:53], s[44:45]
	v_mov_b32_e32 v4, v8
.LBB199_6:                              ; =>This Inner Loop Header: Depth=1
	s_load_dwordx8 s[8:15], s[50:51], 0x4
	s_load_dwordx4 s[28:31], s[50:51], 0x24
	s_load_dwordx8 s[0:7], s[52:53], 0x0
	s_add_u32 s50, s50, 48
	s_addc_u32 s51, s51, 0
	s_waitcnt lgkmcnt(0)
	v_mul_hi_u32 v1, s9, v4
	v_add_u32_e32 v1, v4, v1
	v_lshrrev_b32_e32 v1, s10, v1
	v_mul_lo_u32 v3, v1, s8
	v_mul_hi_u32 v5, s12, v1
	v_sub_u32_e32 v3, v4, v3
	v_add_u32_e32 v4, v1, v5
	v_lshrrev_b32_e32 v4, s13, v4
	v_mul_lo_u32 v6, v4, s11
	v_mul_hi_u32 v7, s15, v4
	v_sub_u32_e32 v1, v1, v6
	v_add_u32_e32 v6, v4, v7
	v_mul_lo_u32 v5, v3, s1
	v_mul_lo_u32 v3, v3, s0
	;; [unrolled: 1-line block ×4, first 2 shown]
	v_lshrrev_b32_e32 v6, s28, v6
	v_add3_u32 v0, v3, v0, v1
	v_mul_hi_u32 v3, s30, v6
	v_add3_u32 v1, v5, v2, v7
	v_mul_lo_u32 v2, v6, s14
	v_add_u32_e32 v3, v6, v3
	v_sub_u32_e32 v2, v4, v2
	v_lshrrev_b32_e32 v4, s31, v3
	s_add_i32 s59, s59, 4
	v_mul_lo_u32 v3, v4, s29
	s_add_u32 s52, s52, 32
	v_sub_u32_e32 v3, v6, v3
	s_addc_u32 s53, s53, 0
	v_mul_lo_u32 v5, v2, s4
	v_mul_lo_u32 v2, v2, s5
	v_mul_lo_u32 v6, v3, s6
	v_mul_lo_u32 v3, v3, s7
	s_cmp_lg_u32 s57, s59
	v_add3_u32 v2, v2, v1, v3
	v_add3_u32 v0, v5, v0, v6
	s_cbranch_scc1 .LBB199_6
; %bb.7:
	v_mov_b32_e32 v1, v2
	s_branch .LBB199_78
.LBB199_8:
	s_andn2_saveexec_b64 s[0:1], s[38:39]
	s_cbranch_execz .LBB199_104
.LBB199_9:
	v_cndmask_b32_e64 v0, 0, 1, s[36:37]
	v_cmp_ne_u32_e64 s[0:1], 1, v0
	s_andn2_b64 vcc, exec, s[36:37]
	s_cbranch_vccnz .LBB199_22
; %bb.10:
	s_cmp_lg_u32 s33, 0
	s_waitcnt lgkmcnt(0)
	s_mov_b32 s26, 0
	s_cbranch_scc0 .LBB199_25
; %bb.11:
	s_min_u32 s27, s54, 15
	s_add_i32 s27, s27, 1
	s_cmp_eq_u32 s54, 2
	s_cbranch_scc1 .LBB199_26
; %bb.12:
	s_and_b32 s26, s27, 28
	s_add_u32 s2, s34, 0xc4
	s_addc_u32 s3, s35, 0
	s_mov_b32 s28, 0
	v_mov_b32_e32 v0, 0
	v_mov_b32_e32 v2, 0
	s_mov_b64 s[24:25], s[34:35]
	v_mov_b32_e32 v4, v8
.LBB199_13:                             ; =>This Inner Loop Header: Depth=1
	s_load_dwordx8 s[12:19], s[24:25], 0x4
	s_load_dwordx4 s[20:23], s[24:25], 0x24
	s_load_dwordx8 s[4:11], s[2:3], 0x0
	s_add_u32 s24, s24, 48
	s_addc_u32 s25, s25, 0
	s_waitcnt lgkmcnt(0)
	v_mul_hi_u32 v1, s13, v4
	v_add_u32_e32 v1, v4, v1
	v_lshrrev_b32_e32 v1, s14, v1
	v_mul_lo_u32 v3, v1, s12
	v_mul_hi_u32 v5, s16, v1
	v_sub_u32_e32 v3, v4, v3
	v_add_u32_e32 v4, v1, v5
	v_lshrrev_b32_e32 v4, s17, v4
	v_mul_lo_u32 v6, v4, s15
	v_mul_hi_u32 v7, s19, v4
	v_sub_u32_e32 v1, v1, v6
	v_add_u32_e32 v6, v4, v7
	v_mul_lo_u32 v5, v3, s5
	v_mul_lo_u32 v3, v3, s4
	;; [unrolled: 1-line block ×4, first 2 shown]
	v_lshrrev_b32_e32 v6, s20, v6
	v_add3_u32 v0, v3, v0, v1
	v_mul_hi_u32 v3, s22, v6
	v_add3_u32 v1, v5, v2, v7
	v_mul_lo_u32 v2, v6, s18
	v_add_u32_e32 v3, v6, v3
	v_sub_u32_e32 v2, v4, v2
	v_lshrrev_b32_e32 v4, s23, v3
	s_add_i32 s28, s28, 4
	v_mul_lo_u32 v3, v4, s21
	s_add_u32 s2, s2, 32
	v_sub_u32_e32 v3, v6, v3
	s_addc_u32 s3, s3, 0
	v_mul_lo_u32 v5, v2, s8
	v_mul_lo_u32 v2, v2, s9
	v_mul_lo_u32 v6, v3, s10
	v_mul_lo_u32 v3, v3, s11
	s_cmp_lg_u32 s26, s28
	v_add3_u32 v2, v2, v1, v3
	v_add3_u32 v0, v5, v0, v6
	s_cbranch_scc1 .LBB199_13
; %bb.14:
	v_mov_b32_e32 v1, v2
	s_and_b32 s6, s27, 3
	s_cmp_eq_u32 s6, 0
	s_cbranch_scc0 .LBB199_27
	s_branch .LBB199_29
.LBB199_15:
	s_or_b64 exec, exec, s[48:49]
	v_cmp_gt_i32_e32 vcc, s55, v8
	s_and_saveexec_b64 s[48:49], vcc
	s_cbranch_execz .LBB199_85
.LBB199_16:
	s_andn2_b64 vcc, exec, s[36:37]
	s_cbranch_vccnz .LBB199_24
; %bb.17:
	s_andn2_b64 vcc, exec, s[46:47]
	s_cbranch_vccnz .LBB199_76
; %bb.18:
	s_add_i32 s58, s56, 1
	s_cmp_eq_u32 s54, 2
	s_cbranch_scc1 .LBB199_94
; %bb.19:
	s_and_b32 s57, s58, 28
	s_mov_b32 s59, 0
	v_mov_b32_e32 v0, 0
	v_mov_b32_e32 v2, 0
	s_mov_b64 s[50:51], s[34:35]
	s_mov_b64 s[52:53], s[44:45]
	v_mov_b32_e32 v4, v8
.LBB199_20:                             ; =>This Inner Loop Header: Depth=1
	s_load_dwordx8 s[8:15], s[50:51], 0x4
	s_load_dwordx4 s[28:31], s[50:51], 0x24
	s_load_dwordx8 s[0:7], s[52:53], 0x0
	s_add_u32 s50, s50, 48
	s_addc_u32 s51, s51, 0
	s_waitcnt lgkmcnt(0)
	v_mul_hi_u32 v1, s9, v4
	v_add_u32_e32 v1, v4, v1
	v_lshrrev_b32_e32 v1, s10, v1
	v_mul_lo_u32 v3, v1, s8
	v_mul_hi_u32 v5, s12, v1
	v_sub_u32_e32 v3, v4, v3
	v_add_u32_e32 v4, v1, v5
	v_lshrrev_b32_e32 v4, s13, v4
	v_mul_lo_u32 v6, v4, s11
	v_mul_hi_u32 v7, s15, v4
	v_sub_u32_e32 v1, v1, v6
	v_add_u32_e32 v6, v4, v7
	v_mul_lo_u32 v5, v3, s1
	v_mul_lo_u32 v3, v3, s0
	;; [unrolled: 1-line block ×4, first 2 shown]
	v_lshrrev_b32_e32 v6, s28, v6
	v_add3_u32 v0, v3, v0, v1
	v_mul_hi_u32 v3, s30, v6
	v_add3_u32 v1, v5, v2, v7
	v_mul_lo_u32 v2, v6, s14
	v_add_u32_e32 v3, v6, v3
	v_sub_u32_e32 v2, v4, v2
	v_lshrrev_b32_e32 v4, s31, v3
	s_add_i32 s59, s59, 4
	v_mul_lo_u32 v3, v4, s29
	s_add_u32 s52, s52, 32
	v_sub_u32_e32 v3, v6, v3
	s_addc_u32 s53, s53, 0
	v_mul_lo_u32 v5, v2, s4
	v_mul_lo_u32 v2, v2, s5
	;; [unrolled: 1-line block ×4, first 2 shown]
	s_cmp_eq_u32 s57, s59
	v_add3_u32 v2, v2, v1, v3
	v_add3_u32 v0, v5, v0, v6
	s_cbranch_scc0 .LBB199_20
; %bb.21:
	v_mov_b32_e32 v1, v2
	s_branch .LBB199_95
.LBB199_22:
                                        ; implicit-def: $vgpr2
                                        ; implicit-def: $vgpr0
	s_branch .LBB199_30
.LBB199_23:
                                        ; implicit-def: $vgpr2
                                        ; implicit-def: $vgpr0
	s_branch .LBB199_82
.LBB199_24:
                                        ; implicit-def: $vgpr2
                                        ; implicit-def: $vgpr0
	s_branch .LBB199_99
.LBB199_25:
	v_mov_b32_e32 v2, 0
	v_mov_b32_e32 v0, 0
	s_branch .LBB199_29
.LBB199_26:
	v_mov_b32_e32 v0, 0
                                        ; implicit-def: $vgpr2
	v_mov_b32_e32 v1, v0
	v_mov_b32_e32 v4, v8
	s_and_b32 s6, s27, 3
	s_cmp_eq_u32 s6, 0
	s_cbranch_scc1 .LBB199_29
.LBB199_27:
	s_lshl_b32 s2, s26, 3
	s_add_u32 s2, s34, s2
	s_addc_u32 s3, s35, 0
	s_add_u32 s2, s2, 0xc4
	s_addc_u32 s3, s3, 0
	s_mul_i32 s4, s26, 12
	s_add_u32 s4, s34, s4
	s_addc_u32 s5, s35, 0
.LBB199_28:                             ; =>This Inner Loop Header: Depth=1
	s_load_dwordx2 s[8:9], s[4:5], 0x4
	s_load_dword s7, s[4:5], 0xc
	s_load_dwordx2 s[10:11], s[2:3], 0x0
	v_mov_b32_e32 v2, v1
	s_add_u32 s4, s4, 12
	s_waitcnt lgkmcnt(0)
	v_mul_hi_u32 v1, s9, v4
	v_add_u32_e32 v1, v4, v1
	v_lshrrev_b32_e32 v1, s7, v1
	s_addc_u32 s5, s5, 0
	v_mul_lo_u32 v3, v1, s8
	s_add_u32 s2, s2, 8
	v_sub_u32_e32 v5, v4, v3
	s_addc_u32 s3, s3, 0
	s_add_i32 s6, s6, -1
	v_mov_b32_e32 v4, v1
	v_mad_u64_u32 v[2:3], s[8:9], v5, s11, v[2:3]
	v_mad_u64_u32 v[0:1], s[8:9], v5, s10, v[0:1]
	s_cmp_lg_u32 s6, 0
	v_mov_b32_e32 v1, v2
	s_cbranch_scc1 .LBB199_28
.LBB199_29:
	s_cbranch_execnz .LBB199_32
.LBB199_30:
	s_load_dwordx4 s[4:7], s[34:35], 0x4
	s_load_dwordx2 s[2:3], s[34:35], 0xc4
	s_cmp_lt_u32 s33, 2
	s_waitcnt lgkmcnt(0)
	v_mul_hi_u32 v0, s5, v8
	v_add_u32_e32 v0, v8, v0
	v_lshrrev_b32_e32 v1, s6, v0
	v_mul_lo_u32 v0, v1, s4
	v_sub_u32_e32 v0, v8, v0
	v_mul_lo_u32 v2, v0, s3
	v_mul_lo_u32 v0, v0, s2
	s_cbranch_scc1 .LBB199_32
; %bb.31:
	s_load_dwordx4 s[4:7], s[34:35], 0x10
	s_load_dwordx2 s[2:3], s[34:35], 0xcc
	s_waitcnt lgkmcnt(0)
	v_mul_hi_u32 v3, s5, v1
	v_add_u32_e32 v3, v1, v3
	v_lshrrev_b32_e32 v3, s6, v3
	v_mul_lo_u32 v3, v3, s4
	v_sub_u32_e32 v3, v1, v3
	v_mad_u64_u32 v[0:1], s[4:5], v3, s2, v[0:1]
	v_mad_u64_u32 v[2:3], s[2:3], v3, s3, v[2:3]
.LBB199_32:
	s_and_b64 vcc, exec, s[0:1]
	v_add_u32_e32 v3, 0x80, v8
	s_cbranch_vccnz .LBB199_38
; %bb.33:
	s_cmp_lg_u32 s33, 0
	s_waitcnt lgkmcnt(0)
	s_mov_b32 s26, 0
	s_cbranch_scc0 .LBB199_39
; %bb.34:
	s_min_u32 s27, s54, 15
	s_add_i32 s27, s27, 1
	s_cmp_eq_u32 s54, 2
	s_cbranch_scc1 .LBB199_40
; %bb.35:
	s_and_b32 s26, s27, 28
	s_add_u32 s2, s34, 0xc4
	s_addc_u32 s3, s35, 0
	s_mov_b32 s28, 0
	v_mov_b32_e32 v4, 0
	v_mov_b32_e32 v6, 0
	s_mov_b64 s[24:25], s[34:35]
	v_mov_b32_e32 v9, v3
.LBB199_36:                             ; =>This Inner Loop Header: Depth=1
	s_load_dwordx8 s[12:19], s[24:25], 0x4
	s_load_dwordx4 s[20:23], s[24:25], 0x24
	s_load_dwordx8 s[4:11], s[2:3], 0x0
	s_add_u32 s24, s24, 48
	s_addc_u32 s25, s25, 0
	s_waitcnt lgkmcnt(0)
	v_mul_hi_u32 v1, s13, v9
	v_add_u32_e32 v1, v9, v1
	v_lshrrev_b32_e32 v1, s14, v1
	v_mul_hi_u32 v7, s16, v1
	v_add_u32_e32 v7, v1, v7
	v_lshrrev_b32_e32 v7, s17, v7
	v_mul_lo_u32 v5, v1, s12
	v_mul_lo_u32 v10, v7, s15
	v_mul_hi_u32 v11, s19, v7
	v_sub_u32_e32 v5, v9, v5
	v_sub_u32_e32 v1, v1, v10
	v_add_u32_e32 v10, v7, v11
	v_mul_lo_u32 v9, v5, s5
	v_mul_lo_u32 v5, v5, s4
	;; [unrolled: 1-line block ×4, first 2 shown]
	v_lshrrev_b32_e32 v10, s20, v10
	v_add3_u32 v1, v5, v4, v1
	v_add3_u32 v4, v9, v6, v11
	v_mul_hi_u32 v6, s22, v10
	v_add_u32_e32 v6, v10, v6
	v_lshrrev_b32_e32 v9, s23, v6
	s_add_i32 s28, s28, 4
	v_mul_lo_u32 v5, v10, s18
	v_mul_lo_u32 v6, v9, s21
	s_add_u32 s2, s2, 32
	v_sub_u32_e32 v5, v7, v5
	v_sub_u32_e32 v6, v10, v6
	s_addc_u32 s3, s3, 0
	v_mul_lo_u32 v7, v5, s8
	v_mul_lo_u32 v5, v5, s9
	;; [unrolled: 1-line block ×4, first 2 shown]
	s_cmp_lg_u32 s26, s28
	v_add3_u32 v6, v5, v4, v6
	v_add3_u32 v4, v7, v1, v10
	s_cbranch_scc1 .LBB199_36
; %bb.37:
	v_mov_b32_e32 v1, v6
	s_and_b32 s6, s27, 3
	s_cmp_eq_u32 s6, 0
	s_cbranch_scc0 .LBB199_41
	s_branch .LBB199_43
.LBB199_38:
                                        ; implicit-def: $vgpr6
                                        ; implicit-def: $vgpr4
	s_branch .LBB199_44
.LBB199_39:
	v_mov_b32_e32 v6, 0
	v_mov_b32_e32 v4, 0
	s_branch .LBB199_43
.LBB199_40:
	v_mov_b32_e32 v4, 0
                                        ; implicit-def: $vgpr6
	v_mov_b32_e32 v1, v4
	v_mov_b32_e32 v9, v3
	s_and_b32 s6, s27, 3
	s_cmp_eq_u32 s6, 0
	s_cbranch_scc1 .LBB199_43
.LBB199_41:
	s_lshl_b32 s2, s26, 3
	s_add_u32 s2, s34, s2
	s_addc_u32 s3, s35, 0
	s_add_u32 s2, s2, 0xc4
	s_addc_u32 s3, s3, 0
	s_mul_i32 s4, s26, 12
	s_add_u32 s4, s34, s4
	s_addc_u32 s5, s35, 0
.LBB199_42:                             ; =>This Inner Loop Header: Depth=1
	s_load_dwordx2 s[8:9], s[4:5], 0x4
	s_load_dword s7, s[4:5], 0xc
	s_load_dwordx2 s[10:11], s[2:3], 0x0
	v_mov_b32_e32 v6, v1
	s_add_u32 s4, s4, 12
	s_waitcnt lgkmcnt(0)
	v_mul_hi_u32 v1, s9, v9
	v_add_u32_e32 v1, v9, v1
	v_lshrrev_b32_e32 v1, s7, v1
	s_addc_u32 s5, s5, 0
	v_mul_lo_u32 v5, v1, s8
	s_add_u32 s2, s2, 8
	v_sub_u32_e32 v5, v9, v5
	s_addc_u32 s3, s3, 0
	s_add_i32 s6, s6, -1
	v_mad_u64_u32 v[6:7], s[8:9], v5, s11, v[6:7]
	s_cmp_lg_u32 s6, 0
	v_mov_b32_e32 v9, v1
	v_mad_u64_u32 v[4:5], s[8:9], v5, s10, v[4:5]
	v_mov_b32_e32 v1, v6
	s_cbranch_scc1 .LBB199_42
.LBB199_43:
	s_cbranch_execnz .LBB199_46
.LBB199_44:
	s_load_dwordx4 s[4:7], s[34:35], 0x4
	s_load_dwordx2 s[2:3], s[34:35], 0xc4
	s_cmp_lt_u32 s33, 2
	s_waitcnt lgkmcnt(0)
	v_mul_hi_u32 v1, s5, v3
	v_add_u32_e32 v1, v3, v1
	v_lshrrev_b32_e32 v1, s6, v1
	v_mul_lo_u32 v4, v1, s4
	v_sub_u32_e32 v3, v3, v4
	v_mul_lo_u32 v6, v3, s3
	v_mul_lo_u32 v4, v3, s2
	s_cbranch_scc1 .LBB199_46
; %bb.45:
	s_load_dwordx4 s[4:7], s[34:35], 0x10
	s_load_dwordx2 s[2:3], s[34:35], 0xcc
	s_waitcnt lgkmcnt(0)
	v_mul_hi_u32 v3, s5, v1
	v_add_u32_e32 v3, v1, v3
	v_lshrrev_b32_e32 v3, s6, v3
	v_mul_lo_u32 v3, v3, s4
	v_sub_u32_e32 v1, v1, v3
	v_mad_u64_u32 v[4:5], s[4:5], v1, s2, v[4:5]
	v_mad_u64_u32 v[6:7], s[2:3], v1, s3, v[6:7]
.LBB199_46:
	s_and_b64 vcc, exec, s[0:1]
	v_add_u32_e32 v3, 0x100, v8
	s_cbranch_vccnz .LBB199_52
; %bb.47:
	s_cmp_lg_u32 s33, 0
	s_waitcnt lgkmcnt(0)
	s_mov_b32 s26, 0
	s_cbranch_scc0 .LBB199_53
; %bb.48:
	s_min_u32 s27, s54, 15
	s_add_i32 s27, s27, 1
	s_cmp_eq_u32 s54, 2
	s_cbranch_scc1 .LBB199_54
; %bb.49:
	s_and_b32 s26, s27, 28
	s_add_u32 s2, s34, 0xc4
	s_addc_u32 s3, s35, 0
	s_mov_b32 s28, 0
	v_mov_b32_e32 v8, 0
	v_mov_b32_e32 v10, 0
	s_mov_b64 s[24:25], s[34:35]
	v_mov_b32_e32 v5, v3
.LBB199_50:                             ; =>This Inner Loop Header: Depth=1
	s_load_dwordx8 s[12:19], s[24:25], 0x4
	s_load_dwordx4 s[20:23], s[24:25], 0x24
	s_load_dwordx8 s[4:11], s[2:3], 0x0
	s_add_u32 s24, s24, 48
	s_addc_u32 s25, s25, 0
	s_waitcnt lgkmcnt(0)
	v_mul_hi_u32 v1, s13, v5
	v_add_u32_e32 v1, v5, v1
	v_lshrrev_b32_e32 v1, s14, v1
	v_mul_lo_u32 v7, v1, s12
	v_mul_hi_u32 v9, s16, v1
	v_sub_u32_e32 v5, v5, v7
	v_add_u32_e32 v7, v1, v9
	v_lshrrev_b32_e32 v7, s17, v7
	v_mul_lo_u32 v11, v7, s15
	v_mul_hi_u32 v12, s19, v7
	v_sub_u32_e32 v1, v1, v11
	v_add_u32_e32 v11, v7, v12
	v_mul_lo_u32 v9, v5, s5
	v_mul_lo_u32 v5, v5, s4
	;; [unrolled: 1-line block ×4, first 2 shown]
	v_lshrrev_b32_e32 v11, s20, v11
	v_add3_u32 v1, v5, v8, v1
	v_add3_u32 v8, v9, v10, v12
	v_mul_lo_u32 v5, v11, s18
	v_mul_hi_u32 v9, s22, v11
	v_sub_u32_e32 v5, v7, v5
	v_add_u32_e32 v7, v11, v9
	v_mul_lo_u32 v9, v5, s8
	v_mul_lo_u32 v10, v5, s9
	v_lshrrev_b32_e32 v5, s23, v7
	s_add_i32 s28, s28, 4
	v_mul_lo_u32 v7, v5, s21
	s_add_u32 s2, s2, 32
	v_sub_u32_e32 v7, v11, v7
	s_addc_u32 s3, s3, 0
	v_mul_lo_u32 v11, v7, s10
	v_mul_lo_u32 v7, v7, s11
	s_cmp_lg_u32 s26, s28
	v_add3_u32 v10, v10, v8, v7
	v_add3_u32 v8, v9, v1, v11
	s_cbranch_scc1 .LBB199_50
; %bb.51:
	v_mov_b32_e32 v1, v10
	s_and_b32 s6, s27, 3
	s_cmp_eq_u32 s6, 0
	s_cbranch_scc0 .LBB199_55
	s_branch .LBB199_57
.LBB199_52:
                                        ; implicit-def: $vgpr10
                                        ; implicit-def: $vgpr8
	s_branch .LBB199_58
.LBB199_53:
	v_mov_b32_e32 v10, 0
	v_mov_b32_e32 v8, 0
	s_branch .LBB199_57
.LBB199_54:
	v_mov_b32_e32 v8, 0
                                        ; implicit-def: $vgpr10
	v_mov_b32_e32 v1, v8
	v_mov_b32_e32 v5, v3
	s_and_b32 s6, s27, 3
	s_cmp_eq_u32 s6, 0
	s_cbranch_scc1 .LBB199_57
.LBB199_55:
	s_lshl_b32 s2, s26, 3
	s_add_u32 s2, s34, s2
	s_addc_u32 s3, s35, 0
	s_add_u32 s2, s2, 0xc4
	s_addc_u32 s3, s3, 0
	s_mul_i32 s4, s26, 12
	s_add_u32 s4, s34, s4
	s_addc_u32 s5, s35, 0
.LBB199_56:                             ; =>This Inner Loop Header: Depth=1
	s_load_dwordx2 s[8:9], s[4:5], 0x4
	s_load_dword s7, s[4:5], 0xc
	s_load_dwordx2 s[10:11], s[2:3], 0x0
	v_mov_b32_e32 v10, v1
	s_add_u32 s4, s4, 12
	s_waitcnt lgkmcnt(0)
	v_mul_hi_u32 v1, s9, v5
	v_add_u32_e32 v1, v5, v1
	v_lshrrev_b32_e32 v1, s7, v1
	s_addc_u32 s5, s5, 0
	v_mul_lo_u32 v7, v1, s8
	s_add_u32 s2, s2, 8
	v_sub_u32_e32 v7, v5, v7
	s_addc_u32 s3, s3, 0
	s_add_i32 s6, s6, -1
	v_mad_u64_u32 v[10:11], s[8:9], v7, s11, v[10:11]
	s_cmp_lg_u32 s6, 0
	v_mov_b32_e32 v5, v1
	v_mad_u64_u32 v[8:9], s[8:9], v7, s10, v[8:9]
	v_mov_b32_e32 v1, v10
	s_cbranch_scc1 .LBB199_56
.LBB199_57:
	s_cbranch_execnz .LBB199_60
.LBB199_58:
	s_load_dwordx4 s[4:7], s[34:35], 0x4
	s_load_dwordx2 s[2:3], s[34:35], 0xc4
	s_cmp_lt_u32 s33, 2
	s_waitcnt lgkmcnt(0)
	v_mul_hi_u32 v1, s5, v3
	v_add_u32_e32 v1, v3, v1
	v_lshrrev_b32_e32 v1, s6, v1
	v_mul_lo_u32 v5, v1, s4
	v_sub_u32_e32 v3, v3, v5
	v_mul_lo_u32 v10, v3, s3
	v_mul_lo_u32 v8, v3, s2
	s_cbranch_scc1 .LBB199_60
; %bb.59:
	s_load_dwordx4 s[4:7], s[34:35], 0x10
	s_load_dwordx2 s[2:3], s[34:35], 0xcc
	s_waitcnt lgkmcnt(0)
	v_mul_hi_u32 v3, s5, v1
	v_add_u32_e32 v3, v1, v3
	v_lshrrev_b32_e32 v3, s6, v3
	v_mul_lo_u32 v3, v3, s4
	v_sub_u32_e32 v1, v1, v3
	v_mad_u64_u32 v[8:9], s[4:5], v1, s2, v[8:9]
	v_mad_u64_u32 v[10:11], s[2:3], v1, s3, v[10:11]
.LBB199_60:
	s_and_b64 vcc, exec, s[0:1]
	s_cbranch_vccnz .LBB199_66
; %bb.61:
	s_cmp_lg_u32 s33, 0
	s_waitcnt lgkmcnt(0)
	s_mov_b32 s24, 0
	s_cbranch_scc0 .LBB199_67
; %bb.62:
	s_min_u32 s25, s54, 15
	s_add_i32 s25, s25, 1
	s_cmp_eq_u32 s54, 2
	s_cbranch_scc1 .LBB199_68
; %bb.63:
	s_and_b32 s24, s25, 28
	s_add_u32 s20, s34, 0xc4
	s_addc_u32 s21, s35, 0
	s_mov_b32 s26, 0
	v_mov_b32_e32 v12, 0
	v_mov_b32_e32 v14, 0
	s_mov_b64 s[22:23], s[34:35]
	v_mov_b32_e32 v3, v16
.LBB199_64:                             ; =>This Inner Loop Header: Depth=1
	s_load_dwordx8 s[8:15], s[22:23], 0x4
	s_load_dwordx4 s[16:19], s[22:23], 0x24
	s_load_dwordx8 s[0:7], s[20:21], 0x0
	s_add_u32 s22, s22, 48
	s_addc_u32 s23, s23, 0
	s_waitcnt lgkmcnt(0)
	v_mul_hi_u32 v1, s9, v3
	v_add_u32_e32 v1, v3, v1
	v_lshrrev_b32_e32 v1, s10, v1
	v_mul_lo_u32 v5, v1, s8
	v_mul_hi_u32 v7, s12, v1
	v_sub_u32_e32 v3, v3, v5
	v_add_u32_e32 v5, v1, v7
	v_lshrrev_b32_e32 v5, s13, v5
	v_mul_lo_u32 v9, v5, s11
	v_mul_hi_u32 v11, s15, v5
	v_sub_u32_e32 v1, v1, v9
	v_add_u32_e32 v9, v5, v11
	v_mul_lo_u32 v7, v3, s1
	v_mul_lo_u32 v3, v3, s0
	v_mul_lo_u32 v11, v1, s3
	v_mul_lo_u32 v1, v1, s2
	v_lshrrev_b32_e32 v9, s16, v9
	v_add3_u32 v1, v3, v12, v1
	v_add3_u32 v7, v7, v14, v11
	v_mul_lo_u32 v3, v9, s14
	v_mul_hi_u32 v11, s18, v9
	v_sub_u32_e32 v3, v5, v3
	v_add_u32_e32 v5, v9, v11
	v_mul_lo_u32 v11, v3, s4
	v_mul_lo_u32 v12, v3, s5
	v_lshrrev_b32_e32 v3, s19, v5
	s_add_i32 s26, s26, 4
	v_mul_lo_u32 v5, v3, s17
	s_add_u32 s20, s20, 32
	v_sub_u32_e32 v5, v9, v5
	s_addc_u32 s21, s21, 0
	v_mul_lo_u32 v9, v5, s6
	v_mul_lo_u32 v5, v5, s7
	s_cmp_lg_u32 s24, s26
	v_add3_u32 v14, v12, v7, v5
	v_add3_u32 v12, v11, v1, v9
	s_cbranch_scc1 .LBB199_64
; %bb.65:
	v_mov_b32_e32 v1, v14
	s_and_b32 s4, s25, 3
	s_cmp_eq_u32 s4, 0
	s_cbranch_scc0 .LBB199_69
	s_branch .LBB199_71
.LBB199_66:
                                        ; implicit-def: $vgpr14
                                        ; implicit-def: $vgpr12
	s_branch .LBB199_72
.LBB199_67:
	v_mov_b32_e32 v14, 0
	v_mov_b32_e32 v12, 0
	s_branch .LBB199_71
.LBB199_68:
	v_mov_b32_e32 v12, 0
                                        ; implicit-def: $vgpr14
	v_mov_b32_e32 v1, v12
	v_mov_b32_e32 v3, v16
	s_and_b32 s4, s25, 3
	s_cmp_eq_u32 s4, 0
	s_cbranch_scc1 .LBB199_71
.LBB199_69:
	s_lshl_b32 s0, s24, 3
	s_add_u32 s0, s34, s0
	s_addc_u32 s1, s35, 0
	s_add_u32 s0, s0, 0xc4
	s_addc_u32 s1, s1, 0
	s_mul_i32 s2, s24, 12
	s_add_u32 s2, s34, s2
	s_addc_u32 s3, s35, 0
.LBB199_70:                             ; =>This Inner Loop Header: Depth=1
	s_load_dwordx2 s[6:7], s[2:3], 0x4
	s_load_dword s5, s[2:3], 0xc
	s_load_dwordx2 s[8:9], s[0:1], 0x0
	v_mov_b32_e32 v14, v1
	s_add_u32 s2, s2, 12
	s_waitcnt lgkmcnt(0)
	v_mul_hi_u32 v1, s7, v3
	v_add_u32_e32 v1, v3, v1
	v_lshrrev_b32_e32 v1, s5, v1
	s_addc_u32 s3, s3, 0
	v_mul_lo_u32 v5, v1, s6
	s_add_u32 s0, s0, 8
	v_sub_u32_e32 v5, v3, v5
	s_addc_u32 s1, s1, 0
	s_add_i32 s4, s4, -1
	v_mad_u64_u32 v[14:15], s[6:7], v5, s9, v[14:15]
	s_cmp_lg_u32 s4, 0
	v_mov_b32_e32 v3, v1
	v_mad_u64_u32 v[12:13], s[6:7], v5, s8, v[12:13]
	v_mov_b32_e32 v1, v14
	s_cbranch_scc1 .LBB199_70
.LBB199_71:
	s_cbranch_execnz .LBB199_74
.LBB199_72:
	s_load_dwordx4 s[0:3], s[34:35], 0x4
	s_load_dwordx2 s[4:5], s[34:35], 0xc4
	s_cmp_lt_u32 s33, 2
	s_waitcnt lgkmcnt(0)
	v_mul_hi_u32 v1, s1, v16
	v_add_u32_e32 v1, v16, v1
	v_lshrrev_b32_e32 v1, s2, v1
	v_mul_lo_u32 v3, v1, s0
	v_sub_u32_e32 v3, v16, v3
	v_mul_lo_u32 v14, v3, s5
	v_mul_lo_u32 v12, v3, s4
	s_cbranch_scc1 .LBB199_74
; %bb.73:
	s_load_dwordx4 s[0:3], s[34:35], 0x10
	s_load_dwordx2 s[4:5], s[34:35], 0xcc
	s_waitcnt lgkmcnt(0)
	v_mul_hi_u32 v3, s1, v1
	v_add_u32_e32 v3, v1, v3
	v_lshrrev_b32_e32 v3, s2, v3
	v_mul_lo_u32 v3, v3, s0
	v_sub_u32_e32 v1, v1, v3
	v_mad_u64_u32 v[12:13], s[0:1], v1, s4, v[12:13]
	v_mad_u64_u32 v[14:15], s[0:1], v1, s5, v[14:15]
.LBB199_74:
	s_load_dwordx4 s[0:3], s[34:35], 0x148
	v_mov_b32_e32 v32, 0x180
	s_waitcnt lgkmcnt(0)
	global_load_dword v1, v2, s[2:3]
	global_load_dword v5, v6, s[2:3]
	;; [unrolled: 1-line block ×4, first 2 shown]
	s_mov_b32 s2, 0
	s_mov_b32 s3, 0x3fd80000
	s_waitcnt vmcnt(3)
	v_cvt_f64_f32_e32 v[2:3], v1
	s_waitcnt vmcnt(2)
	v_cvt_f64_f32_e32 v[6:7], v5
	v_rsq_f64_e32 v[16:17], v[2:3]
	s_waitcnt vmcnt(1)
	v_cvt_f64_f32_e32 v[10:11], v9
	v_rsq_f64_e32 v[18:19], v[6:7]
	;; [unrolled: 3-line block ×3, first 2 shown]
	v_rsq_f64_e32 v[22:23], v[14:15]
	v_mul_f64 v[2:3], v[16:17], -v[2:3]
	v_mul_f64 v[6:7], v[18:19], -v[6:7]
	v_fma_f64 v[2:3], v[2:3], v[16:17], 1.0
	v_mul_f64 v[10:11], v[20:21], -v[10:11]
	v_fma_f64 v[6:7], v[6:7], v[18:19], 1.0
	v_mul_f64 v[24:25], v[16:17], v[2:3]
	v_fma_f64 v[2:3], v[2:3], s[2:3], 0.5
	v_mul_f64 v[14:15], v[22:23], -v[14:15]
	v_fma_f64 v[10:11], v[10:11], v[20:21], 1.0
	v_mul_f64 v[26:27], v[18:19], v[6:7]
	v_fma_f64 v[6:7], v[6:7], s[2:3], 0.5
	v_fma_f64 v[2:3], v[24:25], v[2:3], v[16:17]
	v_cmp_class_f64_e32 vcc, v[16:17], v32
	v_fma_f64 v[14:15], v[14:15], v[22:23], 1.0
	v_mul_f64 v[28:29], v[20:21], v[10:11]
	v_fma_f64 v[10:11], v[10:11], s[2:3], 0.5
	v_fma_f64 v[6:7], v[26:27], v[6:7], v[18:19]
	v_cndmask_b32_e32 v3, v17, v3, vcc
	v_cndmask_b32_e32 v2, v16, v2, vcc
	v_cmp_class_f64_e32 vcc, v[18:19], v32
	v_mul_f64 v[30:31], v[22:23], v[14:15]
	v_fma_f64 v[14:15], v[14:15], s[2:3], 0.5
	v_fma_f64 v[10:11], v[28:29], v[10:11], v[20:21]
	v_cndmask_b32_e32 v7, v19, v7, vcc
	v_cndmask_b32_e32 v6, v18, v6, vcc
	v_cmp_class_f64_e32 vcc, v[20:21], v32
	v_fma_f64 v[14:15], v[30:31], v[14:15], v[22:23]
	v_cvt_f32_f64_e32 v1, v[2:3]
	v_cndmask_b32_e32 v11, v21, v11, vcc
	v_cndmask_b32_e32 v10, v20, v10, vcc
	v_cmp_class_f64_e32 vcc, v[22:23], v32
	v_cvt_f32_f64_e32 v2, v[6:7]
	v_cvt_f32_f64_e32 v3, v[10:11]
	v_cndmask_b32_e32 v15, v23, v15, vcc
	v_cndmask_b32_e32 v14, v22, v14, vcc
	v_cvt_f32_f64_e32 v5, v[14:15]
	global_store_dword v0, v1, s[0:1]
	global_store_dword v4, v2, s[0:1]
	;; [unrolled: 1-line block ×4, first 2 shown]
	s_endpgm
.LBB199_75:
	v_mov_b32_e32 v2, 0
	v_mov_b32_e32 v0, 0
	s_branch .LBB199_81
.LBB199_76:
	v_mov_b32_e32 v2, 0
	v_mov_b32_e32 v0, 0
	s_branch .LBB199_98
.LBB199_77:
	v_mov_b32_e32 v0, 0
	s_mov_b32 s57, 0
	v_mov_b32_e32 v1, v0
                                        ; implicit-def: $vgpr2
	v_mov_b32_e32 v4, v8
.LBB199_78:
	s_and_b32 s4, s58, 3
	s_cmp_eq_u32 s4, 0
	s_cbranch_scc1 .LBB199_81
; %bb.79:
	s_lshl_b32 s0, s57, 3
	s_add_u32 s0, s34, s0
	s_addc_u32 s1, s35, 0
	s_add_u32 s0, s0, 0xc4
	s_addc_u32 s1, s1, 0
	s_mul_i32 s2, s57, 12
	s_add_u32 s2, s34, s2
	s_addc_u32 s3, s35, 0
.LBB199_80:                             ; =>This Inner Loop Header: Depth=1
	s_load_dwordx2 s[6:7], s[2:3], 0x4
	s_load_dword s5, s[2:3], 0xc
	s_load_dwordx2 s[8:9], s[0:1], 0x0
	v_mov_b32_e32 v2, v1
	s_add_u32 s2, s2, 12
	s_waitcnt lgkmcnt(0)
	v_mul_hi_u32 v1, s7, v4
	v_add_u32_e32 v1, v4, v1
	v_lshrrev_b32_e32 v1, s5, v1
	s_addc_u32 s3, s3, 0
	v_mul_lo_u32 v3, v1, s6
	s_add_u32 s0, s0, 8
	v_sub_u32_e32 v5, v4, v3
	s_addc_u32 s1, s1, 0
	s_add_i32 s4, s4, -1
	v_mov_b32_e32 v4, v1
	v_mad_u64_u32 v[2:3], s[6:7], v5, s9, v[2:3]
	v_mad_u64_u32 v[0:1], s[6:7], v5, s8, v[0:1]
	s_cmp_lg_u32 s4, 0
	v_mov_b32_e32 v1, v2
	s_cbranch_scc1 .LBB199_80
.LBB199_81:
	s_cbranch_execnz .LBB199_84
.LBB199_82:
	s_waitcnt lgkmcnt(0)
	v_mul_hi_u32 v0, s25, v8
	v_add_u32_e32 v0, v8, v0
	v_lshrrev_b32_e32 v1, s26, v0
	v_mul_lo_u32 v0, v1, s24
	v_sub_u32_e32 v0, v8, v0
	v_mul_lo_u32 v2, v0, s21
	s_andn2_b64 vcc, exec, s[42:43]
	v_mul_lo_u32 v0, v0, s20
	s_cbranch_vccnz .LBB199_84
; %bb.83:
	v_mul_hi_u32 v3, s40, v1
	v_add_u32_e32 v3, v1, v3
	v_lshrrev_b32_e32 v3, s41, v3
	v_mul_lo_u32 v3, v3, s27
	v_sub_u32_e32 v3, v1, v3
	v_mad_u64_u32 v[0:1], s[0:1], v3, s22, v[0:1]
	v_mad_u64_u32 v[2:3], s[0:1], v3, s23, v[2:3]
.LBB199_84:
	s_waitcnt lgkmcnt(0)
	global_load_dword v1, v2, s[18:19]
	s_mov_b32 s0, 0
	s_mov_b32 s1, 0x3fd80000
	v_add_u32_e32 v8, 0x80, v8
	s_waitcnt vmcnt(0)
	v_cvt_f64_f32_e32 v[2:3], v1
	v_rsq_f64_e32 v[4:5], v[2:3]
	v_mov_b32_e32 v1, 0x180
	v_mul_f64 v[2:3], v[4:5], -v[2:3]
	v_fma_f64 v[2:3], v[2:3], v[4:5], 1.0
	v_mul_f64 v[6:7], v[4:5], v[2:3]
	v_fma_f64 v[2:3], v[2:3], s[0:1], 0.5
	v_fma_f64 v[2:3], v[6:7], v[2:3], v[4:5]
	v_cmp_class_f64_e32 vcc, v[4:5], v1
	s_nop 1
	v_cndmask_b32_e32 v3, v5, v3, vcc
	v_cndmask_b32_e32 v2, v4, v2, vcc
	v_cvt_f32_f64_e32 v1, v[2:3]
	global_store_dword v0, v1, s[16:17]
	s_or_b64 exec, exec, s[48:49]
	v_cmp_gt_i32_e32 vcc, s55, v8
	s_and_saveexec_b64 s[48:49], vcc
	s_cbranch_execnz .LBB199_16
.LBB199_85:
	s_or_b64 exec, exec, s[48:49]
	v_cmp_gt_i32_e32 vcc, s55, v8
	s_and_saveexec_b64 s[48:49], vcc
	s_cbranch_execz .LBB199_102
.LBB199_86:
	s_andn2_b64 vcc, exec, s[36:37]
	s_cbranch_vccnz .LBB199_92
; %bb.87:
	s_andn2_b64 vcc, exec, s[46:47]
	s_cbranch_vccnz .LBB199_93
; %bb.88:
	s_add_i32 s58, s56, 1
	s_cmp_eq_u32 s54, 2
	s_cbranch_scc1 .LBB199_105
; %bb.89:
	s_and_b32 s57, s58, 28
	s_mov_b32 s59, 0
	v_mov_b32_e32 v0, 0
	v_mov_b32_e32 v2, 0
	s_mov_b64 s[50:51], s[34:35]
	s_mov_b64 s[52:53], s[44:45]
	v_mov_b32_e32 v4, v8
.LBB199_90:                             ; =>This Inner Loop Header: Depth=1
	s_load_dwordx8 s[8:15], s[50:51], 0x4
	s_load_dwordx4 s[28:31], s[50:51], 0x24
	s_load_dwordx8 s[0:7], s[52:53], 0x0
	s_add_u32 s50, s50, 48
	s_addc_u32 s51, s51, 0
	s_waitcnt lgkmcnt(0)
	v_mul_hi_u32 v1, s9, v4
	v_add_u32_e32 v1, v4, v1
	v_lshrrev_b32_e32 v1, s10, v1
	v_mul_lo_u32 v3, v1, s8
	v_mul_hi_u32 v5, s12, v1
	v_sub_u32_e32 v3, v4, v3
	v_add_u32_e32 v4, v1, v5
	v_lshrrev_b32_e32 v4, s13, v4
	v_mul_lo_u32 v6, v4, s11
	v_mul_hi_u32 v7, s15, v4
	v_sub_u32_e32 v1, v1, v6
	v_add_u32_e32 v6, v4, v7
	v_mul_lo_u32 v5, v3, s1
	v_mul_lo_u32 v3, v3, s0
	;; [unrolled: 1-line block ×4, first 2 shown]
	v_lshrrev_b32_e32 v6, s28, v6
	v_add3_u32 v0, v3, v0, v1
	v_mul_hi_u32 v3, s30, v6
	v_add3_u32 v1, v5, v2, v7
	v_mul_lo_u32 v2, v6, s14
	v_add_u32_e32 v3, v6, v3
	v_sub_u32_e32 v2, v4, v2
	v_lshrrev_b32_e32 v4, s31, v3
	s_add_i32 s59, s59, 4
	v_mul_lo_u32 v3, v4, s29
	s_add_u32 s52, s52, 32
	v_sub_u32_e32 v3, v6, v3
	s_addc_u32 s53, s53, 0
	v_mul_lo_u32 v5, v2, s4
	v_mul_lo_u32 v2, v2, s5
	;; [unrolled: 1-line block ×4, first 2 shown]
	s_cmp_eq_u32 s57, s59
	v_add3_u32 v2, v2, v1, v3
	v_add3_u32 v0, v5, v0, v6
	s_cbranch_scc0 .LBB199_90
; %bb.91:
	v_mov_b32_e32 v1, v2
	s_branch .LBB199_106
.LBB199_92:
                                        ; implicit-def: $vgpr2
                                        ; implicit-def: $vgpr0
	s_branch .LBB199_110
.LBB199_93:
	v_mov_b32_e32 v2, 0
	v_mov_b32_e32 v0, 0
	s_branch .LBB199_109
.LBB199_94:
	v_mov_b32_e32 v0, 0
	s_mov_b32 s57, 0
	v_mov_b32_e32 v1, v0
                                        ; implicit-def: $vgpr2
	v_mov_b32_e32 v4, v8
.LBB199_95:
	s_and_b32 s4, s58, 3
	s_cmp_eq_u32 s4, 0
	s_cbranch_scc1 .LBB199_98
; %bb.96:
	s_lshl_b32 s0, s57, 3
	s_add_u32 s0, s34, s0
	s_addc_u32 s1, s35, 0
	s_add_u32 s0, s0, 0xc4
	s_addc_u32 s1, s1, 0
	s_mul_i32 s2, s57, 12
	s_add_u32 s2, s34, s2
	s_addc_u32 s3, s35, 0
.LBB199_97:                             ; =>This Inner Loop Header: Depth=1
	s_load_dwordx2 s[6:7], s[2:3], 0x4
	s_load_dword s5, s[2:3], 0xc
	s_load_dwordx2 s[8:9], s[0:1], 0x0
	v_mov_b32_e32 v2, v1
	s_add_u32 s2, s2, 12
	s_waitcnt lgkmcnt(0)
	v_mul_hi_u32 v1, s7, v4
	v_add_u32_e32 v1, v4, v1
	v_lshrrev_b32_e32 v1, s5, v1
	s_addc_u32 s3, s3, 0
	v_mul_lo_u32 v3, v1, s6
	s_add_u32 s0, s0, 8
	v_sub_u32_e32 v5, v4, v3
	s_addc_u32 s1, s1, 0
	s_add_i32 s4, s4, -1
	v_mov_b32_e32 v4, v1
	v_mad_u64_u32 v[2:3], s[6:7], v5, s9, v[2:3]
	v_mad_u64_u32 v[0:1], s[6:7], v5, s8, v[0:1]
	s_cmp_lg_u32 s4, 0
	v_mov_b32_e32 v1, v2
	s_cbranch_scc1 .LBB199_97
.LBB199_98:
	s_cbranch_execnz .LBB199_101
.LBB199_99:
	s_waitcnt lgkmcnt(0)
	v_mul_hi_u32 v0, s25, v8
	v_add_u32_e32 v0, v8, v0
	v_lshrrev_b32_e32 v1, s26, v0
	v_mul_lo_u32 v0, v1, s24
	v_sub_u32_e32 v0, v8, v0
	v_mul_lo_u32 v2, v0, s21
	s_andn2_b64 vcc, exec, s[42:43]
	v_mul_lo_u32 v0, v0, s20
	s_cbranch_vccnz .LBB199_101
; %bb.100:
	v_mul_hi_u32 v3, s40, v1
	v_add_u32_e32 v3, v1, v3
	v_lshrrev_b32_e32 v3, s41, v3
	v_mul_lo_u32 v3, v3, s27
	v_sub_u32_e32 v3, v1, v3
	v_mad_u64_u32 v[0:1], s[0:1], v3, s22, v[0:1]
	v_mad_u64_u32 v[2:3], s[0:1], v3, s23, v[2:3]
.LBB199_101:
	s_waitcnt lgkmcnt(0)
	global_load_dword v1, v2, s[18:19]
	s_mov_b32 s0, 0
	s_mov_b32 s1, 0x3fd80000
	v_add_u32_e32 v8, 0x80, v8
	s_waitcnt vmcnt(0)
	v_cvt_f64_f32_e32 v[2:3], v1
	v_rsq_f64_e32 v[4:5], v[2:3]
	v_mov_b32_e32 v1, 0x180
	v_mul_f64 v[2:3], v[4:5], -v[2:3]
	v_fma_f64 v[2:3], v[2:3], v[4:5], 1.0
	v_mul_f64 v[6:7], v[4:5], v[2:3]
	v_fma_f64 v[2:3], v[2:3], s[0:1], 0.5
	v_fma_f64 v[2:3], v[6:7], v[2:3], v[4:5]
	v_cmp_class_f64_e32 vcc, v[4:5], v1
	s_nop 1
	v_cndmask_b32_e32 v3, v5, v3, vcc
	v_cndmask_b32_e32 v2, v4, v2, vcc
	v_cvt_f32_f64_e32 v1, v[2:3]
	global_store_dword v0, v1, s[16:17]
	s_or_b64 exec, exec, s[48:49]
	v_cmp_gt_i32_e32 vcc, s55, v8
	s_and_saveexec_b64 s[48:49], vcc
	s_cbranch_execnz .LBB199_86
.LBB199_102:
	s_or_b64 exec, exec, s[48:49]
	v_cmp_gt_i32_e32 vcc, s55, v8
	s_and_saveexec_b64 s[48:49], vcc
	s_cbranch_execnz .LBB199_113
.LBB199_103:
	s_or_b64 exec, exec, s[48:49]
                                        ; implicit-def: $vgpr16
                                        ; implicit-def: $vgpr8
	s_andn2_saveexec_b64 s[0:1], s[38:39]
	s_cbranch_execnz .LBB199_9
.LBB199_104:
	s_endpgm
.LBB199_105:
	v_mov_b32_e32 v0, 0
	s_mov_b32 s57, 0
	v_mov_b32_e32 v1, v0
                                        ; implicit-def: $vgpr2
	v_mov_b32_e32 v4, v8
.LBB199_106:
	s_and_b32 s4, s58, 3
	s_cmp_eq_u32 s4, 0
	s_cbranch_scc1 .LBB199_109
; %bb.107:
	s_lshl_b32 s0, s57, 3
	s_add_u32 s0, s34, s0
	s_addc_u32 s1, s35, 0
	s_add_u32 s0, s0, 0xc4
	s_addc_u32 s1, s1, 0
	s_mul_i32 s2, s57, 12
	s_add_u32 s2, s34, s2
	s_addc_u32 s3, s35, 0
.LBB199_108:                            ; =>This Inner Loop Header: Depth=1
	s_load_dwordx2 s[6:7], s[2:3], 0x4
	s_load_dword s5, s[2:3], 0xc
	s_load_dwordx2 s[8:9], s[0:1], 0x0
	v_mov_b32_e32 v2, v1
	s_add_u32 s2, s2, 12
	s_waitcnt lgkmcnt(0)
	v_mul_hi_u32 v1, s7, v4
	v_add_u32_e32 v1, v4, v1
	v_lshrrev_b32_e32 v1, s5, v1
	s_addc_u32 s3, s3, 0
	v_mul_lo_u32 v3, v1, s6
	s_add_u32 s0, s0, 8
	v_sub_u32_e32 v5, v4, v3
	s_addc_u32 s1, s1, 0
	s_add_i32 s4, s4, -1
	v_mov_b32_e32 v4, v1
	v_mad_u64_u32 v[2:3], s[6:7], v5, s9, v[2:3]
	v_mad_u64_u32 v[0:1], s[6:7], v5, s8, v[0:1]
	s_cmp_lg_u32 s4, 0
	v_mov_b32_e32 v1, v2
	s_cbranch_scc1 .LBB199_108
.LBB199_109:
	s_cbranch_execnz .LBB199_112
.LBB199_110:
	s_waitcnt lgkmcnt(0)
	v_mul_hi_u32 v0, s25, v8
	v_add_u32_e32 v0, v8, v0
	v_lshrrev_b32_e32 v1, s26, v0
	v_mul_lo_u32 v0, v1, s24
	v_sub_u32_e32 v0, v8, v0
	v_mul_lo_u32 v2, v0, s21
	s_andn2_b64 vcc, exec, s[42:43]
	v_mul_lo_u32 v0, v0, s20
	s_cbranch_vccnz .LBB199_112
; %bb.111:
	v_mul_hi_u32 v3, s40, v1
	v_add_u32_e32 v3, v1, v3
	v_lshrrev_b32_e32 v3, s41, v3
	v_mul_lo_u32 v3, v3, s27
	v_sub_u32_e32 v3, v1, v3
	v_mad_u64_u32 v[0:1], s[0:1], v3, s22, v[0:1]
	v_mad_u64_u32 v[2:3], s[0:1], v3, s23, v[2:3]
.LBB199_112:
	s_waitcnt lgkmcnt(0)
	global_load_dword v1, v2, s[18:19]
	s_mov_b32 s0, 0
	s_mov_b32 s1, 0x3fd80000
	v_add_u32_e32 v8, 0x80, v8
	s_waitcnt vmcnt(0)
	v_cvt_f64_f32_e32 v[2:3], v1
	v_rsq_f64_e32 v[4:5], v[2:3]
	v_mov_b32_e32 v1, 0x180
	v_mul_f64 v[2:3], v[4:5], -v[2:3]
	v_fma_f64 v[2:3], v[2:3], v[4:5], 1.0
	v_mul_f64 v[6:7], v[4:5], v[2:3]
	v_fma_f64 v[2:3], v[2:3], s[0:1], 0.5
	v_fma_f64 v[2:3], v[6:7], v[2:3], v[4:5]
	v_cmp_class_f64_e32 vcc, v[4:5], v1
	s_nop 1
	v_cndmask_b32_e32 v3, v5, v3, vcc
	v_cndmask_b32_e32 v2, v4, v2, vcc
	v_cvt_f32_f64_e32 v1, v[2:3]
	global_store_dword v0, v1, s[16:17]
	s_or_b64 exec, exec, s[48:49]
	v_cmp_gt_i32_e32 vcc, s55, v8
	s_and_saveexec_b64 s[48:49], vcc
	s_cbranch_execz .LBB199_103
.LBB199_113:
	s_andn2_b64 vcc, exec, s[36:37]
	s_cbranch_vccnz .LBB199_119
; %bb.114:
	s_andn2_b64 vcc, exec, s[46:47]
	s_cbranch_vccnz .LBB199_120
; %bb.115:
	s_add_i32 s56, s56, 1
	s_cmp_eq_u32 s54, 2
	s_cbranch_scc1 .LBB199_121
; %bb.116:
	s_and_b32 s50, s56, 28
	s_mov_b32 s51, 0
	v_mov_b32_e32 v0, 0
	v_mov_b32_e32 v2, 0
	s_mov_b64 s[46:47], s[34:35]
	v_mov_b32_e32 v4, v8
.LBB199_117:                            ; =>This Inner Loop Header: Depth=1
	s_load_dwordx8 s[8:15], s[46:47], 0x4
	s_load_dwordx4 s[28:31], s[46:47], 0x24
	s_load_dwordx8 s[0:7], s[44:45], 0x0
	s_add_u32 s46, s46, 48
	s_addc_u32 s47, s47, 0
	s_waitcnt lgkmcnt(0)
	v_mul_hi_u32 v1, s9, v4
	v_add_u32_e32 v1, v4, v1
	v_lshrrev_b32_e32 v1, s10, v1
	v_mul_lo_u32 v3, v1, s8
	v_mul_hi_u32 v5, s12, v1
	v_sub_u32_e32 v3, v4, v3
	v_add_u32_e32 v4, v1, v5
	v_lshrrev_b32_e32 v4, s13, v4
	v_mul_lo_u32 v6, v4, s11
	v_mul_hi_u32 v7, s15, v4
	v_sub_u32_e32 v1, v1, v6
	v_add_u32_e32 v6, v4, v7
	v_mul_lo_u32 v5, v3, s1
	v_mul_lo_u32 v3, v3, s0
	;; [unrolled: 1-line block ×4, first 2 shown]
	v_lshrrev_b32_e32 v6, s28, v6
	v_add3_u32 v0, v3, v0, v1
	v_mul_hi_u32 v3, s30, v6
	v_add3_u32 v1, v5, v2, v7
	v_mul_lo_u32 v2, v6, s14
	v_add_u32_e32 v3, v6, v3
	v_sub_u32_e32 v2, v4, v2
	v_lshrrev_b32_e32 v4, s31, v3
	s_add_i32 s51, s51, 4
	v_mul_lo_u32 v3, v4, s29
	s_add_u32 s44, s44, 32
	v_sub_u32_e32 v3, v6, v3
	s_addc_u32 s45, s45, 0
	v_mul_lo_u32 v5, v2, s4
	v_mul_lo_u32 v2, v2, s5
	;; [unrolled: 1-line block ×4, first 2 shown]
	s_cmp_eq_u32 s50, s51
	v_add3_u32 v2, v2, v1, v3
	v_add3_u32 v0, v5, v0, v6
	s_cbranch_scc0 .LBB199_117
; %bb.118:
	v_mov_b32_e32 v1, v2
	s_branch .LBB199_122
.LBB199_119:
                                        ; implicit-def: $vgpr2
                                        ; implicit-def: $vgpr0
	s_branch .LBB199_126
.LBB199_120:
	v_mov_b32_e32 v2, 0
	v_mov_b32_e32 v0, 0
	s_branch .LBB199_125
.LBB199_121:
	v_mov_b32_e32 v0, 0
	s_mov_b32 s50, 0
	v_mov_b32_e32 v1, v0
                                        ; implicit-def: $vgpr2
	v_mov_b32_e32 v4, v8
.LBB199_122:
	s_and_b32 s4, s56, 3
	s_cmp_eq_u32 s4, 0
	s_cbranch_scc1 .LBB199_125
; %bb.123:
	s_lshl_b32 s0, s50, 3
	s_add_u32 s0, s34, s0
	s_addc_u32 s1, s35, 0
	s_add_u32 s0, s0, 0xc4
	s_addc_u32 s1, s1, 0
	s_mul_i32 s2, s50, 12
	s_add_u32 s2, s34, s2
	s_addc_u32 s3, s35, 0
.LBB199_124:                            ; =>This Inner Loop Header: Depth=1
	s_load_dwordx2 s[6:7], s[2:3], 0x4
	s_load_dword s5, s[2:3], 0xc
	s_load_dwordx2 s[8:9], s[0:1], 0x0
	v_mov_b32_e32 v2, v1
	s_add_u32 s2, s2, 12
	s_waitcnt lgkmcnt(0)
	v_mul_hi_u32 v1, s7, v4
	v_add_u32_e32 v1, v4, v1
	v_lshrrev_b32_e32 v1, s5, v1
	s_addc_u32 s3, s3, 0
	v_mul_lo_u32 v3, v1, s6
	s_add_u32 s0, s0, 8
	v_sub_u32_e32 v5, v4, v3
	s_addc_u32 s1, s1, 0
	s_add_i32 s4, s4, -1
	v_mov_b32_e32 v4, v1
	v_mad_u64_u32 v[2:3], s[6:7], v5, s9, v[2:3]
	v_mad_u64_u32 v[0:1], s[6:7], v5, s8, v[0:1]
	s_cmp_lg_u32 s4, 0
	v_mov_b32_e32 v1, v2
	s_cbranch_scc1 .LBB199_124
.LBB199_125:
	s_cbranch_execnz .LBB199_128
.LBB199_126:
	s_waitcnt lgkmcnt(0)
	v_mul_hi_u32 v0, s25, v8
	v_add_u32_e32 v0, v8, v0
	v_lshrrev_b32_e32 v1, s26, v0
	v_mul_lo_u32 v0, v1, s24
	v_sub_u32_e32 v0, v8, v0
	v_mul_lo_u32 v2, v0, s21
	s_andn2_b64 vcc, exec, s[42:43]
	v_mul_lo_u32 v0, v0, s20
	s_cbranch_vccnz .LBB199_128
; %bb.127:
	v_mul_hi_u32 v3, s40, v1
	v_add_u32_e32 v3, v1, v3
	v_lshrrev_b32_e32 v3, s41, v3
	v_mul_lo_u32 v3, v3, s27
	v_sub_u32_e32 v3, v1, v3
	v_mad_u64_u32 v[0:1], s[0:1], v3, s22, v[0:1]
	v_mad_u64_u32 v[2:3], s[0:1], v3, s23, v[2:3]
.LBB199_128:
	s_waitcnt lgkmcnt(0)
	global_load_dword v1, v2, s[18:19]
	s_mov_b32 s0, 0
	s_mov_b32 s1, 0x3fd80000
	s_waitcnt vmcnt(0)
	v_cvt_f64_f32_e32 v[2:3], v1
	v_rsq_f64_e32 v[4:5], v[2:3]
	v_mov_b32_e32 v1, 0x180
	v_mul_f64 v[2:3], v[4:5], -v[2:3]
	v_fma_f64 v[2:3], v[2:3], v[4:5], 1.0
	v_mul_f64 v[6:7], v[4:5], v[2:3]
	v_fma_f64 v[2:3], v[2:3], s[0:1], 0.5
	v_fma_f64 v[2:3], v[6:7], v[2:3], v[4:5]
	v_cmp_class_f64_e32 vcc, v[4:5], v1
	s_nop 1
	v_cndmask_b32_e32 v3, v5, v3, vcc
	v_cndmask_b32_e32 v2, v4, v2, vcc
	v_cvt_f32_f64_e32 v1, v[2:3]
	global_store_dword v0, v1, s[16:17]
	s_or_b64 exec, exec, s[48:49]
                                        ; implicit-def: $vgpr16
                                        ; implicit-def: $vgpr8
	s_andn2_saveexec_b64 s[0:1], s[38:39]
	s_cbranch_execz .LBB199_104
	s_branch .LBB199_9
	.section	.rodata,"a",@progbits
	.p2align	6, 0x0
	.amdhsa_kernel _ZN2at6native32elementwise_kernel_manual_unrollILi128ELi4EZNS0_22gpu_kernel_impl_nocastIZZZNS0_17rsqrt_kernel_cudaERNS_18TensorIteratorBaseEENKUlvE0_clEvENKUlvE0_clEvEUlfE_EEvS4_RKT_EUlibE_EEviT1_
		.amdhsa_group_segment_fixed_size 0
		.amdhsa_private_segment_fixed_size 0
		.amdhsa_kernarg_size 360
		.amdhsa_user_sgpr_count 2
		.amdhsa_user_sgpr_dispatch_ptr 0
		.amdhsa_user_sgpr_queue_ptr 0
		.amdhsa_user_sgpr_kernarg_segment_ptr 1
		.amdhsa_user_sgpr_dispatch_id 0
		.amdhsa_user_sgpr_kernarg_preload_length 0
		.amdhsa_user_sgpr_kernarg_preload_offset 0
		.amdhsa_user_sgpr_private_segment_size 0
		.amdhsa_uses_dynamic_stack 0
		.amdhsa_enable_private_segment 0
		.amdhsa_system_sgpr_workgroup_id_x 1
		.amdhsa_system_sgpr_workgroup_id_y 0
		.amdhsa_system_sgpr_workgroup_id_z 0
		.amdhsa_system_sgpr_workgroup_info 0
		.amdhsa_system_vgpr_workitem_id 0
		.amdhsa_next_free_vgpr 33
		.amdhsa_next_free_sgpr 60
		.amdhsa_accum_offset 36
		.amdhsa_reserve_vcc 1
		.amdhsa_float_round_mode_32 0
		.amdhsa_float_round_mode_16_64 0
		.amdhsa_float_denorm_mode_32 3
		.amdhsa_float_denorm_mode_16_64 3
		.amdhsa_dx10_clamp 1
		.amdhsa_ieee_mode 1
		.amdhsa_fp16_overflow 0
		.amdhsa_tg_split 0
		.amdhsa_exception_fp_ieee_invalid_op 0
		.amdhsa_exception_fp_denorm_src 0
		.amdhsa_exception_fp_ieee_div_zero 0
		.amdhsa_exception_fp_ieee_overflow 0
		.amdhsa_exception_fp_ieee_underflow 0
		.amdhsa_exception_fp_ieee_inexact 0
		.amdhsa_exception_int_div_zero 0
	.end_amdhsa_kernel
	.section	.text._ZN2at6native32elementwise_kernel_manual_unrollILi128ELi4EZNS0_22gpu_kernel_impl_nocastIZZZNS0_17rsqrt_kernel_cudaERNS_18TensorIteratorBaseEENKUlvE0_clEvENKUlvE0_clEvEUlfE_EEvS4_RKT_EUlibE_EEviT1_,"axG",@progbits,_ZN2at6native32elementwise_kernel_manual_unrollILi128ELi4EZNS0_22gpu_kernel_impl_nocastIZZZNS0_17rsqrt_kernel_cudaERNS_18TensorIteratorBaseEENKUlvE0_clEvENKUlvE0_clEvEUlfE_EEvS4_RKT_EUlibE_EEviT1_,comdat
.Lfunc_end199:
	.size	_ZN2at6native32elementwise_kernel_manual_unrollILi128ELi4EZNS0_22gpu_kernel_impl_nocastIZZZNS0_17rsqrt_kernel_cudaERNS_18TensorIteratorBaseEENKUlvE0_clEvENKUlvE0_clEvEUlfE_EEvS4_RKT_EUlibE_EEviT1_, .Lfunc_end199-_ZN2at6native32elementwise_kernel_manual_unrollILi128ELi4EZNS0_22gpu_kernel_impl_nocastIZZZNS0_17rsqrt_kernel_cudaERNS_18TensorIteratorBaseEENKUlvE0_clEvENKUlvE0_clEvEUlfE_EEvS4_RKT_EUlibE_EEviT1_
                                        ; -- End function
	.set _ZN2at6native32elementwise_kernel_manual_unrollILi128ELi4EZNS0_22gpu_kernel_impl_nocastIZZZNS0_17rsqrt_kernel_cudaERNS_18TensorIteratorBaseEENKUlvE0_clEvENKUlvE0_clEvEUlfE_EEvS4_RKT_EUlibE_EEviT1_.num_vgpr, 33
	.set _ZN2at6native32elementwise_kernel_manual_unrollILi128ELi4EZNS0_22gpu_kernel_impl_nocastIZZZNS0_17rsqrt_kernel_cudaERNS_18TensorIteratorBaseEENKUlvE0_clEvENKUlvE0_clEvEUlfE_EEvS4_RKT_EUlibE_EEviT1_.num_agpr, 0
	.set _ZN2at6native32elementwise_kernel_manual_unrollILi128ELi4EZNS0_22gpu_kernel_impl_nocastIZZZNS0_17rsqrt_kernel_cudaERNS_18TensorIteratorBaseEENKUlvE0_clEvENKUlvE0_clEvEUlfE_EEvS4_RKT_EUlibE_EEviT1_.numbered_sgpr, 60
	.set _ZN2at6native32elementwise_kernel_manual_unrollILi128ELi4EZNS0_22gpu_kernel_impl_nocastIZZZNS0_17rsqrt_kernel_cudaERNS_18TensorIteratorBaseEENKUlvE0_clEvENKUlvE0_clEvEUlfE_EEvS4_RKT_EUlibE_EEviT1_.num_named_barrier, 0
	.set _ZN2at6native32elementwise_kernel_manual_unrollILi128ELi4EZNS0_22gpu_kernel_impl_nocastIZZZNS0_17rsqrt_kernel_cudaERNS_18TensorIteratorBaseEENKUlvE0_clEvENKUlvE0_clEvEUlfE_EEvS4_RKT_EUlibE_EEviT1_.private_seg_size, 0
	.set _ZN2at6native32elementwise_kernel_manual_unrollILi128ELi4EZNS0_22gpu_kernel_impl_nocastIZZZNS0_17rsqrt_kernel_cudaERNS_18TensorIteratorBaseEENKUlvE0_clEvENKUlvE0_clEvEUlfE_EEvS4_RKT_EUlibE_EEviT1_.uses_vcc, 1
	.set _ZN2at6native32elementwise_kernel_manual_unrollILi128ELi4EZNS0_22gpu_kernel_impl_nocastIZZZNS0_17rsqrt_kernel_cudaERNS_18TensorIteratorBaseEENKUlvE0_clEvENKUlvE0_clEvEUlfE_EEvS4_RKT_EUlibE_EEviT1_.uses_flat_scratch, 0
	.set _ZN2at6native32elementwise_kernel_manual_unrollILi128ELi4EZNS0_22gpu_kernel_impl_nocastIZZZNS0_17rsqrt_kernel_cudaERNS_18TensorIteratorBaseEENKUlvE0_clEvENKUlvE0_clEvEUlfE_EEvS4_RKT_EUlibE_EEviT1_.has_dyn_sized_stack, 0
	.set _ZN2at6native32elementwise_kernel_manual_unrollILi128ELi4EZNS0_22gpu_kernel_impl_nocastIZZZNS0_17rsqrt_kernel_cudaERNS_18TensorIteratorBaseEENKUlvE0_clEvENKUlvE0_clEvEUlfE_EEvS4_RKT_EUlibE_EEviT1_.has_recursion, 0
	.set _ZN2at6native32elementwise_kernel_manual_unrollILi128ELi4EZNS0_22gpu_kernel_impl_nocastIZZZNS0_17rsqrt_kernel_cudaERNS_18TensorIteratorBaseEENKUlvE0_clEvENKUlvE0_clEvEUlfE_EEvS4_RKT_EUlibE_EEviT1_.has_indirect_call, 0
	.section	.AMDGPU.csdata,"",@progbits
; Kernel info:
; codeLenInByte = 6404
; TotalNumSgprs: 66
; NumVgprs: 33
; NumAgprs: 0
; TotalNumVgprs: 33
; ScratchSize: 0
; MemoryBound: 0
; FloatMode: 240
; IeeeMode: 1
; LDSByteSize: 0 bytes/workgroup (compile time only)
; SGPRBlocks: 8
; VGPRBlocks: 4
; NumSGPRsForWavesPerEU: 66
; NumVGPRsForWavesPerEU: 33
; AccumOffset: 36
; Occupancy: 8
; WaveLimiterHint : 1
; COMPUTE_PGM_RSRC2:SCRATCH_EN: 0
; COMPUTE_PGM_RSRC2:USER_SGPR: 2
; COMPUTE_PGM_RSRC2:TRAP_HANDLER: 0
; COMPUTE_PGM_RSRC2:TGID_X_EN: 1
; COMPUTE_PGM_RSRC2:TGID_Y_EN: 0
; COMPUTE_PGM_RSRC2:TGID_Z_EN: 0
; COMPUTE_PGM_RSRC2:TIDIG_COMP_CNT: 0
; COMPUTE_PGM_RSRC3_GFX90A:ACCUM_OFFSET: 8
; COMPUTE_PGM_RSRC3_GFX90A:TG_SPLIT: 0
	.section	.text._ZN2at6native32elementwise_kernel_manual_unrollILi128ELi4EZNS0_15gpu_kernel_implIZZZNS0_17rsqrt_kernel_cudaERNS_18TensorIteratorBaseEENKUlvE0_clEvENKUlvE0_clEvEUlfE_EEvS4_RKT_EUlibE_EEviT1_,"axG",@progbits,_ZN2at6native32elementwise_kernel_manual_unrollILi128ELi4EZNS0_15gpu_kernel_implIZZZNS0_17rsqrt_kernel_cudaERNS_18TensorIteratorBaseEENKUlvE0_clEvENKUlvE0_clEvEUlfE_EEvS4_RKT_EUlibE_EEviT1_,comdat
	.globl	_ZN2at6native32elementwise_kernel_manual_unrollILi128ELi4EZNS0_15gpu_kernel_implIZZZNS0_17rsqrt_kernel_cudaERNS_18TensorIteratorBaseEENKUlvE0_clEvENKUlvE0_clEvEUlfE_EEvS4_RKT_EUlibE_EEviT1_ ; -- Begin function _ZN2at6native32elementwise_kernel_manual_unrollILi128ELi4EZNS0_15gpu_kernel_implIZZZNS0_17rsqrt_kernel_cudaERNS_18TensorIteratorBaseEENKUlvE0_clEvENKUlvE0_clEvEUlfE_EEvS4_RKT_EUlibE_EEviT1_
	.p2align	8
	.type	_ZN2at6native32elementwise_kernel_manual_unrollILi128ELi4EZNS0_15gpu_kernel_implIZZZNS0_17rsqrt_kernel_cudaERNS_18TensorIteratorBaseEENKUlvE0_clEvENKUlvE0_clEvEUlfE_EEvS4_RKT_EUlibE_EEviT1_,@function
_ZN2at6native32elementwise_kernel_manual_unrollILi128ELi4EZNS0_15gpu_kernel_implIZZZNS0_17rsqrt_kernel_cudaERNS_18TensorIteratorBaseEENKUlvE0_clEvENKUlvE0_clEvEUlfE_EEvS4_RKT_EUlibE_EEviT1_: ; @_ZN2at6native32elementwise_kernel_manual_unrollILi128ELi4EZNS0_15gpu_kernel_implIZZZNS0_17rsqrt_kernel_cudaERNS_18TensorIteratorBaseEENKUlvE0_clEvENKUlvE0_clEvEUlfE_EEvS4_RKT_EUlibE_EEviT1_
; %bb.0:
	v_mov_b32_e32 v1, 0
	global_load_ushort v1, v1, s[0:1] offset:33
	s_load_dwordx4 s[4:7], s[0:1], 0x8
	s_load_dwordx2 s[8:9], s[0:1], 0x18
	s_load_dword s38, s[0:1], 0x0
	v_lshl_or_b32 v5, s2, 9, v0
	v_or_b32_e32 v0, 0x180, v5
	s_mov_b64 s[10:11], 0
	s_mov_b64 s[12:13], 0
	s_waitcnt lgkmcnt(0)
	v_cmp_le_i32_e32 vcc, s38, v0
	s_waitcnt vmcnt(0)
	v_readfirstlane_b32 s33, v1
	s_and_b32 s0, 0xffff, s33
	s_lshr_b32 s42, s0, 8
	s_and_saveexec_b64 s[0:1], vcc
	s_xor_b64 s[2:3], exec, s[0:1]
	s_cbranch_execz .LBB200_1027
; %bb.1:
	v_cmp_gt_i32_e32 vcc, s38, v5
	s_mov_b64 s[18:19], -1
	s_mov_b64 s[20:21], 0
	s_mov_b64 s[14:15], 0
	s_and_saveexec_b64 s[16:17], vcc
	s_cbranch_execz .LBB200_252
; %bb.2:
	v_mul_lo_u32 v0, v5, s9
	v_ashrrev_i32_e32 v1, 31, v0
	s_and_b32 s22, 0xffff, s42
	s_cmp_lt_i32 s22, 11
	v_lshl_add_u64 v[0:1], s[6:7], 0, v[0:1]
	s_cbranch_scc1 .LBB200_9
; %bb.3:
	s_cmp_gt_i32 s22, 25
	s_cbranch_scc0 .LBB200_18
; %bb.4:
	s_cmp_gt_i32 s22, 28
	s_cbranch_scc0 .LBB200_22
	;; [unrolled: 3-line block ×4, first 2 shown]
; %bb.7:
	s_cmp_eq_u32 s22, 46
	s_cbranch_scc0 .LBB200_28
; %bb.8:
	global_load_dword v2, v[0:1], off
	s_mov_b64 s[0:1], -1
	s_waitcnt vmcnt(0)
	v_lshlrev_b32_e32 v2, 16, v2
	s_branch .LBB200_30
.LBB200_9:
                                        ; implicit-def: $vgpr2
	s_mov_b64 s[0:1], 0
	s_cbranch_execnz .LBB200_203
.LBB200_10:
	s_andn2_b64 vcc, exec, s[0:1]
	s_cbranch_vccnz .LBB200_250
.LBB200_11:
	s_waitcnt vmcnt(0)
	v_cvt_f64_f32_e32 v[0:1], v2
	v_rsq_f64_e32 v[2:3], v[0:1]
	s_mov_b32 s0, 0
	s_mov_b32 s1, 0x3fd80000
	v_mov_b32_e32 v4, 0x180
	v_mul_f64 v[0:1], v[2:3], -v[0:1]
	v_fma_f64 v[0:1], v[0:1], v[2:3], 1.0
	v_mul_f64 v[6:7], v[2:3], v[0:1]
	v_fma_f64 v[0:1], v[0:1], s[0:1], 0.5
	v_fma_f64 v[0:1], v[6:7], v[0:1], v[2:3]
	v_cmp_class_f64_e32 vcc, v[2:3], v4
	s_and_b32 s24, s33, 0xff
	s_cmp_lt_i32 s24, 11
	v_cndmask_b32_e32 v1, v3, v1, vcc
	v_cndmask_b32_e32 v0, v2, v0, vcc
	v_cvt_f32_f64_e32 v2, v[0:1]
	v_mul_lo_u32 v0, v5, s8
	v_ashrrev_i32_e32 v1, 31, v0
	v_lshl_add_u64 v[0:1], s[4:5], 0, v[0:1]
	s_cbranch_scc1 .LBB200_19
; %bb.12:
	s_and_b32 s25, 0xffff, s24
	s_cmp_gt_i32 s25, 25
	s_cbranch_scc0 .LBB200_23
; %bb.13:
	s_cmp_gt_i32 s25, 28
	s_cbranch_scc0 .LBB200_25
; %bb.14:
	;; [unrolled: 3-line block ×4, first 2 shown]
	s_mov_b64 s[18:19], 0
	s_mov_b64 s[0:1], -1
	s_cmp_eq_u32 s25, 46
	s_mov_b64 s[12:13], 0
	s_cbranch_scc0 .LBB200_34
; %bb.17:
	v_bfe_u32 v3, v2, 16, 1
	s_movk_i32 s0, 0x7fff
	v_add3_u32 v3, v2, v3, s0
	v_cmp_o_f32_e32 vcc, v2, v2
	v_mov_b32_e32 v4, 0x7fc0
	s_mov_b64 s[12:13], -1
	v_cndmask_b32_sdwa v3, v4, v3, vcc dst_sel:DWORD dst_unused:UNUSED_PAD src0_sel:DWORD src1_sel:WORD_1
	global_store_dword v[0:1], v3, off
	s_mov_b64 s[0:1], 0
	s_branch .LBB200_34
.LBB200_18:
	s_mov_b64 s[0:1], 0
                                        ; implicit-def: $vgpr2
	s_cbranch_execnz .LBB200_168
	s_branch .LBB200_202
.LBB200_19:
	s_mov_b64 s[0:1], 0
	s_mov_b64 s[12:13], 0
	s_cbranch_execnz .LBB200_103
.LBB200_20:
	s_andn2_b64 vcc, exec, s[12:13]
	s_cbranch_vccnz .LBB200_141
.LBB200_21:
	v_add_u32_e32 v5, 0x80, v5
	s_mov_b64 s[18:19], -1
	s_branch .LBB200_251
.LBB200_22:
	s_mov_b64 s[12:13], -1
	s_mov_b64 s[0:1], 0
                                        ; implicit-def: $vgpr2
	s_branch .LBB200_149
.LBB200_23:
	s_mov_b64 s[18:19], -1
	s_mov_b64 s[0:1], 0
	s_mov_b64 s[12:13], 0
	s_branch .LBB200_61
.LBB200_24:
	s_mov_b64 s[12:13], -1
	s_mov_b64 s[0:1], 0
                                        ; implicit-def: $vgpr2
	s_branch .LBB200_144
.LBB200_25:
	s_mov_b64 s[18:19], -1
	s_mov_b64 s[0:1], 0
	s_mov_b64 s[12:13], 0
	s_branch .LBB200_44
.LBB200_26:
	s_mov_b64 s[12:13], -1
	s_branch .LBB200_29
.LBB200_27:
	s_mov_b64 s[18:19], -1
	s_mov_b64 s[0:1], 0
	s_mov_b64 s[12:13], 0
	s_branch .LBB200_40
.LBB200_28:
	s_mov_b64 s[14:15], -1
.LBB200_29:
	s_mov_b64 s[0:1], 0
                                        ; implicit-def: $vgpr2
.LBB200_30:
	s_and_b64 vcc, exec, s[12:13]
	s_cbranch_vccz .LBB200_143
; %bb.31:
	s_cmp_eq_u32 s22, 44
	s_cbranch_scc0 .LBB200_142
; %bb.32:
	global_load_ubyte v2, v[0:1], off
	s_movk_i32 s12, 0xff
	v_mov_b32_e32 v3, 0x7f800001
	v_mov_b32_e32 v4, 0x400000
	s_mov_b64 s[0:1], -1
	s_mov_b64 s[14:15], 0
	s_waitcnt vmcnt(0)
	v_lshlrev_b32_e32 v6, 23, v2
	v_cmp_ne_u32_e32 vcc, s12, v2
	s_nop 1
	v_cndmask_b32_e32 v3, v3, v6, vcc
	v_cmp_ne_u32_e32 vcc, 0, v2
	s_nop 1
	v_cndmask_b32_e32 v2, v4, v3, vcc
	s_branch .LBB200_143
.LBB200_33:
	s_mov_b64 s[18:19], -1
	s_mov_b64 s[0:1], 0
	s_mov_b64 s[12:13], 0
.LBB200_34:
	s_and_b64 vcc, exec, s[18:19]
	s_cbranch_vccz .LBB200_39
; %bb.35:
	s_cmp_eq_u32 s25, 44
	s_mov_b64 s[0:1], -1
	s_cbranch_scc0 .LBB200_39
; %bb.36:
	v_bfe_u32 v3, v2, 23, 8
	s_movk_i32 s0, 0xff
	v_cmp_ne_u32_e32 vcc, s0, v3
	v_mov_b32_e32 v4, 0xff
	s_and_saveexec_b64 s[12:13], vcc
; %bb.37:
	s_mov_b32 s0, 0x3fffff
	v_and_b32_e32 v6, 0x400000, v2
	v_and_or_b32 v3, v2, s0, v3
	v_cmp_ne_u32_e32 vcc, 0, v6
	v_cmp_ne_u32_e64 s[0:1], 0, v3
	s_and_b64 s[0:1], vcc, s[0:1]
	v_lshrrev_b32_e32 v4, 23, v2
	v_cndmask_b32_e64 v3, 0, 1, s[0:1]
	v_add_u32_e32 v4, v4, v3
; %bb.38:
	s_or_b64 exec, exec, s[12:13]
	s_mov_b64 s[12:13], -1
	s_mov_b64 s[0:1], 0
	global_store_byte v[0:1], v4, off
.LBB200_39:
	s_mov_b64 s[18:19], 0
.LBB200_40:
	s_and_b64 vcc, exec, s[18:19]
	s_cbranch_vccz .LBB200_43
; %bb.41:
	s_cmp_eq_u32 s25, 29
	s_mov_b64 s[0:1], -1
	s_cbranch_scc0 .LBB200_43
; %bb.42:
	v_trunc_f32_e32 v3, v2
	v_mul_f32_e32 v4, 0x2f800000, v3
	v_floor_f32_e32 v4, v4
	v_fmamk_f32 v3, v4, 0xcf800000, v3
	v_cvt_u32_f32_e32 v7, v4
	v_cvt_u32_f32_e32 v6, v3
	s_mov_b64 s[12:13], -1
	s_mov_b64 s[0:1], 0
	s_mov_b64 s[18:19], 0
	global_store_dwordx2 v[0:1], v[6:7], off
	s_branch .LBB200_44
.LBB200_43:
	s_mov_b64 s[18:19], 0
.LBB200_44:
	s_and_b64 vcc, exec, s[18:19]
	s_cbranch_vccz .LBB200_60
; %bb.45:
	s_cmp_lt_i32 s25, 27
	s_mov_b64 s[12:13], -1
	s_cbranch_scc1 .LBB200_51
; %bb.46:
	v_cvt_u32_f32_e32 v3, v2
	s_cmp_gt_i32 s25, 27
	s_cbranch_scc0 .LBB200_48
; %bb.47:
	s_mov_b64 s[12:13], 0
	global_store_dword v[0:1], v3, off
.LBB200_48:
	s_andn2_b64 vcc, exec, s[12:13]
	s_cbranch_vccnz .LBB200_50
; %bb.49:
	global_store_short v[0:1], v3, off
.LBB200_50:
	s_mov_b64 s[12:13], 0
.LBB200_51:
	s_andn2_b64 vcc, exec, s[12:13]
	s_cbranch_vccnz .LBB200_59
; %bb.52:
	v_and_b32_e32 v3, 0x7fffffff, v2
	s_mov_b32 s12, 0x43800000
	v_cmp_gt_u32_e32 vcc, s12, v3
	v_mov_b32_e32 v4, 0x80
	s_and_saveexec_b64 s[12:13], vcc
	s_cbranch_execz .LBB200_58
; %bb.53:
	s_mov_b32 s18, 0x3bffffff
	v_cmp_lt_u32_e32 vcc, s18, v3
	s_mov_b64 s[18:19], 0
                                        ; implicit-def: $vgpr3
	s_and_saveexec_b64 s[22:23], vcc
	s_xor_b64 s[22:23], exec, s[22:23]
	s_cbranch_execz .LBB200_279
; %bb.54:
	v_bfe_u32 v3, v2, 20, 1
	s_mov_b32 s26, 0x487ffff
	v_add3_u32 v3, v2, v3, s26
	s_mov_b64 s[18:19], exec
	v_lshrrev_b32_e32 v3, 20, v3
	s_andn2_saveexec_b64 s[22:23], s[22:23]
	s_cbranch_execnz .LBB200_280
.LBB200_55:
	s_or_b64 exec, exec, s[22:23]
	v_mov_b32_e32 v4, 0
	s_and_saveexec_b64 s[22:23], s[18:19]
.LBB200_56:
	v_lshrrev_b32_e32 v4, 24, v2
	s_movk_i32 s18, 0x80
	v_and_or_b32 v4, v4, s18, v3
.LBB200_57:
	s_or_b64 exec, exec, s[22:23]
.LBB200_58:
	s_or_b64 exec, exec, s[12:13]
	global_store_byte v[0:1], v4, off
.LBB200_59:
	s_mov_b64 s[12:13], -1
.LBB200_60:
	s_mov_b64 s[18:19], 0
.LBB200_61:
	s_and_b64 vcc, exec, s[18:19]
	s_cbranch_vccz .LBB200_102
; %bb.62:
	s_cmp_gt_i32 s25, 22
	s_mov_b64 s[18:19], -1
	s_cbranch_scc0 .LBB200_94
; %bb.63:
	s_cmp_lt_i32 s25, 24
	s_mov_b64 s[12:13], -1
	s_cbranch_scc1 .LBB200_83
; %bb.64:
	s_cmp_gt_i32 s25, 24
	s_cbranch_scc0 .LBB200_72
; %bb.65:
	v_and_b32_e32 v3, 0x7fffffff, v2
	s_mov_b32 s12, 0x47800000
	v_cmp_gt_u32_e32 vcc, s12, v3
	v_mov_b32_e32 v4, 0x80
	s_and_saveexec_b64 s[12:13], vcc
	s_cbranch_execz .LBB200_71
; %bb.66:
	s_mov_b32 s18, 0x37ffffff
	v_cmp_lt_u32_e32 vcc, s18, v3
	s_mov_b64 s[18:19], 0
                                        ; implicit-def: $vgpr3
	s_and_saveexec_b64 s[22:23], vcc
	s_xor_b64 s[22:23], exec, s[22:23]
	s_cbranch_execz .LBB200_283
; %bb.67:
	v_bfe_u32 v3, v2, 21, 1
	s_mov_b32 s26, 0x88fffff
	v_add3_u32 v3, v2, v3, s26
	s_mov_b64 s[18:19], exec
	v_lshrrev_b32_e32 v3, 21, v3
	s_andn2_saveexec_b64 s[22:23], s[22:23]
	s_cbranch_execnz .LBB200_284
.LBB200_68:
	s_or_b64 exec, exec, s[22:23]
	v_mov_b32_e32 v4, 0
	s_and_saveexec_b64 s[22:23], s[18:19]
.LBB200_69:
	v_lshrrev_b32_e32 v4, 24, v2
	s_movk_i32 s18, 0x80
	v_and_or_b32 v4, v4, s18, v3
.LBB200_70:
	s_or_b64 exec, exec, s[22:23]
.LBB200_71:
	s_or_b64 exec, exec, s[12:13]
	s_mov_b64 s[12:13], 0
	global_store_byte v[0:1], v4, off
.LBB200_72:
	s_and_b64 vcc, exec, s[12:13]
	s_cbranch_vccz .LBB200_82
; %bb.73:
	v_and_b32_e32 v4, 0x7fffffff, v2
	s_mov_b32 s12, 0x43f00000
	v_cmp_gt_u32_e32 vcc, s12, v4
                                        ; implicit-def: $vgpr3
	s_and_saveexec_b64 s[12:13], vcc
	s_xor_b64 s[12:13], exec, s[12:13]
	s_cbranch_execz .LBB200_79
; %bb.74:
	s_mov_b32 s18, 0x3c7fffff
	v_cmp_lt_u32_e32 vcc, s18, v4
                                        ; implicit-def: $vgpr3
	s_and_saveexec_b64 s[18:19], vcc
	s_xor_b64 s[18:19], exec, s[18:19]
; %bb.75:
	v_bfe_u32 v3, v2, 20, 1
	s_mov_b32 s22, 0x407ffff
	v_add3_u32 v3, v2, v3, s22
	v_lshrrev_b32_e32 v4, 20, v3
	v_and_b32_e32 v3, 0xff00000, v3
	s_mov_b32 s22, 0x7f00000
	v_mov_b32_e32 v6, 0x7e
	v_cmp_ne_u32_e32 vcc, s22, v3
	s_nop 1
	v_cndmask_b32_e32 v3, v6, v4, vcc
; %bb.76:
	s_andn2_saveexec_b64 s[18:19], s[18:19]
; %bb.77:
	s_mov_b32 s22, 0x46800000
	v_add_f32_e64 v3, |v2|, s22
; %bb.78:
	s_or_b64 exec, exec, s[18:19]
                                        ; implicit-def: $vgpr4
.LBB200_79:
	s_andn2_saveexec_b64 s[12:13], s[12:13]
; %bb.80:
	s_mov_b32 s18, 0x7f800000
	v_mov_b32_e32 v3, 0x7e
	v_mov_b32_e32 v6, 0x7f
	v_cmp_lt_u32_e32 vcc, s18, v4
	s_nop 1
	v_cndmask_b32_e32 v3, v3, v6, vcc
; %bb.81:
	s_or_b64 exec, exec, s[12:13]
	v_lshrrev_b32_e32 v4, 24, v2
	s_movk_i32 s12, 0x80
	v_and_or_b32 v3, v4, s12, v3
	global_store_byte v[0:1], v3, off
.LBB200_82:
	s_mov_b64 s[12:13], 0
.LBB200_83:
	s_andn2_b64 vcc, exec, s[12:13]
	s_cbranch_vccnz .LBB200_93
; %bb.84:
	v_and_b32_e32 v4, 0x7fffffff, v2
	s_mov_b32 s12, 0x47800000
	v_cmp_gt_u32_e32 vcc, s12, v4
                                        ; implicit-def: $vgpr3
	s_and_saveexec_b64 s[12:13], vcc
	s_xor_b64 s[12:13], exec, s[12:13]
	s_cbranch_execz .LBB200_90
; %bb.85:
	s_mov_b32 s18, 0x387fffff
	v_cmp_lt_u32_e32 vcc, s18, v4
                                        ; implicit-def: $vgpr3
	s_and_saveexec_b64 s[18:19], vcc
	s_xor_b64 s[18:19], exec, s[18:19]
; %bb.86:
	v_bfe_u32 v3, v2, 21, 1
	s_mov_b32 s22, 0x80fffff
	v_add3_u32 v3, v2, v3, s22
	v_lshrrev_b32_e32 v3, 21, v3
; %bb.87:
	s_andn2_saveexec_b64 s[18:19], s[18:19]
; %bb.88:
	s_mov_b32 s22, 0x43000000
	v_add_f32_e64 v3, |v2|, s22
; %bb.89:
	s_or_b64 exec, exec, s[18:19]
                                        ; implicit-def: $vgpr4
.LBB200_90:
	s_andn2_saveexec_b64 s[12:13], s[12:13]
; %bb.91:
	s_mov_b32 s18, 0x7f800000
	v_mov_b32_e32 v3, 0x7c
	v_mov_b32_e32 v6, 0x7f
	v_cmp_lt_u32_e32 vcc, s18, v4
	s_nop 1
	v_cndmask_b32_e32 v3, v3, v6, vcc
; %bb.92:
	s_or_b64 exec, exec, s[12:13]
	v_lshrrev_b32_e32 v4, 24, v2
	s_movk_i32 s12, 0x80
	v_and_or_b32 v3, v4, s12, v3
	global_store_byte v[0:1], v3, off
.LBB200_93:
	s_mov_b64 s[18:19], 0
	s_mov_b64 s[12:13], -1
.LBB200_94:
	s_andn2_b64 vcc, exec, s[18:19]
	s_cbranch_vccnz .LBB200_102
; %bb.95:
	s_cmp_gt_i32 s25, 14
	s_mov_b64 s[18:19], -1
	s_cbranch_scc0 .LBB200_99
; %bb.96:
	s_cmp_eq_u32 s25, 15
	s_mov_b64 s[0:1], -1
	s_cbranch_scc0 .LBB200_98
; %bb.97:
	v_bfe_u32 v3, v2, 16, 1
	s_movk_i32 s0, 0x7fff
	v_add3_u32 v3, v2, v3, s0
	v_cmp_o_f32_e32 vcc, v2, v2
	v_mov_b32_e32 v4, 0x7fc0
	s_mov_b64 s[12:13], -1
	v_cndmask_b32_sdwa v3, v4, v3, vcc dst_sel:DWORD dst_unused:UNUSED_PAD src0_sel:DWORD src1_sel:WORD_1
	global_store_short v[0:1], v3, off
	s_mov_b64 s[0:1], 0
.LBB200_98:
	s_mov_b64 s[18:19], 0
.LBB200_99:
	s_and_b64 vcc, exec, s[18:19]
	s_cbranch_vccz .LBB200_102
; %bb.100:
	s_cmp_eq_u32 s25, 11
	s_mov_b64 s[0:1], -1
	s_cbranch_scc0 .LBB200_102
; %bb.101:
	v_cmp_neq_f32_e32 vcc, 0, v2
	s_mov_b64 s[12:13], -1
	s_mov_b64 s[0:1], 0
	v_cndmask_b32_e64 v3, 0, 1, vcc
	global_store_byte v[0:1], v3, off
.LBB200_102:
	s_branch .LBB200_20
.LBB200_103:
	s_and_b32 s18, 0xffff, s24
	s_cmp_lt_i32 s18, 5
	s_mov_b64 s[12:13], -1
	s_cbranch_scc1 .LBB200_124
; %bb.104:
	s_cmp_lt_i32 s18, 8
	s_cbranch_scc1 .LBB200_114
; %bb.105:
	s_cmp_lt_i32 s18, 9
	s_cbranch_scc1 .LBB200_111
; %bb.106:
	s_cmp_gt_i32 s18, 9
	s_cbranch_scc0 .LBB200_108
; %bb.107:
	v_mov_b32_e32 v8, 0
	v_cvt_f64_f32_e32 v[6:7], v2
	v_mov_b32_e32 v9, v8
	global_store_dwordx4 v[0:1], v[6:9], off
	s_mov_b64 s[12:13], 0
.LBB200_108:
	s_andn2_b64 vcc, exec, s[12:13]
	s_cbranch_vccnz .LBB200_110
; %bb.109:
	v_mov_b32_e32 v3, 0
	global_store_dwordx2 v[0:1], v[2:3], off
.LBB200_110:
	s_mov_b64 s[12:13], 0
.LBB200_111:
	s_andn2_b64 vcc, exec, s[12:13]
	s_cbranch_vccnz .LBB200_113
; %bb.112:
	v_cvt_f16_f32_e32 v3, v2
	global_store_dword v[0:1], v3, off
.LBB200_113:
	s_mov_b64 s[12:13], 0
.LBB200_114:
	s_andn2_b64 vcc, exec, s[12:13]
	s_cbranch_vccnz .LBB200_123
; %bb.115:
	s_cmp_lt_i32 s18, 6
	s_mov_b64 s[12:13], -1
	s_cbranch_scc1 .LBB200_121
; %bb.116:
	s_cmp_gt_i32 s18, 6
	s_cbranch_scc0 .LBB200_118
; %bb.117:
	v_cvt_f64_f32_e32 v[6:7], v2
	global_store_dwordx2 v[0:1], v[6:7], off
	s_mov_b64 s[12:13], 0
.LBB200_118:
	s_andn2_b64 vcc, exec, s[12:13]
	s_cbranch_vccnz .LBB200_120
; %bb.119:
	global_store_dword v[0:1], v2, off
.LBB200_120:
	s_mov_b64 s[12:13], 0
.LBB200_121:
	s_andn2_b64 vcc, exec, s[12:13]
	s_cbranch_vccnz .LBB200_123
; %bb.122:
	v_cvt_f16_f32_e32 v3, v2
	global_store_short v[0:1], v3, off
.LBB200_123:
	s_mov_b64 s[12:13], 0
.LBB200_124:
	s_andn2_b64 vcc, exec, s[12:13]
	s_cbranch_vccnz .LBB200_140
; %bb.125:
	s_cmp_lt_i32 s18, 2
	s_mov_b64 s[12:13], -1
	s_cbranch_scc1 .LBB200_135
; %bb.126:
	s_cmp_lt_i32 s18, 3
	s_cbranch_scc1 .LBB200_132
; %bb.127:
	s_cmp_gt_i32 s18, 3
	s_cbranch_scc0 .LBB200_129
; %bb.128:
	v_trunc_f32_e32 v3, v2
	s_mov_b32 s12, 0x2f800000
	v_mul_f32_e64 v4, |v3|, s12
	v_floor_f32_e32 v4, v4
	s_mov_b32 s12, 0xcf800000
	v_cvt_u32_f32_e32 v6, v4
	v_fma_f32 v4, v4, s12, |v3|
	v_cvt_u32_f32_e32 v4, v4
	v_ashrrev_i32_e32 v3, 31, v3
	v_xor_b32_e32 v7, v6, v3
	s_mov_b64 s[12:13], 0
	v_xor_b32_e32 v4, v4, v3
	v_sub_co_u32_e32 v6, vcc, v4, v3
	s_nop 1
	v_subb_co_u32_e32 v7, vcc, v7, v3, vcc
	global_store_dwordx2 v[0:1], v[6:7], off
.LBB200_129:
	s_andn2_b64 vcc, exec, s[12:13]
	s_cbranch_vccnz .LBB200_131
; %bb.130:
	v_cvt_i32_f32_e32 v3, v2
	global_store_dword v[0:1], v3, off
.LBB200_131:
	s_mov_b64 s[12:13], 0
.LBB200_132:
	s_andn2_b64 vcc, exec, s[12:13]
	s_cbranch_vccnz .LBB200_134
; %bb.133:
	v_cvt_i32_f32_e32 v3, v2
	global_store_short v[0:1], v3, off
.LBB200_134:
	s_mov_b64 s[12:13], 0
.LBB200_135:
	s_andn2_b64 vcc, exec, s[12:13]
	s_cbranch_vccnz .LBB200_140
; %bb.136:
	s_cmp_gt_i32 s18, 0
	s_mov_b64 s[12:13], -1
	s_cbranch_scc0 .LBB200_138
; %bb.137:
	v_cvt_i32_f32_e32 v3, v2
	s_mov_b64 s[12:13], 0
	global_store_byte v[0:1], v3, off
.LBB200_138:
	s_andn2_b64 vcc, exec, s[12:13]
	s_cbranch_vccnz .LBB200_140
; %bb.139:
	v_trunc_f32_e32 v2, v2
	s_mov_b32 s12, 0x2f800000
	v_mul_f32_e64 v3, |v2|, s12
	v_floor_f32_e32 v3, v3
	s_mov_b32 s12, 0xcf800000
	v_fma_f32 v3, v3, s12, |v2|
	v_cvt_u32_f32_e32 v3, v3
	v_ashrrev_i32_e32 v2, 31, v2
	v_xor_b32_e32 v3, v3, v2
	v_sub_u32_e32 v2, v3, v2
	global_store_byte v[0:1], v2, off
.LBB200_140:
	s_branch .LBB200_21
.LBB200_141:
	s_mov_b64 s[18:19], 0
                                        ; implicit-def: $vgpr5
	s_branch .LBB200_251
.LBB200_142:
	s_mov_b64 s[14:15], -1
                                        ; implicit-def: $vgpr2
.LBB200_143:
	s_mov_b64 s[12:13], 0
.LBB200_144:
	s_and_b64 vcc, exec, s[12:13]
	s_cbranch_vccz .LBB200_148
; %bb.145:
	s_cmp_eq_u32 s22, 29
	s_cbranch_scc0 .LBB200_147
; %bb.146:
	global_load_dwordx2 v[2:3], v[0:1], off
	s_mov_b64 s[0:1], -1
	s_mov_b64 s[14:15], 0
	s_mov_b64 s[12:13], 0
	s_waitcnt vmcnt(0)
	v_ffbh_u32_e32 v4, v3
	v_min_u32_e32 v4, 32, v4
	v_lshlrev_b64 v[2:3], v4, v[2:3]
	v_min_u32_e32 v2, 1, v2
	v_or_b32_e32 v2, v3, v2
	v_cvt_f32_u32_e32 v2, v2
	v_sub_u32_e32 v3, 32, v4
	v_ldexp_f32 v2, v2, v3
	s_branch .LBB200_149
.LBB200_147:
	s_mov_b64 s[14:15], -1
                                        ; implicit-def: $vgpr2
.LBB200_148:
	s_mov_b64 s[12:13], 0
.LBB200_149:
	s_and_b64 vcc, exec, s[12:13]
	s_cbranch_vccz .LBB200_167
; %bb.150:
	s_cmp_lt_i32 s22, 27
	s_cbranch_scc1 .LBB200_153
; %bb.151:
	s_cmp_gt_i32 s22, 27
	s_cbranch_scc0 .LBB200_154
; %bb.152:
	global_load_dword v2, v[0:1], off
	s_mov_b64 s[0:1], 0
	s_waitcnt vmcnt(0)
	v_cvt_f32_u32_e32 v2, v2
	s_branch .LBB200_155
.LBB200_153:
	s_mov_b64 s[0:1], -1
                                        ; implicit-def: $vgpr2
	s_branch .LBB200_158
.LBB200_154:
	s_mov_b64 s[0:1], -1
                                        ; implicit-def: $vgpr2
.LBB200_155:
	s_andn2_b64 vcc, exec, s[0:1]
	s_cbranch_vccnz .LBB200_157
; %bb.156:
	global_load_ushort v2, v[0:1], off
	s_waitcnt vmcnt(0)
	v_cvt_f32_u32_e32 v2, v2
.LBB200_157:
	s_mov_b64 s[0:1], 0
.LBB200_158:
	s_andn2_b64 vcc, exec, s[0:1]
	s_cbranch_vccnz .LBB200_166
; %bb.159:
	global_load_ubyte v3, v[0:1], off
	s_movk_i32 s0, 0x7f
	s_waitcnt vmcnt(0)
	v_cmp_lt_i16_e32 vcc, s0, v3
	s_mov_b64 s[0:1], 0
	s_and_saveexec_b64 s[12:13], vcc
	s_xor_b64 s[12:13], exec, s[12:13]
	s_cbranch_execz .LBB200_179
; %bb.160:
	s_movk_i32 s0, 0x80
	v_cmp_eq_u16_e32 vcc, s0, v3
	s_mov_b64 s[0:1], -1
	s_and_saveexec_b64 s[18:19], vcc
; %bb.161:
	s_xor_b64 s[0:1], exec, -1
; %bb.162:
	s_or_b64 exec, exec, s[18:19]
	s_and_b64 s[0:1], s[0:1], exec
	s_or_saveexec_b64 s[12:13], s[12:13]
	v_mov_b32_e32 v2, 0x7f800001
	s_xor_b64 exec, exec, s[12:13]
	s_cbranch_execnz .LBB200_180
.LBB200_163:
	s_or_b64 exec, exec, s[12:13]
	s_and_saveexec_b64 s[12:13], s[0:1]
	s_cbranch_execz .LBB200_165
.LBB200_164:
	v_lshlrev_b32_e32 v2, 24, v3
	v_and_b32_e32 v3, 0xffff, v3
	v_and_b32_e32 v4, 7, v3
	v_ffbh_u32_e32 v7, v4
	v_min_u32_e32 v7, 32, v7
	v_subrev_u32_e32 v8, 28, v7
	v_bfe_u32 v6, v3, 3, 4
	v_lshlrev_b32_e32 v3, v8, v3
	v_sub_u32_e32 v7, 29, v7
	v_and_b32_e32 v3, 7, v3
	v_cmp_eq_u32_e32 vcc, 0, v6
	v_and_b32_e32 v2, 0x80000000, v2
	s_nop 0
	v_cndmask_b32_e32 v6, v6, v7, vcc
	v_cndmask_b32_e32 v3, v4, v3, vcc
	v_mov_b32_e32 v4, 0x3b800000
	v_lshlrev_b32_e32 v3, 20, v3
	v_lshl_add_u32 v4, v6, 23, v4
	v_or3_b32 v2, v2, v4, v3
.LBB200_165:
	s_or_b64 exec, exec, s[12:13]
.LBB200_166:
	s_mov_b64 s[0:1], -1
.LBB200_167:
	s_branch .LBB200_202
.LBB200_168:
	s_cmp_gt_i32 s22, 22
	s_cbranch_scc0 .LBB200_178
; %bb.169:
	s_cmp_lt_i32 s22, 24
	s_cbranch_scc1 .LBB200_181
; %bb.170:
	s_cmp_gt_i32 s22, 24
	s_cbranch_scc0 .LBB200_182
; %bb.171:
	global_load_ubyte v3, v[0:1], off
	s_movk_i32 s0, 0x7f
	s_waitcnt vmcnt(0)
	v_cmp_lt_i16_e32 vcc, s0, v3
	s_mov_b64 s[0:1], 0
	s_and_saveexec_b64 s[12:13], vcc
	s_xor_b64 s[12:13], exec, s[12:13]
	s_cbranch_execz .LBB200_194
; %bb.172:
	s_movk_i32 s0, 0x80
	v_cmp_eq_u16_e32 vcc, s0, v3
	s_mov_b64 s[0:1], -1
	s_and_saveexec_b64 s[18:19], vcc
; %bb.173:
	s_xor_b64 s[0:1], exec, -1
; %bb.174:
	s_or_b64 exec, exec, s[18:19]
	s_and_b64 s[0:1], s[0:1], exec
	s_or_saveexec_b64 s[12:13], s[12:13]
	v_mov_b32_e32 v2, 0x7f800001
	s_xor_b64 exec, exec, s[12:13]
	s_cbranch_execnz .LBB200_195
.LBB200_175:
	s_or_b64 exec, exec, s[12:13]
	s_and_saveexec_b64 s[12:13], s[0:1]
	s_cbranch_execz .LBB200_177
.LBB200_176:
	v_lshlrev_b32_e32 v2, 24, v3
	v_and_b32_e32 v3, 0xffff, v3
	v_and_b32_e32 v4, 3, v3
	v_ffbh_u32_e32 v7, v4
	v_min_u32_e32 v7, 32, v7
	v_subrev_u32_e32 v8, 29, v7
	v_bfe_u32 v6, v3, 2, 5
	v_lshlrev_b32_e32 v3, v8, v3
	v_sub_u32_e32 v7, 30, v7
	v_and_b32_e32 v3, 3, v3
	v_cmp_eq_u32_e32 vcc, 0, v6
	v_and_b32_e32 v2, 0x80000000, v2
	s_nop 0
	v_cndmask_b32_e32 v6, v6, v7, vcc
	v_cndmask_b32_e32 v3, v4, v3, vcc
	v_mov_b32_e32 v4, 0x37800000
	v_lshlrev_b32_e32 v3, 21, v3
	v_lshl_add_u32 v4, v6, 23, v4
	v_or3_b32 v2, v2, v4, v3
.LBB200_177:
	s_or_b64 exec, exec, s[12:13]
	s_mov_b64 s[0:1], 0
	s_branch .LBB200_183
.LBB200_178:
	s_mov_b64 s[12:13], -1
                                        ; implicit-def: $vgpr2
	s_branch .LBB200_189
.LBB200_179:
	s_or_saveexec_b64 s[12:13], s[12:13]
	v_mov_b32_e32 v2, 0x7f800001
	s_xor_b64 exec, exec, s[12:13]
	s_cbranch_execz .LBB200_163
.LBB200_180:
	v_cmp_ne_u16_e32 vcc, 0, v3
	s_andn2_b64 s[0:1], s[0:1], exec
	s_and_b64 s[18:19], vcc, exec
	v_mov_b32_e32 v2, 0
	s_or_b64 s[0:1], s[0:1], s[18:19]
	s_or_b64 exec, exec, s[12:13]
	s_and_saveexec_b64 s[12:13], s[0:1]
	s_cbranch_execnz .LBB200_164
	s_branch .LBB200_165
.LBB200_181:
	s_mov_b64 s[0:1], -1
                                        ; implicit-def: $vgpr2
	s_branch .LBB200_186
.LBB200_182:
	s_mov_b64 s[0:1], -1
                                        ; implicit-def: $vgpr2
.LBB200_183:
	s_and_b64 vcc, exec, s[0:1]
	s_cbranch_vccz .LBB200_185
; %bb.184:
	global_load_ubyte v2, v[0:1], off
	s_mov_b32 s0, 0x7f800000
	s_waitcnt vmcnt(0)
	v_lshlrev_b32_e32 v2, 24, v2
	v_and_b32_e32 v3, 0x7f000000, v2
	v_ffbh_u32_e32 v4, v3
	v_min_u32_e32 v4, 32, v4
	v_sub_u32_e64 v4, v4, 4 clamp
	v_lshlrev_b32_e32 v7, v4, v3
	v_lshlrev_b32_e32 v4, 23, v4
	v_lshrrev_b32_e32 v7, 4, v7
	v_add_u32_e32 v6, 0x1000000, v3
	v_sub_u32_e32 v4, v7, v4
	v_ashrrev_i32_e32 v6, 8, v6
	v_add_u32_e32 v4, 0x3c000000, v4
	v_and_or_b32 v4, v6, s0, v4
	v_cmp_ne_u32_e32 vcc, 0, v3
	s_brev_b32 s0, 1
	s_nop 0
	v_cndmask_b32_e32 v3, 0, v4, vcc
	v_and_or_b32 v2, v2, s0, v3
.LBB200_185:
	s_mov_b64 s[0:1], 0
.LBB200_186:
	s_andn2_b64 vcc, exec, s[0:1]
	s_cbranch_vccnz .LBB200_188
; %bb.187:
	global_load_ubyte v2, v[0:1], off
	s_movk_i32 s0, 0x7f00
	s_brev_b32 s1, 16
	s_waitcnt vmcnt(0)
	v_lshlrev_b16_e32 v3, 8, v2
	v_lshlrev_b32_e32 v2, 25, v2
	v_lshrrev_b32_e32 v4, 4, v2
	v_and_or_b32 v6, v3, s0, 0.5
	v_or_b32_e32 v4, 0x70000000, v4
	v_add_f32_e32 v6, -0.5, v6
	v_mul_f32_e32 v4, 0x7800000, v4
	v_cmp_gt_u32_e32 vcc, s1, v2
	v_bfe_i32 v3, v3, 0, 16
	s_brev_b32 s0, 1
	v_cndmask_b32_e32 v2, v4, v6, vcc
	v_and_or_b32 v2, v3, s0, v2
.LBB200_188:
	s_mov_b64 s[12:13], 0
	s_mov_b64 s[0:1], -1
.LBB200_189:
	s_andn2_b64 vcc, exec, s[12:13]
	s_cbranch_vccnz .LBB200_202
; %bb.190:
	s_cmp_gt_i32 s22, 14
	s_cbranch_scc0 .LBB200_193
; %bb.191:
	s_cmp_eq_u32 s22, 15
	s_cbranch_scc0 .LBB200_196
; %bb.192:
	global_load_ushort v2, v[0:1], off
	s_mov_b64 s[0:1], -1
	s_mov_b64 s[14:15], 0
	s_waitcnt vmcnt(0)
	v_lshlrev_b32_e32 v2, 16, v2
	s_branch .LBB200_197
.LBB200_193:
	s_mov_b64 s[12:13], -1
                                        ; implicit-def: $vgpr2
	s_branch .LBB200_198
.LBB200_194:
	s_or_saveexec_b64 s[12:13], s[12:13]
	v_mov_b32_e32 v2, 0x7f800001
	s_xor_b64 exec, exec, s[12:13]
	s_cbranch_execz .LBB200_175
.LBB200_195:
	v_cmp_ne_u16_e32 vcc, 0, v3
	s_andn2_b64 s[0:1], s[0:1], exec
	s_and_b64 s[18:19], vcc, exec
	v_mov_b32_e32 v2, 0
	s_or_b64 s[0:1], s[0:1], s[18:19]
	s_or_b64 exec, exec, s[12:13]
	s_and_saveexec_b64 s[12:13], s[0:1]
	s_cbranch_execnz .LBB200_176
	s_branch .LBB200_177
.LBB200_196:
	s_mov_b64 s[14:15], -1
                                        ; implicit-def: $vgpr2
.LBB200_197:
	s_mov_b64 s[12:13], 0
.LBB200_198:
	s_and_b64 vcc, exec, s[12:13]
	s_cbranch_vccz .LBB200_202
; %bb.199:
	s_cmp_eq_u32 s22, 11
	s_cbranch_scc0 .LBB200_201
; %bb.200:
	global_load_ubyte v2, v[0:1], off
	s_mov_b64 s[0:1], -1
	s_mov_b64 s[14:15], 0
	s_waitcnt vmcnt(0)
	v_cmp_ne_u16_e32 vcc, 0, v2
	s_nop 1
	v_cndmask_b32_e64 v2, 0, 1.0, vcc
	s_branch .LBB200_202
.LBB200_201:
	s_mov_b64 s[14:15], -1
                                        ; implicit-def: $vgpr2
.LBB200_202:
	s_branch .LBB200_10
.LBB200_203:
	s_cmp_lt_i32 s22, 5
	s_cbranch_scc1 .LBB200_208
; %bb.204:
	s_cmp_lt_i32 s22, 8
	s_cbranch_scc1 .LBB200_209
; %bb.205:
	;; [unrolled: 3-line block ×3, first 2 shown]
	s_cmp_gt_i32 s22, 9
	s_cbranch_scc0 .LBB200_211
; %bb.207:
	global_load_dwordx2 v[2:3], v[0:1], off
	s_mov_b64 s[0:1], 0
	s_waitcnt vmcnt(0)
	v_cvt_f32_f64_e32 v2, v[2:3]
	s_branch .LBB200_212
.LBB200_208:
                                        ; implicit-def: $vgpr2
	s_branch .LBB200_230
.LBB200_209:
	s_mov_b64 s[0:1], -1
                                        ; implicit-def: $vgpr2
	s_branch .LBB200_218
.LBB200_210:
	s_mov_b64 s[0:1], -1
                                        ; implicit-def: $vgpr2
	s_branch .LBB200_215
.LBB200_211:
	s_mov_b64 s[0:1], -1
                                        ; implicit-def: $vgpr2
.LBB200_212:
	s_andn2_b64 vcc, exec, s[0:1]
	s_cbranch_vccnz .LBB200_214
; %bb.213:
	global_load_dword v2, v[0:1], off
.LBB200_214:
	s_mov_b64 s[0:1], 0
.LBB200_215:
	s_andn2_b64 vcc, exec, s[0:1]
	s_cbranch_vccnz .LBB200_217
; %bb.216:
	global_load_dword v2, v[0:1], off
	s_waitcnt vmcnt(0)
	v_cvt_f32_f16_e32 v2, v2
.LBB200_217:
	s_mov_b64 s[0:1], 0
.LBB200_218:
	s_andn2_b64 vcc, exec, s[0:1]
	s_cbranch_vccnz .LBB200_229
; %bb.219:
	s_cmp_lt_i32 s22, 6
	s_cbranch_scc1 .LBB200_222
; %bb.220:
	s_cmp_gt_i32 s22, 6
	s_cbranch_scc0 .LBB200_223
; %bb.221:
	global_load_dwordx2 v[2:3], v[0:1], off
	s_mov_b64 s[0:1], 0
	s_waitcnt vmcnt(0)
	v_cvt_f32_f64_e32 v2, v[2:3]
	s_branch .LBB200_224
.LBB200_222:
	s_mov_b64 s[0:1], -1
                                        ; implicit-def: $vgpr2
	s_branch .LBB200_227
.LBB200_223:
	s_mov_b64 s[0:1], -1
                                        ; implicit-def: $vgpr2
.LBB200_224:
	s_andn2_b64 vcc, exec, s[0:1]
	s_cbranch_vccnz .LBB200_226
; %bb.225:
	global_load_dword v2, v[0:1], off
.LBB200_226:
	s_mov_b64 s[0:1], 0
.LBB200_227:
	s_andn2_b64 vcc, exec, s[0:1]
	s_cbranch_vccnz .LBB200_229
; %bb.228:
	global_load_ushort v2, v[0:1], off
	s_waitcnt vmcnt(0)
	v_cvt_f32_f16_e32 v2, v2
.LBB200_229:
	s_cbranch_execnz .LBB200_249
.LBB200_230:
	s_cmp_lt_i32 s22, 2
	s_cbranch_scc1 .LBB200_234
; %bb.231:
	s_cmp_lt_i32 s22, 3
	s_cbranch_scc1 .LBB200_235
; %bb.232:
	s_cmp_gt_i32 s22, 3
	s_cbranch_scc0 .LBB200_236
; %bb.233:
	global_load_dwordx2 v[2:3], v[0:1], off
	s_mov_b64 s[0:1], 0
	s_waitcnt vmcnt(0)
	v_xor_b32_e32 v6, v2, v3
	v_ffbh_i32_e32 v4, v3
	v_ashrrev_i32_e32 v6, 31, v6
	v_add_u32_e32 v4, -1, v4
	v_add_u32_e32 v6, 32, v6
	v_min_u32_e32 v4, v4, v6
	v_lshlrev_b64 v[2:3], v4, v[2:3]
	v_min_u32_e32 v2, 1, v2
	v_or_b32_e32 v2, v3, v2
	v_cvt_f32_i32_e32 v2, v2
	v_sub_u32_e32 v3, 32, v4
	v_ldexp_f32 v2, v2, v3
	s_branch .LBB200_237
.LBB200_234:
	s_mov_b64 s[0:1], -1
                                        ; implicit-def: $vgpr2
	s_branch .LBB200_243
.LBB200_235:
	s_mov_b64 s[0:1], -1
                                        ; implicit-def: $vgpr2
	s_branch .LBB200_240
.LBB200_236:
	s_mov_b64 s[0:1], -1
                                        ; implicit-def: $vgpr2
.LBB200_237:
	s_andn2_b64 vcc, exec, s[0:1]
	s_cbranch_vccnz .LBB200_239
; %bb.238:
	global_load_dword v2, v[0:1], off
	s_waitcnt vmcnt(0)
	v_cvt_f32_i32_e32 v2, v2
.LBB200_239:
	s_mov_b64 s[0:1], 0
.LBB200_240:
	s_andn2_b64 vcc, exec, s[0:1]
	s_cbranch_vccnz .LBB200_242
; %bb.241:
	global_load_sshort v2, v[0:1], off
	s_waitcnt vmcnt(0)
	v_cvt_f32_i32_e32 v2, v2
.LBB200_242:
	s_mov_b64 s[0:1], 0
.LBB200_243:
	s_andn2_b64 vcc, exec, s[0:1]
	s_cbranch_vccnz .LBB200_249
; %bb.244:
	s_cmp_gt_i32 s22, 0
	s_cbranch_scc0 .LBB200_246
; %bb.245:
	global_load_sbyte v2, v[0:1], off
	s_mov_b64 s[0:1], 0
	s_waitcnt vmcnt(0)
	v_cvt_f32_i32_e32 v2, v2
	s_branch .LBB200_247
.LBB200_246:
	s_mov_b64 s[0:1], -1
                                        ; implicit-def: $vgpr2
.LBB200_247:
	s_andn2_b64 vcc, exec, s[0:1]
	s_cbranch_vccnz .LBB200_249
; %bb.248:
	global_load_ubyte v0, v[0:1], off
	s_waitcnt vmcnt(0)
	v_cvt_f32_ubyte0_e32 v2, v0
.LBB200_249:
	s_branch .LBB200_11
.LBB200_250:
	s_mov_b64 s[0:1], 0
                                        ; implicit-def: $vgpr5
	s_mov_b64 s[18:19], 0
.LBB200_251:
	s_and_b64 s[12:13], s[0:1], exec
	s_and_b64 s[14:15], s[14:15], exec
	s_orn2_b64 s[18:19], s[18:19], exec
.LBB200_252:
	s_or_b64 exec, exec, s[16:17]
	s_mov_b64 s[22:23], 0
	s_mov_b64 s[0:1], 0
                                        ; implicit-def: $vgpr0_vgpr1
                                        ; implicit-def: $vgpr3
	s_and_saveexec_b64 s[16:17], s[18:19]
	s_cbranch_execz .LBB200_261
; %bb.253:
	v_cmp_gt_i32_e32 vcc, s38, v5
	s_mov_b64 s[0:1], -1
	s_mov_b64 s[18:19], s[14:15]
	s_mov_b64 s[20:21], s[12:13]
	s_and_saveexec_b64 s[22:23], vcc
	s_cbranch_execz .LBB200_513
; %bb.254:
	v_mul_lo_u32 v0, v5, s9
	v_ashrrev_i32_e32 v1, 31, v0
	s_and_b32 s26, 0xffff, s42
	s_cmp_lt_i32 s26, 11
	v_lshl_add_u64 v[0:1], s[6:7], 0, v[0:1]
	s_cbranch_scc1 .LBB200_264
; %bb.255:
	s_cmp_gt_i32 s26, 25
	s_cbranch_scc0 .LBB200_273
; %bb.256:
	s_cmp_gt_i32 s26, 28
	s_cbranch_scc0 .LBB200_275
	;; [unrolled: 3-line block ×4, first 2 shown]
; %bb.259:
	s_cmp_eq_u32 s26, 46
	s_mov_b64 s[20:21], 0
	s_cbranch_scc0 .LBB200_285
; %bb.260:
	global_load_dword v2, v[0:1], off
	s_mov_b64 s[18:19], 0
	s_waitcnt vmcnt(0)
	v_lshlrev_b32_e32 v2, 16, v2
	s_branch .LBB200_286
.LBB200_261:
	s_or_b64 exec, exec, s[16:17]
	s_mov_b64 s[16:17], 0
	s_and_saveexec_b64 s[18:19], s[14:15]
	s_cbranch_execnz .LBB200_859
.LBB200_262:
	s_or_b64 exec, exec, s[18:19]
	s_and_saveexec_b64 s[14:15], s[20:21]
	s_xor_b64 s[14:15], exec, s[14:15]
	s_cbranch_execz .LBB200_860
.LBB200_263:
	global_load_ubyte v2, v[0:1], off
	s_or_b64 s[0:1], s[0:1], exec
	s_waitcnt vmcnt(0)
	v_cmp_ne_u16_e32 vcc, 0, v2
	s_nop 1
	v_cndmask_b32_e64 v3, 0, 1.0, vcc
	s_or_b64 exec, exec, s[14:15]
	s_and_saveexec_b64 s[14:15], s[22:23]
	s_cbranch_execz .LBB200_906
	s_branch .LBB200_861
.LBB200_264:
	s_mov_b64 s[0:1], 0
                                        ; implicit-def: $vgpr2
	s_mov_b64 s[18:19], s[14:15]
	s_cbranch_execnz .LBB200_463
.LBB200_265:
	s_andn2_b64 vcc, exec, s[0:1]
	s_cbranch_vccnz .LBB200_511
.LBB200_266:
	s_waitcnt vmcnt(0)
	v_cvt_f64_f32_e32 v[0:1], v2
	v_rsq_f64_e32 v[2:3], v[0:1]
	s_mov_b32 s0, 0
	s_mov_b32 s1, 0x3fd80000
	v_mov_b32_e32 v4, 0x180
	v_mul_f64 v[0:1], v[2:3], -v[0:1]
	v_fma_f64 v[0:1], v[0:1], v[2:3], 1.0
	v_mul_f64 v[6:7], v[2:3], v[0:1]
	v_fma_f64 v[0:1], v[0:1], s[0:1], 0.5
	v_fma_f64 v[0:1], v[6:7], v[0:1], v[2:3]
	v_cmp_class_f64_e32 vcc, v[2:3], v4
	s_and_b32 s28, s33, 0xff
	s_cmp_lt_i32 s28, 11
	v_cndmask_b32_e32 v1, v3, v1, vcc
	v_cndmask_b32_e32 v0, v2, v0, vcc
	v_cvt_f32_f64_e32 v2, v[0:1]
	v_mul_lo_u32 v0, v5, s8
	v_ashrrev_i32_e32 v1, 31, v0
	v_lshl_add_u64 v[0:1], s[4:5], 0, v[0:1]
	s_cbranch_scc1 .LBB200_274
; %bb.267:
	s_and_b32 s29, 0xffff, s28
	s_cmp_gt_i32 s29, 25
	s_cbranch_scc0 .LBB200_276
; %bb.268:
	s_cmp_gt_i32 s29, 28
	s_cbranch_scc0 .LBB200_278
; %bb.269:
	;; [unrolled: 3-line block ×4, first 2 shown]
	s_mov_b64 s[24:25], 0
	s_mov_b64 s[0:1], -1
	s_cmp_eq_u32 s29, 46
	s_mov_b64 s[20:21], 0
	s_cbranch_scc0 .LBB200_290
; %bb.272:
	v_bfe_u32 v3, v2, 16, 1
	s_movk_i32 s0, 0x7fff
	v_add3_u32 v3, v2, v3, s0
	v_cmp_o_f32_e32 vcc, v2, v2
	v_mov_b32_e32 v4, 0x7fc0
	s_mov_b64 s[20:21], -1
	v_cndmask_b32_sdwa v3, v4, v3, vcc dst_sel:DWORD dst_unused:UNUSED_PAD src0_sel:DWORD src1_sel:WORD_1
	global_store_dword v[0:1], v3, off
	s_mov_b64 s[0:1], 0
	s_branch .LBB200_290
.LBB200_273:
	s_mov_b64 s[20:21], -1
	s_mov_b64 s[0:1], 0
	s_mov_b64 s[18:19], s[14:15]
                                        ; implicit-def: $vgpr2
	s_branch .LBB200_427
.LBB200_274:
	s_mov_b64 s[24:25], -1
	s_mov_b64 s[20:21], 0
	s_mov_b64 s[0:1], s[12:13]
	s_branch .LBB200_359
.LBB200_275:
	s_mov_b64 s[20:21], -1
	s_mov_b64 s[0:1], 0
	s_mov_b64 s[18:19], s[14:15]
                                        ; implicit-def: $vgpr2
	s_branch .LBB200_408
.LBB200_276:
	s_mov_b64 s[24:25], -1
	s_mov_b64 s[20:21], 0
	s_mov_b64 s[0:1], s[12:13]
	s_branch .LBB200_317
.LBB200_277:
	s_mov_b64 s[20:21], -1
	s_mov_b64 s[0:1], 0
	s_mov_b64 s[18:19], s[14:15]
                                        ; implicit-def: $vgpr2
	s_branch .LBB200_403
.LBB200_278:
	s_mov_b64 s[24:25], -1
	s_mov_b64 s[20:21], 0
	s_mov_b64 s[0:1], s[12:13]
	s_branch .LBB200_300
.LBB200_279:
	s_andn2_saveexec_b64 s[22:23], s[22:23]
	s_cbranch_execz .LBB200_55
.LBB200_280:
	s_mov_b32 s26, 0x46000000
	v_add_f32_e64 v3, |v2|, s26
	v_and_b32_e32 v3, 0xff, v3
	v_cmp_ne_u32_e32 vcc, 0, v3
	s_andn2_b64 s[18:19], s[18:19], exec
	s_and_b64 s[26:27], vcc, exec
	s_or_b64 s[18:19], s[18:19], s[26:27]
	s_or_b64 exec, exec, s[22:23]
	v_mov_b32_e32 v4, 0
	s_and_saveexec_b64 s[22:23], s[18:19]
	s_cbranch_execnz .LBB200_56
	s_branch .LBB200_57
.LBB200_281:
	s_mov_b64 s[20:21], -1
	s_mov_b64 s[0:1], 0
	s_mov_b64 s[18:19], s[14:15]
                                        ; implicit-def: $vgpr2
	s_branch .LBB200_286
.LBB200_282:
	s_mov_b64 s[24:25], -1
	s_mov_b64 s[20:21], 0
	s_mov_b64 s[0:1], s[12:13]
	s_branch .LBB200_296
.LBB200_283:
	s_andn2_saveexec_b64 s[22:23], s[22:23]
	s_cbranch_execz .LBB200_68
.LBB200_284:
	s_mov_b32 s26, 0x42800000
	v_add_f32_e64 v3, |v2|, s26
	v_and_b32_e32 v3, 0xff, v3
	v_cmp_ne_u32_e32 vcc, 0, v3
	s_andn2_b64 s[18:19], s[18:19], exec
	s_and_b64 s[26:27], vcc, exec
	s_or_b64 s[18:19], s[18:19], s[26:27]
	s_or_b64 exec, exec, s[22:23]
	v_mov_b32_e32 v4, 0
	s_and_saveexec_b64 s[22:23], s[18:19]
	s_cbranch_execnz .LBB200_69
	s_branch .LBB200_70
.LBB200_285:
	s_mov_b64 s[18:19], -1
                                        ; implicit-def: $vgpr2
	s_mov_b64 s[0:1], 0
.LBB200_286:
	s_and_b64 vcc, exec, s[20:21]
	s_cbranch_vccz .LBB200_402
; %bb.287:
	s_cmp_eq_u32 s26, 44
	s_cbranch_scc0 .LBB200_401
; %bb.288:
	global_load_ubyte v2, v[0:1], off
	s_movk_i32 s18, 0xff
	v_mov_b32_e32 v3, 0x7f800001
	v_mov_b32_e32 v4, 0x400000
	s_mov_b64 s[0:1], -1
	s_waitcnt vmcnt(0)
	v_lshlrev_b32_e32 v6, 23, v2
	v_cmp_ne_u32_e32 vcc, s18, v2
	s_mov_b64 s[18:19], 0
	s_nop 0
	v_cndmask_b32_e32 v3, v3, v6, vcc
	v_cmp_ne_u32_e32 vcc, 0, v2
	s_nop 1
	v_cndmask_b32_e32 v2, v4, v3, vcc
	s_branch .LBB200_402
.LBB200_289:
	s_mov_b64 s[24:25], -1
	s_mov_b64 s[20:21], 0
	s_mov_b64 s[0:1], s[12:13]
.LBB200_290:
	s_and_b64 vcc, exec, s[24:25]
	s_cbranch_vccz .LBB200_295
; %bb.291:
	s_cmp_eq_u32 s29, 44
	s_mov_b64 s[0:1], -1
	s_cbranch_scc0 .LBB200_295
; %bb.292:
	v_bfe_u32 v3, v2, 23, 8
	s_movk_i32 s0, 0xff
	v_cmp_ne_u32_e32 vcc, s0, v3
	v_mov_b32_e32 v4, 0xff
	s_and_saveexec_b64 s[20:21], vcc
; %bb.293:
	s_mov_b32 s0, 0x3fffff
	v_and_b32_e32 v6, 0x400000, v2
	v_and_or_b32 v3, v2, s0, v3
	v_cmp_ne_u32_e32 vcc, 0, v6
	v_cmp_ne_u32_e64 s[0:1], 0, v3
	s_and_b64 s[0:1], vcc, s[0:1]
	v_lshrrev_b32_e32 v4, 23, v2
	v_cndmask_b32_e64 v3, 0, 1, s[0:1]
	v_add_u32_e32 v4, v4, v3
; %bb.294:
	s_or_b64 exec, exec, s[20:21]
	s_mov_b64 s[20:21], -1
	s_mov_b64 s[0:1], 0
	global_store_byte v[0:1], v4, off
.LBB200_295:
	s_mov_b64 s[24:25], 0
.LBB200_296:
	s_and_b64 vcc, exec, s[24:25]
	s_cbranch_vccz .LBB200_299
; %bb.297:
	s_cmp_eq_u32 s29, 29
	s_mov_b64 s[0:1], -1
	s_cbranch_scc0 .LBB200_299
; %bb.298:
	v_trunc_f32_e32 v3, v2
	v_mul_f32_e32 v4, 0x2f800000, v3
	v_floor_f32_e32 v4, v4
	v_fmamk_f32 v3, v4, 0xcf800000, v3
	v_cvt_u32_f32_e32 v7, v4
	v_cvt_u32_f32_e32 v6, v3
	s_mov_b64 s[20:21], -1
	s_mov_b64 s[0:1], 0
	s_mov_b64 s[24:25], 0
	global_store_dwordx2 v[0:1], v[6:7], off
	s_branch .LBB200_300
.LBB200_299:
	s_mov_b64 s[24:25], 0
.LBB200_300:
	s_and_b64 vcc, exec, s[24:25]
	s_cbranch_vccz .LBB200_316
; %bb.301:
	s_cmp_lt_i32 s29, 27
	s_mov_b64 s[20:21], -1
	s_cbranch_scc1 .LBB200_307
; %bb.302:
	v_cvt_u32_f32_e32 v3, v2
	s_cmp_gt_i32 s29, 27
	s_cbranch_scc0 .LBB200_304
; %bb.303:
	s_mov_b64 s[20:21], 0
	global_store_dword v[0:1], v3, off
.LBB200_304:
	s_andn2_b64 vcc, exec, s[20:21]
	s_cbranch_vccnz .LBB200_306
; %bb.305:
	global_store_short v[0:1], v3, off
.LBB200_306:
	s_mov_b64 s[20:21], 0
.LBB200_307:
	s_andn2_b64 vcc, exec, s[20:21]
	s_cbranch_vccnz .LBB200_315
; %bb.308:
	v_and_b32_e32 v3, 0x7fffffff, v2
	s_mov_b32 s20, 0x43800000
	v_cmp_gt_u32_e32 vcc, s20, v3
	v_mov_b32_e32 v4, 0x80
	s_and_saveexec_b64 s[20:21], vcc
	s_cbranch_execz .LBB200_314
; %bb.309:
	s_mov_b32 s24, 0x3bffffff
	v_cmp_lt_u32_e32 vcc, s24, v3
	s_mov_b64 s[24:25], 0
                                        ; implicit-def: $vgpr3
	s_and_saveexec_b64 s[26:27], vcc
	s_xor_b64 s[26:27], exec, s[26:27]
	s_cbranch_execz .LBB200_526
; %bb.310:
	v_bfe_u32 v3, v2, 20, 1
	s_mov_b32 s30, 0x487ffff
	v_add3_u32 v3, v2, v3, s30
	s_mov_b64 s[24:25], exec
	v_lshrrev_b32_e32 v3, 20, v3
	s_andn2_saveexec_b64 s[26:27], s[26:27]
	s_cbranch_execnz .LBB200_527
.LBB200_311:
	s_or_b64 exec, exec, s[26:27]
	v_mov_b32_e32 v4, 0
	s_and_saveexec_b64 s[26:27], s[24:25]
.LBB200_312:
	v_lshrrev_b32_e32 v4, 24, v2
	s_movk_i32 s24, 0x80
	v_and_or_b32 v4, v4, s24, v3
.LBB200_313:
	s_or_b64 exec, exec, s[26:27]
.LBB200_314:
	s_or_b64 exec, exec, s[20:21]
	global_store_byte v[0:1], v4, off
.LBB200_315:
	s_mov_b64 s[20:21], -1
.LBB200_316:
	s_mov_b64 s[24:25], 0
.LBB200_317:
	s_and_b64 vcc, exec, s[24:25]
	s_cbranch_vccz .LBB200_358
; %bb.318:
	s_cmp_gt_i32 s29, 22
	s_mov_b64 s[24:25], -1
	s_cbranch_scc0 .LBB200_350
; %bb.319:
	s_cmp_lt_i32 s29, 24
	s_mov_b64 s[20:21], -1
	s_cbranch_scc1 .LBB200_339
; %bb.320:
	s_cmp_gt_i32 s29, 24
	s_cbranch_scc0 .LBB200_328
; %bb.321:
	v_and_b32_e32 v3, 0x7fffffff, v2
	s_mov_b32 s20, 0x47800000
	v_cmp_gt_u32_e32 vcc, s20, v3
	v_mov_b32_e32 v4, 0x80
	s_and_saveexec_b64 s[20:21], vcc
	s_cbranch_execz .LBB200_327
; %bb.322:
	s_mov_b32 s24, 0x37ffffff
	v_cmp_lt_u32_e32 vcc, s24, v3
	s_mov_b64 s[24:25], 0
                                        ; implicit-def: $vgpr3
	s_and_saveexec_b64 s[26:27], vcc
	s_xor_b64 s[26:27], exec, s[26:27]
	s_cbranch_execz .LBB200_529
; %bb.323:
	v_bfe_u32 v3, v2, 21, 1
	s_mov_b32 s30, 0x88fffff
	v_add3_u32 v3, v2, v3, s30
	s_mov_b64 s[24:25], exec
	v_lshrrev_b32_e32 v3, 21, v3
	s_andn2_saveexec_b64 s[26:27], s[26:27]
	s_cbranch_execnz .LBB200_530
.LBB200_324:
	s_or_b64 exec, exec, s[26:27]
	v_mov_b32_e32 v4, 0
	s_and_saveexec_b64 s[26:27], s[24:25]
.LBB200_325:
	v_lshrrev_b32_e32 v4, 24, v2
	s_movk_i32 s24, 0x80
	v_and_or_b32 v4, v4, s24, v3
.LBB200_326:
	s_or_b64 exec, exec, s[26:27]
.LBB200_327:
	s_or_b64 exec, exec, s[20:21]
	s_mov_b64 s[20:21], 0
	global_store_byte v[0:1], v4, off
.LBB200_328:
	s_and_b64 vcc, exec, s[20:21]
	s_cbranch_vccz .LBB200_338
; %bb.329:
	v_and_b32_e32 v4, 0x7fffffff, v2
	s_mov_b32 s20, 0x43f00000
	v_cmp_gt_u32_e32 vcc, s20, v4
                                        ; implicit-def: $vgpr3
	s_and_saveexec_b64 s[20:21], vcc
	s_xor_b64 s[20:21], exec, s[20:21]
	s_cbranch_execz .LBB200_335
; %bb.330:
	s_mov_b32 s24, 0x3c7fffff
	v_cmp_lt_u32_e32 vcc, s24, v4
                                        ; implicit-def: $vgpr3
	s_and_saveexec_b64 s[24:25], vcc
	s_xor_b64 s[24:25], exec, s[24:25]
; %bb.331:
	v_bfe_u32 v3, v2, 20, 1
	s_mov_b32 s26, 0x407ffff
	v_add3_u32 v3, v2, v3, s26
	v_lshrrev_b32_e32 v4, 20, v3
	v_and_b32_e32 v3, 0xff00000, v3
	s_mov_b32 s26, 0x7f00000
	v_mov_b32_e32 v6, 0x7e
	v_cmp_ne_u32_e32 vcc, s26, v3
	s_nop 1
	v_cndmask_b32_e32 v3, v6, v4, vcc
; %bb.332:
	s_andn2_saveexec_b64 s[24:25], s[24:25]
; %bb.333:
	s_mov_b32 s26, 0x46800000
	v_add_f32_e64 v3, |v2|, s26
; %bb.334:
	s_or_b64 exec, exec, s[24:25]
                                        ; implicit-def: $vgpr4
.LBB200_335:
	s_andn2_saveexec_b64 s[20:21], s[20:21]
; %bb.336:
	s_mov_b32 s24, 0x7f800000
	v_mov_b32_e32 v3, 0x7e
	v_mov_b32_e32 v6, 0x7f
	v_cmp_lt_u32_e32 vcc, s24, v4
	s_nop 1
	v_cndmask_b32_e32 v3, v3, v6, vcc
; %bb.337:
	s_or_b64 exec, exec, s[20:21]
	v_lshrrev_b32_e32 v4, 24, v2
	s_movk_i32 s20, 0x80
	v_and_or_b32 v3, v4, s20, v3
	global_store_byte v[0:1], v3, off
.LBB200_338:
	s_mov_b64 s[20:21], 0
.LBB200_339:
	s_andn2_b64 vcc, exec, s[20:21]
	s_cbranch_vccnz .LBB200_349
; %bb.340:
	v_and_b32_e32 v4, 0x7fffffff, v2
	s_mov_b32 s20, 0x47800000
	v_cmp_gt_u32_e32 vcc, s20, v4
                                        ; implicit-def: $vgpr3
	s_and_saveexec_b64 s[20:21], vcc
	s_xor_b64 s[20:21], exec, s[20:21]
	s_cbranch_execz .LBB200_346
; %bb.341:
	s_mov_b32 s24, 0x387fffff
	v_cmp_lt_u32_e32 vcc, s24, v4
                                        ; implicit-def: $vgpr3
	s_and_saveexec_b64 s[24:25], vcc
	s_xor_b64 s[24:25], exec, s[24:25]
; %bb.342:
	v_bfe_u32 v3, v2, 21, 1
	s_mov_b32 s26, 0x80fffff
	v_add3_u32 v3, v2, v3, s26
	v_lshrrev_b32_e32 v3, 21, v3
; %bb.343:
	s_andn2_saveexec_b64 s[24:25], s[24:25]
; %bb.344:
	s_mov_b32 s26, 0x43000000
	v_add_f32_e64 v3, |v2|, s26
; %bb.345:
	s_or_b64 exec, exec, s[24:25]
                                        ; implicit-def: $vgpr4
.LBB200_346:
	s_andn2_saveexec_b64 s[20:21], s[20:21]
; %bb.347:
	s_mov_b32 s24, 0x7f800000
	v_mov_b32_e32 v3, 0x7c
	v_mov_b32_e32 v6, 0x7f
	v_cmp_lt_u32_e32 vcc, s24, v4
	s_nop 1
	v_cndmask_b32_e32 v3, v3, v6, vcc
; %bb.348:
	s_or_b64 exec, exec, s[20:21]
	v_lshrrev_b32_e32 v4, 24, v2
	s_movk_i32 s20, 0x80
	v_and_or_b32 v3, v4, s20, v3
	global_store_byte v[0:1], v3, off
.LBB200_349:
	s_mov_b64 s[24:25], 0
	s_mov_b64 s[20:21], -1
.LBB200_350:
	s_andn2_b64 vcc, exec, s[24:25]
	s_cbranch_vccnz .LBB200_358
; %bb.351:
	s_cmp_gt_i32 s29, 14
	s_mov_b64 s[24:25], -1
	s_cbranch_scc0 .LBB200_355
; %bb.352:
	s_cmp_eq_u32 s29, 15
	s_mov_b64 s[0:1], -1
	s_cbranch_scc0 .LBB200_354
; %bb.353:
	v_bfe_u32 v3, v2, 16, 1
	s_movk_i32 s0, 0x7fff
	v_add3_u32 v3, v2, v3, s0
	v_cmp_o_f32_e32 vcc, v2, v2
	v_mov_b32_e32 v4, 0x7fc0
	s_mov_b64 s[20:21], -1
	v_cndmask_b32_sdwa v3, v4, v3, vcc dst_sel:DWORD dst_unused:UNUSED_PAD src0_sel:DWORD src1_sel:WORD_1
	global_store_short v[0:1], v3, off
	s_mov_b64 s[0:1], 0
.LBB200_354:
	s_mov_b64 s[24:25], 0
.LBB200_355:
	s_and_b64 vcc, exec, s[24:25]
	s_cbranch_vccz .LBB200_358
; %bb.356:
	s_cmp_eq_u32 s29, 11
	s_mov_b64 s[0:1], -1
	s_cbranch_scc0 .LBB200_358
; %bb.357:
	v_cmp_neq_f32_e32 vcc, 0, v2
	s_mov_b64 s[20:21], -1
	s_mov_b64 s[0:1], 0
	v_cndmask_b32_e64 v3, 0, 1, vcc
	global_store_byte v[0:1], v3, off
.LBB200_358:
	s_mov_b64 s[24:25], 0
.LBB200_359:
	s_and_b64 vcc, exec, s[24:25]
	s_cbranch_vccz .LBB200_398
; %bb.360:
	s_and_b32 s24, 0xffff, s28
	s_cmp_lt_i32 s24, 5
	s_mov_b64 s[20:21], -1
	s_cbranch_scc1 .LBB200_381
; %bb.361:
	s_cmp_lt_i32 s24, 8
	s_cbranch_scc1 .LBB200_371
; %bb.362:
	s_cmp_lt_i32 s24, 9
	s_cbranch_scc1 .LBB200_368
; %bb.363:
	s_cmp_gt_i32 s24, 9
	s_cbranch_scc0 .LBB200_365
; %bb.364:
	v_mov_b32_e32 v8, 0
	v_cvt_f64_f32_e32 v[6:7], v2
	v_mov_b32_e32 v9, v8
	s_mov_b64 s[20:21], 0
	global_store_dwordx4 v[0:1], v[6:9], off
.LBB200_365:
	s_andn2_b64 vcc, exec, s[20:21]
	s_cbranch_vccnz .LBB200_367
; %bb.366:
	v_mov_b32_e32 v3, 0
	global_store_dwordx2 v[0:1], v[2:3], off
.LBB200_367:
	s_mov_b64 s[20:21], 0
.LBB200_368:
	s_andn2_b64 vcc, exec, s[20:21]
	s_cbranch_vccnz .LBB200_370
; %bb.369:
	v_cvt_f16_f32_e32 v3, v2
	global_store_dword v[0:1], v3, off
.LBB200_370:
	s_mov_b64 s[20:21], 0
.LBB200_371:
	s_andn2_b64 vcc, exec, s[20:21]
	s_cbranch_vccnz .LBB200_380
; %bb.372:
	s_cmp_lt_i32 s24, 6
	s_mov_b64 s[20:21], -1
	s_cbranch_scc1 .LBB200_378
; %bb.373:
	s_cmp_gt_i32 s24, 6
	s_cbranch_scc0 .LBB200_375
; %bb.374:
	v_cvt_f64_f32_e32 v[6:7], v2
	s_mov_b64 s[20:21], 0
	global_store_dwordx2 v[0:1], v[6:7], off
.LBB200_375:
	s_andn2_b64 vcc, exec, s[20:21]
	s_cbranch_vccnz .LBB200_377
; %bb.376:
	global_store_dword v[0:1], v2, off
.LBB200_377:
	s_mov_b64 s[20:21], 0
.LBB200_378:
	s_andn2_b64 vcc, exec, s[20:21]
	s_cbranch_vccnz .LBB200_380
; %bb.379:
	v_cvt_f16_f32_e32 v3, v2
	global_store_short v[0:1], v3, off
.LBB200_380:
	s_mov_b64 s[20:21], 0
.LBB200_381:
	s_andn2_b64 vcc, exec, s[20:21]
	s_cbranch_vccnz .LBB200_397
; %bb.382:
	s_cmp_lt_i32 s24, 2
	s_mov_b64 s[20:21], -1
	s_cbranch_scc1 .LBB200_392
; %bb.383:
	s_cmp_lt_i32 s24, 3
	s_cbranch_scc1 .LBB200_389
; %bb.384:
	s_cmp_gt_i32 s24, 3
	s_cbranch_scc0 .LBB200_386
; %bb.385:
	v_trunc_f32_e32 v3, v2
	s_mov_b32 s20, 0x2f800000
	v_mul_f32_e64 v4, |v3|, s20
	v_floor_f32_e32 v4, v4
	s_mov_b32 s20, 0xcf800000
	v_cvt_u32_f32_e32 v6, v4
	v_fma_f32 v4, v4, s20, |v3|
	v_cvt_u32_f32_e32 v4, v4
	v_ashrrev_i32_e32 v3, 31, v3
	v_xor_b32_e32 v7, v6, v3
	s_mov_b64 s[20:21], 0
	v_xor_b32_e32 v4, v4, v3
	v_sub_co_u32_e32 v6, vcc, v4, v3
	s_nop 1
	v_subb_co_u32_e32 v7, vcc, v7, v3, vcc
	global_store_dwordx2 v[0:1], v[6:7], off
.LBB200_386:
	s_andn2_b64 vcc, exec, s[20:21]
	s_cbranch_vccnz .LBB200_388
; %bb.387:
	v_cvt_i32_f32_e32 v3, v2
	global_store_dword v[0:1], v3, off
.LBB200_388:
	s_mov_b64 s[20:21], 0
.LBB200_389:
	s_andn2_b64 vcc, exec, s[20:21]
	s_cbranch_vccnz .LBB200_391
; %bb.390:
	v_cvt_i32_f32_e32 v3, v2
	global_store_short v[0:1], v3, off
.LBB200_391:
	s_mov_b64 s[20:21], 0
.LBB200_392:
	s_andn2_b64 vcc, exec, s[20:21]
	s_cbranch_vccnz .LBB200_397
; %bb.393:
	s_cmp_gt_i32 s24, 0
	s_mov_b64 s[20:21], -1
	s_cbranch_scc0 .LBB200_395
; %bb.394:
	v_cvt_i32_f32_e32 v3, v2
	s_mov_b64 s[20:21], 0
	global_store_byte v[0:1], v3, off
.LBB200_395:
	s_andn2_b64 vcc, exec, s[20:21]
	s_cbranch_vccnz .LBB200_397
; %bb.396:
	v_trunc_f32_e32 v2, v2
	s_mov_b32 s20, 0x2f800000
	v_mul_f32_e64 v3, |v2|, s20
	v_floor_f32_e32 v3, v3
	s_mov_b32 s20, 0xcf800000
	v_fma_f32 v3, v3, s20, |v2|
	v_cvt_u32_f32_e32 v3, v3
	v_ashrrev_i32_e32 v2, 31, v2
	v_xor_b32_e32 v3, v3, v2
	v_sub_u32_e32 v2, v3, v2
	global_store_byte v[0:1], v2, off
.LBB200_397:
	s_mov_b64 s[20:21], -1
.LBB200_398:
	s_andn2_b64 vcc, exec, s[20:21]
	s_cbranch_vccnz .LBB200_400
; %bb.399:
	v_add_u32_e32 v5, 0x80, v5
	s_mov_b64 s[24:25], -1
	s_branch .LBB200_512
.LBB200_400:
	s_mov_b64 s[24:25], 0
                                        ; implicit-def: $vgpr5
	s_branch .LBB200_512
.LBB200_401:
	s_mov_b64 s[18:19], -1
                                        ; implicit-def: $vgpr2
.LBB200_402:
	s_mov_b64 s[20:21], 0
.LBB200_403:
	s_and_b64 vcc, exec, s[20:21]
	s_cbranch_vccz .LBB200_407
; %bb.404:
	s_cmp_eq_u32 s26, 29
	s_cbranch_scc0 .LBB200_406
; %bb.405:
	global_load_dwordx2 v[2:3], v[0:1], off
	s_mov_b64 s[0:1], -1
	s_mov_b64 s[18:19], 0
	s_mov_b64 s[20:21], 0
	s_waitcnt vmcnt(0)
	v_ffbh_u32_e32 v4, v3
	v_min_u32_e32 v4, 32, v4
	v_lshlrev_b64 v[2:3], v4, v[2:3]
	v_min_u32_e32 v2, 1, v2
	v_or_b32_e32 v2, v3, v2
	v_cvt_f32_u32_e32 v2, v2
	v_sub_u32_e32 v3, 32, v4
	v_ldexp_f32 v2, v2, v3
	s_branch .LBB200_408
.LBB200_406:
	s_mov_b64 s[18:19], -1
                                        ; implicit-def: $vgpr2
.LBB200_407:
	s_mov_b64 s[20:21], 0
.LBB200_408:
	s_and_b64 vcc, exec, s[20:21]
	s_cbranch_vccz .LBB200_426
; %bb.409:
	s_cmp_lt_i32 s26, 27
	s_cbranch_scc1 .LBB200_412
; %bb.410:
	s_cmp_gt_i32 s26, 27
	s_cbranch_scc0 .LBB200_413
; %bb.411:
	global_load_dword v2, v[0:1], off
	s_mov_b64 s[0:1], 0
	s_waitcnt vmcnt(0)
	v_cvt_f32_u32_e32 v2, v2
	s_branch .LBB200_414
.LBB200_412:
	s_mov_b64 s[0:1], -1
                                        ; implicit-def: $vgpr2
	s_branch .LBB200_417
.LBB200_413:
	s_mov_b64 s[0:1], -1
                                        ; implicit-def: $vgpr2
.LBB200_414:
	s_andn2_b64 vcc, exec, s[0:1]
	s_cbranch_vccnz .LBB200_416
; %bb.415:
	global_load_ushort v2, v[0:1], off
	s_waitcnt vmcnt(0)
	v_cvt_f32_u32_e32 v2, v2
.LBB200_416:
	s_mov_b64 s[0:1], 0
.LBB200_417:
	s_andn2_b64 vcc, exec, s[0:1]
	s_cbranch_vccnz .LBB200_425
; %bb.418:
	global_load_ubyte v3, v[0:1], off
	s_movk_i32 s0, 0x7f
	s_waitcnt vmcnt(0)
	v_cmp_lt_i16_e32 vcc, s0, v3
	s_mov_b64 s[0:1], 0
	s_and_saveexec_b64 s[20:21], vcc
	s_xor_b64 s[20:21], exec, s[20:21]
	s_cbranch_execz .LBB200_439
; %bb.419:
	s_movk_i32 s0, 0x80
	v_cmp_eq_u16_e32 vcc, s0, v3
	s_mov_b64 s[0:1], -1
	s_and_saveexec_b64 s[24:25], vcc
; %bb.420:
	s_xor_b64 s[0:1], exec, -1
; %bb.421:
	s_or_b64 exec, exec, s[24:25]
	s_and_b64 s[0:1], s[0:1], exec
	s_or_saveexec_b64 s[20:21], s[20:21]
	v_mov_b32_e32 v2, 0x7f800001
	s_xor_b64 exec, exec, s[20:21]
	s_cbranch_execnz .LBB200_440
.LBB200_422:
	s_or_b64 exec, exec, s[20:21]
	s_and_saveexec_b64 s[20:21], s[0:1]
	s_cbranch_execz .LBB200_424
.LBB200_423:
	v_lshlrev_b32_e32 v2, 24, v3
	v_and_b32_e32 v3, 0xffff, v3
	v_and_b32_e32 v4, 7, v3
	v_ffbh_u32_e32 v7, v4
	v_min_u32_e32 v7, 32, v7
	v_subrev_u32_e32 v8, 28, v7
	v_bfe_u32 v6, v3, 3, 4
	v_lshlrev_b32_e32 v3, v8, v3
	v_sub_u32_e32 v7, 29, v7
	v_and_b32_e32 v3, 7, v3
	v_cmp_eq_u32_e32 vcc, 0, v6
	v_and_b32_e32 v2, 0x80000000, v2
	s_nop 0
	v_cndmask_b32_e32 v6, v6, v7, vcc
	v_cndmask_b32_e32 v3, v4, v3, vcc
	v_mov_b32_e32 v4, 0x3b800000
	v_lshlrev_b32_e32 v3, 20, v3
	v_lshl_add_u32 v4, v6, 23, v4
	v_or3_b32 v2, v2, v4, v3
.LBB200_424:
	s_or_b64 exec, exec, s[20:21]
.LBB200_425:
	s_mov_b64 s[0:1], -1
.LBB200_426:
	s_mov_b64 s[20:21], 0
.LBB200_427:
	s_and_b64 vcc, exec, s[20:21]
	s_cbranch_vccz .LBB200_462
; %bb.428:
	s_cmp_gt_i32 s26, 22
	s_cbranch_scc0 .LBB200_438
; %bb.429:
	s_cmp_lt_i32 s26, 24
	s_cbranch_scc1 .LBB200_441
; %bb.430:
	s_cmp_gt_i32 s26, 24
	s_cbranch_scc0 .LBB200_442
; %bb.431:
	global_load_ubyte v3, v[0:1], off
	s_movk_i32 s0, 0x7f
	s_waitcnt vmcnt(0)
	v_cmp_lt_i16_e32 vcc, s0, v3
	s_mov_b64 s[0:1], 0
	s_and_saveexec_b64 s[20:21], vcc
	s_xor_b64 s[20:21], exec, s[20:21]
	s_cbranch_execz .LBB200_454
; %bb.432:
	s_movk_i32 s0, 0x80
	v_cmp_eq_u16_e32 vcc, s0, v3
	s_mov_b64 s[0:1], -1
	s_and_saveexec_b64 s[24:25], vcc
; %bb.433:
	s_xor_b64 s[0:1], exec, -1
; %bb.434:
	s_or_b64 exec, exec, s[24:25]
	s_and_b64 s[0:1], s[0:1], exec
	s_or_saveexec_b64 s[20:21], s[20:21]
	v_mov_b32_e32 v2, 0x7f800001
	s_xor_b64 exec, exec, s[20:21]
	s_cbranch_execnz .LBB200_455
.LBB200_435:
	s_or_b64 exec, exec, s[20:21]
	s_and_saveexec_b64 s[20:21], s[0:1]
	s_cbranch_execz .LBB200_437
.LBB200_436:
	v_lshlrev_b32_e32 v2, 24, v3
	v_and_b32_e32 v3, 0xffff, v3
	v_and_b32_e32 v4, 3, v3
	v_ffbh_u32_e32 v7, v4
	v_min_u32_e32 v7, 32, v7
	v_subrev_u32_e32 v8, 29, v7
	v_bfe_u32 v6, v3, 2, 5
	v_lshlrev_b32_e32 v3, v8, v3
	v_sub_u32_e32 v7, 30, v7
	v_and_b32_e32 v3, 3, v3
	v_cmp_eq_u32_e32 vcc, 0, v6
	v_and_b32_e32 v2, 0x80000000, v2
	s_nop 0
	v_cndmask_b32_e32 v6, v6, v7, vcc
	v_cndmask_b32_e32 v3, v4, v3, vcc
	v_mov_b32_e32 v4, 0x37800000
	v_lshlrev_b32_e32 v3, 21, v3
	v_lshl_add_u32 v4, v6, 23, v4
	v_or3_b32 v2, v2, v4, v3
.LBB200_437:
	s_or_b64 exec, exec, s[20:21]
	s_mov_b64 s[0:1], 0
	s_branch .LBB200_443
.LBB200_438:
	s_mov_b64 s[20:21], -1
                                        ; implicit-def: $vgpr2
	s_branch .LBB200_449
.LBB200_439:
	s_or_saveexec_b64 s[20:21], s[20:21]
	v_mov_b32_e32 v2, 0x7f800001
	s_xor_b64 exec, exec, s[20:21]
	s_cbranch_execz .LBB200_422
.LBB200_440:
	v_cmp_ne_u16_e32 vcc, 0, v3
	s_andn2_b64 s[0:1], s[0:1], exec
	s_and_b64 s[24:25], vcc, exec
	v_mov_b32_e32 v2, 0
	s_or_b64 s[0:1], s[0:1], s[24:25]
	s_or_b64 exec, exec, s[20:21]
	s_and_saveexec_b64 s[20:21], s[0:1]
	s_cbranch_execnz .LBB200_423
	s_branch .LBB200_424
.LBB200_441:
	s_mov_b64 s[0:1], -1
                                        ; implicit-def: $vgpr2
	s_branch .LBB200_446
.LBB200_442:
	s_mov_b64 s[0:1], -1
                                        ; implicit-def: $vgpr2
.LBB200_443:
	s_and_b64 vcc, exec, s[0:1]
	s_cbranch_vccz .LBB200_445
; %bb.444:
	global_load_ubyte v2, v[0:1], off
	s_mov_b32 s0, 0x7f800000
	s_waitcnt vmcnt(0)
	v_lshlrev_b32_e32 v2, 24, v2
	v_and_b32_e32 v3, 0x7f000000, v2
	v_ffbh_u32_e32 v4, v3
	v_min_u32_e32 v4, 32, v4
	v_sub_u32_e64 v4, v4, 4 clamp
	v_lshlrev_b32_e32 v7, v4, v3
	v_lshlrev_b32_e32 v4, 23, v4
	v_lshrrev_b32_e32 v7, 4, v7
	v_add_u32_e32 v6, 0x1000000, v3
	v_sub_u32_e32 v4, v7, v4
	v_ashrrev_i32_e32 v6, 8, v6
	v_add_u32_e32 v4, 0x3c000000, v4
	v_and_or_b32 v4, v6, s0, v4
	v_cmp_ne_u32_e32 vcc, 0, v3
	s_brev_b32 s0, 1
	s_nop 0
	v_cndmask_b32_e32 v3, 0, v4, vcc
	v_and_or_b32 v2, v2, s0, v3
.LBB200_445:
	s_mov_b64 s[0:1], 0
.LBB200_446:
	s_andn2_b64 vcc, exec, s[0:1]
	s_cbranch_vccnz .LBB200_448
; %bb.447:
	global_load_ubyte v2, v[0:1], off
	s_movk_i32 s0, 0x7f00
	s_brev_b32 s1, 16
	s_waitcnt vmcnt(0)
	v_lshlrev_b16_e32 v3, 8, v2
	v_lshlrev_b32_e32 v2, 25, v2
	v_lshrrev_b32_e32 v4, 4, v2
	v_and_or_b32 v6, v3, s0, 0.5
	v_or_b32_e32 v4, 0x70000000, v4
	v_add_f32_e32 v6, -0.5, v6
	v_mul_f32_e32 v4, 0x7800000, v4
	v_cmp_gt_u32_e32 vcc, s1, v2
	v_bfe_i32 v3, v3, 0, 16
	s_brev_b32 s0, 1
	v_cndmask_b32_e32 v2, v4, v6, vcc
	v_and_or_b32 v2, v3, s0, v2
.LBB200_448:
	s_mov_b64 s[20:21], 0
	s_mov_b64 s[0:1], -1
.LBB200_449:
	s_andn2_b64 vcc, exec, s[20:21]
	s_cbranch_vccnz .LBB200_462
; %bb.450:
	s_cmp_gt_i32 s26, 14
	s_cbranch_scc0 .LBB200_453
; %bb.451:
	s_cmp_eq_u32 s26, 15
	s_cbranch_scc0 .LBB200_456
; %bb.452:
	global_load_ushort v2, v[0:1], off
	s_mov_b64 s[0:1], -1
	s_mov_b64 s[18:19], 0
	s_waitcnt vmcnt(0)
	v_lshlrev_b32_e32 v2, 16, v2
	s_branch .LBB200_457
.LBB200_453:
	s_mov_b64 s[20:21], -1
                                        ; implicit-def: $vgpr2
	s_branch .LBB200_458
.LBB200_454:
	s_or_saveexec_b64 s[20:21], s[20:21]
	v_mov_b32_e32 v2, 0x7f800001
	s_xor_b64 exec, exec, s[20:21]
	s_cbranch_execz .LBB200_435
.LBB200_455:
	v_cmp_ne_u16_e32 vcc, 0, v3
	s_andn2_b64 s[0:1], s[0:1], exec
	s_and_b64 s[24:25], vcc, exec
	v_mov_b32_e32 v2, 0
	s_or_b64 s[0:1], s[0:1], s[24:25]
	s_or_b64 exec, exec, s[20:21]
	s_and_saveexec_b64 s[20:21], s[0:1]
	s_cbranch_execnz .LBB200_436
	s_branch .LBB200_437
.LBB200_456:
	s_mov_b64 s[18:19], -1
                                        ; implicit-def: $vgpr2
.LBB200_457:
	s_mov_b64 s[20:21], 0
.LBB200_458:
	s_and_b64 vcc, exec, s[20:21]
	s_cbranch_vccz .LBB200_462
; %bb.459:
	s_cmp_eq_u32 s26, 11
	s_cbranch_scc0 .LBB200_461
; %bb.460:
	global_load_ubyte v2, v[0:1], off
	s_mov_b64 s[0:1], -1
	s_mov_b64 s[18:19], 0
	s_waitcnt vmcnt(0)
	v_cmp_ne_u16_e32 vcc, 0, v2
	s_nop 1
	v_cndmask_b32_e64 v2, 0, 1.0, vcc
	s_branch .LBB200_462
.LBB200_461:
	s_mov_b64 s[18:19], -1
                                        ; implicit-def: $vgpr2
.LBB200_462:
	s_branch .LBB200_265
.LBB200_463:
	s_cmp_lt_i32 s26, 5
	s_cbranch_scc1 .LBB200_468
; %bb.464:
	s_cmp_lt_i32 s26, 8
	s_cbranch_scc1 .LBB200_469
; %bb.465:
	s_cmp_lt_i32 s26, 9
	s_cbranch_scc1 .LBB200_470
; %bb.466:
	s_cmp_gt_i32 s26, 9
	s_cbranch_scc0 .LBB200_471
; %bb.467:
	global_load_dwordx2 v[2:3], v[0:1], off
	s_mov_b64 s[0:1], 0
	s_waitcnt vmcnt(0)
	v_cvt_f32_f64_e32 v2, v[2:3]
	s_branch .LBB200_472
.LBB200_468:
	s_mov_b64 s[0:1], -1
                                        ; implicit-def: $vgpr2
	s_branch .LBB200_490
.LBB200_469:
	s_mov_b64 s[0:1], -1
                                        ; implicit-def: $vgpr2
	s_branch .LBB200_478
.LBB200_470:
	s_mov_b64 s[0:1], -1
                                        ; implicit-def: $vgpr2
	s_branch .LBB200_475
.LBB200_471:
	s_mov_b64 s[0:1], -1
                                        ; implicit-def: $vgpr2
.LBB200_472:
	s_andn2_b64 vcc, exec, s[0:1]
	s_cbranch_vccnz .LBB200_474
; %bb.473:
	global_load_dword v2, v[0:1], off
.LBB200_474:
	s_mov_b64 s[0:1], 0
.LBB200_475:
	s_andn2_b64 vcc, exec, s[0:1]
	s_cbranch_vccnz .LBB200_477
; %bb.476:
	global_load_dword v2, v[0:1], off
	s_waitcnt vmcnt(0)
	v_cvt_f32_f16_e32 v2, v2
.LBB200_477:
	s_mov_b64 s[0:1], 0
.LBB200_478:
	s_andn2_b64 vcc, exec, s[0:1]
	s_cbranch_vccnz .LBB200_489
; %bb.479:
	s_cmp_lt_i32 s26, 6
	s_cbranch_scc1 .LBB200_482
; %bb.480:
	s_cmp_gt_i32 s26, 6
	s_cbranch_scc0 .LBB200_483
; %bb.481:
	global_load_dwordx2 v[2:3], v[0:1], off
	s_mov_b64 s[0:1], 0
	s_waitcnt vmcnt(0)
	v_cvt_f32_f64_e32 v2, v[2:3]
	s_branch .LBB200_484
.LBB200_482:
	s_mov_b64 s[0:1], -1
                                        ; implicit-def: $vgpr2
	s_branch .LBB200_487
.LBB200_483:
	s_mov_b64 s[0:1], -1
                                        ; implicit-def: $vgpr2
.LBB200_484:
	s_andn2_b64 vcc, exec, s[0:1]
	s_cbranch_vccnz .LBB200_486
; %bb.485:
	global_load_dword v2, v[0:1], off
.LBB200_486:
	s_mov_b64 s[0:1], 0
.LBB200_487:
	s_andn2_b64 vcc, exec, s[0:1]
	s_cbranch_vccnz .LBB200_489
; %bb.488:
	global_load_ushort v2, v[0:1], off
	s_waitcnt vmcnt(0)
	v_cvt_f32_f16_e32 v2, v2
.LBB200_489:
	s_mov_b64 s[0:1], 0
.LBB200_490:
	s_andn2_b64 vcc, exec, s[0:1]
	s_cbranch_vccnz .LBB200_510
; %bb.491:
	s_cmp_lt_i32 s26, 2
	s_cbranch_scc1 .LBB200_495
; %bb.492:
	s_cmp_lt_i32 s26, 3
	s_cbranch_scc1 .LBB200_496
; %bb.493:
	s_cmp_gt_i32 s26, 3
	s_cbranch_scc0 .LBB200_497
; %bb.494:
	global_load_dwordx2 v[2:3], v[0:1], off
	s_mov_b64 s[0:1], 0
	s_waitcnt vmcnt(0)
	v_xor_b32_e32 v6, v2, v3
	v_ffbh_i32_e32 v4, v3
	v_ashrrev_i32_e32 v6, 31, v6
	v_add_u32_e32 v4, -1, v4
	v_add_u32_e32 v6, 32, v6
	v_min_u32_e32 v4, v4, v6
	v_lshlrev_b64 v[2:3], v4, v[2:3]
	v_min_u32_e32 v2, 1, v2
	v_or_b32_e32 v2, v3, v2
	v_cvt_f32_i32_e32 v2, v2
	v_sub_u32_e32 v3, 32, v4
	v_ldexp_f32 v2, v2, v3
	s_branch .LBB200_498
.LBB200_495:
	s_mov_b64 s[0:1], -1
                                        ; implicit-def: $vgpr2
	s_branch .LBB200_504
.LBB200_496:
	s_mov_b64 s[0:1], -1
                                        ; implicit-def: $vgpr2
	s_branch .LBB200_501
.LBB200_497:
	s_mov_b64 s[0:1], -1
                                        ; implicit-def: $vgpr2
.LBB200_498:
	s_andn2_b64 vcc, exec, s[0:1]
	s_cbranch_vccnz .LBB200_500
; %bb.499:
	global_load_dword v2, v[0:1], off
	s_waitcnt vmcnt(0)
	v_cvt_f32_i32_e32 v2, v2
.LBB200_500:
	s_mov_b64 s[0:1], 0
.LBB200_501:
	s_andn2_b64 vcc, exec, s[0:1]
	s_cbranch_vccnz .LBB200_503
; %bb.502:
	global_load_sshort v2, v[0:1], off
	s_waitcnt vmcnt(0)
	v_cvt_f32_i32_e32 v2, v2
.LBB200_503:
	s_mov_b64 s[0:1], 0
.LBB200_504:
	s_andn2_b64 vcc, exec, s[0:1]
	s_cbranch_vccnz .LBB200_510
; %bb.505:
	s_cmp_gt_i32 s26, 0
	s_cbranch_scc0 .LBB200_507
; %bb.506:
	global_load_sbyte v2, v[0:1], off
	s_mov_b64 s[0:1], 0
	s_waitcnt vmcnt(0)
	v_cvt_f32_i32_e32 v2, v2
	s_branch .LBB200_508
.LBB200_507:
	s_mov_b64 s[0:1], -1
                                        ; implicit-def: $vgpr2
.LBB200_508:
	s_andn2_b64 vcc, exec, s[0:1]
	s_cbranch_vccnz .LBB200_510
; %bb.509:
	global_load_ubyte v0, v[0:1], off
	s_waitcnt vmcnt(0)
	v_cvt_f32_ubyte0_e32 v2, v0
.LBB200_510:
	s_branch .LBB200_266
.LBB200_511:
	s_mov_b64 s[24:25], 0
                                        ; implicit-def: $vgpr5
	s_mov_b64 s[0:1], s[12:13]
.LBB200_512:
	s_andn2_b64 s[20:21], s[12:13], exec
	s_and_b64 s[0:1], s[0:1], exec
	s_or_b64 s[20:21], s[20:21], s[0:1]
	s_andn2_b64 s[0:1], s[14:15], exec
	s_and_b64 s[18:19], s[18:19], exec
	s_or_b64 s[18:19], s[0:1], s[18:19]
	s_orn2_b64 s[0:1], s[24:25], exec
.LBB200_513:
	s_or_b64 exec, exec, s[22:23]
	s_mov_b64 s[24:25], 0
	s_mov_b64 s[26:27], 0
	;; [unrolled: 1-line block ×3, first 2 shown]
                                        ; implicit-def: $vgpr0_vgpr1
                                        ; implicit-def: $vgpr3
	s_and_saveexec_b64 s[22:23], s[0:1]
	s_cbranch_execz .LBB200_858
; %bb.514:
	v_cmp_gt_i32_e32 vcc, s38, v5
	s_mov_b64 s[34:35], -1
	s_mov_b64 s[0:1], s[18:19]
	s_mov_b64 s[28:29], s[20:21]
	s_and_saveexec_b64 s[24:25], vcc
	s_cbranch_execz .LBB200_772
; %bb.515:
	v_mul_lo_u32 v0, v5, s9
	v_ashrrev_i32_e32 v1, 31, v0
	s_and_b32 s34, 0xffff, s42
	s_cmp_lt_i32 s34, 11
	v_lshl_add_u64 v[0:1], s[6:7], 0, v[0:1]
	s_cbranch_scc1 .LBB200_522
; %bb.516:
	s_cmp_gt_i32 s34, 25
	s_cbranch_scc0 .LBB200_523
; %bb.517:
	s_cmp_gt_i32 s34, 28
	s_cbranch_scc0 .LBB200_524
	;; [unrolled: 3-line block ×4, first 2 shown]
; %bb.520:
	s_cmp_eq_u32 s34, 46
	s_mov_b64 s[28:29], 0
	s_cbranch_scc0 .LBB200_531
; %bb.521:
	global_load_dword v2, v[0:1], off
	s_mov_b64 s[0:1], -1
	s_waitcnt vmcnt(0)
	v_lshlrev_b32_e32 v2, 16, v2
	s_branch .LBB200_532
.LBB200_522:
	s_mov_b64 s[28:29], -1
	s_mov_b64 s[0:1], 0
                                        ; implicit-def: $vgpr2
	s_mov_b64 s[26:27], s[18:19]
	s_branch .LBB200_597
.LBB200_523:
	s_mov_b64 s[28:29], -1
	s_mov_b64 s[0:1], 0
	s_mov_b64 s[26:27], s[18:19]
                                        ; implicit-def: $vgpr2
	s_branch .LBB200_561
.LBB200_524:
	s_mov_b64 s[28:29], -1
	s_mov_b64 s[0:1], 0
	s_mov_b64 s[26:27], s[18:19]
                                        ; implicit-def: $vgpr2
	s_branch .LBB200_542
.LBB200_525:
	s_mov_b64 s[28:29], -1
	s_mov_b64 s[0:1], 0
	s_mov_b64 s[26:27], s[18:19]
                                        ; implicit-def: $vgpr2
	s_branch .LBB200_537
.LBB200_526:
	s_andn2_saveexec_b64 s[26:27], s[26:27]
	s_cbranch_execz .LBB200_311
.LBB200_527:
	s_mov_b32 s30, 0x46000000
	v_add_f32_e64 v3, |v2|, s30
	v_and_b32_e32 v3, 0xff, v3
	v_cmp_ne_u32_e32 vcc, 0, v3
	s_andn2_b64 s[24:25], s[24:25], exec
	s_and_b64 s[30:31], vcc, exec
	s_or_b64 s[24:25], s[24:25], s[30:31]
	s_or_b64 exec, exec, s[26:27]
	v_mov_b32_e32 v4, 0
	s_and_saveexec_b64 s[26:27], s[24:25]
	s_cbranch_execnz .LBB200_312
	s_branch .LBB200_313
.LBB200_528:
	s_mov_b64 s[28:29], -1
	s_mov_b64 s[0:1], 0
	s_mov_b64 s[26:27], s[18:19]
                                        ; implicit-def: $vgpr2
	s_branch .LBB200_532
.LBB200_529:
	s_andn2_saveexec_b64 s[26:27], s[26:27]
	s_cbranch_execz .LBB200_324
.LBB200_530:
	s_mov_b32 s30, 0x42800000
	v_add_f32_e64 v3, |v2|, s30
	v_and_b32_e32 v3, 0xff, v3
	v_cmp_ne_u32_e32 vcc, 0, v3
	s_andn2_b64 s[24:25], s[24:25], exec
	s_and_b64 s[30:31], vcc, exec
	s_or_b64 s[24:25], s[24:25], s[30:31]
	s_or_b64 exec, exec, s[26:27]
	v_mov_b32_e32 v4, 0
	s_and_saveexec_b64 s[26:27], s[24:25]
	s_cbranch_execnz .LBB200_325
	s_branch .LBB200_326
.LBB200_531:
	s_mov_b64 s[26:27], -1
                                        ; implicit-def: $vgpr2
	s_mov_b64 s[0:1], 0
.LBB200_532:
	s_and_b64 vcc, exec, s[28:29]
	s_cbranch_vccz .LBB200_536
; %bb.533:
	s_cmp_eq_u32 s34, 44
	s_cbranch_scc0 .LBB200_535
; %bb.534:
	global_load_ubyte v2, v[0:1], off
	s_movk_i32 s26, 0xff
	v_mov_b32_e32 v3, 0x7f800001
	v_mov_b32_e32 v4, 0x400000
	s_mov_b64 s[0:1], -1
	s_waitcnt vmcnt(0)
	v_lshlrev_b32_e32 v6, 23, v2
	v_cmp_ne_u32_e32 vcc, s26, v2
	s_mov_b64 s[26:27], 0
	s_nop 0
	v_cndmask_b32_e32 v3, v3, v6, vcc
	v_cmp_ne_u32_e32 vcc, 0, v2
	s_nop 1
	v_cndmask_b32_e32 v2, v4, v3, vcc
	s_branch .LBB200_536
.LBB200_535:
	s_mov_b64 s[26:27], -1
                                        ; implicit-def: $vgpr2
.LBB200_536:
	s_mov_b64 s[28:29], 0
.LBB200_537:
	s_and_b64 vcc, exec, s[28:29]
	s_cbranch_vccz .LBB200_541
; %bb.538:
	s_cmp_eq_u32 s34, 29
	s_cbranch_scc0 .LBB200_540
; %bb.539:
	global_load_dwordx2 v[2:3], v[0:1], off
	s_mov_b64 s[0:1], -1
	s_mov_b64 s[26:27], 0
	s_mov_b64 s[28:29], 0
	s_waitcnt vmcnt(0)
	v_ffbh_u32_e32 v4, v3
	v_min_u32_e32 v4, 32, v4
	v_lshlrev_b64 v[2:3], v4, v[2:3]
	v_min_u32_e32 v2, 1, v2
	v_or_b32_e32 v2, v3, v2
	v_cvt_f32_u32_e32 v2, v2
	v_sub_u32_e32 v3, 32, v4
	v_ldexp_f32 v2, v2, v3
	s_branch .LBB200_542
.LBB200_540:
	s_mov_b64 s[26:27], -1
                                        ; implicit-def: $vgpr2
.LBB200_541:
	s_mov_b64 s[28:29], 0
.LBB200_542:
	s_and_b64 vcc, exec, s[28:29]
	s_cbranch_vccz .LBB200_560
; %bb.543:
	s_cmp_lt_i32 s34, 27
	s_cbranch_scc1 .LBB200_546
; %bb.544:
	s_cmp_gt_i32 s34, 27
	s_cbranch_scc0 .LBB200_547
; %bb.545:
	global_load_dword v2, v[0:1], off
	s_mov_b64 s[0:1], 0
	s_waitcnt vmcnt(0)
	v_cvt_f32_u32_e32 v2, v2
	s_branch .LBB200_548
.LBB200_546:
	s_mov_b64 s[0:1], -1
                                        ; implicit-def: $vgpr2
	s_branch .LBB200_551
.LBB200_547:
	s_mov_b64 s[0:1], -1
                                        ; implicit-def: $vgpr2
.LBB200_548:
	s_andn2_b64 vcc, exec, s[0:1]
	s_cbranch_vccnz .LBB200_550
; %bb.549:
	global_load_ushort v2, v[0:1], off
	s_waitcnt vmcnt(0)
	v_cvt_f32_u32_e32 v2, v2
.LBB200_550:
	s_mov_b64 s[0:1], 0
.LBB200_551:
	s_andn2_b64 vcc, exec, s[0:1]
	s_cbranch_vccnz .LBB200_559
; %bb.552:
	global_load_ubyte v3, v[0:1], off
	s_movk_i32 s0, 0x7f
	s_waitcnt vmcnt(0)
	v_cmp_lt_i16_e32 vcc, s0, v3
	s_mov_b64 s[0:1], 0
	s_and_saveexec_b64 s[28:29], vcc
	s_xor_b64 s[28:29], exec, s[28:29]
	s_cbranch_execz .LBB200_573
; %bb.553:
	s_movk_i32 s0, 0x80
	v_cmp_eq_u16_e32 vcc, s0, v3
	s_mov_b64 s[0:1], -1
	s_and_saveexec_b64 s[30:31], vcc
; %bb.554:
	s_xor_b64 s[0:1], exec, -1
; %bb.555:
	s_or_b64 exec, exec, s[30:31]
	s_and_b64 s[0:1], s[0:1], exec
	s_or_saveexec_b64 s[28:29], s[28:29]
	v_mov_b32_e32 v2, 0x7f800001
	s_xor_b64 exec, exec, s[28:29]
	s_cbranch_execnz .LBB200_574
.LBB200_556:
	s_or_b64 exec, exec, s[28:29]
	s_and_saveexec_b64 s[28:29], s[0:1]
	s_cbranch_execz .LBB200_558
.LBB200_557:
	v_lshlrev_b32_e32 v2, 24, v3
	v_and_b32_e32 v3, 0xffff, v3
	v_and_b32_e32 v4, 7, v3
	v_ffbh_u32_e32 v7, v4
	v_min_u32_e32 v7, 32, v7
	v_subrev_u32_e32 v8, 28, v7
	v_bfe_u32 v6, v3, 3, 4
	v_lshlrev_b32_e32 v3, v8, v3
	v_sub_u32_e32 v7, 29, v7
	v_and_b32_e32 v3, 7, v3
	v_cmp_eq_u32_e32 vcc, 0, v6
	v_and_b32_e32 v2, 0x80000000, v2
	s_nop 0
	v_cndmask_b32_e32 v6, v6, v7, vcc
	v_cndmask_b32_e32 v3, v4, v3, vcc
	v_mov_b32_e32 v4, 0x3b800000
	v_lshlrev_b32_e32 v3, 20, v3
	v_lshl_add_u32 v4, v6, 23, v4
	v_or3_b32 v2, v2, v4, v3
.LBB200_558:
	s_or_b64 exec, exec, s[28:29]
.LBB200_559:
	s_mov_b64 s[0:1], -1
.LBB200_560:
	s_mov_b64 s[28:29], 0
.LBB200_561:
	s_and_b64 vcc, exec, s[28:29]
	s_cbranch_vccz .LBB200_596
; %bb.562:
	s_cmp_gt_i32 s34, 22
	s_cbranch_scc0 .LBB200_572
; %bb.563:
	s_cmp_lt_i32 s34, 24
	s_cbranch_scc1 .LBB200_575
; %bb.564:
	s_cmp_gt_i32 s34, 24
	s_cbranch_scc0 .LBB200_576
; %bb.565:
	global_load_ubyte v3, v[0:1], off
	s_movk_i32 s0, 0x7f
	s_waitcnt vmcnt(0)
	v_cmp_lt_i16_e32 vcc, s0, v3
	s_mov_b64 s[0:1], 0
	s_and_saveexec_b64 s[28:29], vcc
	s_xor_b64 s[28:29], exec, s[28:29]
	s_cbranch_execz .LBB200_588
; %bb.566:
	s_movk_i32 s0, 0x80
	v_cmp_eq_u16_e32 vcc, s0, v3
	s_mov_b64 s[0:1], -1
	s_and_saveexec_b64 s[30:31], vcc
; %bb.567:
	s_xor_b64 s[0:1], exec, -1
; %bb.568:
	s_or_b64 exec, exec, s[30:31]
	s_and_b64 s[0:1], s[0:1], exec
	s_or_saveexec_b64 s[28:29], s[28:29]
	v_mov_b32_e32 v2, 0x7f800001
	s_xor_b64 exec, exec, s[28:29]
	s_cbranch_execnz .LBB200_589
.LBB200_569:
	s_or_b64 exec, exec, s[28:29]
	s_and_saveexec_b64 s[28:29], s[0:1]
	s_cbranch_execz .LBB200_571
.LBB200_570:
	v_lshlrev_b32_e32 v2, 24, v3
	v_and_b32_e32 v3, 0xffff, v3
	v_and_b32_e32 v4, 3, v3
	v_ffbh_u32_e32 v7, v4
	v_min_u32_e32 v7, 32, v7
	v_subrev_u32_e32 v8, 29, v7
	v_bfe_u32 v6, v3, 2, 5
	v_lshlrev_b32_e32 v3, v8, v3
	v_sub_u32_e32 v7, 30, v7
	v_and_b32_e32 v3, 3, v3
	v_cmp_eq_u32_e32 vcc, 0, v6
	v_and_b32_e32 v2, 0x80000000, v2
	s_nop 0
	v_cndmask_b32_e32 v6, v6, v7, vcc
	v_cndmask_b32_e32 v3, v4, v3, vcc
	v_mov_b32_e32 v4, 0x37800000
	v_lshlrev_b32_e32 v3, 21, v3
	v_lshl_add_u32 v4, v6, 23, v4
	v_or3_b32 v2, v2, v4, v3
.LBB200_571:
	s_or_b64 exec, exec, s[28:29]
	s_mov_b64 s[0:1], 0
	s_branch .LBB200_577
.LBB200_572:
	s_mov_b64 s[28:29], -1
                                        ; implicit-def: $vgpr2
	s_branch .LBB200_583
.LBB200_573:
	s_or_saveexec_b64 s[28:29], s[28:29]
	v_mov_b32_e32 v2, 0x7f800001
	s_xor_b64 exec, exec, s[28:29]
	s_cbranch_execz .LBB200_556
.LBB200_574:
	v_cmp_ne_u16_e32 vcc, 0, v3
	s_andn2_b64 s[0:1], s[0:1], exec
	s_and_b64 s[30:31], vcc, exec
	v_mov_b32_e32 v2, 0
	s_or_b64 s[0:1], s[0:1], s[30:31]
	s_or_b64 exec, exec, s[28:29]
	s_and_saveexec_b64 s[28:29], s[0:1]
	s_cbranch_execnz .LBB200_557
	s_branch .LBB200_558
.LBB200_575:
	s_mov_b64 s[0:1], -1
                                        ; implicit-def: $vgpr2
	s_branch .LBB200_580
.LBB200_576:
	s_mov_b64 s[0:1], -1
                                        ; implicit-def: $vgpr2
.LBB200_577:
	s_and_b64 vcc, exec, s[0:1]
	s_cbranch_vccz .LBB200_579
; %bb.578:
	global_load_ubyte v2, v[0:1], off
	s_mov_b32 s0, 0x7f800000
	s_waitcnt vmcnt(0)
	v_lshlrev_b32_e32 v2, 24, v2
	v_and_b32_e32 v3, 0x7f000000, v2
	v_ffbh_u32_e32 v4, v3
	v_min_u32_e32 v4, 32, v4
	v_sub_u32_e64 v4, v4, 4 clamp
	v_lshlrev_b32_e32 v7, v4, v3
	v_lshlrev_b32_e32 v4, 23, v4
	v_lshrrev_b32_e32 v7, 4, v7
	v_add_u32_e32 v6, 0x1000000, v3
	v_sub_u32_e32 v4, v7, v4
	v_ashrrev_i32_e32 v6, 8, v6
	v_add_u32_e32 v4, 0x3c000000, v4
	v_and_or_b32 v4, v6, s0, v4
	v_cmp_ne_u32_e32 vcc, 0, v3
	s_brev_b32 s0, 1
	s_nop 0
	v_cndmask_b32_e32 v3, 0, v4, vcc
	v_and_or_b32 v2, v2, s0, v3
.LBB200_579:
	s_mov_b64 s[0:1], 0
.LBB200_580:
	s_andn2_b64 vcc, exec, s[0:1]
	s_cbranch_vccnz .LBB200_582
; %bb.581:
	global_load_ubyte v2, v[0:1], off
	s_movk_i32 s0, 0x7f00
	s_brev_b32 s1, 16
	s_waitcnt vmcnt(0)
	v_lshlrev_b16_e32 v3, 8, v2
	v_lshlrev_b32_e32 v2, 25, v2
	v_lshrrev_b32_e32 v4, 4, v2
	v_and_or_b32 v6, v3, s0, 0.5
	v_or_b32_e32 v4, 0x70000000, v4
	v_add_f32_e32 v6, -0.5, v6
	v_mul_f32_e32 v4, 0x7800000, v4
	v_cmp_gt_u32_e32 vcc, s1, v2
	v_bfe_i32 v3, v3, 0, 16
	s_brev_b32 s0, 1
	v_cndmask_b32_e32 v2, v4, v6, vcc
	v_and_or_b32 v2, v3, s0, v2
.LBB200_582:
	s_mov_b64 s[28:29], 0
	s_mov_b64 s[0:1], -1
.LBB200_583:
	s_andn2_b64 vcc, exec, s[28:29]
	s_cbranch_vccnz .LBB200_596
; %bb.584:
	s_cmp_gt_i32 s34, 14
	s_cbranch_scc0 .LBB200_587
; %bb.585:
	s_cmp_eq_u32 s34, 15
	s_cbranch_scc0 .LBB200_590
; %bb.586:
	global_load_ushort v2, v[0:1], off
	s_mov_b64 s[0:1], -1
	s_mov_b64 s[26:27], 0
	s_waitcnt vmcnt(0)
	v_lshlrev_b32_e32 v2, 16, v2
	s_branch .LBB200_591
.LBB200_587:
	s_mov_b64 s[28:29], -1
                                        ; implicit-def: $vgpr2
	s_branch .LBB200_592
.LBB200_588:
	s_or_saveexec_b64 s[28:29], s[28:29]
	v_mov_b32_e32 v2, 0x7f800001
	s_xor_b64 exec, exec, s[28:29]
	s_cbranch_execz .LBB200_569
.LBB200_589:
	v_cmp_ne_u16_e32 vcc, 0, v3
	s_andn2_b64 s[0:1], s[0:1], exec
	s_and_b64 s[30:31], vcc, exec
	v_mov_b32_e32 v2, 0
	s_or_b64 s[0:1], s[0:1], s[30:31]
	s_or_b64 exec, exec, s[28:29]
	s_and_saveexec_b64 s[28:29], s[0:1]
	s_cbranch_execnz .LBB200_570
	s_branch .LBB200_571
.LBB200_590:
	s_mov_b64 s[26:27], -1
                                        ; implicit-def: $vgpr2
.LBB200_591:
	s_mov_b64 s[28:29], 0
.LBB200_592:
	s_and_b64 vcc, exec, s[28:29]
	s_cbranch_vccz .LBB200_596
; %bb.593:
	s_cmp_eq_u32 s34, 11
	s_cbranch_scc0 .LBB200_595
; %bb.594:
	global_load_ubyte v2, v[0:1], off
	s_mov_b64 s[0:1], -1
	s_mov_b64 s[26:27], 0
	s_waitcnt vmcnt(0)
	v_cmp_ne_u16_e32 vcc, 0, v2
	s_nop 1
	v_cndmask_b32_e64 v2, 0, 1.0, vcc
	s_branch .LBB200_596
.LBB200_595:
	s_mov_b64 s[26:27], -1
                                        ; implicit-def: $vgpr2
.LBB200_596:
	s_mov_b64 s[28:29], 0
.LBB200_597:
	s_and_b64 vcc, exec, s[28:29]
	s_cbranch_vccz .LBB200_646
; %bb.598:
	s_cmp_lt_i32 s34, 5
	s_cbranch_scc1 .LBB200_603
; %bb.599:
	s_cmp_lt_i32 s34, 8
	s_cbranch_scc1 .LBB200_604
; %bb.600:
	s_cmp_lt_i32 s34, 9
	s_cbranch_scc1 .LBB200_605
; %bb.601:
	s_cmp_gt_i32 s34, 9
	s_cbranch_scc0 .LBB200_606
; %bb.602:
	global_load_dwordx2 v[2:3], v[0:1], off
	s_mov_b64 s[0:1], 0
	s_waitcnt vmcnt(0)
	v_cvt_f32_f64_e32 v2, v[2:3]
	s_branch .LBB200_607
.LBB200_603:
	s_mov_b64 s[0:1], -1
                                        ; implicit-def: $vgpr2
	s_branch .LBB200_625
.LBB200_604:
	s_mov_b64 s[0:1], -1
                                        ; implicit-def: $vgpr2
	s_branch .LBB200_613
.LBB200_605:
	s_mov_b64 s[0:1], -1
                                        ; implicit-def: $vgpr2
	s_branch .LBB200_610
.LBB200_606:
	s_mov_b64 s[0:1], -1
                                        ; implicit-def: $vgpr2
.LBB200_607:
	s_andn2_b64 vcc, exec, s[0:1]
	s_cbranch_vccnz .LBB200_609
; %bb.608:
	global_load_dword v2, v[0:1], off
.LBB200_609:
	s_mov_b64 s[0:1], 0
.LBB200_610:
	s_andn2_b64 vcc, exec, s[0:1]
	s_cbranch_vccnz .LBB200_612
; %bb.611:
	global_load_dword v2, v[0:1], off
	s_waitcnt vmcnt(0)
	v_cvt_f32_f16_e32 v2, v2
.LBB200_612:
	s_mov_b64 s[0:1], 0
.LBB200_613:
	s_andn2_b64 vcc, exec, s[0:1]
	s_cbranch_vccnz .LBB200_624
; %bb.614:
	s_cmp_lt_i32 s34, 6
	s_cbranch_scc1 .LBB200_617
; %bb.615:
	s_cmp_gt_i32 s34, 6
	s_cbranch_scc0 .LBB200_618
; %bb.616:
	global_load_dwordx2 v[2:3], v[0:1], off
	s_mov_b64 s[0:1], 0
	s_waitcnt vmcnt(0)
	v_cvt_f32_f64_e32 v2, v[2:3]
	s_branch .LBB200_619
.LBB200_617:
	s_mov_b64 s[0:1], -1
                                        ; implicit-def: $vgpr2
	s_branch .LBB200_622
.LBB200_618:
	s_mov_b64 s[0:1], -1
                                        ; implicit-def: $vgpr2
.LBB200_619:
	s_andn2_b64 vcc, exec, s[0:1]
	s_cbranch_vccnz .LBB200_621
; %bb.620:
	global_load_dword v2, v[0:1], off
.LBB200_621:
	s_mov_b64 s[0:1], 0
.LBB200_622:
	s_andn2_b64 vcc, exec, s[0:1]
	s_cbranch_vccnz .LBB200_624
; %bb.623:
	global_load_ushort v2, v[0:1], off
	s_waitcnt vmcnt(0)
	v_cvt_f32_f16_e32 v2, v2
.LBB200_624:
	s_mov_b64 s[0:1], 0
.LBB200_625:
	s_andn2_b64 vcc, exec, s[0:1]
	s_cbranch_vccnz .LBB200_645
; %bb.626:
	s_cmp_lt_i32 s34, 2
	s_cbranch_scc1 .LBB200_630
; %bb.627:
	s_cmp_lt_i32 s34, 3
	s_cbranch_scc1 .LBB200_631
; %bb.628:
	s_cmp_gt_i32 s34, 3
	s_cbranch_scc0 .LBB200_632
; %bb.629:
	global_load_dwordx2 v[2:3], v[0:1], off
	s_mov_b64 s[0:1], 0
	s_waitcnt vmcnt(0)
	v_xor_b32_e32 v6, v2, v3
	v_ffbh_i32_e32 v4, v3
	v_ashrrev_i32_e32 v6, 31, v6
	v_add_u32_e32 v4, -1, v4
	v_add_u32_e32 v6, 32, v6
	v_min_u32_e32 v4, v4, v6
	v_lshlrev_b64 v[2:3], v4, v[2:3]
	v_min_u32_e32 v2, 1, v2
	v_or_b32_e32 v2, v3, v2
	v_cvt_f32_i32_e32 v2, v2
	v_sub_u32_e32 v3, 32, v4
	v_ldexp_f32 v2, v2, v3
	s_branch .LBB200_633
.LBB200_630:
	s_mov_b64 s[0:1], -1
                                        ; implicit-def: $vgpr2
	s_branch .LBB200_639
.LBB200_631:
	s_mov_b64 s[0:1], -1
                                        ; implicit-def: $vgpr2
	s_branch .LBB200_636
.LBB200_632:
	s_mov_b64 s[0:1], -1
                                        ; implicit-def: $vgpr2
.LBB200_633:
	s_andn2_b64 vcc, exec, s[0:1]
	s_cbranch_vccnz .LBB200_635
; %bb.634:
	global_load_dword v2, v[0:1], off
	s_waitcnt vmcnt(0)
	v_cvt_f32_i32_e32 v2, v2
.LBB200_635:
	s_mov_b64 s[0:1], 0
.LBB200_636:
	s_andn2_b64 vcc, exec, s[0:1]
	s_cbranch_vccnz .LBB200_638
; %bb.637:
	global_load_sshort v2, v[0:1], off
	s_waitcnt vmcnt(0)
	v_cvt_f32_i32_e32 v2, v2
.LBB200_638:
	s_mov_b64 s[0:1], 0
.LBB200_639:
	s_andn2_b64 vcc, exec, s[0:1]
	s_cbranch_vccnz .LBB200_645
; %bb.640:
	s_cmp_gt_i32 s34, 0
	s_cbranch_scc0 .LBB200_642
; %bb.641:
	global_load_sbyte v2, v[0:1], off
	s_mov_b64 s[0:1], 0
	s_waitcnt vmcnt(0)
	v_cvt_f32_i32_e32 v2, v2
	s_branch .LBB200_643
.LBB200_642:
	s_mov_b64 s[0:1], -1
                                        ; implicit-def: $vgpr2
.LBB200_643:
	s_andn2_b64 vcc, exec, s[0:1]
	s_cbranch_vccnz .LBB200_645
; %bb.644:
	global_load_ubyte v0, v[0:1], off
	s_waitcnt vmcnt(0)
	v_cvt_f32_ubyte0_e32 v2, v0
.LBB200_645:
	s_mov_b64 s[0:1], -1
.LBB200_646:
	s_andn2_b64 vcc, exec, s[0:1]
	s_cbranch_vccnz .LBB200_654
; %bb.647:
	s_waitcnt vmcnt(0)
	v_cvt_f64_f32_e32 v[0:1], v2
	v_rsq_f64_e32 v[2:3], v[0:1]
	s_mov_b32 s0, 0
	s_mov_b32 s1, 0x3fd80000
	v_mov_b32_e32 v4, 0x180
	v_mul_f64 v[0:1], v[2:3], -v[0:1]
	v_fma_f64 v[0:1], v[0:1], v[2:3], 1.0
	v_mul_f64 v[6:7], v[2:3], v[0:1]
	v_fma_f64 v[0:1], v[0:1], s[0:1], 0.5
	v_fma_f64 v[0:1], v[6:7], v[0:1], v[2:3]
	v_cmp_class_f64_e32 vcc, v[2:3], v4
	s_and_b32 s36, s33, 0xff
	s_cmp_lt_i32 s36, 11
	v_cndmask_b32_e32 v1, v3, v1, vcc
	v_cndmask_b32_e32 v0, v2, v0, vcc
	v_cvt_f32_f64_e32 v2, v[0:1]
	v_mul_lo_u32 v0, v5, s8
	v_ashrrev_i32_e32 v1, 31, v0
	v_lshl_add_u64 v[0:1], s[4:5], 0, v[0:1]
	s_cbranch_scc1 .LBB200_655
; %bb.648:
	s_and_b32 s37, 0xffff, s36
	s_cmp_gt_i32 s37, 25
	s_cbranch_scc0 .LBB200_656
; %bb.649:
	s_cmp_gt_i32 s37, 28
	s_cbranch_scc0 .LBB200_657
; %bb.650:
	;; [unrolled: 3-line block ×4, first 2 shown]
	s_mov_b64 s[30:31], 0
	s_mov_b64 s[0:1], -1
	s_cmp_eq_u32 s37, 46
	s_mov_b64 s[28:29], 0
	s_cbranch_scc0 .LBB200_660
; %bb.653:
	v_bfe_u32 v3, v2, 16, 1
	s_movk_i32 s0, 0x7fff
	v_add3_u32 v3, v2, v3, s0
	v_cmp_o_f32_e32 vcc, v2, v2
	v_mov_b32_e32 v4, 0x7fc0
	s_mov_b64 s[28:29], -1
	v_cndmask_b32_sdwa v3, v4, v3, vcc dst_sel:DWORD dst_unused:UNUSED_PAD src0_sel:DWORD src1_sel:WORD_1
	global_store_dword v[0:1], v3, off
	s_mov_b64 s[0:1], 0
	s_branch .LBB200_660
.LBB200_654:
	s_mov_b64 s[30:31], 0
                                        ; implicit-def: $vgpr5
	s_mov_b64 s[0:1], s[20:21]
	s_branch .LBB200_771
.LBB200_655:
	s_mov_b64 s[30:31], -1
	s_mov_b64 s[28:29], 0
	s_mov_b64 s[0:1], s[20:21]
	s_branch .LBB200_729
.LBB200_656:
	s_mov_b64 s[30:31], -1
	s_mov_b64 s[28:29], 0
	s_mov_b64 s[0:1], s[20:21]
	s_branch .LBB200_687
.LBB200_657:
	s_mov_b64 s[30:31], -1
	s_mov_b64 s[28:29], 0
	s_mov_b64 s[0:1], s[20:21]
	s_branch .LBB200_670
.LBB200_658:
	s_mov_b64 s[30:31], -1
	s_mov_b64 s[28:29], 0
	s_mov_b64 s[0:1], s[20:21]
	s_branch .LBB200_666
.LBB200_659:
	s_mov_b64 s[30:31], -1
	s_mov_b64 s[28:29], 0
	s_mov_b64 s[0:1], s[20:21]
.LBB200_660:
	s_and_b64 vcc, exec, s[30:31]
	s_cbranch_vccz .LBB200_665
; %bb.661:
	s_cmp_eq_u32 s37, 44
	s_mov_b64 s[0:1], -1
	s_cbranch_scc0 .LBB200_665
; %bb.662:
	v_bfe_u32 v3, v2, 23, 8
	s_movk_i32 s0, 0xff
	v_cmp_ne_u32_e32 vcc, s0, v3
	v_mov_b32_e32 v4, 0xff
	s_and_saveexec_b64 s[28:29], vcc
; %bb.663:
	s_mov_b32 s0, 0x3fffff
	v_and_b32_e32 v6, 0x400000, v2
	v_and_or_b32 v3, v2, s0, v3
	v_cmp_ne_u32_e32 vcc, 0, v6
	v_cmp_ne_u32_e64 s[0:1], 0, v3
	s_and_b64 s[0:1], vcc, s[0:1]
	v_lshrrev_b32_e32 v4, 23, v2
	v_cndmask_b32_e64 v3, 0, 1, s[0:1]
	v_add_u32_e32 v4, v4, v3
; %bb.664:
	s_or_b64 exec, exec, s[28:29]
	s_mov_b64 s[28:29], -1
	s_mov_b64 s[0:1], 0
	global_store_byte v[0:1], v4, off
.LBB200_665:
	s_mov_b64 s[30:31], 0
.LBB200_666:
	s_and_b64 vcc, exec, s[30:31]
	s_cbranch_vccz .LBB200_669
; %bb.667:
	s_cmp_eq_u32 s37, 29
	s_mov_b64 s[0:1], -1
	s_cbranch_scc0 .LBB200_669
; %bb.668:
	v_trunc_f32_e32 v3, v2
	v_mul_f32_e32 v4, 0x2f800000, v3
	v_floor_f32_e32 v4, v4
	v_fmamk_f32 v3, v4, 0xcf800000, v3
	v_cvt_u32_f32_e32 v7, v4
	v_cvt_u32_f32_e32 v6, v3
	s_mov_b64 s[28:29], -1
	s_mov_b64 s[0:1], 0
	s_mov_b64 s[30:31], 0
	global_store_dwordx2 v[0:1], v[6:7], off
	s_branch .LBB200_670
.LBB200_669:
	s_mov_b64 s[30:31], 0
.LBB200_670:
	s_and_b64 vcc, exec, s[30:31]
	s_cbranch_vccz .LBB200_686
; %bb.671:
	s_cmp_lt_i32 s37, 27
	s_mov_b64 s[28:29], -1
	s_cbranch_scc1 .LBB200_677
; %bb.672:
	v_cvt_u32_f32_e32 v3, v2
	s_cmp_gt_i32 s37, 27
	s_cbranch_scc0 .LBB200_674
; %bb.673:
	s_mov_b64 s[28:29], 0
	global_store_dword v[0:1], v3, off
.LBB200_674:
	s_andn2_b64 vcc, exec, s[28:29]
	s_cbranch_vccnz .LBB200_676
; %bb.675:
	global_store_short v[0:1], v3, off
.LBB200_676:
	s_mov_b64 s[28:29], 0
.LBB200_677:
	s_andn2_b64 vcc, exec, s[28:29]
	s_cbranch_vccnz .LBB200_685
; %bb.678:
	v_and_b32_e32 v3, 0x7fffffff, v2
	s_mov_b32 s28, 0x43800000
	v_cmp_gt_u32_e32 vcc, s28, v3
	v_mov_b32_e32 v4, 0x80
	s_and_saveexec_b64 s[28:29], vcc
	s_cbranch_execz .LBB200_684
; %bb.679:
	s_mov_b32 s30, 0x3bffffff
	v_cmp_lt_u32_e32 vcc, s30, v3
	s_mov_b64 s[30:31], 0
                                        ; implicit-def: $vgpr3
	s_and_saveexec_b64 s[34:35], vcc
	s_xor_b64 s[34:35], exec, s[34:35]
	s_cbranch_execz .LBB200_785
; %bb.680:
	v_bfe_u32 v3, v2, 20, 1
	s_mov_b32 s39, 0x487ffff
	v_add3_u32 v3, v2, v3, s39
	s_mov_b64 s[30:31], exec
	v_lshrrev_b32_e32 v3, 20, v3
	s_andn2_saveexec_b64 s[34:35], s[34:35]
	s_cbranch_execnz .LBB200_786
.LBB200_681:
	s_or_b64 exec, exec, s[34:35]
	v_mov_b32_e32 v4, 0
	s_and_saveexec_b64 s[34:35], s[30:31]
.LBB200_682:
	v_lshrrev_b32_e32 v4, 24, v2
	s_movk_i32 s30, 0x80
	v_and_or_b32 v4, v4, s30, v3
.LBB200_683:
	s_or_b64 exec, exec, s[34:35]
.LBB200_684:
	s_or_b64 exec, exec, s[28:29]
	global_store_byte v[0:1], v4, off
.LBB200_685:
	s_mov_b64 s[28:29], -1
.LBB200_686:
	s_mov_b64 s[30:31], 0
.LBB200_687:
	s_and_b64 vcc, exec, s[30:31]
	s_cbranch_vccz .LBB200_728
; %bb.688:
	s_cmp_gt_i32 s37, 22
	s_mov_b64 s[30:31], -1
	s_cbranch_scc0 .LBB200_720
; %bb.689:
	s_cmp_lt_i32 s37, 24
	s_mov_b64 s[28:29], -1
	s_cbranch_scc1 .LBB200_709
; %bb.690:
	s_cmp_gt_i32 s37, 24
	s_cbranch_scc0 .LBB200_698
; %bb.691:
	v_and_b32_e32 v3, 0x7fffffff, v2
	s_mov_b32 s28, 0x47800000
	v_cmp_gt_u32_e32 vcc, s28, v3
	v_mov_b32_e32 v4, 0x80
	s_and_saveexec_b64 s[28:29], vcc
	s_cbranch_execz .LBB200_697
; %bb.692:
	s_mov_b32 s30, 0x37ffffff
	v_cmp_lt_u32_e32 vcc, s30, v3
	s_mov_b64 s[30:31], 0
                                        ; implicit-def: $vgpr3
	s_and_saveexec_b64 s[34:35], vcc
	s_xor_b64 s[34:35], exec, s[34:35]
	s_cbranch_execz .LBB200_788
; %bb.693:
	v_bfe_u32 v3, v2, 21, 1
	s_mov_b32 s39, 0x88fffff
	v_add3_u32 v3, v2, v3, s39
	s_mov_b64 s[30:31], exec
	v_lshrrev_b32_e32 v3, 21, v3
	s_andn2_saveexec_b64 s[34:35], s[34:35]
	s_cbranch_execnz .LBB200_789
.LBB200_694:
	s_or_b64 exec, exec, s[34:35]
	v_mov_b32_e32 v4, 0
	s_and_saveexec_b64 s[34:35], s[30:31]
.LBB200_695:
	v_lshrrev_b32_e32 v4, 24, v2
	s_movk_i32 s30, 0x80
	v_and_or_b32 v4, v4, s30, v3
.LBB200_696:
	s_or_b64 exec, exec, s[34:35]
.LBB200_697:
	s_or_b64 exec, exec, s[28:29]
	s_mov_b64 s[28:29], 0
	global_store_byte v[0:1], v4, off
.LBB200_698:
	s_and_b64 vcc, exec, s[28:29]
	s_cbranch_vccz .LBB200_708
; %bb.699:
	v_and_b32_e32 v4, 0x7fffffff, v2
	s_mov_b32 s28, 0x43f00000
	v_cmp_gt_u32_e32 vcc, s28, v4
                                        ; implicit-def: $vgpr3
	s_and_saveexec_b64 s[28:29], vcc
	s_xor_b64 s[28:29], exec, s[28:29]
	s_cbranch_execz .LBB200_705
; %bb.700:
	s_mov_b32 s30, 0x3c7fffff
	v_cmp_lt_u32_e32 vcc, s30, v4
                                        ; implicit-def: $vgpr3
	s_and_saveexec_b64 s[30:31], vcc
	s_xor_b64 s[30:31], exec, s[30:31]
; %bb.701:
	v_bfe_u32 v3, v2, 20, 1
	s_mov_b32 s34, 0x407ffff
	v_add3_u32 v3, v2, v3, s34
	v_lshrrev_b32_e32 v4, 20, v3
	v_and_b32_e32 v3, 0xff00000, v3
	s_mov_b32 s34, 0x7f00000
	v_mov_b32_e32 v6, 0x7e
	v_cmp_ne_u32_e32 vcc, s34, v3
	s_nop 1
	v_cndmask_b32_e32 v3, v6, v4, vcc
; %bb.702:
	s_andn2_saveexec_b64 s[30:31], s[30:31]
; %bb.703:
	s_mov_b32 s34, 0x46800000
	v_add_f32_e64 v3, |v2|, s34
; %bb.704:
	s_or_b64 exec, exec, s[30:31]
                                        ; implicit-def: $vgpr4
.LBB200_705:
	s_andn2_saveexec_b64 s[28:29], s[28:29]
; %bb.706:
	s_mov_b32 s30, 0x7f800000
	v_mov_b32_e32 v3, 0x7e
	v_mov_b32_e32 v6, 0x7f
	v_cmp_lt_u32_e32 vcc, s30, v4
	s_nop 1
	v_cndmask_b32_e32 v3, v3, v6, vcc
; %bb.707:
	s_or_b64 exec, exec, s[28:29]
	v_lshrrev_b32_e32 v4, 24, v2
	s_movk_i32 s28, 0x80
	v_and_or_b32 v3, v4, s28, v3
	global_store_byte v[0:1], v3, off
.LBB200_708:
	s_mov_b64 s[28:29], 0
.LBB200_709:
	s_andn2_b64 vcc, exec, s[28:29]
	s_cbranch_vccnz .LBB200_719
; %bb.710:
	v_and_b32_e32 v4, 0x7fffffff, v2
	s_mov_b32 s28, 0x47800000
	v_cmp_gt_u32_e32 vcc, s28, v4
                                        ; implicit-def: $vgpr3
	s_and_saveexec_b64 s[28:29], vcc
	s_xor_b64 s[28:29], exec, s[28:29]
	s_cbranch_execz .LBB200_716
; %bb.711:
	s_mov_b32 s30, 0x387fffff
	v_cmp_lt_u32_e32 vcc, s30, v4
                                        ; implicit-def: $vgpr3
	s_and_saveexec_b64 s[30:31], vcc
	s_xor_b64 s[30:31], exec, s[30:31]
; %bb.712:
	v_bfe_u32 v3, v2, 21, 1
	s_mov_b32 s34, 0x80fffff
	v_add3_u32 v3, v2, v3, s34
	v_lshrrev_b32_e32 v3, 21, v3
; %bb.713:
	s_andn2_saveexec_b64 s[30:31], s[30:31]
; %bb.714:
	s_mov_b32 s34, 0x43000000
	v_add_f32_e64 v3, |v2|, s34
; %bb.715:
	s_or_b64 exec, exec, s[30:31]
                                        ; implicit-def: $vgpr4
.LBB200_716:
	s_andn2_saveexec_b64 s[28:29], s[28:29]
; %bb.717:
	s_mov_b32 s30, 0x7f800000
	v_mov_b32_e32 v3, 0x7c
	v_mov_b32_e32 v6, 0x7f
	v_cmp_lt_u32_e32 vcc, s30, v4
	s_nop 1
	v_cndmask_b32_e32 v3, v3, v6, vcc
; %bb.718:
	s_or_b64 exec, exec, s[28:29]
	v_lshrrev_b32_e32 v4, 24, v2
	s_movk_i32 s28, 0x80
	v_and_or_b32 v3, v4, s28, v3
	global_store_byte v[0:1], v3, off
.LBB200_719:
	s_mov_b64 s[30:31], 0
	s_mov_b64 s[28:29], -1
.LBB200_720:
	s_andn2_b64 vcc, exec, s[30:31]
	s_cbranch_vccnz .LBB200_728
; %bb.721:
	s_cmp_gt_i32 s37, 14
	s_mov_b64 s[30:31], -1
	s_cbranch_scc0 .LBB200_725
; %bb.722:
	s_cmp_eq_u32 s37, 15
	s_mov_b64 s[0:1], -1
	s_cbranch_scc0 .LBB200_724
; %bb.723:
	v_bfe_u32 v3, v2, 16, 1
	s_movk_i32 s0, 0x7fff
	v_add3_u32 v3, v2, v3, s0
	v_cmp_o_f32_e32 vcc, v2, v2
	v_mov_b32_e32 v4, 0x7fc0
	s_mov_b64 s[28:29], -1
	v_cndmask_b32_sdwa v3, v4, v3, vcc dst_sel:DWORD dst_unused:UNUSED_PAD src0_sel:DWORD src1_sel:WORD_1
	global_store_short v[0:1], v3, off
	s_mov_b64 s[0:1], 0
.LBB200_724:
	s_mov_b64 s[30:31], 0
.LBB200_725:
	s_and_b64 vcc, exec, s[30:31]
	s_cbranch_vccz .LBB200_728
; %bb.726:
	s_cmp_eq_u32 s37, 11
	s_mov_b64 s[0:1], -1
	s_cbranch_scc0 .LBB200_728
; %bb.727:
	v_cmp_neq_f32_e32 vcc, 0, v2
	s_mov_b64 s[28:29], -1
	s_mov_b64 s[0:1], 0
	v_cndmask_b32_e64 v3, 0, 1, vcc
	global_store_byte v[0:1], v3, off
.LBB200_728:
	s_mov_b64 s[30:31], 0
.LBB200_729:
	s_and_b64 vcc, exec, s[30:31]
	s_cbranch_vccz .LBB200_768
; %bb.730:
	s_and_b32 s30, 0xffff, s36
	s_cmp_lt_i32 s30, 5
	s_mov_b64 s[28:29], -1
	s_cbranch_scc1 .LBB200_751
; %bb.731:
	s_cmp_lt_i32 s30, 8
	s_cbranch_scc1 .LBB200_741
; %bb.732:
	s_cmp_lt_i32 s30, 9
	s_cbranch_scc1 .LBB200_738
; %bb.733:
	s_cmp_gt_i32 s30, 9
	s_cbranch_scc0 .LBB200_735
; %bb.734:
	v_mov_b32_e32 v8, 0
	v_cvt_f64_f32_e32 v[6:7], v2
	v_mov_b32_e32 v9, v8
	s_mov_b64 s[28:29], 0
	global_store_dwordx4 v[0:1], v[6:9], off
.LBB200_735:
	s_andn2_b64 vcc, exec, s[28:29]
	s_cbranch_vccnz .LBB200_737
; %bb.736:
	v_mov_b32_e32 v3, 0
	global_store_dwordx2 v[0:1], v[2:3], off
.LBB200_737:
	s_mov_b64 s[28:29], 0
.LBB200_738:
	s_andn2_b64 vcc, exec, s[28:29]
	s_cbranch_vccnz .LBB200_740
; %bb.739:
	v_cvt_f16_f32_e32 v3, v2
	global_store_dword v[0:1], v3, off
.LBB200_740:
	s_mov_b64 s[28:29], 0
.LBB200_741:
	s_andn2_b64 vcc, exec, s[28:29]
	s_cbranch_vccnz .LBB200_750
; %bb.742:
	s_cmp_lt_i32 s30, 6
	s_mov_b64 s[28:29], -1
	s_cbranch_scc1 .LBB200_748
; %bb.743:
	s_cmp_gt_i32 s30, 6
	s_cbranch_scc0 .LBB200_745
; %bb.744:
	v_cvt_f64_f32_e32 v[6:7], v2
	s_mov_b64 s[28:29], 0
	global_store_dwordx2 v[0:1], v[6:7], off
.LBB200_745:
	s_andn2_b64 vcc, exec, s[28:29]
	s_cbranch_vccnz .LBB200_747
; %bb.746:
	global_store_dword v[0:1], v2, off
.LBB200_747:
	s_mov_b64 s[28:29], 0
.LBB200_748:
	s_andn2_b64 vcc, exec, s[28:29]
	s_cbranch_vccnz .LBB200_750
; %bb.749:
	v_cvt_f16_f32_e32 v3, v2
	global_store_short v[0:1], v3, off
.LBB200_750:
	s_mov_b64 s[28:29], 0
.LBB200_751:
	s_andn2_b64 vcc, exec, s[28:29]
	s_cbranch_vccnz .LBB200_767
; %bb.752:
	s_cmp_lt_i32 s30, 2
	s_mov_b64 s[28:29], -1
	s_cbranch_scc1 .LBB200_762
; %bb.753:
	s_cmp_lt_i32 s30, 3
	s_cbranch_scc1 .LBB200_759
; %bb.754:
	s_cmp_gt_i32 s30, 3
	s_cbranch_scc0 .LBB200_756
; %bb.755:
	v_trunc_f32_e32 v3, v2
	s_mov_b32 s28, 0x2f800000
	v_mul_f32_e64 v4, |v3|, s28
	v_floor_f32_e32 v4, v4
	s_mov_b32 s28, 0xcf800000
	v_cvt_u32_f32_e32 v6, v4
	v_fma_f32 v4, v4, s28, |v3|
	v_cvt_u32_f32_e32 v4, v4
	v_ashrrev_i32_e32 v3, 31, v3
	v_xor_b32_e32 v7, v6, v3
	s_mov_b64 s[28:29], 0
	v_xor_b32_e32 v4, v4, v3
	v_sub_co_u32_e32 v6, vcc, v4, v3
	s_nop 1
	v_subb_co_u32_e32 v7, vcc, v7, v3, vcc
	global_store_dwordx2 v[0:1], v[6:7], off
.LBB200_756:
	s_andn2_b64 vcc, exec, s[28:29]
	s_cbranch_vccnz .LBB200_758
; %bb.757:
	v_cvt_i32_f32_e32 v3, v2
	global_store_dword v[0:1], v3, off
.LBB200_758:
	s_mov_b64 s[28:29], 0
.LBB200_759:
	s_andn2_b64 vcc, exec, s[28:29]
	s_cbranch_vccnz .LBB200_761
; %bb.760:
	v_cvt_i32_f32_e32 v3, v2
	global_store_short v[0:1], v3, off
.LBB200_761:
	s_mov_b64 s[28:29], 0
.LBB200_762:
	s_andn2_b64 vcc, exec, s[28:29]
	s_cbranch_vccnz .LBB200_767
; %bb.763:
	s_cmp_gt_i32 s30, 0
	s_mov_b64 s[28:29], -1
	s_cbranch_scc0 .LBB200_765
; %bb.764:
	v_cvt_i32_f32_e32 v3, v2
	s_mov_b64 s[28:29], 0
	global_store_byte v[0:1], v3, off
.LBB200_765:
	s_andn2_b64 vcc, exec, s[28:29]
	s_cbranch_vccnz .LBB200_767
; %bb.766:
	v_trunc_f32_e32 v2, v2
	s_mov_b32 s28, 0x2f800000
	v_mul_f32_e64 v3, |v2|, s28
	v_floor_f32_e32 v3, v3
	s_mov_b32 s28, 0xcf800000
	v_fma_f32 v3, v3, s28, |v2|
	v_cvt_u32_f32_e32 v3, v3
	v_ashrrev_i32_e32 v2, 31, v2
	v_xor_b32_e32 v3, v3, v2
	v_sub_u32_e32 v2, v3, v2
	global_store_byte v[0:1], v2, off
.LBB200_767:
	s_mov_b64 s[28:29], -1
.LBB200_768:
	s_andn2_b64 vcc, exec, s[28:29]
	s_cbranch_vccnz .LBB200_770
; %bb.769:
	v_add_u32_e32 v5, 0x80, v5
	s_mov_b64 s[30:31], -1
	s_branch .LBB200_771
.LBB200_770:
	s_mov_b64 s[30:31], 0
                                        ; implicit-def: $vgpr5
.LBB200_771:
	s_andn2_b64 s[28:29], s[20:21], exec
	s_and_b64 s[0:1], s[0:1], exec
	s_or_b64 s[28:29], s[28:29], s[0:1]
	s_andn2_b64 s[0:1], s[18:19], exec
	s_and_b64 s[26:27], s[26:27], exec
	s_or_b64 s[0:1], s[0:1], s[26:27]
	s_orn2_b64 s[34:35], s[30:31], exec
.LBB200_772:
	s_or_b64 exec, exec, s[24:25]
	s_mov_b64 s[30:31], 0
	s_mov_b64 s[26:27], 0
	;; [unrolled: 1-line block ×3, first 2 shown]
                                        ; implicit-def: $vgpr0_vgpr1
                                        ; implicit-def: $vgpr3
	s_and_saveexec_b64 s[24:25], s[34:35]
	s_cbranch_execz .LBB200_857
; %bb.773:
	v_cmp_gt_i32_e32 vcc, s38, v5
	s_mov_b64 s[34:35], 0
	s_mov_b64 s[38:39], s[0:1]
	;; [unrolled: 1-line block ×3, first 2 shown]
                                        ; implicit-def: $vgpr0_vgpr1
                                        ; implicit-def: $vgpr3
	s_and_saveexec_b64 s[26:27], vcc
	s_cbranch_execz .LBB200_856
; %bb.774:
	v_mul_lo_u32 v0, v5, s9
	v_ashrrev_i32_e32 v1, 31, v0
	s_and_b32 s43, 0xffff, s42
	s_cmp_lt_i32 s43, 11
	v_lshl_add_u64 v[0:1], s[6:7], 0, v[0:1]
	s_cbranch_scc1 .LBB200_781
; %bb.775:
	s_cmp_gt_i32 s43, 25
	s_cbranch_scc0 .LBB200_782
; %bb.776:
	s_cmp_gt_i32 s43, 28
	s_cbranch_scc0 .LBB200_783
	;; [unrolled: 3-line block ×4, first 2 shown]
; %bb.779:
	s_cmp_eq_u32 s43, 46
	s_mov_b64 s[38:39], 0
	s_cbranch_scc0 .LBB200_790
; %bb.780:
	global_load_dword v2, v[0:1], off
	s_mov_b64 s[36:37], -1
	s_waitcnt vmcnt(0)
	v_lshlrev_b32_e32 v3, 16, v2
	s_branch .LBB200_792
.LBB200_781:
	s_mov_b64 s[38:39], -1
                                        ; implicit-def: $vgpr3
	s_mov_b64 s[30:31], s[0:1]
	s_branch .LBB200_855
.LBB200_782:
	s_mov_b64 s[38:39], -1
	s_mov_b64 s[30:31], s[0:1]
                                        ; implicit-def: $vgpr3
	s_branch .LBB200_821
.LBB200_783:
	s_mov_b64 s[38:39], -1
	s_mov_b64 s[30:31], s[0:1]
                                        ; implicit-def: $vgpr3
	s_branch .LBB200_802
.LBB200_784:
	s_mov_b64 s[38:39], -1
	s_mov_b64 s[30:31], s[0:1]
                                        ; implicit-def: $vgpr3
	s_branch .LBB200_797
.LBB200_785:
	s_andn2_saveexec_b64 s[34:35], s[34:35]
	s_cbranch_execz .LBB200_681
.LBB200_786:
	s_mov_b32 s39, 0x46000000
	v_add_f32_e64 v3, |v2|, s39
	v_and_b32_e32 v3, 0xff, v3
	v_cmp_ne_u32_e32 vcc, 0, v3
	s_andn2_b64 s[30:31], s[30:31], exec
	s_and_b64 s[40:41], vcc, exec
	s_or_b64 s[30:31], s[30:31], s[40:41]
	s_or_b64 exec, exec, s[34:35]
	v_mov_b32_e32 v4, 0
	s_and_saveexec_b64 s[34:35], s[30:31]
	s_cbranch_execnz .LBB200_682
	s_branch .LBB200_683
.LBB200_787:
	s_mov_b64 s[38:39], -1
	s_mov_b64 s[30:31], s[0:1]
	s_branch .LBB200_791
.LBB200_788:
	s_andn2_saveexec_b64 s[34:35], s[34:35]
	s_cbranch_execz .LBB200_694
.LBB200_789:
	s_mov_b32 s39, 0x42800000
	v_add_f32_e64 v3, |v2|, s39
	v_and_b32_e32 v3, 0xff, v3
	v_cmp_ne_u32_e32 vcc, 0, v3
	s_andn2_b64 s[30:31], s[30:31], exec
	s_and_b64 s[40:41], vcc, exec
	s_or_b64 s[30:31], s[30:31], s[40:41]
	s_or_b64 exec, exec, s[34:35]
	v_mov_b32_e32 v4, 0
	s_and_saveexec_b64 s[34:35], s[30:31]
	s_cbranch_execnz .LBB200_695
	s_branch .LBB200_696
.LBB200_790:
	s_mov_b64 s[30:31], -1
.LBB200_791:
                                        ; implicit-def: $vgpr3
.LBB200_792:
	s_and_b64 vcc, exec, s[38:39]
	s_cbranch_vccz .LBB200_796
; %bb.793:
	s_cmp_eq_u32 s43, 44
	s_cbranch_scc0 .LBB200_795
; %bb.794:
	global_load_ubyte v2, v[0:1], off
	s_movk_i32 s36, 0xff
	v_mov_b32_e32 v3, 0x7f800001
	v_mov_b32_e32 v4, 0x400000
	s_mov_b64 s[30:31], 0
	s_waitcnt vmcnt(0)
	v_lshlrev_b32_e32 v6, 23, v2
	v_cmp_ne_u32_e32 vcc, s36, v2
	s_mov_b64 s[36:37], -1
	s_nop 0
	v_cndmask_b32_e32 v3, v3, v6, vcc
	v_cmp_ne_u32_e32 vcc, 0, v2
	s_nop 1
	v_cndmask_b32_e32 v3, v4, v3, vcc
	s_branch .LBB200_796
.LBB200_795:
	s_mov_b64 s[30:31], -1
                                        ; implicit-def: $vgpr3
.LBB200_796:
	s_mov_b64 s[38:39], 0
.LBB200_797:
	s_and_b64 vcc, exec, s[38:39]
	s_cbranch_vccz .LBB200_801
; %bb.798:
	s_cmp_eq_u32 s43, 29
	s_cbranch_scc0 .LBB200_800
; %bb.799:
	global_load_dwordx2 v[2:3], v[0:1], off
	s_mov_b64 s[30:31], 0
	s_mov_b64 s[36:37], -1
	s_mov_b64 s[38:39], 0
	s_waitcnt vmcnt(0)
	v_ffbh_u32_e32 v4, v3
	v_min_u32_e32 v4, 32, v4
	v_lshlrev_b64 v[2:3], v4, v[2:3]
	v_min_u32_e32 v2, 1, v2
	v_or_b32_e32 v2, v3, v2
	v_cvt_f32_u32_e32 v2, v2
	v_sub_u32_e32 v3, 32, v4
	v_ldexp_f32 v3, v2, v3
	s_branch .LBB200_802
.LBB200_800:
	s_mov_b64 s[30:31], -1
                                        ; implicit-def: $vgpr3
.LBB200_801:
	s_mov_b64 s[38:39], 0
.LBB200_802:
	s_and_b64 vcc, exec, s[38:39]
	s_cbranch_vccz .LBB200_820
; %bb.803:
	s_cmp_lt_i32 s43, 27
	s_cbranch_scc1 .LBB200_806
; %bb.804:
	s_cmp_gt_i32 s43, 27
	s_cbranch_scc0 .LBB200_807
; %bb.805:
	global_load_dword v2, v[0:1], off
	s_mov_b64 s[36:37], 0
	s_waitcnt vmcnt(0)
	v_cvt_f32_u32_e32 v3, v2
	s_branch .LBB200_808
.LBB200_806:
	s_mov_b64 s[36:37], -1
                                        ; implicit-def: $vgpr3
	s_branch .LBB200_811
.LBB200_807:
	s_mov_b64 s[36:37], -1
                                        ; implicit-def: $vgpr3
.LBB200_808:
	s_andn2_b64 vcc, exec, s[36:37]
	s_cbranch_vccnz .LBB200_810
; %bb.809:
	global_load_ushort v2, v[0:1], off
	s_waitcnt vmcnt(0)
	v_cvt_f32_u32_e32 v3, v2
.LBB200_810:
	s_mov_b64 s[36:37], 0
.LBB200_811:
	s_andn2_b64 vcc, exec, s[36:37]
	s_cbranch_vccnz .LBB200_819
; %bb.812:
	global_load_ubyte v2, v[0:1], off
	s_movk_i32 s36, 0x7f
	s_waitcnt vmcnt(0)
	v_cmp_lt_i16_e32 vcc, s36, v2
	s_mov_b64 s[36:37], 0
	s_and_saveexec_b64 s[38:39], vcc
	s_xor_b64 s[38:39], exec, s[38:39]
	s_cbranch_execz .LBB200_833
; %bb.813:
	s_movk_i32 s36, 0x80
	v_cmp_eq_u16_e32 vcc, s36, v2
	s_mov_b64 s[36:37], -1
	s_and_saveexec_b64 s[40:41], vcc
; %bb.814:
	s_xor_b64 s[36:37], exec, -1
; %bb.815:
	s_or_b64 exec, exec, s[40:41]
	s_and_b64 s[36:37], s[36:37], exec
	s_or_saveexec_b64 s[38:39], s[38:39]
	v_mov_b32_e32 v3, 0x7f800001
	s_xor_b64 exec, exec, s[38:39]
	s_cbranch_execnz .LBB200_834
.LBB200_816:
	s_or_b64 exec, exec, s[38:39]
	s_and_saveexec_b64 s[38:39], s[36:37]
	s_cbranch_execz .LBB200_818
.LBB200_817:
	v_lshlrev_b32_e32 v3, 24, v2
	v_and_b32_e32 v2, 0xffff, v2
	v_and_b32_e32 v4, 7, v2
	v_ffbh_u32_e32 v7, v4
	v_min_u32_e32 v7, 32, v7
	v_subrev_u32_e32 v8, 28, v7
	v_bfe_u32 v6, v2, 3, 4
	v_lshlrev_b32_e32 v2, v8, v2
	v_sub_u32_e32 v7, 29, v7
	v_and_b32_e32 v2, 7, v2
	v_cmp_eq_u32_e32 vcc, 0, v6
	v_and_b32_e32 v3, 0x80000000, v3
	s_nop 0
	v_cndmask_b32_e32 v6, v6, v7, vcc
	v_cndmask_b32_e32 v2, v4, v2, vcc
	v_mov_b32_e32 v4, 0x3b800000
	v_lshlrev_b32_e32 v2, 20, v2
	v_lshl_add_u32 v4, v6, 23, v4
	v_or3_b32 v3, v3, v4, v2
.LBB200_818:
	s_or_b64 exec, exec, s[38:39]
.LBB200_819:
	s_mov_b64 s[36:37], -1
.LBB200_820:
	s_mov_b64 s[38:39], 0
.LBB200_821:
	s_and_b64 vcc, exec, s[38:39]
	s_cbranch_vccz .LBB200_854
; %bb.822:
	s_cmp_gt_i32 s43, 22
	s_cbranch_scc0 .LBB200_832
; %bb.823:
	s_cmp_lt_i32 s43, 24
	s_cbranch_scc1 .LBB200_835
; %bb.824:
	s_cmp_gt_i32 s43, 24
	s_cbranch_scc0 .LBB200_836
; %bb.825:
	global_load_ubyte v2, v[0:1], off
	s_movk_i32 s34, 0x7f
	s_waitcnt vmcnt(0)
	v_cmp_lt_i16_e32 vcc, s34, v2
	s_mov_b64 s[34:35], 0
	s_and_saveexec_b64 s[36:37], vcc
	s_xor_b64 s[36:37], exec, s[36:37]
	s_cbranch_execz .LBB200_848
; %bb.826:
	s_movk_i32 s34, 0x80
	v_cmp_eq_u16_e32 vcc, s34, v2
	s_mov_b64 s[34:35], -1
	s_and_saveexec_b64 s[38:39], vcc
; %bb.827:
	s_xor_b64 s[34:35], exec, -1
; %bb.828:
	s_or_b64 exec, exec, s[38:39]
	s_and_b64 s[34:35], s[34:35], exec
	s_or_saveexec_b64 s[36:37], s[36:37]
	v_mov_b32_e32 v3, 0x7f800001
	s_xor_b64 exec, exec, s[36:37]
	s_cbranch_execnz .LBB200_849
.LBB200_829:
	s_or_b64 exec, exec, s[36:37]
	s_and_saveexec_b64 s[36:37], s[34:35]
	s_cbranch_execz .LBB200_831
.LBB200_830:
	v_lshlrev_b32_e32 v3, 24, v2
	v_and_b32_e32 v2, 0xffff, v2
	v_and_b32_e32 v4, 3, v2
	v_ffbh_u32_e32 v7, v4
	v_min_u32_e32 v7, 32, v7
	v_subrev_u32_e32 v8, 29, v7
	v_bfe_u32 v6, v2, 2, 5
	v_lshlrev_b32_e32 v2, v8, v2
	v_sub_u32_e32 v7, 30, v7
	v_and_b32_e32 v2, 3, v2
	v_cmp_eq_u32_e32 vcc, 0, v6
	v_and_b32_e32 v3, 0x80000000, v3
	s_nop 0
	v_cndmask_b32_e32 v6, v6, v7, vcc
	v_cndmask_b32_e32 v2, v4, v2, vcc
	v_mov_b32_e32 v4, 0x37800000
	v_lshlrev_b32_e32 v2, 21, v2
	v_lshl_add_u32 v4, v6, 23, v4
	v_or3_b32 v3, v3, v4, v2
.LBB200_831:
	s_or_b64 exec, exec, s[36:37]
	s_mov_b64 s[34:35], 0
	s_branch .LBB200_837
.LBB200_832:
	s_mov_b64 s[34:35], -1
                                        ; implicit-def: $vgpr3
	s_branch .LBB200_843
.LBB200_833:
	s_or_saveexec_b64 s[38:39], s[38:39]
	v_mov_b32_e32 v3, 0x7f800001
	s_xor_b64 exec, exec, s[38:39]
	s_cbranch_execz .LBB200_816
.LBB200_834:
	v_cmp_ne_u16_e32 vcc, 0, v2
	s_andn2_b64 s[36:37], s[36:37], exec
	s_and_b64 s[40:41], vcc, exec
	v_mov_b32_e32 v3, 0
	s_or_b64 s[36:37], s[36:37], s[40:41]
	s_or_b64 exec, exec, s[38:39]
	s_and_saveexec_b64 s[38:39], s[36:37]
	s_cbranch_execnz .LBB200_817
	s_branch .LBB200_818
.LBB200_835:
	s_mov_b64 s[34:35], -1
                                        ; implicit-def: $vgpr3
	s_branch .LBB200_840
.LBB200_836:
	s_mov_b64 s[34:35], -1
                                        ; implicit-def: $vgpr3
.LBB200_837:
	s_and_b64 vcc, exec, s[34:35]
	s_cbranch_vccz .LBB200_839
; %bb.838:
	global_load_ubyte v2, v[0:1], off
	s_mov_b32 s34, 0x7f800000
	s_waitcnt vmcnt(0)
	v_lshlrev_b32_e32 v2, 24, v2
	v_and_b32_e32 v3, 0x7f000000, v2
	v_ffbh_u32_e32 v4, v3
	v_min_u32_e32 v4, 32, v4
	v_sub_u32_e64 v4, v4, 4 clamp
	v_lshlrev_b32_e32 v7, v4, v3
	v_lshlrev_b32_e32 v4, 23, v4
	v_lshrrev_b32_e32 v7, 4, v7
	v_add_u32_e32 v6, 0x1000000, v3
	v_sub_u32_e32 v4, v7, v4
	v_ashrrev_i32_e32 v6, 8, v6
	v_add_u32_e32 v4, 0x3c000000, v4
	v_and_or_b32 v4, v6, s34, v4
	v_cmp_ne_u32_e32 vcc, 0, v3
	s_brev_b32 s34, 1
	s_nop 0
	v_cndmask_b32_e32 v3, 0, v4, vcc
	v_and_or_b32 v3, v2, s34, v3
.LBB200_839:
	s_mov_b64 s[34:35], 0
.LBB200_840:
	s_andn2_b64 vcc, exec, s[34:35]
	s_cbranch_vccnz .LBB200_842
; %bb.841:
	global_load_ubyte v2, v[0:1], off
	s_movk_i32 s34, 0x7f00
	s_brev_b32 s35, 16
	s_waitcnt vmcnt(0)
	v_lshlrev_b16_e32 v3, 8, v2
	v_lshlrev_b32_e32 v2, 25, v2
	v_lshrrev_b32_e32 v4, 4, v2
	v_and_or_b32 v6, v3, s34, 0.5
	v_or_b32_e32 v4, 0x70000000, v4
	v_add_f32_e32 v6, -0.5, v6
	v_mul_f32_e32 v4, 0x7800000, v4
	v_cmp_gt_u32_e32 vcc, s35, v2
	v_bfe_i32 v3, v3, 0, 16
	s_brev_b32 s34, 1
	v_cndmask_b32_e32 v2, v4, v6, vcc
	v_and_or_b32 v3, v3, s34, v2
.LBB200_842:
	s_mov_b64 s[34:35], 0
	s_mov_b64 s[36:37], -1
.LBB200_843:
	s_andn2_b64 vcc, exec, s[34:35]
	s_mov_b64 s[34:35], 0
	s_cbranch_vccnz .LBB200_854
; %bb.844:
	s_cmp_gt_i32 s43, 14
	s_cbranch_scc0 .LBB200_847
; %bb.845:
	s_cmp_eq_u32 s43, 15
	s_cbranch_scc0 .LBB200_850
; %bb.846:
	global_load_ushort v2, v[0:1], off
	s_mov_b64 s[30:31], 0
	s_mov_b64 s[36:37], -1
	s_waitcnt vmcnt(0)
	v_lshlrev_b32_e32 v3, 16, v2
	s_branch .LBB200_851
.LBB200_847:
	s_mov_b64 s[38:39], -1
                                        ; implicit-def: $vgpr3
	s_branch .LBB200_852
.LBB200_848:
	s_or_saveexec_b64 s[36:37], s[36:37]
	v_mov_b32_e32 v3, 0x7f800001
	s_xor_b64 exec, exec, s[36:37]
	s_cbranch_execz .LBB200_829
.LBB200_849:
	v_cmp_ne_u16_e32 vcc, 0, v2
	s_andn2_b64 s[34:35], s[34:35], exec
	s_and_b64 s[38:39], vcc, exec
	v_mov_b32_e32 v3, 0
	s_or_b64 s[34:35], s[34:35], s[38:39]
	s_or_b64 exec, exec, s[36:37]
	s_and_saveexec_b64 s[36:37], s[34:35]
	s_cbranch_execnz .LBB200_830
	s_branch .LBB200_831
.LBB200_850:
	s_mov_b64 s[30:31], -1
                                        ; implicit-def: $vgpr3
.LBB200_851:
	s_mov_b64 s[38:39], 0
.LBB200_852:
	s_and_b64 vcc, exec, s[38:39]
	s_cbranch_vccz .LBB200_854
; %bb.853:
	s_cmp_lg_u32 s43, 11
	s_cselect_b64 s[38:39], -1, 0
	s_andn2_b64 s[30:31], s[30:31], exec
	s_and_b64 s[38:39], s[38:39], exec
	s_mov_b64 s[34:35], -1
	s_or_b64 s[30:31], s[30:31], s[38:39]
.LBB200_854:
	s_mov_b64 s[38:39], 0
.LBB200_855:
	s_and_b64 s[40:41], s[38:39], exec
	s_andn2_b64 s[38:39], s[0:1], exec
	s_and_b64 s[30:31], s[30:31], exec
	s_and_b64 s[36:37], s[36:37], exec
	;; [unrolled: 1-line block ×3, first 2 shown]
	s_or_b64 s[38:39], s[38:39], s[30:31]
.LBB200_856:
	s_or_b64 exec, exec, s[26:27]
	s_and_b64 s[30:31], s[34:35], exec
	s_andn2_b64 s[0:1], s[0:1], exec
	s_and_b64 s[34:35], s[38:39], exec
	s_and_b64 s[36:37], s[36:37], exec
	;; [unrolled: 1-line block ×3, first 2 shown]
	s_or_b64 s[0:1], s[0:1], s[34:35]
.LBB200_857:
	s_or_b64 exec, exec, s[24:25]
	s_andn2_b64 s[20:21], s[20:21], exec
	s_and_b64 s[24:25], s[28:29], exec
	s_andn2_b64 s[18:19], s[18:19], exec
	s_and_b64 s[0:1], s[0:1], exec
	s_or_b64 s[20:21], s[20:21], s[24:25]
	s_and_b64 s[28:29], s[36:37], exec
	s_and_b64 s[26:27], s[26:27], exec
	s_and_b64 s[24:25], s[30:31], exec
	s_or_b64 s[18:19], s[18:19], s[0:1]
.LBB200_858:
	s_or_b64 exec, exec, s[22:23]
	s_andn2_b64 s[0:1], s[12:13], exec
	s_and_b64 s[12:13], s[20:21], exec
	s_andn2_b64 s[14:15], s[14:15], exec
	s_and_b64 s[18:19], s[18:19], exec
	s_or_b64 s[12:13], s[0:1], s[12:13]
	s_and_b64 s[0:1], s[28:29], exec
	s_and_b64 s[22:23], s[26:27], exec
	;; [unrolled: 1-line block ×3, first 2 shown]
	s_or_b64 s[14:15], s[14:15], s[18:19]
	s_or_b64 exec, exec, s[16:17]
	s_mov_b64 s[16:17], 0
	s_and_saveexec_b64 s[18:19], s[14:15]
	s_cbranch_execz .LBB200_262
.LBB200_859:
	s_mov_b64 s[16:17], exec
	s_andn2_b64 s[20:21], s[20:21], exec
	s_trap 2
	s_or_b64 exec, exec, s[18:19]
	s_and_saveexec_b64 s[14:15], s[20:21]
	s_xor_b64 s[14:15], exec, s[14:15]
	s_cbranch_execnz .LBB200_263
.LBB200_860:
	s_or_b64 exec, exec, s[14:15]
	s_and_saveexec_b64 s[14:15], s[22:23]
	s_cbranch_execz .LBB200_906
.LBB200_861:
	s_sext_i32_i16 s18, s42
	s_cmp_lt_i32 s18, 5
	s_cbranch_scc1 .LBB200_866
; %bb.862:
	s_cmp_lt_i32 s18, 8
	s_cbranch_scc1 .LBB200_867
; %bb.863:
	;; [unrolled: 3-line block ×3, first 2 shown]
	s_cmp_gt_i32 s18, 9
	s_cbranch_scc0 .LBB200_869
; %bb.865:
	global_load_dwordx2 v[2:3], v[0:1], off
	s_mov_b64 s[18:19], 0
	s_waitcnt vmcnt(0)
	v_cvt_f32_f64_e32 v3, v[2:3]
	s_branch .LBB200_870
.LBB200_866:
                                        ; implicit-def: $vgpr3
	s_branch .LBB200_887
.LBB200_867:
                                        ; implicit-def: $vgpr3
	s_branch .LBB200_876
.LBB200_868:
	s_mov_b64 s[18:19], -1
                                        ; implicit-def: $vgpr3
	s_branch .LBB200_873
.LBB200_869:
	s_mov_b64 s[18:19], -1
                                        ; implicit-def: $vgpr3
.LBB200_870:
	s_andn2_b64 vcc, exec, s[18:19]
	s_cbranch_vccnz .LBB200_872
; %bb.871:
	global_load_dword v3, v[0:1], off
.LBB200_872:
	s_mov_b64 s[18:19], 0
.LBB200_873:
	s_andn2_b64 vcc, exec, s[18:19]
	s_cbranch_vccnz .LBB200_875
; %bb.874:
	global_load_dword v2, v[0:1], off
	s_waitcnt vmcnt(0)
	v_cvt_f32_f16_e32 v3, v2
.LBB200_875:
	s_cbranch_execnz .LBB200_886
.LBB200_876:
	s_sext_i32_i16 s18, s42
	s_cmp_lt_i32 s18, 6
	s_cbranch_scc1 .LBB200_879
; %bb.877:
	s_cmp_gt_i32 s18, 6
	s_cbranch_scc0 .LBB200_880
; %bb.878:
	global_load_dwordx2 v[2:3], v[0:1], off
	s_mov_b64 s[18:19], 0
	s_waitcnt vmcnt(0)
	v_cvt_f32_f64_e32 v3, v[2:3]
	s_branch .LBB200_881
.LBB200_879:
	s_mov_b64 s[18:19], -1
                                        ; implicit-def: $vgpr3
	s_branch .LBB200_884
.LBB200_880:
	s_mov_b64 s[18:19], -1
                                        ; implicit-def: $vgpr3
.LBB200_881:
	s_andn2_b64 vcc, exec, s[18:19]
	s_cbranch_vccnz .LBB200_883
; %bb.882:
	global_load_dword v3, v[0:1], off
.LBB200_883:
	s_mov_b64 s[18:19], 0
.LBB200_884:
	s_andn2_b64 vcc, exec, s[18:19]
	s_cbranch_vccnz .LBB200_886
; %bb.885:
	global_load_ushort v2, v[0:1], off
	s_waitcnt vmcnt(0)
	v_cvt_f32_f16_e32 v3, v2
.LBB200_886:
	s_cbranch_execnz .LBB200_905
.LBB200_887:
	s_sext_i32_i16 s18, s42
	s_cmp_lt_i32 s18, 2
	s_cbranch_scc1 .LBB200_891
; %bb.888:
	s_cmp_lt_i32 s18, 3
	s_cbranch_scc1 .LBB200_892
; %bb.889:
	s_cmp_gt_i32 s18, 3
	s_cbranch_scc0 .LBB200_893
; %bb.890:
	global_load_dwordx2 v[2:3], v[0:1], off
	s_mov_b64 s[18:19], 0
	s_waitcnt vmcnt(0)
	v_xor_b32_e32 v6, v2, v3
	v_ffbh_i32_e32 v4, v3
	v_ashrrev_i32_e32 v6, 31, v6
	v_add_u32_e32 v4, -1, v4
	v_add_u32_e32 v6, 32, v6
	v_min_u32_e32 v4, v4, v6
	v_lshlrev_b64 v[2:3], v4, v[2:3]
	v_min_u32_e32 v2, 1, v2
	v_or_b32_e32 v2, v3, v2
	v_cvt_f32_i32_e32 v2, v2
	v_sub_u32_e32 v3, 32, v4
	v_ldexp_f32 v3, v2, v3
	s_branch .LBB200_894
.LBB200_891:
                                        ; implicit-def: $vgpr3
	s_branch .LBB200_900
.LBB200_892:
	s_mov_b64 s[18:19], -1
                                        ; implicit-def: $vgpr3
	s_branch .LBB200_897
.LBB200_893:
	s_mov_b64 s[18:19], -1
                                        ; implicit-def: $vgpr3
.LBB200_894:
	s_andn2_b64 vcc, exec, s[18:19]
	s_cbranch_vccnz .LBB200_896
; %bb.895:
	global_load_dword v2, v[0:1], off
	s_waitcnt vmcnt(0)
	v_cvt_f32_i32_e32 v3, v2
.LBB200_896:
	s_mov_b64 s[18:19], 0
.LBB200_897:
	s_andn2_b64 vcc, exec, s[18:19]
	s_cbranch_vccnz .LBB200_899
; %bb.898:
	global_load_sshort v2, v[0:1], off
	s_waitcnt vmcnt(0)
	v_cvt_f32_i32_e32 v3, v2
.LBB200_899:
	s_cbranch_execnz .LBB200_905
.LBB200_900:
	s_sext_i32_i16 s18, s42
	s_cmp_gt_i32 s18, 0
	s_cbranch_scc0 .LBB200_902
; %bb.901:
	global_load_sbyte v2, v[0:1], off
	s_mov_b64 s[18:19], 0
	s_waitcnt vmcnt(0)
	v_cvt_f32_i32_e32 v3, v2
	s_branch .LBB200_903
.LBB200_902:
	s_mov_b64 s[18:19], -1
                                        ; implicit-def: $vgpr3
.LBB200_903:
	s_andn2_b64 vcc, exec, s[18:19]
	s_cbranch_vccnz .LBB200_905
; %bb.904:
	global_load_ubyte v0, v[0:1], off
	s_waitcnt vmcnt(0)
	v_cvt_f32_ubyte0_e32 v3, v0
.LBB200_905:
	s_or_b64 s[0:1], s[0:1], exec
.LBB200_906:
	s_or_b64 exec, exec, s[14:15]
	s_mov_b64 s[20:21], 0
	s_mov_b64 s[18:19], 0
                                        ; implicit-def: $sgpr26
                                        ; implicit-def: $vgpr0_vgpr1
                                        ; implicit-def: $vgpr2
	s_and_saveexec_b64 s[14:15], s[0:1]
	s_cbranch_execz .LBB200_924
; %bb.907:
	s_waitcnt vmcnt(0)
	v_cvt_f64_f32_e32 v[0:1], v3
	v_rsq_f64_e32 v[2:3], v[0:1]
	s_mov_b32 s0, 0
	s_mov_b32 s1, 0x3fd80000
	v_mov_b32_e32 v4, 0x180
	v_mul_f64 v[0:1], v[2:3], -v[0:1]
	v_fma_f64 v[0:1], v[0:1], v[2:3], 1.0
	v_mul_f64 v[6:7], v[2:3], v[0:1]
	v_fma_f64 v[0:1], v[0:1], s[0:1], 0.5
	v_fma_f64 v[0:1], v[6:7], v[0:1], v[2:3]
	v_cmp_class_f64_e32 vcc, v[2:3], v4
	s_and_b32 s26, s33, 0xff
	s_cmp_lt_i32 s26, 11
	v_cndmask_b32_e32 v1, v3, v1, vcc
	v_cndmask_b32_e32 v0, v2, v0, vcc
	v_cvt_f32_f64_e32 v2, v[0:1]
	v_mul_lo_u32 v0, v5, s8
	v_ashrrev_i32_e32 v1, 31, v0
	v_lshl_add_u64 v[0:1], s[4:5], 0, v[0:1]
	s_cbranch_scc1 .LBB200_927
; %bb.908:
	s_and_b32 s27, 0xffff, s26
	s_mov_b64 s[20:21], -1
	s_cmp_gt_i32 s27, 25
	s_mov_b64 s[0:1], s[12:13]
	s_cbranch_scc0 .LBB200_945
; %bb.909:
	s_mov_b64 s[18:19], -1
	s_cmp_gt_i32 s27, 28
	s_mov_b64 s[0:1], s[12:13]
	s_cbranch_scc0 .LBB200_929
; %bb.910:
	s_cmp_gt_i32 s27, 43
	s_mov_b64 s[0:1], s[12:13]
	s_cbranch_scc0 .LBB200_921
; %bb.911:
	;; [unrolled: 4-line block ×3, first 2 shown]
	s_cmp_eq_u32 s27, 46
	s_mov_b64 s[0:1], -1
	s_cbranch_scc0 .LBB200_914
; %bb.913:
	v_bfe_u32 v3, v2, 16, 1
	s_movk_i32 s0, 0x7fff
	v_add3_u32 v3, v2, v3, s0
	v_cmp_o_f32_e32 vcc, v2, v2
	v_mov_b32_e32 v4, 0x7fc0
	s_mov_b64 s[0:1], 0
	v_cndmask_b32_sdwa v3, v4, v3, vcc dst_sel:DWORD dst_unused:UNUSED_PAD src0_sel:DWORD src1_sel:WORD_1
	global_store_dword v[0:1], v3, off
.LBB200_914:
	s_mov_b64 s[18:19], 0
.LBB200_915:
	s_and_b64 vcc, exec, s[18:19]
	s_cbranch_vccz .LBB200_920
; %bb.916:
	s_cmp_eq_u32 s27, 44
	s_mov_b64 s[0:1], -1
	s_cbranch_scc0 .LBB200_920
; %bb.917:
	v_bfe_u32 v3, v2, 23, 8
	s_movk_i32 s0, 0xff
	v_cmp_ne_u32_e32 vcc, s0, v3
	v_mov_b32_e32 v4, 0xff
	s_and_saveexec_b64 s[18:19], vcc
; %bb.918:
	s_mov_b32 s0, 0x3fffff
	v_and_b32_e32 v5, 0x400000, v2
	v_and_or_b32 v3, v2, s0, v3
	v_cmp_ne_u32_e32 vcc, 0, v5
	v_cmp_ne_u32_e64 s[0:1], 0, v3
	s_and_b64 s[0:1], vcc, s[0:1]
	v_lshrrev_b32_e32 v4, 23, v2
	v_cndmask_b32_e64 v3, 0, 1, s[0:1]
	v_add_u32_e32 v4, v4, v3
; %bb.919:
	s_or_b64 exec, exec, s[18:19]
	s_mov_b64 s[0:1], 0
	global_store_byte v[0:1], v4, off
.LBB200_920:
	s_mov_b64 s[18:19], 0
.LBB200_921:
	s_and_b64 vcc, exec, s[18:19]
	s_cbranch_vccz .LBB200_928
; %bb.922:
	s_cmp_eq_u32 s27, 29
	s_mov_b64 s[0:1], -1
	s_cbranch_scc0 .LBB200_928
; %bb.923:
	v_trunc_f32_e32 v3, v2
	v_mul_f32_e32 v4, 0x2f800000, v3
	v_floor_f32_e32 v4, v4
	v_fmamk_f32 v3, v4, 0xcf800000, v3
	v_cvt_u32_f32_e32 v5, v4
	v_cvt_u32_f32_e32 v4, v3
	s_mov_b64 s[0:1], 0
	s_mov_b64 s[18:19], 0
	global_store_dwordx2 v[0:1], v[4:5], off
	s_branch .LBB200_929
.LBB200_924:
	s_or_b64 exec, exec, s[14:15]
	s_and_saveexec_b64 s[0:1], s[12:13]
	s_cbranch_execnz .LBB200_987
.LBB200_925:
	s_or_b64 exec, exec, s[0:1]
	s_and_saveexec_b64 s[0:1], s[20:21]
	s_xor_b64 s[0:1], exec, s[0:1]
	s_cbranch_execz .LBB200_988
.LBB200_926:
	s_waitcnt vmcnt(0)
	v_cmp_neq_f32_e32 vcc, 0, v2
	s_nop 1
	v_cndmask_b32_e64 v3, 0, 1, vcc
	global_store_byte v[0:1], v3, off
	s_or_b64 exec, exec, s[0:1]
	s_and_saveexec_b64 s[0:1], s[18:19]
	s_xor_b64 s[0:1], exec, s[0:1]
	s_cbranch_execz .LBB200_1026
	s_branch .LBB200_989
.LBB200_927:
	s_mov_b64 s[18:19], -1
	s_mov_b64 s[0:1], s[12:13]
	s_branch .LBB200_986
.LBB200_928:
	s_mov_b64 s[18:19], 0
.LBB200_929:
	s_and_b64 vcc, exec, s[18:19]
	s_cbranch_vccz .LBB200_944
; %bb.930:
	s_cmp_lt_i32 s27, 27
	s_mov_b64 s[18:19], -1
	s_cbranch_scc1 .LBB200_936
; %bb.931:
	v_cvt_u32_f32_e32 v3, v2
	s_cmp_gt_i32 s27, 27
	s_cbranch_scc0 .LBB200_933
; %bb.932:
	s_mov_b64 s[18:19], 0
	global_store_dword v[0:1], v3, off
.LBB200_933:
	s_andn2_b64 vcc, exec, s[18:19]
	s_cbranch_vccnz .LBB200_935
; %bb.934:
	global_store_short v[0:1], v3, off
.LBB200_935:
	s_mov_b64 s[18:19], 0
.LBB200_936:
	s_andn2_b64 vcc, exec, s[18:19]
	s_cbranch_vccnz .LBB200_944
; %bb.937:
	v_and_b32_e32 v3, 0x7fffffff, v2
	s_mov_b32 s18, 0x43800000
	v_cmp_gt_u32_e32 vcc, s18, v3
	v_mov_b32_e32 v4, 0x80
	s_and_saveexec_b64 s[18:19], vcc
	s_cbranch_execz .LBB200_943
; %bb.938:
	s_mov_b32 s20, 0x3bffffff
	v_cmp_lt_u32_e32 vcc, s20, v3
	s_mov_b64 s[20:21], 0
                                        ; implicit-def: $vgpr3
	s_and_saveexec_b64 s[22:23], vcc
	s_xor_b64 s[22:23], exec, s[22:23]
	s_cbranch_execz .LBB200_1041
; %bb.939:
	v_bfe_u32 v3, v2, 20, 1
	s_mov_b32 s24, 0x487ffff
	v_add3_u32 v3, v2, v3, s24
	s_mov_b64 s[20:21], exec
	v_lshrrev_b32_e32 v3, 20, v3
	s_andn2_saveexec_b64 s[22:23], s[22:23]
	s_cbranch_execnz .LBB200_1042
.LBB200_940:
	s_or_b64 exec, exec, s[22:23]
	v_mov_b32_e32 v4, 0
	s_and_saveexec_b64 s[22:23], s[20:21]
.LBB200_941:
	v_lshrrev_b32_e32 v4, 24, v2
	s_movk_i32 s20, 0x80
	v_and_or_b32 v4, v4, s20, v3
.LBB200_942:
	s_or_b64 exec, exec, s[22:23]
.LBB200_943:
	s_or_b64 exec, exec, s[18:19]
	global_store_byte v[0:1], v4, off
.LBB200_944:
	s_mov_b64 s[20:21], 0
.LBB200_945:
	s_mov_b64 s[18:19], 0
	s_and_b64 vcc, exec, s[20:21]
	s_cbranch_vccz .LBB200_985
; %bb.946:
	s_cmp_gt_i32 s27, 22
	s_mov_b64 s[20:21], -1
	s_cbranch_scc0 .LBB200_978
; %bb.947:
	s_cmp_lt_i32 s27, 24
	s_cbranch_scc1 .LBB200_967
; %bb.948:
	s_cmp_gt_i32 s27, 24
	s_cbranch_scc0 .LBB200_956
; %bb.949:
	v_and_b32_e32 v3, 0x7fffffff, v2
	s_mov_b32 s20, 0x47800000
	v_cmp_gt_u32_e32 vcc, s20, v3
	v_mov_b32_e32 v4, 0x80
	s_and_saveexec_b64 s[20:21], vcc
	s_cbranch_execz .LBB200_955
; %bb.950:
	s_mov_b32 s22, 0x37ffffff
	v_cmp_lt_u32_e32 vcc, s22, v3
	s_mov_b64 s[22:23], 0
                                        ; implicit-def: $vgpr3
	s_and_saveexec_b64 s[24:25], vcc
	s_xor_b64 s[24:25], exec, s[24:25]
	s_cbranch_execz .LBB200_1166
; %bb.951:
	v_bfe_u32 v3, v2, 21, 1
	s_mov_b32 s28, 0x88fffff
	v_add3_u32 v3, v2, v3, s28
	s_mov_b64 s[22:23], exec
	v_lshrrev_b32_e32 v3, 21, v3
	s_andn2_saveexec_b64 s[24:25], s[24:25]
	s_cbranch_execnz .LBB200_1167
.LBB200_952:
	s_or_b64 exec, exec, s[24:25]
	v_mov_b32_e32 v4, 0
	s_and_saveexec_b64 s[24:25], s[22:23]
.LBB200_953:
	v_lshrrev_b32_e32 v4, 24, v2
	s_movk_i32 s22, 0x80
	v_and_or_b32 v4, v4, s22, v3
.LBB200_954:
	s_or_b64 exec, exec, s[24:25]
.LBB200_955:
	s_or_b64 exec, exec, s[20:21]
	s_mov_b64 s[20:21], 0
	global_store_byte v[0:1], v4, off
.LBB200_956:
	s_and_b64 vcc, exec, s[20:21]
	s_cbranch_vccz .LBB200_966
; %bb.957:
	v_and_b32_e32 v4, 0x7fffffff, v2
	s_mov_b32 s20, 0x43f00000
	v_cmp_gt_u32_e32 vcc, s20, v4
                                        ; implicit-def: $vgpr3
	s_and_saveexec_b64 s[20:21], vcc
	s_xor_b64 s[20:21], exec, s[20:21]
	s_cbranch_execz .LBB200_963
; %bb.958:
	s_mov_b32 s22, 0x3c7fffff
	v_cmp_lt_u32_e32 vcc, s22, v4
                                        ; implicit-def: $vgpr3
	s_and_saveexec_b64 s[22:23], vcc
	s_xor_b64 s[22:23], exec, s[22:23]
; %bb.959:
	v_bfe_u32 v3, v2, 20, 1
	s_mov_b32 s24, 0x407ffff
	v_add3_u32 v3, v2, v3, s24
	v_lshrrev_b32_e32 v4, 20, v3
	v_and_b32_e32 v3, 0xff00000, v3
	s_mov_b32 s24, 0x7f00000
	v_mov_b32_e32 v5, 0x7e
	v_cmp_ne_u32_e32 vcc, s24, v3
	s_nop 1
	v_cndmask_b32_e32 v3, v5, v4, vcc
; %bb.960:
	s_andn2_saveexec_b64 s[22:23], s[22:23]
; %bb.961:
	s_mov_b32 s24, 0x46800000
	v_add_f32_e64 v3, |v2|, s24
; %bb.962:
	s_or_b64 exec, exec, s[22:23]
                                        ; implicit-def: $vgpr4
.LBB200_963:
	s_andn2_saveexec_b64 s[20:21], s[20:21]
; %bb.964:
	s_mov_b32 s22, 0x7f800000
	v_mov_b32_e32 v3, 0x7e
	v_mov_b32_e32 v5, 0x7f
	v_cmp_lt_u32_e32 vcc, s22, v4
	s_nop 1
	v_cndmask_b32_e32 v3, v3, v5, vcc
; %bb.965:
	s_or_b64 exec, exec, s[20:21]
	v_lshrrev_b32_e32 v4, 24, v2
	s_movk_i32 s20, 0x80
	v_and_or_b32 v3, v4, s20, v3
	global_store_byte v[0:1], v3, off
.LBB200_966:
	s_mov_b64 s[20:21], 0
.LBB200_967:
	s_andn2_b64 vcc, exec, s[20:21]
	s_cbranch_vccnz .LBB200_977
; %bb.968:
	v_and_b32_e32 v4, 0x7fffffff, v2
	s_mov_b32 s20, 0x47800000
	v_cmp_gt_u32_e32 vcc, s20, v4
                                        ; implicit-def: $vgpr3
	s_and_saveexec_b64 s[20:21], vcc
	s_xor_b64 s[20:21], exec, s[20:21]
	s_cbranch_execz .LBB200_974
; %bb.969:
	s_mov_b32 s22, 0x387fffff
	v_cmp_lt_u32_e32 vcc, s22, v4
                                        ; implicit-def: $vgpr3
	s_and_saveexec_b64 s[22:23], vcc
	s_xor_b64 s[22:23], exec, s[22:23]
; %bb.970:
	v_bfe_u32 v3, v2, 21, 1
	s_mov_b32 s24, 0x80fffff
	v_add3_u32 v3, v2, v3, s24
	v_lshrrev_b32_e32 v3, 21, v3
; %bb.971:
	s_andn2_saveexec_b64 s[22:23], s[22:23]
; %bb.972:
	s_mov_b32 s24, 0x43000000
	v_add_f32_e64 v3, |v2|, s24
; %bb.973:
	s_or_b64 exec, exec, s[22:23]
                                        ; implicit-def: $vgpr4
.LBB200_974:
	s_andn2_saveexec_b64 s[20:21], s[20:21]
; %bb.975:
	s_mov_b32 s22, 0x7f800000
	v_mov_b32_e32 v3, 0x7c
	v_mov_b32_e32 v5, 0x7f
	v_cmp_lt_u32_e32 vcc, s22, v4
	s_nop 1
	v_cndmask_b32_e32 v3, v3, v5, vcc
; %bb.976:
	s_or_b64 exec, exec, s[20:21]
	v_lshrrev_b32_e32 v4, 24, v2
	s_movk_i32 s20, 0x80
	v_and_or_b32 v3, v4, s20, v3
	global_store_byte v[0:1], v3, off
.LBB200_977:
	s_mov_b64 s[20:21], 0
.LBB200_978:
	s_andn2_b64 vcc, exec, s[20:21]
	s_mov_b64 s[20:21], 0
	s_cbranch_vccnz .LBB200_986
; %bb.979:
	s_cmp_gt_i32 s27, 14
	s_mov_b64 s[22:23], -1
	s_cbranch_scc0 .LBB200_983
; %bb.980:
	s_cmp_eq_u32 s27, 15
	s_mov_b64 s[0:1], -1
	s_cbranch_scc0 .LBB200_982
; %bb.981:
	v_bfe_u32 v3, v2, 16, 1
	s_movk_i32 s0, 0x7fff
	v_add3_u32 v3, v2, v3, s0
	v_cmp_o_f32_e32 vcc, v2, v2
	v_mov_b32_e32 v4, 0x7fc0
	s_mov_b64 s[0:1], 0
	v_cndmask_b32_sdwa v3, v4, v3, vcc dst_sel:DWORD dst_unused:UNUSED_PAD src0_sel:DWORD src1_sel:WORD_1
	global_store_short v[0:1], v3, off
.LBB200_982:
	s_mov_b64 s[22:23], 0
.LBB200_983:
	s_and_b64 vcc, exec, s[22:23]
	s_cbranch_vccz .LBB200_986
; %bb.984:
	s_cmp_lg_u32 s27, 11
	s_cselect_b64 s[22:23], -1, 0
	s_andn2_b64 s[0:1], s[0:1], exec
	s_and_b64 s[22:23], s[22:23], exec
	s_mov_b64 s[20:21], -1
	s_or_b64 s[0:1], s[0:1], s[22:23]
	s_branch .LBB200_986
.LBB200_985:
	s_mov_b64 s[20:21], 0
.LBB200_986:
	s_andn2_b64 s[12:13], s[12:13], exec
	s_and_b64 s[0:1], s[0:1], exec
	s_and_b64 s[18:19], s[18:19], exec
	;; [unrolled: 1-line block ×3, first 2 shown]
	s_or_b64 s[12:13], s[12:13], s[0:1]
	s_or_b64 exec, exec, s[14:15]
	s_and_saveexec_b64 s[0:1], s[12:13]
	s_cbranch_execz .LBB200_925
.LBB200_987:
	s_or_b64 s[16:17], s[16:17], exec
	s_andn2_b64 s[20:21], s[20:21], exec
	s_trap 2
	s_or_b64 exec, exec, s[0:1]
	s_and_saveexec_b64 s[0:1], s[20:21]
	s_xor_b64 s[0:1], exec, s[0:1]
	s_cbranch_execnz .LBB200_926
.LBB200_988:
	s_or_b64 exec, exec, s[0:1]
	s_and_saveexec_b64 s[0:1], s[18:19]
	s_xor_b64 s[0:1], exec, s[0:1]
	s_cbranch_execz .LBB200_1026
.LBB200_989:
	s_sext_i32_i16 s14, s26
	s_cmp_lt_i32 s14, 5
	s_mov_b64 s[12:13], -1
	s_cbranch_scc1 .LBB200_1010
; %bb.990:
	s_cmp_lt_i32 s14, 8
	s_cbranch_scc1 .LBB200_1000
; %bb.991:
	s_cmp_lt_i32 s14, 9
	s_cbranch_scc1 .LBB200_997
; %bb.992:
	s_cmp_gt_i32 s14, 9
	s_cbranch_scc0 .LBB200_994
; %bb.993:
	v_mov_b32_e32 v6, 0
	s_waitcnt vmcnt(0)
	v_cvt_f64_f32_e32 v[4:5], v2
	v_mov_b32_e32 v7, v6
	s_mov_b64 s[12:13], 0
	global_store_dwordx4 v[0:1], v[4:7], off
.LBB200_994:
	s_andn2_b64 vcc, exec, s[12:13]
	s_cbranch_vccnz .LBB200_996
; %bb.995:
	s_waitcnt vmcnt(0)
	v_mov_b32_e32 v3, 0
	global_store_dwordx2 v[0:1], v[2:3], off
.LBB200_996:
	s_mov_b64 s[12:13], 0
.LBB200_997:
	s_andn2_b64 vcc, exec, s[12:13]
	s_cbranch_vccnz .LBB200_999
; %bb.998:
	s_waitcnt vmcnt(0)
	v_cvt_f16_f32_e32 v3, v2
	global_store_dword v[0:1], v3, off
.LBB200_999:
	s_mov_b64 s[12:13], 0
.LBB200_1000:
	s_andn2_b64 vcc, exec, s[12:13]
	s_cbranch_vccnz .LBB200_1009
; %bb.1001:
	s_sext_i32_i16 s14, s26
	s_cmp_lt_i32 s14, 6
	s_mov_b64 s[12:13], -1
	s_cbranch_scc1 .LBB200_1007
; %bb.1002:
	s_cmp_gt_i32 s14, 6
	s_cbranch_scc0 .LBB200_1004
; %bb.1003:
	s_waitcnt vmcnt(0)
	v_cvt_f64_f32_e32 v[4:5], v2
	s_mov_b64 s[12:13], 0
	global_store_dwordx2 v[0:1], v[4:5], off
.LBB200_1004:
	s_andn2_b64 vcc, exec, s[12:13]
	s_cbranch_vccnz .LBB200_1006
; %bb.1005:
	s_waitcnt vmcnt(0)
	global_store_dword v[0:1], v2, off
.LBB200_1006:
	s_mov_b64 s[12:13], 0
.LBB200_1007:
	s_andn2_b64 vcc, exec, s[12:13]
	s_cbranch_vccnz .LBB200_1009
; %bb.1008:
	s_waitcnt vmcnt(0)
	v_cvt_f16_f32_e32 v3, v2
	global_store_short v[0:1], v3, off
.LBB200_1009:
	s_mov_b64 s[12:13], 0
.LBB200_1010:
	s_andn2_b64 vcc, exec, s[12:13]
	s_cbranch_vccnz .LBB200_1026
; %bb.1011:
	s_sext_i32_i16 s14, s26
	s_cmp_lt_i32 s14, 2
	s_mov_b64 s[12:13], -1
	s_cbranch_scc1 .LBB200_1021
; %bb.1012:
	s_cmp_lt_i32 s14, 3
	s_cbranch_scc1 .LBB200_1018
; %bb.1013:
	s_cmp_gt_i32 s14, 3
	s_cbranch_scc0 .LBB200_1015
; %bb.1014:
	s_waitcnt vmcnt(0)
	v_trunc_f32_e32 v3, v2
	s_mov_b32 s12, 0x2f800000
	v_mul_f32_e64 v4, |v3|, s12
	v_floor_f32_e32 v4, v4
	s_mov_b32 s12, 0xcf800000
	v_cvt_u32_f32_e32 v5, v4
	v_fma_f32 v4, v4, s12, |v3|
	v_cvt_u32_f32_e32 v4, v4
	v_ashrrev_i32_e32 v3, 31, v3
	v_xor_b32_e32 v5, v5, v3
	s_mov_b64 s[12:13], 0
	v_xor_b32_e32 v4, v4, v3
	v_sub_co_u32_e32 v4, vcc, v4, v3
	s_nop 1
	v_subb_co_u32_e32 v5, vcc, v5, v3, vcc
	global_store_dwordx2 v[0:1], v[4:5], off
.LBB200_1015:
	s_andn2_b64 vcc, exec, s[12:13]
	s_cbranch_vccnz .LBB200_1017
; %bb.1016:
	s_waitcnt vmcnt(0)
	v_cvt_i32_f32_e32 v3, v2
	global_store_dword v[0:1], v3, off
.LBB200_1017:
	s_mov_b64 s[12:13], 0
.LBB200_1018:
	s_andn2_b64 vcc, exec, s[12:13]
	s_cbranch_vccnz .LBB200_1020
; %bb.1019:
	s_waitcnt vmcnt(0)
	v_cvt_i32_f32_e32 v3, v2
	global_store_short v[0:1], v3, off
.LBB200_1020:
	s_mov_b64 s[12:13], 0
.LBB200_1021:
	s_andn2_b64 vcc, exec, s[12:13]
	s_cbranch_vccnz .LBB200_1026
; %bb.1022:
	s_sext_i32_i16 s12, s26
	s_cmp_gt_i32 s12, 0
	s_mov_b64 s[12:13], -1
	s_cbranch_scc0 .LBB200_1024
; %bb.1023:
	s_waitcnt vmcnt(0)
	v_cvt_i32_f32_e32 v3, v2
	s_mov_b64 s[12:13], 0
	global_store_byte v[0:1], v3, off
.LBB200_1024:
	s_andn2_b64 vcc, exec, s[12:13]
	s_cbranch_vccnz .LBB200_1026
; %bb.1025:
	s_waitcnt vmcnt(0)
	v_trunc_f32_e32 v2, v2
	s_mov_b32 s12, 0x2f800000
	v_mul_f32_e64 v3, |v2|, s12
	v_floor_f32_e32 v3, v3
	s_mov_b32 s12, 0xcf800000
	v_fma_f32 v3, v3, s12, |v2|
	v_cvt_u32_f32_e32 v3, v3
	v_ashrrev_i32_e32 v2, 31, v2
	v_xor_b32_e32 v3, v3, v2
	v_sub_u32_e32 v2, v3, v2
	global_store_byte v[0:1], v2, off
.LBB200_1026:
	s_or_b64 exec, exec, s[0:1]
	s_and_b64 s[12:13], s[16:17], exec
                                        ; implicit-def: $vgpr5
.LBB200_1027:
	s_or_saveexec_b64 s[2:3], s[2:3]
	s_mov_b64 s[0:1], 0
                                        ; implicit-def: $sgpr20
                                        ; implicit-def: $vgpr0_vgpr1
                                        ; implicit-def: $vgpr2
	s_xor_b64 exec, exec, s[2:3]
	s_cbranch_execz .LBB200_1975
; %bb.1028:
	v_mul_lo_u32 v0, s9, v5
	v_ashrrev_i32_e32 v1, 31, v0
	s_and_b32 s22, 0xffff, s42
	s_cmp_lt_i32 s22, 11
	s_waitcnt vmcnt(0)
	v_lshl_add_u64 v[2:3], s[6:7], 0, v[0:1]
	s_cbranch_scc1 .LBB200_1035
; %bb.1029:
	s_cmp_gt_i32 s22, 25
	s_cbranch_scc0 .LBB200_1037
; %bb.1030:
	s_cmp_gt_i32 s22, 28
	s_cbranch_scc0 .LBB200_1038
	;; [unrolled: 3-line block ×4, first 2 shown]
; %bb.1033:
	s_cmp_eq_u32 s22, 46
	s_mov_b64 s[14:15], 0
	s_cbranch_scc0 .LBB200_1043
; %bb.1034:
	global_load_dword v1, v[2:3], off
	s_mov_b64 s[16:17], -1
	s_waitcnt vmcnt(0)
	v_lshlrev_b32_e32 v4, 16, v1
	s_branch .LBB200_1044
.LBB200_1035:
	s_mov_b64 s[16:17], 0
                                        ; implicit-def: $vgpr4
	s_mov_b64 s[14:15], s[12:13]
	s_cbranch_execnz .LBB200_1107
.LBB200_1036:
	s_andn2_b64 vcc, exec, s[16:17]
	s_cbranch_vccz .LBB200_1152
	s_branch .LBB200_1973
.LBB200_1037:
	s_mov_b64 s[16:17], 0
                                        ; implicit-def: $vgpr4
	s_cbranch_execnz .LBB200_1072
	s_branch .LBB200_1103
.LBB200_1038:
	s_mov_b64 s[14:15], -1
	s_mov_b64 s[16:17], 0
                                        ; implicit-def: $vgpr4
	s_branch .LBB200_1053
.LBB200_1039:
	s_mov_b64 s[16:17], 0
                                        ; implicit-def: $vgpr4
	s_cbranch_execnz .LBB200_1049
	s_branch .LBB200_1052
.LBB200_1040:
	s_mov_b64 s[14:15], -1
	s_mov_b64 s[16:17], 0
                                        ; implicit-def: $vgpr4
	s_branch .LBB200_1044
.LBB200_1041:
	s_andn2_saveexec_b64 s[22:23], s[22:23]
	s_cbranch_execz .LBB200_940
.LBB200_1042:
	s_mov_b32 s24, 0x46000000
	v_add_f32_e64 v3, |v2|, s24
	v_and_b32_e32 v3, 0xff, v3
	v_cmp_ne_u32_e32 vcc, 0, v3
	s_andn2_b64 s[20:21], s[20:21], exec
	s_and_b64 s[24:25], vcc, exec
	s_or_b64 s[20:21], s[20:21], s[24:25]
	s_or_b64 exec, exec, s[22:23]
	v_mov_b32_e32 v4, 0
	s_and_saveexec_b64 s[22:23], s[20:21]
	s_cbranch_execnz .LBB200_941
	s_branch .LBB200_942
.LBB200_1043:
	s_mov_b64 s[0:1], -1
                                        ; implicit-def: $vgpr4
	s_mov_b64 s[16:17], 0
.LBB200_1044:
	s_and_b64 vcc, exec, s[14:15]
	s_cbranch_vccz .LBB200_1047
; %bb.1045:
	s_cmp_eq_u32 s22, 44
	s_cbranch_scc0 .LBB200_1048
; %bb.1046:
	global_load_ubyte v1, v[2:3], off
	s_movk_i32 s14, 0xff
	v_mov_b32_e32 v4, 0x7f800001
	v_mov_b32_e32 v6, 0x400000
	s_mov_b64 s[0:1], 0
	s_mov_b64 s[16:17], -1
	s_waitcnt vmcnt(0)
	v_lshlrev_b32_e32 v7, 23, v1
	v_cmp_ne_u32_e32 vcc, s14, v1
	s_nop 1
	v_cndmask_b32_e32 v4, v4, v7, vcc
	v_cmp_ne_u32_e32 vcc, 0, v1
	s_nop 1
	v_cndmask_b32_e32 v4, v6, v4, vcc
.LBB200_1047:
	s_branch .LBB200_1052
.LBB200_1048:
	s_mov_b64 s[0:1], -1
                                        ; implicit-def: $vgpr4
	s_branch .LBB200_1052
.LBB200_1049:
	s_cmp_eq_u32 s22, 29
	s_cbranch_scc0 .LBB200_1051
; %bb.1050:
	global_load_dwordx2 v[6:7], v[2:3], off
	s_mov_b64 s[0:1], 0
	s_mov_b64 s[16:17], -1
	s_mov_b64 s[14:15], 0
	s_waitcnt vmcnt(0)
	v_ffbh_u32_e32 v1, v7
	v_min_u32_e32 v1, 32, v1
	v_lshlrev_b64 v[6:7], v1, v[6:7]
	v_min_u32_e32 v4, 1, v6
	v_or_b32_e32 v4, v7, v4
	v_cvt_f32_u32_e32 v4, v4
	v_sub_u32_e32 v1, 32, v1
	v_ldexp_f32 v4, v4, v1
	s_branch .LBB200_1053
.LBB200_1051:
	s_mov_b64 s[0:1], -1
                                        ; implicit-def: $vgpr4
.LBB200_1052:
	s_mov_b64 s[14:15], 0
.LBB200_1053:
	s_and_b64 vcc, exec, s[14:15]
	s_cbranch_vccz .LBB200_1071
; %bb.1054:
	s_cmp_lt_i32 s22, 27
	s_cbranch_scc1 .LBB200_1057
; %bb.1055:
	s_cmp_gt_i32 s22, 27
	s_cbranch_scc0 .LBB200_1058
; %bb.1056:
	global_load_dword v1, v[2:3], off
	s_mov_b64 s[14:15], 0
	s_waitcnt vmcnt(0)
	v_cvt_f32_u32_e32 v4, v1
	s_branch .LBB200_1059
.LBB200_1057:
	s_mov_b64 s[14:15], -1
                                        ; implicit-def: $vgpr4
	s_branch .LBB200_1062
.LBB200_1058:
	s_mov_b64 s[14:15], -1
                                        ; implicit-def: $vgpr4
.LBB200_1059:
	s_andn2_b64 vcc, exec, s[14:15]
	s_cbranch_vccnz .LBB200_1061
; %bb.1060:
	global_load_ushort v1, v[2:3], off
	s_waitcnt vmcnt(0)
	v_cvt_f32_u32_e32 v4, v1
.LBB200_1061:
	s_mov_b64 s[14:15], 0
.LBB200_1062:
	s_andn2_b64 vcc, exec, s[14:15]
	s_cbranch_vccnz .LBB200_1070
; %bb.1063:
	global_load_ubyte v1, v[2:3], off
	s_movk_i32 s14, 0x7f
	s_waitcnt vmcnt(0)
	v_cmp_lt_i16_e32 vcc, s14, v1
	s_mov_b64 s[14:15], 0
	s_and_saveexec_b64 s[16:17], vcc
	s_xor_b64 s[16:17], exec, s[16:17]
	s_cbranch_execz .LBB200_1083
; %bb.1064:
	s_movk_i32 s14, 0x80
	v_cmp_eq_u16_e32 vcc, s14, v1
	s_mov_b64 s[14:15], -1
	s_and_saveexec_b64 s[18:19], vcc
; %bb.1065:
	s_xor_b64 s[14:15], exec, -1
; %bb.1066:
	s_or_b64 exec, exec, s[18:19]
	s_and_b64 s[14:15], s[14:15], exec
	s_or_saveexec_b64 s[16:17], s[16:17]
	v_mov_b32_e32 v4, 0x7f800001
	s_xor_b64 exec, exec, s[16:17]
	s_cbranch_execnz .LBB200_1084
.LBB200_1067:
	s_or_b64 exec, exec, s[16:17]
	s_and_saveexec_b64 s[16:17], s[14:15]
	s_cbranch_execz .LBB200_1069
.LBB200_1068:
	v_lshlrev_b32_e32 v4, 24, v1
	v_and_b32_e32 v1, 0xffff, v1
	v_and_b32_e32 v6, 7, v1
	v_ffbh_u32_e32 v8, v6
	v_min_u32_e32 v8, 32, v8
	v_subrev_u32_e32 v9, 28, v8
	v_bfe_u32 v7, v1, 3, 4
	v_lshlrev_b32_e32 v1, v9, v1
	v_sub_u32_e32 v8, 29, v8
	v_and_b32_e32 v1, 7, v1
	v_cmp_eq_u32_e32 vcc, 0, v7
	v_and_b32_e32 v4, 0x80000000, v4
	s_nop 0
	v_cndmask_b32_e32 v7, v7, v8, vcc
	v_cndmask_b32_e32 v1, v6, v1, vcc
	v_mov_b32_e32 v6, 0x3b800000
	v_lshlrev_b32_e32 v1, 20, v1
	v_lshl_add_u32 v6, v7, 23, v6
	v_or3_b32 v4, v4, v6, v1
.LBB200_1069:
	s_or_b64 exec, exec, s[16:17]
.LBB200_1070:
	s_mov_b64 s[16:17], -1
.LBB200_1071:
	s_branch .LBB200_1103
.LBB200_1072:
	s_cmp_gt_i32 s22, 22
	s_cbranch_scc0 .LBB200_1082
; %bb.1073:
	s_cmp_lt_i32 s22, 24
	s_cbranch_scc1 .LBB200_1085
; %bb.1074:
	s_cmp_gt_i32 s22, 24
	s_cbranch_scc0 .LBB200_1086
; %bb.1075:
	global_load_ubyte v1, v[2:3], off
	s_movk_i32 s10, 0x7f
	s_waitcnt vmcnt(0)
	v_cmp_lt_i16_e32 vcc, s10, v1
	s_mov_b64 s[10:11], 0
	s_and_saveexec_b64 s[14:15], vcc
	s_xor_b64 s[14:15], exec, s[14:15]
	s_cbranch_execz .LBB200_1097
; %bb.1076:
	s_movk_i32 s10, 0x80
	v_cmp_eq_u16_e32 vcc, s10, v1
	s_mov_b64 s[10:11], -1
	s_and_saveexec_b64 s[16:17], vcc
; %bb.1077:
	s_xor_b64 s[10:11], exec, -1
; %bb.1078:
	s_or_b64 exec, exec, s[16:17]
	s_and_b64 s[10:11], s[10:11], exec
	s_or_saveexec_b64 s[14:15], s[14:15]
	v_mov_b32_e32 v4, 0x7f800001
	s_xor_b64 exec, exec, s[14:15]
	s_cbranch_execnz .LBB200_1098
.LBB200_1079:
	s_or_b64 exec, exec, s[14:15]
	s_and_saveexec_b64 s[14:15], s[10:11]
	s_cbranch_execz .LBB200_1081
.LBB200_1080:
	v_lshlrev_b32_e32 v4, 24, v1
	v_and_b32_e32 v1, 0xffff, v1
	v_and_b32_e32 v6, 3, v1
	v_ffbh_u32_e32 v8, v6
	v_min_u32_e32 v8, 32, v8
	v_subrev_u32_e32 v9, 29, v8
	v_bfe_u32 v7, v1, 2, 5
	v_lshlrev_b32_e32 v1, v9, v1
	v_sub_u32_e32 v8, 30, v8
	v_and_b32_e32 v1, 3, v1
	v_cmp_eq_u32_e32 vcc, 0, v7
	v_and_b32_e32 v4, 0x80000000, v4
	s_nop 0
	v_cndmask_b32_e32 v7, v7, v8, vcc
	v_cndmask_b32_e32 v1, v6, v1, vcc
	v_mov_b32_e32 v6, 0x37800000
	v_lshlrev_b32_e32 v1, 21, v1
	v_lshl_add_u32 v6, v7, 23, v6
	v_or3_b32 v4, v4, v6, v1
.LBB200_1081:
	s_or_b64 exec, exec, s[14:15]
	s_mov_b64 s[10:11], 0
	s_branch .LBB200_1087
.LBB200_1082:
                                        ; implicit-def: $vgpr4
	s_mov_b64 s[10:11], 0
	s_branch .LBB200_1093
.LBB200_1083:
	s_or_saveexec_b64 s[16:17], s[16:17]
	v_mov_b32_e32 v4, 0x7f800001
	s_xor_b64 exec, exec, s[16:17]
	s_cbranch_execz .LBB200_1067
.LBB200_1084:
	v_cmp_ne_u16_e32 vcc, 0, v1
	s_andn2_b64 s[14:15], s[14:15], exec
	s_and_b64 s[18:19], vcc, exec
	v_mov_b32_e32 v4, 0
	s_or_b64 s[14:15], s[14:15], s[18:19]
	s_or_b64 exec, exec, s[16:17]
	s_and_saveexec_b64 s[16:17], s[14:15]
	s_cbranch_execnz .LBB200_1068
	s_branch .LBB200_1069
.LBB200_1085:
	s_mov_b64 s[10:11], -1
                                        ; implicit-def: $vgpr4
	s_branch .LBB200_1090
.LBB200_1086:
	s_mov_b64 s[10:11], -1
                                        ; implicit-def: $vgpr4
.LBB200_1087:
	s_and_b64 vcc, exec, s[10:11]
	s_cbranch_vccz .LBB200_1089
; %bb.1088:
	global_load_ubyte v1, v[2:3], off
	s_mov_b32 s10, 0x7f800000
	s_waitcnt vmcnt(0)
	v_lshlrev_b32_e32 v1, 24, v1
	v_and_b32_e32 v4, 0x7f000000, v1
	v_ffbh_u32_e32 v6, v4
	v_min_u32_e32 v6, 32, v6
	v_sub_u32_e64 v6, v6, 4 clamp
	v_lshlrev_b32_e32 v8, v6, v4
	v_lshlrev_b32_e32 v6, 23, v6
	v_lshrrev_b32_e32 v8, 4, v8
	v_add_u32_e32 v7, 0x1000000, v4
	v_sub_u32_e32 v6, v8, v6
	v_ashrrev_i32_e32 v7, 8, v7
	v_add_u32_e32 v6, 0x3c000000, v6
	v_and_or_b32 v6, v7, s10, v6
	v_cmp_ne_u32_e32 vcc, 0, v4
	s_brev_b32 s10, 1
	s_nop 0
	v_cndmask_b32_e32 v4, 0, v6, vcc
	v_and_or_b32 v4, v1, s10, v4
.LBB200_1089:
	s_mov_b64 s[10:11], 0
.LBB200_1090:
	s_andn2_b64 vcc, exec, s[10:11]
	s_cbranch_vccnz .LBB200_1092
; %bb.1091:
	global_load_ubyte v1, v[2:3], off
	s_movk_i32 s10, 0x7f00
	s_brev_b32 s11, 16
	s_waitcnt vmcnt(0)
	v_lshlrev_b16_e32 v4, 8, v1
	v_lshlrev_b32_e32 v1, 25, v1
	v_lshrrev_b32_e32 v6, 4, v1
	v_and_or_b32 v7, v4, s10, 0.5
	v_or_b32_e32 v6, 0x70000000, v6
	v_add_f32_e32 v7, -0.5, v7
	v_mul_f32_e32 v6, 0x7800000, v6
	v_cmp_gt_u32_e32 vcc, s11, v1
	v_bfe_i32 v4, v4, 0, 16
	s_brev_b32 s10, 1
	v_cndmask_b32_e32 v1, v6, v7, vcc
	v_and_or_b32 v4, v4, s10, v1
.LBB200_1092:
	s_mov_b64 s[16:17], -1
	s_mov_b64 s[10:11], 0
	s_cbranch_execnz .LBB200_1103
.LBB200_1093:
	s_cmp_gt_i32 s22, 14
	s_cbranch_scc0 .LBB200_1096
; %bb.1094:
	s_cmp_eq_u32 s22, 15
	s_cbranch_scc0 .LBB200_1099
; %bb.1095:
	global_load_ushort v1, v[2:3], off
	s_mov_b64 s[0:1], 0
	s_mov_b64 s[16:17], -1
	s_waitcnt vmcnt(0)
	v_lshlrev_b32_e32 v4, 16, v1
	s_branch .LBB200_1100
.LBB200_1096:
	s_mov_b64 s[14:15], -1
                                        ; implicit-def: $vgpr4
	s_branch .LBB200_1101
.LBB200_1097:
	s_or_saveexec_b64 s[14:15], s[14:15]
	v_mov_b32_e32 v4, 0x7f800001
	s_xor_b64 exec, exec, s[14:15]
	s_cbranch_execz .LBB200_1079
.LBB200_1098:
	v_cmp_ne_u16_e32 vcc, 0, v1
	s_andn2_b64 s[10:11], s[10:11], exec
	s_and_b64 s[16:17], vcc, exec
	v_mov_b32_e32 v4, 0
	s_or_b64 s[10:11], s[10:11], s[16:17]
	s_or_b64 exec, exec, s[14:15]
	s_and_saveexec_b64 s[14:15], s[10:11]
	s_cbranch_execnz .LBB200_1080
	s_branch .LBB200_1081
.LBB200_1099:
	s_mov_b64 s[0:1], -1
                                        ; implicit-def: $vgpr4
.LBB200_1100:
	s_mov_b64 s[14:15], 0
.LBB200_1101:
	s_and_b64 vcc, exec, s[14:15]
	s_cbranch_vccz .LBB200_1103
; %bb.1102:
	s_cmp_lg_u32 s22, 11
	s_mov_b64 s[10:11], -1
	s_cselect_b64 s[0:1], -1, 0
.LBB200_1103:
	s_and_b64 vcc, exec, s[0:1]
	s_mov_b64 s[14:15], s[12:13]
	s_cbranch_vccnz .LBB200_1164
; %bb.1104:
	s_andn2_b64 vcc, exec, s[10:11]
	s_cbranch_vccnz .LBB200_1106
.LBB200_1105:
	global_load_ubyte v1, v[2:3], off
	s_mov_b64 s[16:17], -1
	s_waitcnt vmcnt(0)
	v_cmp_ne_u16_e32 vcc, 0, v1
	s_nop 1
	v_cndmask_b32_e64 v4, 0, 1.0, vcc
.LBB200_1106:
	s_branch .LBB200_1036
.LBB200_1107:
	s_cmp_lt_i32 s22, 5
	s_cbranch_scc1 .LBB200_1112
; %bb.1108:
	s_cmp_lt_i32 s22, 8
	s_cbranch_scc1 .LBB200_1113
; %bb.1109:
	;; [unrolled: 3-line block ×3, first 2 shown]
	s_cmp_gt_i32 s22, 9
	s_cbranch_scc0 .LBB200_1115
; %bb.1111:
	global_load_dwordx2 v[6:7], v[2:3], off
	s_mov_b64 s[0:1], 0
	s_waitcnt vmcnt(0)
	v_cvt_f32_f64_e32 v4, v[6:7]
	s_branch .LBB200_1116
.LBB200_1112:
                                        ; implicit-def: $vgpr4
	s_branch .LBB200_1133
.LBB200_1113:
                                        ; implicit-def: $vgpr4
	s_branch .LBB200_1122
.LBB200_1114:
	s_mov_b64 s[0:1], -1
                                        ; implicit-def: $vgpr4
	s_branch .LBB200_1119
.LBB200_1115:
	s_mov_b64 s[0:1], -1
                                        ; implicit-def: $vgpr4
.LBB200_1116:
	s_andn2_b64 vcc, exec, s[0:1]
	s_cbranch_vccnz .LBB200_1118
; %bb.1117:
	global_load_dword v4, v[2:3], off
.LBB200_1118:
	s_mov_b64 s[0:1], 0
.LBB200_1119:
	s_andn2_b64 vcc, exec, s[0:1]
	s_cbranch_vccnz .LBB200_1121
; %bb.1120:
	global_load_dword v1, v[2:3], off
	s_waitcnt vmcnt(0)
	v_cvt_f32_f16_e32 v4, v1
.LBB200_1121:
	s_cbranch_execnz .LBB200_1132
.LBB200_1122:
	s_cmp_lt_i32 s22, 6
	s_cbranch_scc1 .LBB200_1125
; %bb.1123:
	s_cmp_gt_i32 s22, 6
	s_cbranch_scc0 .LBB200_1126
; %bb.1124:
	global_load_dwordx2 v[6:7], v[2:3], off
	s_mov_b64 s[0:1], 0
	s_waitcnt vmcnt(0)
	v_cvt_f32_f64_e32 v4, v[6:7]
	s_branch .LBB200_1127
.LBB200_1125:
	s_mov_b64 s[0:1], -1
                                        ; implicit-def: $vgpr4
	s_branch .LBB200_1130
.LBB200_1126:
	s_mov_b64 s[0:1], -1
                                        ; implicit-def: $vgpr4
.LBB200_1127:
	s_andn2_b64 vcc, exec, s[0:1]
	s_cbranch_vccnz .LBB200_1129
; %bb.1128:
	global_load_dword v4, v[2:3], off
.LBB200_1129:
	s_mov_b64 s[0:1], 0
.LBB200_1130:
	s_andn2_b64 vcc, exec, s[0:1]
	s_cbranch_vccnz .LBB200_1132
; %bb.1131:
	global_load_ushort v1, v[2:3], off
	s_waitcnt vmcnt(0)
	v_cvt_f32_f16_e32 v4, v1
.LBB200_1132:
	s_cbranch_execnz .LBB200_1151
.LBB200_1133:
	s_cmp_lt_i32 s22, 2
	s_cbranch_scc1 .LBB200_1137
; %bb.1134:
	s_cmp_lt_i32 s22, 3
	s_cbranch_scc1 .LBB200_1138
; %bb.1135:
	s_cmp_gt_i32 s22, 3
	s_cbranch_scc0 .LBB200_1139
; %bb.1136:
	global_load_dwordx2 v[6:7], v[2:3], off
	s_mov_b64 s[0:1], 0
	s_waitcnt vmcnt(0)
	v_xor_b32_e32 v4, v6, v7
	v_ffbh_i32_e32 v1, v7
	v_ashrrev_i32_e32 v4, 31, v4
	v_add_u32_e32 v1, -1, v1
	v_add_u32_e32 v4, 32, v4
	v_min_u32_e32 v1, v1, v4
	v_lshlrev_b64 v[6:7], v1, v[6:7]
	v_min_u32_e32 v4, 1, v6
	v_or_b32_e32 v4, v7, v4
	v_cvt_f32_i32_e32 v4, v4
	v_sub_u32_e32 v1, 32, v1
	v_ldexp_f32 v4, v4, v1
	s_branch .LBB200_1140
.LBB200_1137:
                                        ; implicit-def: $vgpr4
	s_branch .LBB200_1146
.LBB200_1138:
	s_mov_b64 s[0:1], -1
                                        ; implicit-def: $vgpr4
	s_branch .LBB200_1143
.LBB200_1139:
	s_mov_b64 s[0:1], -1
                                        ; implicit-def: $vgpr4
.LBB200_1140:
	s_andn2_b64 vcc, exec, s[0:1]
	s_cbranch_vccnz .LBB200_1142
; %bb.1141:
	global_load_dword v1, v[2:3], off
	s_waitcnt vmcnt(0)
	v_cvt_f32_i32_e32 v4, v1
.LBB200_1142:
	s_mov_b64 s[0:1], 0
.LBB200_1143:
	s_andn2_b64 vcc, exec, s[0:1]
	s_cbranch_vccnz .LBB200_1145
; %bb.1144:
	global_load_sshort v1, v[2:3], off
	s_waitcnt vmcnt(0)
	v_cvt_f32_i32_e32 v4, v1
.LBB200_1145:
	s_cbranch_execnz .LBB200_1151
.LBB200_1146:
	s_cmp_gt_i32 s22, 0
	s_cbranch_scc0 .LBB200_1148
; %bb.1147:
	global_load_sbyte v1, v[2:3], off
	s_mov_b64 s[0:1], 0
	s_waitcnt vmcnt(0)
	v_cvt_f32_i32_e32 v4, v1
	s_branch .LBB200_1149
.LBB200_1148:
	s_mov_b64 s[0:1], -1
                                        ; implicit-def: $vgpr4
.LBB200_1149:
	s_andn2_b64 vcc, exec, s[0:1]
	s_cbranch_vccnz .LBB200_1151
; %bb.1150:
	global_load_ubyte v1, v[2:3], off
	s_waitcnt vmcnt(0)
	v_cvt_f32_ubyte0_e32 v4, v1
.LBB200_1151:
.LBB200_1152:
	s_lshl_b32 s9, s9, 7
	v_add_u32_e32 v0, s9, v0
	v_ashrrev_i32_e32 v1, 31, v0
	s_cmp_lt_i32 s22, 11
	v_lshl_add_u64 v[2:3], s[6:7], 0, v[0:1]
	s_cbranch_scc1 .LBB200_1159
; %bb.1153:
	s_cmp_gt_i32 s22, 25
	s_mov_b64 s[10:11], 0
	s_cbranch_scc0 .LBB200_1161
; %bb.1154:
	s_cmp_gt_i32 s22, 28
	s_cbranch_scc0 .LBB200_1162
; %bb.1155:
	s_cmp_gt_i32 s22, 43
	;; [unrolled: 3-line block ×3, first 2 shown]
	s_cbranch_scc0 .LBB200_1165
; %bb.1157:
	s_cmp_eq_u32 s22, 46
	s_mov_b64 s[18:19], 0
	s_cbranch_scc0 .LBB200_1168
; %bb.1158:
	global_load_dword v1, v[2:3], off
	s_mov_b64 s[0:1], 0
	s_mov_b64 s[16:17], -1
	s_waitcnt vmcnt(0)
	v_lshlrev_b32_e32 v8, 16, v1
	s_branch .LBB200_1169
.LBB200_1159:
	s_mov_b64 s[16:17], 0
                                        ; implicit-def: $vgpr8
	s_cbranch_execnz .LBB200_1234
.LBB200_1160:
	s_andn2_b64 vcc, exec, s[16:17]
	s_cbranch_vccnz .LBB200_1973
	s_branch .LBB200_1281
.LBB200_1161:
	s_mov_b64 s[16:17], 0
	s_mov_b64 s[0:1], 0
                                        ; implicit-def: $vgpr8
	s_cbranch_execnz .LBB200_1198
	s_branch .LBB200_1230
.LBB200_1162:
	s_mov_b64 s[18:19], -1
	s_mov_b64 s[16:17], 0
	s_mov_b64 s[0:1], 0
                                        ; implicit-def: $vgpr8
	s_branch .LBB200_1179
.LBB200_1163:
	s_mov_b64 s[18:19], -1
	s_mov_b64 s[16:17], 0
	s_mov_b64 s[0:1], 0
                                        ; implicit-def: $vgpr8
	s_branch .LBB200_1174
.LBB200_1164:
	s_or_b64 s[14:15], s[12:13], exec
	s_trap 2
	s_cbranch_execz .LBB200_1105
	s_branch .LBB200_1106
.LBB200_1165:
	s_mov_b64 s[18:19], -1
	s_mov_b64 s[16:17], 0
	s_mov_b64 s[0:1], 0
                                        ; implicit-def: $vgpr8
	s_branch .LBB200_1169
.LBB200_1166:
	s_andn2_saveexec_b64 s[24:25], s[24:25]
	s_cbranch_execz .LBB200_952
.LBB200_1167:
	s_mov_b32 s28, 0x42800000
	v_add_f32_e64 v3, |v2|, s28
	v_and_b32_e32 v3, 0xff, v3
	v_cmp_ne_u32_e32 vcc, 0, v3
	s_andn2_b64 s[22:23], s[22:23], exec
	s_and_b64 s[28:29], vcc, exec
	s_or_b64 s[22:23], s[22:23], s[28:29]
	s_or_b64 exec, exec, s[24:25]
	v_mov_b32_e32 v4, 0
	s_and_saveexec_b64 s[24:25], s[22:23]
	s_cbranch_execnz .LBB200_953
	s_branch .LBB200_954
.LBB200_1168:
	s_mov_b64 s[0:1], -1
                                        ; implicit-def: $vgpr8
	s_mov_b64 s[16:17], 0
.LBB200_1169:
	s_and_b64 vcc, exec, s[18:19]
	s_cbranch_vccz .LBB200_1173
; %bb.1170:
	s_cmp_eq_u32 s22, 44
	s_cbranch_scc0 .LBB200_1172
; %bb.1171:
	global_load_ubyte v1, v[2:3], off
	s_movk_i32 s16, 0xff
	v_mov_b32_e32 v6, 0x7f800001
	v_mov_b32_e32 v7, 0x400000
	s_mov_b64 s[0:1], 0
	s_waitcnt vmcnt(0)
	v_lshlrev_b32_e32 v8, 23, v1
	v_cmp_ne_u32_e32 vcc, s16, v1
	s_mov_b64 s[16:17], -1
	s_nop 0
	v_cndmask_b32_e32 v6, v6, v8, vcc
	v_cmp_ne_u32_e32 vcc, 0, v1
	s_nop 1
	v_cndmask_b32_e32 v8, v7, v6, vcc
	s_branch .LBB200_1173
.LBB200_1172:
	s_mov_b64 s[0:1], -1
                                        ; implicit-def: $vgpr8
.LBB200_1173:
	s_mov_b64 s[18:19], 0
.LBB200_1174:
	s_and_b64 vcc, exec, s[18:19]
	s_cbranch_vccz .LBB200_1178
; %bb.1175:
	s_cmp_eq_u32 s22, 29
	s_cbranch_scc0 .LBB200_1177
; %bb.1176:
	global_load_dwordx2 v[6:7], v[2:3], off
	s_mov_b64 s[0:1], 0
	s_mov_b64 s[16:17], -1
	s_mov_b64 s[18:19], 0
	s_waitcnt vmcnt(0)
	v_ffbh_u32_e32 v1, v7
	v_min_u32_e32 v1, 32, v1
	v_lshlrev_b64 v[6:7], v1, v[6:7]
	v_min_u32_e32 v6, 1, v6
	v_or_b32_e32 v6, v7, v6
	v_cvt_f32_u32_e32 v6, v6
	v_sub_u32_e32 v1, 32, v1
	v_ldexp_f32 v8, v6, v1
	s_branch .LBB200_1179
.LBB200_1177:
	s_mov_b64 s[0:1], -1
                                        ; implicit-def: $vgpr8
.LBB200_1178:
	s_mov_b64 s[18:19], 0
.LBB200_1179:
	s_and_b64 vcc, exec, s[18:19]
	s_cbranch_vccz .LBB200_1197
; %bb.1180:
	s_cmp_lt_i32 s22, 27
	s_cbranch_scc1 .LBB200_1183
; %bb.1181:
	s_cmp_gt_i32 s22, 27
	s_cbranch_scc0 .LBB200_1184
; %bb.1182:
	global_load_dword v1, v[2:3], off
	s_mov_b64 s[16:17], 0
	s_waitcnt vmcnt(0)
	v_cvt_f32_u32_e32 v8, v1
	s_branch .LBB200_1185
.LBB200_1183:
	s_mov_b64 s[16:17], -1
                                        ; implicit-def: $vgpr8
	s_branch .LBB200_1188
.LBB200_1184:
	s_mov_b64 s[16:17], -1
                                        ; implicit-def: $vgpr8
.LBB200_1185:
	s_andn2_b64 vcc, exec, s[16:17]
	s_cbranch_vccnz .LBB200_1187
; %bb.1186:
	global_load_ushort v1, v[2:3], off
	s_waitcnt vmcnt(0)
	v_cvt_f32_u32_e32 v8, v1
.LBB200_1187:
	s_mov_b64 s[16:17], 0
.LBB200_1188:
	s_andn2_b64 vcc, exec, s[16:17]
	s_cbranch_vccnz .LBB200_1196
; %bb.1189:
	global_load_ubyte v1, v[2:3], off
	s_movk_i32 s16, 0x7f
	s_waitcnt vmcnt(0)
	v_cmp_lt_i16_e32 vcc, s16, v1
	s_mov_b64 s[16:17], 0
	s_and_saveexec_b64 s[18:19], vcc
	s_xor_b64 s[18:19], exec, s[18:19]
	s_cbranch_execz .LBB200_1209
; %bb.1190:
	s_movk_i32 s16, 0x80
	v_cmp_eq_u16_e32 vcc, s16, v1
	s_mov_b64 s[16:17], -1
	s_and_saveexec_b64 s[20:21], vcc
; %bb.1191:
	s_xor_b64 s[16:17], exec, -1
; %bb.1192:
	s_or_b64 exec, exec, s[20:21]
	s_and_b64 s[16:17], s[16:17], exec
	s_or_saveexec_b64 s[18:19], s[18:19]
	v_mov_b32_e32 v8, 0x7f800001
	s_xor_b64 exec, exec, s[18:19]
	s_cbranch_execnz .LBB200_1210
.LBB200_1193:
	s_or_b64 exec, exec, s[18:19]
	s_and_saveexec_b64 s[18:19], s[16:17]
	s_cbranch_execz .LBB200_1195
.LBB200_1194:
	v_lshlrev_b32_e32 v6, 24, v1
	v_and_b32_e32 v1, 0xffff, v1
	v_and_b32_e32 v7, 7, v1
	v_ffbh_u32_e32 v9, v7
	v_min_u32_e32 v9, 32, v9
	v_subrev_u32_e32 v10, 28, v9
	v_bfe_u32 v8, v1, 3, 4
	v_lshlrev_b32_e32 v1, v10, v1
	v_sub_u32_e32 v9, 29, v9
	v_and_b32_e32 v1, 7, v1
	v_cmp_eq_u32_e32 vcc, 0, v8
	v_and_b32_e32 v6, 0x80000000, v6
	s_nop 0
	v_cndmask_b32_e32 v8, v8, v9, vcc
	v_cndmask_b32_e32 v1, v7, v1, vcc
	v_mov_b32_e32 v7, 0x3b800000
	v_lshlrev_b32_e32 v1, 20, v1
	v_lshl_add_u32 v7, v8, 23, v7
	v_or3_b32 v8, v6, v7, v1
.LBB200_1195:
	s_or_b64 exec, exec, s[18:19]
.LBB200_1196:
	s_mov_b64 s[16:17], -1
.LBB200_1197:
	s_branch .LBB200_1230
.LBB200_1198:
	s_cmp_gt_i32 s22, 22
	s_cbranch_scc0 .LBB200_1208
; %bb.1199:
	s_cmp_lt_i32 s22, 24
	s_cbranch_scc1 .LBB200_1211
; %bb.1200:
	s_cmp_gt_i32 s22, 24
	s_cbranch_scc0 .LBB200_1212
; %bb.1201:
	global_load_ubyte v1, v[2:3], off
	s_movk_i32 s10, 0x7f
	s_waitcnt vmcnt(0)
	v_cmp_lt_i16_e32 vcc, s10, v1
	s_mov_b64 s[10:11], 0
	s_and_saveexec_b64 s[16:17], vcc
	s_xor_b64 s[16:17], exec, s[16:17]
	s_cbranch_execz .LBB200_1224
; %bb.1202:
	s_movk_i32 s10, 0x80
	v_cmp_eq_u16_e32 vcc, s10, v1
	s_mov_b64 s[10:11], -1
	s_and_saveexec_b64 s[18:19], vcc
; %bb.1203:
	s_xor_b64 s[10:11], exec, -1
; %bb.1204:
	s_or_b64 exec, exec, s[18:19]
	s_and_b64 s[10:11], s[10:11], exec
	s_or_saveexec_b64 s[16:17], s[16:17]
	v_mov_b32_e32 v8, 0x7f800001
	s_xor_b64 exec, exec, s[16:17]
	s_cbranch_execnz .LBB200_1225
.LBB200_1205:
	s_or_b64 exec, exec, s[16:17]
	s_and_saveexec_b64 s[16:17], s[10:11]
	s_cbranch_execz .LBB200_1207
.LBB200_1206:
	v_lshlrev_b32_e32 v6, 24, v1
	v_and_b32_e32 v1, 0xffff, v1
	v_and_b32_e32 v7, 3, v1
	v_ffbh_u32_e32 v9, v7
	v_min_u32_e32 v9, 32, v9
	v_subrev_u32_e32 v10, 29, v9
	v_bfe_u32 v8, v1, 2, 5
	v_lshlrev_b32_e32 v1, v10, v1
	v_sub_u32_e32 v9, 30, v9
	v_and_b32_e32 v1, 3, v1
	v_cmp_eq_u32_e32 vcc, 0, v8
	v_and_b32_e32 v6, 0x80000000, v6
	s_nop 0
	v_cndmask_b32_e32 v8, v8, v9, vcc
	v_cndmask_b32_e32 v1, v7, v1, vcc
	v_mov_b32_e32 v7, 0x37800000
	v_lshlrev_b32_e32 v1, 21, v1
	v_lshl_add_u32 v7, v8, 23, v7
	v_or3_b32 v8, v6, v7, v1
.LBB200_1207:
	s_or_b64 exec, exec, s[16:17]
	s_mov_b64 s[10:11], 0
	s_branch .LBB200_1213
.LBB200_1208:
	s_mov_b64 s[10:11], -1
                                        ; implicit-def: $vgpr8
	s_branch .LBB200_1219
.LBB200_1209:
	s_or_saveexec_b64 s[18:19], s[18:19]
	v_mov_b32_e32 v8, 0x7f800001
	s_xor_b64 exec, exec, s[18:19]
	s_cbranch_execz .LBB200_1193
.LBB200_1210:
	v_cmp_ne_u16_e32 vcc, 0, v1
	s_andn2_b64 s[16:17], s[16:17], exec
	s_and_b64 s[20:21], vcc, exec
	v_mov_b32_e32 v8, 0
	s_or_b64 s[16:17], s[16:17], s[20:21]
	s_or_b64 exec, exec, s[18:19]
	s_and_saveexec_b64 s[18:19], s[16:17]
	s_cbranch_execnz .LBB200_1194
	s_branch .LBB200_1195
.LBB200_1211:
	s_mov_b64 s[10:11], -1
                                        ; implicit-def: $vgpr8
	s_branch .LBB200_1216
.LBB200_1212:
	s_mov_b64 s[10:11], -1
                                        ; implicit-def: $vgpr8
.LBB200_1213:
	s_and_b64 vcc, exec, s[10:11]
	s_cbranch_vccz .LBB200_1215
; %bb.1214:
	global_load_ubyte v1, v[2:3], off
	s_mov_b32 s10, 0x7f800000
	s_waitcnt vmcnt(0)
	v_lshlrev_b32_e32 v1, 24, v1
	v_and_b32_e32 v6, 0x7f000000, v1
	v_ffbh_u32_e32 v7, v6
	v_min_u32_e32 v7, 32, v7
	v_sub_u32_e64 v7, v7, 4 clamp
	v_lshlrev_b32_e32 v9, v7, v6
	v_lshlrev_b32_e32 v7, 23, v7
	v_lshrrev_b32_e32 v9, 4, v9
	v_add_u32_e32 v8, 0x1000000, v6
	v_sub_u32_e32 v7, v9, v7
	v_ashrrev_i32_e32 v8, 8, v8
	v_add_u32_e32 v7, 0x3c000000, v7
	v_and_or_b32 v7, v8, s10, v7
	v_cmp_ne_u32_e32 vcc, 0, v6
	s_brev_b32 s10, 1
	s_nop 0
	v_cndmask_b32_e32 v6, 0, v7, vcc
	v_and_or_b32 v8, v1, s10, v6
.LBB200_1215:
	s_mov_b64 s[10:11], 0
.LBB200_1216:
	s_andn2_b64 vcc, exec, s[10:11]
	s_cbranch_vccnz .LBB200_1218
; %bb.1217:
	global_load_ubyte v1, v[2:3], off
	s_movk_i32 s10, 0x7f00
	s_brev_b32 s11, 16
	s_waitcnt vmcnt(0)
	v_lshlrev_b16_e32 v6, 8, v1
	v_lshlrev_b32_e32 v1, 25, v1
	v_lshrrev_b32_e32 v7, 4, v1
	v_and_or_b32 v8, v6, s10, 0.5
	v_or_b32_e32 v7, 0x70000000, v7
	v_add_f32_e32 v8, -0.5, v8
	v_mul_f32_e32 v7, 0x7800000, v7
	v_cmp_gt_u32_e32 vcc, s11, v1
	v_bfe_i32 v6, v6, 0, 16
	s_brev_b32 s10, 1
	v_cndmask_b32_e32 v1, v7, v8, vcc
	v_and_or_b32 v8, v6, s10, v1
.LBB200_1218:
	s_mov_b64 s[10:11], 0
	s_mov_b64 s[16:17], -1
.LBB200_1219:
	s_andn2_b64 vcc, exec, s[10:11]
	s_mov_b64 s[10:11], 0
	s_cbranch_vccnz .LBB200_1230
; %bb.1220:
	s_cmp_gt_i32 s22, 14
	s_cbranch_scc0 .LBB200_1223
; %bb.1221:
	s_cmp_eq_u32 s22, 15
	s_cbranch_scc0 .LBB200_1226
; %bb.1222:
	global_load_ushort v1, v[2:3], off
	s_mov_b64 s[0:1], 0
	s_mov_b64 s[16:17], -1
	s_waitcnt vmcnt(0)
	v_lshlrev_b32_e32 v8, 16, v1
	s_branch .LBB200_1227
.LBB200_1223:
	s_mov_b64 s[18:19], -1
                                        ; implicit-def: $vgpr8
	s_branch .LBB200_1228
.LBB200_1224:
	s_or_saveexec_b64 s[16:17], s[16:17]
	v_mov_b32_e32 v8, 0x7f800001
	s_xor_b64 exec, exec, s[16:17]
	s_cbranch_execz .LBB200_1205
.LBB200_1225:
	v_cmp_ne_u16_e32 vcc, 0, v1
	s_andn2_b64 s[10:11], s[10:11], exec
	s_and_b64 s[18:19], vcc, exec
	v_mov_b32_e32 v8, 0
	s_or_b64 s[10:11], s[10:11], s[18:19]
	s_or_b64 exec, exec, s[16:17]
	s_and_saveexec_b64 s[16:17], s[10:11]
	s_cbranch_execnz .LBB200_1206
	s_branch .LBB200_1207
.LBB200_1226:
	s_mov_b64 s[0:1], -1
                                        ; implicit-def: $vgpr8
.LBB200_1227:
	s_mov_b64 s[18:19], 0
.LBB200_1228:
	s_and_b64 vcc, exec, s[18:19]
	s_cbranch_vccz .LBB200_1230
; %bb.1229:
	s_cmp_lg_u32 s22, 11
	s_mov_b64 s[10:11], -1
	s_cselect_b64 s[0:1], -1, 0
.LBB200_1230:
	s_and_b64 vcc, exec, s[0:1]
	s_cbranch_vccnz .LBB200_1293
; %bb.1231:
	s_andn2_b64 vcc, exec, s[10:11]
	s_cbranch_vccnz .LBB200_1233
.LBB200_1232:
	global_load_ubyte v1, v[2:3], off
	s_mov_b64 s[16:17], -1
	s_waitcnt vmcnt(0)
	v_cmp_ne_u16_e32 vcc, 0, v1
	s_nop 1
	v_cndmask_b32_e64 v8, 0, 1.0, vcc
.LBB200_1233:
	s_branch .LBB200_1160
.LBB200_1234:
	s_cmp_lt_i32 s22, 5
	s_cbranch_scc1 .LBB200_1239
; %bb.1235:
	s_cmp_lt_i32 s22, 8
	s_cbranch_scc1 .LBB200_1240
; %bb.1236:
	;; [unrolled: 3-line block ×3, first 2 shown]
	s_cmp_gt_i32 s22, 9
	s_cbranch_scc0 .LBB200_1242
; %bb.1238:
	global_load_dwordx2 v[6:7], v[2:3], off
	s_mov_b64 s[0:1], 0
	s_waitcnt vmcnt(0)
	v_cvt_f32_f64_e32 v8, v[6:7]
	s_branch .LBB200_1243
.LBB200_1239:
                                        ; implicit-def: $vgpr8
	s_branch .LBB200_1261
.LBB200_1240:
	s_mov_b64 s[0:1], -1
                                        ; implicit-def: $vgpr8
	s_branch .LBB200_1249
.LBB200_1241:
	s_mov_b64 s[0:1], -1
                                        ; implicit-def: $vgpr8
	s_branch .LBB200_1246
.LBB200_1242:
	s_mov_b64 s[0:1], -1
                                        ; implicit-def: $vgpr8
.LBB200_1243:
	s_andn2_b64 vcc, exec, s[0:1]
	s_cbranch_vccnz .LBB200_1245
; %bb.1244:
	global_load_dword v8, v[2:3], off
.LBB200_1245:
	s_mov_b64 s[0:1], 0
.LBB200_1246:
	s_andn2_b64 vcc, exec, s[0:1]
	s_cbranch_vccnz .LBB200_1248
; %bb.1247:
	global_load_dword v1, v[2:3], off
	s_waitcnt vmcnt(0)
	v_cvt_f32_f16_e32 v8, v1
.LBB200_1248:
	s_mov_b64 s[0:1], 0
.LBB200_1249:
	s_andn2_b64 vcc, exec, s[0:1]
	s_cbranch_vccnz .LBB200_1260
; %bb.1250:
	s_cmp_lt_i32 s22, 6
	s_cbranch_scc1 .LBB200_1253
; %bb.1251:
	s_cmp_gt_i32 s22, 6
	s_cbranch_scc0 .LBB200_1254
; %bb.1252:
	global_load_dwordx2 v[6:7], v[2:3], off
	s_mov_b64 s[0:1], 0
	s_waitcnt vmcnt(0)
	v_cvt_f32_f64_e32 v8, v[6:7]
	s_branch .LBB200_1255
.LBB200_1253:
	s_mov_b64 s[0:1], -1
                                        ; implicit-def: $vgpr8
	s_branch .LBB200_1258
.LBB200_1254:
	s_mov_b64 s[0:1], -1
                                        ; implicit-def: $vgpr8
.LBB200_1255:
	s_andn2_b64 vcc, exec, s[0:1]
	s_cbranch_vccnz .LBB200_1257
; %bb.1256:
	global_load_dword v8, v[2:3], off
.LBB200_1257:
	s_mov_b64 s[0:1], 0
.LBB200_1258:
	s_andn2_b64 vcc, exec, s[0:1]
	s_cbranch_vccnz .LBB200_1260
; %bb.1259:
	global_load_ushort v1, v[2:3], off
	s_waitcnt vmcnt(0)
	v_cvt_f32_f16_e32 v8, v1
.LBB200_1260:
	s_cbranch_execnz .LBB200_1280
.LBB200_1261:
	s_cmp_lt_i32 s22, 2
	s_cbranch_scc1 .LBB200_1265
; %bb.1262:
	s_cmp_lt_i32 s22, 3
	s_cbranch_scc1 .LBB200_1266
; %bb.1263:
	s_cmp_gt_i32 s22, 3
	s_cbranch_scc0 .LBB200_1267
; %bb.1264:
	global_load_dwordx2 v[6:7], v[2:3], off
	s_mov_b64 s[0:1], 0
	s_waitcnt vmcnt(0)
	v_xor_b32_e32 v8, v6, v7
	v_ffbh_i32_e32 v1, v7
	v_ashrrev_i32_e32 v8, 31, v8
	v_add_u32_e32 v1, -1, v1
	v_add_u32_e32 v8, 32, v8
	v_min_u32_e32 v1, v1, v8
	v_lshlrev_b64 v[6:7], v1, v[6:7]
	v_min_u32_e32 v6, 1, v6
	v_or_b32_e32 v6, v7, v6
	v_cvt_f32_i32_e32 v6, v6
	v_sub_u32_e32 v1, 32, v1
	v_ldexp_f32 v8, v6, v1
	s_branch .LBB200_1268
.LBB200_1265:
	s_mov_b64 s[0:1], -1
                                        ; implicit-def: $vgpr8
	s_branch .LBB200_1274
.LBB200_1266:
	s_mov_b64 s[0:1], -1
                                        ; implicit-def: $vgpr8
	s_branch .LBB200_1271
.LBB200_1267:
	s_mov_b64 s[0:1], -1
                                        ; implicit-def: $vgpr8
.LBB200_1268:
	s_andn2_b64 vcc, exec, s[0:1]
	s_cbranch_vccnz .LBB200_1270
; %bb.1269:
	global_load_dword v1, v[2:3], off
	s_waitcnt vmcnt(0)
	v_cvt_f32_i32_e32 v8, v1
.LBB200_1270:
	s_mov_b64 s[0:1], 0
.LBB200_1271:
	s_andn2_b64 vcc, exec, s[0:1]
	s_cbranch_vccnz .LBB200_1273
; %bb.1272:
	global_load_sshort v1, v[2:3], off
	s_waitcnt vmcnt(0)
	v_cvt_f32_i32_e32 v8, v1
.LBB200_1273:
	s_mov_b64 s[0:1], 0
.LBB200_1274:
	s_andn2_b64 vcc, exec, s[0:1]
	s_cbranch_vccnz .LBB200_1280
; %bb.1275:
	s_cmp_gt_i32 s22, 0
	s_cbranch_scc0 .LBB200_1277
; %bb.1276:
	global_load_sbyte v1, v[2:3], off
	s_mov_b64 s[0:1], 0
	s_waitcnt vmcnt(0)
	v_cvt_f32_i32_e32 v8, v1
	s_branch .LBB200_1278
.LBB200_1277:
	s_mov_b64 s[0:1], -1
                                        ; implicit-def: $vgpr8
.LBB200_1278:
	s_andn2_b64 vcc, exec, s[0:1]
	s_cbranch_vccnz .LBB200_1280
; %bb.1279:
	global_load_ubyte v1, v[2:3], off
	s_waitcnt vmcnt(0)
	v_cvt_f32_ubyte0_e32 v8, v1
.LBB200_1280:
.LBB200_1281:
	v_add_u32_e32 v0, s9, v0
	v_ashrrev_i32_e32 v1, 31, v0
	s_cmp_lt_i32 s22, 11
	v_lshl_add_u64 v[2:3], s[6:7], 0, v[0:1]
	s_cbranch_scc1 .LBB200_1288
; %bb.1282:
	s_cmp_gt_i32 s22, 25
	s_mov_b64 s[10:11], 0
	s_cbranch_scc0 .LBB200_1290
; %bb.1283:
	s_cmp_gt_i32 s22, 28
	s_cbranch_scc0 .LBB200_1291
; %bb.1284:
	s_cmp_gt_i32 s22, 43
	s_cbranch_scc0 .LBB200_1292
; %bb.1285:
	s_cmp_gt_i32 s22, 45
	s_cbranch_scc0 .LBB200_1294
; %bb.1286:
	s_cmp_eq_u32 s22, 46
	s_mov_b64 s[18:19], 0
	s_cbranch_scc0 .LBB200_1295
; %bb.1287:
	global_load_dword v1, v[2:3], off
	s_mov_b64 s[0:1], 0
	s_mov_b64 s[16:17], -1
	s_waitcnt vmcnt(0)
	v_lshlrev_b32_e32 v7, 16, v1
	s_branch .LBB200_1296
.LBB200_1288:
	s_mov_b64 s[16:17], 0
                                        ; implicit-def: $vgpr7
	s_cbranch_execnz .LBB200_1362
.LBB200_1289:
	s_andn2_b64 vcc, exec, s[16:17]
	s_cbranch_vccnz .LBB200_1973
	s_branch .LBB200_1410
.LBB200_1290:
	s_mov_b64 s[18:19], -1
	s_mov_b64 s[16:17], 0
	s_mov_b64 s[0:1], 0
                                        ; implicit-def: $vgpr7
	s_branch .LBB200_1325
.LBB200_1291:
	s_mov_b64 s[18:19], -1
	s_mov_b64 s[16:17], 0
	s_mov_b64 s[0:1], 0
                                        ; implicit-def: $vgpr7
	s_branch .LBB200_1306
.LBB200_1292:
	s_mov_b64 s[18:19], -1
	s_mov_b64 s[16:17], 0
	s_mov_b64 s[0:1], 0
                                        ; implicit-def: $vgpr7
	s_branch .LBB200_1301
.LBB200_1293:
	s_trap 2
	s_or_b64 s[14:15], s[14:15], exec
	s_cbranch_execz .LBB200_1232
	s_branch .LBB200_1233
.LBB200_1294:
	s_mov_b64 s[18:19], -1
	s_mov_b64 s[16:17], 0
	s_mov_b64 s[0:1], 0
                                        ; implicit-def: $vgpr7
	s_branch .LBB200_1296
.LBB200_1295:
	s_mov_b64 s[0:1], -1
                                        ; implicit-def: $vgpr7
	s_mov_b64 s[16:17], 0
.LBB200_1296:
	s_and_b64 vcc, exec, s[18:19]
	s_cbranch_vccz .LBB200_1300
; %bb.1297:
	s_cmp_eq_u32 s22, 44
	s_cbranch_scc0 .LBB200_1299
; %bb.1298:
	global_load_ubyte v1, v[2:3], off
	s_movk_i32 s16, 0xff
	v_mov_b32_e32 v6, 0x7f800001
	v_mov_b32_e32 v7, 0x400000
	s_mov_b64 s[0:1], 0
	s_waitcnt vmcnt(0)
	v_lshlrev_b32_e32 v9, 23, v1
	v_cmp_ne_u32_e32 vcc, s16, v1
	s_mov_b64 s[16:17], -1
	s_nop 0
	v_cndmask_b32_e32 v6, v6, v9, vcc
	v_cmp_ne_u32_e32 vcc, 0, v1
	s_nop 1
	v_cndmask_b32_e32 v7, v7, v6, vcc
	s_branch .LBB200_1300
.LBB200_1299:
	s_mov_b64 s[0:1], -1
                                        ; implicit-def: $vgpr7
.LBB200_1300:
	s_mov_b64 s[18:19], 0
.LBB200_1301:
	s_and_b64 vcc, exec, s[18:19]
	s_cbranch_vccz .LBB200_1305
; %bb.1302:
	s_cmp_eq_u32 s22, 29
	s_cbranch_scc0 .LBB200_1304
; %bb.1303:
	global_load_dwordx2 v[6:7], v[2:3], off
	s_mov_b64 s[0:1], 0
	s_mov_b64 s[16:17], -1
	s_mov_b64 s[18:19], 0
	s_waitcnt vmcnt(0)
	v_ffbh_u32_e32 v1, v7
	v_min_u32_e32 v1, 32, v1
	v_lshlrev_b64 v[6:7], v1, v[6:7]
	v_min_u32_e32 v6, 1, v6
	v_or_b32_e32 v6, v7, v6
	v_cvt_f32_u32_e32 v6, v6
	v_sub_u32_e32 v1, 32, v1
	v_ldexp_f32 v7, v6, v1
	s_branch .LBB200_1306
.LBB200_1304:
	s_mov_b64 s[0:1], -1
                                        ; implicit-def: $vgpr7
.LBB200_1305:
	s_mov_b64 s[18:19], 0
.LBB200_1306:
	s_and_b64 vcc, exec, s[18:19]
	s_cbranch_vccz .LBB200_1324
; %bb.1307:
	s_cmp_lt_i32 s22, 27
	s_cbranch_scc1 .LBB200_1310
; %bb.1308:
	s_cmp_gt_i32 s22, 27
	s_cbranch_scc0 .LBB200_1311
; %bb.1309:
	global_load_dword v1, v[2:3], off
	s_mov_b64 s[16:17], 0
	s_waitcnt vmcnt(0)
	v_cvt_f32_u32_e32 v7, v1
	s_branch .LBB200_1312
.LBB200_1310:
	s_mov_b64 s[16:17], -1
                                        ; implicit-def: $vgpr7
	s_branch .LBB200_1315
.LBB200_1311:
	s_mov_b64 s[16:17], -1
                                        ; implicit-def: $vgpr7
.LBB200_1312:
	s_andn2_b64 vcc, exec, s[16:17]
	s_cbranch_vccnz .LBB200_1314
; %bb.1313:
	global_load_ushort v1, v[2:3], off
	s_waitcnt vmcnt(0)
	v_cvt_f32_u32_e32 v7, v1
.LBB200_1314:
	s_mov_b64 s[16:17], 0
.LBB200_1315:
	s_andn2_b64 vcc, exec, s[16:17]
	s_cbranch_vccnz .LBB200_1323
; %bb.1316:
	global_load_ubyte v1, v[2:3], off
	s_movk_i32 s16, 0x7f
	s_waitcnt vmcnt(0)
	v_cmp_lt_i16_e32 vcc, s16, v1
	s_mov_b64 s[16:17], 0
	s_and_saveexec_b64 s[18:19], vcc
	s_xor_b64 s[18:19], exec, s[18:19]
	s_cbranch_execz .LBB200_1337
; %bb.1317:
	s_movk_i32 s16, 0x80
	v_cmp_eq_u16_e32 vcc, s16, v1
	s_mov_b64 s[16:17], -1
	s_and_saveexec_b64 s[20:21], vcc
; %bb.1318:
	s_xor_b64 s[16:17], exec, -1
; %bb.1319:
	s_or_b64 exec, exec, s[20:21]
	s_and_b64 s[16:17], s[16:17], exec
	s_or_saveexec_b64 s[18:19], s[18:19]
	v_mov_b32_e32 v7, 0x7f800001
	s_xor_b64 exec, exec, s[18:19]
	s_cbranch_execnz .LBB200_1338
.LBB200_1320:
	s_or_b64 exec, exec, s[18:19]
	s_and_saveexec_b64 s[18:19], s[16:17]
	s_cbranch_execz .LBB200_1322
.LBB200_1321:
	v_lshlrev_b32_e32 v6, 24, v1
	v_and_b32_e32 v1, 0xffff, v1
	v_and_b32_e32 v7, 7, v1
	v_ffbh_u32_e32 v10, v7
	v_min_u32_e32 v10, 32, v10
	v_subrev_u32_e32 v11, 28, v10
	v_bfe_u32 v9, v1, 3, 4
	v_lshlrev_b32_e32 v1, v11, v1
	v_sub_u32_e32 v10, 29, v10
	v_and_b32_e32 v1, 7, v1
	v_cmp_eq_u32_e32 vcc, 0, v9
	v_and_b32_e32 v6, 0x80000000, v6
	s_nop 0
	v_cndmask_b32_e32 v9, v9, v10, vcc
	v_cndmask_b32_e32 v1, v7, v1, vcc
	v_mov_b32_e32 v7, 0x3b800000
	v_lshlrev_b32_e32 v1, 20, v1
	v_lshl_add_u32 v7, v9, 23, v7
	v_or3_b32 v7, v6, v7, v1
.LBB200_1322:
	s_or_b64 exec, exec, s[18:19]
.LBB200_1323:
	s_mov_b64 s[16:17], -1
.LBB200_1324:
	s_mov_b64 s[18:19], 0
.LBB200_1325:
	s_and_b64 vcc, exec, s[18:19]
	s_cbranch_vccz .LBB200_1358
; %bb.1326:
	s_cmp_gt_i32 s22, 22
	s_cbranch_scc0 .LBB200_1336
; %bb.1327:
	s_cmp_lt_i32 s22, 24
	s_cbranch_scc1 .LBB200_1339
; %bb.1328:
	s_cmp_gt_i32 s22, 24
	s_cbranch_scc0 .LBB200_1340
; %bb.1329:
	global_load_ubyte v1, v[2:3], off
	s_movk_i32 s10, 0x7f
	s_waitcnt vmcnt(0)
	v_cmp_lt_i16_e32 vcc, s10, v1
	s_mov_b64 s[10:11], 0
	s_and_saveexec_b64 s[16:17], vcc
	s_xor_b64 s[16:17], exec, s[16:17]
	s_cbranch_execz .LBB200_1352
; %bb.1330:
	s_movk_i32 s10, 0x80
	v_cmp_eq_u16_e32 vcc, s10, v1
	s_mov_b64 s[10:11], -1
	s_and_saveexec_b64 s[18:19], vcc
; %bb.1331:
	s_xor_b64 s[10:11], exec, -1
; %bb.1332:
	s_or_b64 exec, exec, s[18:19]
	s_and_b64 s[10:11], s[10:11], exec
	s_or_saveexec_b64 s[16:17], s[16:17]
	v_mov_b32_e32 v7, 0x7f800001
	s_xor_b64 exec, exec, s[16:17]
	s_cbranch_execnz .LBB200_1353
.LBB200_1333:
	s_or_b64 exec, exec, s[16:17]
	s_and_saveexec_b64 s[16:17], s[10:11]
	s_cbranch_execz .LBB200_1335
.LBB200_1334:
	v_lshlrev_b32_e32 v6, 24, v1
	v_and_b32_e32 v1, 0xffff, v1
	v_and_b32_e32 v7, 3, v1
	v_ffbh_u32_e32 v10, v7
	v_min_u32_e32 v10, 32, v10
	v_subrev_u32_e32 v11, 29, v10
	v_bfe_u32 v9, v1, 2, 5
	v_lshlrev_b32_e32 v1, v11, v1
	v_sub_u32_e32 v10, 30, v10
	v_and_b32_e32 v1, 3, v1
	v_cmp_eq_u32_e32 vcc, 0, v9
	v_and_b32_e32 v6, 0x80000000, v6
	s_nop 0
	v_cndmask_b32_e32 v9, v9, v10, vcc
	v_cndmask_b32_e32 v1, v7, v1, vcc
	v_mov_b32_e32 v7, 0x37800000
	v_lshlrev_b32_e32 v1, 21, v1
	v_lshl_add_u32 v7, v9, 23, v7
	v_or3_b32 v7, v6, v7, v1
.LBB200_1335:
	s_or_b64 exec, exec, s[16:17]
	s_mov_b64 s[10:11], 0
	s_branch .LBB200_1341
.LBB200_1336:
	s_mov_b64 s[10:11], -1
                                        ; implicit-def: $vgpr7
	s_branch .LBB200_1347
.LBB200_1337:
	s_or_saveexec_b64 s[18:19], s[18:19]
	v_mov_b32_e32 v7, 0x7f800001
	s_xor_b64 exec, exec, s[18:19]
	s_cbranch_execz .LBB200_1320
.LBB200_1338:
	v_cmp_ne_u16_e32 vcc, 0, v1
	s_andn2_b64 s[16:17], s[16:17], exec
	s_and_b64 s[20:21], vcc, exec
	v_mov_b32_e32 v7, 0
	s_or_b64 s[16:17], s[16:17], s[20:21]
	s_or_b64 exec, exec, s[18:19]
	s_and_saveexec_b64 s[18:19], s[16:17]
	s_cbranch_execnz .LBB200_1321
	s_branch .LBB200_1322
.LBB200_1339:
	s_mov_b64 s[10:11], -1
                                        ; implicit-def: $vgpr7
	s_branch .LBB200_1344
.LBB200_1340:
	s_mov_b64 s[10:11], -1
                                        ; implicit-def: $vgpr7
.LBB200_1341:
	s_and_b64 vcc, exec, s[10:11]
	s_cbranch_vccz .LBB200_1343
; %bb.1342:
	global_load_ubyte v1, v[2:3], off
	s_mov_b32 s10, 0x7f800000
	s_waitcnt vmcnt(0)
	v_lshlrev_b32_e32 v1, 24, v1
	v_and_b32_e32 v6, 0x7f000000, v1
	v_ffbh_u32_e32 v7, v6
	v_min_u32_e32 v7, 32, v7
	v_sub_u32_e64 v7, v7, 4 clamp
	v_lshlrev_b32_e32 v10, v7, v6
	v_lshlrev_b32_e32 v7, 23, v7
	v_lshrrev_b32_e32 v10, 4, v10
	v_add_u32_e32 v9, 0x1000000, v6
	v_sub_u32_e32 v7, v10, v7
	v_ashrrev_i32_e32 v9, 8, v9
	v_add_u32_e32 v7, 0x3c000000, v7
	v_and_or_b32 v7, v9, s10, v7
	v_cmp_ne_u32_e32 vcc, 0, v6
	s_brev_b32 s10, 1
	s_nop 0
	v_cndmask_b32_e32 v6, 0, v7, vcc
	v_and_or_b32 v7, v1, s10, v6
.LBB200_1343:
	s_mov_b64 s[10:11], 0
.LBB200_1344:
	s_andn2_b64 vcc, exec, s[10:11]
	s_cbranch_vccnz .LBB200_1346
; %bb.1345:
	global_load_ubyte v1, v[2:3], off
	s_movk_i32 s10, 0x7f00
	s_brev_b32 s11, 16
	s_waitcnt vmcnt(0)
	v_lshlrev_b16_e32 v6, 8, v1
	v_lshlrev_b32_e32 v1, 25, v1
	v_lshrrev_b32_e32 v7, 4, v1
	v_and_or_b32 v9, v6, s10, 0.5
	v_or_b32_e32 v7, 0x70000000, v7
	v_add_f32_e32 v9, -0.5, v9
	v_mul_f32_e32 v7, 0x7800000, v7
	v_cmp_gt_u32_e32 vcc, s11, v1
	v_bfe_i32 v6, v6, 0, 16
	s_brev_b32 s10, 1
	v_cndmask_b32_e32 v1, v7, v9, vcc
	v_and_or_b32 v7, v6, s10, v1
.LBB200_1346:
	s_mov_b64 s[10:11], 0
	s_mov_b64 s[16:17], -1
.LBB200_1347:
	s_andn2_b64 vcc, exec, s[10:11]
	s_mov_b64 s[10:11], 0
	s_cbranch_vccnz .LBB200_1358
; %bb.1348:
	s_cmp_gt_i32 s22, 14
	s_cbranch_scc0 .LBB200_1351
; %bb.1349:
	s_cmp_eq_u32 s22, 15
	s_cbranch_scc0 .LBB200_1354
; %bb.1350:
	global_load_ushort v1, v[2:3], off
	s_mov_b64 s[0:1], 0
	s_mov_b64 s[16:17], -1
	s_waitcnt vmcnt(0)
	v_lshlrev_b32_e32 v7, 16, v1
	s_branch .LBB200_1355
.LBB200_1351:
	s_mov_b64 s[18:19], -1
                                        ; implicit-def: $vgpr7
	s_branch .LBB200_1356
.LBB200_1352:
	s_or_saveexec_b64 s[16:17], s[16:17]
	v_mov_b32_e32 v7, 0x7f800001
	s_xor_b64 exec, exec, s[16:17]
	s_cbranch_execz .LBB200_1333
.LBB200_1353:
	v_cmp_ne_u16_e32 vcc, 0, v1
	s_andn2_b64 s[10:11], s[10:11], exec
	s_and_b64 s[18:19], vcc, exec
	v_mov_b32_e32 v7, 0
	s_or_b64 s[10:11], s[10:11], s[18:19]
	s_or_b64 exec, exec, s[16:17]
	s_and_saveexec_b64 s[16:17], s[10:11]
	s_cbranch_execnz .LBB200_1334
	s_branch .LBB200_1335
.LBB200_1354:
	s_mov_b64 s[0:1], -1
                                        ; implicit-def: $vgpr7
.LBB200_1355:
	s_mov_b64 s[18:19], 0
.LBB200_1356:
	s_and_b64 vcc, exec, s[18:19]
	s_cbranch_vccz .LBB200_1358
; %bb.1357:
	s_cmp_lg_u32 s22, 11
	s_mov_b64 s[10:11], -1
	s_cselect_b64 s[0:1], -1, 0
.LBB200_1358:
	s_and_b64 vcc, exec, s[0:1]
	s_cbranch_vccnz .LBB200_1421
; %bb.1359:
	s_andn2_b64 vcc, exec, s[10:11]
	s_cbranch_vccnz .LBB200_1361
.LBB200_1360:
	global_load_ubyte v1, v[2:3], off
	s_mov_b64 s[16:17], -1
	s_waitcnt vmcnt(0)
	v_cmp_ne_u16_e32 vcc, 0, v1
	s_nop 1
	v_cndmask_b32_e64 v7, 0, 1.0, vcc
.LBB200_1361:
	s_branch .LBB200_1289
.LBB200_1362:
	s_cmp_lt_i32 s22, 5
	s_cbranch_scc1 .LBB200_1367
; %bb.1363:
	s_cmp_lt_i32 s22, 8
	s_cbranch_scc1 .LBB200_1368
; %bb.1364:
	s_cmp_lt_i32 s22, 9
	s_cbranch_scc1 .LBB200_1369
; %bb.1365:
	s_cmp_gt_i32 s22, 9
	s_cbranch_scc0 .LBB200_1370
; %bb.1366:
	global_load_dwordx2 v[6:7], v[2:3], off
	s_mov_b64 s[0:1], 0
	s_waitcnt vmcnt(0)
	v_cvt_f32_f64_e32 v7, v[6:7]
	s_branch .LBB200_1371
.LBB200_1367:
	s_mov_b64 s[0:1], -1
                                        ; implicit-def: $vgpr7
	s_branch .LBB200_1389
.LBB200_1368:
	s_mov_b64 s[0:1], -1
                                        ; implicit-def: $vgpr7
	s_branch .LBB200_1377
.LBB200_1369:
	s_mov_b64 s[0:1], -1
                                        ; implicit-def: $vgpr7
	s_branch .LBB200_1374
.LBB200_1370:
	s_mov_b64 s[0:1], -1
                                        ; implicit-def: $vgpr7
.LBB200_1371:
	s_andn2_b64 vcc, exec, s[0:1]
	s_cbranch_vccnz .LBB200_1373
; %bb.1372:
	global_load_dword v7, v[2:3], off
.LBB200_1373:
	s_mov_b64 s[0:1], 0
.LBB200_1374:
	s_andn2_b64 vcc, exec, s[0:1]
	s_cbranch_vccnz .LBB200_1376
; %bb.1375:
	global_load_dword v1, v[2:3], off
	s_waitcnt vmcnt(0)
	v_cvt_f32_f16_e32 v7, v1
.LBB200_1376:
	s_mov_b64 s[0:1], 0
.LBB200_1377:
	s_andn2_b64 vcc, exec, s[0:1]
	s_cbranch_vccnz .LBB200_1388
; %bb.1378:
	s_cmp_lt_i32 s22, 6
	s_cbranch_scc1 .LBB200_1381
; %bb.1379:
	s_cmp_gt_i32 s22, 6
	s_cbranch_scc0 .LBB200_1382
; %bb.1380:
	global_load_dwordx2 v[6:7], v[2:3], off
	s_mov_b64 s[0:1], 0
	s_waitcnt vmcnt(0)
	v_cvt_f32_f64_e32 v7, v[6:7]
	s_branch .LBB200_1383
.LBB200_1381:
	s_mov_b64 s[0:1], -1
                                        ; implicit-def: $vgpr7
	s_branch .LBB200_1386
.LBB200_1382:
	s_mov_b64 s[0:1], -1
                                        ; implicit-def: $vgpr7
.LBB200_1383:
	s_andn2_b64 vcc, exec, s[0:1]
	s_cbranch_vccnz .LBB200_1385
; %bb.1384:
	global_load_dword v7, v[2:3], off
.LBB200_1385:
	s_mov_b64 s[0:1], 0
.LBB200_1386:
	s_andn2_b64 vcc, exec, s[0:1]
	s_cbranch_vccnz .LBB200_1388
; %bb.1387:
	global_load_ushort v1, v[2:3], off
	s_waitcnt vmcnt(0)
	v_cvt_f32_f16_e32 v7, v1
.LBB200_1388:
	s_mov_b64 s[0:1], 0
.LBB200_1389:
	s_andn2_b64 vcc, exec, s[0:1]
	s_cbranch_vccnz .LBB200_1409
; %bb.1390:
	s_cmp_lt_i32 s22, 2
	s_cbranch_scc1 .LBB200_1394
; %bb.1391:
	s_cmp_lt_i32 s22, 3
	s_cbranch_scc1 .LBB200_1395
; %bb.1392:
	s_cmp_gt_i32 s22, 3
	s_cbranch_scc0 .LBB200_1396
; %bb.1393:
	global_load_dwordx2 v[6:7], v[2:3], off
	s_mov_b64 s[0:1], 0
	s_waitcnt vmcnt(0)
	v_xor_b32_e32 v9, v6, v7
	v_ffbh_i32_e32 v1, v7
	v_ashrrev_i32_e32 v9, 31, v9
	v_add_u32_e32 v1, -1, v1
	v_add_u32_e32 v9, 32, v9
	v_min_u32_e32 v1, v1, v9
	v_lshlrev_b64 v[6:7], v1, v[6:7]
	v_min_u32_e32 v6, 1, v6
	v_or_b32_e32 v6, v7, v6
	v_cvt_f32_i32_e32 v6, v6
	v_sub_u32_e32 v1, 32, v1
	v_ldexp_f32 v7, v6, v1
	s_branch .LBB200_1397
.LBB200_1394:
	s_mov_b64 s[0:1], -1
                                        ; implicit-def: $vgpr7
	s_branch .LBB200_1403
.LBB200_1395:
	s_mov_b64 s[0:1], -1
                                        ; implicit-def: $vgpr7
	s_branch .LBB200_1400
.LBB200_1396:
	s_mov_b64 s[0:1], -1
                                        ; implicit-def: $vgpr7
.LBB200_1397:
	s_andn2_b64 vcc, exec, s[0:1]
	s_cbranch_vccnz .LBB200_1399
; %bb.1398:
	global_load_dword v1, v[2:3], off
	s_waitcnt vmcnt(0)
	v_cvt_f32_i32_e32 v7, v1
.LBB200_1399:
	s_mov_b64 s[0:1], 0
.LBB200_1400:
	s_andn2_b64 vcc, exec, s[0:1]
	s_cbranch_vccnz .LBB200_1402
; %bb.1401:
	global_load_sshort v1, v[2:3], off
	s_waitcnt vmcnt(0)
	v_cvt_f32_i32_e32 v7, v1
.LBB200_1402:
	s_mov_b64 s[0:1], 0
.LBB200_1403:
	s_andn2_b64 vcc, exec, s[0:1]
	s_cbranch_vccnz .LBB200_1409
; %bb.1404:
	s_cmp_gt_i32 s22, 0
	s_cbranch_scc0 .LBB200_1406
; %bb.1405:
	global_load_sbyte v1, v[2:3], off
	s_mov_b64 s[0:1], 0
	s_waitcnt vmcnt(0)
	v_cvt_f32_i32_e32 v7, v1
	s_branch .LBB200_1407
.LBB200_1406:
	s_mov_b64 s[0:1], -1
                                        ; implicit-def: $vgpr7
.LBB200_1407:
	s_andn2_b64 vcc, exec, s[0:1]
	s_cbranch_vccnz .LBB200_1409
; %bb.1408:
	global_load_ubyte v1, v[2:3], off
	s_waitcnt vmcnt(0)
	v_cvt_f32_ubyte0_e32 v7, v1
.LBB200_1409:
.LBB200_1410:
	v_add_u32_e32 v0, s9, v0
	v_ashrrev_i32_e32 v1, 31, v0
	s_cmp_lt_i32 s22, 11
	v_lshl_add_u64 v[0:1], s[6:7], 0, v[0:1]
	s_cbranch_scc1 .LBB200_1417
; %bb.1411:
	s_cmp_gt_i32 s22, 25
	s_mov_b64 s[6:7], 0
	s_cbranch_scc0 .LBB200_1418
; %bb.1412:
	s_cmp_gt_i32 s22, 28
	s_cbranch_scc0 .LBB200_1419
; %bb.1413:
	s_cmp_gt_i32 s22, 43
	;; [unrolled: 3-line block ×3, first 2 shown]
	s_cbranch_scc0 .LBB200_1422
; %bb.1415:
	s_cmp_eq_u32 s22, 46
	s_mov_b64 s[16:17], 0
	s_cbranch_scc0 .LBB200_1423
; %bb.1416:
	global_load_dword v2, v[0:1], off
	s_mov_b64 s[0:1], 0
	s_mov_b64 s[10:11], -1
	s_waitcnt vmcnt(0)
	v_lshlrev_b32_e32 v6, 16, v2
	s_branch .LBB200_1424
.LBB200_1417:
	s_mov_b64 s[0:1], -1
	s_mov_b64 s[10:11], 0
                                        ; implicit-def: $vgpr6
	s_branch .LBB200_1490
.LBB200_1418:
	s_mov_b64 s[16:17], -1
	s_mov_b64 s[10:11], 0
	s_mov_b64 s[0:1], 0
                                        ; implicit-def: $vgpr6
	s_branch .LBB200_1453
.LBB200_1419:
	s_mov_b64 s[16:17], -1
	s_mov_b64 s[10:11], 0
	s_mov_b64 s[0:1], 0
                                        ; implicit-def: $vgpr6
	s_branch .LBB200_1434
.LBB200_1420:
	s_mov_b64 s[16:17], -1
	s_mov_b64 s[10:11], 0
	s_mov_b64 s[0:1], 0
                                        ; implicit-def: $vgpr6
	s_branch .LBB200_1429
.LBB200_1421:
	s_trap 2
	s_or_b64 s[14:15], s[14:15], exec
	s_cbranch_execz .LBB200_1360
	s_branch .LBB200_1361
.LBB200_1422:
	s_mov_b64 s[16:17], -1
	s_mov_b64 s[10:11], 0
	s_mov_b64 s[0:1], 0
                                        ; implicit-def: $vgpr6
	s_branch .LBB200_1424
.LBB200_1423:
	s_mov_b64 s[0:1], -1
                                        ; implicit-def: $vgpr6
	s_mov_b64 s[10:11], 0
.LBB200_1424:
	s_and_b64 vcc, exec, s[16:17]
	s_cbranch_vccz .LBB200_1428
; %bb.1425:
	s_cmp_eq_u32 s22, 44
	s_cbranch_scc0 .LBB200_1427
; %bb.1426:
	global_load_ubyte v2, v[0:1], off
	s_movk_i32 s9, 0xff
	v_mov_b32_e32 v3, 0x7f800001
	v_mov_b32_e32 v6, 0x400000
	s_mov_b64 s[0:1], 0
	s_mov_b64 s[10:11], -1
	s_waitcnt vmcnt(0)
	v_lshlrev_b32_e32 v9, 23, v2
	v_cmp_ne_u32_e32 vcc, s9, v2
	s_nop 1
	v_cndmask_b32_e32 v3, v3, v9, vcc
	v_cmp_ne_u32_e32 vcc, 0, v2
	s_nop 1
	v_cndmask_b32_e32 v6, v6, v3, vcc
	s_branch .LBB200_1428
.LBB200_1427:
	s_mov_b64 s[0:1], -1
                                        ; implicit-def: $vgpr6
.LBB200_1428:
	s_mov_b64 s[16:17], 0
.LBB200_1429:
	s_and_b64 vcc, exec, s[16:17]
	s_cbranch_vccz .LBB200_1433
; %bb.1430:
	s_cmp_eq_u32 s22, 29
	s_cbranch_scc0 .LBB200_1432
; %bb.1431:
	global_load_dwordx2 v[2:3], v[0:1], off
	s_mov_b64 s[0:1], 0
	s_mov_b64 s[10:11], -1
	s_mov_b64 s[16:17], 0
	s_waitcnt vmcnt(0)
	v_ffbh_u32_e32 v6, v3
	v_min_u32_e32 v6, 32, v6
	v_lshlrev_b64 v[2:3], v6, v[2:3]
	v_min_u32_e32 v2, 1, v2
	v_or_b32_e32 v2, v3, v2
	v_cvt_f32_u32_e32 v2, v2
	v_sub_u32_e32 v3, 32, v6
	v_ldexp_f32 v6, v2, v3
	s_branch .LBB200_1434
.LBB200_1432:
	s_mov_b64 s[0:1], -1
                                        ; implicit-def: $vgpr6
.LBB200_1433:
	s_mov_b64 s[16:17], 0
.LBB200_1434:
	s_and_b64 vcc, exec, s[16:17]
	s_cbranch_vccz .LBB200_1452
; %bb.1435:
	s_cmp_lt_i32 s22, 27
	s_cbranch_scc1 .LBB200_1438
; %bb.1436:
	s_cmp_gt_i32 s22, 27
	s_cbranch_scc0 .LBB200_1439
; %bb.1437:
	global_load_dword v2, v[0:1], off
	s_mov_b64 s[10:11], 0
	s_waitcnt vmcnt(0)
	v_cvt_f32_u32_e32 v6, v2
	s_branch .LBB200_1440
.LBB200_1438:
	s_mov_b64 s[10:11], -1
                                        ; implicit-def: $vgpr6
	s_branch .LBB200_1443
.LBB200_1439:
	s_mov_b64 s[10:11], -1
                                        ; implicit-def: $vgpr6
.LBB200_1440:
	s_andn2_b64 vcc, exec, s[10:11]
	s_cbranch_vccnz .LBB200_1442
; %bb.1441:
	global_load_ushort v2, v[0:1], off
	s_waitcnt vmcnt(0)
	v_cvt_f32_u32_e32 v6, v2
.LBB200_1442:
	s_mov_b64 s[10:11], 0
.LBB200_1443:
	s_andn2_b64 vcc, exec, s[10:11]
	s_cbranch_vccnz .LBB200_1451
; %bb.1444:
	global_load_ubyte v2, v[0:1], off
	s_movk_i32 s9, 0x7f
	s_mov_b64 s[10:11], 0
	s_waitcnt vmcnt(0)
	v_cmp_lt_i16_e32 vcc, s9, v2
	s_and_saveexec_b64 s[16:17], vcc
	s_xor_b64 s[16:17], exec, s[16:17]
	s_cbranch_execz .LBB200_1465
; %bb.1445:
	s_movk_i32 s9, 0x80
	v_cmp_eq_u16_e32 vcc, s9, v2
	s_mov_b64 s[10:11], -1
	s_and_saveexec_b64 s[18:19], vcc
; %bb.1446:
	s_xor_b64 s[10:11], exec, -1
; %bb.1447:
	s_or_b64 exec, exec, s[18:19]
	s_and_b64 s[10:11], s[10:11], exec
	s_or_saveexec_b64 s[16:17], s[16:17]
	v_mov_b32_e32 v6, 0x7f800001
	s_xor_b64 exec, exec, s[16:17]
	s_cbranch_execnz .LBB200_1466
.LBB200_1448:
	s_or_b64 exec, exec, s[16:17]
	s_and_saveexec_b64 s[16:17], s[10:11]
	s_cbranch_execz .LBB200_1450
.LBB200_1449:
	v_lshlrev_b32_e32 v3, 24, v2
	v_and_b32_e32 v2, 0xffff, v2
	v_and_b32_e32 v6, 7, v2
	v_ffbh_u32_e32 v10, v6
	v_min_u32_e32 v10, 32, v10
	v_subrev_u32_e32 v11, 28, v10
	v_bfe_u32 v9, v2, 3, 4
	v_lshlrev_b32_e32 v2, v11, v2
	v_sub_u32_e32 v10, 29, v10
	v_and_b32_e32 v2, 7, v2
	v_cmp_eq_u32_e32 vcc, 0, v9
	v_and_b32_e32 v3, 0x80000000, v3
	s_nop 0
	v_cndmask_b32_e32 v9, v9, v10, vcc
	v_cndmask_b32_e32 v2, v6, v2, vcc
	v_mov_b32_e32 v6, 0x3b800000
	v_lshlrev_b32_e32 v2, 20, v2
	v_lshl_add_u32 v6, v9, 23, v6
	v_or3_b32 v6, v3, v6, v2
.LBB200_1450:
	s_or_b64 exec, exec, s[16:17]
.LBB200_1451:
	s_mov_b64 s[10:11], -1
.LBB200_1452:
	s_mov_b64 s[16:17], 0
.LBB200_1453:
	s_and_b64 vcc, exec, s[16:17]
	s_cbranch_vccz .LBB200_1486
; %bb.1454:
	s_cmp_gt_i32 s22, 22
	s_cbranch_scc0 .LBB200_1464
; %bb.1455:
	s_cmp_lt_i32 s22, 24
	s_cbranch_scc1 .LBB200_1467
; %bb.1456:
	s_cmp_gt_i32 s22, 24
	s_cbranch_scc0 .LBB200_1468
; %bb.1457:
	global_load_ubyte v2, v[0:1], off
	s_movk_i32 s6, 0x7f
	s_waitcnt vmcnt(0)
	v_cmp_lt_i16_e32 vcc, s6, v2
	s_mov_b64 s[6:7], 0
	s_and_saveexec_b64 s[10:11], vcc
	s_xor_b64 s[10:11], exec, s[10:11]
	s_cbranch_execz .LBB200_1480
; %bb.1458:
	s_movk_i32 s6, 0x80
	v_cmp_eq_u16_e32 vcc, s6, v2
	s_mov_b64 s[6:7], -1
	s_and_saveexec_b64 s[16:17], vcc
; %bb.1459:
	s_xor_b64 s[6:7], exec, -1
; %bb.1460:
	s_or_b64 exec, exec, s[16:17]
	s_and_b64 s[6:7], s[6:7], exec
	s_or_saveexec_b64 s[10:11], s[10:11]
	v_mov_b32_e32 v6, 0x7f800001
	s_xor_b64 exec, exec, s[10:11]
	s_cbranch_execnz .LBB200_1481
.LBB200_1461:
	s_or_b64 exec, exec, s[10:11]
	s_and_saveexec_b64 s[10:11], s[6:7]
	s_cbranch_execz .LBB200_1463
.LBB200_1462:
	v_lshlrev_b32_e32 v3, 24, v2
	v_and_b32_e32 v2, 0xffff, v2
	v_and_b32_e32 v6, 3, v2
	v_ffbh_u32_e32 v10, v6
	v_min_u32_e32 v10, 32, v10
	v_subrev_u32_e32 v11, 29, v10
	v_bfe_u32 v9, v2, 2, 5
	v_lshlrev_b32_e32 v2, v11, v2
	v_sub_u32_e32 v10, 30, v10
	v_and_b32_e32 v2, 3, v2
	v_cmp_eq_u32_e32 vcc, 0, v9
	v_and_b32_e32 v3, 0x80000000, v3
	s_nop 0
	v_cndmask_b32_e32 v9, v9, v10, vcc
	v_cndmask_b32_e32 v2, v6, v2, vcc
	v_mov_b32_e32 v6, 0x37800000
	v_lshlrev_b32_e32 v2, 21, v2
	v_lshl_add_u32 v6, v9, 23, v6
	v_or3_b32 v6, v3, v6, v2
.LBB200_1463:
	s_or_b64 exec, exec, s[10:11]
	s_mov_b64 s[6:7], 0
	s_branch .LBB200_1469
.LBB200_1464:
	s_mov_b64 s[6:7], -1
                                        ; implicit-def: $vgpr6
	s_branch .LBB200_1475
.LBB200_1465:
	s_or_saveexec_b64 s[16:17], s[16:17]
	v_mov_b32_e32 v6, 0x7f800001
	s_xor_b64 exec, exec, s[16:17]
	s_cbranch_execz .LBB200_1448
.LBB200_1466:
	v_cmp_ne_u16_e32 vcc, 0, v2
	s_andn2_b64 s[10:11], s[10:11], exec
	s_and_b64 s[18:19], vcc, exec
	v_mov_b32_e32 v6, 0
	s_or_b64 s[10:11], s[10:11], s[18:19]
	s_or_b64 exec, exec, s[16:17]
	s_and_saveexec_b64 s[16:17], s[10:11]
	s_cbranch_execnz .LBB200_1449
	s_branch .LBB200_1450
.LBB200_1467:
	s_mov_b64 s[6:7], -1
                                        ; implicit-def: $vgpr6
	s_branch .LBB200_1472
.LBB200_1468:
	s_mov_b64 s[6:7], -1
                                        ; implicit-def: $vgpr6
.LBB200_1469:
	s_and_b64 vcc, exec, s[6:7]
	s_cbranch_vccz .LBB200_1471
; %bb.1470:
	global_load_ubyte v2, v[0:1], off
	s_mov_b32 s6, 0x7f800000
	s_waitcnt vmcnt(0)
	v_lshlrev_b32_e32 v2, 24, v2
	v_and_b32_e32 v3, 0x7f000000, v2
	v_ffbh_u32_e32 v6, v3
	v_min_u32_e32 v6, 32, v6
	v_sub_u32_e64 v6, v6, 4 clamp
	v_lshlrev_b32_e32 v10, v6, v3
	v_lshlrev_b32_e32 v6, 23, v6
	v_lshrrev_b32_e32 v10, 4, v10
	v_add_u32_e32 v9, 0x1000000, v3
	v_sub_u32_e32 v6, v10, v6
	v_ashrrev_i32_e32 v9, 8, v9
	v_add_u32_e32 v6, 0x3c000000, v6
	v_and_or_b32 v6, v9, s6, v6
	v_cmp_ne_u32_e32 vcc, 0, v3
	s_brev_b32 s6, 1
	s_nop 0
	v_cndmask_b32_e32 v3, 0, v6, vcc
	v_and_or_b32 v6, v2, s6, v3
.LBB200_1471:
	s_mov_b64 s[6:7], 0
.LBB200_1472:
	s_andn2_b64 vcc, exec, s[6:7]
	s_cbranch_vccnz .LBB200_1474
; %bb.1473:
	global_load_ubyte v2, v[0:1], off
	s_movk_i32 s6, 0x7f00
	s_brev_b32 s7, 16
	s_waitcnt vmcnt(0)
	v_lshlrev_b16_e32 v3, 8, v2
	v_lshlrev_b32_e32 v2, 25, v2
	v_lshrrev_b32_e32 v6, 4, v2
	v_and_or_b32 v9, v3, s6, 0.5
	v_or_b32_e32 v6, 0x70000000, v6
	v_add_f32_e32 v9, -0.5, v9
	v_mul_f32_e32 v6, 0x7800000, v6
	v_cmp_gt_u32_e32 vcc, s7, v2
	v_bfe_i32 v3, v3, 0, 16
	s_brev_b32 s6, 1
	v_cndmask_b32_e32 v2, v6, v9, vcc
	v_and_or_b32 v6, v3, s6, v2
.LBB200_1474:
	s_mov_b64 s[6:7], 0
	s_mov_b64 s[10:11], -1
.LBB200_1475:
	s_andn2_b64 vcc, exec, s[6:7]
	s_mov_b64 s[6:7], 0
	s_cbranch_vccnz .LBB200_1486
; %bb.1476:
	s_cmp_gt_i32 s22, 14
	s_cbranch_scc0 .LBB200_1479
; %bb.1477:
	s_cmp_eq_u32 s22, 15
	s_cbranch_scc0 .LBB200_1482
; %bb.1478:
	global_load_ushort v2, v[0:1], off
	s_mov_b64 s[0:1], 0
	s_mov_b64 s[10:11], -1
	s_waitcnt vmcnt(0)
	v_lshlrev_b32_e32 v6, 16, v2
	s_branch .LBB200_1483
.LBB200_1479:
	s_mov_b64 s[16:17], -1
                                        ; implicit-def: $vgpr6
	s_branch .LBB200_1484
.LBB200_1480:
	s_or_saveexec_b64 s[10:11], s[10:11]
	v_mov_b32_e32 v6, 0x7f800001
	s_xor_b64 exec, exec, s[10:11]
	s_cbranch_execz .LBB200_1461
.LBB200_1481:
	v_cmp_ne_u16_e32 vcc, 0, v2
	s_andn2_b64 s[6:7], s[6:7], exec
	s_and_b64 s[16:17], vcc, exec
	v_mov_b32_e32 v6, 0
	s_or_b64 s[6:7], s[6:7], s[16:17]
	s_or_b64 exec, exec, s[10:11]
	s_and_saveexec_b64 s[10:11], s[6:7]
	s_cbranch_execnz .LBB200_1462
	s_branch .LBB200_1463
.LBB200_1482:
	s_mov_b64 s[0:1], -1
                                        ; implicit-def: $vgpr6
.LBB200_1483:
	s_mov_b64 s[16:17], 0
.LBB200_1484:
	s_and_b64 vcc, exec, s[16:17]
	s_cbranch_vccz .LBB200_1486
; %bb.1485:
	s_cmp_lg_u32 s22, 11
	s_mov_b64 s[6:7], -1
	s_cselect_b64 s[0:1], -1, 0
.LBB200_1486:
	s_and_b64 vcc, exec, s[0:1]
	s_cbranch_vccnz .LBB200_2019
; %bb.1487:
	s_andn2_b64 vcc, exec, s[6:7]
	s_cbranch_vccnz .LBB200_1489
.LBB200_1488:
	global_load_ubyte v2, v[0:1], off
	s_mov_b64 s[10:11], -1
	s_waitcnt vmcnt(0)
	v_cmp_ne_u16_e32 vcc, 0, v2
	s_nop 1
	v_cndmask_b32_e64 v6, 0, 1.0, vcc
.LBB200_1489:
	s_mov_b64 s[0:1], 0
.LBB200_1490:
	s_and_b64 vcc, exec, s[0:1]
	s_cbranch_vccz .LBB200_1539
; %bb.1491:
	s_cmp_lt_i32 s22, 5
	s_cbranch_scc1 .LBB200_1496
; %bb.1492:
	s_cmp_lt_i32 s22, 8
	s_cbranch_scc1 .LBB200_1497
	;; [unrolled: 3-line block ×3, first 2 shown]
; %bb.1494:
	s_cmp_gt_i32 s22, 9
	s_cbranch_scc0 .LBB200_1499
; %bb.1495:
	global_load_dwordx2 v[2:3], v[0:1], off
	s_mov_b64 s[0:1], 0
	s_waitcnt vmcnt(0)
	v_cvt_f32_f64_e32 v6, v[2:3]
	s_branch .LBB200_1500
.LBB200_1496:
	s_mov_b64 s[0:1], -1
                                        ; implicit-def: $vgpr6
	s_branch .LBB200_1518
.LBB200_1497:
	s_mov_b64 s[0:1], -1
                                        ; implicit-def: $vgpr6
	s_branch .LBB200_1506
.LBB200_1498:
	s_mov_b64 s[0:1], -1
                                        ; implicit-def: $vgpr6
	s_branch .LBB200_1503
.LBB200_1499:
	s_mov_b64 s[0:1], -1
                                        ; implicit-def: $vgpr6
.LBB200_1500:
	s_andn2_b64 vcc, exec, s[0:1]
	s_cbranch_vccnz .LBB200_1502
; %bb.1501:
	global_load_dword v6, v[0:1], off
.LBB200_1502:
	s_mov_b64 s[0:1], 0
.LBB200_1503:
	s_andn2_b64 vcc, exec, s[0:1]
	s_cbranch_vccnz .LBB200_1505
; %bb.1504:
	global_load_dword v2, v[0:1], off
	s_waitcnt vmcnt(0)
	v_cvt_f32_f16_e32 v6, v2
.LBB200_1505:
	s_mov_b64 s[0:1], 0
.LBB200_1506:
	s_andn2_b64 vcc, exec, s[0:1]
	s_cbranch_vccnz .LBB200_1517
; %bb.1507:
	s_cmp_lt_i32 s22, 6
	s_cbranch_scc1 .LBB200_1510
; %bb.1508:
	s_cmp_gt_i32 s22, 6
	s_cbranch_scc0 .LBB200_1511
; %bb.1509:
	global_load_dwordx2 v[2:3], v[0:1], off
	s_mov_b64 s[0:1], 0
	s_waitcnt vmcnt(0)
	v_cvt_f32_f64_e32 v6, v[2:3]
	s_branch .LBB200_1512
.LBB200_1510:
	s_mov_b64 s[0:1], -1
                                        ; implicit-def: $vgpr6
	s_branch .LBB200_1515
.LBB200_1511:
	s_mov_b64 s[0:1], -1
                                        ; implicit-def: $vgpr6
.LBB200_1512:
	s_andn2_b64 vcc, exec, s[0:1]
	s_cbranch_vccnz .LBB200_1514
; %bb.1513:
	global_load_dword v6, v[0:1], off
.LBB200_1514:
	s_mov_b64 s[0:1], 0
.LBB200_1515:
	s_andn2_b64 vcc, exec, s[0:1]
	s_cbranch_vccnz .LBB200_1517
; %bb.1516:
	global_load_ushort v2, v[0:1], off
	s_waitcnt vmcnt(0)
	v_cvt_f32_f16_e32 v6, v2
.LBB200_1517:
	s_mov_b64 s[0:1], 0
.LBB200_1518:
	s_andn2_b64 vcc, exec, s[0:1]
	s_cbranch_vccnz .LBB200_1538
; %bb.1519:
	s_cmp_lt_i32 s22, 2
	s_cbranch_scc1 .LBB200_1523
; %bb.1520:
	s_cmp_lt_i32 s22, 3
	s_cbranch_scc1 .LBB200_1524
; %bb.1521:
	s_cmp_gt_i32 s22, 3
	s_cbranch_scc0 .LBB200_1525
; %bb.1522:
	global_load_dwordx2 v[2:3], v[0:1], off
	s_mov_b64 s[0:1], 0
	s_waitcnt vmcnt(0)
	v_xor_b32_e32 v9, v2, v3
	v_ffbh_i32_e32 v6, v3
	v_ashrrev_i32_e32 v9, 31, v9
	v_add_u32_e32 v6, -1, v6
	v_add_u32_e32 v9, 32, v9
	v_min_u32_e32 v6, v6, v9
	v_lshlrev_b64 v[2:3], v6, v[2:3]
	v_min_u32_e32 v2, 1, v2
	v_or_b32_e32 v2, v3, v2
	v_cvt_f32_i32_e32 v2, v2
	v_sub_u32_e32 v3, 32, v6
	v_ldexp_f32 v6, v2, v3
	s_branch .LBB200_1526
.LBB200_1523:
	s_mov_b64 s[0:1], -1
                                        ; implicit-def: $vgpr6
	s_branch .LBB200_1532
.LBB200_1524:
	s_mov_b64 s[0:1], -1
                                        ; implicit-def: $vgpr6
	s_branch .LBB200_1529
.LBB200_1525:
	s_mov_b64 s[0:1], -1
                                        ; implicit-def: $vgpr6
.LBB200_1526:
	s_andn2_b64 vcc, exec, s[0:1]
	s_cbranch_vccnz .LBB200_1528
; %bb.1527:
	global_load_dword v2, v[0:1], off
	s_waitcnt vmcnt(0)
	v_cvt_f32_i32_e32 v6, v2
.LBB200_1528:
	s_mov_b64 s[0:1], 0
.LBB200_1529:
	s_andn2_b64 vcc, exec, s[0:1]
	s_cbranch_vccnz .LBB200_1531
; %bb.1530:
	global_load_sshort v2, v[0:1], off
	s_waitcnt vmcnt(0)
	v_cvt_f32_i32_e32 v6, v2
.LBB200_1531:
	s_mov_b64 s[0:1], 0
.LBB200_1532:
	s_andn2_b64 vcc, exec, s[0:1]
	s_cbranch_vccnz .LBB200_1538
; %bb.1533:
	s_cmp_gt_i32 s22, 0
	s_cbranch_scc0 .LBB200_1535
; %bb.1534:
	global_load_sbyte v2, v[0:1], off
	s_mov_b64 s[0:1], 0
	s_waitcnt vmcnt(0)
	v_cvt_f32_i32_e32 v6, v2
	s_branch .LBB200_1536
.LBB200_1535:
	s_mov_b64 s[0:1], -1
                                        ; implicit-def: $vgpr6
.LBB200_1536:
	s_andn2_b64 vcc, exec, s[0:1]
	s_cbranch_vccnz .LBB200_1538
; %bb.1537:
	global_load_ubyte v0, v[0:1], off
	s_waitcnt vmcnt(0)
	v_cvt_f32_ubyte0_e32 v6, v0
.LBB200_1538:
	s_mov_b64 s[10:11], -1
.LBB200_1539:
	s_andn2_b64 vcc, exec, s[10:11]
	s_cbranch_vccnz .LBB200_1973
; %bb.1540:
	s_waitcnt vmcnt(0)
	v_cvt_f64_f32_e32 v[0:1], v4
	v_rsq_f64_e32 v[2:3], v[0:1]
	s_mov_b32 s0, 0
	s_mov_b32 s1, 0x3fd80000
	v_mov_b32_e32 v4, 0x180
	v_mul_f64 v[0:1], v[2:3], -v[0:1]
	v_fma_f64 v[0:1], v[0:1], v[2:3], 1.0
	v_mul_f64 v[10:11], v[2:3], v[0:1]
	v_fma_f64 v[0:1], v[0:1], s[0:1], 0.5
	v_fma_f64 v[0:1], v[10:11], v[0:1], v[2:3]
	v_cmp_class_f64_e32 vcc, v[2:3], v4
	s_and_b32 s20, s33, 0xff
	s_cmp_lt_i32 s20, 11
	v_cndmask_b32_e32 v1, v3, v1, vcc
	v_cndmask_b32_e32 v0, v2, v0, vcc
	v_cvt_f32_f64_e32 v4, v[0:1]
	v_mul_lo_u32 v0, s8, v5
	v_ashrrev_i32_e32 v1, 31, v0
	v_lshl_add_u64 v[2:3], s[4:5], 0, v[0:1]
	s_cbranch_scc1 .LBB200_1618
; %bb.1541:
	s_and_b32 s9, 0xffff, s20
	s_mov_b64 s[16:17], -1
	s_mov_b64 s[6:7], 0
	s_cmp_gt_i32 s9, 25
	s_mov_b64 s[10:11], 0
	s_mov_b64 s[0:1], 0
	s_cbranch_scc0 .LBB200_1574
; %bb.1542:
	s_cmp_gt_i32 s9, 28
	s_cbranch_scc0 .LBB200_1557
; %bb.1543:
	s_cmp_gt_i32 s9, 43
	;; [unrolled: 3-line block ×3, first 2 shown]
	s_cbranch_scc0 .LBB200_1547
; %bb.1545:
	s_mov_b64 s[0:1], -1
	s_mov_b64 s[16:17], 0
	s_cmp_eq_u32 s9, 46
	s_cbranch_scc0 .LBB200_1547
; %bb.1546:
	v_bfe_u32 v1, v4, 16, 1
	s_movk_i32 s0, 0x7fff
	v_add3_u32 v1, v4, v1, s0
	v_cmp_o_f32_e32 vcc, v4, v4
	v_mov_b32_e32 v5, 0x7fc0
	s_mov_b64 s[0:1], 0
	v_cndmask_b32_sdwa v1, v5, v1, vcc dst_sel:DWORD dst_unused:UNUSED_PAD src0_sel:DWORD src1_sel:WORD_1
	global_store_dword v[2:3], v1, off
	s_mov_b64 s[10:11], -1
.LBB200_1547:
	s_and_b64 vcc, exec, s[16:17]
	s_cbranch_vccz .LBB200_1552
; %bb.1548:
	s_cmp_eq_u32 s9, 44
	s_mov_b64 s[0:1], -1
	s_cbranch_scc0 .LBB200_1552
; %bb.1549:
	v_bfe_u32 v1, v4, 23, 8
	s_movk_i32 s0, 0xff
	v_cmp_ne_u32_e32 vcc, s0, v1
	v_mov_b32_e32 v5, 0xff
	s_and_saveexec_b64 s[10:11], vcc
; %bb.1550:
	s_mov_b32 s0, 0x3fffff
	v_and_b32_e32 v9, 0x400000, v4
	v_and_or_b32 v1, v4, s0, v1
	v_cmp_ne_u32_e32 vcc, 0, v9
	v_cmp_ne_u32_e64 s[0:1], 0, v1
	s_and_b64 s[0:1], vcc, s[0:1]
	v_lshrrev_b32_e32 v5, 23, v4
	v_cndmask_b32_e64 v1, 0, 1, s[0:1]
	v_add_u32_e32 v5, v5, v1
; %bb.1551:
	s_or_b64 exec, exec, s[10:11]
	s_mov_b64 s[0:1], 0
	s_mov_b64 s[10:11], -1
	global_store_byte v[2:3], v5, off
.LBB200_1552:
	s_mov_b64 s[16:17], 0
.LBB200_1553:
	s_and_b64 vcc, exec, s[16:17]
	s_cbranch_vccz .LBB200_1556
; %bb.1554:
	s_cmp_eq_u32 s9, 29
	s_mov_b64 s[0:1], -1
	s_cbranch_scc0 .LBB200_1556
; %bb.1555:
	v_trunc_f32_e32 v1, v4
	v_mul_f32_e32 v5, 0x2f800000, v1
	v_floor_f32_e32 v5, v5
	v_fmamk_f32 v1, v5, 0xcf800000, v1
	v_cvt_u32_f32_e32 v11, v5
	v_cvt_u32_f32_e32 v10, v1
	s_mov_b64 s[0:1], 0
	s_mov_b64 s[10:11], -1
	global_store_dwordx2 v[2:3], v[10:11], off
.LBB200_1556:
	s_mov_b64 s[16:17], 0
.LBB200_1557:
	s_and_b64 vcc, exec, s[16:17]
	s_cbranch_vccz .LBB200_1573
; %bb.1558:
	s_cmp_lt_i32 s9, 27
	s_mov_b64 s[10:11], -1
	s_cbranch_scc1 .LBB200_1564
; %bb.1559:
	v_cvt_u32_f32_e32 v1, v4
	s_cmp_gt_i32 s9, 27
	s_cbranch_scc0 .LBB200_1561
; %bb.1560:
	s_mov_b64 s[10:11], 0
	global_store_dword v[2:3], v1, off
.LBB200_1561:
	s_andn2_b64 vcc, exec, s[10:11]
	s_cbranch_vccnz .LBB200_1563
; %bb.1562:
	global_store_short v[2:3], v1, off
.LBB200_1563:
	s_mov_b64 s[10:11], 0
.LBB200_1564:
	s_andn2_b64 vcc, exec, s[10:11]
	s_cbranch_vccnz .LBB200_1572
; %bb.1565:
	v_and_b32_e32 v1, 0x7fffffff, v4
	s_mov_b32 s10, 0x43800000
	v_cmp_gt_u32_e32 vcc, s10, v1
	v_mov_b32_e32 v5, 0x80
	s_and_saveexec_b64 s[10:11], vcc
	s_cbranch_execz .LBB200_1571
; %bb.1566:
	s_mov_b32 s16, 0x3bffffff
	v_cmp_lt_u32_e32 vcc, s16, v1
	s_mov_b64 s[16:17], 0
                                        ; implicit-def: $vgpr1
	s_and_saveexec_b64 s[18:19], vcc
	s_xor_b64 s[18:19], exec, s[18:19]
	s_cbranch_execz .LBB200_2020
; %bb.1567:
	v_bfe_u32 v1, v4, 20, 1
	s_mov_b32 s21, 0x487ffff
	v_add3_u32 v1, v4, v1, s21
	s_mov_b64 s[16:17], exec
	v_lshrrev_b32_e32 v1, 20, v1
	s_andn2_saveexec_b64 s[18:19], s[18:19]
	s_cbranch_execnz .LBB200_2021
.LBB200_1568:
	s_or_b64 exec, exec, s[18:19]
	v_mov_b32_e32 v5, 0
	s_and_saveexec_b64 s[18:19], s[16:17]
.LBB200_1569:
	v_lshrrev_b32_e32 v5, 24, v4
	s_movk_i32 s16, 0x80
	v_and_or_b32 v5, v5, s16, v1
.LBB200_1570:
	s_or_b64 exec, exec, s[18:19]
.LBB200_1571:
	s_or_b64 exec, exec, s[10:11]
	global_store_byte v[2:3], v5, off
.LBB200_1572:
	s_mov_b64 s[10:11], -1
.LBB200_1573:
	s_mov_b64 s[16:17], 0
.LBB200_1574:
	s_and_b64 vcc, exec, s[16:17]
	s_cbranch_vccz .LBB200_1614
; %bb.1575:
	s_cmp_gt_i32 s9, 22
	s_mov_b64 s[6:7], -1
	s_cbranch_scc0 .LBB200_1607
; %bb.1576:
	s_cmp_lt_i32 s9, 24
	s_cbranch_scc1 .LBB200_1596
; %bb.1577:
	s_cmp_gt_i32 s9, 24
	s_cbranch_scc0 .LBB200_1585
; %bb.1578:
	v_and_b32_e32 v1, 0x7fffffff, v4
	s_mov_b32 s6, 0x47800000
	v_cmp_gt_u32_e32 vcc, s6, v1
	v_mov_b32_e32 v5, 0x80
	s_and_saveexec_b64 s[6:7], vcc
	s_cbranch_execz .LBB200_1584
; %bb.1579:
	s_mov_b32 s10, 0x37ffffff
	v_cmp_lt_u32_e32 vcc, s10, v1
	s_mov_b64 s[10:11], 0
                                        ; implicit-def: $vgpr1
	s_and_saveexec_b64 s[16:17], vcc
	s_xor_b64 s[16:17], exec, s[16:17]
	s_cbranch_execz .LBB200_2023
; %bb.1580:
	v_bfe_u32 v1, v4, 21, 1
	s_mov_b32 s18, 0x88fffff
	v_add3_u32 v1, v4, v1, s18
	s_mov_b64 s[10:11], exec
	v_lshrrev_b32_e32 v1, 21, v1
	s_andn2_saveexec_b64 s[16:17], s[16:17]
	s_cbranch_execnz .LBB200_2024
.LBB200_1581:
	s_or_b64 exec, exec, s[16:17]
	v_mov_b32_e32 v5, 0
	s_and_saveexec_b64 s[16:17], s[10:11]
.LBB200_1582:
	v_lshrrev_b32_e32 v5, 24, v4
	s_movk_i32 s10, 0x80
	v_and_or_b32 v5, v5, s10, v1
.LBB200_1583:
	s_or_b64 exec, exec, s[16:17]
.LBB200_1584:
	s_or_b64 exec, exec, s[6:7]
	s_mov_b64 s[6:7], 0
	global_store_byte v[2:3], v5, off
.LBB200_1585:
	s_and_b64 vcc, exec, s[6:7]
	s_cbranch_vccz .LBB200_1595
; %bb.1586:
	v_and_b32_e32 v5, 0x7fffffff, v4
	s_mov_b32 s6, 0x43f00000
	v_cmp_gt_u32_e32 vcc, s6, v5
                                        ; implicit-def: $vgpr1
	s_and_saveexec_b64 s[6:7], vcc
	s_xor_b64 s[6:7], exec, s[6:7]
	s_cbranch_execz .LBB200_1592
; %bb.1587:
	s_mov_b32 s10, 0x3c7fffff
	v_cmp_lt_u32_e32 vcc, s10, v5
                                        ; implicit-def: $vgpr1
	s_and_saveexec_b64 s[10:11], vcc
	s_xor_b64 s[10:11], exec, s[10:11]
; %bb.1588:
	v_bfe_u32 v1, v4, 20, 1
	s_mov_b32 s16, 0x407ffff
	v_add3_u32 v1, v4, v1, s16
	v_lshrrev_b32_e32 v5, 20, v1
	v_and_b32_e32 v1, 0xff00000, v1
	s_mov_b32 s16, 0x7f00000
	v_mov_b32_e32 v9, 0x7e
	v_cmp_ne_u32_e32 vcc, s16, v1
	s_nop 1
	v_cndmask_b32_e32 v1, v9, v5, vcc
; %bb.1589:
	s_andn2_saveexec_b64 s[10:11], s[10:11]
; %bb.1590:
	s_mov_b32 s16, 0x46800000
	v_add_f32_e64 v1, |v4|, s16
; %bb.1591:
	s_or_b64 exec, exec, s[10:11]
                                        ; implicit-def: $vgpr5
.LBB200_1592:
	s_andn2_saveexec_b64 s[6:7], s[6:7]
; %bb.1593:
	s_mov_b32 s10, 0x7f800000
	v_mov_b32_e32 v1, 0x7e
	v_mov_b32_e32 v9, 0x7f
	v_cmp_lt_u32_e32 vcc, s10, v5
	s_nop 1
	v_cndmask_b32_e32 v1, v1, v9, vcc
; %bb.1594:
	s_or_b64 exec, exec, s[6:7]
	v_lshrrev_b32_e32 v5, 24, v4
	s_movk_i32 s6, 0x80
	v_and_or_b32 v1, v5, s6, v1
	global_store_byte v[2:3], v1, off
.LBB200_1595:
	s_mov_b64 s[6:7], 0
.LBB200_1596:
	s_andn2_b64 vcc, exec, s[6:7]
	s_cbranch_vccnz .LBB200_1606
; %bb.1597:
	v_and_b32_e32 v5, 0x7fffffff, v4
	s_mov_b32 s6, 0x47800000
	v_cmp_gt_u32_e32 vcc, s6, v5
                                        ; implicit-def: $vgpr1
	s_and_saveexec_b64 s[6:7], vcc
	s_xor_b64 s[6:7], exec, s[6:7]
	s_cbranch_execz .LBB200_1603
; %bb.1598:
	s_mov_b32 s10, 0x387fffff
	v_cmp_lt_u32_e32 vcc, s10, v5
                                        ; implicit-def: $vgpr1
	s_and_saveexec_b64 s[10:11], vcc
	s_xor_b64 s[10:11], exec, s[10:11]
; %bb.1599:
	v_bfe_u32 v1, v4, 21, 1
	s_mov_b32 s16, 0x80fffff
	v_add3_u32 v1, v4, v1, s16
	v_lshrrev_b32_e32 v1, 21, v1
; %bb.1600:
	s_andn2_saveexec_b64 s[10:11], s[10:11]
; %bb.1601:
	s_mov_b32 s16, 0x43000000
	v_add_f32_e64 v1, |v4|, s16
; %bb.1602:
	s_or_b64 exec, exec, s[10:11]
                                        ; implicit-def: $vgpr5
.LBB200_1603:
	s_andn2_saveexec_b64 s[6:7], s[6:7]
; %bb.1604:
	s_mov_b32 s10, 0x7f800000
	v_mov_b32_e32 v1, 0x7c
	v_mov_b32_e32 v9, 0x7f
	v_cmp_lt_u32_e32 vcc, s10, v5
	s_nop 1
	v_cndmask_b32_e32 v1, v1, v9, vcc
; %bb.1605:
	s_or_b64 exec, exec, s[6:7]
	v_lshrrev_b32_e32 v5, 24, v4
	s_movk_i32 s6, 0x80
	v_and_or_b32 v1, v5, s6, v1
	global_store_byte v[2:3], v1, off
.LBB200_1606:
	s_mov_b64 s[6:7], 0
	s_mov_b64 s[10:11], -1
.LBB200_1607:
	s_andn2_b64 vcc, exec, s[6:7]
	s_mov_b64 s[6:7], 0
	s_cbranch_vccnz .LBB200_1614
; %bb.1608:
	s_cmp_gt_i32 s9, 14
	s_mov_b64 s[16:17], -1
	s_cbranch_scc0 .LBB200_1612
; %bb.1609:
	s_cmp_eq_u32 s9, 15
	s_mov_b64 s[0:1], -1
	s_cbranch_scc0 .LBB200_1611
; %bb.1610:
	v_bfe_u32 v1, v4, 16, 1
	s_movk_i32 s0, 0x7fff
	v_add3_u32 v1, v4, v1, s0
	v_cmp_o_f32_e32 vcc, v4, v4
	v_mov_b32_e32 v5, 0x7fc0
	s_mov_b64 s[0:1], 0
	v_cndmask_b32_sdwa v1, v5, v1, vcc dst_sel:DWORD dst_unused:UNUSED_PAD src0_sel:DWORD src1_sel:WORD_1
	global_store_short v[2:3], v1, off
	s_mov_b64 s[10:11], -1
.LBB200_1611:
	s_mov_b64 s[16:17], 0
.LBB200_1612:
	s_and_b64 vcc, exec, s[16:17]
	s_cbranch_vccz .LBB200_1614
; %bb.1613:
	s_cmp_lg_u32 s9, 11
	s_mov_b64 s[6:7], -1
	s_cselect_b64 s[0:1], -1, 0
.LBB200_1614:
	s_and_b64 vcc, exec, s[0:1]
	s_cbranch_vccnz .LBB200_2022
; %bb.1615:
	s_andn2_b64 vcc, exec, s[6:7]
	s_cbranch_vccnz .LBB200_1617
.LBB200_1616:
	v_cmp_neq_f32_e32 vcc, 0, v4
	s_mov_b64 s[10:11], -1
	s_nop 0
	v_cndmask_b32_e64 v1, 0, 1, vcc
	global_store_byte v[2:3], v1, off
.LBB200_1617:
	s_mov_b64 s[0:1], 0
	s_branch .LBB200_1619
.LBB200_1618:
	s_mov_b64 s[0:1], -1
	s_mov_b64 s[10:11], 0
.LBB200_1619:
	s_and_b64 vcc, exec, s[0:1]
	s_cbranch_vccz .LBB200_1658
; %bb.1620:
	s_and_b32 s6, 0xffff, s20
	s_cmp_lt_i32 s6, 5
	s_mov_b64 s[0:1], -1
	s_cbranch_scc1 .LBB200_1641
; %bb.1621:
	s_cmp_lt_i32 s6, 8
	s_cbranch_scc1 .LBB200_1631
; %bb.1622:
	s_cmp_lt_i32 s6, 9
	s_cbranch_scc1 .LBB200_1628
; %bb.1623:
	s_cmp_gt_i32 s6, 9
	s_cbranch_scc0 .LBB200_1625
; %bb.1624:
	v_mov_b32_e32 v12, 0
	v_cvt_f64_f32_e32 v[10:11], v4
	v_mov_b32_e32 v13, v12
	global_store_dwordx4 v[2:3], v[10:13], off
	s_mov_b64 s[0:1], 0
.LBB200_1625:
	s_andn2_b64 vcc, exec, s[0:1]
	s_cbranch_vccnz .LBB200_1627
; %bb.1626:
	v_mov_b32_e32 v5, 0
	global_store_dwordx2 v[2:3], v[4:5], off
.LBB200_1627:
	s_mov_b64 s[0:1], 0
.LBB200_1628:
	s_andn2_b64 vcc, exec, s[0:1]
	s_cbranch_vccnz .LBB200_1630
; %bb.1629:
	v_cvt_f16_f32_e32 v1, v4
	global_store_dword v[2:3], v1, off
.LBB200_1630:
	s_mov_b64 s[0:1], 0
.LBB200_1631:
	s_andn2_b64 vcc, exec, s[0:1]
	s_cbranch_vccnz .LBB200_1640
; %bb.1632:
	s_cmp_lt_i32 s6, 6
	s_mov_b64 s[0:1], -1
	s_cbranch_scc1 .LBB200_1638
; %bb.1633:
	s_cmp_gt_i32 s6, 6
	s_cbranch_scc0 .LBB200_1635
; %bb.1634:
	v_cvt_f64_f32_e32 v[10:11], v4
	global_store_dwordx2 v[2:3], v[10:11], off
	s_mov_b64 s[0:1], 0
.LBB200_1635:
	s_andn2_b64 vcc, exec, s[0:1]
	s_cbranch_vccnz .LBB200_1637
; %bb.1636:
	global_store_dword v[2:3], v4, off
.LBB200_1637:
	s_mov_b64 s[0:1], 0
.LBB200_1638:
	s_andn2_b64 vcc, exec, s[0:1]
	s_cbranch_vccnz .LBB200_1640
; %bb.1639:
	v_cvt_f16_f32_e32 v1, v4
	global_store_short v[2:3], v1, off
.LBB200_1640:
	s_mov_b64 s[0:1], 0
.LBB200_1641:
	s_andn2_b64 vcc, exec, s[0:1]
	s_cbranch_vccnz .LBB200_1657
; %bb.1642:
	s_cmp_lt_i32 s6, 2
	s_mov_b64 s[0:1], -1
	s_cbranch_scc1 .LBB200_1652
; %bb.1643:
	s_cmp_lt_i32 s6, 3
	s_cbranch_scc1 .LBB200_1649
; %bb.1644:
	s_cmp_gt_i32 s6, 3
	s_cbranch_scc0 .LBB200_1646
; %bb.1645:
	v_trunc_f32_e32 v1, v4
	s_mov_b32 s0, 0x2f800000
	v_mul_f32_e64 v5, |v1|, s0
	v_floor_f32_e32 v5, v5
	s_mov_b32 s0, 0xcf800000
	v_cvt_u32_f32_e32 v9, v5
	v_fma_f32 v5, v5, s0, |v1|
	v_cvt_u32_f32_e32 v5, v5
	v_ashrrev_i32_e32 v1, 31, v1
	v_xor_b32_e32 v9, v9, v1
	s_mov_b64 s[0:1], 0
	v_xor_b32_e32 v5, v5, v1
	v_sub_co_u32_e32 v10, vcc, v5, v1
	s_nop 1
	v_subb_co_u32_e32 v11, vcc, v9, v1, vcc
	global_store_dwordx2 v[2:3], v[10:11], off
.LBB200_1646:
	s_andn2_b64 vcc, exec, s[0:1]
	s_cbranch_vccnz .LBB200_1648
; %bb.1647:
	v_cvt_i32_f32_e32 v1, v4
	global_store_dword v[2:3], v1, off
.LBB200_1648:
	s_mov_b64 s[0:1], 0
.LBB200_1649:
	s_andn2_b64 vcc, exec, s[0:1]
	s_cbranch_vccnz .LBB200_1651
; %bb.1650:
	v_cvt_i32_f32_e32 v1, v4
	global_store_short v[2:3], v1, off
.LBB200_1651:
	s_mov_b64 s[0:1], 0
.LBB200_1652:
	s_andn2_b64 vcc, exec, s[0:1]
	s_cbranch_vccnz .LBB200_1657
; %bb.1653:
	s_cmp_gt_i32 s6, 0
	s_mov_b64 s[0:1], -1
	s_cbranch_scc0 .LBB200_1655
; %bb.1654:
	v_cvt_i32_f32_e32 v1, v4
	s_mov_b64 s[0:1], 0
	global_store_byte v[2:3], v1, off
.LBB200_1655:
	s_andn2_b64 vcc, exec, s[0:1]
	s_cbranch_vccnz .LBB200_1657
; %bb.1656:
	v_trunc_f32_e32 v1, v4
	s_mov_b32 s0, 0x2f800000
	v_mul_f32_e64 v4, |v1|, s0
	v_floor_f32_e32 v4, v4
	s_mov_b32 s0, 0xcf800000
	v_fma_f32 v4, v4, s0, |v1|
	v_cvt_u32_f32_e32 v4, v4
	v_ashrrev_i32_e32 v1, 31, v1
	v_xor_b32_e32 v4, v4, v1
	v_sub_u32_e32 v1, v4, v1
	global_store_byte v[2:3], v1, off
.LBB200_1657:
	s_mov_b64 s[10:11], -1
.LBB200_1658:
	s_andn2_b64 vcc, exec, s[10:11]
	s_cbranch_vccnz .LBB200_1973
; %bb.1659:
	v_cvt_f64_f32_e32 v[2:3], v8
	v_rsq_f64_e32 v[4:5], v[2:3]
	s_mov_b32 s0, 0
	s_mov_b32 s1, 0x3fd80000
	v_mov_b32_e32 v1, 0x180
	v_mul_f64 v[2:3], v[4:5], -v[2:3]
	v_fma_f64 v[2:3], v[2:3], v[4:5], 1.0
	v_mul_f64 v[8:9], v[4:5], v[2:3]
	v_fma_f64 v[2:3], v[2:3], s[0:1], 0.5
	s_lshl_b32 s18, s8, 7
	v_fma_f64 v[2:3], v[8:9], v[2:3], v[4:5]
	v_cmp_class_f64_e32 vcc, v[4:5], v1
	v_add_u32_e32 v0, s18, v0
	v_ashrrev_i32_e32 v1, 31, v0
	v_cndmask_b32_e32 v3, v5, v3, vcc
	v_cndmask_b32_e32 v2, v4, v2, vcc
	v_cvt_f32_f64_e32 v4, v[2:3]
	s_cmp_lt_i32 s20, 11
	v_lshl_add_u64 v[2:3], s[4:5], 0, v[0:1]
	s_cbranch_scc1 .LBB200_1737
; %bb.1660:
	s_and_b32 s19, 0xffff, s20
	s_mov_b64 s[10:11], -1
	s_mov_b64 s[6:7], 0
	s_cmp_gt_i32 s19, 25
	s_mov_b64 s[8:9], 0
	s_mov_b64 s[0:1], 0
	s_cbranch_scc0 .LBB200_1693
; %bb.1661:
	s_cmp_gt_i32 s19, 28
	s_cbranch_scc0 .LBB200_1676
; %bb.1662:
	s_cmp_gt_i32 s19, 43
	;; [unrolled: 3-line block ×3, first 2 shown]
	s_cbranch_scc0 .LBB200_1666
; %bb.1664:
	s_mov_b64 s[0:1], -1
	s_mov_b64 s[10:11], 0
	s_cmp_eq_u32 s19, 46
	s_cbranch_scc0 .LBB200_1666
; %bb.1665:
	v_bfe_u32 v1, v4, 16, 1
	s_movk_i32 s0, 0x7fff
	v_add3_u32 v1, v4, v1, s0
	v_cmp_o_f32_e32 vcc, v4, v4
	v_mov_b32_e32 v5, 0x7fc0
	s_mov_b64 s[0:1], 0
	v_cndmask_b32_sdwa v1, v5, v1, vcc dst_sel:DWORD dst_unused:UNUSED_PAD src0_sel:DWORD src1_sel:WORD_1
	global_store_dword v[2:3], v1, off
	s_mov_b64 s[8:9], -1
.LBB200_1666:
	s_and_b64 vcc, exec, s[10:11]
	s_cbranch_vccz .LBB200_1671
; %bb.1667:
	s_cmp_eq_u32 s19, 44
	s_mov_b64 s[0:1], -1
	s_cbranch_scc0 .LBB200_1671
; %bb.1668:
	v_bfe_u32 v1, v4, 23, 8
	s_movk_i32 s0, 0xff
	v_cmp_ne_u32_e32 vcc, s0, v1
	v_mov_b32_e32 v5, 0xff
	s_and_saveexec_b64 s[8:9], vcc
; %bb.1669:
	s_mov_b32 s0, 0x3fffff
	v_and_b32_e32 v8, 0x400000, v4
	v_and_or_b32 v1, v4, s0, v1
	v_cmp_ne_u32_e32 vcc, 0, v8
	v_cmp_ne_u32_e64 s[0:1], 0, v1
	s_and_b64 s[0:1], vcc, s[0:1]
	v_lshrrev_b32_e32 v5, 23, v4
	v_cndmask_b32_e64 v1, 0, 1, s[0:1]
	v_add_u32_e32 v5, v5, v1
; %bb.1670:
	s_or_b64 exec, exec, s[8:9]
	s_mov_b64 s[0:1], 0
	s_mov_b64 s[8:9], -1
	global_store_byte v[2:3], v5, off
.LBB200_1671:
	s_mov_b64 s[10:11], 0
.LBB200_1672:
	s_and_b64 vcc, exec, s[10:11]
	s_cbranch_vccz .LBB200_1675
; %bb.1673:
	s_cmp_eq_u32 s19, 29
	s_mov_b64 s[0:1], -1
	s_cbranch_scc0 .LBB200_1675
; %bb.1674:
	v_trunc_f32_e32 v1, v4
	v_mul_f32_e32 v5, 0x2f800000, v1
	v_floor_f32_e32 v5, v5
	v_fmamk_f32 v1, v5, 0xcf800000, v1
	v_cvt_u32_f32_e32 v9, v5
	v_cvt_u32_f32_e32 v8, v1
	s_mov_b64 s[0:1], 0
	s_mov_b64 s[8:9], -1
	global_store_dwordx2 v[2:3], v[8:9], off
.LBB200_1675:
	s_mov_b64 s[10:11], 0
.LBB200_1676:
	s_and_b64 vcc, exec, s[10:11]
	s_cbranch_vccz .LBB200_1692
; %bb.1677:
	s_cmp_lt_i32 s19, 27
	s_mov_b64 s[8:9], -1
	s_cbranch_scc1 .LBB200_1683
; %bb.1678:
	v_cvt_u32_f32_e32 v1, v4
	s_cmp_gt_i32 s19, 27
	s_cbranch_scc0 .LBB200_1680
; %bb.1679:
	s_mov_b64 s[8:9], 0
	global_store_dword v[2:3], v1, off
.LBB200_1680:
	s_andn2_b64 vcc, exec, s[8:9]
	s_cbranch_vccnz .LBB200_1682
; %bb.1681:
	global_store_short v[2:3], v1, off
.LBB200_1682:
	s_mov_b64 s[8:9], 0
.LBB200_1683:
	s_andn2_b64 vcc, exec, s[8:9]
	s_cbranch_vccnz .LBB200_1691
; %bb.1684:
	v_and_b32_e32 v1, 0x7fffffff, v4
	s_mov_b32 s8, 0x43800000
	v_cmp_gt_u32_e32 vcc, s8, v1
	v_mov_b32_e32 v5, 0x80
	s_and_saveexec_b64 s[8:9], vcc
	s_cbranch_execz .LBB200_1690
; %bb.1685:
	s_mov_b32 s10, 0x3bffffff
	v_cmp_lt_u32_e32 vcc, s10, v1
	s_mov_b64 s[10:11], 0
                                        ; implicit-def: $vgpr1
	s_and_saveexec_b64 s[16:17], vcc
	s_xor_b64 s[16:17], exec, s[16:17]
	s_cbranch_execz .LBB200_2025
; %bb.1686:
	v_bfe_u32 v1, v4, 20, 1
	s_mov_b32 s21, 0x487ffff
	v_add3_u32 v1, v4, v1, s21
	s_mov_b64 s[10:11], exec
	v_lshrrev_b32_e32 v1, 20, v1
	s_andn2_saveexec_b64 s[16:17], s[16:17]
	s_cbranch_execnz .LBB200_2026
.LBB200_1687:
	s_or_b64 exec, exec, s[16:17]
	v_mov_b32_e32 v5, 0
	s_and_saveexec_b64 s[16:17], s[10:11]
.LBB200_1688:
	v_lshrrev_b32_e32 v5, 24, v4
	s_movk_i32 s10, 0x80
	v_and_or_b32 v5, v5, s10, v1
.LBB200_1689:
	s_or_b64 exec, exec, s[16:17]
.LBB200_1690:
	s_or_b64 exec, exec, s[8:9]
	global_store_byte v[2:3], v5, off
.LBB200_1691:
	s_mov_b64 s[8:9], -1
.LBB200_1692:
	s_mov_b64 s[10:11], 0
.LBB200_1693:
	s_and_b64 vcc, exec, s[10:11]
	s_cbranch_vccz .LBB200_1733
; %bb.1694:
	s_cmp_gt_i32 s19, 22
	s_mov_b64 s[6:7], -1
	s_cbranch_scc0 .LBB200_1726
; %bb.1695:
	s_cmp_lt_i32 s19, 24
	s_cbranch_scc1 .LBB200_1715
; %bb.1696:
	s_cmp_gt_i32 s19, 24
	s_cbranch_scc0 .LBB200_1704
; %bb.1697:
	v_and_b32_e32 v1, 0x7fffffff, v4
	s_mov_b32 s6, 0x47800000
	v_cmp_gt_u32_e32 vcc, s6, v1
	v_mov_b32_e32 v5, 0x80
	s_and_saveexec_b64 s[6:7], vcc
	s_cbranch_execz .LBB200_1703
; %bb.1698:
	s_mov_b32 s8, 0x37ffffff
	v_cmp_lt_u32_e32 vcc, s8, v1
	s_mov_b64 s[8:9], 0
                                        ; implicit-def: $vgpr1
	s_and_saveexec_b64 s[10:11], vcc
	s_xor_b64 s[10:11], exec, s[10:11]
	s_cbranch_execz .LBB200_2028
; %bb.1699:
	v_bfe_u32 v1, v4, 21, 1
	s_mov_b32 s16, 0x88fffff
	v_add3_u32 v1, v4, v1, s16
	s_mov_b64 s[8:9], exec
	v_lshrrev_b32_e32 v1, 21, v1
	s_andn2_saveexec_b64 s[10:11], s[10:11]
	s_cbranch_execnz .LBB200_2029
.LBB200_1700:
	s_or_b64 exec, exec, s[10:11]
	v_mov_b32_e32 v5, 0
	s_and_saveexec_b64 s[10:11], s[8:9]
.LBB200_1701:
	v_lshrrev_b32_e32 v5, 24, v4
	s_movk_i32 s8, 0x80
	v_and_or_b32 v5, v5, s8, v1
.LBB200_1702:
	s_or_b64 exec, exec, s[10:11]
.LBB200_1703:
	s_or_b64 exec, exec, s[6:7]
	s_mov_b64 s[6:7], 0
	global_store_byte v[2:3], v5, off
.LBB200_1704:
	s_and_b64 vcc, exec, s[6:7]
	s_cbranch_vccz .LBB200_1714
; %bb.1705:
	v_and_b32_e32 v5, 0x7fffffff, v4
	s_mov_b32 s6, 0x43f00000
	v_cmp_gt_u32_e32 vcc, s6, v5
                                        ; implicit-def: $vgpr1
	s_and_saveexec_b64 s[6:7], vcc
	s_xor_b64 s[6:7], exec, s[6:7]
	s_cbranch_execz .LBB200_1711
; %bb.1706:
	s_mov_b32 s8, 0x3c7fffff
	v_cmp_lt_u32_e32 vcc, s8, v5
                                        ; implicit-def: $vgpr1
	s_and_saveexec_b64 s[8:9], vcc
	s_xor_b64 s[8:9], exec, s[8:9]
; %bb.1707:
	v_bfe_u32 v1, v4, 20, 1
	s_mov_b32 s10, 0x407ffff
	v_add3_u32 v1, v4, v1, s10
	v_lshrrev_b32_e32 v5, 20, v1
	v_and_b32_e32 v1, 0xff00000, v1
	s_mov_b32 s10, 0x7f00000
	v_mov_b32_e32 v8, 0x7e
	v_cmp_ne_u32_e32 vcc, s10, v1
	s_nop 1
	v_cndmask_b32_e32 v1, v8, v5, vcc
; %bb.1708:
	s_andn2_saveexec_b64 s[8:9], s[8:9]
; %bb.1709:
	s_mov_b32 s10, 0x46800000
	v_add_f32_e64 v1, |v4|, s10
; %bb.1710:
	s_or_b64 exec, exec, s[8:9]
                                        ; implicit-def: $vgpr5
.LBB200_1711:
	s_andn2_saveexec_b64 s[6:7], s[6:7]
; %bb.1712:
	s_mov_b32 s8, 0x7f800000
	v_mov_b32_e32 v1, 0x7e
	v_mov_b32_e32 v8, 0x7f
	v_cmp_lt_u32_e32 vcc, s8, v5
	s_nop 1
	v_cndmask_b32_e32 v1, v1, v8, vcc
; %bb.1713:
	s_or_b64 exec, exec, s[6:7]
	v_lshrrev_b32_e32 v5, 24, v4
	s_movk_i32 s6, 0x80
	v_and_or_b32 v1, v5, s6, v1
	global_store_byte v[2:3], v1, off
.LBB200_1714:
	s_mov_b64 s[6:7], 0
.LBB200_1715:
	s_andn2_b64 vcc, exec, s[6:7]
	s_cbranch_vccnz .LBB200_1725
; %bb.1716:
	v_and_b32_e32 v5, 0x7fffffff, v4
	s_mov_b32 s6, 0x47800000
	v_cmp_gt_u32_e32 vcc, s6, v5
                                        ; implicit-def: $vgpr1
	s_and_saveexec_b64 s[6:7], vcc
	s_xor_b64 s[6:7], exec, s[6:7]
	s_cbranch_execz .LBB200_1722
; %bb.1717:
	s_mov_b32 s8, 0x387fffff
	v_cmp_lt_u32_e32 vcc, s8, v5
                                        ; implicit-def: $vgpr1
	s_and_saveexec_b64 s[8:9], vcc
	s_xor_b64 s[8:9], exec, s[8:9]
; %bb.1718:
	v_bfe_u32 v1, v4, 21, 1
	s_mov_b32 s10, 0x80fffff
	v_add3_u32 v1, v4, v1, s10
	v_lshrrev_b32_e32 v1, 21, v1
; %bb.1719:
	s_andn2_saveexec_b64 s[8:9], s[8:9]
; %bb.1720:
	s_mov_b32 s10, 0x43000000
	v_add_f32_e64 v1, |v4|, s10
; %bb.1721:
	s_or_b64 exec, exec, s[8:9]
                                        ; implicit-def: $vgpr5
.LBB200_1722:
	s_andn2_saveexec_b64 s[6:7], s[6:7]
; %bb.1723:
	s_mov_b32 s8, 0x7f800000
	v_mov_b32_e32 v1, 0x7c
	v_mov_b32_e32 v8, 0x7f
	v_cmp_lt_u32_e32 vcc, s8, v5
	s_nop 1
	v_cndmask_b32_e32 v1, v1, v8, vcc
; %bb.1724:
	s_or_b64 exec, exec, s[6:7]
	v_lshrrev_b32_e32 v5, 24, v4
	s_movk_i32 s6, 0x80
	v_and_or_b32 v1, v5, s6, v1
	global_store_byte v[2:3], v1, off
.LBB200_1725:
	s_mov_b64 s[6:7], 0
	s_mov_b64 s[8:9], -1
.LBB200_1726:
	s_andn2_b64 vcc, exec, s[6:7]
	s_mov_b64 s[6:7], 0
	s_cbranch_vccnz .LBB200_1733
; %bb.1727:
	s_cmp_gt_i32 s19, 14
	s_mov_b64 s[10:11], -1
	s_cbranch_scc0 .LBB200_1731
; %bb.1728:
	s_cmp_eq_u32 s19, 15
	s_mov_b64 s[0:1], -1
	s_cbranch_scc0 .LBB200_1730
; %bb.1729:
	v_bfe_u32 v1, v4, 16, 1
	s_movk_i32 s0, 0x7fff
	v_add3_u32 v1, v4, v1, s0
	v_cmp_o_f32_e32 vcc, v4, v4
	v_mov_b32_e32 v5, 0x7fc0
	s_mov_b64 s[0:1], 0
	v_cndmask_b32_sdwa v1, v5, v1, vcc dst_sel:DWORD dst_unused:UNUSED_PAD src0_sel:DWORD src1_sel:WORD_1
	global_store_short v[2:3], v1, off
	s_mov_b64 s[8:9], -1
.LBB200_1730:
	s_mov_b64 s[10:11], 0
.LBB200_1731:
	s_and_b64 vcc, exec, s[10:11]
	s_cbranch_vccz .LBB200_1733
; %bb.1732:
	s_cmp_lg_u32 s19, 11
	s_mov_b64 s[6:7], -1
	s_cselect_b64 s[0:1], -1, 0
.LBB200_1733:
	s_and_b64 vcc, exec, s[0:1]
	s_cbranch_vccnz .LBB200_2027
; %bb.1734:
	s_andn2_b64 vcc, exec, s[6:7]
	s_cbranch_vccnz .LBB200_1736
.LBB200_1735:
	v_cmp_neq_f32_e32 vcc, 0, v4
	s_mov_b64 s[8:9], -1
	s_nop 0
	v_cndmask_b32_e64 v1, 0, 1, vcc
	global_store_byte v[2:3], v1, off
.LBB200_1736:
	s_mov_b64 s[0:1], 0
	s_branch .LBB200_1738
.LBB200_1737:
	s_mov_b64 s[0:1], -1
	s_mov_b64 s[8:9], 0
.LBB200_1738:
	s_and_b64 vcc, exec, s[0:1]
	s_cbranch_vccz .LBB200_1777
; %bb.1739:
	s_and_b32 s6, 0xffff, s20
	s_cmp_lt_i32 s6, 5
	s_mov_b64 s[0:1], -1
	s_cbranch_scc1 .LBB200_1760
; %bb.1740:
	s_cmp_lt_i32 s6, 8
	s_cbranch_scc1 .LBB200_1750
; %bb.1741:
	s_cmp_lt_i32 s6, 9
	s_cbranch_scc1 .LBB200_1747
; %bb.1742:
	s_cmp_gt_i32 s6, 9
	s_cbranch_scc0 .LBB200_1744
; %bb.1743:
	v_mov_b32_e32 v10, 0
	v_cvt_f64_f32_e32 v[8:9], v4
	v_mov_b32_e32 v11, v10
	global_store_dwordx4 v[2:3], v[8:11], off
	s_mov_b64 s[0:1], 0
.LBB200_1744:
	s_andn2_b64 vcc, exec, s[0:1]
	s_cbranch_vccnz .LBB200_1746
; %bb.1745:
	v_mov_b32_e32 v5, 0
	global_store_dwordx2 v[2:3], v[4:5], off
.LBB200_1746:
	s_mov_b64 s[0:1], 0
.LBB200_1747:
	s_andn2_b64 vcc, exec, s[0:1]
	s_cbranch_vccnz .LBB200_1749
; %bb.1748:
	v_cvt_f16_f32_e32 v1, v4
	global_store_dword v[2:3], v1, off
.LBB200_1749:
	s_mov_b64 s[0:1], 0
.LBB200_1750:
	s_andn2_b64 vcc, exec, s[0:1]
	s_cbranch_vccnz .LBB200_1759
; %bb.1751:
	s_cmp_lt_i32 s6, 6
	s_mov_b64 s[0:1], -1
	s_cbranch_scc1 .LBB200_1757
; %bb.1752:
	s_cmp_gt_i32 s6, 6
	s_cbranch_scc0 .LBB200_1754
; %bb.1753:
	v_cvt_f64_f32_e32 v[8:9], v4
	global_store_dwordx2 v[2:3], v[8:9], off
	s_mov_b64 s[0:1], 0
.LBB200_1754:
	s_andn2_b64 vcc, exec, s[0:1]
	s_cbranch_vccnz .LBB200_1756
; %bb.1755:
	global_store_dword v[2:3], v4, off
.LBB200_1756:
	s_mov_b64 s[0:1], 0
.LBB200_1757:
	s_andn2_b64 vcc, exec, s[0:1]
	s_cbranch_vccnz .LBB200_1759
; %bb.1758:
	v_cvt_f16_f32_e32 v1, v4
	global_store_short v[2:3], v1, off
.LBB200_1759:
	s_mov_b64 s[0:1], 0
.LBB200_1760:
	s_andn2_b64 vcc, exec, s[0:1]
	s_cbranch_vccnz .LBB200_1776
; %bb.1761:
	s_cmp_lt_i32 s6, 2
	s_mov_b64 s[0:1], -1
	s_cbranch_scc1 .LBB200_1771
; %bb.1762:
	s_cmp_lt_i32 s6, 3
	s_cbranch_scc1 .LBB200_1768
; %bb.1763:
	s_cmp_gt_i32 s6, 3
	s_cbranch_scc0 .LBB200_1765
; %bb.1764:
	v_trunc_f32_e32 v1, v4
	s_mov_b32 s0, 0x2f800000
	v_mul_f32_e64 v5, |v1|, s0
	v_floor_f32_e32 v5, v5
	s_mov_b32 s0, 0xcf800000
	v_cvt_u32_f32_e32 v8, v5
	v_fma_f32 v5, v5, s0, |v1|
	v_cvt_u32_f32_e32 v5, v5
	v_ashrrev_i32_e32 v1, 31, v1
	v_xor_b32_e32 v9, v8, v1
	s_mov_b64 s[0:1], 0
	v_xor_b32_e32 v5, v5, v1
	v_sub_co_u32_e32 v8, vcc, v5, v1
	s_nop 1
	v_subb_co_u32_e32 v9, vcc, v9, v1, vcc
	global_store_dwordx2 v[2:3], v[8:9], off
.LBB200_1765:
	s_andn2_b64 vcc, exec, s[0:1]
	s_cbranch_vccnz .LBB200_1767
; %bb.1766:
	v_cvt_i32_f32_e32 v1, v4
	global_store_dword v[2:3], v1, off
.LBB200_1767:
	s_mov_b64 s[0:1], 0
.LBB200_1768:
	s_andn2_b64 vcc, exec, s[0:1]
	s_cbranch_vccnz .LBB200_1770
; %bb.1769:
	v_cvt_i32_f32_e32 v1, v4
	global_store_short v[2:3], v1, off
.LBB200_1770:
	s_mov_b64 s[0:1], 0
.LBB200_1771:
	s_andn2_b64 vcc, exec, s[0:1]
	s_cbranch_vccnz .LBB200_1776
; %bb.1772:
	s_cmp_gt_i32 s6, 0
	s_mov_b64 s[0:1], -1
	s_cbranch_scc0 .LBB200_1774
; %bb.1773:
	v_cvt_i32_f32_e32 v1, v4
	s_mov_b64 s[0:1], 0
	global_store_byte v[2:3], v1, off
.LBB200_1774:
	s_andn2_b64 vcc, exec, s[0:1]
	s_cbranch_vccnz .LBB200_1776
; %bb.1775:
	v_trunc_f32_e32 v1, v4
	s_mov_b32 s0, 0x2f800000
	v_mul_f32_e64 v4, |v1|, s0
	v_floor_f32_e32 v4, v4
	s_mov_b32 s0, 0xcf800000
	v_fma_f32 v4, v4, s0, |v1|
	v_cvt_u32_f32_e32 v4, v4
	v_ashrrev_i32_e32 v1, 31, v1
	v_xor_b32_e32 v4, v4, v1
	v_sub_u32_e32 v1, v4, v1
	global_store_byte v[2:3], v1, off
.LBB200_1776:
	s_mov_b64 s[8:9], -1
.LBB200_1777:
	s_andn2_b64 vcc, exec, s[8:9]
	s_cbranch_vccnz .LBB200_1973
; %bb.1778:
	v_cvt_f64_f32_e32 v[2:3], v7
	v_rsq_f64_e32 v[4:5], v[2:3]
	s_mov_b32 s0, 0
	s_mov_b32 s1, 0x3fd80000
	v_mov_b32_e32 v1, 0x180
	v_mul_f64 v[2:3], v[4:5], -v[2:3]
	v_fma_f64 v[2:3], v[2:3], v[4:5], 1.0
	v_mul_f64 v[8:9], v[4:5], v[2:3]
	v_fma_f64 v[2:3], v[2:3], s[0:1], 0.5
	v_fma_f64 v[2:3], v[8:9], v[2:3], v[4:5]
	v_cmp_class_f64_e32 vcc, v[4:5], v1
	v_add_u32_e32 v0, s18, v0
	v_ashrrev_i32_e32 v1, 31, v0
	v_cndmask_b32_e32 v3, v5, v3, vcc
	v_cndmask_b32_e32 v2, v4, v2, vcc
	v_cvt_f32_f64_e32 v4, v[2:3]
	s_cmp_lt_i32 s20, 11
	v_lshl_add_u64 v[2:3], s[4:5], 0, v[0:1]
	s_cbranch_scc1 .LBB200_1856
; %bb.1779:
	s_and_b32 s19, 0xffff, s20
	s_mov_b64 s[10:11], -1
	s_mov_b64 s[6:7], 0
	s_cmp_gt_i32 s19, 25
	s_mov_b64 s[8:9], 0
	s_mov_b64 s[0:1], 0
	s_cbranch_scc0 .LBB200_1812
; %bb.1780:
	s_cmp_gt_i32 s19, 28
	s_cbranch_scc0 .LBB200_1795
; %bb.1781:
	s_cmp_gt_i32 s19, 43
	;; [unrolled: 3-line block ×3, first 2 shown]
	s_cbranch_scc0 .LBB200_1785
; %bb.1783:
	s_mov_b64 s[0:1], -1
	s_mov_b64 s[10:11], 0
	s_cmp_eq_u32 s19, 46
	s_cbranch_scc0 .LBB200_1785
; %bb.1784:
	v_bfe_u32 v1, v4, 16, 1
	s_movk_i32 s0, 0x7fff
	v_add3_u32 v1, v4, v1, s0
	v_cmp_o_f32_e32 vcc, v4, v4
	v_mov_b32_e32 v5, 0x7fc0
	s_mov_b64 s[0:1], 0
	v_cndmask_b32_sdwa v1, v5, v1, vcc dst_sel:DWORD dst_unused:UNUSED_PAD src0_sel:DWORD src1_sel:WORD_1
	global_store_dword v[2:3], v1, off
	s_mov_b64 s[8:9], -1
.LBB200_1785:
	s_and_b64 vcc, exec, s[10:11]
	s_cbranch_vccz .LBB200_1790
; %bb.1786:
	s_cmp_eq_u32 s19, 44
	s_mov_b64 s[0:1], -1
	s_cbranch_scc0 .LBB200_1790
; %bb.1787:
	v_bfe_u32 v1, v4, 23, 8
	s_movk_i32 s0, 0xff
	v_cmp_ne_u32_e32 vcc, s0, v1
	v_mov_b32_e32 v5, 0xff
	s_and_saveexec_b64 s[8:9], vcc
; %bb.1788:
	s_mov_b32 s0, 0x3fffff
	v_and_b32_e32 v7, 0x400000, v4
	v_and_or_b32 v1, v4, s0, v1
	v_cmp_ne_u32_e32 vcc, 0, v7
	v_cmp_ne_u32_e64 s[0:1], 0, v1
	s_and_b64 s[0:1], vcc, s[0:1]
	v_lshrrev_b32_e32 v5, 23, v4
	v_cndmask_b32_e64 v1, 0, 1, s[0:1]
	v_add_u32_e32 v5, v5, v1
; %bb.1789:
	s_or_b64 exec, exec, s[8:9]
	s_mov_b64 s[0:1], 0
	s_mov_b64 s[8:9], -1
	global_store_byte v[2:3], v5, off
.LBB200_1790:
	s_mov_b64 s[10:11], 0
.LBB200_1791:
	s_and_b64 vcc, exec, s[10:11]
	s_cbranch_vccz .LBB200_1794
; %bb.1792:
	s_cmp_eq_u32 s19, 29
	s_mov_b64 s[0:1], -1
	s_cbranch_scc0 .LBB200_1794
; %bb.1793:
	v_trunc_f32_e32 v1, v4
	v_mul_f32_e32 v5, 0x2f800000, v1
	v_floor_f32_e32 v5, v5
	v_fmamk_f32 v1, v5, 0xcf800000, v1
	v_cvt_u32_f32_e32 v9, v5
	v_cvt_u32_f32_e32 v8, v1
	s_mov_b64 s[0:1], 0
	s_mov_b64 s[8:9], -1
	global_store_dwordx2 v[2:3], v[8:9], off
.LBB200_1794:
	s_mov_b64 s[10:11], 0
.LBB200_1795:
	s_and_b64 vcc, exec, s[10:11]
	s_cbranch_vccz .LBB200_1811
; %bb.1796:
	s_cmp_lt_i32 s19, 27
	s_mov_b64 s[8:9], -1
	s_cbranch_scc1 .LBB200_1802
; %bb.1797:
	v_cvt_u32_f32_e32 v1, v4
	s_cmp_gt_i32 s19, 27
	s_cbranch_scc0 .LBB200_1799
; %bb.1798:
	s_mov_b64 s[8:9], 0
	global_store_dword v[2:3], v1, off
.LBB200_1799:
	s_andn2_b64 vcc, exec, s[8:9]
	s_cbranch_vccnz .LBB200_1801
; %bb.1800:
	global_store_short v[2:3], v1, off
.LBB200_1801:
	s_mov_b64 s[8:9], 0
.LBB200_1802:
	s_andn2_b64 vcc, exec, s[8:9]
	s_cbranch_vccnz .LBB200_1810
; %bb.1803:
	v_and_b32_e32 v1, 0x7fffffff, v4
	s_mov_b32 s8, 0x43800000
	v_cmp_gt_u32_e32 vcc, s8, v1
	v_mov_b32_e32 v5, 0x80
	s_and_saveexec_b64 s[8:9], vcc
	s_cbranch_execz .LBB200_1809
; %bb.1804:
	s_mov_b32 s10, 0x3bffffff
	v_cmp_lt_u32_e32 vcc, s10, v1
	s_mov_b64 s[10:11], 0
                                        ; implicit-def: $vgpr1
	s_and_saveexec_b64 s[16:17], vcc
	s_xor_b64 s[16:17], exec, s[16:17]
	s_cbranch_execz .LBB200_2030
; %bb.1805:
	v_bfe_u32 v1, v4, 20, 1
	s_mov_b32 s21, 0x487ffff
	v_add3_u32 v1, v4, v1, s21
	s_mov_b64 s[10:11], exec
	v_lshrrev_b32_e32 v1, 20, v1
	s_andn2_saveexec_b64 s[16:17], s[16:17]
	s_cbranch_execnz .LBB200_2031
.LBB200_1806:
	s_or_b64 exec, exec, s[16:17]
	v_mov_b32_e32 v5, 0
	s_and_saveexec_b64 s[16:17], s[10:11]
.LBB200_1807:
	v_lshrrev_b32_e32 v5, 24, v4
	s_movk_i32 s10, 0x80
	v_and_or_b32 v5, v5, s10, v1
.LBB200_1808:
	s_or_b64 exec, exec, s[16:17]
.LBB200_1809:
	s_or_b64 exec, exec, s[8:9]
	global_store_byte v[2:3], v5, off
.LBB200_1810:
	s_mov_b64 s[8:9], -1
.LBB200_1811:
	s_mov_b64 s[10:11], 0
.LBB200_1812:
	s_and_b64 vcc, exec, s[10:11]
	s_cbranch_vccz .LBB200_1852
; %bb.1813:
	s_cmp_gt_i32 s19, 22
	s_mov_b64 s[6:7], -1
	s_cbranch_scc0 .LBB200_1845
; %bb.1814:
	s_cmp_lt_i32 s19, 24
	s_cbranch_scc1 .LBB200_1834
; %bb.1815:
	s_cmp_gt_i32 s19, 24
	s_cbranch_scc0 .LBB200_1823
; %bb.1816:
	v_and_b32_e32 v1, 0x7fffffff, v4
	s_mov_b32 s6, 0x47800000
	v_cmp_gt_u32_e32 vcc, s6, v1
	v_mov_b32_e32 v5, 0x80
	s_and_saveexec_b64 s[6:7], vcc
	s_cbranch_execz .LBB200_1822
; %bb.1817:
	s_mov_b32 s8, 0x37ffffff
	v_cmp_lt_u32_e32 vcc, s8, v1
	s_mov_b64 s[8:9], 0
                                        ; implicit-def: $vgpr1
	s_and_saveexec_b64 s[10:11], vcc
	s_xor_b64 s[10:11], exec, s[10:11]
	s_cbranch_execz .LBB200_2033
; %bb.1818:
	v_bfe_u32 v1, v4, 21, 1
	s_mov_b32 s16, 0x88fffff
	v_add3_u32 v1, v4, v1, s16
	s_mov_b64 s[8:9], exec
	v_lshrrev_b32_e32 v1, 21, v1
	s_andn2_saveexec_b64 s[10:11], s[10:11]
	s_cbranch_execnz .LBB200_2034
.LBB200_1819:
	s_or_b64 exec, exec, s[10:11]
	v_mov_b32_e32 v5, 0
	s_and_saveexec_b64 s[10:11], s[8:9]
.LBB200_1820:
	v_lshrrev_b32_e32 v5, 24, v4
	s_movk_i32 s8, 0x80
	v_and_or_b32 v5, v5, s8, v1
.LBB200_1821:
	s_or_b64 exec, exec, s[10:11]
.LBB200_1822:
	s_or_b64 exec, exec, s[6:7]
	s_mov_b64 s[6:7], 0
	global_store_byte v[2:3], v5, off
.LBB200_1823:
	s_and_b64 vcc, exec, s[6:7]
	s_cbranch_vccz .LBB200_1833
; %bb.1824:
	v_and_b32_e32 v5, 0x7fffffff, v4
	s_mov_b32 s6, 0x43f00000
	v_cmp_gt_u32_e32 vcc, s6, v5
                                        ; implicit-def: $vgpr1
	s_and_saveexec_b64 s[6:7], vcc
	s_xor_b64 s[6:7], exec, s[6:7]
	s_cbranch_execz .LBB200_1830
; %bb.1825:
	s_mov_b32 s8, 0x3c7fffff
	v_cmp_lt_u32_e32 vcc, s8, v5
                                        ; implicit-def: $vgpr1
	s_and_saveexec_b64 s[8:9], vcc
	s_xor_b64 s[8:9], exec, s[8:9]
; %bb.1826:
	v_bfe_u32 v1, v4, 20, 1
	s_mov_b32 s10, 0x407ffff
	v_add3_u32 v1, v4, v1, s10
	v_lshrrev_b32_e32 v5, 20, v1
	v_and_b32_e32 v1, 0xff00000, v1
	s_mov_b32 s10, 0x7f00000
	v_mov_b32_e32 v7, 0x7e
	v_cmp_ne_u32_e32 vcc, s10, v1
	s_nop 1
	v_cndmask_b32_e32 v1, v7, v5, vcc
; %bb.1827:
	s_andn2_saveexec_b64 s[8:9], s[8:9]
; %bb.1828:
	s_mov_b32 s10, 0x46800000
	v_add_f32_e64 v1, |v4|, s10
; %bb.1829:
	s_or_b64 exec, exec, s[8:9]
                                        ; implicit-def: $vgpr5
.LBB200_1830:
	s_andn2_saveexec_b64 s[6:7], s[6:7]
; %bb.1831:
	s_mov_b32 s8, 0x7f800000
	v_mov_b32_e32 v1, 0x7e
	v_mov_b32_e32 v7, 0x7f
	v_cmp_lt_u32_e32 vcc, s8, v5
	s_nop 1
	v_cndmask_b32_e32 v1, v1, v7, vcc
; %bb.1832:
	s_or_b64 exec, exec, s[6:7]
	v_lshrrev_b32_e32 v5, 24, v4
	s_movk_i32 s6, 0x80
	v_and_or_b32 v1, v5, s6, v1
	global_store_byte v[2:3], v1, off
.LBB200_1833:
	s_mov_b64 s[6:7], 0
.LBB200_1834:
	s_andn2_b64 vcc, exec, s[6:7]
	s_cbranch_vccnz .LBB200_1844
; %bb.1835:
	v_and_b32_e32 v5, 0x7fffffff, v4
	s_mov_b32 s6, 0x47800000
	v_cmp_gt_u32_e32 vcc, s6, v5
                                        ; implicit-def: $vgpr1
	s_and_saveexec_b64 s[6:7], vcc
	s_xor_b64 s[6:7], exec, s[6:7]
	s_cbranch_execz .LBB200_1841
; %bb.1836:
	s_mov_b32 s8, 0x387fffff
	v_cmp_lt_u32_e32 vcc, s8, v5
                                        ; implicit-def: $vgpr1
	s_and_saveexec_b64 s[8:9], vcc
	s_xor_b64 s[8:9], exec, s[8:9]
; %bb.1837:
	v_bfe_u32 v1, v4, 21, 1
	s_mov_b32 s10, 0x80fffff
	v_add3_u32 v1, v4, v1, s10
	v_lshrrev_b32_e32 v1, 21, v1
; %bb.1838:
	s_andn2_saveexec_b64 s[8:9], s[8:9]
; %bb.1839:
	s_mov_b32 s10, 0x43000000
	v_add_f32_e64 v1, |v4|, s10
; %bb.1840:
	s_or_b64 exec, exec, s[8:9]
                                        ; implicit-def: $vgpr5
.LBB200_1841:
	s_andn2_saveexec_b64 s[6:7], s[6:7]
; %bb.1842:
	s_mov_b32 s8, 0x7f800000
	v_mov_b32_e32 v1, 0x7c
	v_mov_b32_e32 v7, 0x7f
	v_cmp_lt_u32_e32 vcc, s8, v5
	s_nop 1
	v_cndmask_b32_e32 v1, v1, v7, vcc
; %bb.1843:
	s_or_b64 exec, exec, s[6:7]
	v_lshrrev_b32_e32 v5, 24, v4
	s_movk_i32 s6, 0x80
	v_and_or_b32 v1, v5, s6, v1
	global_store_byte v[2:3], v1, off
.LBB200_1844:
	s_mov_b64 s[6:7], 0
	s_mov_b64 s[8:9], -1
.LBB200_1845:
	s_andn2_b64 vcc, exec, s[6:7]
	s_mov_b64 s[6:7], 0
	s_cbranch_vccnz .LBB200_1852
; %bb.1846:
	s_cmp_gt_i32 s19, 14
	s_mov_b64 s[10:11], -1
	s_cbranch_scc0 .LBB200_1850
; %bb.1847:
	s_cmp_eq_u32 s19, 15
	s_mov_b64 s[0:1], -1
	s_cbranch_scc0 .LBB200_1849
; %bb.1848:
	v_bfe_u32 v1, v4, 16, 1
	s_movk_i32 s0, 0x7fff
	v_add3_u32 v1, v4, v1, s0
	v_cmp_o_f32_e32 vcc, v4, v4
	v_mov_b32_e32 v5, 0x7fc0
	s_mov_b64 s[0:1], 0
	v_cndmask_b32_sdwa v1, v5, v1, vcc dst_sel:DWORD dst_unused:UNUSED_PAD src0_sel:DWORD src1_sel:WORD_1
	global_store_short v[2:3], v1, off
	s_mov_b64 s[8:9], -1
.LBB200_1849:
	s_mov_b64 s[10:11], 0
.LBB200_1850:
	s_and_b64 vcc, exec, s[10:11]
	s_cbranch_vccz .LBB200_1852
; %bb.1851:
	s_cmp_lg_u32 s19, 11
	s_mov_b64 s[6:7], -1
	s_cselect_b64 s[0:1], -1, 0
.LBB200_1852:
	s_and_b64 vcc, exec, s[0:1]
	s_cbranch_vccnz .LBB200_2032
; %bb.1853:
	s_andn2_b64 vcc, exec, s[6:7]
	s_cbranch_vccnz .LBB200_1855
.LBB200_1854:
	v_cmp_neq_f32_e32 vcc, 0, v4
	s_mov_b64 s[8:9], -1
	s_nop 0
	v_cndmask_b32_e64 v1, 0, 1, vcc
	global_store_byte v[2:3], v1, off
.LBB200_1855:
	s_mov_b64 s[0:1], 0
	s_branch .LBB200_1857
.LBB200_1856:
	s_mov_b64 s[0:1], -1
	s_mov_b64 s[8:9], 0
.LBB200_1857:
	s_and_b64 vcc, exec, s[0:1]
	s_cbranch_vccz .LBB200_1896
; %bb.1858:
	s_and_b32 s6, 0xffff, s20
	s_cmp_lt_i32 s6, 5
	s_mov_b64 s[0:1], -1
	s_cbranch_scc1 .LBB200_1879
; %bb.1859:
	s_cmp_lt_i32 s6, 8
	s_cbranch_scc1 .LBB200_1869
; %bb.1860:
	s_cmp_lt_i32 s6, 9
	s_cbranch_scc1 .LBB200_1866
; %bb.1861:
	s_cmp_gt_i32 s6, 9
	s_cbranch_scc0 .LBB200_1863
; %bb.1862:
	v_mov_b32_e32 v10, 0
	v_cvt_f64_f32_e32 v[8:9], v4
	v_mov_b32_e32 v11, v10
	global_store_dwordx4 v[2:3], v[8:11], off
	s_mov_b64 s[0:1], 0
.LBB200_1863:
	s_andn2_b64 vcc, exec, s[0:1]
	s_cbranch_vccnz .LBB200_1865
; %bb.1864:
	v_mov_b32_e32 v5, 0
	global_store_dwordx2 v[2:3], v[4:5], off
.LBB200_1865:
	s_mov_b64 s[0:1], 0
.LBB200_1866:
	s_andn2_b64 vcc, exec, s[0:1]
	s_cbranch_vccnz .LBB200_1868
; %bb.1867:
	v_cvt_f16_f32_e32 v1, v4
	global_store_dword v[2:3], v1, off
.LBB200_1868:
	s_mov_b64 s[0:1], 0
.LBB200_1869:
	s_andn2_b64 vcc, exec, s[0:1]
	s_cbranch_vccnz .LBB200_1878
; %bb.1870:
	s_cmp_lt_i32 s6, 6
	s_mov_b64 s[0:1], -1
	s_cbranch_scc1 .LBB200_1876
; %bb.1871:
	s_cmp_gt_i32 s6, 6
	s_cbranch_scc0 .LBB200_1873
; %bb.1872:
	v_cvt_f64_f32_e32 v[8:9], v4
	global_store_dwordx2 v[2:3], v[8:9], off
	s_mov_b64 s[0:1], 0
.LBB200_1873:
	s_andn2_b64 vcc, exec, s[0:1]
	s_cbranch_vccnz .LBB200_1875
; %bb.1874:
	global_store_dword v[2:3], v4, off
.LBB200_1875:
	s_mov_b64 s[0:1], 0
.LBB200_1876:
	s_andn2_b64 vcc, exec, s[0:1]
	s_cbranch_vccnz .LBB200_1878
; %bb.1877:
	v_cvt_f16_f32_e32 v1, v4
	global_store_short v[2:3], v1, off
.LBB200_1878:
	s_mov_b64 s[0:1], 0
.LBB200_1879:
	s_andn2_b64 vcc, exec, s[0:1]
	s_cbranch_vccnz .LBB200_1895
; %bb.1880:
	s_cmp_lt_i32 s6, 2
	s_mov_b64 s[0:1], -1
	s_cbranch_scc1 .LBB200_1890
; %bb.1881:
	s_cmp_lt_i32 s6, 3
	s_cbranch_scc1 .LBB200_1887
; %bb.1882:
	s_cmp_gt_i32 s6, 3
	s_cbranch_scc0 .LBB200_1884
; %bb.1883:
	v_trunc_f32_e32 v1, v4
	s_mov_b32 s0, 0x2f800000
	v_mul_f32_e64 v5, |v1|, s0
	v_floor_f32_e32 v5, v5
	s_mov_b32 s0, 0xcf800000
	v_cvt_u32_f32_e32 v7, v5
	v_fma_f32 v5, v5, s0, |v1|
	v_cvt_u32_f32_e32 v5, v5
	v_ashrrev_i32_e32 v1, 31, v1
	v_xor_b32_e32 v7, v7, v1
	s_mov_b64 s[0:1], 0
	v_xor_b32_e32 v5, v5, v1
	v_sub_co_u32_e32 v8, vcc, v5, v1
	s_nop 1
	v_subb_co_u32_e32 v9, vcc, v7, v1, vcc
	global_store_dwordx2 v[2:3], v[8:9], off
.LBB200_1884:
	s_andn2_b64 vcc, exec, s[0:1]
	s_cbranch_vccnz .LBB200_1886
; %bb.1885:
	v_cvt_i32_f32_e32 v1, v4
	global_store_dword v[2:3], v1, off
.LBB200_1886:
	s_mov_b64 s[0:1], 0
.LBB200_1887:
	s_andn2_b64 vcc, exec, s[0:1]
	s_cbranch_vccnz .LBB200_1889
; %bb.1888:
	v_cvt_i32_f32_e32 v1, v4
	global_store_short v[2:3], v1, off
.LBB200_1889:
	s_mov_b64 s[0:1], 0
.LBB200_1890:
	s_andn2_b64 vcc, exec, s[0:1]
	s_cbranch_vccnz .LBB200_1895
; %bb.1891:
	s_cmp_gt_i32 s6, 0
	s_mov_b64 s[0:1], -1
	s_cbranch_scc0 .LBB200_1893
; %bb.1892:
	v_cvt_i32_f32_e32 v1, v4
	s_mov_b64 s[0:1], 0
	global_store_byte v[2:3], v1, off
.LBB200_1893:
	s_andn2_b64 vcc, exec, s[0:1]
	s_cbranch_vccnz .LBB200_1895
; %bb.1894:
	v_trunc_f32_e32 v1, v4
	s_mov_b32 s0, 0x2f800000
	v_mul_f32_e64 v4, |v1|, s0
	v_floor_f32_e32 v4, v4
	s_mov_b32 s0, 0xcf800000
	v_fma_f32 v4, v4, s0, |v1|
	v_cvt_u32_f32_e32 v4, v4
	v_ashrrev_i32_e32 v1, 31, v1
	v_xor_b32_e32 v4, v4, v1
	v_sub_u32_e32 v1, v4, v1
	global_store_byte v[2:3], v1, off
.LBB200_1895:
	s_mov_b64 s[8:9], -1
.LBB200_1896:
	s_andn2_b64 vcc, exec, s[8:9]
	s_cbranch_vccnz .LBB200_1973
; %bb.1897:
	v_cvt_f64_f32_e32 v[2:3], v6
	v_rsq_f64_e32 v[4:5], v[2:3]
	s_mov_b32 s0, 0
	s_mov_b32 s1, 0x3fd80000
	v_mov_b32_e32 v1, 0x180
	v_mul_f64 v[2:3], v[4:5], -v[2:3]
	v_fma_f64 v[2:3], v[2:3], v[4:5], 1.0
	v_mul_f64 v[6:7], v[4:5], v[2:3]
	v_fma_f64 v[2:3], v[2:3], s[0:1], 0.5
	v_fma_f64 v[2:3], v[6:7], v[2:3], v[4:5]
	v_cmp_class_f64_e32 vcc, v[4:5], v1
	v_add_u32_e32 v0, s18, v0
	v_ashrrev_i32_e32 v1, 31, v0
	v_cndmask_b32_e32 v3, v5, v3, vcc
	v_cndmask_b32_e32 v2, v4, v2, vcc
	v_cvt_f32_f64_e32 v2, v[2:3]
	s_cmp_lt_i32 s20, 11
	v_lshl_add_u64 v[0:1], s[4:5], 0, v[0:1]
	s_cbranch_scc1 .LBB200_2018
; %bb.1898:
	s_and_b32 s16, 0xffff, s20
	s_mov_b64 s[6:7], -1
	s_mov_b64 s[4:5], 0
	s_cmp_gt_i32 s16, 25
	s_mov_b64 s[0:1], 0
	s_cbranch_scc0 .LBB200_1931
; %bb.1899:
	s_cmp_gt_i32 s16, 28
	s_cbranch_scc0 .LBB200_1915
; %bb.1900:
	s_cmp_gt_i32 s16, 43
	;; [unrolled: 3-line block ×3, first 2 shown]
	s_cbranch_scc0 .LBB200_1905
; %bb.1902:
	s_cmp_eq_u32 s16, 46
	s_mov_b64 s[0:1], -1
	s_cbranch_scc0 .LBB200_1904
; %bb.1903:
	v_bfe_u32 v3, v2, 16, 1
	s_movk_i32 s0, 0x7fff
	v_add3_u32 v3, v2, v3, s0
	v_cmp_o_f32_e32 vcc, v2, v2
	v_mov_b32_e32 v4, 0x7fc0
	s_mov_b64 s[0:1], 0
	v_cndmask_b32_sdwa v3, v4, v3, vcc dst_sel:DWORD dst_unused:UNUSED_PAD src0_sel:DWORD src1_sel:WORD_1
	global_store_dword v[0:1], v3, off
.LBB200_1904:
	s_mov_b64 s[6:7], 0
.LBB200_1905:
	s_and_b64 vcc, exec, s[6:7]
	s_cbranch_vccz .LBB200_1910
; %bb.1906:
	s_cmp_eq_u32 s16, 44
	s_mov_b64 s[0:1], -1
	s_cbranch_scc0 .LBB200_1910
; %bb.1907:
	v_bfe_u32 v3, v2, 23, 8
	s_movk_i32 s0, 0xff
	v_cmp_ne_u32_e32 vcc, s0, v3
	v_mov_b32_e32 v4, 0xff
	s_and_saveexec_b64 s[6:7], vcc
; %bb.1908:
	s_mov_b32 s0, 0x3fffff
	v_and_b32_e32 v5, 0x400000, v2
	v_and_or_b32 v3, v2, s0, v3
	v_cmp_ne_u32_e32 vcc, 0, v5
	v_cmp_ne_u32_e64 s[0:1], 0, v3
	s_and_b64 s[0:1], vcc, s[0:1]
	v_lshrrev_b32_e32 v4, 23, v2
	v_cndmask_b32_e64 v3, 0, 1, s[0:1]
	v_add_u32_e32 v4, v4, v3
; %bb.1909:
	s_or_b64 exec, exec, s[6:7]
	s_mov_b64 s[0:1], 0
	global_store_byte v[0:1], v4, off
.LBB200_1910:
	s_mov_b64 s[6:7], 0
.LBB200_1911:
	s_and_b64 vcc, exec, s[6:7]
	s_cbranch_vccz .LBB200_1914
; %bb.1912:
	s_cmp_eq_u32 s16, 29
	s_mov_b64 s[0:1], -1
	s_cbranch_scc0 .LBB200_1914
; %bb.1913:
	v_trunc_f32_e32 v3, v2
	v_mul_f32_e32 v4, 0x2f800000, v3
	v_floor_f32_e32 v4, v4
	v_fmamk_f32 v3, v4, 0xcf800000, v3
	v_cvt_u32_f32_e32 v5, v4
	v_cvt_u32_f32_e32 v4, v3
	s_mov_b64 s[0:1], 0
	global_store_dwordx2 v[0:1], v[4:5], off
.LBB200_1914:
	s_mov_b64 s[6:7], 0
.LBB200_1915:
	s_and_b64 vcc, exec, s[6:7]
	s_cbranch_vccz .LBB200_1930
; %bb.1916:
	s_cmp_lt_i32 s16, 27
	s_mov_b64 s[6:7], -1
	s_cbranch_scc1 .LBB200_1922
; %bb.1917:
	v_cvt_u32_f32_e32 v3, v2
	s_cmp_gt_i32 s16, 27
	s_cbranch_scc0 .LBB200_1919
; %bb.1918:
	global_store_dword v[0:1], v3, off
	s_mov_b64 s[6:7], 0
.LBB200_1919:
	s_andn2_b64 vcc, exec, s[6:7]
	s_cbranch_vccnz .LBB200_1921
; %bb.1920:
	global_store_short v[0:1], v3, off
.LBB200_1921:
	s_mov_b64 s[6:7], 0
.LBB200_1922:
	s_andn2_b64 vcc, exec, s[6:7]
	s_cbranch_vccnz .LBB200_1930
; %bb.1923:
	v_and_b32_e32 v3, 0x7fffffff, v2
	s_mov_b32 s6, 0x43800000
	v_cmp_gt_u32_e32 vcc, s6, v3
	v_mov_b32_e32 v4, 0x80
	s_and_saveexec_b64 s[6:7], vcc
	s_cbranch_execz .LBB200_1929
; %bb.1924:
	s_mov_b32 s8, 0x3bffffff
	v_cmp_lt_u32_e32 vcc, s8, v3
	s_mov_b64 s[8:9], 0
                                        ; implicit-def: $vgpr3
	s_and_saveexec_b64 s[10:11], vcc
	s_xor_b64 s[10:11], exec, s[10:11]
	s_cbranch_execz .LBB200_2035
; %bb.1925:
	v_bfe_u32 v3, v2, 20, 1
	s_mov_b32 s17, 0x487ffff
	v_add3_u32 v3, v2, v3, s17
	s_mov_b64 s[8:9], exec
	v_lshrrev_b32_e32 v3, 20, v3
	s_andn2_saveexec_b64 s[10:11], s[10:11]
	s_cbranch_execnz .LBB200_2036
.LBB200_1926:
	s_or_b64 exec, exec, s[10:11]
	v_mov_b32_e32 v4, 0
	s_and_saveexec_b64 s[10:11], s[8:9]
.LBB200_1927:
	v_lshrrev_b32_e32 v4, 24, v2
	s_movk_i32 s8, 0x80
	v_and_or_b32 v4, v4, s8, v3
.LBB200_1928:
	s_or_b64 exec, exec, s[10:11]
.LBB200_1929:
	s_or_b64 exec, exec, s[6:7]
	global_store_byte v[0:1], v4, off
.LBB200_1930:
	s_mov_b64 s[6:7], 0
.LBB200_1931:
	s_and_b64 vcc, exec, s[6:7]
	s_cbranch_vccz .LBB200_1971
; %bb.1932:
	s_cmp_gt_i32 s16, 22
	s_mov_b64 s[4:5], -1
	s_cbranch_scc0 .LBB200_1964
; %bb.1933:
	s_cmp_lt_i32 s16, 24
	s_cbranch_scc1 .LBB200_1953
; %bb.1934:
	s_cmp_gt_i32 s16, 24
	s_cbranch_scc0 .LBB200_1942
; %bb.1935:
	v_and_b32_e32 v3, 0x7fffffff, v2
	s_mov_b32 s4, 0x47800000
	v_cmp_gt_u32_e32 vcc, s4, v3
	v_mov_b32_e32 v4, 0x80
	s_and_saveexec_b64 s[4:5], vcc
	s_cbranch_execz .LBB200_1941
; %bb.1936:
	s_mov_b32 s6, 0x37ffffff
	v_cmp_lt_u32_e32 vcc, s6, v3
	s_mov_b64 s[6:7], 0
                                        ; implicit-def: $vgpr3
	s_and_saveexec_b64 s[8:9], vcc
	s_xor_b64 s[8:9], exec, s[8:9]
	s_cbranch_execz .LBB200_2038
; %bb.1937:
	v_bfe_u32 v3, v2, 21, 1
	s_mov_b32 s10, 0x88fffff
	v_add3_u32 v3, v2, v3, s10
	s_mov_b64 s[6:7], exec
	v_lshrrev_b32_e32 v3, 21, v3
	s_andn2_saveexec_b64 s[8:9], s[8:9]
	s_cbranch_execnz .LBB200_2039
.LBB200_1938:
	s_or_b64 exec, exec, s[8:9]
	v_mov_b32_e32 v4, 0
	s_and_saveexec_b64 s[8:9], s[6:7]
.LBB200_1939:
	v_lshrrev_b32_e32 v4, 24, v2
	s_movk_i32 s6, 0x80
	v_and_or_b32 v4, v4, s6, v3
.LBB200_1940:
	s_or_b64 exec, exec, s[8:9]
.LBB200_1941:
	s_or_b64 exec, exec, s[4:5]
	s_mov_b64 s[4:5], 0
	global_store_byte v[0:1], v4, off
.LBB200_1942:
	s_and_b64 vcc, exec, s[4:5]
	s_cbranch_vccz .LBB200_1952
; %bb.1943:
	v_and_b32_e32 v4, 0x7fffffff, v2
	s_mov_b32 s4, 0x43f00000
	v_cmp_gt_u32_e32 vcc, s4, v4
                                        ; implicit-def: $vgpr3
	s_and_saveexec_b64 s[4:5], vcc
	s_xor_b64 s[4:5], exec, s[4:5]
	s_cbranch_execz .LBB200_1949
; %bb.1944:
	s_mov_b32 s6, 0x3c7fffff
	v_cmp_lt_u32_e32 vcc, s6, v4
                                        ; implicit-def: $vgpr3
	s_and_saveexec_b64 s[6:7], vcc
	s_xor_b64 s[6:7], exec, s[6:7]
; %bb.1945:
	v_bfe_u32 v3, v2, 20, 1
	s_mov_b32 s8, 0x407ffff
	v_add3_u32 v3, v2, v3, s8
	v_lshrrev_b32_e32 v4, 20, v3
	v_and_b32_e32 v3, 0xff00000, v3
	s_mov_b32 s8, 0x7f00000
	v_mov_b32_e32 v5, 0x7e
	v_cmp_ne_u32_e32 vcc, s8, v3
	s_nop 1
	v_cndmask_b32_e32 v3, v5, v4, vcc
; %bb.1946:
	s_andn2_saveexec_b64 s[6:7], s[6:7]
; %bb.1947:
	s_mov_b32 s8, 0x46800000
	v_add_f32_e64 v3, |v2|, s8
; %bb.1948:
	s_or_b64 exec, exec, s[6:7]
                                        ; implicit-def: $vgpr4
.LBB200_1949:
	s_andn2_saveexec_b64 s[4:5], s[4:5]
; %bb.1950:
	s_mov_b32 s6, 0x7f800000
	v_mov_b32_e32 v3, 0x7e
	v_mov_b32_e32 v5, 0x7f
	v_cmp_lt_u32_e32 vcc, s6, v4
	s_nop 1
	v_cndmask_b32_e32 v3, v3, v5, vcc
; %bb.1951:
	s_or_b64 exec, exec, s[4:5]
	v_lshrrev_b32_e32 v4, 24, v2
	s_movk_i32 s4, 0x80
	v_and_or_b32 v3, v4, s4, v3
	global_store_byte v[0:1], v3, off
.LBB200_1952:
	s_mov_b64 s[4:5], 0
.LBB200_1953:
	s_andn2_b64 vcc, exec, s[4:5]
	s_cbranch_vccnz .LBB200_1963
; %bb.1954:
	v_and_b32_e32 v4, 0x7fffffff, v2
	s_mov_b32 s4, 0x47800000
	v_cmp_gt_u32_e32 vcc, s4, v4
                                        ; implicit-def: $vgpr3
	s_and_saveexec_b64 s[4:5], vcc
	s_xor_b64 s[4:5], exec, s[4:5]
	s_cbranch_execz .LBB200_1960
; %bb.1955:
	s_mov_b32 s6, 0x387fffff
	v_cmp_lt_u32_e32 vcc, s6, v4
                                        ; implicit-def: $vgpr3
	s_and_saveexec_b64 s[6:7], vcc
	s_xor_b64 s[6:7], exec, s[6:7]
; %bb.1956:
	v_bfe_u32 v3, v2, 21, 1
	s_mov_b32 s8, 0x80fffff
	v_add3_u32 v3, v2, v3, s8
	v_lshrrev_b32_e32 v3, 21, v3
; %bb.1957:
	s_andn2_saveexec_b64 s[6:7], s[6:7]
; %bb.1958:
	s_mov_b32 s8, 0x43000000
	v_add_f32_e64 v3, |v2|, s8
; %bb.1959:
	s_or_b64 exec, exec, s[6:7]
                                        ; implicit-def: $vgpr4
.LBB200_1960:
	s_andn2_saveexec_b64 s[4:5], s[4:5]
; %bb.1961:
	s_mov_b32 s6, 0x7f800000
	v_mov_b32_e32 v3, 0x7c
	v_mov_b32_e32 v5, 0x7f
	v_cmp_lt_u32_e32 vcc, s6, v4
	s_nop 1
	v_cndmask_b32_e32 v3, v3, v5, vcc
; %bb.1962:
	s_or_b64 exec, exec, s[4:5]
	v_lshrrev_b32_e32 v4, 24, v2
	s_movk_i32 s4, 0x80
	v_and_or_b32 v3, v4, s4, v3
	global_store_byte v[0:1], v3, off
.LBB200_1963:
	s_mov_b64 s[4:5], 0
.LBB200_1964:
	s_andn2_b64 vcc, exec, s[4:5]
	s_mov_b64 s[4:5], 0
	s_cbranch_vccnz .LBB200_1971
; %bb.1965:
	s_cmp_gt_i32 s16, 14
	s_mov_b64 s[6:7], -1
	s_cbranch_scc0 .LBB200_1969
; %bb.1966:
	s_cmp_eq_u32 s16, 15
	s_mov_b64 s[0:1], -1
	s_cbranch_scc0 .LBB200_1968
; %bb.1967:
	v_bfe_u32 v3, v2, 16, 1
	s_movk_i32 s0, 0x7fff
	v_add3_u32 v3, v2, v3, s0
	v_cmp_o_f32_e32 vcc, v2, v2
	v_mov_b32_e32 v4, 0x7fc0
	s_mov_b64 s[0:1], 0
	v_cndmask_b32_sdwa v3, v4, v3, vcc dst_sel:DWORD dst_unused:UNUSED_PAD src0_sel:DWORD src1_sel:WORD_1
	global_store_short v[0:1], v3, off
.LBB200_1968:
	s_mov_b64 s[6:7], 0
.LBB200_1969:
	s_and_b64 vcc, exec, s[6:7]
	s_cbranch_vccz .LBB200_1971
; %bb.1970:
	s_cmp_lg_u32 s16, 11
	s_mov_b64 s[4:5], -1
	s_cselect_b64 s[0:1], -1, 0
.LBB200_1971:
	s_and_b64 vcc, exec, s[0:1]
	s_cbranch_vccnz .LBB200_2037
.LBB200_1972:
	s_mov_b64 s[0:1], 0
	s_branch .LBB200_1974
.LBB200_1973:
	s_mov_b64 s[0:1], 0
	s_mov_b64 s[4:5], 0
                                        ; implicit-def: $sgpr20
                                        ; implicit-def: $vgpr0_vgpr1
                                        ; implicit-def: $vgpr2
.LBB200_1974:
	s_and_b64 s[10:11], s[4:5], exec
	s_andn2_b64 s[4:5], s[12:13], exec
	s_and_b64 s[6:7], s[14:15], exec
	s_and_b64 s[0:1], s[0:1], exec
	s_or_b64 s[12:13], s[4:5], s[6:7]
.LBB200_1975:
	s_or_b64 exec, exec, s[2:3]
	s_and_saveexec_b64 s[2:3], s[12:13]
	s_cbranch_execz .LBB200_1978
; %bb.1976:
	; divergent unreachable
	s_or_b64 exec, exec, s[2:3]
	s_and_saveexec_b64 s[2:3], s[10:11]
	s_xor_b64 s[2:3], exec, s[2:3]
	s_cbranch_execnz .LBB200_1979
.LBB200_1977:
	s_or_b64 exec, exec, s[2:3]
	s_and_saveexec_b64 s[2:3], s[0:1]
	s_cbranch_execnz .LBB200_1980
	s_branch .LBB200_2017
.LBB200_1978:
	s_or_b64 exec, exec, s[2:3]
	s_and_saveexec_b64 s[2:3], s[10:11]
	s_xor_b64 s[2:3], exec, s[2:3]
	s_cbranch_execz .LBB200_1977
.LBB200_1979:
	s_waitcnt vmcnt(0)
	v_cmp_neq_f32_e32 vcc, 0, v2
	s_nop 1
	v_cndmask_b32_e64 v3, 0, 1, vcc
	global_store_byte v[0:1], v3, off
	s_or_b64 exec, exec, s[2:3]
	s_and_saveexec_b64 s[2:3], s[0:1]
	s_cbranch_execz .LBB200_2017
.LBB200_1980:
	s_sext_i32_i16 s2, s20
	s_cmp_lt_i32 s2, 5
	s_mov_b64 s[0:1], -1
	s_cbranch_scc1 .LBB200_2001
; %bb.1981:
	s_cmp_lt_i32 s2, 8
	s_cbranch_scc1 .LBB200_1991
; %bb.1982:
	s_cmp_lt_i32 s2, 9
	s_cbranch_scc1 .LBB200_1988
; %bb.1983:
	s_cmp_gt_i32 s2, 9
	s_cbranch_scc0 .LBB200_1985
; %bb.1984:
	s_waitcnt vmcnt(0)
	v_mov_b32_e32 v6, 0
	v_cvt_f64_f32_e32 v[4:5], v2
	v_mov_b32_e32 v7, v6
	global_store_dwordx4 v[0:1], v[4:7], off
	s_mov_b64 s[0:1], 0
.LBB200_1985:
	s_andn2_b64 vcc, exec, s[0:1]
	s_cbranch_vccnz .LBB200_1987
; %bb.1986:
	s_waitcnt vmcnt(0)
	v_mov_b32_e32 v3, 0
	global_store_dwordx2 v[0:1], v[2:3], off
.LBB200_1987:
	s_mov_b64 s[0:1], 0
.LBB200_1988:
	s_andn2_b64 vcc, exec, s[0:1]
	s_cbranch_vccnz .LBB200_1990
; %bb.1989:
	s_waitcnt vmcnt(0)
	v_cvt_f16_f32_e32 v3, v2
	global_store_dword v[0:1], v3, off
.LBB200_1990:
	s_mov_b64 s[0:1], 0
.LBB200_1991:
	s_andn2_b64 vcc, exec, s[0:1]
	s_cbranch_vccnz .LBB200_2000
; %bb.1992:
	s_sext_i32_i16 s2, s20
	s_cmp_lt_i32 s2, 6
	s_mov_b64 s[0:1], -1
	s_cbranch_scc1 .LBB200_1998
; %bb.1993:
	s_cmp_gt_i32 s2, 6
	s_cbranch_scc0 .LBB200_1995
; %bb.1994:
	s_waitcnt vmcnt(0)
	v_cvt_f64_f32_e32 v[4:5], v2
	global_store_dwordx2 v[0:1], v[4:5], off
	s_mov_b64 s[0:1], 0
.LBB200_1995:
	s_andn2_b64 vcc, exec, s[0:1]
	s_cbranch_vccnz .LBB200_1997
; %bb.1996:
	s_waitcnt vmcnt(0)
	global_store_dword v[0:1], v2, off
.LBB200_1997:
	s_mov_b64 s[0:1], 0
.LBB200_1998:
	s_andn2_b64 vcc, exec, s[0:1]
	s_cbranch_vccnz .LBB200_2000
; %bb.1999:
	s_waitcnt vmcnt(0)
	v_cvt_f16_f32_e32 v3, v2
	global_store_short v[0:1], v3, off
.LBB200_2000:
	s_mov_b64 s[0:1], 0
.LBB200_2001:
	s_andn2_b64 vcc, exec, s[0:1]
	s_cbranch_vccnz .LBB200_2017
; %bb.2002:
	s_sext_i32_i16 s2, s20
	s_cmp_lt_i32 s2, 2
	s_mov_b64 s[0:1], -1
	s_cbranch_scc1 .LBB200_2012
; %bb.2003:
	s_cmp_lt_i32 s2, 3
	s_cbranch_scc1 .LBB200_2009
; %bb.2004:
	s_cmp_gt_i32 s2, 3
	s_cbranch_scc0 .LBB200_2006
; %bb.2005:
	s_waitcnt vmcnt(0)
	v_trunc_f32_e32 v3, v2
	s_mov_b32 s0, 0x2f800000
	v_mul_f32_e64 v4, |v3|, s0
	v_floor_f32_e32 v4, v4
	s_mov_b32 s0, 0xcf800000
	v_cvt_u32_f32_e32 v5, v4
	v_fma_f32 v4, v4, s0, |v3|
	v_cvt_u32_f32_e32 v4, v4
	v_ashrrev_i32_e32 v3, 31, v3
	v_xor_b32_e32 v5, v5, v3
	s_mov_b64 s[0:1], 0
	v_xor_b32_e32 v4, v4, v3
	v_sub_co_u32_e32 v4, vcc, v4, v3
	s_nop 1
	v_subb_co_u32_e32 v5, vcc, v5, v3, vcc
	global_store_dwordx2 v[0:1], v[4:5], off
.LBB200_2006:
	s_andn2_b64 vcc, exec, s[0:1]
	s_cbranch_vccnz .LBB200_2008
; %bb.2007:
	s_waitcnt vmcnt(0)
	v_cvt_i32_f32_e32 v3, v2
	global_store_dword v[0:1], v3, off
.LBB200_2008:
	s_mov_b64 s[0:1], 0
.LBB200_2009:
	s_andn2_b64 vcc, exec, s[0:1]
	s_cbranch_vccnz .LBB200_2011
; %bb.2010:
	s_waitcnt vmcnt(0)
	v_cvt_i32_f32_e32 v3, v2
	global_store_short v[0:1], v3, off
.LBB200_2011:
	s_mov_b64 s[0:1], 0
.LBB200_2012:
	s_andn2_b64 vcc, exec, s[0:1]
	s_cbranch_vccnz .LBB200_2017
; %bb.2013:
	s_sext_i32_i16 s0, s20
	s_cmp_gt_i32 s0, 0
	s_mov_b64 s[0:1], -1
	s_cbranch_scc0 .LBB200_2015
; %bb.2014:
	s_waitcnt vmcnt(0)
	v_cvt_i32_f32_e32 v3, v2
	s_mov_b64 s[0:1], 0
	global_store_byte v[0:1], v3, off
.LBB200_2015:
	s_andn2_b64 vcc, exec, s[0:1]
	s_cbranch_vccnz .LBB200_2017
; %bb.2016:
	s_waitcnt vmcnt(0)
	v_trunc_f32_e32 v2, v2
	s_mov_b32 s0, 0x2f800000
	v_mul_f32_e64 v3, |v2|, s0
	v_floor_f32_e32 v3, v3
	s_mov_b32 s0, 0xcf800000
	v_fma_f32 v3, v3, s0, |v2|
	v_cvt_u32_f32_e32 v3, v3
	v_ashrrev_i32_e32 v2, 31, v2
	v_xor_b32_e32 v3, v3, v2
	v_sub_u32_e32 v2, v3, v2
	global_store_byte v[0:1], v2, off
	s_endpgm
.LBB200_2017:
	s_endpgm
.LBB200_2018:
	s_mov_b64 s[4:5], 0
	s_mov_b64 s[0:1], -1
	s_branch .LBB200_1974
.LBB200_2019:
	s_trap 2
	s_or_b64 s[14:15], s[14:15], exec
	s_cbranch_execz .LBB200_1488
	s_branch .LBB200_1489
.LBB200_2020:
	s_andn2_saveexec_b64 s[18:19], s[18:19]
	s_cbranch_execz .LBB200_1568
.LBB200_2021:
	s_mov_b32 s21, 0x46000000
	v_add_f32_e64 v1, |v4|, s21
	v_and_b32_e32 v1, 0xff, v1
	v_cmp_ne_u32_e32 vcc, 0, v1
	s_andn2_b64 s[16:17], s[16:17], exec
	s_and_b64 s[22:23], vcc, exec
	s_or_b64 s[16:17], s[16:17], s[22:23]
	s_or_b64 exec, exec, s[18:19]
	v_mov_b32_e32 v5, 0
	s_and_saveexec_b64 s[18:19], s[16:17]
	s_cbranch_execnz .LBB200_1569
	s_branch .LBB200_1570
.LBB200_2022:
	s_trap 2
	s_or_b64 s[14:15], s[14:15], exec
	s_cbranch_execz .LBB200_1616
	s_branch .LBB200_1617
.LBB200_2023:
	s_andn2_saveexec_b64 s[16:17], s[16:17]
	s_cbranch_execz .LBB200_1581
.LBB200_2024:
	s_mov_b32 s18, 0x42800000
	v_add_f32_e64 v1, |v4|, s18
	v_and_b32_e32 v1, 0xff, v1
	v_cmp_ne_u32_e32 vcc, 0, v1
	s_andn2_b64 s[10:11], s[10:11], exec
	s_and_b64 s[18:19], vcc, exec
	s_or_b64 s[10:11], s[10:11], s[18:19]
	s_or_b64 exec, exec, s[16:17]
	v_mov_b32_e32 v5, 0
	s_and_saveexec_b64 s[16:17], s[10:11]
	s_cbranch_execnz .LBB200_1582
	s_branch .LBB200_1583
.LBB200_2025:
	s_andn2_saveexec_b64 s[16:17], s[16:17]
	s_cbranch_execz .LBB200_1687
.LBB200_2026:
	s_mov_b32 s21, 0x46000000
	v_add_f32_e64 v1, |v4|, s21
	v_and_b32_e32 v1, 0xff, v1
	v_cmp_ne_u32_e32 vcc, 0, v1
	s_andn2_b64 s[10:11], s[10:11], exec
	s_and_b64 s[22:23], vcc, exec
	s_or_b64 s[10:11], s[10:11], s[22:23]
	s_or_b64 exec, exec, s[16:17]
	v_mov_b32_e32 v5, 0
	s_and_saveexec_b64 s[16:17], s[10:11]
	s_cbranch_execnz .LBB200_1688
	s_branch .LBB200_1689
.LBB200_2027:
	s_trap 2
	s_or_b64 s[14:15], s[14:15], exec
	s_cbranch_execz .LBB200_1735
	s_branch .LBB200_1736
.LBB200_2028:
	s_andn2_saveexec_b64 s[10:11], s[10:11]
	s_cbranch_execz .LBB200_1700
.LBB200_2029:
	s_mov_b32 s16, 0x42800000
	v_add_f32_e64 v1, |v4|, s16
	v_and_b32_e32 v1, 0xff, v1
	v_cmp_ne_u32_e32 vcc, 0, v1
	s_andn2_b64 s[8:9], s[8:9], exec
	s_and_b64 s[16:17], vcc, exec
	s_or_b64 s[8:9], s[8:9], s[16:17]
	s_or_b64 exec, exec, s[10:11]
	v_mov_b32_e32 v5, 0
	s_and_saveexec_b64 s[10:11], s[8:9]
	s_cbranch_execnz .LBB200_1701
	s_branch .LBB200_1702
.LBB200_2030:
	s_andn2_saveexec_b64 s[16:17], s[16:17]
	s_cbranch_execz .LBB200_1806
.LBB200_2031:
	s_mov_b32 s21, 0x46000000
	v_add_f32_e64 v1, |v4|, s21
	v_and_b32_e32 v1, 0xff, v1
	v_cmp_ne_u32_e32 vcc, 0, v1
	s_andn2_b64 s[10:11], s[10:11], exec
	s_and_b64 s[22:23], vcc, exec
	s_or_b64 s[10:11], s[10:11], s[22:23]
	s_or_b64 exec, exec, s[16:17]
	v_mov_b32_e32 v5, 0
	s_and_saveexec_b64 s[16:17], s[10:11]
	s_cbranch_execnz .LBB200_1807
	s_branch .LBB200_1808
.LBB200_2032:
	s_trap 2
	s_or_b64 s[14:15], s[14:15], exec
	s_cbranch_execz .LBB200_1854
	s_branch .LBB200_1855
.LBB200_2033:
	s_andn2_saveexec_b64 s[10:11], s[10:11]
	s_cbranch_execz .LBB200_1819
.LBB200_2034:
	s_mov_b32 s16, 0x42800000
	v_add_f32_e64 v1, |v4|, s16
	v_and_b32_e32 v1, 0xff, v1
	v_cmp_ne_u32_e32 vcc, 0, v1
	s_andn2_b64 s[8:9], s[8:9], exec
	s_and_b64 s[16:17], vcc, exec
	s_or_b64 s[8:9], s[8:9], s[16:17]
	s_or_b64 exec, exec, s[10:11]
	v_mov_b32_e32 v5, 0
	s_and_saveexec_b64 s[10:11], s[8:9]
	s_cbranch_execnz .LBB200_1820
	s_branch .LBB200_1821
.LBB200_2035:
	s_andn2_saveexec_b64 s[10:11], s[10:11]
	s_cbranch_execz .LBB200_1926
.LBB200_2036:
	s_mov_b32 s17, 0x46000000
	v_add_f32_e64 v3, |v2|, s17
	v_and_b32_e32 v3, 0xff, v3
	v_cmp_ne_u32_e32 vcc, 0, v3
	s_andn2_b64 s[8:9], s[8:9], exec
	s_and_b64 s[18:19], vcc, exec
	s_or_b64 s[8:9], s[8:9], s[18:19]
	s_or_b64 exec, exec, s[10:11]
	v_mov_b32_e32 v4, 0
	s_and_saveexec_b64 s[10:11], s[8:9]
	s_cbranch_execnz .LBB200_1927
	s_branch .LBB200_1928
.LBB200_2037:
	s_mov_b64 s[4:5], 0
	s_or_b64 s[14:15], s[14:15], exec
	s_trap 2
	s_branch .LBB200_1972
.LBB200_2038:
	s_andn2_saveexec_b64 s[8:9], s[8:9]
	s_cbranch_execz .LBB200_1938
.LBB200_2039:
	s_mov_b32 s10, 0x42800000
	v_add_f32_e64 v3, |v2|, s10
	v_and_b32_e32 v3, 0xff, v3
	v_cmp_ne_u32_e32 vcc, 0, v3
	s_andn2_b64 s[6:7], s[6:7], exec
	s_and_b64 s[10:11], vcc, exec
	s_or_b64 s[6:7], s[6:7], s[10:11]
	s_or_b64 exec, exec, s[8:9]
	v_mov_b32_e32 v4, 0
	s_and_saveexec_b64 s[8:9], s[6:7]
	s_cbranch_execnz .LBB200_1939
	s_branch .LBB200_1940
	.section	.rodata,"a",@progbits
	.p2align	6, 0x0
	.amdhsa_kernel _ZN2at6native32elementwise_kernel_manual_unrollILi128ELi4EZNS0_15gpu_kernel_implIZZZNS0_17rsqrt_kernel_cudaERNS_18TensorIteratorBaseEENKUlvE0_clEvENKUlvE0_clEvEUlfE_EEvS4_RKT_EUlibE_EEviT1_
		.amdhsa_group_segment_fixed_size 0
		.amdhsa_private_segment_fixed_size 0
		.amdhsa_kernarg_size 40
		.amdhsa_user_sgpr_count 2
		.amdhsa_user_sgpr_dispatch_ptr 0
		.amdhsa_user_sgpr_queue_ptr 0
		.amdhsa_user_sgpr_kernarg_segment_ptr 1
		.amdhsa_user_sgpr_dispatch_id 0
		.amdhsa_user_sgpr_kernarg_preload_length 0
		.amdhsa_user_sgpr_kernarg_preload_offset 0
		.amdhsa_user_sgpr_private_segment_size 0
		.amdhsa_uses_dynamic_stack 0
		.amdhsa_enable_private_segment 0
		.amdhsa_system_sgpr_workgroup_id_x 1
		.amdhsa_system_sgpr_workgroup_id_y 0
		.amdhsa_system_sgpr_workgroup_id_z 0
		.amdhsa_system_sgpr_workgroup_info 0
		.amdhsa_system_vgpr_workitem_id 0
		.amdhsa_next_free_vgpr 14
		.amdhsa_next_free_sgpr 44
		.amdhsa_accum_offset 16
		.amdhsa_reserve_vcc 1
		.amdhsa_float_round_mode_32 0
		.amdhsa_float_round_mode_16_64 0
		.amdhsa_float_denorm_mode_32 3
		.amdhsa_float_denorm_mode_16_64 3
		.amdhsa_dx10_clamp 1
		.amdhsa_ieee_mode 1
		.amdhsa_fp16_overflow 0
		.amdhsa_tg_split 0
		.amdhsa_exception_fp_ieee_invalid_op 0
		.amdhsa_exception_fp_denorm_src 0
		.amdhsa_exception_fp_ieee_div_zero 0
		.amdhsa_exception_fp_ieee_overflow 0
		.amdhsa_exception_fp_ieee_underflow 0
		.amdhsa_exception_fp_ieee_inexact 0
		.amdhsa_exception_int_div_zero 0
	.end_amdhsa_kernel
	.section	.text._ZN2at6native32elementwise_kernel_manual_unrollILi128ELi4EZNS0_15gpu_kernel_implIZZZNS0_17rsqrt_kernel_cudaERNS_18TensorIteratorBaseEENKUlvE0_clEvENKUlvE0_clEvEUlfE_EEvS4_RKT_EUlibE_EEviT1_,"axG",@progbits,_ZN2at6native32elementwise_kernel_manual_unrollILi128ELi4EZNS0_15gpu_kernel_implIZZZNS0_17rsqrt_kernel_cudaERNS_18TensorIteratorBaseEENKUlvE0_clEvENKUlvE0_clEvEUlfE_EEvS4_RKT_EUlibE_EEviT1_,comdat
.Lfunc_end200:
	.size	_ZN2at6native32elementwise_kernel_manual_unrollILi128ELi4EZNS0_15gpu_kernel_implIZZZNS0_17rsqrt_kernel_cudaERNS_18TensorIteratorBaseEENKUlvE0_clEvENKUlvE0_clEvEUlfE_EEvS4_RKT_EUlibE_EEviT1_, .Lfunc_end200-_ZN2at6native32elementwise_kernel_manual_unrollILi128ELi4EZNS0_15gpu_kernel_implIZZZNS0_17rsqrt_kernel_cudaERNS_18TensorIteratorBaseEENKUlvE0_clEvENKUlvE0_clEvEUlfE_EEvS4_RKT_EUlibE_EEviT1_
                                        ; -- End function
	.set _ZN2at6native32elementwise_kernel_manual_unrollILi128ELi4EZNS0_15gpu_kernel_implIZZZNS0_17rsqrt_kernel_cudaERNS_18TensorIteratorBaseEENKUlvE0_clEvENKUlvE0_clEvEUlfE_EEvS4_RKT_EUlibE_EEviT1_.num_vgpr, 14
	.set _ZN2at6native32elementwise_kernel_manual_unrollILi128ELi4EZNS0_15gpu_kernel_implIZZZNS0_17rsqrt_kernel_cudaERNS_18TensorIteratorBaseEENKUlvE0_clEvENKUlvE0_clEvEUlfE_EEvS4_RKT_EUlibE_EEviT1_.num_agpr, 0
	.set _ZN2at6native32elementwise_kernel_manual_unrollILi128ELi4EZNS0_15gpu_kernel_implIZZZNS0_17rsqrt_kernel_cudaERNS_18TensorIteratorBaseEENKUlvE0_clEvENKUlvE0_clEvEUlfE_EEvS4_RKT_EUlibE_EEviT1_.numbered_sgpr, 44
	.set _ZN2at6native32elementwise_kernel_manual_unrollILi128ELi4EZNS0_15gpu_kernel_implIZZZNS0_17rsqrt_kernel_cudaERNS_18TensorIteratorBaseEENKUlvE0_clEvENKUlvE0_clEvEUlfE_EEvS4_RKT_EUlibE_EEviT1_.num_named_barrier, 0
	.set _ZN2at6native32elementwise_kernel_manual_unrollILi128ELi4EZNS0_15gpu_kernel_implIZZZNS0_17rsqrt_kernel_cudaERNS_18TensorIteratorBaseEENKUlvE0_clEvENKUlvE0_clEvEUlfE_EEvS4_RKT_EUlibE_EEviT1_.private_seg_size, 0
	.set _ZN2at6native32elementwise_kernel_manual_unrollILi128ELi4EZNS0_15gpu_kernel_implIZZZNS0_17rsqrt_kernel_cudaERNS_18TensorIteratorBaseEENKUlvE0_clEvENKUlvE0_clEvEUlfE_EEvS4_RKT_EUlibE_EEviT1_.uses_vcc, 1
	.set _ZN2at6native32elementwise_kernel_manual_unrollILi128ELi4EZNS0_15gpu_kernel_implIZZZNS0_17rsqrt_kernel_cudaERNS_18TensorIteratorBaseEENKUlvE0_clEvENKUlvE0_clEvEUlfE_EEvS4_RKT_EUlibE_EEviT1_.uses_flat_scratch, 0
	.set _ZN2at6native32elementwise_kernel_manual_unrollILi128ELi4EZNS0_15gpu_kernel_implIZZZNS0_17rsqrt_kernel_cudaERNS_18TensorIteratorBaseEENKUlvE0_clEvENKUlvE0_clEvEUlfE_EEvS4_RKT_EUlibE_EEviT1_.has_dyn_sized_stack, 0
	.set _ZN2at6native32elementwise_kernel_manual_unrollILi128ELi4EZNS0_15gpu_kernel_implIZZZNS0_17rsqrt_kernel_cudaERNS_18TensorIteratorBaseEENKUlvE0_clEvENKUlvE0_clEvEUlfE_EEvS4_RKT_EUlibE_EEviT1_.has_recursion, 0
	.set _ZN2at6native32elementwise_kernel_manual_unrollILi128ELi4EZNS0_15gpu_kernel_implIZZZNS0_17rsqrt_kernel_cudaERNS_18TensorIteratorBaseEENKUlvE0_clEvENKUlvE0_clEvEUlfE_EEvS4_RKT_EUlibE_EEviT1_.has_indirect_call, 0
	.section	.AMDGPU.csdata,"",@progbits
; Kernel info:
; codeLenInByte = 33124
; TotalNumSgprs: 50
; NumVgprs: 14
; NumAgprs: 0
; TotalNumVgprs: 14
; ScratchSize: 0
; MemoryBound: 1
; FloatMode: 240
; IeeeMode: 1
; LDSByteSize: 0 bytes/workgroup (compile time only)
; SGPRBlocks: 6
; VGPRBlocks: 1
; NumSGPRsForWavesPerEU: 50
; NumVGPRsForWavesPerEU: 14
; AccumOffset: 16
; Occupancy: 8
; WaveLimiterHint : 0
; COMPUTE_PGM_RSRC2:SCRATCH_EN: 0
; COMPUTE_PGM_RSRC2:USER_SGPR: 2
; COMPUTE_PGM_RSRC2:TRAP_HANDLER: 0
; COMPUTE_PGM_RSRC2:TGID_X_EN: 1
; COMPUTE_PGM_RSRC2:TGID_Y_EN: 0
; COMPUTE_PGM_RSRC2:TGID_Z_EN: 0
; COMPUTE_PGM_RSRC2:TIDIG_COMP_CNT: 0
; COMPUTE_PGM_RSRC3_GFX90A:ACCUM_OFFSET: 3
; COMPUTE_PGM_RSRC3_GFX90A:TG_SPLIT: 0
	.section	.text._ZN2at6native32elementwise_kernel_manual_unrollILi128ELi4EZNS0_15gpu_kernel_implIZZZNS0_17rsqrt_kernel_cudaERNS_18TensorIteratorBaseEENKUlvE0_clEvENKUlvE0_clEvEUlfE_EEvS4_RKT_EUlibE0_EEviT1_,"axG",@progbits,_ZN2at6native32elementwise_kernel_manual_unrollILi128ELi4EZNS0_15gpu_kernel_implIZZZNS0_17rsqrt_kernel_cudaERNS_18TensorIteratorBaseEENKUlvE0_clEvENKUlvE0_clEvEUlfE_EEvS4_RKT_EUlibE0_EEviT1_,comdat
	.globl	_ZN2at6native32elementwise_kernel_manual_unrollILi128ELi4EZNS0_15gpu_kernel_implIZZZNS0_17rsqrt_kernel_cudaERNS_18TensorIteratorBaseEENKUlvE0_clEvENKUlvE0_clEvEUlfE_EEvS4_RKT_EUlibE0_EEviT1_ ; -- Begin function _ZN2at6native32elementwise_kernel_manual_unrollILi128ELi4EZNS0_15gpu_kernel_implIZZZNS0_17rsqrt_kernel_cudaERNS_18TensorIteratorBaseEENKUlvE0_clEvENKUlvE0_clEvEUlfE_EEvS4_RKT_EUlibE0_EEviT1_
	.p2align	8
	.type	_ZN2at6native32elementwise_kernel_manual_unrollILi128ELi4EZNS0_15gpu_kernel_implIZZZNS0_17rsqrt_kernel_cudaERNS_18TensorIteratorBaseEENKUlvE0_clEvENKUlvE0_clEvEUlfE_EEvS4_RKT_EUlibE0_EEviT1_,@function
_ZN2at6native32elementwise_kernel_manual_unrollILi128ELi4EZNS0_15gpu_kernel_implIZZZNS0_17rsqrt_kernel_cudaERNS_18TensorIteratorBaseEENKUlvE0_clEvENKUlvE0_clEvEUlfE_EEvS4_RKT_EUlibE0_EEviT1_: ; @_ZN2at6native32elementwise_kernel_manual_unrollILi128ELi4EZNS0_15gpu_kernel_implIZZZNS0_17rsqrt_kernel_cudaERNS_18TensorIteratorBaseEENKUlvE0_clEvENKUlvE0_clEvEUlfE_EEvS4_RKT_EUlibE0_EEviT1_
; %bb.0:
	s_load_dword s70, s[0:1], 0x0
	s_load_dword s33, s[0:1], 0x8
	s_add_u32 s34, s0, 8
	s_addc_u32 s35, s1, 0
	v_lshl_or_b32 v8, s2, 9, v0
	v_or_b32_e32 v16, 0x180, v8
	s_waitcnt lgkmcnt(0)
	s_add_i32 s72, s33, -1
	s_cmp_gt_u32 s72, 1
	v_cmp_le_i32_e32 vcc, s70, v16
	s_cselect_b64 s[42:43], -1, 0
	s_mov_b64 s[40:41], 0
	s_mov_b64 s[24:25], 0
	s_and_saveexec_b64 s[2:3], vcc
	s_xor_b64 s[44:45], exec, s[2:3]
	s_cbranch_execz .LBB201_1090
; %bb.1:
	v_mov_b32_e32 v0, 0
	global_load_ushort v0, v0, s[34:35] offset:345
	s_load_dwordx4 s[28:31], s[34:35], 0x4
	s_load_dwordx2 s[46:47], s[34:35], 0x14
	s_load_dwordx4 s[24:27], s[34:35], 0xc4
	s_load_dwordx4 s[20:23], s[34:35], 0x148
	s_cmp_lg_u32 s33, 0
	s_cselect_b64 s[52:53], -1, 0
	s_add_u32 s50, s34, 0xc4
	s_addc_u32 s51, s35, 0
	s_min_u32 s75, s72, 15
	s_cmp_gt_u32 s33, 1
	s_cselect_b64 s[48:49], -1, 0
	v_cmp_gt_i32_e32 vcc, s70, v8
	s_mov_b64 s[4:5], -1
	s_mov_b64 s[62:63], 0
	s_mov_b64 s[56:57], 0
	;; [unrolled: 1-line block ×3, first 2 shown]
	s_waitcnt vmcnt(0)
	v_readfirstlane_b32 s73, v0
	s_and_b32 s2, 0xffff, s73
	s_lshr_b32 s74, s2, 8
	s_and_saveexec_b64 s[58:59], vcc
	s_cbranch_execz .LBB201_267
; %bb.2:
	s_andn2_b64 vcc, exec, s[42:43]
	s_cbranch_vccnz .LBB201_8
; %bb.3:
	s_andn2_b64 vcc, exec, s[52:53]
	s_cbranch_vccnz .LBB201_9
; %bb.4:
	s_add_i32 s57, s75, 1
	s_cmp_eq_u32 s72, 2
	s_cbranch_scc1 .LBB201_10
; %bb.5:
	s_and_b32 s56, s57, 28
	s_mov_b32 s60, 0
	v_mov_b32_e32 v0, 0
	v_mov_b32_e32 v2, 0
	s_mov_b64 s[2:3], s[34:35]
	s_mov_b64 s[54:55], s[50:51]
	v_mov_b32_e32 v4, v8
.LBB201_6:                              ; =>This Inner Loop Header: Depth=1
	s_load_dwordx8 s[12:19], s[2:3], 0x4
	s_load_dwordx4 s[36:39], s[2:3], 0x24
	s_load_dwordx8 s[4:11], s[54:55], 0x0
	s_add_u32 s2, s2, 48
	s_addc_u32 s3, s3, 0
	s_waitcnt lgkmcnt(0)
	v_mul_hi_u32 v1, s13, v4
	v_add_u32_e32 v1, v4, v1
	v_lshrrev_b32_e32 v1, s14, v1
	v_mul_lo_u32 v3, v1, s12
	v_mul_hi_u32 v5, s16, v1
	v_sub_u32_e32 v3, v4, v3
	v_add_u32_e32 v4, v1, v5
	v_lshrrev_b32_e32 v4, s17, v4
	v_mul_lo_u32 v6, v4, s15
	v_mul_hi_u32 v7, s19, v4
	v_sub_u32_e32 v1, v1, v6
	v_add_u32_e32 v6, v4, v7
	v_mul_lo_u32 v5, v3, s5
	v_mul_lo_u32 v3, v3, s4
	;; [unrolled: 1-line block ×4, first 2 shown]
	v_lshrrev_b32_e32 v6, s36, v6
	v_add3_u32 v0, v3, v0, v1
	v_mul_hi_u32 v3, s38, v6
	v_add3_u32 v1, v5, v2, v7
	v_mul_lo_u32 v2, v6, s18
	v_add_u32_e32 v3, v6, v3
	v_sub_u32_e32 v2, v4, v2
	v_lshrrev_b32_e32 v4, s39, v3
	s_add_i32 s60, s60, 4
	v_mul_lo_u32 v3, v4, s37
	s_add_u32 s54, s54, 32
	v_sub_u32_e32 v3, v6, v3
	s_addc_u32 s55, s55, 0
	v_mul_lo_u32 v5, v2, s8
	v_mul_lo_u32 v2, v2, s9
	v_mul_lo_u32 v6, v3, s10
	v_mul_lo_u32 v3, v3, s11
	s_cmp_lg_u32 s56, s60
	v_add3_u32 v2, v2, v1, v3
	v_add3_u32 v0, v5, v0, v6
	s_cbranch_scc1 .LBB201_6
; %bb.7:
	v_mov_b32_e32 v1, v2
	s_branch .LBB201_11
.LBB201_8:
                                        ; implicit-def: $vgpr2
                                        ; implicit-def: $vgpr0
	s_branch .LBB201_15
.LBB201_9:
	v_mov_b32_e32 v2, 0
	v_mov_b32_e32 v0, 0
	s_branch .LBB201_14
.LBB201_10:
	v_mov_b32_e32 v0, 0
	s_mov_b32 s56, 0
	v_mov_b32_e32 v1, v0
                                        ; implicit-def: $vgpr2
	v_mov_b32_e32 v4, v8
.LBB201_11:
	s_and_b32 s6, s57, 3
	s_cmp_eq_u32 s6, 0
	s_cbranch_scc1 .LBB201_14
; %bb.12:
	s_lshl_b32 s2, s56, 3
	s_add_u32 s2, s34, s2
	s_addc_u32 s3, s35, 0
	s_add_u32 s2, s2, 0xc4
	s_addc_u32 s3, s3, 0
	s_mul_i32 s4, s56, 12
	s_add_u32 s4, s34, s4
	s_addc_u32 s5, s35, 0
.LBB201_13:                             ; =>This Inner Loop Header: Depth=1
	s_load_dwordx2 s[8:9], s[4:5], 0x4
	s_load_dword s7, s[4:5], 0xc
	s_load_dwordx2 s[10:11], s[2:3], 0x0
	v_mov_b32_e32 v2, v1
	s_add_u32 s4, s4, 12
	s_waitcnt lgkmcnt(0)
	v_mul_hi_u32 v1, s9, v4
	v_add_u32_e32 v1, v4, v1
	v_lshrrev_b32_e32 v1, s7, v1
	s_addc_u32 s5, s5, 0
	v_mul_lo_u32 v3, v1, s8
	s_add_u32 s2, s2, 8
	v_sub_u32_e32 v5, v4, v3
	s_addc_u32 s3, s3, 0
	s_add_i32 s6, s6, -1
	v_mov_b32_e32 v4, v1
	v_mad_u64_u32 v[2:3], s[8:9], v5, s11, v[2:3]
	v_mad_u64_u32 v[0:1], s[8:9], v5, s10, v[0:1]
	s_cmp_lg_u32 s6, 0
	v_mov_b32_e32 v1, v2
	s_cbranch_scc1 .LBB201_13
.LBB201_14:
	s_cbranch_execnz .LBB201_17
.LBB201_15:
	s_waitcnt lgkmcnt(0)
	v_mul_hi_u32 v0, s29, v8
	v_add_u32_e32 v0, v8, v0
	v_lshrrev_b32_e32 v1, s30, v0
	v_mul_lo_u32 v0, v1, s28
	v_sub_u32_e32 v0, v8, v0
	v_mul_lo_u32 v2, v0, s25
	s_andn2_b64 vcc, exec, s[48:49]
	v_mul_lo_u32 v0, v0, s24
	s_cbranch_vccnz .LBB201_17
; %bb.16:
	v_mul_hi_u32 v3, s46, v1
	v_add_u32_e32 v3, v1, v3
	v_lshrrev_b32_e32 v3, s47, v3
	v_mul_lo_u32 v3, v3, s31
	v_sub_u32_e32 v3, v1, v3
	v_mad_u64_u32 v[0:1], s[2:3], v3, s26, v[0:1]
	v_mad_u64_u32 v[2:3], s[2:3], v3, s27, v[2:3]
.LBB201_17:
	v_mov_b32_e32 v3, 0
	s_and_b32 s10, 0xffff, s74
	s_cmp_lt_i32 s10, 11
	s_waitcnt lgkmcnt(0)
	v_lshl_add_u64 v[2:3], s[22:23], 0, v[2:3]
	s_cbranch_scc1 .LBB201_24
; %bb.18:
	s_cmp_gt_i32 s10, 25
	s_cbranch_scc0 .LBB201_33
; %bb.19:
	s_cmp_gt_i32 s10, 28
	s_cbranch_scc0 .LBB201_36
	;; [unrolled: 3-line block ×4, first 2 shown]
; %bb.22:
	s_cmp_eq_u32 s10, 46
	s_mov_b64 s[6:7], 0
	s_cbranch_scc0 .LBB201_42
; %bb.23:
	global_load_dword v1, v[2:3], off
	s_mov_b64 s[2:3], -1
	s_mov_b64 s[4:5], 0
	s_waitcnt vmcnt(0)
	v_lshlrev_b32_e32 v1, 16, v1
	s_branch .LBB201_44
.LBB201_24:
	s_mov_b64 s[4:5], 0
                                        ; implicit-def: $vgpr1
	s_mov_b64 s[2:3], 0
	s_cbranch_execnz .LBB201_217
.LBB201_25:
	s_andn2_b64 vcc, exec, s[2:3]
	s_cbranch_vccnz .LBB201_264
.LBB201_26:
	s_waitcnt vmcnt(0)
	v_cvt_f64_f32_e32 v[2:3], v1
	v_rsq_f64_e32 v[4:5], v[2:3]
	s_mov_b32 s2, 0
	s_mov_b32 s3, 0x3fd80000
	v_mov_b32_e32 v1, 0x180
	v_mul_f64 v[2:3], v[4:5], -v[2:3]
	v_fma_f64 v[2:3], v[2:3], v[4:5], 1.0
	v_mul_f64 v[6:7], v[4:5], v[2:3]
	v_fma_f64 v[2:3], v[2:3], s[2:3], 0.5
	v_fma_f64 v[2:3], v[6:7], v[2:3], v[4:5]
	v_cmp_class_f64_e32 vcc, v[4:5], v1
	v_mov_b32_e32 v1, 0
	s_and_b32 s12, s73, 0xff
	v_cndmask_b32_e32 v3, v5, v3, vcc
	v_cndmask_b32_e32 v2, v4, v2, vcc
	v_cvt_f32_f64_e32 v2, v[2:3]
	s_cmp_lt_i32 s12, 11
	v_lshl_add_u64 v[0:1], s[20:21], 0, v[0:1]
	s_cbranch_scc1 .LBB201_34
; %bb.27:
	s_and_b32 s13, 0xffff, s12
	s_cmp_gt_i32 s13, 25
	s_cbranch_scc0 .LBB201_37
; %bb.28:
	s_cmp_gt_i32 s13, 28
	s_cbranch_scc0 .LBB201_39
; %bb.29:
	;; [unrolled: 3-line block ×4, first 2 shown]
	s_mov_b64 s[8:9], 0
	s_mov_b64 s[2:3], -1
	s_cmp_eq_u32 s13, 46
	s_mov_b64 s[6:7], 0
	s_cbranch_scc0 .LBB201_48
; %bb.32:
	v_bfe_u32 v3, v2, 16, 1
	s_movk_i32 s2, 0x7fff
	v_add3_u32 v3, v2, v3, s2
	v_cmp_o_f32_e32 vcc, v2, v2
	v_mov_b32_e32 v4, 0x7fc0
	s_mov_b64 s[6:7], -1
	v_cndmask_b32_sdwa v3, v4, v3, vcc dst_sel:DWORD dst_unused:UNUSED_PAD src0_sel:DWORD src1_sel:WORD_1
	global_store_dword v[0:1], v3, off
	s_mov_b64 s[2:3], 0
	s_branch .LBB201_48
.LBB201_33:
	s_mov_b64 s[4:5], 0
	s_mov_b64 s[2:3], 0
                                        ; implicit-def: $vgpr1
	s_cbranch_execnz .LBB201_182
	s_branch .LBB201_216
.LBB201_34:
	s_mov_b64 s[2:3], 0
	s_mov_b64 s[6:7], 0
	s_cbranch_execnz .LBB201_117
.LBB201_35:
	s_andn2_b64 vcc, exec, s[6:7]
	s_cbranch_vccnz .LBB201_265
	s_branch .LBB201_155
.LBB201_36:
	s_mov_b64 s[6:7], -1
	s_mov_b64 s[4:5], 0
	s_mov_b64 s[2:3], 0
                                        ; implicit-def: $vgpr1
	s_branch .LBB201_163
.LBB201_37:
	s_mov_b64 s[8:9], -1
	s_mov_b64 s[2:3], 0
	s_mov_b64 s[6:7], 0
	s_branch .LBB201_75
.LBB201_38:
	s_mov_b64 s[6:7], -1
	s_mov_b64 s[4:5], 0
	s_mov_b64 s[2:3], 0
                                        ; implicit-def: $vgpr1
	s_branch .LBB201_158
.LBB201_39:
	s_mov_b64 s[8:9], -1
	s_mov_b64 s[2:3], 0
	s_mov_b64 s[6:7], 0
	s_branch .LBB201_58
.LBB201_40:
	s_mov_b64 s[6:7], -1
	s_mov_b64 s[4:5], 0
	s_branch .LBB201_43
.LBB201_41:
	s_mov_b64 s[8:9], -1
	s_mov_b64 s[2:3], 0
	s_mov_b64 s[6:7], 0
	s_branch .LBB201_54
.LBB201_42:
	s_mov_b64 s[4:5], -1
.LBB201_43:
	s_mov_b64 s[2:3], 0
                                        ; implicit-def: $vgpr1
.LBB201_44:
	s_and_b64 vcc, exec, s[6:7]
	s_cbranch_vccz .LBB201_157
; %bb.45:
	s_cmp_eq_u32 s10, 44
	s_cbranch_scc0 .LBB201_156
; %bb.46:
	global_load_ubyte v1, v[2:3], off
	s_movk_i32 s4, 0xff
	v_mov_b32_e32 v4, 0x7f800001
	v_mov_b32_e32 v5, 0x400000
	s_mov_b64 s[2:3], -1
	s_waitcnt vmcnt(0)
	v_lshlrev_b32_e32 v6, 23, v1
	v_cmp_ne_u32_e32 vcc, s4, v1
	s_mov_b64 s[4:5], 0
	s_nop 0
	v_cndmask_b32_e32 v4, v4, v6, vcc
	v_cmp_ne_u32_e32 vcc, 0, v1
	s_nop 1
	v_cndmask_b32_e32 v1, v5, v4, vcc
	s_branch .LBB201_157
.LBB201_47:
	s_mov_b64 s[8:9], -1
	s_mov_b64 s[2:3], 0
	s_mov_b64 s[6:7], 0
.LBB201_48:
	s_and_b64 vcc, exec, s[8:9]
	s_cbranch_vccz .LBB201_53
; %bb.49:
	s_cmp_eq_u32 s13, 44
	s_mov_b64 s[2:3], -1
	s_cbranch_scc0 .LBB201_53
; %bb.50:
	v_bfe_u32 v3, v2, 23, 8
	s_movk_i32 s2, 0xff
	v_cmp_ne_u32_e32 vcc, s2, v3
	v_mov_b32_e32 v4, 0xff
	s_and_saveexec_b64 s[6:7], vcc
; %bb.51:
	s_mov_b32 s2, 0x3fffff
	v_and_b32_e32 v5, 0x400000, v2
	v_and_or_b32 v3, v2, s2, v3
	v_cmp_ne_u32_e32 vcc, 0, v5
	v_cmp_ne_u32_e64 s[2:3], 0, v3
	s_and_b64 s[2:3], vcc, s[2:3]
	v_lshrrev_b32_e32 v4, 23, v2
	v_cndmask_b32_e64 v3, 0, 1, s[2:3]
	v_add_u32_e32 v4, v4, v3
; %bb.52:
	s_or_b64 exec, exec, s[6:7]
	s_mov_b64 s[6:7], -1
	s_mov_b64 s[2:3], 0
	global_store_byte v[0:1], v4, off
.LBB201_53:
	s_mov_b64 s[8:9], 0
.LBB201_54:
	s_and_b64 vcc, exec, s[8:9]
	s_cbranch_vccz .LBB201_57
; %bb.55:
	s_cmp_eq_u32 s13, 29
	s_mov_b64 s[2:3], -1
	s_cbranch_scc0 .LBB201_57
; %bb.56:
	v_trunc_f32_e32 v3, v2
	v_mul_f32_e32 v4, 0x2f800000, v3
	v_floor_f32_e32 v4, v4
	v_fmamk_f32 v3, v4, 0xcf800000, v3
	v_cvt_u32_f32_e32 v5, v4
	v_cvt_u32_f32_e32 v4, v3
	s_mov_b64 s[6:7], -1
	s_mov_b64 s[2:3], 0
	s_mov_b64 s[8:9], 0
	global_store_dwordx2 v[0:1], v[4:5], off
	s_branch .LBB201_58
.LBB201_57:
	s_mov_b64 s[8:9], 0
.LBB201_58:
	s_and_b64 vcc, exec, s[8:9]
	s_cbranch_vccz .LBB201_74
; %bb.59:
	s_cmp_lt_i32 s13, 27
	s_mov_b64 s[6:7], -1
	s_cbranch_scc1 .LBB201_65
; %bb.60:
	v_cvt_u32_f32_e32 v3, v2
	s_cmp_gt_i32 s13, 27
	s_cbranch_scc0 .LBB201_62
; %bb.61:
	s_mov_b64 s[6:7], 0
	global_store_dword v[0:1], v3, off
.LBB201_62:
	s_andn2_b64 vcc, exec, s[6:7]
	s_cbranch_vccnz .LBB201_64
; %bb.63:
	global_store_short v[0:1], v3, off
.LBB201_64:
	s_mov_b64 s[6:7], 0
.LBB201_65:
	s_andn2_b64 vcc, exec, s[6:7]
	s_cbranch_vccnz .LBB201_73
; %bb.66:
	v_and_b32_e32 v3, 0x7fffffff, v2
	s_mov_b32 s6, 0x43800000
	v_cmp_gt_u32_e32 vcc, s6, v3
	v_mov_b32_e32 v4, 0x80
	s_and_saveexec_b64 s[6:7], vcc
	s_cbranch_execz .LBB201_72
; %bb.67:
	s_mov_b32 s8, 0x3bffffff
	v_cmp_lt_u32_e32 vcc, s8, v3
	s_mov_b64 s[8:9], 0
                                        ; implicit-def: $vgpr3
	s_and_saveexec_b64 s[10:11], vcc
	s_xor_b64 s[10:11], exec, s[10:11]
	s_cbranch_execz .LBB201_309
; %bb.68:
	v_bfe_u32 v3, v2, 20, 1
	s_mov_b32 s14, 0x487ffff
	v_add3_u32 v3, v2, v3, s14
	s_mov_b64 s[8:9], exec
	v_lshrrev_b32_e32 v3, 20, v3
	s_andn2_saveexec_b64 s[10:11], s[10:11]
	s_cbranch_execnz .LBB201_310
.LBB201_69:
	s_or_b64 exec, exec, s[10:11]
	v_mov_b32_e32 v4, 0
	s_and_saveexec_b64 s[10:11], s[8:9]
.LBB201_70:
	v_lshrrev_b32_e32 v4, 24, v2
	s_movk_i32 s8, 0x80
	v_and_or_b32 v4, v4, s8, v3
.LBB201_71:
	s_or_b64 exec, exec, s[10:11]
.LBB201_72:
	s_or_b64 exec, exec, s[6:7]
	global_store_byte v[0:1], v4, off
.LBB201_73:
	s_mov_b64 s[6:7], -1
.LBB201_74:
	s_mov_b64 s[8:9], 0
.LBB201_75:
	s_and_b64 vcc, exec, s[8:9]
	s_cbranch_vccz .LBB201_116
; %bb.76:
	s_cmp_gt_i32 s13, 22
	s_mov_b64 s[8:9], -1
	s_cbranch_scc0 .LBB201_108
; %bb.77:
	s_cmp_lt_i32 s13, 24
	s_mov_b64 s[6:7], -1
	s_cbranch_scc1 .LBB201_97
; %bb.78:
	s_cmp_gt_i32 s13, 24
	s_cbranch_scc0 .LBB201_86
; %bb.79:
	v_and_b32_e32 v3, 0x7fffffff, v2
	s_mov_b32 s6, 0x47800000
	v_cmp_gt_u32_e32 vcc, s6, v3
	v_mov_b32_e32 v4, 0x80
	s_and_saveexec_b64 s[6:7], vcc
	s_cbranch_execz .LBB201_85
; %bb.80:
	s_mov_b32 s8, 0x37ffffff
	v_cmp_lt_u32_e32 vcc, s8, v3
	s_mov_b64 s[8:9], 0
                                        ; implicit-def: $vgpr3
	s_and_saveexec_b64 s[10:11], vcc
	s_xor_b64 s[10:11], exec, s[10:11]
	s_cbranch_execz .LBB201_313
; %bb.81:
	v_bfe_u32 v3, v2, 21, 1
	s_mov_b32 s14, 0x88fffff
	v_add3_u32 v3, v2, v3, s14
	s_mov_b64 s[8:9], exec
	v_lshrrev_b32_e32 v3, 21, v3
	s_andn2_saveexec_b64 s[10:11], s[10:11]
	s_cbranch_execnz .LBB201_314
.LBB201_82:
	s_or_b64 exec, exec, s[10:11]
	v_mov_b32_e32 v4, 0
	s_and_saveexec_b64 s[10:11], s[8:9]
.LBB201_83:
	v_lshrrev_b32_e32 v4, 24, v2
	s_movk_i32 s8, 0x80
	v_and_or_b32 v4, v4, s8, v3
.LBB201_84:
	s_or_b64 exec, exec, s[10:11]
.LBB201_85:
	s_or_b64 exec, exec, s[6:7]
	s_mov_b64 s[6:7], 0
	global_store_byte v[0:1], v4, off
.LBB201_86:
	s_and_b64 vcc, exec, s[6:7]
	s_cbranch_vccz .LBB201_96
; %bb.87:
	v_and_b32_e32 v4, 0x7fffffff, v2
	s_mov_b32 s6, 0x43f00000
	v_cmp_gt_u32_e32 vcc, s6, v4
                                        ; implicit-def: $vgpr3
	s_and_saveexec_b64 s[6:7], vcc
	s_xor_b64 s[6:7], exec, s[6:7]
	s_cbranch_execz .LBB201_93
; %bb.88:
	s_mov_b32 s8, 0x3c7fffff
	v_cmp_lt_u32_e32 vcc, s8, v4
                                        ; implicit-def: $vgpr3
	s_and_saveexec_b64 s[8:9], vcc
	s_xor_b64 s[8:9], exec, s[8:9]
; %bb.89:
	v_bfe_u32 v3, v2, 20, 1
	s_mov_b32 s10, 0x407ffff
	v_add3_u32 v3, v2, v3, s10
	v_lshrrev_b32_e32 v4, 20, v3
	v_and_b32_e32 v3, 0xff00000, v3
	s_mov_b32 s10, 0x7f00000
	v_mov_b32_e32 v5, 0x7e
	v_cmp_ne_u32_e32 vcc, s10, v3
	s_nop 1
	v_cndmask_b32_e32 v3, v5, v4, vcc
; %bb.90:
	s_andn2_saveexec_b64 s[8:9], s[8:9]
; %bb.91:
	s_mov_b32 s10, 0x46800000
	v_add_f32_e64 v3, |v2|, s10
; %bb.92:
	s_or_b64 exec, exec, s[8:9]
                                        ; implicit-def: $vgpr4
.LBB201_93:
	s_andn2_saveexec_b64 s[6:7], s[6:7]
; %bb.94:
	s_mov_b32 s8, 0x7f800000
	v_mov_b32_e32 v3, 0x7e
	v_mov_b32_e32 v5, 0x7f
	v_cmp_lt_u32_e32 vcc, s8, v4
	s_nop 1
	v_cndmask_b32_e32 v3, v3, v5, vcc
; %bb.95:
	s_or_b64 exec, exec, s[6:7]
	v_lshrrev_b32_e32 v4, 24, v2
	s_movk_i32 s6, 0x80
	v_and_or_b32 v3, v4, s6, v3
	global_store_byte v[0:1], v3, off
.LBB201_96:
	s_mov_b64 s[6:7], 0
.LBB201_97:
	s_andn2_b64 vcc, exec, s[6:7]
	s_cbranch_vccnz .LBB201_107
; %bb.98:
	v_and_b32_e32 v4, 0x7fffffff, v2
	s_mov_b32 s6, 0x47800000
	v_cmp_gt_u32_e32 vcc, s6, v4
                                        ; implicit-def: $vgpr3
	s_and_saveexec_b64 s[6:7], vcc
	s_xor_b64 s[6:7], exec, s[6:7]
	s_cbranch_execz .LBB201_104
; %bb.99:
	s_mov_b32 s8, 0x387fffff
	v_cmp_lt_u32_e32 vcc, s8, v4
                                        ; implicit-def: $vgpr3
	s_and_saveexec_b64 s[8:9], vcc
	s_xor_b64 s[8:9], exec, s[8:9]
; %bb.100:
	v_bfe_u32 v3, v2, 21, 1
	s_mov_b32 s10, 0x80fffff
	v_add3_u32 v3, v2, v3, s10
	v_lshrrev_b32_e32 v3, 21, v3
; %bb.101:
	s_andn2_saveexec_b64 s[8:9], s[8:9]
; %bb.102:
	s_mov_b32 s10, 0x43000000
	v_add_f32_e64 v3, |v2|, s10
; %bb.103:
	s_or_b64 exec, exec, s[8:9]
                                        ; implicit-def: $vgpr4
.LBB201_104:
	s_andn2_saveexec_b64 s[6:7], s[6:7]
; %bb.105:
	s_mov_b32 s8, 0x7f800000
	v_mov_b32_e32 v3, 0x7c
	v_mov_b32_e32 v5, 0x7f
	v_cmp_lt_u32_e32 vcc, s8, v4
	s_nop 1
	v_cndmask_b32_e32 v3, v3, v5, vcc
; %bb.106:
	s_or_b64 exec, exec, s[6:7]
	v_lshrrev_b32_e32 v4, 24, v2
	s_movk_i32 s6, 0x80
	v_and_or_b32 v3, v4, s6, v3
	global_store_byte v[0:1], v3, off
.LBB201_107:
	s_mov_b64 s[8:9], 0
	s_mov_b64 s[6:7], -1
.LBB201_108:
	s_andn2_b64 vcc, exec, s[8:9]
	s_cbranch_vccnz .LBB201_116
; %bb.109:
	s_cmp_gt_i32 s13, 14
	s_mov_b64 s[8:9], -1
	s_cbranch_scc0 .LBB201_113
; %bb.110:
	s_cmp_eq_u32 s13, 15
	s_mov_b64 s[2:3], -1
	s_cbranch_scc0 .LBB201_112
; %bb.111:
	v_bfe_u32 v3, v2, 16, 1
	s_movk_i32 s2, 0x7fff
	v_add3_u32 v3, v2, v3, s2
	v_cmp_o_f32_e32 vcc, v2, v2
	v_mov_b32_e32 v4, 0x7fc0
	s_mov_b64 s[6:7], -1
	v_cndmask_b32_sdwa v3, v4, v3, vcc dst_sel:DWORD dst_unused:UNUSED_PAD src0_sel:DWORD src1_sel:WORD_1
	global_store_short v[0:1], v3, off
	s_mov_b64 s[2:3], 0
.LBB201_112:
	s_mov_b64 s[8:9], 0
.LBB201_113:
	s_and_b64 vcc, exec, s[8:9]
	s_cbranch_vccz .LBB201_116
; %bb.114:
	s_cmp_eq_u32 s13, 11
	s_mov_b64 s[2:3], -1
	s_cbranch_scc0 .LBB201_116
; %bb.115:
	v_cmp_neq_f32_e32 vcc, 0, v2
	s_mov_b64 s[6:7], -1
	s_mov_b64 s[2:3], 0
	v_cndmask_b32_e64 v3, 0, 1, vcc
	global_store_byte v[0:1], v3, off
.LBB201_116:
	s_branch .LBB201_35
.LBB201_117:
	s_and_b32 s8, 0xffff, s12
	s_cmp_lt_i32 s8, 5
	s_mov_b64 s[6:7], -1
	s_cbranch_scc1 .LBB201_138
; %bb.118:
	s_cmp_lt_i32 s8, 8
	s_cbranch_scc1 .LBB201_128
; %bb.119:
	s_cmp_lt_i32 s8, 9
	s_cbranch_scc1 .LBB201_125
; %bb.120:
	s_cmp_gt_i32 s8, 9
	s_cbranch_scc0 .LBB201_122
; %bb.121:
	v_mov_b32_e32 v6, 0
	v_cvt_f64_f32_e32 v[4:5], v2
	v_mov_b32_e32 v7, v6
	global_store_dwordx4 v[0:1], v[4:7], off
	s_mov_b64 s[6:7], 0
.LBB201_122:
	s_andn2_b64 vcc, exec, s[6:7]
	s_cbranch_vccnz .LBB201_124
; %bb.123:
	v_mov_b32_e32 v3, 0
	global_store_dwordx2 v[0:1], v[2:3], off
.LBB201_124:
	s_mov_b64 s[6:7], 0
.LBB201_125:
	s_andn2_b64 vcc, exec, s[6:7]
	s_cbranch_vccnz .LBB201_127
; %bb.126:
	v_cvt_f16_f32_e32 v3, v2
	global_store_dword v[0:1], v3, off
.LBB201_127:
	s_mov_b64 s[6:7], 0
.LBB201_128:
	s_andn2_b64 vcc, exec, s[6:7]
	s_cbranch_vccnz .LBB201_137
; %bb.129:
	s_cmp_lt_i32 s8, 6
	s_mov_b64 s[6:7], -1
	s_cbranch_scc1 .LBB201_135
; %bb.130:
	s_cmp_gt_i32 s8, 6
	s_cbranch_scc0 .LBB201_132
; %bb.131:
	v_cvt_f64_f32_e32 v[4:5], v2
	global_store_dwordx2 v[0:1], v[4:5], off
	s_mov_b64 s[6:7], 0
.LBB201_132:
	s_andn2_b64 vcc, exec, s[6:7]
	s_cbranch_vccnz .LBB201_134
; %bb.133:
	global_store_dword v[0:1], v2, off
.LBB201_134:
	s_mov_b64 s[6:7], 0
.LBB201_135:
	s_andn2_b64 vcc, exec, s[6:7]
	s_cbranch_vccnz .LBB201_137
; %bb.136:
	v_cvt_f16_f32_e32 v3, v2
	global_store_short v[0:1], v3, off
.LBB201_137:
	s_mov_b64 s[6:7], 0
.LBB201_138:
	s_andn2_b64 vcc, exec, s[6:7]
	s_cbranch_vccnz .LBB201_154
; %bb.139:
	s_cmp_lt_i32 s8, 2
	s_mov_b64 s[6:7], -1
	s_cbranch_scc1 .LBB201_149
; %bb.140:
	s_cmp_lt_i32 s8, 3
	s_cbranch_scc1 .LBB201_146
; %bb.141:
	s_cmp_gt_i32 s8, 3
	s_cbranch_scc0 .LBB201_143
; %bb.142:
	v_trunc_f32_e32 v3, v2
	s_mov_b32 s6, 0x2f800000
	v_mul_f32_e64 v4, |v3|, s6
	v_floor_f32_e32 v4, v4
	s_mov_b32 s6, 0xcf800000
	v_cvt_u32_f32_e32 v5, v4
	v_fma_f32 v4, v4, s6, |v3|
	v_cvt_u32_f32_e32 v4, v4
	v_ashrrev_i32_e32 v3, 31, v3
	v_xor_b32_e32 v5, v5, v3
	s_mov_b64 s[6:7], 0
	v_xor_b32_e32 v4, v4, v3
	v_sub_co_u32_e32 v4, vcc, v4, v3
	s_nop 1
	v_subb_co_u32_e32 v5, vcc, v5, v3, vcc
	global_store_dwordx2 v[0:1], v[4:5], off
.LBB201_143:
	s_andn2_b64 vcc, exec, s[6:7]
	s_cbranch_vccnz .LBB201_145
; %bb.144:
	v_cvt_i32_f32_e32 v3, v2
	global_store_dword v[0:1], v3, off
.LBB201_145:
	s_mov_b64 s[6:7], 0
.LBB201_146:
	s_andn2_b64 vcc, exec, s[6:7]
	s_cbranch_vccnz .LBB201_148
; %bb.147:
	v_cvt_i32_f32_e32 v3, v2
	global_store_short v[0:1], v3, off
.LBB201_148:
	s_mov_b64 s[6:7], 0
.LBB201_149:
	s_andn2_b64 vcc, exec, s[6:7]
	s_cbranch_vccnz .LBB201_154
; %bb.150:
	s_cmp_gt_i32 s8, 0
	s_mov_b64 s[6:7], -1
	s_cbranch_scc0 .LBB201_152
; %bb.151:
	v_cvt_i32_f32_e32 v3, v2
	s_mov_b64 s[6:7], 0
	global_store_byte v[0:1], v3, off
.LBB201_152:
	s_andn2_b64 vcc, exec, s[6:7]
	s_cbranch_vccnz .LBB201_154
; %bb.153:
	v_trunc_f32_e32 v2, v2
	s_mov_b32 s6, 0x2f800000
	v_mul_f32_e64 v3, |v2|, s6
	v_floor_f32_e32 v3, v3
	s_mov_b32 s6, 0xcf800000
	v_fma_f32 v3, v3, s6, |v2|
	v_cvt_u32_f32_e32 v3, v3
	v_ashrrev_i32_e32 v2, 31, v2
	v_xor_b32_e32 v3, v3, v2
	v_sub_u32_e32 v2, v3, v2
	global_store_byte v[0:1], v2, off
.LBB201_154:
.LBB201_155:
	v_add_u32_e32 v8, 0x80, v8
	s_mov_b64 s[6:7], -1
	s_branch .LBB201_266
.LBB201_156:
	s_mov_b64 s[4:5], -1
                                        ; implicit-def: $vgpr1
.LBB201_157:
	s_mov_b64 s[6:7], 0
.LBB201_158:
	s_and_b64 vcc, exec, s[6:7]
	s_cbranch_vccz .LBB201_162
; %bb.159:
	s_cmp_eq_u32 s10, 29
	s_cbranch_scc0 .LBB201_161
; %bb.160:
	global_load_dwordx2 v[4:5], v[2:3], off
	s_mov_b64 s[2:3], -1
	s_mov_b64 s[4:5], 0
	s_mov_b64 s[6:7], 0
	s_waitcnt vmcnt(0)
	v_ffbh_u32_e32 v1, v5
	v_min_u32_e32 v1, 32, v1
	v_lshlrev_b64 v[4:5], v1, v[4:5]
	v_min_u32_e32 v4, 1, v4
	v_or_b32_e32 v4, v5, v4
	v_cvt_f32_u32_e32 v4, v4
	v_sub_u32_e32 v1, 32, v1
	v_ldexp_f32 v1, v4, v1
	s_branch .LBB201_163
.LBB201_161:
	s_mov_b64 s[4:5], -1
                                        ; implicit-def: $vgpr1
.LBB201_162:
	s_mov_b64 s[6:7], 0
.LBB201_163:
	s_and_b64 vcc, exec, s[6:7]
	s_cbranch_vccz .LBB201_181
; %bb.164:
	s_cmp_lt_i32 s10, 27
	s_cbranch_scc1 .LBB201_167
; %bb.165:
	s_cmp_gt_i32 s10, 27
	s_cbranch_scc0 .LBB201_168
; %bb.166:
	global_load_dword v1, v[2:3], off
	s_mov_b64 s[2:3], 0
	s_waitcnt vmcnt(0)
	v_cvt_f32_u32_e32 v1, v1
	s_branch .LBB201_169
.LBB201_167:
	s_mov_b64 s[2:3], -1
                                        ; implicit-def: $vgpr1
	s_branch .LBB201_172
.LBB201_168:
	s_mov_b64 s[2:3], -1
                                        ; implicit-def: $vgpr1
.LBB201_169:
	s_andn2_b64 vcc, exec, s[2:3]
	s_cbranch_vccnz .LBB201_171
; %bb.170:
	global_load_ushort v1, v[2:3], off
	s_waitcnt vmcnt(0)
	v_cvt_f32_u32_e32 v1, v1
.LBB201_171:
	s_mov_b64 s[2:3], 0
.LBB201_172:
	s_andn2_b64 vcc, exec, s[2:3]
	s_cbranch_vccnz .LBB201_180
; %bb.173:
	global_load_ubyte v4, v[2:3], off
	s_movk_i32 s2, 0x7f
	s_waitcnt vmcnt(0)
	v_cmp_lt_i16_e32 vcc, s2, v4
	s_mov_b64 s[2:3], 0
	s_and_saveexec_b64 s[6:7], vcc
	s_xor_b64 s[6:7], exec, s[6:7]
	s_cbranch_execz .LBB201_193
; %bb.174:
	s_movk_i32 s2, 0x80
	v_cmp_eq_u16_e32 vcc, s2, v4
	s_mov_b64 s[2:3], -1
	s_and_saveexec_b64 s[8:9], vcc
; %bb.175:
	s_xor_b64 s[2:3], exec, -1
; %bb.176:
	s_or_b64 exec, exec, s[8:9]
	s_and_b64 s[2:3], s[2:3], exec
	s_or_saveexec_b64 s[6:7], s[6:7]
	v_mov_b32_e32 v1, 0x7f800001
	s_xor_b64 exec, exec, s[6:7]
	s_cbranch_execnz .LBB201_194
.LBB201_177:
	s_or_b64 exec, exec, s[6:7]
	s_and_saveexec_b64 s[6:7], s[2:3]
	s_cbranch_execz .LBB201_179
.LBB201_178:
	v_lshlrev_b32_e32 v1, 24, v4
	v_and_b32_e32 v4, 0xffff, v4
	v_and_b32_e32 v5, 7, v4
	v_ffbh_u32_e32 v7, v5
	v_min_u32_e32 v7, 32, v7
	v_subrev_u32_e32 v9, 28, v7
	v_bfe_u32 v6, v4, 3, 4
	v_lshlrev_b32_e32 v4, v9, v4
	v_sub_u32_e32 v7, 29, v7
	v_and_b32_e32 v4, 7, v4
	v_cmp_eq_u32_e32 vcc, 0, v6
	v_and_b32_e32 v1, 0x80000000, v1
	s_nop 0
	v_cndmask_b32_e32 v6, v6, v7, vcc
	v_cndmask_b32_e32 v4, v5, v4, vcc
	v_mov_b32_e32 v5, 0x3b800000
	v_lshlrev_b32_e32 v4, 20, v4
	v_lshl_add_u32 v5, v6, 23, v5
	v_or3_b32 v1, v1, v5, v4
.LBB201_179:
	s_or_b64 exec, exec, s[6:7]
.LBB201_180:
	s_mov_b64 s[2:3], -1
.LBB201_181:
	s_branch .LBB201_216
.LBB201_182:
	s_cmp_gt_i32 s10, 22
	s_cbranch_scc0 .LBB201_192
; %bb.183:
	s_cmp_lt_i32 s10, 24
	s_cbranch_scc1 .LBB201_195
; %bb.184:
	s_cmp_gt_i32 s10, 24
	s_cbranch_scc0 .LBB201_196
; %bb.185:
	global_load_ubyte v4, v[2:3], off
	s_movk_i32 s2, 0x7f
	s_waitcnt vmcnt(0)
	v_cmp_lt_i16_e32 vcc, s2, v4
	s_mov_b64 s[2:3], 0
	s_and_saveexec_b64 s[6:7], vcc
	s_xor_b64 s[6:7], exec, s[6:7]
	s_cbranch_execz .LBB201_208
; %bb.186:
	s_movk_i32 s2, 0x80
	v_cmp_eq_u16_e32 vcc, s2, v4
	s_mov_b64 s[2:3], -1
	s_and_saveexec_b64 s[8:9], vcc
; %bb.187:
	s_xor_b64 s[2:3], exec, -1
; %bb.188:
	s_or_b64 exec, exec, s[8:9]
	s_and_b64 s[2:3], s[2:3], exec
	s_or_saveexec_b64 s[6:7], s[6:7]
	v_mov_b32_e32 v1, 0x7f800001
	s_xor_b64 exec, exec, s[6:7]
	s_cbranch_execnz .LBB201_209
.LBB201_189:
	s_or_b64 exec, exec, s[6:7]
	s_and_saveexec_b64 s[6:7], s[2:3]
	s_cbranch_execz .LBB201_191
.LBB201_190:
	v_lshlrev_b32_e32 v1, 24, v4
	v_and_b32_e32 v4, 0xffff, v4
	v_and_b32_e32 v5, 3, v4
	v_ffbh_u32_e32 v7, v5
	v_min_u32_e32 v7, 32, v7
	v_subrev_u32_e32 v9, 29, v7
	v_bfe_u32 v6, v4, 2, 5
	v_lshlrev_b32_e32 v4, v9, v4
	v_sub_u32_e32 v7, 30, v7
	v_and_b32_e32 v4, 3, v4
	v_cmp_eq_u32_e32 vcc, 0, v6
	v_and_b32_e32 v1, 0x80000000, v1
	s_nop 0
	v_cndmask_b32_e32 v6, v6, v7, vcc
	v_cndmask_b32_e32 v4, v5, v4, vcc
	v_mov_b32_e32 v5, 0x37800000
	v_lshlrev_b32_e32 v4, 21, v4
	v_lshl_add_u32 v5, v6, 23, v5
	v_or3_b32 v1, v1, v5, v4
.LBB201_191:
	s_or_b64 exec, exec, s[6:7]
	s_mov_b64 s[2:3], 0
	s_branch .LBB201_197
.LBB201_192:
	s_mov_b64 s[6:7], -1
                                        ; implicit-def: $vgpr1
	s_branch .LBB201_203
.LBB201_193:
	s_or_saveexec_b64 s[6:7], s[6:7]
	v_mov_b32_e32 v1, 0x7f800001
	s_xor_b64 exec, exec, s[6:7]
	s_cbranch_execz .LBB201_177
.LBB201_194:
	v_cmp_ne_u16_e32 vcc, 0, v4
	s_andn2_b64 s[2:3], s[2:3], exec
	s_and_b64 s[8:9], vcc, exec
	v_mov_b32_e32 v1, 0
	s_or_b64 s[2:3], s[2:3], s[8:9]
	s_or_b64 exec, exec, s[6:7]
	s_and_saveexec_b64 s[6:7], s[2:3]
	s_cbranch_execnz .LBB201_178
	s_branch .LBB201_179
.LBB201_195:
	s_mov_b64 s[2:3], -1
                                        ; implicit-def: $vgpr1
	s_branch .LBB201_200
.LBB201_196:
	s_mov_b64 s[2:3], -1
                                        ; implicit-def: $vgpr1
.LBB201_197:
	s_and_b64 vcc, exec, s[2:3]
	s_cbranch_vccz .LBB201_199
; %bb.198:
	global_load_ubyte v1, v[2:3], off
	s_mov_b32 s2, 0x7f800000
	s_waitcnt vmcnt(0)
	v_lshlrev_b32_e32 v1, 24, v1
	v_and_b32_e32 v4, 0x7f000000, v1
	v_ffbh_u32_e32 v5, v4
	v_min_u32_e32 v5, 32, v5
	v_sub_u32_e64 v5, v5, 4 clamp
	v_lshlrev_b32_e32 v7, v5, v4
	v_lshlrev_b32_e32 v5, 23, v5
	v_lshrrev_b32_e32 v7, 4, v7
	v_add_u32_e32 v6, 0x1000000, v4
	v_sub_u32_e32 v5, v7, v5
	v_ashrrev_i32_e32 v6, 8, v6
	v_add_u32_e32 v5, 0x3c000000, v5
	v_and_or_b32 v5, v6, s2, v5
	v_cmp_ne_u32_e32 vcc, 0, v4
	s_brev_b32 s2, 1
	s_nop 0
	v_cndmask_b32_e32 v4, 0, v5, vcc
	v_and_or_b32 v1, v1, s2, v4
.LBB201_199:
	s_mov_b64 s[2:3], 0
.LBB201_200:
	s_andn2_b64 vcc, exec, s[2:3]
	s_cbranch_vccnz .LBB201_202
; %bb.201:
	global_load_ubyte v1, v[2:3], off
	s_movk_i32 s2, 0x7f00
	s_brev_b32 s3, 16
	s_waitcnt vmcnt(0)
	v_lshlrev_b16_e32 v4, 8, v1
	v_lshlrev_b32_e32 v1, 25, v1
	v_lshrrev_b32_e32 v5, 4, v1
	v_and_or_b32 v6, v4, s2, 0.5
	v_or_b32_e32 v5, 0x70000000, v5
	v_add_f32_e32 v6, -0.5, v6
	v_mul_f32_e32 v5, 0x7800000, v5
	v_cmp_gt_u32_e32 vcc, s3, v1
	v_bfe_i32 v4, v4, 0, 16
	s_brev_b32 s2, 1
	v_cndmask_b32_e32 v1, v5, v6, vcc
	v_and_or_b32 v1, v4, s2, v1
.LBB201_202:
	s_mov_b64 s[6:7], 0
	s_mov_b64 s[2:3], -1
.LBB201_203:
	s_andn2_b64 vcc, exec, s[6:7]
	s_cbranch_vccnz .LBB201_216
; %bb.204:
	s_cmp_gt_i32 s10, 14
	s_cbranch_scc0 .LBB201_207
; %bb.205:
	s_cmp_eq_u32 s10, 15
	s_cbranch_scc0 .LBB201_210
; %bb.206:
	global_load_ushort v1, v[2:3], off
	s_mov_b64 s[2:3], -1
	s_mov_b64 s[4:5], 0
	s_waitcnt vmcnt(0)
	v_lshlrev_b32_e32 v1, 16, v1
	s_branch .LBB201_211
.LBB201_207:
	s_mov_b64 s[6:7], -1
                                        ; implicit-def: $vgpr1
	s_branch .LBB201_212
.LBB201_208:
	s_or_saveexec_b64 s[6:7], s[6:7]
	v_mov_b32_e32 v1, 0x7f800001
	s_xor_b64 exec, exec, s[6:7]
	s_cbranch_execz .LBB201_189
.LBB201_209:
	v_cmp_ne_u16_e32 vcc, 0, v4
	s_andn2_b64 s[2:3], s[2:3], exec
	s_and_b64 s[8:9], vcc, exec
	v_mov_b32_e32 v1, 0
	s_or_b64 s[2:3], s[2:3], s[8:9]
	s_or_b64 exec, exec, s[6:7]
	s_and_saveexec_b64 s[6:7], s[2:3]
	s_cbranch_execnz .LBB201_190
	s_branch .LBB201_191
.LBB201_210:
	s_mov_b64 s[4:5], -1
                                        ; implicit-def: $vgpr1
.LBB201_211:
	s_mov_b64 s[6:7], 0
.LBB201_212:
	s_and_b64 vcc, exec, s[6:7]
	s_cbranch_vccz .LBB201_216
; %bb.213:
	s_cmp_eq_u32 s10, 11
	s_cbranch_scc0 .LBB201_215
; %bb.214:
	global_load_ubyte v1, v[2:3], off
	s_mov_b64 s[2:3], -1
	s_mov_b64 s[4:5], 0
	s_waitcnt vmcnt(0)
	v_cmp_ne_u16_e32 vcc, 0, v1
	s_nop 1
	v_cndmask_b32_e64 v1, 0, 1.0, vcc
	s_branch .LBB201_216
.LBB201_215:
	s_mov_b64 s[4:5], -1
                                        ; implicit-def: $vgpr1
.LBB201_216:
	s_branch .LBB201_25
.LBB201_217:
	s_cmp_lt_i32 s10, 5
	s_cbranch_scc1 .LBB201_222
; %bb.218:
	s_cmp_lt_i32 s10, 8
	s_cbranch_scc1 .LBB201_223
; %bb.219:
	;; [unrolled: 3-line block ×3, first 2 shown]
	s_cmp_gt_i32 s10, 9
	s_cbranch_scc0 .LBB201_225
; %bb.221:
	global_load_dwordx2 v[4:5], v[2:3], off
	s_mov_b64 s[2:3], 0
	s_waitcnt vmcnt(0)
	v_cvt_f32_f64_e32 v1, v[4:5]
	s_branch .LBB201_226
.LBB201_222:
                                        ; implicit-def: $vgpr1
	s_branch .LBB201_244
.LBB201_223:
	s_mov_b64 s[2:3], -1
                                        ; implicit-def: $vgpr1
	s_branch .LBB201_232
.LBB201_224:
	s_mov_b64 s[2:3], -1
                                        ; implicit-def: $vgpr1
	s_branch .LBB201_229
.LBB201_225:
	s_mov_b64 s[2:3], -1
                                        ; implicit-def: $vgpr1
.LBB201_226:
	s_andn2_b64 vcc, exec, s[2:3]
	s_cbranch_vccnz .LBB201_228
; %bb.227:
	global_load_dword v1, v[2:3], off
.LBB201_228:
	s_mov_b64 s[2:3], 0
.LBB201_229:
	s_andn2_b64 vcc, exec, s[2:3]
	s_cbranch_vccnz .LBB201_231
; %bb.230:
	global_load_dword v1, v[2:3], off
	s_waitcnt vmcnt(0)
	v_cvt_f32_f16_e32 v1, v1
.LBB201_231:
	s_mov_b64 s[2:3], 0
.LBB201_232:
	s_andn2_b64 vcc, exec, s[2:3]
	s_cbranch_vccnz .LBB201_243
; %bb.233:
	s_cmp_lt_i32 s10, 6
	s_cbranch_scc1 .LBB201_236
; %bb.234:
	s_cmp_gt_i32 s10, 6
	s_cbranch_scc0 .LBB201_237
; %bb.235:
	global_load_dwordx2 v[4:5], v[2:3], off
	s_mov_b64 s[2:3], 0
	s_waitcnt vmcnt(0)
	v_cvt_f32_f64_e32 v1, v[4:5]
	s_branch .LBB201_238
.LBB201_236:
	s_mov_b64 s[2:3], -1
                                        ; implicit-def: $vgpr1
	s_branch .LBB201_241
.LBB201_237:
	s_mov_b64 s[2:3], -1
                                        ; implicit-def: $vgpr1
.LBB201_238:
	s_andn2_b64 vcc, exec, s[2:3]
	s_cbranch_vccnz .LBB201_240
; %bb.239:
	global_load_dword v1, v[2:3], off
.LBB201_240:
	s_mov_b64 s[2:3], 0
.LBB201_241:
	s_andn2_b64 vcc, exec, s[2:3]
	s_cbranch_vccnz .LBB201_243
; %bb.242:
	global_load_ushort v1, v[2:3], off
	s_waitcnt vmcnt(0)
	v_cvt_f32_f16_e32 v1, v1
.LBB201_243:
	s_cbranch_execnz .LBB201_263
.LBB201_244:
	s_cmp_lt_i32 s10, 2
	s_cbranch_scc1 .LBB201_248
; %bb.245:
	s_cmp_lt_i32 s10, 3
	s_cbranch_scc1 .LBB201_249
; %bb.246:
	s_cmp_gt_i32 s10, 3
	s_cbranch_scc0 .LBB201_250
; %bb.247:
	global_load_dwordx2 v[4:5], v[2:3], off
	s_mov_b64 s[2:3], 0
	s_waitcnt vmcnt(0)
	v_xor_b32_e32 v6, v4, v5
	v_ffbh_i32_e32 v1, v5
	v_ashrrev_i32_e32 v6, 31, v6
	v_add_u32_e32 v1, -1, v1
	v_add_u32_e32 v6, 32, v6
	v_min_u32_e32 v1, v1, v6
	v_lshlrev_b64 v[4:5], v1, v[4:5]
	v_min_u32_e32 v4, 1, v4
	v_or_b32_e32 v4, v5, v4
	v_cvt_f32_i32_e32 v4, v4
	v_sub_u32_e32 v1, 32, v1
	v_ldexp_f32 v1, v4, v1
	s_branch .LBB201_251
.LBB201_248:
	s_mov_b64 s[2:3], -1
                                        ; implicit-def: $vgpr1
	s_branch .LBB201_257
.LBB201_249:
	s_mov_b64 s[2:3], -1
                                        ; implicit-def: $vgpr1
	s_branch .LBB201_254
.LBB201_250:
	s_mov_b64 s[2:3], -1
                                        ; implicit-def: $vgpr1
.LBB201_251:
	s_andn2_b64 vcc, exec, s[2:3]
	s_cbranch_vccnz .LBB201_253
; %bb.252:
	global_load_dword v1, v[2:3], off
	s_waitcnt vmcnt(0)
	v_cvt_f32_i32_e32 v1, v1
.LBB201_253:
	s_mov_b64 s[2:3], 0
.LBB201_254:
	s_andn2_b64 vcc, exec, s[2:3]
	s_cbranch_vccnz .LBB201_256
; %bb.255:
	global_load_sshort v1, v[2:3], off
	s_waitcnt vmcnt(0)
	v_cvt_f32_i32_e32 v1, v1
.LBB201_256:
	s_mov_b64 s[2:3], 0
.LBB201_257:
	s_andn2_b64 vcc, exec, s[2:3]
	s_cbranch_vccnz .LBB201_263
; %bb.258:
	s_cmp_gt_i32 s10, 0
	s_cbranch_scc0 .LBB201_260
; %bb.259:
	global_load_sbyte v1, v[2:3], off
	s_mov_b64 s[2:3], 0
	s_waitcnt vmcnt(0)
	v_cvt_f32_i32_e32 v1, v1
	s_branch .LBB201_261
.LBB201_260:
	s_mov_b64 s[2:3], -1
                                        ; implicit-def: $vgpr1
.LBB201_261:
	s_andn2_b64 vcc, exec, s[2:3]
	s_cbranch_vccnz .LBB201_263
; %bb.262:
	global_load_ubyte v1, v[2:3], off
	s_waitcnt vmcnt(0)
	v_cvt_f32_ubyte0_e32 v1, v1
.LBB201_263:
	s_branch .LBB201_26
.LBB201_264:
	s_mov_b64 s[2:3], 0
.LBB201_265:
	s_mov_b64 s[6:7], 0
                                        ; implicit-def: $vgpr8
.LBB201_266:
	s_and_b64 s[54:55], s[2:3], exec
	s_and_b64 s[56:57], s[4:5], exec
	s_orn2_b64 s[4:5], s[6:7], exec
.LBB201_267:
	s_or_b64 exec, exec, s[58:59]
	s_mov_b64 s[8:9], 0
	s_mov_b64 s[2:3], 0
                                        ; implicit-def: $vgpr2_vgpr3
                                        ; implicit-def: $vgpr0
                                        ; implicit-def: $vgpr1
	s_and_saveexec_b64 s[58:59], s[4:5]
	s_cbranch_execz .LBB201_275
; %bb.268:
	v_cmp_gt_i32_e32 vcc, s70, v8
	s_mov_b64 s[2:3], -1
	s_mov_b64 s[60:61], s[56:57]
	s_mov_b64 s[62:63], s[54:55]
	s_and_saveexec_b64 s[64:65], vcc
	s_cbranch_execz .LBB201_544
; %bb.269:
	s_andn2_b64 vcc, exec, s[42:43]
	s_cbranch_vccnz .LBB201_278
; %bb.270:
	s_andn2_b64 vcc, exec, s[52:53]
	s_cbranch_vccnz .LBB201_279
; %bb.271:
	s_add_i32 s63, s75, 1
	s_cmp_eq_u32 s72, 2
	s_cbranch_scc1 .LBB201_280
; %bb.272:
	s_and_b32 s62, s63, 28
	s_mov_b32 s66, 0
	v_mov_b32_e32 v0, 0
	v_mov_b32_e32 v2, 0
	s_mov_b64 s[2:3], s[34:35]
	s_mov_b64 s[60:61], s[50:51]
	v_mov_b32_e32 v4, v8
.LBB201_273:                            ; =>This Inner Loop Header: Depth=1
	s_load_dwordx8 s[12:19], s[2:3], 0x4
	s_load_dwordx4 s[36:39], s[2:3], 0x24
	s_load_dwordx8 s[4:11], s[60:61], 0x0
	s_add_u32 s2, s2, 48
	s_addc_u32 s3, s3, 0
	s_waitcnt vmcnt(0) lgkmcnt(0)
	v_mul_hi_u32 v1, s13, v4
	v_add_u32_e32 v1, v4, v1
	v_lshrrev_b32_e32 v1, s14, v1
	v_mul_lo_u32 v3, v1, s12
	v_mul_hi_u32 v5, s16, v1
	v_sub_u32_e32 v3, v4, v3
	v_add_u32_e32 v4, v1, v5
	v_lshrrev_b32_e32 v4, s17, v4
	v_mul_lo_u32 v6, v4, s15
	v_mul_hi_u32 v7, s19, v4
	v_sub_u32_e32 v1, v1, v6
	v_add_u32_e32 v6, v4, v7
	v_mul_lo_u32 v5, v3, s5
	v_mul_lo_u32 v3, v3, s4
	;; [unrolled: 1-line block ×4, first 2 shown]
	v_lshrrev_b32_e32 v6, s36, v6
	v_add3_u32 v0, v3, v0, v1
	v_mul_hi_u32 v3, s38, v6
	v_add3_u32 v1, v5, v2, v7
	v_mul_lo_u32 v2, v6, s18
	v_add_u32_e32 v3, v6, v3
	v_sub_u32_e32 v2, v4, v2
	v_lshrrev_b32_e32 v4, s39, v3
	s_add_i32 s66, s66, 4
	v_mul_lo_u32 v3, v4, s37
	s_add_u32 s60, s60, 32
	v_sub_u32_e32 v3, v6, v3
	s_addc_u32 s61, s61, 0
	v_mul_lo_u32 v5, v2, s8
	v_mul_lo_u32 v2, v2, s9
	;; [unrolled: 1-line block ×4, first 2 shown]
	s_cmp_eq_u32 s62, s66
	v_add3_u32 v2, v2, v1, v3
	v_add3_u32 v0, v5, v0, v6
	s_cbranch_scc0 .LBB201_273
; %bb.274:
	v_mov_b32_e32 v1, v2
	s_branch .LBB201_281
.LBB201_275:
	s_or_b64 exec, exec, s[58:59]
	s_mov_b64 s[4:5], 0
	s_and_saveexec_b64 s[6:7], s[56:57]
	s_cbranch_execnz .LBB201_922
.LBB201_276:
	s_or_b64 exec, exec, s[6:7]
	s_and_saveexec_b64 s[6:7], s[62:63]
	s_xor_b64 s[6:7], exec, s[6:7]
	s_cbranch_execz .LBB201_923
.LBB201_277:
	global_load_ubyte v1, v[2:3], off
	s_or_b64 s[2:3], s[2:3], exec
	s_waitcnt vmcnt(0)
	v_cmp_ne_u16_e32 vcc, 0, v1
	s_nop 1
	v_cndmask_b32_e64 v1, 0, 1.0, vcc
	s_or_b64 exec, exec, s[6:7]
	s_and_saveexec_b64 s[6:7], s[8:9]
	s_cbranch_execz .LBB201_969
	s_branch .LBB201_924
.LBB201_278:
                                        ; implicit-def: $vgpr2
                                        ; implicit-def: $vgpr0
	s_andn2_b64 vcc, exec, s[2:3]
	s_cbranch_vccz .LBB201_285
	s_branch .LBB201_287
.LBB201_279:
	v_mov_b32_e32 v2, 0
	v_mov_b32_e32 v0, 0
	s_branch .LBB201_284
.LBB201_280:
	v_mov_b32_e32 v0, 0
	s_mov_b32 s62, 0
	s_waitcnt vmcnt(0)
	v_mov_b32_e32 v1, v0
                                        ; implicit-def: $vgpr2
	v_mov_b32_e32 v4, v8
.LBB201_281:
	s_and_b32 s6, s63, 3
	s_cmp_eq_u32 s6, 0
	s_cbranch_scc1 .LBB201_284
; %bb.282:
	s_lshl_b32 s2, s62, 3
	s_add_u32 s2, s34, s2
	s_addc_u32 s3, s35, 0
	s_add_u32 s2, s2, 0xc4
	s_addc_u32 s3, s3, 0
	s_mul_i32 s4, s62, 12
	s_add_u32 s4, s34, s4
	s_addc_u32 s5, s35, 0
.LBB201_283:                            ; =>This Inner Loop Header: Depth=1
	s_load_dwordx2 s[8:9], s[4:5], 0x4
	s_load_dword s7, s[4:5], 0xc
	s_load_dwordx2 s[10:11], s[2:3], 0x0
	v_mov_b32_e32 v2, v1
	s_add_u32 s4, s4, 12
	s_waitcnt lgkmcnt(0)
	v_mul_hi_u32 v1, s9, v4
	v_add_u32_e32 v1, v4, v1
	v_lshrrev_b32_e32 v1, s7, v1
	s_addc_u32 s5, s5, 0
	v_mul_lo_u32 v3, v1, s8
	s_add_u32 s2, s2, 8
	v_sub_u32_e32 v5, v4, v3
	s_addc_u32 s3, s3, 0
	s_add_i32 s6, s6, -1
	v_mov_b32_e32 v4, v1
	v_mad_u64_u32 v[2:3], s[8:9], v5, s11, v[2:3]
	v_mad_u64_u32 v[0:1], s[8:9], v5, s10, v[0:1]
	s_cmp_lg_u32 s6, 0
	v_mov_b32_e32 v1, v2
	s_cbranch_scc1 .LBB201_283
.LBB201_284:
	s_cbranch_execnz .LBB201_287
.LBB201_285:
	s_waitcnt lgkmcnt(0)
	v_mul_hi_u32 v0, s29, v8
	v_add_u32_e32 v0, v8, v0
	s_waitcnt vmcnt(0)
	v_lshrrev_b32_e32 v1, s30, v0
	v_mul_lo_u32 v0, v1, s28
	v_sub_u32_e32 v0, v8, v0
	v_mul_lo_u32 v2, v0, s25
	s_andn2_b64 vcc, exec, s[48:49]
	v_mul_lo_u32 v0, v0, s24
	s_cbranch_vccnz .LBB201_287
; %bb.286:
	v_mul_hi_u32 v3, s46, v1
	v_add_u32_e32 v3, v1, v3
	v_lshrrev_b32_e32 v3, s47, v3
	v_mul_lo_u32 v3, v3, s31
	v_sub_u32_e32 v3, v1, v3
	v_mad_u64_u32 v[0:1], s[2:3], v3, s26, v[0:1]
	v_mad_u64_u32 v[2:3], s[2:3], v3, s27, v[2:3]
.LBB201_287:
	v_mov_b32_e32 v3, 0
	s_and_b32 s10, 0xffff, s74
	s_cmp_lt_i32 s10, 11
	s_waitcnt lgkmcnt(0)
	v_lshl_add_u64 v[2:3], s[22:23], 0, v[2:3]
	s_cbranch_scc1 .LBB201_294
; %bb.288:
	s_cmp_gt_i32 s10, 25
	s_cbranch_scc0 .LBB201_303
; %bb.289:
	s_cmp_gt_i32 s10, 28
	s_cbranch_scc0 .LBB201_305
	;; [unrolled: 3-line block ×4, first 2 shown]
; %bb.292:
	s_cmp_eq_u32 s10, 46
	s_mov_b64 s[6:7], 0
	s_cbranch_scc0 .LBB201_315
; %bb.293:
	global_load_dword v1, v[2:3], off
	s_mov_b64 s[2:3], -1
	s_mov_b64 s[4:5], 0
	s_waitcnt vmcnt(0)
	v_lshlrev_b32_e32 v1, 16, v1
	s_branch .LBB201_316
.LBB201_294:
	s_mov_b64 s[2:3], 0
                                        ; implicit-def: $vgpr1
	s_mov_b64 s[4:5], s[56:57]
	s_cbranch_execnz .LBB201_493
.LBB201_295:
	s_andn2_b64 vcc, exec, s[2:3]
	s_cbranch_vccnz .LBB201_541
.LBB201_296:
	s_waitcnt vmcnt(0)
	v_cvt_f64_f32_e32 v[2:3], v1
	v_rsq_f64_e32 v[4:5], v[2:3]
	s_mov_b32 s2, 0
	s_mov_b32 s3, 0x3fd80000
	v_mov_b32_e32 v1, 0x180
	v_mul_f64 v[2:3], v[4:5], -v[2:3]
	v_fma_f64 v[2:3], v[2:3], v[4:5], 1.0
	v_mul_f64 v[6:7], v[4:5], v[2:3]
	v_fma_f64 v[2:3], v[2:3], s[2:3], 0.5
	v_fma_f64 v[2:3], v[6:7], v[2:3], v[4:5]
	v_cmp_class_f64_e32 vcc, v[4:5], v1
	v_mov_b32_e32 v1, 0
	s_and_b32 s12, s73, 0xff
	v_cndmask_b32_e32 v3, v5, v3, vcc
	v_cndmask_b32_e32 v2, v4, v2, vcc
	v_cvt_f32_f64_e32 v2, v[2:3]
	s_cmp_lt_i32 s12, 11
	v_lshl_add_u64 v[0:1], s[20:21], 0, v[0:1]
	s_cbranch_scc1 .LBB201_304
; %bb.297:
	s_and_b32 s13, 0xffff, s12
	s_cmp_gt_i32 s13, 25
	s_cbranch_scc0 .LBB201_306
; %bb.298:
	s_cmp_gt_i32 s13, 28
	s_cbranch_scc0 .LBB201_308
; %bb.299:
	;; [unrolled: 3-line block ×4, first 2 shown]
	s_mov_b64 s[8:9], 0
	s_mov_b64 s[2:3], -1
	s_cmp_eq_u32 s13, 46
	s_mov_b64 s[6:7], 0
	s_cbranch_scc0 .LBB201_320
; %bb.302:
	v_bfe_u32 v3, v2, 16, 1
	s_movk_i32 s2, 0x7fff
	v_add3_u32 v3, v2, v3, s2
	v_cmp_o_f32_e32 vcc, v2, v2
	v_mov_b32_e32 v4, 0x7fc0
	s_mov_b64 s[6:7], -1
	v_cndmask_b32_sdwa v3, v4, v3, vcc dst_sel:DWORD dst_unused:UNUSED_PAD src0_sel:DWORD src1_sel:WORD_1
	global_store_dword v[0:1], v3, off
	s_mov_b64 s[2:3], 0
	s_branch .LBB201_320
.LBB201_303:
	s_mov_b64 s[6:7], -1
	s_mov_b64 s[2:3], 0
	s_mov_b64 s[4:5], s[56:57]
                                        ; implicit-def: $vgpr1
	s_branch .LBB201_457
.LBB201_304:
	s_mov_b64 s[8:9], -1
	s_mov_b64 s[6:7], 0
	s_mov_b64 s[2:3], s[54:55]
	s_branch .LBB201_389
.LBB201_305:
	s_mov_b64 s[6:7], -1
	s_mov_b64 s[2:3], 0
	s_mov_b64 s[4:5], s[56:57]
                                        ; implicit-def: $vgpr1
	s_branch .LBB201_438
.LBB201_306:
	s_mov_b64 s[8:9], -1
	s_mov_b64 s[6:7], 0
	s_mov_b64 s[2:3], s[54:55]
	s_branch .LBB201_347
.LBB201_307:
	s_mov_b64 s[6:7], -1
	s_mov_b64 s[2:3], 0
	s_mov_b64 s[4:5], s[56:57]
                                        ; implicit-def: $vgpr1
	s_branch .LBB201_433
.LBB201_308:
	s_mov_b64 s[8:9], -1
	s_mov_b64 s[6:7], 0
	s_mov_b64 s[2:3], s[54:55]
	s_branch .LBB201_330
.LBB201_309:
	s_andn2_saveexec_b64 s[10:11], s[10:11]
	s_cbranch_execz .LBB201_69
.LBB201_310:
	s_mov_b32 s14, 0x46000000
	v_add_f32_e64 v3, |v2|, s14
	v_and_b32_e32 v3, 0xff, v3
	v_cmp_ne_u32_e32 vcc, 0, v3
	s_andn2_b64 s[8:9], s[8:9], exec
	s_and_b64 s[14:15], vcc, exec
	s_or_b64 s[8:9], s[8:9], s[14:15]
	s_or_b64 exec, exec, s[10:11]
	v_mov_b32_e32 v4, 0
	s_and_saveexec_b64 s[10:11], s[8:9]
	s_cbranch_execnz .LBB201_70
	s_branch .LBB201_71
.LBB201_311:
	s_mov_b64 s[6:7], -1
	s_mov_b64 s[2:3], 0
	s_mov_b64 s[4:5], s[56:57]
                                        ; implicit-def: $vgpr1
	s_branch .LBB201_316
.LBB201_312:
	s_mov_b64 s[8:9], -1
	s_mov_b64 s[6:7], 0
	s_mov_b64 s[2:3], s[54:55]
	s_branch .LBB201_326
.LBB201_313:
	s_andn2_saveexec_b64 s[10:11], s[10:11]
	s_cbranch_execz .LBB201_82
.LBB201_314:
	s_mov_b32 s14, 0x42800000
	v_add_f32_e64 v3, |v2|, s14
	v_and_b32_e32 v3, 0xff, v3
	v_cmp_ne_u32_e32 vcc, 0, v3
	s_andn2_b64 s[8:9], s[8:9], exec
	s_and_b64 s[14:15], vcc, exec
	s_or_b64 s[8:9], s[8:9], s[14:15]
	s_or_b64 exec, exec, s[10:11]
	v_mov_b32_e32 v4, 0
	s_and_saveexec_b64 s[10:11], s[8:9]
	s_cbranch_execnz .LBB201_83
	s_branch .LBB201_84
.LBB201_315:
	s_mov_b64 s[4:5], -1
                                        ; implicit-def: $vgpr1
	s_mov_b64 s[2:3], 0
.LBB201_316:
	s_and_b64 vcc, exec, s[6:7]
	s_cbranch_vccz .LBB201_432
; %bb.317:
	s_cmp_eq_u32 s10, 44
	s_cbranch_scc0 .LBB201_431
; %bb.318:
	global_load_ubyte v1, v[2:3], off
	s_movk_i32 s4, 0xff
	v_mov_b32_e32 v4, 0x7f800001
	v_mov_b32_e32 v5, 0x400000
	s_mov_b64 s[2:3], -1
	s_waitcnt vmcnt(0)
	v_lshlrev_b32_e32 v6, 23, v1
	v_cmp_ne_u32_e32 vcc, s4, v1
	s_mov_b64 s[4:5], 0
	s_nop 0
	v_cndmask_b32_e32 v4, v4, v6, vcc
	v_cmp_ne_u32_e32 vcc, 0, v1
	s_nop 1
	v_cndmask_b32_e32 v1, v5, v4, vcc
	s_branch .LBB201_432
.LBB201_319:
	s_mov_b64 s[8:9], -1
	s_mov_b64 s[6:7], 0
	s_mov_b64 s[2:3], s[54:55]
.LBB201_320:
	s_and_b64 vcc, exec, s[8:9]
	s_cbranch_vccz .LBB201_325
; %bb.321:
	s_cmp_eq_u32 s13, 44
	s_mov_b64 s[2:3], -1
	s_cbranch_scc0 .LBB201_325
; %bb.322:
	v_bfe_u32 v3, v2, 23, 8
	s_movk_i32 s2, 0xff
	v_cmp_ne_u32_e32 vcc, s2, v3
	v_mov_b32_e32 v4, 0xff
	s_and_saveexec_b64 s[6:7], vcc
; %bb.323:
	s_mov_b32 s2, 0x3fffff
	v_and_b32_e32 v5, 0x400000, v2
	v_and_or_b32 v3, v2, s2, v3
	v_cmp_ne_u32_e32 vcc, 0, v5
	v_cmp_ne_u32_e64 s[2:3], 0, v3
	s_and_b64 s[2:3], vcc, s[2:3]
	v_lshrrev_b32_e32 v4, 23, v2
	v_cndmask_b32_e64 v3, 0, 1, s[2:3]
	v_add_u32_e32 v4, v4, v3
; %bb.324:
	s_or_b64 exec, exec, s[6:7]
	s_mov_b64 s[6:7], -1
	s_mov_b64 s[2:3], 0
	global_store_byte v[0:1], v4, off
.LBB201_325:
	s_mov_b64 s[8:9], 0
.LBB201_326:
	s_and_b64 vcc, exec, s[8:9]
	s_cbranch_vccz .LBB201_329
; %bb.327:
	s_cmp_eq_u32 s13, 29
	s_mov_b64 s[2:3], -1
	s_cbranch_scc0 .LBB201_329
; %bb.328:
	v_trunc_f32_e32 v3, v2
	v_mul_f32_e32 v4, 0x2f800000, v3
	v_floor_f32_e32 v4, v4
	v_fmamk_f32 v3, v4, 0xcf800000, v3
	v_cvt_u32_f32_e32 v5, v4
	v_cvt_u32_f32_e32 v4, v3
	s_mov_b64 s[6:7], -1
	s_mov_b64 s[2:3], 0
	s_mov_b64 s[8:9], 0
	global_store_dwordx2 v[0:1], v[4:5], off
	s_branch .LBB201_330
.LBB201_329:
	s_mov_b64 s[8:9], 0
.LBB201_330:
	s_and_b64 vcc, exec, s[8:9]
	s_cbranch_vccz .LBB201_346
; %bb.331:
	s_cmp_lt_i32 s13, 27
	s_mov_b64 s[6:7], -1
	s_cbranch_scc1 .LBB201_337
; %bb.332:
	v_cvt_u32_f32_e32 v3, v2
	s_cmp_gt_i32 s13, 27
	s_cbranch_scc0 .LBB201_334
; %bb.333:
	s_mov_b64 s[6:7], 0
	global_store_dword v[0:1], v3, off
.LBB201_334:
	s_andn2_b64 vcc, exec, s[6:7]
	s_cbranch_vccnz .LBB201_336
; %bb.335:
	global_store_short v[0:1], v3, off
.LBB201_336:
	s_mov_b64 s[6:7], 0
.LBB201_337:
	s_andn2_b64 vcc, exec, s[6:7]
	s_cbranch_vccnz .LBB201_345
; %bb.338:
	v_and_b32_e32 v3, 0x7fffffff, v2
	s_mov_b32 s6, 0x43800000
	v_cmp_gt_u32_e32 vcc, s6, v3
	v_mov_b32_e32 v4, 0x80
	s_and_saveexec_b64 s[6:7], vcc
	s_cbranch_execz .LBB201_344
; %bb.339:
	s_mov_b32 s8, 0x3bffffff
	v_cmp_lt_u32_e32 vcc, s8, v3
	s_mov_b64 s[8:9], 0
                                        ; implicit-def: $vgpr3
	s_and_saveexec_b64 s[10:11], vcc
	s_xor_b64 s[10:11], exec, s[10:11]
	s_cbranch_execz .LBB201_573
; %bb.340:
	v_bfe_u32 v3, v2, 20, 1
	s_mov_b32 s14, 0x487ffff
	v_add3_u32 v3, v2, v3, s14
	s_mov_b64 s[8:9], exec
	v_lshrrev_b32_e32 v3, 20, v3
	s_andn2_saveexec_b64 s[10:11], s[10:11]
	s_cbranch_execnz .LBB201_574
.LBB201_341:
	s_or_b64 exec, exec, s[10:11]
	v_mov_b32_e32 v4, 0
	s_and_saveexec_b64 s[10:11], s[8:9]
.LBB201_342:
	v_lshrrev_b32_e32 v4, 24, v2
	s_movk_i32 s8, 0x80
	v_and_or_b32 v4, v4, s8, v3
.LBB201_343:
	s_or_b64 exec, exec, s[10:11]
.LBB201_344:
	s_or_b64 exec, exec, s[6:7]
	global_store_byte v[0:1], v4, off
.LBB201_345:
	s_mov_b64 s[6:7], -1
.LBB201_346:
	s_mov_b64 s[8:9], 0
.LBB201_347:
	s_and_b64 vcc, exec, s[8:9]
	s_cbranch_vccz .LBB201_388
; %bb.348:
	s_cmp_gt_i32 s13, 22
	s_mov_b64 s[8:9], -1
	s_cbranch_scc0 .LBB201_380
; %bb.349:
	s_cmp_lt_i32 s13, 24
	s_mov_b64 s[6:7], -1
	s_cbranch_scc1 .LBB201_369
; %bb.350:
	s_cmp_gt_i32 s13, 24
	s_cbranch_scc0 .LBB201_358
; %bb.351:
	v_and_b32_e32 v3, 0x7fffffff, v2
	s_mov_b32 s6, 0x47800000
	v_cmp_gt_u32_e32 vcc, s6, v3
	v_mov_b32_e32 v4, 0x80
	s_and_saveexec_b64 s[6:7], vcc
	s_cbranch_execz .LBB201_357
; %bb.352:
	s_mov_b32 s8, 0x37ffffff
	v_cmp_lt_u32_e32 vcc, s8, v3
	s_mov_b64 s[8:9], 0
                                        ; implicit-def: $vgpr3
	s_and_saveexec_b64 s[10:11], vcc
	s_xor_b64 s[10:11], exec, s[10:11]
	s_cbranch_execz .LBB201_576
; %bb.353:
	v_bfe_u32 v3, v2, 21, 1
	s_mov_b32 s14, 0x88fffff
	v_add3_u32 v3, v2, v3, s14
	s_mov_b64 s[8:9], exec
	v_lshrrev_b32_e32 v3, 21, v3
	s_andn2_saveexec_b64 s[10:11], s[10:11]
	s_cbranch_execnz .LBB201_577
.LBB201_354:
	s_or_b64 exec, exec, s[10:11]
	v_mov_b32_e32 v4, 0
	s_and_saveexec_b64 s[10:11], s[8:9]
.LBB201_355:
	v_lshrrev_b32_e32 v4, 24, v2
	s_movk_i32 s8, 0x80
	v_and_or_b32 v4, v4, s8, v3
.LBB201_356:
	s_or_b64 exec, exec, s[10:11]
.LBB201_357:
	s_or_b64 exec, exec, s[6:7]
	s_mov_b64 s[6:7], 0
	global_store_byte v[0:1], v4, off
.LBB201_358:
	s_and_b64 vcc, exec, s[6:7]
	s_cbranch_vccz .LBB201_368
; %bb.359:
	v_and_b32_e32 v4, 0x7fffffff, v2
	s_mov_b32 s6, 0x43f00000
	v_cmp_gt_u32_e32 vcc, s6, v4
                                        ; implicit-def: $vgpr3
	s_and_saveexec_b64 s[6:7], vcc
	s_xor_b64 s[6:7], exec, s[6:7]
	s_cbranch_execz .LBB201_365
; %bb.360:
	s_mov_b32 s8, 0x3c7fffff
	v_cmp_lt_u32_e32 vcc, s8, v4
                                        ; implicit-def: $vgpr3
	s_and_saveexec_b64 s[8:9], vcc
	s_xor_b64 s[8:9], exec, s[8:9]
; %bb.361:
	v_bfe_u32 v3, v2, 20, 1
	s_mov_b32 s10, 0x407ffff
	v_add3_u32 v3, v2, v3, s10
	v_lshrrev_b32_e32 v4, 20, v3
	v_and_b32_e32 v3, 0xff00000, v3
	s_mov_b32 s10, 0x7f00000
	v_mov_b32_e32 v5, 0x7e
	v_cmp_ne_u32_e32 vcc, s10, v3
	s_nop 1
	v_cndmask_b32_e32 v3, v5, v4, vcc
; %bb.362:
	s_andn2_saveexec_b64 s[8:9], s[8:9]
; %bb.363:
	s_mov_b32 s10, 0x46800000
	v_add_f32_e64 v3, |v2|, s10
; %bb.364:
	s_or_b64 exec, exec, s[8:9]
                                        ; implicit-def: $vgpr4
.LBB201_365:
	s_andn2_saveexec_b64 s[6:7], s[6:7]
; %bb.366:
	s_mov_b32 s8, 0x7f800000
	v_mov_b32_e32 v3, 0x7e
	v_mov_b32_e32 v5, 0x7f
	v_cmp_lt_u32_e32 vcc, s8, v4
	s_nop 1
	v_cndmask_b32_e32 v3, v3, v5, vcc
; %bb.367:
	s_or_b64 exec, exec, s[6:7]
	v_lshrrev_b32_e32 v4, 24, v2
	s_movk_i32 s6, 0x80
	v_and_or_b32 v3, v4, s6, v3
	global_store_byte v[0:1], v3, off
.LBB201_368:
	s_mov_b64 s[6:7], 0
.LBB201_369:
	s_andn2_b64 vcc, exec, s[6:7]
	s_cbranch_vccnz .LBB201_379
; %bb.370:
	v_and_b32_e32 v4, 0x7fffffff, v2
	s_mov_b32 s6, 0x47800000
	v_cmp_gt_u32_e32 vcc, s6, v4
                                        ; implicit-def: $vgpr3
	s_and_saveexec_b64 s[6:7], vcc
	s_xor_b64 s[6:7], exec, s[6:7]
	s_cbranch_execz .LBB201_376
; %bb.371:
	s_mov_b32 s8, 0x387fffff
	v_cmp_lt_u32_e32 vcc, s8, v4
                                        ; implicit-def: $vgpr3
	s_and_saveexec_b64 s[8:9], vcc
	s_xor_b64 s[8:9], exec, s[8:9]
; %bb.372:
	v_bfe_u32 v3, v2, 21, 1
	s_mov_b32 s10, 0x80fffff
	v_add3_u32 v3, v2, v3, s10
	v_lshrrev_b32_e32 v3, 21, v3
; %bb.373:
	s_andn2_saveexec_b64 s[8:9], s[8:9]
; %bb.374:
	s_mov_b32 s10, 0x43000000
	v_add_f32_e64 v3, |v2|, s10
; %bb.375:
	s_or_b64 exec, exec, s[8:9]
                                        ; implicit-def: $vgpr4
.LBB201_376:
	s_andn2_saveexec_b64 s[6:7], s[6:7]
; %bb.377:
	s_mov_b32 s8, 0x7f800000
	v_mov_b32_e32 v3, 0x7c
	v_mov_b32_e32 v5, 0x7f
	v_cmp_lt_u32_e32 vcc, s8, v4
	s_nop 1
	v_cndmask_b32_e32 v3, v3, v5, vcc
; %bb.378:
	s_or_b64 exec, exec, s[6:7]
	v_lshrrev_b32_e32 v4, 24, v2
	s_movk_i32 s6, 0x80
	v_and_or_b32 v3, v4, s6, v3
	global_store_byte v[0:1], v3, off
.LBB201_379:
	s_mov_b64 s[8:9], 0
	s_mov_b64 s[6:7], -1
.LBB201_380:
	s_andn2_b64 vcc, exec, s[8:9]
	s_cbranch_vccnz .LBB201_388
; %bb.381:
	s_cmp_gt_i32 s13, 14
	s_mov_b64 s[8:9], -1
	s_cbranch_scc0 .LBB201_385
; %bb.382:
	s_cmp_eq_u32 s13, 15
	s_mov_b64 s[2:3], -1
	s_cbranch_scc0 .LBB201_384
; %bb.383:
	v_bfe_u32 v3, v2, 16, 1
	s_movk_i32 s2, 0x7fff
	v_add3_u32 v3, v2, v3, s2
	v_cmp_o_f32_e32 vcc, v2, v2
	v_mov_b32_e32 v4, 0x7fc0
	s_mov_b64 s[6:7], -1
	v_cndmask_b32_sdwa v3, v4, v3, vcc dst_sel:DWORD dst_unused:UNUSED_PAD src0_sel:DWORD src1_sel:WORD_1
	global_store_short v[0:1], v3, off
	s_mov_b64 s[2:3], 0
.LBB201_384:
	s_mov_b64 s[8:9], 0
.LBB201_385:
	s_and_b64 vcc, exec, s[8:9]
	s_cbranch_vccz .LBB201_388
; %bb.386:
	s_cmp_eq_u32 s13, 11
	s_mov_b64 s[2:3], -1
	s_cbranch_scc0 .LBB201_388
; %bb.387:
	v_cmp_neq_f32_e32 vcc, 0, v2
	s_mov_b64 s[6:7], -1
	s_mov_b64 s[2:3], 0
	v_cndmask_b32_e64 v3, 0, 1, vcc
	global_store_byte v[0:1], v3, off
.LBB201_388:
	s_mov_b64 s[8:9], 0
.LBB201_389:
	s_and_b64 vcc, exec, s[8:9]
	s_cbranch_vccz .LBB201_428
; %bb.390:
	s_and_b32 s8, 0xffff, s12
	s_cmp_lt_i32 s8, 5
	s_mov_b64 s[6:7], -1
	s_cbranch_scc1 .LBB201_411
; %bb.391:
	s_cmp_lt_i32 s8, 8
	s_cbranch_scc1 .LBB201_401
; %bb.392:
	s_cmp_lt_i32 s8, 9
	s_cbranch_scc1 .LBB201_398
; %bb.393:
	s_cmp_gt_i32 s8, 9
	s_cbranch_scc0 .LBB201_395
; %bb.394:
	v_mov_b32_e32 v6, 0
	v_cvt_f64_f32_e32 v[4:5], v2
	v_mov_b32_e32 v7, v6
	s_mov_b64 s[6:7], 0
	global_store_dwordx4 v[0:1], v[4:7], off
.LBB201_395:
	s_andn2_b64 vcc, exec, s[6:7]
	s_cbranch_vccnz .LBB201_397
; %bb.396:
	v_mov_b32_e32 v3, 0
	global_store_dwordx2 v[0:1], v[2:3], off
.LBB201_397:
	s_mov_b64 s[6:7], 0
.LBB201_398:
	s_andn2_b64 vcc, exec, s[6:7]
	s_cbranch_vccnz .LBB201_400
; %bb.399:
	v_cvt_f16_f32_e32 v3, v2
	global_store_dword v[0:1], v3, off
.LBB201_400:
	s_mov_b64 s[6:7], 0
.LBB201_401:
	s_andn2_b64 vcc, exec, s[6:7]
	s_cbranch_vccnz .LBB201_410
; %bb.402:
	s_cmp_lt_i32 s8, 6
	s_mov_b64 s[6:7], -1
	s_cbranch_scc1 .LBB201_408
; %bb.403:
	s_cmp_gt_i32 s8, 6
	s_cbranch_scc0 .LBB201_405
; %bb.404:
	v_cvt_f64_f32_e32 v[4:5], v2
	s_mov_b64 s[6:7], 0
	global_store_dwordx2 v[0:1], v[4:5], off
.LBB201_405:
	s_andn2_b64 vcc, exec, s[6:7]
	s_cbranch_vccnz .LBB201_407
; %bb.406:
	global_store_dword v[0:1], v2, off
.LBB201_407:
	s_mov_b64 s[6:7], 0
.LBB201_408:
	s_andn2_b64 vcc, exec, s[6:7]
	s_cbranch_vccnz .LBB201_410
; %bb.409:
	v_cvt_f16_f32_e32 v3, v2
	global_store_short v[0:1], v3, off
.LBB201_410:
	s_mov_b64 s[6:7], 0
.LBB201_411:
	s_andn2_b64 vcc, exec, s[6:7]
	s_cbranch_vccnz .LBB201_427
; %bb.412:
	s_cmp_lt_i32 s8, 2
	s_mov_b64 s[6:7], -1
	s_cbranch_scc1 .LBB201_422
; %bb.413:
	s_cmp_lt_i32 s8, 3
	s_cbranch_scc1 .LBB201_419
; %bb.414:
	s_cmp_gt_i32 s8, 3
	s_cbranch_scc0 .LBB201_416
; %bb.415:
	v_trunc_f32_e32 v3, v2
	s_mov_b32 s6, 0x2f800000
	v_mul_f32_e64 v4, |v3|, s6
	v_floor_f32_e32 v4, v4
	s_mov_b32 s6, 0xcf800000
	v_cvt_u32_f32_e32 v5, v4
	v_fma_f32 v4, v4, s6, |v3|
	v_cvt_u32_f32_e32 v4, v4
	v_ashrrev_i32_e32 v3, 31, v3
	v_xor_b32_e32 v5, v5, v3
	s_mov_b64 s[6:7], 0
	v_xor_b32_e32 v4, v4, v3
	v_sub_co_u32_e32 v4, vcc, v4, v3
	s_nop 1
	v_subb_co_u32_e32 v5, vcc, v5, v3, vcc
	global_store_dwordx2 v[0:1], v[4:5], off
.LBB201_416:
	s_andn2_b64 vcc, exec, s[6:7]
	s_cbranch_vccnz .LBB201_418
; %bb.417:
	v_cvt_i32_f32_e32 v3, v2
	global_store_dword v[0:1], v3, off
.LBB201_418:
	s_mov_b64 s[6:7], 0
.LBB201_419:
	s_andn2_b64 vcc, exec, s[6:7]
	s_cbranch_vccnz .LBB201_421
; %bb.420:
	v_cvt_i32_f32_e32 v3, v2
	global_store_short v[0:1], v3, off
.LBB201_421:
	s_mov_b64 s[6:7], 0
.LBB201_422:
	s_andn2_b64 vcc, exec, s[6:7]
	s_cbranch_vccnz .LBB201_427
; %bb.423:
	s_cmp_gt_i32 s8, 0
	s_mov_b64 s[6:7], -1
	s_cbranch_scc0 .LBB201_425
; %bb.424:
	v_cvt_i32_f32_e32 v3, v2
	s_mov_b64 s[6:7], 0
	global_store_byte v[0:1], v3, off
.LBB201_425:
	s_andn2_b64 vcc, exec, s[6:7]
	s_cbranch_vccnz .LBB201_427
; %bb.426:
	v_trunc_f32_e32 v2, v2
	s_mov_b32 s6, 0x2f800000
	v_mul_f32_e64 v3, |v2|, s6
	v_floor_f32_e32 v3, v3
	s_mov_b32 s6, 0xcf800000
	v_fma_f32 v3, v3, s6, |v2|
	v_cvt_u32_f32_e32 v3, v3
	v_ashrrev_i32_e32 v2, 31, v2
	v_xor_b32_e32 v3, v3, v2
	v_sub_u32_e32 v2, v3, v2
	global_store_byte v[0:1], v2, off
.LBB201_427:
	s_mov_b64 s[6:7], -1
.LBB201_428:
	s_andn2_b64 vcc, exec, s[6:7]
	s_cbranch_vccnz .LBB201_430
; %bb.429:
	v_add_u32_e32 v8, 0x80, v8
	s_mov_b64 s[6:7], -1
	s_branch .LBB201_543
.LBB201_430:
	s_mov_b64 s[6:7], 0
	s_branch .LBB201_542
.LBB201_431:
	s_mov_b64 s[4:5], -1
                                        ; implicit-def: $vgpr1
.LBB201_432:
	s_mov_b64 s[6:7], 0
.LBB201_433:
	s_and_b64 vcc, exec, s[6:7]
	s_cbranch_vccz .LBB201_437
; %bb.434:
	s_cmp_eq_u32 s10, 29
	s_cbranch_scc0 .LBB201_436
; %bb.435:
	global_load_dwordx2 v[4:5], v[2:3], off
	s_mov_b64 s[2:3], -1
	s_mov_b64 s[4:5], 0
	s_mov_b64 s[6:7], 0
	s_waitcnt vmcnt(0)
	v_ffbh_u32_e32 v1, v5
	v_min_u32_e32 v1, 32, v1
	v_lshlrev_b64 v[4:5], v1, v[4:5]
	v_min_u32_e32 v4, 1, v4
	v_or_b32_e32 v4, v5, v4
	v_cvt_f32_u32_e32 v4, v4
	v_sub_u32_e32 v1, 32, v1
	v_ldexp_f32 v1, v4, v1
	s_branch .LBB201_438
.LBB201_436:
	s_mov_b64 s[4:5], -1
                                        ; implicit-def: $vgpr1
.LBB201_437:
	s_mov_b64 s[6:7], 0
.LBB201_438:
	s_and_b64 vcc, exec, s[6:7]
	s_cbranch_vccz .LBB201_456
; %bb.439:
	s_cmp_lt_i32 s10, 27
	s_cbranch_scc1 .LBB201_442
; %bb.440:
	s_cmp_gt_i32 s10, 27
	s_cbranch_scc0 .LBB201_443
; %bb.441:
	global_load_dword v1, v[2:3], off
	s_mov_b64 s[2:3], 0
	s_waitcnt vmcnt(0)
	v_cvt_f32_u32_e32 v1, v1
	s_branch .LBB201_444
.LBB201_442:
	s_mov_b64 s[2:3], -1
                                        ; implicit-def: $vgpr1
	s_branch .LBB201_447
.LBB201_443:
	s_mov_b64 s[2:3], -1
                                        ; implicit-def: $vgpr1
.LBB201_444:
	s_andn2_b64 vcc, exec, s[2:3]
	s_cbranch_vccnz .LBB201_446
; %bb.445:
	global_load_ushort v1, v[2:3], off
	s_waitcnt vmcnt(0)
	v_cvt_f32_u32_e32 v1, v1
.LBB201_446:
	s_mov_b64 s[2:3], 0
.LBB201_447:
	s_andn2_b64 vcc, exec, s[2:3]
	s_cbranch_vccnz .LBB201_455
; %bb.448:
	global_load_ubyte v4, v[2:3], off
	s_movk_i32 s2, 0x7f
	s_waitcnt vmcnt(0)
	v_cmp_lt_i16_e32 vcc, s2, v4
	s_mov_b64 s[2:3], 0
	s_and_saveexec_b64 s[6:7], vcc
	s_xor_b64 s[6:7], exec, s[6:7]
	s_cbranch_execz .LBB201_469
; %bb.449:
	s_movk_i32 s2, 0x80
	v_cmp_eq_u16_e32 vcc, s2, v4
	s_mov_b64 s[2:3], -1
	s_and_saveexec_b64 s[8:9], vcc
; %bb.450:
	s_xor_b64 s[2:3], exec, -1
; %bb.451:
	s_or_b64 exec, exec, s[8:9]
	s_and_b64 s[2:3], s[2:3], exec
	s_or_saveexec_b64 s[6:7], s[6:7]
	v_mov_b32_e32 v1, 0x7f800001
	s_xor_b64 exec, exec, s[6:7]
	s_cbranch_execnz .LBB201_470
.LBB201_452:
	s_or_b64 exec, exec, s[6:7]
	s_and_saveexec_b64 s[6:7], s[2:3]
	s_cbranch_execz .LBB201_454
.LBB201_453:
	v_lshlrev_b32_e32 v1, 24, v4
	v_and_b32_e32 v4, 0xffff, v4
	v_and_b32_e32 v5, 7, v4
	v_ffbh_u32_e32 v7, v5
	v_min_u32_e32 v7, 32, v7
	v_subrev_u32_e32 v9, 28, v7
	v_bfe_u32 v6, v4, 3, 4
	v_lshlrev_b32_e32 v4, v9, v4
	v_sub_u32_e32 v7, 29, v7
	v_and_b32_e32 v4, 7, v4
	v_cmp_eq_u32_e32 vcc, 0, v6
	v_and_b32_e32 v1, 0x80000000, v1
	s_nop 0
	v_cndmask_b32_e32 v6, v6, v7, vcc
	v_cndmask_b32_e32 v4, v5, v4, vcc
	v_mov_b32_e32 v5, 0x3b800000
	v_lshlrev_b32_e32 v4, 20, v4
	v_lshl_add_u32 v5, v6, 23, v5
	v_or3_b32 v1, v1, v5, v4
.LBB201_454:
	s_or_b64 exec, exec, s[6:7]
.LBB201_455:
	s_mov_b64 s[2:3], -1
.LBB201_456:
	s_mov_b64 s[6:7], 0
.LBB201_457:
	s_and_b64 vcc, exec, s[6:7]
	s_cbranch_vccz .LBB201_492
; %bb.458:
	s_cmp_gt_i32 s10, 22
	s_cbranch_scc0 .LBB201_468
; %bb.459:
	s_cmp_lt_i32 s10, 24
	s_cbranch_scc1 .LBB201_471
; %bb.460:
	s_cmp_gt_i32 s10, 24
	s_cbranch_scc0 .LBB201_472
; %bb.461:
	global_load_ubyte v4, v[2:3], off
	s_movk_i32 s2, 0x7f
	s_waitcnt vmcnt(0)
	v_cmp_lt_i16_e32 vcc, s2, v4
	s_mov_b64 s[2:3], 0
	s_and_saveexec_b64 s[6:7], vcc
	s_xor_b64 s[6:7], exec, s[6:7]
	s_cbranch_execz .LBB201_484
; %bb.462:
	s_movk_i32 s2, 0x80
	v_cmp_eq_u16_e32 vcc, s2, v4
	s_mov_b64 s[2:3], -1
	s_and_saveexec_b64 s[8:9], vcc
; %bb.463:
	s_xor_b64 s[2:3], exec, -1
; %bb.464:
	s_or_b64 exec, exec, s[8:9]
	s_and_b64 s[2:3], s[2:3], exec
	s_or_saveexec_b64 s[6:7], s[6:7]
	v_mov_b32_e32 v1, 0x7f800001
	s_xor_b64 exec, exec, s[6:7]
	s_cbranch_execnz .LBB201_485
.LBB201_465:
	s_or_b64 exec, exec, s[6:7]
	s_and_saveexec_b64 s[6:7], s[2:3]
	s_cbranch_execz .LBB201_467
.LBB201_466:
	v_lshlrev_b32_e32 v1, 24, v4
	v_and_b32_e32 v4, 0xffff, v4
	v_and_b32_e32 v5, 3, v4
	v_ffbh_u32_e32 v7, v5
	v_min_u32_e32 v7, 32, v7
	v_subrev_u32_e32 v9, 29, v7
	v_bfe_u32 v6, v4, 2, 5
	v_lshlrev_b32_e32 v4, v9, v4
	v_sub_u32_e32 v7, 30, v7
	v_and_b32_e32 v4, 3, v4
	v_cmp_eq_u32_e32 vcc, 0, v6
	v_and_b32_e32 v1, 0x80000000, v1
	s_nop 0
	v_cndmask_b32_e32 v6, v6, v7, vcc
	v_cndmask_b32_e32 v4, v5, v4, vcc
	v_mov_b32_e32 v5, 0x37800000
	v_lshlrev_b32_e32 v4, 21, v4
	v_lshl_add_u32 v5, v6, 23, v5
	v_or3_b32 v1, v1, v5, v4
.LBB201_467:
	s_or_b64 exec, exec, s[6:7]
	s_mov_b64 s[2:3], 0
	s_branch .LBB201_473
.LBB201_468:
	s_mov_b64 s[6:7], -1
                                        ; implicit-def: $vgpr1
	s_branch .LBB201_479
.LBB201_469:
	s_or_saveexec_b64 s[6:7], s[6:7]
	v_mov_b32_e32 v1, 0x7f800001
	s_xor_b64 exec, exec, s[6:7]
	s_cbranch_execz .LBB201_452
.LBB201_470:
	v_cmp_ne_u16_e32 vcc, 0, v4
	s_andn2_b64 s[2:3], s[2:3], exec
	s_and_b64 s[8:9], vcc, exec
	v_mov_b32_e32 v1, 0
	s_or_b64 s[2:3], s[2:3], s[8:9]
	s_or_b64 exec, exec, s[6:7]
	s_and_saveexec_b64 s[6:7], s[2:3]
	s_cbranch_execnz .LBB201_453
	s_branch .LBB201_454
.LBB201_471:
	s_mov_b64 s[2:3], -1
                                        ; implicit-def: $vgpr1
	s_branch .LBB201_476
.LBB201_472:
	s_mov_b64 s[2:3], -1
                                        ; implicit-def: $vgpr1
.LBB201_473:
	s_and_b64 vcc, exec, s[2:3]
	s_cbranch_vccz .LBB201_475
; %bb.474:
	global_load_ubyte v1, v[2:3], off
	s_mov_b32 s2, 0x7f800000
	s_waitcnt vmcnt(0)
	v_lshlrev_b32_e32 v1, 24, v1
	v_and_b32_e32 v4, 0x7f000000, v1
	v_ffbh_u32_e32 v5, v4
	v_min_u32_e32 v5, 32, v5
	v_sub_u32_e64 v5, v5, 4 clamp
	v_lshlrev_b32_e32 v7, v5, v4
	v_lshlrev_b32_e32 v5, 23, v5
	v_lshrrev_b32_e32 v7, 4, v7
	v_add_u32_e32 v6, 0x1000000, v4
	v_sub_u32_e32 v5, v7, v5
	v_ashrrev_i32_e32 v6, 8, v6
	v_add_u32_e32 v5, 0x3c000000, v5
	v_and_or_b32 v5, v6, s2, v5
	v_cmp_ne_u32_e32 vcc, 0, v4
	s_brev_b32 s2, 1
	s_nop 0
	v_cndmask_b32_e32 v4, 0, v5, vcc
	v_and_or_b32 v1, v1, s2, v4
.LBB201_475:
	s_mov_b64 s[2:3], 0
.LBB201_476:
	s_andn2_b64 vcc, exec, s[2:3]
	s_cbranch_vccnz .LBB201_478
; %bb.477:
	global_load_ubyte v1, v[2:3], off
	s_movk_i32 s2, 0x7f00
	s_brev_b32 s3, 16
	s_waitcnt vmcnt(0)
	v_lshlrev_b16_e32 v4, 8, v1
	v_lshlrev_b32_e32 v1, 25, v1
	v_lshrrev_b32_e32 v5, 4, v1
	v_and_or_b32 v6, v4, s2, 0.5
	v_or_b32_e32 v5, 0x70000000, v5
	v_add_f32_e32 v6, -0.5, v6
	v_mul_f32_e32 v5, 0x7800000, v5
	v_cmp_gt_u32_e32 vcc, s3, v1
	v_bfe_i32 v4, v4, 0, 16
	s_brev_b32 s2, 1
	v_cndmask_b32_e32 v1, v5, v6, vcc
	v_and_or_b32 v1, v4, s2, v1
.LBB201_478:
	s_mov_b64 s[6:7], 0
	s_mov_b64 s[2:3], -1
.LBB201_479:
	s_andn2_b64 vcc, exec, s[6:7]
	s_cbranch_vccnz .LBB201_492
; %bb.480:
	s_cmp_gt_i32 s10, 14
	s_cbranch_scc0 .LBB201_483
; %bb.481:
	s_cmp_eq_u32 s10, 15
	s_cbranch_scc0 .LBB201_486
; %bb.482:
	global_load_ushort v1, v[2:3], off
	s_mov_b64 s[2:3], -1
	s_mov_b64 s[4:5], 0
	s_waitcnt vmcnt(0)
	v_lshlrev_b32_e32 v1, 16, v1
	s_branch .LBB201_487
.LBB201_483:
	s_mov_b64 s[6:7], -1
                                        ; implicit-def: $vgpr1
	s_branch .LBB201_488
.LBB201_484:
	s_or_saveexec_b64 s[6:7], s[6:7]
	v_mov_b32_e32 v1, 0x7f800001
	s_xor_b64 exec, exec, s[6:7]
	s_cbranch_execz .LBB201_465
.LBB201_485:
	v_cmp_ne_u16_e32 vcc, 0, v4
	s_andn2_b64 s[2:3], s[2:3], exec
	s_and_b64 s[8:9], vcc, exec
	v_mov_b32_e32 v1, 0
	s_or_b64 s[2:3], s[2:3], s[8:9]
	s_or_b64 exec, exec, s[6:7]
	s_and_saveexec_b64 s[6:7], s[2:3]
	s_cbranch_execnz .LBB201_466
	s_branch .LBB201_467
.LBB201_486:
	s_mov_b64 s[4:5], -1
                                        ; implicit-def: $vgpr1
.LBB201_487:
	s_mov_b64 s[6:7], 0
.LBB201_488:
	s_and_b64 vcc, exec, s[6:7]
	s_cbranch_vccz .LBB201_492
; %bb.489:
	s_cmp_eq_u32 s10, 11
	s_cbranch_scc0 .LBB201_491
; %bb.490:
	global_load_ubyte v1, v[2:3], off
	s_mov_b64 s[2:3], -1
	s_mov_b64 s[4:5], 0
	s_waitcnt vmcnt(0)
	v_cmp_ne_u16_e32 vcc, 0, v1
	s_nop 1
	v_cndmask_b32_e64 v1, 0, 1.0, vcc
	s_branch .LBB201_492
.LBB201_491:
	s_mov_b64 s[4:5], -1
                                        ; implicit-def: $vgpr1
.LBB201_492:
	s_branch .LBB201_295
.LBB201_493:
	s_cmp_lt_i32 s10, 5
	s_cbranch_scc1 .LBB201_498
; %bb.494:
	s_cmp_lt_i32 s10, 8
	s_cbranch_scc1 .LBB201_499
; %bb.495:
	;; [unrolled: 3-line block ×3, first 2 shown]
	s_cmp_gt_i32 s10, 9
	s_cbranch_scc0 .LBB201_501
; %bb.497:
	global_load_dwordx2 v[4:5], v[2:3], off
	s_mov_b64 s[2:3], 0
	s_waitcnt vmcnt(0)
	v_cvt_f32_f64_e32 v1, v[4:5]
	s_branch .LBB201_502
.LBB201_498:
	s_mov_b64 s[2:3], -1
                                        ; implicit-def: $vgpr1
	s_branch .LBB201_520
.LBB201_499:
	s_mov_b64 s[2:3], -1
                                        ; implicit-def: $vgpr1
	s_branch .LBB201_508
.LBB201_500:
	s_mov_b64 s[2:3], -1
                                        ; implicit-def: $vgpr1
	s_branch .LBB201_505
.LBB201_501:
	s_mov_b64 s[2:3], -1
                                        ; implicit-def: $vgpr1
.LBB201_502:
	s_andn2_b64 vcc, exec, s[2:3]
	s_cbranch_vccnz .LBB201_504
; %bb.503:
	global_load_dword v1, v[2:3], off
.LBB201_504:
	s_mov_b64 s[2:3], 0
.LBB201_505:
	s_andn2_b64 vcc, exec, s[2:3]
	s_cbranch_vccnz .LBB201_507
; %bb.506:
	global_load_dword v1, v[2:3], off
	s_waitcnt vmcnt(0)
	v_cvt_f32_f16_e32 v1, v1
.LBB201_507:
	s_mov_b64 s[2:3], 0
.LBB201_508:
	s_andn2_b64 vcc, exec, s[2:3]
	s_cbranch_vccnz .LBB201_519
; %bb.509:
	s_cmp_lt_i32 s10, 6
	s_cbranch_scc1 .LBB201_512
; %bb.510:
	s_cmp_gt_i32 s10, 6
	s_cbranch_scc0 .LBB201_513
; %bb.511:
	global_load_dwordx2 v[4:5], v[2:3], off
	s_mov_b64 s[2:3], 0
	s_waitcnt vmcnt(0)
	v_cvt_f32_f64_e32 v1, v[4:5]
	s_branch .LBB201_514
.LBB201_512:
	s_mov_b64 s[2:3], -1
                                        ; implicit-def: $vgpr1
	s_branch .LBB201_517
.LBB201_513:
	s_mov_b64 s[2:3], -1
                                        ; implicit-def: $vgpr1
.LBB201_514:
	s_andn2_b64 vcc, exec, s[2:3]
	s_cbranch_vccnz .LBB201_516
; %bb.515:
	global_load_dword v1, v[2:3], off
.LBB201_516:
	s_mov_b64 s[2:3], 0
.LBB201_517:
	s_andn2_b64 vcc, exec, s[2:3]
	s_cbranch_vccnz .LBB201_519
; %bb.518:
	global_load_ushort v1, v[2:3], off
	s_waitcnt vmcnt(0)
	v_cvt_f32_f16_e32 v1, v1
.LBB201_519:
	s_mov_b64 s[2:3], 0
.LBB201_520:
	s_andn2_b64 vcc, exec, s[2:3]
	s_cbranch_vccnz .LBB201_540
; %bb.521:
	s_cmp_lt_i32 s10, 2
	s_cbranch_scc1 .LBB201_525
; %bb.522:
	s_cmp_lt_i32 s10, 3
	s_cbranch_scc1 .LBB201_526
; %bb.523:
	s_cmp_gt_i32 s10, 3
	s_cbranch_scc0 .LBB201_527
; %bb.524:
	global_load_dwordx2 v[4:5], v[2:3], off
	s_mov_b64 s[2:3], 0
	s_waitcnt vmcnt(0)
	v_xor_b32_e32 v6, v4, v5
	v_ffbh_i32_e32 v1, v5
	v_ashrrev_i32_e32 v6, 31, v6
	v_add_u32_e32 v1, -1, v1
	v_add_u32_e32 v6, 32, v6
	v_min_u32_e32 v1, v1, v6
	v_lshlrev_b64 v[4:5], v1, v[4:5]
	v_min_u32_e32 v4, 1, v4
	v_or_b32_e32 v4, v5, v4
	v_cvt_f32_i32_e32 v4, v4
	v_sub_u32_e32 v1, 32, v1
	v_ldexp_f32 v1, v4, v1
	s_branch .LBB201_528
.LBB201_525:
	s_mov_b64 s[2:3], -1
                                        ; implicit-def: $vgpr1
	s_branch .LBB201_534
.LBB201_526:
	s_mov_b64 s[2:3], -1
                                        ; implicit-def: $vgpr1
	s_branch .LBB201_531
.LBB201_527:
	s_mov_b64 s[2:3], -1
                                        ; implicit-def: $vgpr1
.LBB201_528:
	s_andn2_b64 vcc, exec, s[2:3]
	s_cbranch_vccnz .LBB201_530
; %bb.529:
	global_load_dword v1, v[2:3], off
	s_waitcnt vmcnt(0)
	v_cvt_f32_i32_e32 v1, v1
.LBB201_530:
	s_mov_b64 s[2:3], 0
.LBB201_531:
	s_andn2_b64 vcc, exec, s[2:3]
	s_cbranch_vccnz .LBB201_533
; %bb.532:
	global_load_sshort v1, v[2:3], off
	s_waitcnt vmcnt(0)
	v_cvt_f32_i32_e32 v1, v1
.LBB201_533:
	s_mov_b64 s[2:3], 0
.LBB201_534:
	s_andn2_b64 vcc, exec, s[2:3]
	s_cbranch_vccnz .LBB201_540
; %bb.535:
	s_cmp_gt_i32 s10, 0
	s_cbranch_scc0 .LBB201_537
; %bb.536:
	global_load_sbyte v1, v[2:3], off
	s_mov_b64 s[2:3], 0
	s_waitcnt vmcnt(0)
	v_cvt_f32_i32_e32 v1, v1
	s_branch .LBB201_538
.LBB201_537:
	s_mov_b64 s[2:3], -1
                                        ; implicit-def: $vgpr1
.LBB201_538:
	s_andn2_b64 vcc, exec, s[2:3]
	s_cbranch_vccnz .LBB201_540
; %bb.539:
	global_load_ubyte v1, v[2:3], off
	s_waitcnt vmcnt(0)
	v_cvt_f32_ubyte0_e32 v1, v1
.LBB201_540:
	s_branch .LBB201_296
.LBB201_541:
	s_mov_b64 s[6:7], 0
	s_mov_b64 s[2:3], s[54:55]
.LBB201_542:
                                        ; implicit-def: $vgpr8
.LBB201_543:
	s_andn2_b64 s[8:9], s[54:55], exec
	s_and_b64 s[2:3], s[2:3], exec
	s_or_b64 s[62:63], s[8:9], s[2:3]
	s_andn2_b64 s[2:3], s[56:57], exec
	s_and_b64 s[4:5], s[4:5], exec
	s_or_b64 s[60:61], s[2:3], s[4:5]
	s_orn2_b64 s[2:3], s[6:7], exec
.LBB201_544:
	s_or_b64 exec, exec, s[64:65]
	s_mov_b64 s[4:5], 0
	s_mov_b64 s[6:7], 0
	;; [unrolled: 1-line block ×3, first 2 shown]
                                        ; implicit-def: $vgpr2_vgpr3
                                        ; implicit-def: $vgpr0
                                        ; implicit-def: $vgpr1
	s_and_saveexec_b64 s[64:65], s[2:3]
	s_cbranch_execz .LBB201_921
; %bb.545:
	v_cmp_gt_i32_e32 vcc, s70, v8
	s_mov_b64 s[6:7], -1
	s_mov_b64 s[2:3], s[60:61]
	s_mov_b64 s[68:69], s[62:63]
	s_and_saveexec_b64 s[66:67], vcc
	s_cbranch_execz .LBB201_820
; %bb.546:
	s_andn2_b64 vcc, exec, s[42:43]
	s_cbranch_vccnz .LBB201_552
; %bb.547:
	s_andn2_b64 vcc, exec, s[52:53]
	s_cbranch_vccnz .LBB201_553
; %bb.548:
	s_add_i32 s76, s75, 1
	s_cmp_eq_u32 s72, 2
	s_cbranch_scc1 .LBB201_554
; %bb.549:
	s_and_b32 s71, s76, 28
	s_mov_b32 s77, 0
	v_mov_b32_e32 v0, 0
	v_mov_b32_e32 v2, 0
	s_mov_b64 s[2:3], s[34:35]
	s_mov_b64 s[68:69], s[50:51]
	v_mov_b32_e32 v4, v8
.LBB201_550:                            ; =>This Inner Loop Header: Depth=1
	s_load_dwordx8 s[12:19], s[2:3], 0x4
	s_load_dwordx4 s[36:39], s[2:3], 0x24
	s_load_dwordx8 s[4:11], s[68:69], 0x0
	s_add_u32 s2, s2, 48
	s_addc_u32 s3, s3, 0
	s_waitcnt vmcnt(0) lgkmcnt(0)
	v_mul_hi_u32 v1, s13, v4
	v_add_u32_e32 v1, v4, v1
	v_lshrrev_b32_e32 v1, s14, v1
	v_mul_lo_u32 v3, v1, s12
	v_mul_hi_u32 v5, s16, v1
	v_sub_u32_e32 v3, v4, v3
	v_add_u32_e32 v4, v1, v5
	v_lshrrev_b32_e32 v4, s17, v4
	v_mul_lo_u32 v6, v4, s15
	v_mul_hi_u32 v7, s19, v4
	v_sub_u32_e32 v1, v1, v6
	v_add_u32_e32 v6, v4, v7
	v_mul_lo_u32 v5, v3, s5
	v_mul_lo_u32 v3, v3, s4
	v_mul_lo_u32 v7, v1, s7
	v_mul_lo_u32 v1, v1, s6
	v_lshrrev_b32_e32 v6, s36, v6
	v_add3_u32 v0, v3, v0, v1
	v_mul_hi_u32 v3, s38, v6
	v_add3_u32 v1, v5, v2, v7
	v_mul_lo_u32 v2, v6, s18
	v_add_u32_e32 v3, v6, v3
	v_sub_u32_e32 v2, v4, v2
	v_lshrrev_b32_e32 v4, s39, v3
	s_add_i32 s77, s77, 4
	v_mul_lo_u32 v3, v4, s37
	s_add_u32 s68, s68, 32
	v_sub_u32_e32 v3, v6, v3
	s_addc_u32 s69, s69, 0
	v_mul_lo_u32 v5, v2, s8
	v_mul_lo_u32 v2, v2, s9
	;; [unrolled: 1-line block ×4, first 2 shown]
	s_cmp_eq_u32 s71, s77
	v_add3_u32 v2, v2, v1, v3
	v_add3_u32 v0, v5, v0, v6
	s_cbranch_scc0 .LBB201_550
; %bb.551:
	v_mov_b32_e32 v1, v2
	s_branch .LBB201_555
.LBB201_552:
	s_mov_b64 s[2:3], -1
                                        ; implicit-def: $vgpr2
                                        ; implicit-def: $vgpr0
	s_branch .LBB201_559
.LBB201_553:
	v_mov_b32_e32 v2, 0
	v_mov_b32_e32 v0, 0
	s_branch .LBB201_558
.LBB201_554:
	v_mov_b32_e32 v0, 0
	s_mov_b32 s71, 0
	s_waitcnt vmcnt(0)
	v_mov_b32_e32 v1, v0
                                        ; implicit-def: $vgpr2
	v_mov_b32_e32 v4, v8
.LBB201_555:
	s_and_b32 s6, s76, 3
	s_cmp_eq_u32 s6, 0
	s_cbranch_scc1 .LBB201_558
; %bb.556:
	s_lshl_b32 s2, s71, 3
	s_add_u32 s2, s34, s2
	s_addc_u32 s3, s35, 0
	s_add_u32 s2, s2, 0xc4
	s_addc_u32 s3, s3, 0
	s_mul_i32 s4, s71, 12
	s_add_u32 s4, s34, s4
	s_addc_u32 s5, s35, 0
.LBB201_557:                            ; =>This Inner Loop Header: Depth=1
	s_load_dwordx2 s[8:9], s[4:5], 0x4
	s_load_dword s7, s[4:5], 0xc
	s_load_dwordx2 s[10:11], s[2:3], 0x0
	v_mov_b32_e32 v2, v1
	s_add_u32 s4, s4, 12
	s_waitcnt lgkmcnt(0)
	v_mul_hi_u32 v1, s9, v4
	v_add_u32_e32 v1, v4, v1
	v_lshrrev_b32_e32 v1, s7, v1
	s_addc_u32 s5, s5, 0
	v_mul_lo_u32 v3, v1, s8
	s_add_u32 s2, s2, 8
	v_sub_u32_e32 v5, v4, v3
	s_addc_u32 s3, s3, 0
	s_add_i32 s6, s6, -1
	v_mov_b32_e32 v4, v1
	v_mad_u64_u32 v[2:3], s[8:9], v5, s11, v[2:3]
	v_mad_u64_u32 v[0:1], s[8:9], v5, s10, v[0:1]
	s_cmp_lg_u32 s6, 0
	v_mov_b32_e32 v1, v2
	s_cbranch_scc1 .LBB201_557
.LBB201_558:
	s_mov_b64 s[2:3], 0
.LBB201_559:
	s_andn2_b64 vcc, exec, s[2:3]
	s_cbranch_vccnz .LBB201_562
; %bb.560:
	s_waitcnt lgkmcnt(0)
	v_mul_hi_u32 v0, s29, v8
	v_add_u32_e32 v0, v8, v0
	s_waitcnt vmcnt(0)
	v_lshrrev_b32_e32 v1, s30, v0
	v_mul_lo_u32 v0, v1, s28
	v_sub_u32_e32 v0, v8, v0
	v_mul_lo_u32 v2, v0, s25
	s_andn2_b64 vcc, exec, s[48:49]
	v_mul_lo_u32 v0, v0, s24
	s_cbranch_vccnz .LBB201_562
; %bb.561:
	v_mul_hi_u32 v3, s46, v1
	v_add_u32_e32 v3, v1, v3
	v_lshrrev_b32_e32 v3, s47, v3
	v_mul_lo_u32 v3, v3, s31
	v_sub_u32_e32 v3, v1, v3
	v_mad_u64_u32 v[0:1], s[2:3], v3, s26, v[0:1]
	v_mad_u64_u32 v[2:3], s[2:3], v3, s27, v[2:3]
.LBB201_562:
	v_mov_b32_e32 v3, 0
	s_and_b32 s10, 0xffff, s74
	s_cmp_lt_i32 s10, 11
	s_waitcnt lgkmcnt(0)
	v_lshl_add_u64 v[2:3], s[22:23], 0, v[2:3]
	s_cbranch_scc1 .LBB201_569
; %bb.563:
	s_cmp_gt_i32 s10, 25
	s_cbranch_scc0 .LBB201_570
; %bb.564:
	s_cmp_gt_i32 s10, 28
	s_cbranch_scc0 .LBB201_571
	;; [unrolled: 3-line block ×4, first 2 shown]
; %bb.567:
	s_cmp_eq_u32 s10, 46
	s_mov_b64 s[6:7], 0
	s_cbranch_scc0 .LBB201_578
; %bb.568:
	global_load_dword v1, v[2:3], off
	s_mov_b64 s[2:3], -1
	s_mov_b64 s[4:5], 0
	s_waitcnt vmcnt(0)
	v_lshlrev_b32_e32 v1, 16, v1
	s_branch .LBB201_579
.LBB201_569:
	s_mov_b64 s[6:7], -1
	s_mov_b64 s[2:3], 0
                                        ; implicit-def: $vgpr1
	s_mov_b64 s[4:5], s[60:61]
	s_branch .LBB201_644
.LBB201_570:
	s_mov_b64 s[6:7], -1
	s_mov_b64 s[2:3], 0
	s_mov_b64 s[4:5], s[60:61]
                                        ; implicit-def: $vgpr1
	s_branch .LBB201_608
.LBB201_571:
	s_mov_b64 s[6:7], -1
	s_mov_b64 s[2:3], 0
	s_mov_b64 s[4:5], s[60:61]
                                        ; implicit-def: $vgpr1
	s_branch .LBB201_589
.LBB201_572:
	s_mov_b64 s[6:7], -1
	s_mov_b64 s[2:3], 0
	s_mov_b64 s[4:5], s[60:61]
                                        ; implicit-def: $vgpr1
	s_branch .LBB201_584
.LBB201_573:
	s_andn2_saveexec_b64 s[10:11], s[10:11]
	s_cbranch_execz .LBB201_341
.LBB201_574:
	s_mov_b32 s14, 0x46000000
	v_add_f32_e64 v3, |v2|, s14
	v_and_b32_e32 v3, 0xff, v3
	v_cmp_ne_u32_e32 vcc, 0, v3
	s_andn2_b64 s[8:9], s[8:9], exec
	s_and_b64 s[14:15], vcc, exec
	s_or_b64 s[8:9], s[8:9], s[14:15]
	s_or_b64 exec, exec, s[10:11]
	v_mov_b32_e32 v4, 0
	s_and_saveexec_b64 s[10:11], s[8:9]
	s_cbranch_execnz .LBB201_342
	s_branch .LBB201_343
.LBB201_575:
	s_mov_b64 s[6:7], -1
	s_mov_b64 s[2:3], 0
	s_mov_b64 s[4:5], s[60:61]
                                        ; implicit-def: $vgpr1
	s_branch .LBB201_579
.LBB201_576:
	s_andn2_saveexec_b64 s[10:11], s[10:11]
	s_cbranch_execz .LBB201_354
.LBB201_577:
	s_mov_b32 s14, 0x42800000
	v_add_f32_e64 v3, |v2|, s14
	v_and_b32_e32 v3, 0xff, v3
	v_cmp_ne_u32_e32 vcc, 0, v3
	s_andn2_b64 s[8:9], s[8:9], exec
	s_and_b64 s[14:15], vcc, exec
	s_or_b64 s[8:9], s[8:9], s[14:15]
	s_or_b64 exec, exec, s[10:11]
	v_mov_b32_e32 v4, 0
	s_and_saveexec_b64 s[10:11], s[8:9]
	s_cbranch_execnz .LBB201_355
	s_branch .LBB201_356
.LBB201_578:
	s_mov_b64 s[4:5], -1
                                        ; implicit-def: $vgpr1
	s_mov_b64 s[2:3], 0
.LBB201_579:
	s_and_b64 vcc, exec, s[6:7]
	s_cbranch_vccz .LBB201_583
; %bb.580:
	s_cmp_eq_u32 s10, 44
	s_cbranch_scc0 .LBB201_582
; %bb.581:
	global_load_ubyte v1, v[2:3], off
	s_movk_i32 s4, 0xff
	v_mov_b32_e32 v4, 0x7f800001
	v_mov_b32_e32 v5, 0x400000
	s_mov_b64 s[2:3], -1
	s_waitcnt vmcnt(0)
	v_lshlrev_b32_e32 v6, 23, v1
	v_cmp_ne_u32_e32 vcc, s4, v1
	s_mov_b64 s[4:5], 0
	s_nop 0
	v_cndmask_b32_e32 v4, v4, v6, vcc
	v_cmp_ne_u32_e32 vcc, 0, v1
	s_nop 1
	v_cndmask_b32_e32 v1, v5, v4, vcc
	s_branch .LBB201_583
.LBB201_582:
	s_mov_b64 s[4:5], -1
                                        ; implicit-def: $vgpr1
.LBB201_583:
	s_mov_b64 s[6:7], 0
.LBB201_584:
	s_and_b64 vcc, exec, s[6:7]
	s_cbranch_vccz .LBB201_588
; %bb.585:
	s_cmp_eq_u32 s10, 29
	s_cbranch_scc0 .LBB201_587
; %bb.586:
	global_load_dwordx2 v[4:5], v[2:3], off
	s_mov_b64 s[2:3], -1
	s_mov_b64 s[4:5], 0
	s_mov_b64 s[6:7], 0
	s_waitcnt vmcnt(0)
	v_ffbh_u32_e32 v1, v5
	v_min_u32_e32 v1, 32, v1
	v_lshlrev_b64 v[4:5], v1, v[4:5]
	v_min_u32_e32 v4, 1, v4
	v_or_b32_e32 v4, v5, v4
	v_cvt_f32_u32_e32 v4, v4
	v_sub_u32_e32 v1, 32, v1
	v_ldexp_f32 v1, v4, v1
	s_branch .LBB201_589
.LBB201_587:
	s_mov_b64 s[4:5], -1
                                        ; implicit-def: $vgpr1
.LBB201_588:
	s_mov_b64 s[6:7], 0
.LBB201_589:
	s_and_b64 vcc, exec, s[6:7]
	s_cbranch_vccz .LBB201_607
; %bb.590:
	s_cmp_lt_i32 s10, 27
	s_cbranch_scc1 .LBB201_593
; %bb.591:
	s_cmp_gt_i32 s10, 27
	s_cbranch_scc0 .LBB201_594
; %bb.592:
	global_load_dword v1, v[2:3], off
	s_mov_b64 s[2:3], 0
	s_waitcnt vmcnt(0)
	v_cvt_f32_u32_e32 v1, v1
	s_branch .LBB201_595
.LBB201_593:
	s_mov_b64 s[2:3], -1
                                        ; implicit-def: $vgpr1
	s_branch .LBB201_598
.LBB201_594:
	s_mov_b64 s[2:3], -1
                                        ; implicit-def: $vgpr1
.LBB201_595:
	s_andn2_b64 vcc, exec, s[2:3]
	s_cbranch_vccnz .LBB201_597
; %bb.596:
	global_load_ushort v1, v[2:3], off
	s_waitcnt vmcnt(0)
	v_cvt_f32_u32_e32 v1, v1
.LBB201_597:
	s_mov_b64 s[2:3], 0
.LBB201_598:
	s_andn2_b64 vcc, exec, s[2:3]
	s_cbranch_vccnz .LBB201_606
; %bb.599:
	global_load_ubyte v4, v[2:3], off
	s_movk_i32 s2, 0x7f
	s_waitcnt vmcnt(0)
	v_cmp_lt_i16_e32 vcc, s2, v4
	s_mov_b64 s[2:3], 0
	s_and_saveexec_b64 s[6:7], vcc
	s_xor_b64 s[6:7], exec, s[6:7]
	s_cbranch_execz .LBB201_620
; %bb.600:
	s_movk_i32 s2, 0x80
	v_cmp_eq_u16_e32 vcc, s2, v4
	s_mov_b64 s[2:3], -1
	s_and_saveexec_b64 s[8:9], vcc
; %bb.601:
	s_xor_b64 s[2:3], exec, -1
; %bb.602:
	s_or_b64 exec, exec, s[8:9]
	s_and_b64 s[2:3], s[2:3], exec
	s_or_saveexec_b64 s[6:7], s[6:7]
	v_mov_b32_e32 v1, 0x7f800001
	s_xor_b64 exec, exec, s[6:7]
	s_cbranch_execnz .LBB201_621
.LBB201_603:
	s_or_b64 exec, exec, s[6:7]
	s_and_saveexec_b64 s[6:7], s[2:3]
	s_cbranch_execz .LBB201_605
.LBB201_604:
	v_lshlrev_b32_e32 v1, 24, v4
	v_and_b32_e32 v4, 0xffff, v4
	v_and_b32_e32 v5, 7, v4
	v_ffbh_u32_e32 v7, v5
	v_min_u32_e32 v7, 32, v7
	v_subrev_u32_e32 v9, 28, v7
	v_bfe_u32 v6, v4, 3, 4
	v_lshlrev_b32_e32 v4, v9, v4
	v_sub_u32_e32 v7, 29, v7
	v_and_b32_e32 v4, 7, v4
	v_cmp_eq_u32_e32 vcc, 0, v6
	v_and_b32_e32 v1, 0x80000000, v1
	s_nop 0
	v_cndmask_b32_e32 v6, v6, v7, vcc
	v_cndmask_b32_e32 v4, v5, v4, vcc
	v_mov_b32_e32 v5, 0x3b800000
	v_lshlrev_b32_e32 v4, 20, v4
	v_lshl_add_u32 v5, v6, 23, v5
	v_or3_b32 v1, v1, v5, v4
.LBB201_605:
	s_or_b64 exec, exec, s[6:7]
.LBB201_606:
	s_mov_b64 s[2:3], -1
.LBB201_607:
	s_mov_b64 s[6:7], 0
.LBB201_608:
	s_and_b64 vcc, exec, s[6:7]
	s_cbranch_vccz .LBB201_643
; %bb.609:
	s_cmp_gt_i32 s10, 22
	s_cbranch_scc0 .LBB201_619
; %bb.610:
	s_cmp_lt_i32 s10, 24
	s_cbranch_scc1 .LBB201_622
; %bb.611:
	s_cmp_gt_i32 s10, 24
	s_cbranch_scc0 .LBB201_623
; %bb.612:
	global_load_ubyte v4, v[2:3], off
	s_movk_i32 s2, 0x7f
	s_waitcnt vmcnt(0)
	v_cmp_lt_i16_e32 vcc, s2, v4
	s_mov_b64 s[2:3], 0
	s_and_saveexec_b64 s[6:7], vcc
	s_xor_b64 s[6:7], exec, s[6:7]
	s_cbranch_execz .LBB201_635
; %bb.613:
	s_movk_i32 s2, 0x80
	v_cmp_eq_u16_e32 vcc, s2, v4
	s_mov_b64 s[2:3], -1
	s_and_saveexec_b64 s[8:9], vcc
; %bb.614:
	s_xor_b64 s[2:3], exec, -1
; %bb.615:
	s_or_b64 exec, exec, s[8:9]
	s_and_b64 s[2:3], s[2:3], exec
	s_or_saveexec_b64 s[6:7], s[6:7]
	v_mov_b32_e32 v1, 0x7f800001
	s_xor_b64 exec, exec, s[6:7]
	s_cbranch_execnz .LBB201_636
.LBB201_616:
	s_or_b64 exec, exec, s[6:7]
	s_and_saveexec_b64 s[6:7], s[2:3]
	s_cbranch_execz .LBB201_618
.LBB201_617:
	v_lshlrev_b32_e32 v1, 24, v4
	v_and_b32_e32 v4, 0xffff, v4
	v_and_b32_e32 v5, 3, v4
	v_ffbh_u32_e32 v7, v5
	v_min_u32_e32 v7, 32, v7
	v_subrev_u32_e32 v9, 29, v7
	v_bfe_u32 v6, v4, 2, 5
	v_lshlrev_b32_e32 v4, v9, v4
	v_sub_u32_e32 v7, 30, v7
	v_and_b32_e32 v4, 3, v4
	v_cmp_eq_u32_e32 vcc, 0, v6
	v_and_b32_e32 v1, 0x80000000, v1
	s_nop 0
	v_cndmask_b32_e32 v6, v6, v7, vcc
	v_cndmask_b32_e32 v4, v5, v4, vcc
	v_mov_b32_e32 v5, 0x37800000
	v_lshlrev_b32_e32 v4, 21, v4
	v_lshl_add_u32 v5, v6, 23, v5
	v_or3_b32 v1, v1, v5, v4
.LBB201_618:
	s_or_b64 exec, exec, s[6:7]
	s_mov_b64 s[2:3], 0
	s_branch .LBB201_624
.LBB201_619:
	s_mov_b64 s[6:7], -1
                                        ; implicit-def: $vgpr1
	s_branch .LBB201_630
.LBB201_620:
	s_or_saveexec_b64 s[6:7], s[6:7]
	v_mov_b32_e32 v1, 0x7f800001
	s_xor_b64 exec, exec, s[6:7]
	s_cbranch_execz .LBB201_603
.LBB201_621:
	v_cmp_ne_u16_e32 vcc, 0, v4
	s_andn2_b64 s[2:3], s[2:3], exec
	s_and_b64 s[8:9], vcc, exec
	v_mov_b32_e32 v1, 0
	s_or_b64 s[2:3], s[2:3], s[8:9]
	s_or_b64 exec, exec, s[6:7]
	s_and_saveexec_b64 s[6:7], s[2:3]
	s_cbranch_execnz .LBB201_604
	s_branch .LBB201_605
.LBB201_622:
	s_mov_b64 s[2:3], -1
                                        ; implicit-def: $vgpr1
	s_branch .LBB201_627
.LBB201_623:
	s_mov_b64 s[2:3], -1
                                        ; implicit-def: $vgpr1
.LBB201_624:
	s_and_b64 vcc, exec, s[2:3]
	s_cbranch_vccz .LBB201_626
; %bb.625:
	global_load_ubyte v1, v[2:3], off
	s_mov_b32 s2, 0x7f800000
	s_waitcnt vmcnt(0)
	v_lshlrev_b32_e32 v1, 24, v1
	v_and_b32_e32 v4, 0x7f000000, v1
	v_ffbh_u32_e32 v5, v4
	v_min_u32_e32 v5, 32, v5
	v_sub_u32_e64 v5, v5, 4 clamp
	v_lshlrev_b32_e32 v7, v5, v4
	v_lshlrev_b32_e32 v5, 23, v5
	v_lshrrev_b32_e32 v7, 4, v7
	v_add_u32_e32 v6, 0x1000000, v4
	v_sub_u32_e32 v5, v7, v5
	v_ashrrev_i32_e32 v6, 8, v6
	v_add_u32_e32 v5, 0x3c000000, v5
	v_and_or_b32 v5, v6, s2, v5
	v_cmp_ne_u32_e32 vcc, 0, v4
	s_brev_b32 s2, 1
	s_nop 0
	v_cndmask_b32_e32 v4, 0, v5, vcc
	v_and_or_b32 v1, v1, s2, v4
.LBB201_626:
	s_mov_b64 s[2:3], 0
.LBB201_627:
	s_andn2_b64 vcc, exec, s[2:3]
	s_cbranch_vccnz .LBB201_629
; %bb.628:
	global_load_ubyte v1, v[2:3], off
	s_movk_i32 s2, 0x7f00
	s_brev_b32 s3, 16
	s_waitcnt vmcnt(0)
	v_lshlrev_b16_e32 v4, 8, v1
	v_lshlrev_b32_e32 v1, 25, v1
	v_lshrrev_b32_e32 v5, 4, v1
	v_and_or_b32 v6, v4, s2, 0.5
	v_or_b32_e32 v5, 0x70000000, v5
	v_add_f32_e32 v6, -0.5, v6
	v_mul_f32_e32 v5, 0x7800000, v5
	v_cmp_gt_u32_e32 vcc, s3, v1
	v_bfe_i32 v4, v4, 0, 16
	s_brev_b32 s2, 1
	v_cndmask_b32_e32 v1, v5, v6, vcc
	v_and_or_b32 v1, v4, s2, v1
.LBB201_629:
	s_mov_b64 s[6:7], 0
	s_mov_b64 s[2:3], -1
.LBB201_630:
	s_andn2_b64 vcc, exec, s[6:7]
	s_cbranch_vccnz .LBB201_643
; %bb.631:
	s_cmp_gt_i32 s10, 14
	s_cbranch_scc0 .LBB201_634
; %bb.632:
	s_cmp_eq_u32 s10, 15
	s_cbranch_scc0 .LBB201_637
; %bb.633:
	global_load_ushort v1, v[2:3], off
	s_mov_b64 s[2:3], -1
	s_mov_b64 s[4:5], 0
	s_waitcnt vmcnt(0)
	v_lshlrev_b32_e32 v1, 16, v1
	s_branch .LBB201_638
.LBB201_634:
	s_mov_b64 s[6:7], -1
                                        ; implicit-def: $vgpr1
	s_branch .LBB201_639
.LBB201_635:
	s_or_saveexec_b64 s[6:7], s[6:7]
	v_mov_b32_e32 v1, 0x7f800001
	s_xor_b64 exec, exec, s[6:7]
	s_cbranch_execz .LBB201_616
.LBB201_636:
	v_cmp_ne_u16_e32 vcc, 0, v4
	s_andn2_b64 s[2:3], s[2:3], exec
	s_and_b64 s[8:9], vcc, exec
	v_mov_b32_e32 v1, 0
	s_or_b64 s[2:3], s[2:3], s[8:9]
	s_or_b64 exec, exec, s[6:7]
	s_and_saveexec_b64 s[6:7], s[2:3]
	s_cbranch_execnz .LBB201_617
	s_branch .LBB201_618
.LBB201_637:
	s_mov_b64 s[4:5], -1
                                        ; implicit-def: $vgpr1
.LBB201_638:
	s_mov_b64 s[6:7], 0
.LBB201_639:
	s_and_b64 vcc, exec, s[6:7]
	s_cbranch_vccz .LBB201_643
; %bb.640:
	s_cmp_eq_u32 s10, 11
	s_cbranch_scc0 .LBB201_642
; %bb.641:
	global_load_ubyte v1, v[2:3], off
	s_mov_b64 s[2:3], -1
	s_mov_b64 s[4:5], 0
	s_waitcnt vmcnt(0)
	v_cmp_ne_u16_e32 vcc, 0, v1
	s_nop 1
	v_cndmask_b32_e64 v1, 0, 1.0, vcc
	s_branch .LBB201_643
.LBB201_642:
	s_mov_b64 s[4:5], -1
                                        ; implicit-def: $vgpr1
.LBB201_643:
	s_mov_b64 s[6:7], 0
.LBB201_644:
	s_and_b64 vcc, exec, s[6:7]
	s_cbranch_vccz .LBB201_693
; %bb.645:
	s_cmp_lt_i32 s10, 5
	s_cbranch_scc1 .LBB201_650
; %bb.646:
	s_cmp_lt_i32 s10, 8
	s_cbranch_scc1 .LBB201_651
	;; [unrolled: 3-line block ×3, first 2 shown]
; %bb.648:
	s_cmp_gt_i32 s10, 9
	s_cbranch_scc0 .LBB201_653
; %bb.649:
	global_load_dwordx2 v[4:5], v[2:3], off
	s_mov_b64 s[2:3], 0
	s_waitcnt vmcnt(0)
	v_cvt_f32_f64_e32 v1, v[4:5]
	s_branch .LBB201_654
.LBB201_650:
	s_mov_b64 s[2:3], -1
                                        ; implicit-def: $vgpr1
	s_branch .LBB201_672
.LBB201_651:
	s_mov_b64 s[2:3], -1
                                        ; implicit-def: $vgpr1
	s_branch .LBB201_660
.LBB201_652:
	s_mov_b64 s[2:3], -1
                                        ; implicit-def: $vgpr1
	s_branch .LBB201_657
.LBB201_653:
	s_mov_b64 s[2:3], -1
                                        ; implicit-def: $vgpr1
.LBB201_654:
	s_andn2_b64 vcc, exec, s[2:3]
	s_cbranch_vccnz .LBB201_656
; %bb.655:
	global_load_dword v1, v[2:3], off
.LBB201_656:
	s_mov_b64 s[2:3], 0
.LBB201_657:
	s_andn2_b64 vcc, exec, s[2:3]
	s_cbranch_vccnz .LBB201_659
; %bb.658:
	global_load_dword v1, v[2:3], off
	s_waitcnt vmcnt(0)
	v_cvt_f32_f16_e32 v1, v1
.LBB201_659:
	s_mov_b64 s[2:3], 0
.LBB201_660:
	s_andn2_b64 vcc, exec, s[2:3]
	s_cbranch_vccnz .LBB201_671
; %bb.661:
	s_cmp_lt_i32 s10, 6
	s_cbranch_scc1 .LBB201_664
; %bb.662:
	s_cmp_gt_i32 s10, 6
	s_cbranch_scc0 .LBB201_665
; %bb.663:
	global_load_dwordx2 v[4:5], v[2:3], off
	s_mov_b64 s[2:3], 0
	s_waitcnt vmcnt(0)
	v_cvt_f32_f64_e32 v1, v[4:5]
	s_branch .LBB201_666
.LBB201_664:
	s_mov_b64 s[2:3], -1
                                        ; implicit-def: $vgpr1
	s_branch .LBB201_669
.LBB201_665:
	s_mov_b64 s[2:3], -1
                                        ; implicit-def: $vgpr1
.LBB201_666:
	s_andn2_b64 vcc, exec, s[2:3]
	s_cbranch_vccnz .LBB201_668
; %bb.667:
	global_load_dword v1, v[2:3], off
.LBB201_668:
	s_mov_b64 s[2:3], 0
.LBB201_669:
	s_andn2_b64 vcc, exec, s[2:3]
	s_cbranch_vccnz .LBB201_671
; %bb.670:
	global_load_ushort v1, v[2:3], off
	s_waitcnt vmcnt(0)
	v_cvt_f32_f16_e32 v1, v1
.LBB201_671:
	s_mov_b64 s[2:3], 0
.LBB201_672:
	s_andn2_b64 vcc, exec, s[2:3]
	s_cbranch_vccnz .LBB201_692
; %bb.673:
	s_cmp_lt_i32 s10, 2
	s_cbranch_scc1 .LBB201_677
; %bb.674:
	s_cmp_lt_i32 s10, 3
	s_cbranch_scc1 .LBB201_678
; %bb.675:
	s_cmp_gt_i32 s10, 3
	s_cbranch_scc0 .LBB201_679
; %bb.676:
	global_load_dwordx2 v[4:5], v[2:3], off
	s_mov_b64 s[2:3], 0
	s_waitcnt vmcnt(0)
	v_xor_b32_e32 v6, v4, v5
	v_ffbh_i32_e32 v1, v5
	v_ashrrev_i32_e32 v6, 31, v6
	v_add_u32_e32 v1, -1, v1
	v_add_u32_e32 v6, 32, v6
	v_min_u32_e32 v1, v1, v6
	v_lshlrev_b64 v[4:5], v1, v[4:5]
	v_min_u32_e32 v4, 1, v4
	v_or_b32_e32 v4, v5, v4
	v_cvt_f32_i32_e32 v4, v4
	v_sub_u32_e32 v1, 32, v1
	v_ldexp_f32 v1, v4, v1
	s_branch .LBB201_680
.LBB201_677:
	s_mov_b64 s[2:3], -1
                                        ; implicit-def: $vgpr1
	s_branch .LBB201_686
.LBB201_678:
	s_mov_b64 s[2:3], -1
                                        ; implicit-def: $vgpr1
	s_branch .LBB201_683
.LBB201_679:
	s_mov_b64 s[2:3], -1
                                        ; implicit-def: $vgpr1
.LBB201_680:
	s_andn2_b64 vcc, exec, s[2:3]
	s_cbranch_vccnz .LBB201_682
; %bb.681:
	global_load_dword v1, v[2:3], off
	s_waitcnt vmcnt(0)
	v_cvt_f32_i32_e32 v1, v1
.LBB201_682:
	s_mov_b64 s[2:3], 0
.LBB201_683:
	s_andn2_b64 vcc, exec, s[2:3]
	s_cbranch_vccnz .LBB201_685
; %bb.684:
	global_load_sshort v1, v[2:3], off
	s_waitcnt vmcnt(0)
	v_cvt_f32_i32_e32 v1, v1
.LBB201_685:
	s_mov_b64 s[2:3], 0
.LBB201_686:
	s_andn2_b64 vcc, exec, s[2:3]
	s_cbranch_vccnz .LBB201_692
; %bb.687:
	s_cmp_gt_i32 s10, 0
	s_cbranch_scc0 .LBB201_689
; %bb.688:
	global_load_sbyte v1, v[2:3], off
	s_mov_b64 s[2:3], 0
	s_waitcnt vmcnt(0)
	v_cvt_f32_i32_e32 v1, v1
	s_branch .LBB201_690
.LBB201_689:
	s_mov_b64 s[2:3], -1
                                        ; implicit-def: $vgpr1
.LBB201_690:
	s_andn2_b64 vcc, exec, s[2:3]
	s_cbranch_vccnz .LBB201_692
; %bb.691:
	global_load_ubyte v1, v[2:3], off
	s_waitcnt vmcnt(0)
	v_cvt_f32_ubyte0_e32 v1, v1
.LBB201_692:
	s_mov_b64 s[2:3], -1
.LBB201_693:
	s_andn2_b64 vcc, exec, s[2:3]
	s_cbranch_vccnz .LBB201_701
; %bb.694:
	s_waitcnt vmcnt(0)
	v_cvt_f64_f32_e32 v[2:3], v1
	v_rsq_f64_e32 v[4:5], v[2:3]
	s_mov_b32 s2, 0
	s_mov_b32 s3, 0x3fd80000
	v_mov_b32_e32 v1, 0x180
	v_mul_f64 v[2:3], v[4:5], -v[2:3]
	v_fma_f64 v[2:3], v[2:3], v[4:5], 1.0
	v_mul_f64 v[6:7], v[4:5], v[2:3]
	v_fma_f64 v[2:3], v[2:3], s[2:3], 0.5
	v_fma_f64 v[2:3], v[6:7], v[2:3], v[4:5]
	v_cmp_class_f64_e32 vcc, v[4:5], v1
	v_mov_b32_e32 v1, 0
	s_and_b32 s12, s73, 0xff
	v_cndmask_b32_e32 v3, v5, v3, vcc
	v_cndmask_b32_e32 v2, v4, v2, vcc
	v_cvt_f32_f64_e32 v2, v[2:3]
	s_cmp_lt_i32 s12, 11
	v_lshl_add_u64 v[0:1], s[20:21], 0, v[0:1]
	s_cbranch_scc1 .LBB201_702
; %bb.695:
	s_and_b32 s13, 0xffff, s12
	s_cmp_gt_i32 s13, 25
	s_cbranch_scc0 .LBB201_703
; %bb.696:
	s_cmp_gt_i32 s13, 28
	s_cbranch_scc0 .LBB201_704
; %bb.697:
	;; [unrolled: 3-line block ×4, first 2 shown]
	s_mov_b64 s[8:9], 0
	s_mov_b64 s[2:3], -1
	s_cmp_eq_u32 s13, 46
	s_mov_b64 s[6:7], 0
	s_cbranch_scc0 .LBB201_707
; %bb.700:
	v_bfe_u32 v3, v2, 16, 1
	s_movk_i32 s2, 0x7fff
	v_add3_u32 v3, v2, v3, s2
	v_cmp_o_f32_e32 vcc, v2, v2
	v_mov_b32_e32 v4, 0x7fc0
	s_mov_b64 s[6:7], -1
	v_cndmask_b32_sdwa v3, v4, v3, vcc dst_sel:DWORD dst_unused:UNUSED_PAD src0_sel:DWORD src1_sel:WORD_1
	global_store_dword v[0:1], v3, off
	s_mov_b64 s[2:3], 0
	s_branch .LBB201_707
.LBB201_701:
	s_mov_b64 s[6:7], 0
	s_mov_b64 s[2:3], s[62:63]
	s_branch .LBB201_818
.LBB201_702:
	s_mov_b64 s[8:9], -1
	s_mov_b64 s[6:7], 0
	s_mov_b64 s[2:3], s[62:63]
	s_branch .LBB201_776
.LBB201_703:
	s_mov_b64 s[8:9], -1
	s_mov_b64 s[6:7], 0
	s_mov_b64 s[2:3], s[62:63]
	s_branch .LBB201_734
.LBB201_704:
	s_mov_b64 s[8:9], -1
	s_mov_b64 s[6:7], 0
	s_mov_b64 s[2:3], s[62:63]
	s_branch .LBB201_717
.LBB201_705:
	s_mov_b64 s[8:9], -1
	s_mov_b64 s[6:7], 0
	s_mov_b64 s[2:3], s[62:63]
	s_branch .LBB201_713
.LBB201_706:
	s_mov_b64 s[8:9], -1
	s_mov_b64 s[6:7], 0
	s_mov_b64 s[2:3], s[62:63]
.LBB201_707:
	s_and_b64 vcc, exec, s[8:9]
	s_cbranch_vccz .LBB201_712
; %bb.708:
	s_cmp_eq_u32 s13, 44
	s_mov_b64 s[2:3], -1
	s_cbranch_scc0 .LBB201_712
; %bb.709:
	v_bfe_u32 v3, v2, 23, 8
	s_movk_i32 s2, 0xff
	v_cmp_ne_u32_e32 vcc, s2, v3
	v_mov_b32_e32 v4, 0xff
	s_and_saveexec_b64 s[6:7], vcc
; %bb.710:
	s_mov_b32 s2, 0x3fffff
	v_and_b32_e32 v5, 0x400000, v2
	v_and_or_b32 v3, v2, s2, v3
	v_cmp_ne_u32_e32 vcc, 0, v5
	v_cmp_ne_u32_e64 s[2:3], 0, v3
	s_and_b64 s[2:3], vcc, s[2:3]
	v_lshrrev_b32_e32 v4, 23, v2
	v_cndmask_b32_e64 v3, 0, 1, s[2:3]
	v_add_u32_e32 v4, v4, v3
; %bb.711:
	s_or_b64 exec, exec, s[6:7]
	s_mov_b64 s[6:7], -1
	s_mov_b64 s[2:3], 0
	global_store_byte v[0:1], v4, off
.LBB201_712:
	s_mov_b64 s[8:9], 0
.LBB201_713:
	s_and_b64 vcc, exec, s[8:9]
	s_cbranch_vccz .LBB201_716
; %bb.714:
	s_cmp_eq_u32 s13, 29
	s_mov_b64 s[2:3], -1
	s_cbranch_scc0 .LBB201_716
; %bb.715:
	v_trunc_f32_e32 v3, v2
	v_mul_f32_e32 v4, 0x2f800000, v3
	v_floor_f32_e32 v4, v4
	v_fmamk_f32 v3, v4, 0xcf800000, v3
	v_cvt_u32_f32_e32 v5, v4
	v_cvt_u32_f32_e32 v4, v3
	s_mov_b64 s[6:7], -1
	s_mov_b64 s[2:3], 0
	s_mov_b64 s[8:9], 0
	global_store_dwordx2 v[0:1], v[4:5], off
	s_branch .LBB201_717
.LBB201_716:
	s_mov_b64 s[8:9], 0
.LBB201_717:
	s_and_b64 vcc, exec, s[8:9]
	s_cbranch_vccz .LBB201_733
; %bb.718:
	s_cmp_lt_i32 s13, 27
	s_mov_b64 s[6:7], -1
	s_cbranch_scc1 .LBB201_724
; %bb.719:
	v_cvt_u32_f32_e32 v3, v2
	s_cmp_gt_i32 s13, 27
	s_cbranch_scc0 .LBB201_721
; %bb.720:
	s_mov_b64 s[6:7], 0
	global_store_dword v[0:1], v3, off
.LBB201_721:
	s_andn2_b64 vcc, exec, s[6:7]
	s_cbranch_vccnz .LBB201_723
; %bb.722:
	global_store_short v[0:1], v3, off
.LBB201_723:
	s_mov_b64 s[6:7], 0
.LBB201_724:
	s_andn2_b64 vcc, exec, s[6:7]
	s_cbranch_vccnz .LBB201_732
; %bb.725:
	v_and_b32_e32 v3, 0x7fffffff, v2
	s_mov_b32 s6, 0x43800000
	v_cmp_gt_u32_e32 vcc, s6, v3
	v_mov_b32_e32 v4, 0x80
	s_and_saveexec_b64 s[6:7], vcc
	s_cbranch_execz .LBB201_731
; %bb.726:
	s_mov_b32 s8, 0x3bffffff
	v_cmp_lt_u32_e32 vcc, s8, v3
	s_mov_b64 s[8:9], 0
                                        ; implicit-def: $vgpr3
	s_and_saveexec_b64 s[10:11], vcc
	s_xor_b64 s[10:11], exec, s[10:11]
	s_cbranch_execz .LBB201_849
; %bb.727:
	v_bfe_u32 v3, v2, 20, 1
	s_mov_b32 s14, 0x487ffff
	v_add3_u32 v3, v2, v3, s14
	s_mov_b64 s[8:9], exec
	v_lshrrev_b32_e32 v3, 20, v3
	s_andn2_saveexec_b64 s[10:11], s[10:11]
	s_cbranch_execnz .LBB201_850
.LBB201_728:
	s_or_b64 exec, exec, s[10:11]
	v_mov_b32_e32 v4, 0
	s_and_saveexec_b64 s[10:11], s[8:9]
.LBB201_729:
	v_lshrrev_b32_e32 v4, 24, v2
	s_movk_i32 s8, 0x80
	v_and_or_b32 v4, v4, s8, v3
.LBB201_730:
	s_or_b64 exec, exec, s[10:11]
.LBB201_731:
	s_or_b64 exec, exec, s[6:7]
	global_store_byte v[0:1], v4, off
.LBB201_732:
	s_mov_b64 s[6:7], -1
.LBB201_733:
	s_mov_b64 s[8:9], 0
.LBB201_734:
	s_and_b64 vcc, exec, s[8:9]
	s_cbranch_vccz .LBB201_775
; %bb.735:
	s_cmp_gt_i32 s13, 22
	s_mov_b64 s[8:9], -1
	s_cbranch_scc0 .LBB201_767
; %bb.736:
	s_cmp_lt_i32 s13, 24
	s_mov_b64 s[6:7], -1
	s_cbranch_scc1 .LBB201_756
; %bb.737:
	s_cmp_gt_i32 s13, 24
	s_cbranch_scc0 .LBB201_745
; %bb.738:
	v_and_b32_e32 v3, 0x7fffffff, v2
	s_mov_b32 s6, 0x47800000
	v_cmp_gt_u32_e32 vcc, s6, v3
	v_mov_b32_e32 v4, 0x80
	s_and_saveexec_b64 s[6:7], vcc
	s_cbranch_execz .LBB201_744
; %bb.739:
	s_mov_b32 s8, 0x37ffffff
	v_cmp_lt_u32_e32 vcc, s8, v3
	s_mov_b64 s[8:9], 0
                                        ; implicit-def: $vgpr3
	s_and_saveexec_b64 s[10:11], vcc
	s_xor_b64 s[10:11], exec, s[10:11]
	s_cbranch_execz .LBB201_852
; %bb.740:
	v_bfe_u32 v3, v2, 21, 1
	s_mov_b32 s14, 0x88fffff
	v_add3_u32 v3, v2, v3, s14
	s_mov_b64 s[8:9], exec
	v_lshrrev_b32_e32 v3, 21, v3
	s_andn2_saveexec_b64 s[10:11], s[10:11]
	s_cbranch_execnz .LBB201_853
.LBB201_741:
	s_or_b64 exec, exec, s[10:11]
	v_mov_b32_e32 v4, 0
	s_and_saveexec_b64 s[10:11], s[8:9]
.LBB201_742:
	v_lshrrev_b32_e32 v4, 24, v2
	s_movk_i32 s8, 0x80
	v_and_or_b32 v4, v4, s8, v3
.LBB201_743:
	s_or_b64 exec, exec, s[10:11]
.LBB201_744:
	s_or_b64 exec, exec, s[6:7]
	s_mov_b64 s[6:7], 0
	global_store_byte v[0:1], v4, off
.LBB201_745:
	s_and_b64 vcc, exec, s[6:7]
	s_cbranch_vccz .LBB201_755
; %bb.746:
	v_and_b32_e32 v4, 0x7fffffff, v2
	s_mov_b32 s6, 0x43f00000
	v_cmp_gt_u32_e32 vcc, s6, v4
                                        ; implicit-def: $vgpr3
	s_and_saveexec_b64 s[6:7], vcc
	s_xor_b64 s[6:7], exec, s[6:7]
	s_cbranch_execz .LBB201_752
; %bb.747:
	s_mov_b32 s8, 0x3c7fffff
	v_cmp_lt_u32_e32 vcc, s8, v4
                                        ; implicit-def: $vgpr3
	s_and_saveexec_b64 s[8:9], vcc
	s_xor_b64 s[8:9], exec, s[8:9]
; %bb.748:
	v_bfe_u32 v3, v2, 20, 1
	s_mov_b32 s10, 0x407ffff
	v_add3_u32 v3, v2, v3, s10
	v_lshrrev_b32_e32 v4, 20, v3
	v_and_b32_e32 v3, 0xff00000, v3
	s_mov_b32 s10, 0x7f00000
	v_mov_b32_e32 v5, 0x7e
	v_cmp_ne_u32_e32 vcc, s10, v3
	s_nop 1
	v_cndmask_b32_e32 v3, v5, v4, vcc
; %bb.749:
	s_andn2_saveexec_b64 s[8:9], s[8:9]
; %bb.750:
	s_mov_b32 s10, 0x46800000
	v_add_f32_e64 v3, |v2|, s10
; %bb.751:
	s_or_b64 exec, exec, s[8:9]
                                        ; implicit-def: $vgpr4
.LBB201_752:
	s_andn2_saveexec_b64 s[6:7], s[6:7]
; %bb.753:
	s_mov_b32 s8, 0x7f800000
	v_mov_b32_e32 v3, 0x7e
	v_mov_b32_e32 v5, 0x7f
	v_cmp_lt_u32_e32 vcc, s8, v4
	s_nop 1
	v_cndmask_b32_e32 v3, v3, v5, vcc
; %bb.754:
	s_or_b64 exec, exec, s[6:7]
	v_lshrrev_b32_e32 v4, 24, v2
	s_movk_i32 s6, 0x80
	v_and_or_b32 v3, v4, s6, v3
	global_store_byte v[0:1], v3, off
.LBB201_755:
	s_mov_b64 s[6:7], 0
.LBB201_756:
	s_andn2_b64 vcc, exec, s[6:7]
	s_cbranch_vccnz .LBB201_766
; %bb.757:
	v_and_b32_e32 v4, 0x7fffffff, v2
	s_mov_b32 s6, 0x47800000
	v_cmp_gt_u32_e32 vcc, s6, v4
                                        ; implicit-def: $vgpr3
	s_and_saveexec_b64 s[6:7], vcc
	s_xor_b64 s[6:7], exec, s[6:7]
	s_cbranch_execz .LBB201_763
; %bb.758:
	s_mov_b32 s8, 0x387fffff
	v_cmp_lt_u32_e32 vcc, s8, v4
                                        ; implicit-def: $vgpr3
	s_and_saveexec_b64 s[8:9], vcc
	s_xor_b64 s[8:9], exec, s[8:9]
; %bb.759:
	v_bfe_u32 v3, v2, 21, 1
	s_mov_b32 s10, 0x80fffff
	v_add3_u32 v3, v2, v3, s10
	v_lshrrev_b32_e32 v3, 21, v3
; %bb.760:
	s_andn2_saveexec_b64 s[8:9], s[8:9]
; %bb.761:
	s_mov_b32 s10, 0x43000000
	v_add_f32_e64 v3, |v2|, s10
; %bb.762:
	s_or_b64 exec, exec, s[8:9]
                                        ; implicit-def: $vgpr4
.LBB201_763:
	s_andn2_saveexec_b64 s[6:7], s[6:7]
; %bb.764:
	s_mov_b32 s8, 0x7f800000
	v_mov_b32_e32 v3, 0x7c
	v_mov_b32_e32 v5, 0x7f
	v_cmp_lt_u32_e32 vcc, s8, v4
	s_nop 1
	v_cndmask_b32_e32 v3, v3, v5, vcc
; %bb.765:
	s_or_b64 exec, exec, s[6:7]
	v_lshrrev_b32_e32 v4, 24, v2
	s_movk_i32 s6, 0x80
	v_and_or_b32 v3, v4, s6, v3
	global_store_byte v[0:1], v3, off
.LBB201_766:
	s_mov_b64 s[8:9], 0
	s_mov_b64 s[6:7], -1
.LBB201_767:
	s_andn2_b64 vcc, exec, s[8:9]
	s_cbranch_vccnz .LBB201_775
; %bb.768:
	s_cmp_gt_i32 s13, 14
	s_mov_b64 s[8:9], -1
	s_cbranch_scc0 .LBB201_772
; %bb.769:
	s_cmp_eq_u32 s13, 15
	s_mov_b64 s[2:3], -1
	s_cbranch_scc0 .LBB201_771
; %bb.770:
	v_bfe_u32 v3, v2, 16, 1
	s_movk_i32 s2, 0x7fff
	v_add3_u32 v3, v2, v3, s2
	v_cmp_o_f32_e32 vcc, v2, v2
	v_mov_b32_e32 v4, 0x7fc0
	s_mov_b64 s[6:7], -1
	v_cndmask_b32_sdwa v3, v4, v3, vcc dst_sel:DWORD dst_unused:UNUSED_PAD src0_sel:DWORD src1_sel:WORD_1
	global_store_short v[0:1], v3, off
	s_mov_b64 s[2:3], 0
.LBB201_771:
	s_mov_b64 s[8:9], 0
.LBB201_772:
	s_and_b64 vcc, exec, s[8:9]
	s_cbranch_vccz .LBB201_775
; %bb.773:
	s_cmp_eq_u32 s13, 11
	s_mov_b64 s[2:3], -1
	s_cbranch_scc0 .LBB201_775
; %bb.774:
	v_cmp_neq_f32_e32 vcc, 0, v2
	s_mov_b64 s[6:7], -1
	s_mov_b64 s[2:3], 0
	v_cndmask_b32_e64 v3, 0, 1, vcc
	global_store_byte v[0:1], v3, off
.LBB201_775:
	s_mov_b64 s[8:9], 0
.LBB201_776:
	s_and_b64 vcc, exec, s[8:9]
	s_cbranch_vccz .LBB201_815
; %bb.777:
	s_and_b32 s8, 0xffff, s12
	s_cmp_lt_i32 s8, 5
	s_mov_b64 s[6:7], -1
	s_cbranch_scc1 .LBB201_798
; %bb.778:
	s_cmp_lt_i32 s8, 8
	s_cbranch_scc1 .LBB201_788
; %bb.779:
	s_cmp_lt_i32 s8, 9
	s_cbranch_scc1 .LBB201_785
; %bb.780:
	s_cmp_gt_i32 s8, 9
	s_cbranch_scc0 .LBB201_782
; %bb.781:
	v_mov_b32_e32 v6, 0
	v_cvt_f64_f32_e32 v[4:5], v2
	v_mov_b32_e32 v7, v6
	s_mov_b64 s[6:7], 0
	global_store_dwordx4 v[0:1], v[4:7], off
.LBB201_782:
	s_andn2_b64 vcc, exec, s[6:7]
	s_cbranch_vccnz .LBB201_784
; %bb.783:
	v_mov_b32_e32 v3, 0
	global_store_dwordx2 v[0:1], v[2:3], off
.LBB201_784:
	s_mov_b64 s[6:7], 0
.LBB201_785:
	s_andn2_b64 vcc, exec, s[6:7]
	s_cbranch_vccnz .LBB201_787
; %bb.786:
	v_cvt_f16_f32_e32 v3, v2
	global_store_dword v[0:1], v3, off
.LBB201_787:
	s_mov_b64 s[6:7], 0
.LBB201_788:
	s_andn2_b64 vcc, exec, s[6:7]
	s_cbranch_vccnz .LBB201_797
; %bb.789:
	s_cmp_lt_i32 s8, 6
	s_mov_b64 s[6:7], -1
	s_cbranch_scc1 .LBB201_795
; %bb.790:
	s_cmp_gt_i32 s8, 6
	s_cbranch_scc0 .LBB201_792
; %bb.791:
	v_cvt_f64_f32_e32 v[4:5], v2
	s_mov_b64 s[6:7], 0
	global_store_dwordx2 v[0:1], v[4:5], off
.LBB201_792:
	s_andn2_b64 vcc, exec, s[6:7]
	s_cbranch_vccnz .LBB201_794
; %bb.793:
	global_store_dword v[0:1], v2, off
.LBB201_794:
	s_mov_b64 s[6:7], 0
.LBB201_795:
	s_andn2_b64 vcc, exec, s[6:7]
	s_cbranch_vccnz .LBB201_797
; %bb.796:
	v_cvt_f16_f32_e32 v3, v2
	global_store_short v[0:1], v3, off
.LBB201_797:
	s_mov_b64 s[6:7], 0
.LBB201_798:
	s_andn2_b64 vcc, exec, s[6:7]
	s_cbranch_vccnz .LBB201_814
; %bb.799:
	s_cmp_lt_i32 s8, 2
	s_mov_b64 s[6:7], -1
	s_cbranch_scc1 .LBB201_809
; %bb.800:
	s_cmp_lt_i32 s8, 3
	s_cbranch_scc1 .LBB201_806
; %bb.801:
	s_cmp_gt_i32 s8, 3
	s_cbranch_scc0 .LBB201_803
; %bb.802:
	v_trunc_f32_e32 v3, v2
	s_mov_b32 s6, 0x2f800000
	v_mul_f32_e64 v4, |v3|, s6
	v_floor_f32_e32 v4, v4
	s_mov_b32 s6, 0xcf800000
	v_cvt_u32_f32_e32 v5, v4
	v_fma_f32 v4, v4, s6, |v3|
	v_cvt_u32_f32_e32 v4, v4
	v_ashrrev_i32_e32 v3, 31, v3
	v_xor_b32_e32 v5, v5, v3
	s_mov_b64 s[6:7], 0
	v_xor_b32_e32 v4, v4, v3
	v_sub_co_u32_e32 v4, vcc, v4, v3
	s_nop 1
	v_subb_co_u32_e32 v5, vcc, v5, v3, vcc
	global_store_dwordx2 v[0:1], v[4:5], off
.LBB201_803:
	s_andn2_b64 vcc, exec, s[6:7]
	s_cbranch_vccnz .LBB201_805
; %bb.804:
	v_cvt_i32_f32_e32 v3, v2
	global_store_dword v[0:1], v3, off
.LBB201_805:
	s_mov_b64 s[6:7], 0
.LBB201_806:
	s_andn2_b64 vcc, exec, s[6:7]
	s_cbranch_vccnz .LBB201_808
; %bb.807:
	v_cvt_i32_f32_e32 v3, v2
	global_store_short v[0:1], v3, off
.LBB201_808:
	s_mov_b64 s[6:7], 0
.LBB201_809:
	s_andn2_b64 vcc, exec, s[6:7]
	s_cbranch_vccnz .LBB201_814
; %bb.810:
	s_cmp_gt_i32 s8, 0
	s_mov_b64 s[6:7], -1
	s_cbranch_scc0 .LBB201_812
; %bb.811:
	v_cvt_i32_f32_e32 v3, v2
	s_mov_b64 s[6:7], 0
	global_store_byte v[0:1], v3, off
.LBB201_812:
	s_andn2_b64 vcc, exec, s[6:7]
	s_cbranch_vccnz .LBB201_814
; %bb.813:
	v_trunc_f32_e32 v2, v2
	s_mov_b32 s6, 0x2f800000
	v_mul_f32_e64 v3, |v2|, s6
	v_floor_f32_e32 v3, v3
	s_mov_b32 s6, 0xcf800000
	v_fma_f32 v3, v3, s6, |v2|
	v_cvt_u32_f32_e32 v3, v3
	v_ashrrev_i32_e32 v2, 31, v2
	v_xor_b32_e32 v3, v3, v2
	v_sub_u32_e32 v2, v3, v2
	global_store_byte v[0:1], v2, off
.LBB201_814:
	s_mov_b64 s[6:7], -1
.LBB201_815:
	s_andn2_b64 vcc, exec, s[6:7]
	s_cbranch_vccnz .LBB201_817
; %bb.816:
	v_add_u32_e32 v8, 0x80, v8
	s_mov_b64 s[6:7], -1
	s_branch .LBB201_819
.LBB201_817:
	s_mov_b64 s[6:7], 0
.LBB201_818:
                                        ; implicit-def: $vgpr8
.LBB201_819:
	s_andn2_b64 s[8:9], s[62:63], exec
	s_and_b64 s[2:3], s[2:3], exec
	s_or_b64 s[68:69], s[8:9], s[2:3]
	s_andn2_b64 s[2:3], s[60:61], exec
	s_and_b64 s[4:5], s[4:5], exec
	s_or_b64 s[2:3], s[2:3], s[4:5]
	s_orn2_b64 s[6:7], s[6:7], exec
.LBB201_820:
	s_or_b64 exec, exec, s[66:67]
	s_mov_b64 s[4:5], 0
	s_mov_b64 s[10:11], 0
	;; [unrolled: 1-line block ×3, first 2 shown]
                                        ; implicit-def: $vgpr2_vgpr3
                                        ; implicit-def: $vgpr0
                                        ; implicit-def: $vgpr1
	s_and_saveexec_b64 s[66:67], s[6:7]
	s_cbranch_execz .LBB201_920
; %bb.821:
	v_cmp_gt_i32_e32 vcc, s70, v8
	s_mov_b64 s[6:7], 0
	s_mov_b64 s[12:13], s[2:3]
                                        ; implicit-def: $vgpr2_vgpr3
                                        ; implicit-def: $vgpr0
                                        ; implicit-def: $vgpr1
	s_and_saveexec_b64 s[70:71], vcc
	s_cbranch_execz .LBB201_919
; %bb.822:
	s_andn2_b64 vcc, exec, s[42:43]
	s_cbranch_vccnz .LBB201_828
; %bb.823:
	s_andn2_b64 vcc, exec, s[52:53]
	s_cbranch_vccnz .LBB201_829
; %bb.824:
	s_add_i32 s76, s75, 1
	s_cmp_eq_u32 s72, 2
	s_cbranch_scc1 .LBB201_830
; %bb.825:
	s_and_b32 s75, s76, 28
	s_mov_b32 s77, 0
	v_mov_b32_e32 v0, 0
	v_mov_b32_e32 v2, 0
	s_mov_b64 s[52:53], s[34:35]
	v_mov_b32_e32 v4, v8
.LBB201_826:                            ; =>This Inner Loop Header: Depth=1
	s_load_dwordx8 s[12:19], s[52:53], 0x4
	s_load_dwordx4 s[36:39], s[52:53], 0x24
	s_load_dwordx8 s[4:11], s[50:51], 0x0
	s_add_u32 s52, s52, 48
	s_addc_u32 s53, s53, 0
	s_waitcnt vmcnt(0) lgkmcnt(0)
	v_mul_hi_u32 v1, s13, v4
	v_add_u32_e32 v1, v4, v1
	v_lshrrev_b32_e32 v1, s14, v1
	v_mul_lo_u32 v3, v1, s12
	v_mul_hi_u32 v5, s16, v1
	v_sub_u32_e32 v3, v4, v3
	v_add_u32_e32 v4, v1, v5
	v_lshrrev_b32_e32 v4, s17, v4
	v_mul_lo_u32 v6, v4, s15
	v_mul_hi_u32 v7, s19, v4
	v_sub_u32_e32 v1, v1, v6
	v_add_u32_e32 v6, v4, v7
	v_mul_lo_u32 v5, v3, s5
	v_mul_lo_u32 v3, v3, s4
	;; [unrolled: 1-line block ×4, first 2 shown]
	v_lshrrev_b32_e32 v6, s36, v6
	v_add3_u32 v0, v3, v0, v1
	v_mul_hi_u32 v3, s38, v6
	v_add3_u32 v1, v5, v2, v7
	v_mul_lo_u32 v2, v6, s18
	v_add_u32_e32 v3, v6, v3
	v_sub_u32_e32 v2, v4, v2
	v_lshrrev_b32_e32 v4, s39, v3
	s_add_i32 s77, s77, 4
	v_mul_lo_u32 v3, v4, s37
	s_add_u32 s50, s50, 32
	v_sub_u32_e32 v3, v6, v3
	s_addc_u32 s51, s51, 0
	v_mul_lo_u32 v5, v2, s8
	v_mul_lo_u32 v2, v2, s9
	;; [unrolled: 1-line block ×4, first 2 shown]
	s_cmp_eq_u32 s75, s77
	v_add3_u32 v2, v2, v1, v3
	v_add3_u32 v0, v5, v0, v6
	s_cbranch_scc0 .LBB201_826
; %bb.827:
	v_mov_b32_e32 v1, v2
	s_branch .LBB201_831
.LBB201_828:
	s_mov_b64 s[4:5], -1
                                        ; implicit-def: $vgpr2
                                        ; implicit-def: $vgpr0
	s_branch .LBB201_835
.LBB201_829:
	v_mov_b32_e32 v2, 0
	v_mov_b32_e32 v0, 0
	s_branch .LBB201_834
.LBB201_830:
	v_mov_b32_e32 v0, 0
	s_mov_b32 s75, 0
	s_waitcnt vmcnt(0)
	v_mov_b32_e32 v1, v0
                                        ; implicit-def: $vgpr2
	v_mov_b32_e32 v4, v8
.LBB201_831:
	s_and_b32 s8, s76, 3
	s_cmp_eq_u32 s8, 0
	s_cbranch_scc1 .LBB201_834
; %bb.832:
	s_lshl_b32 s4, s75, 3
	s_add_u32 s4, s34, s4
	s_addc_u32 s5, s35, 0
	s_add_u32 s4, s4, 0xc4
	s_addc_u32 s5, s5, 0
	s_mul_i32 s6, s75, 12
	s_add_u32 s6, s34, s6
	s_addc_u32 s7, s35, 0
.LBB201_833:                            ; =>This Inner Loop Header: Depth=1
	s_load_dwordx2 s[10:11], s[6:7], 0x4
	s_load_dword s9, s[6:7], 0xc
	s_load_dwordx2 s[12:13], s[4:5], 0x0
	v_mov_b32_e32 v2, v1
	s_add_u32 s6, s6, 12
	s_waitcnt lgkmcnt(0)
	v_mul_hi_u32 v1, s11, v4
	v_add_u32_e32 v1, v4, v1
	v_lshrrev_b32_e32 v1, s9, v1
	s_addc_u32 s7, s7, 0
	v_mul_lo_u32 v3, v1, s10
	s_add_u32 s4, s4, 8
	v_sub_u32_e32 v5, v4, v3
	s_addc_u32 s5, s5, 0
	s_add_i32 s8, s8, -1
	v_mov_b32_e32 v4, v1
	v_mad_u64_u32 v[2:3], s[10:11], v5, s13, v[2:3]
	v_mad_u64_u32 v[0:1], s[10:11], v5, s12, v[0:1]
	s_cmp_lg_u32 s8, 0
	v_mov_b32_e32 v1, v2
	s_cbranch_scc1 .LBB201_833
.LBB201_834:
	s_mov_b64 s[4:5], 0
.LBB201_835:
	s_andn2_b64 vcc, exec, s[4:5]
	s_cbranch_vccnz .LBB201_838
; %bb.836:
	s_waitcnt lgkmcnt(0)
	v_mul_hi_u32 v0, s29, v8
	v_add_u32_e32 v0, v8, v0
	s_waitcnt vmcnt(0)
	v_lshrrev_b32_e32 v1, s30, v0
	v_mul_lo_u32 v0, v1, s28
	v_sub_u32_e32 v0, v8, v0
	v_mul_lo_u32 v2, v0, s25
	s_andn2_b64 vcc, exec, s[48:49]
	v_mul_lo_u32 v0, v0, s24
	s_cbranch_vccnz .LBB201_838
; %bb.837:
	v_mul_hi_u32 v3, s46, v1
	v_add_u32_e32 v3, v1, v3
	v_lshrrev_b32_e32 v3, s47, v3
	v_mul_lo_u32 v3, v3, s31
	v_sub_u32_e32 v3, v1, v3
	v_mad_u64_u32 v[0:1], s[4:5], v3, s26, v[0:1]
	v_mad_u64_u32 v[2:3], s[4:5], v3, s27, v[2:3]
.LBB201_838:
	v_mov_b32_e32 v3, 0
	s_and_b32 s14, 0xffff, s74
	s_cmp_lt_i32 s14, 11
	s_waitcnt lgkmcnt(0)
	v_lshl_add_u64 v[2:3], s[22:23], 0, v[2:3]
	s_cbranch_scc1 .LBB201_845
; %bb.839:
	s_cmp_gt_i32 s14, 25
	s_mov_b64 s[6:7], 0
	s_cbranch_scc0 .LBB201_846
; %bb.840:
	s_cmp_gt_i32 s14, 28
	s_cbranch_scc0 .LBB201_847
; %bb.841:
	s_cmp_gt_i32 s14, 43
	;; [unrolled: 3-line block ×3, first 2 shown]
	s_cbranch_scc0 .LBB201_851
; %bb.843:
	s_cmp_eq_u32 s14, 46
	s_mov_b64 s[10:11], 0
	s_cbranch_scc0 .LBB201_854
; %bb.844:
	global_load_dword v1, v[2:3], off
	s_mov_b64 s[4:5], 0
	s_mov_b64 s[8:9], -1
	s_waitcnt vmcnt(0)
	v_lshlrev_b32_e32 v1, 16, v1
	s_branch .LBB201_855
.LBB201_845:
	s_mov_b64 s[10:11], -1
	s_mov_b64 s[8:9], 0
	s_mov_b64 s[6:7], 0
	;; [unrolled: 1-line block ×3, first 2 shown]
                                        ; implicit-def: $vgpr1
	s_branch .LBB201_918
.LBB201_846:
	s_mov_b64 s[10:11], -1
	s_mov_b64 s[8:9], 0
	s_mov_b64 s[4:5], s[2:3]
                                        ; implicit-def: $vgpr1
	s_branch .LBB201_884
.LBB201_847:
	s_mov_b64 s[10:11], -1
	s_mov_b64 s[8:9], 0
	s_mov_b64 s[4:5], s[2:3]
                                        ; implicit-def: $vgpr1
	s_branch .LBB201_865
.LBB201_848:
	s_mov_b64 s[10:11], -1
	s_mov_b64 s[8:9], 0
	s_mov_b64 s[4:5], s[2:3]
                                        ; implicit-def: $vgpr1
	s_branch .LBB201_860
.LBB201_849:
	s_andn2_saveexec_b64 s[10:11], s[10:11]
	s_cbranch_execz .LBB201_728
.LBB201_850:
	s_mov_b32 s14, 0x46000000
	v_add_f32_e64 v3, |v2|, s14
	v_and_b32_e32 v3, 0xff, v3
	v_cmp_ne_u32_e32 vcc, 0, v3
	s_andn2_b64 s[8:9], s[8:9], exec
	s_and_b64 s[14:15], vcc, exec
	s_or_b64 s[8:9], s[8:9], s[14:15]
	s_or_b64 exec, exec, s[10:11]
	v_mov_b32_e32 v4, 0
	s_and_saveexec_b64 s[10:11], s[8:9]
	s_cbranch_execnz .LBB201_729
	s_branch .LBB201_730
.LBB201_851:
	s_mov_b64 s[10:11], -1
	s_mov_b64 s[8:9], 0
	s_mov_b64 s[4:5], s[2:3]
                                        ; implicit-def: $vgpr1
	s_branch .LBB201_855
.LBB201_852:
	s_andn2_saveexec_b64 s[10:11], s[10:11]
	s_cbranch_execz .LBB201_741
.LBB201_853:
	s_mov_b32 s14, 0x42800000
	v_add_f32_e64 v3, |v2|, s14
	v_and_b32_e32 v3, 0xff, v3
	v_cmp_ne_u32_e32 vcc, 0, v3
	s_andn2_b64 s[8:9], s[8:9], exec
	s_and_b64 s[14:15], vcc, exec
	s_or_b64 s[8:9], s[8:9], s[14:15]
	s_or_b64 exec, exec, s[10:11]
	v_mov_b32_e32 v4, 0
	s_and_saveexec_b64 s[10:11], s[8:9]
	s_cbranch_execnz .LBB201_742
	s_branch .LBB201_743
.LBB201_854:
	s_mov_b64 s[4:5], -1
                                        ; implicit-def: $vgpr1
	s_mov_b64 s[8:9], 0
.LBB201_855:
	s_and_b64 vcc, exec, s[10:11]
	s_cbranch_vccz .LBB201_859
; %bb.856:
	s_cmp_eq_u32 s14, 44
	s_cbranch_scc0 .LBB201_858
; %bb.857:
	global_load_ubyte v1, v[2:3], off
	s_movk_i32 s8, 0xff
	v_mov_b32_e32 v4, 0x7f800001
	v_mov_b32_e32 v5, 0x400000
	s_mov_b64 s[4:5], 0
	s_waitcnt vmcnt(0)
	v_lshlrev_b32_e32 v6, 23, v1
	v_cmp_ne_u32_e32 vcc, s8, v1
	s_mov_b64 s[8:9], -1
	s_nop 0
	v_cndmask_b32_e32 v4, v4, v6, vcc
	v_cmp_ne_u32_e32 vcc, 0, v1
	s_nop 1
	v_cndmask_b32_e32 v1, v5, v4, vcc
	s_branch .LBB201_859
.LBB201_858:
	s_mov_b64 s[4:5], -1
                                        ; implicit-def: $vgpr1
.LBB201_859:
	s_mov_b64 s[10:11], 0
.LBB201_860:
	s_and_b64 vcc, exec, s[10:11]
	s_cbranch_vccz .LBB201_864
; %bb.861:
	s_cmp_eq_u32 s14, 29
	s_cbranch_scc0 .LBB201_863
; %bb.862:
	global_load_dwordx2 v[4:5], v[2:3], off
	s_mov_b64 s[4:5], 0
	s_mov_b64 s[8:9], -1
	s_mov_b64 s[10:11], 0
	s_waitcnt vmcnt(0)
	v_ffbh_u32_e32 v1, v5
	v_min_u32_e32 v1, 32, v1
	v_lshlrev_b64 v[4:5], v1, v[4:5]
	v_min_u32_e32 v4, 1, v4
	v_or_b32_e32 v4, v5, v4
	v_cvt_f32_u32_e32 v4, v4
	v_sub_u32_e32 v1, 32, v1
	v_ldexp_f32 v1, v4, v1
	s_branch .LBB201_865
.LBB201_863:
	s_mov_b64 s[4:5], -1
                                        ; implicit-def: $vgpr1
.LBB201_864:
	s_mov_b64 s[10:11], 0
.LBB201_865:
	s_and_b64 vcc, exec, s[10:11]
	s_cbranch_vccz .LBB201_883
; %bb.866:
	s_cmp_lt_i32 s14, 27
	s_cbranch_scc1 .LBB201_869
; %bb.867:
	s_cmp_gt_i32 s14, 27
	s_cbranch_scc0 .LBB201_870
; %bb.868:
	global_load_dword v1, v[2:3], off
	s_mov_b64 s[8:9], 0
	s_waitcnt vmcnt(0)
	v_cvt_f32_u32_e32 v1, v1
	s_branch .LBB201_871
.LBB201_869:
	s_mov_b64 s[8:9], -1
                                        ; implicit-def: $vgpr1
	s_branch .LBB201_874
.LBB201_870:
	s_mov_b64 s[8:9], -1
                                        ; implicit-def: $vgpr1
.LBB201_871:
	s_andn2_b64 vcc, exec, s[8:9]
	s_cbranch_vccnz .LBB201_873
; %bb.872:
	global_load_ushort v1, v[2:3], off
	s_waitcnt vmcnt(0)
	v_cvt_f32_u32_e32 v1, v1
.LBB201_873:
	s_mov_b64 s[8:9], 0
.LBB201_874:
	s_andn2_b64 vcc, exec, s[8:9]
	s_cbranch_vccnz .LBB201_882
; %bb.875:
	global_load_ubyte v4, v[2:3], off
	s_movk_i32 s8, 0x7f
	s_waitcnt vmcnt(0)
	v_cmp_lt_i16_e32 vcc, s8, v4
	s_mov_b64 s[8:9], 0
	s_and_saveexec_b64 s[10:11], vcc
	s_xor_b64 s[10:11], exec, s[10:11]
	s_cbranch_execz .LBB201_896
; %bb.876:
	s_movk_i32 s8, 0x80
	v_cmp_eq_u16_e32 vcc, s8, v4
	s_mov_b64 s[8:9], -1
	s_and_saveexec_b64 s[12:13], vcc
; %bb.877:
	s_xor_b64 s[8:9], exec, -1
; %bb.878:
	s_or_b64 exec, exec, s[12:13]
	s_and_b64 s[8:9], s[8:9], exec
	s_or_saveexec_b64 s[10:11], s[10:11]
	v_mov_b32_e32 v1, 0x7f800001
	s_xor_b64 exec, exec, s[10:11]
	s_cbranch_execnz .LBB201_897
.LBB201_879:
	s_or_b64 exec, exec, s[10:11]
	s_and_saveexec_b64 s[10:11], s[8:9]
	s_cbranch_execz .LBB201_881
.LBB201_880:
	v_lshlrev_b32_e32 v1, 24, v4
	v_and_b32_e32 v4, 0xffff, v4
	v_and_b32_e32 v5, 7, v4
	v_ffbh_u32_e32 v7, v5
	v_min_u32_e32 v7, 32, v7
	v_subrev_u32_e32 v8, 28, v7
	v_bfe_u32 v6, v4, 3, 4
	v_lshlrev_b32_e32 v4, v8, v4
	v_sub_u32_e32 v7, 29, v7
	v_and_b32_e32 v4, 7, v4
	v_cmp_eq_u32_e32 vcc, 0, v6
	v_and_b32_e32 v1, 0x80000000, v1
	s_nop 0
	v_cndmask_b32_e32 v6, v6, v7, vcc
	v_cndmask_b32_e32 v4, v5, v4, vcc
	v_mov_b32_e32 v5, 0x3b800000
	v_lshlrev_b32_e32 v4, 20, v4
	v_lshl_add_u32 v5, v6, 23, v5
	v_or3_b32 v1, v1, v5, v4
.LBB201_881:
	s_or_b64 exec, exec, s[10:11]
.LBB201_882:
	s_mov_b64 s[8:9], -1
.LBB201_883:
	s_mov_b64 s[10:11], 0
.LBB201_884:
	s_and_b64 vcc, exec, s[10:11]
	s_cbranch_vccz .LBB201_917
; %bb.885:
	s_cmp_gt_i32 s14, 22
	s_cbranch_scc0 .LBB201_895
; %bb.886:
	s_cmp_lt_i32 s14, 24
	s_cbranch_scc1 .LBB201_898
; %bb.887:
	s_cmp_gt_i32 s14, 24
	s_cbranch_scc0 .LBB201_899
; %bb.888:
	global_load_ubyte v4, v[2:3], off
	s_movk_i32 s6, 0x7f
	s_waitcnt vmcnt(0)
	v_cmp_lt_i16_e32 vcc, s6, v4
	s_mov_b64 s[6:7], 0
	s_and_saveexec_b64 s[8:9], vcc
	s_xor_b64 s[8:9], exec, s[8:9]
	s_cbranch_execz .LBB201_911
; %bb.889:
	s_movk_i32 s6, 0x80
	v_cmp_eq_u16_e32 vcc, s6, v4
	s_mov_b64 s[6:7], -1
	s_and_saveexec_b64 s[10:11], vcc
; %bb.890:
	s_xor_b64 s[6:7], exec, -1
; %bb.891:
	s_or_b64 exec, exec, s[10:11]
	s_and_b64 s[6:7], s[6:7], exec
	s_or_saveexec_b64 s[8:9], s[8:9]
	v_mov_b32_e32 v1, 0x7f800001
	s_xor_b64 exec, exec, s[8:9]
	s_cbranch_execnz .LBB201_912
.LBB201_892:
	s_or_b64 exec, exec, s[8:9]
	s_and_saveexec_b64 s[8:9], s[6:7]
	s_cbranch_execz .LBB201_894
.LBB201_893:
	v_lshlrev_b32_e32 v1, 24, v4
	v_and_b32_e32 v4, 0xffff, v4
	v_and_b32_e32 v5, 3, v4
	v_ffbh_u32_e32 v7, v5
	v_min_u32_e32 v7, 32, v7
	v_subrev_u32_e32 v8, 29, v7
	v_bfe_u32 v6, v4, 2, 5
	v_lshlrev_b32_e32 v4, v8, v4
	v_sub_u32_e32 v7, 30, v7
	v_and_b32_e32 v4, 3, v4
	v_cmp_eq_u32_e32 vcc, 0, v6
	v_and_b32_e32 v1, 0x80000000, v1
	s_nop 0
	v_cndmask_b32_e32 v6, v6, v7, vcc
	v_cndmask_b32_e32 v4, v5, v4, vcc
	v_mov_b32_e32 v5, 0x37800000
	v_lshlrev_b32_e32 v4, 21, v4
	v_lshl_add_u32 v5, v6, 23, v5
	v_or3_b32 v1, v1, v5, v4
.LBB201_894:
	s_or_b64 exec, exec, s[8:9]
	s_mov_b64 s[6:7], 0
	s_branch .LBB201_900
.LBB201_895:
	s_mov_b64 s[6:7], -1
                                        ; implicit-def: $vgpr1
	s_branch .LBB201_906
.LBB201_896:
	s_or_saveexec_b64 s[10:11], s[10:11]
	v_mov_b32_e32 v1, 0x7f800001
	s_xor_b64 exec, exec, s[10:11]
	s_cbranch_execz .LBB201_879
.LBB201_897:
	v_cmp_ne_u16_e32 vcc, 0, v4
	s_andn2_b64 s[8:9], s[8:9], exec
	s_and_b64 s[12:13], vcc, exec
	v_mov_b32_e32 v1, 0
	s_or_b64 s[8:9], s[8:9], s[12:13]
	s_or_b64 exec, exec, s[10:11]
	s_and_saveexec_b64 s[10:11], s[8:9]
	s_cbranch_execnz .LBB201_880
	s_branch .LBB201_881
.LBB201_898:
	s_mov_b64 s[6:7], -1
                                        ; implicit-def: $vgpr1
	s_branch .LBB201_903
.LBB201_899:
	s_mov_b64 s[6:7], -1
                                        ; implicit-def: $vgpr1
.LBB201_900:
	s_and_b64 vcc, exec, s[6:7]
	s_cbranch_vccz .LBB201_902
; %bb.901:
	global_load_ubyte v1, v[2:3], off
	s_mov_b32 s6, 0x7f800000
	s_waitcnt vmcnt(0)
	v_lshlrev_b32_e32 v1, 24, v1
	v_and_b32_e32 v4, 0x7f000000, v1
	v_ffbh_u32_e32 v5, v4
	v_min_u32_e32 v5, 32, v5
	v_sub_u32_e64 v5, v5, 4 clamp
	v_lshlrev_b32_e32 v7, v5, v4
	v_lshlrev_b32_e32 v5, 23, v5
	v_lshrrev_b32_e32 v7, 4, v7
	v_add_u32_e32 v6, 0x1000000, v4
	v_sub_u32_e32 v5, v7, v5
	v_ashrrev_i32_e32 v6, 8, v6
	v_add_u32_e32 v5, 0x3c000000, v5
	v_and_or_b32 v5, v6, s6, v5
	v_cmp_ne_u32_e32 vcc, 0, v4
	s_brev_b32 s6, 1
	s_nop 0
	v_cndmask_b32_e32 v4, 0, v5, vcc
	v_and_or_b32 v1, v1, s6, v4
.LBB201_902:
	s_mov_b64 s[6:7], 0
.LBB201_903:
	s_andn2_b64 vcc, exec, s[6:7]
	s_cbranch_vccnz .LBB201_905
; %bb.904:
	global_load_ubyte v1, v[2:3], off
	s_movk_i32 s6, 0x7f00
	s_brev_b32 s7, 16
	s_waitcnt vmcnt(0)
	v_lshlrev_b16_e32 v4, 8, v1
	v_lshlrev_b32_e32 v1, 25, v1
	v_lshrrev_b32_e32 v5, 4, v1
	v_and_or_b32 v6, v4, s6, 0.5
	v_or_b32_e32 v5, 0x70000000, v5
	v_add_f32_e32 v6, -0.5, v6
	v_mul_f32_e32 v5, 0x7800000, v5
	v_cmp_gt_u32_e32 vcc, s7, v1
	v_bfe_i32 v4, v4, 0, 16
	s_brev_b32 s6, 1
	v_cndmask_b32_e32 v1, v5, v6, vcc
	v_and_or_b32 v1, v4, s6, v1
.LBB201_905:
	s_mov_b64 s[6:7], 0
	s_mov_b64 s[8:9], -1
.LBB201_906:
	s_andn2_b64 vcc, exec, s[6:7]
	s_mov_b64 s[6:7], 0
	s_cbranch_vccnz .LBB201_917
; %bb.907:
	s_cmp_gt_i32 s14, 14
	s_cbranch_scc0 .LBB201_910
; %bb.908:
	s_cmp_eq_u32 s14, 15
	s_cbranch_scc0 .LBB201_913
; %bb.909:
	global_load_ushort v1, v[2:3], off
	s_mov_b64 s[4:5], 0
	s_mov_b64 s[8:9], -1
	s_waitcnt vmcnt(0)
	v_lshlrev_b32_e32 v1, 16, v1
	s_branch .LBB201_914
.LBB201_910:
	s_mov_b64 s[10:11], -1
                                        ; implicit-def: $vgpr1
	s_branch .LBB201_915
.LBB201_911:
	s_or_saveexec_b64 s[8:9], s[8:9]
	v_mov_b32_e32 v1, 0x7f800001
	s_xor_b64 exec, exec, s[8:9]
	s_cbranch_execz .LBB201_892
.LBB201_912:
	v_cmp_ne_u16_e32 vcc, 0, v4
	s_andn2_b64 s[6:7], s[6:7], exec
	s_and_b64 s[10:11], vcc, exec
	v_mov_b32_e32 v1, 0
	s_or_b64 s[6:7], s[6:7], s[10:11]
	s_or_b64 exec, exec, s[8:9]
	s_and_saveexec_b64 s[8:9], s[6:7]
	s_cbranch_execnz .LBB201_893
	s_branch .LBB201_894
.LBB201_913:
	s_mov_b64 s[4:5], -1
                                        ; implicit-def: $vgpr1
.LBB201_914:
	s_mov_b64 s[10:11], 0
.LBB201_915:
	s_and_b64 vcc, exec, s[10:11]
	s_cbranch_vccz .LBB201_917
; %bb.916:
	s_cmp_lg_u32 s14, 11
	s_cselect_b64 s[10:11], -1, 0
	s_andn2_b64 s[4:5], s[4:5], exec
	s_and_b64 s[10:11], s[10:11], exec
	s_mov_b64 s[6:7], -1
	s_or_b64 s[4:5], s[4:5], s[10:11]
.LBB201_917:
	s_mov_b64 s[10:11], 0
.LBB201_918:
	s_andn2_b64 s[12:13], s[2:3], exec
	s_and_b64 s[4:5], s[4:5], exec
	s_and_b64 s[8:9], s[8:9], exec
	;; [unrolled: 1-line block ×4, first 2 shown]
	s_or_b64 s[12:13], s[12:13], s[4:5]
.LBB201_919:
	s_or_b64 exec, exec, s[70:71]
	s_and_b64 s[4:5], s[6:7], exec
	s_andn2_b64 s[2:3], s[2:3], exec
	s_and_b64 s[6:7], s[12:13], exec
	s_and_b64 s[8:9], s[8:9], exec
	;; [unrolled: 1-line block ×3, first 2 shown]
	s_or_b64 s[2:3], s[2:3], s[6:7]
.LBB201_920:
	s_or_b64 exec, exec, s[66:67]
	s_andn2_b64 s[6:7], s[62:63], exec
	s_and_b64 s[12:13], s[68:69], exec
	s_or_b64 s[62:63], s[6:7], s[12:13]
	s_and_b64 s[6:7], s[10:11], exec
	s_andn2_b64 s[10:11], s[60:61], exec
	s_and_b64 s[2:3], s[2:3], exec
	s_and_b64 s[8:9], s[8:9], exec
	;; [unrolled: 1-line block ×3, first 2 shown]
	s_or_b64 s[60:61], s[10:11], s[2:3]
.LBB201_921:
	s_or_b64 exec, exec, s[64:65]
	s_andn2_b64 s[2:3], s[54:55], exec
	s_and_b64 s[10:11], s[62:63], exec
	s_or_b64 s[54:55], s[2:3], s[10:11]
	s_and_b64 s[2:3], s[8:9], exec
	s_and_b64 s[8:9], s[6:7], exec
	;; [unrolled: 1-line block ×3, first 2 shown]
	s_andn2_b64 s[4:5], s[56:57], exec
	s_and_b64 s[6:7], s[60:61], exec
	s_or_b64 s[56:57], s[4:5], s[6:7]
	s_or_b64 exec, exec, s[58:59]
	s_mov_b64 s[4:5], 0
	s_and_saveexec_b64 s[6:7], s[56:57]
	s_cbranch_execz .LBB201_276
.LBB201_922:
	s_mov_b64 s[4:5], exec
	s_andn2_b64 s[62:63], s[62:63], exec
	s_trap 2
	s_or_b64 exec, exec, s[6:7]
	s_and_saveexec_b64 s[6:7], s[62:63]
	s_xor_b64 s[6:7], exec, s[6:7]
	s_cbranch_execnz .LBB201_277
.LBB201_923:
	s_or_b64 exec, exec, s[6:7]
	s_and_saveexec_b64 s[6:7], s[8:9]
	s_cbranch_execz .LBB201_969
.LBB201_924:
	s_sext_i32_i16 s8, s74
	s_cmp_lt_i32 s8, 5
	s_cbranch_scc1 .LBB201_929
; %bb.925:
	s_cmp_lt_i32 s8, 8
	s_cbranch_scc1 .LBB201_930
; %bb.926:
	;; [unrolled: 3-line block ×3, first 2 shown]
	s_cmp_gt_i32 s8, 9
	s_cbranch_scc0 .LBB201_932
; %bb.928:
	global_load_dwordx2 v[4:5], v[2:3], off
	s_mov_b64 s[8:9], 0
	s_waitcnt vmcnt(0)
	v_cvt_f32_f64_e32 v1, v[4:5]
	s_branch .LBB201_933
.LBB201_929:
                                        ; implicit-def: $vgpr1
	s_branch .LBB201_950
.LBB201_930:
                                        ; implicit-def: $vgpr1
	s_branch .LBB201_939
.LBB201_931:
	s_mov_b64 s[8:9], -1
                                        ; implicit-def: $vgpr1
	s_branch .LBB201_936
.LBB201_932:
	s_mov_b64 s[8:9], -1
                                        ; implicit-def: $vgpr1
.LBB201_933:
	s_andn2_b64 vcc, exec, s[8:9]
	s_cbranch_vccnz .LBB201_935
; %bb.934:
	global_load_dword v1, v[2:3], off
.LBB201_935:
	s_mov_b64 s[8:9], 0
.LBB201_936:
	s_andn2_b64 vcc, exec, s[8:9]
	s_cbranch_vccnz .LBB201_938
; %bb.937:
	global_load_dword v1, v[2:3], off
	s_waitcnt vmcnt(0)
	v_cvt_f32_f16_e32 v1, v1
.LBB201_938:
	s_cbranch_execnz .LBB201_949
.LBB201_939:
	s_sext_i32_i16 s8, s74
	s_cmp_lt_i32 s8, 6
	s_cbranch_scc1 .LBB201_942
; %bb.940:
	s_cmp_gt_i32 s8, 6
	s_cbranch_scc0 .LBB201_943
; %bb.941:
	global_load_dwordx2 v[4:5], v[2:3], off
	s_mov_b64 s[8:9], 0
	s_waitcnt vmcnt(0)
	v_cvt_f32_f64_e32 v1, v[4:5]
	s_branch .LBB201_944
.LBB201_942:
	s_mov_b64 s[8:9], -1
                                        ; implicit-def: $vgpr1
	s_branch .LBB201_947
.LBB201_943:
	s_mov_b64 s[8:9], -1
                                        ; implicit-def: $vgpr1
.LBB201_944:
	s_andn2_b64 vcc, exec, s[8:9]
	s_cbranch_vccnz .LBB201_946
; %bb.945:
	global_load_dword v1, v[2:3], off
.LBB201_946:
	s_mov_b64 s[8:9], 0
.LBB201_947:
	s_andn2_b64 vcc, exec, s[8:9]
	s_cbranch_vccnz .LBB201_949
; %bb.948:
	global_load_ushort v1, v[2:3], off
	s_waitcnt vmcnt(0)
	v_cvt_f32_f16_e32 v1, v1
.LBB201_949:
	s_cbranch_execnz .LBB201_968
.LBB201_950:
	s_sext_i32_i16 s8, s74
	s_cmp_lt_i32 s8, 2
	s_cbranch_scc1 .LBB201_954
; %bb.951:
	s_cmp_lt_i32 s8, 3
	s_cbranch_scc1 .LBB201_955
; %bb.952:
	s_cmp_gt_i32 s8, 3
	s_cbranch_scc0 .LBB201_956
; %bb.953:
	global_load_dwordx2 v[4:5], v[2:3], off
	s_mov_b64 s[8:9], 0
	s_waitcnt vmcnt(0)
	v_xor_b32_e32 v6, v4, v5
	v_ffbh_i32_e32 v1, v5
	v_ashrrev_i32_e32 v6, 31, v6
	v_add_u32_e32 v1, -1, v1
	v_add_u32_e32 v6, 32, v6
	v_min_u32_e32 v1, v1, v6
	v_lshlrev_b64 v[4:5], v1, v[4:5]
	v_min_u32_e32 v4, 1, v4
	v_or_b32_e32 v4, v5, v4
	v_cvt_f32_i32_e32 v4, v4
	v_sub_u32_e32 v1, 32, v1
	v_ldexp_f32 v1, v4, v1
	s_branch .LBB201_957
.LBB201_954:
                                        ; implicit-def: $vgpr1
	s_branch .LBB201_963
.LBB201_955:
	s_mov_b64 s[8:9], -1
                                        ; implicit-def: $vgpr1
	s_branch .LBB201_960
.LBB201_956:
	s_mov_b64 s[8:9], -1
                                        ; implicit-def: $vgpr1
.LBB201_957:
	s_andn2_b64 vcc, exec, s[8:9]
	s_cbranch_vccnz .LBB201_959
; %bb.958:
	global_load_dword v1, v[2:3], off
	s_waitcnt vmcnt(0)
	v_cvt_f32_i32_e32 v1, v1
.LBB201_959:
	s_mov_b64 s[8:9], 0
.LBB201_960:
	s_andn2_b64 vcc, exec, s[8:9]
	s_cbranch_vccnz .LBB201_962
; %bb.961:
	global_load_sshort v1, v[2:3], off
	s_waitcnt vmcnt(0)
	v_cvt_f32_i32_e32 v1, v1
.LBB201_962:
	s_cbranch_execnz .LBB201_968
.LBB201_963:
	s_sext_i32_i16 s8, s74
	s_cmp_gt_i32 s8, 0
	s_cbranch_scc0 .LBB201_965
; %bb.964:
	global_load_sbyte v1, v[2:3], off
	s_mov_b64 s[8:9], 0
	s_waitcnt vmcnt(0)
	v_cvt_f32_i32_e32 v1, v1
	s_branch .LBB201_966
.LBB201_965:
	s_mov_b64 s[8:9], -1
                                        ; implicit-def: $vgpr1
.LBB201_966:
	s_andn2_b64 vcc, exec, s[8:9]
	s_cbranch_vccnz .LBB201_968
; %bb.967:
	global_load_ubyte v1, v[2:3], off
	s_waitcnt vmcnt(0)
	v_cvt_f32_ubyte0_e32 v1, v1
.LBB201_968:
	s_or_b64 s[2:3], s[2:3], exec
.LBB201_969:
	s_or_b64 exec, exec, s[6:7]
	s_mov_b64 s[10:11], 0
	s_mov_b64 s[8:9], 0
                                        ; implicit-def: $sgpr16
                                        ; implicit-def: $vgpr2_vgpr3
                                        ; implicit-def: $vgpr4
	s_and_saveexec_b64 s[6:7], s[2:3]
	s_cbranch_execz .LBB201_987
; %bb.970:
	s_waitcnt vmcnt(0)
	v_cvt_f64_f32_e32 v[2:3], v1
	v_rsq_f64_e32 v[4:5], v[2:3]
	s_mov_b32 s2, 0
	s_mov_b32 s3, 0x3fd80000
	v_mov_b32_e32 v1, 0x180
	v_mul_f64 v[2:3], v[4:5], -v[2:3]
	v_fma_f64 v[2:3], v[2:3], v[4:5], 1.0
	v_mul_f64 v[6:7], v[4:5], v[2:3]
	v_fma_f64 v[2:3], v[2:3], s[2:3], 0.5
	v_fma_f64 v[2:3], v[6:7], v[2:3], v[4:5]
	v_cmp_class_f64_e32 vcc, v[4:5], v1
	v_mov_b32_e32 v1, 0
	s_and_b32 s16, s73, 0xff
	v_cndmask_b32_e32 v3, v5, v3, vcc
	v_cndmask_b32_e32 v2, v4, v2, vcc
	v_cvt_f32_f64_e32 v4, v[2:3]
	s_cmp_lt_i32 s16, 11
	s_waitcnt lgkmcnt(0)
	v_lshl_add_u64 v[2:3], s[20:21], 0, v[0:1]
	s_cbranch_scc1 .LBB201_990
; %bb.971:
	s_and_b32 s17, 0xffff, s16
	s_mov_b64 s[10:11], -1
	s_cmp_gt_i32 s17, 25
	s_mov_b64 s[2:3], s[54:55]
	s_cbranch_scc0 .LBB201_1008
; %bb.972:
	s_mov_b64 s[8:9], -1
	s_cmp_gt_i32 s17, 28
	s_mov_b64 s[2:3], s[54:55]
	s_cbranch_scc0 .LBB201_992
; %bb.973:
	s_cmp_gt_i32 s17, 43
	s_mov_b64 s[2:3], s[54:55]
	s_cbranch_scc0 .LBB201_984
; %bb.974:
	;; [unrolled: 4-line block ×3, first 2 shown]
	s_cmp_eq_u32 s17, 46
	s_mov_b64 s[2:3], -1
	s_cbranch_scc0 .LBB201_977
; %bb.976:
	v_bfe_u32 v0, v4, 16, 1
	s_movk_i32 s2, 0x7fff
	v_add3_u32 v0, v4, v0, s2
	v_cmp_o_f32_e32 vcc, v4, v4
	v_mov_b32_e32 v1, 0x7fc0
	s_mov_b64 s[2:3], 0
	v_cndmask_b32_sdwa v0, v1, v0, vcc dst_sel:DWORD dst_unused:UNUSED_PAD src0_sel:DWORD src1_sel:WORD_1
	global_store_dword v[2:3], v0, off
.LBB201_977:
	s_mov_b64 s[8:9], 0
.LBB201_978:
	s_and_b64 vcc, exec, s[8:9]
	s_cbranch_vccz .LBB201_983
; %bb.979:
	s_cmp_eq_u32 s17, 44
	s_mov_b64 s[2:3], -1
	s_cbranch_scc0 .LBB201_983
; %bb.980:
	v_bfe_u32 v0, v4, 23, 8
	s_movk_i32 s2, 0xff
	v_cmp_ne_u32_e32 vcc, s2, v0
	v_mov_b32_e32 v1, 0xff
	s_and_saveexec_b64 s[8:9], vcc
; %bb.981:
	s_mov_b32 s2, 0x3fffff
	v_and_b32_e32 v5, 0x400000, v4
	v_and_or_b32 v0, v4, s2, v0
	v_cmp_ne_u32_e32 vcc, 0, v5
	v_cmp_ne_u32_e64 s[2:3], 0, v0
	s_and_b64 s[2:3], vcc, s[2:3]
	v_lshrrev_b32_e32 v1, 23, v4
	v_cndmask_b32_e64 v0, 0, 1, s[2:3]
	v_add_u32_e32 v1, v1, v0
; %bb.982:
	s_or_b64 exec, exec, s[8:9]
	s_mov_b64 s[2:3], 0
	global_store_byte v[2:3], v1, off
.LBB201_983:
	s_mov_b64 s[8:9], 0
.LBB201_984:
	s_and_b64 vcc, exec, s[8:9]
	s_cbranch_vccz .LBB201_991
; %bb.985:
	s_cmp_eq_u32 s17, 29
	s_mov_b64 s[2:3], -1
	s_cbranch_scc0 .LBB201_991
; %bb.986:
	v_trunc_f32_e32 v0, v4
	v_mul_f32_e32 v1, 0x2f800000, v0
	v_floor_f32_e32 v5, v1
	v_fmamk_f32 v0, v5, 0xcf800000, v0
	v_cvt_u32_f32_e32 v1, v5
	v_cvt_u32_f32_e32 v0, v0
	s_mov_b64 s[2:3], 0
	s_mov_b64 s[8:9], 0
	global_store_dwordx2 v[2:3], v[0:1], off
	s_branch .LBB201_992
.LBB201_987:
	s_or_b64 exec, exec, s[6:7]
	s_and_saveexec_b64 s[2:3], s[54:55]
	s_cbranch_execnz .LBB201_1050
.LBB201_988:
	s_or_b64 exec, exec, s[2:3]
	s_and_saveexec_b64 s[2:3], s[10:11]
	s_xor_b64 s[2:3], exec, s[2:3]
	s_cbranch_execz .LBB201_1051
.LBB201_989:
	v_cmp_neq_f32_e32 vcc, 0, v4
	s_nop 1
	v_cndmask_b32_e64 v0, 0, 1, vcc
	global_store_byte v[2:3], v0, off
	s_or_b64 exec, exec, s[2:3]
	s_and_saveexec_b64 s[2:3], s[8:9]
	s_xor_b64 s[2:3], exec, s[2:3]
	s_cbranch_execz .LBB201_1089
	s_branch .LBB201_1052
.LBB201_990:
	s_mov_b64 s[8:9], -1
	s_mov_b64 s[2:3], s[54:55]
	s_branch .LBB201_1049
.LBB201_991:
	s_mov_b64 s[8:9], 0
.LBB201_992:
	s_and_b64 vcc, exec, s[8:9]
	s_cbranch_vccz .LBB201_1007
; %bb.993:
	s_cmp_lt_i32 s17, 27
	s_mov_b64 s[8:9], -1
	s_cbranch_scc1 .LBB201_999
; %bb.994:
	s_cmp_gt_i32 s17, 27
	s_cbranch_scc0 .LBB201_996
; %bb.995:
	v_cvt_u32_f32_e32 v0, v4
	s_mov_b64 s[8:9], 0
	global_store_dword v[2:3], v0, off
.LBB201_996:
	s_andn2_b64 vcc, exec, s[8:9]
	s_cbranch_vccnz .LBB201_998
; %bb.997:
	v_cvt_u32_f32_e32 v0, v4
	global_store_short v[2:3], v0, off
.LBB201_998:
	s_mov_b64 s[8:9], 0
.LBB201_999:
	s_andn2_b64 vcc, exec, s[8:9]
	s_cbranch_vccnz .LBB201_1007
; %bb.1000:
	v_and_b32_e32 v0, 0x7fffffff, v4
	s_mov_b32 s8, 0x43800000
	v_cmp_gt_u32_e32 vcc, s8, v0
	v_mov_b32_e32 v1, 0x80
	s_and_saveexec_b64 s[8:9], vcc
	s_cbranch_execz .LBB201_1006
; %bb.1001:
	s_mov_b32 s10, 0x3bffffff
	v_cmp_lt_u32_e32 vcc, s10, v0
	s_mov_b64 s[10:11], 0
                                        ; implicit-def: $vgpr0
	s_and_saveexec_b64 s[12:13], vcc
	s_xor_b64 s[12:13], exec, s[12:13]
	s_cbranch_execz .LBB201_1160
; %bb.1002:
	v_bfe_u32 v0, v4, 20, 1
	s_mov_b32 s14, 0x487ffff
	v_add3_u32 v0, v4, v0, s14
	s_mov_b64 s[10:11], exec
	v_lshrrev_b32_e32 v0, 20, v0
	s_andn2_saveexec_b64 s[12:13], s[12:13]
	s_cbranch_execnz .LBB201_1161
.LBB201_1003:
	s_or_b64 exec, exec, s[12:13]
	v_mov_b32_e32 v1, 0
	s_and_saveexec_b64 s[12:13], s[10:11]
.LBB201_1004:
	v_lshrrev_b32_e32 v1, 24, v4
	s_movk_i32 s10, 0x80
	v_and_or_b32 v1, v1, s10, v0
.LBB201_1005:
	s_or_b64 exec, exec, s[12:13]
.LBB201_1006:
	s_or_b64 exec, exec, s[8:9]
	global_store_byte v[2:3], v1, off
.LBB201_1007:
	s_mov_b64 s[10:11], 0
.LBB201_1008:
	s_mov_b64 s[8:9], 0
	s_and_b64 vcc, exec, s[10:11]
	s_cbranch_vccz .LBB201_1048
; %bb.1009:
	s_cmp_gt_i32 s17, 22
	s_mov_b64 s[10:11], -1
	s_cbranch_scc0 .LBB201_1041
; %bb.1010:
	s_cmp_lt_i32 s17, 24
	s_cbranch_scc1 .LBB201_1030
; %bb.1011:
	s_cmp_gt_i32 s17, 24
	s_cbranch_scc0 .LBB201_1019
; %bb.1012:
	v_and_b32_e32 v0, 0x7fffffff, v4
	s_mov_b32 s10, 0x47800000
	v_cmp_gt_u32_e32 vcc, s10, v0
	v_mov_b32_e32 v1, 0x80
	s_and_saveexec_b64 s[10:11], vcc
	s_cbranch_execz .LBB201_1018
; %bb.1013:
	s_mov_b32 s12, 0x37ffffff
	v_cmp_lt_u32_e32 vcc, s12, v0
	s_mov_b64 s[12:13], 0
                                        ; implicit-def: $vgpr0
	s_and_saveexec_b64 s[14:15], vcc
	s_xor_b64 s[14:15], exec, s[14:15]
	s_cbranch_execz .LBB201_1285
; %bb.1014:
	v_bfe_u32 v0, v4, 21, 1
	s_mov_b32 s18, 0x88fffff
	v_add3_u32 v0, v4, v0, s18
	s_mov_b64 s[12:13], exec
	v_lshrrev_b32_e32 v0, 21, v0
	s_andn2_saveexec_b64 s[14:15], s[14:15]
	s_cbranch_execnz .LBB201_1286
.LBB201_1015:
	s_or_b64 exec, exec, s[14:15]
	v_mov_b32_e32 v1, 0
	s_and_saveexec_b64 s[14:15], s[12:13]
.LBB201_1016:
	v_lshrrev_b32_e32 v1, 24, v4
	s_movk_i32 s12, 0x80
	v_and_or_b32 v1, v1, s12, v0
.LBB201_1017:
	s_or_b64 exec, exec, s[14:15]
.LBB201_1018:
	s_or_b64 exec, exec, s[10:11]
	s_mov_b64 s[10:11], 0
	global_store_byte v[2:3], v1, off
.LBB201_1019:
	s_and_b64 vcc, exec, s[10:11]
	s_cbranch_vccz .LBB201_1029
; %bb.1020:
	v_and_b32_e32 v1, 0x7fffffff, v4
	s_mov_b32 s10, 0x43f00000
	v_cmp_gt_u32_e32 vcc, s10, v1
                                        ; implicit-def: $vgpr0
	s_and_saveexec_b64 s[10:11], vcc
	s_xor_b64 s[10:11], exec, s[10:11]
	s_cbranch_execz .LBB201_1026
; %bb.1021:
	s_mov_b32 s12, 0x3c7fffff
	v_cmp_lt_u32_e32 vcc, s12, v1
                                        ; implicit-def: $vgpr0
	s_and_saveexec_b64 s[12:13], vcc
	s_xor_b64 s[12:13], exec, s[12:13]
; %bb.1022:
	v_bfe_u32 v0, v4, 20, 1
	s_mov_b32 s14, 0x407ffff
	v_add3_u32 v0, v4, v0, s14
	v_lshrrev_b32_e32 v1, 20, v0
	v_and_b32_e32 v0, 0xff00000, v0
	s_mov_b32 s14, 0x7f00000
	v_mov_b32_e32 v5, 0x7e
	v_cmp_ne_u32_e32 vcc, s14, v0
	s_nop 1
	v_cndmask_b32_e32 v0, v5, v1, vcc
; %bb.1023:
	s_andn2_saveexec_b64 s[12:13], s[12:13]
; %bb.1024:
	s_mov_b32 s14, 0x46800000
	v_add_f32_e64 v0, |v4|, s14
; %bb.1025:
	s_or_b64 exec, exec, s[12:13]
                                        ; implicit-def: $vgpr1
.LBB201_1026:
	s_andn2_saveexec_b64 s[10:11], s[10:11]
; %bb.1027:
	s_mov_b32 s12, 0x7f800000
	v_mov_b32_e32 v0, 0x7e
	v_mov_b32_e32 v5, 0x7f
	v_cmp_lt_u32_e32 vcc, s12, v1
	s_nop 1
	v_cndmask_b32_e32 v0, v0, v5, vcc
; %bb.1028:
	s_or_b64 exec, exec, s[10:11]
	v_lshrrev_b32_e32 v1, 24, v4
	s_movk_i32 s10, 0x80
	v_and_or_b32 v0, v1, s10, v0
	global_store_byte v[2:3], v0, off
.LBB201_1029:
	s_mov_b64 s[10:11], 0
.LBB201_1030:
	s_andn2_b64 vcc, exec, s[10:11]
	s_cbranch_vccnz .LBB201_1040
; %bb.1031:
	v_and_b32_e32 v1, 0x7fffffff, v4
	s_mov_b32 s10, 0x47800000
	v_cmp_gt_u32_e32 vcc, s10, v1
                                        ; implicit-def: $vgpr0
	s_and_saveexec_b64 s[10:11], vcc
	s_xor_b64 s[10:11], exec, s[10:11]
	s_cbranch_execz .LBB201_1037
; %bb.1032:
	s_mov_b32 s12, 0x387fffff
	v_cmp_lt_u32_e32 vcc, s12, v1
                                        ; implicit-def: $vgpr0
	s_and_saveexec_b64 s[12:13], vcc
	s_xor_b64 s[12:13], exec, s[12:13]
; %bb.1033:
	v_bfe_u32 v0, v4, 21, 1
	s_mov_b32 s14, 0x80fffff
	v_add3_u32 v0, v4, v0, s14
	v_lshrrev_b32_e32 v0, 21, v0
; %bb.1034:
	s_andn2_saveexec_b64 s[12:13], s[12:13]
; %bb.1035:
	s_mov_b32 s14, 0x43000000
	v_add_f32_e64 v0, |v4|, s14
; %bb.1036:
	s_or_b64 exec, exec, s[12:13]
                                        ; implicit-def: $vgpr1
.LBB201_1037:
	s_andn2_saveexec_b64 s[10:11], s[10:11]
; %bb.1038:
	s_mov_b32 s12, 0x7f800000
	v_mov_b32_e32 v0, 0x7c
	v_mov_b32_e32 v5, 0x7f
	v_cmp_lt_u32_e32 vcc, s12, v1
	s_nop 1
	v_cndmask_b32_e32 v0, v0, v5, vcc
; %bb.1039:
	s_or_b64 exec, exec, s[10:11]
	v_lshrrev_b32_e32 v1, 24, v4
	s_movk_i32 s10, 0x80
	v_and_or_b32 v0, v1, s10, v0
	global_store_byte v[2:3], v0, off
.LBB201_1040:
	s_mov_b64 s[10:11], 0
.LBB201_1041:
	s_andn2_b64 vcc, exec, s[10:11]
	s_mov_b64 s[10:11], 0
	s_cbranch_vccnz .LBB201_1049
; %bb.1042:
	s_cmp_gt_i32 s17, 14
	s_mov_b64 s[12:13], -1
	s_cbranch_scc0 .LBB201_1046
; %bb.1043:
	s_cmp_eq_u32 s17, 15
	s_mov_b64 s[2:3], -1
	s_cbranch_scc0 .LBB201_1045
; %bb.1044:
	v_bfe_u32 v0, v4, 16, 1
	s_movk_i32 s2, 0x7fff
	v_add3_u32 v0, v4, v0, s2
	v_cmp_o_f32_e32 vcc, v4, v4
	v_mov_b32_e32 v1, 0x7fc0
	s_mov_b64 s[2:3], 0
	v_cndmask_b32_sdwa v0, v1, v0, vcc dst_sel:DWORD dst_unused:UNUSED_PAD src0_sel:DWORD src1_sel:WORD_1
	global_store_short v[2:3], v0, off
.LBB201_1045:
	s_mov_b64 s[12:13], 0
.LBB201_1046:
	s_and_b64 vcc, exec, s[12:13]
	s_cbranch_vccz .LBB201_1049
; %bb.1047:
	s_cmp_lg_u32 s17, 11
	s_cselect_b64 s[12:13], -1, 0
	s_andn2_b64 s[2:3], s[2:3], exec
	s_and_b64 s[12:13], s[12:13], exec
	s_mov_b64 s[10:11], -1
	s_or_b64 s[2:3], s[2:3], s[12:13]
	s_branch .LBB201_1049
.LBB201_1048:
	s_mov_b64 s[10:11], 0
.LBB201_1049:
	s_andn2_b64 s[12:13], s[54:55], exec
	s_and_b64 s[2:3], s[2:3], exec
	s_and_b64 s[8:9], s[8:9], exec
	;; [unrolled: 1-line block ×3, first 2 shown]
	s_or_b64 s[54:55], s[12:13], s[2:3]
	s_or_b64 exec, exec, s[6:7]
	s_and_saveexec_b64 s[2:3], s[54:55]
	s_cbranch_execz .LBB201_988
.LBB201_1050:
	s_or_b64 s[4:5], s[4:5], exec
	s_andn2_b64 s[10:11], s[10:11], exec
	s_trap 2
	s_or_b64 exec, exec, s[2:3]
	s_and_saveexec_b64 s[2:3], s[10:11]
	s_xor_b64 s[2:3], exec, s[2:3]
	s_cbranch_execnz .LBB201_989
.LBB201_1051:
	s_or_b64 exec, exec, s[2:3]
	s_and_saveexec_b64 s[2:3], s[8:9]
	s_xor_b64 s[2:3], exec, s[2:3]
	s_cbranch_execz .LBB201_1089
.LBB201_1052:
	s_sext_i32_i16 s8, s16
	s_cmp_lt_i32 s8, 5
	s_mov_b64 s[6:7], -1
	s_cbranch_scc1 .LBB201_1073
; %bb.1053:
	s_cmp_lt_i32 s8, 8
	s_cbranch_scc1 .LBB201_1063
; %bb.1054:
	s_cmp_lt_i32 s8, 9
	s_cbranch_scc1 .LBB201_1060
; %bb.1055:
	s_cmp_gt_i32 s8, 9
	s_cbranch_scc0 .LBB201_1057
; %bb.1056:
	v_mov_b32_e32 v8, 0
	v_cvt_f64_f32_e32 v[6:7], v4
	v_mov_b32_e32 v9, v8
	s_mov_b64 s[6:7], 0
	global_store_dwordx4 v[2:3], v[6:9], off
.LBB201_1057:
	s_andn2_b64 vcc, exec, s[6:7]
	s_cbranch_vccnz .LBB201_1059
; %bb.1058:
	v_mov_b32_e32 v5, 0
	global_store_dwordx2 v[2:3], v[4:5], off
.LBB201_1059:
	s_mov_b64 s[6:7], 0
.LBB201_1060:
	s_andn2_b64 vcc, exec, s[6:7]
	s_cbranch_vccnz .LBB201_1062
; %bb.1061:
	v_cvt_f16_f32_e32 v0, v4
	global_store_dword v[2:3], v0, off
.LBB201_1062:
	s_mov_b64 s[6:7], 0
.LBB201_1063:
	s_andn2_b64 vcc, exec, s[6:7]
	s_cbranch_vccnz .LBB201_1072
; %bb.1064:
	s_sext_i32_i16 s8, s16
	s_cmp_lt_i32 s8, 6
	s_mov_b64 s[6:7], -1
	s_cbranch_scc1 .LBB201_1070
; %bb.1065:
	s_cmp_gt_i32 s8, 6
	s_cbranch_scc0 .LBB201_1067
; %bb.1066:
	s_waitcnt vmcnt(0)
	v_cvt_f64_f32_e32 v[0:1], v4
	s_mov_b64 s[6:7], 0
	global_store_dwordx2 v[2:3], v[0:1], off
.LBB201_1067:
	s_andn2_b64 vcc, exec, s[6:7]
	s_cbranch_vccnz .LBB201_1069
; %bb.1068:
	global_store_dword v[2:3], v4, off
.LBB201_1069:
	s_mov_b64 s[6:7], 0
.LBB201_1070:
	s_andn2_b64 vcc, exec, s[6:7]
	s_cbranch_vccnz .LBB201_1072
; %bb.1071:
	v_cvt_f16_f32_e32 v0, v4
	global_store_short v[2:3], v0, off
.LBB201_1072:
	s_mov_b64 s[6:7], 0
.LBB201_1073:
	s_andn2_b64 vcc, exec, s[6:7]
	s_cbranch_vccnz .LBB201_1089
; %bb.1074:
	s_sext_i32_i16 s8, s16
	s_cmp_lt_i32 s8, 2
	s_mov_b64 s[6:7], -1
	s_cbranch_scc1 .LBB201_1084
; %bb.1075:
	s_cmp_lt_i32 s8, 3
	s_cbranch_scc1 .LBB201_1081
; %bb.1076:
	s_cmp_gt_i32 s8, 3
	s_cbranch_scc0 .LBB201_1078
; %bb.1077:
	v_trunc_f32_e32 v0, v4
	s_mov_b32 s6, 0x2f800000
	s_waitcnt vmcnt(0)
	v_mul_f32_e64 v1, |v0|, s6
	v_floor_f32_e32 v1, v1
	s_mov_b32 s6, 0xcf800000
	v_cvt_u32_f32_e32 v5, v1
	v_fma_f32 v1, v1, s6, |v0|
	v_cvt_u32_f32_e32 v1, v1
	v_ashrrev_i32_e32 v6, 31, v0
	v_xor_b32_e32 v5, v5, v6
	s_mov_b64 s[6:7], 0
	v_xor_b32_e32 v0, v1, v6
	v_sub_co_u32_e32 v0, vcc, v0, v6
	s_nop 1
	v_subb_co_u32_e32 v1, vcc, v5, v6, vcc
	global_store_dwordx2 v[2:3], v[0:1], off
.LBB201_1078:
	s_andn2_b64 vcc, exec, s[6:7]
	s_cbranch_vccnz .LBB201_1080
; %bb.1079:
	v_cvt_i32_f32_e32 v0, v4
	global_store_dword v[2:3], v0, off
.LBB201_1080:
	s_mov_b64 s[6:7], 0
.LBB201_1081:
	s_andn2_b64 vcc, exec, s[6:7]
	s_cbranch_vccnz .LBB201_1083
; %bb.1082:
	v_cvt_i32_f32_e32 v0, v4
	global_store_short v[2:3], v0, off
.LBB201_1083:
	s_mov_b64 s[6:7], 0
.LBB201_1084:
	s_andn2_b64 vcc, exec, s[6:7]
	s_cbranch_vccnz .LBB201_1089
; %bb.1085:
	s_sext_i32_i16 s6, s16
	s_cmp_gt_i32 s6, 0
	s_mov_b64 s[6:7], -1
	s_cbranch_scc0 .LBB201_1087
; %bb.1086:
	v_cvt_i32_f32_e32 v0, v4
	s_mov_b64 s[6:7], 0
	global_store_byte v[2:3], v0, off
.LBB201_1087:
	s_andn2_b64 vcc, exec, s[6:7]
	s_cbranch_vccnz .LBB201_1089
; %bb.1088:
	v_trunc_f32_e32 v0, v4
	s_mov_b32 s6, 0x2f800000
	s_waitcnt vmcnt(0)
	v_mul_f32_e64 v1, |v0|, s6
	v_floor_f32_e32 v1, v1
	s_mov_b32 s6, 0xcf800000
	v_fma_f32 v1, v1, s6, |v0|
	v_cvt_u32_f32_e32 v1, v1
	v_ashrrev_i32_e32 v0, 31, v0
	v_xor_b32_e32 v1, v1, v0
	v_sub_u32_e32 v0, v1, v0
	global_store_byte v[2:3], v0, off
.LBB201_1089:
	s_or_b64 exec, exec, s[2:3]
	s_waitcnt lgkmcnt(0)
	s_and_b64 s[24:25], s[4:5], exec
                                        ; implicit-def: $vgpr16
                                        ; implicit-def: $vgpr8
.LBB201_1090:
	s_or_saveexec_b64 s[26:27], s[44:45]
	s_mov_b64 s[6:7], 0
                                        ; implicit-def: $vgpr0_vgpr1
                                        ; implicit-def: $sgpr14
                                        ; implicit-def: $vgpr2
	s_xor_b64 exec, exec, s[26:27]
	s_cbranch_execz .LBB201_2094
; %bb.1091:
	v_cndmask_b32_e64 v0, 0, 1, s[42:43]
	v_cmp_ne_u32_e64 s[2:3], 1, v0
	s_andn2_b64 vcc, exec, s[42:43]
	s_cbranch_vccnz .LBB201_1097
; %bb.1092:
	s_cmp_lg_u32 s33, 0
	s_mov_b32 s36, 0
	s_cbranch_scc0 .LBB201_1098
; %bb.1093:
	s_min_u32 s37, s72, 15
	s_add_i32 s37, s37, 1
	s_cmp_eq_u32 s72, 2
	s_cbranch_scc1 .LBB201_1099
; %bb.1094:
	s_and_b32 s36, s37, 28
	s_add_u32 s28, s34, 0xc4
	s_addc_u32 s29, s35, 0
	s_mov_b32 s38, 0
	v_mov_b32_e32 v6, 0
	v_mov_b32_e32 v14, 0
	s_mov_b64 s[30:31], s[34:35]
	v_mov_b32_e32 v0, v8
.LBB201_1095:                           ; =>This Inner Loop Header: Depth=1
	s_load_dwordx8 s[12:19], s[30:31], 0x4
	s_load_dwordx4 s[20:23], s[30:31], 0x24
	s_load_dwordx8 s[4:11], s[28:29], 0x0
	s_add_u32 s30, s30, 48
	s_addc_u32 s31, s31, 0
	s_waitcnt vmcnt(0) lgkmcnt(0)
	v_mul_hi_u32 v1, s13, v0
	v_add_u32_e32 v1, v0, v1
	v_lshrrev_b32_e32 v1, s14, v1
	v_mul_lo_u32 v2, v1, s12
	v_mul_hi_u32 v3, s16, v1
	v_sub_u32_e32 v0, v0, v2
	v_add_u32_e32 v2, v1, v3
	v_lshrrev_b32_e32 v2, s17, v2
	v_mul_lo_u32 v4, v2, s15
	v_mul_hi_u32 v5, s19, v2
	v_sub_u32_e32 v1, v1, v4
	v_add_u32_e32 v4, v2, v5
	v_mul_lo_u32 v3, v0, s5
	v_mul_lo_u32 v0, v0, s4
	;; [unrolled: 1-line block ×4, first 2 shown]
	v_lshrrev_b32_e32 v4, s20, v4
	v_add3_u32 v1, v0, v6, v1
	v_add3_u32 v3, v3, v14, v5
	v_mul_lo_u32 v0, v4, s18
	v_mul_hi_u32 v5, s22, v4
	v_sub_u32_e32 v0, v2, v0
	v_add_u32_e32 v2, v4, v5
	v_mul_lo_u32 v5, v0, s8
	v_mul_lo_u32 v6, v0, s9
	v_lshrrev_b32_e32 v0, s23, v2
	s_add_i32 s38, s38, 4
	v_mul_lo_u32 v2, v0, s21
	s_add_u32 s28, s28, 32
	v_sub_u32_e32 v2, v4, v2
	s_addc_u32 s29, s29, 0
	v_mul_lo_u32 v4, v2, s10
	v_mul_lo_u32 v2, v2, s11
	s_cmp_lg_u32 s36, s38
	v_add3_u32 v14, v6, v3, v2
	v_add3_u32 v6, v5, v1, v4
	s_cbranch_scc1 .LBB201_1095
; %bb.1096:
	v_mov_b32_e32 v1, v14
	s_and_b32 s8, s37, 3
	s_cmp_eq_u32 s8, 0
	s_cbranch_scc0 .LBB201_1100
	s_branch .LBB201_1102
.LBB201_1097:
                                        ; implicit-def: $vgpr14
                                        ; implicit-def: $vgpr6
	s_branch .LBB201_1103
.LBB201_1098:
	v_mov_b32_e32 v14, 0
	v_mov_b32_e32 v6, 0
	s_branch .LBB201_1102
.LBB201_1099:
	v_mov_b32_e32 v6, 0
                                        ; implicit-def: $vgpr14
	s_waitcnt vmcnt(0)
	v_mov_b32_e32 v1, v6
	v_mov_b32_e32 v0, v8
	s_and_b32 s8, s37, 3
	s_cmp_eq_u32 s8, 0
	s_cbranch_scc1 .LBB201_1102
.LBB201_1100:
	s_lshl_b32 s4, s36, 3
	s_add_u32 s4, s34, s4
	s_addc_u32 s5, s35, 0
	s_add_u32 s4, s4, 0xc4
	s_addc_u32 s5, s5, 0
	s_mul_i32 s6, s36, 12
	s_add_u32 s6, s34, s6
	s_addc_u32 s7, s35, 0
.LBB201_1101:                           ; =>This Inner Loop Header: Depth=1
	s_load_dwordx2 s[10:11], s[6:7], 0x4
	s_load_dword s9, s[6:7], 0xc
	s_load_dwordx2 s[12:13], s[4:5], 0x0
	v_mov_b32_e32 v2, v1
	s_add_u32 s6, s6, 12
	s_waitcnt lgkmcnt(0)
	v_mul_hi_u32 v1, s11, v0
	v_add_u32_e32 v1, v0, v1
	v_lshrrev_b32_e32 v1, s9, v1
	s_addc_u32 s7, s7, 0
	v_mul_lo_u32 v3, v1, s10
	s_add_u32 s4, s4, 8
	v_sub_u32_e32 v3, v0, v3
	s_addc_u32 s5, s5, 0
	s_add_i32 s8, s8, -1
	v_mad_u64_u32 v[14:15], s[10:11], v3, s13, v[2:3]
	s_cmp_lg_u32 s8, 0
	v_mov_b32_e32 v0, v1
	v_mad_u64_u32 v[6:7], s[10:11], v3, s12, v[6:7]
	v_mov_b32_e32 v1, v14
	s_cbranch_scc1 .LBB201_1101
.LBB201_1102:
	s_cbranch_execnz .LBB201_1105
.LBB201_1103:
	s_load_dwordx4 s[4:7], s[34:35], 0x4
	s_load_dwordx2 s[8:9], s[34:35], 0xc4
	s_cmp_lt_u32 s33, 2
	s_waitcnt lgkmcnt(0)
	v_mul_hi_u32 v0, s5, v8
	v_add_u32_e32 v0, v8, v0
	v_lshrrev_b32_e32 v0, s6, v0
	s_waitcnt vmcnt(0)
	v_mul_lo_u32 v1, v0, s4
	v_sub_u32_e32 v1, v8, v1
	v_mul_lo_u32 v14, v1, s9
	v_mul_lo_u32 v6, v1, s8
	s_cbranch_scc1 .LBB201_1105
; %bb.1104:
	s_load_dwordx4 s[4:7], s[34:35], 0x10
	s_load_dwordx2 s[8:9], s[34:35], 0xcc
	s_waitcnt lgkmcnt(0)
	v_mul_hi_u32 v1, s5, v0
	v_add_u32_e32 v1, v0, v1
	v_lshrrev_b32_e32 v1, s6, v1
	v_mul_lo_u32 v1, v1, s4
	v_sub_u32_e32 v0, v0, v1
	v_mad_u64_u32 v[6:7], s[4:5], v0, s8, v[6:7]
	v_mad_u64_u32 v[14:15], s[4:5], v0, s9, v[14:15]
.LBB201_1105:
	s_and_b64 vcc, exec, s[2:3]
	v_add_u32_e32 v0, 0x80, v8
	s_cbranch_vccnz .LBB201_1111
; %bb.1106:
	s_cmp_lg_u32 s33, 0
	s_mov_b32 s36, 0
	s_cbranch_scc0 .LBB201_1112
; %bb.1107:
	s_min_u32 s37, s72, 15
	s_add_i32 s37, s37, 1
	s_cmp_eq_u32 s72, 2
	s_cbranch_scc1 .LBB201_1113
; %bb.1108:
	s_and_b32 s36, s37, 28
	s_add_u32 s28, s34, 0xc4
	s_addc_u32 s29, s35, 0
	s_mov_b32 s38, 0
	v_mov_b32_e32 v4, 0
	v_mov_b32_e32 v12, 0
	s_mov_b64 s[30:31], s[34:35]
	v_mov_b32_e32 v2, v0
.LBB201_1109:                           ; =>This Inner Loop Header: Depth=1
	s_load_dwordx8 s[12:19], s[30:31], 0x4
	s_load_dwordx4 s[20:23], s[30:31], 0x24
	s_load_dwordx8 s[4:11], s[28:29], 0x0
	s_add_u32 s30, s30, 48
	s_addc_u32 s31, s31, 0
	s_waitcnt vmcnt(0) lgkmcnt(0)
	v_mul_hi_u32 v1, s13, v2
	v_add_u32_e32 v1, v2, v1
	v_lshrrev_b32_e32 v1, s14, v1
	v_mul_lo_u32 v3, v1, s12
	v_mul_hi_u32 v5, s16, v1
	v_sub_u32_e32 v2, v2, v3
	v_add_u32_e32 v3, v1, v5
	v_lshrrev_b32_e32 v3, s17, v3
	v_mul_lo_u32 v7, v3, s15
	v_mul_hi_u32 v9, s19, v3
	v_sub_u32_e32 v1, v1, v7
	v_add_u32_e32 v7, v3, v9
	v_mul_lo_u32 v5, v2, s5
	v_mul_lo_u32 v2, v2, s4
	;; [unrolled: 1-line block ×4, first 2 shown]
	v_lshrrev_b32_e32 v7, s20, v7
	v_add3_u32 v1, v2, v4, v1
	v_add3_u32 v4, v5, v12, v9
	v_mul_lo_u32 v2, v7, s18
	v_mul_hi_u32 v5, s22, v7
	v_sub_u32_e32 v2, v3, v2
	v_add_u32_e32 v3, v7, v5
	v_mul_lo_u32 v5, v2, s8
	v_mul_lo_u32 v9, v2, s9
	v_lshrrev_b32_e32 v2, s23, v3
	s_add_i32 s38, s38, 4
	v_mul_lo_u32 v3, v2, s21
	s_add_u32 s28, s28, 32
	v_sub_u32_e32 v3, v7, v3
	s_addc_u32 s29, s29, 0
	v_mul_lo_u32 v7, v3, s10
	v_mul_lo_u32 v3, v3, s11
	s_cmp_lg_u32 s36, s38
	v_add3_u32 v12, v9, v4, v3
	v_add3_u32 v4, v5, v1, v7
	s_cbranch_scc1 .LBB201_1109
; %bb.1110:
	v_mov_b32_e32 v1, v12
	s_and_b32 s8, s37, 3
	s_cmp_eq_u32 s8, 0
	s_cbranch_scc0 .LBB201_1114
	s_branch .LBB201_1116
.LBB201_1111:
                                        ; implicit-def: $vgpr12
                                        ; implicit-def: $vgpr4
	s_branch .LBB201_1117
.LBB201_1112:
	v_mov_b32_e32 v12, 0
	v_mov_b32_e32 v4, 0
	s_branch .LBB201_1116
.LBB201_1113:
	v_mov_b32_e32 v4, 0
                                        ; implicit-def: $vgpr12
	s_waitcnt vmcnt(0)
	v_mov_b32_e32 v1, v4
	v_mov_b32_e32 v2, v0
	s_and_b32 s8, s37, 3
	s_cmp_eq_u32 s8, 0
	s_cbranch_scc1 .LBB201_1116
.LBB201_1114:
	s_lshl_b32 s4, s36, 3
	s_add_u32 s4, s34, s4
	s_addc_u32 s5, s35, 0
	s_add_u32 s4, s4, 0xc4
	s_addc_u32 s5, s5, 0
	s_mul_i32 s6, s36, 12
	s_add_u32 s6, s34, s6
	s_addc_u32 s7, s35, 0
.LBB201_1115:                           ; =>This Inner Loop Header: Depth=1
	s_load_dwordx2 s[10:11], s[6:7], 0x4
	s_load_dword s9, s[6:7], 0xc
	s_load_dwordx2 s[12:13], s[4:5], 0x0
	v_mov_b32_e32 v10, v1
	s_add_u32 s6, s6, 12
	s_waitcnt lgkmcnt(0)
	v_mul_hi_u32 v1, s11, v2
	v_add_u32_e32 v1, v2, v1
	v_lshrrev_b32_e32 v1, s9, v1
	s_addc_u32 s7, s7, 0
	v_mul_lo_u32 v3, v1, s10
	s_add_u32 s4, s4, 8
	v_sub_u32_e32 v3, v2, v3
	s_addc_u32 s5, s5, 0
	s_add_i32 s8, s8, -1
	v_mad_u64_u32 v[12:13], s[10:11], v3, s13, v[10:11]
	s_cmp_lg_u32 s8, 0
	v_mov_b32_e32 v2, v1
	v_mad_u64_u32 v[4:5], s[10:11], v3, s12, v[4:5]
	v_mov_b32_e32 v1, v12
	s_cbranch_scc1 .LBB201_1115
.LBB201_1116:
	s_cbranch_execnz .LBB201_1119
.LBB201_1117:
	s_load_dwordx4 s[4:7], s[34:35], 0x4
	s_load_dwordx2 s[8:9], s[34:35], 0xc4
	s_cmp_lt_u32 s33, 2
	s_waitcnt vmcnt(0) lgkmcnt(0)
	v_mul_hi_u32 v1, s5, v0
	v_add_u32_e32 v1, v0, v1
	v_lshrrev_b32_e32 v1, s6, v1
	v_mul_lo_u32 v2, v1, s4
	v_sub_u32_e32 v0, v0, v2
	v_mul_lo_u32 v12, v0, s9
	v_mul_lo_u32 v4, v0, s8
	s_cbranch_scc1 .LBB201_1119
; %bb.1118:
	s_load_dwordx4 s[4:7], s[34:35], 0x10
	s_load_dwordx2 s[8:9], s[34:35], 0xcc
	s_waitcnt lgkmcnt(0)
	v_mul_hi_u32 v0, s5, v1
	v_add_u32_e32 v0, v1, v0
	v_lshrrev_b32_e32 v0, s6, v0
	v_mul_lo_u32 v0, v0, s4
	v_sub_u32_e32 v0, v1, v0
	v_mad_u64_u32 v[4:5], s[4:5], v0, s8, v[4:5]
	v_mad_u64_u32 v[12:13], s[4:5], v0, s9, v[12:13]
.LBB201_1119:
	s_and_b64 vcc, exec, s[2:3]
	v_add_u32_e32 v0, 0x100, v8
	s_cbranch_vccnz .LBB201_1125
; %bb.1120:
	s_cmp_lg_u32 s33, 0
	s_mov_b32 s36, 0
	s_cbranch_scc0 .LBB201_1126
; %bb.1121:
	s_min_u32 s37, s72, 15
	s_add_i32 s37, s37, 1
	s_cmp_eq_u32 s72, 2
	s_cbranch_scc1 .LBB201_1127
; %bb.1122:
	s_and_b32 s36, s37, 28
	s_add_u32 s28, s34, 0xc4
	s_addc_u32 s29, s35, 0
	s_mov_b32 s38, 0
	v_mov_b32_e32 v2, 0
	v_mov_b32_e32 v10, 0
	s_mov_b64 s[30:31], s[34:35]
	v_mov_b32_e32 v5, v0
.LBB201_1123:                           ; =>This Inner Loop Header: Depth=1
	s_load_dwordx8 s[12:19], s[30:31], 0x4
	s_load_dwordx4 s[20:23], s[30:31], 0x24
	s_load_dwordx8 s[4:11], s[28:29], 0x0
	s_add_u32 s30, s30, 48
	s_addc_u32 s31, s31, 0
	s_waitcnt vmcnt(0) lgkmcnt(0)
	v_mul_hi_u32 v1, s13, v5
	v_add_u32_e32 v1, v5, v1
	v_lshrrev_b32_e32 v1, s14, v1
	v_mul_lo_u32 v3, v1, s12
	v_mul_hi_u32 v7, s16, v1
	v_sub_u32_e32 v3, v5, v3
	v_add_u32_e32 v5, v1, v7
	v_lshrrev_b32_e32 v5, s17, v5
	v_mul_lo_u32 v8, v5, s15
	v_mul_hi_u32 v9, s19, v5
	v_sub_u32_e32 v1, v1, v8
	v_add_u32_e32 v8, v5, v9
	v_mul_lo_u32 v7, v3, s5
	v_mul_lo_u32 v3, v3, s4
	;; [unrolled: 1-line block ×4, first 2 shown]
	v_lshrrev_b32_e32 v8, s20, v8
	v_add3_u32 v1, v3, v2, v1
	v_add3_u32 v2, v7, v10, v9
	v_mul_lo_u32 v3, v8, s18
	v_mul_hi_u32 v7, s22, v8
	v_sub_u32_e32 v3, v5, v3
	v_add_u32_e32 v5, v8, v7
	v_lshrrev_b32_e32 v5, s23, v5
	s_add_i32 s38, s38, 4
	v_mul_lo_u32 v9, v5, s21
	s_add_u32 s28, s28, 32
	v_sub_u32_e32 v8, v8, v9
	s_addc_u32 s29, s29, 0
	v_mul_lo_u32 v7, v3, s8
	v_mul_lo_u32 v3, v3, s9
	;; [unrolled: 1-line block ×4, first 2 shown]
	s_cmp_lg_u32 s36, s38
	v_add3_u32 v10, v3, v2, v8
	v_add3_u32 v2, v7, v1, v9
	s_cbranch_scc1 .LBB201_1123
; %bb.1124:
	v_mov_b32_e32 v1, v10
	s_and_b32 s8, s37, 3
	s_cmp_eq_u32 s8, 0
	s_cbranch_scc0 .LBB201_1128
	s_branch .LBB201_1130
.LBB201_1125:
                                        ; implicit-def: $vgpr10
                                        ; implicit-def: $vgpr2
	s_branch .LBB201_1131
.LBB201_1126:
	v_mov_b32_e32 v10, 0
	v_mov_b32_e32 v2, 0
	s_branch .LBB201_1130
.LBB201_1127:
	v_mov_b32_e32 v2, 0
                                        ; implicit-def: $vgpr10
	s_waitcnt vmcnt(0)
	v_mov_b32_e32 v1, v2
	v_mov_b32_e32 v5, v0
	s_and_b32 s8, s37, 3
	s_cmp_eq_u32 s8, 0
	s_cbranch_scc1 .LBB201_1130
.LBB201_1128:
	s_lshl_b32 s4, s36, 3
	s_add_u32 s4, s34, s4
	s_addc_u32 s5, s35, 0
	s_add_u32 s4, s4, 0xc4
	s_addc_u32 s5, s5, 0
	s_mul_i32 s6, s36, 12
	s_add_u32 s6, s34, s6
	s_addc_u32 s7, s35, 0
.LBB201_1129:                           ; =>This Inner Loop Header: Depth=1
	s_load_dwordx2 s[10:11], s[6:7], 0x4
	s_load_dword s9, s[6:7], 0xc
	s_load_dwordx2 s[12:13], s[4:5], 0x0
	v_mov_b32_e32 v8, v1
	s_add_u32 s6, s6, 12
	s_waitcnt lgkmcnt(0)
	v_mul_hi_u32 v1, s11, v5
	v_add_u32_e32 v1, v5, v1
	v_lshrrev_b32_e32 v1, s9, v1
	s_addc_u32 s7, s7, 0
	v_mul_lo_u32 v3, v1, s10
	s_add_u32 s4, s4, 8
	v_sub_u32_e32 v3, v5, v3
	s_addc_u32 s5, s5, 0
	s_add_i32 s8, s8, -1
	v_mad_u64_u32 v[10:11], s[10:11], v3, s13, v[8:9]
	s_cmp_lg_u32 s8, 0
	v_mov_b32_e32 v5, v1
	v_mad_u64_u32 v[2:3], s[10:11], v3, s12, v[2:3]
	v_mov_b32_e32 v1, v10
	s_cbranch_scc1 .LBB201_1129
.LBB201_1130:
	s_cbranch_execnz .LBB201_1133
.LBB201_1131:
	s_load_dwordx4 s[4:7], s[34:35], 0x4
	s_load_dwordx2 s[8:9], s[34:35], 0xc4
	s_cmp_lt_u32 s33, 2
	s_waitcnt vmcnt(0) lgkmcnt(0)
	v_mul_hi_u32 v1, s5, v0
	v_add_u32_e32 v1, v0, v1
	v_lshrrev_b32_e32 v1, s6, v1
	v_mul_lo_u32 v2, v1, s4
	v_sub_u32_e32 v0, v0, v2
	v_mul_lo_u32 v10, v0, s9
	v_mul_lo_u32 v2, v0, s8
	s_cbranch_scc1 .LBB201_1133
; %bb.1132:
	s_load_dwordx4 s[4:7], s[34:35], 0x10
	s_load_dwordx2 s[8:9], s[34:35], 0xcc
	s_waitcnt lgkmcnt(0)
	v_mul_hi_u32 v0, s5, v1
	v_add_u32_e32 v0, v1, v0
	v_lshrrev_b32_e32 v0, s6, v0
	v_mul_lo_u32 v0, v0, s4
	v_sub_u32_e32 v0, v1, v0
	v_mad_u64_u32 v[2:3], s[4:5], v0, s8, v[2:3]
	v_mad_u64_u32 v[10:11], s[4:5], v0, s9, v[10:11]
.LBB201_1133:
	s_and_b64 vcc, exec, s[2:3]
	s_cbranch_vccnz .LBB201_1139
; %bb.1134:
	s_cmp_lg_u32 s33, 0
	s_mov_b32 s30, 0
	s_cbranch_scc0 .LBB201_1140
; %bb.1135:
	s_min_u32 s31, s72, 15
	s_add_i32 s31, s31, 1
	s_cmp_eq_u32 s72, 2
	s_cbranch_scc1 .LBB201_1141
; %bb.1136:
	s_and_b32 s30, s31, 28
	s_add_u32 s2, s34, 0xc4
	s_addc_u32 s3, s35, 0
	s_mov_b32 s36, 0
	v_mov_b32_e32 v0, 0
	v_mov_b32_e32 v8, 0
	s_mov_b64 s[28:29], s[34:35]
	v_mov_b32_e32 v3, v16
.LBB201_1137:                           ; =>This Inner Loop Header: Depth=1
	s_load_dwordx8 s[12:19], s[28:29], 0x4
	s_load_dwordx4 s[20:23], s[28:29], 0x24
	s_load_dwordx8 s[4:11], s[2:3], 0x0
	s_add_u32 s28, s28, 48
	s_addc_u32 s29, s29, 0
	s_waitcnt vmcnt(0) lgkmcnt(0)
	v_mul_hi_u32 v1, s13, v3
	v_add_u32_e32 v1, v3, v1
	v_lshrrev_b32_e32 v1, s14, v1
	v_mul_lo_u32 v5, v1, s12
	v_mul_hi_u32 v7, s16, v1
	v_sub_u32_e32 v3, v3, v5
	v_add_u32_e32 v5, v1, v7
	v_lshrrev_b32_e32 v5, s17, v5
	v_mul_lo_u32 v9, v5, s15
	v_mul_hi_u32 v11, s19, v5
	v_sub_u32_e32 v1, v1, v9
	v_add_u32_e32 v9, v5, v11
	v_mul_lo_u32 v7, v3, s5
	v_mul_lo_u32 v3, v3, s4
	;; [unrolled: 1-line block ×4, first 2 shown]
	v_lshrrev_b32_e32 v9, s20, v9
	v_add3_u32 v0, v3, v0, v1
	v_add3_u32 v1, v7, v8, v11
	v_mul_lo_u32 v3, v9, s18
	v_mul_hi_u32 v7, s22, v9
	v_sub_u32_e32 v3, v5, v3
	v_add_u32_e32 v5, v9, v7
	v_mul_lo_u32 v7, v3, s8
	v_mul_lo_u32 v8, v3, s9
	v_lshrrev_b32_e32 v3, s23, v5
	s_add_i32 s36, s36, 4
	v_mul_lo_u32 v5, v3, s21
	s_add_u32 s2, s2, 32
	v_sub_u32_e32 v5, v9, v5
	s_addc_u32 s3, s3, 0
	v_mul_lo_u32 v9, v5, s10
	v_mul_lo_u32 v5, v5, s11
	s_cmp_lg_u32 s30, s36
	v_add3_u32 v8, v8, v1, v5
	v_add3_u32 v0, v7, v0, v9
	s_cbranch_scc1 .LBB201_1137
; %bb.1138:
	v_mov_b32_e32 v1, v8
	s_and_b32 s6, s31, 3
	s_cmp_eq_u32 s6, 0
	s_cbranch_scc0 .LBB201_1142
	s_branch .LBB201_1144
.LBB201_1139:
                                        ; implicit-def: $vgpr8
                                        ; implicit-def: $vgpr0
	s_branch .LBB201_1145
.LBB201_1140:
	v_mov_b32_e32 v8, 0
	v_mov_b32_e32 v0, 0
	s_branch .LBB201_1144
.LBB201_1141:
	v_mov_b32_e32 v0, 0
                                        ; implicit-def: $vgpr8
	s_waitcnt vmcnt(0)
	v_mov_b32_e32 v1, v0
	v_mov_b32_e32 v3, v16
	s_and_b32 s6, s31, 3
	s_cmp_eq_u32 s6, 0
	s_cbranch_scc1 .LBB201_1144
.LBB201_1142:
	s_lshl_b32 s2, s30, 3
	s_add_u32 s2, s34, s2
	s_addc_u32 s3, s35, 0
	s_add_u32 s2, s2, 0xc4
	s_addc_u32 s3, s3, 0
	s_mul_i32 s4, s30, 12
	s_add_u32 s4, s34, s4
	s_addc_u32 s5, s35, 0
.LBB201_1143:                           ; =>This Inner Loop Header: Depth=1
	s_load_dwordx2 s[8:9], s[4:5], 0x4
	s_load_dword s7, s[4:5], 0xc
	s_load_dwordx2 s[10:11], s[2:3], 0x0
	v_mov_b32_e32 v8, v1
	s_add_u32 s4, s4, 12
	s_waitcnt lgkmcnt(0)
	v_mul_hi_u32 v1, s9, v3
	v_add_u32_e32 v1, v3, v1
	v_lshrrev_b32_e32 v1, s7, v1
	s_addc_u32 s5, s5, 0
	v_mul_lo_u32 v5, v1, s8
	s_add_u32 s2, s2, 8
	v_sub_u32_e32 v5, v3, v5
	s_addc_u32 s3, s3, 0
	s_add_i32 s6, s6, -1
	v_mov_b32_e32 v3, v1
	v_mad_u64_u32 v[8:9], s[8:9], v5, s11, v[8:9]
	v_mad_u64_u32 v[0:1], s[8:9], v5, s10, v[0:1]
	s_cmp_lg_u32 s6, 0
	v_mov_b32_e32 v1, v8
	s_cbranch_scc1 .LBB201_1143
.LBB201_1144:
	s_cbranch_execnz .LBB201_1147
.LBB201_1145:
	s_load_dwordx4 s[4:7], s[34:35], 0x4
	s_load_dwordx2 s[2:3], s[34:35], 0xc4
	s_cmp_lt_u32 s33, 2
	s_waitcnt lgkmcnt(0)
	v_mul_hi_u32 v0, s5, v16
	v_add_u32_e32 v0, v16, v0
	s_waitcnt vmcnt(0)
	v_lshrrev_b32_e32 v1, s6, v0
	v_mul_lo_u32 v0, v1, s4
	v_sub_u32_e32 v0, v16, v0
	v_mul_lo_u32 v8, v0, s3
	v_mul_lo_u32 v0, v0, s2
	s_cbranch_scc1 .LBB201_1147
; %bb.1146:
	s_load_dwordx4 s[4:7], s[34:35], 0x10
	s_load_dwordx2 s[2:3], s[34:35], 0xcc
	s_waitcnt lgkmcnt(0)
	v_mul_hi_u32 v3, s5, v1
	v_add_u32_e32 v3, v1, v3
	v_lshrrev_b32_e32 v3, s6, v3
	v_mul_lo_u32 v3, v3, s4
	v_sub_u32_e32 v3, v1, v3
	v_mad_u64_u32 v[0:1], s[4:5], v3, s2, v[0:1]
	v_mad_u64_u32 v[8:9], s[2:3], v3, s3, v[8:9]
.LBB201_1147:
	s_load_dword s16, s[0:1], 0x160
	s_load_dwordx4 s[4:7], s[34:35], 0x148
	v_mov_b32_e32 v15, 0
	s_waitcnt lgkmcnt(0)
	s_bfe_u32 s14, s16, 0x80010
	s_cmp_lt_i32 s14, 11
	v_lshl_add_u64 v[14:15], s[6:7], 0, v[14:15]
	s_cbranch_scc1 .LBB201_1154
; %bb.1148:
	s_and_b32 s15, 0xffff, s14
	s_cmp_gt_i32 s15, 25
	s_mov_b64 s[8:9], 0
	s_cbranch_scc0 .LBB201_1156
; %bb.1149:
	s_cmp_gt_i32 s15, 28
	s_cbranch_scc0 .LBB201_1157
; %bb.1150:
	s_cmp_gt_i32 s15, 43
	;; [unrolled: 3-line block ×3, first 2 shown]
	s_cbranch_scc0 .LBB201_1159
; %bb.1152:
	s_cmp_eq_u32 s15, 46
	s_mov_b64 s[2:3], 0
	s_cbranch_scc0 .LBB201_1162
; %bb.1153:
	global_load_dword v1, v[14:15], off
	s_mov_b64 s[0:1], 0
	s_mov_b64 s[10:11], -1
	s_waitcnt vmcnt(0)
	v_lshlrev_b32_e32 v7, 16, v1
	s_branch .LBB201_1163
.LBB201_1154:
	s_mov_b64 s[10:11], 0
                                        ; implicit-def: $vgpr7
	s_mov_b64 s[2:3], s[24:25]
	s_cbranch_execnz .LBB201_1226
.LBB201_1155:
	s_andn2_b64 vcc, exec, s[10:11]
	s_cbranch_vccz .LBB201_1271
	s_branch .LBB201_2092
.LBB201_1156:
	s_mov_b64 s[10:11], 0
	s_mov_b64 s[0:1], 0
                                        ; implicit-def: $vgpr7
	s_cbranch_execnz .LBB201_1191
	s_branch .LBB201_1222
.LBB201_1157:
	s_mov_b64 s[2:3], -1
	s_mov_b64 s[10:11], 0
	s_mov_b64 s[0:1], 0
                                        ; implicit-def: $vgpr7
	s_branch .LBB201_1172
.LBB201_1158:
	s_mov_b64 s[10:11], 0
	s_mov_b64 s[0:1], 0
                                        ; implicit-def: $vgpr7
	s_cbranch_execnz .LBB201_1168
	s_branch .LBB201_1171
.LBB201_1159:
	s_mov_b64 s[2:3], -1
	s_mov_b64 s[10:11], 0
	s_mov_b64 s[0:1], 0
                                        ; implicit-def: $vgpr7
	s_branch .LBB201_1163
.LBB201_1160:
	s_andn2_saveexec_b64 s[12:13], s[12:13]
	s_cbranch_execz .LBB201_1003
.LBB201_1161:
	s_mov_b32 s14, 0x46000000
	v_add_f32_e64 v0, |v4|, s14
	v_and_b32_e32 v0, 0xff, v0
	v_cmp_ne_u32_e32 vcc, 0, v0
	s_andn2_b64 s[10:11], s[10:11], exec
	s_and_b64 s[14:15], vcc, exec
	s_or_b64 s[10:11], s[10:11], s[14:15]
	s_or_b64 exec, exec, s[12:13]
	v_mov_b32_e32 v1, 0
	s_and_saveexec_b64 s[12:13], s[10:11]
	s_cbranch_execnz .LBB201_1004
	s_branch .LBB201_1005
.LBB201_1162:
	s_mov_b64 s[0:1], -1
                                        ; implicit-def: $vgpr7
	s_mov_b64 s[10:11], 0
.LBB201_1163:
	s_and_b64 vcc, exec, s[2:3]
	s_cbranch_vccz .LBB201_1166
; %bb.1164:
	s_cmp_eq_u32 s15, 44
	s_cbranch_scc0 .LBB201_1167
; %bb.1165:
	global_load_ubyte v1, v[14:15], off
	s_movk_i32 s2, 0xff
	v_mov_b32_e32 v3, 0x7f800001
	v_mov_b32_e32 v5, 0x400000
	s_mov_b64 s[0:1], 0
	s_mov_b64 s[10:11], -1
	s_waitcnt vmcnt(0)
	v_lshlrev_b32_e32 v7, 23, v1
	v_cmp_ne_u32_e32 vcc, s2, v1
	s_nop 1
	v_cndmask_b32_e32 v3, v3, v7, vcc
	v_cmp_ne_u32_e32 vcc, 0, v1
	s_nop 1
	v_cndmask_b32_e32 v7, v5, v3, vcc
.LBB201_1166:
	s_branch .LBB201_1171
.LBB201_1167:
	s_mov_b64 s[0:1], -1
                                        ; implicit-def: $vgpr7
	s_branch .LBB201_1171
.LBB201_1168:
	s_cmp_eq_u32 s15, 29
	s_cbranch_scc0 .LBB201_1170
; %bb.1169:
	global_load_dwordx2 v[16:17], v[14:15], off
	s_mov_b64 s[0:1], 0
	s_mov_b64 s[10:11], -1
	s_mov_b64 s[2:3], 0
	s_waitcnt vmcnt(0)
	v_ffbh_u32_e32 v1, v17
	v_min_u32_e32 v1, 32, v1
	v_lshlrev_b64 v[16:17], v1, v[16:17]
	v_min_u32_e32 v3, 1, v16
	v_or_b32_e32 v3, v17, v3
	v_cvt_f32_u32_e32 v3, v3
	v_sub_u32_e32 v1, 32, v1
	v_ldexp_f32 v7, v3, v1
	s_branch .LBB201_1172
.LBB201_1170:
	s_mov_b64 s[0:1], -1
                                        ; implicit-def: $vgpr7
.LBB201_1171:
	s_mov_b64 s[2:3], 0
.LBB201_1172:
	s_and_b64 vcc, exec, s[2:3]
	s_cbranch_vccz .LBB201_1190
; %bb.1173:
	s_cmp_lt_i32 s15, 27
	s_cbranch_scc1 .LBB201_1176
; %bb.1174:
	s_cmp_gt_i32 s15, 27
	s_cbranch_scc0 .LBB201_1177
; %bb.1175:
	global_load_dword v1, v[14:15], off
	s_mov_b64 s[2:3], 0
	s_waitcnt vmcnt(0)
	v_cvt_f32_u32_e32 v7, v1
	s_branch .LBB201_1178
.LBB201_1176:
	s_mov_b64 s[2:3], -1
                                        ; implicit-def: $vgpr7
	s_branch .LBB201_1181
.LBB201_1177:
	s_mov_b64 s[2:3], -1
                                        ; implicit-def: $vgpr7
.LBB201_1178:
	s_andn2_b64 vcc, exec, s[2:3]
	s_cbranch_vccnz .LBB201_1180
; %bb.1179:
	global_load_ushort v1, v[14:15], off
	s_waitcnt vmcnt(0)
	v_cvt_f32_u32_e32 v7, v1
.LBB201_1180:
	s_mov_b64 s[2:3], 0
.LBB201_1181:
	s_andn2_b64 vcc, exec, s[2:3]
	s_cbranch_vccnz .LBB201_1189
; %bb.1182:
	global_load_ubyte v1, v[14:15], off
	s_movk_i32 s2, 0x7f
	s_waitcnt vmcnt(0)
	v_cmp_lt_i16_e32 vcc, s2, v1
	s_mov_b64 s[2:3], 0
	s_and_saveexec_b64 s[10:11], vcc
	s_xor_b64 s[10:11], exec, s[10:11]
	s_cbranch_execz .LBB201_1202
; %bb.1183:
	s_movk_i32 s2, 0x80
	v_cmp_eq_u16_e32 vcc, s2, v1
	s_mov_b64 s[2:3], -1
	s_and_saveexec_b64 s[12:13], vcc
; %bb.1184:
	s_xor_b64 s[2:3], exec, -1
; %bb.1185:
	s_or_b64 exec, exec, s[12:13]
	s_and_b64 s[2:3], s[2:3], exec
	s_or_saveexec_b64 s[10:11], s[10:11]
	v_mov_b32_e32 v7, 0x7f800001
	s_xor_b64 exec, exec, s[10:11]
	s_cbranch_execnz .LBB201_1203
.LBB201_1186:
	s_or_b64 exec, exec, s[10:11]
	s_and_saveexec_b64 s[10:11], s[2:3]
	s_cbranch_execz .LBB201_1188
.LBB201_1187:
	v_lshlrev_b32_e32 v3, 24, v1
	v_and_b32_e32 v1, 0xffff, v1
	v_and_b32_e32 v5, 7, v1
	v_ffbh_u32_e32 v9, v5
	v_min_u32_e32 v9, 32, v9
	v_subrev_u32_e32 v11, 28, v9
	v_bfe_u32 v7, v1, 3, 4
	v_lshlrev_b32_e32 v1, v11, v1
	v_sub_u32_e32 v9, 29, v9
	v_and_b32_e32 v1, 7, v1
	v_cmp_eq_u32_e32 vcc, 0, v7
	v_and_b32_e32 v3, 0x80000000, v3
	s_nop 0
	v_cndmask_b32_e32 v7, v7, v9, vcc
	v_cndmask_b32_e32 v1, v5, v1, vcc
	v_mov_b32_e32 v5, 0x3b800000
	v_lshlrev_b32_e32 v1, 20, v1
	v_lshl_add_u32 v5, v7, 23, v5
	v_or3_b32 v7, v3, v5, v1
.LBB201_1188:
	s_or_b64 exec, exec, s[10:11]
.LBB201_1189:
	s_mov_b64 s[10:11], -1
.LBB201_1190:
	s_branch .LBB201_1222
.LBB201_1191:
	s_cmp_gt_i32 s15, 22
	s_cbranch_scc0 .LBB201_1201
; %bb.1192:
	s_cmp_lt_i32 s15, 24
	s_cbranch_scc1 .LBB201_1204
; %bb.1193:
	s_cmp_gt_i32 s15, 24
	s_cbranch_scc0 .LBB201_1205
; %bb.1194:
	global_load_ubyte v1, v[14:15], off
	s_movk_i32 s2, 0x7f
	s_waitcnt vmcnt(0)
	v_cmp_lt_i16_e32 vcc, s2, v1
	s_mov_b64 s[2:3], 0
	s_and_saveexec_b64 s[8:9], vcc
	s_xor_b64 s[8:9], exec, s[8:9]
	s_cbranch_execz .LBB201_1216
; %bb.1195:
	s_movk_i32 s2, 0x80
	v_cmp_eq_u16_e32 vcc, s2, v1
	s_mov_b64 s[2:3], -1
	s_and_saveexec_b64 s[10:11], vcc
; %bb.1196:
	s_xor_b64 s[2:3], exec, -1
; %bb.1197:
	s_or_b64 exec, exec, s[10:11]
	s_and_b64 s[2:3], s[2:3], exec
	s_or_saveexec_b64 s[8:9], s[8:9]
	v_mov_b32_e32 v7, 0x7f800001
	s_xor_b64 exec, exec, s[8:9]
	s_cbranch_execnz .LBB201_1217
.LBB201_1198:
	s_or_b64 exec, exec, s[8:9]
	s_and_saveexec_b64 s[8:9], s[2:3]
	s_cbranch_execz .LBB201_1200
.LBB201_1199:
	v_lshlrev_b32_e32 v3, 24, v1
	v_and_b32_e32 v1, 0xffff, v1
	v_and_b32_e32 v5, 3, v1
	v_ffbh_u32_e32 v9, v5
	v_min_u32_e32 v9, 32, v9
	v_subrev_u32_e32 v11, 29, v9
	v_bfe_u32 v7, v1, 2, 5
	v_lshlrev_b32_e32 v1, v11, v1
	v_sub_u32_e32 v9, 30, v9
	v_and_b32_e32 v1, 3, v1
	v_cmp_eq_u32_e32 vcc, 0, v7
	v_and_b32_e32 v3, 0x80000000, v3
	s_nop 0
	v_cndmask_b32_e32 v7, v7, v9, vcc
	v_cndmask_b32_e32 v1, v5, v1, vcc
	v_mov_b32_e32 v5, 0x37800000
	v_lshlrev_b32_e32 v1, 21, v1
	v_lshl_add_u32 v5, v7, 23, v5
	v_or3_b32 v7, v3, v5, v1
.LBB201_1200:
	s_or_b64 exec, exec, s[8:9]
	s_mov_b64 s[2:3], 0
	s_branch .LBB201_1206
.LBB201_1201:
                                        ; implicit-def: $vgpr7
	s_mov_b64 s[8:9], 0
	s_branch .LBB201_1212
.LBB201_1202:
	s_or_saveexec_b64 s[10:11], s[10:11]
	v_mov_b32_e32 v7, 0x7f800001
	s_xor_b64 exec, exec, s[10:11]
	s_cbranch_execz .LBB201_1186
.LBB201_1203:
	v_cmp_ne_u16_e32 vcc, 0, v1
	s_andn2_b64 s[2:3], s[2:3], exec
	s_and_b64 s[12:13], vcc, exec
	v_mov_b32_e32 v7, 0
	s_or_b64 s[2:3], s[2:3], s[12:13]
	s_or_b64 exec, exec, s[10:11]
	s_and_saveexec_b64 s[10:11], s[2:3]
	s_cbranch_execnz .LBB201_1187
	s_branch .LBB201_1188
.LBB201_1204:
	s_mov_b64 s[2:3], -1
                                        ; implicit-def: $vgpr7
	s_branch .LBB201_1209
.LBB201_1205:
	s_mov_b64 s[2:3], -1
                                        ; implicit-def: $vgpr7
.LBB201_1206:
	s_and_b64 vcc, exec, s[2:3]
	s_cbranch_vccz .LBB201_1208
; %bb.1207:
	global_load_ubyte v1, v[14:15], off
	s_mov_b32 s2, 0x7f800000
	s_waitcnt vmcnt(0)
	v_lshlrev_b32_e32 v1, 24, v1
	v_and_b32_e32 v3, 0x7f000000, v1
	v_ffbh_u32_e32 v5, v3
	v_min_u32_e32 v5, 32, v5
	v_sub_u32_e64 v5, v5, 4 clamp
	v_lshlrev_b32_e32 v9, v5, v3
	v_lshlrev_b32_e32 v5, 23, v5
	v_lshrrev_b32_e32 v9, 4, v9
	v_add_u32_e32 v7, 0x1000000, v3
	v_sub_u32_e32 v5, v9, v5
	v_ashrrev_i32_e32 v7, 8, v7
	v_add_u32_e32 v5, 0x3c000000, v5
	v_and_or_b32 v5, v7, s2, v5
	v_cmp_ne_u32_e32 vcc, 0, v3
	s_brev_b32 s2, 1
	s_nop 0
	v_cndmask_b32_e32 v3, 0, v5, vcc
	v_and_or_b32 v7, v1, s2, v3
.LBB201_1208:
	s_mov_b64 s[2:3], 0
.LBB201_1209:
	s_andn2_b64 vcc, exec, s[2:3]
	s_cbranch_vccnz .LBB201_1211
; %bb.1210:
	global_load_ubyte v1, v[14:15], off
	s_movk_i32 s2, 0x7f00
	s_brev_b32 s3, 16
	s_waitcnt vmcnt(0)
	v_lshlrev_b16_e32 v3, 8, v1
	v_lshlrev_b32_e32 v1, 25, v1
	v_lshrrev_b32_e32 v5, 4, v1
	v_and_or_b32 v7, v3, s2, 0.5
	v_or_b32_e32 v5, 0x70000000, v5
	v_add_f32_e32 v7, -0.5, v7
	v_mul_f32_e32 v5, 0x7800000, v5
	v_cmp_gt_u32_e32 vcc, s3, v1
	v_bfe_i32 v3, v3, 0, 16
	s_brev_b32 s2, 1
	v_cndmask_b32_e32 v1, v5, v7, vcc
	v_and_or_b32 v7, v3, s2, v1
.LBB201_1211:
	s_mov_b64 s[10:11], -1
	s_mov_b64 s[8:9], 0
	s_cbranch_execnz .LBB201_1222
.LBB201_1212:
	s_cmp_gt_i32 s15, 14
	s_cbranch_scc0 .LBB201_1215
; %bb.1213:
	s_cmp_eq_u32 s15, 15
	s_cbranch_scc0 .LBB201_1218
; %bb.1214:
	global_load_ushort v1, v[14:15], off
	s_mov_b64 s[0:1], 0
	s_mov_b64 s[10:11], -1
	s_waitcnt vmcnt(0)
	v_lshlrev_b32_e32 v7, 16, v1
	s_branch .LBB201_1219
.LBB201_1215:
	s_mov_b64 s[2:3], -1
                                        ; implicit-def: $vgpr7
	s_branch .LBB201_1220
.LBB201_1216:
	s_or_saveexec_b64 s[8:9], s[8:9]
	v_mov_b32_e32 v7, 0x7f800001
	s_xor_b64 exec, exec, s[8:9]
	s_cbranch_execz .LBB201_1198
.LBB201_1217:
	v_cmp_ne_u16_e32 vcc, 0, v1
	s_andn2_b64 s[2:3], s[2:3], exec
	s_and_b64 s[10:11], vcc, exec
	v_mov_b32_e32 v7, 0
	s_or_b64 s[2:3], s[2:3], s[10:11]
	s_or_b64 exec, exec, s[8:9]
	s_and_saveexec_b64 s[8:9], s[2:3]
	s_cbranch_execnz .LBB201_1199
	s_branch .LBB201_1200
.LBB201_1218:
	s_mov_b64 s[0:1], -1
                                        ; implicit-def: $vgpr7
.LBB201_1219:
	s_mov_b64 s[2:3], 0
.LBB201_1220:
	s_and_b64 vcc, exec, s[2:3]
	s_cbranch_vccz .LBB201_1222
; %bb.1221:
	s_cmp_lg_u32 s15, 11
	s_mov_b64 s[8:9], -1
	s_cselect_b64 s[0:1], -1, 0
.LBB201_1222:
	s_and_b64 vcc, exec, s[0:1]
	s_mov_b64 s[2:3], s[24:25]
	s_cbranch_vccnz .LBB201_1283
; %bb.1223:
	s_andn2_b64 vcc, exec, s[8:9]
	s_cbranch_vccnz .LBB201_1225
.LBB201_1224:
	global_load_ubyte v1, v[14:15], off
	s_mov_b64 s[10:11], -1
	s_waitcnt vmcnt(0)
	v_cmp_ne_u16_e32 vcc, 0, v1
	s_nop 1
	v_cndmask_b32_e64 v7, 0, 1.0, vcc
.LBB201_1225:
	s_branch .LBB201_1155
.LBB201_1226:
	s_and_b32 s8, 0xffff, s14
	s_cmp_lt_i32 s8, 5
	s_cbranch_scc1 .LBB201_1231
; %bb.1227:
	s_cmp_lt_i32 s8, 8
	s_cbranch_scc1 .LBB201_1232
; %bb.1228:
	;; [unrolled: 3-line block ×3, first 2 shown]
	s_cmp_gt_i32 s8, 9
	s_cbranch_scc0 .LBB201_1234
; %bb.1230:
	global_load_dwordx2 v[16:17], v[14:15], off
	s_mov_b64 s[0:1], 0
	s_waitcnt vmcnt(0)
	v_cvt_f32_f64_e32 v7, v[16:17]
	s_branch .LBB201_1235
.LBB201_1231:
                                        ; implicit-def: $vgpr7
	s_branch .LBB201_1252
.LBB201_1232:
                                        ; implicit-def: $vgpr7
	s_branch .LBB201_1241
.LBB201_1233:
	s_mov_b64 s[0:1], -1
                                        ; implicit-def: $vgpr7
	s_branch .LBB201_1238
.LBB201_1234:
	s_mov_b64 s[0:1], -1
                                        ; implicit-def: $vgpr7
.LBB201_1235:
	s_andn2_b64 vcc, exec, s[0:1]
	s_cbranch_vccnz .LBB201_1237
; %bb.1236:
	global_load_dword v7, v[14:15], off
.LBB201_1237:
	s_mov_b64 s[0:1], 0
.LBB201_1238:
	s_andn2_b64 vcc, exec, s[0:1]
	s_cbranch_vccnz .LBB201_1240
; %bb.1239:
	global_load_dword v1, v[14:15], off
	s_waitcnt vmcnt(0)
	v_cvt_f32_f16_e32 v7, v1
.LBB201_1240:
	s_cbranch_execnz .LBB201_1251
.LBB201_1241:
	s_cmp_lt_i32 s8, 6
	s_cbranch_scc1 .LBB201_1244
; %bb.1242:
	s_cmp_gt_i32 s8, 6
	s_cbranch_scc0 .LBB201_1245
; %bb.1243:
	global_load_dwordx2 v[16:17], v[14:15], off
	s_mov_b64 s[0:1], 0
	s_waitcnt vmcnt(0)
	v_cvt_f32_f64_e32 v7, v[16:17]
	s_branch .LBB201_1246
.LBB201_1244:
	s_mov_b64 s[0:1], -1
                                        ; implicit-def: $vgpr7
	s_branch .LBB201_1249
.LBB201_1245:
	s_mov_b64 s[0:1], -1
                                        ; implicit-def: $vgpr7
.LBB201_1246:
	s_andn2_b64 vcc, exec, s[0:1]
	s_cbranch_vccnz .LBB201_1248
; %bb.1247:
	global_load_dword v7, v[14:15], off
.LBB201_1248:
	s_mov_b64 s[0:1], 0
.LBB201_1249:
	s_andn2_b64 vcc, exec, s[0:1]
	s_cbranch_vccnz .LBB201_1251
; %bb.1250:
	global_load_ushort v1, v[14:15], off
	s_waitcnt vmcnt(0)
	v_cvt_f32_f16_e32 v7, v1
.LBB201_1251:
	s_cbranch_execnz .LBB201_1270
.LBB201_1252:
	s_cmp_lt_i32 s8, 2
	s_cbranch_scc1 .LBB201_1256
; %bb.1253:
	s_cmp_lt_i32 s8, 3
	s_cbranch_scc1 .LBB201_1257
; %bb.1254:
	s_cmp_gt_i32 s8, 3
	s_cbranch_scc0 .LBB201_1258
; %bb.1255:
	global_load_dwordx2 v[16:17], v[14:15], off
	s_mov_b64 s[0:1], 0
	s_waitcnt vmcnt(0)
	v_xor_b32_e32 v3, v16, v17
	v_ffbh_i32_e32 v1, v17
	v_ashrrev_i32_e32 v3, 31, v3
	v_add_u32_e32 v1, -1, v1
	v_add_u32_e32 v3, 32, v3
	v_min_u32_e32 v1, v1, v3
	v_lshlrev_b64 v[16:17], v1, v[16:17]
	v_min_u32_e32 v3, 1, v16
	v_or_b32_e32 v3, v17, v3
	v_cvt_f32_i32_e32 v3, v3
	v_sub_u32_e32 v1, 32, v1
	v_ldexp_f32 v7, v3, v1
	s_branch .LBB201_1259
.LBB201_1256:
                                        ; implicit-def: $vgpr7
	s_branch .LBB201_1265
.LBB201_1257:
	s_mov_b64 s[0:1], -1
                                        ; implicit-def: $vgpr7
	s_branch .LBB201_1262
.LBB201_1258:
	s_mov_b64 s[0:1], -1
                                        ; implicit-def: $vgpr7
.LBB201_1259:
	s_andn2_b64 vcc, exec, s[0:1]
	s_cbranch_vccnz .LBB201_1261
; %bb.1260:
	global_load_dword v1, v[14:15], off
	s_waitcnt vmcnt(0)
	v_cvt_f32_i32_e32 v7, v1
.LBB201_1261:
	s_mov_b64 s[0:1], 0
.LBB201_1262:
	s_andn2_b64 vcc, exec, s[0:1]
	s_cbranch_vccnz .LBB201_1264
; %bb.1263:
	global_load_sshort v1, v[14:15], off
	s_waitcnt vmcnt(0)
	v_cvt_f32_i32_e32 v7, v1
.LBB201_1264:
	s_cbranch_execnz .LBB201_1270
.LBB201_1265:
	s_cmp_gt_i32 s8, 0
	s_cbranch_scc0 .LBB201_1267
; %bb.1266:
	global_load_sbyte v1, v[14:15], off
	s_mov_b64 s[0:1], 0
	s_waitcnt vmcnt(0)
	v_cvt_f32_i32_e32 v7, v1
	s_branch .LBB201_1268
.LBB201_1267:
	s_mov_b64 s[0:1], -1
                                        ; implicit-def: $vgpr7
.LBB201_1268:
	s_andn2_b64 vcc, exec, s[0:1]
	s_cbranch_vccnz .LBB201_1270
; %bb.1269:
	global_load_ubyte v1, v[14:15], off
	s_waitcnt vmcnt(0)
	v_cvt_f32_ubyte0_e32 v7, v1
.LBB201_1270:
.LBB201_1271:
	s_lshr_b32 s0, s16, 16
	v_mov_b32_e32 v13, 0
	s_and_b32 s17, s0, 0xff
	s_cmp_lt_i32 s17, 11
	v_lshl_add_u64 v[12:13], s[6:7], 0, v[12:13]
	s_cbranch_scc1 .LBB201_1278
; %bb.1272:
	s_and_b32 s18, 0xffff, s17
	s_cmp_gt_i32 s18, 25
	s_mov_b64 s[8:9], 0
	s_cbranch_scc0 .LBB201_1280
; %bb.1273:
	s_cmp_gt_i32 s18, 28
	s_cbranch_scc0 .LBB201_1281
; %bb.1274:
	s_cmp_gt_i32 s18, 43
	;; [unrolled: 3-line block ×3, first 2 shown]
	s_cbranch_scc0 .LBB201_1284
; %bb.1276:
	s_cmp_eq_u32 s18, 46
	s_mov_b64 s[12:13], 0
	s_cbranch_scc0 .LBB201_1287
; %bb.1277:
	global_load_dword v1, v[12:13], off
	s_mov_b64 s[0:1], 0
	s_mov_b64 s[10:11], -1
	s_waitcnt vmcnt(0)
	v_lshlrev_b32_e32 v5, 16, v1
	s_branch .LBB201_1288
.LBB201_1278:
	s_mov_b64 s[10:11], 0
                                        ; implicit-def: $vgpr5
	s_cbranch_execnz .LBB201_1353
.LBB201_1279:
	s_andn2_b64 vcc, exec, s[10:11]
	s_cbranch_vccnz .LBB201_2092
	s_branch .LBB201_1400
.LBB201_1280:
	s_mov_b64 s[10:11], 0
	s_mov_b64 s[0:1], 0
                                        ; implicit-def: $vgpr5
	s_cbranch_execnz .LBB201_1317
	s_branch .LBB201_1349
.LBB201_1281:
	s_mov_b64 s[12:13], -1
	s_mov_b64 s[10:11], 0
	s_mov_b64 s[0:1], 0
                                        ; implicit-def: $vgpr5
	s_branch .LBB201_1298
.LBB201_1282:
	s_mov_b64 s[12:13], -1
	s_mov_b64 s[10:11], 0
	s_mov_b64 s[0:1], 0
                                        ; implicit-def: $vgpr5
	s_branch .LBB201_1293
.LBB201_1283:
	s_or_b64 s[2:3], s[24:25], exec
	s_trap 2
	s_cbranch_execz .LBB201_1224
	s_branch .LBB201_1225
.LBB201_1284:
	s_mov_b64 s[12:13], -1
	s_mov_b64 s[10:11], 0
	s_mov_b64 s[0:1], 0
                                        ; implicit-def: $vgpr5
	s_branch .LBB201_1288
.LBB201_1285:
	s_andn2_saveexec_b64 s[14:15], s[14:15]
	s_cbranch_execz .LBB201_1015
.LBB201_1286:
	s_mov_b32 s18, 0x42800000
	v_add_f32_e64 v0, |v4|, s18
	v_and_b32_e32 v0, 0xff, v0
	v_cmp_ne_u32_e32 vcc, 0, v0
	s_andn2_b64 s[12:13], s[12:13], exec
	s_and_b64 s[18:19], vcc, exec
	s_or_b64 s[12:13], s[12:13], s[18:19]
	s_or_b64 exec, exec, s[14:15]
	v_mov_b32_e32 v1, 0
	s_and_saveexec_b64 s[14:15], s[12:13]
	s_cbranch_execnz .LBB201_1016
	s_branch .LBB201_1017
.LBB201_1287:
	s_mov_b64 s[0:1], -1
                                        ; implicit-def: $vgpr5
	s_mov_b64 s[10:11], 0
.LBB201_1288:
	s_and_b64 vcc, exec, s[12:13]
	s_cbranch_vccz .LBB201_1292
; %bb.1289:
	s_cmp_eq_u32 s18, 44
	s_cbranch_scc0 .LBB201_1291
; %bb.1290:
	global_load_ubyte v1, v[12:13], off
	s_movk_i32 s10, 0xff
	v_mov_b32_e32 v3, 0x7f800001
	v_mov_b32_e32 v5, 0x400000
	s_mov_b64 s[0:1], 0
	s_waitcnt vmcnt(0)
	v_lshlrev_b32_e32 v9, 23, v1
	v_cmp_ne_u32_e32 vcc, s10, v1
	s_mov_b64 s[10:11], -1
	s_nop 0
	v_cndmask_b32_e32 v3, v3, v9, vcc
	v_cmp_ne_u32_e32 vcc, 0, v1
	s_nop 1
	v_cndmask_b32_e32 v5, v5, v3, vcc
	s_branch .LBB201_1292
.LBB201_1291:
	s_mov_b64 s[0:1], -1
                                        ; implicit-def: $vgpr5
.LBB201_1292:
	s_mov_b64 s[12:13], 0
.LBB201_1293:
	s_and_b64 vcc, exec, s[12:13]
	s_cbranch_vccz .LBB201_1297
; %bb.1294:
	s_cmp_eq_u32 s18, 29
	s_cbranch_scc0 .LBB201_1296
; %bb.1295:
	global_load_dwordx2 v[14:15], v[12:13], off
	s_mov_b64 s[0:1], 0
	s_mov_b64 s[10:11], -1
	s_mov_b64 s[12:13], 0
	s_waitcnt vmcnt(0)
	v_ffbh_u32_e32 v1, v15
	v_min_u32_e32 v1, 32, v1
	v_lshlrev_b64 v[14:15], v1, v[14:15]
	v_min_u32_e32 v3, 1, v14
	v_or_b32_e32 v3, v15, v3
	v_cvt_f32_u32_e32 v3, v3
	v_sub_u32_e32 v1, 32, v1
	v_ldexp_f32 v5, v3, v1
	s_branch .LBB201_1298
.LBB201_1296:
	s_mov_b64 s[0:1], -1
                                        ; implicit-def: $vgpr5
.LBB201_1297:
	s_mov_b64 s[12:13], 0
.LBB201_1298:
	s_and_b64 vcc, exec, s[12:13]
	s_cbranch_vccz .LBB201_1316
; %bb.1299:
	s_cmp_lt_i32 s18, 27
	s_cbranch_scc1 .LBB201_1302
; %bb.1300:
	s_cmp_gt_i32 s18, 27
	s_cbranch_scc0 .LBB201_1303
; %bb.1301:
	global_load_dword v1, v[12:13], off
	s_mov_b64 s[10:11], 0
	s_waitcnt vmcnt(0)
	v_cvt_f32_u32_e32 v5, v1
	s_branch .LBB201_1304
.LBB201_1302:
	s_mov_b64 s[10:11], -1
                                        ; implicit-def: $vgpr5
	s_branch .LBB201_1307
.LBB201_1303:
	s_mov_b64 s[10:11], -1
                                        ; implicit-def: $vgpr5
.LBB201_1304:
	s_andn2_b64 vcc, exec, s[10:11]
	s_cbranch_vccnz .LBB201_1306
; %bb.1305:
	global_load_ushort v1, v[12:13], off
	s_waitcnt vmcnt(0)
	v_cvt_f32_u32_e32 v5, v1
.LBB201_1306:
	s_mov_b64 s[10:11], 0
.LBB201_1307:
	s_andn2_b64 vcc, exec, s[10:11]
	s_cbranch_vccnz .LBB201_1315
; %bb.1308:
	global_load_ubyte v1, v[12:13], off
	s_movk_i32 s10, 0x7f
	s_waitcnt vmcnt(0)
	v_cmp_lt_i16_e32 vcc, s10, v1
	s_mov_b64 s[10:11], 0
	s_and_saveexec_b64 s[12:13], vcc
	s_xor_b64 s[12:13], exec, s[12:13]
	s_cbranch_execz .LBB201_1328
; %bb.1309:
	s_movk_i32 s10, 0x80
	v_cmp_eq_u16_e32 vcc, s10, v1
	s_mov_b64 s[10:11], -1
	s_and_saveexec_b64 s[14:15], vcc
; %bb.1310:
	s_xor_b64 s[10:11], exec, -1
; %bb.1311:
	s_or_b64 exec, exec, s[14:15]
	s_and_b64 s[10:11], s[10:11], exec
	s_or_saveexec_b64 s[12:13], s[12:13]
	v_mov_b32_e32 v5, 0x7f800001
	s_xor_b64 exec, exec, s[12:13]
	s_cbranch_execnz .LBB201_1329
.LBB201_1312:
	s_or_b64 exec, exec, s[12:13]
	s_and_saveexec_b64 s[12:13], s[10:11]
	s_cbranch_execz .LBB201_1314
.LBB201_1313:
	v_lshlrev_b32_e32 v3, 24, v1
	v_and_b32_e32 v1, 0xffff, v1
	v_and_b32_e32 v5, 7, v1
	v_ffbh_u32_e32 v11, v5
	v_min_u32_e32 v11, 32, v11
	v_subrev_u32_e32 v14, 28, v11
	v_bfe_u32 v9, v1, 3, 4
	v_lshlrev_b32_e32 v1, v14, v1
	v_sub_u32_e32 v11, 29, v11
	v_and_b32_e32 v1, 7, v1
	v_cmp_eq_u32_e32 vcc, 0, v9
	v_and_b32_e32 v3, 0x80000000, v3
	s_nop 0
	v_cndmask_b32_e32 v9, v9, v11, vcc
	v_cndmask_b32_e32 v1, v5, v1, vcc
	v_mov_b32_e32 v5, 0x3b800000
	v_lshlrev_b32_e32 v1, 20, v1
	v_lshl_add_u32 v5, v9, 23, v5
	v_or3_b32 v5, v3, v5, v1
.LBB201_1314:
	s_or_b64 exec, exec, s[12:13]
.LBB201_1315:
	s_mov_b64 s[10:11], -1
.LBB201_1316:
	s_branch .LBB201_1349
.LBB201_1317:
	s_cmp_gt_i32 s18, 22
	s_cbranch_scc0 .LBB201_1327
; %bb.1318:
	s_cmp_lt_i32 s18, 24
	s_cbranch_scc1 .LBB201_1330
; %bb.1319:
	s_cmp_gt_i32 s18, 24
	s_cbranch_scc0 .LBB201_1331
; %bb.1320:
	global_load_ubyte v1, v[12:13], off
	s_movk_i32 s8, 0x7f
	s_waitcnt vmcnt(0)
	v_cmp_lt_i16_e32 vcc, s8, v1
	s_mov_b64 s[8:9], 0
	s_and_saveexec_b64 s[10:11], vcc
	s_xor_b64 s[10:11], exec, s[10:11]
	s_cbranch_execz .LBB201_1343
; %bb.1321:
	s_movk_i32 s8, 0x80
	v_cmp_eq_u16_e32 vcc, s8, v1
	s_mov_b64 s[8:9], -1
	s_and_saveexec_b64 s[12:13], vcc
; %bb.1322:
	s_xor_b64 s[8:9], exec, -1
; %bb.1323:
	s_or_b64 exec, exec, s[12:13]
	s_and_b64 s[8:9], s[8:9], exec
	s_or_saveexec_b64 s[10:11], s[10:11]
	v_mov_b32_e32 v5, 0x7f800001
	s_xor_b64 exec, exec, s[10:11]
	s_cbranch_execnz .LBB201_1344
.LBB201_1324:
	s_or_b64 exec, exec, s[10:11]
	s_and_saveexec_b64 s[10:11], s[8:9]
	s_cbranch_execz .LBB201_1326
.LBB201_1325:
	v_lshlrev_b32_e32 v3, 24, v1
	v_and_b32_e32 v1, 0xffff, v1
	v_and_b32_e32 v5, 3, v1
	v_ffbh_u32_e32 v11, v5
	v_min_u32_e32 v11, 32, v11
	v_subrev_u32_e32 v14, 29, v11
	v_bfe_u32 v9, v1, 2, 5
	v_lshlrev_b32_e32 v1, v14, v1
	v_sub_u32_e32 v11, 30, v11
	v_and_b32_e32 v1, 3, v1
	v_cmp_eq_u32_e32 vcc, 0, v9
	v_and_b32_e32 v3, 0x80000000, v3
	s_nop 0
	v_cndmask_b32_e32 v9, v9, v11, vcc
	v_cndmask_b32_e32 v1, v5, v1, vcc
	v_mov_b32_e32 v5, 0x37800000
	v_lshlrev_b32_e32 v1, 21, v1
	v_lshl_add_u32 v5, v9, 23, v5
	v_or3_b32 v5, v3, v5, v1
.LBB201_1326:
	s_or_b64 exec, exec, s[10:11]
	s_mov_b64 s[8:9], 0
	s_branch .LBB201_1332
.LBB201_1327:
	s_mov_b64 s[8:9], -1
                                        ; implicit-def: $vgpr5
	s_branch .LBB201_1338
.LBB201_1328:
	s_or_saveexec_b64 s[12:13], s[12:13]
	v_mov_b32_e32 v5, 0x7f800001
	s_xor_b64 exec, exec, s[12:13]
	s_cbranch_execz .LBB201_1312
.LBB201_1329:
	v_cmp_ne_u16_e32 vcc, 0, v1
	s_andn2_b64 s[10:11], s[10:11], exec
	s_and_b64 s[14:15], vcc, exec
	v_mov_b32_e32 v5, 0
	s_or_b64 s[10:11], s[10:11], s[14:15]
	s_or_b64 exec, exec, s[12:13]
	s_and_saveexec_b64 s[12:13], s[10:11]
	s_cbranch_execnz .LBB201_1313
	s_branch .LBB201_1314
.LBB201_1330:
	s_mov_b64 s[8:9], -1
                                        ; implicit-def: $vgpr5
	s_branch .LBB201_1335
.LBB201_1331:
	s_mov_b64 s[8:9], -1
                                        ; implicit-def: $vgpr5
.LBB201_1332:
	s_and_b64 vcc, exec, s[8:9]
	s_cbranch_vccz .LBB201_1334
; %bb.1333:
	global_load_ubyte v1, v[12:13], off
	s_mov_b32 s8, 0x7f800000
	s_waitcnt vmcnt(0)
	v_lshlrev_b32_e32 v1, 24, v1
	v_and_b32_e32 v3, 0x7f000000, v1
	v_ffbh_u32_e32 v5, v3
	v_min_u32_e32 v5, 32, v5
	v_sub_u32_e64 v5, v5, 4 clamp
	v_lshlrev_b32_e32 v11, v5, v3
	v_lshlrev_b32_e32 v5, 23, v5
	v_lshrrev_b32_e32 v11, 4, v11
	v_add_u32_e32 v9, 0x1000000, v3
	v_sub_u32_e32 v5, v11, v5
	v_ashrrev_i32_e32 v9, 8, v9
	v_add_u32_e32 v5, 0x3c000000, v5
	v_and_or_b32 v5, v9, s8, v5
	v_cmp_ne_u32_e32 vcc, 0, v3
	s_brev_b32 s8, 1
	s_nop 0
	v_cndmask_b32_e32 v3, 0, v5, vcc
	v_and_or_b32 v5, v1, s8, v3
.LBB201_1334:
	s_mov_b64 s[8:9], 0
.LBB201_1335:
	s_andn2_b64 vcc, exec, s[8:9]
	s_cbranch_vccnz .LBB201_1337
; %bb.1336:
	global_load_ubyte v1, v[12:13], off
	s_movk_i32 s8, 0x7f00
	s_brev_b32 s9, 16
	s_waitcnt vmcnt(0)
	v_lshlrev_b16_e32 v3, 8, v1
	v_lshlrev_b32_e32 v1, 25, v1
	v_lshrrev_b32_e32 v5, 4, v1
	v_and_or_b32 v9, v3, s8, 0.5
	v_or_b32_e32 v5, 0x70000000, v5
	v_add_f32_e32 v9, -0.5, v9
	v_mul_f32_e32 v5, 0x7800000, v5
	v_cmp_gt_u32_e32 vcc, s9, v1
	v_bfe_i32 v3, v3, 0, 16
	s_brev_b32 s8, 1
	v_cndmask_b32_e32 v1, v5, v9, vcc
	v_and_or_b32 v5, v3, s8, v1
.LBB201_1337:
	s_mov_b64 s[8:9], 0
	s_mov_b64 s[10:11], -1
.LBB201_1338:
	s_andn2_b64 vcc, exec, s[8:9]
	s_mov_b64 s[8:9], 0
	s_cbranch_vccnz .LBB201_1349
; %bb.1339:
	s_cmp_gt_i32 s18, 14
	s_cbranch_scc0 .LBB201_1342
; %bb.1340:
	s_cmp_eq_u32 s18, 15
	s_cbranch_scc0 .LBB201_1345
; %bb.1341:
	global_load_ushort v1, v[12:13], off
	s_mov_b64 s[0:1], 0
	s_mov_b64 s[10:11], -1
	s_waitcnt vmcnt(0)
	v_lshlrev_b32_e32 v5, 16, v1
	s_branch .LBB201_1346
.LBB201_1342:
	s_mov_b64 s[12:13], -1
                                        ; implicit-def: $vgpr5
	s_branch .LBB201_1347
.LBB201_1343:
	s_or_saveexec_b64 s[10:11], s[10:11]
	v_mov_b32_e32 v5, 0x7f800001
	s_xor_b64 exec, exec, s[10:11]
	s_cbranch_execz .LBB201_1324
.LBB201_1344:
	v_cmp_ne_u16_e32 vcc, 0, v1
	s_andn2_b64 s[8:9], s[8:9], exec
	s_and_b64 s[12:13], vcc, exec
	v_mov_b32_e32 v5, 0
	s_or_b64 s[8:9], s[8:9], s[12:13]
	s_or_b64 exec, exec, s[10:11]
	s_and_saveexec_b64 s[10:11], s[8:9]
	s_cbranch_execnz .LBB201_1325
	s_branch .LBB201_1326
.LBB201_1345:
	s_mov_b64 s[0:1], -1
                                        ; implicit-def: $vgpr5
.LBB201_1346:
	s_mov_b64 s[12:13], 0
.LBB201_1347:
	s_and_b64 vcc, exec, s[12:13]
	s_cbranch_vccz .LBB201_1349
; %bb.1348:
	s_cmp_lg_u32 s18, 11
	s_mov_b64 s[8:9], -1
	s_cselect_b64 s[0:1], -1, 0
.LBB201_1349:
	s_and_b64 vcc, exec, s[0:1]
	s_cbranch_vccnz .LBB201_1412
; %bb.1350:
	s_andn2_b64 vcc, exec, s[8:9]
	s_cbranch_vccnz .LBB201_1352
.LBB201_1351:
	global_load_ubyte v1, v[12:13], off
	s_mov_b64 s[10:11], -1
	s_waitcnt vmcnt(0)
	v_cmp_ne_u16_e32 vcc, 0, v1
	s_nop 1
	v_cndmask_b32_e64 v5, 0, 1.0, vcc
.LBB201_1352:
	s_branch .LBB201_1279
.LBB201_1353:
	s_and_b32 s8, 0xffff, s17
	s_cmp_lt_i32 s8, 5
	s_cbranch_scc1 .LBB201_1358
; %bb.1354:
	s_cmp_lt_i32 s8, 8
	s_cbranch_scc1 .LBB201_1359
; %bb.1355:
	;; [unrolled: 3-line block ×3, first 2 shown]
	s_cmp_gt_i32 s8, 9
	s_cbranch_scc0 .LBB201_1361
; %bb.1357:
	global_load_dwordx2 v[14:15], v[12:13], off
	s_mov_b64 s[0:1], 0
	s_waitcnt vmcnt(0)
	v_cvt_f32_f64_e32 v5, v[14:15]
	s_branch .LBB201_1362
.LBB201_1358:
                                        ; implicit-def: $vgpr5
	s_branch .LBB201_1380
.LBB201_1359:
	s_mov_b64 s[0:1], -1
                                        ; implicit-def: $vgpr5
	s_branch .LBB201_1368
.LBB201_1360:
	s_mov_b64 s[0:1], -1
                                        ; implicit-def: $vgpr5
	s_branch .LBB201_1365
.LBB201_1361:
	s_mov_b64 s[0:1], -1
                                        ; implicit-def: $vgpr5
.LBB201_1362:
	s_andn2_b64 vcc, exec, s[0:1]
	s_cbranch_vccnz .LBB201_1364
; %bb.1363:
	global_load_dword v5, v[12:13], off
.LBB201_1364:
	s_mov_b64 s[0:1], 0
.LBB201_1365:
	s_andn2_b64 vcc, exec, s[0:1]
	s_cbranch_vccnz .LBB201_1367
; %bb.1366:
	global_load_dword v1, v[12:13], off
	s_waitcnt vmcnt(0)
	v_cvt_f32_f16_e32 v5, v1
.LBB201_1367:
	s_mov_b64 s[0:1], 0
.LBB201_1368:
	s_andn2_b64 vcc, exec, s[0:1]
	s_cbranch_vccnz .LBB201_1379
; %bb.1369:
	s_cmp_lt_i32 s8, 6
	s_cbranch_scc1 .LBB201_1372
; %bb.1370:
	s_cmp_gt_i32 s8, 6
	s_cbranch_scc0 .LBB201_1373
; %bb.1371:
	global_load_dwordx2 v[14:15], v[12:13], off
	s_mov_b64 s[0:1], 0
	s_waitcnt vmcnt(0)
	v_cvt_f32_f64_e32 v5, v[14:15]
	s_branch .LBB201_1374
.LBB201_1372:
	s_mov_b64 s[0:1], -1
                                        ; implicit-def: $vgpr5
	s_branch .LBB201_1377
.LBB201_1373:
	s_mov_b64 s[0:1], -1
                                        ; implicit-def: $vgpr5
.LBB201_1374:
	s_andn2_b64 vcc, exec, s[0:1]
	s_cbranch_vccnz .LBB201_1376
; %bb.1375:
	global_load_dword v5, v[12:13], off
.LBB201_1376:
	s_mov_b64 s[0:1], 0
.LBB201_1377:
	s_andn2_b64 vcc, exec, s[0:1]
	s_cbranch_vccnz .LBB201_1379
; %bb.1378:
	global_load_ushort v1, v[12:13], off
	s_waitcnt vmcnt(0)
	v_cvt_f32_f16_e32 v5, v1
.LBB201_1379:
	s_cbranch_execnz .LBB201_1399
.LBB201_1380:
	s_cmp_lt_i32 s8, 2
	s_cbranch_scc1 .LBB201_1384
; %bb.1381:
	s_cmp_lt_i32 s8, 3
	s_cbranch_scc1 .LBB201_1385
; %bb.1382:
	s_cmp_gt_i32 s8, 3
	s_cbranch_scc0 .LBB201_1386
; %bb.1383:
	global_load_dwordx2 v[14:15], v[12:13], off
	s_mov_b64 s[0:1], 0
	s_waitcnt vmcnt(0)
	v_xor_b32_e32 v3, v14, v15
	v_ffbh_i32_e32 v1, v15
	v_ashrrev_i32_e32 v3, 31, v3
	v_add_u32_e32 v1, -1, v1
	v_add_u32_e32 v3, 32, v3
	v_min_u32_e32 v1, v1, v3
	v_lshlrev_b64 v[14:15], v1, v[14:15]
	v_min_u32_e32 v3, 1, v14
	v_or_b32_e32 v3, v15, v3
	v_cvt_f32_i32_e32 v3, v3
	v_sub_u32_e32 v1, 32, v1
	v_ldexp_f32 v5, v3, v1
	s_branch .LBB201_1387
.LBB201_1384:
	s_mov_b64 s[0:1], -1
                                        ; implicit-def: $vgpr5
	s_branch .LBB201_1393
.LBB201_1385:
	s_mov_b64 s[0:1], -1
                                        ; implicit-def: $vgpr5
	s_branch .LBB201_1390
.LBB201_1386:
	s_mov_b64 s[0:1], -1
                                        ; implicit-def: $vgpr5
.LBB201_1387:
	s_andn2_b64 vcc, exec, s[0:1]
	s_cbranch_vccnz .LBB201_1389
; %bb.1388:
	global_load_dword v1, v[12:13], off
	s_waitcnt vmcnt(0)
	v_cvt_f32_i32_e32 v5, v1
.LBB201_1389:
	s_mov_b64 s[0:1], 0
.LBB201_1390:
	s_andn2_b64 vcc, exec, s[0:1]
	s_cbranch_vccnz .LBB201_1392
; %bb.1391:
	global_load_sshort v1, v[12:13], off
	s_waitcnt vmcnt(0)
	v_cvt_f32_i32_e32 v5, v1
.LBB201_1392:
	s_mov_b64 s[0:1], 0
.LBB201_1393:
	s_andn2_b64 vcc, exec, s[0:1]
	s_cbranch_vccnz .LBB201_1399
; %bb.1394:
	s_cmp_gt_i32 s8, 0
	s_cbranch_scc0 .LBB201_1396
; %bb.1395:
	global_load_sbyte v1, v[12:13], off
	s_mov_b64 s[0:1], 0
	s_waitcnt vmcnt(0)
	v_cvt_f32_i32_e32 v5, v1
	s_branch .LBB201_1397
.LBB201_1396:
	s_mov_b64 s[0:1], -1
                                        ; implicit-def: $vgpr5
.LBB201_1397:
	s_andn2_b64 vcc, exec, s[0:1]
	s_cbranch_vccnz .LBB201_1399
; %bb.1398:
	global_load_ubyte v1, v[12:13], off
	s_waitcnt vmcnt(0)
	v_cvt_f32_ubyte0_e32 v5, v1
.LBB201_1399:
.LBB201_1400:
	v_mov_b32_e32 v11, 0
	s_cmp_lt_i32 s17, 11
	v_lshl_add_u64 v[10:11], s[6:7], 0, v[10:11]
	s_cbranch_scc1 .LBB201_1407
; %bb.1401:
	s_and_b32 s18, 0xffff, s17
	s_cmp_gt_i32 s18, 25
	s_mov_b64 s[8:9], 0
	s_cbranch_scc0 .LBB201_1409
; %bb.1402:
	s_cmp_gt_i32 s18, 28
	s_cbranch_scc0 .LBB201_1410
; %bb.1403:
	s_cmp_gt_i32 s18, 43
	;; [unrolled: 3-line block ×3, first 2 shown]
	s_cbranch_scc0 .LBB201_1413
; %bb.1405:
	s_cmp_eq_u32 s18, 46
	s_mov_b64 s[12:13], 0
	s_cbranch_scc0 .LBB201_1414
; %bb.1406:
	global_load_dword v1, v[10:11], off
	s_mov_b64 s[0:1], 0
	s_mov_b64 s[10:11], -1
	s_waitcnt vmcnt(0)
	v_lshlrev_b32_e32 v3, 16, v1
	s_branch .LBB201_1415
.LBB201_1407:
	s_mov_b64 s[10:11], 0
                                        ; implicit-def: $vgpr3
	s_cbranch_execnz .LBB201_1481
.LBB201_1408:
	s_andn2_b64 vcc, exec, s[10:11]
	s_cbranch_vccnz .LBB201_2092
	s_branch .LBB201_1529
.LBB201_1409:
	s_mov_b64 s[12:13], -1
	s_mov_b64 s[10:11], 0
	s_mov_b64 s[0:1], 0
                                        ; implicit-def: $vgpr3
	s_branch .LBB201_1444
.LBB201_1410:
	s_mov_b64 s[12:13], -1
	s_mov_b64 s[10:11], 0
	s_mov_b64 s[0:1], 0
                                        ; implicit-def: $vgpr3
	s_branch .LBB201_1425
.LBB201_1411:
	s_mov_b64 s[12:13], -1
	s_mov_b64 s[10:11], 0
	s_mov_b64 s[0:1], 0
                                        ; implicit-def: $vgpr3
	s_branch .LBB201_1420
.LBB201_1412:
	s_trap 2
	s_or_b64 s[2:3], s[2:3], exec
	s_cbranch_execz .LBB201_1351
	s_branch .LBB201_1352
.LBB201_1413:
	s_mov_b64 s[12:13], -1
	s_mov_b64 s[10:11], 0
	s_mov_b64 s[0:1], 0
                                        ; implicit-def: $vgpr3
	s_branch .LBB201_1415
.LBB201_1414:
	s_mov_b64 s[0:1], -1
                                        ; implicit-def: $vgpr3
	s_mov_b64 s[10:11], 0
.LBB201_1415:
	s_and_b64 vcc, exec, s[12:13]
	s_cbranch_vccz .LBB201_1419
; %bb.1416:
	s_cmp_eq_u32 s18, 44
	s_cbranch_scc0 .LBB201_1418
; %bb.1417:
	global_load_ubyte v1, v[10:11], off
	s_movk_i32 s10, 0xff
	v_mov_b32_e32 v3, 0x7f800001
	v_mov_b32_e32 v9, 0x400000
	s_mov_b64 s[0:1], 0
	s_waitcnt vmcnt(0)
	v_lshlrev_b32_e32 v12, 23, v1
	v_cmp_ne_u32_e32 vcc, s10, v1
	s_mov_b64 s[10:11], -1
	s_nop 0
	v_cndmask_b32_e32 v3, v3, v12, vcc
	v_cmp_ne_u32_e32 vcc, 0, v1
	s_nop 1
	v_cndmask_b32_e32 v3, v9, v3, vcc
	s_branch .LBB201_1419
.LBB201_1418:
	s_mov_b64 s[0:1], -1
                                        ; implicit-def: $vgpr3
.LBB201_1419:
	s_mov_b64 s[12:13], 0
.LBB201_1420:
	s_and_b64 vcc, exec, s[12:13]
	s_cbranch_vccz .LBB201_1424
; %bb.1421:
	s_cmp_eq_u32 s18, 29
	s_cbranch_scc0 .LBB201_1423
; %bb.1422:
	global_load_dwordx2 v[12:13], v[10:11], off
	s_mov_b64 s[0:1], 0
	s_mov_b64 s[10:11], -1
	s_mov_b64 s[12:13], 0
	s_waitcnt vmcnt(0)
	v_ffbh_u32_e32 v1, v13
	v_min_u32_e32 v1, 32, v1
	v_lshlrev_b64 v[12:13], v1, v[12:13]
	v_min_u32_e32 v3, 1, v12
	v_or_b32_e32 v3, v13, v3
	v_cvt_f32_u32_e32 v3, v3
	v_sub_u32_e32 v1, 32, v1
	v_ldexp_f32 v3, v3, v1
	s_branch .LBB201_1425
.LBB201_1423:
	s_mov_b64 s[0:1], -1
                                        ; implicit-def: $vgpr3
.LBB201_1424:
	s_mov_b64 s[12:13], 0
.LBB201_1425:
	s_and_b64 vcc, exec, s[12:13]
	s_cbranch_vccz .LBB201_1443
; %bb.1426:
	s_cmp_lt_i32 s18, 27
	s_cbranch_scc1 .LBB201_1429
; %bb.1427:
	s_cmp_gt_i32 s18, 27
	s_cbranch_scc0 .LBB201_1430
; %bb.1428:
	global_load_dword v1, v[10:11], off
	s_mov_b64 s[10:11], 0
	s_waitcnt vmcnt(0)
	v_cvt_f32_u32_e32 v3, v1
	s_branch .LBB201_1431
.LBB201_1429:
	s_mov_b64 s[10:11], -1
                                        ; implicit-def: $vgpr3
	s_branch .LBB201_1434
.LBB201_1430:
	s_mov_b64 s[10:11], -1
                                        ; implicit-def: $vgpr3
.LBB201_1431:
	s_andn2_b64 vcc, exec, s[10:11]
	s_cbranch_vccnz .LBB201_1433
; %bb.1432:
	global_load_ushort v1, v[10:11], off
	s_waitcnt vmcnt(0)
	v_cvt_f32_u32_e32 v3, v1
.LBB201_1433:
	s_mov_b64 s[10:11], 0
.LBB201_1434:
	s_andn2_b64 vcc, exec, s[10:11]
	s_cbranch_vccnz .LBB201_1442
; %bb.1435:
	global_load_ubyte v1, v[10:11], off
	s_movk_i32 s10, 0x7f
	s_waitcnt vmcnt(0)
	v_cmp_lt_i16_e32 vcc, s10, v1
	s_mov_b64 s[10:11], 0
	s_and_saveexec_b64 s[12:13], vcc
	s_xor_b64 s[12:13], exec, s[12:13]
	s_cbranch_execz .LBB201_1456
; %bb.1436:
	s_movk_i32 s10, 0x80
	v_cmp_eq_u16_e32 vcc, s10, v1
	s_mov_b64 s[10:11], -1
	s_and_saveexec_b64 s[14:15], vcc
; %bb.1437:
	s_xor_b64 s[10:11], exec, -1
; %bb.1438:
	s_or_b64 exec, exec, s[14:15]
	s_and_b64 s[10:11], s[10:11], exec
	s_or_saveexec_b64 s[12:13], s[12:13]
	v_mov_b32_e32 v3, 0x7f800001
	s_xor_b64 exec, exec, s[12:13]
	s_cbranch_execnz .LBB201_1457
.LBB201_1439:
	s_or_b64 exec, exec, s[12:13]
	s_and_saveexec_b64 s[12:13], s[10:11]
	s_cbranch_execz .LBB201_1441
.LBB201_1440:
	v_lshlrev_b32_e32 v3, 24, v1
	v_and_b32_e32 v1, 0xffff, v1
	v_and_b32_e32 v9, 7, v1
	v_ffbh_u32_e32 v13, v9
	v_min_u32_e32 v13, 32, v13
	v_subrev_u32_e32 v14, 28, v13
	v_bfe_u32 v12, v1, 3, 4
	v_lshlrev_b32_e32 v1, v14, v1
	v_sub_u32_e32 v13, 29, v13
	v_and_b32_e32 v1, 7, v1
	v_cmp_eq_u32_e32 vcc, 0, v12
	v_and_b32_e32 v3, 0x80000000, v3
	s_nop 0
	v_cndmask_b32_e32 v12, v12, v13, vcc
	v_cndmask_b32_e32 v1, v9, v1, vcc
	v_mov_b32_e32 v9, 0x3b800000
	v_lshlrev_b32_e32 v1, 20, v1
	v_lshl_add_u32 v9, v12, 23, v9
	v_or3_b32 v3, v3, v9, v1
.LBB201_1441:
	s_or_b64 exec, exec, s[12:13]
.LBB201_1442:
	s_mov_b64 s[10:11], -1
.LBB201_1443:
	s_mov_b64 s[12:13], 0
.LBB201_1444:
	s_and_b64 vcc, exec, s[12:13]
	s_cbranch_vccz .LBB201_1477
; %bb.1445:
	s_cmp_gt_i32 s18, 22
	s_cbranch_scc0 .LBB201_1455
; %bb.1446:
	s_cmp_lt_i32 s18, 24
	s_cbranch_scc1 .LBB201_1458
; %bb.1447:
	s_cmp_gt_i32 s18, 24
	s_cbranch_scc0 .LBB201_1459
; %bb.1448:
	global_load_ubyte v1, v[10:11], off
	s_movk_i32 s8, 0x7f
	s_waitcnt vmcnt(0)
	v_cmp_lt_i16_e32 vcc, s8, v1
	s_mov_b64 s[8:9], 0
	s_and_saveexec_b64 s[10:11], vcc
	s_xor_b64 s[10:11], exec, s[10:11]
	s_cbranch_execz .LBB201_1471
; %bb.1449:
	s_movk_i32 s8, 0x80
	v_cmp_eq_u16_e32 vcc, s8, v1
	s_mov_b64 s[8:9], -1
	s_and_saveexec_b64 s[12:13], vcc
; %bb.1450:
	s_xor_b64 s[8:9], exec, -1
; %bb.1451:
	s_or_b64 exec, exec, s[12:13]
	s_and_b64 s[8:9], s[8:9], exec
	s_or_saveexec_b64 s[10:11], s[10:11]
	v_mov_b32_e32 v3, 0x7f800001
	s_xor_b64 exec, exec, s[10:11]
	s_cbranch_execnz .LBB201_1472
.LBB201_1452:
	s_or_b64 exec, exec, s[10:11]
	s_and_saveexec_b64 s[10:11], s[8:9]
	s_cbranch_execz .LBB201_1454
.LBB201_1453:
	v_lshlrev_b32_e32 v3, 24, v1
	v_and_b32_e32 v1, 0xffff, v1
	v_and_b32_e32 v9, 3, v1
	v_ffbh_u32_e32 v13, v9
	v_min_u32_e32 v13, 32, v13
	v_subrev_u32_e32 v14, 29, v13
	v_bfe_u32 v12, v1, 2, 5
	v_lshlrev_b32_e32 v1, v14, v1
	v_sub_u32_e32 v13, 30, v13
	v_and_b32_e32 v1, 3, v1
	v_cmp_eq_u32_e32 vcc, 0, v12
	v_and_b32_e32 v3, 0x80000000, v3
	s_nop 0
	v_cndmask_b32_e32 v12, v12, v13, vcc
	v_cndmask_b32_e32 v1, v9, v1, vcc
	v_mov_b32_e32 v9, 0x37800000
	v_lshlrev_b32_e32 v1, 21, v1
	v_lshl_add_u32 v9, v12, 23, v9
	v_or3_b32 v3, v3, v9, v1
.LBB201_1454:
	s_or_b64 exec, exec, s[10:11]
	s_mov_b64 s[8:9], 0
	s_branch .LBB201_1460
.LBB201_1455:
	s_mov_b64 s[8:9], -1
                                        ; implicit-def: $vgpr3
	s_branch .LBB201_1466
.LBB201_1456:
	s_or_saveexec_b64 s[12:13], s[12:13]
	v_mov_b32_e32 v3, 0x7f800001
	s_xor_b64 exec, exec, s[12:13]
	s_cbranch_execz .LBB201_1439
.LBB201_1457:
	v_cmp_ne_u16_e32 vcc, 0, v1
	s_andn2_b64 s[10:11], s[10:11], exec
	s_and_b64 s[14:15], vcc, exec
	v_mov_b32_e32 v3, 0
	s_or_b64 s[10:11], s[10:11], s[14:15]
	s_or_b64 exec, exec, s[12:13]
	s_and_saveexec_b64 s[12:13], s[10:11]
	s_cbranch_execnz .LBB201_1440
	s_branch .LBB201_1441
.LBB201_1458:
	s_mov_b64 s[8:9], -1
                                        ; implicit-def: $vgpr3
	s_branch .LBB201_1463
.LBB201_1459:
	s_mov_b64 s[8:9], -1
                                        ; implicit-def: $vgpr3
.LBB201_1460:
	s_and_b64 vcc, exec, s[8:9]
	s_cbranch_vccz .LBB201_1462
; %bb.1461:
	global_load_ubyte v1, v[10:11], off
	s_mov_b32 s8, 0x7f800000
	s_waitcnt vmcnt(0)
	v_lshlrev_b32_e32 v1, 24, v1
	v_and_b32_e32 v3, 0x7f000000, v1
	v_ffbh_u32_e32 v9, v3
	v_min_u32_e32 v9, 32, v9
	v_sub_u32_e64 v9, v9, 4 clamp
	v_lshlrev_b32_e32 v13, v9, v3
	v_lshlrev_b32_e32 v9, 23, v9
	v_lshrrev_b32_e32 v13, 4, v13
	v_add_u32_e32 v12, 0x1000000, v3
	v_sub_u32_e32 v9, v13, v9
	v_ashrrev_i32_e32 v12, 8, v12
	v_add_u32_e32 v9, 0x3c000000, v9
	v_and_or_b32 v9, v12, s8, v9
	v_cmp_ne_u32_e32 vcc, 0, v3
	s_brev_b32 s8, 1
	s_nop 0
	v_cndmask_b32_e32 v3, 0, v9, vcc
	v_and_or_b32 v3, v1, s8, v3
.LBB201_1462:
	s_mov_b64 s[8:9], 0
.LBB201_1463:
	s_andn2_b64 vcc, exec, s[8:9]
	s_cbranch_vccnz .LBB201_1465
; %bb.1464:
	global_load_ubyte v1, v[10:11], off
	s_movk_i32 s8, 0x7f00
	s_brev_b32 s9, 16
	s_waitcnt vmcnt(0)
	v_lshlrev_b16_e32 v3, 8, v1
	v_lshlrev_b32_e32 v1, 25, v1
	v_lshrrev_b32_e32 v9, 4, v1
	v_and_or_b32 v12, v3, s8, 0.5
	v_or_b32_e32 v9, 0x70000000, v9
	v_add_f32_e32 v12, -0.5, v12
	v_mul_f32_e32 v9, 0x7800000, v9
	v_cmp_gt_u32_e32 vcc, s9, v1
	v_bfe_i32 v3, v3, 0, 16
	s_brev_b32 s8, 1
	v_cndmask_b32_e32 v1, v9, v12, vcc
	v_and_or_b32 v3, v3, s8, v1
.LBB201_1465:
	s_mov_b64 s[8:9], 0
	s_mov_b64 s[10:11], -1
.LBB201_1466:
	s_andn2_b64 vcc, exec, s[8:9]
	s_mov_b64 s[8:9], 0
	s_cbranch_vccnz .LBB201_1477
; %bb.1467:
	s_cmp_gt_i32 s18, 14
	s_cbranch_scc0 .LBB201_1470
; %bb.1468:
	s_cmp_eq_u32 s18, 15
	s_cbranch_scc0 .LBB201_1473
; %bb.1469:
	global_load_ushort v1, v[10:11], off
	s_mov_b64 s[0:1], 0
	s_mov_b64 s[10:11], -1
	s_waitcnt vmcnt(0)
	v_lshlrev_b32_e32 v3, 16, v1
	s_branch .LBB201_1474
.LBB201_1470:
	s_mov_b64 s[12:13], -1
                                        ; implicit-def: $vgpr3
	s_branch .LBB201_1475
.LBB201_1471:
	s_or_saveexec_b64 s[10:11], s[10:11]
	v_mov_b32_e32 v3, 0x7f800001
	s_xor_b64 exec, exec, s[10:11]
	s_cbranch_execz .LBB201_1452
.LBB201_1472:
	v_cmp_ne_u16_e32 vcc, 0, v1
	s_andn2_b64 s[8:9], s[8:9], exec
	s_and_b64 s[12:13], vcc, exec
	v_mov_b32_e32 v3, 0
	s_or_b64 s[8:9], s[8:9], s[12:13]
	s_or_b64 exec, exec, s[10:11]
	s_and_saveexec_b64 s[10:11], s[8:9]
	s_cbranch_execnz .LBB201_1453
	s_branch .LBB201_1454
.LBB201_1473:
	s_mov_b64 s[0:1], -1
                                        ; implicit-def: $vgpr3
.LBB201_1474:
	s_mov_b64 s[12:13], 0
.LBB201_1475:
	s_and_b64 vcc, exec, s[12:13]
	s_cbranch_vccz .LBB201_1477
; %bb.1476:
	s_cmp_lg_u32 s18, 11
	s_mov_b64 s[8:9], -1
	s_cselect_b64 s[0:1], -1, 0
.LBB201_1477:
	s_and_b64 vcc, exec, s[0:1]
	s_cbranch_vccnz .LBB201_1540
; %bb.1478:
	s_andn2_b64 vcc, exec, s[8:9]
	s_cbranch_vccnz .LBB201_1480
.LBB201_1479:
	global_load_ubyte v1, v[10:11], off
	s_mov_b64 s[10:11], -1
	s_waitcnt vmcnt(0)
	v_cmp_ne_u16_e32 vcc, 0, v1
	s_nop 1
	v_cndmask_b32_e64 v3, 0, 1.0, vcc
.LBB201_1480:
	s_branch .LBB201_1408
.LBB201_1481:
	s_and_b32 s8, 0xffff, s17
	s_cmp_lt_i32 s8, 5
	s_cbranch_scc1 .LBB201_1486
; %bb.1482:
	s_cmp_lt_i32 s8, 8
	s_cbranch_scc1 .LBB201_1487
; %bb.1483:
	;; [unrolled: 3-line block ×3, first 2 shown]
	s_cmp_gt_i32 s8, 9
	s_cbranch_scc0 .LBB201_1489
; %bb.1485:
	global_load_dwordx2 v[12:13], v[10:11], off
	s_mov_b64 s[0:1], 0
	s_waitcnt vmcnt(0)
	v_cvt_f32_f64_e32 v3, v[12:13]
	s_branch .LBB201_1490
.LBB201_1486:
	s_mov_b64 s[0:1], -1
                                        ; implicit-def: $vgpr3
	s_branch .LBB201_1508
.LBB201_1487:
	s_mov_b64 s[0:1], -1
                                        ; implicit-def: $vgpr3
	s_branch .LBB201_1496
.LBB201_1488:
	s_mov_b64 s[0:1], -1
                                        ; implicit-def: $vgpr3
	s_branch .LBB201_1493
.LBB201_1489:
	s_mov_b64 s[0:1], -1
                                        ; implicit-def: $vgpr3
.LBB201_1490:
	s_andn2_b64 vcc, exec, s[0:1]
	s_cbranch_vccnz .LBB201_1492
; %bb.1491:
	global_load_dword v3, v[10:11], off
.LBB201_1492:
	s_mov_b64 s[0:1], 0
.LBB201_1493:
	s_andn2_b64 vcc, exec, s[0:1]
	s_cbranch_vccnz .LBB201_1495
; %bb.1494:
	global_load_dword v1, v[10:11], off
	s_waitcnt vmcnt(0)
	v_cvt_f32_f16_e32 v3, v1
.LBB201_1495:
	s_mov_b64 s[0:1], 0
.LBB201_1496:
	s_andn2_b64 vcc, exec, s[0:1]
	s_cbranch_vccnz .LBB201_1507
; %bb.1497:
	s_cmp_lt_i32 s8, 6
	s_cbranch_scc1 .LBB201_1500
; %bb.1498:
	s_cmp_gt_i32 s8, 6
	s_cbranch_scc0 .LBB201_1501
; %bb.1499:
	global_load_dwordx2 v[12:13], v[10:11], off
	s_mov_b64 s[0:1], 0
	s_waitcnt vmcnt(0)
	v_cvt_f32_f64_e32 v3, v[12:13]
	s_branch .LBB201_1502
.LBB201_1500:
	s_mov_b64 s[0:1], -1
                                        ; implicit-def: $vgpr3
	s_branch .LBB201_1505
.LBB201_1501:
	s_mov_b64 s[0:1], -1
                                        ; implicit-def: $vgpr3
.LBB201_1502:
	s_andn2_b64 vcc, exec, s[0:1]
	s_cbranch_vccnz .LBB201_1504
; %bb.1503:
	global_load_dword v3, v[10:11], off
.LBB201_1504:
	s_mov_b64 s[0:1], 0
.LBB201_1505:
	s_andn2_b64 vcc, exec, s[0:1]
	s_cbranch_vccnz .LBB201_1507
; %bb.1506:
	global_load_ushort v1, v[10:11], off
	s_waitcnt vmcnt(0)
	v_cvt_f32_f16_e32 v3, v1
.LBB201_1507:
	s_mov_b64 s[0:1], 0
.LBB201_1508:
	s_andn2_b64 vcc, exec, s[0:1]
	s_cbranch_vccnz .LBB201_1528
; %bb.1509:
	s_cmp_lt_i32 s8, 2
	s_cbranch_scc1 .LBB201_1513
; %bb.1510:
	s_cmp_lt_i32 s8, 3
	s_cbranch_scc1 .LBB201_1514
; %bb.1511:
	s_cmp_gt_i32 s8, 3
	s_cbranch_scc0 .LBB201_1515
; %bb.1512:
	global_load_dwordx2 v[12:13], v[10:11], off
	s_mov_b64 s[0:1], 0
	s_waitcnt vmcnt(0)
	v_xor_b32_e32 v3, v12, v13
	v_ffbh_i32_e32 v1, v13
	v_ashrrev_i32_e32 v3, 31, v3
	v_add_u32_e32 v1, -1, v1
	v_add_u32_e32 v3, 32, v3
	v_min_u32_e32 v1, v1, v3
	v_lshlrev_b64 v[12:13], v1, v[12:13]
	v_min_u32_e32 v3, 1, v12
	v_or_b32_e32 v3, v13, v3
	v_cvt_f32_i32_e32 v3, v3
	v_sub_u32_e32 v1, 32, v1
	v_ldexp_f32 v3, v3, v1
	s_branch .LBB201_1516
.LBB201_1513:
	s_mov_b64 s[0:1], -1
                                        ; implicit-def: $vgpr3
	s_branch .LBB201_1522
.LBB201_1514:
	s_mov_b64 s[0:1], -1
                                        ; implicit-def: $vgpr3
	s_branch .LBB201_1519
.LBB201_1515:
	s_mov_b64 s[0:1], -1
                                        ; implicit-def: $vgpr3
.LBB201_1516:
	s_andn2_b64 vcc, exec, s[0:1]
	s_cbranch_vccnz .LBB201_1518
; %bb.1517:
	global_load_dword v1, v[10:11], off
	s_waitcnt vmcnt(0)
	v_cvt_f32_i32_e32 v3, v1
.LBB201_1518:
	s_mov_b64 s[0:1], 0
.LBB201_1519:
	s_andn2_b64 vcc, exec, s[0:1]
	s_cbranch_vccnz .LBB201_1521
; %bb.1520:
	global_load_sshort v1, v[10:11], off
	s_waitcnt vmcnt(0)
	v_cvt_f32_i32_e32 v3, v1
.LBB201_1521:
	s_mov_b64 s[0:1], 0
.LBB201_1522:
	s_andn2_b64 vcc, exec, s[0:1]
	s_cbranch_vccnz .LBB201_1528
; %bb.1523:
	s_cmp_gt_i32 s8, 0
	s_cbranch_scc0 .LBB201_1525
; %bb.1524:
	global_load_sbyte v1, v[10:11], off
	s_mov_b64 s[0:1], 0
	s_waitcnt vmcnt(0)
	v_cvt_f32_i32_e32 v3, v1
	s_branch .LBB201_1526
.LBB201_1525:
	s_mov_b64 s[0:1], -1
                                        ; implicit-def: $vgpr3
.LBB201_1526:
	s_andn2_b64 vcc, exec, s[0:1]
	s_cbranch_vccnz .LBB201_1528
; %bb.1527:
	global_load_ubyte v1, v[10:11], off
	s_waitcnt vmcnt(0)
	v_cvt_f32_ubyte0_e32 v3, v1
.LBB201_1528:
.LBB201_1529:
	v_mov_b32_e32 v9, 0
	s_cmp_lt_i32 s17, 11
	v_lshl_add_u64 v[8:9], s[6:7], 0, v[8:9]
	s_cbranch_scc1 .LBB201_1536
; %bb.1530:
	s_and_b32 s14, 0xffff, s17
	s_cmp_gt_i32 s14, 25
	s_mov_b64 s[6:7], 0
	s_cbranch_scc0 .LBB201_1537
; %bb.1531:
	s_cmp_gt_i32 s14, 28
	s_cbranch_scc0 .LBB201_1538
; %bb.1532:
	s_cmp_gt_i32 s14, 43
	;; [unrolled: 3-line block ×3, first 2 shown]
	s_cbranch_scc0 .LBB201_1541
; %bb.1534:
	s_cmp_eq_u32 s14, 46
	s_mov_b64 s[10:11], 0
	s_cbranch_scc0 .LBB201_1542
; %bb.1535:
	global_load_dword v1, v[8:9], off
	s_mov_b64 s[0:1], 0
	s_mov_b64 s[8:9], -1
	s_waitcnt vmcnt(0)
	v_lshlrev_b32_e32 v1, 16, v1
	s_branch .LBB201_1543
.LBB201_1536:
	s_mov_b64 s[0:1], -1
	s_mov_b64 s[8:9], 0
                                        ; implicit-def: $vgpr1
	s_branch .LBB201_1609
.LBB201_1537:
	s_mov_b64 s[10:11], -1
	s_mov_b64 s[8:9], 0
	s_mov_b64 s[0:1], 0
                                        ; implicit-def: $vgpr1
	s_branch .LBB201_1572
.LBB201_1538:
	s_mov_b64 s[10:11], -1
	s_mov_b64 s[8:9], 0
	s_mov_b64 s[0:1], 0
                                        ; implicit-def: $vgpr1
	s_branch .LBB201_1553
.LBB201_1539:
	s_mov_b64 s[10:11], -1
	s_mov_b64 s[8:9], 0
	s_mov_b64 s[0:1], 0
                                        ; implicit-def: $vgpr1
	s_branch .LBB201_1548
.LBB201_1540:
	s_trap 2
	s_or_b64 s[2:3], s[2:3], exec
	s_cbranch_execz .LBB201_1479
	s_branch .LBB201_1480
.LBB201_1541:
	s_mov_b64 s[10:11], -1
	s_mov_b64 s[8:9], 0
	s_mov_b64 s[0:1], 0
                                        ; implicit-def: $vgpr1
	s_branch .LBB201_1543
.LBB201_1542:
	s_mov_b64 s[0:1], -1
                                        ; implicit-def: $vgpr1
	s_mov_b64 s[8:9], 0
.LBB201_1543:
	s_and_b64 vcc, exec, s[10:11]
	s_cbranch_vccz .LBB201_1547
; %bb.1544:
	s_cmp_eq_u32 s14, 44
	s_cbranch_scc0 .LBB201_1546
; %bb.1545:
	global_load_ubyte v1, v[8:9], off
	s_movk_i32 s8, 0xff
	v_mov_b32_e32 v10, 0x7f800001
	v_mov_b32_e32 v11, 0x400000
	s_mov_b64 s[0:1], 0
	s_waitcnt vmcnt(0)
	v_lshlrev_b32_e32 v12, 23, v1
	v_cmp_ne_u32_e32 vcc, s8, v1
	s_mov_b64 s[8:9], -1
	s_nop 0
	v_cndmask_b32_e32 v10, v10, v12, vcc
	v_cmp_ne_u32_e32 vcc, 0, v1
	s_nop 1
	v_cndmask_b32_e32 v1, v11, v10, vcc
	s_branch .LBB201_1547
.LBB201_1546:
	s_mov_b64 s[0:1], -1
                                        ; implicit-def: $vgpr1
.LBB201_1547:
	s_mov_b64 s[10:11], 0
.LBB201_1548:
	s_and_b64 vcc, exec, s[10:11]
	s_cbranch_vccz .LBB201_1552
; %bb.1549:
	s_cmp_eq_u32 s14, 29
	s_cbranch_scc0 .LBB201_1551
; %bb.1550:
	global_load_dwordx2 v[10:11], v[8:9], off
	s_mov_b64 s[0:1], 0
	s_mov_b64 s[8:9], -1
	s_mov_b64 s[10:11], 0
	s_waitcnt vmcnt(0)
	v_ffbh_u32_e32 v1, v11
	v_min_u32_e32 v1, 32, v1
	v_lshlrev_b64 v[10:11], v1, v[10:11]
	v_min_u32_e32 v10, 1, v10
	v_or_b32_e32 v10, v11, v10
	v_cvt_f32_u32_e32 v10, v10
	v_sub_u32_e32 v1, 32, v1
	v_ldexp_f32 v1, v10, v1
	s_branch .LBB201_1553
.LBB201_1551:
	s_mov_b64 s[0:1], -1
                                        ; implicit-def: $vgpr1
.LBB201_1552:
	s_mov_b64 s[10:11], 0
.LBB201_1553:
	s_and_b64 vcc, exec, s[10:11]
	s_cbranch_vccz .LBB201_1571
; %bb.1554:
	s_cmp_lt_i32 s14, 27
	s_cbranch_scc1 .LBB201_1557
; %bb.1555:
	s_cmp_gt_i32 s14, 27
	s_cbranch_scc0 .LBB201_1558
; %bb.1556:
	global_load_dword v1, v[8:9], off
	s_mov_b64 s[8:9], 0
	s_waitcnt vmcnt(0)
	v_cvt_f32_u32_e32 v1, v1
	s_branch .LBB201_1559
.LBB201_1557:
	s_mov_b64 s[8:9], -1
                                        ; implicit-def: $vgpr1
	s_branch .LBB201_1562
.LBB201_1558:
	s_mov_b64 s[8:9], -1
                                        ; implicit-def: $vgpr1
.LBB201_1559:
	s_andn2_b64 vcc, exec, s[8:9]
	s_cbranch_vccnz .LBB201_1561
; %bb.1560:
	global_load_ushort v1, v[8:9], off
	s_waitcnt vmcnt(0)
	v_cvt_f32_u32_e32 v1, v1
.LBB201_1561:
	s_mov_b64 s[8:9], 0
.LBB201_1562:
	s_andn2_b64 vcc, exec, s[8:9]
	s_cbranch_vccnz .LBB201_1570
; %bb.1563:
	global_load_ubyte v10, v[8:9], off
	s_movk_i32 s8, 0x7f
	s_waitcnt vmcnt(0)
	v_cmp_lt_i16_e32 vcc, s8, v10
	s_mov_b64 s[8:9], 0
	s_and_saveexec_b64 s[10:11], vcc
	s_xor_b64 s[10:11], exec, s[10:11]
	s_cbranch_execz .LBB201_1584
; %bb.1564:
	s_movk_i32 s8, 0x80
	v_cmp_eq_u16_e32 vcc, s8, v10
	s_mov_b64 s[8:9], -1
	s_and_saveexec_b64 s[12:13], vcc
; %bb.1565:
	s_xor_b64 s[8:9], exec, -1
; %bb.1566:
	s_or_b64 exec, exec, s[12:13]
	s_and_b64 s[8:9], s[8:9], exec
	s_or_saveexec_b64 s[10:11], s[10:11]
	v_mov_b32_e32 v1, 0x7f800001
	s_xor_b64 exec, exec, s[10:11]
	s_cbranch_execnz .LBB201_1585
.LBB201_1567:
	s_or_b64 exec, exec, s[10:11]
	s_and_saveexec_b64 s[10:11], s[8:9]
	s_cbranch_execz .LBB201_1569
.LBB201_1568:
	v_lshlrev_b32_e32 v1, 24, v10
	v_and_b32_e32 v10, 0xffff, v10
	v_and_b32_e32 v11, 7, v10
	v_ffbh_u32_e32 v13, v11
	v_min_u32_e32 v13, 32, v13
	v_subrev_u32_e32 v14, 28, v13
	v_bfe_u32 v12, v10, 3, 4
	v_lshlrev_b32_e32 v10, v14, v10
	v_sub_u32_e32 v13, 29, v13
	v_and_b32_e32 v10, 7, v10
	v_cmp_eq_u32_e32 vcc, 0, v12
	v_and_b32_e32 v1, 0x80000000, v1
	s_nop 0
	v_cndmask_b32_e32 v12, v12, v13, vcc
	v_cndmask_b32_e32 v10, v11, v10, vcc
	v_mov_b32_e32 v11, 0x3b800000
	v_lshlrev_b32_e32 v10, 20, v10
	v_lshl_add_u32 v11, v12, 23, v11
	v_or3_b32 v1, v1, v11, v10
.LBB201_1569:
	s_or_b64 exec, exec, s[10:11]
.LBB201_1570:
	s_mov_b64 s[8:9], -1
.LBB201_1571:
	s_mov_b64 s[10:11], 0
.LBB201_1572:
	s_and_b64 vcc, exec, s[10:11]
	s_cbranch_vccz .LBB201_1605
; %bb.1573:
	s_cmp_gt_i32 s14, 22
	s_cbranch_scc0 .LBB201_1583
; %bb.1574:
	s_cmp_lt_i32 s14, 24
	s_cbranch_scc1 .LBB201_1586
; %bb.1575:
	s_cmp_gt_i32 s14, 24
	s_cbranch_scc0 .LBB201_1587
; %bb.1576:
	global_load_ubyte v10, v[8:9], off
	s_movk_i32 s6, 0x7f
	s_waitcnt vmcnt(0)
	v_cmp_lt_i16_e32 vcc, s6, v10
	s_mov_b64 s[6:7], 0
	s_and_saveexec_b64 s[8:9], vcc
	s_xor_b64 s[8:9], exec, s[8:9]
	s_cbranch_execz .LBB201_1599
; %bb.1577:
	s_movk_i32 s6, 0x80
	v_cmp_eq_u16_e32 vcc, s6, v10
	s_mov_b64 s[6:7], -1
	s_and_saveexec_b64 s[10:11], vcc
; %bb.1578:
	s_xor_b64 s[6:7], exec, -1
; %bb.1579:
	s_or_b64 exec, exec, s[10:11]
	s_and_b64 s[6:7], s[6:7], exec
	s_or_saveexec_b64 s[8:9], s[8:9]
	v_mov_b32_e32 v1, 0x7f800001
	s_xor_b64 exec, exec, s[8:9]
	s_cbranch_execnz .LBB201_1600
.LBB201_1580:
	s_or_b64 exec, exec, s[8:9]
	s_and_saveexec_b64 s[8:9], s[6:7]
	s_cbranch_execz .LBB201_1582
.LBB201_1581:
	v_lshlrev_b32_e32 v1, 24, v10
	v_and_b32_e32 v10, 0xffff, v10
	v_and_b32_e32 v11, 3, v10
	v_ffbh_u32_e32 v13, v11
	v_min_u32_e32 v13, 32, v13
	v_subrev_u32_e32 v14, 29, v13
	v_bfe_u32 v12, v10, 2, 5
	v_lshlrev_b32_e32 v10, v14, v10
	v_sub_u32_e32 v13, 30, v13
	v_and_b32_e32 v10, 3, v10
	v_cmp_eq_u32_e32 vcc, 0, v12
	v_and_b32_e32 v1, 0x80000000, v1
	s_nop 0
	v_cndmask_b32_e32 v12, v12, v13, vcc
	v_cndmask_b32_e32 v10, v11, v10, vcc
	v_mov_b32_e32 v11, 0x37800000
	v_lshlrev_b32_e32 v10, 21, v10
	v_lshl_add_u32 v11, v12, 23, v11
	v_or3_b32 v1, v1, v11, v10
.LBB201_1582:
	s_or_b64 exec, exec, s[8:9]
	s_mov_b64 s[6:7], 0
	s_branch .LBB201_1588
.LBB201_1583:
	s_mov_b64 s[6:7], -1
                                        ; implicit-def: $vgpr1
	s_branch .LBB201_1594
.LBB201_1584:
	s_or_saveexec_b64 s[10:11], s[10:11]
	v_mov_b32_e32 v1, 0x7f800001
	s_xor_b64 exec, exec, s[10:11]
	s_cbranch_execz .LBB201_1567
.LBB201_1585:
	v_cmp_ne_u16_e32 vcc, 0, v10
	s_andn2_b64 s[8:9], s[8:9], exec
	s_and_b64 s[12:13], vcc, exec
	v_mov_b32_e32 v1, 0
	s_or_b64 s[8:9], s[8:9], s[12:13]
	s_or_b64 exec, exec, s[10:11]
	s_and_saveexec_b64 s[10:11], s[8:9]
	s_cbranch_execnz .LBB201_1568
	s_branch .LBB201_1569
.LBB201_1586:
	s_mov_b64 s[6:7], -1
                                        ; implicit-def: $vgpr1
	s_branch .LBB201_1591
.LBB201_1587:
	s_mov_b64 s[6:7], -1
                                        ; implicit-def: $vgpr1
.LBB201_1588:
	s_and_b64 vcc, exec, s[6:7]
	s_cbranch_vccz .LBB201_1590
; %bb.1589:
	global_load_ubyte v1, v[8:9], off
	s_mov_b32 s6, 0x7f800000
	s_waitcnt vmcnt(0)
	v_lshlrev_b32_e32 v1, 24, v1
	v_and_b32_e32 v10, 0x7f000000, v1
	v_ffbh_u32_e32 v11, v10
	v_min_u32_e32 v11, 32, v11
	v_sub_u32_e64 v11, v11, 4 clamp
	v_lshlrev_b32_e32 v13, v11, v10
	v_lshlrev_b32_e32 v11, 23, v11
	v_lshrrev_b32_e32 v13, 4, v13
	v_add_u32_e32 v12, 0x1000000, v10
	v_sub_u32_e32 v11, v13, v11
	v_ashrrev_i32_e32 v12, 8, v12
	v_add_u32_e32 v11, 0x3c000000, v11
	v_and_or_b32 v11, v12, s6, v11
	v_cmp_ne_u32_e32 vcc, 0, v10
	s_brev_b32 s6, 1
	s_nop 0
	v_cndmask_b32_e32 v10, 0, v11, vcc
	v_and_or_b32 v1, v1, s6, v10
.LBB201_1590:
	s_mov_b64 s[6:7], 0
.LBB201_1591:
	s_andn2_b64 vcc, exec, s[6:7]
	s_cbranch_vccnz .LBB201_1593
; %bb.1592:
	global_load_ubyte v1, v[8:9], off
	s_movk_i32 s6, 0x7f00
	s_brev_b32 s7, 16
	s_waitcnt vmcnt(0)
	v_lshlrev_b16_e32 v10, 8, v1
	v_lshlrev_b32_e32 v1, 25, v1
	v_lshrrev_b32_e32 v11, 4, v1
	v_and_or_b32 v12, v10, s6, 0.5
	v_or_b32_e32 v11, 0x70000000, v11
	v_add_f32_e32 v12, -0.5, v12
	v_mul_f32_e32 v11, 0x7800000, v11
	v_cmp_gt_u32_e32 vcc, s7, v1
	v_bfe_i32 v10, v10, 0, 16
	s_brev_b32 s6, 1
	v_cndmask_b32_e32 v1, v11, v12, vcc
	v_and_or_b32 v1, v10, s6, v1
.LBB201_1593:
	s_mov_b64 s[6:7], 0
	s_mov_b64 s[8:9], -1
.LBB201_1594:
	s_andn2_b64 vcc, exec, s[6:7]
	s_mov_b64 s[6:7], 0
	s_cbranch_vccnz .LBB201_1605
; %bb.1595:
	s_cmp_gt_i32 s14, 14
	s_cbranch_scc0 .LBB201_1598
; %bb.1596:
	s_cmp_eq_u32 s14, 15
	s_cbranch_scc0 .LBB201_1601
; %bb.1597:
	global_load_ushort v1, v[8:9], off
	s_mov_b64 s[0:1], 0
	s_mov_b64 s[8:9], -1
	s_waitcnt vmcnt(0)
	v_lshlrev_b32_e32 v1, 16, v1
	s_branch .LBB201_1602
.LBB201_1598:
	s_mov_b64 s[10:11], -1
                                        ; implicit-def: $vgpr1
	s_branch .LBB201_1603
.LBB201_1599:
	s_or_saveexec_b64 s[8:9], s[8:9]
	v_mov_b32_e32 v1, 0x7f800001
	s_xor_b64 exec, exec, s[8:9]
	s_cbranch_execz .LBB201_1580
.LBB201_1600:
	v_cmp_ne_u16_e32 vcc, 0, v10
	s_andn2_b64 s[6:7], s[6:7], exec
	s_and_b64 s[10:11], vcc, exec
	v_mov_b32_e32 v1, 0
	s_or_b64 s[6:7], s[6:7], s[10:11]
	s_or_b64 exec, exec, s[8:9]
	s_and_saveexec_b64 s[8:9], s[6:7]
	s_cbranch_execnz .LBB201_1581
	s_branch .LBB201_1582
.LBB201_1601:
	s_mov_b64 s[0:1], -1
                                        ; implicit-def: $vgpr1
.LBB201_1602:
	s_mov_b64 s[10:11], 0
.LBB201_1603:
	s_and_b64 vcc, exec, s[10:11]
	s_cbranch_vccz .LBB201_1605
; %bb.1604:
	s_cmp_lg_u32 s14, 11
	s_mov_b64 s[6:7], -1
	s_cselect_b64 s[0:1], -1, 0
.LBB201_1605:
	s_and_b64 vcc, exec, s[0:1]
	s_cbranch_vccnz .LBB201_2138
; %bb.1606:
	s_andn2_b64 vcc, exec, s[6:7]
	s_cbranch_vccnz .LBB201_1608
.LBB201_1607:
	global_load_ubyte v1, v[8:9], off
	s_mov_b64 s[8:9], -1
	s_waitcnt vmcnt(0)
	v_cmp_ne_u16_e32 vcc, 0, v1
	s_nop 1
	v_cndmask_b32_e64 v1, 0, 1.0, vcc
.LBB201_1608:
	s_mov_b64 s[0:1], 0
.LBB201_1609:
	s_and_b64 vcc, exec, s[0:1]
	s_cbranch_vccz .LBB201_1658
; %bb.1610:
	s_and_b32 s6, 0xffff, s17
	s_cmp_lt_i32 s6, 5
	s_cbranch_scc1 .LBB201_1615
; %bb.1611:
	s_cmp_lt_i32 s6, 8
	s_cbranch_scc1 .LBB201_1616
; %bb.1612:
	;; [unrolled: 3-line block ×3, first 2 shown]
	s_cmp_gt_i32 s6, 9
	s_cbranch_scc0 .LBB201_1618
; %bb.1614:
	global_load_dwordx2 v[10:11], v[8:9], off
	s_mov_b64 s[0:1], 0
	s_waitcnt vmcnt(0)
	v_cvt_f32_f64_e32 v1, v[10:11]
	s_branch .LBB201_1619
.LBB201_1615:
	s_mov_b64 s[0:1], -1
                                        ; implicit-def: $vgpr1
	s_branch .LBB201_1637
.LBB201_1616:
	s_mov_b64 s[0:1], -1
                                        ; implicit-def: $vgpr1
	s_branch .LBB201_1625
.LBB201_1617:
	s_mov_b64 s[0:1], -1
                                        ; implicit-def: $vgpr1
	s_branch .LBB201_1622
.LBB201_1618:
	s_mov_b64 s[0:1], -1
                                        ; implicit-def: $vgpr1
.LBB201_1619:
	s_andn2_b64 vcc, exec, s[0:1]
	s_cbranch_vccnz .LBB201_1621
; %bb.1620:
	global_load_dword v1, v[8:9], off
.LBB201_1621:
	s_mov_b64 s[0:1], 0
.LBB201_1622:
	s_andn2_b64 vcc, exec, s[0:1]
	s_cbranch_vccnz .LBB201_1624
; %bb.1623:
	global_load_dword v1, v[8:9], off
	s_waitcnt vmcnt(0)
	v_cvt_f32_f16_e32 v1, v1
.LBB201_1624:
	s_mov_b64 s[0:1], 0
.LBB201_1625:
	s_andn2_b64 vcc, exec, s[0:1]
	s_cbranch_vccnz .LBB201_1636
; %bb.1626:
	s_cmp_lt_i32 s6, 6
	s_cbranch_scc1 .LBB201_1629
; %bb.1627:
	s_cmp_gt_i32 s6, 6
	s_cbranch_scc0 .LBB201_1630
; %bb.1628:
	global_load_dwordx2 v[10:11], v[8:9], off
	s_mov_b64 s[0:1], 0
	s_waitcnt vmcnt(0)
	v_cvt_f32_f64_e32 v1, v[10:11]
	s_branch .LBB201_1631
.LBB201_1629:
	s_mov_b64 s[0:1], -1
                                        ; implicit-def: $vgpr1
	s_branch .LBB201_1634
.LBB201_1630:
	s_mov_b64 s[0:1], -1
                                        ; implicit-def: $vgpr1
.LBB201_1631:
	s_andn2_b64 vcc, exec, s[0:1]
	s_cbranch_vccnz .LBB201_1633
; %bb.1632:
	global_load_dword v1, v[8:9], off
.LBB201_1633:
	s_mov_b64 s[0:1], 0
.LBB201_1634:
	s_andn2_b64 vcc, exec, s[0:1]
	s_cbranch_vccnz .LBB201_1636
; %bb.1635:
	global_load_ushort v1, v[8:9], off
	s_waitcnt vmcnt(0)
	v_cvt_f32_f16_e32 v1, v1
.LBB201_1636:
	s_mov_b64 s[0:1], 0
.LBB201_1637:
	s_andn2_b64 vcc, exec, s[0:1]
	s_cbranch_vccnz .LBB201_1657
; %bb.1638:
	s_cmp_lt_i32 s6, 2
	s_cbranch_scc1 .LBB201_1642
; %bb.1639:
	s_cmp_lt_i32 s6, 3
	s_cbranch_scc1 .LBB201_1643
; %bb.1640:
	s_cmp_gt_i32 s6, 3
	s_cbranch_scc0 .LBB201_1644
; %bb.1641:
	global_load_dwordx2 v[10:11], v[8:9], off
	s_mov_b64 s[0:1], 0
	s_waitcnt vmcnt(0)
	v_xor_b32_e32 v12, v10, v11
	v_ffbh_i32_e32 v1, v11
	v_ashrrev_i32_e32 v12, 31, v12
	v_add_u32_e32 v1, -1, v1
	v_add_u32_e32 v12, 32, v12
	v_min_u32_e32 v1, v1, v12
	v_lshlrev_b64 v[10:11], v1, v[10:11]
	v_min_u32_e32 v10, 1, v10
	v_or_b32_e32 v10, v11, v10
	v_cvt_f32_i32_e32 v10, v10
	v_sub_u32_e32 v1, 32, v1
	v_ldexp_f32 v1, v10, v1
	s_branch .LBB201_1645
.LBB201_1642:
	s_mov_b64 s[0:1], -1
                                        ; implicit-def: $vgpr1
	s_branch .LBB201_1651
.LBB201_1643:
	s_mov_b64 s[0:1], -1
                                        ; implicit-def: $vgpr1
	s_branch .LBB201_1648
.LBB201_1644:
	s_mov_b64 s[0:1], -1
                                        ; implicit-def: $vgpr1
.LBB201_1645:
	s_andn2_b64 vcc, exec, s[0:1]
	s_cbranch_vccnz .LBB201_1647
; %bb.1646:
	global_load_dword v1, v[8:9], off
	s_waitcnt vmcnt(0)
	v_cvt_f32_i32_e32 v1, v1
.LBB201_1647:
	s_mov_b64 s[0:1], 0
.LBB201_1648:
	s_andn2_b64 vcc, exec, s[0:1]
	s_cbranch_vccnz .LBB201_1650
; %bb.1649:
	global_load_sshort v1, v[8:9], off
	s_waitcnt vmcnt(0)
	v_cvt_f32_i32_e32 v1, v1
.LBB201_1650:
	s_mov_b64 s[0:1], 0
.LBB201_1651:
	s_andn2_b64 vcc, exec, s[0:1]
	s_cbranch_vccnz .LBB201_1657
; %bb.1652:
	s_cmp_gt_i32 s6, 0
	s_cbranch_scc0 .LBB201_1654
; %bb.1653:
	global_load_sbyte v1, v[8:9], off
	s_mov_b64 s[0:1], 0
	s_waitcnt vmcnt(0)
	v_cvt_f32_i32_e32 v1, v1
	s_branch .LBB201_1655
.LBB201_1654:
	s_mov_b64 s[0:1], -1
                                        ; implicit-def: $vgpr1
.LBB201_1655:
	s_andn2_b64 vcc, exec, s[0:1]
	s_cbranch_vccnz .LBB201_1657
; %bb.1656:
	global_load_ubyte v1, v[8:9], off
	s_waitcnt vmcnt(0)
	v_cvt_f32_ubyte0_e32 v1, v1
.LBB201_1657:
	s_mov_b64 s[8:9], -1
.LBB201_1658:
	s_andn2_b64 vcc, exec, s[8:9]
	s_cbranch_vccnz .LBB201_2092
; %bb.1659:
	s_waitcnt vmcnt(0)
	v_cvt_f64_f32_e32 v[8:9], v7
	v_rsq_f64_e32 v[10:11], v[8:9]
	s_mov_b32 s0, 0
	s_mov_b32 s1, 0x3fd80000
	v_mov_b32_e32 v7, 0x180
	v_mul_f64 v[8:9], v[10:11], -v[8:9]
	v_fma_f64 v[8:9], v[8:9], v[10:11], 1.0
	v_mul_f64 v[12:13], v[10:11], v[8:9]
	v_fma_f64 v[8:9], v[8:9], s[0:1], 0.5
	v_fma_f64 v[8:9], v[12:13], v[8:9], v[10:11]
	v_cmp_class_f64_e32 vcc, v[10:11], v7
	s_bfe_u32 s14, s16, 0x80008
	v_mov_b32_e32 v7, 0
	v_cndmask_b32_e32 v9, v11, v9, vcc
	v_cndmask_b32_e32 v8, v10, v8, vcc
	v_cvt_f32_f64_e32 v8, v[8:9]
	s_cmp_lt_i32 s14, 11
	v_lshl_add_u64 v[6:7], s[4:5], 0, v[6:7]
	s_cbranch_scc1 .LBB201_1737
; %bb.1660:
	s_and_b32 s15, 0xffff, s14
	s_mov_b64 s[10:11], -1
	s_mov_b64 s[6:7], 0
	s_cmp_gt_i32 s15, 25
	s_mov_b64 s[8:9], 0
	s_mov_b64 s[0:1], 0
	s_cbranch_scc0 .LBB201_1693
; %bb.1661:
	s_cmp_gt_i32 s15, 28
	s_cbranch_scc0 .LBB201_1676
; %bb.1662:
	s_cmp_gt_i32 s15, 43
	;; [unrolled: 3-line block ×3, first 2 shown]
	s_cbranch_scc0 .LBB201_1666
; %bb.1664:
	s_mov_b64 s[0:1], -1
	s_mov_b64 s[10:11], 0
	s_cmp_eq_u32 s15, 46
	s_cbranch_scc0 .LBB201_1666
; %bb.1665:
	v_bfe_u32 v9, v8, 16, 1
	s_movk_i32 s0, 0x7fff
	v_add3_u32 v9, v8, v9, s0
	v_cmp_o_f32_e32 vcc, v8, v8
	v_mov_b32_e32 v10, 0x7fc0
	s_mov_b64 s[0:1], 0
	v_cndmask_b32_sdwa v9, v10, v9, vcc dst_sel:DWORD dst_unused:UNUSED_PAD src0_sel:DWORD src1_sel:WORD_1
	global_store_dword v[6:7], v9, off
	s_mov_b64 s[8:9], -1
.LBB201_1666:
	s_and_b64 vcc, exec, s[10:11]
	s_cbranch_vccz .LBB201_1671
; %bb.1667:
	s_cmp_eq_u32 s15, 44
	s_mov_b64 s[0:1], -1
	s_cbranch_scc0 .LBB201_1671
; %bb.1668:
	v_bfe_u32 v9, v8, 23, 8
	s_movk_i32 s0, 0xff
	v_cmp_ne_u32_e32 vcc, s0, v9
	v_mov_b32_e32 v10, 0xff
	s_and_saveexec_b64 s[8:9], vcc
; %bb.1669:
	s_mov_b32 s0, 0x3fffff
	v_and_b32_e32 v11, 0x400000, v8
	v_and_or_b32 v9, v8, s0, v9
	v_cmp_ne_u32_e32 vcc, 0, v11
	v_cmp_ne_u32_e64 s[0:1], 0, v9
	s_and_b64 s[0:1], vcc, s[0:1]
	v_lshrrev_b32_e32 v10, 23, v8
	v_cndmask_b32_e64 v9, 0, 1, s[0:1]
	v_add_u32_e32 v10, v10, v9
; %bb.1670:
	s_or_b64 exec, exec, s[8:9]
	s_mov_b64 s[0:1], 0
	s_mov_b64 s[8:9], -1
	global_store_byte v[6:7], v10, off
.LBB201_1671:
	s_mov_b64 s[10:11], 0
.LBB201_1672:
	s_and_b64 vcc, exec, s[10:11]
	s_cbranch_vccz .LBB201_1675
; %bb.1673:
	s_cmp_eq_u32 s15, 29
	s_mov_b64 s[0:1], -1
	s_cbranch_scc0 .LBB201_1675
; %bb.1674:
	v_trunc_f32_e32 v9, v8
	v_mul_f32_e32 v10, 0x2f800000, v9
	v_floor_f32_e32 v10, v10
	v_fmamk_f32 v9, v10, 0xcf800000, v9
	v_cvt_u32_f32_e32 v11, v10
	v_cvt_u32_f32_e32 v10, v9
	s_mov_b64 s[0:1], 0
	s_mov_b64 s[8:9], -1
	global_store_dwordx2 v[6:7], v[10:11], off
.LBB201_1675:
	s_mov_b64 s[10:11], 0
.LBB201_1676:
	s_and_b64 vcc, exec, s[10:11]
	s_cbranch_vccz .LBB201_1692
; %bb.1677:
	s_cmp_lt_i32 s15, 27
	s_mov_b64 s[8:9], -1
	s_cbranch_scc1 .LBB201_1683
; %bb.1678:
	v_cvt_u32_f32_e32 v9, v8
	s_cmp_gt_i32 s15, 27
	s_cbranch_scc0 .LBB201_1680
; %bb.1679:
	s_mov_b64 s[8:9], 0
	global_store_dword v[6:7], v9, off
.LBB201_1680:
	s_andn2_b64 vcc, exec, s[8:9]
	s_cbranch_vccnz .LBB201_1682
; %bb.1681:
	global_store_short v[6:7], v9, off
.LBB201_1682:
	s_mov_b64 s[8:9], 0
.LBB201_1683:
	s_andn2_b64 vcc, exec, s[8:9]
	s_cbranch_vccnz .LBB201_1691
; %bb.1684:
	v_and_b32_e32 v9, 0x7fffffff, v8
	s_mov_b32 s8, 0x43800000
	v_cmp_gt_u32_e32 vcc, s8, v9
	v_mov_b32_e32 v10, 0x80
	s_and_saveexec_b64 s[8:9], vcc
	s_cbranch_execz .LBB201_1690
; %bb.1685:
	s_mov_b32 s10, 0x3bffffff
	v_cmp_lt_u32_e32 vcc, s10, v9
	s_mov_b64 s[10:11], 0
                                        ; implicit-def: $vgpr9
	s_and_saveexec_b64 s[12:13], vcc
	s_xor_b64 s[12:13], exec, s[12:13]
	s_cbranch_execz .LBB201_2139
; %bb.1686:
	v_bfe_u32 v9, v8, 20, 1
	s_mov_b32 s17, 0x487ffff
	v_add3_u32 v9, v8, v9, s17
	s_mov_b64 s[10:11], exec
	v_lshrrev_b32_e32 v9, 20, v9
	s_andn2_saveexec_b64 s[12:13], s[12:13]
	s_cbranch_execnz .LBB201_2140
.LBB201_1687:
	s_or_b64 exec, exec, s[12:13]
	v_mov_b32_e32 v10, 0
	s_and_saveexec_b64 s[12:13], s[10:11]
.LBB201_1688:
	v_lshrrev_b32_e32 v10, 24, v8
	s_movk_i32 s10, 0x80
	v_and_or_b32 v10, v10, s10, v9
.LBB201_1689:
	s_or_b64 exec, exec, s[12:13]
.LBB201_1690:
	s_or_b64 exec, exec, s[8:9]
	global_store_byte v[6:7], v10, off
.LBB201_1691:
	s_mov_b64 s[8:9], -1
.LBB201_1692:
	s_mov_b64 s[10:11], 0
.LBB201_1693:
	s_and_b64 vcc, exec, s[10:11]
	s_cbranch_vccz .LBB201_1733
; %bb.1694:
	s_cmp_gt_i32 s15, 22
	s_mov_b64 s[6:7], -1
	s_cbranch_scc0 .LBB201_1726
; %bb.1695:
	s_cmp_lt_i32 s15, 24
	s_cbranch_scc1 .LBB201_1715
; %bb.1696:
	s_cmp_gt_i32 s15, 24
	s_cbranch_scc0 .LBB201_1704
; %bb.1697:
	v_and_b32_e32 v9, 0x7fffffff, v8
	s_mov_b32 s6, 0x47800000
	v_cmp_gt_u32_e32 vcc, s6, v9
	v_mov_b32_e32 v10, 0x80
	s_and_saveexec_b64 s[6:7], vcc
	s_cbranch_execz .LBB201_1703
; %bb.1698:
	s_mov_b32 s8, 0x37ffffff
	v_cmp_lt_u32_e32 vcc, s8, v9
	s_mov_b64 s[8:9], 0
                                        ; implicit-def: $vgpr9
	s_and_saveexec_b64 s[10:11], vcc
	s_xor_b64 s[10:11], exec, s[10:11]
	s_cbranch_execz .LBB201_2142
; %bb.1699:
	v_bfe_u32 v9, v8, 21, 1
	s_mov_b32 s12, 0x88fffff
	v_add3_u32 v9, v8, v9, s12
	s_mov_b64 s[8:9], exec
	v_lshrrev_b32_e32 v9, 21, v9
	s_andn2_saveexec_b64 s[10:11], s[10:11]
	s_cbranch_execnz .LBB201_2143
.LBB201_1700:
	s_or_b64 exec, exec, s[10:11]
	v_mov_b32_e32 v10, 0
	s_and_saveexec_b64 s[10:11], s[8:9]
.LBB201_1701:
	v_lshrrev_b32_e32 v10, 24, v8
	s_movk_i32 s8, 0x80
	v_and_or_b32 v10, v10, s8, v9
.LBB201_1702:
	s_or_b64 exec, exec, s[10:11]
.LBB201_1703:
	s_or_b64 exec, exec, s[6:7]
	s_mov_b64 s[6:7], 0
	global_store_byte v[6:7], v10, off
.LBB201_1704:
	s_and_b64 vcc, exec, s[6:7]
	s_cbranch_vccz .LBB201_1714
; %bb.1705:
	v_and_b32_e32 v10, 0x7fffffff, v8
	s_mov_b32 s6, 0x43f00000
	v_cmp_gt_u32_e32 vcc, s6, v10
                                        ; implicit-def: $vgpr9
	s_and_saveexec_b64 s[6:7], vcc
	s_xor_b64 s[6:7], exec, s[6:7]
	s_cbranch_execz .LBB201_1711
; %bb.1706:
	s_mov_b32 s8, 0x3c7fffff
	v_cmp_lt_u32_e32 vcc, s8, v10
                                        ; implicit-def: $vgpr9
	s_and_saveexec_b64 s[8:9], vcc
	s_xor_b64 s[8:9], exec, s[8:9]
; %bb.1707:
	v_bfe_u32 v9, v8, 20, 1
	s_mov_b32 s10, 0x407ffff
	v_add3_u32 v9, v8, v9, s10
	v_lshrrev_b32_e32 v10, 20, v9
	v_and_b32_e32 v9, 0xff00000, v9
	s_mov_b32 s10, 0x7f00000
	v_mov_b32_e32 v11, 0x7e
	v_cmp_ne_u32_e32 vcc, s10, v9
	s_nop 1
	v_cndmask_b32_e32 v9, v11, v10, vcc
; %bb.1708:
	s_andn2_saveexec_b64 s[8:9], s[8:9]
; %bb.1709:
	s_mov_b32 s10, 0x46800000
	v_add_f32_e64 v9, |v8|, s10
; %bb.1710:
	s_or_b64 exec, exec, s[8:9]
                                        ; implicit-def: $vgpr10
.LBB201_1711:
	s_andn2_saveexec_b64 s[6:7], s[6:7]
; %bb.1712:
	s_mov_b32 s8, 0x7f800000
	v_mov_b32_e32 v9, 0x7e
	v_mov_b32_e32 v11, 0x7f
	v_cmp_lt_u32_e32 vcc, s8, v10
	s_nop 1
	v_cndmask_b32_e32 v9, v9, v11, vcc
; %bb.1713:
	s_or_b64 exec, exec, s[6:7]
	v_lshrrev_b32_e32 v10, 24, v8
	s_movk_i32 s6, 0x80
	v_and_or_b32 v9, v10, s6, v9
	global_store_byte v[6:7], v9, off
.LBB201_1714:
	s_mov_b64 s[6:7], 0
.LBB201_1715:
	s_andn2_b64 vcc, exec, s[6:7]
	s_cbranch_vccnz .LBB201_1725
; %bb.1716:
	v_and_b32_e32 v10, 0x7fffffff, v8
	s_mov_b32 s6, 0x47800000
	v_cmp_gt_u32_e32 vcc, s6, v10
                                        ; implicit-def: $vgpr9
	s_and_saveexec_b64 s[6:7], vcc
	s_xor_b64 s[6:7], exec, s[6:7]
	s_cbranch_execz .LBB201_1722
; %bb.1717:
	s_mov_b32 s8, 0x387fffff
	v_cmp_lt_u32_e32 vcc, s8, v10
                                        ; implicit-def: $vgpr9
	s_and_saveexec_b64 s[8:9], vcc
	s_xor_b64 s[8:9], exec, s[8:9]
; %bb.1718:
	v_bfe_u32 v9, v8, 21, 1
	s_mov_b32 s10, 0x80fffff
	v_add3_u32 v9, v8, v9, s10
	v_lshrrev_b32_e32 v9, 21, v9
; %bb.1719:
	s_andn2_saveexec_b64 s[8:9], s[8:9]
; %bb.1720:
	s_mov_b32 s10, 0x43000000
	v_add_f32_e64 v9, |v8|, s10
; %bb.1721:
	s_or_b64 exec, exec, s[8:9]
                                        ; implicit-def: $vgpr10
.LBB201_1722:
	s_andn2_saveexec_b64 s[6:7], s[6:7]
; %bb.1723:
	s_mov_b32 s8, 0x7f800000
	v_mov_b32_e32 v9, 0x7c
	v_mov_b32_e32 v11, 0x7f
	v_cmp_lt_u32_e32 vcc, s8, v10
	s_nop 1
	v_cndmask_b32_e32 v9, v9, v11, vcc
; %bb.1724:
	s_or_b64 exec, exec, s[6:7]
	v_lshrrev_b32_e32 v10, 24, v8
	s_movk_i32 s6, 0x80
	v_and_or_b32 v9, v10, s6, v9
	global_store_byte v[6:7], v9, off
.LBB201_1725:
	s_mov_b64 s[6:7], 0
	s_mov_b64 s[8:9], -1
.LBB201_1726:
	s_andn2_b64 vcc, exec, s[6:7]
	s_mov_b64 s[6:7], 0
	s_cbranch_vccnz .LBB201_1733
; %bb.1727:
	s_cmp_gt_i32 s15, 14
	s_mov_b64 s[10:11], -1
	s_cbranch_scc0 .LBB201_1731
; %bb.1728:
	s_cmp_eq_u32 s15, 15
	s_mov_b64 s[0:1], -1
	s_cbranch_scc0 .LBB201_1730
; %bb.1729:
	v_bfe_u32 v9, v8, 16, 1
	s_movk_i32 s0, 0x7fff
	v_add3_u32 v9, v8, v9, s0
	v_cmp_o_f32_e32 vcc, v8, v8
	v_mov_b32_e32 v10, 0x7fc0
	s_mov_b64 s[0:1], 0
	v_cndmask_b32_sdwa v9, v10, v9, vcc dst_sel:DWORD dst_unused:UNUSED_PAD src0_sel:DWORD src1_sel:WORD_1
	global_store_short v[6:7], v9, off
	s_mov_b64 s[8:9], -1
.LBB201_1730:
	s_mov_b64 s[10:11], 0
.LBB201_1731:
	s_and_b64 vcc, exec, s[10:11]
	s_cbranch_vccz .LBB201_1733
; %bb.1732:
	s_cmp_lg_u32 s15, 11
	s_mov_b64 s[6:7], -1
	s_cselect_b64 s[0:1], -1, 0
.LBB201_1733:
	s_and_b64 vcc, exec, s[0:1]
	s_cbranch_vccnz .LBB201_2141
; %bb.1734:
	s_andn2_b64 vcc, exec, s[6:7]
	s_cbranch_vccnz .LBB201_1736
.LBB201_1735:
	v_cmp_neq_f32_e32 vcc, 0, v8
	s_mov_b64 s[8:9], -1
	s_nop 0
	v_cndmask_b32_e64 v9, 0, 1, vcc
	global_store_byte v[6:7], v9, off
.LBB201_1736:
	s_mov_b64 s[0:1], 0
	s_branch .LBB201_1738
.LBB201_1737:
	s_mov_b64 s[0:1], -1
	s_mov_b64 s[8:9], 0
.LBB201_1738:
	s_and_b64 vcc, exec, s[0:1]
	s_cbranch_vccz .LBB201_1777
; %bb.1739:
	s_and_b32 s6, 0xffff, s14
	s_cmp_lt_i32 s6, 5
	s_mov_b64 s[0:1], -1
	s_cbranch_scc1 .LBB201_1760
; %bb.1740:
	s_cmp_lt_i32 s6, 8
	s_cbranch_scc1 .LBB201_1750
; %bb.1741:
	s_cmp_lt_i32 s6, 9
	s_cbranch_scc1 .LBB201_1747
; %bb.1742:
	s_cmp_gt_i32 s6, 9
	s_cbranch_scc0 .LBB201_1744
; %bb.1743:
	v_mov_b32_e32 v12, 0
	v_cvt_f64_f32_e32 v[10:11], v8
	v_mov_b32_e32 v13, v12
	global_store_dwordx4 v[6:7], v[10:13], off
	s_mov_b64 s[0:1], 0
.LBB201_1744:
	s_andn2_b64 vcc, exec, s[0:1]
	s_cbranch_vccnz .LBB201_1746
; %bb.1745:
	v_mov_b32_e32 v9, 0
	global_store_dwordx2 v[6:7], v[8:9], off
.LBB201_1746:
	s_mov_b64 s[0:1], 0
.LBB201_1747:
	s_andn2_b64 vcc, exec, s[0:1]
	s_cbranch_vccnz .LBB201_1749
; %bb.1748:
	v_cvt_f16_f32_e32 v9, v8
	global_store_dword v[6:7], v9, off
.LBB201_1749:
	s_mov_b64 s[0:1], 0
.LBB201_1750:
	s_andn2_b64 vcc, exec, s[0:1]
	s_cbranch_vccnz .LBB201_1759
; %bb.1751:
	s_cmp_lt_i32 s6, 6
	s_mov_b64 s[0:1], -1
	s_cbranch_scc1 .LBB201_1757
; %bb.1752:
	s_cmp_gt_i32 s6, 6
	s_cbranch_scc0 .LBB201_1754
; %bb.1753:
	v_cvt_f64_f32_e32 v[10:11], v8
	global_store_dwordx2 v[6:7], v[10:11], off
	s_mov_b64 s[0:1], 0
.LBB201_1754:
	s_andn2_b64 vcc, exec, s[0:1]
	s_cbranch_vccnz .LBB201_1756
; %bb.1755:
	global_store_dword v[6:7], v8, off
.LBB201_1756:
	s_mov_b64 s[0:1], 0
.LBB201_1757:
	s_andn2_b64 vcc, exec, s[0:1]
	s_cbranch_vccnz .LBB201_1759
; %bb.1758:
	v_cvt_f16_f32_e32 v9, v8
	global_store_short v[6:7], v9, off
.LBB201_1759:
	s_mov_b64 s[0:1], 0
.LBB201_1760:
	s_andn2_b64 vcc, exec, s[0:1]
	s_cbranch_vccnz .LBB201_1776
; %bb.1761:
	s_cmp_lt_i32 s6, 2
	s_mov_b64 s[0:1], -1
	s_cbranch_scc1 .LBB201_1771
; %bb.1762:
	s_cmp_lt_i32 s6, 3
	s_cbranch_scc1 .LBB201_1768
; %bb.1763:
	s_cmp_gt_i32 s6, 3
	s_cbranch_scc0 .LBB201_1765
; %bb.1764:
	v_trunc_f32_e32 v9, v8
	s_mov_b32 s0, 0x2f800000
	v_mul_f32_e64 v10, |v9|, s0
	v_floor_f32_e32 v10, v10
	s_mov_b32 s0, 0xcf800000
	v_cvt_u32_f32_e32 v11, v10
	v_fma_f32 v10, v10, s0, |v9|
	v_cvt_u32_f32_e32 v10, v10
	v_ashrrev_i32_e32 v9, 31, v9
	v_xor_b32_e32 v11, v11, v9
	s_mov_b64 s[0:1], 0
	v_xor_b32_e32 v10, v10, v9
	v_sub_co_u32_e32 v10, vcc, v10, v9
	s_nop 1
	v_subb_co_u32_e32 v11, vcc, v11, v9, vcc
	global_store_dwordx2 v[6:7], v[10:11], off
.LBB201_1765:
	s_andn2_b64 vcc, exec, s[0:1]
	s_cbranch_vccnz .LBB201_1767
; %bb.1766:
	v_cvt_i32_f32_e32 v9, v8
	global_store_dword v[6:7], v9, off
.LBB201_1767:
	s_mov_b64 s[0:1], 0
.LBB201_1768:
	s_andn2_b64 vcc, exec, s[0:1]
	s_cbranch_vccnz .LBB201_1770
; %bb.1769:
	v_cvt_i32_f32_e32 v9, v8
	global_store_short v[6:7], v9, off
.LBB201_1770:
	s_mov_b64 s[0:1], 0
.LBB201_1771:
	s_andn2_b64 vcc, exec, s[0:1]
	s_cbranch_vccnz .LBB201_1776
; %bb.1772:
	s_cmp_gt_i32 s6, 0
	s_mov_b64 s[0:1], -1
	s_cbranch_scc0 .LBB201_1774
; %bb.1773:
	v_cvt_i32_f32_e32 v9, v8
	s_mov_b64 s[0:1], 0
	global_store_byte v[6:7], v9, off
.LBB201_1774:
	s_andn2_b64 vcc, exec, s[0:1]
	s_cbranch_vccnz .LBB201_1776
; %bb.1775:
	v_trunc_f32_e32 v8, v8
	s_mov_b32 s0, 0x2f800000
	v_mul_f32_e64 v9, |v8|, s0
	v_floor_f32_e32 v9, v9
	s_mov_b32 s0, 0xcf800000
	v_fma_f32 v9, v9, s0, |v8|
	v_cvt_u32_f32_e32 v9, v9
	v_ashrrev_i32_e32 v8, 31, v8
	v_xor_b32_e32 v9, v9, v8
	v_sub_u32_e32 v8, v9, v8
	global_store_byte v[6:7], v8, off
.LBB201_1776:
	s_mov_b64 s[8:9], -1
.LBB201_1777:
	s_andn2_b64 vcc, exec, s[8:9]
	s_cbranch_vccnz .LBB201_2092
; %bb.1778:
	v_cvt_f64_f32_e32 v[6:7], v5
	v_rsq_f64_e32 v[8:9], v[6:7]
	s_lshr_b32 s0, s16, 8
	s_and_b32 s14, s0, 0xff
	s_mov_b32 s0, 0
	v_mul_f64 v[6:7], v[8:9], -v[6:7]
	v_fma_f64 v[6:7], v[6:7], v[8:9], 1.0
	s_mov_b32 s1, 0x3fd80000
	v_mul_f64 v[10:11], v[8:9], v[6:7]
	v_fma_f64 v[6:7], v[6:7], s[0:1], 0.5
	v_mov_b32_e32 v5, 0x180
	v_fma_f64 v[6:7], v[10:11], v[6:7], v[8:9]
	v_cmp_class_f64_e32 vcc, v[8:9], v5
	v_mov_b32_e32 v5, 0
	s_cmp_lt_i32 s14, 11
	v_cndmask_b32_e32 v7, v9, v7, vcc
	v_cndmask_b32_e32 v6, v8, v6, vcc
	v_cvt_f32_f64_e32 v6, v[6:7]
	v_lshl_add_u64 v[4:5], s[4:5], 0, v[4:5]
	s_cbranch_scc1 .LBB201_1856
; %bb.1779:
	s_and_b32 s15, 0xffff, s14
	s_mov_b64 s[10:11], -1
	s_mov_b64 s[6:7], 0
	s_cmp_gt_i32 s15, 25
	s_mov_b64 s[8:9], 0
	s_mov_b64 s[0:1], 0
	s_cbranch_scc0 .LBB201_1812
; %bb.1780:
	s_cmp_gt_i32 s15, 28
	s_cbranch_scc0 .LBB201_1795
; %bb.1781:
	s_cmp_gt_i32 s15, 43
	;; [unrolled: 3-line block ×3, first 2 shown]
	s_cbranch_scc0 .LBB201_1785
; %bb.1783:
	s_mov_b64 s[0:1], -1
	s_mov_b64 s[10:11], 0
	s_cmp_eq_u32 s15, 46
	s_cbranch_scc0 .LBB201_1785
; %bb.1784:
	v_bfe_u32 v7, v6, 16, 1
	s_movk_i32 s0, 0x7fff
	v_add3_u32 v7, v6, v7, s0
	v_cmp_o_f32_e32 vcc, v6, v6
	v_mov_b32_e32 v8, 0x7fc0
	s_mov_b64 s[0:1], 0
	v_cndmask_b32_sdwa v7, v8, v7, vcc dst_sel:DWORD dst_unused:UNUSED_PAD src0_sel:DWORD src1_sel:WORD_1
	global_store_dword v[4:5], v7, off
	s_mov_b64 s[8:9], -1
.LBB201_1785:
	s_and_b64 vcc, exec, s[10:11]
	s_cbranch_vccz .LBB201_1790
; %bb.1786:
	s_cmp_eq_u32 s15, 44
	s_mov_b64 s[0:1], -1
	s_cbranch_scc0 .LBB201_1790
; %bb.1787:
	v_bfe_u32 v7, v6, 23, 8
	s_movk_i32 s0, 0xff
	v_cmp_ne_u32_e32 vcc, s0, v7
	v_mov_b32_e32 v8, 0xff
	s_and_saveexec_b64 s[8:9], vcc
; %bb.1788:
	s_mov_b32 s0, 0x3fffff
	v_and_b32_e32 v9, 0x400000, v6
	v_and_or_b32 v7, v6, s0, v7
	v_cmp_ne_u32_e32 vcc, 0, v9
	v_cmp_ne_u32_e64 s[0:1], 0, v7
	s_and_b64 s[0:1], vcc, s[0:1]
	v_lshrrev_b32_e32 v8, 23, v6
	v_cndmask_b32_e64 v7, 0, 1, s[0:1]
	v_add_u32_e32 v8, v8, v7
; %bb.1789:
	s_or_b64 exec, exec, s[8:9]
	s_mov_b64 s[0:1], 0
	s_mov_b64 s[8:9], -1
	global_store_byte v[4:5], v8, off
.LBB201_1790:
	s_mov_b64 s[10:11], 0
.LBB201_1791:
	s_and_b64 vcc, exec, s[10:11]
	s_cbranch_vccz .LBB201_1794
; %bb.1792:
	s_cmp_eq_u32 s15, 29
	s_mov_b64 s[0:1], -1
	s_cbranch_scc0 .LBB201_1794
; %bb.1793:
	v_trunc_f32_e32 v7, v6
	v_mul_f32_e32 v8, 0x2f800000, v7
	v_floor_f32_e32 v8, v8
	v_fmamk_f32 v7, v8, 0xcf800000, v7
	v_cvt_u32_f32_e32 v9, v8
	v_cvt_u32_f32_e32 v8, v7
	s_mov_b64 s[0:1], 0
	s_mov_b64 s[8:9], -1
	global_store_dwordx2 v[4:5], v[8:9], off
.LBB201_1794:
	s_mov_b64 s[10:11], 0
.LBB201_1795:
	s_and_b64 vcc, exec, s[10:11]
	s_cbranch_vccz .LBB201_1811
; %bb.1796:
	s_cmp_lt_i32 s15, 27
	s_mov_b64 s[8:9], -1
	s_cbranch_scc1 .LBB201_1802
; %bb.1797:
	s_cmp_gt_i32 s15, 27
	s_cbranch_scc0 .LBB201_1799
; %bb.1798:
	v_cvt_u32_f32_e32 v7, v6
	s_mov_b64 s[8:9], 0
	global_store_dword v[4:5], v7, off
.LBB201_1799:
	s_andn2_b64 vcc, exec, s[8:9]
	s_cbranch_vccnz .LBB201_1801
; %bb.1800:
	v_cvt_u32_f32_e32 v7, v6
	global_store_short v[4:5], v7, off
.LBB201_1801:
	s_mov_b64 s[8:9], 0
.LBB201_1802:
	s_andn2_b64 vcc, exec, s[8:9]
	s_cbranch_vccnz .LBB201_1810
; %bb.1803:
	v_and_b32_e32 v7, 0x7fffffff, v6
	s_mov_b32 s8, 0x43800000
	v_cmp_gt_u32_e32 vcc, s8, v7
	v_mov_b32_e32 v8, 0x80
	s_and_saveexec_b64 s[8:9], vcc
	s_cbranch_execz .LBB201_1809
; %bb.1804:
	s_mov_b32 s10, 0x3bffffff
	v_cmp_lt_u32_e32 vcc, s10, v7
	s_mov_b64 s[10:11], 0
                                        ; implicit-def: $vgpr7
	s_and_saveexec_b64 s[12:13], vcc
	s_xor_b64 s[12:13], exec, s[12:13]
	s_cbranch_execz .LBB201_2144
; %bb.1805:
	v_bfe_u32 v7, v6, 20, 1
	s_mov_b32 s16, 0x487ffff
	v_add3_u32 v7, v6, v7, s16
	s_mov_b64 s[10:11], exec
	v_lshrrev_b32_e32 v7, 20, v7
	s_andn2_saveexec_b64 s[12:13], s[12:13]
	s_cbranch_execnz .LBB201_2145
.LBB201_1806:
	s_or_b64 exec, exec, s[12:13]
	v_mov_b32_e32 v8, 0
	s_and_saveexec_b64 s[12:13], s[10:11]
.LBB201_1807:
	v_lshrrev_b32_e32 v8, 24, v6
	s_movk_i32 s10, 0x80
	v_and_or_b32 v8, v8, s10, v7
.LBB201_1808:
	s_or_b64 exec, exec, s[12:13]
.LBB201_1809:
	s_or_b64 exec, exec, s[8:9]
	global_store_byte v[4:5], v8, off
.LBB201_1810:
	s_mov_b64 s[8:9], -1
.LBB201_1811:
	s_mov_b64 s[10:11], 0
.LBB201_1812:
	s_and_b64 vcc, exec, s[10:11]
	s_cbranch_vccz .LBB201_1852
; %bb.1813:
	s_cmp_gt_i32 s15, 22
	s_mov_b64 s[6:7], -1
	s_cbranch_scc0 .LBB201_1845
; %bb.1814:
	s_cmp_lt_i32 s15, 24
	s_cbranch_scc1 .LBB201_1834
; %bb.1815:
	s_cmp_gt_i32 s15, 24
	s_cbranch_scc0 .LBB201_1823
; %bb.1816:
	v_and_b32_e32 v7, 0x7fffffff, v6
	s_mov_b32 s6, 0x47800000
	v_cmp_gt_u32_e32 vcc, s6, v7
	v_mov_b32_e32 v8, 0x80
	s_and_saveexec_b64 s[6:7], vcc
	s_cbranch_execz .LBB201_1822
; %bb.1817:
	s_mov_b32 s8, 0x37ffffff
	v_cmp_lt_u32_e32 vcc, s8, v7
	s_mov_b64 s[8:9], 0
                                        ; implicit-def: $vgpr7
	s_and_saveexec_b64 s[10:11], vcc
	s_xor_b64 s[10:11], exec, s[10:11]
	s_cbranch_execz .LBB201_2147
; %bb.1818:
	v_bfe_u32 v7, v6, 21, 1
	s_mov_b32 s12, 0x88fffff
	v_add3_u32 v7, v6, v7, s12
	s_mov_b64 s[8:9], exec
	v_lshrrev_b32_e32 v7, 21, v7
	s_andn2_saveexec_b64 s[10:11], s[10:11]
	s_cbranch_execnz .LBB201_2148
.LBB201_1819:
	s_or_b64 exec, exec, s[10:11]
	v_mov_b32_e32 v8, 0
	s_and_saveexec_b64 s[10:11], s[8:9]
.LBB201_1820:
	v_lshrrev_b32_e32 v8, 24, v6
	s_movk_i32 s8, 0x80
	v_and_or_b32 v8, v8, s8, v7
.LBB201_1821:
	s_or_b64 exec, exec, s[10:11]
.LBB201_1822:
	s_or_b64 exec, exec, s[6:7]
	s_mov_b64 s[6:7], 0
	global_store_byte v[4:5], v8, off
.LBB201_1823:
	s_and_b64 vcc, exec, s[6:7]
	s_cbranch_vccz .LBB201_1833
; %bb.1824:
	v_and_b32_e32 v8, 0x7fffffff, v6
	s_mov_b32 s6, 0x43f00000
	v_cmp_gt_u32_e32 vcc, s6, v8
                                        ; implicit-def: $vgpr7
	s_and_saveexec_b64 s[6:7], vcc
	s_xor_b64 s[6:7], exec, s[6:7]
	s_cbranch_execz .LBB201_1830
; %bb.1825:
	s_mov_b32 s8, 0x3c7fffff
	v_cmp_lt_u32_e32 vcc, s8, v8
                                        ; implicit-def: $vgpr7
	s_and_saveexec_b64 s[8:9], vcc
	s_xor_b64 s[8:9], exec, s[8:9]
; %bb.1826:
	v_bfe_u32 v7, v6, 20, 1
	s_mov_b32 s10, 0x407ffff
	v_add3_u32 v7, v6, v7, s10
	v_lshrrev_b32_e32 v8, 20, v7
	v_and_b32_e32 v7, 0xff00000, v7
	s_mov_b32 s10, 0x7f00000
	v_mov_b32_e32 v9, 0x7e
	v_cmp_ne_u32_e32 vcc, s10, v7
	s_nop 1
	v_cndmask_b32_e32 v7, v9, v8, vcc
; %bb.1827:
	s_andn2_saveexec_b64 s[8:9], s[8:9]
; %bb.1828:
	s_mov_b32 s10, 0x46800000
	v_add_f32_e64 v7, |v6|, s10
; %bb.1829:
	s_or_b64 exec, exec, s[8:9]
                                        ; implicit-def: $vgpr8
.LBB201_1830:
	s_andn2_saveexec_b64 s[6:7], s[6:7]
; %bb.1831:
	s_mov_b32 s8, 0x7f800000
	v_mov_b32_e32 v7, 0x7e
	v_mov_b32_e32 v9, 0x7f
	v_cmp_lt_u32_e32 vcc, s8, v8
	s_nop 1
	v_cndmask_b32_e32 v7, v7, v9, vcc
; %bb.1832:
	s_or_b64 exec, exec, s[6:7]
	v_lshrrev_b32_e32 v8, 24, v6
	s_movk_i32 s6, 0x80
	v_and_or_b32 v7, v8, s6, v7
	global_store_byte v[4:5], v7, off
.LBB201_1833:
	s_mov_b64 s[6:7], 0
.LBB201_1834:
	s_andn2_b64 vcc, exec, s[6:7]
	s_cbranch_vccnz .LBB201_1844
; %bb.1835:
	v_and_b32_e32 v8, 0x7fffffff, v6
	s_mov_b32 s6, 0x47800000
	v_cmp_gt_u32_e32 vcc, s6, v8
                                        ; implicit-def: $vgpr7
	s_and_saveexec_b64 s[6:7], vcc
	s_xor_b64 s[6:7], exec, s[6:7]
	s_cbranch_execz .LBB201_1841
; %bb.1836:
	s_mov_b32 s8, 0x387fffff
	v_cmp_lt_u32_e32 vcc, s8, v8
                                        ; implicit-def: $vgpr7
	s_and_saveexec_b64 s[8:9], vcc
	s_xor_b64 s[8:9], exec, s[8:9]
; %bb.1837:
	v_bfe_u32 v7, v6, 21, 1
	s_mov_b32 s10, 0x80fffff
	v_add3_u32 v7, v6, v7, s10
	v_lshrrev_b32_e32 v7, 21, v7
; %bb.1838:
	s_andn2_saveexec_b64 s[8:9], s[8:9]
; %bb.1839:
	s_mov_b32 s10, 0x43000000
	v_add_f32_e64 v7, |v6|, s10
; %bb.1840:
	s_or_b64 exec, exec, s[8:9]
                                        ; implicit-def: $vgpr8
.LBB201_1841:
	s_andn2_saveexec_b64 s[6:7], s[6:7]
; %bb.1842:
	s_mov_b32 s8, 0x7f800000
	v_mov_b32_e32 v7, 0x7c
	v_mov_b32_e32 v9, 0x7f
	v_cmp_lt_u32_e32 vcc, s8, v8
	s_nop 1
	v_cndmask_b32_e32 v7, v7, v9, vcc
; %bb.1843:
	s_or_b64 exec, exec, s[6:7]
	v_lshrrev_b32_e32 v8, 24, v6
	s_movk_i32 s6, 0x80
	v_and_or_b32 v7, v8, s6, v7
	global_store_byte v[4:5], v7, off
.LBB201_1844:
	s_mov_b64 s[6:7], 0
	s_mov_b64 s[8:9], -1
.LBB201_1845:
	s_andn2_b64 vcc, exec, s[6:7]
	s_mov_b64 s[6:7], 0
	s_cbranch_vccnz .LBB201_1852
; %bb.1846:
	s_cmp_gt_i32 s15, 14
	s_mov_b64 s[10:11], -1
	s_cbranch_scc0 .LBB201_1850
; %bb.1847:
	s_cmp_eq_u32 s15, 15
	s_mov_b64 s[0:1], -1
	s_cbranch_scc0 .LBB201_1849
; %bb.1848:
	v_bfe_u32 v7, v6, 16, 1
	s_movk_i32 s0, 0x7fff
	v_add3_u32 v7, v6, v7, s0
	v_cmp_o_f32_e32 vcc, v6, v6
	v_mov_b32_e32 v8, 0x7fc0
	s_mov_b64 s[0:1], 0
	v_cndmask_b32_sdwa v7, v8, v7, vcc dst_sel:DWORD dst_unused:UNUSED_PAD src0_sel:DWORD src1_sel:WORD_1
	global_store_short v[4:5], v7, off
	s_mov_b64 s[8:9], -1
.LBB201_1849:
	s_mov_b64 s[10:11], 0
.LBB201_1850:
	s_and_b64 vcc, exec, s[10:11]
	s_cbranch_vccz .LBB201_1852
; %bb.1851:
	s_cmp_lg_u32 s15, 11
	s_mov_b64 s[6:7], -1
	s_cselect_b64 s[0:1], -1, 0
.LBB201_1852:
	s_and_b64 vcc, exec, s[0:1]
	s_cbranch_vccnz .LBB201_2146
; %bb.1853:
	s_andn2_b64 vcc, exec, s[6:7]
	s_cbranch_vccnz .LBB201_1855
.LBB201_1854:
	v_cmp_neq_f32_e32 vcc, 0, v6
	s_mov_b64 s[8:9], -1
	s_nop 0
	v_cndmask_b32_e64 v7, 0, 1, vcc
	global_store_byte v[4:5], v7, off
.LBB201_1855:
	s_mov_b64 s[0:1], 0
	s_branch .LBB201_1857
.LBB201_1856:
	s_mov_b64 s[0:1], -1
	s_mov_b64 s[8:9], 0
.LBB201_1857:
	s_and_b64 vcc, exec, s[0:1]
	s_cbranch_vccz .LBB201_1896
; %bb.1858:
	s_and_b32 s6, 0xffff, s14
	s_cmp_lt_i32 s6, 5
	s_mov_b64 s[0:1], -1
	s_cbranch_scc1 .LBB201_1879
; %bb.1859:
	s_cmp_lt_i32 s6, 8
	s_cbranch_scc1 .LBB201_1869
; %bb.1860:
	s_cmp_lt_i32 s6, 9
	s_cbranch_scc1 .LBB201_1866
; %bb.1861:
	s_cmp_gt_i32 s6, 9
	s_cbranch_scc0 .LBB201_1863
; %bb.1862:
	v_mov_b32_e32 v10, 0
	v_cvt_f64_f32_e32 v[8:9], v6
	v_mov_b32_e32 v11, v10
	global_store_dwordx4 v[4:5], v[8:11], off
	s_mov_b64 s[0:1], 0
.LBB201_1863:
	s_andn2_b64 vcc, exec, s[0:1]
	s_cbranch_vccnz .LBB201_1865
; %bb.1864:
	v_mov_b32_e32 v7, 0
	global_store_dwordx2 v[4:5], v[6:7], off
.LBB201_1865:
	s_mov_b64 s[0:1], 0
.LBB201_1866:
	s_andn2_b64 vcc, exec, s[0:1]
	s_cbranch_vccnz .LBB201_1868
; %bb.1867:
	v_cvt_f16_f32_e32 v7, v6
	global_store_dword v[4:5], v7, off
.LBB201_1868:
	s_mov_b64 s[0:1], 0
.LBB201_1869:
	s_andn2_b64 vcc, exec, s[0:1]
	s_cbranch_vccnz .LBB201_1878
; %bb.1870:
	s_cmp_lt_i32 s6, 6
	s_mov_b64 s[0:1], -1
	s_cbranch_scc1 .LBB201_1876
; %bb.1871:
	s_cmp_gt_i32 s6, 6
	s_cbranch_scc0 .LBB201_1873
; %bb.1872:
	v_cvt_f64_f32_e32 v[8:9], v6
	global_store_dwordx2 v[4:5], v[8:9], off
	s_mov_b64 s[0:1], 0
.LBB201_1873:
	s_andn2_b64 vcc, exec, s[0:1]
	s_cbranch_vccnz .LBB201_1875
; %bb.1874:
	global_store_dword v[4:5], v6, off
.LBB201_1875:
	s_mov_b64 s[0:1], 0
.LBB201_1876:
	s_andn2_b64 vcc, exec, s[0:1]
	s_cbranch_vccnz .LBB201_1878
; %bb.1877:
	v_cvt_f16_f32_e32 v7, v6
	global_store_short v[4:5], v7, off
.LBB201_1878:
	s_mov_b64 s[0:1], 0
.LBB201_1879:
	s_andn2_b64 vcc, exec, s[0:1]
	s_cbranch_vccnz .LBB201_1895
; %bb.1880:
	s_cmp_lt_i32 s6, 2
	s_mov_b64 s[0:1], -1
	s_cbranch_scc1 .LBB201_1890
; %bb.1881:
	s_cmp_lt_i32 s6, 3
	s_cbranch_scc1 .LBB201_1887
; %bb.1882:
	s_cmp_gt_i32 s6, 3
	s_cbranch_scc0 .LBB201_1884
; %bb.1883:
	v_trunc_f32_e32 v7, v6
	s_mov_b32 s0, 0x2f800000
	v_mul_f32_e64 v8, |v7|, s0
	v_floor_f32_e32 v8, v8
	s_mov_b32 s0, 0xcf800000
	v_cvt_u32_f32_e32 v9, v8
	v_fma_f32 v8, v8, s0, |v7|
	v_cvt_u32_f32_e32 v8, v8
	v_ashrrev_i32_e32 v7, 31, v7
	v_xor_b32_e32 v9, v9, v7
	s_mov_b64 s[0:1], 0
	v_xor_b32_e32 v8, v8, v7
	v_sub_co_u32_e32 v8, vcc, v8, v7
	s_nop 1
	v_subb_co_u32_e32 v9, vcc, v9, v7, vcc
	global_store_dwordx2 v[4:5], v[8:9], off
.LBB201_1884:
	s_andn2_b64 vcc, exec, s[0:1]
	s_cbranch_vccnz .LBB201_1886
; %bb.1885:
	v_cvt_i32_f32_e32 v7, v6
	global_store_dword v[4:5], v7, off
.LBB201_1886:
	s_mov_b64 s[0:1], 0
.LBB201_1887:
	s_andn2_b64 vcc, exec, s[0:1]
	s_cbranch_vccnz .LBB201_1889
; %bb.1888:
	v_cvt_i32_f32_e32 v7, v6
	global_store_short v[4:5], v7, off
.LBB201_1889:
	s_mov_b64 s[0:1], 0
.LBB201_1890:
	s_andn2_b64 vcc, exec, s[0:1]
	s_cbranch_vccnz .LBB201_1895
; %bb.1891:
	s_cmp_gt_i32 s6, 0
	s_mov_b64 s[0:1], -1
	s_cbranch_scc0 .LBB201_1893
; %bb.1892:
	v_cvt_i32_f32_e32 v7, v6
	s_mov_b64 s[0:1], 0
	global_store_byte v[4:5], v7, off
.LBB201_1893:
	s_andn2_b64 vcc, exec, s[0:1]
	s_cbranch_vccnz .LBB201_1895
; %bb.1894:
	v_trunc_f32_e32 v6, v6
	s_mov_b32 s0, 0x2f800000
	v_mul_f32_e64 v7, |v6|, s0
	v_floor_f32_e32 v7, v7
	s_mov_b32 s0, 0xcf800000
	v_fma_f32 v7, v7, s0, |v6|
	v_cvt_u32_f32_e32 v7, v7
	v_ashrrev_i32_e32 v6, 31, v6
	v_xor_b32_e32 v7, v7, v6
	v_sub_u32_e32 v6, v7, v6
	global_store_byte v[4:5], v6, off
.LBB201_1895:
	s_mov_b64 s[8:9], -1
.LBB201_1896:
	s_andn2_b64 vcc, exec, s[8:9]
	s_cbranch_vccnz .LBB201_2092
; %bb.1897:
	v_cvt_f64_f32_e32 v[4:5], v3
	v_rsq_f64_e32 v[6:7], v[4:5]
	s_mov_b32 s0, 0
	s_mov_b32 s1, 0x3fd80000
	v_mov_b32_e32 v3, 0x180
	v_mul_f64 v[4:5], v[6:7], -v[4:5]
	v_fma_f64 v[4:5], v[4:5], v[6:7], 1.0
	v_mul_f64 v[8:9], v[6:7], v[4:5]
	v_fma_f64 v[4:5], v[4:5], s[0:1], 0.5
	v_fma_f64 v[4:5], v[8:9], v[4:5], v[6:7]
	v_cmp_class_f64_e32 vcc, v[6:7], v3
	v_mov_b32_e32 v3, 0
	s_cmp_lt_i32 s14, 11
	v_cndmask_b32_e32 v5, v7, v5, vcc
	v_cndmask_b32_e32 v4, v6, v4, vcc
	v_cvt_f32_f64_e32 v4, v[4:5]
	v_lshl_add_u64 v[2:3], s[4:5], 0, v[2:3]
	s_cbranch_scc1 .LBB201_1975
; %bb.1898:
	s_and_b32 s15, 0xffff, s14
	s_mov_b64 s[10:11], -1
	s_mov_b64 s[6:7], 0
	s_cmp_gt_i32 s15, 25
	s_mov_b64 s[8:9], 0
	s_mov_b64 s[0:1], 0
	s_cbranch_scc0 .LBB201_1931
; %bb.1899:
	s_cmp_gt_i32 s15, 28
	s_cbranch_scc0 .LBB201_1914
; %bb.1900:
	s_cmp_gt_i32 s15, 43
	;; [unrolled: 3-line block ×3, first 2 shown]
	s_cbranch_scc0 .LBB201_1904
; %bb.1902:
	s_mov_b64 s[0:1], -1
	s_mov_b64 s[10:11], 0
	s_cmp_eq_u32 s15, 46
	s_cbranch_scc0 .LBB201_1904
; %bb.1903:
	v_bfe_u32 v5, v4, 16, 1
	s_movk_i32 s0, 0x7fff
	v_add3_u32 v5, v4, v5, s0
	v_cmp_o_f32_e32 vcc, v4, v4
	v_mov_b32_e32 v6, 0x7fc0
	s_mov_b64 s[0:1], 0
	v_cndmask_b32_sdwa v5, v6, v5, vcc dst_sel:DWORD dst_unused:UNUSED_PAD src0_sel:DWORD src1_sel:WORD_1
	global_store_dword v[2:3], v5, off
	s_mov_b64 s[8:9], -1
.LBB201_1904:
	s_and_b64 vcc, exec, s[10:11]
	s_cbranch_vccz .LBB201_1909
; %bb.1905:
	s_cmp_eq_u32 s15, 44
	s_mov_b64 s[0:1], -1
	s_cbranch_scc0 .LBB201_1909
; %bb.1906:
	v_bfe_u32 v5, v4, 23, 8
	s_movk_i32 s0, 0xff
	v_cmp_ne_u32_e32 vcc, s0, v5
	v_mov_b32_e32 v6, 0xff
	s_and_saveexec_b64 s[8:9], vcc
; %bb.1907:
	s_mov_b32 s0, 0x3fffff
	v_and_b32_e32 v7, 0x400000, v4
	v_and_or_b32 v5, v4, s0, v5
	v_cmp_ne_u32_e32 vcc, 0, v7
	v_cmp_ne_u32_e64 s[0:1], 0, v5
	s_and_b64 s[0:1], vcc, s[0:1]
	v_lshrrev_b32_e32 v6, 23, v4
	v_cndmask_b32_e64 v5, 0, 1, s[0:1]
	v_add_u32_e32 v6, v6, v5
; %bb.1908:
	s_or_b64 exec, exec, s[8:9]
	s_mov_b64 s[0:1], 0
	s_mov_b64 s[8:9], -1
	global_store_byte v[2:3], v6, off
.LBB201_1909:
	s_mov_b64 s[10:11], 0
.LBB201_1910:
	s_and_b64 vcc, exec, s[10:11]
	s_cbranch_vccz .LBB201_1913
; %bb.1911:
	s_cmp_eq_u32 s15, 29
	s_mov_b64 s[0:1], -1
	s_cbranch_scc0 .LBB201_1913
; %bb.1912:
	v_trunc_f32_e32 v5, v4
	v_mul_f32_e32 v6, 0x2f800000, v5
	v_floor_f32_e32 v6, v6
	v_fmamk_f32 v5, v6, 0xcf800000, v5
	v_cvt_u32_f32_e32 v7, v6
	v_cvt_u32_f32_e32 v6, v5
	s_mov_b64 s[0:1], 0
	s_mov_b64 s[8:9], -1
	global_store_dwordx2 v[2:3], v[6:7], off
.LBB201_1913:
	s_mov_b64 s[10:11], 0
.LBB201_1914:
	s_and_b64 vcc, exec, s[10:11]
	s_cbranch_vccz .LBB201_1930
; %bb.1915:
	s_cmp_lt_i32 s15, 27
	s_mov_b64 s[8:9], -1
	s_cbranch_scc1 .LBB201_1921
; %bb.1916:
	v_cvt_u32_f32_e32 v5, v4
	s_cmp_gt_i32 s15, 27
	s_cbranch_scc0 .LBB201_1918
; %bb.1917:
	s_mov_b64 s[8:9], 0
	global_store_dword v[2:3], v5, off
.LBB201_1918:
	s_andn2_b64 vcc, exec, s[8:9]
	s_cbranch_vccnz .LBB201_1920
; %bb.1919:
	global_store_short v[2:3], v5, off
.LBB201_1920:
	s_mov_b64 s[8:9], 0
.LBB201_1921:
	s_andn2_b64 vcc, exec, s[8:9]
	s_cbranch_vccnz .LBB201_1929
; %bb.1922:
	v_and_b32_e32 v5, 0x7fffffff, v4
	s_mov_b32 s8, 0x43800000
	v_cmp_gt_u32_e32 vcc, s8, v5
	v_mov_b32_e32 v6, 0x80
	s_and_saveexec_b64 s[8:9], vcc
	s_cbranch_execz .LBB201_1928
; %bb.1923:
	s_mov_b32 s10, 0x3bffffff
	v_cmp_lt_u32_e32 vcc, s10, v5
	s_mov_b64 s[10:11], 0
                                        ; implicit-def: $vgpr5
	s_and_saveexec_b64 s[12:13], vcc
	s_xor_b64 s[12:13], exec, s[12:13]
	s_cbranch_execz .LBB201_2149
; %bb.1924:
	v_bfe_u32 v5, v4, 20, 1
	s_mov_b32 s16, 0x487ffff
	v_add3_u32 v5, v4, v5, s16
	s_mov_b64 s[10:11], exec
	v_lshrrev_b32_e32 v5, 20, v5
	s_andn2_saveexec_b64 s[12:13], s[12:13]
	s_cbranch_execnz .LBB201_2150
.LBB201_1925:
	s_or_b64 exec, exec, s[12:13]
	v_mov_b32_e32 v6, 0
	s_and_saveexec_b64 s[12:13], s[10:11]
.LBB201_1926:
	v_lshrrev_b32_e32 v6, 24, v4
	s_movk_i32 s10, 0x80
	v_and_or_b32 v6, v6, s10, v5
.LBB201_1927:
	s_or_b64 exec, exec, s[12:13]
.LBB201_1928:
	s_or_b64 exec, exec, s[8:9]
	global_store_byte v[2:3], v6, off
.LBB201_1929:
	s_mov_b64 s[8:9], -1
.LBB201_1930:
	s_mov_b64 s[10:11], 0
.LBB201_1931:
	s_and_b64 vcc, exec, s[10:11]
	s_cbranch_vccz .LBB201_1971
; %bb.1932:
	s_cmp_gt_i32 s15, 22
	s_mov_b64 s[6:7], -1
	s_cbranch_scc0 .LBB201_1964
; %bb.1933:
	s_cmp_lt_i32 s15, 24
	s_cbranch_scc1 .LBB201_1953
; %bb.1934:
	s_cmp_gt_i32 s15, 24
	s_cbranch_scc0 .LBB201_1942
; %bb.1935:
	v_and_b32_e32 v5, 0x7fffffff, v4
	s_mov_b32 s6, 0x47800000
	v_cmp_gt_u32_e32 vcc, s6, v5
	v_mov_b32_e32 v6, 0x80
	s_and_saveexec_b64 s[6:7], vcc
	s_cbranch_execz .LBB201_1941
; %bb.1936:
	s_mov_b32 s8, 0x37ffffff
	v_cmp_lt_u32_e32 vcc, s8, v5
	s_mov_b64 s[8:9], 0
                                        ; implicit-def: $vgpr5
	s_and_saveexec_b64 s[10:11], vcc
	s_xor_b64 s[10:11], exec, s[10:11]
	s_cbranch_execz .LBB201_2152
; %bb.1937:
	v_bfe_u32 v5, v4, 21, 1
	s_mov_b32 s12, 0x88fffff
	v_add3_u32 v5, v4, v5, s12
	s_mov_b64 s[8:9], exec
	v_lshrrev_b32_e32 v5, 21, v5
	s_andn2_saveexec_b64 s[10:11], s[10:11]
	s_cbranch_execnz .LBB201_2153
.LBB201_1938:
	s_or_b64 exec, exec, s[10:11]
	v_mov_b32_e32 v6, 0
	s_and_saveexec_b64 s[10:11], s[8:9]
.LBB201_1939:
	v_lshrrev_b32_e32 v6, 24, v4
	s_movk_i32 s8, 0x80
	v_and_or_b32 v6, v6, s8, v5
.LBB201_1940:
	s_or_b64 exec, exec, s[10:11]
.LBB201_1941:
	s_or_b64 exec, exec, s[6:7]
	s_mov_b64 s[6:7], 0
	global_store_byte v[2:3], v6, off
.LBB201_1942:
	s_and_b64 vcc, exec, s[6:7]
	s_cbranch_vccz .LBB201_1952
; %bb.1943:
	v_and_b32_e32 v6, 0x7fffffff, v4
	s_mov_b32 s6, 0x43f00000
	v_cmp_gt_u32_e32 vcc, s6, v6
                                        ; implicit-def: $vgpr5
	s_and_saveexec_b64 s[6:7], vcc
	s_xor_b64 s[6:7], exec, s[6:7]
	s_cbranch_execz .LBB201_1949
; %bb.1944:
	s_mov_b32 s8, 0x3c7fffff
	v_cmp_lt_u32_e32 vcc, s8, v6
                                        ; implicit-def: $vgpr5
	s_and_saveexec_b64 s[8:9], vcc
	s_xor_b64 s[8:9], exec, s[8:9]
; %bb.1945:
	v_bfe_u32 v5, v4, 20, 1
	s_mov_b32 s10, 0x407ffff
	v_add3_u32 v5, v4, v5, s10
	v_lshrrev_b32_e32 v6, 20, v5
	v_and_b32_e32 v5, 0xff00000, v5
	s_mov_b32 s10, 0x7f00000
	v_mov_b32_e32 v7, 0x7e
	v_cmp_ne_u32_e32 vcc, s10, v5
	s_nop 1
	v_cndmask_b32_e32 v5, v7, v6, vcc
; %bb.1946:
	s_andn2_saveexec_b64 s[8:9], s[8:9]
; %bb.1947:
	s_mov_b32 s10, 0x46800000
	v_add_f32_e64 v5, |v4|, s10
; %bb.1948:
	s_or_b64 exec, exec, s[8:9]
                                        ; implicit-def: $vgpr6
.LBB201_1949:
	s_andn2_saveexec_b64 s[6:7], s[6:7]
; %bb.1950:
	s_mov_b32 s8, 0x7f800000
	v_mov_b32_e32 v5, 0x7e
	v_mov_b32_e32 v7, 0x7f
	v_cmp_lt_u32_e32 vcc, s8, v6
	s_nop 1
	v_cndmask_b32_e32 v5, v5, v7, vcc
; %bb.1951:
	s_or_b64 exec, exec, s[6:7]
	v_lshrrev_b32_e32 v6, 24, v4
	s_movk_i32 s6, 0x80
	v_and_or_b32 v5, v6, s6, v5
	global_store_byte v[2:3], v5, off
.LBB201_1952:
	s_mov_b64 s[6:7], 0
.LBB201_1953:
	s_andn2_b64 vcc, exec, s[6:7]
	s_cbranch_vccnz .LBB201_1963
; %bb.1954:
	v_and_b32_e32 v6, 0x7fffffff, v4
	s_mov_b32 s6, 0x47800000
	v_cmp_gt_u32_e32 vcc, s6, v6
                                        ; implicit-def: $vgpr5
	s_and_saveexec_b64 s[6:7], vcc
	s_xor_b64 s[6:7], exec, s[6:7]
	s_cbranch_execz .LBB201_1960
; %bb.1955:
	s_mov_b32 s8, 0x387fffff
	v_cmp_lt_u32_e32 vcc, s8, v6
                                        ; implicit-def: $vgpr5
	s_and_saveexec_b64 s[8:9], vcc
	s_xor_b64 s[8:9], exec, s[8:9]
; %bb.1956:
	v_bfe_u32 v5, v4, 21, 1
	s_mov_b32 s10, 0x80fffff
	v_add3_u32 v5, v4, v5, s10
	v_lshrrev_b32_e32 v5, 21, v5
; %bb.1957:
	s_andn2_saveexec_b64 s[8:9], s[8:9]
; %bb.1958:
	s_mov_b32 s10, 0x43000000
	v_add_f32_e64 v5, |v4|, s10
; %bb.1959:
	s_or_b64 exec, exec, s[8:9]
                                        ; implicit-def: $vgpr6
.LBB201_1960:
	s_andn2_saveexec_b64 s[6:7], s[6:7]
; %bb.1961:
	s_mov_b32 s8, 0x7f800000
	v_mov_b32_e32 v5, 0x7c
	v_mov_b32_e32 v7, 0x7f
	v_cmp_lt_u32_e32 vcc, s8, v6
	s_nop 1
	v_cndmask_b32_e32 v5, v5, v7, vcc
; %bb.1962:
	s_or_b64 exec, exec, s[6:7]
	v_lshrrev_b32_e32 v6, 24, v4
	s_movk_i32 s6, 0x80
	v_and_or_b32 v5, v6, s6, v5
	global_store_byte v[2:3], v5, off
.LBB201_1963:
	s_mov_b64 s[6:7], 0
	s_mov_b64 s[8:9], -1
.LBB201_1964:
	s_andn2_b64 vcc, exec, s[6:7]
	s_mov_b64 s[6:7], 0
	s_cbranch_vccnz .LBB201_1971
; %bb.1965:
	s_cmp_gt_i32 s15, 14
	s_mov_b64 s[10:11], -1
	s_cbranch_scc0 .LBB201_1969
; %bb.1966:
	s_cmp_eq_u32 s15, 15
	s_mov_b64 s[0:1], -1
	s_cbranch_scc0 .LBB201_1968
; %bb.1967:
	v_bfe_u32 v5, v4, 16, 1
	s_movk_i32 s0, 0x7fff
	v_add3_u32 v5, v4, v5, s0
	v_cmp_o_f32_e32 vcc, v4, v4
	v_mov_b32_e32 v6, 0x7fc0
	s_mov_b64 s[0:1], 0
	v_cndmask_b32_sdwa v5, v6, v5, vcc dst_sel:DWORD dst_unused:UNUSED_PAD src0_sel:DWORD src1_sel:WORD_1
	global_store_short v[2:3], v5, off
	s_mov_b64 s[8:9], -1
.LBB201_1968:
	s_mov_b64 s[10:11], 0
.LBB201_1969:
	s_and_b64 vcc, exec, s[10:11]
	s_cbranch_vccz .LBB201_1971
; %bb.1970:
	s_cmp_lg_u32 s15, 11
	s_mov_b64 s[6:7], -1
	s_cselect_b64 s[0:1], -1, 0
.LBB201_1971:
	s_and_b64 vcc, exec, s[0:1]
	s_cbranch_vccnz .LBB201_2151
; %bb.1972:
	s_andn2_b64 vcc, exec, s[6:7]
	s_cbranch_vccnz .LBB201_1974
.LBB201_1973:
	v_cmp_neq_f32_e32 vcc, 0, v4
	s_mov_b64 s[8:9], -1
	s_nop 0
	v_cndmask_b32_e64 v5, 0, 1, vcc
	global_store_byte v[2:3], v5, off
.LBB201_1974:
	s_mov_b64 s[0:1], 0
	s_branch .LBB201_1976
.LBB201_1975:
	s_mov_b64 s[0:1], -1
	s_mov_b64 s[8:9], 0
.LBB201_1976:
	s_and_b64 vcc, exec, s[0:1]
	s_cbranch_vccz .LBB201_2015
; %bb.1977:
	s_and_b32 s6, 0xffff, s14
	s_cmp_lt_i32 s6, 5
	s_mov_b64 s[0:1], -1
	s_cbranch_scc1 .LBB201_1998
; %bb.1978:
	s_cmp_lt_i32 s6, 8
	s_cbranch_scc1 .LBB201_1988
; %bb.1979:
	s_cmp_lt_i32 s6, 9
	s_cbranch_scc1 .LBB201_1985
; %bb.1980:
	s_cmp_gt_i32 s6, 9
	s_cbranch_scc0 .LBB201_1982
; %bb.1981:
	v_mov_b32_e32 v8, 0
	v_cvt_f64_f32_e32 v[6:7], v4
	v_mov_b32_e32 v9, v8
	global_store_dwordx4 v[2:3], v[6:9], off
	s_mov_b64 s[0:1], 0
.LBB201_1982:
	s_andn2_b64 vcc, exec, s[0:1]
	s_cbranch_vccnz .LBB201_1984
; %bb.1983:
	v_mov_b32_e32 v5, 0
	global_store_dwordx2 v[2:3], v[4:5], off
.LBB201_1984:
	s_mov_b64 s[0:1], 0
.LBB201_1985:
	s_andn2_b64 vcc, exec, s[0:1]
	s_cbranch_vccnz .LBB201_1987
; %bb.1986:
	v_cvt_f16_f32_e32 v5, v4
	global_store_dword v[2:3], v5, off
.LBB201_1987:
	s_mov_b64 s[0:1], 0
.LBB201_1988:
	s_andn2_b64 vcc, exec, s[0:1]
	s_cbranch_vccnz .LBB201_1997
; %bb.1989:
	s_cmp_lt_i32 s6, 6
	s_mov_b64 s[0:1], -1
	s_cbranch_scc1 .LBB201_1995
; %bb.1990:
	s_cmp_gt_i32 s6, 6
	s_cbranch_scc0 .LBB201_1992
; %bb.1991:
	v_cvt_f64_f32_e32 v[6:7], v4
	global_store_dwordx2 v[2:3], v[6:7], off
	s_mov_b64 s[0:1], 0
.LBB201_1992:
	s_andn2_b64 vcc, exec, s[0:1]
	s_cbranch_vccnz .LBB201_1994
; %bb.1993:
	global_store_dword v[2:3], v4, off
.LBB201_1994:
	s_mov_b64 s[0:1], 0
.LBB201_1995:
	s_andn2_b64 vcc, exec, s[0:1]
	s_cbranch_vccnz .LBB201_1997
; %bb.1996:
	v_cvt_f16_f32_e32 v5, v4
	global_store_short v[2:3], v5, off
.LBB201_1997:
	s_mov_b64 s[0:1], 0
.LBB201_1998:
	s_andn2_b64 vcc, exec, s[0:1]
	s_cbranch_vccnz .LBB201_2014
; %bb.1999:
	s_cmp_lt_i32 s6, 2
	s_mov_b64 s[0:1], -1
	s_cbranch_scc1 .LBB201_2009
; %bb.2000:
	s_cmp_lt_i32 s6, 3
	s_cbranch_scc1 .LBB201_2006
; %bb.2001:
	s_cmp_gt_i32 s6, 3
	s_cbranch_scc0 .LBB201_2003
; %bb.2002:
	v_trunc_f32_e32 v5, v4
	s_mov_b32 s0, 0x2f800000
	v_mul_f32_e64 v6, |v5|, s0
	v_floor_f32_e32 v6, v6
	s_mov_b32 s0, 0xcf800000
	v_cvt_u32_f32_e32 v7, v6
	v_fma_f32 v6, v6, s0, |v5|
	v_cvt_u32_f32_e32 v6, v6
	v_ashrrev_i32_e32 v5, 31, v5
	v_xor_b32_e32 v7, v7, v5
	s_mov_b64 s[0:1], 0
	v_xor_b32_e32 v6, v6, v5
	v_sub_co_u32_e32 v6, vcc, v6, v5
	s_nop 1
	v_subb_co_u32_e32 v7, vcc, v7, v5, vcc
	global_store_dwordx2 v[2:3], v[6:7], off
.LBB201_2003:
	s_andn2_b64 vcc, exec, s[0:1]
	s_cbranch_vccnz .LBB201_2005
; %bb.2004:
	v_cvt_i32_f32_e32 v5, v4
	global_store_dword v[2:3], v5, off
.LBB201_2005:
	s_mov_b64 s[0:1], 0
.LBB201_2006:
	s_andn2_b64 vcc, exec, s[0:1]
	s_cbranch_vccnz .LBB201_2008
; %bb.2007:
	v_cvt_i32_f32_e32 v5, v4
	global_store_short v[2:3], v5, off
.LBB201_2008:
	s_mov_b64 s[0:1], 0
.LBB201_2009:
	s_andn2_b64 vcc, exec, s[0:1]
	s_cbranch_vccnz .LBB201_2014
; %bb.2010:
	s_cmp_gt_i32 s6, 0
	s_mov_b64 s[0:1], -1
	s_cbranch_scc0 .LBB201_2012
; %bb.2011:
	v_cvt_i32_f32_e32 v5, v4
	s_mov_b64 s[0:1], 0
	global_store_byte v[2:3], v5, off
.LBB201_2012:
	s_andn2_b64 vcc, exec, s[0:1]
	s_cbranch_vccnz .LBB201_2014
; %bb.2013:
	v_trunc_f32_e32 v4, v4
	s_mov_b32 s0, 0x2f800000
	v_mul_f32_e64 v5, |v4|, s0
	v_floor_f32_e32 v5, v5
	s_mov_b32 s0, 0xcf800000
	v_fma_f32 v5, v5, s0, |v4|
	v_cvt_u32_f32_e32 v5, v5
	v_ashrrev_i32_e32 v4, 31, v4
	v_xor_b32_e32 v5, v5, v4
	v_sub_u32_e32 v4, v5, v4
	global_store_byte v[2:3], v4, off
.LBB201_2014:
	s_mov_b64 s[8:9], -1
.LBB201_2015:
	s_andn2_b64 vcc, exec, s[8:9]
	s_cbranch_vccnz .LBB201_2092
; %bb.2016:
	v_cvt_f64_f32_e32 v[2:3], v1
	v_rsq_f64_e32 v[4:5], v[2:3]
	s_mov_b32 s0, 0
	s_mov_b32 s1, 0x3fd80000
	v_mov_b32_e32 v1, 0x180
	v_mul_f64 v[2:3], v[4:5], -v[2:3]
	v_fma_f64 v[2:3], v[2:3], v[4:5], 1.0
	v_mul_f64 v[6:7], v[4:5], v[2:3]
	v_fma_f64 v[2:3], v[2:3], s[0:1], 0.5
	v_fma_f64 v[2:3], v[6:7], v[2:3], v[4:5]
	v_cmp_class_f64_e32 vcc, v[4:5], v1
	v_mov_b32_e32 v1, 0
	s_cmp_lt_i32 s14, 11
	v_cndmask_b32_e32 v3, v5, v3, vcc
	v_cndmask_b32_e32 v2, v4, v2, vcc
	v_cvt_f32_f64_e32 v2, v[2:3]
	v_lshl_add_u64 v[0:1], s[4:5], 0, v[0:1]
	s_cbranch_scc1 .LBB201_2137
; %bb.2017:
	s_and_b32 s12, 0xffff, s14
	s_mov_b64 s[6:7], -1
	s_mov_b64 s[4:5], 0
	s_cmp_gt_i32 s12, 25
	s_mov_b64 s[0:1], 0
	s_cbranch_scc0 .LBB201_2050
; %bb.2018:
	s_cmp_gt_i32 s12, 28
	s_cbranch_scc0 .LBB201_2034
; %bb.2019:
	s_cmp_gt_i32 s12, 43
	;; [unrolled: 3-line block ×3, first 2 shown]
	s_cbranch_scc0 .LBB201_2024
; %bb.2021:
	s_cmp_eq_u32 s12, 46
	s_mov_b64 s[0:1], -1
	s_cbranch_scc0 .LBB201_2023
; %bb.2022:
	v_bfe_u32 v3, v2, 16, 1
	s_movk_i32 s0, 0x7fff
	v_add3_u32 v3, v2, v3, s0
	v_cmp_o_f32_e32 vcc, v2, v2
	v_mov_b32_e32 v4, 0x7fc0
	s_mov_b64 s[0:1], 0
	v_cndmask_b32_sdwa v3, v4, v3, vcc dst_sel:DWORD dst_unused:UNUSED_PAD src0_sel:DWORD src1_sel:WORD_1
	global_store_dword v[0:1], v3, off
.LBB201_2023:
	s_mov_b64 s[6:7], 0
.LBB201_2024:
	s_and_b64 vcc, exec, s[6:7]
	s_cbranch_vccz .LBB201_2029
; %bb.2025:
	s_cmp_eq_u32 s12, 44
	s_mov_b64 s[0:1], -1
	s_cbranch_scc0 .LBB201_2029
; %bb.2026:
	v_bfe_u32 v3, v2, 23, 8
	s_movk_i32 s0, 0xff
	v_cmp_ne_u32_e32 vcc, s0, v3
	v_mov_b32_e32 v4, 0xff
	s_and_saveexec_b64 s[6:7], vcc
; %bb.2027:
	s_mov_b32 s0, 0x3fffff
	v_and_b32_e32 v5, 0x400000, v2
	v_and_or_b32 v3, v2, s0, v3
	v_cmp_ne_u32_e32 vcc, 0, v5
	v_cmp_ne_u32_e64 s[0:1], 0, v3
	s_and_b64 s[0:1], vcc, s[0:1]
	v_lshrrev_b32_e32 v4, 23, v2
	v_cndmask_b32_e64 v3, 0, 1, s[0:1]
	v_add_u32_e32 v4, v4, v3
; %bb.2028:
	s_or_b64 exec, exec, s[6:7]
	s_mov_b64 s[0:1], 0
	global_store_byte v[0:1], v4, off
.LBB201_2029:
	s_mov_b64 s[6:7], 0
.LBB201_2030:
	s_and_b64 vcc, exec, s[6:7]
	s_cbranch_vccz .LBB201_2033
; %bb.2031:
	s_cmp_eq_u32 s12, 29
	s_mov_b64 s[0:1], -1
	s_cbranch_scc0 .LBB201_2033
; %bb.2032:
	v_trunc_f32_e32 v3, v2
	v_mul_f32_e32 v4, 0x2f800000, v3
	v_floor_f32_e32 v4, v4
	v_fmamk_f32 v3, v4, 0xcf800000, v3
	v_cvt_u32_f32_e32 v5, v4
	v_cvt_u32_f32_e32 v4, v3
	s_mov_b64 s[0:1], 0
	global_store_dwordx2 v[0:1], v[4:5], off
.LBB201_2033:
	s_mov_b64 s[6:7], 0
.LBB201_2034:
	s_and_b64 vcc, exec, s[6:7]
	s_cbranch_vccz .LBB201_2049
; %bb.2035:
	s_cmp_lt_i32 s12, 27
	s_mov_b64 s[6:7], -1
	s_cbranch_scc1 .LBB201_2041
; %bb.2036:
	s_cmp_gt_i32 s12, 27
	s_cbranch_scc0 .LBB201_2038
; %bb.2037:
	v_cvt_u32_f32_e32 v3, v2
	s_mov_b64 s[6:7], 0
	global_store_dword v[0:1], v3, off
.LBB201_2038:
	s_andn2_b64 vcc, exec, s[6:7]
	s_cbranch_vccnz .LBB201_2040
; %bb.2039:
	v_cvt_u32_f32_e32 v3, v2
	global_store_short v[0:1], v3, off
.LBB201_2040:
	s_mov_b64 s[6:7], 0
.LBB201_2041:
	s_andn2_b64 vcc, exec, s[6:7]
	s_cbranch_vccnz .LBB201_2049
; %bb.2042:
	v_and_b32_e32 v3, 0x7fffffff, v2
	s_mov_b32 s6, 0x43800000
	v_cmp_gt_u32_e32 vcc, s6, v3
	v_mov_b32_e32 v4, 0x80
	s_and_saveexec_b64 s[6:7], vcc
	s_cbranch_execz .LBB201_2048
; %bb.2043:
	s_mov_b32 s8, 0x3bffffff
	v_cmp_lt_u32_e32 vcc, s8, v3
	s_mov_b64 s[8:9], 0
                                        ; implicit-def: $vgpr3
	s_and_saveexec_b64 s[10:11], vcc
	s_xor_b64 s[10:11], exec, s[10:11]
	s_cbranch_execz .LBB201_2154
; %bb.2044:
	v_bfe_u32 v3, v2, 20, 1
	s_mov_b32 s13, 0x487ffff
	v_add3_u32 v3, v2, v3, s13
	s_mov_b64 s[8:9], exec
	v_lshrrev_b32_e32 v3, 20, v3
	s_andn2_saveexec_b64 s[10:11], s[10:11]
	s_cbranch_execnz .LBB201_2155
.LBB201_2045:
	s_or_b64 exec, exec, s[10:11]
	v_mov_b32_e32 v4, 0
	s_and_saveexec_b64 s[10:11], s[8:9]
.LBB201_2046:
	v_lshrrev_b32_e32 v4, 24, v2
	s_movk_i32 s8, 0x80
	v_and_or_b32 v4, v4, s8, v3
.LBB201_2047:
	s_or_b64 exec, exec, s[10:11]
.LBB201_2048:
	s_or_b64 exec, exec, s[6:7]
	global_store_byte v[0:1], v4, off
.LBB201_2049:
	s_mov_b64 s[6:7], 0
.LBB201_2050:
	s_and_b64 vcc, exec, s[6:7]
	s_cbranch_vccz .LBB201_2090
; %bb.2051:
	s_cmp_gt_i32 s12, 22
	s_mov_b64 s[4:5], -1
	s_cbranch_scc0 .LBB201_2083
; %bb.2052:
	s_cmp_lt_i32 s12, 24
	s_cbranch_scc1 .LBB201_2072
; %bb.2053:
	s_cmp_gt_i32 s12, 24
	s_cbranch_scc0 .LBB201_2061
; %bb.2054:
	v_and_b32_e32 v3, 0x7fffffff, v2
	s_mov_b32 s4, 0x47800000
	v_cmp_gt_u32_e32 vcc, s4, v3
	v_mov_b32_e32 v4, 0x80
	s_and_saveexec_b64 s[4:5], vcc
	s_cbranch_execz .LBB201_2060
; %bb.2055:
	s_mov_b32 s6, 0x37ffffff
	v_cmp_lt_u32_e32 vcc, s6, v3
	s_mov_b64 s[6:7], 0
                                        ; implicit-def: $vgpr3
	s_and_saveexec_b64 s[8:9], vcc
	s_xor_b64 s[8:9], exec, s[8:9]
	s_cbranch_execz .LBB201_2157
; %bb.2056:
	v_bfe_u32 v3, v2, 21, 1
	s_mov_b32 s10, 0x88fffff
	v_add3_u32 v3, v2, v3, s10
	s_mov_b64 s[6:7], exec
	v_lshrrev_b32_e32 v3, 21, v3
	s_andn2_saveexec_b64 s[8:9], s[8:9]
	s_cbranch_execnz .LBB201_2158
.LBB201_2057:
	s_or_b64 exec, exec, s[8:9]
	v_mov_b32_e32 v4, 0
	s_and_saveexec_b64 s[8:9], s[6:7]
.LBB201_2058:
	v_lshrrev_b32_e32 v4, 24, v2
	s_movk_i32 s6, 0x80
	v_and_or_b32 v4, v4, s6, v3
.LBB201_2059:
	s_or_b64 exec, exec, s[8:9]
.LBB201_2060:
	s_or_b64 exec, exec, s[4:5]
	s_mov_b64 s[4:5], 0
	global_store_byte v[0:1], v4, off
.LBB201_2061:
	s_and_b64 vcc, exec, s[4:5]
	s_cbranch_vccz .LBB201_2071
; %bb.2062:
	v_and_b32_e32 v4, 0x7fffffff, v2
	s_mov_b32 s4, 0x43f00000
	v_cmp_gt_u32_e32 vcc, s4, v4
                                        ; implicit-def: $vgpr3
	s_and_saveexec_b64 s[4:5], vcc
	s_xor_b64 s[4:5], exec, s[4:5]
	s_cbranch_execz .LBB201_2068
; %bb.2063:
	s_mov_b32 s6, 0x3c7fffff
	v_cmp_lt_u32_e32 vcc, s6, v4
                                        ; implicit-def: $vgpr3
	s_and_saveexec_b64 s[6:7], vcc
	s_xor_b64 s[6:7], exec, s[6:7]
; %bb.2064:
	v_bfe_u32 v3, v2, 20, 1
	s_mov_b32 s8, 0x407ffff
	v_add3_u32 v3, v2, v3, s8
	v_lshrrev_b32_e32 v4, 20, v3
	v_and_b32_e32 v3, 0xff00000, v3
	s_mov_b32 s8, 0x7f00000
	v_mov_b32_e32 v5, 0x7e
	v_cmp_ne_u32_e32 vcc, s8, v3
	s_nop 1
	v_cndmask_b32_e32 v3, v5, v4, vcc
; %bb.2065:
	s_andn2_saveexec_b64 s[6:7], s[6:7]
; %bb.2066:
	s_mov_b32 s8, 0x46800000
	v_add_f32_e64 v3, |v2|, s8
; %bb.2067:
	s_or_b64 exec, exec, s[6:7]
                                        ; implicit-def: $vgpr4
.LBB201_2068:
	s_andn2_saveexec_b64 s[4:5], s[4:5]
; %bb.2069:
	s_mov_b32 s6, 0x7f800000
	v_mov_b32_e32 v3, 0x7e
	v_mov_b32_e32 v5, 0x7f
	v_cmp_lt_u32_e32 vcc, s6, v4
	s_nop 1
	v_cndmask_b32_e32 v3, v3, v5, vcc
; %bb.2070:
	s_or_b64 exec, exec, s[4:5]
	v_lshrrev_b32_e32 v4, 24, v2
	s_movk_i32 s4, 0x80
	v_and_or_b32 v3, v4, s4, v3
	global_store_byte v[0:1], v3, off
.LBB201_2071:
	s_mov_b64 s[4:5], 0
.LBB201_2072:
	s_andn2_b64 vcc, exec, s[4:5]
	s_cbranch_vccnz .LBB201_2082
; %bb.2073:
	v_and_b32_e32 v4, 0x7fffffff, v2
	s_mov_b32 s4, 0x47800000
	v_cmp_gt_u32_e32 vcc, s4, v4
                                        ; implicit-def: $vgpr3
	s_and_saveexec_b64 s[4:5], vcc
	s_xor_b64 s[4:5], exec, s[4:5]
	s_cbranch_execz .LBB201_2079
; %bb.2074:
	s_mov_b32 s6, 0x387fffff
	v_cmp_lt_u32_e32 vcc, s6, v4
                                        ; implicit-def: $vgpr3
	s_and_saveexec_b64 s[6:7], vcc
	s_xor_b64 s[6:7], exec, s[6:7]
; %bb.2075:
	v_bfe_u32 v3, v2, 21, 1
	s_mov_b32 s8, 0x80fffff
	v_add3_u32 v3, v2, v3, s8
	v_lshrrev_b32_e32 v3, 21, v3
; %bb.2076:
	s_andn2_saveexec_b64 s[6:7], s[6:7]
; %bb.2077:
	s_mov_b32 s8, 0x43000000
	v_add_f32_e64 v3, |v2|, s8
; %bb.2078:
	s_or_b64 exec, exec, s[6:7]
                                        ; implicit-def: $vgpr4
.LBB201_2079:
	s_andn2_saveexec_b64 s[4:5], s[4:5]
; %bb.2080:
	s_mov_b32 s6, 0x7f800000
	v_mov_b32_e32 v3, 0x7c
	v_mov_b32_e32 v5, 0x7f
	v_cmp_lt_u32_e32 vcc, s6, v4
	s_nop 1
	v_cndmask_b32_e32 v3, v3, v5, vcc
; %bb.2081:
	s_or_b64 exec, exec, s[4:5]
	v_lshrrev_b32_e32 v4, 24, v2
	s_movk_i32 s4, 0x80
	v_and_or_b32 v3, v4, s4, v3
	global_store_byte v[0:1], v3, off
.LBB201_2082:
	s_mov_b64 s[4:5], 0
.LBB201_2083:
	s_andn2_b64 vcc, exec, s[4:5]
	s_mov_b64 s[4:5], 0
	s_cbranch_vccnz .LBB201_2090
; %bb.2084:
	s_cmp_gt_i32 s12, 14
	s_mov_b64 s[6:7], -1
	s_cbranch_scc0 .LBB201_2088
; %bb.2085:
	s_cmp_eq_u32 s12, 15
	s_mov_b64 s[0:1], -1
	s_cbranch_scc0 .LBB201_2087
; %bb.2086:
	v_bfe_u32 v3, v2, 16, 1
	s_movk_i32 s0, 0x7fff
	v_add3_u32 v3, v2, v3, s0
	v_cmp_o_f32_e32 vcc, v2, v2
	v_mov_b32_e32 v4, 0x7fc0
	s_mov_b64 s[0:1], 0
	v_cndmask_b32_sdwa v3, v4, v3, vcc dst_sel:DWORD dst_unused:UNUSED_PAD src0_sel:DWORD src1_sel:WORD_1
	global_store_short v[0:1], v3, off
.LBB201_2087:
	s_mov_b64 s[6:7], 0
.LBB201_2088:
	s_and_b64 vcc, exec, s[6:7]
	s_cbranch_vccz .LBB201_2090
; %bb.2089:
	s_cmp_lg_u32 s12, 11
	s_mov_b64 s[4:5], -1
	s_cselect_b64 s[0:1], -1, 0
.LBB201_2090:
	s_and_b64 vcc, exec, s[0:1]
	s_cbranch_vccnz .LBB201_2156
.LBB201_2091:
	s_mov_b64 s[0:1], 0
	s_branch .LBB201_2093
.LBB201_2092:
	s_mov_b64 s[0:1], 0
	s_mov_b64 s[4:5], 0
                                        ; implicit-def: $vgpr0_vgpr1
                                        ; implicit-def: $sgpr14
                                        ; implicit-def: $vgpr2
.LBB201_2093:
	s_and_b64 s[6:7], s[0:1], exec
	s_andn2_b64 s[0:1], s[24:25], exec
	s_and_b64 s[2:3], s[2:3], exec
	s_and_b64 s[40:41], s[4:5], exec
	s_or_b64 s[24:25], s[0:1], s[2:3]
.LBB201_2094:
	s_or_b64 exec, exec, s[26:27]
	s_and_saveexec_b64 s[0:1], s[24:25]
	s_cbranch_execz .LBB201_2097
; %bb.2095:
	; divergent unreachable
	s_or_b64 exec, exec, s[0:1]
	s_and_saveexec_b64 s[0:1], s[40:41]
	s_xor_b64 s[0:1], exec, s[0:1]
	s_cbranch_execnz .LBB201_2098
.LBB201_2096:
	s_or_b64 exec, exec, s[0:1]
	s_and_saveexec_b64 s[0:1], s[6:7]
	s_cbranch_execnz .LBB201_2099
	s_branch .LBB201_2136
.LBB201_2097:
	s_or_b64 exec, exec, s[0:1]
	s_and_saveexec_b64 s[0:1], s[40:41]
	s_xor_b64 s[0:1], exec, s[0:1]
	s_cbranch_execz .LBB201_2096
.LBB201_2098:
	v_cmp_neq_f32_e32 vcc, 0, v2
	s_waitcnt vmcnt(0)
	s_nop 0
	v_cndmask_b32_e64 v3, 0, 1, vcc
	global_store_byte v[0:1], v3, off
	s_or_b64 exec, exec, s[0:1]
	s_and_saveexec_b64 s[0:1], s[6:7]
	s_cbranch_execz .LBB201_2136
.LBB201_2099:
	s_sext_i32_i16 s2, s14
	s_cmp_lt_i32 s2, 5
	s_mov_b64 s[0:1], -1
	s_cbranch_scc1 .LBB201_2120
; %bb.2100:
	s_cmp_lt_i32 s2, 8
	s_cbranch_scc1 .LBB201_2110
; %bb.2101:
	s_cmp_lt_i32 s2, 9
	s_cbranch_scc1 .LBB201_2107
; %bb.2102:
	s_cmp_gt_i32 s2, 9
	s_cbranch_scc0 .LBB201_2104
; %bb.2103:
	v_mov_b32_e32 v6, 0
	s_waitcnt vmcnt(0)
	v_cvt_f64_f32_e32 v[4:5], v2
	v_mov_b32_e32 v7, v6
	global_store_dwordx4 v[0:1], v[4:7], off
	s_mov_b64 s[0:1], 0
.LBB201_2104:
	s_andn2_b64 vcc, exec, s[0:1]
	s_cbranch_vccnz .LBB201_2106
; %bb.2105:
	s_waitcnt vmcnt(0)
	v_mov_b32_e32 v3, 0
	global_store_dwordx2 v[0:1], v[2:3], off
.LBB201_2106:
	s_mov_b64 s[0:1], 0
.LBB201_2107:
	s_andn2_b64 vcc, exec, s[0:1]
	s_cbranch_vccnz .LBB201_2109
; %bb.2108:
	s_waitcnt vmcnt(0)
	v_cvt_f16_f32_e32 v3, v2
	global_store_dword v[0:1], v3, off
.LBB201_2109:
	s_mov_b64 s[0:1], 0
.LBB201_2110:
	s_andn2_b64 vcc, exec, s[0:1]
	s_cbranch_vccnz .LBB201_2119
; %bb.2111:
	s_sext_i32_i16 s2, s14
	s_cmp_lt_i32 s2, 6
	s_mov_b64 s[0:1], -1
	s_cbranch_scc1 .LBB201_2117
; %bb.2112:
	s_cmp_gt_i32 s2, 6
	s_cbranch_scc0 .LBB201_2114
; %bb.2113:
	s_waitcnt vmcnt(0)
	v_cvt_f64_f32_e32 v[4:5], v2
	global_store_dwordx2 v[0:1], v[4:5], off
	s_mov_b64 s[0:1], 0
.LBB201_2114:
	s_andn2_b64 vcc, exec, s[0:1]
	s_cbranch_vccnz .LBB201_2116
; %bb.2115:
	s_waitcnt vmcnt(0)
	global_store_dword v[0:1], v2, off
.LBB201_2116:
	s_mov_b64 s[0:1], 0
.LBB201_2117:
	s_andn2_b64 vcc, exec, s[0:1]
	s_cbranch_vccnz .LBB201_2119
; %bb.2118:
	s_waitcnt vmcnt(0)
	v_cvt_f16_f32_e32 v3, v2
	global_store_short v[0:1], v3, off
.LBB201_2119:
	s_mov_b64 s[0:1], 0
.LBB201_2120:
	s_andn2_b64 vcc, exec, s[0:1]
	s_cbranch_vccnz .LBB201_2136
; %bb.2121:
	s_sext_i32_i16 s2, s14
	s_cmp_lt_i32 s2, 2
	s_mov_b64 s[0:1], -1
	s_cbranch_scc1 .LBB201_2131
; %bb.2122:
	s_cmp_lt_i32 s2, 3
	s_cbranch_scc1 .LBB201_2128
; %bb.2123:
	s_cmp_gt_i32 s2, 3
	s_cbranch_scc0 .LBB201_2125
; %bb.2124:
	s_waitcnt vmcnt(0)
	v_trunc_f32_e32 v3, v2
	s_mov_b32 s0, 0x2f800000
	v_mul_f32_e64 v4, |v3|, s0
	v_floor_f32_e32 v4, v4
	s_mov_b32 s0, 0xcf800000
	v_cvt_u32_f32_e32 v5, v4
	v_fma_f32 v4, v4, s0, |v3|
	v_cvt_u32_f32_e32 v4, v4
	v_ashrrev_i32_e32 v3, 31, v3
	v_xor_b32_e32 v5, v5, v3
	s_mov_b64 s[0:1], 0
	v_xor_b32_e32 v4, v4, v3
	v_sub_co_u32_e32 v4, vcc, v4, v3
	s_nop 1
	v_subb_co_u32_e32 v5, vcc, v5, v3, vcc
	global_store_dwordx2 v[0:1], v[4:5], off
.LBB201_2125:
	s_andn2_b64 vcc, exec, s[0:1]
	s_cbranch_vccnz .LBB201_2127
; %bb.2126:
	s_waitcnt vmcnt(0)
	v_cvt_i32_f32_e32 v3, v2
	global_store_dword v[0:1], v3, off
.LBB201_2127:
	s_mov_b64 s[0:1], 0
.LBB201_2128:
	s_andn2_b64 vcc, exec, s[0:1]
	s_cbranch_vccnz .LBB201_2130
; %bb.2129:
	s_waitcnt vmcnt(0)
	v_cvt_i32_f32_e32 v3, v2
	global_store_short v[0:1], v3, off
.LBB201_2130:
	s_mov_b64 s[0:1], 0
.LBB201_2131:
	s_andn2_b64 vcc, exec, s[0:1]
	s_cbranch_vccnz .LBB201_2136
; %bb.2132:
	s_sext_i32_i16 s0, s14
	s_cmp_gt_i32 s0, 0
	s_mov_b64 s[0:1], -1
	s_cbranch_scc0 .LBB201_2134
; %bb.2133:
	s_waitcnt vmcnt(0)
	v_cvt_i32_f32_e32 v3, v2
	s_mov_b64 s[0:1], 0
	global_store_byte v[0:1], v3, off
.LBB201_2134:
	s_andn2_b64 vcc, exec, s[0:1]
	s_cbranch_vccnz .LBB201_2136
; %bb.2135:
	v_trunc_f32_e32 v2, v2
	s_mov_b32 s0, 0x2f800000
	s_waitcnt vmcnt(0)
	v_mul_f32_e64 v3, |v2|, s0
	v_floor_f32_e32 v3, v3
	s_mov_b32 s0, 0xcf800000
	v_fma_f32 v3, v3, s0, |v2|
	v_cvt_u32_f32_e32 v3, v3
	v_ashrrev_i32_e32 v2, 31, v2
	v_xor_b32_e32 v3, v3, v2
	v_sub_u32_e32 v2, v3, v2
	global_store_byte v[0:1], v2, off
	s_endpgm
.LBB201_2136:
	s_endpgm
.LBB201_2137:
	s_mov_b64 s[4:5], 0
	s_mov_b64 s[0:1], -1
	s_branch .LBB201_2093
.LBB201_2138:
	s_trap 2
	s_or_b64 s[2:3], s[2:3], exec
	s_cbranch_execz .LBB201_1607
	s_branch .LBB201_1608
.LBB201_2139:
	s_andn2_saveexec_b64 s[12:13], s[12:13]
	s_cbranch_execz .LBB201_1687
.LBB201_2140:
	s_mov_b32 s17, 0x46000000
	v_add_f32_e64 v9, |v8|, s17
	v_and_b32_e32 v9, 0xff, v9
	v_cmp_ne_u32_e32 vcc, 0, v9
	s_andn2_b64 s[10:11], s[10:11], exec
	s_and_b64 s[18:19], vcc, exec
	s_or_b64 s[10:11], s[10:11], s[18:19]
	s_or_b64 exec, exec, s[12:13]
	v_mov_b32_e32 v10, 0
	s_and_saveexec_b64 s[12:13], s[10:11]
	s_cbranch_execnz .LBB201_1688
	s_branch .LBB201_1689
.LBB201_2141:
	s_trap 2
	s_or_b64 s[2:3], s[2:3], exec
	s_cbranch_execz .LBB201_1735
	s_branch .LBB201_1736
.LBB201_2142:
	s_andn2_saveexec_b64 s[10:11], s[10:11]
	s_cbranch_execz .LBB201_1700
.LBB201_2143:
	s_mov_b32 s12, 0x42800000
	v_add_f32_e64 v9, |v8|, s12
	v_and_b32_e32 v9, 0xff, v9
	v_cmp_ne_u32_e32 vcc, 0, v9
	s_andn2_b64 s[8:9], s[8:9], exec
	s_and_b64 s[12:13], vcc, exec
	s_or_b64 s[8:9], s[8:9], s[12:13]
	s_or_b64 exec, exec, s[10:11]
	v_mov_b32_e32 v10, 0
	s_and_saveexec_b64 s[10:11], s[8:9]
	s_cbranch_execnz .LBB201_1701
	s_branch .LBB201_1702
.LBB201_2144:
	s_andn2_saveexec_b64 s[12:13], s[12:13]
	s_cbranch_execz .LBB201_1806
.LBB201_2145:
	s_mov_b32 s16, 0x46000000
	v_add_f32_e64 v7, |v6|, s16
	v_and_b32_e32 v7, 0xff, v7
	v_cmp_ne_u32_e32 vcc, 0, v7
	s_andn2_b64 s[10:11], s[10:11], exec
	s_and_b64 s[16:17], vcc, exec
	s_or_b64 s[10:11], s[10:11], s[16:17]
	s_or_b64 exec, exec, s[12:13]
	v_mov_b32_e32 v8, 0
	s_and_saveexec_b64 s[12:13], s[10:11]
	s_cbranch_execnz .LBB201_1807
	s_branch .LBB201_1808
.LBB201_2146:
	s_trap 2
	s_or_b64 s[2:3], s[2:3], exec
	s_cbranch_execz .LBB201_1854
	s_branch .LBB201_1855
.LBB201_2147:
	s_andn2_saveexec_b64 s[10:11], s[10:11]
	s_cbranch_execz .LBB201_1819
.LBB201_2148:
	s_mov_b32 s12, 0x42800000
	v_add_f32_e64 v7, |v6|, s12
	v_and_b32_e32 v7, 0xff, v7
	v_cmp_ne_u32_e32 vcc, 0, v7
	s_andn2_b64 s[8:9], s[8:9], exec
	s_and_b64 s[12:13], vcc, exec
	s_or_b64 s[8:9], s[8:9], s[12:13]
	s_or_b64 exec, exec, s[10:11]
	v_mov_b32_e32 v8, 0
	s_and_saveexec_b64 s[10:11], s[8:9]
	s_cbranch_execnz .LBB201_1820
	s_branch .LBB201_1821
.LBB201_2149:
	s_andn2_saveexec_b64 s[12:13], s[12:13]
	s_cbranch_execz .LBB201_1925
.LBB201_2150:
	s_mov_b32 s16, 0x46000000
	v_add_f32_e64 v5, |v4|, s16
	v_and_b32_e32 v5, 0xff, v5
	v_cmp_ne_u32_e32 vcc, 0, v5
	s_andn2_b64 s[10:11], s[10:11], exec
	s_and_b64 s[16:17], vcc, exec
	s_or_b64 s[10:11], s[10:11], s[16:17]
	s_or_b64 exec, exec, s[12:13]
	v_mov_b32_e32 v6, 0
	s_and_saveexec_b64 s[12:13], s[10:11]
	s_cbranch_execnz .LBB201_1926
	s_branch .LBB201_1927
.LBB201_2151:
	s_trap 2
	s_or_b64 s[2:3], s[2:3], exec
	s_cbranch_execz .LBB201_1973
	s_branch .LBB201_1974
.LBB201_2152:
	s_andn2_saveexec_b64 s[10:11], s[10:11]
	s_cbranch_execz .LBB201_1938
.LBB201_2153:
	s_mov_b32 s12, 0x42800000
	v_add_f32_e64 v5, |v4|, s12
	v_and_b32_e32 v5, 0xff, v5
	v_cmp_ne_u32_e32 vcc, 0, v5
	s_andn2_b64 s[8:9], s[8:9], exec
	s_and_b64 s[12:13], vcc, exec
	s_or_b64 s[8:9], s[8:9], s[12:13]
	s_or_b64 exec, exec, s[10:11]
	v_mov_b32_e32 v6, 0
	s_and_saveexec_b64 s[10:11], s[8:9]
	s_cbranch_execnz .LBB201_1939
	s_branch .LBB201_1940
.LBB201_2154:
	s_andn2_saveexec_b64 s[10:11], s[10:11]
	s_cbranch_execz .LBB201_2045
.LBB201_2155:
	s_mov_b32 s13, 0x46000000
	v_add_f32_e64 v3, |v2|, s13
	v_and_b32_e32 v3, 0xff, v3
	v_cmp_ne_u32_e32 vcc, 0, v3
	s_andn2_b64 s[8:9], s[8:9], exec
	s_and_b64 s[16:17], vcc, exec
	s_or_b64 s[8:9], s[8:9], s[16:17]
	s_or_b64 exec, exec, s[10:11]
	v_mov_b32_e32 v4, 0
	s_and_saveexec_b64 s[10:11], s[8:9]
	s_cbranch_execnz .LBB201_2046
	s_branch .LBB201_2047
.LBB201_2156:
	s_mov_b64 s[4:5], 0
	s_or_b64 s[2:3], s[2:3], exec
	s_trap 2
	s_branch .LBB201_2091
.LBB201_2157:
	s_andn2_saveexec_b64 s[8:9], s[8:9]
	s_cbranch_execz .LBB201_2057
.LBB201_2158:
	s_mov_b32 s10, 0x42800000
	v_add_f32_e64 v3, |v2|, s10
	v_and_b32_e32 v3, 0xff, v3
	v_cmp_ne_u32_e32 vcc, 0, v3
	s_andn2_b64 s[6:7], s[6:7], exec
	s_and_b64 s[10:11], vcc, exec
	s_or_b64 s[6:7], s[6:7], s[10:11]
	s_or_b64 exec, exec, s[8:9]
	v_mov_b32_e32 v4, 0
	s_and_saveexec_b64 s[8:9], s[6:7]
	s_cbranch_execnz .LBB201_2058
	s_branch .LBB201_2059
	.section	.rodata,"a",@progbits
	.p2align	6, 0x0
	.amdhsa_kernel _ZN2at6native32elementwise_kernel_manual_unrollILi128ELi4EZNS0_15gpu_kernel_implIZZZNS0_17rsqrt_kernel_cudaERNS_18TensorIteratorBaseEENKUlvE0_clEvENKUlvE0_clEvEUlfE_EEvS4_RKT_EUlibE0_EEviT1_
		.amdhsa_group_segment_fixed_size 0
		.amdhsa_private_segment_fixed_size 0
		.amdhsa_kernarg_size 360
		.amdhsa_user_sgpr_count 2
		.amdhsa_user_sgpr_dispatch_ptr 0
		.amdhsa_user_sgpr_queue_ptr 0
		.amdhsa_user_sgpr_kernarg_segment_ptr 1
		.amdhsa_user_sgpr_dispatch_id 0
		.amdhsa_user_sgpr_kernarg_preload_length 0
		.amdhsa_user_sgpr_kernarg_preload_offset 0
		.amdhsa_user_sgpr_private_segment_size 0
		.amdhsa_uses_dynamic_stack 0
		.amdhsa_enable_private_segment 0
		.amdhsa_system_sgpr_workgroup_id_x 1
		.amdhsa_system_sgpr_workgroup_id_y 0
		.amdhsa_system_sgpr_workgroup_id_z 0
		.amdhsa_system_sgpr_workgroup_info 0
		.amdhsa_system_vgpr_workitem_id 0
		.amdhsa_next_free_vgpr 18
		.amdhsa_next_free_sgpr 78
		.amdhsa_accum_offset 20
		.amdhsa_reserve_vcc 1
		.amdhsa_float_round_mode_32 0
		.amdhsa_float_round_mode_16_64 0
		.amdhsa_float_denorm_mode_32 3
		.amdhsa_float_denorm_mode_16_64 3
		.amdhsa_dx10_clamp 1
		.amdhsa_ieee_mode 1
		.amdhsa_fp16_overflow 0
		.amdhsa_tg_split 0
		.amdhsa_exception_fp_ieee_invalid_op 0
		.amdhsa_exception_fp_denorm_src 0
		.amdhsa_exception_fp_ieee_div_zero 0
		.amdhsa_exception_fp_ieee_overflow 0
		.amdhsa_exception_fp_ieee_underflow 0
		.amdhsa_exception_fp_ieee_inexact 0
		.amdhsa_exception_int_div_zero 0
	.end_amdhsa_kernel
	.section	.text._ZN2at6native32elementwise_kernel_manual_unrollILi128ELi4EZNS0_15gpu_kernel_implIZZZNS0_17rsqrt_kernel_cudaERNS_18TensorIteratorBaseEENKUlvE0_clEvENKUlvE0_clEvEUlfE_EEvS4_RKT_EUlibE0_EEviT1_,"axG",@progbits,_ZN2at6native32elementwise_kernel_manual_unrollILi128ELi4EZNS0_15gpu_kernel_implIZZZNS0_17rsqrt_kernel_cudaERNS_18TensorIteratorBaseEENKUlvE0_clEvENKUlvE0_clEvEUlfE_EEvS4_RKT_EUlibE0_EEviT1_,comdat
.Lfunc_end201:
	.size	_ZN2at6native32elementwise_kernel_manual_unrollILi128ELi4EZNS0_15gpu_kernel_implIZZZNS0_17rsqrt_kernel_cudaERNS_18TensorIteratorBaseEENKUlvE0_clEvENKUlvE0_clEvEUlfE_EEvS4_RKT_EUlibE0_EEviT1_, .Lfunc_end201-_ZN2at6native32elementwise_kernel_manual_unrollILi128ELi4EZNS0_15gpu_kernel_implIZZZNS0_17rsqrt_kernel_cudaERNS_18TensorIteratorBaseEENKUlvE0_clEvENKUlvE0_clEvEUlfE_EEvS4_RKT_EUlibE0_EEviT1_
                                        ; -- End function
	.set _ZN2at6native32elementwise_kernel_manual_unrollILi128ELi4EZNS0_15gpu_kernel_implIZZZNS0_17rsqrt_kernel_cudaERNS_18TensorIteratorBaseEENKUlvE0_clEvENKUlvE0_clEvEUlfE_EEvS4_RKT_EUlibE0_EEviT1_.num_vgpr, 18
	.set _ZN2at6native32elementwise_kernel_manual_unrollILi128ELi4EZNS0_15gpu_kernel_implIZZZNS0_17rsqrt_kernel_cudaERNS_18TensorIteratorBaseEENKUlvE0_clEvENKUlvE0_clEvEUlfE_EEvS4_RKT_EUlibE0_EEviT1_.num_agpr, 0
	.set _ZN2at6native32elementwise_kernel_manual_unrollILi128ELi4EZNS0_15gpu_kernel_implIZZZNS0_17rsqrt_kernel_cudaERNS_18TensorIteratorBaseEENKUlvE0_clEvENKUlvE0_clEvEUlfE_EEvS4_RKT_EUlibE0_EEviT1_.numbered_sgpr, 78
	.set _ZN2at6native32elementwise_kernel_manual_unrollILi128ELi4EZNS0_15gpu_kernel_implIZZZNS0_17rsqrt_kernel_cudaERNS_18TensorIteratorBaseEENKUlvE0_clEvENKUlvE0_clEvEUlfE_EEvS4_RKT_EUlibE0_EEviT1_.num_named_barrier, 0
	.set _ZN2at6native32elementwise_kernel_manual_unrollILi128ELi4EZNS0_15gpu_kernel_implIZZZNS0_17rsqrt_kernel_cudaERNS_18TensorIteratorBaseEENKUlvE0_clEvENKUlvE0_clEvEUlfE_EEvS4_RKT_EUlibE0_EEviT1_.private_seg_size, 0
	.set _ZN2at6native32elementwise_kernel_manual_unrollILi128ELi4EZNS0_15gpu_kernel_implIZZZNS0_17rsqrt_kernel_cudaERNS_18TensorIteratorBaseEENKUlvE0_clEvENKUlvE0_clEvEUlfE_EEvS4_RKT_EUlibE0_EEviT1_.uses_vcc, 1
	.set _ZN2at6native32elementwise_kernel_manual_unrollILi128ELi4EZNS0_15gpu_kernel_implIZZZNS0_17rsqrt_kernel_cudaERNS_18TensorIteratorBaseEENKUlvE0_clEvENKUlvE0_clEvEUlfE_EEvS4_RKT_EUlibE0_EEviT1_.uses_flat_scratch, 0
	.set _ZN2at6native32elementwise_kernel_manual_unrollILi128ELi4EZNS0_15gpu_kernel_implIZZZNS0_17rsqrt_kernel_cudaERNS_18TensorIteratorBaseEENKUlvE0_clEvENKUlvE0_clEvEUlfE_EEvS4_RKT_EUlibE0_EEviT1_.has_dyn_sized_stack, 0
	.set _ZN2at6native32elementwise_kernel_manual_unrollILi128ELi4EZNS0_15gpu_kernel_implIZZZNS0_17rsqrt_kernel_cudaERNS_18TensorIteratorBaseEENKUlvE0_clEvENKUlvE0_clEvEUlfE_EEvS4_RKT_EUlibE0_EEviT1_.has_recursion, 0
	.set _ZN2at6native32elementwise_kernel_manual_unrollILi128ELi4EZNS0_15gpu_kernel_implIZZZNS0_17rsqrt_kernel_cudaERNS_18TensorIteratorBaseEENKUlvE0_clEvENKUlvE0_clEvEUlfE_EEvS4_RKT_EUlibE0_EEviT1_.has_indirect_call, 0
	.section	.AMDGPU.csdata,"",@progbits
; Kernel info:
; codeLenInByte = 38620
; TotalNumSgprs: 84
; NumVgprs: 18
; NumAgprs: 0
; TotalNumVgprs: 18
; ScratchSize: 0
; MemoryBound: 1
; FloatMode: 240
; IeeeMode: 1
; LDSByteSize: 0 bytes/workgroup (compile time only)
; SGPRBlocks: 10
; VGPRBlocks: 2
; NumSGPRsForWavesPerEU: 84
; NumVGPRsForWavesPerEU: 18
; AccumOffset: 20
; Occupancy: 8
; WaveLimiterHint : 1
; COMPUTE_PGM_RSRC2:SCRATCH_EN: 0
; COMPUTE_PGM_RSRC2:USER_SGPR: 2
; COMPUTE_PGM_RSRC2:TRAP_HANDLER: 0
; COMPUTE_PGM_RSRC2:TGID_X_EN: 1
; COMPUTE_PGM_RSRC2:TGID_Y_EN: 0
; COMPUTE_PGM_RSRC2:TGID_Z_EN: 0
; COMPUTE_PGM_RSRC2:TIDIG_COMP_CNT: 0
; COMPUTE_PGM_RSRC3_GFX90A:ACCUM_OFFSET: 4
; COMPUTE_PGM_RSRC3_GFX90A:TG_SPLIT: 0
	.section	.text._ZN2at6native29vectorized_elementwise_kernelILi16EZZZNS0_17rsqrt_kernel_cudaERNS_18TensorIteratorBaseEENKUlvE0_clEvENKUlvE1_clEvEUlN3c108BFloat16EE_St5arrayIPcLm2EEEEviT0_T1_,"axG",@progbits,_ZN2at6native29vectorized_elementwise_kernelILi16EZZZNS0_17rsqrt_kernel_cudaERNS_18TensorIteratorBaseEENKUlvE0_clEvENKUlvE1_clEvEUlN3c108BFloat16EE_St5arrayIPcLm2EEEEviT0_T1_,comdat
	.globl	_ZN2at6native29vectorized_elementwise_kernelILi16EZZZNS0_17rsqrt_kernel_cudaERNS_18TensorIteratorBaseEENKUlvE0_clEvENKUlvE1_clEvEUlN3c108BFloat16EE_St5arrayIPcLm2EEEEviT0_T1_ ; -- Begin function _ZN2at6native29vectorized_elementwise_kernelILi16EZZZNS0_17rsqrt_kernel_cudaERNS_18TensorIteratorBaseEENKUlvE0_clEvENKUlvE1_clEvEUlN3c108BFloat16EE_St5arrayIPcLm2EEEEviT0_T1_
	.p2align	8
	.type	_ZN2at6native29vectorized_elementwise_kernelILi16EZZZNS0_17rsqrt_kernel_cudaERNS_18TensorIteratorBaseEENKUlvE0_clEvENKUlvE1_clEvEUlN3c108BFloat16EE_St5arrayIPcLm2EEEEviT0_T1_,@function
_ZN2at6native29vectorized_elementwise_kernelILi16EZZZNS0_17rsqrt_kernel_cudaERNS_18TensorIteratorBaseEENKUlvE0_clEvENKUlvE1_clEvEUlN3c108BFloat16EE_St5arrayIPcLm2EEEEviT0_T1_: ; @_ZN2at6native29vectorized_elementwise_kernelILi16EZZZNS0_17rsqrt_kernel_cudaERNS_18TensorIteratorBaseEENKUlvE0_clEvENKUlvE1_clEvEUlN3c108BFloat16EE_St5arrayIPcLm2EEEEviT0_T1_
; %bb.0:
	s_load_dword s3, s[0:1], 0x0
	s_load_dwordx4 s[4:7], s[0:1], 0x8
	s_lshl_b32 s2, s2, 11
	s_mov_b64 s[0:1], -1
	s_waitcnt lgkmcnt(0)
	s_sub_i32 s10, s3, s2
	s_cmpk_gt_i32 s10, 0x7ff
	s_cbranch_scc0 .LBB202_2
; %bb.1:
	s_ashr_i32 s3, s2, 31
	s_lshl_b64 s[0:1], s[2:3], 1
	s_add_u32 s8, s6, s0
	s_addc_u32 s9, s7, s1
	v_lshlrev_b32_e32 v1, 4, v0
	global_load_dwordx4 v[2:5], v1, s[8:9]
	s_mov_b32 s8, 0
	s_mov_b32 s9, 0x3fd80000
	v_mov_b32_e32 v42, 0x180
	s_movk_i32 s3, 0x7fff
	v_mov_b32_e32 v43, 0x7fc0
	s_add_u32 s0, s4, s0
	s_addc_u32 s1, s5, s1
	s_waitcnt vmcnt(0)
	v_and_b32_e32 v6, 0xffff0000, v2
	v_lshlrev_b32_e32 v7, 16, v3
	v_lshlrev_b32_e32 v8, 16, v2
	;; [unrolled: 1-line block ×3, first 2 shown]
	v_and_b32_e32 v14, 0xffff0000, v4
	v_lshlrev_b32_e32 v12, 16, v5
	v_and_b32_e32 v10, 0xffff0000, v5
	v_cvt_f64_f32_e32 v[4:5], v7
	v_cvt_f64_f32_e32 v[6:7], v6
	v_and_b32_e32 v2, 0xffff0000, v3
	v_cvt_f64_f32_e32 v[8:9], v8
	v_rsq_f64_e32 v[20:21], v[6:7]
	v_cvt_f64_f32_e32 v[2:3], v2
	v_rsq_f64_e32 v[18:19], v[8:9]
	v_rsq_f64_e32 v[24:25], v[2:3]
	;; [unrolled: 1-line block ×3, first 2 shown]
	v_mul_f64 v[6:7], v[20:21], -v[6:7]
	v_mul_f64 v[8:9], v[18:19], -v[8:9]
	v_fma_f64 v[6:7], v[6:7], v[20:21], 1.0
	v_mul_f64 v[2:3], v[24:25], -v[2:3]
	v_fma_f64 v[8:9], v[8:9], v[18:19], 1.0
	v_mul_f64 v[34:35], v[20:21], v[6:7]
	v_fma_f64 v[6:7], v[6:7], s[8:9], 0.5
	v_mul_f64 v[4:5], v[22:23], -v[4:5]
	v_fma_f64 v[2:3], v[2:3], v[24:25], 1.0
	v_mul_f64 v[36:37], v[18:19], v[8:9]
	v_fma_f64 v[8:9], v[8:9], s[8:9], 0.5
	v_fma_f64 v[6:7], v[34:35], v[6:7], v[20:21]
	v_cmp_class_f64_e32 vcc, v[20:21], v42
	v_fma_f64 v[4:5], v[4:5], v[22:23], 1.0
	v_mul_f64 v[38:39], v[24:25], v[2:3]
	v_fma_f64 v[2:3], v[2:3], s[8:9], 0.5
	v_fma_f64 v[8:9], v[36:37], v[8:9], v[18:19]
	v_cndmask_b32_e32 v7, v21, v7, vcc
	v_cndmask_b32_e32 v6, v20, v6, vcc
	v_cmp_class_f64_e32 vcc, v[18:19], v42
	v_mul_f64 v[40:41], v[22:23], v[4:5]
	v_fma_f64 v[4:5], v[4:5], s[8:9], 0.5
	v_fma_f64 v[2:3], v[38:39], v[2:3], v[24:25]
	v_cndmask_b32_e32 v9, v19, v9, vcc
	v_cndmask_b32_e32 v8, v18, v8, vcc
	v_cmp_class_f64_e32 vcc, v[24:25], v42
	v_fma_f64 v[4:5], v[40:41], v[4:5], v[22:23]
	v_cvt_f64_f32_e32 v[14:15], v14
	v_cndmask_b32_e32 v3, v25, v3, vcc
	v_cndmask_b32_e32 v2, v24, v2, vcc
	v_cmp_class_f64_e32 vcc, v[22:23], v42
	v_cvt_f64_f32_e32 v[16:17], v16
	v_rsq_f64_e32 v[28:29], v[14:15]
	v_cndmask_b32_e32 v5, v23, v5, vcc
	v_cndmask_b32_e32 v4, v22, v4, vcc
	v_cvt_f32_f64_e32 v4, v[4:5]
	v_cvt_f32_f64_e32 v5, v[6:7]
	v_cvt_f64_f32_e32 v[10:11], v10
	v_rsq_f64_e32 v[26:27], v[16:17]
	v_cvt_f32_f64_e32 v2, v[2:3]
	v_cvt_f32_f64_e32 v3, v[8:9]
	v_bfe_u32 v6, v5, 16, 1
	v_cvt_f64_f32_e32 v[12:13], v12
	v_rsq_f64_e32 v[32:33], v[10:11]
	v_bfe_u32 v7, v3, 16, 1
	v_add3_u32 v6, v5, v6, s3
	v_rsq_f64_e32 v[30:31], v[12:13]
	v_bfe_u32 v8, v2, 16, 1
	v_add3_u32 v7, v3, v7, s3
	v_lshrrev_b32_e32 v6, 16, v6
	v_cmp_o_f32_e32 vcc, v5, v5
	v_mul_f64 v[14:15], v[28:29], -v[14:15]
	v_bfe_u32 v9, v4, 16, 1
	v_add3_u32 v8, v2, v8, s3
	v_lshrrev_b32_e32 v7, 16, v7
	v_cndmask_b32_e32 v18, v43, v6, vcc
	v_cmp_o_f32_e32 vcc, v3, v3
	v_mul_f64 v[16:17], v[26:27], -v[16:17]
	v_add3_u32 v9, v4, v9, s3
	v_lshrrev_b32_e32 v8, 16, v8
	v_cndmask_b32_e32 v19, v43, v7, vcc
	v_cmp_o_f32_e32 vcc, v2, v2
	v_fma_f64 v[2:3], v[14:15], v[28:29], 1.0
	v_mul_f64 v[10:11], v[32:33], -v[10:11]
	v_fma_f64 v[16:17], v[16:17], v[26:27], 1.0
	v_lshrrev_b32_e32 v9, 16, v9
	v_cndmask_b32_e32 v20, v43, v8, vcc
	v_cmp_o_f32_e32 vcc, v4, v4
	v_mul_f64 v[4:5], v[28:29], v[2:3]
	v_fma_f64 v[2:3], v[2:3], s[8:9], 0.5
	v_mul_f64 v[12:13], v[30:31], -v[12:13]
	v_fma_f64 v[10:11], v[10:11], v[32:33], 1.0
	v_cndmask_b32_e32 v21, v43, v9, vcc
	v_mul_f64 v[6:7], v[26:27], v[16:17]
	v_fma_f64 v[16:17], v[16:17], s[8:9], 0.5
	v_fma_f64 v[2:3], v[4:5], v[2:3], v[28:29]
	v_cmp_class_f64_e32 vcc, v[28:29], v42
	v_fma_f64 v[12:13], v[12:13], v[30:31], 1.0
	v_mul_f64 v[8:9], v[32:33], v[10:11]
	v_fma_f64 v[10:11], v[10:11], s[8:9], 0.5
	v_fma_f64 v[6:7], v[6:7], v[16:17], v[26:27]
	v_cndmask_b32_e32 v3, v29, v3, vcc
	v_cndmask_b32_e32 v2, v28, v2, vcc
	v_cmp_class_f64_e32 vcc, v[26:27], v42
	v_mul_f64 v[14:15], v[30:31], v[12:13]
	v_fma_f64 v[12:13], v[12:13], s[8:9], 0.5
	v_fma_f64 v[8:9], v[8:9], v[10:11], v[32:33]
	v_cndmask_b32_e32 v5, v27, v7, vcc
	v_cndmask_b32_e32 v4, v26, v6, vcc
	v_cmp_class_f64_e32 vcc, v[32:33], v42
	v_cvt_f32_f64_e32 v2, v[2:3]
	v_fma_f64 v[12:13], v[14:15], v[12:13], v[30:31]
	v_cndmask_b32_e32 v7, v33, v9, vcc
	v_cndmask_b32_e32 v6, v32, v8, vcc
	v_cmp_class_f64_e32 vcc, v[30:31], v42
	v_cvt_f32_f64_e32 v4, v[4:5]
	v_bfe_u32 v3, v2, 16, 1
	v_cndmask_b32_e32 v9, v31, v13, vcc
	v_cndmask_b32_e32 v8, v30, v12, vcc
	v_cvt_f32_f64_e32 v6, v[6:7]
	v_bfe_u32 v5, v4, 16, 1
	v_add3_u32 v3, v2, v3, s3
	v_cmp_o_f32_e32 vcc, v2, v2
	v_cvt_f32_f64_e32 v8, v[8:9]
	v_bfe_u32 v7, v6, 16, 1
	v_add3_u32 v5, v4, v5, s3
	v_cndmask_b32_sdwa v2, v43, v3, vcc dst_sel:DWORD dst_unused:UNUSED_PAD src0_sel:DWORD src1_sel:WORD_1
	v_cmp_o_f32_e32 vcc, v4, v4
	v_bfe_u32 v9, v8, 16, 1
	v_add3_u32 v7, v6, v7, s3
	v_cndmask_b32_sdwa v3, v43, v5, vcc dst_sel:DWORD dst_unused:UNUSED_PAD src0_sel:DWORD src1_sel:WORD_1
	v_cmp_o_f32_e32 vcc, v6, v6
	v_add3_u32 v9, v8, v9, s3
	s_mov_b32 s3, 0x5040100
	v_cndmask_b32_sdwa v4, v43, v7, vcc dst_sel:DWORD dst_unused:UNUSED_PAD src0_sel:DWORD src1_sel:WORD_1
	v_cmp_o_f32_e32 vcc, v8, v8
	s_nop 1
	v_cndmask_b32_sdwa v5, v43, v9, vcc dst_sel:DWORD dst_unused:UNUSED_PAD src0_sel:DWORD src1_sel:WORD_1
	v_perm_b32 v5, v4, v5, s3
	v_perm_b32 v4, v2, v3, s3
	;; [unrolled: 1-line block ×4, first 2 shown]
	global_store_dwordx4 v1, v[2:5], s[0:1]
	s_mov_b64 s[0:1], 0
.LBB202_2:
	s_andn2_b64 vcc, exec, s[0:1]
	s_cbranch_vccnz .LBB202_41
; %bb.3:
	v_cmp_gt_i32_e64 s[0:1], s10, v0
	v_mov_b64_e32 v[14:15], 0
	v_or_b32_e32 v2, s2, v0
	v_mov_b64_e32 v[18:19], 0
	v_mov_b32_e32 v1, v0
	s_and_saveexec_b64 s[8:9], s[0:1]
	s_cbranch_execz .LBB202_5
; %bb.4:
	v_mov_b32_e32 v3, 0
	v_lshl_add_u64 v[4:5], v[2:3], 1, s[6:7]
	global_load_ushort v3, v[4:5], off
	v_or_b32_e32 v1, 0x100, v0
	s_waitcnt vmcnt(0)
	v_lshlrev_b32_e32 v3, 16, v3
	v_cvt_f64_f32_e32 v[18:19], v3
.LBB202_5:
	s_or_b64 exec, exec, s[8:9]
	v_cmp_gt_i32_e32 vcc, s10, v1
	s_and_saveexec_b64 s[8:9], vcc
	s_cbranch_execz .LBB202_7
; %bb.6:
	v_add_u32_e32 v4, s2, v1
	v_mov_b32_e32 v5, 0
	v_lshl_add_u64 v[4:5], v[4:5], 1, s[6:7]
	global_load_ushort v3, v[4:5], off
	v_add_u32_e32 v1, 0x100, v1
	s_waitcnt vmcnt(0)
	v_lshlrev_b32_e32 v3, 16, v3
	v_cvt_f64_f32_e32 v[14:15], v3
.LBB202_7:
	s_or_b64 exec, exec, s[8:9]
	v_cmp_gt_i32_e32 vcc, s10, v1
	v_mov_b64_e32 v[10:11], 0
	v_mov_b64_e32 v[16:17], 0
	s_and_saveexec_b64 s[8:9], vcc
	s_cbranch_execz .LBB202_9
; %bb.8:
	v_add_u32_e32 v4, s2, v1
	v_mov_b32_e32 v5, 0
	v_lshl_add_u64 v[4:5], v[4:5], 1, s[6:7]
	global_load_ushort v3, v[4:5], off
	v_add_u32_e32 v1, 0x100, v1
	s_waitcnt vmcnt(0)
	v_lshlrev_b32_e32 v3, 16, v3
	v_cvt_f64_f32_e32 v[16:17], v3
.LBB202_9:
	s_or_b64 exec, exec, s[8:9]
	v_cmp_gt_i32_e32 vcc, s10, v1
	s_and_saveexec_b64 s[8:9], vcc
	s_cbranch_execz .LBB202_11
; %bb.10:
	v_add_u32_e32 v4, s2, v1
	v_mov_b32_e32 v5, 0
	v_lshl_add_u64 v[4:5], v[4:5], 1, s[6:7]
	global_load_ushort v3, v[4:5], off
	v_add_u32_e32 v1, 0x100, v1
	s_waitcnt vmcnt(0)
	v_lshlrev_b32_e32 v3, 16, v3
	v_cvt_f64_f32_e32 v[10:11], v3
.LBB202_11:
	s_or_b64 exec, exec, s[8:9]
	v_cmp_gt_i32_e32 vcc, s10, v1
	v_mov_b64_e32 v[6:7], 0
	v_mov_b64_e32 v[12:13], 0
	s_and_saveexec_b64 s[8:9], vcc
	s_cbranch_execz .LBB202_13
; %bb.12:
	v_add_u32_e32 v4, s2, v1
	v_mov_b32_e32 v5, 0
	v_lshl_add_u64 v[4:5], v[4:5], 1, s[6:7]
	global_load_ushort v3, v[4:5], off
	v_add_u32_e32 v1, 0x100, v1
	s_waitcnt vmcnt(0)
	v_lshlrev_b32_e32 v3, 16, v3
	v_cvt_f64_f32_e32 v[12:13], v3
.LBB202_13:
	s_or_b64 exec, exec, s[8:9]
	v_cmp_gt_i32_e32 vcc, s10, v1
	s_and_saveexec_b64 s[8:9], vcc
	s_cbranch_execz .LBB202_15
; %bb.14:
	v_add_u32_e32 v4, s2, v1
	v_mov_b32_e32 v5, 0
	v_lshl_add_u64 v[4:5], v[4:5], 1, s[6:7]
	global_load_ushort v3, v[4:5], off
	v_add_u32_e32 v1, 0x100, v1
	s_waitcnt vmcnt(0)
	v_lshlrev_b32_e32 v3, 16, v3
	v_cvt_f64_f32_e32 v[6:7], v3
.LBB202_15:
	s_or_b64 exec, exec, s[8:9]
	v_cmp_gt_i32_e32 vcc, s10, v1
	v_mov_b64_e32 v[4:5], 0
	v_mov_b64_e32 v[8:9], 0
	s_and_saveexec_b64 s[8:9], vcc
	s_cbranch_execnz .LBB202_42
; %bb.16:
	s_or_b64 exec, exec, s[8:9]
	v_cmp_gt_i32_e32 vcc, s10, v1
	s_and_saveexec_b64 s[8:9], vcc
	s_cbranch_execnz .LBB202_43
.LBB202_17:
	s_or_b64 exec, exec, s[8:9]
                                        ; implicit-def: $vgpr1
	s_and_saveexec_b64 s[6:7], s[0:1]
	s_cbranch_execz .LBB202_19
.LBB202_18:
	v_rsq_f64_e32 v[20:21], v[18:19]
	s_mov_b32 s8, 0
	s_mov_b32 s9, 0x3fd80000
	v_mov_b32_e32 v1, 0x180
	v_mul_f64 v[18:19], v[20:21], -v[18:19]
	v_fma_f64 v[18:19], v[18:19], v[20:21], 1.0
	v_mul_f64 v[22:23], v[20:21], v[18:19]
	v_fma_f64 v[18:19], v[18:19], s[8:9], 0.5
	v_fma_f64 v[18:19], v[22:23], v[18:19], v[20:21]
	v_cmp_class_f64_e32 vcc, v[20:21], v1
	s_movk_i32 s3, 0x7fff
	s_nop 0
	v_cndmask_b32_e32 v19, v21, v19, vcc
	v_cndmask_b32_e32 v18, v20, v18, vcc
	v_cvt_f32_f64_e32 v1, v[18:19]
	v_bfe_u32 v3, v1, 16, 1
	v_add3_u32 v3, v1, v3, s3
	v_cmp_o_f32_e32 vcc, v1, v1
	v_mov_b32_e32 v1, 0x7fc0
	s_nop 0
	v_cndmask_b32_sdwa v1, v1, v3, vcc dst_sel:DWORD dst_unused:UNUSED_PAD src0_sel:DWORD src1_sel:WORD_1
.LBB202_19:
	s_or_b64 exec, exec, s[6:7]
	v_or_b32_e32 v18, 0x100, v0
	v_cmp_gt_i32_e32 vcc, s10, v18
                                        ; implicit-def: $vgpr19
	s_and_saveexec_b64 s[6:7], vcc
	s_cbranch_execz .LBB202_21
; %bb.20:
	v_rsq_f64_e32 v[20:21], v[14:15]
	s_mov_b32 s8, 0
	s_mov_b32 s9, 0x3fd80000
	v_mov_b32_e32 v3, 0x180
	v_mul_f64 v[14:15], v[20:21], -v[14:15]
	v_fma_f64 v[14:15], v[14:15], v[20:21], 1.0
	v_mul_f64 v[22:23], v[20:21], v[14:15]
	v_fma_f64 v[14:15], v[14:15], s[8:9], 0.5
	v_fma_f64 v[14:15], v[22:23], v[14:15], v[20:21]
	v_cmp_class_f64_e32 vcc, v[20:21], v3
	s_movk_i32 s3, 0x7fff
	s_nop 0
	v_cndmask_b32_e32 v15, v21, v15, vcc
	v_cndmask_b32_e32 v14, v20, v14, vcc
	v_cvt_f32_f64_e32 v3, v[14:15]
	v_bfe_u32 v14, v3, 16, 1
	v_add3_u32 v14, v3, v14, s3
	v_cmp_o_f32_e32 vcc, v3, v3
	v_mov_b32_e32 v3, 0x7fc0
	s_nop 0
	v_cndmask_b32_sdwa v19, v3, v14, vcc dst_sel:DWORD dst_unused:UNUSED_PAD src0_sel:DWORD src1_sel:WORD_1
.LBB202_21:
	s_or_b64 exec, exec, s[6:7]
	v_or_b32_e32 v3, 0x200, v0
	v_cmp_gt_i32_e32 vcc, s10, v3
                                        ; implicit-def: $vgpr14
	s_and_saveexec_b64 s[6:7], vcc
	s_cbranch_execz .LBB202_23
; %bb.22:
	v_rsq_f64_e32 v[14:15], v[16:17]
	s_mov_b32 s8, 0
	s_mov_b32 s9, 0x3fd80000
	v_mov_b32_e32 v3, 0x180
	v_mul_f64 v[16:17], v[14:15], -v[16:17]
	v_fma_f64 v[16:17], v[16:17], v[14:15], 1.0
	v_mul_f64 v[20:21], v[14:15], v[16:17]
	v_fma_f64 v[16:17], v[16:17], s[8:9], 0.5
	v_fma_f64 v[16:17], v[20:21], v[16:17], v[14:15]
	v_cmp_class_f64_e32 vcc, v[14:15], v3
	s_movk_i32 s3, 0x7fff
	s_nop 0
	v_cndmask_b32_e32 v15, v15, v17, vcc
	v_cndmask_b32_e32 v14, v14, v16, vcc
	v_cvt_f32_f64_e32 v3, v[14:15]
	v_bfe_u32 v14, v3, 16, 1
	v_add3_u32 v14, v3, v14, s3
	v_cmp_o_f32_e32 vcc, v3, v3
	v_mov_b32_e32 v3, 0x7fc0
	s_nop 0
	v_cndmask_b32_sdwa v14, v3, v14, vcc dst_sel:DWORD dst_unused:UNUSED_PAD src0_sel:DWORD src1_sel:WORD_1
.LBB202_23:
	s_or_b64 exec, exec, s[6:7]
	v_or_b32_e32 v3, 0x300, v0
	v_cmp_gt_i32_e32 vcc, s10, v3
                                        ; implicit-def: $vgpr15
	s_and_saveexec_b64 s[6:7], vcc
	s_cbranch_execz .LBB202_25
; %bb.24:
	v_rsq_f64_e32 v[16:17], v[10:11]
	s_mov_b32 s8, 0
	s_mov_b32 s9, 0x3fd80000
	v_mov_b32_e32 v3, 0x180
	v_mul_f64 v[10:11], v[16:17], -v[10:11]
	v_fma_f64 v[10:11], v[10:11], v[16:17], 1.0
	v_mul_f64 v[20:21], v[16:17], v[10:11]
	v_fma_f64 v[10:11], v[10:11], s[8:9], 0.5
	v_fma_f64 v[10:11], v[20:21], v[10:11], v[16:17]
	v_cmp_class_f64_e32 vcc, v[16:17], v3
	s_movk_i32 s3, 0x7fff
	s_nop 0
	v_cndmask_b32_e32 v11, v17, v11, vcc
	v_cndmask_b32_e32 v10, v16, v10, vcc
	v_cvt_f32_f64_e32 v3, v[10:11]
	v_bfe_u32 v10, v3, 16, 1
	v_add3_u32 v10, v3, v10, s3
	v_cmp_o_f32_e32 vcc, v3, v3
	v_mov_b32_e32 v3, 0x7fc0
	s_nop 0
	v_cndmask_b32_sdwa v15, v3, v10, vcc dst_sel:DWORD dst_unused:UNUSED_PAD src0_sel:DWORD src1_sel:WORD_1
.LBB202_25:
	s_or_b64 exec, exec, s[6:7]
	v_or_b32_e32 v3, 0x400, v0
	v_cmp_gt_i32_e32 vcc, s10, v3
                                        ; implicit-def: $vgpr10
	s_and_saveexec_b64 s[6:7], vcc
	s_cbranch_execz .LBB202_27
; %bb.26:
	v_rsq_f64_e32 v[10:11], v[12:13]
	s_mov_b32 s8, 0
	s_mov_b32 s9, 0x3fd80000
	v_mov_b32_e32 v3, 0x180
	v_mul_f64 v[12:13], v[10:11], -v[12:13]
	v_fma_f64 v[12:13], v[12:13], v[10:11], 1.0
	v_mul_f64 v[16:17], v[10:11], v[12:13]
	v_fma_f64 v[12:13], v[12:13], s[8:9], 0.5
	v_fma_f64 v[12:13], v[16:17], v[12:13], v[10:11]
	v_cmp_class_f64_e32 vcc, v[10:11], v3
	s_movk_i32 s3, 0x7fff
	s_nop 0
	v_cndmask_b32_e32 v11, v11, v13, vcc
	v_cndmask_b32_e32 v10, v10, v12, vcc
	v_cvt_f32_f64_e32 v3, v[10:11]
	v_bfe_u32 v10, v3, 16, 1
	v_add3_u32 v10, v3, v10, s3
	v_cmp_o_f32_e32 vcc, v3, v3
	v_mov_b32_e32 v3, 0x7fc0
	s_nop 0
	v_cndmask_b32_sdwa v10, v3, v10, vcc dst_sel:DWORD dst_unused:UNUSED_PAD src0_sel:DWORD src1_sel:WORD_1
.LBB202_27:
	s_or_b64 exec, exec, s[6:7]
	v_or_b32_e32 v3, 0x500, v0
	v_cmp_gt_i32_e32 vcc, s10, v3
                                        ; implicit-def: $vgpr11
	s_and_saveexec_b64 s[6:7], vcc
	s_cbranch_execz .LBB202_29
; %bb.28:
	v_rsq_f64_e32 v[12:13], v[6:7]
	s_mov_b32 s8, 0
	s_mov_b32 s9, 0x3fd80000
	v_mov_b32_e32 v3, 0x180
	v_mul_f64 v[6:7], v[12:13], -v[6:7]
	v_fma_f64 v[6:7], v[6:7], v[12:13], 1.0
	v_mul_f64 v[16:17], v[12:13], v[6:7]
	v_fma_f64 v[6:7], v[6:7], s[8:9], 0.5
	v_fma_f64 v[6:7], v[16:17], v[6:7], v[12:13]
	v_cmp_class_f64_e32 vcc, v[12:13], v3
	s_movk_i32 s3, 0x7fff
	s_nop 0
	v_cndmask_b32_e32 v7, v13, v7, vcc
	v_cndmask_b32_e32 v6, v12, v6, vcc
	v_cvt_f32_f64_e32 v3, v[6:7]
	v_bfe_u32 v6, v3, 16, 1
	v_add3_u32 v6, v3, v6, s3
	v_cmp_o_f32_e32 vcc, v3, v3
	v_mov_b32_e32 v3, 0x7fc0
	s_nop 0
	v_cndmask_b32_sdwa v11, v3, v6, vcc dst_sel:DWORD dst_unused:UNUSED_PAD src0_sel:DWORD src1_sel:WORD_1
.LBB202_29:
	s_or_b64 exec, exec, s[6:7]
	v_or_b32_e32 v3, 0x600, v0
	v_cmp_gt_i32_e32 vcc, s10, v3
                                        ; implicit-def: $vgpr6
	s_and_saveexec_b64 s[6:7], vcc
	s_cbranch_execz .LBB202_31
; %bb.30:
	v_rsq_f64_e32 v[6:7], v[8:9]
	s_mov_b32 s8, 0
	s_mov_b32 s9, 0x3fd80000
	v_mov_b32_e32 v3, 0x180
	v_mul_f64 v[8:9], v[6:7], -v[8:9]
	v_fma_f64 v[8:9], v[8:9], v[6:7], 1.0
	v_mul_f64 v[12:13], v[6:7], v[8:9]
	v_fma_f64 v[8:9], v[8:9], s[8:9], 0.5
	v_fma_f64 v[8:9], v[12:13], v[8:9], v[6:7]
	v_cmp_class_f64_e32 vcc, v[6:7], v3
	s_movk_i32 s3, 0x7fff
	s_nop 0
	v_cndmask_b32_e32 v7, v7, v9, vcc
	v_cndmask_b32_e32 v6, v6, v8, vcc
	v_cvt_f32_f64_e32 v3, v[6:7]
	v_bfe_u32 v6, v3, 16, 1
	v_add3_u32 v6, v3, v6, s3
	v_cmp_o_f32_e32 vcc, v3, v3
	v_mov_b32_e32 v3, 0x7fc0
	s_nop 0
	v_cndmask_b32_sdwa v6, v3, v6, vcc dst_sel:DWORD dst_unused:UNUSED_PAD src0_sel:DWORD src1_sel:WORD_1
.LBB202_31:
	s_or_b64 exec, exec, s[6:7]
	v_or_b32_e32 v3, 0x700, v0
	v_cmp_gt_i32_e32 vcc, s10, v3
                                        ; implicit-def: $vgpr7
	s_and_saveexec_b64 s[6:7], vcc
	s_cbranch_execnz .LBB202_44
; %bb.32:
	s_or_b64 exec, exec, s[6:7]
	s_and_saveexec_b64 s[6:7], s[0:1]
	s_xor_b64 s[0:1], exec, s[6:7]
	s_cbranch_execnz .LBB202_45
.LBB202_33:
	s_or_b64 exec, exec, s[0:1]
	v_cmp_gt_i32_e32 vcc, s10, v0
	s_and_saveexec_b64 s[0:1], vcc
	s_cbranch_execnz .LBB202_46
.LBB202_34:
	s_or_b64 exec, exec, s[0:1]
	v_cmp_gt_i32_e32 vcc, s10, v0
	s_and_saveexec_b64 s[0:1], vcc
	s_cbranch_execnz .LBB202_47
.LBB202_35:
	s_or_b64 exec, exec, s[0:1]
	v_cmp_gt_i32_e32 vcc, s10, v0
	s_and_saveexec_b64 s[0:1], vcc
	s_cbranch_execnz .LBB202_48
.LBB202_36:
	s_or_b64 exec, exec, s[0:1]
	v_cmp_gt_i32_e32 vcc, s10, v0
	s_and_saveexec_b64 s[0:1], vcc
	s_cbranch_execnz .LBB202_49
.LBB202_37:
	s_or_b64 exec, exec, s[0:1]
	v_cmp_gt_i32_e32 vcc, s10, v0
	s_and_saveexec_b64 s[0:1], vcc
	s_cbranch_execnz .LBB202_50
.LBB202_38:
	s_or_b64 exec, exec, s[0:1]
	v_cmp_gt_i32_e32 vcc, s10, v0
	s_and_saveexec_b64 s[0:1], vcc
	s_cbranch_execnz .LBB202_51
.LBB202_39:
	s_or_b64 exec, exec, s[0:1]
	v_cmp_gt_i32_e32 vcc, s10, v0
	s_and_saveexec_b64 s[0:1], vcc
	s_cbranch_execz .LBB202_41
.LBB202_40:
	v_add_u32_e32 v0, s2, v0
	v_mov_b32_e32 v1, 0
	v_lshl_add_u64 v[0:1], v[0:1], 1, s[4:5]
	global_store_short v[0:1], v7, off
.LBB202_41:
	s_endpgm
.LBB202_42:
	v_add_u32_e32 v8, s2, v1
	v_mov_b32_e32 v9, 0
	v_lshl_add_u64 v[8:9], v[8:9], 1, s[6:7]
	global_load_ushort v3, v[8:9], off
	v_add_u32_e32 v1, 0x100, v1
	s_waitcnt vmcnt(0)
	v_lshlrev_b32_e32 v3, 16, v3
	v_cvt_f64_f32_e32 v[8:9], v3
	s_or_b64 exec, exec, s[8:9]
	v_cmp_gt_i32_e32 vcc, s10, v1
	s_and_saveexec_b64 s[8:9], vcc
	s_cbranch_execz .LBB202_17
.LBB202_43:
	v_add_u32_e32 v4, s2, v1
	v_mov_b32_e32 v5, 0
	v_lshl_add_u64 v[4:5], v[4:5], 1, s[6:7]
	global_load_ushort v1, v[4:5], off
	s_waitcnt vmcnt(0)
	v_lshlrev_b32_e32 v1, 16, v1
	v_cvt_f64_f32_e32 v[4:5], v1
	s_or_b64 exec, exec, s[8:9]
                                        ; implicit-def: $vgpr1
	s_and_saveexec_b64 s[6:7], s[0:1]
	s_cbranch_execnz .LBB202_18
	s_branch .LBB202_19
.LBB202_44:
	v_rsq_f64_e32 v[8:9], v[4:5]
	s_mov_b32 s8, 0
	s_mov_b32 s9, 0x3fd80000
	v_mov_b32_e32 v3, 0x180
	v_mul_f64 v[4:5], v[8:9], -v[4:5]
	v_fma_f64 v[4:5], v[4:5], v[8:9], 1.0
	v_mul_f64 v[12:13], v[8:9], v[4:5]
	v_fma_f64 v[4:5], v[4:5], s[8:9], 0.5
	v_fma_f64 v[4:5], v[12:13], v[4:5], v[8:9]
	v_cmp_class_f64_e32 vcc, v[8:9], v3
	s_movk_i32 s3, 0x7fff
	s_nop 0
	v_cndmask_b32_e32 v5, v9, v5, vcc
	v_cndmask_b32_e32 v4, v8, v4, vcc
	v_cvt_f32_f64_e32 v3, v[4:5]
	v_bfe_u32 v4, v3, 16, 1
	v_add3_u32 v4, v3, v4, s3
	v_cmp_o_f32_e32 vcc, v3, v3
	v_mov_b32_e32 v3, 0x7fc0
	s_nop 0
	v_cndmask_b32_sdwa v7, v3, v4, vcc dst_sel:DWORD dst_unused:UNUSED_PAD src0_sel:DWORD src1_sel:WORD_1
	s_or_b64 exec, exec, s[6:7]
	s_and_saveexec_b64 s[6:7], s[0:1]
	s_xor_b64 s[0:1], exec, s[6:7]
	s_cbranch_execz .LBB202_33
.LBB202_45:
	v_mov_b32_e32 v3, 0
	v_lshl_add_u64 v[2:3], v[2:3], 1, s[4:5]
	v_mov_b32_e32 v0, v18
	global_store_short v[2:3], v1, off
	s_or_b64 exec, exec, s[0:1]
	v_cmp_gt_i32_e32 vcc, s10, v0
	s_and_saveexec_b64 s[0:1], vcc
	s_cbranch_execz .LBB202_34
.LBB202_46:
	v_add_u32_e32 v2, s2, v0
	v_mov_b32_e32 v3, 0
	v_lshl_add_u64 v[2:3], v[2:3], 1, s[4:5]
	v_add_u32_e32 v0, 0x100, v0
	global_store_short v[2:3], v19, off
	s_or_b64 exec, exec, s[0:1]
	v_cmp_gt_i32_e32 vcc, s10, v0
	s_and_saveexec_b64 s[0:1], vcc
	s_cbranch_execz .LBB202_35
.LBB202_47:
	v_add_u32_e32 v2, s2, v0
	v_mov_b32_e32 v3, 0
	v_lshl_add_u64 v[2:3], v[2:3], 1, s[4:5]
	v_add_u32_e32 v0, 0x100, v0
	global_store_short v[2:3], v14, off
	s_or_b64 exec, exec, s[0:1]
	v_cmp_gt_i32_e32 vcc, s10, v0
	s_and_saveexec_b64 s[0:1], vcc
	s_cbranch_execz .LBB202_36
.LBB202_48:
	v_add_u32_e32 v2, s2, v0
	v_mov_b32_e32 v3, 0
	v_lshl_add_u64 v[2:3], v[2:3], 1, s[4:5]
	v_add_u32_e32 v0, 0x100, v0
	global_store_short v[2:3], v15, off
	s_or_b64 exec, exec, s[0:1]
	v_cmp_gt_i32_e32 vcc, s10, v0
	s_and_saveexec_b64 s[0:1], vcc
	s_cbranch_execz .LBB202_37
.LBB202_49:
	v_add_u32_e32 v2, s2, v0
	v_mov_b32_e32 v3, 0
	v_lshl_add_u64 v[2:3], v[2:3], 1, s[4:5]
	v_add_u32_e32 v0, 0x100, v0
	global_store_short v[2:3], v10, off
	s_or_b64 exec, exec, s[0:1]
	v_cmp_gt_i32_e32 vcc, s10, v0
	s_and_saveexec_b64 s[0:1], vcc
	s_cbranch_execz .LBB202_38
.LBB202_50:
	v_add_u32_e32 v2, s2, v0
	v_mov_b32_e32 v3, 0
	v_lshl_add_u64 v[2:3], v[2:3], 1, s[4:5]
	v_add_u32_e32 v0, 0x100, v0
	global_store_short v[2:3], v11, off
	s_or_b64 exec, exec, s[0:1]
	v_cmp_gt_i32_e32 vcc, s10, v0
	s_and_saveexec_b64 s[0:1], vcc
	s_cbranch_execz .LBB202_39
.LBB202_51:
	v_add_u32_e32 v2, s2, v0
	v_mov_b32_e32 v3, 0
	v_lshl_add_u64 v[2:3], v[2:3], 1, s[4:5]
	v_add_u32_e32 v0, 0x100, v0
	global_store_short v[2:3], v6, off
	s_or_b64 exec, exec, s[0:1]
	v_cmp_gt_i32_e32 vcc, s10, v0
	s_and_saveexec_b64 s[0:1], vcc
	s_cbranch_execnz .LBB202_40
	s_branch .LBB202_41
	.section	.rodata,"a",@progbits
	.p2align	6, 0x0
	.amdhsa_kernel _ZN2at6native29vectorized_elementwise_kernelILi16EZZZNS0_17rsqrt_kernel_cudaERNS_18TensorIteratorBaseEENKUlvE0_clEvENKUlvE1_clEvEUlN3c108BFloat16EE_St5arrayIPcLm2EEEEviT0_T1_
		.amdhsa_group_segment_fixed_size 0
		.amdhsa_private_segment_fixed_size 0
		.amdhsa_kernarg_size 24
		.amdhsa_user_sgpr_count 2
		.amdhsa_user_sgpr_dispatch_ptr 0
		.amdhsa_user_sgpr_queue_ptr 0
		.amdhsa_user_sgpr_kernarg_segment_ptr 1
		.amdhsa_user_sgpr_dispatch_id 0
		.amdhsa_user_sgpr_kernarg_preload_length 0
		.amdhsa_user_sgpr_kernarg_preload_offset 0
		.amdhsa_user_sgpr_private_segment_size 0
		.amdhsa_uses_dynamic_stack 0
		.amdhsa_enable_private_segment 0
		.amdhsa_system_sgpr_workgroup_id_x 1
		.amdhsa_system_sgpr_workgroup_id_y 0
		.amdhsa_system_sgpr_workgroup_id_z 0
		.amdhsa_system_sgpr_workgroup_info 0
		.amdhsa_system_vgpr_workitem_id 0
		.amdhsa_next_free_vgpr 44
		.amdhsa_next_free_sgpr 11
		.amdhsa_accum_offset 44
		.amdhsa_reserve_vcc 1
		.amdhsa_float_round_mode_32 0
		.amdhsa_float_round_mode_16_64 0
		.amdhsa_float_denorm_mode_32 3
		.amdhsa_float_denorm_mode_16_64 3
		.amdhsa_dx10_clamp 1
		.amdhsa_ieee_mode 1
		.amdhsa_fp16_overflow 0
		.amdhsa_tg_split 0
		.amdhsa_exception_fp_ieee_invalid_op 0
		.amdhsa_exception_fp_denorm_src 0
		.amdhsa_exception_fp_ieee_div_zero 0
		.amdhsa_exception_fp_ieee_overflow 0
		.amdhsa_exception_fp_ieee_underflow 0
		.amdhsa_exception_fp_ieee_inexact 0
		.amdhsa_exception_int_div_zero 0
	.end_amdhsa_kernel
	.section	.text._ZN2at6native29vectorized_elementwise_kernelILi16EZZZNS0_17rsqrt_kernel_cudaERNS_18TensorIteratorBaseEENKUlvE0_clEvENKUlvE1_clEvEUlN3c108BFloat16EE_St5arrayIPcLm2EEEEviT0_T1_,"axG",@progbits,_ZN2at6native29vectorized_elementwise_kernelILi16EZZZNS0_17rsqrt_kernel_cudaERNS_18TensorIteratorBaseEENKUlvE0_clEvENKUlvE1_clEvEUlN3c108BFloat16EE_St5arrayIPcLm2EEEEviT0_T1_,comdat
.Lfunc_end202:
	.size	_ZN2at6native29vectorized_elementwise_kernelILi16EZZZNS0_17rsqrt_kernel_cudaERNS_18TensorIteratorBaseEENKUlvE0_clEvENKUlvE1_clEvEUlN3c108BFloat16EE_St5arrayIPcLm2EEEEviT0_T1_, .Lfunc_end202-_ZN2at6native29vectorized_elementwise_kernelILi16EZZZNS0_17rsqrt_kernel_cudaERNS_18TensorIteratorBaseEENKUlvE0_clEvENKUlvE1_clEvEUlN3c108BFloat16EE_St5arrayIPcLm2EEEEviT0_T1_
                                        ; -- End function
	.set _ZN2at6native29vectorized_elementwise_kernelILi16EZZZNS0_17rsqrt_kernel_cudaERNS_18TensorIteratorBaseEENKUlvE0_clEvENKUlvE1_clEvEUlN3c108BFloat16EE_St5arrayIPcLm2EEEEviT0_T1_.num_vgpr, 44
	.set _ZN2at6native29vectorized_elementwise_kernelILi16EZZZNS0_17rsqrt_kernel_cudaERNS_18TensorIteratorBaseEENKUlvE0_clEvENKUlvE1_clEvEUlN3c108BFloat16EE_St5arrayIPcLm2EEEEviT0_T1_.num_agpr, 0
	.set _ZN2at6native29vectorized_elementwise_kernelILi16EZZZNS0_17rsqrt_kernel_cudaERNS_18TensorIteratorBaseEENKUlvE0_clEvENKUlvE1_clEvEUlN3c108BFloat16EE_St5arrayIPcLm2EEEEviT0_T1_.numbered_sgpr, 11
	.set _ZN2at6native29vectorized_elementwise_kernelILi16EZZZNS0_17rsqrt_kernel_cudaERNS_18TensorIteratorBaseEENKUlvE0_clEvENKUlvE1_clEvEUlN3c108BFloat16EE_St5arrayIPcLm2EEEEviT0_T1_.num_named_barrier, 0
	.set _ZN2at6native29vectorized_elementwise_kernelILi16EZZZNS0_17rsqrt_kernel_cudaERNS_18TensorIteratorBaseEENKUlvE0_clEvENKUlvE1_clEvEUlN3c108BFloat16EE_St5arrayIPcLm2EEEEviT0_T1_.private_seg_size, 0
	.set _ZN2at6native29vectorized_elementwise_kernelILi16EZZZNS0_17rsqrt_kernel_cudaERNS_18TensorIteratorBaseEENKUlvE0_clEvENKUlvE1_clEvEUlN3c108BFloat16EE_St5arrayIPcLm2EEEEviT0_T1_.uses_vcc, 1
	.set _ZN2at6native29vectorized_elementwise_kernelILi16EZZZNS0_17rsqrt_kernel_cudaERNS_18TensorIteratorBaseEENKUlvE0_clEvENKUlvE1_clEvEUlN3c108BFloat16EE_St5arrayIPcLm2EEEEviT0_T1_.uses_flat_scratch, 0
	.set _ZN2at6native29vectorized_elementwise_kernelILi16EZZZNS0_17rsqrt_kernel_cudaERNS_18TensorIteratorBaseEENKUlvE0_clEvENKUlvE1_clEvEUlN3c108BFloat16EE_St5arrayIPcLm2EEEEviT0_T1_.has_dyn_sized_stack, 0
	.set _ZN2at6native29vectorized_elementwise_kernelILi16EZZZNS0_17rsqrt_kernel_cudaERNS_18TensorIteratorBaseEENKUlvE0_clEvENKUlvE1_clEvEUlN3c108BFloat16EE_St5arrayIPcLm2EEEEviT0_T1_.has_recursion, 0
	.set _ZN2at6native29vectorized_elementwise_kernelILi16EZZZNS0_17rsqrt_kernel_cudaERNS_18TensorIteratorBaseEENKUlvE0_clEvENKUlvE1_clEvEUlN3c108BFloat16EE_St5arrayIPcLm2EEEEviT0_T1_.has_indirect_call, 0
	.section	.AMDGPU.csdata,"",@progbits
; Kernel info:
; codeLenInByte = 3208
; TotalNumSgprs: 17
; NumVgprs: 44
; NumAgprs: 0
; TotalNumVgprs: 44
; ScratchSize: 0
; MemoryBound: 0
; FloatMode: 240
; IeeeMode: 1
; LDSByteSize: 0 bytes/workgroup (compile time only)
; SGPRBlocks: 2
; VGPRBlocks: 5
; NumSGPRsForWavesPerEU: 17
; NumVGPRsForWavesPerEU: 44
; AccumOffset: 44
; Occupancy: 8
; WaveLimiterHint : 0
; COMPUTE_PGM_RSRC2:SCRATCH_EN: 0
; COMPUTE_PGM_RSRC2:USER_SGPR: 2
; COMPUTE_PGM_RSRC2:TRAP_HANDLER: 0
; COMPUTE_PGM_RSRC2:TGID_X_EN: 1
; COMPUTE_PGM_RSRC2:TGID_Y_EN: 0
; COMPUTE_PGM_RSRC2:TGID_Z_EN: 0
; COMPUTE_PGM_RSRC2:TIDIG_COMP_CNT: 0
; COMPUTE_PGM_RSRC3_GFX90A:ACCUM_OFFSET: 10
; COMPUTE_PGM_RSRC3_GFX90A:TG_SPLIT: 0
	.section	.text._ZN2at6native29vectorized_elementwise_kernelILi8EZZZNS0_17rsqrt_kernel_cudaERNS_18TensorIteratorBaseEENKUlvE0_clEvENKUlvE1_clEvEUlN3c108BFloat16EE_St5arrayIPcLm2EEEEviT0_T1_,"axG",@progbits,_ZN2at6native29vectorized_elementwise_kernelILi8EZZZNS0_17rsqrt_kernel_cudaERNS_18TensorIteratorBaseEENKUlvE0_clEvENKUlvE1_clEvEUlN3c108BFloat16EE_St5arrayIPcLm2EEEEviT0_T1_,comdat
	.globl	_ZN2at6native29vectorized_elementwise_kernelILi8EZZZNS0_17rsqrt_kernel_cudaERNS_18TensorIteratorBaseEENKUlvE0_clEvENKUlvE1_clEvEUlN3c108BFloat16EE_St5arrayIPcLm2EEEEviT0_T1_ ; -- Begin function _ZN2at6native29vectorized_elementwise_kernelILi8EZZZNS0_17rsqrt_kernel_cudaERNS_18TensorIteratorBaseEENKUlvE0_clEvENKUlvE1_clEvEUlN3c108BFloat16EE_St5arrayIPcLm2EEEEviT0_T1_
	.p2align	8
	.type	_ZN2at6native29vectorized_elementwise_kernelILi8EZZZNS0_17rsqrt_kernel_cudaERNS_18TensorIteratorBaseEENKUlvE0_clEvENKUlvE1_clEvEUlN3c108BFloat16EE_St5arrayIPcLm2EEEEviT0_T1_,@function
_ZN2at6native29vectorized_elementwise_kernelILi8EZZZNS0_17rsqrt_kernel_cudaERNS_18TensorIteratorBaseEENKUlvE0_clEvENKUlvE1_clEvEUlN3c108BFloat16EE_St5arrayIPcLm2EEEEviT0_T1_: ; @_ZN2at6native29vectorized_elementwise_kernelILi8EZZZNS0_17rsqrt_kernel_cudaERNS_18TensorIteratorBaseEENKUlvE0_clEvENKUlvE1_clEvEUlN3c108BFloat16EE_St5arrayIPcLm2EEEEviT0_T1_
; %bb.0:
	s_load_dword s3, s[0:1], 0x0
	s_load_dwordx4 s[4:7], s[0:1], 0x8
	s_lshl_b32 s2, s2, 11
	s_mov_b64 s[0:1], -1
	s_waitcnt lgkmcnt(0)
	s_sub_i32 s10, s3, s2
	s_cmpk_gt_i32 s10, 0x7ff
	s_cbranch_scc0 .LBB203_2
; %bb.1:
	s_ashr_i32 s3, s2, 31
	s_lshl_b64 s[0:1], s[2:3], 1
	s_add_u32 s8, s6, s0
	s_addc_u32 s9, s7, s1
	v_lshlrev_b32_e32 v1, 4, v0
	global_load_dwordx4 v[2:5], v1, s[8:9]
	s_mov_b32 s8, 0
	s_mov_b32 s9, 0x3fd80000
	v_mov_b32_e32 v42, 0x180
	s_movk_i32 s3, 0x7fff
	v_mov_b32_e32 v43, 0x7fc0
	s_add_u32 s0, s4, s0
	s_addc_u32 s1, s5, s1
	s_waitcnt vmcnt(0)
	v_and_b32_e32 v6, 0xffff0000, v2
	v_lshlrev_b32_e32 v7, 16, v3
	v_lshlrev_b32_e32 v8, 16, v2
	v_lshlrev_b32_e32 v16, 16, v4
	v_and_b32_e32 v14, 0xffff0000, v4
	v_lshlrev_b32_e32 v12, 16, v5
	v_and_b32_e32 v10, 0xffff0000, v5
	v_cvt_f64_f32_e32 v[4:5], v7
	v_cvt_f64_f32_e32 v[6:7], v6
	v_and_b32_e32 v2, 0xffff0000, v3
	v_cvt_f64_f32_e32 v[8:9], v8
	v_rsq_f64_e32 v[20:21], v[6:7]
	v_cvt_f64_f32_e32 v[2:3], v2
	v_rsq_f64_e32 v[18:19], v[8:9]
	v_rsq_f64_e32 v[24:25], v[2:3]
	;; [unrolled: 1-line block ×3, first 2 shown]
	v_mul_f64 v[6:7], v[20:21], -v[6:7]
	v_mul_f64 v[8:9], v[18:19], -v[8:9]
	v_fma_f64 v[6:7], v[6:7], v[20:21], 1.0
	v_mul_f64 v[2:3], v[24:25], -v[2:3]
	v_fma_f64 v[8:9], v[8:9], v[18:19], 1.0
	v_mul_f64 v[34:35], v[20:21], v[6:7]
	v_fma_f64 v[6:7], v[6:7], s[8:9], 0.5
	v_mul_f64 v[4:5], v[22:23], -v[4:5]
	v_fma_f64 v[2:3], v[2:3], v[24:25], 1.0
	v_mul_f64 v[36:37], v[18:19], v[8:9]
	v_fma_f64 v[8:9], v[8:9], s[8:9], 0.5
	v_fma_f64 v[6:7], v[34:35], v[6:7], v[20:21]
	v_cmp_class_f64_e32 vcc, v[20:21], v42
	v_fma_f64 v[4:5], v[4:5], v[22:23], 1.0
	v_mul_f64 v[38:39], v[24:25], v[2:3]
	v_fma_f64 v[2:3], v[2:3], s[8:9], 0.5
	v_fma_f64 v[8:9], v[36:37], v[8:9], v[18:19]
	v_cndmask_b32_e32 v7, v21, v7, vcc
	v_cndmask_b32_e32 v6, v20, v6, vcc
	v_cmp_class_f64_e32 vcc, v[18:19], v42
	v_mul_f64 v[40:41], v[22:23], v[4:5]
	v_fma_f64 v[4:5], v[4:5], s[8:9], 0.5
	v_fma_f64 v[2:3], v[38:39], v[2:3], v[24:25]
	v_cndmask_b32_e32 v9, v19, v9, vcc
	v_cndmask_b32_e32 v8, v18, v8, vcc
	v_cmp_class_f64_e32 vcc, v[24:25], v42
	v_fma_f64 v[4:5], v[40:41], v[4:5], v[22:23]
	v_cvt_f64_f32_e32 v[14:15], v14
	v_cndmask_b32_e32 v3, v25, v3, vcc
	v_cndmask_b32_e32 v2, v24, v2, vcc
	v_cmp_class_f64_e32 vcc, v[22:23], v42
	v_cvt_f64_f32_e32 v[16:17], v16
	v_rsq_f64_e32 v[28:29], v[14:15]
	v_cndmask_b32_e32 v5, v23, v5, vcc
	v_cndmask_b32_e32 v4, v22, v4, vcc
	v_cvt_f32_f64_e32 v4, v[4:5]
	v_cvt_f32_f64_e32 v5, v[6:7]
	v_cvt_f64_f32_e32 v[10:11], v10
	v_rsq_f64_e32 v[26:27], v[16:17]
	v_cvt_f32_f64_e32 v2, v[2:3]
	v_cvt_f32_f64_e32 v3, v[8:9]
	v_bfe_u32 v6, v5, 16, 1
	v_cvt_f64_f32_e32 v[12:13], v12
	v_rsq_f64_e32 v[32:33], v[10:11]
	v_bfe_u32 v7, v3, 16, 1
	v_add3_u32 v6, v5, v6, s3
	v_rsq_f64_e32 v[30:31], v[12:13]
	v_bfe_u32 v8, v2, 16, 1
	v_add3_u32 v7, v3, v7, s3
	v_lshrrev_b32_e32 v6, 16, v6
	v_cmp_o_f32_e32 vcc, v5, v5
	v_mul_f64 v[14:15], v[28:29], -v[14:15]
	v_bfe_u32 v9, v4, 16, 1
	v_add3_u32 v8, v2, v8, s3
	v_lshrrev_b32_e32 v7, 16, v7
	v_cndmask_b32_e32 v18, v43, v6, vcc
	v_cmp_o_f32_e32 vcc, v3, v3
	v_mul_f64 v[16:17], v[26:27], -v[16:17]
	v_add3_u32 v9, v4, v9, s3
	v_lshrrev_b32_e32 v8, 16, v8
	v_cndmask_b32_e32 v19, v43, v7, vcc
	v_cmp_o_f32_e32 vcc, v2, v2
	v_fma_f64 v[2:3], v[14:15], v[28:29], 1.0
	v_mul_f64 v[10:11], v[32:33], -v[10:11]
	v_fma_f64 v[16:17], v[16:17], v[26:27], 1.0
	v_lshrrev_b32_e32 v9, 16, v9
	v_cndmask_b32_e32 v20, v43, v8, vcc
	v_cmp_o_f32_e32 vcc, v4, v4
	v_mul_f64 v[4:5], v[28:29], v[2:3]
	v_fma_f64 v[2:3], v[2:3], s[8:9], 0.5
	v_mul_f64 v[12:13], v[30:31], -v[12:13]
	v_fma_f64 v[10:11], v[10:11], v[32:33], 1.0
	v_cndmask_b32_e32 v21, v43, v9, vcc
	v_mul_f64 v[6:7], v[26:27], v[16:17]
	v_fma_f64 v[16:17], v[16:17], s[8:9], 0.5
	v_fma_f64 v[2:3], v[4:5], v[2:3], v[28:29]
	v_cmp_class_f64_e32 vcc, v[28:29], v42
	v_fma_f64 v[12:13], v[12:13], v[30:31], 1.0
	v_mul_f64 v[8:9], v[32:33], v[10:11]
	v_fma_f64 v[10:11], v[10:11], s[8:9], 0.5
	v_fma_f64 v[6:7], v[6:7], v[16:17], v[26:27]
	v_cndmask_b32_e32 v3, v29, v3, vcc
	v_cndmask_b32_e32 v2, v28, v2, vcc
	v_cmp_class_f64_e32 vcc, v[26:27], v42
	v_mul_f64 v[14:15], v[30:31], v[12:13]
	v_fma_f64 v[12:13], v[12:13], s[8:9], 0.5
	v_fma_f64 v[8:9], v[8:9], v[10:11], v[32:33]
	v_cndmask_b32_e32 v5, v27, v7, vcc
	v_cndmask_b32_e32 v4, v26, v6, vcc
	v_cmp_class_f64_e32 vcc, v[32:33], v42
	v_cvt_f32_f64_e32 v2, v[2:3]
	v_fma_f64 v[12:13], v[14:15], v[12:13], v[30:31]
	v_cndmask_b32_e32 v7, v33, v9, vcc
	v_cndmask_b32_e32 v6, v32, v8, vcc
	v_cmp_class_f64_e32 vcc, v[30:31], v42
	v_cvt_f32_f64_e32 v4, v[4:5]
	v_bfe_u32 v3, v2, 16, 1
	v_cndmask_b32_e32 v9, v31, v13, vcc
	v_cndmask_b32_e32 v8, v30, v12, vcc
	v_cvt_f32_f64_e32 v6, v[6:7]
	v_bfe_u32 v5, v4, 16, 1
	v_add3_u32 v3, v2, v3, s3
	v_cmp_o_f32_e32 vcc, v2, v2
	v_cvt_f32_f64_e32 v8, v[8:9]
	v_bfe_u32 v7, v6, 16, 1
	v_add3_u32 v5, v4, v5, s3
	v_cndmask_b32_sdwa v2, v43, v3, vcc dst_sel:DWORD dst_unused:UNUSED_PAD src0_sel:DWORD src1_sel:WORD_1
	v_cmp_o_f32_e32 vcc, v4, v4
	v_bfe_u32 v9, v8, 16, 1
	v_add3_u32 v7, v6, v7, s3
	v_cndmask_b32_sdwa v3, v43, v5, vcc dst_sel:DWORD dst_unused:UNUSED_PAD src0_sel:DWORD src1_sel:WORD_1
	v_cmp_o_f32_e32 vcc, v6, v6
	v_add3_u32 v9, v8, v9, s3
	s_mov_b32 s3, 0x5040100
	v_cndmask_b32_sdwa v4, v43, v7, vcc dst_sel:DWORD dst_unused:UNUSED_PAD src0_sel:DWORD src1_sel:WORD_1
	v_cmp_o_f32_e32 vcc, v8, v8
	s_nop 1
	v_cndmask_b32_sdwa v5, v43, v9, vcc dst_sel:DWORD dst_unused:UNUSED_PAD src0_sel:DWORD src1_sel:WORD_1
	v_perm_b32 v5, v4, v5, s3
	v_perm_b32 v4, v2, v3, s3
	;; [unrolled: 1-line block ×4, first 2 shown]
	global_store_dwordx4 v1, v[2:5], s[0:1]
	s_mov_b64 s[0:1], 0
.LBB203_2:
	s_andn2_b64 vcc, exec, s[0:1]
	s_cbranch_vccnz .LBB203_41
; %bb.3:
	v_cmp_gt_i32_e64 s[0:1], s10, v0
	v_mov_b64_e32 v[14:15], 0
	v_or_b32_e32 v2, s2, v0
	v_mov_b64_e32 v[18:19], 0
	v_mov_b32_e32 v1, v0
	s_and_saveexec_b64 s[8:9], s[0:1]
	s_cbranch_execz .LBB203_5
; %bb.4:
	v_mov_b32_e32 v3, 0
	v_lshl_add_u64 v[4:5], v[2:3], 1, s[6:7]
	global_load_ushort v3, v[4:5], off
	v_or_b32_e32 v1, 0x100, v0
	s_waitcnt vmcnt(0)
	v_lshlrev_b32_e32 v3, 16, v3
	v_cvt_f64_f32_e32 v[18:19], v3
.LBB203_5:
	s_or_b64 exec, exec, s[8:9]
	v_cmp_gt_i32_e32 vcc, s10, v1
	s_and_saveexec_b64 s[8:9], vcc
	s_cbranch_execz .LBB203_7
; %bb.6:
	v_add_u32_e32 v4, s2, v1
	v_mov_b32_e32 v5, 0
	v_lshl_add_u64 v[4:5], v[4:5], 1, s[6:7]
	global_load_ushort v3, v[4:5], off
	v_add_u32_e32 v1, 0x100, v1
	s_waitcnt vmcnt(0)
	v_lshlrev_b32_e32 v3, 16, v3
	v_cvt_f64_f32_e32 v[14:15], v3
.LBB203_7:
	s_or_b64 exec, exec, s[8:9]
	v_cmp_gt_i32_e32 vcc, s10, v1
	v_mov_b64_e32 v[10:11], 0
	v_mov_b64_e32 v[16:17], 0
	s_and_saveexec_b64 s[8:9], vcc
	s_cbranch_execz .LBB203_9
; %bb.8:
	v_add_u32_e32 v4, s2, v1
	v_mov_b32_e32 v5, 0
	v_lshl_add_u64 v[4:5], v[4:5], 1, s[6:7]
	global_load_ushort v3, v[4:5], off
	v_add_u32_e32 v1, 0x100, v1
	s_waitcnt vmcnt(0)
	v_lshlrev_b32_e32 v3, 16, v3
	v_cvt_f64_f32_e32 v[16:17], v3
.LBB203_9:
	s_or_b64 exec, exec, s[8:9]
	v_cmp_gt_i32_e32 vcc, s10, v1
	s_and_saveexec_b64 s[8:9], vcc
	s_cbranch_execz .LBB203_11
; %bb.10:
	v_add_u32_e32 v4, s2, v1
	v_mov_b32_e32 v5, 0
	v_lshl_add_u64 v[4:5], v[4:5], 1, s[6:7]
	global_load_ushort v3, v[4:5], off
	v_add_u32_e32 v1, 0x100, v1
	s_waitcnt vmcnt(0)
	v_lshlrev_b32_e32 v3, 16, v3
	v_cvt_f64_f32_e32 v[10:11], v3
.LBB203_11:
	s_or_b64 exec, exec, s[8:9]
	v_cmp_gt_i32_e32 vcc, s10, v1
	v_mov_b64_e32 v[6:7], 0
	v_mov_b64_e32 v[12:13], 0
	s_and_saveexec_b64 s[8:9], vcc
	s_cbranch_execz .LBB203_13
; %bb.12:
	v_add_u32_e32 v4, s2, v1
	v_mov_b32_e32 v5, 0
	v_lshl_add_u64 v[4:5], v[4:5], 1, s[6:7]
	global_load_ushort v3, v[4:5], off
	v_add_u32_e32 v1, 0x100, v1
	s_waitcnt vmcnt(0)
	v_lshlrev_b32_e32 v3, 16, v3
	v_cvt_f64_f32_e32 v[12:13], v3
.LBB203_13:
	s_or_b64 exec, exec, s[8:9]
	v_cmp_gt_i32_e32 vcc, s10, v1
	s_and_saveexec_b64 s[8:9], vcc
	s_cbranch_execz .LBB203_15
; %bb.14:
	v_add_u32_e32 v4, s2, v1
	v_mov_b32_e32 v5, 0
	v_lshl_add_u64 v[4:5], v[4:5], 1, s[6:7]
	global_load_ushort v3, v[4:5], off
	v_add_u32_e32 v1, 0x100, v1
	s_waitcnt vmcnt(0)
	v_lshlrev_b32_e32 v3, 16, v3
	v_cvt_f64_f32_e32 v[6:7], v3
.LBB203_15:
	s_or_b64 exec, exec, s[8:9]
	v_cmp_gt_i32_e32 vcc, s10, v1
	v_mov_b64_e32 v[4:5], 0
	v_mov_b64_e32 v[8:9], 0
	s_and_saveexec_b64 s[8:9], vcc
	s_cbranch_execnz .LBB203_42
; %bb.16:
	s_or_b64 exec, exec, s[8:9]
	v_cmp_gt_i32_e32 vcc, s10, v1
	s_and_saveexec_b64 s[8:9], vcc
	s_cbranch_execnz .LBB203_43
.LBB203_17:
	s_or_b64 exec, exec, s[8:9]
                                        ; implicit-def: $vgpr1
	s_and_saveexec_b64 s[6:7], s[0:1]
	s_cbranch_execz .LBB203_19
.LBB203_18:
	v_rsq_f64_e32 v[20:21], v[18:19]
	s_mov_b32 s8, 0
	s_mov_b32 s9, 0x3fd80000
	v_mov_b32_e32 v1, 0x180
	v_mul_f64 v[18:19], v[20:21], -v[18:19]
	v_fma_f64 v[18:19], v[18:19], v[20:21], 1.0
	v_mul_f64 v[22:23], v[20:21], v[18:19]
	v_fma_f64 v[18:19], v[18:19], s[8:9], 0.5
	v_fma_f64 v[18:19], v[22:23], v[18:19], v[20:21]
	v_cmp_class_f64_e32 vcc, v[20:21], v1
	s_movk_i32 s3, 0x7fff
	s_nop 0
	v_cndmask_b32_e32 v19, v21, v19, vcc
	v_cndmask_b32_e32 v18, v20, v18, vcc
	v_cvt_f32_f64_e32 v1, v[18:19]
	v_bfe_u32 v3, v1, 16, 1
	v_add3_u32 v3, v1, v3, s3
	v_cmp_o_f32_e32 vcc, v1, v1
	v_mov_b32_e32 v1, 0x7fc0
	s_nop 0
	v_cndmask_b32_sdwa v1, v1, v3, vcc dst_sel:DWORD dst_unused:UNUSED_PAD src0_sel:DWORD src1_sel:WORD_1
.LBB203_19:
	s_or_b64 exec, exec, s[6:7]
	v_or_b32_e32 v18, 0x100, v0
	v_cmp_gt_i32_e32 vcc, s10, v18
                                        ; implicit-def: $vgpr19
	s_and_saveexec_b64 s[6:7], vcc
	s_cbranch_execz .LBB203_21
; %bb.20:
	v_rsq_f64_e32 v[20:21], v[14:15]
	s_mov_b32 s8, 0
	s_mov_b32 s9, 0x3fd80000
	v_mov_b32_e32 v3, 0x180
	v_mul_f64 v[14:15], v[20:21], -v[14:15]
	v_fma_f64 v[14:15], v[14:15], v[20:21], 1.0
	v_mul_f64 v[22:23], v[20:21], v[14:15]
	v_fma_f64 v[14:15], v[14:15], s[8:9], 0.5
	v_fma_f64 v[14:15], v[22:23], v[14:15], v[20:21]
	v_cmp_class_f64_e32 vcc, v[20:21], v3
	s_movk_i32 s3, 0x7fff
	s_nop 0
	v_cndmask_b32_e32 v15, v21, v15, vcc
	v_cndmask_b32_e32 v14, v20, v14, vcc
	v_cvt_f32_f64_e32 v3, v[14:15]
	v_bfe_u32 v14, v3, 16, 1
	v_add3_u32 v14, v3, v14, s3
	v_cmp_o_f32_e32 vcc, v3, v3
	v_mov_b32_e32 v3, 0x7fc0
	s_nop 0
	v_cndmask_b32_sdwa v19, v3, v14, vcc dst_sel:DWORD dst_unused:UNUSED_PAD src0_sel:DWORD src1_sel:WORD_1
.LBB203_21:
	s_or_b64 exec, exec, s[6:7]
	v_or_b32_e32 v3, 0x200, v0
	v_cmp_gt_i32_e32 vcc, s10, v3
                                        ; implicit-def: $vgpr14
	s_and_saveexec_b64 s[6:7], vcc
	s_cbranch_execz .LBB203_23
; %bb.22:
	v_rsq_f64_e32 v[14:15], v[16:17]
	s_mov_b32 s8, 0
	s_mov_b32 s9, 0x3fd80000
	v_mov_b32_e32 v3, 0x180
	v_mul_f64 v[16:17], v[14:15], -v[16:17]
	v_fma_f64 v[16:17], v[16:17], v[14:15], 1.0
	v_mul_f64 v[20:21], v[14:15], v[16:17]
	v_fma_f64 v[16:17], v[16:17], s[8:9], 0.5
	v_fma_f64 v[16:17], v[20:21], v[16:17], v[14:15]
	v_cmp_class_f64_e32 vcc, v[14:15], v3
	s_movk_i32 s3, 0x7fff
	s_nop 0
	v_cndmask_b32_e32 v15, v15, v17, vcc
	v_cndmask_b32_e32 v14, v14, v16, vcc
	v_cvt_f32_f64_e32 v3, v[14:15]
	v_bfe_u32 v14, v3, 16, 1
	v_add3_u32 v14, v3, v14, s3
	v_cmp_o_f32_e32 vcc, v3, v3
	v_mov_b32_e32 v3, 0x7fc0
	s_nop 0
	v_cndmask_b32_sdwa v14, v3, v14, vcc dst_sel:DWORD dst_unused:UNUSED_PAD src0_sel:DWORD src1_sel:WORD_1
.LBB203_23:
	s_or_b64 exec, exec, s[6:7]
	v_or_b32_e32 v3, 0x300, v0
	v_cmp_gt_i32_e32 vcc, s10, v3
                                        ; implicit-def: $vgpr15
	s_and_saveexec_b64 s[6:7], vcc
	s_cbranch_execz .LBB203_25
; %bb.24:
	v_rsq_f64_e32 v[16:17], v[10:11]
	s_mov_b32 s8, 0
	s_mov_b32 s9, 0x3fd80000
	v_mov_b32_e32 v3, 0x180
	v_mul_f64 v[10:11], v[16:17], -v[10:11]
	v_fma_f64 v[10:11], v[10:11], v[16:17], 1.0
	v_mul_f64 v[20:21], v[16:17], v[10:11]
	v_fma_f64 v[10:11], v[10:11], s[8:9], 0.5
	v_fma_f64 v[10:11], v[20:21], v[10:11], v[16:17]
	v_cmp_class_f64_e32 vcc, v[16:17], v3
	s_movk_i32 s3, 0x7fff
	s_nop 0
	v_cndmask_b32_e32 v11, v17, v11, vcc
	v_cndmask_b32_e32 v10, v16, v10, vcc
	v_cvt_f32_f64_e32 v3, v[10:11]
	v_bfe_u32 v10, v3, 16, 1
	v_add3_u32 v10, v3, v10, s3
	v_cmp_o_f32_e32 vcc, v3, v3
	v_mov_b32_e32 v3, 0x7fc0
	s_nop 0
	v_cndmask_b32_sdwa v15, v3, v10, vcc dst_sel:DWORD dst_unused:UNUSED_PAD src0_sel:DWORD src1_sel:WORD_1
.LBB203_25:
	s_or_b64 exec, exec, s[6:7]
	v_or_b32_e32 v3, 0x400, v0
	v_cmp_gt_i32_e32 vcc, s10, v3
                                        ; implicit-def: $vgpr10
	s_and_saveexec_b64 s[6:7], vcc
	s_cbranch_execz .LBB203_27
; %bb.26:
	v_rsq_f64_e32 v[10:11], v[12:13]
	s_mov_b32 s8, 0
	s_mov_b32 s9, 0x3fd80000
	v_mov_b32_e32 v3, 0x180
	v_mul_f64 v[12:13], v[10:11], -v[12:13]
	v_fma_f64 v[12:13], v[12:13], v[10:11], 1.0
	v_mul_f64 v[16:17], v[10:11], v[12:13]
	v_fma_f64 v[12:13], v[12:13], s[8:9], 0.5
	v_fma_f64 v[12:13], v[16:17], v[12:13], v[10:11]
	v_cmp_class_f64_e32 vcc, v[10:11], v3
	s_movk_i32 s3, 0x7fff
	s_nop 0
	v_cndmask_b32_e32 v11, v11, v13, vcc
	v_cndmask_b32_e32 v10, v10, v12, vcc
	v_cvt_f32_f64_e32 v3, v[10:11]
	v_bfe_u32 v10, v3, 16, 1
	v_add3_u32 v10, v3, v10, s3
	v_cmp_o_f32_e32 vcc, v3, v3
	v_mov_b32_e32 v3, 0x7fc0
	s_nop 0
	v_cndmask_b32_sdwa v10, v3, v10, vcc dst_sel:DWORD dst_unused:UNUSED_PAD src0_sel:DWORD src1_sel:WORD_1
.LBB203_27:
	s_or_b64 exec, exec, s[6:7]
	v_or_b32_e32 v3, 0x500, v0
	v_cmp_gt_i32_e32 vcc, s10, v3
                                        ; implicit-def: $vgpr11
	s_and_saveexec_b64 s[6:7], vcc
	s_cbranch_execz .LBB203_29
; %bb.28:
	v_rsq_f64_e32 v[12:13], v[6:7]
	s_mov_b32 s8, 0
	s_mov_b32 s9, 0x3fd80000
	v_mov_b32_e32 v3, 0x180
	v_mul_f64 v[6:7], v[12:13], -v[6:7]
	v_fma_f64 v[6:7], v[6:7], v[12:13], 1.0
	v_mul_f64 v[16:17], v[12:13], v[6:7]
	v_fma_f64 v[6:7], v[6:7], s[8:9], 0.5
	v_fma_f64 v[6:7], v[16:17], v[6:7], v[12:13]
	v_cmp_class_f64_e32 vcc, v[12:13], v3
	s_movk_i32 s3, 0x7fff
	s_nop 0
	v_cndmask_b32_e32 v7, v13, v7, vcc
	v_cndmask_b32_e32 v6, v12, v6, vcc
	v_cvt_f32_f64_e32 v3, v[6:7]
	v_bfe_u32 v6, v3, 16, 1
	v_add3_u32 v6, v3, v6, s3
	v_cmp_o_f32_e32 vcc, v3, v3
	v_mov_b32_e32 v3, 0x7fc0
	s_nop 0
	v_cndmask_b32_sdwa v11, v3, v6, vcc dst_sel:DWORD dst_unused:UNUSED_PAD src0_sel:DWORD src1_sel:WORD_1
.LBB203_29:
	s_or_b64 exec, exec, s[6:7]
	v_or_b32_e32 v3, 0x600, v0
	v_cmp_gt_i32_e32 vcc, s10, v3
                                        ; implicit-def: $vgpr6
	s_and_saveexec_b64 s[6:7], vcc
	s_cbranch_execz .LBB203_31
; %bb.30:
	v_rsq_f64_e32 v[6:7], v[8:9]
	s_mov_b32 s8, 0
	s_mov_b32 s9, 0x3fd80000
	v_mov_b32_e32 v3, 0x180
	v_mul_f64 v[8:9], v[6:7], -v[8:9]
	v_fma_f64 v[8:9], v[8:9], v[6:7], 1.0
	v_mul_f64 v[12:13], v[6:7], v[8:9]
	v_fma_f64 v[8:9], v[8:9], s[8:9], 0.5
	v_fma_f64 v[8:9], v[12:13], v[8:9], v[6:7]
	v_cmp_class_f64_e32 vcc, v[6:7], v3
	s_movk_i32 s3, 0x7fff
	s_nop 0
	v_cndmask_b32_e32 v7, v7, v9, vcc
	v_cndmask_b32_e32 v6, v6, v8, vcc
	v_cvt_f32_f64_e32 v3, v[6:7]
	v_bfe_u32 v6, v3, 16, 1
	v_add3_u32 v6, v3, v6, s3
	v_cmp_o_f32_e32 vcc, v3, v3
	v_mov_b32_e32 v3, 0x7fc0
	s_nop 0
	v_cndmask_b32_sdwa v6, v3, v6, vcc dst_sel:DWORD dst_unused:UNUSED_PAD src0_sel:DWORD src1_sel:WORD_1
.LBB203_31:
	s_or_b64 exec, exec, s[6:7]
	v_or_b32_e32 v3, 0x700, v0
	v_cmp_gt_i32_e32 vcc, s10, v3
                                        ; implicit-def: $vgpr7
	s_and_saveexec_b64 s[6:7], vcc
	s_cbranch_execnz .LBB203_44
; %bb.32:
	s_or_b64 exec, exec, s[6:7]
	s_and_saveexec_b64 s[6:7], s[0:1]
	s_xor_b64 s[0:1], exec, s[6:7]
	s_cbranch_execnz .LBB203_45
.LBB203_33:
	s_or_b64 exec, exec, s[0:1]
	v_cmp_gt_i32_e32 vcc, s10, v0
	s_and_saveexec_b64 s[0:1], vcc
	s_cbranch_execnz .LBB203_46
.LBB203_34:
	s_or_b64 exec, exec, s[0:1]
	v_cmp_gt_i32_e32 vcc, s10, v0
	s_and_saveexec_b64 s[0:1], vcc
	s_cbranch_execnz .LBB203_47
.LBB203_35:
	s_or_b64 exec, exec, s[0:1]
	v_cmp_gt_i32_e32 vcc, s10, v0
	s_and_saveexec_b64 s[0:1], vcc
	s_cbranch_execnz .LBB203_48
.LBB203_36:
	s_or_b64 exec, exec, s[0:1]
	v_cmp_gt_i32_e32 vcc, s10, v0
	s_and_saveexec_b64 s[0:1], vcc
	s_cbranch_execnz .LBB203_49
.LBB203_37:
	s_or_b64 exec, exec, s[0:1]
	v_cmp_gt_i32_e32 vcc, s10, v0
	s_and_saveexec_b64 s[0:1], vcc
	s_cbranch_execnz .LBB203_50
.LBB203_38:
	s_or_b64 exec, exec, s[0:1]
	v_cmp_gt_i32_e32 vcc, s10, v0
	s_and_saveexec_b64 s[0:1], vcc
	s_cbranch_execnz .LBB203_51
.LBB203_39:
	s_or_b64 exec, exec, s[0:1]
	v_cmp_gt_i32_e32 vcc, s10, v0
	s_and_saveexec_b64 s[0:1], vcc
	s_cbranch_execz .LBB203_41
.LBB203_40:
	v_add_u32_e32 v0, s2, v0
	v_mov_b32_e32 v1, 0
	v_lshl_add_u64 v[0:1], v[0:1], 1, s[4:5]
	global_store_short v[0:1], v7, off
.LBB203_41:
	s_endpgm
.LBB203_42:
	v_add_u32_e32 v8, s2, v1
	v_mov_b32_e32 v9, 0
	v_lshl_add_u64 v[8:9], v[8:9], 1, s[6:7]
	global_load_ushort v3, v[8:9], off
	v_add_u32_e32 v1, 0x100, v1
	s_waitcnt vmcnt(0)
	v_lshlrev_b32_e32 v3, 16, v3
	v_cvt_f64_f32_e32 v[8:9], v3
	s_or_b64 exec, exec, s[8:9]
	v_cmp_gt_i32_e32 vcc, s10, v1
	s_and_saveexec_b64 s[8:9], vcc
	s_cbranch_execz .LBB203_17
.LBB203_43:
	v_add_u32_e32 v4, s2, v1
	v_mov_b32_e32 v5, 0
	v_lshl_add_u64 v[4:5], v[4:5], 1, s[6:7]
	global_load_ushort v1, v[4:5], off
	s_waitcnt vmcnt(0)
	v_lshlrev_b32_e32 v1, 16, v1
	v_cvt_f64_f32_e32 v[4:5], v1
	s_or_b64 exec, exec, s[8:9]
                                        ; implicit-def: $vgpr1
	s_and_saveexec_b64 s[6:7], s[0:1]
	s_cbranch_execnz .LBB203_18
	s_branch .LBB203_19
.LBB203_44:
	v_rsq_f64_e32 v[8:9], v[4:5]
	s_mov_b32 s8, 0
	s_mov_b32 s9, 0x3fd80000
	v_mov_b32_e32 v3, 0x180
	v_mul_f64 v[4:5], v[8:9], -v[4:5]
	v_fma_f64 v[4:5], v[4:5], v[8:9], 1.0
	v_mul_f64 v[12:13], v[8:9], v[4:5]
	v_fma_f64 v[4:5], v[4:5], s[8:9], 0.5
	v_fma_f64 v[4:5], v[12:13], v[4:5], v[8:9]
	v_cmp_class_f64_e32 vcc, v[8:9], v3
	s_movk_i32 s3, 0x7fff
	s_nop 0
	v_cndmask_b32_e32 v5, v9, v5, vcc
	v_cndmask_b32_e32 v4, v8, v4, vcc
	v_cvt_f32_f64_e32 v3, v[4:5]
	v_bfe_u32 v4, v3, 16, 1
	v_add3_u32 v4, v3, v4, s3
	v_cmp_o_f32_e32 vcc, v3, v3
	v_mov_b32_e32 v3, 0x7fc0
	s_nop 0
	v_cndmask_b32_sdwa v7, v3, v4, vcc dst_sel:DWORD dst_unused:UNUSED_PAD src0_sel:DWORD src1_sel:WORD_1
	s_or_b64 exec, exec, s[6:7]
	s_and_saveexec_b64 s[6:7], s[0:1]
	s_xor_b64 s[0:1], exec, s[6:7]
	s_cbranch_execz .LBB203_33
.LBB203_45:
	v_mov_b32_e32 v3, 0
	v_lshl_add_u64 v[2:3], v[2:3], 1, s[4:5]
	v_mov_b32_e32 v0, v18
	global_store_short v[2:3], v1, off
	s_or_b64 exec, exec, s[0:1]
	v_cmp_gt_i32_e32 vcc, s10, v0
	s_and_saveexec_b64 s[0:1], vcc
	s_cbranch_execz .LBB203_34
.LBB203_46:
	v_add_u32_e32 v2, s2, v0
	v_mov_b32_e32 v3, 0
	v_lshl_add_u64 v[2:3], v[2:3], 1, s[4:5]
	v_add_u32_e32 v0, 0x100, v0
	global_store_short v[2:3], v19, off
	s_or_b64 exec, exec, s[0:1]
	v_cmp_gt_i32_e32 vcc, s10, v0
	s_and_saveexec_b64 s[0:1], vcc
	s_cbranch_execz .LBB203_35
.LBB203_47:
	v_add_u32_e32 v2, s2, v0
	v_mov_b32_e32 v3, 0
	v_lshl_add_u64 v[2:3], v[2:3], 1, s[4:5]
	v_add_u32_e32 v0, 0x100, v0
	global_store_short v[2:3], v14, off
	s_or_b64 exec, exec, s[0:1]
	v_cmp_gt_i32_e32 vcc, s10, v0
	s_and_saveexec_b64 s[0:1], vcc
	s_cbranch_execz .LBB203_36
.LBB203_48:
	v_add_u32_e32 v2, s2, v0
	v_mov_b32_e32 v3, 0
	v_lshl_add_u64 v[2:3], v[2:3], 1, s[4:5]
	v_add_u32_e32 v0, 0x100, v0
	global_store_short v[2:3], v15, off
	s_or_b64 exec, exec, s[0:1]
	v_cmp_gt_i32_e32 vcc, s10, v0
	s_and_saveexec_b64 s[0:1], vcc
	s_cbranch_execz .LBB203_37
.LBB203_49:
	v_add_u32_e32 v2, s2, v0
	v_mov_b32_e32 v3, 0
	v_lshl_add_u64 v[2:3], v[2:3], 1, s[4:5]
	v_add_u32_e32 v0, 0x100, v0
	global_store_short v[2:3], v10, off
	s_or_b64 exec, exec, s[0:1]
	v_cmp_gt_i32_e32 vcc, s10, v0
	s_and_saveexec_b64 s[0:1], vcc
	s_cbranch_execz .LBB203_38
.LBB203_50:
	v_add_u32_e32 v2, s2, v0
	v_mov_b32_e32 v3, 0
	v_lshl_add_u64 v[2:3], v[2:3], 1, s[4:5]
	v_add_u32_e32 v0, 0x100, v0
	global_store_short v[2:3], v11, off
	s_or_b64 exec, exec, s[0:1]
	v_cmp_gt_i32_e32 vcc, s10, v0
	s_and_saveexec_b64 s[0:1], vcc
	s_cbranch_execz .LBB203_39
.LBB203_51:
	v_add_u32_e32 v2, s2, v0
	v_mov_b32_e32 v3, 0
	v_lshl_add_u64 v[2:3], v[2:3], 1, s[4:5]
	v_add_u32_e32 v0, 0x100, v0
	global_store_short v[2:3], v6, off
	s_or_b64 exec, exec, s[0:1]
	v_cmp_gt_i32_e32 vcc, s10, v0
	s_and_saveexec_b64 s[0:1], vcc
	s_cbranch_execnz .LBB203_40
	s_branch .LBB203_41
	.section	.rodata,"a",@progbits
	.p2align	6, 0x0
	.amdhsa_kernel _ZN2at6native29vectorized_elementwise_kernelILi8EZZZNS0_17rsqrt_kernel_cudaERNS_18TensorIteratorBaseEENKUlvE0_clEvENKUlvE1_clEvEUlN3c108BFloat16EE_St5arrayIPcLm2EEEEviT0_T1_
		.amdhsa_group_segment_fixed_size 0
		.amdhsa_private_segment_fixed_size 0
		.amdhsa_kernarg_size 24
		.amdhsa_user_sgpr_count 2
		.amdhsa_user_sgpr_dispatch_ptr 0
		.amdhsa_user_sgpr_queue_ptr 0
		.amdhsa_user_sgpr_kernarg_segment_ptr 1
		.amdhsa_user_sgpr_dispatch_id 0
		.amdhsa_user_sgpr_kernarg_preload_length 0
		.amdhsa_user_sgpr_kernarg_preload_offset 0
		.amdhsa_user_sgpr_private_segment_size 0
		.amdhsa_uses_dynamic_stack 0
		.amdhsa_enable_private_segment 0
		.amdhsa_system_sgpr_workgroup_id_x 1
		.amdhsa_system_sgpr_workgroup_id_y 0
		.amdhsa_system_sgpr_workgroup_id_z 0
		.amdhsa_system_sgpr_workgroup_info 0
		.amdhsa_system_vgpr_workitem_id 0
		.amdhsa_next_free_vgpr 44
		.amdhsa_next_free_sgpr 11
		.amdhsa_accum_offset 44
		.amdhsa_reserve_vcc 1
		.amdhsa_float_round_mode_32 0
		.amdhsa_float_round_mode_16_64 0
		.amdhsa_float_denorm_mode_32 3
		.amdhsa_float_denorm_mode_16_64 3
		.amdhsa_dx10_clamp 1
		.amdhsa_ieee_mode 1
		.amdhsa_fp16_overflow 0
		.amdhsa_tg_split 0
		.amdhsa_exception_fp_ieee_invalid_op 0
		.amdhsa_exception_fp_denorm_src 0
		.amdhsa_exception_fp_ieee_div_zero 0
		.amdhsa_exception_fp_ieee_overflow 0
		.amdhsa_exception_fp_ieee_underflow 0
		.amdhsa_exception_fp_ieee_inexact 0
		.amdhsa_exception_int_div_zero 0
	.end_amdhsa_kernel
	.section	.text._ZN2at6native29vectorized_elementwise_kernelILi8EZZZNS0_17rsqrt_kernel_cudaERNS_18TensorIteratorBaseEENKUlvE0_clEvENKUlvE1_clEvEUlN3c108BFloat16EE_St5arrayIPcLm2EEEEviT0_T1_,"axG",@progbits,_ZN2at6native29vectorized_elementwise_kernelILi8EZZZNS0_17rsqrt_kernel_cudaERNS_18TensorIteratorBaseEENKUlvE0_clEvENKUlvE1_clEvEUlN3c108BFloat16EE_St5arrayIPcLm2EEEEviT0_T1_,comdat
.Lfunc_end203:
	.size	_ZN2at6native29vectorized_elementwise_kernelILi8EZZZNS0_17rsqrt_kernel_cudaERNS_18TensorIteratorBaseEENKUlvE0_clEvENKUlvE1_clEvEUlN3c108BFloat16EE_St5arrayIPcLm2EEEEviT0_T1_, .Lfunc_end203-_ZN2at6native29vectorized_elementwise_kernelILi8EZZZNS0_17rsqrt_kernel_cudaERNS_18TensorIteratorBaseEENKUlvE0_clEvENKUlvE1_clEvEUlN3c108BFloat16EE_St5arrayIPcLm2EEEEviT0_T1_
                                        ; -- End function
	.set _ZN2at6native29vectorized_elementwise_kernelILi8EZZZNS0_17rsqrt_kernel_cudaERNS_18TensorIteratorBaseEENKUlvE0_clEvENKUlvE1_clEvEUlN3c108BFloat16EE_St5arrayIPcLm2EEEEviT0_T1_.num_vgpr, 44
	.set _ZN2at6native29vectorized_elementwise_kernelILi8EZZZNS0_17rsqrt_kernel_cudaERNS_18TensorIteratorBaseEENKUlvE0_clEvENKUlvE1_clEvEUlN3c108BFloat16EE_St5arrayIPcLm2EEEEviT0_T1_.num_agpr, 0
	.set _ZN2at6native29vectorized_elementwise_kernelILi8EZZZNS0_17rsqrt_kernel_cudaERNS_18TensorIteratorBaseEENKUlvE0_clEvENKUlvE1_clEvEUlN3c108BFloat16EE_St5arrayIPcLm2EEEEviT0_T1_.numbered_sgpr, 11
	.set _ZN2at6native29vectorized_elementwise_kernelILi8EZZZNS0_17rsqrt_kernel_cudaERNS_18TensorIteratorBaseEENKUlvE0_clEvENKUlvE1_clEvEUlN3c108BFloat16EE_St5arrayIPcLm2EEEEviT0_T1_.num_named_barrier, 0
	.set _ZN2at6native29vectorized_elementwise_kernelILi8EZZZNS0_17rsqrt_kernel_cudaERNS_18TensorIteratorBaseEENKUlvE0_clEvENKUlvE1_clEvEUlN3c108BFloat16EE_St5arrayIPcLm2EEEEviT0_T1_.private_seg_size, 0
	.set _ZN2at6native29vectorized_elementwise_kernelILi8EZZZNS0_17rsqrt_kernel_cudaERNS_18TensorIteratorBaseEENKUlvE0_clEvENKUlvE1_clEvEUlN3c108BFloat16EE_St5arrayIPcLm2EEEEviT0_T1_.uses_vcc, 1
	.set _ZN2at6native29vectorized_elementwise_kernelILi8EZZZNS0_17rsqrt_kernel_cudaERNS_18TensorIteratorBaseEENKUlvE0_clEvENKUlvE1_clEvEUlN3c108BFloat16EE_St5arrayIPcLm2EEEEviT0_T1_.uses_flat_scratch, 0
	.set _ZN2at6native29vectorized_elementwise_kernelILi8EZZZNS0_17rsqrt_kernel_cudaERNS_18TensorIteratorBaseEENKUlvE0_clEvENKUlvE1_clEvEUlN3c108BFloat16EE_St5arrayIPcLm2EEEEviT0_T1_.has_dyn_sized_stack, 0
	.set _ZN2at6native29vectorized_elementwise_kernelILi8EZZZNS0_17rsqrt_kernel_cudaERNS_18TensorIteratorBaseEENKUlvE0_clEvENKUlvE1_clEvEUlN3c108BFloat16EE_St5arrayIPcLm2EEEEviT0_T1_.has_recursion, 0
	.set _ZN2at6native29vectorized_elementwise_kernelILi8EZZZNS0_17rsqrt_kernel_cudaERNS_18TensorIteratorBaseEENKUlvE0_clEvENKUlvE1_clEvEUlN3c108BFloat16EE_St5arrayIPcLm2EEEEviT0_T1_.has_indirect_call, 0
	.section	.AMDGPU.csdata,"",@progbits
; Kernel info:
; codeLenInByte = 3208
; TotalNumSgprs: 17
; NumVgprs: 44
; NumAgprs: 0
; TotalNumVgprs: 44
; ScratchSize: 0
; MemoryBound: 0
; FloatMode: 240
; IeeeMode: 1
; LDSByteSize: 0 bytes/workgroup (compile time only)
; SGPRBlocks: 2
; VGPRBlocks: 5
; NumSGPRsForWavesPerEU: 17
; NumVGPRsForWavesPerEU: 44
; AccumOffset: 44
; Occupancy: 8
; WaveLimiterHint : 0
; COMPUTE_PGM_RSRC2:SCRATCH_EN: 0
; COMPUTE_PGM_RSRC2:USER_SGPR: 2
; COMPUTE_PGM_RSRC2:TRAP_HANDLER: 0
; COMPUTE_PGM_RSRC2:TGID_X_EN: 1
; COMPUTE_PGM_RSRC2:TGID_Y_EN: 0
; COMPUTE_PGM_RSRC2:TGID_Z_EN: 0
; COMPUTE_PGM_RSRC2:TIDIG_COMP_CNT: 0
; COMPUTE_PGM_RSRC3_GFX90A:ACCUM_OFFSET: 10
; COMPUTE_PGM_RSRC3_GFX90A:TG_SPLIT: 0
	.section	.text._ZN2at6native29vectorized_elementwise_kernelILi4EZZZNS0_17rsqrt_kernel_cudaERNS_18TensorIteratorBaseEENKUlvE0_clEvENKUlvE1_clEvEUlN3c108BFloat16EE_St5arrayIPcLm2EEEEviT0_T1_,"axG",@progbits,_ZN2at6native29vectorized_elementwise_kernelILi4EZZZNS0_17rsqrt_kernel_cudaERNS_18TensorIteratorBaseEENKUlvE0_clEvENKUlvE1_clEvEUlN3c108BFloat16EE_St5arrayIPcLm2EEEEviT0_T1_,comdat
	.globl	_ZN2at6native29vectorized_elementwise_kernelILi4EZZZNS0_17rsqrt_kernel_cudaERNS_18TensorIteratorBaseEENKUlvE0_clEvENKUlvE1_clEvEUlN3c108BFloat16EE_St5arrayIPcLm2EEEEviT0_T1_ ; -- Begin function _ZN2at6native29vectorized_elementwise_kernelILi4EZZZNS0_17rsqrt_kernel_cudaERNS_18TensorIteratorBaseEENKUlvE0_clEvENKUlvE1_clEvEUlN3c108BFloat16EE_St5arrayIPcLm2EEEEviT0_T1_
	.p2align	8
	.type	_ZN2at6native29vectorized_elementwise_kernelILi4EZZZNS0_17rsqrt_kernel_cudaERNS_18TensorIteratorBaseEENKUlvE0_clEvENKUlvE1_clEvEUlN3c108BFloat16EE_St5arrayIPcLm2EEEEviT0_T1_,@function
_ZN2at6native29vectorized_elementwise_kernelILi4EZZZNS0_17rsqrt_kernel_cudaERNS_18TensorIteratorBaseEENKUlvE0_clEvENKUlvE1_clEvEUlN3c108BFloat16EE_St5arrayIPcLm2EEEEviT0_T1_: ; @_ZN2at6native29vectorized_elementwise_kernelILi4EZZZNS0_17rsqrt_kernel_cudaERNS_18TensorIteratorBaseEENKUlvE0_clEvENKUlvE1_clEvEUlN3c108BFloat16EE_St5arrayIPcLm2EEEEviT0_T1_
; %bb.0:
	s_load_dword s3, s[0:1], 0x0
	s_load_dwordx4 s[4:7], s[0:1], 0x8
	s_lshl_b32 s2, s2, 11
	s_mov_b64 s[0:1], -1
	s_waitcnt lgkmcnt(0)
	s_sub_i32 s10, s3, s2
	s_cmpk_gt_i32 s10, 0x7ff
	s_cbranch_scc0 .LBB204_2
; %bb.1:
	s_ashr_i32 s3, s2, 31
	s_lshl_b64 s[0:1], s[2:3], 1
	s_add_u32 s8, s6, s0
	s_addc_u32 s9, s7, s1
	v_lshlrev_b32_e32 v1, 3, v0
	global_load_dwordx2 v[2:3], v1, s[8:9]
	global_load_dwordx2 v[4:5], v1, s[8:9] offset:2048
	s_mov_b32 s8, 0
	s_mov_b32 s9, 0x3fd80000
	v_mov_b32_e32 v38, 0x180
	s_movk_i32 s3, 0x7fff
	v_mov_b32_e32 v39, 0x7fc0
	v_mov_b32_e32 v40, 0x7fc00000
	s_add_u32 s0, s4, s0
	s_addc_u32 s1, s5, s1
	s_waitcnt vmcnt(1)
	v_lshlrev_b32_e32 v6, 16, v2
	v_and_b32_e32 v7, 0xffff0000, v2
	v_lshlrev_b32_e32 v8, 16, v3
	v_and_b32_e32 v10, 0xffff0000, v3
	v_cvt_f64_f32_e32 v[2:3], v6
	v_cvt_f64_f32_e32 v[6:7], v7
	v_rsq_f64_e32 v[16:17], v[2:3]
	v_cvt_f64_f32_e32 v[8:9], v8
	v_rsq_f64_e32 v[18:19], v[6:7]
	v_rsq_f64_e32 v[20:21], v[8:9]
	s_waitcnt vmcnt(0)
	v_lshlrev_b32_e32 v12, 16, v4
	v_cvt_f64_f32_e32 v[10:11], v10
	v_cvt_f64_f32_e32 v[12:13], v12
	v_rsq_f64_e32 v[22:23], v[10:11]
	v_mul_f64 v[2:3], v[16:17], -v[2:3]
	v_rsq_f64_e32 v[24:25], v[12:13]
	v_mul_f64 v[6:7], v[18:19], -v[6:7]
	v_fma_f64 v[2:3], v[2:3], v[16:17], 1.0
	v_mul_f64 v[8:9], v[20:21], -v[8:9]
	v_fma_f64 v[6:7], v[6:7], v[18:19], 1.0
	v_mul_f64 v[28:29], v[16:17], v[2:3]
	v_fma_f64 v[2:3], v[2:3], s[8:9], 0.5
	v_fma_f64 v[8:9], v[8:9], v[20:21], 1.0
	v_mul_f64 v[30:31], v[18:19], v[6:7]
	v_fma_f64 v[6:7], v[6:7], s[8:9], 0.5
	v_fma_f64 v[2:3], v[28:29], v[2:3], v[16:17]
	v_cmp_class_f64_e32 vcc, v[16:17], v38
	v_mul_f64 v[10:11], v[22:23], -v[10:11]
	v_mul_f64 v[32:33], v[20:21], v[8:9]
	v_fma_f64 v[8:9], v[8:9], s[8:9], 0.5
	v_fma_f64 v[6:7], v[30:31], v[6:7], v[18:19]
	v_cndmask_b32_e32 v3, v17, v3, vcc
	v_cndmask_b32_e32 v2, v16, v2, vcc
	v_cmp_class_f64_e32 vcc, v[18:19], v38
	v_mul_f64 v[12:13], v[24:25], -v[12:13]
	v_fma_f64 v[10:11], v[10:11], v[22:23], 1.0
	v_fma_f64 v[8:9], v[32:33], v[8:9], v[20:21]
	v_cndmask_b32_e32 v7, v19, v7, vcc
	v_cndmask_b32_e32 v6, v18, v6, vcc
	v_cmp_class_f64_e32 vcc, v[20:21], v38
	v_and_b32_e32 v4, 0xffff0000, v4
	v_fma_f64 v[12:13], v[12:13], v[24:25], 1.0
	v_mul_f64 v[34:35], v[22:23], v[10:11]
	v_fma_f64 v[10:11], v[10:11], s[8:9], 0.5
	v_cndmask_b32_e32 v9, v21, v9, vcc
	v_cndmask_b32_e32 v8, v20, v8, vcc
	v_cvt_f32_f64_e32 v2, v[2:3]
	v_cvt_f64_f32_e32 v[14:15], v4
	v_mul_f64 v[36:37], v[24:25], v[12:13]
	v_fma_f64 v[12:13], v[12:13], s[8:9], 0.5
	v_fma_f64 v[10:11], v[34:35], v[10:11], v[22:23]
	v_cmp_class_f64_e32 vcc, v[22:23], v38
	v_cvt_f32_f64_e32 v3, v[6:7]
	v_cvt_f32_f64_e32 v4, v[8:9]
	v_bfe_u32 v8, v2, 16, 1
	v_fma_f64 v[12:13], v[36:37], v[12:13], v[24:25]
	v_cndmask_b32_e32 v11, v23, v11, vcc
	v_cndmask_b32_e32 v10, v22, v10, vcc
	v_cmp_class_f64_e32 vcc, v[24:25], v38
	v_bfe_u32 v9, v3, 16, 1
	v_add3_u32 v8, v2, v8, s3
	v_cndmask_b32_e32 v13, v25, v13, vcc
	v_cndmask_b32_e32 v12, v24, v12, vcc
	v_cvt_f32_f64_e32 v6, v[10:11]
	v_bfe_u32 v10, v4, 16, 1
	v_add3_u32 v9, v3, v9, s3
	v_lshrrev_b32_e32 v8, 16, v8
	v_cmp_o_f32_e32 vcc, v2, v2
	v_rsq_f64_e32 v[26:27], v[14:15]
	v_bfe_u32 v11, v6, 16, 1
	v_add3_u32 v10, v4, v10, s3
	v_and_b32_e32 v9, 0xffff0000, v9
	v_cndmask_b32_e32 v2, v39, v8, vcc
	v_cmp_o_f32_e32 vcc, v3, v3
	v_add3_u32 v11, v6, v11, s3
	v_lshrrev_b32_e32 v10, 16, v10
	v_cndmask_b32_e32 v3, v40, v9, vcc
	v_cmp_o_f32_e32 vcc, v4, v4
	v_cvt_f32_f64_e32 v7, v[12:13]
	v_and_b32_e32 v11, 0xffff0000, v11
	v_cndmask_b32_e32 v4, v39, v10, vcc
	v_cmp_o_f32_e32 vcc, v6, v6
	v_bfe_u32 v12, v7, 16, 1
	v_add3_u32 v12, v7, v12, s3
	v_cndmask_b32_e32 v6, v40, v11, vcc
	v_or_b32_e32 v2, v2, v3
	v_or3_b32 v3, 0, v4, v6
	v_cmp_o_f32_e32 vcc, v7, v7
	v_mul_f64 v[6:7], v[26:27], -v[14:15]
	v_fma_f64 v[6:7], v[6:7], v[26:27], 1.0
	v_lshrrev_b32_e32 v12, 16, v12
	v_mul_f64 v[8:9], v[26:27], v[6:7]
	v_fma_f64 v[6:7], v[6:7], s[8:9], 0.5
	v_cndmask_b32_e32 v4, v39, v12, vcc
	v_fma_f64 v[6:7], v[8:9], v[6:7], v[26:27]
	v_cmp_class_f64_e32 vcc, v[26:27], v38
	v_or3_b32 v2, v2, 0, 0
	s_nop 0
	v_cndmask_b32_e32 v7, v27, v7, vcc
	v_cndmask_b32_e32 v6, v26, v6, vcc
	v_cvt_f32_f64_e32 v10, v[6:7]
	v_bfe_u32 v6, v10, 16, 1
	v_add3_u32 v6, v10, v6, s3
	v_and_b32_e32 v11, 0xffff0000, v6
	v_lshlrev_b32_e32 v6, 16, v5
	v_cvt_f64_f32_e32 v[6:7], v6
	v_rsq_f64_e32 v[8:9], v[6:7]
	v_cmp_o_f32_e32 vcc, v10, v10
	v_mul_f64 v[6:7], v[8:9], -v[6:7]
	s_nop 0
	v_cndmask_b32_e32 v10, v40, v11, vcc
	v_fma_f64 v[6:7], v[6:7], v[8:9], 1.0
	v_or_b32_e32 v12, v4, v10
	v_mul_f64 v[10:11], v[8:9], v[6:7]
	v_fma_f64 v[6:7], v[6:7], s[8:9], 0.5
	v_fma_f64 v[6:7], v[10:11], v[6:7], v[8:9]
	v_cmp_class_f64_e32 vcc, v[8:9], v38
	s_nop 1
	v_cndmask_b32_e32 v7, v9, v7, vcc
	v_cndmask_b32_e32 v6, v8, v6, vcc
	v_cvt_f32_f64_e32 v8, v[6:7]
	v_bfe_u32 v4, v8, 16, 1
	v_add3_u32 v9, v8, v4, s3
	v_and_b32_e32 v4, 0xffff0000, v5
	v_cvt_f64_f32_e32 v[4:5], v4
	v_rsq_f64_e32 v[6:7], v[4:5]
	v_lshrrev_b32_e32 v9, 16, v9
	v_cmp_o_f32_e32 vcc, v8, v8
	v_mul_f64 v[4:5], v[6:7], -v[4:5]
	v_fma_f64 v[4:5], v[4:5], v[6:7], 1.0
	v_cndmask_b32_e32 v10, v39, v9, vcc
	v_mul_f64 v[8:9], v[6:7], v[4:5]
	v_fma_f64 v[4:5], v[4:5], s[8:9], 0.5
	v_fma_f64 v[4:5], v[8:9], v[4:5], v[6:7]
	v_cmp_class_f64_e32 vcc, v[6:7], v38
	s_nop 1
	v_cndmask_b32_e32 v5, v7, v5, vcc
	v_cndmask_b32_e32 v4, v6, v4, vcc
	v_cvt_f32_f64_e32 v4, v[4:5]
	v_bfe_u32 v5, v4, 16, 1
	v_add3_u32 v5, v4, v5, s3
	v_and_b32_e32 v5, 0xffff0000, v5
	v_cmp_o_f32_e32 vcc, v4, v4
	s_nop 1
	v_cndmask_b32_e32 v4, v40, v5, vcc
	v_or3_b32 v5, 0, v10, v4
	v_or3_b32 v4, v12, 0, 0
	global_store_dwordx2 v1, v[2:3], s[0:1]
	global_store_dwordx2 v1, v[4:5], s[0:1] offset:2048
	s_mov_b64 s[0:1], 0
.LBB204_2:
	s_andn2_b64 vcc, exec, s[0:1]
	s_cbranch_vccnz .LBB204_41
; %bb.3:
	v_cmp_gt_i32_e64 s[0:1], s10, v0
	v_mov_b64_e32 v[14:15], 0
	v_or_b32_e32 v2, s2, v0
	v_mov_b64_e32 v[18:19], 0
	v_mov_b32_e32 v1, v0
	s_and_saveexec_b64 s[8:9], s[0:1]
	s_cbranch_execz .LBB204_5
; %bb.4:
	v_mov_b32_e32 v3, 0
	v_lshl_add_u64 v[4:5], v[2:3], 1, s[6:7]
	global_load_ushort v3, v[4:5], off
	v_or_b32_e32 v1, 0x100, v0
	s_waitcnt vmcnt(0)
	v_lshlrev_b32_e32 v3, 16, v3
	v_cvt_f64_f32_e32 v[18:19], v3
.LBB204_5:
	s_or_b64 exec, exec, s[8:9]
	v_cmp_gt_i32_e32 vcc, s10, v1
	s_and_saveexec_b64 s[8:9], vcc
	s_cbranch_execz .LBB204_7
; %bb.6:
	v_add_u32_e32 v4, s2, v1
	v_mov_b32_e32 v5, 0
	v_lshl_add_u64 v[4:5], v[4:5], 1, s[6:7]
	global_load_ushort v3, v[4:5], off
	v_add_u32_e32 v1, 0x100, v1
	s_waitcnt vmcnt(0)
	v_lshlrev_b32_e32 v3, 16, v3
	v_cvt_f64_f32_e32 v[14:15], v3
.LBB204_7:
	s_or_b64 exec, exec, s[8:9]
	v_cmp_gt_i32_e32 vcc, s10, v1
	v_mov_b64_e32 v[10:11], 0
	v_mov_b64_e32 v[16:17], 0
	s_and_saveexec_b64 s[8:9], vcc
	s_cbranch_execz .LBB204_9
; %bb.8:
	v_add_u32_e32 v4, s2, v1
	v_mov_b32_e32 v5, 0
	v_lshl_add_u64 v[4:5], v[4:5], 1, s[6:7]
	global_load_ushort v3, v[4:5], off
	v_add_u32_e32 v1, 0x100, v1
	s_waitcnt vmcnt(0)
	v_lshlrev_b32_e32 v3, 16, v3
	v_cvt_f64_f32_e32 v[16:17], v3
.LBB204_9:
	s_or_b64 exec, exec, s[8:9]
	v_cmp_gt_i32_e32 vcc, s10, v1
	s_and_saveexec_b64 s[8:9], vcc
	s_cbranch_execz .LBB204_11
; %bb.10:
	v_add_u32_e32 v4, s2, v1
	v_mov_b32_e32 v5, 0
	v_lshl_add_u64 v[4:5], v[4:5], 1, s[6:7]
	global_load_ushort v3, v[4:5], off
	v_add_u32_e32 v1, 0x100, v1
	s_waitcnt vmcnt(0)
	v_lshlrev_b32_e32 v3, 16, v3
	v_cvt_f64_f32_e32 v[10:11], v3
.LBB204_11:
	s_or_b64 exec, exec, s[8:9]
	v_cmp_gt_i32_e32 vcc, s10, v1
	v_mov_b64_e32 v[6:7], 0
	v_mov_b64_e32 v[12:13], 0
	s_and_saveexec_b64 s[8:9], vcc
	s_cbranch_execz .LBB204_13
; %bb.12:
	v_add_u32_e32 v4, s2, v1
	v_mov_b32_e32 v5, 0
	v_lshl_add_u64 v[4:5], v[4:5], 1, s[6:7]
	global_load_ushort v3, v[4:5], off
	v_add_u32_e32 v1, 0x100, v1
	s_waitcnt vmcnt(0)
	v_lshlrev_b32_e32 v3, 16, v3
	v_cvt_f64_f32_e32 v[12:13], v3
.LBB204_13:
	s_or_b64 exec, exec, s[8:9]
	v_cmp_gt_i32_e32 vcc, s10, v1
	s_and_saveexec_b64 s[8:9], vcc
	s_cbranch_execz .LBB204_15
; %bb.14:
	v_add_u32_e32 v4, s2, v1
	v_mov_b32_e32 v5, 0
	v_lshl_add_u64 v[4:5], v[4:5], 1, s[6:7]
	global_load_ushort v3, v[4:5], off
	v_add_u32_e32 v1, 0x100, v1
	s_waitcnt vmcnt(0)
	v_lshlrev_b32_e32 v3, 16, v3
	v_cvt_f64_f32_e32 v[6:7], v3
.LBB204_15:
	s_or_b64 exec, exec, s[8:9]
	v_cmp_gt_i32_e32 vcc, s10, v1
	v_mov_b64_e32 v[4:5], 0
	v_mov_b64_e32 v[8:9], 0
	s_and_saveexec_b64 s[8:9], vcc
	s_cbranch_execnz .LBB204_42
; %bb.16:
	s_or_b64 exec, exec, s[8:9]
	v_cmp_gt_i32_e32 vcc, s10, v1
	s_and_saveexec_b64 s[8:9], vcc
	s_cbranch_execnz .LBB204_43
.LBB204_17:
	s_or_b64 exec, exec, s[8:9]
                                        ; implicit-def: $vgpr1
	s_and_saveexec_b64 s[6:7], s[0:1]
	s_cbranch_execz .LBB204_19
.LBB204_18:
	v_rsq_f64_e32 v[20:21], v[18:19]
	s_mov_b32 s8, 0
	s_mov_b32 s9, 0x3fd80000
	v_mov_b32_e32 v1, 0x180
	v_mul_f64 v[18:19], v[20:21], -v[18:19]
	v_fma_f64 v[18:19], v[18:19], v[20:21], 1.0
	v_mul_f64 v[22:23], v[20:21], v[18:19]
	v_fma_f64 v[18:19], v[18:19], s[8:9], 0.5
	v_fma_f64 v[18:19], v[22:23], v[18:19], v[20:21]
	v_cmp_class_f64_e32 vcc, v[20:21], v1
	s_movk_i32 s3, 0x7fff
	s_nop 0
	v_cndmask_b32_e32 v19, v21, v19, vcc
	v_cndmask_b32_e32 v18, v20, v18, vcc
	v_cvt_f32_f64_e32 v1, v[18:19]
	v_bfe_u32 v3, v1, 16, 1
	v_add3_u32 v3, v1, v3, s3
	v_cmp_o_f32_e32 vcc, v1, v1
	v_mov_b32_e32 v1, 0x7fc0
	s_nop 0
	v_cndmask_b32_sdwa v1, v1, v3, vcc dst_sel:DWORD dst_unused:UNUSED_PAD src0_sel:DWORD src1_sel:WORD_1
.LBB204_19:
	s_or_b64 exec, exec, s[6:7]
	v_or_b32_e32 v18, 0x100, v0
	v_cmp_gt_i32_e32 vcc, s10, v18
                                        ; implicit-def: $vgpr19
	s_and_saveexec_b64 s[6:7], vcc
	s_cbranch_execz .LBB204_21
; %bb.20:
	v_rsq_f64_e32 v[20:21], v[14:15]
	s_mov_b32 s8, 0
	s_mov_b32 s9, 0x3fd80000
	v_mov_b32_e32 v3, 0x180
	v_mul_f64 v[14:15], v[20:21], -v[14:15]
	v_fma_f64 v[14:15], v[14:15], v[20:21], 1.0
	v_mul_f64 v[22:23], v[20:21], v[14:15]
	v_fma_f64 v[14:15], v[14:15], s[8:9], 0.5
	v_fma_f64 v[14:15], v[22:23], v[14:15], v[20:21]
	v_cmp_class_f64_e32 vcc, v[20:21], v3
	s_movk_i32 s3, 0x7fff
	s_nop 0
	v_cndmask_b32_e32 v15, v21, v15, vcc
	v_cndmask_b32_e32 v14, v20, v14, vcc
	v_cvt_f32_f64_e32 v3, v[14:15]
	v_bfe_u32 v14, v3, 16, 1
	v_add3_u32 v14, v3, v14, s3
	v_cmp_o_f32_e32 vcc, v3, v3
	v_mov_b32_e32 v3, 0x7fc0
	s_nop 0
	v_cndmask_b32_sdwa v19, v3, v14, vcc dst_sel:DWORD dst_unused:UNUSED_PAD src0_sel:DWORD src1_sel:WORD_1
.LBB204_21:
	s_or_b64 exec, exec, s[6:7]
	v_or_b32_e32 v3, 0x200, v0
	v_cmp_gt_i32_e32 vcc, s10, v3
                                        ; implicit-def: $vgpr14
	s_and_saveexec_b64 s[6:7], vcc
	s_cbranch_execz .LBB204_23
; %bb.22:
	v_rsq_f64_e32 v[14:15], v[16:17]
	s_mov_b32 s8, 0
	s_mov_b32 s9, 0x3fd80000
	v_mov_b32_e32 v3, 0x180
	v_mul_f64 v[16:17], v[14:15], -v[16:17]
	v_fma_f64 v[16:17], v[16:17], v[14:15], 1.0
	v_mul_f64 v[20:21], v[14:15], v[16:17]
	v_fma_f64 v[16:17], v[16:17], s[8:9], 0.5
	v_fma_f64 v[16:17], v[20:21], v[16:17], v[14:15]
	v_cmp_class_f64_e32 vcc, v[14:15], v3
	s_movk_i32 s3, 0x7fff
	s_nop 0
	v_cndmask_b32_e32 v15, v15, v17, vcc
	v_cndmask_b32_e32 v14, v14, v16, vcc
	v_cvt_f32_f64_e32 v3, v[14:15]
	v_bfe_u32 v14, v3, 16, 1
	v_add3_u32 v14, v3, v14, s3
	v_cmp_o_f32_e32 vcc, v3, v3
	v_mov_b32_e32 v3, 0x7fc0
	s_nop 0
	v_cndmask_b32_sdwa v14, v3, v14, vcc dst_sel:DWORD dst_unused:UNUSED_PAD src0_sel:DWORD src1_sel:WORD_1
.LBB204_23:
	s_or_b64 exec, exec, s[6:7]
	v_or_b32_e32 v3, 0x300, v0
	v_cmp_gt_i32_e32 vcc, s10, v3
                                        ; implicit-def: $vgpr15
	s_and_saveexec_b64 s[6:7], vcc
	s_cbranch_execz .LBB204_25
; %bb.24:
	v_rsq_f64_e32 v[16:17], v[10:11]
	s_mov_b32 s8, 0
	s_mov_b32 s9, 0x3fd80000
	v_mov_b32_e32 v3, 0x180
	v_mul_f64 v[10:11], v[16:17], -v[10:11]
	v_fma_f64 v[10:11], v[10:11], v[16:17], 1.0
	v_mul_f64 v[20:21], v[16:17], v[10:11]
	v_fma_f64 v[10:11], v[10:11], s[8:9], 0.5
	v_fma_f64 v[10:11], v[20:21], v[10:11], v[16:17]
	v_cmp_class_f64_e32 vcc, v[16:17], v3
	s_movk_i32 s3, 0x7fff
	s_nop 0
	v_cndmask_b32_e32 v11, v17, v11, vcc
	v_cndmask_b32_e32 v10, v16, v10, vcc
	v_cvt_f32_f64_e32 v3, v[10:11]
	v_bfe_u32 v10, v3, 16, 1
	v_add3_u32 v10, v3, v10, s3
	v_cmp_o_f32_e32 vcc, v3, v3
	v_mov_b32_e32 v3, 0x7fc0
	s_nop 0
	v_cndmask_b32_sdwa v15, v3, v10, vcc dst_sel:DWORD dst_unused:UNUSED_PAD src0_sel:DWORD src1_sel:WORD_1
.LBB204_25:
	s_or_b64 exec, exec, s[6:7]
	v_or_b32_e32 v3, 0x400, v0
	v_cmp_gt_i32_e32 vcc, s10, v3
                                        ; implicit-def: $vgpr10
	s_and_saveexec_b64 s[6:7], vcc
	s_cbranch_execz .LBB204_27
; %bb.26:
	v_rsq_f64_e32 v[10:11], v[12:13]
	s_mov_b32 s8, 0
	s_mov_b32 s9, 0x3fd80000
	v_mov_b32_e32 v3, 0x180
	v_mul_f64 v[12:13], v[10:11], -v[12:13]
	v_fma_f64 v[12:13], v[12:13], v[10:11], 1.0
	v_mul_f64 v[16:17], v[10:11], v[12:13]
	v_fma_f64 v[12:13], v[12:13], s[8:9], 0.5
	v_fma_f64 v[12:13], v[16:17], v[12:13], v[10:11]
	v_cmp_class_f64_e32 vcc, v[10:11], v3
	s_movk_i32 s3, 0x7fff
	s_nop 0
	v_cndmask_b32_e32 v11, v11, v13, vcc
	v_cndmask_b32_e32 v10, v10, v12, vcc
	v_cvt_f32_f64_e32 v3, v[10:11]
	v_bfe_u32 v10, v3, 16, 1
	v_add3_u32 v10, v3, v10, s3
	v_cmp_o_f32_e32 vcc, v3, v3
	v_mov_b32_e32 v3, 0x7fc0
	s_nop 0
	v_cndmask_b32_sdwa v10, v3, v10, vcc dst_sel:DWORD dst_unused:UNUSED_PAD src0_sel:DWORD src1_sel:WORD_1
.LBB204_27:
	s_or_b64 exec, exec, s[6:7]
	v_or_b32_e32 v3, 0x500, v0
	v_cmp_gt_i32_e32 vcc, s10, v3
                                        ; implicit-def: $vgpr11
	s_and_saveexec_b64 s[6:7], vcc
	s_cbranch_execz .LBB204_29
; %bb.28:
	v_rsq_f64_e32 v[12:13], v[6:7]
	s_mov_b32 s8, 0
	s_mov_b32 s9, 0x3fd80000
	v_mov_b32_e32 v3, 0x180
	v_mul_f64 v[6:7], v[12:13], -v[6:7]
	v_fma_f64 v[6:7], v[6:7], v[12:13], 1.0
	v_mul_f64 v[16:17], v[12:13], v[6:7]
	v_fma_f64 v[6:7], v[6:7], s[8:9], 0.5
	v_fma_f64 v[6:7], v[16:17], v[6:7], v[12:13]
	v_cmp_class_f64_e32 vcc, v[12:13], v3
	s_movk_i32 s3, 0x7fff
	s_nop 0
	v_cndmask_b32_e32 v7, v13, v7, vcc
	v_cndmask_b32_e32 v6, v12, v6, vcc
	v_cvt_f32_f64_e32 v3, v[6:7]
	v_bfe_u32 v6, v3, 16, 1
	v_add3_u32 v6, v3, v6, s3
	v_cmp_o_f32_e32 vcc, v3, v3
	v_mov_b32_e32 v3, 0x7fc0
	s_nop 0
	v_cndmask_b32_sdwa v11, v3, v6, vcc dst_sel:DWORD dst_unused:UNUSED_PAD src0_sel:DWORD src1_sel:WORD_1
.LBB204_29:
	s_or_b64 exec, exec, s[6:7]
	v_or_b32_e32 v3, 0x600, v0
	v_cmp_gt_i32_e32 vcc, s10, v3
                                        ; implicit-def: $vgpr6
	s_and_saveexec_b64 s[6:7], vcc
	s_cbranch_execz .LBB204_31
; %bb.30:
	v_rsq_f64_e32 v[6:7], v[8:9]
	s_mov_b32 s8, 0
	s_mov_b32 s9, 0x3fd80000
	v_mov_b32_e32 v3, 0x180
	v_mul_f64 v[8:9], v[6:7], -v[8:9]
	v_fma_f64 v[8:9], v[8:9], v[6:7], 1.0
	v_mul_f64 v[12:13], v[6:7], v[8:9]
	v_fma_f64 v[8:9], v[8:9], s[8:9], 0.5
	v_fma_f64 v[8:9], v[12:13], v[8:9], v[6:7]
	v_cmp_class_f64_e32 vcc, v[6:7], v3
	s_movk_i32 s3, 0x7fff
	s_nop 0
	v_cndmask_b32_e32 v7, v7, v9, vcc
	v_cndmask_b32_e32 v6, v6, v8, vcc
	v_cvt_f32_f64_e32 v3, v[6:7]
	v_bfe_u32 v6, v3, 16, 1
	v_add3_u32 v6, v3, v6, s3
	v_cmp_o_f32_e32 vcc, v3, v3
	v_mov_b32_e32 v3, 0x7fc0
	s_nop 0
	v_cndmask_b32_sdwa v6, v3, v6, vcc dst_sel:DWORD dst_unused:UNUSED_PAD src0_sel:DWORD src1_sel:WORD_1
.LBB204_31:
	s_or_b64 exec, exec, s[6:7]
	v_or_b32_e32 v3, 0x700, v0
	v_cmp_gt_i32_e32 vcc, s10, v3
                                        ; implicit-def: $vgpr7
	s_and_saveexec_b64 s[6:7], vcc
	s_cbranch_execnz .LBB204_44
; %bb.32:
	s_or_b64 exec, exec, s[6:7]
	s_and_saveexec_b64 s[6:7], s[0:1]
	s_xor_b64 s[0:1], exec, s[6:7]
	s_cbranch_execnz .LBB204_45
.LBB204_33:
	s_or_b64 exec, exec, s[0:1]
	v_cmp_gt_i32_e32 vcc, s10, v0
	s_and_saveexec_b64 s[0:1], vcc
	s_cbranch_execnz .LBB204_46
.LBB204_34:
	s_or_b64 exec, exec, s[0:1]
	v_cmp_gt_i32_e32 vcc, s10, v0
	s_and_saveexec_b64 s[0:1], vcc
	s_cbranch_execnz .LBB204_47
.LBB204_35:
	s_or_b64 exec, exec, s[0:1]
	v_cmp_gt_i32_e32 vcc, s10, v0
	s_and_saveexec_b64 s[0:1], vcc
	s_cbranch_execnz .LBB204_48
.LBB204_36:
	s_or_b64 exec, exec, s[0:1]
	v_cmp_gt_i32_e32 vcc, s10, v0
	s_and_saveexec_b64 s[0:1], vcc
	s_cbranch_execnz .LBB204_49
.LBB204_37:
	s_or_b64 exec, exec, s[0:1]
	v_cmp_gt_i32_e32 vcc, s10, v0
	s_and_saveexec_b64 s[0:1], vcc
	s_cbranch_execnz .LBB204_50
.LBB204_38:
	s_or_b64 exec, exec, s[0:1]
	v_cmp_gt_i32_e32 vcc, s10, v0
	s_and_saveexec_b64 s[0:1], vcc
	s_cbranch_execnz .LBB204_51
.LBB204_39:
	s_or_b64 exec, exec, s[0:1]
	v_cmp_gt_i32_e32 vcc, s10, v0
	s_and_saveexec_b64 s[0:1], vcc
	s_cbranch_execz .LBB204_41
.LBB204_40:
	v_add_u32_e32 v0, s2, v0
	v_mov_b32_e32 v1, 0
	v_lshl_add_u64 v[0:1], v[0:1], 1, s[4:5]
	global_store_short v[0:1], v7, off
.LBB204_41:
	s_endpgm
.LBB204_42:
	v_add_u32_e32 v8, s2, v1
	v_mov_b32_e32 v9, 0
	v_lshl_add_u64 v[8:9], v[8:9], 1, s[6:7]
	global_load_ushort v3, v[8:9], off
	v_add_u32_e32 v1, 0x100, v1
	s_waitcnt vmcnt(0)
	v_lshlrev_b32_e32 v3, 16, v3
	v_cvt_f64_f32_e32 v[8:9], v3
	s_or_b64 exec, exec, s[8:9]
	v_cmp_gt_i32_e32 vcc, s10, v1
	s_and_saveexec_b64 s[8:9], vcc
	s_cbranch_execz .LBB204_17
.LBB204_43:
	v_add_u32_e32 v4, s2, v1
	v_mov_b32_e32 v5, 0
	v_lshl_add_u64 v[4:5], v[4:5], 1, s[6:7]
	global_load_ushort v1, v[4:5], off
	s_waitcnt vmcnt(0)
	v_lshlrev_b32_e32 v1, 16, v1
	v_cvt_f64_f32_e32 v[4:5], v1
	s_or_b64 exec, exec, s[8:9]
                                        ; implicit-def: $vgpr1
	s_and_saveexec_b64 s[6:7], s[0:1]
	s_cbranch_execnz .LBB204_18
	s_branch .LBB204_19
.LBB204_44:
	v_rsq_f64_e32 v[8:9], v[4:5]
	s_mov_b32 s8, 0
	s_mov_b32 s9, 0x3fd80000
	v_mov_b32_e32 v3, 0x180
	v_mul_f64 v[4:5], v[8:9], -v[4:5]
	v_fma_f64 v[4:5], v[4:5], v[8:9], 1.0
	v_mul_f64 v[12:13], v[8:9], v[4:5]
	v_fma_f64 v[4:5], v[4:5], s[8:9], 0.5
	v_fma_f64 v[4:5], v[12:13], v[4:5], v[8:9]
	v_cmp_class_f64_e32 vcc, v[8:9], v3
	s_movk_i32 s3, 0x7fff
	s_nop 0
	v_cndmask_b32_e32 v5, v9, v5, vcc
	v_cndmask_b32_e32 v4, v8, v4, vcc
	v_cvt_f32_f64_e32 v3, v[4:5]
	v_bfe_u32 v4, v3, 16, 1
	v_add3_u32 v4, v3, v4, s3
	v_cmp_o_f32_e32 vcc, v3, v3
	v_mov_b32_e32 v3, 0x7fc0
	s_nop 0
	v_cndmask_b32_sdwa v7, v3, v4, vcc dst_sel:DWORD dst_unused:UNUSED_PAD src0_sel:DWORD src1_sel:WORD_1
	s_or_b64 exec, exec, s[6:7]
	s_and_saveexec_b64 s[6:7], s[0:1]
	s_xor_b64 s[0:1], exec, s[6:7]
	s_cbranch_execz .LBB204_33
.LBB204_45:
	v_mov_b32_e32 v3, 0
	v_lshl_add_u64 v[2:3], v[2:3], 1, s[4:5]
	v_mov_b32_e32 v0, v18
	global_store_short v[2:3], v1, off
	s_or_b64 exec, exec, s[0:1]
	v_cmp_gt_i32_e32 vcc, s10, v0
	s_and_saveexec_b64 s[0:1], vcc
	s_cbranch_execz .LBB204_34
.LBB204_46:
	v_add_u32_e32 v2, s2, v0
	v_mov_b32_e32 v3, 0
	v_lshl_add_u64 v[2:3], v[2:3], 1, s[4:5]
	v_add_u32_e32 v0, 0x100, v0
	global_store_short v[2:3], v19, off
	s_or_b64 exec, exec, s[0:1]
	v_cmp_gt_i32_e32 vcc, s10, v0
	s_and_saveexec_b64 s[0:1], vcc
	s_cbranch_execz .LBB204_35
.LBB204_47:
	v_add_u32_e32 v2, s2, v0
	v_mov_b32_e32 v3, 0
	v_lshl_add_u64 v[2:3], v[2:3], 1, s[4:5]
	v_add_u32_e32 v0, 0x100, v0
	global_store_short v[2:3], v14, off
	s_or_b64 exec, exec, s[0:1]
	v_cmp_gt_i32_e32 vcc, s10, v0
	s_and_saveexec_b64 s[0:1], vcc
	s_cbranch_execz .LBB204_36
.LBB204_48:
	v_add_u32_e32 v2, s2, v0
	v_mov_b32_e32 v3, 0
	v_lshl_add_u64 v[2:3], v[2:3], 1, s[4:5]
	v_add_u32_e32 v0, 0x100, v0
	global_store_short v[2:3], v15, off
	s_or_b64 exec, exec, s[0:1]
	v_cmp_gt_i32_e32 vcc, s10, v0
	s_and_saveexec_b64 s[0:1], vcc
	s_cbranch_execz .LBB204_37
.LBB204_49:
	v_add_u32_e32 v2, s2, v0
	v_mov_b32_e32 v3, 0
	v_lshl_add_u64 v[2:3], v[2:3], 1, s[4:5]
	v_add_u32_e32 v0, 0x100, v0
	global_store_short v[2:3], v10, off
	s_or_b64 exec, exec, s[0:1]
	v_cmp_gt_i32_e32 vcc, s10, v0
	s_and_saveexec_b64 s[0:1], vcc
	s_cbranch_execz .LBB204_38
.LBB204_50:
	v_add_u32_e32 v2, s2, v0
	v_mov_b32_e32 v3, 0
	v_lshl_add_u64 v[2:3], v[2:3], 1, s[4:5]
	v_add_u32_e32 v0, 0x100, v0
	global_store_short v[2:3], v11, off
	s_or_b64 exec, exec, s[0:1]
	v_cmp_gt_i32_e32 vcc, s10, v0
	s_and_saveexec_b64 s[0:1], vcc
	s_cbranch_execz .LBB204_39
.LBB204_51:
	v_add_u32_e32 v2, s2, v0
	v_mov_b32_e32 v3, 0
	v_lshl_add_u64 v[2:3], v[2:3], 1, s[4:5]
	v_add_u32_e32 v0, 0x100, v0
	global_store_short v[2:3], v6, off
	s_or_b64 exec, exec, s[0:1]
	v_cmp_gt_i32_e32 vcc, s10, v0
	s_and_saveexec_b64 s[0:1], vcc
	s_cbranch_execnz .LBB204_40
	s_branch .LBB204_41
	.section	.rodata,"a",@progbits
	.p2align	6, 0x0
	.amdhsa_kernel _ZN2at6native29vectorized_elementwise_kernelILi4EZZZNS0_17rsqrt_kernel_cudaERNS_18TensorIteratorBaseEENKUlvE0_clEvENKUlvE1_clEvEUlN3c108BFloat16EE_St5arrayIPcLm2EEEEviT0_T1_
		.amdhsa_group_segment_fixed_size 0
		.amdhsa_private_segment_fixed_size 0
		.amdhsa_kernarg_size 24
		.amdhsa_user_sgpr_count 2
		.amdhsa_user_sgpr_dispatch_ptr 0
		.amdhsa_user_sgpr_queue_ptr 0
		.amdhsa_user_sgpr_kernarg_segment_ptr 1
		.amdhsa_user_sgpr_dispatch_id 0
		.amdhsa_user_sgpr_kernarg_preload_length 0
		.amdhsa_user_sgpr_kernarg_preload_offset 0
		.amdhsa_user_sgpr_private_segment_size 0
		.amdhsa_uses_dynamic_stack 0
		.amdhsa_enable_private_segment 0
		.amdhsa_system_sgpr_workgroup_id_x 1
		.amdhsa_system_sgpr_workgroup_id_y 0
		.amdhsa_system_sgpr_workgroup_id_z 0
		.amdhsa_system_sgpr_workgroup_info 0
		.amdhsa_system_vgpr_workitem_id 0
		.amdhsa_next_free_vgpr 41
		.amdhsa_next_free_sgpr 11
		.amdhsa_accum_offset 44
		.amdhsa_reserve_vcc 1
		.amdhsa_float_round_mode_32 0
		.amdhsa_float_round_mode_16_64 0
		.amdhsa_float_denorm_mode_32 3
		.amdhsa_float_denorm_mode_16_64 3
		.amdhsa_dx10_clamp 1
		.amdhsa_ieee_mode 1
		.amdhsa_fp16_overflow 0
		.amdhsa_tg_split 0
		.amdhsa_exception_fp_ieee_invalid_op 0
		.amdhsa_exception_fp_denorm_src 0
		.amdhsa_exception_fp_ieee_div_zero 0
		.amdhsa_exception_fp_ieee_overflow 0
		.amdhsa_exception_fp_ieee_underflow 0
		.amdhsa_exception_fp_ieee_inexact 0
		.amdhsa_exception_int_div_zero 0
	.end_amdhsa_kernel
	.section	.text._ZN2at6native29vectorized_elementwise_kernelILi4EZZZNS0_17rsqrt_kernel_cudaERNS_18TensorIteratorBaseEENKUlvE0_clEvENKUlvE1_clEvEUlN3c108BFloat16EE_St5arrayIPcLm2EEEEviT0_T1_,"axG",@progbits,_ZN2at6native29vectorized_elementwise_kernelILi4EZZZNS0_17rsqrt_kernel_cudaERNS_18TensorIteratorBaseEENKUlvE0_clEvENKUlvE1_clEvEUlN3c108BFloat16EE_St5arrayIPcLm2EEEEviT0_T1_,comdat
.Lfunc_end204:
	.size	_ZN2at6native29vectorized_elementwise_kernelILi4EZZZNS0_17rsqrt_kernel_cudaERNS_18TensorIteratorBaseEENKUlvE0_clEvENKUlvE1_clEvEUlN3c108BFloat16EE_St5arrayIPcLm2EEEEviT0_T1_, .Lfunc_end204-_ZN2at6native29vectorized_elementwise_kernelILi4EZZZNS0_17rsqrt_kernel_cudaERNS_18TensorIteratorBaseEENKUlvE0_clEvENKUlvE1_clEvEUlN3c108BFloat16EE_St5arrayIPcLm2EEEEviT0_T1_
                                        ; -- End function
	.set _ZN2at6native29vectorized_elementwise_kernelILi4EZZZNS0_17rsqrt_kernel_cudaERNS_18TensorIteratorBaseEENKUlvE0_clEvENKUlvE1_clEvEUlN3c108BFloat16EE_St5arrayIPcLm2EEEEviT0_T1_.num_vgpr, 41
	.set _ZN2at6native29vectorized_elementwise_kernelILi4EZZZNS0_17rsqrt_kernel_cudaERNS_18TensorIteratorBaseEENKUlvE0_clEvENKUlvE1_clEvEUlN3c108BFloat16EE_St5arrayIPcLm2EEEEviT0_T1_.num_agpr, 0
	.set _ZN2at6native29vectorized_elementwise_kernelILi4EZZZNS0_17rsqrt_kernel_cudaERNS_18TensorIteratorBaseEENKUlvE0_clEvENKUlvE1_clEvEUlN3c108BFloat16EE_St5arrayIPcLm2EEEEviT0_T1_.numbered_sgpr, 11
	.set _ZN2at6native29vectorized_elementwise_kernelILi4EZZZNS0_17rsqrt_kernel_cudaERNS_18TensorIteratorBaseEENKUlvE0_clEvENKUlvE1_clEvEUlN3c108BFloat16EE_St5arrayIPcLm2EEEEviT0_T1_.num_named_barrier, 0
	.set _ZN2at6native29vectorized_elementwise_kernelILi4EZZZNS0_17rsqrt_kernel_cudaERNS_18TensorIteratorBaseEENKUlvE0_clEvENKUlvE1_clEvEUlN3c108BFloat16EE_St5arrayIPcLm2EEEEviT0_T1_.private_seg_size, 0
	.set _ZN2at6native29vectorized_elementwise_kernelILi4EZZZNS0_17rsqrt_kernel_cudaERNS_18TensorIteratorBaseEENKUlvE0_clEvENKUlvE1_clEvEUlN3c108BFloat16EE_St5arrayIPcLm2EEEEviT0_T1_.uses_vcc, 1
	.set _ZN2at6native29vectorized_elementwise_kernelILi4EZZZNS0_17rsqrt_kernel_cudaERNS_18TensorIteratorBaseEENKUlvE0_clEvENKUlvE1_clEvEUlN3c108BFloat16EE_St5arrayIPcLm2EEEEviT0_T1_.uses_flat_scratch, 0
	.set _ZN2at6native29vectorized_elementwise_kernelILi4EZZZNS0_17rsqrt_kernel_cudaERNS_18TensorIteratorBaseEENKUlvE0_clEvENKUlvE1_clEvEUlN3c108BFloat16EE_St5arrayIPcLm2EEEEviT0_T1_.has_dyn_sized_stack, 0
	.set _ZN2at6native29vectorized_elementwise_kernelILi4EZZZNS0_17rsqrt_kernel_cudaERNS_18TensorIteratorBaseEENKUlvE0_clEvENKUlvE1_clEvEUlN3c108BFloat16EE_St5arrayIPcLm2EEEEviT0_T1_.has_recursion, 0
	.set _ZN2at6native29vectorized_elementwise_kernelILi4EZZZNS0_17rsqrt_kernel_cudaERNS_18TensorIteratorBaseEENKUlvE0_clEvENKUlvE1_clEvEUlN3c108BFloat16EE_St5arrayIPcLm2EEEEviT0_T1_.has_indirect_call, 0
	.section	.AMDGPU.csdata,"",@progbits
; Kernel info:
; codeLenInByte = 3268
; TotalNumSgprs: 17
; NumVgprs: 41
; NumAgprs: 0
; TotalNumVgprs: 41
; ScratchSize: 0
; MemoryBound: 0
; FloatMode: 240
; IeeeMode: 1
; LDSByteSize: 0 bytes/workgroup (compile time only)
; SGPRBlocks: 2
; VGPRBlocks: 5
; NumSGPRsForWavesPerEU: 17
; NumVGPRsForWavesPerEU: 41
; AccumOffset: 44
; Occupancy: 8
; WaveLimiterHint : 1
; COMPUTE_PGM_RSRC2:SCRATCH_EN: 0
; COMPUTE_PGM_RSRC2:USER_SGPR: 2
; COMPUTE_PGM_RSRC2:TRAP_HANDLER: 0
; COMPUTE_PGM_RSRC2:TGID_X_EN: 1
; COMPUTE_PGM_RSRC2:TGID_Y_EN: 0
; COMPUTE_PGM_RSRC2:TGID_Z_EN: 0
; COMPUTE_PGM_RSRC2:TIDIG_COMP_CNT: 0
; COMPUTE_PGM_RSRC3_GFX90A:ACCUM_OFFSET: 10
; COMPUTE_PGM_RSRC3_GFX90A:TG_SPLIT: 0
	.section	.text._ZN2at6native29vectorized_elementwise_kernelILi2EZZZNS0_17rsqrt_kernel_cudaERNS_18TensorIteratorBaseEENKUlvE0_clEvENKUlvE1_clEvEUlN3c108BFloat16EE_St5arrayIPcLm2EEEEviT0_T1_,"axG",@progbits,_ZN2at6native29vectorized_elementwise_kernelILi2EZZZNS0_17rsqrt_kernel_cudaERNS_18TensorIteratorBaseEENKUlvE0_clEvENKUlvE1_clEvEUlN3c108BFloat16EE_St5arrayIPcLm2EEEEviT0_T1_,comdat
	.globl	_ZN2at6native29vectorized_elementwise_kernelILi2EZZZNS0_17rsqrt_kernel_cudaERNS_18TensorIteratorBaseEENKUlvE0_clEvENKUlvE1_clEvEUlN3c108BFloat16EE_St5arrayIPcLm2EEEEviT0_T1_ ; -- Begin function _ZN2at6native29vectorized_elementwise_kernelILi2EZZZNS0_17rsqrt_kernel_cudaERNS_18TensorIteratorBaseEENKUlvE0_clEvENKUlvE1_clEvEUlN3c108BFloat16EE_St5arrayIPcLm2EEEEviT0_T1_
	.p2align	8
	.type	_ZN2at6native29vectorized_elementwise_kernelILi2EZZZNS0_17rsqrt_kernel_cudaERNS_18TensorIteratorBaseEENKUlvE0_clEvENKUlvE1_clEvEUlN3c108BFloat16EE_St5arrayIPcLm2EEEEviT0_T1_,@function
_ZN2at6native29vectorized_elementwise_kernelILi2EZZZNS0_17rsqrt_kernel_cudaERNS_18TensorIteratorBaseEENKUlvE0_clEvENKUlvE1_clEvEUlN3c108BFloat16EE_St5arrayIPcLm2EEEEviT0_T1_: ; @_ZN2at6native29vectorized_elementwise_kernelILi2EZZZNS0_17rsqrt_kernel_cudaERNS_18TensorIteratorBaseEENKUlvE0_clEvENKUlvE1_clEvEUlN3c108BFloat16EE_St5arrayIPcLm2EEEEviT0_T1_
; %bb.0:
	s_load_dword s3, s[0:1], 0x0
	s_load_dwordx4 s[4:7], s[0:1], 0x8
	s_lshl_b32 s2, s2, 11
	s_mov_b64 s[0:1], -1
	s_waitcnt lgkmcnt(0)
	s_sub_i32 s10, s3, s2
	s_cmpk_gt_i32 s10, 0x7ff
	s_cbranch_scc0 .LBB205_2
; %bb.1:
	s_ashr_i32 s3, s2, 31
	s_lshl_b64 s[0:1], s[2:3], 1
	s_add_u32 s12, s6, s0
	s_addc_u32 s13, s7, s1
	v_lshlrev_b32_e32 v1, 2, v0
	global_load_dword v2, v1, s[12:13]
	global_load_dword v3, v1, s[12:13] offset:1024
	global_load_dword v4, v1, s[12:13] offset:2048
	;; [unrolled: 1-line block ×3, first 2 shown]
	s_mov_b32 s8, 0
	s_mov_b32 s9, 0x3fd80000
	v_mov_b32_e32 v34, 0x180
	s_movk_i32 s3, 0x7fff
	v_mov_b32_e32 v35, 0x7fc0
	v_mov_b32_e32 v36, 0x7fc00000
	s_add_u32 s0, s4, s0
	s_addc_u32 s1, s5, s1
	s_waitcnt vmcnt(3)
	v_lshlrev_b32_e32 v5, 16, v2
	v_and_b32_e32 v6, 0xffff0000, v2
	s_waitcnt vmcnt(2)
	v_lshlrev_b32_e32 v7, 16, v3
	v_and_b32_e32 v8, 0xffff0000, v3
	v_cvt_f64_f32_e32 v[2:3], v5
	s_waitcnt vmcnt(1)
	v_lshlrev_b32_e32 v10, 16, v4
	v_and_b32_e32 v12, 0xffff0000, v4
	v_cvt_f64_f32_e32 v[4:5], v6
	v_rsq_f64_e32 v[14:15], v[2:3]
	v_cvt_f64_f32_e32 v[6:7], v7
	v_rsq_f64_e32 v[16:17], v[4:5]
	;; [unrolled: 2-line block ×3, first 2 shown]
	v_rsq_f64_e32 v[20:21], v[8:9]
	v_cvt_f64_f32_e32 v[10:11], v10
	v_mul_f64 v[2:3], v[14:15], -v[2:3]
	v_rsq_f64_e32 v[22:23], v[10:11]
	v_mul_f64 v[4:5], v[16:17], -v[4:5]
	v_fma_f64 v[2:3], v[2:3], v[14:15], 1.0
	v_mul_f64 v[6:7], v[18:19], -v[6:7]
	v_fma_f64 v[4:5], v[4:5], v[16:17], 1.0
	v_mul_f64 v[24:25], v[14:15], v[2:3]
	v_fma_f64 v[2:3], v[2:3], s[8:9], 0.5
	v_mul_f64 v[8:9], v[20:21], -v[8:9]
	v_fma_f64 v[6:7], v[6:7], v[18:19], 1.0
	v_mul_f64 v[26:27], v[16:17], v[4:5]
	v_fma_f64 v[4:5], v[4:5], s[8:9], 0.5
	v_fma_f64 v[2:3], v[24:25], v[2:3], v[14:15]
	v_cmp_class_f64_e32 vcc, v[14:15], v34
	v_fma_f64 v[8:9], v[8:9], v[20:21], 1.0
	v_mul_f64 v[28:29], v[18:19], v[6:7]
	v_fma_f64 v[6:7], v[6:7], s[8:9], 0.5
	v_fma_f64 v[4:5], v[26:27], v[4:5], v[16:17]
	v_cndmask_b32_e32 v3, v15, v3, vcc
	v_cndmask_b32_e32 v2, v14, v2, vcc
	v_cmp_class_f64_e32 vcc, v[16:17], v34
	v_mul_f64 v[10:11], v[22:23], -v[10:11]
	v_mul_f64 v[30:31], v[20:21], v[8:9]
	v_fma_f64 v[8:9], v[8:9], s[8:9], 0.5
	v_fma_f64 v[6:7], v[28:29], v[6:7], v[18:19]
	v_cndmask_b32_e32 v5, v17, v5, vcc
	v_cndmask_b32_e32 v4, v16, v4, vcc
	v_cmp_class_f64_e32 vcc, v[18:19], v34
	v_fma_f64 v[10:11], v[10:11], v[22:23], 1.0
	v_fma_f64 v[8:9], v[30:31], v[8:9], v[20:21]
	v_cndmask_b32_e32 v7, v19, v7, vcc
	v_cndmask_b32_e32 v6, v18, v6, vcc
	v_cmp_class_f64_e32 vcc, v[20:21], v34
	v_cvt_f32_f64_e32 v2, v[2:3]
	v_mul_f64 v[32:33], v[22:23], v[10:11]
	v_fma_f64 v[10:11], v[10:11], s[8:9], 0.5
	v_cndmask_b32_e32 v9, v21, v9, vcc
	v_cndmask_b32_e32 v8, v20, v8, vcc
	v_cvt_f32_f64_e32 v3, v[4:5]
	v_cvt_f32_f64_e32 v4, v[6:7]
	v_bfe_u32 v7, v2, 16, 1
	v_fma_f64 v[10:11], v[32:33], v[10:11], v[22:23]
	v_cmp_class_f64_e32 vcc, v[22:23], v34
	v_cvt_f32_f64_e32 v5, v[8:9]
	v_bfe_u32 v8, v3, 16, 1
	v_add3_u32 v7, v2, v7, s3
	v_cndmask_b32_e32 v11, v23, v11, vcc
	v_cndmask_b32_e32 v10, v22, v10, vcc
	v_add3_u32 v8, v3, v8, s3
	v_lshrrev_b32_e32 v7, 16, v7
	v_cmp_o_f32_e32 vcc, v2, v2
	v_bfe_u32 v9, v4, 16, 1
	v_and_b32_e32 v8, 0xffff0000, v8
	v_cndmask_b32_e32 v2, v35, v7, vcc
	v_cmp_o_f32_e32 vcc, v3, v3
	v_cvt_f64_f32_e32 v[12:13], v12
	v_cvt_f32_f64_e32 v6, v[10:11]
	v_bfe_u32 v10, v5, 16, 1
	v_add3_u32 v9, v4, v9, s3
	v_cndmask_b32_e32 v3, v36, v8, vcc
	v_add3_u32 v10, v5, v10, s3
	v_lshrrev_b32_e32 v9, 16, v9
	v_cmp_o_f32_e32 vcc, v4, v4
	v_or_b32_e32 v8, v2, v3
	v_rsq_f64_e32 v[2:3], v[12:13]
	v_bfe_u32 v11, v6, 16, 1
	v_and_b32_e32 v10, 0xffff0000, v10
	v_cndmask_b32_e32 v4, v35, v9, vcc
	v_cmp_o_f32_e32 vcc, v5, v5
	v_add3_u32 v11, v6, v11, s3
	s_nop 0
	v_cndmask_b32_e32 v5, v36, v10, vcc
	v_or_b32_e32 v9, v4, v5
	v_lshrrev_b32_e32 v4, 16, v11
	v_cmp_o_f32_e32 vcc, v6, v6
	s_nop 1
	v_cndmask_b32_e32 v10, v35, v4, vcc
	v_mul_f64 v[4:5], v[2:3], -v[12:13]
	v_fma_f64 v[4:5], v[4:5], v[2:3], 1.0
	v_mul_f64 v[6:7], v[2:3], v[4:5]
	v_fma_f64 v[4:5], v[4:5], s[8:9], 0.5
	v_fma_f64 v[4:5], v[6:7], v[4:5], v[2:3]
	v_cmp_class_f64_e32 vcc, v[2:3], v34
	s_nop 1
	v_cndmask_b32_e32 v3, v3, v5, vcc
	v_cndmask_b32_e32 v2, v2, v4, vcc
	v_cvt_f32_f64_e32 v6, v[2:3]
	v_bfe_u32 v2, v6, 16, 1
	v_add3_u32 v2, v6, v2, s3
	v_and_b32_e32 v7, 0xffff0000, v2
	s_waitcnt vmcnt(0)
	v_lshlrev_b32_e32 v2, 16, v37
	v_cvt_f64_f32_e32 v[2:3], v2
	v_rsq_f64_e32 v[4:5], v[2:3]
	v_cmp_o_f32_e32 vcc, v6, v6
	v_mul_f64 v[2:3], v[4:5], -v[2:3]
	s_nop 0
	v_cndmask_b32_e32 v6, v36, v7, vcc
	v_fma_f64 v[2:3], v[2:3], v[4:5], 1.0
	v_or_b32_e32 v10, v10, v6
	v_mul_f64 v[6:7], v[4:5], v[2:3]
	v_fma_f64 v[2:3], v[2:3], s[8:9], 0.5
	v_fma_f64 v[2:3], v[6:7], v[2:3], v[4:5]
	v_cmp_class_f64_e32 vcc, v[4:5], v34
	s_nop 1
	v_cndmask_b32_e32 v3, v5, v3, vcc
	v_cndmask_b32_e32 v2, v4, v2, vcc
	v_cvt_f32_f64_e32 v6, v[2:3]
	v_bfe_u32 v2, v6, 16, 1
	v_add3_u32 v7, v6, v2, s3
	v_and_b32_e32 v2, 0xffff0000, v37
	v_cvt_f64_f32_e32 v[2:3], v2
	v_rsq_f64_e32 v[4:5], v[2:3]
	v_lshrrev_b32_e32 v7, 16, v7
	v_cmp_o_f32_e32 vcc, v6, v6
	v_mul_f64 v[2:3], v[4:5], -v[2:3]
	v_fma_f64 v[2:3], v[2:3], v[4:5], 1.0
	v_cndmask_b32_e32 v11, v35, v7, vcc
	v_mul_f64 v[6:7], v[4:5], v[2:3]
	v_fma_f64 v[2:3], v[2:3], s[8:9], 0.5
	v_fma_f64 v[2:3], v[6:7], v[2:3], v[4:5]
	v_cmp_class_f64_e32 vcc, v[4:5], v34
	s_nop 1
	v_cndmask_b32_e32 v3, v5, v3, vcc
	v_cndmask_b32_e32 v2, v4, v2, vcc
	v_cvt_f32_f64_e32 v2, v[2:3]
	v_bfe_u32 v3, v2, 16, 1
	v_add3_u32 v3, v2, v3, s3
	v_and_b32_e32 v3, 0xffff0000, v3
	v_cmp_o_f32_e32 vcc, v2, v2
	s_nop 1
	v_cndmask_b32_e32 v2, v36, v3, vcc
	v_or_b32_e32 v2, v11, v2
	global_store_dword v1, v8, s[0:1]
	global_store_dword v1, v9, s[0:1] offset:1024
	global_store_dword v1, v10, s[0:1] offset:2048
	;; [unrolled: 1-line block ×3, first 2 shown]
	s_mov_b64 s[0:1], 0
.LBB205_2:
	s_andn2_b64 vcc, exec, s[0:1]
	s_cbranch_vccnz .LBB205_41
; %bb.3:
	v_cmp_gt_i32_e64 s[0:1], s10, v0
	v_mov_b64_e32 v[14:15], 0
	v_or_b32_e32 v2, s2, v0
	v_mov_b64_e32 v[18:19], 0
	v_mov_b32_e32 v1, v0
	s_and_saveexec_b64 s[8:9], s[0:1]
	s_cbranch_execz .LBB205_5
; %bb.4:
	v_mov_b32_e32 v3, 0
	v_lshl_add_u64 v[4:5], v[2:3], 1, s[6:7]
	global_load_ushort v3, v[4:5], off
	v_or_b32_e32 v1, 0x100, v0
	s_waitcnt vmcnt(0)
	v_lshlrev_b32_e32 v3, 16, v3
	v_cvt_f64_f32_e32 v[18:19], v3
.LBB205_5:
	s_or_b64 exec, exec, s[8:9]
	v_cmp_gt_i32_e32 vcc, s10, v1
	s_and_saveexec_b64 s[8:9], vcc
	s_cbranch_execz .LBB205_7
; %bb.6:
	v_add_u32_e32 v4, s2, v1
	v_mov_b32_e32 v5, 0
	v_lshl_add_u64 v[4:5], v[4:5], 1, s[6:7]
	global_load_ushort v3, v[4:5], off
	v_add_u32_e32 v1, 0x100, v1
	s_waitcnt vmcnt(0)
	v_lshlrev_b32_e32 v3, 16, v3
	v_cvt_f64_f32_e32 v[14:15], v3
.LBB205_7:
	s_or_b64 exec, exec, s[8:9]
	v_cmp_gt_i32_e32 vcc, s10, v1
	v_mov_b64_e32 v[10:11], 0
	v_mov_b64_e32 v[16:17], 0
	s_and_saveexec_b64 s[8:9], vcc
	s_cbranch_execz .LBB205_9
; %bb.8:
	v_add_u32_e32 v4, s2, v1
	v_mov_b32_e32 v5, 0
	v_lshl_add_u64 v[4:5], v[4:5], 1, s[6:7]
	global_load_ushort v3, v[4:5], off
	v_add_u32_e32 v1, 0x100, v1
	s_waitcnt vmcnt(0)
	v_lshlrev_b32_e32 v3, 16, v3
	v_cvt_f64_f32_e32 v[16:17], v3
.LBB205_9:
	s_or_b64 exec, exec, s[8:9]
	v_cmp_gt_i32_e32 vcc, s10, v1
	s_and_saveexec_b64 s[8:9], vcc
	s_cbranch_execz .LBB205_11
; %bb.10:
	v_add_u32_e32 v4, s2, v1
	v_mov_b32_e32 v5, 0
	v_lshl_add_u64 v[4:5], v[4:5], 1, s[6:7]
	global_load_ushort v3, v[4:5], off
	v_add_u32_e32 v1, 0x100, v1
	s_waitcnt vmcnt(0)
	v_lshlrev_b32_e32 v3, 16, v3
	v_cvt_f64_f32_e32 v[10:11], v3
.LBB205_11:
	s_or_b64 exec, exec, s[8:9]
	v_cmp_gt_i32_e32 vcc, s10, v1
	v_mov_b64_e32 v[6:7], 0
	v_mov_b64_e32 v[12:13], 0
	s_and_saveexec_b64 s[8:9], vcc
	s_cbranch_execz .LBB205_13
; %bb.12:
	v_add_u32_e32 v4, s2, v1
	v_mov_b32_e32 v5, 0
	v_lshl_add_u64 v[4:5], v[4:5], 1, s[6:7]
	global_load_ushort v3, v[4:5], off
	v_add_u32_e32 v1, 0x100, v1
	s_waitcnt vmcnt(0)
	v_lshlrev_b32_e32 v3, 16, v3
	v_cvt_f64_f32_e32 v[12:13], v3
.LBB205_13:
	s_or_b64 exec, exec, s[8:9]
	v_cmp_gt_i32_e32 vcc, s10, v1
	s_and_saveexec_b64 s[8:9], vcc
	s_cbranch_execz .LBB205_15
; %bb.14:
	v_add_u32_e32 v4, s2, v1
	v_mov_b32_e32 v5, 0
	v_lshl_add_u64 v[4:5], v[4:5], 1, s[6:7]
	global_load_ushort v3, v[4:5], off
	v_add_u32_e32 v1, 0x100, v1
	s_waitcnt vmcnt(0)
	v_lshlrev_b32_e32 v3, 16, v3
	v_cvt_f64_f32_e32 v[6:7], v3
.LBB205_15:
	s_or_b64 exec, exec, s[8:9]
	v_cmp_gt_i32_e32 vcc, s10, v1
	v_mov_b64_e32 v[4:5], 0
	v_mov_b64_e32 v[8:9], 0
	s_and_saveexec_b64 s[8:9], vcc
	s_cbranch_execnz .LBB205_42
; %bb.16:
	s_or_b64 exec, exec, s[8:9]
	v_cmp_gt_i32_e32 vcc, s10, v1
	s_and_saveexec_b64 s[8:9], vcc
	s_cbranch_execnz .LBB205_43
.LBB205_17:
	s_or_b64 exec, exec, s[8:9]
                                        ; implicit-def: $vgpr1
	s_and_saveexec_b64 s[6:7], s[0:1]
	s_cbranch_execz .LBB205_19
.LBB205_18:
	v_rsq_f64_e32 v[20:21], v[18:19]
	s_mov_b32 s8, 0
	s_mov_b32 s9, 0x3fd80000
	v_mov_b32_e32 v1, 0x180
	v_mul_f64 v[18:19], v[20:21], -v[18:19]
	v_fma_f64 v[18:19], v[18:19], v[20:21], 1.0
	v_mul_f64 v[22:23], v[20:21], v[18:19]
	v_fma_f64 v[18:19], v[18:19], s[8:9], 0.5
	v_fma_f64 v[18:19], v[22:23], v[18:19], v[20:21]
	v_cmp_class_f64_e32 vcc, v[20:21], v1
	s_movk_i32 s3, 0x7fff
	s_nop 0
	v_cndmask_b32_e32 v19, v21, v19, vcc
	v_cndmask_b32_e32 v18, v20, v18, vcc
	v_cvt_f32_f64_e32 v1, v[18:19]
	v_bfe_u32 v3, v1, 16, 1
	v_add3_u32 v3, v1, v3, s3
	v_cmp_o_f32_e32 vcc, v1, v1
	v_mov_b32_e32 v1, 0x7fc0
	s_nop 0
	v_cndmask_b32_sdwa v1, v1, v3, vcc dst_sel:DWORD dst_unused:UNUSED_PAD src0_sel:DWORD src1_sel:WORD_1
.LBB205_19:
	s_or_b64 exec, exec, s[6:7]
	v_or_b32_e32 v18, 0x100, v0
	v_cmp_gt_i32_e32 vcc, s10, v18
                                        ; implicit-def: $vgpr19
	s_and_saveexec_b64 s[6:7], vcc
	s_cbranch_execz .LBB205_21
; %bb.20:
	v_rsq_f64_e32 v[20:21], v[14:15]
	s_mov_b32 s8, 0
	s_mov_b32 s9, 0x3fd80000
	v_mov_b32_e32 v3, 0x180
	v_mul_f64 v[14:15], v[20:21], -v[14:15]
	v_fma_f64 v[14:15], v[14:15], v[20:21], 1.0
	v_mul_f64 v[22:23], v[20:21], v[14:15]
	v_fma_f64 v[14:15], v[14:15], s[8:9], 0.5
	v_fma_f64 v[14:15], v[22:23], v[14:15], v[20:21]
	v_cmp_class_f64_e32 vcc, v[20:21], v3
	s_movk_i32 s3, 0x7fff
	s_nop 0
	v_cndmask_b32_e32 v15, v21, v15, vcc
	v_cndmask_b32_e32 v14, v20, v14, vcc
	v_cvt_f32_f64_e32 v3, v[14:15]
	v_bfe_u32 v14, v3, 16, 1
	v_add3_u32 v14, v3, v14, s3
	v_cmp_o_f32_e32 vcc, v3, v3
	v_mov_b32_e32 v3, 0x7fc0
	s_nop 0
	v_cndmask_b32_sdwa v19, v3, v14, vcc dst_sel:DWORD dst_unused:UNUSED_PAD src0_sel:DWORD src1_sel:WORD_1
.LBB205_21:
	s_or_b64 exec, exec, s[6:7]
	v_or_b32_e32 v3, 0x200, v0
	v_cmp_gt_i32_e32 vcc, s10, v3
                                        ; implicit-def: $vgpr14
	s_and_saveexec_b64 s[6:7], vcc
	s_cbranch_execz .LBB205_23
; %bb.22:
	v_rsq_f64_e32 v[14:15], v[16:17]
	s_mov_b32 s8, 0
	s_mov_b32 s9, 0x3fd80000
	v_mov_b32_e32 v3, 0x180
	v_mul_f64 v[16:17], v[14:15], -v[16:17]
	v_fma_f64 v[16:17], v[16:17], v[14:15], 1.0
	v_mul_f64 v[20:21], v[14:15], v[16:17]
	v_fma_f64 v[16:17], v[16:17], s[8:9], 0.5
	v_fma_f64 v[16:17], v[20:21], v[16:17], v[14:15]
	v_cmp_class_f64_e32 vcc, v[14:15], v3
	s_movk_i32 s3, 0x7fff
	s_nop 0
	v_cndmask_b32_e32 v15, v15, v17, vcc
	v_cndmask_b32_e32 v14, v14, v16, vcc
	v_cvt_f32_f64_e32 v3, v[14:15]
	v_bfe_u32 v14, v3, 16, 1
	v_add3_u32 v14, v3, v14, s3
	v_cmp_o_f32_e32 vcc, v3, v3
	v_mov_b32_e32 v3, 0x7fc0
	s_nop 0
	v_cndmask_b32_sdwa v14, v3, v14, vcc dst_sel:DWORD dst_unused:UNUSED_PAD src0_sel:DWORD src1_sel:WORD_1
.LBB205_23:
	s_or_b64 exec, exec, s[6:7]
	v_or_b32_e32 v3, 0x300, v0
	v_cmp_gt_i32_e32 vcc, s10, v3
                                        ; implicit-def: $vgpr15
	s_and_saveexec_b64 s[6:7], vcc
	s_cbranch_execz .LBB205_25
; %bb.24:
	v_rsq_f64_e32 v[16:17], v[10:11]
	s_mov_b32 s8, 0
	s_mov_b32 s9, 0x3fd80000
	v_mov_b32_e32 v3, 0x180
	v_mul_f64 v[10:11], v[16:17], -v[10:11]
	v_fma_f64 v[10:11], v[10:11], v[16:17], 1.0
	v_mul_f64 v[20:21], v[16:17], v[10:11]
	v_fma_f64 v[10:11], v[10:11], s[8:9], 0.5
	v_fma_f64 v[10:11], v[20:21], v[10:11], v[16:17]
	v_cmp_class_f64_e32 vcc, v[16:17], v3
	s_movk_i32 s3, 0x7fff
	s_nop 0
	v_cndmask_b32_e32 v11, v17, v11, vcc
	v_cndmask_b32_e32 v10, v16, v10, vcc
	v_cvt_f32_f64_e32 v3, v[10:11]
	v_bfe_u32 v10, v3, 16, 1
	v_add3_u32 v10, v3, v10, s3
	v_cmp_o_f32_e32 vcc, v3, v3
	v_mov_b32_e32 v3, 0x7fc0
	s_nop 0
	v_cndmask_b32_sdwa v15, v3, v10, vcc dst_sel:DWORD dst_unused:UNUSED_PAD src0_sel:DWORD src1_sel:WORD_1
.LBB205_25:
	s_or_b64 exec, exec, s[6:7]
	v_or_b32_e32 v3, 0x400, v0
	v_cmp_gt_i32_e32 vcc, s10, v3
                                        ; implicit-def: $vgpr10
	s_and_saveexec_b64 s[6:7], vcc
	s_cbranch_execz .LBB205_27
; %bb.26:
	v_rsq_f64_e32 v[10:11], v[12:13]
	s_mov_b32 s8, 0
	s_mov_b32 s9, 0x3fd80000
	v_mov_b32_e32 v3, 0x180
	v_mul_f64 v[12:13], v[10:11], -v[12:13]
	v_fma_f64 v[12:13], v[12:13], v[10:11], 1.0
	v_mul_f64 v[16:17], v[10:11], v[12:13]
	v_fma_f64 v[12:13], v[12:13], s[8:9], 0.5
	v_fma_f64 v[12:13], v[16:17], v[12:13], v[10:11]
	v_cmp_class_f64_e32 vcc, v[10:11], v3
	s_movk_i32 s3, 0x7fff
	s_nop 0
	v_cndmask_b32_e32 v11, v11, v13, vcc
	v_cndmask_b32_e32 v10, v10, v12, vcc
	v_cvt_f32_f64_e32 v3, v[10:11]
	v_bfe_u32 v10, v3, 16, 1
	v_add3_u32 v10, v3, v10, s3
	v_cmp_o_f32_e32 vcc, v3, v3
	v_mov_b32_e32 v3, 0x7fc0
	s_nop 0
	v_cndmask_b32_sdwa v10, v3, v10, vcc dst_sel:DWORD dst_unused:UNUSED_PAD src0_sel:DWORD src1_sel:WORD_1
.LBB205_27:
	s_or_b64 exec, exec, s[6:7]
	v_or_b32_e32 v3, 0x500, v0
	v_cmp_gt_i32_e32 vcc, s10, v3
                                        ; implicit-def: $vgpr11
	s_and_saveexec_b64 s[6:7], vcc
	s_cbranch_execz .LBB205_29
; %bb.28:
	v_rsq_f64_e32 v[12:13], v[6:7]
	s_mov_b32 s8, 0
	s_mov_b32 s9, 0x3fd80000
	v_mov_b32_e32 v3, 0x180
	v_mul_f64 v[6:7], v[12:13], -v[6:7]
	v_fma_f64 v[6:7], v[6:7], v[12:13], 1.0
	v_mul_f64 v[16:17], v[12:13], v[6:7]
	v_fma_f64 v[6:7], v[6:7], s[8:9], 0.5
	v_fma_f64 v[6:7], v[16:17], v[6:7], v[12:13]
	v_cmp_class_f64_e32 vcc, v[12:13], v3
	s_movk_i32 s3, 0x7fff
	s_nop 0
	v_cndmask_b32_e32 v7, v13, v7, vcc
	v_cndmask_b32_e32 v6, v12, v6, vcc
	v_cvt_f32_f64_e32 v3, v[6:7]
	v_bfe_u32 v6, v3, 16, 1
	v_add3_u32 v6, v3, v6, s3
	v_cmp_o_f32_e32 vcc, v3, v3
	v_mov_b32_e32 v3, 0x7fc0
	s_nop 0
	v_cndmask_b32_sdwa v11, v3, v6, vcc dst_sel:DWORD dst_unused:UNUSED_PAD src0_sel:DWORD src1_sel:WORD_1
.LBB205_29:
	s_or_b64 exec, exec, s[6:7]
	v_or_b32_e32 v3, 0x600, v0
	v_cmp_gt_i32_e32 vcc, s10, v3
                                        ; implicit-def: $vgpr6
	s_and_saveexec_b64 s[6:7], vcc
	s_cbranch_execz .LBB205_31
; %bb.30:
	v_rsq_f64_e32 v[6:7], v[8:9]
	s_mov_b32 s8, 0
	s_mov_b32 s9, 0x3fd80000
	v_mov_b32_e32 v3, 0x180
	v_mul_f64 v[8:9], v[6:7], -v[8:9]
	v_fma_f64 v[8:9], v[8:9], v[6:7], 1.0
	v_mul_f64 v[12:13], v[6:7], v[8:9]
	v_fma_f64 v[8:9], v[8:9], s[8:9], 0.5
	v_fma_f64 v[8:9], v[12:13], v[8:9], v[6:7]
	v_cmp_class_f64_e32 vcc, v[6:7], v3
	s_movk_i32 s3, 0x7fff
	s_nop 0
	v_cndmask_b32_e32 v7, v7, v9, vcc
	v_cndmask_b32_e32 v6, v6, v8, vcc
	v_cvt_f32_f64_e32 v3, v[6:7]
	v_bfe_u32 v6, v3, 16, 1
	v_add3_u32 v6, v3, v6, s3
	v_cmp_o_f32_e32 vcc, v3, v3
	v_mov_b32_e32 v3, 0x7fc0
	s_nop 0
	v_cndmask_b32_sdwa v6, v3, v6, vcc dst_sel:DWORD dst_unused:UNUSED_PAD src0_sel:DWORD src1_sel:WORD_1
.LBB205_31:
	s_or_b64 exec, exec, s[6:7]
	v_or_b32_e32 v3, 0x700, v0
	v_cmp_gt_i32_e32 vcc, s10, v3
                                        ; implicit-def: $vgpr7
	s_and_saveexec_b64 s[6:7], vcc
	s_cbranch_execnz .LBB205_44
; %bb.32:
	s_or_b64 exec, exec, s[6:7]
	s_and_saveexec_b64 s[6:7], s[0:1]
	s_xor_b64 s[0:1], exec, s[6:7]
	s_cbranch_execnz .LBB205_45
.LBB205_33:
	s_or_b64 exec, exec, s[0:1]
	v_cmp_gt_i32_e32 vcc, s10, v0
	s_and_saveexec_b64 s[0:1], vcc
	s_cbranch_execnz .LBB205_46
.LBB205_34:
	s_or_b64 exec, exec, s[0:1]
	v_cmp_gt_i32_e32 vcc, s10, v0
	s_and_saveexec_b64 s[0:1], vcc
	s_cbranch_execnz .LBB205_47
.LBB205_35:
	s_or_b64 exec, exec, s[0:1]
	v_cmp_gt_i32_e32 vcc, s10, v0
	s_and_saveexec_b64 s[0:1], vcc
	s_cbranch_execnz .LBB205_48
.LBB205_36:
	s_or_b64 exec, exec, s[0:1]
	v_cmp_gt_i32_e32 vcc, s10, v0
	s_and_saveexec_b64 s[0:1], vcc
	s_cbranch_execnz .LBB205_49
.LBB205_37:
	s_or_b64 exec, exec, s[0:1]
	v_cmp_gt_i32_e32 vcc, s10, v0
	s_and_saveexec_b64 s[0:1], vcc
	s_cbranch_execnz .LBB205_50
.LBB205_38:
	s_or_b64 exec, exec, s[0:1]
	v_cmp_gt_i32_e32 vcc, s10, v0
	s_and_saveexec_b64 s[0:1], vcc
	s_cbranch_execnz .LBB205_51
.LBB205_39:
	s_or_b64 exec, exec, s[0:1]
	v_cmp_gt_i32_e32 vcc, s10, v0
	s_and_saveexec_b64 s[0:1], vcc
	s_cbranch_execz .LBB205_41
.LBB205_40:
	v_add_u32_e32 v0, s2, v0
	v_mov_b32_e32 v1, 0
	v_lshl_add_u64 v[0:1], v[0:1], 1, s[4:5]
	global_store_short v[0:1], v7, off
.LBB205_41:
	s_endpgm
.LBB205_42:
	v_add_u32_e32 v8, s2, v1
	v_mov_b32_e32 v9, 0
	v_lshl_add_u64 v[8:9], v[8:9], 1, s[6:7]
	global_load_ushort v3, v[8:9], off
	v_add_u32_e32 v1, 0x100, v1
	s_waitcnt vmcnt(0)
	v_lshlrev_b32_e32 v3, 16, v3
	v_cvt_f64_f32_e32 v[8:9], v3
	s_or_b64 exec, exec, s[8:9]
	v_cmp_gt_i32_e32 vcc, s10, v1
	s_and_saveexec_b64 s[8:9], vcc
	s_cbranch_execz .LBB205_17
.LBB205_43:
	v_add_u32_e32 v4, s2, v1
	v_mov_b32_e32 v5, 0
	v_lshl_add_u64 v[4:5], v[4:5], 1, s[6:7]
	global_load_ushort v1, v[4:5], off
	s_waitcnt vmcnt(0)
	v_lshlrev_b32_e32 v1, 16, v1
	v_cvt_f64_f32_e32 v[4:5], v1
	s_or_b64 exec, exec, s[8:9]
                                        ; implicit-def: $vgpr1
	s_and_saveexec_b64 s[6:7], s[0:1]
	s_cbranch_execnz .LBB205_18
	s_branch .LBB205_19
.LBB205_44:
	v_rsq_f64_e32 v[8:9], v[4:5]
	s_mov_b32 s8, 0
	s_mov_b32 s9, 0x3fd80000
	v_mov_b32_e32 v3, 0x180
	v_mul_f64 v[4:5], v[8:9], -v[4:5]
	v_fma_f64 v[4:5], v[4:5], v[8:9], 1.0
	v_mul_f64 v[12:13], v[8:9], v[4:5]
	v_fma_f64 v[4:5], v[4:5], s[8:9], 0.5
	v_fma_f64 v[4:5], v[12:13], v[4:5], v[8:9]
	v_cmp_class_f64_e32 vcc, v[8:9], v3
	s_movk_i32 s3, 0x7fff
	s_nop 0
	v_cndmask_b32_e32 v5, v9, v5, vcc
	v_cndmask_b32_e32 v4, v8, v4, vcc
	v_cvt_f32_f64_e32 v3, v[4:5]
	v_bfe_u32 v4, v3, 16, 1
	v_add3_u32 v4, v3, v4, s3
	v_cmp_o_f32_e32 vcc, v3, v3
	v_mov_b32_e32 v3, 0x7fc0
	s_nop 0
	v_cndmask_b32_sdwa v7, v3, v4, vcc dst_sel:DWORD dst_unused:UNUSED_PAD src0_sel:DWORD src1_sel:WORD_1
	s_or_b64 exec, exec, s[6:7]
	s_and_saveexec_b64 s[6:7], s[0:1]
	s_xor_b64 s[0:1], exec, s[6:7]
	s_cbranch_execz .LBB205_33
.LBB205_45:
	v_mov_b32_e32 v3, 0
	v_lshl_add_u64 v[2:3], v[2:3], 1, s[4:5]
	v_mov_b32_e32 v0, v18
	global_store_short v[2:3], v1, off
	s_or_b64 exec, exec, s[0:1]
	v_cmp_gt_i32_e32 vcc, s10, v0
	s_and_saveexec_b64 s[0:1], vcc
	s_cbranch_execz .LBB205_34
.LBB205_46:
	v_add_u32_e32 v2, s2, v0
	v_mov_b32_e32 v3, 0
	v_lshl_add_u64 v[2:3], v[2:3], 1, s[4:5]
	v_add_u32_e32 v0, 0x100, v0
	global_store_short v[2:3], v19, off
	s_or_b64 exec, exec, s[0:1]
	v_cmp_gt_i32_e32 vcc, s10, v0
	s_and_saveexec_b64 s[0:1], vcc
	s_cbranch_execz .LBB205_35
.LBB205_47:
	v_add_u32_e32 v2, s2, v0
	v_mov_b32_e32 v3, 0
	v_lshl_add_u64 v[2:3], v[2:3], 1, s[4:5]
	v_add_u32_e32 v0, 0x100, v0
	global_store_short v[2:3], v14, off
	s_or_b64 exec, exec, s[0:1]
	v_cmp_gt_i32_e32 vcc, s10, v0
	s_and_saveexec_b64 s[0:1], vcc
	s_cbranch_execz .LBB205_36
.LBB205_48:
	v_add_u32_e32 v2, s2, v0
	v_mov_b32_e32 v3, 0
	v_lshl_add_u64 v[2:3], v[2:3], 1, s[4:5]
	v_add_u32_e32 v0, 0x100, v0
	global_store_short v[2:3], v15, off
	s_or_b64 exec, exec, s[0:1]
	v_cmp_gt_i32_e32 vcc, s10, v0
	s_and_saveexec_b64 s[0:1], vcc
	s_cbranch_execz .LBB205_37
.LBB205_49:
	v_add_u32_e32 v2, s2, v0
	v_mov_b32_e32 v3, 0
	v_lshl_add_u64 v[2:3], v[2:3], 1, s[4:5]
	v_add_u32_e32 v0, 0x100, v0
	global_store_short v[2:3], v10, off
	s_or_b64 exec, exec, s[0:1]
	v_cmp_gt_i32_e32 vcc, s10, v0
	s_and_saveexec_b64 s[0:1], vcc
	s_cbranch_execz .LBB205_38
.LBB205_50:
	v_add_u32_e32 v2, s2, v0
	v_mov_b32_e32 v3, 0
	v_lshl_add_u64 v[2:3], v[2:3], 1, s[4:5]
	v_add_u32_e32 v0, 0x100, v0
	global_store_short v[2:3], v11, off
	s_or_b64 exec, exec, s[0:1]
	v_cmp_gt_i32_e32 vcc, s10, v0
	s_and_saveexec_b64 s[0:1], vcc
	s_cbranch_execz .LBB205_39
.LBB205_51:
	v_add_u32_e32 v2, s2, v0
	v_mov_b32_e32 v3, 0
	v_lshl_add_u64 v[2:3], v[2:3], 1, s[4:5]
	v_add_u32_e32 v0, 0x100, v0
	global_store_short v[2:3], v6, off
	s_or_b64 exec, exec, s[0:1]
	v_cmp_gt_i32_e32 vcc, s10, v0
	s_and_saveexec_b64 s[0:1], vcc
	s_cbranch_execnz .LBB205_40
	s_branch .LBB205_41
	.section	.rodata,"a",@progbits
	.p2align	6, 0x0
	.amdhsa_kernel _ZN2at6native29vectorized_elementwise_kernelILi2EZZZNS0_17rsqrt_kernel_cudaERNS_18TensorIteratorBaseEENKUlvE0_clEvENKUlvE1_clEvEUlN3c108BFloat16EE_St5arrayIPcLm2EEEEviT0_T1_
		.amdhsa_group_segment_fixed_size 0
		.amdhsa_private_segment_fixed_size 0
		.amdhsa_kernarg_size 24
		.amdhsa_user_sgpr_count 2
		.amdhsa_user_sgpr_dispatch_ptr 0
		.amdhsa_user_sgpr_queue_ptr 0
		.amdhsa_user_sgpr_kernarg_segment_ptr 1
		.amdhsa_user_sgpr_dispatch_id 0
		.amdhsa_user_sgpr_kernarg_preload_length 0
		.amdhsa_user_sgpr_kernarg_preload_offset 0
		.amdhsa_user_sgpr_private_segment_size 0
		.amdhsa_uses_dynamic_stack 0
		.amdhsa_enable_private_segment 0
		.amdhsa_system_sgpr_workgroup_id_x 1
		.amdhsa_system_sgpr_workgroup_id_y 0
		.amdhsa_system_sgpr_workgroup_id_z 0
		.amdhsa_system_sgpr_workgroup_info 0
		.amdhsa_system_vgpr_workitem_id 0
		.amdhsa_next_free_vgpr 38
		.amdhsa_next_free_sgpr 14
		.amdhsa_accum_offset 40
		.amdhsa_reserve_vcc 1
		.amdhsa_float_round_mode_32 0
		.amdhsa_float_round_mode_16_64 0
		.amdhsa_float_denorm_mode_32 3
		.amdhsa_float_denorm_mode_16_64 3
		.amdhsa_dx10_clamp 1
		.amdhsa_ieee_mode 1
		.amdhsa_fp16_overflow 0
		.amdhsa_tg_split 0
		.amdhsa_exception_fp_ieee_invalid_op 0
		.amdhsa_exception_fp_denorm_src 0
		.amdhsa_exception_fp_ieee_div_zero 0
		.amdhsa_exception_fp_ieee_overflow 0
		.amdhsa_exception_fp_ieee_underflow 0
		.amdhsa_exception_fp_ieee_inexact 0
		.amdhsa_exception_int_div_zero 0
	.end_amdhsa_kernel
	.section	.text._ZN2at6native29vectorized_elementwise_kernelILi2EZZZNS0_17rsqrt_kernel_cudaERNS_18TensorIteratorBaseEENKUlvE0_clEvENKUlvE1_clEvEUlN3c108BFloat16EE_St5arrayIPcLm2EEEEviT0_T1_,"axG",@progbits,_ZN2at6native29vectorized_elementwise_kernelILi2EZZZNS0_17rsqrt_kernel_cudaERNS_18TensorIteratorBaseEENKUlvE0_clEvENKUlvE1_clEvEUlN3c108BFloat16EE_St5arrayIPcLm2EEEEviT0_T1_,comdat
.Lfunc_end205:
	.size	_ZN2at6native29vectorized_elementwise_kernelILi2EZZZNS0_17rsqrt_kernel_cudaERNS_18TensorIteratorBaseEENKUlvE0_clEvENKUlvE1_clEvEUlN3c108BFloat16EE_St5arrayIPcLm2EEEEviT0_T1_, .Lfunc_end205-_ZN2at6native29vectorized_elementwise_kernelILi2EZZZNS0_17rsqrt_kernel_cudaERNS_18TensorIteratorBaseEENKUlvE0_clEvENKUlvE1_clEvEUlN3c108BFloat16EE_St5arrayIPcLm2EEEEviT0_T1_
                                        ; -- End function
	.set _ZN2at6native29vectorized_elementwise_kernelILi2EZZZNS0_17rsqrt_kernel_cudaERNS_18TensorIteratorBaseEENKUlvE0_clEvENKUlvE1_clEvEUlN3c108BFloat16EE_St5arrayIPcLm2EEEEviT0_T1_.num_vgpr, 38
	.set _ZN2at6native29vectorized_elementwise_kernelILi2EZZZNS0_17rsqrt_kernel_cudaERNS_18TensorIteratorBaseEENKUlvE0_clEvENKUlvE1_clEvEUlN3c108BFloat16EE_St5arrayIPcLm2EEEEviT0_T1_.num_agpr, 0
	.set _ZN2at6native29vectorized_elementwise_kernelILi2EZZZNS0_17rsqrt_kernel_cudaERNS_18TensorIteratorBaseEENKUlvE0_clEvENKUlvE1_clEvEUlN3c108BFloat16EE_St5arrayIPcLm2EEEEviT0_T1_.numbered_sgpr, 14
	.set _ZN2at6native29vectorized_elementwise_kernelILi2EZZZNS0_17rsqrt_kernel_cudaERNS_18TensorIteratorBaseEENKUlvE0_clEvENKUlvE1_clEvEUlN3c108BFloat16EE_St5arrayIPcLm2EEEEviT0_T1_.num_named_barrier, 0
	.set _ZN2at6native29vectorized_elementwise_kernelILi2EZZZNS0_17rsqrt_kernel_cudaERNS_18TensorIteratorBaseEENKUlvE0_clEvENKUlvE1_clEvEUlN3c108BFloat16EE_St5arrayIPcLm2EEEEviT0_T1_.private_seg_size, 0
	.set _ZN2at6native29vectorized_elementwise_kernelILi2EZZZNS0_17rsqrt_kernel_cudaERNS_18TensorIteratorBaseEENKUlvE0_clEvENKUlvE1_clEvEUlN3c108BFloat16EE_St5arrayIPcLm2EEEEviT0_T1_.uses_vcc, 1
	.set _ZN2at6native29vectorized_elementwise_kernelILi2EZZZNS0_17rsqrt_kernel_cudaERNS_18TensorIteratorBaseEENKUlvE0_clEvENKUlvE1_clEvEUlN3c108BFloat16EE_St5arrayIPcLm2EEEEviT0_T1_.uses_flat_scratch, 0
	.set _ZN2at6native29vectorized_elementwise_kernelILi2EZZZNS0_17rsqrt_kernel_cudaERNS_18TensorIteratorBaseEENKUlvE0_clEvENKUlvE1_clEvEUlN3c108BFloat16EE_St5arrayIPcLm2EEEEviT0_T1_.has_dyn_sized_stack, 0
	.set _ZN2at6native29vectorized_elementwise_kernelILi2EZZZNS0_17rsqrt_kernel_cudaERNS_18TensorIteratorBaseEENKUlvE0_clEvENKUlvE1_clEvEUlN3c108BFloat16EE_St5arrayIPcLm2EEEEviT0_T1_.has_recursion, 0
	.set _ZN2at6native29vectorized_elementwise_kernelILi2EZZZNS0_17rsqrt_kernel_cudaERNS_18TensorIteratorBaseEENKUlvE0_clEvENKUlvE1_clEvEUlN3c108BFloat16EE_St5arrayIPcLm2EEEEviT0_T1_.has_indirect_call, 0
	.section	.AMDGPU.csdata,"",@progbits
; Kernel info:
; codeLenInByte = 3292
; TotalNumSgprs: 20
; NumVgprs: 38
; NumAgprs: 0
; TotalNumVgprs: 38
; ScratchSize: 0
; MemoryBound: 0
; FloatMode: 240
; IeeeMode: 1
; LDSByteSize: 0 bytes/workgroup (compile time only)
; SGPRBlocks: 2
; VGPRBlocks: 4
; NumSGPRsForWavesPerEU: 20
; NumVGPRsForWavesPerEU: 38
; AccumOffset: 40
; Occupancy: 8
; WaveLimiterHint : 1
; COMPUTE_PGM_RSRC2:SCRATCH_EN: 0
; COMPUTE_PGM_RSRC2:USER_SGPR: 2
; COMPUTE_PGM_RSRC2:TRAP_HANDLER: 0
; COMPUTE_PGM_RSRC2:TGID_X_EN: 1
; COMPUTE_PGM_RSRC2:TGID_Y_EN: 0
; COMPUTE_PGM_RSRC2:TGID_Z_EN: 0
; COMPUTE_PGM_RSRC2:TIDIG_COMP_CNT: 0
; COMPUTE_PGM_RSRC3_GFX90A:ACCUM_OFFSET: 9
; COMPUTE_PGM_RSRC3_GFX90A:TG_SPLIT: 0
	.section	.text._ZN2at6native27unrolled_elementwise_kernelIZZZNS0_17rsqrt_kernel_cudaERNS_18TensorIteratorBaseEENKUlvE0_clEvENKUlvE1_clEvEUlN3c108BFloat16EE_St5arrayIPcLm2EELi4E23TrivialOffsetCalculatorILi1EjESD_NS0_6memory15LoadWithoutCastENSE_16StoreWithoutCastEEEviT_T0_T2_T3_T4_T5_,"axG",@progbits,_ZN2at6native27unrolled_elementwise_kernelIZZZNS0_17rsqrt_kernel_cudaERNS_18TensorIteratorBaseEENKUlvE0_clEvENKUlvE1_clEvEUlN3c108BFloat16EE_St5arrayIPcLm2EELi4E23TrivialOffsetCalculatorILi1EjESD_NS0_6memory15LoadWithoutCastENSE_16StoreWithoutCastEEEviT_T0_T2_T3_T4_T5_,comdat
	.globl	_ZN2at6native27unrolled_elementwise_kernelIZZZNS0_17rsqrt_kernel_cudaERNS_18TensorIteratorBaseEENKUlvE0_clEvENKUlvE1_clEvEUlN3c108BFloat16EE_St5arrayIPcLm2EELi4E23TrivialOffsetCalculatorILi1EjESD_NS0_6memory15LoadWithoutCastENSE_16StoreWithoutCastEEEviT_T0_T2_T3_T4_T5_ ; -- Begin function _ZN2at6native27unrolled_elementwise_kernelIZZZNS0_17rsqrt_kernel_cudaERNS_18TensorIteratorBaseEENKUlvE0_clEvENKUlvE1_clEvEUlN3c108BFloat16EE_St5arrayIPcLm2EELi4E23TrivialOffsetCalculatorILi1EjESD_NS0_6memory15LoadWithoutCastENSE_16StoreWithoutCastEEEviT_T0_T2_T3_T4_T5_
	.p2align	8
	.type	_ZN2at6native27unrolled_elementwise_kernelIZZZNS0_17rsqrt_kernel_cudaERNS_18TensorIteratorBaseEENKUlvE0_clEvENKUlvE1_clEvEUlN3c108BFloat16EE_St5arrayIPcLm2EELi4E23TrivialOffsetCalculatorILi1EjESD_NS0_6memory15LoadWithoutCastENSE_16StoreWithoutCastEEEviT_T0_T2_T3_T4_T5_,@function
_ZN2at6native27unrolled_elementwise_kernelIZZZNS0_17rsqrt_kernel_cudaERNS_18TensorIteratorBaseEENKUlvE0_clEvENKUlvE1_clEvEUlN3c108BFloat16EE_St5arrayIPcLm2EELi4E23TrivialOffsetCalculatorILi1EjESD_NS0_6memory15LoadWithoutCastENSE_16StoreWithoutCastEEEviT_T0_T2_T3_T4_T5_: ; @_ZN2at6native27unrolled_elementwise_kernelIZZZNS0_17rsqrt_kernel_cudaERNS_18TensorIteratorBaseEENKUlvE0_clEvENKUlvE1_clEvEUlN3c108BFloat16EE_St5arrayIPcLm2EELi4E23TrivialOffsetCalculatorILi1EjESD_NS0_6memory15LoadWithoutCastENSE_16StoreWithoutCastEEEviT_T0_T2_T3_T4_T5_
; %bb.0:
	s_load_dword s3, s[0:1], 0x0
	s_load_dwordx4 s[4:7], s[0:1], 0x8
	s_lshl_b32 s8, s2, 10
	v_mov_b64_e32 v[6:7], 0
	v_or_b32_e32 v2, s8, v0
	s_waitcnt lgkmcnt(0)
	s_sub_i32 s9, s3, s8
	v_cmp_gt_i32_e64 s[0:1], s9, v0
	v_mov_b64_e32 v[10:11], 0
	v_mov_b32_e32 v1, v0
	s_and_saveexec_b64 s[2:3], s[0:1]
	s_cbranch_execz .LBB206_2
; %bb.1:
	v_mov_b32_e32 v3, 0
	v_lshl_add_u64 v[4:5], v[2:3], 1, s[6:7]
	global_load_ushort v3, v[4:5], off
	v_or_b32_e32 v1, 0x100, v0
	s_waitcnt vmcnt(0)
	v_lshlrev_b32_e32 v3, 16, v3
	v_cvt_f64_f32_e32 v[10:11], v3
.LBB206_2:
	s_or_b64 exec, exec, s[2:3]
	v_cmp_gt_i32_e32 vcc, s9, v1
	s_and_saveexec_b64 s[2:3], vcc
	s_cbranch_execz .LBB206_4
; %bb.3:
	v_add_u32_e32 v4, s8, v1
	v_mov_b32_e32 v5, 0
	v_lshl_add_u64 v[4:5], v[4:5], 1, s[6:7]
	global_load_ushort v3, v[4:5], off
	v_add_u32_e32 v1, 0x100, v1
	s_waitcnt vmcnt(0)
	v_lshlrev_b32_e32 v3, 16, v3
	v_cvt_f64_f32_e32 v[6:7], v3
.LBB206_4:
	s_or_b64 exec, exec, s[2:3]
	v_cmp_gt_i32_e32 vcc, s9, v1
	v_mov_b64_e32 v[4:5], 0
	v_mov_b64_e32 v[8:9], 0
	s_and_saveexec_b64 s[2:3], vcc
	s_cbranch_execnz .LBB206_18
; %bb.5:
	s_or_b64 exec, exec, s[2:3]
	v_cmp_gt_i32_e32 vcc, s9, v1
	s_and_saveexec_b64 s[2:3], vcc
	s_cbranch_execnz .LBB206_19
.LBB206_6:
	s_or_b64 exec, exec, s[2:3]
                                        ; implicit-def: $vgpr1
	s_and_saveexec_b64 s[2:3], s[0:1]
	s_cbranch_execz .LBB206_8
.LBB206_7:
	v_rsq_f64_e32 v[12:13], v[10:11]
	s_mov_b32 s6, 0
	s_mov_b32 s7, 0x3fd80000
	v_mov_b32_e32 v1, 0x180
	v_mul_f64 v[10:11], v[12:13], -v[10:11]
	v_fma_f64 v[10:11], v[10:11], v[12:13], 1.0
	v_mul_f64 v[14:15], v[12:13], v[10:11]
	v_fma_f64 v[10:11], v[10:11], s[6:7], 0.5
	v_fma_f64 v[10:11], v[14:15], v[10:11], v[12:13]
	v_cmp_class_f64_e32 vcc, v[12:13], v1
	s_movk_i32 s6, 0x7fff
	s_nop 0
	v_cndmask_b32_e32 v11, v13, v11, vcc
	v_cndmask_b32_e32 v10, v12, v10, vcc
	v_cvt_f32_f64_e32 v1, v[10:11]
	v_bfe_u32 v3, v1, 16, 1
	v_add3_u32 v3, v1, v3, s6
	v_cmp_o_f32_e32 vcc, v1, v1
	v_mov_b32_e32 v1, 0x7fc0
	s_nop 0
	v_cndmask_b32_sdwa v1, v1, v3, vcc dst_sel:DWORD dst_unused:UNUSED_PAD src0_sel:DWORD src1_sel:WORD_1
.LBB206_8:
	s_or_b64 exec, exec, s[2:3]
	v_or_b32_e32 v10, 0x100, v0
	v_cmp_gt_i32_e32 vcc, s9, v10
                                        ; implicit-def: $vgpr11
	s_and_saveexec_b64 s[2:3], vcc
	s_cbranch_execz .LBB206_10
; %bb.9:
	v_rsq_f64_e32 v[12:13], v[6:7]
	s_mov_b32 s6, 0
	s_mov_b32 s7, 0x3fd80000
	v_mov_b32_e32 v3, 0x180
	v_mul_f64 v[6:7], v[12:13], -v[6:7]
	v_fma_f64 v[6:7], v[6:7], v[12:13], 1.0
	v_mul_f64 v[14:15], v[12:13], v[6:7]
	v_fma_f64 v[6:7], v[6:7], s[6:7], 0.5
	v_fma_f64 v[6:7], v[14:15], v[6:7], v[12:13]
	v_cmp_class_f64_e32 vcc, v[12:13], v3
	s_movk_i32 s6, 0x7fff
	s_nop 0
	v_cndmask_b32_e32 v7, v13, v7, vcc
	v_cndmask_b32_e32 v6, v12, v6, vcc
	v_cvt_f32_f64_e32 v3, v[6:7]
	v_bfe_u32 v6, v3, 16, 1
	v_add3_u32 v6, v3, v6, s6
	v_cmp_o_f32_e32 vcc, v3, v3
	v_mov_b32_e32 v3, 0x7fc0
	s_nop 0
	v_cndmask_b32_sdwa v11, v3, v6, vcc dst_sel:DWORD dst_unused:UNUSED_PAD src0_sel:DWORD src1_sel:WORD_1
.LBB206_10:
	s_or_b64 exec, exec, s[2:3]
	v_or_b32_e32 v3, 0x200, v0
	v_cmp_gt_i32_e32 vcc, s9, v3
                                        ; implicit-def: $vgpr6
	s_and_saveexec_b64 s[2:3], vcc
	s_cbranch_execz .LBB206_12
; %bb.11:
	v_rsq_f64_e32 v[6:7], v[8:9]
	s_mov_b32 s6, 0
	s_mov_b32 s7, 0x3fd80000
	v_mov_b32_e32 v3, 0x180
	v_mul_f64 v[8:9], v[6:7], -v[8:9]
	v_fma_f64 v[8:9], v[8:9], v[6:7], 1.0
	v_mul_f64 v[12:13], v[6:7], v[8:9]
	v_fma_f64 v[8:9], v[8:9], s[6:7], 0.5
	v_fma_f64 v[8:9], v[12:13], v[8:9], v[6:7]
	v_cmp_class_f64_e32 vcc, v[6:7], v3
	s_movk_i32 s6, 0x7fff
	s_nop 0
	v_cndmask_b32_e32 v7, v7, v9, vcc
	v_cndmask_b32_e32 v6, v6, v8, vcc
	v_cvt_f32_f64_e32 v3, v[6:7]
	v_bfe_u32 v6, v3, 16, 1
	v_add3_u32 v6, v3, v6, s6
	v_cmp_o_f32_e32 vcc, v3, v3
	v_mov_b32_e32 v3, 0x7fc0
	s_nop 0
	v_cndmask_b32_sdwa v6, v3, v6, vcc dst_sel:DWORD dst_unused:UNUSED_PAD src0_sel:DWORD src1_sel:WORD_1
.LBB206_12:
	s_or_b64 exec, exec, s[2:3]
	v_or_b32_e32 v3, 0x300, v0
	v_cmp_gt_i32_e32 vcc, s9, v3
                                        ; implicit-def: $vgpr7
	s_and_saveexec_b64 s[2:3], vcc
	s_cbranch_execnz .LBB206_20
; %bb.13:
	s_or_b64 exec, exec, s[2:3]
	s_and_saveexec_b64 s[2:3], s[0:1]
	s_xor_b64 s[0:1], exec, s[2:3]
	s_cbranch_execnz .LBB206_21
.LBB206_14:
	s_or_b64 exec, exec, s[0:1]
	v_cmp_gt_i32_e32 vcc, s9, v0
	s_and_saveexec_b64 s[0:1], vcc
	s_cbranch_execnz .LBB206_22
.LBB206_15:
	s_or_b64 exec, exec, s[0:1]
	v_cmp_gt_i32_e32 vcc, s9, v0
	s_and_saveexec_b64 s[0:1], vcc
	s_cbranch_execnz .LBB206_23
.LBB206_16:
	s_or_b64 exec, exec, s[0:1]
	v_cmp_gt_i32_e32 vcc, s9, v0
	s_and_saveexec_b64 s[0:1], vcc
	s_cbranch_execnz .LBB206_24
.LBB206_17:
	s_endpgm
.LBB206_18:
	v_add_u32_e32 v8, s8, v1
	v_mov_b32_e32 v9, 0
	v_lshl_add_u64 v[8:9], v[8:9], 1, s[6:7]
	global_load_ushort v3, v[8:9], off
	v_add_u32_e32 v1, 0x100, v1
	s_waitcnt vmcnt(0)
	v_lshlrev_b32_e32 v3, 16, v3
	v_cvt_f64_f32_e32 v[8:9], v3
	s_or_b64 exec, exec, s[2:3]
	v_cmp_gt_i32_e32 vcc, s9, v1
	s_and_saveexec_b64 s[2:3], vcc
	s_cbranch_execz .LBB206_6
.LBB206_19:
	v_add_u32_e32 v4, s8, v1
	v_mov_b32_e32 v5, 0
	v_lshl_add_u64 v[4:5], v[4:5], 1, s[6:7]
	global_load_ushort v1, v[4:5], off
	s_waitcnt vmcnt(0)
	v_lshlrev_b32_e32 v1, 16, v1
	v_cvt_f64_f32_e32 v[4:5], v1
	s_or_b64 exec, exec, s[2:3]
                                        ; implicit-def: $vgpr1
	s_and_saveexec_b64 s[2:3], s[0:1]
	s_cbranch_execnz .LBB206_7
	s_branch .LBB206_8
.LBB206_20:
	v_rsq_f64_e32 v[8:9], v[4:5]
	s_mov_b32 s6, 0
	s_mov_b32 s7, 0x3fd80000
	v_mov_b32_e32 v3, 0x180
	v_mul_f64 v[4:5], v[8:9], -v[4:5]
	v_fma_f64 v[4:5], v[4:5], v[8:9], 1.0
	v_mul_f64 v[12:13], v[8:9], v[4:5]
	v_fma_f64 v[4:5], v[4:5], s[6:7], 0.5
	v_fma_f64 v[4:5], v[12:13], v[4:5], v[8:9]
	v_cmp_class_f64_e32 vcc, v[8:9], v3
	s_movk_i32 s6, 0x7fff
	s_nop 0
	v_cndmask_b32_e32 v5, v9, v5, vcc
	v_cndmask_b32_e32 v4, v8, v4, vcc
	v_cvt_f32_f64_e32 v3, v[4:5]
	v_bfe_u32 v4, v3, 16, 1
	v_add3_u32 v4, v3, v4, s6
	v_cmp_o_f32_e32 vcc, v3, v3
	v_mov_b32_e32 v3, 0x7fc0
	s_nop 0
	v_cndmask_b32_sdwa v7, v3, v4, vcc dst_sel:DWORD dst_unused:UNUSED_PAD src0_sel:DWORD src1_sel:WORD_1
	s_or_b64 exec, exec, s[2:3]
	s_and_saveexec_b64 s[2:3], s[0:1]
	s_xor_b64 s[0:1], exec, s[2:3]
	s_cbranch_execz .LBB206_14
.LBB206_21:
	v_mov_b32_e32 v3, 0
	v_lshl_add_u64 v[2:3], v[2:3], 1, s[4:5]
	v_mov_b32_e32 v0, v10
	global_store_short v[2:3], v1, off
	s_or_b64 exec, exec, s[0:1]
	v_cmp_gt_i32_e32 vcc, s9, v0
	s_and_saveexec_b64 s[0:1], vcc
	s_cbranch_execz .LBB206_15
.LBB206_22:
	v_add_u32_e32 v2, 0x100, v0
	v_add_u32_e32 v0, s8, v0
	v_mov_b32_e32 v1, 0
	v_lshl_add_u64 v[0:1], v[0:1], 1, s[4:5]
	global_store_short v[0:1], v11, off
	v_mov_b32_e32 v0, v2
	s_or_b64 exec, exec, s[0:1]
	v_cmp_gt_i32_e32 vcc, s9, v0
	s_and_saveexec_b64 s[0:1], vcc
	s_cbranch_execz .LBB206_16
.LBB206_23:
	v_add_u32_e32 v2, 0x100, v0
	v_add_u32_e32 v0, s8, v0
	v_mov_b32_e32 v1, 0
	v_lshl_add_u64 v[0:1], v[0:1], 1, s[4:5]
	global_store_short v[0:1], v6, off
	v_mov_b32_e32 v0, v2
	s_or_b64 exec, exec, s[0:1]
	v_cmp_gt_i32_e32 vcc, s9, v0
	s_and_saveexec_b64 s[0:1], vcc
	s_cbranch_execz .LBB206_17
.LBB206_24:
	v_add_u32_e32 v0, s8, v0
	v_mov_b32_e32 v1, 0
	v_lshl_add_u64 v[0:1], v[0:1], 1, s[4:5]
	global_store_short v[0:1], v7, off
	s_endpgm
	.section	.rodata,"a",@progbits
	.p2align	6, 0x0
	.amdhsa_kernel _ZN2at6native27unrolled_elementwise_kernelIZZZNS0_17rsqrt_kernel_cudaERNS_18TensorIteratorBaseEENKUlvE0_clEvENKUlvE1_clEvEUlN3c108BFloat16EE_St5arrayIPcLm2EELi4E23TrivialOffsetCalculatorILi1EjESD_NS0_6memory15LoadWithoutCastENSE_16StoreWithoutCastEEEviT_T0_T2_T3_T4_T5_
		.amdhsa_group_segment_fixed_size 0
		.amdhsa_private_segment_fixed_size 0
		.amdhsa_kernarg_size 28
		.amdhsa_user_sgpr_count 2
		.amdhsa_user_sgpr_dispatch_ptr 0
		.amdhsa_user_sgpr_queue_ptr 0
		.amdhsa_user_sgpr_kernarg_segment_ptr 1
		.amdhsa_user_sgpr_dispatch_id 0
		.amdhsa_user_sgpr_kernarg_preload_length 0
		.amdhsa_user_sgpr_kernarg_preload_offset 0
		.amdhsa_user_sgpr_private_segment_size 0
		.amdhsa_uses_dynamic_stack 0
		.amdhsa_enable_private_segment 0
		.amdhsa_system_sgpr_workgroup_id_x 1
		.amdhsa_system_sgpr_workgroup_id_y 0
		.amdhsa_system_sgpr_workgroup_id_z 0
		.amdhsa_system_sgpr_workgroup_info 0
		.amdhsa_system_vgpr_workitem_id 0
		.amdhsa_next_free_vgpr 16
		.amdhsa_next_free_sgpr 10
		.amdhsa_accum_offset 16
		.amdhsa_reserve_vcc 1
		.amdhsa_float_round_mode_32 0
		.amdhsa_float_round_mode_16_64 0
		.amdhsa_float_denorm_mode_32 3
		.amdhsa_float_denorm_mode_16_64 3
		.amdhsa_dx10_clamp 1
		.amdhsa_ieee_mode 1
		.amdhsa_fp16_overflow 0
		.amdhsa_tg_split 0
		.amdhsa_exception_fp_ieee_invalid_op 0
		.amdhsa_exception_fp_denorm_src 0
		.amdhsa_exception_fp_ieee_div_zero 0
		.amdhsa_exception_fp_ieee_overflow 0
		.amdhsa_exception_fp_ieee_underflow 0
		.amdhsa_exception_fp_ieee_inexact 0
		.amdhsa_exception_int_div_zero 0
	.end_amdhsa_kernel
	.section	.text._ZN2at6native27unrolled_elementwise_kernelIZZZNS0_17rsqrt_kernel_cudaERNS_18TensorIteratorBaseEENKUlvE0_clEvENKUlvE1_clEvEUlN3c108BFloat16EE_St5arrayIPcLm2EELi4E23TrivialOffsetCalculatorILi1EjESD_NS0_6memory15LoadWithoutCastENSE_16StoreWithoutCastEEEviT_T0_T2_T3_T4_T5_,"axG",@progbits,_ZN2at6native27unrolled_elementwise_kernelIZZZNS0_17rsqrt_kernel_cudaERNS_18TensorIteratorBaseEENKUlvE0_clEvENKUlvE1_clEvEUlN3c108BFloat16EE_St5arrayIPcLm2EELi4E23TrivialOffsetCalculatorILi1EjESD_NS0_6memory15LoadWithoutCastENSE_16StoreWithoutCastEEEviT_T0_T2_T3_T4_T5_,comdat
.Lfunc_end206:
	.size	_ZN2at6native27unrolled_elementwise_kernelIZZZNS0_17rsqrt_kernel_cudaERNS_18TensorIteratorBaseEENKUlvE0_clEvENKUlvE1_clEvEUlN3c108BFloat16EE_St5arrayIPcLm2EELi4E23TrivialOffsetCalculatorILi1EjESD_NS0_6memory15LoadWithoutCastENSE_16StoreWithoutCastEEEviT_T0_T2_T3_T4_T5_, .Lfunc_end206-_ZN2at6native27unrolled_elementwise_kernelIZZZNS0_17rsqrt_kernel_cudaERNS_18TensorIteratorBaseEENKUlvE0_clEvENKUlvE1_clEvEUlN3c108BFloat16EE_St5arrayIPcLm2EELi4E23TrivialOffsetCalculatorILi1EjESD_NS0_6memory15LoadWithoutCastENSE_16StoreWithoutCastEEEviT_T0_T2_T3_T4_T5_
                                        ; -- End function
	.set _ZN2at6native27unrolled_elementwise_kernelIZZZNS0_17rsqrt_kernel_cudaERNS_18TensorIteratorBaseEENKUlvE0_clEvENKUlvE1_clEvEUlN3c108BFloat16EE_St5arrayIPcLm2EELi4E23TrivialOffsetCalculatorILi1EjESD_NS0_6memory15LoadWithoutCastENSE_16StoreWithoutCastEEEviT_T0_T2_T3_T4_T5_.num_vgpr, 16
	.set _ZN2at6native27unrolled_elementwise_kernelIZZZNS0_17rsqrt_kernel_cudaERNS_18TensorIteratorBaseEENKUlvE0_clEvENKUlvE1_clEvEUlN3c108BFloat16EE_St5arrayIPcLm2EELi4E23TrivialOffsetCalculatorILi1EjESD_NS0_6memory15LoadWithoutCastENSE_16StoreWithoutCastEEEviT_T0_T2_T3_T4_T5_.num_agpr, 0
	.set _ZN2at6native27unrolled_elementwise_kernelIZZZNS0_17rsqrt_kernel_cudaERNS_18TensorIteratorBaseEENKUlvE0_clEvENKUlvE1_clEvEUlN3c108BFloat16EE_St5arrayIPcLm2EELi4E23TrivialOffsetCalculatorILi1EjESD_NS0_6memory15LoadWithoutCastENSE_16StoreWithoutCastEEEviT_T0_T2_T3_T4_T5_.numbered_sgpr, 10
	.set _ZN2at6native27unrolled_elementwise_kernelIZZZNS0_17rsqrt_kernel_cudaERNS_18TensorIteratorBaseEENKUlvE0_clEvENKUlvE1_clEvEUlN3c108BFloat16EE_St5arrayIPcLm2EELi4E23TrivialOffsetCalculatorILi1EjESD_NS0_6memory15LoadWithoutCastENSE_16StoreWithoutCastEEEviT_T0_T2_T3_T4_T5_.num_named_barrier, 0
	.set _ZN2at6native27unrolled_elementwise_kernelIZZZNS0_17rsqrt_kernel_cudaERNS_18TensorIteratorBaseEENKUlvE0_clEvENKUlvE1_clEvEUlN3c108BFloat16EE_St5arrayIPcLm2EELi4E23TrivialOffsetCalculatorILi1EjESD_NS0_6memory15LoadWithoutCastENSE_16StoreWithoutCastEEEviT_T0_T2_T3_T4_T5_.private_seg_size, 0
	.set _ZN2at6native27unrolled_elementwise_kernelIZZZNS0_17rsqrt_kernel_cudaERNS_18TensorIteratorBaseEENKUlvE0_clEvENKUlvE1_clEvEUlN3c108BFloat16EE_St5arrayIPcLm2EELi4E23TrivialOffsetCalculatorILi1EjESD_NS0_6memory15LoadWithoutCastENSE_16StoreWithoutCastEEEviT_T0_T2_T3_T4_T5_.uses_vcc, 1
	.set _ZN2at6native27unrolled_elementwise_kernelIZZZNS0_17rsqrt_kernel_cudaERNS_18TensorIteratorBaseEENKUlvE0_clEvENKUlvE1_clEvEUlN3c108BFloat16EE_St5arrayIPcLm2EELi4E23TrivialOffsetCalculatorILi1EjESD_NS0_6memory15LoadWithoutCastENSE_16StoreWithoutCastEEEviT_T0_T2_T3_T4_T5_.uses_flat_scratch, 0
	.set _ZN2at6native27unrolled_elementwise_kernelIZZZNS0_17rsqrt_kernel_cudaERNS_18TensorIteratorBaseEENKUlvE0_clEvENKUlvE1_clEvEUlN3c108BFloat16EE_St5arrayIPcLm2EELi4E23TrivialOffsetCalculatorILi1EjESD_NS0_6memory15LoadWithoutCastENSE_16StoreWithoutCastEEEviT_T0_T2_T3_T4_T5_.has_dyn_sized_stack, 0
	.set _ZN2at6native27unrolled_elementwise_kernelIZZZNS0_17rsqrt_kernel_cudaERNS_18TensorIteratorBaseEENKUlvE0_clEvENKUlvE1_clEvEUlN3c108BFloat16EE_St5arrayIPcLm2EELi4E23TrivialOffsetCalculatorILi1EjESD_NS0_6memory15LoadWithoutCastENSE_16StoreWithoutCastEEEviT_T0_T2_T3_T4_T5_.has_recursion, 0
	.set _ZN2at6native27unrolled_elementwise_kernelIZZZNS0_17rsqrt_kernel_cudaERNS_18TensorIteratorBaseEENKUlvE0_clEvENKUlvE1_clEvEUlN3c108BFloat16EE_St5arrayIPcLm2EELi4E23TrivialOffsetCalculatorILi1EjESD_NS0_6memory15LoadWithoutCastENSE_16StoreWithoutCastEEEviT_T0_T2_T3_T4_T5_.has_indirect_call, 0
	.section	.AMDGPU.csdata,"",@progbits
; Kernel info:
; codeLenInByte = 1164
; TotalNumSgprs: 16
; NumVgprs: 16
; NumAgprs: 0
; TotalNumVgprs: 16
; ScratchSize: 0
; MemoryBound: 0
; FloatMode: 240
; IeeeMode: 1
; LDSByteSize: 0 bytes/workgroup (compile time only)
; SGPRBlocks: 1
; VGPRBlocks: 1
; NumSGPRsForWavesPerEU: 16
; NumVGPRsForWavesPerEU: 16
; AccumOffset: 16
; Occupancy: 8
; WaveLimiterHint : 0
; COMPUTE_PGM_RSRC2:SCRATCH_EN: 0
; COMPUTE_PGM_RSRC2:USER_SGPR: 2
; COMPUTE_PGM_RSRC2:TRAP_HANDLER: 0
; COMPUTE_PGM_RSRC2:TGID_X_EN: 1
; COMPUTE_PGM_RSRC2:TGID_Y_EN: 0
; COMPUTE_PGM_RSRC2:TGID_Z_EN: 0
; COMPUTE_PGM_RSRC2:TIDIG_COMP_CNT: 0
; COMPUTE_PGM_RSRC3_GFX90A:ACCUM_OFFSET: 3
; COMPUTE_PGM_RSRC3_GFX90A:TG_SPLIT: 0
	.section	.text._ZN2at6native32elementwise_kernel_manual_unrollILi128ELi8EZNS0_22gpu_kernel_impl_nocastIZZZNS0_17rsqrt_kernel_cudaERNS_18TensorIteratorBaseEENKUlvE0_clEvENKUlvE1_clEvEUlN3c108BFloat16EE_EEvS4_RKT_EUlibE_EEviT1_,"axG",@progbits,_ZN2at6native32elementwise_kernel_manual_unrollILi128ELi8EZNS0_22gpu_kernel_impl_nocastIZZZNS0_17rsqrt_kernel_cudaERNS_18TensorIteratorBaseEENKUlvE0_clEvENKUlvE1_clEvEUlN3c108BFloat16EE_EEvS4_RKT_EUlibE_EEviT1_,comdat
	.globl	_ZN2at6native32elementwise_kernel_manual_unrollILi128ELi8EZNS0_22gpu_kernel_impl_nocastIZZZNS0_17rsqrt_kernel_cudaERNS_18TensorIteratorBaseEENKUlvE0_clEvENKUlvE1_clEvEUlN3c108BFloat16EE_EEvS4_RKT_EUlibE_EEviT1_ ; -- Begin function _ZN2at6native32elementwise_kernel_manual_unrollILi128ELi8EZNS0_22gpu_kernel_impl_nocastIZZZNS0_17rsqrt_kernel_cudaERNS_18TensorIteratorBaseEENKUlvE0_clEvENKUlvE1_clEvEUlN3c108BFloat16EE_EEvS4_RKT_EUlibE_EEviT1_
	.p2align	8
	.type	_ZN2at6native32elementwise_kernel_manual_unrollILi128ELi8EZNS0_22gpu_kernel_impl_nocastIZZZNS0_17rsqrt_kernel_cudaERNS_18TensorIteratorBaseEENKUlvE0_clEvENKUlvE1_clEvEUlN3c108BFloat16EE_EEvS4_RKT_EUlibE_EEviT1_,@function
_ZN2at6native32elementwise_kernel_manual_unrollILi128ELi8EZNS0_22gpu_kernel_impl_nocastIZZZNS0_17rsqrt_kernel_cudaERNS_18TensorIteratorBaseEENKUlvE0_clEvENKUlvE1_clEvEUlN3c108BFloat16EE_EEvS4_RKT_EUlibE_EEviT1_: ; @_ZN2at6native32elementwise_kernel_manual_unrollILi128ELi8EZNS0_22gpu_kernel_impl_nocastIZZZNS0_17rsqrt_kernel_cudaERNS_18TensorIteratorBaseEENKUlvE0_clEvENKUlvE1_clEvEUlN3c108BFloat16EE_EEvS4_RKT_EUlibE_EEviT1_
; %bb.0:
	s_load_dword s55, s[0:1], 0x0
	s_load_dword s33, s[0:1], 0x8
	s_add_u32 s34, s0, 8
	s_addc_u32 s35, s1, 0
	v_lshl_or_b32 v24, s2, 10, v0
	v_or_b32_e32 v32, 0x380, v24
	s_waitcnt lgkmcnt(0)
	s_add_i32 s54, s33, -1
	s_cmp_gt_u32 s54, 1
	v_cmp_le_i32_e32 vcc, s55, v32
	s_cselect_b64 s[36:37], -1, 0
	s_and_saveexec_b64 s[0:1], vcc
	s_xor_b64 s[38:39], exec, s[0:1]
	s_cbranch_execz .LBB207_8
; %bb.1:
	s_load_dwordx4 s[24:27], s[34:35], 0x4
	s_load_dwordx2 s[40:41], s[34:35], 0x14
	s_load_dwordx4 s[20:23], s[34:35], 0xc4
	s_load_dwordx4 s[16:19], s[34:35], 0x148
	s_cmp_lg_u32 s33, 0
	s_cselect_b64 s[46:47], -1, 0
	s_add_u32 s44, s34, 0xc4
	s_addc_u32 s45, s35, 0
	s_min_u32 s56, s54, 15
	s_cmp_gt_u32 s33, 1
	s_cselect_b64 s[42:43], -1, 0
	v_cmp_gt_i32_e32 vcc, s55, v24
	s_and_saveexec_b64 s[48:49], vcc
	s_cbranch_execz .LBB207_15
; %bb.2:
	s_andn2_b64 vcc, exec, s[36:37]
	s_cbranch_vccnz .LBB207_23
; %bb.3:
	s_andn2_b64 vcc, exec, s[46:47]
	s_cbranch_vccnz .LBB207_131
; %bb.4:
	s_add_i32 s58, s56, 1
	s_cmp_eq_u32 s54, 2
	s_cbranch_scc1 .LBB207_133
; %bb.5:
	s_and_b32 s57, s58, 28
	s_mov_b32 s59, 0
	v_mov_b32_e32 v0, 0
	v_mov_b32_e32 v2, 0
	s_mov_b64 s[50:51], s[34:35]
	s_mov_b64 s[52:53], s[44:45]
	v_mov_b32_e32 v4, v24
.LBB207_6:                              ; =>This Inner Loop Header: Depth=1
	s_load_dwordx8 s[8:15], s[50:51], 0x4
	s_load_dwordx4 s[28:31], s[50:51], 0x24
	s_load_dwordx8 s[0:7], s[52:53], 0x0
	s_add_u32 s50, s50, 48
	s_addc_u32 s51, s51, 0
	s_waitcnt lgkmcnt(0)
	v_mul_hi_u32 v1, s9, v4
	v_add_u32_e32 v1, v4, v1
	v_lshrrev_b32_e32 v1, s10, v1
	v_mul_lo_u32 v3, v1, s8
	v_mul_hi_u32 v5, s12, v1
	v_sub_u32_e32 v3, v4, v3
	v_add_u32_e32 v4, v1, v5
	v_lshrrev_b32_e32 v4, s13, v4
	v_mul_lo_u32 v6, v4, s11
	v_mul_hi_u32 v7, s15, v4
	v_sub_u32_e32 v1, v1, v6
	v_add_u32_e32 v6, v4, v7
	v_mul_lo_u32 v5, v3, s1
	v_mul_lo_u32 v3, v3, s0
	;; [unrolled: 1-line block ×4, first 2 shown]
	v_lshrrev_b32_e32 v6, s28, v6
	v_add3_u32 v0, v3, v0, v1
	v_mul_hi_u32 v3, s30, v6
	v_add3_u32 v1, v5, v2, v7
	v_mul_lo_u32 v2, v6, s14
	v_add_u32_e32 v3, v6, v3
	v_sub_u32_e32 v2, v4, v2
	v_lshrrev_b32_e32 v4, s31, v3
	s_add_i32 s59, s59, 4
	v_mul_lo_u32 v3, v4, s29
	s_add_u32 s52, s52, 32
	v_sub_u32_e32 v3, v6, v3
	s_addc_u32 s53, s53, 0
	v_mul_lo_u32 v5, v2, s4
	v_mul_lo_u32 v2, v2, s5
	;; [unrolled: 1-line block ×4, first 2 shown]
	s_cmp_lg_u32 s57, s59
	v_add3_u32 v2, v2, v1, v3
	v_add3_u32 v0, v5, v0, v6
	s_cbranch_scc1 .LBB207_6
; %bb.7:
	v_mov_b32_e32 v1, v2
	s_branch .LBB207_134
.LBB207_8:
	s_andn2_saveexec_b64 s[0:1], s[38:39]
	s_cbranch_execz .LBB207_228
.LBB207_9:
	v_cndmask_b32_e64 v0, 0, 1, s[36:37]
	v_cmp_ne_u32_e64 s[0:1], 1, v0
	s_andn2_b64 vcc, exec, s[36:37]
	s_cbranch_vccnz .LBB207_22
; %bb.10:
	s_cmp_lg_u32 s33, 0
	s_waitcnt lgkmcnt(0)
	s_mov_b32 s26, 0
	s_cbranch_scc0 .LBB207_25
; %bb.11:
	s_min_u32 s27, s54, 15
	s_add_i32 s27, s27, 1
	s_cmp_eq_u32 s54, 2
	s_cbranch_scc1 .LBB207_26
; %bb.12:
	s_and_b32 s26, s27, 28
	s_add_u32 s2, s34, 0xc4
	s_addc_u32 s3, s35, 0
	s_mov_b32 s28, 0
	v_mov_b32_e32 v0, 0
	v_mov_b32_e32 v2, 0
	s_mov_b64 s[24:25], s[34:35]
	v_mov_b32_e32 v4, v24
.LBB207_13:                             ; =>This Inner Loop Header: Depth=1
	s_load_dwordx8 s[12:19], s[24:25], 0x4
	s_load_dwordx4 s[20:23], s[24:25], 0x24
	s_load_dwordx8 s[4:11], s[2:3], 0x0
	s_add_u32 s24, s24, 48
	s_addc_u32 s25, s25, 0
	s_waitcnt lgkmcnt(0)
	v_mul_hi_u32 v1, s13, v4
	v_add_u32_e32 v1, v4, v1
	v_lshrrev_b32_e32 v1, s14, v1
	v_mul_lo_u32 v3, v1, s12
	v_mul_hi_u32 v5, s16, v1
	v_sub_u32_e32 v3, v4, v3
	v_add_u32_e32 v4, v1, v5
	v_lshrrev_b32_e32 v4, s17, v4
	v_mul_lo_u32 v6, v4, s15
	v_mul_hi_u32 v7, s19, v4
	v_sub_u32_e32 v1, v1, v6
	v_add_u32_e32 v6, v4, v7
	v_mul_lo_u32 v5, v3, s5
	v_mul_lo_u32 v3, v3, s4
	;; [unrolled: 1-line block ×4, first 2 shown]
	v_lshrrev_b32_e32 v6, s20, v6
	v_add3_u32 v0, v3, v0, v1
	v_mul_hi_u32 v3, s22, v6
	v_add3_u32 v1, v5, v2, v7
	v_mul_lo_u32 v2, v6, s18
	v_add_u32_e32 v3, v6, v3
	v_sub_u32_e32 v2, v4, v2
	v_lshrrev_b32_e32 v4, s23, v3
	s_add_i32 s28, s28, 4
	v_mul_lo_u32 v3, v4, s21
	s_add_u32 s2, s2, 32
	v_sub_u32_e32 v3, v6, v3
	s_addc_u32 s3, s3, 0
	v_mul_lo_u32 v5, v2, s8
	v_mul_lo_u32 v2, v2, s9
	;; [unrolled: 1-line block ×4, first 2 shown]
	s_cmp_lg_u32 s26, s28
	v_add3_u32 v2, v2, v1, v3
	v_add3_u32 v0, v5, v0, v6
	s_cbranch_scc1 .LBB207_13
; %bb.14:
	v_mov_b32_e32 v1, v2
	s_and_b32 s6, s27, 3
	s_cmp_eq_u32 s6, 0
	s_cbranch_scc0 .LBB207_27
	s_branch .LBB207_29
.LBB207_15:
	s_or_b64 exec, exec, s[48:49]
	v_cmp_gt_i32_e32 vcc, s55, v24
	s_and_saveexec_b64 s[48:49], vcc
	s_cbranch_execz .LBB207_141
.LBB207_16:
	s_andn2_b64 vcc, exec, s[36:37]
	s_cbranch_vccnz .LBB207_24
; %bb.17:
	s_andn2_b64 vcc, exec, s[46:47]
	s_cbranch_vccnz .LBB207_132
; %bb.18:
	s_add_i32 s58, s56, 1
	s_cmp_eq_u32 s54, 2
	s_cbranch_scc1 .LBB207_150
; %bb.19:
	s_and_b32 s57, s58, 28
	s_mov_b32 s59, 0
	v_mov_b32_e32 v0, 0
	v_mov_b32_e32 v2, 0
	s_mov_b64 s[50:51], s[34:35]
	s_mov_b64 s[52:53], s[44:45]
	v_mov_b32_e32 v4, v24
.LBB207_20:                             ; =>This Inner Loop Header: Depth=1
	s_load_dwordx8 s[8:15], s[50:51], 0x4
	s_load_dwordx4 s[28:31], s[50:51], 0x24
	s_load_dwordx8 s[0:7], s[52:53], 0x0
	s_add_u32 s50, s50, 48
	s_addc_u32 s51, s51, 0
	s_waitcnt lgkmcnt(0)
	v_mul_hi_u32 v1, s9, v4
	v_add_u32_e32 v1, v4, v1
	v_lshrrev_b32_e32 v1, s10, v1
	v_mul_lo_u32 v3, v1, s8
	v_mul_hi_u32 v5, s12, v1
	v_sub_u32_e32 v3, v4, v3
	v_add_u32_e32 v4, v1, v5
	v_lshrrev_b32_e32 v4, s13, v4
	v_mul_lo_u32 v6, v4, s11
	v_mul_hi_u32 v7, s15, v4
	v_sub_u32_e32 v1, v1, v6
	v_add_u32_e32 v6, v4, v7
	v_mul_lo_u32 v5, v3, s1
	v_mul_lo_u32 v3, v3, s0
	;; [unrolled: 1-line block ×4, first 2 shown]
	v_lshrrev_b32_e32 v6, s28, v6
	v_add3_u32 v0, v3, v0, v1
	v_mul_hi_u32 v3, s30, v6
	v_add3_u32 v1, v5, v2, v7
	v_mul_lo_u32 v2, v6, s14
	v_add_u32_e32 v3, v6, v3
	v_sub_u32_e32 v2, v4, v2
	v_lshrrev_b32_e32 v4, s31, v3
	s_add_i32 s59, s59, 4
	v_mul_lo_u32 v3, v4, s29
	s_add_u32 s52, s52, 32
	v_sub_u32_e32 v3, v6, v3
	s_addc_u32 s53, s53, 0
	v_mul_lo_u32 v5, v2, s4
	v_mul_lo_u32 v2, v2, s5
	;; [unrolled: 1-line block ×4, first 2 shown]
	s_cmp_eq_u32 s57, s59
	v_add3_u32 v2, v2, v1, v3
	v_add3_u32 v0, v5, v0, v6
	s_cbranch_scc0 .LBB207_20
; %bb.21:
	v_mov_b32_e32 v1, v2
	s_branch .LBB207_151
.LBB207_22:
                                        ; implicit-def: $vgpr2
                                        ; implicit-def: $vgpr0
	s_branch .LBB207_30
.LBB207_23:
                                        ; implicit-def: $vgpr2
                                        ; implicit-def: $vgpr0
	s_branch .LBB207_138
.LBB207_24:
                                        ; implicit-def: $vgpr2
                                        ; implicit-def: $vgpr0
	s_branch .LBB207_155
.LBB207_25:
	v_mov_b32_e32 v2, 0
	v_mov_b32_e32 v0, 0
	s_branch .LBB207_29
.LBB207_26:
	v_mov_b32_e32 v0, 0
                                        ; implicit-def: $vgpr2
	v_mov_b32_e32 v1, v0
	v_mov_b32_e32 v4, v24
	s_and_b32 s6, s27, 3
	s_cmp_eq_u32 s6, 0
	s_cbranch_scc1 .LBB207_29
.LBB207_27:
	s_lshl_b32 s2, s26, 3
	s_add_u32 s2, s34, s2
	s_addc_u32 s3, s35, 0
	s_add_u32 s2, s2, 0xc4
	s_addc_u32 s3, s3, 0
	s_mul_i32 s4, s26, 12
	s_add_u32 s4, s34, s4
	s_addc_u32 s5, s35, 0
.LBB207_28:                             ; =>This Inner Loop Header: Depth=1
	s_load_dwordx2 s[8:9], s[4:5], 0x4
	s_load_dword s7, s[4:5], 0xc
	s_load_dwordx2 s[10:11], s[2:3], 0x0
	v_mov_b32_e32 v2, v1
	s_add_u32 s4, s4, 12
	s_waitcnt lgkmcnt(0)
	v_mul_hi_u32 v1, s9, v4
	v_add_u32_e32 v1, v4, v1
	v_lshrrev_b32_e32 v1, s7, v1
	s_addc_u32 s5, s5, 0
	v_mul_lo_u32 v3, v1, s8
	s_add_u32 s2, s2, 8
	v_sub_u32_e32 v5, v4, v3
	s_addc_u32 s3, s3, 0
	s_add_i32 s6, s6, -1
	v_mov_b32_e32 v4, v1
	v_mad_u64_u32 v[2:3], s[8:9], v5, s11, v[2:3]
	v_mad_u64_u32 v[0:1], s[8:9], v5, s10, v[0:1]
	s_cmp_lg_u32 s6, 0
	v_mov_b32_e32 v1, v2
	s_cbranch_scc1 .LBB207_28
.LBB207_29:
	s_cbranch_execnz .LBB207_32
.LBB207_30:
	s_load_dwordx4 s[4:7], s[34:35], 0x4
	s_load_dwordx2 s[2:3], s[34:35], 0xc4
	s_cmp_lt_u32 s33, 2
	s_waitcnt lgkmcnt(0)
	v_mul_hi_u32 v0, s5, v24
	v_add_u32_e32 v0, v24, v0
	v_lshrrev_b32_e32 v1, s6, v0
	v_mul_lo_u32 v0, v1, s4
	v_sub_u32_e32 v0, v24, v0
	v_mul_lo_u32 v2, v0, s3
	v_mul_lo_u32 v0, v0, s2
	s_cbranch_scc1 .LBB207_32
; %bb.31:
	s_load_dwordx4 s[4:7], s[34:35], 0x10
	s_load_dwordx2 s[2:3], s[34:35], 0xcc
	s_waitcnt lgkmcnt(0)
	v_mul_hi_u32 v3, s5, v1
	v_add_u32_e32 v3, v1, v3
	v_lshrrev_b32_e32 v3, s6, v3
	v_mul_lo_u32 v3, v3, s4
	v_sub_u32_e32 v3, v1, v3
	v_mad_u64_u32 v[0:1], s[4:5], v3, s2, v[0:1]
	v_mad_u64_u32 v[2:3], s[2:3], v3, s3, v[2:3]
.LBB207_32:
	s_and_b64 vcc, exec, s[0:1]
	v_add_u32_e32 v3, 0x80, v24
	s_cbranch_vccnz .LBB207_38
; %bb.33:
	s_cmp_lg_u32 s33, 0
	s_waitcnt lgkmcnt(0)
	s_mov_b32 s26, 0
	s_cbranch_scc0 .LBB207_39
; %bb.34:
	s_min_u32 s27, s54, 15
	s_add_i32 s27, s27, 1
	s_cmp_eq_u32 s54, 2
	s_cbranch_scc1 .LBB207_40
; %bb.35:
	s_and_b32 s26, s27, 28
	s_add_u32 s2, s34, 0xc4
	s_addc_u32 s3, s35, 0
	s_mov_b32 s28, 0
	v_mov_b32_e32 v4, 0
	v_mov_b32_e32 v6, 0
	s_mov_b64 s[24:25], s[34:35]
	v_mov_b32_e32 v8, v3
.LBB207_36:                             ; =>This Inner Loop Header: Depth=1
	s_load_dwordx8 s[12:19], s[24:25], 0x4
	s_load_dwordx4 s[20:23], s[24:25], 0x24
	s_load_dwordx8 s[4:11], s[2:3], 0x0
	s_add_u32 s24, s24, 48
	s_addc_u32 s25, s25, 0
	s_waitcnt lgkmcnt(0)
	v_mul_hi_u32 v1, s13, v8
	v_add_u32_e32 v1, v8, v1
	v_lshrrev_b32_e32 v1, s14, v1
	v_mul_hi_u32 v7, s16, v1
	v_add_u32_e32 v7, v1, v7
	v_lshrrev_b32_e32 v7, s17, v7
	v_mul_lo_u32 v5, v1, s12
	v_mul_lo_u32 v9, v7, s15
	v_mul_hi_u32 v10, s19, v7
	v_sub_u32_e32 v5, v8, v5
	v_sub_u32_e32 v1, v1, v9
	v_add_u32_e32 v9, v7, v10
	v_mul_lo_u32 v8, v5, s5
	v_mul_lo_u32 v5, v5, s4
	v_mul_lo_u32 v10, v1, s7
	v_mul_lo_u32 v1, v1, s6
	v_lshrrev_b32_e32 v9, s20, v9
	v_add3_u32 v1, v5, v4, v1
	v_add3_u32 v4, v8, v6, v10
	v_mul_hi_u32 v6, s22, v9
	v_add_u32_e32 v6, v9, v6
	v_lshrrev_b32_e32 v8, s23, v6
	s_add_i32 s28, s28, 4
	v_mul_lo_u32 v5, v9, s18
	v_mul_lo_u32 v6, v8, s21
	s_add_u32 s2, s2, 32
	v_sub_u32_e32 v5, v7, v5
	v_sub_u32_e32 v6, v9, v6
	s_addc_u32 s3, s3, 0
	v_mul_lo_u32 v7, v5, s8
	v_mul_lo_u32 v5, v5, s9
	;; [unrolled: 1-line block ×4, first 2 shown]
	s_cmp_lg_u32 s26, s28
	v_add3_u32 v6, v5, v4, v6
	v_add3_u32 v4, v7, v1, v9
	s_cbranch_scc1 .LBB207_36
; %bb.37:
	v_mov_b32_e32 v1, v6
	s_and_b32 s6, s27, 3
	s_cmp_eq_u32 s6, 0
	s_cbranch_scc0 .LBB207_41
	s_branch .LBB207_43
.LBB207_38:
                                        ; implicit-def: $vgpr6
                                        ; implicit-def: $vgpr4
	s_branch .LBB207_44
.LBB207_39:
	v_mov_b32_e32 v6, 0
	v_mov_b32_e32 v4, 0
	s_branch .LBB207_43
.LBB207_40:
	v_mov_b32_e32 v4, 0
                                        ; implicit-def: $vgpr6
	v_mov_b32_e32 v1, v4
	v_mov_b32_e32 v8, v3
	s_and_b32 s6, s27, 3
	s_cmp_eq_u32 s6, 0
	s_cbranch_scc1 .LBB207_43
.LBB207_41:
	s_lshl_b32 s2, s26, 3
	s_add_u32 s2, s34, s2
	s_addc_u32 s3, s35, 0
	s_add_u32 s2, s2, 0xc4
	s_addc_u32 s3, s3, 0
	s_mul_i32 s4, s26, 12
	s_add_u32 s4, s34, s4
	s_addc_u32 s5, s35, 0
.LBB207_42:                             ; =>This Inner Loop Header: Depth=1
	s_load_dwordx2 s[8:9], s[4:5], 0x4
	s_load_dword s7, s[4:5], 0xc
	s_load_dwordx2 s[10:11], s[2:3], 0x0
	v_mov_b32_e32 v6, v1
	s_add_u32 s4, s4, 12
	s_waitcnt lgkmcnt(0)
	v_mul_hi_u32 v1, s9, v8
	v_add_u32_e32 v1, v8, v1
	v_lshrrev_b32_e32 v1, s7, v1
	s_addc_u32 s5, s5, 0
	v_mul_lo_u32 v5, v1, s8
	s_add_u32 s2, s2, 8
	v_sub_u32_e32 v5, v8, v5
	s_addc_u32 s3, s3, 0
	s_add_i32 s6, s6, -1
	v_mad_u64_u32 v[6:7], s[8:9], v5, s11, v[6:7]
	s_cmp_lg_u32 s6, 0
	v_mov_b32_e32 v8, v1
	v_mad_u64_u32 v[4:5], s[8:9], v5, s10, v[4:5]
	v_mov_b32_e32 v1, v6
	s_cbranch_scc1 .LBB207_42
.LBB207_43:
	s_cbranch_execnz .LBB207_46
.LBB207_44:
	s_load_dwordx4 s[4:7], s[34:35], 0x4
	s_load_dwordx2 s[2:3], s[34:35], 0xc4
	s_cmp_lt_u32 s33, 2
	s_waitcnt lgkmcnt(0)
	v_mul_hi_u32 v1, s5, v3
	v_add_u32_e32 v1, v3, v1
	v_lshrrev_b32_e32 v1, s6, v1
	v_mul_lo_u32 v4, v1, s4
	v_sub_u32_e32 v3, v3, v4
	v_mul_lo_u32 v6, v3, s3
	v_mul_lo_u32 v4, v3, s2
	s_cbranch_scc1 .LBB207_46
; %bb.45:
	s_load_dwordx4 s[4:7], s[34:35], 0x10
	s_load_dwordx2 s[2:3], s[34:35], 0xcc
	s_waitcnt lgkmcnt(0)
	v_mul_hi_u32 v3, s5, v1
	v_add_u32_e32 v3, v1, v3
	v_lshrrev_b32_e32 v3, s6, v3
	v_mul_lo_u32 v3, v3, s4
	v_sub_u32_e32 v1, v1, v3
	v_mad_u64_u32 v[4:5], s[4:5], v1, s2, v[4:5]
	v_mad_u64_u32 v[6:7], s[2:3], v1, s3, v[6:7]
.LBB207_46:
	s_and_b64 vcc, exec, s[0:1]
	v_add_u32_e32 v3, 0x100, v24
	s_cbranch_vccnz .LBB207_52
; %bb.47:
	s_cmp_lg_u32 s33, 0
	s_waitcnt lgkmcnt(0)
	s_mov_b32 s26, 0
	s_cbranch_scc0 .LBB207_53
; %bb.48:
	s_min_u32 s27, s54, 15
	s_add_i32 s27, s27, 1
	s_cmp_eq_u32 s54, 2
	s_cbranch_scc1 .LBB207_54
; %bb.49:
	s_and_b32 s26, s27, 28
	s_add_u32 s2, s34, 0xc4
	s_addc_u32 s3, s35, 0
	s_mov_b32 s28, 0
	v_mov_b32_e32 v8, 0
	v_mov_b32_e32 v10, 0
	s_mov_b64 s[24:25], s[34:35]
	v_mov_b32_e32 v5, v3
.LBB207_50:                             ; =>This Inner Loop Header: Depth=1
	s_load_dwordx8 s[12:19], s[24:25], 0x4
	s_load_dwordx4 s[20:23], s[24:25], 0x24
	s_load_dwordx8 s[4:11], s[2:3], 0x0
	s_add_u32 s24, s24, 48
	s_addc_u32 s25, s25, 0
	s_waitcnt lgkmcnt(0)
	v_mul_hi_u32 v1, s13, v5
	v_add_u32_e32 v1, v5, v1
	v_lshrrev_b32_e32 v1, s14, v1
	v_mul_lo_u32 v7, v1, s12
	v_mul_hi_u32 v9, s16, v1
	v_sub_u32_e32 v5, v5, v7
	v_add_u32_e32 v7, v1, v9
	v_lshrrev_b32_e32 v7, s17, v7
	v_mul_lo_u32 v11, v7, s15
	v_mul_hi_u32 v12, s19, v7
	v_sub_u32_e32 v1, v1, v11
	v_add_u32_e32 v11, v7, v12
	v_mul_lo_u32 v9, v5, s5
	v_mul_lo_u32 v5, v5, s4
	;; [unrolled: 1-line block ×4, first 2 shown]
	v_lshrrev_b32_e32 v11, s20, v11
	v_add3_u32 v1, v5, v8, v1
	v_add3_u32 v8, v9, v10, v12
	v_mul_lo_u32 v5, v11, s18
	v_mul_hi_u32 v9, s22, v11
	v_sub_u32_e32 v5, v7, v5
	v_add_u32_e32 v7, v11, v9
	v_mul_lo_u32 v9, v5, s8
	v_mul_lo_u32 v10, v5, s9
	v_lshrrev_b32_e32 v5, s23, v7
	s_add_i32 s28, s28, 4
	v_mul_lo_u32 v7, v5, s21
	s_add_u32 s2, s2, 32
	v_sub_u32_e32 v7, v11, v7
	s_addc_u32 s3, s3, 0
	v_mul_lo_u32 v11, v7, s10
	v_mul_lo_u32 v7, v7, s11
	s_cmp_lg_u32 s26, s28
	v_add3_u32 v10, v10, v8, v7
	v_add3_u32 v8, v9, v1, v11
	s_cbranch_scc1 .LBB207_50
; %bb.51:
	v_mov_b32_e32 v1, v10
	s_and_b32 s6, s27, 3
	s_cmp_eq_u32 s6, 0
	s_cbranch_scc0 .LBB207_55
	s_branch .LBB207_57
.LBB207_52:
                                        ; implicit-def: $vgpr10
                                        ; implicit-def: $vgpr8
	s_branch .LBB207_58
.LBB207_53:
	v_mov_b32_e32 v10, 0
	v_mov_b32_e32 v8, 0
	s_branch .LBB207_57
.LBB207_54:
	v_mov_b32_e32 v8, 0
                                        ; implicit-def: $vgpr10
	v_mov_b32_e32 v1, v8
	v_mov_b32_e32 v5, v3
	s_and_b32 s6, s27, 3
	s_cmp_eq_u32 s6, 0
	s_cbranch_scc1 .LBB207_57
.LBB207_55:
	s_lshl_b32 s2, s26, 3
	s_add_u32 s2, s34, s2
	s_addc_u32 s3, s35, 0
	s_add_u32 s2, s2, 0xc4
	s_addc_u32 s3, s3, 0
	s_mul_i32 s4, s26, 12
	s_add_u32 s4, s34, s4
	s_addc_u32 s5, s35, 0
.LBB207_56:                             ; =>This Inner Loop Header: Depth=1
	s_load_dwordx2 s[8:9], s[4:5], 0x4
	s_load_dword s7, s[4:5], 0xc
	s_load_dwordx2 s[10:11], s[2:3], 0x0
	v_mov_b32_e32 v10, v1
	s_add_u32 s4, s4, 12
	s_waitcnt lgkmcnt(0)
	v_mul_hi_u32 v1, s9, v5
	v_add_u32_e32 v1, v5, v1
	v_lshrrev_b32_e32 v1, s7, v1
	s_addc_u32 s5, s5, 0
	v_mul_lo_u32 v7, v1, s8
	s_add_u32 s2, s2, 8
	v_sub_u32_e32 v7, v5, v7
	s_addc_u32 s3, s3, 0
	s_add_i32 s6, s6, -1
	v_mad_u64_u32 v[10:11], s[8:9], v7, s11, v[10:11]
	s_cmp_lg_u32 s6, 0
	v_mov_b32_e32 v5, v1
	v_mad_u64_u32 v[8:9], s[8:9], v7, s10, v[8:9]
	v_mov_b32_e32 v1, v10
	s_cbranch_scc1 .LBB207_56
.LBB207_57:
	s_cbranch_execnz .LBB207_60
.LBB207_58:
	s_load_dwordx4 s[4:7], s[34:35], 0x4
	s_load_dwordx2 s[2:3], s[34:35], 0xc4
	s_cmp_lt_u32 s33, 2
	s_waitcnt lgkmcnt(0)
	v_mul_hi_u32 v1, s5, v3
	v_add_u32_e32 v1, v3, v1
	v_lshrrev_b32_e32 v1, s6, v1
	v_mul_lo_u32 v5, v1, s4
	v_sub_u32_e32 v3, v3, v5
	v_mul_lo_u32 v10, v3, s3
	v_mul_lo_u32 v8, v3, s2
	s_cbranch_scc1 .LBB207_60
; %bb.59:
	s_load_dwordx4 s[4:7], s[34:35], 0x10
	s_load_dwordx2 s[2:3], s[34:35], 0xcc
	s_waitcnt lgkmcnt(0)
	v_mul_hi_u32 v3, s5, v1
	v_add_u32_e32 v3, v1, v3
	v_lshrrev_b32_e32 v3, s6, v3
	v_mul_lo_u32 v3, v3, s4
	v_sub_u32_e32 v1, v1, v3
	v_mad_u64_u32 v[8:9], s[4:5], v1, s2, v[8:9]
	v_mad_u64_u32 v[10:11], s[2:3], v1, s3, v[10:11]
.LBB207_60:
	s_and_b64 vcc, exec, s[0:1]
	v_add_u32_e32 v3, 0x180, v24
	s_cbranch_vccnz .LBB207_66
; %bb.61:
	s_cmp_lg_u32 s33, 0
	s_waitcnt lgkmcnt(0)
	s_mov_b32 s26, 0
	s_cbranch_scc0 .LBB207_67
; %bb.62:
	s_min_u32 s27, s54, 15
	s_add_i32 s27, s27, 1
	s_cmp_eq_u32 s54, 2
	s_cbranch_scc1 .LBB207_68
; %bb.63:
	s_and_b32 s26, s27, 28
	s_add_u32 s2, s34, 0xc4
	s_addc_u32 s3, s35, 0
	s_mov_b32 s28, 0
	v_mov_b32_e32 v12, 0
	v_mov_b32_e32 v14, 0
	s_mov_b64 s[24:25], s[34:35]
	v_mov_b32_e32 v5, v3
.LBB207_64:                             ; =>This Inner Loop Header: Depth=1
	s_load_dwordx8 s[12:19], s[24:25], 0x4
	s_load_dwordx4 s[20:23], s[24:25], 0x24
	s_load_dwordx8 s[4:11], s[2:3], 0x0
	s_add_u32 s24, s24, 48
	s_addc_u32 s25, s25, 0
	s_waitcnt lgkmcnt(0)
	v_mul_hi_u32 v1, s13, v5
	v_add_u32_e32 v1, v5, v1
	v_lshrrev_b32_e32 v1, s14, v1
	v_mul_lo_u32 v7, v1, s12
	v_mul_hi_u32 v9, s16, v1
	v_sub_u32_e32 v5, v5, v7
	v_add_u32_e32 v7, v1, v9
	v_lshrrev_b32_e32 v7, s17, v7
	v_mul_lo_u32 v11, v7, s15
	v_mul_hi_u32 v13, s19, v7
	v_sub_u32_e32 v1, v1, v11
	v_add_u32_e32 v11, v7, v13
	v_mul_lo_u32 v9, v5, s5
	v_mul_lo_u32 v5, v5, s4
	;; [unrolled: 1-line block ×4, first 2 shown]
	v_lshrrev_b32_e32 v11, s20, v11
	v_add3_u32 v1, v5, v12, v1
	v_mul_lo_u32 v5, v11, s18
	v_mul_hi_u32 v12, s22, v11
	v_sub_u32_e32 v5, v7, v5
	v_add_u32_e32 v7, v11, v12
	v_add3_u32 v9, v9, v14, v13
	v_mul_lo_u32 v12, v5, s8
	v_mul_lo_u32 v13, v5, s9
	v_lshrrev_b32_e32 v5, s23, v7
	s_add_i32 s28, s28, 4
	v_mul_lo_u32 v7, v5, s21
	s_add_u32 s2, s2, 32
	v_sub_u32_e32 v7, v11, v7
	s_addc_u32 s3, s3, 0
	v_mul_lo_u32 v11, v7, s10
	v_mul_lo_u32 v7, v7, s11
	s_cmp_lg_u32 s26, s28
	v_add3_u32 v14, v13, v9, v7
	v_add3_u32 v12, v12, v1, v11
	s_cbranch_scc1 .LBB207_64
; %bb.65:
	v_mov_b32_e32 v1, v14
	s_and_b32 s6, s27, 3
	s_cmp_eq_u32 s6, 0
	s_cbranch_scc0 .LBB207_69
	s_branch .LBB207_71
.LBB207_66:
                                        ; implicit-def: $vgpr14
                                        ; implicit-def: $vgpr12
	s_branch .LBB207_72
.LBB207_67:
	v_mov_b32_e32 v14, 0
	v_mov_b32_e32 v12, 0
	s_branch .LBB207_71
.LBB207_68:
	v_mov_b32_e32 v12, 0
                                        ; implicit-def: $vgpr14
	v_mov_b32_e32 v1, v12
	v_mov_b32_e32 v5, v3
	s_and_b32 s6, s27, 3
	s_cmp_eq_u32 s6, 0
	s_cbranch_scc1 .LBB207_71
.LBB207_69:
	s_lshl_b32 s2, s26, 3
	s_add_u32 s2, s34, s2
	s_addc_u32 s3, s35, 0
	s_add_u32 s2, s2, 0xc4
	s_addc_u32 s3, s3, 0
	s_mul_i32 s4, s26, 12
	s_add_u32 s4, s34, s4
	s_addc_u32 s5, s35, 0
.LBB207_70:                             ; =>This Inner Loop Header: Depth=1
	s_load_dwordx2 s[8:9], s[4:5], 0x4
	s_load_dword s7, s[4:5], 0xc
	s_load_dwordx2 s[10:11], s[2:3], 0x0
	v_mov_b32_e32 v14, v1
	s_add_u32 s4, s4, 12
	s_waitcnt lgkmcnt(0)
	v_mul_hi_u32 v1, s9, v5
	v_add_u32_e32 v1, v5, v1
	v_lshrrev_b32_e32 v1, s7, v1
	s_addc_u32 s5, s5, 0
	v_mul_lo_u32 v7, v1, s8
	s_add_u32 s2, s2, 8
	v_sub_u32_e32 v7, v5, v7
	s_addc_u32 s3, s3, 0
	s_add_i32 s6, s6, -1
	v_mad_u64_u32 v[14:15], s[8:9], v7, s11, v[14:15]
	s_cmp_lg_u32 s6, 0
	v_mov_b32_e32 v5, v1
	v_mad_u64_u32 v[12:13], s[8:9], v7, s10, v[12:13]
	v_mov_b32_e32 v1, v14
	s_cbranch_scc1 .LBB207_70
.LBB207_71:
	s_cbranch_execnz .LBB207_74
.LBB207_72:
	s_load_dwordx4 s[4:7], s[34:35], 0x4
	s_load_dwordx2 s[2:3], s[34:35], 0xc4
	s_cmp_lt_u32 s33, 2
	s_waitcnt lgkmcnt(0)
	v_mul_hi_u32 v1, s5, v3
	v_add_u32_e32 v1, v3, v1
	v_lshrrev_b32_e32 v1, s6, v1
	v_mul_lo_u32 v5, v1, s4
	v_sub_u32_e32 v3, v3, v5
	v_mul_lo_u32 v14, v3, s3
	v_mul_lo_u32 v12, v3, s2
	s_cbranch_scc1 .LBB207_74
; %bb.73:
	s_load_dwordx4 s[4:7], s[34:35], 0x10
	s_load_dwordx2 s[2:3], s[34:35], 0xcc
	s_waitcnt lgkmcnt(0)
	v_mul_hi_u32 v3, s5, v1
	v_add_u32_e32 v3, v1, v3
	v_lshrrev_b32_e32 v3, s6, v3
	v_mul_lo_u32 v3, v3, s4
	v_sub_u32_e32 v1, v1, v3
	v_mad_u64_u32 v[12:13], s[4:5], v1, s2, v[12:13]
	v_mad_u64_u32 v[14:15], s[2:3], v1, s3, v[14:15]
.LBB207_74:
	s_and_b64 vcc, exec, s[0:1]
	v_add_u32_e32 v3, 0x200, v24
	s_cbranch_vccnz .LBB207_80
; %bb.75:
	s_cmp_lg_u32 s33, 0
	s_waitcnt lgkmcnt(0)
	s_mov_b32 s26, 0
	s_cbranch_scc0 .LBB207_81
; %bb.76:
	s_min_u32 s27, s54, 15
	s_add_i32 s27, s27, 1
	s_cmp_eq_u32 s54, 2
	s_cbranch_scc1 .LBB207_82
; %bb.77:
	s_and_b32 s26, s27, 28
	s_add_u32 s2, s34, 0xc4
	s_addc_u32 s3, s35, 0
	s_mov_b32 s28, 0
	v_mov_b32_e32 v16, 0
	v_mov_b32_e32 v18, 0
	s_mov_b64 s[24:25], s[34:35]
	v_mov_b32_e32 v5, v3
.LBB207_78:                             ; =>This Inner Loop Header: Depth=1
	s_load_dwordx8 s[12:19], s[24:25], 0x4
	s_load_dwordx4 s[20:23], s[24:25], 0x24
	s_load_dwordx8 s[4:11], s[2:3], 0x0
	s_add_u32 s24, s24, 48
	s_addc_u32 s25, s25, 0
	s_waitcnt lgkmcnt(0)
	v_mul_hi_u32 v1, s13, v5
	v_add_u32_e32 v1, v5, v1
	v_lshrrev_b32_e32 v1, s14, v1
	v_mul_lo_u32 v7, v1, s12
	v_mul_hi_u32 v9, s16, v1
	v_sub_u32_e32 v5, v5, v7
	v_add_u32_e32 v7, v1, v9
	v_lshrrev_b32_e32 v7, s17, v7
	v_mul_lo_u32 v11, v7, s15
	v_mul_hi_u32 v13, s19, v7
	v_sub_u32_e32 v1, v1, v11
	v_add_u32_e32 v11, v7, v13
	v_mul_lo_u32 v9, v5, s5
	v_mul_lo_u32 v5, v5, s4
	;; [unrolled: 1-line block ×4, first 2 shown]
	v_lshrrev_b32_e32 v11, s20, v11
	v_add3_u32 v1, v5, v16, v1
	v_add3_u32 v9, v9, v18, v13
	v_mul_lo_u32 v5, v11, s18
	v_mul_hi_u32 v13, s22, v11
	v_sub_u32_e32 v5, v7, v5
	v_add_u32_e32 v7, v11, v13
	v_mul_lo_u32 v13, v5, s8
	v_mul_lo_u32 v15, v5, s9
	v_lshrrev_b32_e32 v5, s23, v7
	s_add_i32 s28, s28, 4
	v_mul_lo_u32 v7, v5, s21
	s_add_u32 s2, s2, 32
	v_sub_u32_e32 v7, v11, v7
	s_addc_u32 s3, s3, 0
	v_mul_lo_u32 v11, v7, s10
	v_mul_lo_u32 v7, v7, s11
	s_cmp_lg_u32 s26, s28
	v_add3_u32 v18, v15, v9, v7
	v_add3_u32 v16, v13, v1, v11
	s_cbranch_scc1 .LBB207_78
; %bb.79:
	v_mov_b32_e32 v1, v18
	s_and_b32 s6, s27, 3
	s_cmp_eq_u32 s6, 0
	s_cbranch_scc0 .LBB207_83
	s_branch .LBB207_85
.LBB207_80:
                                        ; implicit-def: $vgpr18
                                        ; implicit-def: $vgpr16
	s_branch .LBB207_86
.LBB207_81:
	v_mov_b32_e32 v18, 0
	v_mov_b32_e32 v16, 0
	s_branch .LBB207_85
.LBB207_82:
	v_mov_b32_e32 v16, 0
                                        ; implicit-def: $vgpr18
	v_mov_b32_e32 v1, v16
	v_mov_b32_e32 v5, v3
	s_and_b32 s6, s27, 3
	s_cmp_eq_u32 s6, 0
	s_cbranch_scc1 .LBB207_85
.LBB207_83:
	s_lshl_b32 s2, s26, 3
	s_add_u32 s2, s34, s2
	s_addc_u32 s3, s35, 0
	s_add_u32 s2, s2, 0xc4
	s_addc_u32 s3, s3, 0
	s_mul_i32 s4, s26, 12
	s_add_u32 s4, s34, s4
	s_addc_u32 s5, s35, 0
.LBB207_84:                             ; =>This Inner Loop Header: Depth=1
	s_load_dwordx2 s[8:9], s[4:5], 0x4
	s_load_dword s7, s[4:5], 0xc
	s_load_dwordx2 s[10:11], s[2:3], 0x0
	v_mov_b32_e32 v18, v1
	s_add_u32 s4, s4, 12
	s_waitcnt lgkmcnt(0)
	v_mul_hi_u32 v1, s9, v5
	v_add_u32_e32 v1, v5, v1
	v_lshrrev_b32_e32 v1, s7, v1
	s_addc_u32 s5, s5, 0
	v_mul_lo_u32 v7, v1, s8
	s_add_u32 s2, s2, 8
	v_sub_u32_e32 v7, v5, v7
	s_addc_u32 s3, s3, 0
	s_add_i32 s6, s6, -1
	v_mad_u64_u32 v[18:19], s[8:9], v7, s11, v[18:19]
	s_cmp_lg_u32 s6, 0
	v_mov_b32_e32 v5, v1
	v_mad_u64_u32 v[16:17], s[8:9], v7, s10, v[16:17]
	v_mov_b32_e32 v1, v18
	s_cbranch_scc1 .LBB207_84
.LBB207_85:
	s_cbranch_execnz .LBB207_88
.LBB207_86:
	s_load_dwordx4 s[4:7], s[34:35], 0x4
	s_load_dwordx2 s[2:3], s[34:35], 0xc4
	s_cmp_lt_u32 s33, 2
	s_waitcnt lgkmcnt(0)
	v_mul_hi_u32 v1, s5, v3
	v_add_u32_e32 v1, v3, v1
	v_lshrrev_b32_e32 v1, s6, v1
	v_mul_lo_u32 v5, v1, s4
	v_sub_u32_e32 v3, v3, v5
	v_mul_lo_u32 v18, v3, s3
	v_mul_lo_u32 v16, v3, s2
	s_cbranch_scc1 .LBB207_88
; %bb.87:
	s_load_dwordx4 s[4:7], s[34:35], 0x10
	s_load_dwordx2 s[2:3], s[34:35], 0xcc
	s_waitcnt lgkmcnt(0)
	v_mul_hi_u32 v3, s5, v1
	v_add_u32_e32 v3, v1, v3
	v_lshrrev_b32_e32 v3, s6, v3
	v_mul_lo_u32 v3, v3, s4
	v_sub_u32_e32 v1, v1, v3
	v_mad_u64_u32 v[16:17], s[4:5], v1, s2, v[16:17]
	v_mad_u64_u32 v[18:19], s[2:3], v1, s3, v[18:19]
.LBB207_88:
	s_and_b64 vcc, exec, s[0:1]
	v_add_u32_e32 v3, 0x280, v24
	s_cbranch_vccnz .LBB207_94
; %bb.89:
	s_cmp_lg_u32 s33, 0
	s_waitcnt lgkmcnt(0)
	s_mov_b32 s26, 0
	s_cbranch_scc0 .LBB207_95
; %bb.90:
	s_min_u32 s27, s54, 15
	s_add_i32 s27, s27, 1
	s_cmp_eq_u32 s54, 2
	s_cbranch_scc1 .LBB207_96
; %bb.91:
	s_and_b32 s26, s27, 28
	s_add_u32 s2, s34, 0xc4
	s_addc_u32 s3, s35, 0
	s_mov_b32 s28, 0
	v_mov_b32_e32 v20, 0
	v_mov_b32_e32 v22, 0
	s_mov_b64 s[24:25], s[34:35]
	v_mov_b32_e32 v5, v3
.LBB207_92:                             ; =>This Inner Loop Header: Depth=1
	s_load_dwordx8 s[12:19], s[24:25], 0x4
	s_load_dwordx4 s[20:23], s[24:25], 0x24
	s_load_dwordx8 s[4:11], s[2:3], 0x0
	s_add_u32 s24, s24, 48
	s_addc_u32 s25, s25, 0
	s_waitcnt lgkmcnt(0)
	v_mul_hi_u32 v1, s13, v5
	v_add_u32_e32 v1, v5, v1
	v_lshrrev_b32_e32 v1, s14, v1
	v_mul_lo_u32 v7, v1, s12
	v_mul_hi_u32 v9, s16, v1
	v_sub_u32_e32 v5, v5, v7
	v_add_u32_e32 v7, v1, v9
	v_lshrrev_b32_e32 v7, s17, v7
	v_mul_lo_u32 v11, v7, s15
	v_mul_hi_u32 v13, s19, v7
	v_sub_u32_e32 v1, v1, v11
	v_add_u32_e32 v11, v7, v13
	v_mul_lo_u32 v9, v5, s5
	v_mul_lo_u32 v5, v5, s4
	;; [unrolled: 1-line block ×4, first 2 shown]
	v_lshrrev_b32_e32 v11, s20, v11
	v_add3_u32 v1, v5, v20, v1
	v_add3_u32 v9, v9, v22, v13
	v_mul_lo_u32 v5, v11, s18
	v_mul_hi_u32 v13, s22, v11
	v_sub_u32_e32 v5, v7, v5
	v_add_u32_e32 v7, v11, v13
	v_mul_lo_u32 v13, v5, s8
	v_mul_lo_u32 v15, v5, s9
	v_lshrrev_b32_e32 v5, s23, v7
	s_add_i32 s28, s28, 4
	v_mul_lo_u32 v7, v5, s21
	s_add_u32 s2, s2, 32
	v_sub_u32_e32 v7, v11, v7
	s_addc_u32 s3, s3, 0
	v_mul_lo_u32 v11, v7, s10
	v_mul_lo_u32 v7, v7, s11
	s_cmp_lg_u32 s26, s28
	v_add3_u32 v22, v15, v9, v7
	v_add3_u32 v20, v13, v1, v11
	s_cbranch_scc1 .LBB207_92
; %bb.93:
	v_mov_b32_e32 v1, v22
	s_and_b32 s6, s27, 3
	s_cmp_eq_u32 s6, 0
	s_cbranch_scc0 .LBB207_97
	s_branch .LBB207_99
.LBB207_94:
                                        ; implicit-def: $vgpr22
                                        ; implicit-def: $vgpr20
	s_branch .LBB207_100
.LBB207_95:
	v_mov_b32_e32 v22, 0
	v_mov_b32_e32 v20, 0
	s_branch .LBB207_99
.LBB207_96:
	v_mov_b32_e32 v20, 0
                                        ; implicit-def: $vgpr22
	v_mov_b32_e32 v1, v20
	v_mov_b32_e32 v5, v3
	s_and_b32 s6, s27, 3
	s_cmp_eq_u32 s6, 0
	s_cbranch_scc1 .LBB207_99
.LBB207_97:
	s_lshl_b32 s2, s26, 3
	s_add_u32 s2, s34, s2
	s_addc_u32 s3, s35, 0
	s_add_u32 s2, s2, 0xc4
	s_addc_u32 s3, s3, 0
	s_mul_i32 s4, s26, 12
	s_add_u32 s4, s34, s4
	s_addc_u32 s5, s35, 0
.LBB207_98:                             ; =>This Inner Loop Header: Depth=1
	s_load_dwordx2 s[8:9], s[4:5], 0x4
	s_load_dword s7, s[4:5], 0xc
	s_load_dwordx2 s[10:11], s[2:3], 0x0
	v_mov_b32_e32 v22, v1
	s_add_u32 s4, s4, 12
	s_waitcnt lgkmcnt(0)
	v_mul_hi_u32 v1, s9, v5
	v_add_u32_e32 v1, v5, v1
	v_lshrrev_b32_e32 v1, s7, v1
	s_addc_u32 s5, s5, 0
	v_mul_lo_u32 v7, v1, s8
	s_add_u32 s2, s2, 8
	v_sub_u32_e32 v7, v5, v7
	s_addc_u32 s3, s3, 0
	s_add_i32 s6, s6, -1
	v_mad_u64_u32 v[22:23], s[8:9], v7, s11, v[22:23]
	s_cmp_lg_u32 s6, 0
	v_mov_b32_e32 v5, v1
	v_mad_u64_u32 v[20:21], s[8:9], v7, s10, v[20:21]
	v_mov_b32_e32 v1, v22
	s_cbranch_scc1 .LBB207_98
.LBB207_99:
	s_cbranch_execnz .LBB207_102
.LBB207_100:
	s_load_dwordx4 s[4:7], s[34:35], 0x4
	s_load_dwordx2 s[2:3], s[34:35], 0xc4
	s_cmp_lt_u32 s33, 2
	s_waitcnt lgkmcnt(0)
	v_mul_hi_u32 v1, s5, v3
	v_add_u32_e32 v1, v3, v1
	v_lshrrev_b32_e32 v1, s6, v1
	v_mul_lo_u32 v5, v1, s4
	v_sub_u32_e32 v3, v3, v5
	v_mul_lo_u32 v22, v3, s3
	v_mul_lo_u32 v20, v3, s2
	s_cbranch_scc1 .LBB207_102
; %bb.101:
	s_load_dwordx4 s[4:7], s[34:35], 0x10
	s_load_dwordx2 s[2:3], s[34:35], 0xcc
	s_waitcnt lgkmcnt(0)
	v_mul_hi_u32 v3, s5, v1
	v_add_u32_e32 v3, v1, v3
	v_lshrrev_b32_e32 v3, s6, v3
	v_mul_lo_u32 v3, v3, s4
	v_sub_u32_e32 v1, v1, v3
	v_mad_u64_u32 v[20:21], s[4:5], v1, s2, v[20:21]
	v_mad_u64_u32 v[22:23], s[2:3], v1, s3, v[22:23]
.LBB207_102:
	s_and_b64 vcc, exec, s[0:1]
	v_add_u32_e32 v3, 0x300, v24
	s_cbranch_vccnz .LBB207_108
; %bb.103:
	s_cmp_lg_u32 s33, 0
	s_waitcnt lgkmcnt(0)
	s_mov_b32 s26, 0
	s_cbranch_scc0 .LBB207_109
; %bb.104:
	s_min_u32 s27, s54, 15
	s_add_i32 s27, s27, 1
	s_cmp_eq_u32 s54, 2
	s_cbranch_scc1 .LBB207_110
; %bb.105:
	s_and_b32 s26, s27, 28
	s_add_u32 s2, s34, 0xc4
	s_addc_u32 s3, s35, 0
	s_mov_b32 s28, 0
	v_mov_b32_e32 v24, 0
	v_mov_b32_e32 v26, 0
	s_mov_b64 s[24:25], s[34:35]
	v_mov_b32_e32 v5, v3
.LBB207_106:                            ; =>This Inner Loop Header: Depth=1
	s_load_dwordx8 s[12:19], s[24:25], 0x4
	s_load_dwordx4 s[20:23], s[24:25], 0x24
	s_load_dwordx8 s[4:11], s[2:3], 0x0
	s_add_u32 s24, s24, 48
	s_addc_u32 s25, s25, 0
	s_waitcnt lgkmcnt(0)
	v_mul_hi_u32 v1, s13, v5
	v_add_u32_e32 v1, v5, v1
	v_lshrrev_b32_e32 v1, s14, v1
	v_mul_lo_u32 v7, v1, s12
	v_mul_hi_u32 v9, s16, v1
	v_sub_u32_e32 v5, v5, v7
	v_add_u32_e32 v7, v1, v9
	v_lshrrev_b32_e32 v7, s17, v7
	v_mul_lo_u32 v11, v7, s15
	v_mul_hi_u32 v13, s19, v7
	v_sub_u32_e32 v1, v1, v11
	v_add_u32_e32 v11, v7, v13
	v_mul_lo_u32 v9, v5, s5
	v_mul_lo_u32 v5, v5, s4
	v_mul_lo_u32 v13, v1, s7
	v_mul_lo_u32 v1, v1, s6
	v_lshrrev_b32_e32 v11, s20, v11
	v_add3_u32 v1, v5, v24, v1
	v_add3_u32 v9, v9, v26, v13
	v_mul_lo_u32 v5, v11, s18
	v_mul_hi_u32 v13, s22, v11
	v_sub_u32_e32 v5, v7, v5
	v_add_u32_e32 v7, v11, v13
	v_mul_lo_u32 v13, v5, s8
	v_mul_lo_u32 v15, v5, s9
	v_lshrrev_b32_e32 v5, s23, v7
	s_add_i32 s28, s28, 4
	v_mul_lo_u32 v7, v5, s21
	s_add_u32 s2, s2, 32
	v_sub_u32_e32 v7, v11, v7
	s_addc_u32 s3, s3, 0
	v_mul_lo_u32 v11, v7, s10
	v_mul_lo_u32 v7, v7, s11
	s_cmp_lg_u32 s26, s28
	v_add3_u32 v26, v15, v9, v7
	v_add3_u32 v24, v13, v1, v11
	s_cbranch_scc1 .LBB207_106
; %bb.107:
	v_mov_b32_e32 v1, v26
	s_and_b32 s6, s27, 3
	s_cmp_eq_u32 s6, 0
	s_cbranch_scc0 .LBB207_111
	s_branch .LBB207_113
.LBB207_108:
                                        ; implicit-def: $vgpr26
                                        ; implicit-def: $vgpr24
	s_branch .LBB207_114
.LBB207_109:
	v_mov_b32_e32 v26, 0
	v_mov_b32_e32 v24, 0
	s_branch .LBB207_113
.LBB207_110:
	v_mov_b32_e32 v24, 0
                                        ; implicit-def: $vgpr26
	v_mov_b32_e32 v1, v24
	v_mov_b32_e32 v5, v3
	s_and_b32 s6, s27, 3
	s_cmp_eq_u32 s6, 0
	s_cbranch_scc1 .LBB207_113
.LBB207_111:
	s_lshl_b32 s2, s26, 3
	s_add_u32 s2, s34, s2
	s_addc_u32 s3, s35, 0
	s_add_u32 s2, s2, 0xc4
	s_addc_u32 s3, s3, 0
	s_mul_i32 s4, s26, 12
	s_add_u32 s4, s34, s4
	s_addc_u32 s5, s35, 0
.LBB207_112:                            ; =>This Inner Loop Header: Depth=1
	s_load_dwordx2 s[8:9], s[4:5], 0x4
	s_load_dword s7, s[4:5], 0xc
	s_load_dwordx2 s[10:11], s[2:3], 0x0
	v_mov_b32_e32 v26, v1
	s_add_u32 s4, s4, 12
	s_waitcnt lgkmcnt(0)
	v_mul_hi_u32 v1, s9, v5
	v_add_u32_e32 v1, v5, v1
	v_lshrrev_b32_e32 v1, s7, v1
	s_addc_u32 s5, s5, 0
	v_mul_lo_u32 v7, v1, s8
	s_add_u32 s2, s2, 8
	v_sub_u32_e32 v7, v5, v7
	s_addc_u32 s3, s3, 0
	s_add_i32 s6, s6, -1
	v_mad_u64_u32 v[26:27], s[8:9], v7, s11, v[26:27]
	s_cmp_lg_u32 s6, 0
	v_mov_b32_e32 v5, v1
	v_mad_u64_u32 v[24:25], s[8:9], v7, s10, v[24:25]
	v_mov_b32_e32 v1, v26
	s_cbranch_scc1 .LBB207_112
.LBB207_113:
	s_cbranch_execnz .LBB207_116
.LBB207_114:
	s_load_dwordx4 s[4:7], s[34:35], 0x4
	s_load_dwordx2 s[2:3], s[34:35], 0xc4
	s_cmp_lt_u32 s33, 2
	s_waitcnt lgkmcnt(0)
	v_mul_hi_u32 v1, s5, v3
	v_add_u32_e32 v1, v3, v1
	v_lshrrev_b32_e32 v1, s6, v1
	v_mul_lo_u32 v5, v1, s4
	v_sub_u32_e32 v3, v3, v5
	v_mul_lo_u32 v26, v3, s3
	v_mul_lo_u32 v24, v3, s2
	s_cbranch_scc1 .LBB207_116
; %bb.115:
	s_load_dwordx4 s[4:7], s[34:35], 0x10
	s_load_dwordx2 s[2:3], s[34:35], 0xcc
	s_waitcnt lgkmcnt(0)
	v_mul_hi_u32 v3, s5, v1
	v_add_u32_e32 v3, v1, v3
	v_lshrrev_b32_e32 v3, s6, v3
	v_mul_lo_u32 v3, v3, s4
	v_sub_u32_e32 v1, v1, v3
	v_mad_u64_u32 v[24:25], s[4:5], v1, s2, v[24:25]
	v_mad_u64_u32 v[26:27], s[2:3], v1, s3, v[26:27]
.LBB207_116:
	s_and_b64 vcc, exec, s[0:1]
	s_cbranch_vccnz .LBB207_122
; %bb.117:
	s_cmp_lg_u32 s33, 0
	s_waitcnt lgkmcnt(0)
	s_mov_b32 s24, 0
	s_cbranch_scc0 .LBB207_123
; %bb.118:
	s_min_u32 s25, s54, 15
	s_add_i32 s25, s25, 1
	s_cmp_eq_u32 s54, 2
	s_cbranch_scc1 .LBB207_124
; %bb.119:
	s_and_b32 s24, s25, 28
	s_add_u32 s20, s34, 0xc4
	s_addc_u32 s21, s35, 0
	s_mov_b32 s26, 0
	v_mov_b32_e32 v28, 0
	v_mov_b32_e32 v30, 0
	s_mov_b64 s[22:23], s[34:35]
	v_mov_b32_e32 v3, v32
.LBB207_120:                            ; =>This Inner Loop Header: Depth=1
	s_load_dwordx8 s[8:15], s[22:23], 0x4
	s_load_dwordx4 s[16:19], s[22:23], 0x24
	s_load_dwordx8 s[0:7], s[20:21], 0x0
	s_add_u32 s22, s22, 48
	s_addc_u32 s23, s23, 0
	s_waitcnt lgkmcnt(0)
	v_mul_hi_u32 v1, s9, v3
	v_add_u32_e32 v1, v3, v1
	v_lshrrev_b32_e32 v1, s10, v1
	v_mul_lo_u32 v5, v1, s8
	v_mul_hi_u32 v7, s12, v1
	v_sub_u32_e32 v3, v3, v5
	v_add_u32_e32 v5, v1, v7
	v_lshrrev_b32_e32 v5, s13, v5
	v_mul_lo_u32 v9, v5, s11
	v_mul_hi_u32 v11, s15, v5
	v_sub_u32_e32 v1, v1, v9
	v_add_u32_e32 v9, v5, v11
	v_mul_lo_u32 v7, v3, s1
	v_mul_lo_u32 v3, v3, s0
	;; [unrolled: 1-line block ×4, first 2 shown]
	v_lshrrev_b32_e32 v9, s16, v9
	v_add3_u32 v1, v3, v28, v1
	v_add3_u32 v7, v7, v30, v11
	v_mul_lo_u32 v3, v9, s14
	v_mul_hi_u32 v11, s18, v9
	v_sub_u32_e32 v3, v5, v3
	v_add_u32_e32 v5, v9, v11
	v_mul_lo_u32 v11, v3, s4
	v_mul_lo_u32 v13, v3, s5
	v_lshrrev_b32_e32 v3, s19, v5
	s_add_i32 s26, s26, 4
	v_mul_lo_u32 v5, v3, s17
	s_add_u32 s20, s20, 32
	v_sub_u32_e32 v5, v9, v5
	s_addc_u32 s21, s21, 0
	v_mul_lo_u32 v9, v5, s6
	v_mul_lo_u32 v5, v5, s7
	s_cmp_lg_u32 s24, s26
	v_add3_u32 v30, v13, v7, v5
	v_add3_u32 v28, v11, v1, v9
	s_cbranch_scc1 .LBB207_120
; %bb.121:
	v_mov_b32_e32 v1, v30
	s_and_b32 s4, s25, 3
	s_cmp_eq_u32 s4, 0
	s_cbranch_scc0 .LBB207_125
	s_branch .LBB207_127
.LBB207_122:
                                        ; implicit-def: $vgpr30
                                        ; implicit-def: $vgpr28
	s_branch .LBB207_128
.LBB207_123:
	v_mov_b32_e32 v30, 0
	v_mov_b32_e32 v28, 0
	s_branch .LBB207_127
.LBB207_124:
	v_mov_b32_e32 v28, 0
                                        ; implicit-def: $vgpr30
	v_mov_b32_e32 v1, v28
	v_mov_b32_e32 v3, v32
	s_and_b32 s4, s25, 3
	s_cmp_eq_u32 s4, 0
	s_cbranch_scc1 .LBB207_127
.LBB207_125:
	s_lshl_b32 s0, s24, 3
	s_add_u32 s0, s34, s0
	s_addc_u32 s1, s35, 0
	s_add_u32 s0, s0, 0xc4
	s_addc_u32 s1, s1, 0
	s_mul_i32 s2, s24, 12
	s_add_u32 s2, s34, s2
	s_addc_u32 s3, s35, 0
.LBB207_126:                            ; =>This Inner Loop Header: Depth=1
	s_load_dwordx2 s[6:7], s[2:3], 0x4
	s_load_dword s5, s[2:3], 0xc
	s_load_dwordx2 s[8:9], s[0:1], 0x0
	v_mov_b32_e32 v30, v1
	s_add_u32 s2, s2, 12
	s_waitcnt lgkmcnt(0)
	v_mul_hi_u32 v1, s7, v3
	v_add_u32_e32 v1, v3, v1
	v_lshrrev_b32_e32 v1, s5, v1
	s_addc_u32 s3, s3, 0
	v_mul_lo_u32 v5, v1, s6
	s_add_u32 s0, s0, 8
	v_sub_u32_e32 v5, v3, v5
	s_addc_u32 s1, s1, 0
	s_add_i32 s4, s4, -1
	v_mad_u64_u32 v[30:31], s[6:7], v5, s9, v[30:31]
	s_cmp_lg_u32 s4, 0
	v_mov_b32_e32 v3, v1
	v_mad_u64_u32 v[28:29], s[6:7], v5, s8, v[28:29]
	v_mov_b32_e32 v1, v30
	s_cbranch_scc1 .LBB207_126
.LBB207_127:
	s_cbranch_execnz .LBB207_130
.LBB207_128:
	s_load_dwordx4 s[0:3], s[34:35], 0x4
	s_load_dwordx2 s[4:5], s[34:35], 0xc4
	s_cmp_lt_u32 s33, 2
	s_waitcnt lgkmcnt(0)
	v_mul_hi_u32 v1, s1, v32
	v_add_u32_e32 v1, v32, v1
	v_lshrrev_b32_e32 v1, s2, v1
	v_mul_lo_u32 v3, v1, s0
	v_sub_u32_e32 v3, v32, v3
	v_mul_lo_u32 v30, v3, s5
	v_mul_lo_u32 v28, v3, s4
	s_cbranch_scc1 .LBB207_130
; %bb.129:
	s_load_dwordx4 s[0:3], s[34:35], 0x10
	s_load_dwordx2 s[4:5], s[34:35], 0xcc
	s_waitcnt lgkmcnt(0)
	v_mul_hi_u32 v3, s1, v1
	v_add_u32_e32 v3, v1, v3
	v_lshrrev_b32_e32 v3, s2, v3
	v_mul_lo_u32 v3, v3, s0
	v_sub_u32_e32 v1, v1, v3
	v_mad_u64_u32 v[28:29], s[0:1], v1, s4, v[28:29]
	v_mad_u64_u32 v[30:31], s[0:1], v1, s5, v[30:31]
.LBB207_130:
	s_load_dwordx4 s[0:3], s[34:35], 0x148
	s_mov_b32 s4, 0
	s_mov_b32 s5, 0x3fd80000
	v_mov_b32_e32 v13, 0x180
	s_movk_i32 s6, 0x7fff
	s_waitcnt lgkmcnt(0)
	global_load_ushort v1, v2, s[2:3]
	global_load_ushort v3, v6, s[2:3]
	;; [unrolled: 1-line block ×8, first 2 shown]
	v_mov_b32_e32 v17, 0x7fc0
	s_waitcnt vmcnt(7)
	v_lshlrev_b32_e32 v1, 16, v1
	s_waitcnt vmcnt(6)
	v_lshlrev_b32_e32 v6, 16, v3
	v_cvt_f64_f32_e32 v[2:3], v1
	s_waitcnt vmcnt(5)
	v_lshlrev_b32_e32 v5, 16, v5
	s_waitcnt vmcnt(4)
	v_lshlrev_b32_e32 v14, 16, v7
	v_cvt_f64_f32_e32 v[6:7], v6
	v_rsq_f64_e32 v[26:27], v[2:3]
	s_waitcnt vmcnt(2)
	v_lshlrev_b32_e32 v22, 16, v11
	v_cvt_f64_f32_e32 v[10:11], v5
	v_rsq_f64_e32 v[30:31], v[6:7]
	v_lshlrev_b32_e32 v9, 16, v9
	v_cvt_f64_f32_e32 v[14:15], v14
	v_rsq_f64_e32 v[32:33], v[10:11]
	v_cvt_f64_f32_e32 v[18:19], v9
	v_rsq_f64_e32 v[34:35], v[14:15]
	v_rsq_f64_e32 v[36:37], v[18:19]
	v_mul_f64 v[2:3], v[26:27], -v[2:3]
	v_mul_f64 v[6:7], v[30:31], -v[6:7]
	v_fma_f64 v[2:3], v[2:3], v[26:27], 1.0
	v_mul_f64 v[10:11], v[32:33], -v[10:11]
	v_fma_f64 v[6:7], v[6:7], v[30:31], 1.0
	v_mul_f64 v[40:41], v[26:27], v[2:3]
	v_fma_f64 v[2:3], v[2:3], s[4:5], 0.5
	v_mul_f64 v[14:15], v[34:35], -v[14:15]
	v_fma_f64 v[10:11], v[10:11], v[32:33], 1.0
	v_mul_f64 v[42:43], v[30:31], v[6:7]
	v_fma_f64 v[6:7], v[6:7], s[4:5], 0.5
	v_fma_f64 v[2:3], v[40:41], v[2:3], v[26:27]
	v_cmp_class_f64_e32 vcc, v[26:27], v13
	v_mul_f64 v[18:19], v[36:37], -v[18:19]
	v_fma_f64 v[14:15], v[14:15], v[34:35], 1.0
	v_mul_f64 v[44:45], v[32:33], v[10:11]
	v_fma_f64 v[10:11], v[10:11], s[4:5], 0.5
	v_fma_f64 v[6:7], v[42:43], v[6:7], v[30:31]
	v_cndmask_b32_e32 v3, v27, v3, vcc
	v_cndmask_b32_e32 v2, v26, v2, vcc
	v_cmp_class_f64_e32 vcc, v[30:31], v13
	v_cvt_f64_f32_e32 v[22:23], v22
	v_fma_f64 v[18:19], v[18:19], v[36:37], 1.0
	v_mul_f64 v[46:47], v[34:35], v[14:15]
	v_fma_f64 v[14:15], v[14:15], s[4:5], 0.5
	v_fma_f64 v[10:11], v[44:45], v[10:11], v[32:33]
	v_cndmask_b32_e32 v7, v31, v7, vcc
	v_cndmask_b32_e32 v6, v30, v6, vcc
	v_cmp_class_f64_e32 vcc, v[32:33], v13
	v_cvt_f32_f64_e32 v1, v[2:3]
	v_rsq_f64_e32 v[38:39], v[22:23]
	v_mul_f64 v[48:49], v[36:37], v[18:19]
	v_fma_f64 v[18:19], v[18:19], s[4:5], 0.5
	v_fma_f64 v[14:15], v[46:47], v[14:15], v[34:35]
	v_cndmask_b32_e32 v11, v33, v11, vcc
	v_cndmask_b32_e32 v10, v32, v10, vcc
	v_cmp_class_f64_e32 vcc, v[34:35], v13
	v_cvt_f32_f64_e32 v2, v[6:7]
	v_bfe_u32 v7, v1, 16, 1
	v_fma_f64 v[18:19], v[48:49], v[18:19], v[36:37]
	v_cndmask_b32_e32 v15, v35, v15, vcc
	v_cndmask_b32_e32 v14, v34, v14, vcc
	v_cmp_class_f64_e32 vcc, v[36:37], v13
	v_cvt_f32_f64_e32 v3, v[10:11]
	v_bfe_u32 v9, v2, 16, 1
	v_add3_u32 v7, v1, v7, s6
	v_cndmask_b32_e32 v19, v37, v19, vcc
	v_cndmask_b32_e32 v18, v36, v18, vcc
	v_cvt_f32_f64_e32 v5, v[14:15]
	v_bfe_u32 v10, v3, 16, 1
	v_add3_u32 v9, v2, v9, s6
	v_lshrrev_b32_e32 v7, 16, v7
	v_cmp_o_f32_e32 vcc, v1, v1
	v_cvt_f32_f64_e32 v6, v[18:19]
	v_bfe_u32 v11, v5, 16, 1
	v_add3_u32 v10, v3, v10, s6
	v_lshrrev_b32_e32 v9, 16, v9
	v_cndmask_b32_e32 v1, v17, v7, vcc
	v_cmp_o_f32_e32 vcc, v2, v2
	v_bfe_u32 v14, v6, 16, 1
	v_add3_u32 v11, v5, v11, s6
	v_lshrrev_b32_e32 v10, 16, v10
	v_cndmask_b32_e32 v9, v17, v9, vcc
	v_cmp_o_f32_e32 vcc, v3, v3
	v_mul_f64 v[2:3], v[38:39], -v[22:23]
	v_add3_u32 v14, v6, v14, s6
	v_lshrrev_b32_e32 v11, 16, v11
	v_cndmask_b32_e32 v15, v17, v10, vcc
	v_cmp_o_f32_e32 vcc, v5, v5
	v_fma_f64 v[2:3], v[2:3], v[38:39], 1.0
	v_lshrrev_b32_e32 v14, 16, v14
	v_cndmask_b32_e32 v5, v17, v11, vcc
	v_cmp_o_f32_e32 vcc, v6, v6
	v_mul_f64 v[6:7], v[38:39], v[2:3]
	v_fma_f64 v[2:3], v[2:3], s[4:5], 0.5
	v_cndmask_b32_e32 v14, v17, v14, vcc
	v_fma_f64 v[2:3], v[6:7], v[2:3], v[38:39]
	v_cmp_class_f64_e32 vcc, v[38:39], v13
	s_nop 1
	v_cndmask_b32_e32 v3, v39, v3, vcc
	v_cndmask_b32_e32 v2, v38, v2, vcc
	v_cvt_f32_f64_e32 v10, v[2:3]
	v_bfe_u32 v2, v10, 16, 1
	v_add3_u32 v11, v10, v2, s6
	s_waitcnt vmcnt(1)
	v_lshlrev_b32_e32 v2, 16, v21
	v_cvt_f64_f32_e32 v[2:3], v2
	v_rsq_f64_e32 v[6:7], v[2:3]
	v_lshrrev_b32_e32 v11, 16, v11
	v_cmp_o_f32_e32 vcc, v10, v10
	v_mul_f64 v[2:3], v[6:7], -v[2:3]
	v_fma_f64 v[2:3], v[2:3], v[6:7], 1.0
	v_cndmask_b32_e32 v18, v17, v11, vcc
	v_mul_f64 v[10:11], v[6:7], v[2:3]
	v_fma_f64 v[2:3], v[2:3], s[4:5], 0.5
	v_fma_f64 v[2:3], v[10:11], v[2:3], v[6:7]
	v_cmp_class_f64_e32 vcc, v[6:7], v13
	s_nop 1
	v_cndmask_b32_e32 v3, v7, v3, vcc
	v_cndmask_b32_e32 v2, v6, v2, vcc
	v_cvt_f32_f64_e32 v10, v[2:3]
	v_bfe_u32 v2, v10, 16, 1
	v_add3_u32 v11, v10, v2, s6
	s_waitcnt vmcnt(0)
	v_lshlrev_b32_e32 v2, 16, v25
	v_cvt_f64_f32_e32 v[2:3], v2
	v_rsq_f64_e32 v[6:7], v[2:3]
	v_lshrrev_b32_e32 v11, 16, v11
	v_cmp_o_f32_e32 vcc, v10, v10
	v_mul_f64 v[2:3], v[6:7], -v[2:3]
	v_fma_f64 v[2:3], v[2:3], v[6:7], 1.0
	v_cndmask_b32_e32 v19, v17, v11, vcc
	v_mul_f64 v[10:11], v[6:7], v[2:3]
	v_fma_f64 v[2:3], v[2:3], s[4:5], 0.5
	v_fma_f64 v[2:3], v[10:11], v[2:3], v[6:7]
	v_cmp_class_f64_e32 vcc, v[6:7], v13
	s_nop 1
	v_cndmask_b32_e32 v3, v7, v3, vcc
	v_cndmask_b32_e32 v2, v6, v2, vcc
	v_cvt_f32_f64_e32 v2, v[2:3]
	v_bfe_u32 v3, v2, 16, 1
	v_add3_u32 v3, v2, v3, s6
	v_cmp_o_f32_e32 vcc, v2, v2
	s_nop 1
	v_cndmask_b32_sdwa v2, v17, v3, vcc dst_sel:DWORD dst_unused:UNUSED_PAD src0_sel:DWORD src1_sel:WORD_1
	global_store_short v0, v1, s[0:1]
	global_store_short v4, v9, s[0:1]
	;; [unrolled: 1-line block ×8, first 2 shown]
	s_endpgm
.LBB207_131:
	v_mov_b32_e32 v2, 0
	v_mov_b32_e32 v0, 0
	s_branch .LBB207_137
.LBB207_132:
	v_mov_b32_e32 v2, 0
	v_mov_b32_e32 v0, 0
	s_branch .LBB207_154
.LBB207_133:
	v_mov_b32_e32 v0, 0
	s_mov_b32 s57, 0
	v_mov_b32_e32 v1, v0
                                        ; implicit-def: $vgpr2
	v_mov_b32_e32 v4, v24
.LBB207_134:
	s_and_b32 s4, s58, 3
	s_cmp_eq_u32 s4, 0
	s_cbranch_scc1 .LBB207_137
; %bb.135:
	s_lshl_b32 s0, s57, 3
	s_add_u32 s0, s34, s0
	s_addc_u32 s1, s35, 0
	s_add_u32 s0, s0, 0xc4
	s_addc_u32 s1, s1, 0
	s_mul_i32 s2, s57, 12
	s_add_u32 s2, s34, s2
	s_addc_u32 s3, s35, 0
.LBB207_136:                            ; =>This Inner Loop Header: Depth=1
	s_load_dwordx2 s[6:7], s[2:3], 0x4
	s_load_dword s5, s[2:3], 0xc
	s_load_dwordx2 s[8:9], s[0:1], 0x0
	v_mov_b32_e32 v2, v1
	s_add_u32 s2, s2, 12
	s_waitcnt lgkmcnt(0)
	v_mul_hi_u32 v1, s7, v4
	v_add_u32_e32 v1, v4, v1
	v_lshrrev_b32_e32 v1, s5, v1
	s_addc_u32 s3, s3, 0
	v_mul_lo_u32 v3, v1, s6
	s_add_u32 s0, s0, 8
	v_sub_u32_e32 v5, v4, v3
	s_addc_u32 s1, s1, 0
	s_add_i32 s4, s4, -1
	v_mov_b32_e32 v4, v1
	v_mad_u64_u32 v[2:3], s[6:7], v5, s9, v[2:3]
	v_mad_u64_u32 v[0:1], s[6:7], v5, s8, v[0:1]
	s_cmp_lg_u32 s4, 0
	v_mov_b32_e32 v1, v2
	s_cbranch_scc1 .LBB207_136
.LBB207_137:
	s_cbranch_execnz .LBB207_140
.LBB207_138:
	s_waitcnt lgkmcnt(0)
	v_mul_hi_u32 v0, s25, v24
	v_add_u32_e32 v0, v24, v0
	v_lshrrev_b32_e32 v1, s26, v0
	v_mul_lo_u32 v0, v1, s24
	v_sub_u32_e32 v0, v24, v0
	v_mul_lo_u32 v2, v0, s21
	s_andn2_b64 vcc, exec, s[42:43]
	v_mul_lo_u32 v0, v0, s20
	s_cbranch_vccnz .LBB207_140
; %bb.139:
	v_mul_hi_u32 v3, s40, v1
	v_add_u32_e32 v3, v1, v3
	v_lshrrev_b32_e32 v3, s41, v3
	v_mul_lo_u32 v3, v3, s27
	v_sub_u32_e32 v3, v1, v3
	v_mad_u64_u32 v[0:1], s[0:1], v3, s22, v[0:1]
	v_mad_u64_u32 v[2:3], s[0:1], v3, s23, v[2:3]
.LBB207_140:
	s_waitcnt lgkmcnt(0)
	global_load_ushort v1, v2, s[18:19]
	s_mov_b32 s0, 0
	s_mov_b32 s1, 0x3fd80000
	s_movk_i32 s2, 0x7fff
	v_mov_b32_e32 v8, 0x7fc0
	v_add_u32_e32 v24, 0x80, v24
	s_waitcnt vmcnt(0)
	v_lshlrev_b32_e32 v1, 16, v1
	v_cvt_f64_f32_e32 v[2:3], v1
	v_rsq_f64_e32 v[4:5], v[2:3]
	v_mov_b32_e32 v1, 0x180
	v_mul_f64 v[2:3], v[4:5], -v[2:3]
	v_fma_f64 v[2:3], v[2:3], v[4:5], 1.0
	v_mul_f64 v[6:7], v[4:5], v[2:3]
	v_fma_f64 v[2:3], v[2:3], s[0:1], 0.5
	v_fma_f64 v[2:3], v[6:7], v[2:3], v[4:5]
	v_cmp_class_f64_e32 vcc, v[4:5], v1
	s_nop 1
	v_cndmask_b32_e32 v3, v5, v3, vcc
	v_cndmask_b32_e32 v2, v4, v2, vcc
	v_cvt_f32_f64_e32 v1, v[2:3]
	v_bfe_u32 v2, v1, 16, 1
	v_cmp_o_f32_e32 vcc, v1, v1
	v_add3_u32 v1, v1, v2, s2
	s_nop 0
	v_cndmask_b32_sdwa v1, v8, v1, vcc dst_sel:DWORD dst_unused:UNUSED_PAD src0_sel:DWORD src1_sel:WORD_1
	global_store_short v0, v1, s[16:17]
	s_or_b64 exec, exec, s[48:49]
	v_cmp_gt_i32_e32 vcc, s55, v24
	s_and_saveexec_b64 s[48:49], vcc
	s_cbranch_execnz .LBB207_16
.LBB207_141:
	s_or_b64 exec, exec, s[48:49]
	v_cmp_gt_i32_e32 vcc, s55, v24
	s_and_saveexec_b64 s[48:49], vcc
	s_cbranch_execz .LBB207_158
.LBB207_142:
	s_andn2_b64 vcc, exec, s[36:37]
	s_cbranch_vccnz .LBB207_148
; %bb.143:
	s_andn2_b64 vcc, exec, s[46:47]
	s_cbranch_vccnz .LBB207_149
; %bb.144:
	s_add_i32 s58, s56, 1
	s_cmp_eq_u32 s54, 2
	s_cbranch_scc1 .LBB207_167
; %bb.145:
	s_and_b32 s57, s58, 28
	s_mov_b32 s59, 0
	v_mov_b32_e32 v0, 0
	v_mov_b32_e32 v2, 0
	s_mov_b64 s[50:51], s[34:35]
	s_mov_b64 s[52:53], s[44:45]
	v_mov_b32_e32 v4, v24
.LBB207_146:                            ; =>This Inner Loop Header: Depth=1
	s_load_dwordx8 s[8:15], s[50:51], 0x4
	s_load_dwordx4 s[28:31], s[50:51], 0x24
	s_load_dwordx8 s[0:7], s[52:53], 0x0
	s_add_u32 s50, s50, 48
	s_addc_u32 s51, s51, 0
	s_waitcnt lgkmcnt(0)
	v_mul_hi_u32 v1, s9, v4
	v_add_u32_e32 v1, v4, v1
	v_lshrrev_b32_e32 v1, s10, v1
	v_mul_lo_u32 v3, v1, s8
	v_mul_hi_u32 v5, s12, v1
	v_sub_u32_e32 v3, v4, v3
	v_add_u32_e32 v4, v1, v5
	v_lshrrev_b32_e32 v4, s13, v4
	v_mul_lo_u32 v6, v4, s11
	v_mul_hi_u32 v7, s15, v4
	v_sub_u32_e32 v1, v1, v6
	v_add_u32_e32 v6, v4, v7
	v_mul_lo_u32 v5, v3, s1
	v_mul_lo_u32 v3, v3, s0
	;; [unrolled: 1-line block ×4, first 2 shown]
	v_lshrrev_b32_e32 v6, s28, v6
	v_add3_u32 v0, v3, v0, v1
	v_mul_hi_u32 v3, s30, v6
	v_add3_u32 v1, v5, v2, v7
	v_mul_lo_u32 v2, v6, s14
	v_add_u32_e32 v3, v6, v3
	v_sub_u32_e32 v2, v4, v2
	v_lshrrev_b32_e32 v4, s31, v3
	s_add_i32 s59, s59, 4
	v_mul_lo_u32 v3, v4, s29
	s_add_u32 s52, s52, 32
	v_sub_u32_e32 v3, v6, v3
	s_addc_u32 s53, s53, 0
	v_mul_lo_u32 v5, v2, s4
	v_mul_lo_u32 v2, v2, s5
	v_mul_lo_u32 v6, v3, s6
	v_mul_lo_u32 v3, v3, s7
	s_cmp_eq_u32 s57, s59
	v_add3_u32 v2, v2, v1, v3
	v_add3_u32 v0, v5, v0, v6
	s_cbranch_scc0 .LBB207_146
; %bb.147:
	v_mov_b32_e32 v1, v2
	s_branch .LBB207_168
.LBB207_148:
                                        ; implicit-def: $vgpr2
                                        ; implicit-def: $vgpr0
	s_branch .LBB207_172
.LBB207_149:
	v_mov_b32_e32 v2, 0
	v_mov_b32_e32 v0, 0
	s_branch .LBB207_171
.LBB207_150:
	v_mov_b32_e32 v0, 0
	s_mov_b32 s57, 0
	v_mov_b32_e32 v1, v0
                                        ; implicit-def: $vgpr2
	v_mov_b32_e32 v4, v24
.LBB207_151:
	s_and_b32 s4, s58, 3
	s_cmp_eq_u32 s4, 0
	s_cbranch_scc1 .LBB207_154
; %bb.152:
	s_lshl_b32 s0, s57, 3
	s_add_u32 s0, s34, s0
	s_addc_u32 s1, s35, 0
	s_add_u32 s0, s0, 0xc4
	s_addc_u32 s1, s1, 0
	s_mul_i32 s2, s57, 12
	s_add_u32 s2, s34, s2
	s_addc_u32 s3, s35, 0
.LBB207_153:                            ; =>This Inner Loop Header: Depth=1
	s_load_dwordx2 s[6:7], s[2:3], 0x4
	s_load_dword s5, s[2:3], 0xc
	s_load_dwordx2 s[8:9], s[0:1], 0x0
	v_mov_b32_e32 v2, v1
	s_add_u32 s2, s2, 12
	s_waitcnt lgkmcnt(0)
	v_mul_hi_u32 v1, s7, v4
	v_add_u32_e32 v1, v4, v1
	v_lshrrev_b32_e32 v1, s5, v1
	s_addc_u32 s3, s3, 0
	v_mul_lo_u32 v3, v1, s6
	s_add_u32 s0, s0, 8
	v_sub_u32_e32 v5, v4, v3
	s_addc_u32 s1, s1, 0
	s_add_i32 s4, s4, -1
	v_mov_b32_e32 v4, v1
	v_mad_u64_u32 v[2:3], s[6:7], v5, s9, v[2:3]
	v_mad_u64_u32 v[0:1], s[6:7], v5, s8, v[0:1]
	s_cmp_lg_u32 s4, 0
	v_mov_b32_e32 v1, v2
	s_cbranch_scc1 .LBB207_153
.LBB207_154:
	s_cbranch_execnz .LBB207_157
.LBB207_155:
	s_waitcnt lgkmcnt(0)
	v_mul_hi_u32 v0, s25, v24
	v_add_u32_e32 v0, v24, v0
	v_lshrrev_b32_e32 v1, s26, v0
	v_mul_lo_u32 v0, v1, s24
	v_sub_u32_e32 v0, v24, v0
	v_mul_lo_u32 v2, v0, s21
	s_andn2_b64 vcc, exec, s[42:43]
	v_mul_lo_u32 v0, v0, s20
	s_cbranch_vccnz .LBB207_157
; %bb.156:
	v_mul_hi_u32 v3, s40, v1
	v_add_u32_e32 v3, v1, v3
	v_lshrrev_b32_e32 v3, s41, v3
	v_mul_lo_u32 v3, v3, s27
	v_sub_u32_e32 v3, v1, v3
	v_mad_u64_u32 v[0:1], s[0:1], v3, s22, v[0:1]
	v_mad_u64_u32 v[2:3], s[0:1], v3, s23, v[2:3]
.LBB207_157:
	s_waitcnt lgkmcnt(0)
	global_load_ushort v1, v2, s[18:19]
	s_mov_b32 s0, 0
	s_mov_b32 s1, 0x3fd80000
	s_movk_i32 s2, 0x7fff
	v_mov_b32_e32 v8, 0x7fc0
	v_add_u32_e32 v24, 0x80, v24
	s_waitcnt vmcnt(0)
	v_lshlrev_b32_e32 v1, 16, v1
	v_cvt_f64_f32_e32 v[2:3], v1
	v_rsq_f64_e32 v[4:5], v[2:3]
	v_mov_b32_e32 v1, 0x180
	v_mul_f64 v[2:3], v[4:5], -v[2:3]
	v_fma_f64 v[2:3], v[2:3], v[4:5], 1.0
	v_mul_f64 v[6:7], v[4:5], v[2:3]
	v_fma_f64 v[2:3], v[2:3], s[0:1], 0.5
	v_fma_f64 v[2:3], v[6:7], v[2:3], v[4:5]
	v_cmp_class_f64_e32 vcc, v[4:5], v1
	s_nop 1
	v_cndmask_b32_e32 v3, v5, v3, vcc
	v_cndmask_b32_e32 v2, v4, v2, vcc
	v_cvt_f32_f64_e32 v1, v[2:3]
	v_bfe_u32 v2, v1, 16, 1
	v_cmp_o_f32_e32 vcc, v1, v1
	v_add3_u32 v1, v1, v2, s2
	s_nop 0
	v_cndmask_b32_sdwa v1, v8, v1, vcc dst_sel:DWORD dst_unused:UNUSED_PAD src0_sel:DWORD src1_sel:WORD_1
	global_store_short v0, v1, s[16:17]
	s_or_b64 exec, exec, s[48:49]
	v_cmp_gt_i32_e32 vcc, s55, v24
	s_and_saveexec_b64 s[48:49], vcc
	s_cbranch_execnz .LBB207_142
.LBB207_158:
	s_or_b64 exec, exec, s[48:49]
	v_cmp_gt_i32_e32 vcc, s55, v24
	s_and_saveexec_b64 s[48:49], vcc
	s_cbranch_execz .LBB207_175
.LBB207_159:
	s_andn2_b64 vcc, exec, s[36:37]
	s_cbranch_vccnz .LBB207_165
; %bb.160:
	s_andn2_b64 vcc, exec, s[46:47]
	s_cbranch_vccnz .LBB207_166
; %bb.161:
	s_add_i32 s58, s56, 1
	s_cmp_eq_u32 s54, 2
	s_cbranch_scc1 .LBB207_184
; %bb.162:
	s_and_b32 s57, s58, 28
	s_mov_b32 s59, 0
	v_mov_b32_e32 v0, 0
	v_mov_b32_e32 v2, 0
	s_mov_b64 s[50:51], s[34:35]
	s_mov_b64 s[52:53], s[44:45]
	v_mov_b32_e32 v4, v24
.LBB207_163:                            ; =>This Inner Loop Header: Depth=1
	s_load_dwordx8 s[8:15], s[50:51], 0x4
	s_load_dwordx4 s[28:31], s[50:51], 0x24
	s_load_dwordx8 s[0:7], s[52:53], 0x0
	s_add_u32 s50, s50, 48
	s_addc_u32 s51, s51, 0
	s_waitcnt lgkmcnt(0)
	v_mul_hi_u32 v1, s9, v4
	v_add_u32_e32 v1, v4, v1
	v_lshrrev_b32_e32 v1, s10, v1
	v_mul_lo_u32 v3, v1, s8
	v_mul_hi_u32 v5, s12, v1
	v_sub_u32_e32 v3, v4, v3
	v_add_u32_e32 v4, v1, v5
	v_lshrrev_b32_e32 v4, s13, v4
	v_mul_lo_u32 v6, v4, s11
	v_mul_hi_u32 v7, s15, v4
	v_sub_u32_e32 v1, v1, v6
	v_add_u32_e32 v6, v4, v7
	v_mul_lo_u32 v5, v3, s1
	v_mul_lo_u32 v3, v3, s0
	;; [unrolled: 1-line block ×4, first 2 shown]
	v_lshrrev_b32_e32 v6, s28, v6
	v_add3_u32 v0, v3, v0, v1
	v_mul_hi_u32 v3, s30, v6
	v_add3_u32 v1, v5, v2, v7
	v_mul_lo_u32 v2, v6, s14
	v_add_u32_e32 v3, v6, v3
	v_sub_u32_e32 v2, v4, v2
	v_lshrrev_b32_e32 v4, s31, v3
	s_add_i32 s59, s59, 4
	v_mul_lo_u32 v3, v4, s29
	s_add_u32 s52, s52, 32
	v_sub_u32_e32 v3, v6, v3
	s_addc_u32 s53, s53, 0
	v_mul_lo_u32 v5, v2, s4
	v_mul_lo_u32 v2, v2, s5
	;; [unrolled: 1-line block ×4, first 2 shown]
	s_cmp_eq_u32 s57, s59
	v_add3_u32 v2, v2, v1, v3
	v_add3_u32 v0, v5, v0, v6
	s_cbranch_scc0 .LBB207_163
; %bb.164:
	v_mov_b32_e32 v1, v2
	s_branch .LBB207_185
.LBB207_165:
                                        ; implicit-def: $vgpr2
                                        ; implicit-def: $vgpr0
	s_branch .LBB207_189
.LBB207_166:
	v_mov_b32_e32 v2, 0
	v_mov_b32_e32 v0, 0
	s_branch .LBB207_188
.LBB207_167:
	v_mov_b32_e32 v0, 0
	s_mov_b32 s57, 0
	v_mov_b32_e32 v1, v0
                                        ; implicit-def: $vgpr2
	v_mov_b32_e32 v4, v24
.LBB207_168:
	s_and_b32 s4, s58, 3
	s_cmp_eq_u32 s4, 0
	s_cbranch_scc1 .LBB207_171
; %bb.169:
	s_lshl_b32 s0, s57, 3
	s_add_u32 s0, s34, s0
	s_addc_u32 s1, s35, 0
	s_add_u32 s0, s0, 0xc4
	s_addc_u32 s1, s1, 0
	s_mul_i32 s2, s57, 12
	s_add_u32 s2, s34, s2
	s_addc_u32 s3, s35, 0
.LBB207_170:                            ; =>This Inner Loop Header: Depth=1
	s_load_dwordx2 s[6:7], s[2:3], 0x4
	s_load_dword s5, s[2:3], 0xc
	s_load_dwordx2 s[8:9], s[0:1], 0x0
	v_mov_b32_e32 v2, v1
	s_add_u32 s2, s2, 12
	s_waitcnt lgkmcnt(0)
	v_mul_hi_u32 v1, s7, v4
	v_add_u32_e32 v1, v4, v1
	v_lshrrev_b32_e32 v1, s5, v1
	s_addc_u32 s3, s3, 0
	v_mul_lo_u32 v3, v1, s6
	s_add_u32 s0, s0, 8
	v_sub_u32_e32 v5, v4, v3
	s_addc_u32 s1, s1, 0
	s_add_i32 s4, s4, -1
	v_mov_b32_e32 v4, v1
	v_mad_u64_u32 v[2:3], s[6:7], v5, s9, v[2:3]
	v_mad_u64_u32 v[0:1], s[6:7], v5, s8, v[0:1]
	s_cmp_lg_u32 s4, 0
	v_mov_b32_e32 v1, v2
	s_cbranch_scc1 .LBB207_170
.LBB207_171:
	s_cbranch_execnz .LBB207_174
.LBB207_172:
	s_waitcnt lgkmcnt(0)
	v_mul_hi_u32 v0, s25, v24
	v_add_u32_e32 v0, v24, v0
	v_lshrrev_b32_e32 v1, s26, v0
	v_mul_lo_u32 v0, v1, s24
	v_sub_u32_e32 v0, v24, v0
	v_mul_lo_u32 v2, v0, s21
	s_andn2_b64 vcc, exec, s[42:43]
	v_mul_lo_u32 v0, v0, s20
	s_cbranch_vccnz .LBB207_174
; %bb.173:
	v_mul_hi_u32 v3, s40, v1
	v_add_u32_e32 v3, v1, v3
	v_lshrrev_b32_e32 v3, s41, v3
	v_mul_lo_u32 v3, v3, s27
	v_sub_u32_e32 v3, v1, v3
	v_mad_u64_u32 v[0:1], s[0:1], v3, s22, v[0:1]
	v_mad_u64_u32 v[2:3], s[0:1], v3, s23, v[2:3]
.LBB207_174:
	s_waitcnt lgkmcnt(0)
	global_load_ushort v1, v2, s[18:19]
	s_mov_b32 s0, 0
	s_mov_b32 s1, 0x3fd80000
	s_movk_i32 s2, 0x7fff
	v_mov_b32_e32 v8, 0x7fc0
	v_add_u32_e32 v24, 0x80, v24
	s_waitcnt vmcnt(0)
	v_lshlrev_b32_e32 v1, 16, v1
	v_cvt_f64_f32_e32 v[2:3], v1
	v_rsq_f64_e32 v[4:5], v[2:3]
	v_mov_b32_e32 v1, 0x180
	v_mul_f64 v[2:3], v[4:5], -v[2:3]
	v_fma_f64 v[2:3], v[2:3], v[4:5], 1.0
	v_mul_f64 v[6:7], v[4:5], v[2:3]
	v_fma_f64 v[2:3], v[2:3], s[0:1], 0.5
	v_fma_f64 v[2:3], v[6:7], v[2:3], v[4:5]
	v_cmp_class_f64_e32 vcc, v[4:5], v1
	s_nop 1
	v_cndmask_b32_e32 v3, v5, v3, vcc
	v_cndmask_b32_e32 v2, v4, v2, vcc
	v_cvt_f32_f64_e32 v1, v[2:3]
	v_bfe_u32 v2, v1, 16, 1
	v_cmp_o_f32_e32 vcc, v1, v1
	v_add3_u32 v1, v1, v2, s2
	s_nop 0
	v_cndmask_b32_sdwa v1, v8, v1, vcc dst_sel:DWORD dst_unused:UNUSED_PAD src0_sel:DWORD src1_sel:WORD_1
	global_store_short v0, v1, s[16:17]
	s_or_b64 exec, exec, s[48:49]
	v_cmp_gt_i32_e32 vcc, s55, v24
	s_and_saveexec_b64 s[48:49], vcc
	s_cbranch_execnz .LBB207_159
.LBB207_175:
	s_or_b64 exec, exec, s[48:49]
	v_cmp_gt_i32_e32 vcc, s55, v24
	s_and_saveexec_b64 s[48:49], vcc
	s_cbranch_execz .LBB207_192
.LBB207_176:
	s_andn2_b64 vcc, exec, s[36:37]
	s_cbranch_vccnz .LBB207_182
; %bb.177:
	s_andn2_b64 vcc, exec, s[46:47]
	s_cbranch_vccnz .LBB207_183
; %bb.178:
	s_add_i32 s58, s56, 1
	s_cmp_eq_u32 s54, 2
	s_cbranch_scc1 .LBB207_201
; %bb.179:
	s_and_b32 s57, s58, 28
	s_mov_b32 s59, 0
	v_mov_b32_e32 v0, 0
	v_mov_b32_e32 v2, 0
	s_mov_b64 s[50:51], s[34:35]
	s_mov_b64 s[52:53], s[44:45]
	v_mov_b32_e32 v4, v24
.LBB207_180:                            ; =>This Inner Loop Header: Depth=1
	s_load_dwordx8 s[8:15], s[50:51], 0x4
	s_load_dwordx4 s[28:31], s[50:51], 0x24
	s_load_dwordx8 s[0:7], s[52:53], 0x0
	s_add_u32 s50, s50, 48
	s_addc_u32 s51, s51, 0
	s_waitcnt lgkmcnt(0)
	v_mul_hi_u32 v1, s9, v4
	v_add_u32_e32 v1, v4, v1
	v_lshrrev_b32_e32 v1, s10, v1
	v_mul_lo_u32 v3, v1, s8
	v_mul_hi_u32 v5, s12, v1
	v_sub_u32_e32 v3, v4, v3
	v_add_u32_e32 v4, v1, v5
	v_lshrrev_b32_e32 v4, s13, v4
	v_mul_lo_u32 v6, v4, s11
	v_mul_hi_u32 v7, s15, v4
	v_sub_u32_e32 v1, v1, v6
	v_add_u32_e32 v6, v4, v7
	v_mul_lo_u32 v5, v3, s1
	v_mul_lo_u32 v3, v3, s0
	;; [unrolled: 1-line block ×4, first 2 shown]
	v_lshrrev_b32_e32 v6, s28, v6
	v_add3_u32 v0, v3, v0, v1
	v_mul_hi_u32 v3, s30, v6
	v_add3_u32 v1, v5, v2, v7
	v_mul_lo_u32 v2, v6, s14
	v_add_u32_e32 v3, v6, v3
	v_sub_u32_e32 v2, v4, v2
	v_lshrrev_b32_e32 v4, s31, v3
	s_add_i32 s59, s59, 4
	v_mul_lo_u32 v3, v4, s29
	s_add_u32 s52, s52, 32
	v_sub_u32_e32 v3, v6, v3
	s_addc_u32 s53, s53, 0
	v_mul_lo_u32 v5, v2, s4
	v_mul_lo_u32 v2, v2, s5
	;; [unrolled: 1-line block ×4, first 2 shown]
	s_cmp_eq_u32 s57, s59
	v_add3_u32 v2, v2, v1, v3
	v_add3_u32 v0, v5, v0, v6
	s_cbranch_scc0 .LBB207_180
; %bb.181:
	v_mov_b32_e32 v1, v2
	s_branch .LBB207_202
.LBB207_182:
                                        ; implicit-def: $vgpr2
                                        ; implicit-def: $vgpr0
	s_branch .LBB207_206
.LBB207_183:
	v_mov_b32_e32 v2, 0
	v_mov_b32_e32 v0, 0
	s_branch .LBB207_205
.LBB207_184:
	v_mov_b32_e32 v0, 0
	s_mov_b32 s57, 0
	v_mov_b32_e32 v1, v0
                                        ; implicit-def: $vgpr2
	v_mov_b32_e32 v4, v24
.LBB207_185:
	s_and_b32 s4, s58, 3
	s_cmp_eq_u32 s4, 0
	s_cbranch_scc1 .LBB207_188
; %bb.186:
	s_lshl_b32 s0, s57, 3
	s_add_u32 s0, s34, s0
	s_addc_u32 s1, s35, 0
	s_add_u32 s0, s0, 0xc4
	s_addc_u32 s1, s1, 0
	s_mul_i32 s2, s57, 12
	s_add_u32 s2, s34, s2
	s_addc_u32 s3, s35, 0
.LBB207_187:                            ; =>This Inner Loop Header: Depth=1
	s_load_dwordx2 s[6:7], s[2:3], 0x4
	s_load_dword s5, s[2:3], 0xc
	s_load_dwordx2 s[8:9], s[0:1], 0x0
	v_mov_b32_e32 v2, v1
	s_add_u32 s2, s2, 12
	s_waitcnt lgkmcnt(0)
	v_mul_hi_u32 v1, s7, v4
	v_add_u32_e32 v1, v4, v1
	v_lshrrev_b32_e32 v1, s5, v1
	s_addc_u32 s3, s3, 0
	v_mul_lo_u32 v3, v1, s6
	s_add_u32 s0, s0, 8
	v_sub_u32_e32 v5, v4, v3
	s_addc_u32 s1, s1, 0
	s_add_i32 s4, s4, -1
	v_mov_b32_e32 v4, v1
	v_mad_u64_u32 v[2:3], s[6:7], v5, s9, v[2:3]
	v_mad_u64_u32 v[0:1], s[6:7], v5, s8, v[0:1]
	s_cmp_lg_u32 s4, 0
	v_mov_b32_e32 v1, v2
	s_cbranch_scc1 .LBB207_187
.LBB207_188:
	s_cbranch_execnz .LBB207_191
.LBB207_189:
	s_waitcnt lgkmcnt(0)
	v_mul_hi_u32 v0, s25, v24
	v_add_u32_e32 v0, v24, v0
	v_lshrrev_b32_e32 v1, s26, v0
	v_mul_lo_u32 v0, v1, s24
	v_sub_u32_e32 v0, v24, v0
	v_mul_lo_u32 v2, v0, s21
	s_andn2_b64 vcc, exec, s[42:43]
	v_mul_lo_u32 v0, v0, s20
	s_cbranch_vccnz .LBB207_191
; %bb.190:
	v_mul_hi_u32 v3, s40, v1
	v_add_u32_e32 v3, v1, v3
	v_lshrrev_b32_e32 v3, s41, v3
	v_mul_lo_u32 v3, v3, s27
	v_sub_u32_e32 v3, v1, v3
	v_mad_u64_u32 v[0:1], s[0:1], v3, s22, v[0:1]
	v_mad_u64_u32 v[2:3], s[0:1], v3, s23, v[2:3]
.LBB207_191:
	s_waitcnt lgkmcnt(0)
	global_load_ushort v1, v2, s[18:19]
	s_mov_b32 s0, 0
	s_mov_b32 s1, 0x3fd80000
	s_movk_i32 s2, 0x7fff
	v_mov_b32_e32 v8, 0x7fc0
	v_add_u32_e32 v24, 0x80, v24
	s_waitcnt vmcnt(0)
	v_lshlrev_b32_e32 v1, 16, v1
	v_cvt_f64_f32_e32 v[2:3], v1
	v_rsq_f64_e32 v[4:5], v[2:3]
	v_mov_b32_e32 v1, 0x180
	v_mul_f64 v[2:3], v[4:5], -v[2:3]
	v_fma_f64 v[2:3], v[2:3], v[4:5], 1.0
	v_mul_f64 v[6:7], v[4:5], v[2:3]
	v_fma_f64 v[2:3], v[2:3], s[0:1], 0.5
	v_fma_f64 v[2:3], v[6:7], v[2:3], v[4:5]
	v_cmp_class_f64_e32 vcc, v[4:5], v1
	s_nop 1
	v_cndmask_b32_e32 v3, v5, v3, vcc
	v_cndmask_b32_e32 v2, v4, v2, vcc
	v_cvt_f32_f64_e32 v1, v[2:3]
	v_bfe_u32 v2, v1, 16, 1
	v_cmp_o_f32_e32 vcc, v1, v1
	v_add3_u32 v1, v1, v2, s2
	s_nop 0
	v_cndmask_b32_sdwa v1, v8, v1, vcc dst_sel:DWORD dst_unused:UNUSED_PAD src0_sel:DWORD src1_sel:WORD_1
	global_store_short v0, v1, s[16:17]
	s_or_b64 exec, exec, s[48:49]
	v_cmp_gt_i32_e32 vcc, s55, v24
	s_and_saveexec_b64 s[48:49], vcc
	s_cbranch_execnz .LBB207_176
.LBB207_192:
	s_or_b64 exec, exec, s[48:49]
	v_cmp_gt_i32_e32 vcc, s55, v24
	s_and_saveexec_b64 s[48:49], vcc
	s_cbranch_execz .LBB207_209
.LBB207_193:
	s_andn2_b64 vcc, exec, s[36:37]
	s_cbranch_vccnz .LBB207_199
; %bb.194:
	s_andn2_b64 vcc, exec, s[46:47]
	s_cbranch_vccnz .LBB207_200
; %bb.195:
	s_add_i32 s58, s56, 1
	s_cmp_eq_u32 s54, 2
	s_cbranch_scc1 .LBB207_218
; %bb.196:
	s_and_b32 s57, s58, 28
	s_mov_b32 s59, 0
	v_mov_b32_e32 v0, 0
	v_mov_b32_e32 v2, 0
	s_mov_b64 s[50:51], s[34:35]
	s_mov_b64 s[52:53], s[44:45]
	v_mov_b32_e32 v4, v24
.LBB207_197:                            ; =>This Inner Loop Header: Depth=1
	s_load_dwordx8 s[8:15], s[50:51], 0x4
	s_load_dwordx4 s[28:31], s[50:51], 0x24
	s_load_dwordx8 s[0:7], s[52:53], 0x0
	s_add_u32 s50, s50, 48
	s_addc_u32 s51, s51, 0
	s_waitcnt lgkmcnt(0)
	v_mul_hi_u32 v1, s9, v4
	v_add_u32_e32 v1, v4, v1
	v_lshrrev_b32_e32 v1, s10, v1
	v_mul_lo_u32 v3, v1, s8
	v_mul_hi_u32 v5, s12, v1
	v_sub_u32_e32 v3, v4, v3
	v_add_u32_e32 v4, v1, v5
	v_lshrrev_b32_e32 v4, s13, v4
	v_mul_lo_u32 v6, v4, s11
	v_mul_hi_u32 v7, s15, v4
	v_sub_u32_e32 v1, v1, v6
	v_add_u32_e32 v6, v4, v7
	v_mul_lo_u32 v5, v3, s1
	v_mul_lo_u32 v3, v3, s0
	;; [unrolled: 1-line block ×4, first 2 shown]
	v_lshrrev_b32_e32 v6, s28, v6
	v_add3_u32 v0, v3, v0, v1
	v_mul_hi_u32 v3, s30, v6
	v_add3_u32 v1, v5, v2, v7
	v_mul_lo_u32 v2, v6, s14
	v_add_u32_e32 v3, v6, v3
	v_sub_u32_e32 v2, v4, v2
	v_lshrrev_b32_e32 v4, s31, v3
	s_add_i32 s59, s59, 4
	v_mul_lo_u32 v3, v4, s29
	s_add_u32 s52, s52, 32
	v_sub_u32_e32 v3, v6, v3
	s_addc_u32 s53, s53, 0
	v_mul_lo_u32 v5, v2, s4
	v_mul_lo_u32 v2, v2, s5
	;; [unrolled: 1-line block ×4, first 2 shown]
	s_cmp_eq_u32 s57, s59
	v_add3_u32 v2, v2, v1, v3
	v_add3_u32 v0, v5, v0, v6
	s_cbranch_scc0 .LBB207_197
; %bb.198:
	v_mov_b32_e32 v1, v2
	s_branch .LBB207_219
.LBB207_199:
                                        ; implicit-def: $vgpr2
                                        ; implicit-def: $vgpr0
	s_branch .LBB207_223
.LBB207_200:
	v_mov_b32_e32 v2, 0
	v_mov_b32_e32 v0, 0
	s_branch .LBB207_222
.LBB207_201:
	v_mov_b32_e32 v0, 0
	s_mov_b32 s57, 0
	v_mov_b32_e32 v1, v0
                                        ; implicit-def: $vgpr2
	v_mov_b32_e32 v4, v24
.LBB207_202:
	s_and_b32 s4, s58, 3
	s_cmp_eq_u32 s4, 0
	s_cbranch_scc1 .LBB207_205
; %bb.203:
	s_lshl_b32 s0, s57, 3
	s_add_u32 s0, s34, s0
	s_addc_u32 s1, s35, 0
	s_add_u32 s0, s0, 0xc4
	s_addc_u32 s1, s1, 0
	s_mul_i32 s2, s57, 12
	s_add_u32 s2, s34, s2
	s_addc_u32 s3, s35, 0
.LBB207_204:                            ; =>This Inner Loop Header: Depth=1
	s_load_dwordx2 s[6:7], s[2:3], 0x4
	s_load_dword s5, s[2:3], 0xc
	s_load_dwordx2 s[8:9], s[0:1], 0x0
	v_mov_b32_e32 v2, v1
	s_add_u32 s2, s2, 12
	s_waitcnt lgkmcnt(0)
	v_mul_hi_u32 v1, s7, v4
	v_add_u32_e32 v1, v4, v1
	v_lshrrev_b32_e32 v1, s5, v1
	s_addc_u32 s3, s3, 0
	v_mul_lo_u32 v3, v1, s6
	s_add_u32 s0, s0, 8
	v_sub_u32_e32 v5, v4, v3
	s_addc_u32 s1, s1, 0
	s_add_i32 s4, s4, -1
	v_mov_b32_e32 v4, v1
	v_mad_u64_u32 v[2:3], s[6:7], v5, s9, v[2:3]
	v_mad_u64_u32 v[0:1], s[6:7], v5, s8, v[0:1]
	s_cmp_lg_u32 s4, 0
	v_mov_b32_e32 v1, v2
	s_cbranch_scc1 .LBB207_204
.LBB207_205:
	s_cbranch_execnz .LBB207_208
.LBB207_206:
	s_waitcnt lgkmcnt(0)
	v_mul_hi_u32 v0, s25, v24
	v_add_u32_e32 v0, v24, v0
	v_lshrrev_b32_e32 v1, s26, v0
	v_mul_lo_u32 v0, v1, s24
	v_sub_u32_e32 v0, v24, v0
	v_mul_lo_u32 v2, v0, s21
	s_andn2_b64 vcc, exec, s[42:43]
	v_mul_lo_u32 v0, v0, s20
	s_cbranch_vccnz .LBB207_208
; %bb.207:
	v_mul_hi_u32 v3, s40, v1
	v_add_u32_e32 v3, v1, v3
	v_lshrrev_b32_e32 v3, s41, v3
	v_mul_lo_u32 v3, v3, s27
	v_sub_u32_e32 v3, v1, v3
	v_mad_u64_u32 v[0:1], s[0:1], v3, s22, v[0:1]
	v_mad_u64_u32 v[2:3], s[0:1], v3, s23, v[2:3]
.LBB207_208:
	s_waitcnt lgkmcnt(0)
	global_load_ushort v1, v2, s[18:19]
	s_mov_b32 s0, 0
	s_mov_b32 s1, 0x3fd80000
	s_movk_i32 s2, 0x7fff
	v_mov_b32_e32 v8, 0x7fc0
	v_add_u32_e32 v24, 0x80, v24
	s_waitcnt vmcnt(0)
	v_lshlrev_b32_e32 v1, 16, v1
	v_cvt_f64_f32_e32 v[2:3], v1
	v_rsq_f64_e32 v[4:5], v[2:3]
	v_mov_b32_e32 v1, 0x180
	v_mul_f64 v[2:3], v[4:5], -v[2:3]
	v_fma_f64 v[2:3], v[2:3], v[4:5], 1.0
	v_mul_f64 v[6:7], v[4:5], v[2:3]
	v_fma_f64 v[2:3], v[2:3], s[0:1], 0.5
	v_fma_f64 v[2:3], v[6:7], v[2:3], v[4:5]
	v_cmp_class_f64_e32 vcc, v[4:5], v1
	s_nop 1
	v_cndmask_b32_e32 v3, v5, v3, vcc
	v_cndmask_b32_e32 v2, v4, v2, vcc
	v_cvt_f32_f64_e32 v1, v[2:3]
	v_bfe_u32 v2, v1, 16, 1
	v_cmp_o_f32_e32 vcc, v1, v1
	v_add3_u32 v1, v1, v2, s2
	s_nop 0
	v_cndmask_b32_sdwa v1, v8, v1, vcc dst_sel:DWORD dst_unused:UNUSED_PAD src0_sel:DWORD src1_sel:WORD_1
	global_store_short v0, v1, s[16:17]
	s_or_b64 exec, exec, s[48:49]
	v_cmp_gt_i32_e32 vcc, s55, v24
	s_and_saveexec_b64 s[48:49], vcc
	s_cbranch_execnz .LBB207_193
.LBB207_209:
	s_or_b64 exec, exec, s[48:49]
	v_cmp_gt_i32_e32 vcc, s55, v24
	s_and_saveexec_b64 s[48:49], vcc
	s_cbranch_execz .LBB207_226
.LBB207_210:
	s_andn2_b64 vcc, exec, s[36:37]
	s_cbranch_vccnz .LBB207_216
; %bb.211:
	s_andn2_b64 vcc, exec, s[46:47]
	s_cbranch_vccnz .LBB207_217
; %bb.212:
	s_add_i32 s58, s56, 1
	s_cmp_eq_u32 s54, 2
	s_cbranch_scc1 .LBB207_229
; %bb.213:
	s_and_b32 s57, s58, 28
	s_mov_b32 s59, 0
	v_mov_b32_e32 v0, 0
	v_mov_b32_e32 v2, 0
	s_mov_b64 s[50:51], s[34:35]
	s_mov_b64 s[52:53], s[44:45]
	v_mov_b32_e32 v4, v24
.LBB207_214:                            ; =>This Inner Loop Header: Depth=1
	s_load_dwordx8 s[8:15], s[50:51], 0x4
	s_load_dwordx4 s[28:31], s[50:51], 0x24
	s_load_dwordx8 s[0:7], s[52:53], 0x0
	s_add_u32 s50, s50, 48
	s_addc_u32 s51, s51, 0
	s_waitcnt lgkmcnt(0)
	v_mul_hi_u32 v1, s9, v4
	v_add_u32_e32 v1, v4, v1
	v_lshrrev_b32_e32 v1, s10, v1
	v_mul_lo_u32 v3, v1, s8
	v_mul_hi_u32 v5, s12, v1
	v_sub_u32_e32 v3, v4, v3
	v_add_u32_e32 v4, v1, v5
	v_lshrrev_b32_e32 v4, s13, v4
	v_mul_lo_u32 v6, v4, s11
	v_mul_hi_u32 v7, s15, v4
	v_sub_u32_e32 v1, v1, v6
	v_add_u32_e32 v6, v4, v7
	v_mul_lo_u32 v5, v3, s1
	v_mul_lo_u32 v3, v3, s0
	;; [unrolled: 1-line block ×4, first 2 shown]
	v_lshrrev_b32_e32 v6, s28, v6
	v_add3_u32 v0, v3, v0, v1
	v_mul_hi_u32 v3, s30, v6
	v_add3_u32 v1, v5, v2, v7
	v_mul_lo_u32 v2, v6, s14
	v_add_u32_e32 v3, v6, v3
	v_sub_u32_e32 v2, v4, v2
	v_lshrrev_b32_e32 v4, s31, v3
	s_add_i32 s59, s59, 4
	v_mul_lo_u32 v3, v4, s29
	s_add_u32 s52, s52, 32
	v_sub_u32_e32 v3, v6, v3
	s_addc_u32 s53, s53, 0
	v_mul_lo_u32 v5, v2, s4
	v_mul_lo_u32 v2, v2, s5
	;; [unrolled: 1-line block ×4, first 2 shown]
	s_cmp_eq_u32 s57, s59
	v_add3_u32 v2, v2, v1, v3
	v_add3_u32 v0, v5, v0, v6
	s_cbranch_scc0 .LBB207_214
; %bb.215:
	v_mov_b32_e32 v1, v2
	s_branch .LBB207_230
.LBB207_216:
                                        ; implicit-def: $vgpr2
                                        ; implicit-def: $vgpr0
	s_branch .LBB207_234
.LBB207_217:
	v_mov_b32_e32 v2, 0
	v_mov_b32_e32 v0, 0
	s_branch .LBB207_233
.LBB207_218:
	v_mov_b32_e32 v0, 0
	s_mov_b32 s57, 0
	v_mov_b32_e32 v1, v0
                                        ; implicit-def: $vgpr2
	v_mov_b32_e32 v4, v24
.LBB207_219:
	s_and_b32 s4, s58, 3
	s_cmp_eq_u32 s4, 0
	s_cbranch_scc1 .LBB207_222
; %bb.220:
	s_lshl_b32 s0, s57, 3
	s_add_u32 s0, s34, s0
	s_addc_u32 s1, s35, 0
	s_add_u32 s0, s0, 0xc4
	s_addc_u32 s1, s1, 0
	s_mul_i32 s2, s57, 12
	s_add_u32 s2, s34, s2
	s_addc_u32 s3, s35, 0
.LBB207_221:                            ; =>This Inner Loop Header: Depth=1
	s_load_dwordx2 s[6:7], s[2:3], 0x4
	s_load_dword s5, s[2:3], 0xc
	s_load_dwordx2 s[8:9], s[0:1], 0x0
	v_mov_b32_e32 v2, v1
	s_add_u32 s2, s2, 12
	s_waitcnt lgkmcnt(0)
	v_mul_hi_u32 v1, s7, v4
	v_add_u32_e32 v1, v4, v1
	v_lshrrev_b32_e32 v1, s5, v1
	s_addc_u32 s3, s3, 0
	v_mul_lo_u32 v3, v1, s6
	s_add_u32 s0, s0, 8
	v_sub_u32_e32 v5, v4, v3
	s_addc_u32 s1, s1, 0
	s_add_i32 s4, s4, -1
	v_mov_b32_e32 v4, v1
	v_mad_u64_u32 v[2:3], s[6:7], v5, s9, v[2:3]
	v_mad_u64_u32 v[0:1], s[6:7], v5, s8, v[0:1]
	s_cmp_lg_u32 s4, 0
	v_mov_b32_e32 v1, v2
	s_cbranch_scc1 .LBB207_221
.LBB207_222:
	s_cbranch_execnz .LBB207_225
.LBB207_223:
	s_waitcnt lgkmcnt(0)
	v_mul_hi_u32 v0, s25, v24
	v_add_u32_e32 v0, v24, v0
	v_lshrrev_b32_e32 v1, s26, v0
	v_mul_lo_u32 v0, v1, s24
	v_sub_u32_e32 v0, v24, v0
	v_mul_lo_u32 v2, v0, s21
	s_andn2_b64 vcc, exec, s[42:43]
	v_mul_lo_u32 v0, v0, s20
	s_cbranch_vccnz .LBB207_225
; %bb.224:
	v_mul_hi_u32 v3, s40, v1
	v_add_u32_e32 v3, v1, v3
	v_lshrrev_b32_e32 v3, s41, v3
	v_mul_lo_u32 v3, v3, s27
	v_sub_u32_e32 v3, v1, v3
	v_mad_u64_u32 v[0:1], s[0:1], v3, s22, v[0:1]
	v_mad_u64_u32 v[2:3], s[0:1], v3, s23, v[2:3]
.LBB207_225:
	s_waitcnt lgkmcnt(0)
	global_load_ushort v1, v2, s[18:19]
	s_mov_b32 s0, 0
	s_mov_b32 s1, 0x3fd80000
	s_movk_i32 s2, 0x7fff
	v_mov_b32_e32 v8, 0x7fc0
	v_add_u32_e32 v24, 0x80, v24
	s_waitcnt vmcnt(0)
	v_lshlrev_b32_e32 v1, 16, v1
	v_cvt_f64_f32_e32 v[2:3], v1
	v_rsq_f64_e32 v[4:5], v[2:3]
	v_mov_b32_e32 v1, 0x180
	v_mul_f64 v[2:3], v[4:5], -v[2:3]
	v_fma_f64 v[2:3], v[2:3], v[4:5], 1.0
	v_mul_f64 v[6:7], v[4:5], v[2:3]
	v_fma_f64 v[2:3], v[2:3], s[0:1], 0.5
	v_fma_f64 v[2:3], v[6:7], v[2:3], v[4:5]
	v_cmp_class_f64_e32 vcc, v[4:5], v1
	s_nop 1
	v_cndmask_b32_e32 v3, v5, v3, vcc
	v_cndmask_b32_e32 v2, v4, v2, vcc
	v_cvt_f32_f64_e32 v1, v[2:3]
	v_bfe_u32 v2, v1, 16, 1
	v_cmp_o_f32_e32 vcc, v1, v1
	v_add3_u32 v1, v1, v2, s2
	s_nop 0
	v_cndmask_b32_sdwa v1, v8, v1, vcc dst_sel:DWORD dst_unused:UNUSED_PAD src0_sel:DWORD src1_sel:WORD_1
	global_store_short v0, v1, s[16:17]
	s_or_b64 exec, exec, s[48:49]
	v_cmp_gt_i32_e32 vcc, s55, v24
	s_and_saveexec_b64 s[48:49], vcc
	s_cbranch_execnz .LBB207_210
.LBB207_226:
	s_or_b64 exec, exec, s[48:49]
	v_cmp_gt_i32_e32 vcc, s55, v24
	s_and_saveexec_b64 s[48:49], vcc
	s_cbranch_execnz .LBB207_237
.LBB207_227:
	s_or_b64 exec, exec, s[48:49]
                                        ; implicit-def: $vgpr32
                                        ; implicit-def: $vgpr24
	s_andn2_saveexec_b64 s[0:1], s[38:39]
	s_cbranch_execnz .LBB207_9
.LBB207_228:
	s_endpgm
.LBB207_229:
	v_mov_b32_e32 v0, 0
	s_mov_b32 s57, 0
	v_mov_b32_e32 v1, v0
                                        ; implicit-def: $vgpr2
	v_mov_b32_e32 v4, v24
.LBB207_230:
	s_and_b32 s4, s58, 3
	s_cmp_eq_u32 s4, 0
	s_cbranch_scc1 .LBB207_233
; %bb.231:
	s_lshl_b32 s0, s57, 3
	s_add_u32 s0, s34, s0
	s_addc_u32 s1, s35, 0
	s_add_u32 s0, s0, 0xc4
	s_addc_u32 s1, s1, 0
	s_mul_i32 s2, s57, 12
	s_add_u32 s2, s34, s2
	s_addc_u32 s3, s35, 0
.LBB207_232:                            ; =>This Inner Loop Header: Depth=1
	s_load_dwordx2 s[6:7], s[2:3], 0x4
	s_load_dword s5, s[2:3], 0xc
	s_load_dwordx2 s[8:9], s[0:1], 0x0
	v_mov_b32_e32 v2, v1
	s_add_u32 s2, s2, 12
	s_waitcnt lgkmcnt(0)
	v_mul_hi_u32 v1, s7, v4
	v_add_u32_e32 v1, v4, v1
	v_lshrrev_b32_e32 v1, s5, v1
	s_addc_u32 s3, s3, 0
	v_mul_lo_u32 v3, v1, s6
	s_add_u32 s0, s0, 8
	v_sub_u32_e32 v5, v4, v3
	s_addc_u32 s1, s1, 0
	s_add_i32 s4, s4, -1
	v_mov_b32_e32 v4, v1
	v_mad_u64_u32 v[2:3], s[6:7], v5, s9, v[2:3]
	v_mad_u64_u32 v[0:1], s[6:7], v5, s8, v[0:1]
	s_cmp_lg_u32 s4, 0
	v_mov_b32_e32 v1, v2
	s_cbranch_scc1 .LBB207_232
.LBB207_233:
	s_cbranch_execnz .LBB207_236
.LBB207_234:
	s_waitcnt lgkmcnt(0)
	v_mul_hi_u32 v0, s25, v24
	v_add_u32_e32 v0, v24, v0
	v_lshrrev_b32_e32 v1, s26, v0
	v_mul_lo_u32 v0, v1, s24
	v_sub_u32_e32 v0, v24, v0
	v_mul_lo_u32 v2, v0, s21
	s_andn2_b64 vcc, exec, s[42:43]
	v_mul_lo_u32 v0, v0, s20
	s_cbranch_vccnz .LBB207_236
; %bb.235:
	v_mul_hi_u32 v3, s40, v1
	v_add_u32_e32 v3, v1, v3
	v_lshrrev_b32_e32 v3, s41, v3
	v_mul_lo_u32 v3, v3, s27
	v_sub_u32_e32 v3, v1, v3
	v_mad_u64_u32 v[0:1], s[0:1], v3, s22, v[0:1]
	v_mad_u64_u32 v[2:3], s[0:1], v3, s23, v[2:3]
.LBB207_236:
	s_waitcnt lgkmcnt(0)
	global_load_ushort v1, v2, s[18:19]
	s_mov_b32 s0, 0
	s_mov_b32 s1, 0x3fd80000
	s_movk_i32 s2, 0x7fff
	v_mov_b32_e32 v8, 0x7fc0
	v_add_u32_e32 v24, 0x80, v24
	s_waitcnt vmcnt(0)
	v_lshlrev_b32_e32 v1, 16, v1
	v_cvt_f64_f32_e32 v[2:3], v1
	v_rsq_f64_e32 v[4:5], v[2:3]
	v_mov_b32_e32 v1, 0x180
	v_mul_f64 v[2:3], v[4:5], -v[2:3]
	v_fma_f64 v[2:3], v[2:3], v[4:5], 1.0
	v_mul_f64 v[6:7], v[4:5], v[2:3]
	v_fma_f64 v[2:3], v[2:3], s[0:1], 0.5
	v_fma_f64 v[2:3], v[6:7], v[2:3], v[4:5]
	v_cmp_class_f64_e32 vcc, v[4:5], v1
	s_nop 1
	v_cndmask_b32_e32 v3, v5, v3, vcc
	v_cndmask_b32_e32 v2, v4, v2, vcc
	v_cvt_f32_f64_e32 v1, v[2:3]
	v_bfe_u32 v2, v1, 16, 1
	v_cmp_o_f32_e32 vcc, v1, v1
	v_add3_u32 v1, v1, v2, s2
	s_nop 0
	v_cndmask_b32_sdwa v1, v8, v1, vcc dst_sel:DWORD dst_unused:UNUSED_PAD src0_sel:DWORD src1_sel:WORD_1
	global_store_short v0, v1, s[16:17]
	s_or_b64 exec, exec, s[48:49]
	v_cmp_gt_i32_e32 vcc, s55, v24
	s_and_saveexec_b64 s[48:49], vcc
	s_cbranch_execz .LBB207_227
.LBB207_237:
	s_andn2_b64 vcc, exec, s[36:37]
	s_cbranch_vccnz .LBB207_243
; %bb.238:
	s_andn2_b64 vcc, exec, s[46:47]
	s_cbranch_vccnz .LBB207_244
; %bb.239:
	s_add_i32 s56, s56, 1
	s_cmp_eq_u32 s54, 2
	s_cbranch_scc1 .LBB207_245
; %bb.240:
	s_and_b32 s50, s56, 28
	s_mov_b32 s51, 0
	v_mov_b32_e32 v0, 0
	v_mov_b32_e32 v2, 0
	s_mov_b64 s[46:47], s[34:35]
	v_mov_b32_e32 v4, v24
.LBB207_241:                            ; =>This Inner Loop Header: Depth=1
	s_load_dwordx8 s[8:15], s[46:47], 0x4
	s_load_dwordx4 s[28:31], s[46:47], 0x24
	s_load_dwordx8 s[0:7], s[44:45], 0x0
	s_add_u32 s46, s46, 48
	s_addc_u32 s47, s47, 0
	s_waitcnt lgkmcnt(0)
	v_mul_hi_u32 v1, s9, v4
	v_add_u32_e32 v1, v4, v1
	v_lshrrev_b32_e32 v1, s10, v1
	v_mul_lo_u32 v3, v1, s8
	v_mul_hi_u32 v5, s12, v1
	v_sub_u32_e32 v3, v4, v3
	v_add_u32_e32 v4, v1, v5
	v_lshrrev_b32_e32 v4, s13, v4
	v_mul_lo_u32 v6, v4, s11
	v_mul_hi_u32 v7, s15, v4
	v_sub_u32_e32 v1, v1, v6
	v_add_u32_e32 v6, v4, v7
	v_mul_lo_u32 v5, v3, s1
	v_mul_lo_u32 v3, v3, s0
	;; [unrolled: 1-line block ×4, first 2 shown]
	v_lshrrev_b32_e32 v6, s28, v6
	v_add3_u32 v0, v3, v0, v1
	v_mul_hi_u32 v3, s30, v6
	v_add3_u32 v1, v5, v2, v7
	v_mul_lo_u32 v2, v6, s14
	v_add_u32_e32 v3, v6, v3
	v_sub_u32_e32 v2, v4, v2
	v_lshrrev_b32_e32 v4, s31, v3
	s_add_i32 s51, s51, 4
	v_mul_lo_u32 v3, v4, s29
	s_add_u32 s44, s44, 32
	v_sub_u32_e32 v3, v6, v3
	s_addc_u32 s45, s45, 0
	v_mul_lo_u32 v5, v2, s4
	v_mul_lo_u32 v2, v2, s5
	;; [unrolled: 1-line block ×4, first 2 shown]
	s_cmp_eq_u32 s50, s51
	v_add3_u32 v2, v2, v1, v3
	v_add3_u32 v0, v5, v0, v6
	s_cbranch_scc0 .LBB207_241
; %bb.242:
	v_mov_b32_e32 v1, v2
	s_branch .LBB207_246
.LBB207_243:
                                        ; implicit-def: $vgpr2
                                        ; implicit-def: $vgpr0
	s_branch .LBB207_250
.LBB207_244:
	v_mov_b32_e32 v2, 0
	v_mov_b32_e32 v0, 0
	s_branch .LBB207_249
.LBB207_245:
	v_mov_b32_e32 v0, 0
	s_mov_b32 s50, 0
	v_mov_b32_e32 v1, v0
                                        ; implicit-def: $vgpr2
	v_mov_b32_e32 v4, v24
.LBB207_246:
	s_and_b32 s4, s56, 3
	s_cmp_eq_u32 s4, 0
	s_cbranch_scc1 .LBB207_249
; %bb.247:
	s_lshl_b32 s0, s50, 3
	s_add_u32 s0, s34, s0
	s_addc_u32 s1, s35, 0
	s_add_u32 s0, s0, 0xc4
	s_addc_u32 s1, s1, 0
	s_mul_i32 s2, s50, 12
	s_add_u32 s2, s34, s2
	s_addc_u32 s3, s35, 0
.LBB207_248:                            ; =>This Inner Loop Header: Depth=1
	s_load_dwordx2 s[6:7], s[2:3], 0x4
	s_load_dword s5, s[2:3], 0xc
	s_load_dwordx2 s[8:9], s[0:1], 0x0
	v_mov_b32_e32 v2, v1
	s_add_u32 s2, s2, 12
	s_waitcnt lgkmcnt(0)
	v_mul_hi_u32 v1, s7, v4
	v_add_u32_e32 v1, v4, v1
	v_lshrrev_b32_e32 v1, s5, v1
	s_addc_u32 s3, s3, 0
	v_mul_lo_u32 v3, v1, s6
	s_add_u32 s0, s0, 8
	v_sub_u32_e32 v5, v4, v3
	s_addc_u32 s1, s1, 0
	s_add_i32 s4, s4, -1
	v_mov_b32_e32 v4, v1
	v_mad_u64_u32 v[2:3], s[6:7], v5, s9, v[2:3]
	v_mad_u64_u32 v[0:1], s[6:7], v5, s8, v[0:1]
	s_cmp_lg_u32 s4, 0
	v_mov_b32_e32 v1, v2
	s_cbranch_scc1 .LBB207_248
.LBB207_249:
	s_cbranch_execnz .LBB207_252
.LBB207_250:
	s_waitcnt lgkmcnt(0)
	v_mul_hi_u32 v0, s25, v24
	v_add_u32_e32 v0, v24, v0
	v_lshrrev_b32_e32 v1, s26, v0
	v_mul_lo_u32 v0, v1, s24
	v_sub_u32_e32 v0, v24, v0
	v_mul_lo_u32 v2, v0, s21
	s_andn2_b64 vcc, exec, s[42:43]
	v_mul_lo_u32 v0, v0, s20
	s_cbranch_vccnz .LBB207_252
; %bb.251:
	v_mul_hi_u32 v3, s40, v1
	v_add_u32_e32 v3, v1, v3
	v_lshrrev_b32_e32 v3, s41, v3
	v_mul_lo_u32 v3, v3, s27
	v_sub_u32_e32 v3, v1, v3
	v_mad_u64_u32 v[0:1], s[0:1], v3, s22, v[0:1]
	v_mad_u64_u32 v[2:3], s[0:1], v3, s23, v[2:3]
.LBB207_252:
	s_waitcnt lgkmcnt(0)
	global_load_ushort v1, v2, s[18:19]
	s_mov_b32 s0, 0
	s_mov_b32 s1, 0x3fd80000
	s_movk_i32 s2, 0x7fff
	v_mov_b32_e32 v8, 0x7fc0
	s_waitcnt vmcnt(0)
	v_lshlrev_b32_e32 v1, 16, v1
	v_cvt_f64_f32_e32 v[2:3], v1
	v_rsq_f64_e32 v[4:5], v[2:3]
	v_mov_b32_e32 v1, 0x180
	v_mul_f64 v[2:3], v[4:5], -v[2:3]
	v_fma_f64 v[2:3], v[2:3], v[4:5], 1.0
	v_mul_f64 v[6:7], v[4:5], v[2:3]
	v_fma_f64 v[2:3], v[2:3], s[0:1], 0.5
	v_fma_f64 v[2:3], v[6:7], v[2:3], v[4:5]
	v_cmp_class_f64_e32 vcc, v[4:5], v1
	s_nop 1
	v_cndmask_b32_e32 v3, v5, v3, vcc
	v_cndmask_b32_e32 v2, v4, v2, vcc
	v_cvt_f32_f64_e32 v1, v[2:3]
	v_bfe_u32 v2, v1, 16, 1
	v_cmp_o_f32_e32 vcc, v1, v1
	v_add3_u32 v1, v1, v2, s2
	s_nop 0
	v_cndmask_b32_sdwa v1, v8, v1, vcc dst_sel:DWORD dst_unused:UNUSED_PAD src0_sel:DWORD src1_sel:WORD_1
	global_store_short v0, v1, s[16:17]
	s_or_b64 exec, exec, s[48:49]
                                        ; implicit-def: $vgpr32
                                        ; implicit-def: $vgpr24
	s_andn2_saveexec_b64 s[0:1], s[38:39]
	s_cbranch_execz .LBB207_228
	s_branch .LBB207_9
	.section	.rodata,"a",@progbits
	.p2align	6, 0x0
	.amdhsa_kernel _ZN2at6native32elementwise_kernel_manual_unrollILi128ELi8EZNS0_22gpu_kernel_impl_nocastIZZZNS0_17rsqrt_kernel_cudaERNS_18TensorIteratorBaseEENKUlvE0_clEvENKUlvE1_clEvEUlN3c108BFloat16EE_EEvS4_RKT_EUlibE_EEviT1_
		.amdhsa_group_segment_fixed_size 0
		.amdhsa_private_segment_fixed_size 0
		.amdhsa_kernarg_size 360
		.amdhsa_user_sgpr_count 2
		.amdhsa_user_sgpr_dispatch_ptr 0
		.amdhsa_user_sgpr_queue_ptr 0
		.amdhsa_user_sgpr_kernarg_segment_ptr 1
		.amdhsa_user_sgpr_dispatch_id 0
		.amdhsa_user_sgpr_kernarg_preload_length 0
		.amdhsa_user_sgpr_kernarg_preload_offset 0
		.amdhsa_user_sgpr_private_segment_size 0
		.amdhsa_uses_dynamic_stack 0
		.amdhsa_enable_private_segment 0
		.amdhsa_system_sgpr_workgroup_id_x 1
		.amdhsa_system_sgpr_workgroup_id_y 0
		.amdhsa_system_sgpr_workgroup_id_z 0
		.amdhsa_system_sgpr_workgroup_info 0
		.amdhsa_system_vgpr_workitem_id 0
		.amdhsa_next_free_vgpr 50
		.amdhsa_next_free_sgpr 60
		.amdhsa_accum_offset 52
		.amdhsa_reserve_vcc 1
		.amdhsa_float_round_mode_32 0
		.amdhsa_float_round_mode_16_64 0
		.amdhsa_float_denorm_mode_32 3
		.amdhsa_float_denorm_mode_16_64 3
		.amdhsa_dx10_clamp 1
		.amdhsa_ieee_mode 1
		.amdhsa_fp16_overflow 0
		.amdhsa_tg_split 0
		.amdhsa_exception_fp_ieee_invalid_op 0
		.amdhsa_exception_fp_denorm_src 0
		.amdhsa_exception_fp_ieee_div_zero 0
		.amdhsa_exception_fp_ieee_overflow 0
		.amdhsa_exception_fp_ieee_underflow 0
		.amdhsa_exception_fp_ieee_inexact 0
		.amdhsa_exception_int_div_zero 0
	.end_amdhsa_kernel
	.section	.text._ZN2at6native32elementwise_kernel_manual_unrollILi128ELi8EZNS0_22gpu_kernel_impl_nocastIZZZNS0_17rsqrt_kernel_cudaERNS_18TensorIteratorBaseEENKUlvE0_clEvENKUlvE1_clEvEUlN3c108BFloat16EE_EEvS4_RKT_EUlibE_EEviT1_,"axG",@progbits,_ZN2at6native32elementwise_kernel_manual_unrollILi128ELi8EZNS0_22gpu_kernel_impl_nocastIZZZNS0_17rsqrt_kernel_cudaERNS_18TensorIteratorBaseEENKUlvE0_clEvENKUlvE1_clEvEUlN3c108BFloat16EE_EEvS4_RKT_EUlibE_EEviT1_,comdat
.Lfunc_end207:
	.size	_ZN2at6native32elementwise_kernel_manual_unrollILi128ELi8EZNS0_22gpu_kernel_impl_nocastIZZZNS0_17rsqrt_kernel_cudaERNS_18TensorIteratorBaseEENKUlvE0_clEvENKUlvE1_clEvEUlN3c108BFloat16EE_EEvS4_RKT_EUlibE_EEviT1_, .Lfunc_end207-_ZN2at6native32elementwise_kernel_manual_unrollILi128ELi8EZNS0_22gpu_kernel_impl_nocastIZZZNS0_17rsqrt_kernel_cudaERNS_18TensorIteratorBaseEENKUlvE0_clEvENKUlvE1_clEvEUlN3c108BFloat16EE_EEvS4_RKT_EUlibE_EEviT1_
                                        ; -- End function
	.set _ZN2at6native32elementwise_kernel_manual_unrollILi128ELi8EZNS0_22gpu_kernel_impl_nocastIZZZNS0_17rsqrt_kernel_cudaERNS_18TensorIteratorBaseEENKUlvE0_clEvENKUlvE1_clEvEUlN3c108BFloat16EE_EEvS4_RKT_EUlibE_EEviT1_.num_vgpr, 50
	.set _ZN2at6native32elementwise_kernel_manual_unrollILi128ELi8EZNS0_22gpu_kernel_impl_nocastIZZZNS0_17rsqrt_kernel_cudaERNS_18TensorIteratorBaseEENKUlvE0_clEvENKUlvE1_clEvEUlN3c108BFloat16EE_EEvS4_RKT_EUlibE_EEviT1_.num_agpr, 0
	.set _ZN2at6native32elementwise_kernel_manual_unrollILi128ELi8EZNS0_22gpu_kernel_impl_nocastIZZZNS0_17rsqrt_kernel_cudaERNS_18TensorIteratorBaseEENKUlvE0_clEvENKUlvE1_clEvEUlN3c108BFloat16EE_EEvS4_RKT_EUlibE_EEviT1_.numbered_sgpr, 60
	.set _ZN2at6native32elementwise_kernel_manual_unrollILi128ELi8EZNS0_22gpu_kernel_impl_nocastIZZZNS0_17rsqrt_kernel_cudaERNS_18TensorIteratorBaseEENKUlvE0_clEvENKUlvE1_clEvEUlN3c108BFloat16EE_EEvS4_RKT_EUlibE_EEviT1_.num_named_barrier, 0
	.set _ZN2at6native32elementwise_kernel_manual_unrollILi128ELi8EZNS0_22gpu_kernel_impl_nocastIZZZNS0_17rsqrt_kernel_cudaERNS_18TensorIteratorBaseEENKUlvE0_clEvENKUlvE1_clEvEUlN3c108BFloat16EE_EEvS4_RKT_EUlibE_EEviT1_.private_seg_size, 0
	.set _ZN2at6native32elementwise_kernel_manual_unrollILi128ELi8EZNS0_22gpu_kernel_impl_nocastIZZZNS0_17rsqrt_kernel_cudaERNS_18TensorIteratorBaseEENKUlvE0_clEvENKUlvE1_clEvEUlN3c108BFloat16EE_EEvS4_RKT_EUlibE_EEviT1_.uses_vcc, 1
	.set _ZN2at6native32elementwise_kernel_manual_unrollILi128ELi8EZNS0_22gpu_kernel_impl_nocastIZZZNS0_17rsqrt_kernel_cudaERNS_18TensorIteratorBaseEENKUlvE0_clEvENKUlvE1_clEvEUlN3c108BFloat16EE_EEvS4_RKT_EUlibE_EEviT1_.uses_flat_scratch, 0
	.set _ZN2at6native32elementwise_kernel_manual_unrollILi128ELi8EZNS0_22gpu_kernel_impl_nocastIZZZNS0_17rsqrt_kernel_cudaERNS_18TensorIteratorBaseEENKUlvE0_clEvENKUlvE1_clEvEUlN3c108BFloat16EE_EEvS4_RKT_EUlibE_EEviT1_.has_dyn_sized_stack, 0
	.set _ZN2at6native32elementwise_kernel_manual_unrollILi128ELi8EZNS0_22gpu_kernel_impl_nocastIZZZNS0_17rsqrt_kernel_cudaERNS_18TensorIteratorBaseEENKUlvE0_clEvENKUlvE1_clEvEUlN3c108BFloat16EE_EEvS4_RKT_EUlibE_EEviT1_.has_recursion, 0
	.set _ZN2at6native32elementwise_kernel_manual_unrollILi128ELi8EZNS0_22gpu_kernel_impl_nocastIZZZNS0_17rsqrt_kernel_cudaERNS_18TensorIteratorBaseEENKUlvE0_clEvENKUlvE1_clEvEUlN3c108BFloat16EE_EEvS4_RKT_EUlibE_EEviT1_.has_indirect_call, 0
	.section	.AMDGPU.csdata,"",@progbits
; Kernel info:
; codeLenInByte = 13292
; TotalNumSgprs: 66
; NumVgprs: 50
; NumAgprs: 0
; TotalNumVgprs: 50
; ScratchSize: 0
; MemoryBound: 0
; FloatMode: 240
; IeeeMode: 1
; LDSByteSize: 0 bytes/workgroup (compile time only)
; SGPRBlocks: 8
; VGPRBlocks: 6
; NumSGPRsForWavesPerEU: 66
; NumVGPRsForWavesPerEU: 50
; AccumOffset: 52
; Occupancy: 8
; WaveLimiterHint : 1
; COMPUTE_PGM_RSRC2:SCRATCH_EN: 0
; COMPUTE_PGM_RSRC2:USER_SGPR: 2
; COMPUTE_PGM_RSRC2:TRAP_HANDLER: 0
; COMPUTE_PGM_RSRC2:TGID_X_EN: 1
; COMPUTE_PGM_RSRC2:TGID_Y_EN: 0
; COMPUTE_PGM_RSRC2:TGID_Z_EN: 0
; COMPUTE_PGM_RSRC2:TIDIG_COMP_CNT: 0
; COMPUTE_PGM_RSRC3_GFX90A:ACCUM_OFFSET: 12
; COMPUTE_PGM_RSRC3_GFX90A:TG_SPLIT: 0
	.section	.text._ZN2at6native32elementwise_kernel_manual_unrollILi128ELi4EZNS0_15gpu_kernel_implIZZZNS0_17rsqrt_kernel_cudaERNS_18TensorIteratorBaseEENKUlvE0_clEvENKUlvE1_clEvEUlN3c108BFloat16EE_EEvS4_RKT_EUlibE_EEviT1_,"axG",@progbits,_ZN2at6native32elementwise_kernel_manual_unrollILi128ELi4EZNS0_15gpu_kernel_implIZZZNS0_17rsqrt_kernel_cudaERNS_18TensorIteratorBaseEENKUlvE0_clEvENKUlvE1_clEvEUlN3c108BFloat16EE_EEvS4_RKT_EUlibE_EEviT1_,comdat
	.globl	_ZN2at6native32elementwise_kernel_manual_unrollILi128ELi4EZNS0_15gpu_kernel_implIZZZNS0_17rsqrt_kernel_cudaERNS_18TensorIteratorBaseEENKUlvE0_clEvENKUlvE1_clEvEUlN3c108BFloat16EE_EEvS4_RKT_EUlibE_EEviT1_ ; -- Begin function _ZN2at6native32elementwise_kernel_manual_unrollILi128ELi4EZNS0_15gpu_kernel_implIZZZNS0_17rsqrt_kernel_cudaERNS_18TensorIteratorBaseEENKUlvE0_clEvENKUlvE1_clEvEUlN3c108BFloat16EE_EEvS4_RKT_EUlibE_EEviT1_
	.p2align	8
	.type	_ZN2at6native32elementwise_kernel_manual_unrollILi128ELi4EZNS0_15gpu_kernel_implIZZZNS0_17rsqrt_kernel_cudaERNS_18TensorIteratorBaseEENKUlvE0_clEvENKUlvE1_clEvEUlN3c108BFloat16EE_EEvS4_RKT_EUlibE_EEviT1_,@function
_ZN2at6native32elementwise_kernel_manual_unrollILi128ELi4EZNS0_15gpu_kernel_implIZZZNS0_17rsqrt_kernel_cudaERNS_18TensorIteratorBaseEENKUlvE0_clEvENKUlvE1_clEvEUlN3c108BFloat16EE_EEvS4_RKT_EUlibE_EEviT1_: ; @_ZN2at6native32elementwise_kernel_manual_unrollILi128ELi4EZNS0_15gpu_kernel_implIZZZNS0_17rsqrt_kernel_cudaERNS_18TensorIteratorBaseEENKUlvE0_clEvENKUlvE1_clEvEUlN3c108BFloat16EE_EEvS4_RKT_EUlibE_EEviT1_
; %bb.0:
	v_mov_b32_e32 v1, 0
	global_load_ushort v1, v1, s[0:1] offset:33
	s_load_dwordx4 s[4:7], s[0:1], 0x8
	s_load_dwordx2 s[8:9], s[0:1], 0x18
	s_load_dword s38, s[0:1], 0x0
	v_lshl_or_b32 v4, s2, 9, v0
	v_or_b32_e32 v0, 0x180, v4
	s_mov_b64 s[10:11], 0
	s_mov_b64 s[12:13], 0
	s_waitcnt lgkmcnt(0)
	v_cmp_le_i32_e32 vcc, s38, v0
	s_waitcnt vmcnt(0)
	v_readfirstlane_b32 s33, v1
	s_and_b32 s0, 0xffff, s33
	s_lshr_b32 s42, s0, 8
	s_and_saveexec_b64 s[0:1], vcc
	s_xor_b64 s[2:3], exec, s[0:1]
	s_cbranch_execz .LBB208_1029
; %bb.1:
	v_cmp_gt_i32_e32 vcc, s38, v4
	s_mov_b64 s[18:19], -1
	s_mov_b64 s[20:21], 0
	s_mov_b64 s[14:15], 0
	s_and_saveexec_b64 s[16:17], vcc
	s_cbranch_execz .LBB208_252
; %bb.2:
	v_mul_lo_u32 v0, v4, s9
	v_ashrrev_i32_e32 v1, 31, v0
	s_and_b32 s22, 0xffff, s42
	s_cmp_lt_i32 s22, 11
	v_lshl_add_u64 v[0:1], s[6:7], 0, v[0:1]
	s_cbranch_scc1 .LBB208_9
; %bb.3:
	s_cmp_gt_i32 s22, 25
	s_cbranch_scc0 .LBB208_18
; %bb.4:
	s_cmp_gt_i32 s22, 28
	s_cbranch_scc0 .LBB208_22
	;; [unrolled: 3-line block ×4, first 2 shown]
; %bb.7:
	s_cmp_eq_u32 s22, 46
	s_cbranch_scc0 .LBB208_28
; %bb.8:
	global_load_dword v2, v[0:1], off
	s_mov_b64 s[0:1], -1
	s_branch .LBB208_30
.LBB208_9:
                                        ; implicit-def: $vgpr2
	s_mov_b64 s[0:1], 0
	s_cbranch_execnz .LBB208_203
.LBB208_10:
	s_andn2_b64 vcc, exec, s[0:1]
	s_cbranch_vccnz .LBB208_250
.LBB208_11:
	s_waitcnt vmcnt(0)
	v_lshlrev_b32_e32 v0, 16, v2
	v_cvt_f64_f32_e32 v[0:1], v0
	v_rsq_f64_e32 v[2:3], v[0:1]
	s_mov_b32 s0, 0
	s_mov_b32 s1, 0x3fd80000
	v_mov_b32_e32 v5, 0x180
	v_mul_f64 v[0:1], v[2:3], -v[0:1]
	v_fma_f64 v[0:1], v[0:1], v[2:3], 1.0
	v_mul_f64 v[6:7], v[2:3], v[0:1]
	v_fma_f64 v[0:1], v[0:1], s[0:1], 0.5
	v_fma_f64 v[0:1], v[6:7], v[0:1], v[2:3]
	v_cmp_class_f64_e32 vcc, v[2:3], v5
	s_movk_i32 s0, 0x7fff
	s_and_b32 s24, s33, 0xff
	v_cndmask_b32_e32 v1, v3, v1, vcc
	v_cndmask_b32_e32 v0, v2, v0, vcc
	v_cvt_f32_f64_e32 v0, v[0:1]
	v_bfe_u32 v1, v0, 16, 1
	v_add3_u32 v1, v0, v1, s0
	v_cmp_o_f32_e32 vcc, v0, v0
	v_mov_b32_e32 v0, 0x7fc0
	s_cmp_lt_i32 s24, 11
	v_cndmask_b32_sdwa v2, v0, v1, vcc dst_sel:DWORD dst_unused:UNUSED_PAD src0_sel:DWORD src1_sel:WORD_1
	v_mul_lo_u32 v0, v4, s8
	v_ashrrev_i32_e32 v1, 31, v0
	v_lshl_add_u64 v[0:1], s[4:5], 0, v[0:1]
	s_cbranch_scc1 .LBB208_19
; %bb.12:
	s_and_b32 s25, 0xffff, s24
	s_cmp_gt_i32 s25, 25
	s_cbranch_scc0 .LBB208_23
; %bb.13:
	s_cmp_gt_i32 s25, 28
	s_cbranch_scc0 .LBB208_25
; %bb.14:
	;; [unrolled: 3-line block ×4, first 2 shown]
	s_mov_b64 s[18:19], 0
	s_mov_b64 s[0:1], -1
	s_cmp_eq_u32 s25, 46
	s_mov_b64 s[12:13], 0
	s_cbranch_scc0 .LBB208_34
; %bb.17:
	v_and_b32_e32 v3, 0xffff, v2
	global_store_dword v[0:1], v3, off
	s_mov_b64 s[12:13], -1
	s_mov_b64 s[0:1], 0
	s_branch .LBB208_34
.LBB208_18:
	s_mov_b64 s[0:1], 0
                                        ; implicit-def: $vgpr2
	s_cbranch_execnz .LBB208_168
	s_branch .LBB208_202
.LBB208_19:
	s_mov_b64 s[0:1], 0
	s_mov_b64 s[12:13], 0
	s_cbranch_execnz .LBB208_103
.LBB208_20:
	s_andn2_b64 vcc, exec, s[12:13]
	s_cbranch_vccnz .LBB208_141
.LBB208_21:
	v_add_u32_e32 v4, 0x80, v4
	s_mov_b64 s[18:19], -1
	s_branch .LBB208_251
.LBB208_22:
	s_mov_b64 s[12:13], -1
	s_mov_b64 s[0:1], 0
                                        ; implicit-def: $vgpr2
	s_branch .LBB208_149
.LBB208_23:
	s_mov_b64 s[18:19], -1
	s_mov_b64 s[0:1], 0
	s_mov_b64 s[12:13], 0
	s_branch .LBB208_61
.LBB208_24:
	s_mov_b64 s[12:13], -1
	s_mov_b64 s[0:1], 0
                                        ; implicit-def: $vgpr2
	s_branch .LBB208_144
.LBB208_25:
	s_mov_b64 s[18:19], -1
	s_mov_b64 s[0:1], 0
	s_mov_b64 s[12:13], 0
	s_branch .LBB208_44
.LBB208_26:
	s_mov_b64 s[12:13], -1
	s_branch .LBB208_29
.LBB208_27:
	s_mov_b64 s[18:19], -1
	s_mov_b64 s[0:1], 0
	s_mov_b64 s[12:13], 0
	s_branch .LBB208_40
.LBB208_28:
	s_mov_b64 s[14:15], -1
.LBB208_29:
	s_mov_b64 s[0:1], 0
                                        ; implicit-def: $vgpr2
.LBB208_30:
	s_and_b64 vcc, exec, s[12:13]
	s_cbranch_vccz .LBB208_143
; %bb.31:
	s_cmp_eq_u32 s22, 44
	s_cbranch_scc0 .LBB208_142
; %bb.32:
	global_load_ubyte v2, v[0:1], off
	s_movk_i32 s12, 0xff
	v_mov_b32_e32 v3, 0x7f800001
	v_mov_b32_e32 v5, 0x400000
	;; [unrolled: 1-line block ×3, first 2 shown]
	s_mov_b64 s[0:1], -1
	s_mov_b64 s[14:15], 0
	s_waitcnt vmcnt(0)
	v_lshlrev_b32_e32 v7, 23, v2
	v_cmp_ne_u32_e32 vcc, s12, v2
	s_nop 1
	v_cndmask_b32_e32 v3, v3, v7, vcc
	v_cmp_ne_u32_e32 vcc, 0, v2
	s_nop 1
	v_cndmask_b32_e32 v2, v5, v3, vcc
	v_add_u32_e32 v3, 0x7fff, v2
	v_cmp_o_f32_e32 vcc, v2, v2
	s_nop 1
	v_cndmask_b32_sdwa v2, v6, v3, vcc dst_sel:DWORD dst_unused:UNUSED_PAD src0_sel:DWORD src1_sel:WORD_1
	s_branch .LBB208_143
.LBB208_33:
	s_mov_b64 s[18:19], -1
	s_mov_b64 s[0:1], 0
	s_mov_b64 s[12:13], 0
.LBB208_34:
	s_and_b64 vcc, exec, s[18:19]
	s_cbranch_vccz .LBB208_39
; %bb.35:
	s_cmp_eq_u32 s25, 44
	s_mov_b64 s[0:1], -1
	s_cbranch_scc0 .LBB208_39
; %bb.36:
	v_and_b32_e32 v5, 0xffff, v2
	v_bfe_u32 v3, v5, 7, 8
	s_movk_i32 s0, 0xff
	v_cmp_ne_u32_e32 vcc, s0, v3
	v_mov_b32_e32 v6, 0xff
	s_and_saveexec_b64 s[12:13], vcc
	s_cbranch_execz .LBB208_38
; %bb.37:
	v_lshlrev_b32_e32 v7, 16, v5
	s_mov_b32 s0, 0x3f0000
	v_lshrrev_b32_e32 v6, 7, v5
	v_and_b32_e32 v5, 64, v5
	v_and_or_b32 v3, v7, s0, v3
	v_cmp_ne_u32_e32 vcc, 0, v5
	v_cmp_ne_u32_e64 s[0:1], 0, v3
	s_and_b64 s[0:1], vcc, s[0:1]
	s_nop 0
	v_cndmask_b32_e64 v3, 0, 1, s[0:1]
	v_add_u32_e32 v6, v6, v3
.LBB208_38:
	s_or_b64 exec, exec, s[12:13]
	s_mov_b64 s[12:13], -1
	s_mov_b64 s[0:1], 0
	global_store_byte v[0:1], v6, off
.LBB208_39:
	s_mov_b64 s[18:19], 0
.LBB208_40:
	s_and_b64 vcc, exec, s[18:19]
	s_cbranch_vccz .LBB208_43
; %bb.41:
	s_cmp_eq_u32 s25, 29
	s_mov_b64 s[0:1], -1
	s_cbranch_scc0 .LBB208_43
; %bb.42:
	v_lshlrev_b32_e32 v3, 16, v2
	v_trunc_f32_e32 v3, v3
	v_mul_f32_e32 v5, 0x2f800000, v3
	v_floor_f32_e32 v5, v5
	v_fmamk_f32 v3, v5, 0xcf800000, v3
	v_cvt_u32_f32_e32 v7, v5
	v_cvt_u32_f32_e32 v6, v3
	s_mov_b64 s[12:13], -1
	s_mov_b64 s[0:1], 0
	s_mov_b64 s[18:19], 0
	global_store_dwordx2 v[0:1], v[6:7], off
	s_branch .LBB208_44
.LBB208_43:
	s_mov_b64 s[18:19], 0
.LBB208_44:
	s_and_b64 vcc, exec, s[18:19]
	s_cbranch_vccz .LBB208_60
; %bb.45:
	s_cmp_lt_i32 s25, 27
	s_mov_b64 s[12:13], -1
	s_cbranch_scc1 .LBB208_51
; %bb.46:
	s_cmp_gt_i32 s25, 27
	s_cbranch_scc0 .LBB208_48
; %bb.47:
	v_lshlrev_b32_e32 v3, 16, v2
	v_cvt_u32_f32_e32 v3, v3
	s_mov_b64 s[12:13], 0
	global_store_dword v[0:1], v3, off
.LBB208_48:
	s_andn2_b64 vcc, exec, s[12:13]
	s_cbranch_vccnz .LBB208_50
; %bb.49:
	v_lshlrev_b32_e32 v3, 16, v2
	v_cvt_u32_f32_e32 v3, v3
	global_store_short v[0:1], v3, off
.LBB208_50:
	s_mov_b64 s[12:13], 0
.LBB208_51:
	s_andn2_b64 vcc, exec, s[12:13]
	s_cbranch_vccnz .LBB208_59
; %bb.52:
	v_lshlrev_b32_e32 v6, 16, v2
	v_and_b32_e32 v5, 0x7fffffff, v6
	s_mov_b32 s12, 0x43800000
	v_cmp_gt_u32_e32 vcc, s12, v5
	v_mov_b32_e32 v7, 0x80
	s_and_saveexec_b64 s[12:13], vcc
	s_cbranch_execz .LBB208_58
; %bb.53:
	s_mov_b32 s18, 0x3bffffff
	v_and_b32_e32 v3, 0xffff, v2
	v_cmp_lt_u32_e32 vcc, s18, v5
	s_mov_b64 s[18:19], 0
                                        ; implicit-def: $vgpr5
	s_and_saveexec_b64 s[22:23], vcc
	s_xor_b64 s[22:23], exec, s[22:23]
	s_cbranch_execz .LBB208_279
; %bb.54:
	v_bfe_u32 v5, v3, 4, 1
	s_mov_b32 s26, 0x487ffff
	v_add3_u32 v5, v6, v5, s26
	s_mov_b64 s[18:19], exec
	v_lshrrev_b32_e32 v5, 20, v5
                                        ; implicit-def: $vgpr6
	s_andn2_saveexec_b64 s[22:23], s[22:23]
	s_cbranch_execnz .LBB208_280
.LBB208_55:
	s_or_b64 exec, exec, s[22:23]
	v_mov_b32_e32 v7, 0
	s_and_saveexec_b64 s[22:23], s[18:19]
.LBB208_56:
	v_lshrrev_b32_e32 v3, 8, v3
	s_movk_i32 s18, 0x80
	v_and_or_b32 v7, v3, s18, v5
.LBB208_57:
	s_or_b64 exec, exec, s[22:23]
.LBB208_58:
	s_or_b64 exec, exec, s[12:13]
	global_store_byte v[0:1], v7, off
.LBB208_59:
	s_mov_b64 s[12:13], -1
.LBB208_60:
	s_mov_b64 s[18:19], 0
.LBB208_61:
	s_and_b64 vcc, exec, s[18:19]
	s_cbranch_vccz .LBB208_102
; %bb.62:
	s_cmp_gt_i32 s25, 22
	s_mov_b64 s[18:19], -1
	s_cbranch_scc0 .LBB208_94
; %bb.63:
	s_cmp_lt_i32 s25, 24
	s_mov_b64 s[12:13], -1
	s_cbranch_scc1 .LBB208_83
; %bb.64:
	s_cmp_gt_i32 s25, 24
	s_cbranch_scc0 .LBB208_72
; %bb.65:
	v_lshlrev_b32_e32 v6, 16, v2
	v_and_b32_e32 v5, 0x7fffffff, v6
	s_mov_b32 s12, 0x47800000
	v_cmp_gt_u32_e32 vcc, s12, v5
	v_mov_b32_e32 v7, 0x80
	s_and_saveexec_b64 s[12:13], vcc
	s_cbranch_execz .LBB208_71
; %bb.66:
	s_mov_b32 s18, 0x37ffffff
	v_and_b32_e32 v3, 0xffff, v2
	v_cmp_lt_u32_e32 vcc, s18, v5
	s_mov_b64 s[18:19], 0
                                        ; implicit-def: $vgpr5
	s_and_saveexec_b64 s[22:23], vcc
	s_xor_b64 s[22:23], exec, s[22:23]
	s_cbranch_execz .LBB208_283
; %bb.67:
	v_bfe_u32 v5, v3, 5, 1
	s_mov_b32 s26, 0x88fffff
	v_add3_u32 v5, v6, v5, s26
	s_mov_b64 s[18:19], exec
	v_lshrrev_b32_e32 v5, 21, v5
                                        ; implicit-def: $vgpr6
	s_andn2_saveexec_b64 s[22:23], s[22:23]
	s_cbranch_execnz .LBB208_284
.LBB208_68:
	s_or_b64 exec, exec, s[22:23]
	v_mov_b32_e32 v7, 0
	s_and_saveexec_b64 s[22:23], s[18:19]
.LBB208_69:
	v_lshrrev_b32_e32 v3, 8, v3
	s_movk_i32 s18, 0x80
	v_and_or_b32 v7, v3, s18, v5
.LBB208_70:
	s_or_b64 exec, exec, s[22:23]
.LBB208_71:
	s_or_b64 exec, exec, s[12:13]
	s_mov_b64 s[12:13], 0
	global_store_byte v[0:1], v7, off
.LBB208_72:
	s_and_b64 vcc, exec, s[12:13]
	s_cbranch_vccz .LBB208_82
; %bb.73:
	v_lshlrev_b32_e32 v6, 16, v2
	v_and_b32_e32 v7, 0x7fffffff, v6
	s_mov_b32 s12, 0x43f00000
	v_and_b32_e32 v3, 0xffff, v2
	v_cmp_gt_u32_e32 vcc, s12, v7
                                        ; implicit-def: $vgpr5
	s_and_saveexec_b64 s[12:13], vcc
	s_xor_b64 s[12:13], exec, s[12:13]
	s_cbranch_execz .LBB208_79
; %bb.74:
	s_mov_b32 s18, 0x3c7fffff
	v_cmp_lt_u32_e32 vcc, s18, v7
                                        ; implicit-def: $vgpr5
	s_and_saveexec_b64 s[18:19], vcc
	s_xor_b64 s[18:19], exec, s[18:19]
; %bb.75:
	v_bfe_u32 v5, v3, 4, 1
	s_mov_b32 s22, 0x407ffff
	v_add3_u32 v5, v6, v5, s22
	v_lshrrev_b32_e32 v6, 20, v5
	v_and_b32_e32 v5, 0xff00000, v5
	s_mov_b32 s22, 0x7f00000
	v_mov_b32_e32 v7, 0x7e
	v_cmp_ne_u32_e32 vcc, s22, v5
	s_nop 1
	v_cndmask_b32_e32 v5, v7, v6, vcc
                                        ; implicit-def: $vgpr6
; %bb.76:
	s_andn2_saveexec_b64 s[18:19], s[18:19]
; %bb.77:
	s_mov_b32 s22, 0x46800000
	v_add_f32_e64 v5, |v6|, s22
; %bb.78:
	s_or_b64 exec, exec, s[18:19]
                                        ; implicit-def: $vgpr7
.LBB208_79:
	s_andn2_saveexec_b64 s[12:13], s[12:13]
; %bb.80:
	s_mov_b32 s18, 0x7f800000
	v_mov_b32_e32 v5, 0x7e
	v_mov_b32_e32 v6, 0x7f
	v_cmp_lt_u32_e32 vcc, s18, v7
	s_nop 1
	v_cndmask_b32_e32 v5, v5, v6, vcc
; %bb.81:
	s_or_b64 exec, exec, s[12:13]
	v_lshrrev_b32_e32 v3, 8, v3
	s_movk_i32 s12, 0x80
	v_and_or_b32 v3, v3, s12, v5
	global_store_byte v[0:1], v3, off
.LBB208_82:
	s_mov_b64 s[12:13], 0
.LBB208_83:
	s_andn2_b64 vcc, exec, s[12:13]
	s_cbranch_vccnz .LBB208_93
; %bb.84:
	v_lshlrev_b32_e32 v6, 16, v2
	v_and_b32_e32 v7, 0x7fffffff, v6
	s_mov_b32 s12, 0x47800000
	v_and_b32_e32 v3, 0xffff, v2
	v_cmp_gt_u32_e32 vcc, s12, v7
                                        ; implicit-def: $vgpr5
	s_and_saveexec_b64 s[12:13], vcc
	s_xor_b64 s[12:13], exec, s[12:13]
	s_cbranch_execz .LBB208_90
; %bb.85:
	s_mov_b32 s18, 0x387fffff
	v_cmp_lt_u32_e32 vcc, s18, v7
                                        ; implicit-def: $vgpr5
	s_and_saveexec_b64 s[18:19], vcc
	s_xor_b64 s[18:19], exec, s[18:19]
; %bb.86:
	v_bfe_u32 v5, v3, 5, 1
	s_mov_b32 s22, 0x80fffff
	v_add3_u32 v5, v6, v5, s22
	v_lshrrev_b32_e32 v5, 21, v5
                                        ; implicit-def: $vgpr6
; %bb.87:
	s_andn2_saveexec_b64 s[18:19], s[18:19]
; %bb.88:
	s_mov_b32 s22, 0x43000000
	v_add_f32_e64 v5, |v6|, s22
; %bb.89:
	s_or_b64 exec, exec, s[18:19]
                                        ; implicit-def: $vgpr7
.LBB208_90:
	s_andn2_saveexec_b64 s[12:13], s[12:13]
; %bb.91:
	s_mov_b32 s18, 0x7f800000
	v_mov_b32_e32 v5, 0x7c
	v_mov_b32_e32 v6, 0x7f
	v_cmp_lt_u32_e32 vcc, s18, v7
	s_nop 1
	v_cndmask_b32_e32 v5, v5, v6, vcc
; %bb.92:
	s_or_b64 exec, exec, s[12:13]
	v_lshrrev_b32_e32 v3, 8, v3
	s_movk_i32 s12, 0x80
	v_and_or_b32 v3, v3, s12, v5
	global_store_byte v[0:1], v3, off
.LBB208_93:
	s_mov_b64 s[18:19], 0
	s_mov_b64 s[12:13], -1
.LBB208_94:
	s_andn2_b64 vcc, exec, s[18:19]
	s_cbranch_vccnz .LBB208_102
; %bb.95:
	s_cmp_gt_i32 s25, 14
	s_mov_b64 s[18:19], -1
	s_cbranch_scc0 .LBB208_99
; %bb.96:
	s_cmp_eq_u32 s25, 15
	s_mov_b64 s[0:1], -1
	s_cbranch_scc0 .LBB208_98
; %bb.97:
	global_store_short v[0:1], v2, off
	s_mov_b64 s[12:13], -1
	s_mov_b64 s[0:1], 0
.LBB208_98:
	s_mov_b64 s[18:19], 0
.LBB208_99:
	s_and_b64 vcc, exec, s[18:19]
	s_cbranch_vccz .LBB208_102
; %bb.100:
	s_cmp_eq_u32 s25, 11
	s_mov_b64 s[0:1], -1
	s_cbranch_scc0 .LBB208_102
; %bb.101:
	v_and_b32_e32 v3, 0x7fff, v2
	v_cmp_ne_u16_e32 vcc, 0, v3
	s_mov_b64 s[12:13], -1
	s_mov_b64 s[0:1], 0
	v_cndmask_b32_e64 v3, 0, 1, vcc
	global_store_byte v[0:1], v3, off
.LBB208_102:
	s_branch .LBB208_20
.LBB208_103:
	s_and_b32 s18, 0xffff, s24
	s_cmp_lt_i32 s18, 5
	s_mov_b64 s[12:13], -1
	s_cbranch_scc1 .LBB208_124
; %bb.104:
	s_cmp_lt_i32 s18, 8
	s_cbranch_scc1 .LBB208_114
; %bb.105:
	s_cmp_lt_i32 s18, 9
	s_cbranch_scc1 .LBB208_111
; %bb.106:
	s_cmp_gt_i32 s18, 9
	s_cbranch_scc0 .LBB208_108
; %bb.107:
	v_lshlrev_b32_e32 v3, 16, v2
	v_mov_b32_e32 v8, 0
	v_cvt_f64_f32_e32 v[6:7], v3
	v_mov_b32_e32 v9, v8
	global_store_dwordx4 v[0:1], v[6:9], off
	s_mov_b64 s[12:13], 0
.LBB208_108:
	s_andn2_b64 vcc, exec, s[12:13]
	s_cbranch_vccnz .LBB208_110
; %bb.109:
	v_lshlrev_b32_e32 v6, 16, v2
	v_mov_b32_e32 v7, 0
	global_store_dwordx2 v[0:1], v[6:7], off
.LBB208_110:
	s_mov_b64 s[12:13], 0
.LBB208_111:
	s_andn2_b64 vcc, exec, s[12:13]
	s_cbranch_vccnz .LBB208_113
; %bb.112:
	v_lshlrev_b32_e32 v3, 16, v2
	v_cvt_f16_f32_e32 v3, v3
	global_store_dword v[0:1], v3, off
.LBB208_113:
	s_mov_b64 s[12:13], 0
.LBB208_114:
	s_andn2_b64 vcc, exec, s[12:13]
	s_cbranch_vccnz .LBB208_123
; %bb.115:
	s_cmp_lt_i32 s18, 6
	s_mov_b64 s[12:13], -1
	s_cbranch_scc1 .LBB208_121
; %bb.116:
	s_cmp_gt_i32 s18, 6
	s_cbranch_scc0 .LBB208_118
; %bb.117:
	v_lshlrev_b32_e32 v3, 16, v2
	v_cvt_f64_f32_e32 v[6:7], v3
	global_store_dwordx2 v[0:1], v[6:7], off
	s_mov_b64 s[12:13], 0
.LBB208_118:
	s_andn2_b64 vcc, exec, s[12:13]
	s_cbranch_vccnz .LBB208_120
; %bb.119:
	v_lshlrev_b32_e32 v3, 16, v2
	global_store_dword v[0:1], v3, off
.LBB208_120:
	s_mov_b64 s[12:13], 0
.LBB208_121:
	s_andn2_b64 vcc, exec, s[12:13]
	s_cbranch_vccnz .LBB208_123
; %bb.122:
	v_lshlrev_b32_e32 v3, 16, v2
	v_cvt_f16_f32_e32 v3, v3
	global_store_short v[0:1], v3, off
.LBB208_123:
	s_mov_b64 s[12:13], 0
.LBB208_124:
	s_andn2_b64 vcc, exec, s[12:13]
	s_cbranch_vccnz .LBB208_140
; %bb.125:
	s_cmp_lt_i32 s18, 2
	s_mov_b64 s[12:13], -1
	s_cbranch_scc1 .LBB208_135
; %bb.126:
	s_cmp_lt_i32 s18, 3
	s_cbranch_scc1 .LBB208_132
; %bb.127:
	s_cmp_gt_i32 s18, 3
	s_cbranch_scc0 .LBB208_129
; %bb.128:
	v_lshlrev_b32_e32 v3, 16, v2
	v_trunc_f32_e32 v3, v3
	s_mov_b32 s12, 0x2f800000
	v_mul_f32_e64 v5, |v3|, s12
	v_floor_f32_e32 v5, v5
	s_mov_b32 s12, 0xcf800000
	v_cvt_u32_f32_e32 v6, v5
	v_fma_f32 v5, v5, s12, |v3|
	v_cvt_u32_f32_e32 v5, v5
	v_ashrrev_i32_e32 v3, 31, v3
	v_xor_b32_e32 v7, v6, v3
	s_mov_b64 s[12:13], 0
	v_xor_b32_e32 v5, v5, v3
	v_sub_co_u32_e32 v6, vcc, v5, v3
	s_nop 1
	v_subb_co_u32_e32 v7, vcc, v7, v3, vcc
	global_store_dwordx2 v[0:1], v[6:7], off
.LBB208_129:
	s_andn2_b64 vcc, exec, s[12:13]
	s_cbranch_vccnz .LBB208_131
; %bb.130:
	v_lshlrev_b32_e32 v3, 16, v2
	v_cvt_i32_f32_e32 v3, v3
	global_store_dword v[0:1], v3, off
.LBB208_131:
	s_mov_b64 s[12:13], 0
.LBB208_132:
	s_andn2_b64 vcc, exec, s[12:13]
	s_cbranch_vccnz .LBB208_134
; %bb.133:
	v_lshlrev_b32_e32 v3, 16, v2
	v_cvt_i32_f32_e32 v3, v3
	global_store_short v[0:1], v3, off
.LBB208_134:
	s_mov_b64 s[12:13], 0
.LBB208_135:
	s_andn2_b64 vcc, exec, s[12:13]
	s_cbranch_vccnz .LBB208_140
; %bb.136:
	s_mov_b64 s[12:13], -1
	s_cmp_gt_i32 s18, 0
	v_lshlrev_b32_e32 v2, 16, v2
	s_cbranch_scc0 .LBB208_138
; %bb.137:
	v_cvt_i32_f32_e32 v3, v2
	s_mov_b64 s[12:13], 0
	global_store_byte v[0:1], v3, off
.LBB208_138:
	s_andn2_b64 vcc, exec, s[12:13]
	s_cbranch_vccnz .LBB208_140
; %bb.139:
	v_trunc_f32_e32 v2, v2
	s_mov_b32 s12, 0x2f800000
	v_mul_f32_e64 v3, |v2|, s12
	v_floor_f32_e32 v3, v3
	s_mov_b32 s12, 0xcf800000
	v_fma_f32 v3, v3, s12, |v2|
	v_cvt_u32_f32_e32 v3, v3
	v_ashrrev_i32_e32 v2, 31, v2
	v_xor_b32_e32 v3, v3, v2
	v_sub_u32_e32 v2, v3, v2
	global_store_byte v[0:1], v2, off
.LBB208_140:
	s_branch .LBB208_21
.LBB208_141:
	s_mov_b64 s[18:19], 0
                                        ; implicit-def: $vgpr4
	s_branch .LBB208_251
.LBB208_142:
	s_mov_b64 s[14:15], -1
                                        ; implicit-def: $vgpr2
.LBB208_143:
	s_mov_b64 s[12:13], 0
.LBB208_144:
	s_and_b64 vcc, exec, s[12:13]
	s_cbranch_vccz .LBB208_148
; %bb.145:
	s_cmp_eq_u32 s22, 29
	s_cbranch_scc0 .LBB208_147
; %bb.146:
	global_load_dwordx2 v[2:3], v[0:1], off
	s_movk_i32 s12, 0x7fff
	s_mov_b64 s[0:1], -1
	s_mov_b64 s[14:15], 0
	s_waitcnt vmcnt(0)
	v_ffbh_u32_e32 v5, v3
	v_min_u32_e32 v5, 32, v5
	v_lshlrev_b64 v[2:3], v5, v[2:3]
	v_min_u32_e32 v2, 1, v2
	v_or_b32_e32 v2, v3, v2
	v_cvt_f32_u32_e32 v2, v2
	v_sub_u32_e32 v3, 32, v5
	v_ldexp_f32 v2, v2, v3
	v_bfe_u32 v3, v2, 16, 1
	v_add3_u32 v2, v2, v3, s12
	v_lshrrev_b32_e32 v2, 16, v2
	s_branch .LBB208_148
.LBB208_147:
	s_mov_b64 s[14:15], -1
                                        ; implicit-def: $vgpr2
.LBB208_148:
	s_mov_b64 s[12:13], 0
.LBB208_149:
	s_and_b64 vcc, exec, s[12:13]
	s_cbranch_vccz .LBB208_167
; %bb.150:
	s_cmp_lt_i32 s22, 27
	s_cbranch_scc1 .LBB208_153
; %bb.151:
	s_cmp_gt_i32 s22, 27
	s_cbranch_scc0 .LBB208_154
; %bb.152:
	global_load_dword v2, v[0:1], off
	s_movk_i32 s0, 0x7fff
	s_waitcnt vmcnt(0)
	v_cvt_f32_u32_e32 v2, v2
	v_bfe_u32 v3, v2, 16, 1
	v_add3_u32 v2, v2, v3, s0
	v_lshrrev_b32_e32 v2, 16, v2
	s_mov_b64 s[0:1], 0
	s_branch .LBB208_155
.LBB208_153:
	s_mov_b64 s[0:1], -1
                                        ; implicit-def: $vgpr2
	s_branch .LBB208_158
.LBB208_154:
	s_mov_b64 s[0:1], -1
                                        ; implicit-def: $vgpr2
.LBB208_155:
	s_andn2_b64 vcc, exec, s[0:1]
	s_cbranch_vccnz .LBB208_157
; %bb.156:
	global_load_ushort v2, v[0:1], off
	s_movk_i32 s0, 0x7fff
	s_waitcnt vmcnt(0)
	v_cvt_f32_u32_e32 v2, v2
	v_bfe_u32 v3, v2, 16, 1
	v_add3_u32 v2, v2, v3, s0
	v_lshrrev_b32_e32 v2, 16, v2
.LBB208_157:
	s_mov_b64 s[0:1], 0
.LBB208_158:
	s_andn2_b64 vcc, exec, s[0:1]
	s_cbranch_vccnz .LBB208_166
; %bb.159:
	global_load_ubyte v2, v[0:1], off
	s_movk_i32 s0, 0x7f
	s_waitcnt vmcnt(0)
	v_cmp_lt_i16_e32 vcc, s0, v2
	s_mov_b64 s[0:1], 0
	s_and_saveexec_b64 s[12:13], vcc
	s_xor_b64 s[12:13], exec, s[12:13]
	s_cbranch_execz .LBB208_179
; %bb.160:
	s_movk_i32 s0, 0x80
	v_cmp_eq_u16_e32 vcc, s0, v2
	s_mov_b64 s[0:1], -1
	s_and_saveexec_b64 s[18:19], vcc
; %bb.161:
	s_xor_b64 s[0:1], exec, -1
; %bb.162:
	s_or_b64 exec, exec, s[18:19]
	s_and_b64 s[0:1], s[0:1], exec
	s_or_saveexec_b64 s[12:13], s[12:13]
	v_mov_b32_e32 v3, 0x7f800001
	s_xor_b64 exec, exec, s[12:13]
	s_cbranch_execnz .LBB208_180
.LBB208_163:
	s_or_b64 exec, exec, s[12:13]
	s_and_saveexec_b64 s[12:13], s[0:1]
	s_cbranch_execz .LBB208_165
.LBB208_164:
	v_lshlrev_b32_e32 v3, 24, v2
	v_and_b32_e32 v2, 0xffff, v2
	v_and_b32_e32 v5, 7, v2
	v_ffbh_u32_e32 v7, v5
	v_min_u32_e32 v7, 32, v7
	v_subrev_u32_e32 v8, 28, v7
	v_bfe_u32 v6, v2, 3, 4
	v_lshlrev_b32_e32 v2, v8, v2
	v_sub_u32_e32 v7, 29, v7
	v_and_b32_e32 v2, 7, v2
	v_cmp_eq_u32_e32 vcc, 0, v6
	v_and_b32_e32 v3, 0x80000000, v3
	s_nop 0
	v_cndmask_b32_e32 v6, v6, v7, vcc
	v_cndmask_b32_e32 v2, v5, v2, vcc
	v_mov_b32_e32 v5, 0x3b800000
	v_lshlrev_b32_e32 v2, 20, v2
	v_lshl_add_u32 v5, v6, 23, v5
	v_or3_b32 v3, v3, v5, v2
.LBB208_165:
	s_or_b64 exec, exec, s[12:13]
	v_bfe_u32 v2, v3, 16, 1
	s_movk_i32 s0, 0x7fff
	v_add3_u32 v2, v3, v2, s0
	v_cmp_o_f32_e32 vcc, v3, v3
	v_mov_b32_e32 v3, 0x7fc0
	s_nop 0
	v_cndmask_b32_sdwa v2, v3, v2, vcc dst_sel:DWORD dst_unused:UNUSED_PAD src0_sel:DWORD src1_sel:WORD_1
.LBB208_166:
	s_mov_b64 s[0:1], -1
.LBB208_167:
	s_branch .LBB208_202
.LBB208_168:
	s_cmp_gt_i32 s22, 22
	s_cbranch_scc0 .LBB208_178
; %bb.169:
	s_cmp_lt_i32 s22, 24
	s_cbranch_scc1 .LBB208_181
; %bb.170:
	s_cmp_gt_i32 s22, 24
	s_cbranch_scc0 .LBB208_182
; %bb.171:
	global_load_ubyte v2, v[0:1], off
	s_movk_i32 s0, 0x7f
	s_waitcnt vmcnt(0)
	v_cmp_lt_i16_e32 vcc, s0, v2
	s_mov_b64 s[0:1], 0
	s_and_saveexec_b64 s[12:13], vcc
	s_xor_b64 s[12:13], exec, s[12:13]
	s_cbranch_execz .LBB208_194
; %bb.172:
	s_movk_i32 s0, 0x80
	v_cmp_eq_u16_e32 vcc, s0, v2
	s_mov_b64 s[0:1], -1
	s_and_saveexec_b64 s[18:19], vcc
; %bb.173:
	s_xor_b64 s[0:1], exec, -1
; %bb.174:
	s_or_b64 exec, exec, s[18:19]
	s_and_b64 s[0:1], s[0:1], exec
	s_or_saveexec_b64 s[12:13], s[12:13]
	v_mov_b32_e32 v3, 0x7f800001
	s_xor_b64 exec, exec, s[12:13]
	s_cbranch_execnz .LBB208_195
.LBB208_175:
	s_or_b64 exec, exec, s[12:13]
	s_and_saveexec_b64 s[12:13], s[0:1]
	s_cbranch_execz .LBB208_177
.LBB208_176:
	v_lshlrev_b32_e32 v3, 24, v2
	v_and_b32_e32 v2, 0xffff, v2
	v_and_b32_e32 v5, 3, v2
	v_ffbh_u32_e32 v7, v5
	v_min_u32_e32 v7, 32, v7
	v_subrev_u32_e32 v8, 29, v7
	v_bfe_u32 v6, v2, 2, 5
	v_lshlrev_b32_e32 v2, v8, v2
	v_sub_u32_e32 v7, 30, v7
	v_and_b32_e32 v2, 3, v2
	v_cmp_eq_u32_e32 vcc, 0, v6
	v_and_b32_e32 v3, 0x80000000, v3
	s_nop 0
	v_cndmask_b32_e32 v6, v6, v7, vcc
	v_cndmask_b32_e32 v2, v5, v2, vcc
	v_mov_b32_e32 v5, 0x37800000
	v_lshlrev_b32_e32 v2, 21, v2
	v_lshl_add_u32 v5, v6, 23, v5
	v_or3_b32 v3, v3, v5, v2
.LBB208_177:
	s_or_b64 exec, exec, s[12:13]
	v_bfe_u32 v2, v3, 16, 1
	s_movk_i32 s0, 0x7fff
	v_add3_u32 v2, v3, v2, s0
	v_cmp_o_f32_e32 vcc, v3, v3
	v_mov_b32_e32 v3, 0x7fc0
	s_mov_b64 s[0:1], 0
	v_cndmask_b32_sdwa v2, v3, v2, vcc dst_sel:DWORD dst_unused:UNUSED_PAD src0_sel:DWORD src1_sel:WORD_1
	s_branch .LBB208_183
.LBB208_178:
	s_mov_b64 s[12:13], -1
                                        ; implicit-def: $vgpr2
	s_branch .LBB208_189
.LBB208_179:
	s_or_saveexec_b64 s[12:13], s[12:13]
	v_mov_b32_e32 v3, 0x7f800001
	s_xor_b64 exec, exec, s[12:13]
	s_cbranch_execz .LBB208_163
.LBB208_180:
	v_cmp_ne_u16_e32 vcc, 0, v2
	s_andn2_b64 s[0:1], s[0:1], exec
	s_and_b64 s[18:19], vcc, exec
	v_mov_b32_e32 v3, 0
	s_or_b64 s[0:1], s[0:1], s[18:19]
	s_or_b64 exec, exec, s[12:13]
	s_and_saveexec_b64 s[12:13], s[0:1]
	s_cbranch_execnz .LBB208_164
	s_branch .LBB208_165
.LBB208_181:
	s_mov_b64 s[0:1], -1
                                        ; implicit-def: $vgpr2
	s_branch .LBB208_186
.LBB208_182:
	s_mov_b64 s[0:1], -1
                                        ; implicit-def: $vgpr2
.LBB208_183:
	s_and_b64 vcc, exec, s[0:1]
	s_cbranch_vccz .LBB208_185
; %bb.184:
	global_load_ubyte v2, v[0:1], off
	s_mov_b32 s0, 0x7f800000
	s_brev_b32 s1, 1
	s_movk_i32 s12, 0x7fff
	s_waitcnt vmcnt(0)
	v_lshlrev_b32_e32 v2, 24, v2
	v_and_b32_e32 v3, 0x7f000000, v2
	v_ffbh_u32_e32 v5, v3
	v_min_u32_e32 v5, 32, v5
	v_sub_u32_e64 v5, v5, 4 clamp
	v_lshlrev_b32_e32 v7, v5, v3
	v_lshlrev_b32_e32 v5, 23, v5
	v_lshrrev_b32_e32 v7, 4, v7
	v_add_u32_e32 v6, 0x1000000, v3
	v_sub_u32_e32 v5, v7, v5
	v_ashrrev_i32_e32 v6, 8, v6
	v_add_u32_e32 v5, 0x3c000000, v5
	v_and_or_b32 v5, v6, s0, v5
	v_cmp_ne_u32_e32 vcc, 0, v3
	s_nop 1
	v_cndmask_b32_e32 v3, 0, v5, vcc
	v_and_or_b32 v2, v2, s1, v3
	v_bfe_u32 v3, v3, 16, 1
	v_add3_u32 v3, v2, v3, s12
	v_cmp_o_f32_e32 vcc, v2, v2
	v_mov_b32_e32 v2, 0x7fc0
	s_nop 0
	v_cndmask_b32_sdwa v2, v2, v3, vcc dst_sel:DWORD dst_unused:UNUSED_PAD src0_sel:DWORD src1_sel:WORD_1
.LBB208_185:
	s_mov_b64 s[0:1], 0
.LBB208_186:
	s_andn2_b64 vcc, exec, s[0:1]
	s_cbranch_vccnz .LBB208_188
; %bb.187:
	global_load_ubyte v2, v[0:1], off
	s_movk_i32 s0, 0x7f00
	s_brev_b32 s1, 16
	s_brev_b32 s12, 1
	s_movk_i32 s13, 0x7fff
	s_waitcnt vmcnt(0)
	v_lshlrev_b16_e32 v3, 8, v2
	v_lshlrev_b32_e32 v2, 25, v2
	v_lshrrev_b32_e32 v5, 4, v2
	v_and_or_b32 v6, v3, s0, 0.5
	v_or_b32_e32 v5, 0x70000000, v5
	v_add_f32_e32 v6, -0.5, v6
	v_mul_f32_e32 v5, 0x7800000, v5
	v_cmp_gt_u32_e32 vcc, s1, v2
	v_bfe_i32 v3, v3, 0, 16
	s_nop 0
	v_cndmask_b32_e32 v2, v5, v6, vcc
	v_and_or_b32 v3, v3, s12, v2
	v_bfe_u32 v2, v2, 16, 1
	v_add3_u32 v2, v3, v2, s13
	v_cmp_o_f32_e32 vcc, v3, v3
	v_mov_b32_e32 v3, 0x7fc0
	s_nop 0
	v_cndmask_b32_sdwa v2, v3, v2, vcc dst_sel:DWORD dst_unused:UNUSED_PAD src0_sel:DWORD src1_sel:WORD_1
.LBB208_188:
	s_mov_b64 s[12:13], 0
	s_mov_b64 s[0:1], -1
.LBB208_189:
	s_andn2_b64 vcc, exec, s[12:13]
	s_cbranch_vccnz .LBB208_202
; %bb.190:
	s_cmp_gt_i32 s22, 14
	s_cbranch_scc0 .LBB208_193
; %bb.191:
	s_cmp_eq_u32 s22, 15
	s_cbranch_scc0 .LBB208_196
; %bb.192:
	global_load_ushort v2, v[0:1], off
	s_mov_b64 s[0:1], -1
	s_mov_b64 s[14:15], 0
	s_branch .LBB208_197
.LBB208_193:
	s_mov_b64 s[12:13], -1
                                        ; implicit-def: $vgpr2
	s_branch .LBB208_198
.LBB208_194:
	s_or_saveexec_b64 s[12:13], s[12:13]
	v_mov_b32_e32 v3, 0x7f800001
	s_xor_b64 exec, exec, s[12:13]
	s_cbranch_execz .LBB208_175
.LBB208_195:
	v_cmp_ne_u16_e32 vcc, 0, v2
	s_andn2_b64 s[0:1], s[0:1], exec
	s_and_b64 s[18:19], vcc, exec
	v_mov_b32_e32 v3, 0
	s_or_b64 s[0:1], s[0:1], s[18:19]
	s_or_b64 exec, exec, s[12:13]
	s_and_saveexec_b64 s[12:13], s[0:1]
	s_cbranch_execnz .LBB208_176
	s_branch .LBB208_177
.LBB208_196:
	s_mov_b64 s[14:15], -1
                                        ; implicit-def: $vgpr2
.LBB208_197:
	s_mov_b64 s[12:13], 0
.LBB208_198:
	s_and_b64 vcc, exec, s[12:13]
	s_cbranch_vccz .LBB208_202
; %bb.199:
	s_cmp_eq_u32 s22, 11
	s_cbranch_scc0 .LBB208_201
; %bb.200:
	global_load_ubyte v2, v[0:1], off
	s_mov_b64 s[0:1], -1
	s_mov_b64 s[14:15], 0
	s_waitcnt vmcnt(0)
	v_cmp_ne_u16_e32 vcc, 0, v2
	s_nop 1
	v_cndmask_b32_e64 v2, 0, 1.0, vcc
	v_lshrrev_b32_e32 v2, 16, v2
	s_branch .LBB208_202
.LBB208_201:
	s_mov_b64 s[14:15], -1
                                        ; implicit-def: $vgpr2
.LBB208_202:
	s_branch .LBB208_10
.LBB208_203:
	s_cmp_lt_i32 s22, 5
	s_cbranch_scc1 .LBB208_208
; %bb.204:
	s_cmp_lt_i32 s22, 8
	s_cbranch_scc1 .LBB208_209
; %bb.205:
	;; [unrolled: 3-line block ×3, first 2 shown]
	s_cmp_gt_i32 s22, 9
	s_cbranch_scc0 .LBB208_211
; %bb.207:
	global_load_dwordx2 v[2:3], v[0:1], off
	s_movk_i32 s0, 0x7fff
	v_mov_b32_e32 v5, 0x7fc0
	s_waitcnt vmcnt(0)
	v_cvt_f32_f64_e32 v2, v[2:3]
	v_bfe_u32 v3, v2, 16, 1
	v_cmp_o_f32_e32 vcc, v2, v2
	v_add3_u32 v2, v2, v3, s0
	s_mov_b64 s[0:1], 0
	v_cndmask_b32_sdwa v2, v5, v2, vcc dst_sel:DWORD dst_unused:UNUSED_PAD src0_sel:DWORD src1_sel:WORD_1
	s_branch .LBB208_212
.LBB208_208:
                                        ; implicit-def: $vgpr2
	s_branch .LBB208_230
.LBB208_209:
	s_mov_b64 s[0:1], -1
                                        ; implicit-def: $vgpr2
	s_branch .LBB208_218
.LBB208_210:
	s_mov_b64 s[0:1], -1
                                        ; implicit-def: $vgpr2
	s_branch .LBB208_215
.LBB208_211:
	s_mov_b64 s[0:1], -1
                                        ; implicit-def: $vgpr2
.LBB208_212:
	s_andn2_b64 vcc, exec, s[0:1]
	s_cbranch_vccnz .LBB208_214
; %bb.213:
	global_load_dword v2, v[0:1], off
	s_movk_i32 s0, 0x7fff
	v_mov_b32_e32 v3, 0x7fc0
	s_waitcnt vmcnt(0)
	v_bfe_u32 v5, v2, 16, 1
	v_cmp_o_f32_e32 vcc, v2, v2
	v_add3_u32 v2, v2, v5, s0
	s_nop 0
	v_cndmask_b32_sdwa v2, v3, v2, vcc dst_sel:DWORD dst_unused:UNUSED_PAD src0_sel:DWORD src1_sel:WORD_1
.LBB208_214:
	s_mov_b64 s[0:1], 0
.LBB208_215:
	s_andn2_b64 vcc, exec, s[0:1]
	s_cbranch_vccnz .LBB208_217
; %bb.216:
	global_load_dword v2, v[0:1], off
	s_movk_i32 s0, 0x7fff
	v_mov_b32_e32 v5, 0x7fc0
	s_waitcnt vmcnt(0)
	v_cvt_f32_f16_e32 v3, v2
	v_cmp_o_f16_e32 vcc, v2, v2
	v_bfe_u32 v2, v3, 16, 1
	v_add3_u32 v2, v3, v2, s0
	v_cndmask_b32_sdwa v2, v5, v2, vcc dst_sel:DWORD dst_unused:UNUSED_PAD src0_sel:DWORD src1_sel:WORD_1
.LBB208_217:
	s_mov_b64 s[0:1], 0
.LBB208_218:
	s_andn2_b64 vcc, exec, s[0:1]
	s_cbranch_vccnz .LBB208_229
; %bb.219:
	s_cmp_lt_i32 s22, 6
	s_cbranch_scc1 .LBB208_222
; %bb.220:
	s_cmp_gt_i32 s22, 6
	s_cbranch_scc0 .LBB208_223
; %bb.221:
	global_load_dwordx2 v[2:3], v[0:1], off
	s_movk_i32 s0, 0x7fff
	v_mov_b32_e32 v5, 0x7fc0
	s_waitcnt vmcnt(0)
	v_cvt_f32_f64_e32 v2, v[2:3]
	v_bfe_u32 v3, v2, 16, 1
	v_cmp_o_f32_e32 vcc, v2, v2
	v_add3_u32 v2, v2, v3, s0
	s_mov_b64 s[0:1], 0
	v_cndmask_b32_sdwa v2, v5, v2, vcc dst_sel:DWORD dst_unused:UNUSED_PAD src0_sel:DWORD src1_sel:WORD_1
	s_branch .LBB208_224
.LBB208_222:
	s_mov_b64 s[0:1], -1
                                        ; implicit-def: $vgpr2
	s_branch .LBB208_227
.LBB208_223:
	s_mov_b64 s[0:1], -1
                                        ; implicit-def: $vgpr2
.LBB208_224:
	s_andn2_b64 vcc, exec, s[0:1]
	s_cbranch_vccnz .LBB208_226
; %bb.225:
	global_load_dword v2, v[0:1], off
	s_movk_i32 s0, 0x7fff
	v_mov_b32_e32 v3, 0x7fc0
	s_waitcnt vmcnt(0)
	v_bfe_u32 v5, v2, 16, 1
	v_cmp_o_f32_e32 vcc, v2, v2
	v_add3_u32 v2, v2, v5, s0
	s_nop 0
	v_cndmask_b32_sdwa v2, v3, v2, vcc dst_sel:DWORD dst_unused:UNUSED_PAD src0_sel:DWORD src1_sel:WORD_1
.LBB208_226:
	s_mov_b64 s[0:1], 0
.LBB208_227:
	s_andn2_b64 vcc, exec, s[0:1]
	s_cbranch_vccnz .LBB208_229
; %bb.228:
	global_load_ushort v2, v[0:1], off
	s_movk_i32 s0, 0x7fff
	v_mov_b32_e32 v5, 0x7fc0
	s_waitcnt vmcnt(0)
	v_cvt_f32_f16_e32 v3, v2
	v_cmp_o_f16_e32 vcc, v2, v2
	v_bfe_u32 v2, v3, 16, 1
	v_add3_u32 v2, v3, v2, s0
	v_cndmask_b32_sdwa v2, v5, v2, vcc dst_sel:DWORD dst_unused:UNUSED_PAD src0_sel:DWORD src1_sel:WORD_1
.LBB208_229:
	s_cbranch_execnz .LBB208_249
.LBB208_230:
	s_cmp_lt_i32 s22, 2
	s_cbranch_scc1 .LBB208_234
; %bb.231:
	s_cmp_lt_i32 s22, 3
	s_cbranch_scc1 .LBB208_235
; %bb.232:
	s_cmp_gt_i32 s22, 3
	s_cbranch_scc0 .LBB208_236
; %bb.233:
	global_load_dwordx2 v[2:3], v[0:1], off
	s_movk_i32 s0, 0x7fff
	s_waitcnt vmcnt(0)
	v_xor_b32_e32 v6, v2, v3
	v_ffbh_i32_e32 v5, v3
	v_ashrrev_i32_e32 v6, 31, v6
	v_add_u32_e32 v5, -1, v5
	v_add_u32_e32 v6, 32, v6
	v_min_u32_e32 v5, v5, v6
	v_lshlrev_b64 v[2:3], v5, v[2:3]
	v_min_u32_e32 v2, 1, v2
	v_or_b32_e32 v2, v3, v2
	v_cvt_f32_i32_e32 v2, v2
	v_sub_u32_e32 v3, 32, v5
	v_ldexp_f32 v2, v2, v3
	v_bfe_u32 v3, v2, 16, 1
	v_add3_u32 v2, v2, v3, s0
	v_lshrrev_b32_e32 v2, 16, v2
	s_mov_b64 s[0:1], 0
	s_branch .LBB208_237
.LBB208_234:
	s_mov_b64 s[0:1], -1
                                        ; implicit-def: $vgpr2
	s_branch .LBB208_243
.LBB208_235:
	s_mov_b64 s[0:1], -1
                                        ; implicit-def: $vgpr2
	s_branch .LBB208_240
.LBB208_236:
	s_mov_b64 s[0:1], -1
                                        ; implicit-def: $vgpr2
.LBB208_237:
	s_andn2_b64 vcc, exec, s[0:1]
	s_cbranch_vccnz .LBB208_239
; %bb.238:
	global_load_dword v2, v[0:1], off
	s_movk_i32 s0, 0x7fff
	s_waitcnt vmcnt(0)
	v_cvt_f32_i32_e32 v2, v2
	v_bfe_u32 v3, v2, 16, 1
	v_add3_u32 v2, v2, v3, s0
	v_lshrrev_b32_e32 v2, 16, v2
.LBB208_239:
	s_mov_b64 s[0:1], 0
.LBB208_240:
	s_andn2_b64 vcc, exec, s[0:1]
	s_cbranch_vccnz .LBB208_242
; %bb.241:
	global_load_sshort v2, v[0:1], off
	s_movk_i32 s0, 0x7fff
	s_waitcnt vmcnt(0)
	v_cvt_f32_i32_e32 v2, v2
	v_bfe_u32 v3, v2, 16, 1
	v_add3_u32 v2, v2, v3, s0
	v_lshrrev_b32_e32 v2, 16, v2
.LBB208_242:
	s_mov_b64 s[0:1], 0
.LBB208_243:
	s_andn2_b64 vcc, exec, s[0:1]
	s_cbranch_vccnz .LBB208_249
; %bb.244:
	s_cmp_gt_i32 s22, 0
	s_cbranch_scc0 .LBB208_246
; %bb.245:
	global_load_sbyte v2, v[0:1], off
	s_movk_i32 s0, 0x7fff
	s_waitcnt vmcnt(0)
	v_cvt_f32_i32_e32 v2, v2
	v_bfe_u32 v3, v2, 16, 1
	v_add3_u32 v2, v2, v3, s0
	v_lshrrev_b32_e32 v2, 16, v2
	s_mov_b64 s[0:1], 0
	s_branch .LBB208_247
.LBB208_246:
	s_mov_b64 s[0:1], -1
                                        ; implicit-def: $vgpr2
.LBB208_247:
	s_andn2_b64 vcc, exec, s[0:1]
	s_cbranch_vccnz .LBB208_249
; %bb.248:
	global_load_ubyte v0, v[0:1], off
	s_movk_i32 s0, 0x7fff
	s_waitcnt vmcnt(0)
	v_cvt_f32_ubyte0_e32 v0, v0
	v_bfe_u32 v1, v0, 16, 1
	v_add3_u32 v0, v0, v1, s0
	v_lshrrev_b32_e32 v2, 16, v0
.LBB208_249:
	s_branch .LBB208_11
.LBB208_250:
	s_mov_b64 s[0:1], 0
                                        ; implicit-def: $vgpr4
	s_mov_b64 s[18:19], 0
.LBB208_251:
	s_and_b64 s[12:13], s[0:1], exec
	s_and_b64 s[14:15], s[14:15], exec
	s_orn2_b64 s[18:19], s[18:19], exec
.LBB208_252:
	s_or_b64 exec, exec, s[16:17]
	s_mov_b64 s[22:23], 0
	s_mov_b64 s[0:1], 0
                                        ; implicit-def: $vgpr0_vgpr1
                                        ; implicit-def: $vgpr3
	s_and_saveexec_b64 s[16:17], s[18:19]
	s_cbranch_execz .LBB208_261
; %bb.253:
	v_cmp_gt_i32_e32 vcc, s38, v4
	s_mov_b64 s[0:1], -1
	s_mov_b64 s[18:19], s[14:15]
	s_mov_b64 s[20:21], s[12:13]
	s_and_saveexec_b64 s[22:23], vcc
	s_cbranch_execz .LBB208_514
; %bb.254:
	v_mul_lo_u32 v0, v4, s9
	v_ashrrev_i32_e32 v1, 31, v0
	s_and_b32 s26, 0xffff, s42
	s_cmp_lt_i32 s26, 11
	v_lshl_add_u64 v[0:1], s[6:7], 0, v[0:1]
	s_cbranch_scc1 .LBB208_264
; %bb.255:
	s_cmp_gt_i32 s26, 25
	s_cbranch_scc0 .LBB208_273
; %bb.256:
	s_cmp_gt_i32 s26, 28
	s_cbranch_scc0 .LBB208_275
; %bb.257:
	s_cmp_gt_i32 s26, 43
	s_cbranch_scc0 .LBB208_277
; %bb.258:
	s_cmp_gt_i32 s26, 45
	s_cbranch_scc0 .LBB208_281
; %bb.259:
	s_cmp_eq_u32 s26, 46
	s_mov_b64 s[20:21], 0
	s_cbranch_scc0 .LBB208_285
; %bb.260:
	global_load_dword v2, v[0:1], off
	s_mov_b64 s[18:19], 0
	s_branch .LBB208_286
.LBB208_261:
	s_or_b64 exec, exec, s[16:17]
	s_mov_b64 s[16:17], 0
	s_and_saveexec_b64 s[18:19], s[14:15]
	s_cbranch_execnz .LBB208_861
.LBB208_262:
	s_or_b64 exec, exec, s[18:19]
	s_and_saveexec_b64 s[14:15], s[20:21]
	s_xor_b64 s[14:15], exec, s[14:15]
	s_cbranch_execz .LBB208_862
.LBB208_263:
	global_load_ubyte v2, v[0:1], off
	s_or_b64 s[0:1], s[0:1], exec
	s_waitcnt vmcnt(0)
	v_cmp_ne_u16_e32 vcc, 0, v2
	s_nop 1
	v_cndmask_b32_e64 v2, 0, 1.0, vcc
	v_lshrrev_b32_e32 v3, 16, v2
	s_or_b64 exec, exec, s[14:15]
	s_and_saveexec_b64 s[14:15], s[22:23]
	s_cbranch_execz .LBB208_908
	s_branch .LBB208_863
.LBB208_264:
	s_mov_b64 s[0:1], 0
                                        ; implicit-def: $vgpr2
	s_mov_b64 s[18:19], s[14:15]
	s_cbranch_execnz .LBB208_463
.LBB208_265:
	s_andn2_b64 vcc, exec, s[0:1]
	s_cbranch_vccnz .LBB208_511
.LBB208_266:
	s_waitcnt vmcnt(0)
	v_lshlrev_b32_e32 v0, 16, v2
	v_cvt_f64_f32_e32 v[0:1], v0
	v_rsq_f64_e32 v[2:3], v[0:1]
	s_mov_b32 s0, 0
	s_mov_b32 s1, 0x3fd80000
	v_mov_b32_e32 v5, 0x180
	v_mul_f64 v[0:1], v[2:3], -v[0:1]
	v_fma_f64 v[0:1], v[0:1], v[2:3], 1.0
	v_mul_f64 v[6:7], v[2:3], v[0:1]
	v_fma_f64 v[0:1], v[0:1], s[0:1], 0.5
	v_fma_f64 v[0:1], v[6:7], v[0:1], v[2:3]
	v_cmp_class_f64_e32 vcc, v[2:3], v5
	s_movk_i32 s0, 0x7fff
	s_and_b32 s28, s33, 0xff
	v_cndmask_b32_e32 v1, v3, v1, vcc
	v_cndmask_b32_e32 v0, v2, v0, vcc
	v_cvt_f32_f64_e32 v0, v[0:1]
	v_bfe_u32 v1, v0, 16, 1
	v_add3_u32 v1, v0, v1, s0
	v_cmp_o_f32_e32 vcc, v0, v0
	v_mov_b32_e32 v0, 0x7fc0
	s_cmp_lt_i32 s28, 11
	v_cndmask_b32_sdwa v2, v0, v1, vcc dst_sel:DWORD dst_unused:UNUSED_PAD src0_sel:DWORD src1_sel:WORD_1
	v_mul_lo_u32 v0, v4, s8
	v_ashrrev_i32_e32 v1, 31, v0
	v_lshl_add_u64 v[0:1], s[4:5], 0, v[0:1]
	s_cbranch_scc1 .LBB208_274
; %bb.267:
	s_and_b32 s29, 0xffff, s28
	s_cmp_gt_i32 s29, 25
	s_cbranch_scc0 .LBB208_276
; %bb.268:
	s_cmp_gt_i32 s29, 28
	s_cbranch_scc0 .LBB208_278
; %bb.269:
	s_cmp_gt_i32 s29, 43
	s_cbranch_scc0 .LBB208_282
; %bb.270:
	s_cmp_gt_i32 s29, 45
	s_cbranch_scc0 .LBB208_289
; %bb.271:
	s_mov_b64 s[24:25], 0
	s_mov_b64 s[0:1], -1
	s_cmp_eq_u32 s29, 46
	s_mov_b64 s[20:21], 0
	s_cbranch_scc0 .LBB208_290
; %bb.272:
	v_and_b32_e32 v3, 0xffff, v2
	global_store_dword v[0:1], v3, off
	s_mov_b64 s[20:21], -1
	s_mov_b64 s[0:1], 0
	s_branch .LBB208_290
.LBB208_273:
	s_mov_b64 s[20:21], -1
	s_mov_b64 s[0:1], 0
	s_mov_b64 s[18:19], s[14:15]
                                        ; implicit-def: $vgpr2
	s_branch .LBB208_427
.LBB208_274:
	s_mov_b64 s[24:25], -1
	s_mov_b64 s[20:21], 0
	s_mov_b64 s[0:1], s[12:13]
	s_branch .LBB208_359
.LBB208_275:
	s_mov_b64 s[20:21], -1
	s_mov_b64 s[0:1], 0
	s_mov_b64 s[18:19], s[14:15]
                                        ; implicit-def: $vgpr2
	s_branch .LBB208_408
.LBB208_276:
	s_mov_b64 s[24:25], -1
	s_mov_b64 s[20:21], 0
	s_mov_b64 s[0:1], s[12:13]
	s_branch .LBB208_317
.LBB208_277:
	s_mov_b64 s[20:21], -1
	s_mov_b64 s[0:1], 0
	s_mov_b64 s[18:19], s[14:15]
                                        ; implicit-def: $vgpr2
	s_branch .LBB208_403
.LBB208_278:
	s_mov_b64 s[24:25], -1
	s_mov_b64 s[20:21], 0
	s_mov_b64 s[0:1], s[12:13]
	s_branch .LBB208_300
.LBB208_279:
	s_andn2_saveexec_b64 s[22:23], s[22:23]
	s_cbranch_execz .LBB208_55
.LBB208_280:
	s_mov_b32 s26, 0x46000000
	v_add_f32_e64 v5, |v6|, s26
	v_and_b32_e32 v5, 0xff, v5
	v_cmp_ne_u32_e32 vcc, 0, v5
	s_andn2_b64 s[18:19], s[18:19], exec
	s_and_b64 s[26:27], vcc, exec
	s_or_b64 s[18:19], s[18:19], s[26:27]
	s_or_b64 exec, exec, s[22:23]
	v_mov_b32_e32 v7, 0
	s_and_saveexec_b64 s[22:23], s[18:19]
	s_cbranch_execnz .LBB208_56
	s_branch .LBB208_57
.LBB208_281:
	s_mov_b64 s[20:21], -1
	s_mov_b64 s[0:1], 0
	s_mov_b64 s[18:19], s[14:15]
                                        ; implicit-def: $vgpr2
	s_branch .LBB208_286
.LBB208_282:
	s_mov_b64 s[24:25], -1
	s_mov_b64 s[20:21], 0
	s_mov_b64 s[0:1], s[12:13]
	s_branch .LBB208_296
.LBB208_283:
	s_andn2_saveexec_b64 s[22:23], s[22:23]
	s_cbranch_execz .LBB208_68
.LBB208_284:
	s_mov_b32 s26, 0x42800000
	v_add_f32_e64 v5, |v6|, s26
	v_and_b32_e32 v5, 0xff, v5
	v_cmp_ne_u32_e32 vcc, 0, v5
	s_andn2_b64 s[18:19], s[18:19], exec
	s_and_b64 s[26:27], vcc, exec
	s_or_b64 s[18:19], s[18:19], s[26:27]
	s_or_b64 exec, exec, s[22:23]
	v_mov_b32_e32 v7, 0
	s_and_saveexec_b64 s[22:23], s[18:19]
	s_cbranch_execnz .LBB208_69
	s_branch .LBB208_70
.LBB208_285:
	s_mov_b64 s[18:19], -1
                                        ; implicit-def: $vgpr2
	s_mov_b64 s[0:1], 0
.LBB208_286:
	s_and_b64 vcc, exec, s[20:21]
	s_cbranch_vccz .LBB208_402
; %bb.287:
	s_cmp_eq_u32 s26, 44
	s_cbranch_scc0 .LBB208_401
; %bb.288:
	global_load_ubyte v2, v[0:1], off
	s_movk_i32 s18, 0xff
	v_mov_b32_e32 v3, 0x7f800001
	v_mov_b32_e32 v5, 0x400000
	;; [unrolled: 1-line block ×3, first 2 shown]
	s_mov_b64 s[0:1], -1
	s_waitcnt vmcnt(0)
	v_lshlrev_b32_e32 v7, 23, v2
	v_cmp_ne_u32_e32 vcc, s18, v2
	s_mov_b64 s[18:19], 0
	s_nop 0
	v_cndmask_b32_e32 v3, v3, v7, vcc
	v_cmp_ne_u32_e32 vcc, 0, v2
	s_nop 1
	v_cndmask_b32_e32 v2, v5, v3, vcc
	v_add_u32_e32 v3, 0x7fff, v2
	v_cmp_o_f32_e32 vcc, v2, v2
	s_nop 1
	v_cndmask_b32_sdwa v2, v6, v3, vcc dst_sel:DWORD dst_unused:UNUSED_PAD src0_sel:DWORD src1_sel:WORD_1
	s_branch .LBB208_402
.LBB208_289:
	s_mov_b64 s[24:25], -1
	s_mov_b64 s[20:21], 0
	s_mov_b64 s[0:1], s[12:13]
.LBB208_290:
	s_and_b64 vcc, exec, s[24:25]
	s_cbranch_vccz .LBB208_295
; %bb.291:
	s_cmp_eq_u32 s29, 44
	s_mov_b64 s[0:1], -1
	s_cbranch_scc0 .LBB208_295
; %bb.292:
	v_and_b32_e32 v5, 0xffff, v2
	v_bfe_u32 v3, v5, 7, 8
	s_movk_i32 s0, 0xff
	v_cmp_ne_u32_e32 vcc, s0, v3
	v_mov_b32_e32 v6, 0xff
	s_and_saveexec_b64 s[20:21], vcc
	s_cbranch_execz .LBB208_294
; %bb.293:
	v_lshlrev_b32_e32 v7, 16, v5
	s_mov_b32 s0, 0x3f0000
	v_lshrrev_b32_e32 v6, 7, v5
	v_and_b32_e32 v5, 64, v5
	v_and_or_b32 v3, v7, s0, v3
	v_cmp_ne_u32_e32 vcc, 0, v5
	v_cmp_ne_u32_e64 s[0:1], 0, v3
	s_and_b64 s[0:1], vcc, s[0:1]
	s_nop 0
	v_cndmask_b32_e64 v3, 0, 1, s[0:1]
	v_add_u32_e32 v6, v6, v3
.LBB208_294:
	s_or_b64 exec, exec, s[20:21]
	s_mov_b64 s[20:21], -1
	s_mov_b64 s[0:1], 0
	global_store_byte v[0:1], v6, off
.LBB208_295:
	s_mov_b64 s[24:25], 0
.LBB208_296:
	s_and_b64 vcc, exec, s[24:25]
	s_cbranch_vccz .LBB208_299
; %bb.297:
	s_cmp_eq_u32 s29, 29
	s_mov_b64 s[0:1], -1
	s_cbranch_scc0 .LBB208_299
; %bb.298:
	v_lshlrev_b32_e32 v3, 16, v2
	v_trunc_f32_e32 v3, v3
	v_mul_f32_e32 v5, 0x2f800000, v3
	v_floor_f32_e32 v5, v5
	v_fmamk_f32 v3, v5, 0xcf800000, v3
	v_cvt_u32_f32_e32 v7, v5
	v_cvt_u32_f32_e32 v6, v3
	s_mov_b64 s[20:21], -1
	s_mov_b64 s[0:1], 0
	s_mov_b64 s[24:25], 0
	global_store_dwordx2 v[0:1], v[6:7], off
	s_branch .LBB208_300
.LBB208_299:
	s_mov_b64 s[24:25], 0
.LBB208_300:
	s_and_b64 vcc, exec, s[24:25]
	s_cbranch_vccz .LBB208_316
; %bb.301:
	s_cmp_lt_i32 s29, 27
	s_mov_b64 s[20:21], -1
	s_cbranch_scc1 .LBB208_307
; %bb.302:
	s_cmp_gt_i32 s29, 27
	s_cbranch_scc0 .LBB208_304
; %bb.303:
	v_lshlrev_b32_e32 v3, 16, v2
	v_cvt_u32_f32_e32 v3, v3
	s_mov_b64 s[20:21], 0
	global_store_dword v[0:1], v3, off
.LBB208_304:
	s_andn2_b64 vcc, exec, s[20:21]
	s_cbranch_vccnz .LBB208_306
; %bb.305:
	v_lshlrev_b32_e32 v3, 16, v2
	v_cvt_u32_f32_e32 v3, v3
	global_store_short v[0:1], v3, off
.LBB208_306:
	s_mov_b64 s[20:21], 0
.LBB208_307:
	s_andn2_b64 vcc, exec, s[20:21]
	s_cbranch_vccnz .LBB208_315
; %bb.308:
	v_lshlrev_b32_e32 v6, 16, v2
	v_and_b32_e32 v5, 0x7fffffff, v6
	s_mov_b32 s20, 0x43800000
	v_cmp_gt_u32_e32 vcc, s20, v5
	v_mov_b32_e32 v7, 0x80
	s_and_saveexec_b64 s[20:21], vcc
	s_cbranch_execz .LBB208_314
; %bb.309:
	s_mov_b32 s24, 0x3bffffff
	v_and_b32_e32 v3, 0xffff, v2
	v_cmp_lt_u32_e32 vcc, s24, v5
	s_mov_b64 s[24:25], 0
                                        ; implicit-def: $vgpr5
	s_and_saveexec_b64 s[26:27], vcc
	s_xor_b64 s[26:27], exec, s[26:27]
	s_cbranch_execz .LBB208_527
; %bb.310:
	v_bfe_u32 v5, v3, 4, 1
	s_mov_b32 s30, 0x487ffff
	v_add3_u32 v5, v6, v5, s30
	s_mov_b64 s[24:25], exec
	v_lshrrev_b32_e32 v5, 20, v5
                                        ; implicit-def: $vgpr6
	s_andn2_saveexec_b64 s[26:27], s[26:27]
	s_cbranch_execnz .LBB208_528
.LBB208_311:
	s_or_b64 exec, exec, s[26:27]
	v_mov_b32_e32 v7, 0
	s_and_saveexec_b64 s[26:27], s[24:25]
.LBB208_312:
	v_lshrrev_b32_e32 v3, 8, v3
	s_movk_i32 s24, 0x80
	v_and_or_b32 v7, v3, s24, v5
.LBB208_313:
	s_or_b64 exec, exec, s[26:27]
.LBB208_314:
	s_or_b64 exec, exec, s[20:21]
	global_store_byte v[0:1], v7, off
.LBB208_315:
	s_mov_b64 s[20:21], -1
.LBB208_316:
	s_mov_b64 s[24:25], 0
.LBB208_317:
	s_and_b64 vcc, exec, s[24:25]
	s_cbranch_vccz .LBB208_358
; %bb.318:
	s_cmp_gt_i32 s29, 22
	s_mov_b64 s[24:25], -1
	s_cbranch_scc0 .LBB208_350
; %bb.319:
	s_cmp_lt_i32 s29, 24
	s_mov_b64 s[20:21], -1
	s_cbranch_scc1 .LBB208_339
; %bb.320:
	s_cmp_gt_i32 s29, 24
	s_cbranch_scc0 .LBB208_328
; %bb.321:
	v_lshlrev_b32_e32 v6, 16, v2
	v_and_b32_e32 v5, 0x7fffffff, v6
	s_mov_b32 s20, 0x47800000
	v_cmp_gt_u32_e32 vcc, s20, v5
	v_mov_b32_e32 v7, 0x80
	s_and_saveexec_b64 s[20:21], vcc
	s_cbranch_execz .LBB208_327
; %bb.322:
	s_mov_b32 s24, 0x37ffffff
	v_and_b32_e32 v3, 0xffff, v2
	v_cmp_lt_u32_e32 vcc, s24, v5
	s_mov_b64 s[24:25], 0
                                        ; implicit-def: $vgpr5
	s_and_saveexec_b64 s[26:27], vcc
	s_xor_b64 s[26:27], exec, s[26:27]
	s_cbranch_execz .LBB208_530
; %bb.323:
	v_bfe_u32 v5, v3, 5, 1
	s_mov_b32 s30, 0x88fffff
	v_add3_u32 v5, v6, v5, s30
	s_mov_b64 s[24:25], exec
	v_lshrrev_b32_e32 v5, 21, v5
                                        ; implicit-def: $vgpr6
	s_andn2_saveexec_b64 s[26:27], s[26:27]
	s_cbranch_execnz .LBB208_531
.LBB208_324:
	s_or_b64 exec, exec, s[26:27]
	v_mov_b32_e32 v7, 0
	s_and_saveexec_b64 s[26:27], s[24:25]
.LBB208_325:
	v_lshrrev_b32_e32 v3, 8, v3
	s_movk_i32 s24, 0x80
	v_and_or_b32 v7, v3, s24, v5
.LBB208_326:
	s_or_b64 exec, exec, s[26:27]
.LBB208_327:
	s_or_b64 exec, exec, s[20:21]
	s_mov_b64 s[20:21], 0
	global_store_byte v[0:1], v7, off
.LBB208_328:
	s_and_b64 vcc, exec, s[20:21]
	s_cbranch_vccz .LBB208_338
; %bb.329:
	v_lshlrev_b32_e32 v6, 16, v2
	v_and_b32_e32 v7, 0x7fffffff, v6
	s_mov_b32 s20, 0x43f00000
	v_and_b32_e32 v3, 0xffff, v2
	v_cmp_gt_u32_e32 vcc, s20, v7
                                        ; implicit-def: $vgpr5
	s_and_saveexec_b64 s[20:21], vcc
	s_xor_b64 s[20:21], exec, s[20:21]
	s_cbranch_execz .LBB208_335
; %bb.330:
	s_mov_b32 s24, 0x3c7fffff
	v_cmp_lt_u32_e32 vcc, s24, v7
                                        ; implicit-def: $vgpr5
	s_and_saveexec_b64 s[24:25], vcc
	s_xor_b64 s[24:25], exec, s[24:25]
; %bb.331:
	v_bfe_u32 v5, v3, 4, 1
	s_mov_b32 s26, 0x407ffff
	v_add3_u32 v5, v6, v5, s26
	v_lshrrev_b32_e32 v6, 20, v5
	v_and_b32_e32 v5, 0xff00000, v5
	s_mov_b32 s26, 0x7f00000
	v_mov_b32_e32 v7, 0x7e
	v_cmp_ne_u32_e32 vcc, s26, v5
	s_nop 1
	v_cndmask_b32_e32 v5, v7, v6, vcc
                                        ; implicit-def: $vgpr6
; %bb.332:
	s_andn2_saveexec_b64 s[24:25], s[24:25]
; %bb.333:
	s_mov_b32 s26, 0x46800000
	v_add_f32_e64 v5, |v6|, s26
; %bb.334:
	s_or_b64 exec, exec, s[24:25]
                                        ; implicit-def: $vgpr7
.LBB208_335:
	s_andn2_saveexec_b64 s[20:21], s[20:21]
; %bb.336:
	s_mov_b32 s24, 0x7f800000
	v_mov_b32_e32 v5, 0x7e
	v_mov_b32_e32 v6, 0x7f
	v_cmp_lt_u32_e32 vcc, s24, v7
	s_nop 1
	v_cndmask_b32_e32 v5, v5, v6, vcc
; %bb.337:
	s_or_b64 exec, exec, s[20:21]
	v_lshrrev_b32_e32 v3, 8, v3
	s_movk_i32 s20, 0x80
	v_and_or_b32 v3, v3, s20, v5
	global_store_byte v[0:1], v3, off
.LBB208_338:
	s_mov_b64 s[20:21], 0
.LBB208_339:
	s_andn2_b64 vcc, exec, s[20:21]
	s_cbranch_vccnz .LBB208_349
; %bb.340:
	v_lshlrev_b32_e32 v6, 16, v2
	v_and_b32_e32 v7, 0x7fffffff, v6
	s_mov_b32 s20, 0x47800000
	v_and_b32_e32 v3, 0xffff, v2
	v_cmp_gt_u32_e32 vcc, s20, v7
                                        ; implicit-def: $vgpr5
	s_and_saveexec_b64 s[20:21], vcc
	s_xor_b64 s[20:21], exec, s[20:21]
	s_cbranch_execz .LBB208_346
; %bb.341:
	s_mov_b32 s24, 0x387fffff
	v_cmp_lt_u32_e32 vcc, s24, v7
                                        ; implicit-def: $vgpr5
	s_and_saveexec_b64 s[24:25], vcc
	s_xor_b64 s[24:25], exec, s[24:25]
; %bb.342:
	v_bfe_u32 v5, v3, 5, 1
	s_mov_b32 s26, 0x80fffff
	v_add3_u32 v5, v6, v5, s26
	v_lshrrev_b32_e32 v5, 21, v5
                                        ; implicit-def: $vgpr6
; %bb.343:
	s_andn2_saveexec_b64 s[24:25], s[24:25]
; %bb.344:
	s_mov_b32 s26, 0x43000000
	v_add_f32_e64 v5, |v6|, s26
; %bb.345:
	s_or_b64 exec, exec, s[24:25]
                                        ; implicit-def: $vgpr7
.LBB208_346:
	s_andn2_saveexec_b64 s[20:21], s[20:21]
; %bb.347:
	s_mov_b32 s24, 0x7f800000
	v_mov_b32_e32 v5, 0x7c
	v_mov_b32_e32 v6, 0x7f
	v_cmp_lt_u32_e32 vcc, s24, v7
	s_nop 1
	v_cndmask_b32_e32 v5, v5, v6, vcc
; %bb.348:
	s_or_b64 exec, exec, s[20:21]
	v_lshrrev_b32_e32 v3, 8, v3
	s_movk_i32 s20, 0x80
	v_and_or_b32 v3, v3, s20, v5
	global_store_byte v[0:1], v3, off
.LBB208_349:
	s_mov_b64 s[24:25], 0
	s_mov_b64 s[20:21], -1
.LBB208_350:
	s_andn2_b64 vcc, exec, s[24:25]
	s_cbranch_vccnz .LBB208_358
; %bb.351:
	s_cmp_gt_i32 s29, 14
	s_mov_b64 s[24:25], -1
	s_cbranch_scc0 .LBB208_355
; %bb.352:
	s_cmp_eq_u32 s29, 15
	s_mov_b64 s[0:1], -1
	s_cbranch_scc0 .LBB208_354
; %bb.353:
	global_store_short v[0:1], v2, off
	s_mov_b64 s[20:21], -1
	s_mov_b64 s[0:1], 0
.LBB208_354:
	s_mov_b64 s[24:25], 0
.LBB208_355:
	s_and_b64 vcc, exec, s[24:25]
	s_cbranch_vccz .LBB208_358
; %bb.356:
	s_cmp_eq_u32 s29, 11
	s_mov_b64 s[0:1], -1
	s_cbranch_scc0 .LBB208_358
; %bb.357:
	v_and_b32_e32 v3, 0x7fff, v2
	v_cmp_ne_u16_e32 vcc, 0, v3
	s_mov_b64 s[20:21], -1
	s_mov_b64 s[0:1], 0
	v_cndmask_b32_e64 v3, 0, 1, vcc
	global_store_byte v[0:1], v3, off
.LBB208_358:
	s_mov_b64 s[24:25], 0
.LBB208_359:
	s_and_b64 vcc, exec, s[24:25]
	s_cbranch_vccz .LBB208_398
; %bb.360:
	s_and_b32 s24, 0xffff, s28
	s_cmp_lt_i32 s24, 5
	s_mov_b64 s[20:21], -1
	s_cbranch_scc1 .LBB208_381
; %bb.361:
	s_cmp_lt_i32 s24, 8
	s_cbranch_scc1 .LBB208_371
; %bb.362:
	s_cmp_lt_i32 s24, 9
	s_cbranch_scc1 .LBB208_368
; %bb.363:
	s_cmp_gt_i32 s24, 9
	s_cbranch_scc0 .LBB208_365
; %bb.364:
	v_lshlrev_b32_e32 v3, 16, v2
	v_mov_b32_e32 v8, 0
	v_cvt_f64_f32_e32 v[6:7], v3
	v_mov_b32_e32 v9, v8
	s_mov_b64 s[20:21], 0
	global_store_dwordx4 v[0:1], v[6:9], off
.LBB208_365:
	s_andn2_b64 vcc, exec, s[20:21]
	s_cbranch_vccnz .LBB208_367
; %bb.366:
	v_lshlrev_b32_e32 v6, 16, v2
	v_mov_b32_e32 v7, 0
	global_store_dwordx2 v[0:1], v[6:7], off
.LBB208_367:
	s_mov_b64 s[20:21], 0
.LBB208_368:
	s_andn2_b64 vcc, exec, s[20:21]
	s_cbranch_vccnz .LBB208_370
; %bb.369:
	v_lshlrev_b32_e32 v3, 16, v2
	v_cvt_f16_f32_e32 v3, v3
	global_store_dword v[0:1], v3, off
.LBB208_370:
	s_mov_b64 s[20:21], 0
.LBB208_371:
	s_andn2_b64 vcc, exec, s[20:21]
	s_cbranch_vccnz .LBB208_380
; %bb.372:
	s_cmp_lt_i32 s24, 6
	s_mov_b64 s[20:21], -1
	s_cbranch_scc1 .LBB208_378
; %bb.373:
	s_cmp_gt_i32 s24, 6
	s_cbranch_scc0 .LBB208_375
; %bb.374:
	v_lshlrev_b32_e32 v3, 16, v2
	v_cvt_f64_f32_e32 v[6:7], v3
	s_mov_b64 s[20:21], 0
	global_store_dwordx2 v[0:1], v[6:7], off
.LBB208_375:
	s_andn2_b64 vcc, exec, s[20:21]
	s_cbranch_vccnz .LBB208_377
; %bb.376:
	v_lshlrev_b32_e32 v3, 16, v2
	global_store_dword v[0:1], v3, off
.LBB208_377:
	s_mov_b64 s[20:21], 0
.LBB208_378:
	s_andn2_b64 vcc, exec, s[20:21]
	s_cbranch_vccnz .LBB208_380
; %bb.379:
	v_lshlrev_b32_e32 v3, 16, v2
	v_cvt_f16_f32_e32 v3, v3
	global_store_short v[0:1], v3, off
.LBB208_380:
	s_mov_b64 s[20:21], 0
.LBB208_381:
	s_andn2_b64 vcc, exec, s[20:21]
	s_cbranch_vccnz .LBB208_397
; %bb.382:
	s_cmp_lt_i32 s24, 2
	s_mov_b64 s[20:21], -1
	s_cbranch_scc1 .LBB208_392
; %bb.383:
	s_cmp_lt_i32 s24, 3
	s_cbranch_scc1 .LBB208_389
; %bb.384:
	s_cmp_gt_i32 s24, 3
	s_cbranch_scc0 .LBB208_386
; %bb.385:
	v_lshlrev_b32_e32 v3, 16, v2
	v_trunc_f32_e32 v3, v3
	s_mov_b32 s20, 0x2f800000
	v_mul_f32_e64 v5, |v3|, s20
	v_floor_f32_e32 v5, v5
	s_mov_b32 s20, 0xcf800000
	v_cvt_u32_f32_e32 v6, v5
	v_fma_f32 v5, v5, s20, |v3|
	v_cvt_u32_f32_e32 v5, v5
	v_ashrrev_i32_e32 v3, 31, v3
	v_xor_b32_e32 v7, v6, v3
	s_mov_b64 s[20:21], 0
	v_xor_b32_e32 v5, v5, v3
	v_sub_co_u32_e32 v6, vcc, v5, v3
	s_nop 1
	v_subb_co_u32_e32 v7, vcc, v7, v3, vcc
	global_store_dwordx2 v[0:1], v[6:7], off
.LBB208_386:
	s_andn2_b64 vcc, exec, s[20:21]
	s_cbranch_vccnz .LBB208_388
; %bb.387:
	v_lshlrev_b32_e32 v3, 16, v2
	v_cvt_i32_f32_e32 v3, v3
	global_store_dword v[0:1], v3, off
.LBB208_388:
	s_mov_b64 s[20:21], 0
.LBB208_389:
	s_andn2_b64 vcc, exec, s[20:21]
	s_cbranch_vccnz .LBB208_391
; %bb.390:
	v_lshlrev_b32_e32 v3, 16, v2
	v_cvt_i32_f32_e32 v3, v3
	global_store_short v[0:1], v3, off
.LBB208_391:
	s_mov_b64 s[20:21], 0
.LBB208_392:
	s_andn2_b64 vcc, exec, s[20:21]
	s_cbranch_vccnz .LBB208_397
; %bb.393:
	s_mov_b64 s[20:21], -1
	s_cmp_gt_i32 s24, 0
	v_lshlrev_b32_e32 v2, 16, v2
	s_cbranch_scc0 .LBB208_395
; %bb.394:
	v_cvt_i32_f32_e32 v3, v2
	s_mov_b64 s[20:21], 0
	global_store_byte v[0:1], v3, off
.LBB208_395:
	s_andn2_b64 vcc, exec, s[20:21]
	s_cbranch_vccnz .LBB208_397
; %bb.396:
	v_trunc_f32_e32 v2, v2
	s_mov_b32 s20, 0x2f800000
	v_mul_f32_e64 v3, |v2|, s20
	v_floor_f32_e32 v3, v3
	s_mov_b32 s20, 0xcf800000
	v_fma_f32 v3, v3, s20, |v2|
	v_cvt_u32_f32_e32 v3, v3
	v_ashrrev_i32_e32 v2, 31, v2
	v_xor_b32_e32 v3, v3, v2
	v_sub_u32_e32 v2, v3, v2
	global_store_byte v[0:1], v2, off
.LBB208_397:
	s_mov_b64 s[20:21], -1
.LBB208_398:
	s_andn2_b64 vcc, exec, s[20:21]
	s_cbranch_vccnz .LBB208_400
; %bb.399:
	v_add_u32_e32 v4, 0x80, v4
	s_mov_b64 s[24:25], -1
	s_branch .LBB208_513
.LBB208_400:
	s_mov_b64 s[24:25], 0
	s_branch .LBB208_512
.LBB208_401:
	s_mov_b64 s[18:19], -1
                                        ; implicit-def: $vgpr2
.LBB208_402:
	s_mov_b64 s[20:21], 0
.LBB208_403:
	s_and_b64 vcc, exec, s[20:21]
	s_cbranch_vccz .LBB208_407
; %bb.404:
	s_cmp_eq_u32 s26, 29
	s_cbranch_scc0 .LBB208_406
; %bb.405:
	global_load_dwordx2 v[2:3], v[0:1], off
	s_movk_i32 s18, 0x7fff
	s_mov_b64 s[0:1], -1
	s_mov_b64 s[20:21], 0
	s_waitcnt vmcnt(0)
	v_ffbh_u32_e32 v5, v3
	v_min_u32_e32 v5, 32, v5
	v_lshlrev_b64 v[2:3], v5, v[2:3]
	v_min_u32_e32 v2, 1, v2
	v_or_b32_e32 v2, v3, v2
	v_cvt_f32_u32_e32 v2, v2
	v_sub_u32_e32 v3, 32, v5
	v_ldexp_f32 v2, v2, v3
	v_bfe_u32 v3, v2, 16, 1
	v_add3_u32 v2, v2, v3, s18
	v_lshrrev_b32_e32 v2, 16, v2
	s_mov_b64 s[18:19], 0
	s_branch .LBB208_408
.LBB208_406:
	s_mov_b64 s[18:19], -1
                                        ; implicit-def: $vgpr2
.LBB208_407:
	s_mov_b64 s[20:21], 0
.LBB208_408:
	s_and_b64 vcc, exec, s[20:21]
	s_cbranch_vccz .LBB208_426
; %bb.409:
	s_cmp_lt_i32 s26, 27
	s_cbranch_scc1 .LBB208_412
; %bb.410:
	s_cmp_gt_i32 s26, 27
	s_cbranch_scc0 .LBB208_413
; %bb.411:
	global_load_dword v2, v[0:1], off
	s_movk_i32 s0, 0x7fff
	s_waitcnt vmcnt(0)
	v_cvt_f32_u32_e32 v2, v2
	v_bfe_u32 v3, v2, 16, 1
	v_add3_u32 v2, v2, v3, s0
	v_lshrrev_b32_e32 v2, 16, v2
	s_mov_b64 s[0:1], 0
	s_branch .LBB208_414
.LBB208_412:
	s_mov_b64 s[0:1], -1
                                        ; implicit-def: $vgpr2
	s_branch .LBB208_417
.LBB208_413:
	s_mov_b64 s[0:1], -1
                                        ; implicit-def: $vgpr2
.LBB208_414:
	s_andn2_b64 vcc, exec, s[0:1]
	s_cbranch_vccnz .LBB208_416
; %bb.415:
	global_load_ushort v2, v[0:1], off
	s_movk_i32 s0, 0x7fff
	s_waitcnt vmcnt(0)
	v_cvt_f32_u32_e32 v2, v2
	v_bfe_u32 v3, v2, 16, 1
	v_add3_u32 v2, v2, v3, s0
	v_lshrrev_b32_e32 v2, 16, v2
.LBB208_416:
	s_mov_b64 s[0:1], 0
.LBB208_417:
	s_andn2_b64 vcc, exec, s[0:1]
	s_cbranch_vccnz .LBB208_425
; %bb.418:
	global_load_ubyte v2, v[0:1], off
	s_movk_i32 s0, 0x7f
	s_waitcnt vmcnt(0)
	v_cmp_lt_i16_e32 vcc, s0, v2
	s_mov_b64 s[0:1], 0
	s_and_saveexec_b64 s[20:21], vcc
	s_xor_b64 s[20:21], exec, s[20:21]
	s_cbranch_execz .LBB208_439
; %bb.419:
	s_movk_i32 s0, 0x80
	v_cmp_eq_u16_e32 vcc, s0, v2
	s_mov_b64 s[0:1], -1
	s_and_saveexec_b64 s[24:25], vcc
; %bb.420:
	s_xor_b64 s[0:1], exec, -1
; %bb.421:
	s_or_b64 exec, exec, s[24:25]
	s_and_b64 s[0:1], s[0:1], exec
	s_or_saveexec_b64 s[20:21], s[20:21]
	v_mov_b32_e32 v3, 0x7f800001
	s_xor_b64 exec, exec, s[20:21]
	s_cbranch_execnz .LBB208_440
.LBB208_422:
	s_or_b64 exec, exec, s[20:21]
	s_and_saveexec_b64 s[20:21], s[0:1]
	s_cbranch_execz .LBB208_424
.LBB208_423:
	v_lshlrev_b32_e32 v3, 24, v2
	v_and_b32_e32 v2, 0xffff, v2
	v_and_b32_e32 v5, 7, v2
	v_ffbh_u32_e32 v7, v5
	v_min_u32_e32 v7, 32, v7
	v_subrev_u32_e32 v8, 28, v7
	v_bfe_u32 v6, v2, 3, 4
	v_lshlrev_b32_e32 v2, v8, v2
	v_sub_u32_e32 v7, 29, v7
	v_and_b32_e32 v2, 7, v2
	v_cmp_eq_u32_e32 vcc, 0, v6
	v_and_b32_e32 v3, 0x80000000, v3
	s_nop 0
	v_cndmask_b32_e32 v6, v6, v7, vcc
	v_cndmask_b32_e32 v2, v5, v2, vcc
	v_mov_b32_e32 v5, 0x3b800000
	v_lshlrev_b32_e32 v2, 20, v2
	v_lshl_add_u32 v5, v6, 23, v5
	v_or3_b32 v3, v3, v5, v2
.LBB208_424:
	s_or_b64 exec, exec, s[20:21]
	v_bfe_u32 v2, v3, 16, 1
	s_movk_i32 s0, 0x7fff
	v_add3_u32 v2, v3, v2, s0
	v_cmp_o_f32_e32 vcc, v3, v3
	v_mov_b32_e32 v3, 0x7fc0
	s_nop 0
	v_cndmask_b32_sdwa v2, v3, v2, vcc dst_sel:DWORD dst_unused:UNUSED_PAD src0_sel:DWORD src1_sel:WORD_1
.LBB208_425:
	s_mov_b64 s[0:1], -1
.LBB208_426:
	s_mov_b64 s[20:21], 0
.LBB208_427:
	s_and_b64 vcc, exec, s[20:21]
	s_cbranch_vccz .LBB208_462
; %bb.428:
	s_cmp_gt_i32 s26, 22
	s_cbranch_scc0 .LBB208_438
; %bb.429:
	s_cmp_lt_i32 s26, 24
	s_cbranch_scc1 .LBB208_441
; %bb.430:
	s_cmp_gt_i32 s26, 24
	s_cbranch_scc0 .LBB208_442
; %bb.431:
	global_load_ubyte v2, v[0:1], off
	s_movk_i32 s0, 0x7f
	s_waitcnt vmcnt(0)
	v_cmp_lt_i16_e32 vcc, s0, v2
	s_mov_b64 s[0:1], 0
	s_and_saveexec_b64 s[20:21], vcc
	s_xor_b64 s[20:21], exec, s[20:21]
	s_cbranch_execz .LBB208_454
; %bb.432:
	s_movk_i32 s0, 0x80
	v_cmp_eq_u16_e32 vcc, s0, v2
	s_mov_b64 s[0:1], -1
	s_and_saveexec_b64 s[24:25], vcc
; %bb.433:
	s_xor_b64 s[0:1], exec, -1
; %bb.434:
	s_or_b64 exec, exec, s[24:25]
	s_and_b64 s[0:1], s[0:1], exec
	s_or_saveexec_b64 s[20:21], s[20:21]
	v_mov_b32_e32 v3, 0x7f800001
	s_xor_b64 exec, exec, s[20:21]
	s_cbranch_execnz .LBB208_455
.LBB208_435:
	s_or_b64 exec, exec, s[20:21]
	s_and_saveexec_b64 s[20:21], s[0:1]
	s_cbranch_execz .LBB208_437
.LBB208_436:
	v_lshlrev_b32_e32 v3, 24, v2
	v_and_b32_e32 v2, 0xffff, v2
	v_and_b32_e32 v5, 3, v2
	v_ffbh_u32_e32 v7, v5
	v_min_u32_e32 v7, 32, v7
	v_subrev_u32_e32 v8, 29, v7
	v_bfe_u32 v6, v2, 2, 5
	v_lshlrev_b32_e32 v2, v8, v2
	v_sub_u32_e32 v7, 30, v7
	v_and_b32_e32 v2, 3, v2
	v_cmp_eq_u32_e32 vcc, 0, v6
	v_and_b32_e32 v3, 0x80000000, v3
	s_nop 0
	v_cndmask_b32_e32 v6, v6, v7, vcc
	v_cndmask_b32_e32 v2, v5, v2, vcc
	v_mov_b32_e32 v5, 0x37800000
	v_lshlrev_b32_e32 v2, 21, v2
	v_lshl_add_u32 v5, v6, 23, v5
	v_or3_b32 v3, v3, v5, v2
.LBB208_437:
	s_or_b64 exec, exec, s[20:21]
	v_bfe_u32 v2, v3, 16, 1
	s_movk_i32 s0, 0x7fff
	v_add3_u32 v2, v3, v2, s0
	v_cmp_o_f32_e32 vcc, v3, v3
	v_mov_b32_e32 v3, 0x7fc0
	s_mov_b64 s[0:1], 0
	v_cndmask_b32_sdwa v2, v3, v2, vcc dst_sel:DWORD dst_unused:UNUSED_PAD src0_sel:DWORD src1_sel:WORD_1
	s_branch .LBB208_443
.LBB208_438:
	s_mov_b64 s[20:21], -1
                                        ; implicit-def: $vgpr2
	s_branch .LBB208_449
.LBB208_439:
	s_or_saveexec_b64 s[20:21], s[20:21]
	v_mov_b32_e32 v3, 0x7f800001
	s_xor_b64 exec, exec, s[20:21]
	s_cbranch_execz .LBB208_422
.LBB208_440:
	v_cmp_ne_u16_e32 vcc, 0, v2
	s_andn2_b64 s[0:1], s[0:1], exec
	s_and_b64 s[24:25], vcc, exec
	v_mov_b32_e32 v3, 0
	s_or_b64 s[0:1], s[0:1], s[24:25]
	s_or_b64 exec, exec, s[20:21]
	s_and_saveexec_b64 s[20:21], s[0:1]
	s_cbranch_execnz .LBB208_423
	s_branch .LBB208_424
.LBB208_441:
	s_mov_b64 s[0:1], -1
                                        ; implicit-def: $vgpr2
	s_branch .LBB208_446
.LBB208_442:
	s_mov_b64 s[0:1], -1
                                        ; implicit-def: $vgpr2
.LBB208_443:
	s_and_b64 vcc, exec, s[0:1]
	s_cbranch_vccz .LBB208_445
; %bb.444:
	global_load_ubyte v2, v[0:1], off
	s_mov_b32 s0, 0x7f800000
	s_brev_b32 s1, 1
	s_movk_i32 s20, 0x7fff
	s_waitcnt vmcnt(0)
	v_lshlrev_b32_e32 v2, 24, v2
	v_and_b32_e32 v3, 0x7f000000, v2
	v_ffbh_u32_e32 v5, v3
	v_min_u32_e32 v5, 32, v5
	v_sub_u32_e64 v5, v5, 4 clamp
	v_lshlrev_b32_e32 v7, v5, v3
	v_lshlrev_b32_e32 v5, 23, v5
	v_lshrrev_b32_e32 v7, 4, v7
	v_add_u32_e32 v6, 0x1000000, v3
	v_sub_u32_e32 v5, v7, v5
	v_ashrrev_i32_e32 v6, 8, v6
	v_add_u32_e32 v5, 0x3c000000, v5
	v_and_or_b32 v5, v6, s0, v5
	v_cmp_ne_u32_e32 vcc, 0, v3
	s_nop 1
	v_cndmask_b32_e32 v3, 0, v5, vcc
	v_and_or_b32 v2, v2, s1, v3
	v_bfe_u32 v3, v3, 16, 1
	v_add3_u32 v3, v2, v3, s20
	v_cmp_o_f32_e32 vcc, v2, v2
	v_mov_b32_e32 v2, 0x7fc0
	s_nop 0
	v_cndmask_b32_sdwa v2, v2, v3, vcc dst_sel:DWORD dst_unused:UNUSED_PAD src0_sel:DWORD src1_sel:WORD_1
.LBB208_445:
	s_mov_b64 s[0:1], 0
.LBB208_446:
	s_andn2_b64 vcc, exec, s[0:1]
	s_cbranch_vccnz .LBB208_448
; %bb.447:
	global_load_ubyte v2, v[0:1], off
	s_movk_i32 s0, 0x7f00
	s_brev_b32 s1, 16
	s_brev_b32 s20, 1
	s_movk_i32 s21, 0x7fff
	s_waitcnt vmcnt(0)
	v_lshlrev_b16_e32 v3, 8, v2
	v_lshlrev_b32_e32 v2, 25, v2
	v_lshrrev_b32_e32 v5, 4, v2
	v_and_or_b32 v6, v3, s0, 0.5
	v_or_b32_e32 v5, 0x70000000, v5
	v_add_f32_e32 v6, -0.5, v6
	v_mul_f32_e32 v5, 0x7800000, v5
	v_cmp_gt_u32_e32 vcc, s1, v2
	v_bfe_i32 v3, v3, 0, 16
	s_nop 0
	v_cndmask_b32_e32 v2, v5, v6, vcc
	v_and_or_b32 v3, v3, s20, v2
	v_bfe_u32 v2, v2, 16, 1
	v_add3_u32 v2, v3, v2, s21
	v_cmp_o_f32_e32 vcc, v3, v3
	v_mov_b32_e32 v3, 0x7fc0
	s_nop 0
	v_cndmask_b32_sdwa v2, v3, v2, vcc dst_sel:DWORD dst_unused:UNUSED_PAD src0_sel:DWORD src1_sel:WORD_1
.LBB208_448:
	s_mov_b64 s[20:21], 0
	s_mov_b64 s[0:1], -1
.LBB208_449:
	s_andn2_b64 vcc, exec, s[20:21]
	s_cbranch_vccnz .LBB208_462
; %bb.450:
	s_cmp_gt_i32 s26, 14
	s_cbranch_scc0 .LBB208_453
; %bb.451:
	s_cmp_eq_u32 s26, 15
	s_cbranch_scc0 .LBB208_456
; %bb.452:
	global_load_ushort v2, v[0:1], off
	s_mov_b64 s[0:1], -1
	s_mov_b64 s[18:19], 0
	s_branch .LBB208_457
.LBB208_453:
	s_mov_b64 s[20:21], -1
                                        ; implicit-def: $vgpr2
	s_branch .LBB208_458
.LBB208_454:
	s_or_saveexec_b64 s[20:21], s[20:21]
	v_mov_b32_e32 v3, 0x7f800001
	s_xor_b64 exec, exec, s[20:21]
	s_cbranch_execz .LBB208_435
.LBB208_455:
	v_cmp_ne_u16_e32 vcc, 0, v2
	s_andn2_b64 s[0:1], s[0:1], exec
	s_and_b64 s[24:25], vcc, exec
	v_mov_b32_e32 v3, 0
	s_or_b64 s[0:1], s[0:1], s[24:25]
	s_or_b64 exec, exec, s[20:21]
	s_and_saveexec_b64 s[20:21], s[0:1]
	s_cbranch_execnz .LBB208_436
	s_branch .LBB208_437
.LBB208_456:
	s_mov_b64 s[18:19], -1
                                        ; implicit-def: $vgpr2
.LBB208_457:
	s_mov_b64 s[20:21], 0
.LBB208_458:
	s_and_b64 vcc, exec, s[20:21]
	s_cbranch_vccz .LBB208_462
; %bb.459:
	s_cmp_eq_u32 s26, 11
	s_cbranch_scc0 .LBB208_461
; %bb.460:
	global_load_ubyte v2, v[0:1], off
	s_mov_b64 s[0:1], -1
	s_mov_b64 s[18:19], 0
	s_waitcnt vmcnt(0)
	v_cmp_ne_u16_e32 vcc, 0, v2
	s_nop 1
	v_cndmask_b32_e64 v2, 0, 1.0, vcc
	v_lshrrev_b32_e32 v2, 16, v2
	s_branch .LBB208_462
.LBB208_461:
	s_mov_b64 s[18:19], -1
                                        ; implicit-def: $vgpr2
.LBB208_462:
	s_branch .LBB208_265
.LBB208_463:
	s_cmp_lt_i32 s26, 5
	s_cbranch_scc1 .LBB208_468
; %bb.464:
	s_cmp_lt_i32 s26, 8
	s_cbranch_scc1 .LBB208_469
; %bb.465:
	;; [unrolled: 3-line block ×3, first 2 shown]
	s_cmp_gt_i32 s26, 9
	s_cbranch_scc0 .LBB208_471
; %bb.467:
	global_load_dwordx2 v[2:3], v[0:1], off
	s_movk_i32 s0, 0x7fff
	v_mov_b32_e32 v5, 0x7fc0
	s_waitcnt vmcnt(0)
	v_cvt_f32_f64_e32 v2, v[2:3]
	v_bfe_u32 v3, v2, 16, 1
	v_cmp_o_f32_e32 vcc, v2, v2
	v_add3_u32 v2, v2, v3, s0
	s_mov_b64 s[0:1], 0
	v_cndmask_b32_sdwa v2, v5, v2, vcc dst_sel:DWORD dst_unused:UNUSED_PAD src0_sel:DWORD src1_sel:WORD_1
	s_branch .LBB208_472
.LBB208_468:
	s_mov_b64 s[0:1], -1
                                        ; implicit-def: $vgpr2
	s_branch .LBB208_490
.LBB208_469:
	s_mov_b64 s[0:1], -1
                                        ; implicit-def: $vgpr2
	s_branch .LBB208_478
.LBB208_470:
	s_mov_b64 s[0:1], -1
                                        ; implicit-def: $vgpr2
	s_branch .LBB208_475
.LBB208_471:
	s_mov_b64 s[0:1], -1
                                        ; implicit-def: $vgpr2
.LBB208_472:
	s_andn2_b64 vcc, exec, s[0:1]
	s_cbranch_vccnz .LBB208_474
; %bb.473:
	global_load_dword v2, v[0:1], off
	s_movk_i32 s0, 0x7fff
	v_mov_b32_e32 v3, 0x7fc0
	s_waitcnt vmcnt(0)
	v_bfe_u32 v5, v2, 16, 1
	v_cmp_o_f32_e32 vcc, v2, v2
	v_add3_u32 v2, v2, v5, s0
	s_nop 0
	v_cndmask_b32_sdwa v2, v3, v2, vcc dst_sel:DWORD dst_unused:UNUSED_PAD src0_sel:DWORD src1_sel:WORD_1
.LBB208_474:
	s_mov_b64 s[0:1], 0
.LBB208_475:
	s_andn2_b64 vcc, exec, s[0:1]
	s_cbranch_vccnz .LBB208_477
; %bb.476:
	global_load_dword v2, v[0:1], off
	s_movk_i32 s0, 0x7fff
	v_mov_b32_e32 v5, 0x7fc0
	s_waitcnt vmcnt(0)
	v_cvt_f32_f16_e32 v3, v2
	v_cmp_o_f16_e32 vcc, v2, v2
	v_bfe_u32 v2, v3, 16, 1
	v_add3_u32 v2, v3, v2, s0
	v_cndmask_b32_sdwa v2, v5, v2, vcc dst_sel:DWORD dst_unused:UNUSED_PAD src0_sel:DWORD src1_sel:WORD_1
.LBB208_477:
	s_mov_b64 s[0:1], 0
.LBB208_478:
	s_andn2_b64 vcc, exec, s[0:1]
	s_cbranch_vccnz .LBB208_489
; %bb.479:
	s_cmp_lt_i32 s26, 6
	s_cbranch_scc1 .LBB208_482
; %bb.480:
	s_cmp_gt_i32 s26, 6
	s_cbranch_scc0 .LBB208_483
; %bb.481:
	global_load_dwordx2 v[2:3], v[0:1], off
	s_movk_i32 s0, 0x7fff
	v_mov_b32_e32 v5, 0x7fc0
	s_waitcnt vmcnt(0)
	v_cvt_f32_f64_e32 v2, v[2:3]
	v_bfe_u32 v3, v2, 16, 1
	v_cmp_o_f32_e32 vcc, v2, v2
	v_add3_u32 v2, v2, v3, s0
	s_mov_b64 s[0:1], 0
	v_cndmask_b32_sdwa v2, v5, v2, vcc dst_sel:DWORD dst_unused:UNUSED_PAD src0_sel:DWORD src1_sel:WORD_1
	s_branch .LBB208_484
.LBB208_482:
	s_mov_b64 s[0:1], -1
                                        ; implicit-def: $vgpr2
	s_branch .LBB208_487
.LBB208_483:
	s_mov_b64 s[0:1], -1
                                        ; implicit-def: $vgpr2
.LBB208_484:
	s_andn2_b64 vcc, exec, s[0:1]
	s_cbranch_vccnz .LBB208_486
; %bb.485:
	global_load_dword v2, v[0:1], off
	s_movk_i32 s0, 0x7fff
	v_mov_b32_e32 v3, 0x7fc0
	s_waitcnt vmcnt(0)
	v_bfe_u32 v5, v2, 16, 1
	v_cmp_o_f32_e32 vcc, v2, v2
	v_add3_u32 v2, v2, v5, s0
	s_nop 0
	v_cndmask_b32_sdwa v2, v3, v2, vcc dst_sel:DWORD dst_unused:UNUSED_PAD src0_sel:DWORD src1_sel:WORD_1
.LBB208_486:
	s_mov_b64 s[0:1], 0
.LBB208_487:
	s_andn2_b64 vcc, exec, s[0:1]
	s_cbranch_vccnz .LBB208_489
; %bb.488:
	global_load_ushort v2, v[0:1], off
	s_movk_i32 s0, 0x7fff
	v_mov_b32_e32 v5, 0x7fc0
	s_waitcnt vmcnt(0)
	v_cvt_f32_f16_e32 v3, v2
	v_cmp_o_f16_e32 vcc, v2, v2
	v_bfe_u32 v2, v3, 16, 1
	v_add3_u32 v2, v3, v2, s0
	v_cndmask_b32_sdwa v2, v5, v2, vcc dst_sel:DWORD dst_unused:UNUSED_PAD src0_sel:DWORD src1_sel:WORD_1
.LBB208_489:
	s_mov_b64 s[0:1], 0
.LBB208_490:
	s_andn2_b64 vcc, exec, s[0:1]
	s_cbranch_vccnz .LBB208_510
; %bb.491:
	s_cmp_lt_i32 s26, 2
	s_cbranch_scc1 .LBB208_495
; %bb.492:
	s_cmp_lt_i32 s26, 3
	s_cbranch_scc1 .LBB208_496
; %bb.493:
	s_cmp_gt_i32 s26, 3
	s_cbranch_scc0 .LBB208_497
; %bb.494:
	global_load_dwordx2 v[2:3], v[0:1], off
	s_movk_i32 s0, 0x7fff
	s_waitcnt vmcnt(0)
	v_xor_b32_e32 v6, v2, v3
	v_ffbh_i32_e32 v5, v3
	v_ashrrev_i32_e32 v6, 31, v6
	v_add_u32_e32 v5, -1, v5
	v_add_u32_e32 v6, 32, v6
	v_min_u32_e32 v5, v5, v6
	v_lshlrev_b64 v[2:3], v5, v[2:3]
	v_min_u32_e32 v2, 1, v2
	v_or_b32_e32 v2, v3, v2
	v_cvt_f32_i32_e32 v2, v2
	v_sub_u32_e32 v3, 32, v5
	v_ldexp_f32 v2, v2, v3
	v_bfe_u32 v3, v2, 16, 1
	v_add3_u32 v2, v2, v3, s0
	v_lshrrev_b32_e32 v2, 16, v2
	s_mov_b64 s[0:1], 0
	s_branch .LBB208_498
.LBB208_495:
	s_mov_b64 s[0:1], -1
                                        ; implicit-def: $vgpr2
	s_branch .LBB208_504
.LBB208_496:
	s_mov_b64 s[0:1], -1
                                        ; implicit-def: $vgpr2
	s_branch .LBB208_501
.LBB208_497:
	s_mov_b64 s[0:1], -1
                                        ; implicit-def: $vgpr2
.LBB208_498:
	s_andn2_b64 vcc, exec, s[0:1]
	s_cbranch_vccnz .LBB208_500
; %bb.499:
	global_load_dword v2, v[0:1], off
	s_movk_i32 s0, 0x7fff
	s_waitcnt vmcnt(0)
	v_cvt_f32_i32_e32 v2, v2
	v_bfe_u32 v3, v2, 16, 1
	v_add3_u32 v2, v2, v3, s0
	v_lshrrev_b32_e32 v2, 16, v2
.LBB208_500:
	s_mov_b64 s[0:1], 0
.LBB208_501:
	s_andn2_b64 vcc, exec, s[0:1]
	s_cbranch_vccnz .LBB208_503
; %bb.502:
	global_load_sshort v2, v[0:1], off
	s_movk_i32 s0, 0x7fff
	s_waitcnt vmcnt(0)
	v_cvt_f32_i32_e32 v2, v2
	v_bfe_u32 v3, v2, 16, 1
	v_add3_u32 v2, v2, v3, s0
	v_lshrrev_b32_e32 v2, 16, v2
.LBB208_503:
	s_mov_b64 s[0:1], 0
.LBB208_504:
	s_andn2_b64 vcc, exec, s[0:1]
	s_cbranch_vccnz .LBB208_510
; %bb.505:
	s_cmp_gt_i32 s26, 0
	s_cbranch_scc0 .LBB208_507
; %bb.506:
	global_load_sbyte v2, v[0:1], off
	s_movk_i32 s0, 0x7fff
	s_waitcnt vmcnt(0)
	v_cvt_f32_i32_e32 v2, v2
	v_bfe_u32 v3, v2, 16, 1
	v_add3_u32 v2, v2, v3, s0
	v_lshrrev_b32_e32 v2, 16, v2
	s_mov_b64 s[0:1], 0
	s_branch .LBB208_508
.LBB208_507:
	s_mov_b64 s[0:1], -1
                                        ; implicit-def: $vgpr2
.LBB208_508:
	s_andn2_b64 vcc, exec, s[0:1]
	s_cbranch_vccnz .LBB208_510
; %bb.509:
	global_load_ubyte v0, v[0:1], off
	s_movk_i32 s0, 0x7fff
	s_waitcnt vmcnt(0)
	v_cvt_f32_ubyte0_e32 v0, v0
	v_bfe_u32 v1, v0, 16, 1
	v_add3_u32 v0, v0, v1, s0
	v_lshrrev_b32_e32 v2, 16, v0
.LBB208_510:
	s_branch .LBB208_266
.LBB208_511:
	s_mov_b64 s[24:25], 0
	s_mov_b64 s[0:1], s[12:13]
.LBB208_512:
                                        ; implicit-def: $vgpr4
.LBB208_513:
	s_andn2_b64 s[20:21], s[12:13], exec
	s_and_b64 s[0:1], s[0:1], exec
	s_or_b64 s[20:21], s[20:21], s[0:1]
	s_andn2_b64 s[0:1], s[14:15], exec
	s_and_b64 s[18:19], s[18:19], exec
	s_or_b64 s[18:19], s[0:1], s[18:19]
	s_orn2_b64 s[0:1], s[24:25], exec
.LBB208_514:
	s_or_b64 exec, exec, s[22:23]
	s_mov_b64 s[24:25], 0
	s_mov_b64 s[26:27], 0
	;; [unrolled: 1-line block ×3, first 2 shown]
                                        ; implicit-def: $vgpr0_vgpr1
                                        ; implicit-def: $vgpr3
	s_and_saveexec_b64 s[22:23], s[0:1]
	s_cbranch_execz .LBB208_860
; %bb.515:
	v_cmp_gt_i32_e32 vcc, s38, v4
	s_mov_b64 s[34:35], -1
	s_mov_b64 s[0:1], s[18:19]
	s_mov_b64 s[28:29], s[20:21]
	s_and_saveexec_b64 s[24:25], vcc
	s_cbranch_execz .LBB208_774
; %bb.516:
	v_mul_lo_u32 v0, v4, s9
	v_ashrrev_i32_e32 v1, 31, v0
	s_and_b32 s34, 0xffff, s42
	s_cmp_lt_i32 s34, 11
	v_lshl_add_u64 v[0:1], s[6:7], 0, v[0:1]
	s_cbranch_scc1 .LBB208_523
; %bb.517:
	s_cmp_gt_i32 s34, 25
	s_cbranch_scc0 .LBB208_524
; %bb.518:
	s_cmp_gt_i32 s34, 28
	s_cbranch_scc0 .LBB208_525
; %bb.519:
	s_cmp_gt_i32 s34, 43
	s_cbranch_scc0 .LBB208_526
; %bb.520:
	s_cmp_gt_i32 s34, 45
	s_cbranch_scc0 .LBB208_529
; %bb.521:
	s_cmp_eq_u32 s34, 46
	s_mov_b64 s[28:29], 0
	s_cbranch_scc0 .LBB208_532
; %bb.522:
	global_load_dword v2, v[0:1], off
	s_mov_b64 s[0:1], -1
	s_branch .LBB208_533
.LBB208_523:
	s_mov_b64 s[28:29], -1
	s_mov_b64 s[0:1], 0
                                        ; implicit-def: $vgpr2
	s_mov_b64 s[26:27], s[18:19]
	s_branch .LBB208_598
.LBB208_524:
	s_mov_b64 s[28:29], -1
	s_mov_b64 s[0:1], 0
	s_mov_b64 s[26:27], s[18:19]
                                        ; implicit-def: $vgpr2
	s_branch .LBB208_562
.LBB208_525:
	s_mov_b64 s[28:29], -1
	s_mov_b64 s[0:1], 0
	s_mov_b64 s[26:27], s[18:19]
                                        ; implicit-def: $vgpr2
	s_branch .LBB208_543
.LBB208_526:
	s_mov_b64 s[28:29], -1
	s_mov_b64 s[0:1], 0
	s_mov_b64 s[26:27], s[18:19]
                                        ; implicit-def: $vgpr2
	s_branch .LBB208_538
.LBB208_527:
	s_andn2_saveexec_b64 s[26:27], s[26:27]
	s_cbranch_execz .LBB208_311
.LBB208_528:
	s_mov_b32 s30, 0x46000000
	v_add_f32_e64 v5, |v6|, s30
	v_and_b32_e32 v5, 0xff, v5
	v_cmp_ne_u32_e32 vcc, 0, v5
	s_andn2_b64 s[24:25], s[24:25], exec
	s_and_b64 s[30:31], vcc, exec
	s_or_b64 s[24:25], s[24:25], s[30:31]
	s_or_b64 exec, exec, s[26:27]
	v_mov_b32_e32 v7, 0
	s_and_saveexec_b64 s[26:27], s[24:25]
	s_cbranch_execnz .LBB208_312
	s_branch .LBB208_313
.LBB208_529:
	s_mov_b64 s[28:29], -1
	s_mov_b64 s[0:1], 0
	s_mov_b64 s[26:27], s[18:19]
                                        ; implicit-def: $vgpr2
	s_branch .LBB208_533
.LBB208_530:
	s_andn2_saveexec_b64 s[26:27], s[26:27]
	s_cbranch_execz .LBB208_324
.LBB208_531:
	s_mov_b32 s30, 0x42800000
	v_add_f32_e64 v5, |v6|, s30
	v_and_b32_e32 v5, 0xff, v5
	v_cmp_ne_u32_e32 vcc, 0, v5
	s_andn2_b64 s[24:25], s[24:25], exec
	s_and_b64 s[30:31], vcc, exec
	s_or_b64 s[24:25], s[24:25], s[30:31]
	s_or_b64 exec, exec, s[26:27]
	v_mov_b32_e32 v7, 0
	s_and_saveexec_b64 s[26:27], s[24:25]
	s_cbranch_execnz .LBB208_325
	s_branch .LBB208_326
.LBB208_532:
	s_mov_b64 s[26:27], -1
                                        ; implicit-def: $vgpr2
	s_mov_b64 s[0:1], 0
.LBB208_533:
	s_and_b64 vcc, exec, s[28:29]
	s_cbranch_vccz .LBB208_537
; %bb.534:
	s_cmp_eq_u32 s34, 44
	s_cbranch_scc0 .LBB208_536
; %bb.535:
	global_load_ubyte v2, v[0:1], off
	s_movk_i32 s26, 0xff
	v_mov_b32_e32 v3, 0x7f800001
	v_mov_b32_e32 v5, 0x400000
	v_mov_b32_e32 v6, 0x7fc0
	s_mov_b64 s[0:1], -1
	s_waitcnt vmcnt(0)
	v_lshlrev_b32_e32 v7, 23, v2
	v_cmp_ne_u32_e32 vcc, s26, v2
	s_mov_b64 s[26:27], 0
	s_nop 0
	v_cndmask_b32_e32 v3, v3, v7, vcc
	v_cmp_ne_u32_e32 vcc, 0, v2
	s_nop 1
	v_cndmask_b32_e32 v2, v5, v3, vcc
	v_add_u32_e32 v3, 0x7fff, v2
	v_cmp_o_f32_e32 vcc, v2, v2
	s_nop 1
	v_cndmask_b32_sdwa v2, v6, v3, vcc dst_sel:DWORD dst_unused:UNUSED_PAD src0_sel:DWORD src1_sel:WORD_1
	s_branch .LBB208_537
.LBB208_536:
	s_mov_b64 s[26:27], -1
                                        ; implicit-def: $vgpr2
.LBB208_537:
	s_mov_b64 s[28:29], 0
.LBB208_538:
	s_and_b64 vcc, exec, s[28:29]
	s_cbranch_vccz .LBB208_542
; %bb.539:
	s_cmp_eq_u32 s34, 29
	s_cbranch_scc0 .LBB208_541
; %bb.540:
	global_load_dwordx2 v[2:3], v[0:1], off
	s_movk_i32 s26, 0x7fff
	s_mov_b64 s[0:1], -1
	s_mov_b64 s[28:29], 0
	s_waitcnt vmcnt(0)
	v_ffbh_u32_e32 v5, v3
	v_min_u32_e32 v5, 32, v5
	v_lshlrev_b64 v[2:3], v5, v[2:3]
	v_min_u32_e32 v2, 1, v2
	v_or_b32_e32 v2, v3, v2
	v_cvt_f32_u32_e32 v2, v2
	v_sub_u32_e32 v3, 32, v5
	v_ldexp_f32 v2, v2, v3
	v_bfe_u32 v3, v2, 16, 1
	v_add3_u32 v2, v2, v3, s26
	v_lshrrev_b32_e32 v2, 16, v2
	s_mov_b64 s[26:27], 0
	s_branch .LBB208_543
.LBB208_541:
	s_mov_b64 s[26:27], -1
                                        ; implicit-def: $vgpr2
.LBB208_542:
	s_mov_b64 s[28:29], 0
.LBB208_543:
	s_and_b64 vcc, exec, s[28:29]
	s_cbranch_vccz .LBB208_561
; %bb.544:
	s_cmp_lt_i32 s34, 27
	s_cbranch_scc1 .LBB208_547
; %bb.545:
	s_cmp_gt_i32 s34, 27
	s_cbranch_scc0 .LBB208_548
; %bb.546:
	global_load_dword v2, v[0:1], off
	s_movk_i32 s0, 0x7fff
	s_waitcnt vmcnt(0)
	v_cvt_f32_u32_e32 v2, v2
	v_bfe_u32 v3, v2, 16, 1
	v_add3_u32 v2, v2, v3, s0
	v_lshrrev_b32_e32 v2, 16, v2
	s_mov_b64 s[0:1], 0
	s_branch .LBB208_549
.LBB208_547:
	s_mov_b64 s[0:1], -1
                                        ; implicit-def: $vgpr2
	s_branch .LBB208_552
.LBB208_548:
	s_mov_b64 s[0:1], -1
                                        ; implicit-def: $vgpr2
.LBB208_549:
	s_andn2_b64 vcc, exec, s[0:1]
	s_cbranch_vccnz .LBB208_551
; %bb.550:
	global_load_ushort v2, v[0:1], off
	s_movk_i32 s0, 0x7fff
	s_waitcnt vmcnt(0)
	v_cvt_f32_u32_e32 v2, v2
	v_bfe_u32 v3, v2, 16, 1
	v_add3_u32 v2, v2, v3, s0
	v_lshrrev_b32_e32 v2, 16, v2
.LBB208_551:
	s_mov_b64 s[0:1], 0
.LBB208_552:
	s_andn2_b64 vcc, exec, s[0:1]
	s_cbranch_vccnz .LBB208_560
; %bb.553:
	global_load_ubyte v2, v[0:1], off
	s_movk_i32 s0, 0x7f
	s_waitcnt vmcnt(0)
	v_cmp_lt_i16_e32 vcc, s0, v2
	s_mov_b64 s[0:1], 0
	s_and_saveexec_b64 s[28:29], vcc
	s_xor_b64 s[28:29], exec, s[28:29]
	s_cbranch_execz .LBB208_574
; %bb.554:
	s_movk_i32 s0, 0x80
	v_cmp_eq_u16_e32 vcc, s0, v2
	s_mov_b64 s[0:1], -1
	s_and_saveexec_b64 s[30:31], vcc
; %bb.555:
	s_xor_b64 s[0:1], exec, -1
; %bb.556:
	s_or_b64 exec, exec, s[30:31]
	s_and_b64 s[0:1], s[0:1], exec
	s_or_saveexec_b64 s[28:29], s[28:29]
	v_mov_b32_e32 v3, 0x7f800001
	s_xor_b64 exec, exec, s[28:29]
	s_cbranch_execnz .LBB208_575
.LBB208_557:
	s_or_b64 exec, exec, s[28:29]
	s_and_saveexec_b64 s[28:29], s[0:1]
	s_cbranch_execz .LBB208_559
.LBB208_558:
	v_lshlrev_b32_e32 v3, 24, v2
	v_and_b32_e32 v2, 0xffff, v2
	v_and_b32_e32 v5, 7, v2
	v_ffbh_u32_e32 v7, v5
	v_min_u32_e32 v7, 32, v7
	v_subrev_u32_e32 v8, 28, v7
	v_bfe_u32 v6, v2, 3, 4
	v_lshlrev_b32_e32 v2, v8, v2
	v_sub_u32_e32 v7, 29, v7
	v_and_b32_e32 v2, 7, v2
	v_cmp_eq_u32_e32 vcc, 0, v6
	v_and_b32_e32 v3, 0x80000000, v3
	s_nop 0
	v_cndmask_b32_e32 v6, v6, v7, vcc
	v_cndmask_b32_e32 v2, v5, v2, vcc
	v_mov_b32_e32 v5, 0x3b800000
	v_lshlrev_b32_e32 v2, 20, v2
	v_lshl_add_u32 v5, v6, 23, v5
	v_or3_b32 v3, v3, v5, v2
.LBB208_559:
	s_or_b64 exec, exec, s[28:29]
	v_bfe_u32 v2, v3, 16, 1
	s_movk_i32 s0, 0x7fff
	v_add3_u32 v2, v3, v2, s0
	v_cmp_o_f32_e32 vcc, v3, v3
	v_mov_b32_e32 v3, 0x7fc0
	s_nop 0
	v_cndmask_b32_sdwa v2, v3, v2, vcc dst_sel:DWORD dst_unused:UNUSED_PAD src0_sel:DWORD src1_sel:WORD_1
.LBB208_560:
	s_mov_b64 s[0:1], -1
.LBB208_561:
	s_mov_b64 s[28:29], 0
.LBB208_562:
	s_and_b64 vcc, exec, s[28:29]
	s_cbranch_vccz .LBB208_597
; %bb.563:
	s_cmp_gt_i32 s34, 22
	s_cbranch_scc0 .LBB208_573
; %bb.564:
	s_cmp_lt_i32 s34, 24
	s_cbranch_scc1 .LBB208_576
; %bb.565:
	s_cmp_gt_i32 s34, 24
	s_cbranch_scc0 .LBB208_577
; %bb.566:
	global_load_ubyte v2, v[0:1], off
	s_movk_i32 s0, 0x7f
	s_waitcnt vmcnt(0)
	v_cmp_lt_i16_e32 vcc, s0, v2
	s_mov_b64 s[0:1], 0
	s_and_saveexec_b64 s[28:29], vcc
	s_xor_b64 s[28:29], exec, s[28:29]
	s_cbranch_execz .LBB208_589
; %bb.567:
	s_movk_i32 s0, 0x80
	v_cmp_eq_u16_e32 vcc, s0, v2
	s_mov_b64 s[0:1], -1
	s_and_saveexec_b64 s[30:31], vcc
; %bb.568:
	s_xor_b64 s[0:1], exec, -1
; %bb.569:
	s_or_b64 exec, exec, s[30:31]
	s_and_b64 s[0:1], s[0:1], exec
	s_or_saveexec_b64 s[28:29], s[28:29]
	v_mov_b32_e32 v3, 0x7f800001
	s_xor_b64 exec, exec, s[28:29]
	s_cbranch_execnz .LBB208_590
.LBB208_570:
	s_or_b64 exec, exec, s[28:29]
	s_and_saveexec_b64 s[28:29], s[0:1]
	s_cbranch_execz .LBB208_572
.LBB208_571:
	v_lshlrev_b32_e32 v3, 24, v2
	v_and_b32_e32 v2, 0xffff, v2
	v_and_b32_e32 v5, 3, v2
	v_ffbh_u32_e32 v7, v5
	v_min_u32_e32 v7, 32, v7
	v_subrev_u32_e32 v8, 29, v7
	v_bfe_u32 v6, v2, 2, 5
	v_lshlrev_b32_e32 v2, v8, v2
	v_sub_u32_e32 v7, 30, v7
	v_and_b32_e32 v2, 3, v2
	v_cmp_eq_u32_e32 vcc, 0, v6
	v_and_b32_e32 v3, 0x80000000, v3
	s_nop 0
	v_cndmask_b32_e32 v6, v6, v7, vcc
	v_cndmask_b32_e32 v2, v5, v2, vcc
	v_mov_b32_e32 v5, 0x37800000
	v_lshlrev_b32_e32 v2, 21, v2
	v_lshl_add_u32 v5, v6, 23, v5
	v_or3_b32 v3, v3, v5, v2
.LBB208_572:
	s_or_b64 exec, exec, s[28:29]
	v_bfe_u32 v2, v3, 16, 1
	s_movk_i32 s0, 0x7fff
	v_add3_u32 v2, v3, v2, s0
	v_cmp_o_f32_e32 vcc, v3, v3
	v_mov_b32_e32 v3, 0x7fc0
	s_mov_b64 s[0:1], 0
	v_cndmask_b32_sdwa v2, v3, v2, vcc dst_sel:DWORD dst_unused:UNUSED_PAD src0_sel:DWORD src1_sel:WORD_1
	s_branch .LBB208_578
.LBB208_573:
	s_mov_b64 s[28:29], -1
                                        ; implicit-def: $vgpr2
	s_branch .LBB208_584
.LBB208_574:
	s_or_saveexec_b64 s[28:29], s[28:29]
	v_mov_b32_e32 v3, 0x7f800001
	s_xor_b64 exec, exec, s[28:29]
	s_cbranch_execz .LBB208_557
.LBB208_575:
	v_cmp_ne_u16_e32 vcc, 0, v2
	s_andn2_b64 s[0:1], s[0:1], exec
	s_and_b64 s[30:31], vcc, exec
	v_mov_b32_e32 v3, 0
	s_or_b64 s[0:1], s[0:1], s[30:31]
	s_or_b64 exec, exec, s[28:29]
	s_and_saveexec_b64 s[28:29], s[0:1]
	s_cbranch_execnz .LBB208_558
	s_branch .LBB208_559
.LBB208_576:
	s_mov_b64 s[0:1], -1
                                        ; implicit-def: $vgpr2
	s_branch .LBB208_581
.LBB208_577:
	s_mov_b64 s[0:1], -1
                                        ; implicit-def: $vgpr2
.LBB208_578:
	s_and_b64 vcc, exec, s[0:1]
	s_cbranch_vccz .LBB208_580
; %bb.579:
	global_load_ubyte v2, v[0:1], off
	s_mov_b32 s0, 0x7f800000
	s_brev_b32 s1, 1
	s_movk_i32 s28, 0x7fff
	s_waitcnt vmcnt(0)
	v_lshlrev_b32_e32 v2, 24, v2
	v_and_b32_e32 v3, 0x7f000000, v2
	v_ffbh_u32_e32 v5, v3
	v_min_u32_e32 v5, 32, v5
	v_sub_u32_e64 v5, v5, 4 clamp
	v_lshlrev_b32_e32 v7, v5, v3
	v_lshlrev_b32_e32 v5, 23, v5
	v_lshrrev_b32_e32 v7, 4, v7
	v_add_u32_e32 v6, 0x1000000, v3
	v_sub_u32_e32 v5, v7, v5
	v_ashrrev_i32_e32 v6, 8, v6
	v_add_u32_e32 v5, 0x3c000000, v5
	v_and_or_b32 v5, v6, s0, v5
	v_cmp_ne_u32_e32 vcc, 0, v3
	s_nop 1
	v_cndmask_b32_e32 v3, 0, v5, vcc
	v_and_or_b32 v2, v2, s1, v3
	v_bfe_u32 v3, v3, 16, 1
	v_add3_u32 v3, v2, v3, s28
	v_cmp_o_f32_e32 vcc, v2, v2
	v_mov_b32_e32 v2, 0x7fc0
	s_nop 0
	v_cndmask_b32_sdwa v2, v2, v3, vcc dst_sel:DWORD dst_unused:UNUSED_PAD src0_sel:DWORD src1_sel:WORD_1
.LBB208_580:
	s_mov_b64 s[0:1], 0
.LBB208_581:
	s_andn2_b64 vcc, exec, s[0:1]
	s_cbranch_vccnz .LBB208_583
; %bb.582:
	global_load_ubyte v2, v[0:1], off
	s_movk_i32 s0, 0x7f00
	s_brev_b32 s1, 16
	s_brev_b32 s28, 1
	s_movk_i32 s29, 0x7fff
	s_waitcnt vmcnt(0)
	v_lshlrev_b16_e32 v3, 8, v2
	v_lshlrev_b32_e32 v2, 25, v2
	v_lshrrev_b32_e32 v5, 4, v2
	v_and_or_b32 v6, v3, s0, 0.5
	v_or_b32_e32 v5, 0x70000000, v5
	v_add_f32_e32 v6, -0.5, v6
	v_mul_f32_e32 v5, 0x7800000, v5
	v_cmp_gt_u32_e32 vcc, s1, v2
	v_bfe_i32 v3, v3, 0, 16
	s_nop 0
	v_cndmask_b32_e32 v2, v5, v6, vcc
	v_and_or_b32 v3, v3, s28, v2
	v_bfe_u32 v2, v2, 16, 1
	v_add3_u32 v2, v3, v2, s29
	v_cmp_o_f32_e32 vcc, v3, v3
	v_mov_b32_e32 v3, 0x7fc0
	s_nop 0
	v_cndmask_b32_sdwa v2, v3, v2, vcc dst_sel:DWORD dst_unused:UNUSED_PAD src0_sel:DWORD src1_sel:WORD_1
.LBB208_583:
	s_mov_b64 s[28:29], 0
	s_mov_b64 s[0:1], -1
.LBB208_584:
	s_andn2_b64 vcc, exec, s[28:29]
	s_cbranch_vccnz .LBB208_597
; %bb.585:
	s_cmp_gt_i32 s34, 14
	s_cbranch_scc0 .LBB208_588
; %bb.586:
	s_cmp_eq_u32 s34, 15
	s_cbranch_scc0 .LBB208_591
; %bb.587:
	global_load_ushort v2, v[0:1], off
	s_mov_b64 s[0:1], -1
	s_mov_b64 s[26:27], 0
	s_branch .LBB208_592
.LBB208_588:
	s_mov_b64 s[28:29], -1
                                        ; implicit-def: $vgpr2
	s_branch .LBB208_593
.LBB208_589:
	s_or_saveexec_b64 s[28:29], s[28:29]
	v_mov_b32_e32 v3, 0x7f800001
	s_xor_b64 exec, exec, s[28:29]
	s_cbranch_execz .LBB208_570
.LBB208_590:
	v_cmp_ne_u16_e32 vcc, 0, v2
	s_andn2_b64 s[0:1], s[0:1], exec
	s_and_b64 s[30:31], vcc, exec
	v_mov_b32_e32 v3, 0
	s_or_b64 s[0:1], s[0:1], s[30:31]
	s_or_b64 exec, exec, s[28:29]
	s_and_saveexec_b64 s[28:29], s[0:1]
	s_cbranch_execnz .LBB208_571
	s_branch .LBB208_572
.LBB208_591:
	s_mov_b64 s[26:27], -1
                                        ; implicit-def: $vgpr2
.LBB208_592:
	s_mov_b64 s[28:29], 0
.LBB208_593:
	s_and_b64 vcc, exec, s[28:29]
	s_cbranch_vccz .LBB208_597
; %bb.594:
	s_cmp_eq_u32 s34, 11
	s_cbranch_scc0 .LBB208_596
; %bb.595:
	global_load_ubyte v2, v[0:1], off
	s_mov_b64 s[0:1], -1
	s_mov_b64 s[26:27], 0
	s_waitcnt vmcnt(0)
	v_cmp_ne_u16_e32 vcc, 0, v2
	s_nop 1
	v_cndmask_b32_e64 v2, 0, 1.0, vcc
	v_lshrrev_b32_e32 v2, 16, v2
	s_branch .LBB208_597
.LBB208_596:
	s_mov_b64 s[26:27], -1
                                        ; implicit-def: $vgpr2
.LBB208_597:
	s_mov_b64 s[28:29], 0
.LBB208_598:
	s_and_b64 vcc, exec, s[28:29]
	s_cbranch_vccz .LBB208_647
; %bb.599:
	s_cmp_lt_i32 s34, 5
	s_cbranch_scc1 .LBB208_604
; %bb.600:
	s_cmp_lt_i32 s34, 8
	s_cbranch_scc1 .LBB208_605
	;; [unrolled: 3-line block ×3, first 2 shown]
; %bb.602:
	s_cmp_gt_i32 s34, 9
	s_cbranch_scc0 .LBB208_607
; %bb.603:
	global_load_dwordx2 v[2:3], v[0:1], off
	s_movk_i32 s0, 0x7fff
	v_mov_b32_e32 v5, 0x7fc0
	s_waitcnt vmcnt(0)
	v_cvt_f32_f64_e32 v2, v[2:3]
	v_bfe_u32 v3, v2, 16, 1
	v_cmp_o_f32_e32 vcc, v2, v2
	v_add3_u32 v2, v2, v3, s0
	s_mov_b64 s[0:1], 0
	v_cndmask_b32_sdwa v2, v5, v2, vcc dst_sel:DWORD dst_unused:UNUSED_PAD src0_sel:DWORD src1_sel:WORD_1
	s_branch .LBB208_608
.LBB208_604:
	s_mov_b64 s[0:1], -1
                                        ; implicit-def: $vgpr2
	s_branch .LBB208_626
.LBB208_605:
	s_mov_b64 s[0:1], -1
                                        ; implicit-def: $vgpr2
	s_branch .LBB208_614
.LBB208_606:
	s_mov_b64 s[0:1], -1
                                        ; implicit-def: $vgpr2
	s_branch .LBB208_611
.LBB208_607:
	s_mov_b64 s[0:1], -1
                                        ; implicit-def: $vgpr2
.LBB208_608:
	s_andn2_b64 vcc, exec, s[0:1]
	s_cbranch_vccnz .LBB208_610
; %bb.609:
	global_load_dword v2, v[0:1], off
	s_movk_i32 s0, 0x7fff
	v_mov_b32_e32 v3, 0x7fc0
	s_waitcnt vmcnt(0)
	v_bfe_u32 v5, v2, 16, 1
	v_cmp_o_f32_e32 vcc, v2, v2
	v_add3_u32 v2, v2, v5, s0
	s_nop 0
	v_cndmask_b32_sdwa v2, v3, v2, vcc dst_sel:DWORD dst_unused:UNUSED_PAD src0_sel:DWORD src1_sel:WORD_1
.LBB208_610:
	s_mov_b64 s[0:1], 0
.LBB208_611:
	s_andn2_b64 vcc, exec, s[0:1]
	s_cbranch_vccnz .LBB208_613
; %bb.612:
	global_load_dword v2, v[0:1], off
	s_movk_i32 s0, 0x7fff
	v_mov_b32_e32 v5, 0x7fc0
	s_waitcnt vmcnt(0)
	v_cvt_f32_f16_e32 v3, v2
	v_cmp_o_f16_e32 vcc, v2, v2
	v_bfe_u32 v2, v3, 16, 1
	v_add3_u32 v2, v3, v2, s0
	v_cndmask_b32_sdwa v2, v5, v2, vcc dst_sel:DWORD dst_unused:UNUSED_PAD src0_sel:DWORD src1_sel:WORD_1
.LBB208_613:
	s_mov_b64 s[0:1], 0
.LBB208_614:
	s_andn2_b64 vcc, exec, s[0:1]
	s_cbranch_vccnz .LBB208_625
; %bb.615:
	s_cmp_lt_i32 s34, 6
	s_cbranch_scc1 .LBB208_618
; %bb.616:
	s_cmp_gt_i32 s34, 6
	s_cbranch_scc0 .LBB208_619
; %bb.617:
	global_load_dwordx2 v[2:3], v[0:1], off
	s_movk_i32 s0, 0x7fff
	v_mov_b32_e32 v5, 0x7fc0
	s_waitcnt vmcnt(0)
	v_cvt_f32_f64_e32 v2, v[2:3]
	v_bfe_u32 v3, v2, 16, 1
	v_cmp_o_f32_e32 vcc, v2, v2
	v_add3_u32 v2, v2, v3, s0
	s_mov_b64 s[0:1], 0
	v_cndmask_b32_sdwa v2, v5, v2, vcc dst_sel:DWORD dst_unused:UNUSED_PAD src0_sel:DWORD src1_sel:WORD_1
	s_branch .LBB208_620
.LBB208_618:
	s_mov_b64 s[0:1], -1
                                        ; implicit-def: $vgpr2
	s_branch .LBB208_623
.LBB208_619:
	s_mov_b64 s[0:1], -1
                                        ; implicit-def: $vgpr2
.LBB208_620:
	s_andn2_b64 vcc, exec, s[0:1]
	s_cbranch_vccnz .LBB208_622
; %bb.621:
	global_load_dword v2, v[0:1], off
	s_movk_i32 s0, 0x7fff
	v_mov_b32_e32 v3, 0x7fc0
	s_waitcnt vmcnt(0)
	v_bfe_u32 v5, v2, 16, 1
	v_cmp_o_f32_e32 vcc, v2, v2
	v_add3_u32 v2, v2, v5, s0
	s_nop 0
	v_cndmask_b32_sdwa v2, v3, v2, vcc dst_sel:DWORD dst_unused:UNUSED_PAD src0_sel:DWORD src1_sel:WORD_1
.LBB208_622:
	s_mov_b64 s[0:1], 0
.LBB208_623:
	s_andn2_b64 vcc, exec, s[0:1]
	s_cbranch_vccnz .LBB208_625
; %bb.624:
	global_load_ushort v2, v[0:1], off
	s_movk_i32 s0, 0x7fff
	v_mov_b32_e32 v5, 0x7fc0
	s_waitcnt vmcnt(0)
	v_cvt_f32_f16_e32 v3, v2
	v_cmp_o_f16_e32 vcc, v2, v2
	v_bfe_u32 v2, v3, 16, 1
	v_add3_u32 v2, v3, v2, s0
	v_cndmask_b32_sdwa v2, v5, v2, vcc dst_sel:DWORD dst_unused:UNUSED_PAD src0_sel:DWORD src1_sel:WORD_1
.LBB208_625:
	s_mov_b64 s[0:1], 0
.LBB208_626:
	s_andn2_b64 vcc, exec, s[0:1]
	s_cbranch_vccnz .LBB208_646
; %bb.627:
	s_cmp_lt_i32 s34, 2
	s_cbranch_scc1 .LBB208_631
; %bb.628:
	s_cmp_lt_i32 s34, 3
	s_cbranch_scc1 .LBB208_632
; %bb.629:
	s_cmp_gt_i32 s34, 3
	s_cbranch_scc0 .LBB208_633
; %bb.630:
	global_load_dwordx2 v[2:3], v[0:1], off
	s_movk_i32 s0, 0x7fff
	s_waitcnt vmcnt(0)
	v_xor_b32_e32 v6, v2, v3
	v_ffbh_i32_e32 v5, v3
	v_ashrrev_i32_e32 v6, 31, v6
	v_add_u32_e32 v5, -1, v5
	v_add_u32_e32 v6, 32, v6
	v_min_u32_e32 v5, v5, v6
	v_lshlrev_b64 v[2:3], v5, v[2:3]
	v_min_u32_e32 v2, 1, v2
	v_or_b32_e32 v2, v3, v2
	v_cvt_f32_i32_e32 v2, v2
	v_sub_u32_e32 v3, 32, v5
	v_ldexp_f32 v2, v2, v3
	v_bfe_u32 v3, v2, 16, 1
	v_add3_u32 v2, v2, v3, s0
	v_lshrrev_b32_e32 v2, 16, v2
	s_mov_b64 s[0:1], 0
	s_branch .LBB208_634
.LBB208_631:
	s_mov_b64 s[0:1], -1
                                        ; implicit-def: $vgpr2
	s_branch .LBB208_640
.LBB208_632:
	s_mov_b64 s[0:1], -1
                                        ; implicit-def: $vgpr2
	s_branch .LBB208_637
.LBB208_633:
	s_mov_b64 s[0:1], -1
                                        ; implicit-def: $vgpr2
.LBB208_634:
	s_andn2_b64 vcc, exec, s[0:1]
	s_cbranch_vccnz .LBB208_636
; %bb.635:
	global_load_dword v2, v[0:1], off
	s_movk_i32 s0, 0x7fff
	s_waitcnt vmcnt(0)
	v_cvt_f32_i32_e32 v2, v2
	v_bfe_u32 v3, v2, 16, 1
	v_add3_u32 v2, v2, v3, s0
	v_lshrrev_b32_e32 v2, 16, v2
.LBB208_636:
	s_mov_b64 s[0:1], 0
.LBB208_637:
	s_andn2_b64 vcc, exec, s[0:1]
	s_cbranch_vccnz .LBB208_639
; %bb.638:
	global_load_sshort v2, v[0:1], off
	s_movk_i32 s0, 0x7fff
	s_waitcnt vmcnt(0)
	v_cvt_f32_i32_e32 v2, v2
	v_bfe_u32 v3, v2, 16, 1
	v_add3_u32 v2, v2, v3, s0
	v_lshrrev_b32_e32 v2, 16, v2
.LBB208_639:
	s_mov_b64 s[0:1], 0
.LBB208_640:
	s_andn2_b64 vcc, exec, s[0:1]
	s_cbranch_vccnz .LBB208_646
; %bb.641:
	s_cmp_gt_i32 s34, 0
	s_cbranch_scc0 .LBB208_643
; %bb.642:
	global_load_sbyte v2, v[0:1], off
	s_movk_i32 s0, 0x7fff
	s_waitcnt vmcnt(0)
	v_cvt_f32_i32_e32 v2, v2
	v_bfe_u32 v3, v2, 16, 1
	v_add3_u32 v2, v2, v3, s0
	v_lshrrev_b32_e32 v2, 16, v2
	s_mov_b64 s[0:1], 0
	s_branch .LBB208_644
.LBB208_643:
	s_mov_b64 s[0:1], -1
                                        ; implicit-def: $vgpr2
.LBB208_644:
	s_andn2_b64 vcc, exec, s[0:1]
	s_cbranch_vccnz .LBB208_646
; %bb.645:
	global_load_ubyte v0, v[0:1], off
	s_movk_i32 s0, 0x7fff
	s_waitcnt vmcnt(0)
	v_cvt_f32_ubyte0_e32 v0, v0
	v_bfe_u32 v1, v0, 16, 1
	v_add3_u32 v0, v0, v1, s0
	v_lshrrev_b32_e32 v2, 16, v0
.LBB208_646:
	s_mov_b64 s[0:1], -1
.LBB208_647:
	s_andn2_b64 vcc, exec, s[0:1]
	s_cbranch_vccnz .LBB208_655
; %bb.648:
	s_waitcnt vmcnt(0)
	v_lshlrev_b32_e32 v0, 16, v2
	v_cvt_f64_f32_e32 v[0:1], v0
	v_rsq_f64_e32 v[2:3], v[0:1]
	s_mov_b32 s0, 0
	s_mov_b32 s1, 0x3fd80000
	v_mov_b32_e32 v5, 0x180
	v_mul_f64 v[0:1], v[2:3], -v[0:1]
	v_fma_f64 v[0:1], v[0:1], v[2:3], 1.0
	v_mul_f64 v[6:7], v[2:3], v[0:1]
	v_fma_f64 v[0:1], v[0:1], s[0:1], 0.5
	v_fma_f64 v[0:1], v[6:7], v[0:1], v[2:3]
	v_cmp_class_f64_e32 vcc, v[2:3], v5
	s_movk_i32 s0, 0x7fff
	s_and_b32 s36, s33, 0xff
	v_cndmask_b32_e32 v1, v3, v1, vcc
	v_cndmask_b32_e32 v0, v2, v0, vcc
	v_cvt_f32_f64_e32 v0, v[0:1]
	v_bfe_u32 v1, v0, 16, 1
	v_add3_u32 v1, v0, v1, s0
	v_cmp_o_f32_e32 vcc, v0, v0
	v_mov_b32_e32 v0, 0x7fc0
	s_cmp_lt_i32 s36, 11
	v_cndmask_b32_sdwa v2, v0, v1, vcc dst_sel:DWORD dst_unused:UNUSED_PAD src0_sel:DWORD src1_sel:WORD_1
	v_mul_lo_u32 v0, v4, s8
	v_ashrrev_i32_e32 v1, 31, v0
	v_lshl_add_u64 v[0:1], s[4:5], 0, v[0:1]
	s_cbranch_scc1 .LBB208_656
; %bb.649:
	s_and_b32 s37, 0xffff, s36
	s_cmp_gt_i32 s37, 25
	s_cbranch_scc0 .LBB208_657
; %bb.650:
	s_cmp_gt_i32 s37, 28
	s_cbranch_scc0 .LBB208_658
; %bb.651:
	s_cmp_gt_i32 s37, 43
	s_cbranch_scc0 .LBB208_659
; %bb.652:
	s_cmp_gt_i32 s37, 45
	s_cbranch_scc0 .LBB208_660
; %bb.653:
	s_mov_b64 s[30:31], 0
	s_mov_b64 s[0:1], -1
	s_cmp_eq_u32 s37, 46
	s_mov_b64 s[28:29], 0
	s_cbranch_scc0 .LBB208_661
; %bb.654:
	v_and_b32_e32 v3, 0xffff, v2
	global_store_dword v[0:1], v3, off
	s_mov_b64 s[28:29], -1
	s_mov_b64 s[0:1], 0
	s_branch .LBB208_661
.LBB208_655:
	s_mov_b64 s[30:31], 0
	s_mov_b64 s[0:1], s[20:21]
	s_branch .LBB208_772
.LBB208_656:
	s_mov_b64 s[30:31], -1
	s_mov_b64 s[28:29], 0
	s_mov_b64 s[0:1], s[20:21]
	s_branch .LBB208_730
.LBB208_657:
	s_mov_b64 s[30:31], -1
	s_mov_b64 s[28:29], 0
	s_mov_b64 s[0:1], s[20:21]
	s_branch .LBB208_688
.LBB208_658:
	s_mov_b64 s[30:31], -1
	s_mov_b64 s[28:29], 0
	s_mov_b64 s[0:1], s[20:21]
	s_branch .LBB208_671
.LBB208_659:
	s_mov_b64 s[30:31], -1
	s_mov_b64 s[28:29], 0
	s_mov_b64 s[0:1], s[20:21]
	s_branch .LBB208_667
.LBB208_660:
	s_mov_b64 s[30:31], -1
	s_mov_b64 s[28:29], 0
	s_mov_b64 s[0:1], s[20:21]
.LBB208_661:
	s_and_b64 vcc, exec, s[30:31]
	s_cbranch_vccz .LBB208_666
; %bb.662:
	s_cmp_eq_u32 s37, 44
	s_mov_b64 s[0:1], -1
	s_cbranch_scc0 .LBB208_666
; %bb.663:
	v_and_b32_e32 v5, 0xffff, v2
	v_bfe_u32 v3, v5, 7, 8
	s_movk_i32 s0, 0xff
	v_cmp_ne_u32_e32 vcc, s0, v3
	v_mov_b32_e32 v6, 0xff
	s_and_saveexec_b64 s[28:29], vcc
	s_cbranch_execz .LBB208_665
; %bb.664:
	v_lshlrev_b32_e32 v7, 16, v5
	s_mov_b32 s0, 0x3f0000
	v_lshrrev_b32_e32 v6, 7, v5
	v_and_b32_e32 v5, 64, v5
	v_and_or_b32 v3, v7, s0, v3
	v_cmp_ne_u32_e32 vcc, 0, v5
	v_cmp_ne_u32_e64 s[0:1], 0, v3
	s_and_b64 s[0:1], vcc, s[0:1]
	s_nop 0
	v_cndmask_b32_e64 v3, 0, 1, s[0:1]
	v_add_u32_e32 v6, v6, v3
.LBB208_665:
	s_or_b64 exec, exec, s[28:29]
	s_mov_b64 s[28:29], -1
	s_mov_b64 s[0:1], 0
	global_store_byte v[0:1], v6, off
.LBB208_666:
	s_mov_b64 s[30:31], 0
.LBB208_667:
	s_and_b64 vcc, exec, s[30:31]
	s_cbranch_vccz .LBB208_670
; %bb.668:
	s_cmp_eq_u32 s37, 29
	s_mov_b64 s[0:1], -1
	s_cbranch_scc0 .LBB208_670
; %bb.669:
	v_lshlrev_b32_e32 v3, 16, v2
	v_trunc_f32_e32 v3, v3
	v_mul_f32_e32 v5, 0x2f800000, v3
	v_floor_f32_e32 v5, v5
	v_fmamk_f32 v3, v5, 0xcf800000, v3
	v_cvt_u32_f32_e32 v7, v5
	v_cvt_u32_f32_e32 v6, v3
	s_mov_b64 s[28:29], -1
	s_mov_b64 s[0:1], 0
	s_mov_b64 s[30:31], 0
	global_store_dwordx2 v[0:1], v[6:7], off
	s_branch .LBB208_671
.LBB208_670:
	s_mov_b64 s[30:31], 0
.LBB208_671:
	s_and_b64 vcc, exec, s[30:31]
	s_cbranch_vccz .LBB208_687
; %bb.672:
	s_cmp_lt_i32 s37, 27
	s_mov_b64 s[28:29], -1
	s_cbranch_scc1 .LBB208_678
; %bb.673:
	s_cmp_gt_i32 s37, 27
	s_cbranch_scc0 .LBB208_675
; %bb.674:
	v_lshlrev_b32_e32 v3, 16, v2
	v_cvt_u32_f32_e32 v3, v3
	s_mov_b64 s[28:29], 0
	global_store_dword v[0:1], v3, off
.LBB208_675:
	s_andn2_b64 vcc, exec, s[28:29]
	s_cbranch_vccnz .LBB208_677
; %bb.676:
	v_lshlrev_b32_e32 v3, 16, v2
	v_cvt_u32_f32_e32 v3, v3
	global_store_short v[0:1], v3, off
.LBB208_677:
	s_mov_b64 s[28:29], 0
.LBB208_678:
	s_andn2_b64 vcc, exec, s[28:29]
	s_cbranch_vccnz .LBB208_686
; %bb.679:
	v_lshlrev_b32_e32 v6, 16, v2
	v_and_b32_e32 v5, 0x7fffffff, v6
	s_mov_b32 s28, 0x43800000
	v_cmp_gt_u32_e32 vcc, s28, v5
	v_mov_b32_e32 v7, 0x80
	s_and_saveexec_b64 s[28:29], vcc
	s_cbranch_execz .LBB208_685
; %bb.680:
	s_mov_b32 s30, 0x3bffffff
	v_and_b32_e32 v3, 0xffff, v2
	v_cmp_lt_u32_e32 vcc, s30, v5
	s_mov_b64 s[30:31], 0
                                        ; implicit-def: $vgpr5
	s_and_saveexec_b64 s[34:35], vcc
	s_xor_b64 s[34:35], exec, s[34:35]
	s_cbranch_execz .LBB208_787
; %bb.681:
	v_bfe_u32 v5, v3, 4, 1
	s_mov_b32 s39, 0x487ffff
	v_add3_u32 v5, v6, v5, s39
	s_mov_b64 s[30:31], exec
	v_lshrrev_b32_e32 v5, 20, v5
                                        ; implicit-def: $vgpr6
	s_andn2_saveexec_b64 s[34:35], s[34:35]
	s_cbranch_execnz .LBB208_788
.LBB208_682:
	s_or_b64 exec, exec, s[34:35]
	v_mov_b32_e32 v7, 0
	s_and_saveexec_b64 s[34:35], s[30:31]
.LBB208_683:
	v_lshrrev_b32_e32 v3, 8, v3
	s_movk_i32 s30, 0x80
	v_and_or_b32 v7, v3, s30, v5
.LBB208_684:
	s_or_b64 exec, exec, s[34:35]
.LBB208_685:
	s_or_b64 exec, exec, s[28:29]
	global_store_byte v[0:1], v7, off
.LBB208_686:
	s_mov_b64 s[28:29], -1
.LBB208_687:
	s_mov_b64 s[30:31], 0
.LBB208_688:
	s_and_b64 vcc, exec, s[30:31]
	s_cbranch_vccz .LBB208_729
; %bb.689:
	s_cmp_gt_i32 s37, 22
	s_mov_b64 s[30:31], -1
	s_cbranch_scc0 .LBB208_721
; %bb.690:
	s_cmp_lt_i32 s37, 24
	s_mov_b64 s[28:29], -1
	s_cbranch_scc1 .LBB208_710
; %bb.691:
	s_cmp_gt_i32 s37, 24
	s_cbranch_scc0 .LBB208_699
; %bb.692:
	v_lshlrev_b32_e32 v6, 16, v2
	v_and_b32_e32 v5, 0x7fffffff, v6
	s_mov_b32 s28, 0x47800000
	v_cmp_gt_u32_e32 vcc, s28, v5
	v_mov_b32_e32 v7, 0x80
	s_and_saveexec_b64 s[28:29], vcc
	s_cbranch_execz .LBB208_698
; %bb.693:
	s_mov_b32 s30, 0x37ffffff
	v_and_b32_e32 v3, 0xffff, v2
	v_cmp_lt_u32_e32 vcc, s30, v5
	s_mov_b64 s[30:31], 0
                                        ; implicit-def: $vgpr5
	s_and_saveexec_b64 s[34:35], vcc
	s_xor_b64 s[34:35], exec, s[34:35]
	s_cbranch_execz .LBB208_790
; %bb.694:
	v_bfe_u32 v5, v3, 5, 1
	s_mov_b32 s39, 0x88fffff
	v_add3_u32 v5, v6, v5, s39
	s_mov_b64 s[30:31], exec
	v_lshrrev_b32_e32 v5, 21, v5
                                        ; implicit-def: $vgpr6
	s_andn2_saveexec_b64 s[34:35], s[34:35]
	s_cbranch_execnz .LBB208_791
.LBB208_695:
	s_or_b64 exec, exec, s[34:35]
	v_mov_b32_e32 v7, 0
	s_and_saveexec_b64 s[34:35], s[30:31]
.LBB208_696:
	v_lshrrev_b32_e32 v3, 8, v3
	s_movk_i32 s30, 0x80
	v_and_or_b32 v7, v3, s30, v5
.LBB208_697:
	s_or_b64 exec, exec, s[34:35]
.LBB208_698:
	s_or_b64 exec, exec, s[28:29]
	s_mov_b64 s[28:29], 0
	global_store_byte v[0:1], v7, off
.LBB208_699:
	s_and_b64 vcc, exec, s[28:29]
	s_cbranch_vccz .LBB208_709
; %bb.700:
	v_lshlrev_b32_e32 v6, 16, v2
	v_and_b32_e32 v7, 0x7fffffff, v6
	s_mov_b32 s28, 0x43f00000
	v_and_b32_e32 v3, 0xffff, v2
	v_cmp_gt_u32_e32 vcc, s28, v7
                                        ; implicit-def: $vgpr5
	s_and_saveexec_b64 s[28:29], vcc
	s_xor_b64 s[28:29], exec, s[28:29]
	s_cbranch_execz .LBB208_706
; %bb.701:
	s_mov_b32 s30, 0x3c7fffff
	v_cmp_lt_u32_e32 vcc, s30, v7
                                        ; implicit-def: $vgpr5
	s_and_saveexec_b64 s[30:31], vcc
	s_xor_b64 s[30:31], exec, s[30:31]
; %bb.702:
	v_bfe_u32 v5, v3, 4, 1
	s_mov_b32 s34, 0x407ffff
	v_add3_u32 v5, v6, v5, s34
	v_lshrrev_b32_e32 v6, 20, v5
	v_and_b32_e32 v5, 0xff00000, v5
	s_mov_b32 s34, 0x7f00000
	v_mov_b32_e32 v7, 0x7e
	v_cmp_ne_u32_e32 vcc, s34, v5
	s_nop 1
	v_cndmask_b32_e32 v5, v7, v6, vcc
                                        ; implicit-def: $vgpr6
; %bb.703:
	s_andn2_saveexec_b64 s[30:31], s[30:31]
; %bb.704:
	s_mov_b32 s34, 0x46800000
	v_add_f32_e64 v5, |v6|, s34
; %bb.705:
	s_or_b64 exec, exec, s[30:31]
                                        ; implicit-def: $vgpr7
.LBB208_706:
	s_andn2_saveexec_b64 s[28:29], s[28:29]
; %bb.707:
	s_mov_b32 s30, 0x7f800000
	v_mov_b32_e32 v5, 0x7e
	v_mov_b32_e32 v6, 0x7f
	v_cmp_lt_u32_e32 vcc, s30, v7
	s_nop 1
	v_cndmask_b32_e32 v5, v5, v6, vcc
; %bb.708:
	s_or_b64 exec, exec, s[28:29]
	v_lshrrev_b32_e32 v3, 8, v3
	s_movk_i32 s28, 0x80
	v_and_or_b32 v3, v3, s28, v5
	global_store_byte v[0:1], v3, off
.LBB208_709:
	s_mov_b64 s[28:29], 0
.LBB208_710:
	s_andn2_b64 vcc, exec, s[28:29]
	s_cbranch_vccnz .LBB208_720
; %bb.711:
	v_lshlrev_b32_e32 v6, 16, v2
	v_and_b32_e32 v7, 0x7fffffff, v6
	s_mov_b32 s28, 0x47800000
	v_and_b32_e32 v3, 0xffff, v2
	v_cmp_gt_u32_e32 vcc, s28, v7
                                        ; implicit-def: $vgpr5
	s_and_saveexec_b64 s[28:29], vcc
	s_xor_b64 s[28:29], exec, s[28:29]
	s_cbranch_execz .LBB208_717
; %bb.712:
	s_mov_b32 s30, 0x387fffff
	v_cmp_lt_u32_e32 vcc, s30, v7
                                        ; implicit-def: $vgpr5
	s_and_saveexec_b64 s[30:31], vcc
	s_xor_b64 s[30:31], exec, s[30:31]
; %bb.713:
	v_bfe_u32 v5, v3, 5, 1
	s_mov_b32 s34, 0x80fffff
	v_add3_u32 v5, v6, v5, s34
	v_lshrrev_b32_e32 v5, 21, v5
                                        ; implicit-def: $vgpr6
; %bb.714:
	s_andn2_saveexec_b64 s[30:31], s[30:31]
; %bb.715:
	s_mov_b32 s34, 0x43000000
	v_add_f32_e64 v5, |v6|, s34
; %bb.716:
	s_or_b64 exec, exec, s[30:31]
                                        ; implicit-def: $vgpr7
.LBB208_717:
	s_andn2_saveexec_b64 s[28:29], s[28:29]
; %bb.718:
	s_mov_b32 s30, 0x7f800000
	v_mov_b32_e32 v5, 0x7c
	v_mov_b32_e32 v6, 0x7f
	v_cmp_lt_u32_e32 vcc, s30, v7
	s_nop 1
	v_cndmask_b32_e32 v5, v5, v6, vcc
; %bb.719:
	s_or_b64 exec, exec, s[28:29]
	v_lshrrev_b32_e32 v3, 8, v3
	s_movk_i32 s28, 0x80
	v_and_or_b32 v3, v3, s28, v5
	global_store_byte v[0:1], v3, off
.LBB208_720:
	s_mov_b64 s[30:31], 0
	s_mov_b64 s[28:29], -1
.LBB208_721:
	s_andn2_b64 vcc, exec, s[30:31]
	s_cbranch_vccnz .LBB208_729
; %bb.722:
	s_cmp_gt_i32 s37, 14
	s_mov_b64 s[30:31], -1
	s_cbranch_scc0 .LBB208_726
; %bb.723:
	s_cmp_eq_u32 s37, 15
	s_mov_b64 s[0:1], -1
	s_cbranch_scc0 .LBB208_725
; %bb.724:
	global_store_short v[0:1], v2, off
	s_mov_b64 s[28:29], -1
	s_mov_b64 s[0:1], 0
.LBB208_725:
	s_mov_b64 s[30:31], 0
.LBB208_726:
	s_and_b64 vcc, exec, s[30:31]
	s_cbranch_vccz .LBB208_729
; %bb.727:
	s_cmp_eq_u32 s37, 11
	s_mov_b64 s[0:1], -1
	s_cbranch_scc0 .LBB208_729
; %bb.728:
	v_and_b32_e32 v3, 0x7fff, v2
	v_cmp_ne_u16_e32 vcc, 0, v3
	s_mov_b64 s[28:29], -1
	s_mov_b64 s[0:1], 0
	v_cndmask_b32_e64 v3, 0, 1, vcc
	global_store_byte v[0:1], v3, off
.LBB208_729:
	s_mov_b64 s[30:31], 0
.LBB208_730:
	s_and_b64 vcc, exec, s[30:31]
	s_cbranch_vccz .LBB208_769
; %bb.731:
	s_and_b32 s30, 0xffff, s36
	s_cmp_lt_i32 s30, 5
	s_mov_b64 s[28:29], -1
	s_cbranch_scc1 .LBB208_752
; %bb.732:
	s_cmp_lt_i32 s30, 8
	s_cbranch_scc1 .LBB208_742
; %bb.733:
	s_cmp_lt_i32 s30, 9
	s_cbranch_scc1 .LBB208_739
; %bb.734:
	s_cmp_gt_i32 s30, 9
	s_cbranch_scc0 .LBB208_736
; %bb.735:
	v_lshlrev_b32_e32 v3, 16, v2
	v_mov_b32_e32 v8, 0
	v_cvt_f64_f32_e32 v[6:7], v3
	v_mov_b32_e32 v9, v8
	s_mov_b64 s[28:29], 0
	global_store_dwordx4 v[0:1], v[6:9], off
.LBB208_736:
	s_andn2_b64 vcc, exec, s[28:29]
	s_cbranch_vccnz .LBB208_738
; %bb.737:
	v_lshlrev_b32_e32 v6, 16, v2
	v_mov_b32_e32 v7, 0
	global_store_dwordx2 v[0:1], v[6:7], off
.LBB208_738:
	s_mov_b64 s[28:29], 0
.LBB208_739:
	s_andn2_b64 vcc, exec, s[28:29]
	s_cbranch_vccnz .LBB208_741
; %bb.740:
	v_lshlrev_b32_e32 v3, 16, v2
	v_cvt_f16_f32_e32 v3, v3
	global_store_dword v[0:1], v3, off
.LBB208_741:
	s_mov_b64 s[28:29], 0
.LBB208_742:
	s_andn2_b64 vcc, exec, s[28:29]
	s_cbranch_vccnz .LBB208_751
; %bb.743:
	s_cmp_lt_i32 s30, 6
	s_mov_b64 s[28:29], -1
	s_cbranch_scc1 .LBB208_749
; %bb.744:
	s_cmp_gt_i32 s30, 6
	s_cbranch_scc0 .LBB208_746
; %bb.745:
	v_lshlrev_b32_e32 v3, 16, v2
	v_cvt_f64_f32_e32 v[6:7], v3
	s_mov_b64 s[28:29], 0
	global_store_dwordx2 v[0:1], v[6:7], off
.LBB208_746:
	s_andn2_b64 vcc, exec, s[28:29]
	s_cbranch_vccnz .LBB208_748
; %bb.747:
	v_lshlrev_b32_e32 v3, 16, v2
	global_store_dword v[0:1], v3, off
.LBB208_748:
	s_mov_b64 s[28:29], 0
.LBB208_749:
	s_andn2_b64 vcc, exec, s[28:29]
	s_cbranch_vccnz .LBB208_751
; %bb.750:
	v_lshlrev_b32_e32 v3, 16, v2
	v_cvt_f16_f32_e32 v3, v3
	global_store_short v[0:1], v3, off
.LBB208_751:
	s_mov_b64 s[28:29], 0
.LBB208_752:
	s_andn2_b64 vcc, exec, s[28:29]
	s_cbranch_vccnz .LBB208_768
; %bb.753:
	s_cmp_lt_i32 s30, 2
	s_mov_b64 s[28:29], -1
	s_cbranch_scc1 .LBB208_763
; %bb.754:
	s_cmp_lt_i32 s30, 3
	s_cbranch_scc1 .LBB208_760
; %bb.755:
	s_cmp_gt_i32 s30, 3
	s_cbranch_scc0 .LBB208_757
; %bb.756:
	v_lshlrev_b32_e32 v3, 16, v2
	v_trunc_f32_e32 v3, v3
	s_mov_b32 s28, 0x2f800000
	v_mul_f32_e64 v5, |v3|, s28
	v_floor_f32_e32 v5, v5
	s_mov_b32 s28, 0xcf800000
	v_cvt_u32_f32_e32 v6, v5
	v_fma_f32 v5, v5, s28, |v3|
	v_cvt_u32_f32_e32 v5, v5
	v_ashrrev_i32_e32 v3, 31, v3
	v_xor_b32_e32 v7, v6, v3
	s_mov_b64 s[28:29], 0
	v_xor_b32_e32 v5, v5, v3
	v_sub_co_u32_e32 v6, vcc, v5, v3
	s_nop 1
	v_subb_co_u32_e32 v7, vcc, v7, v3, vcc
	global_store_dwordx2 v[0:1], v[6:7], off
.LBB208_757:
	s_andn2_b64 vcc, exec, s[28:29]
	s_cbranch_vccnz .LBB208_759
; %bb.758:
	v_lshlrev_b32_e32 v3, 16, v2
	v_cvt_i32_f32_e32 v3, v3
	global_store_dword v[0:1], v3, off
.LBB208_759:
	s_mov_b64 s[28:29], 0
.LBB208_760:
	s_andn2_b64 vcc, exec, s[28:29]
	s_cbranch_vccnz .LBB208_762
; %bb.761:
	v_lshlrev_b32_e32 v3, 16, v2
	v_cvt_i32_f32_e32 v3, v3
	global_store_short v[0:1], v3, off
.LBB208_762:
	s_mov_b64 s[28:29], 0
.LBB208_763:
	s_andn2_b64 vcc, exec, s[28:29]
	s_cbranch_vccnz .LBB208_768
; %bb.764:
	s_mov_b64 s[28:29], -1
	s_cmp_gt_i32 s30, 0
	v_lshlrev_b32_e32 v2, 16, v2
	s_cbranch_scc0 .LBB208_766
; %bb.765:
	v_cvt_i32_f32_e32 v3, v2
	s_mov_b64 s[28:29], 0
	global_store_byte v[0:1], v3, off
.LBB208_766:
	s_andn2_b64 vcc, exec, s[28:29]
	s_cbranch_vccnz .LBB208_768
; %bb.767:
	v_trunc_f32_e32 v2, v2
	s_mov_b32 s28, 0x2f800000
	v_mul_f32_e64 v3, |v2|, s28
	v_floor_f32_e32 v3, v3
	s_mov_b32 s28, 0xcf800000
	v_fma_f32 v3, v3, s28, |v2|
	v_cvt_u32_f32_e32 v3, v3
	v_ashrrev_i32_e32 v2, 31, v2
	v_xor_b32_e32 v3, v3, v2
	v_sub_u32_e32 v2, v3, v2
	global_store_byte v[0:1], v2, off
.LBB208_768:
	s_mov_b64 s[28:29], -1
.LBB208_769:
	s_andn2_b64 vcc, exec, s[28:29]
	s_cbranch_vccnz .LBB208_771
; %bb.770:
	v_add_u32_e32 v4, 0x80, v4
	s_mov_b64 s[30:31], -1
	s_branch .LBB208_773
.LBB208_771:
	s_mov_b64 s[30:31], 0
.LBB208_772:
                                        ; implicit-def: $vgpr4
.LBB208_773:
	s_andn2_b64 s[28:29], s[20:21], exec
	s_and_b64 s[0:1], s[0:1], exec
	s_or_b64 s[28:29], s[28:29], s[0:1]
	s_andn2_b64 s[0:1], s[18:19], exec
	s_and_b64 s[26:27], s[26:27], exec
	s_or_b64 s[0:1], s[0:1], s[26:27]
	s_orn2_b64 s[34:35], s[30:31], exec
.LBB208_774:
	s_or_b64 exec, exec, s[24:25]
	s_mov_b64 s[30:31], 0
	s_mov_b64 s[26:27], 0
	;; [unrolled: 1-line block ×3, first 2 shown]
                                        ; implicit-def: $vgpr0_vgpr1
                                        ; implicit-def: $vgpr3
	s_and_saveexec_b64 s[24:25], s[34:35]
	s_cbranch_execz .LBB208_859
; %bb.775:
	v_cmp_gt_i32_e32 vcc, s38, v4
	s_mov_b64 s[34:35], 0
	s_mov_b64 s[38:39], s[0:1]
	;; [unrolled: 1-line block ×3, first 2 shown]
                                        ; implicit-def: $vgpr0_vgpr1
                                        ; implicit-def: $vgpr3
	s_and_saveexec_b64 s[26:27], vcc
	s_cbranch_execz .LBB208_858
; %bb.776:
	v_mul_lo_u32 v0, v4, s9
	v_ashrrev_i32_e32 v1, 31, v0
	s_and_b32 s43, 0xffff, s42
	s_cmp_lt_i32 s43, 11
	v_lshl_add_u64 v[0:1], s[6:7], 0, v[0:1]
	s_cbranch_scc1 .LBB208_783
; %bb.777:
	s_cmp_gt_i32 s43, 25
	s_cbranch_scc0 .LBB208_784
; %bb.778:
	s_cmp_gt_i32 s43, 28
	s_cbranch_scc0 .LBB208_785
	;; [unrolled: 3-line block ×4, first 2 shown]
; %bb.781:
	s_cmp_eq_u32 s43, 46
	s_mov_b64 s[38:39], 0
	s_cbranch_scc0 .LBB208_792
; %bb.782:
	global_load_dword v3, v[0:1], off
	s_mov_b64 s[36:37], -1
	s_branch .LBB208_794
.LBB208_783:
	s_mov_b64 s[38:39], -1
                                        ; implicit-def: $vgpr3
	s_mov_b64 s[30:31], s[0:1]
	s_branch .LBB208_857
.LBB208_784:
	s_mov_b64 s[38:39], -1
	s_mov_b64 s[30:31], s[0:1]
                                        ; implicit-def: $vgpr3
	s_branch .LBB208_823
.LBB208_785:
	s_mov_b64 s[38:39], -1
	s_mov_b64 s[30:31], s[0:1]
                                        ; implicit-def: $vgpr3
	s_branch .LBB208_804
.LBB208_786:
	s_mov_b64 s[38:39], -1
	s_mov_b64 s[30:31], s[0:1]
                                        ; implicit-def: $vgpr3
	s_branch .LBB208_799
.LBB208_787:
	s_andn2_saveexec_b64 s[34:35], s[34:35]
	s_cbranch_execz .LBB208_682
.LBB208_788:
	s_mov_b32 s39, 0x46000000
	v_add_f32_e64 v5, |v6|, s39
	v_and_b32_e32 v5, 0xff, v5
	v_cmp_ne_u32_e32 vcc, 0, v5
	s_andn2_b64 s[30:31], s[30:31], exec
	s_and_b64 s[40:41], vcc, exec
	s_or_b64 s[30:31], s[30:31], s[40:41]
	s_or_b64 exec, exec, s[34:35]
	v_mov_b32_e32 v7, 0
	s_and_saveexec_b64 s[34:35], s[30:31]
	s_cbranch_execnz .LBB208_683
	s_branch .LBB208_684
.LBB208_789:
	s_mov_b64 s[38:39], -1
	s_mov_b64 s[30:31], s[0:1]
	s_branch .LBB208_793
.LBB208_790:
	s_andn2_saveexec_b64 s[34:35], s[34:35]
	s_cbranch_execz .LBB208_695
.LBB208_791:
	s_mov_b32 s39, 0x42800000
	v_add_f32_e64 v5, |v6|, s39
	v_and_b32_e32 v5, 0xff, v5
	v_cmp_ne_u32_e32 vcc, 0, v5
	s_andn2_b64 s[30:31], s[30:31], exec
	s_and_b64 s[40:41], vcc, exec
	s_or_b64 s[30:31], s[30:31], s[40:41]
	s_or_b64 exec, exec, s[34:35]
	v_mov_b32_e32 v7, 0
	s_and_saveexec_b64 s[34:35], s[30:31]
	s_cbranch_execnz .LBB208_696
	s_branch .LBB208_697
.LBB208_792:
	s_mov_b64 s[30:31], -1
.LBB208_793:
                                        ; implicit-def: $vgpr3
.LBB208_794:
	s_and_b64 vcc, exec, s[38:39]
	s_cbranch_vccz .LBB208_798
; %bb.795:
	s_cmp_eq_u32 s43, 44
	s_cbranch_scc0 .LBB208_797
; %bb.796:
	global_load_ubyte v2, v[0:1], off
	s_movk_i32 s36, 0xff
	s_waitcnt vmcnt(1)
	v_mov_b32_e32 v3, 0x7f800001
	v_mov_b32_e32 v5, 0x400000
	;; [unrolled: 1-line block ×3, first 2 shown]
	s_mov_b64 s[30:31], 0
	s_waitcnt vmcnt(0)
	v_lshlrev_b32_e32 v7, 23, v2
	v_cmp_ne_u32_e32 vcc, s36, v2
	s_mov_b64 s[36:37], -1
	s_nop 0
	v_cndmask_b32_e32 v3, v3, v7, vcc
	v_cmp_ne_u32_e32 vcc, 0, v2
	s_nop 1
	v_cndmask_b32_e32 v2, v5, v3, vcc
	v_add_u32_e32 v3, 0x7fff, v2
	v_cmp_o_f32_e32 vcc, v2, v2
	s_nop 1
	v_cndmask_b32_sdwa v3, v6, v3, vcc dst_sel:DWORD dst_unused:UNUSED_PAD src0_sel:DWORD src1_sel:WORD_1
	s_branch .LBB208_798
.LBB208_797:
	s_mov_b64 s[30:31], -1
                                        ; implicit-def: $vgpr3
.LBB208_798:
	s_mov_b64 s[38:39], 0
.LBB208_799:
	s_and_b64 vcc, exec, s[38:39]
	s_cbranch_vccz .LBB208_803
; %bb.800:
	s_cmp_eq_u32 s43, 29
	s_cbranch_scc0 .LBB208_802
; %bb.801:
	global_load_dwordx2 v[2:3], v[0:1], off
	s_movk_i32 s36, 0x7fff
	s_mov_b64 s[30:31], 0
	s_mov_b64 s[38:39], 0
	s_waitcnt vmcnt(0)
	v_ffbh_u32_e32 v5, v3
	v_min_u32_e32 v5, 32, v5
	v_lshlrev_b64 v[2:3], v5, v[2:3]
	v_min_u32_e32 v2, 1, v2
	v_or_b32_e32 v2, v3, v2
	v_cvt_f32_u32_e32 v2, v2
	v_sub_u32_e32 v3, 32, v5
	v_ldexp_f32 v2, v2, v3
	v_bfe_u32 v3, v2, 16, 1
	v_add3_u32 v2, v2, v3, s36
	v_lshrrev_b32_e32 v3, 16, v2
	s_mov_b64 s[36:37], -1
	s_branch .LBB208_804
.LBB208_802:
	s_mov_b64 s[30:31], -1
                                        ; implicit-def: $vgpr3
.LBB208_803:
	s_mov_b64 s[38:39], 0
.LBB208_804:
	s_and_b64 vcc, exec, s[38:39]
	s_cbranch_vccz .LBB208_822
; %bb.805:
	s_cmp_lt_i32 s43, 27
	s_cbranch_scc1 .LBB208_808
; %bb.806:
	s_cmp_gt_i32 s43, 27
	s_cbranch_scc0 .LBB208_809
; %bb.807:
	global_load_dword v2, v[0:1], off
	s_movk_i32 s36, 0x7fff
	s_waitcnt vmcnt(0)
	v_cvt_f32_u32_e32 v2, v2
	v_bfe_u32 v3, v2, 16, 1
	v_add3_u32 v2, v2, v3, s36
	v_lshrrev_b32_e32 v3, 16, v2
	s_mov_b64 s[36:37], 0
	s_branch .LBB208_810
.LBB208_808:
	s_mov_b64 s[36:37], -1
                                        ; implicit-def: $vgpr3
	s_branch .LBB208_813
.LBB208_809:
	s_mov_b64 s[36:37], -1
                                        ; implicit-def: $vgpr3
.LBB208_810:
	s_andn2_b64 vcc, exec, s[36:37]
	s_cbranch_vccnz .LBB208_812
; %bb.811:
	global_load_ushort v2, v[0:1], off
	s_movk_i32 s36, 0x7fff
	s_waitcnt vmcnt(0)
	v_cvt_f32_u32_e32 v2, v2
	v_bfe_u32 v3, v2, 16, 1
	v_add3_u32 v2, v2, v3, s36
	v_lshrrev_b32_e32 v3, 16, v2
.LBB208_812:
	s_mov_b64 s[36:37], 0
.LBB208_813:
	s_andn2_b64 vcc, exec, s[36:37]
	s_cbranch_vccnz .LBB208_821
; %bb.814:
	global_load_ubyte v2, v[0:1], off
	s_movk_i32 s36, 0x7f
	s_waitcnt vmcnt(0)
	v_cmp_lt_i16_e32 vcc, s36, v2
	s_mov_b64 s[36:37], 0
	s_and_saveexec_b64 s[38:39], vcc
	s_xor_b64 s[38:39], exec, s[38:39]
	s_cbranch_execz .LBB208_835
; %bb.815:
	s_movk_i32 s36, 0x80
	v_cmp_eq_u16_e32 vcc, s36, v2
	s_mov_b64 s[36:37], -1
	s_and_saveexec_b64 s[40:41], vcc
; %bb.816:
	s_xor_b64 s[36:37], exec, -1
; %bb.817:
	s_or_b64 exec, exec, s[40:41]
	s_and_b64 s[36:37], s[36:37], exec
	s_or_saveexec_b64 s[38:39], s[38:39]
	v_mov_b32_e32 v3, 0x7f800001
	s_xor_b64 exec, exec, s[38:39]
	s_cbranch_execnz .LBB208_836
.LBB208_818:
	s_or_b64 exec, exec, s[38:39]
	s_and_saveexec_b64 s[38:39], s[36:37]
	s_cbranch_execz .LBB208_820
.LBB208_819:
	v_lshlrev_b32_e32 v3, 24, v2
	v_and_b32_e32 v2, 0xffff, v2
	v_and_b32_e32 v5, 7, v2
	v_ffbh_u32_e32 v7, v5
	v_min_u32_e32 v7, 32, v7
	v_subrev_u32_e32 v8, 28, v7
	v_bfe_u32 v6, v2, 3, 4
	v_lshlrev_b32_e32 v2, v8, v2
	v_sub_u32_e32 v7, 29, v7
	v_and_b32_e32 v2, 7, v2
	v_cmp_eq_u32_e32 vcc, 0, v6
	v_and_b32_e32 v3, 0x80000000, v3
	s_nop 0
	v_cndmask_b32_e32 v6, v6, v7, vcc
	v_cndmask_b32_e32 v2, v5, v2, vcc
	v_mov_b32_e32 v5, 0x3b800000
	v_lshlrev_b32_e32 v2, 20, v2
	v_lshl_add_u32 v5, v6, 23, v5
	v_or3_b32 v3, v3, v5, v2
.LBB208_820:
	s_or_b64 exec, exec, s[38:39]
	v_bfe_u32 v2, v3, 16, 1
	s_movk_i32 s36, 0x7fff
	v_add3_u32 v2, v3, v2, s36
	v_cmp_o_f32_e32 vcc, v3, v3
	v_mov_b32_e32 v3, 0x7fc0
	s_nop 0
	v_cndmask_b32_sdwa v3, v3, v2, vcc dst_sel:DWORD dst_unused:UNUSED_PAD src0_sel:DWORD src1_sel:WORD_1
.LBB208_821:
	s_mov_b64 s[36:37], -1
.LBB208_822:
	s_mov_b64 s[38:39], 0
.LBB208_823:
	s_and_b64 vcc, exec, s[38:39]
	s_cbranch_vccz .LBB208_856
; %bb.824:
	s_cmp_gt_i32 s43, 22
	s_cbranch_scc0 .LBB208_834
; %bb.825:
	s_cmp_lt_i32 s43, 24
	s_cbranch_scc1 .LBB208_837
; %bb.826:
	s_cmp_gt_i32 s43, 24
	s_cbranch_scc0 .LBB208_838
; %bb.827:
	global_load_ubyte v2, v[0:1], off
	s_movk_i32 s34, 0x7f
	s_waitcnt vmcnt(0)
	v_cmp_lt_i16_e32 vcc, s34, v2
	s_mov_b64 s[34:35], 0
	s_and_saveexec_b64 s[36:37], vcc
	s_xor_b64 s[36:37], exec, s[36:37]
	s_cbranch_execz .LBB208_850
; %bb.828:
	s_movk_i32 s34, 0x80
	v_cmp_eq_u16_e32 vcc, s34, v2
	s_mov_b64 s[34:35], -1
	s_and_saveexec_b64 s[38:39], vcc
; %bb.829:
	s_xor_b64 s[34:35], exec, -1
; %bb.830:
	s_or_b64 exec, exec, s[38:39]
	s_and_b64 s[34:35], s[34:35], exec
	s_or_saveexec_b64 s[36:37], s[36:37]
	v_mov_b32_e32 v3, 0x7f800001
	s_xor_b64 exec, exec, s[36:37]
	s_cbranch_execnz .LBB208_851
.LBB208_831:
	s_or_b64 exec, exec, s[36:37]
	s_and_saveexec_b64 s[36:37], s[34:35]
	s_cbranch_execz .LBB208_833
.LBB208_832:
	v_lshlrev_b32_e32 v3, 24, v2
	v_and_b32_e32 v2, 0xffff, v2
	v_and_b32_e32 v5, 3, v2
	v_ffbh_u32_e32 v7, v5
	v_min_u32_e32 v7, 32, v7
	v_subrev_u32_e32 v8, 29, v7
	v_bfe_u32 v6, v2, 2, 5
	v_lshlrev_b32_e32 v2, v8, v2
	v_sub_u32_e32 v7, 30, v7
	v_and_b32_e32 v2, 3, v2
	v_cmp_eq_u32_e32 vcc, 0, v6
	v_and_b32_e32 v3, 0x80000000, v3
	s_nop 0
	v_cndmask_b32_e32 v6, v6, v7, vcc
	v_cndmask_b32_e32 v2, v5, v2, vcc
	v_mov_b32_e32 v5, 0x37800000
	v_lshlrev_b32_e32 v2, 21, v2
	v_lshl_add_u32 v5, v6, 23, v5
	v_or3_b32 v3, v3, v5, v2
.LBB208_833:
	s_or_b64 exec, exec, s[36:37]
	v_bfe_u32 v2, v3, 16, 1
	s_movk_i32 s34, 0x7fff
	v_add3_u32 v2, v3, v2, s34
	v_cmp_o_f32_e32 vcc, v3, v3
	v_mov_b32_e32 v3, 0x7fc0
	s_mov_b64 s[34:35], 0
	v_cndmask_b32_sdwa v3, v3, v2, vcc dst_sel:DWORD dst_unused:UNUSED_PAD src0_sel:DWORD src1_sel:WORD_1
	s_branch .LBB208_839
.LBB208_834:
	s_mov_b64 s[34:35], -1
                                        ; implicit-def: $vgpr3
	s_branch .LBB208_845
.LBB208_835:
	s_or_saveexec_b64 s[38:39], s[38:39]
	v_mov_b32_e32 v3, 0x7f800001
	s_xor_b64 exec, exec, s[38:39]
	s_cbranch_execz .LBB208_818
.LBB208_836:
	v_cmp_ne_u16_e32 vcc, 0, v2
	s_andn2_b64 s[36:37], s[36:37], exec
	s_and_b64 s[40:41], vcc, exec
	v_mov_b32_e32 v3, 0
	s_or_b64 s[36:37], s[36:37], s[40:41]
	s_or_b64 exec, exec, s[38:39]
	s_and_saveexec_b64 s[38:39], s[36:37]
	s_cbranch_execnz .LBB208_819
	s_branch .LBB208_820
.LBB208_837:
	s_mov_b64 s[34:35], -1
                                        ; implicit-def: $vgpr3
	s_branch .LBB208_842
.LBB208_838:
	s_mov_b64 s[34:35], -1
                                        ; implicit-def: $vgpr3
.LBB208_839:
	s_and_b64 vcc, exec, s[34:35]
	s_cbranch_vccz .LBB208_841
; %bb.840:
	global_load_ubyte v2, v[0:1], off
	s_mov_b32 s34, 0x7f800000
	s_brev_b32 s35, 1
	s_movk_i32 s36, 0x7fff
	s_waitcnt vmcnt(0)
	v_lshlrev_b32_e32 v2, 24, v2
	v_and_b32_e32 v3, 0x7f000000, v2
	v_ffbh_u32_e32 v5, v3
	v_min_u32_e32 v5, 32, v5
	v_sub_u32_e64 v5, v5, 4 clamp
	v_lshlrev_b32_e32 v7, v5, v3
	v_lshlrev_b32_e32 v5, 23, v5
	v_lshrrev_b32_e32 v7, 4, v7
	v_add_u32_e32 v6, 0x1000000, v3
	v_sub_u32_e32 v5, v7, v5
	v_ashrrev_i32_e32 v6, 8, v6
	v_add_u32_e32 v5, 0x3c000000, v5
	v_and_or_b32 v5, v6, s34, v5
	v_cmp_ne_u32_e32 vcc, 0, v3
	s_nop 1
	v_cndmask_b32_e32 v3, 0, v5, vcc
	v_and_or_b32 v2, v2, s35, v3
	v_bfe_u32 v3, v3, 16, 1
	v_add3_u32 v3, v2, v3, s36
	v_cmp_o_f32_e32 vcc, v2, v2
	v_mov_b32_e32 v2, 0x7fc0
	s_nop 0
	v_cndmask_b32_sdwa v3, v2, v3, vcc dst_sel:DWORD dst_unused:UNUSED_PAD src0_sel:DWORD src1_sel:WORD_1
.LBB208_841:
	s_mov_b64 s[34:35], 0
.LBB208_842:
	s_andn2_b64 vcc, exec, s[34:35]
	s_cbranch_vccnz .LBB208_844
; %bb.843:
	global_load_ubyte v2, v[0:1], off
	s_movk_i32 s34, 0x7f00
	s_brev_b32 s35, 16
	s_brev_b32 s36, 1
	s_movk_i32 s37, 0x7fff
	s_waitcnt vmcnt(0)
	v_lshlrev_b16_e32 v3, 8, v2
	v_lshlrev_b32_e32 v2, 25, v2
	v_lshrrev_b32_e32 v5, 4, v2
	v_and_or_b32 v6, v3, s34, 0.5
	v_or_b32_e32 v5, 0x70000000, v5
	v_add_f32_e32 v6, -0.5, v6
	v_mul_f32_e32 v5, 0x7800000, v5
	v_cmp_gt_u32_e32 vcc, s35, v2
	v_bfe_i32 v3, v3, 0, 16
	s_nop 0
	v_cndmask_b32_e32 v2, v5, v6, vcc
	v_and_or_b32 v3, v3, s36, v2
	v_bfe_u32 v2, v2, 16, 1
	v_add3_u32 v2, v3, v2, s37
	v_cmp_o_f32_e32 vcc, v3, v3
	v_mov_b32_e32 v3, 0x7fc0
	s_nop 0
	v_cndmask_b32_sdwa v3, v3, v2, vcc dst_sel:DWORD dst_unused:UNUSED_PAD src0_sel:DWORD src1_sel:WORD_1
.LBB208_844:
	s_mov_b64 s[34:35], 0
	s_mov_b64 s[36:37], -1
.LBB208_845:
	s_andn2_b64 vcc, exec, s[34:35]
	s_mov_b64 s[34:35], 0
	s_cbranch_vccnz .LBB208_856
; %bb.846:
	s_cmp_gt_i32 s43, 14
	s_cbranch_scc0 .LBB208_849
; %bb.847:
	s_cmp_eq_u32 s43, 15
	s_cbranch_scc0 .LBB208_852
; %bb.848:
	global_load_ushort v3, v[0:1], off
	s_mov_b64 s[30:31], 0
	s_mov_b64 s[36:37], -1
	s_branch .LBB208_853
.LBB208_849:
	s_mov_b64 s[38:39], -1
                                        ; implicit-def: $vgpr3
	s_branch .LBB208_854
.LBB208_850:
	s_or_saveexec_b64 s[36:37], s[36:37]
	v_mov_b32_e32 v3, 0x7f800001
	s_xor_b64 exec, exec, s[36:37]
	s_cbranch_execz .LBB208_831
.LBB208_851:
	v_cmp_ne_u16_e32 vcc, 0, v2
	s_andn2_b64 s[34:35], s[34:35], exec
	s_and_b64 s[38:39], vcc, exec
	v_mov_b32_e32 v3, 0
	s_or_b64 s[34:35], s[34:35], s[38:39]
	s_or_b64 exec, exec, s[36:37]
	s_and_saveexec_b64 s[36:37], s[34:35]
	s_cbranch_execnz .LBB208_832
	s_branch .LBB208_833
.LBB208_852:
	s_mov_b64 s[30:31], -1
                                        ; implicit-def: $vgpr3
.LBB208_853:
	s_mov_b64 s[38:39], 0
.LBB208_854:
	s_and_b64 vcc, exec, s[38:39]
	s_cbranch_vccz .LBB208_856
; %bb.855:
	s_cmp_lg_u32 s43, 11
	s_cselect_b64 s[38:39], -1, 0
	s_andn2_b64 s[30:31], s[30:31], exec
	s_and_b64 s[38:39], s[38:39], exec
	s_mov_b64 s[34:35], -1
	s_or_b64 s[30:31], s[30:31], s[38:39]
.LBB208_856:
	s_mov_b64 s[38:39], 0
.LBB208_857:
	s_and_b64 s[40:41], s[38:39], exec
	s_andn2_b64 s[38:39], s[0:1], exec
	s_and_b64 s[30:31], s[30:31], exec
	s_and_b64 s[36:37], s[36:37], exec
	;; [unrolled: 1-line block ×3, first 2 shown]
	s_or_b64 s[38:39], s[38:39], s[30:31]
.LBB208_858:
	s_or_b64 exec, exec, s[26:27]
	s_and_b64 s[30:31], s[34:35], exec
	s_andn2_b64 s[0:1], s[0:1], exec
	s_and_b64 s[34:35], s[38:39], exec
	s_and_b64 s[36:37], s[36:37], exec
	;; [unrolled: 1-line block ×3, first 2 shown]
	s_or_b64 s[0:1], s[0:1], s[34:35]
.LBB208_859:
	s_or_b64 exec, exec, s[24:25]
	s_andn2_b64 s[20:21], s[20:21], exec
	s_and_b64 s[24:25], s[28:29], exec
	s_andn2_b64 s[18:19], s[18:19], exec
	s_and_b64 s[0:1], s[0:1], exec
	s_or_b64 s[20:21], s[20:21], s[24:25]
	s_and_b64 s[28:29], s[36:37], exec
	s_and_b64 s[26:27], s[26:27], exec
	;; [unrolled: 1-line block ×3, first 2 shown]
	s_or_b64 s[18:19], s[18:19], s[0:1]
.LBB208_860:
	s_or_b64 exec, exec, s[22:23]
	s_andn2_b64 s[0:1], s[12:13], exec
	s_and_b64 s[12:13], s[20:21], exec
	s_andn2_b64 s[14:15], s[14:15], exec
	s_and_b64 s[18:19], s[18:19], exec
	s_or_b64 s[12:13], s[0:1], s[12:13]
	s_and_b64 s[0:1], s[28:29], exec
	s_and_b64 s[22:23], s[26:27], exec
	;; [unrolled: 1-line block ×3, first 2 shown]
	s_or_b64 s[14:15], s[14:15], s[18:19]
	s_or_b64 exec, exec, s[16:17]
	s_mov_b64 s[16:17], 0
	s_and_saveexec_b64 s[18:19], s[14:15]
	s_cbranch_execz .LBB208_262
.LBB208_861:
	s_mov_b64 s[16:17], exec
	s_andn2_b64 s[20:21], s[20:21], exec
	s_trap 2
	s_or_b64 exec, exec, s[18:19]
	s_and_saveexec_b64 s[14:15], s[20:21]
	s_xor_b64 s[14:15], exec, s[14:15]
	s_cbranch_execnz .LBB208_263
.LBB208_862:
	s_or_b64 exec, exec, s[14:15]
	s_and_saveexec_b64 s[14:15], s[22:23]
	s_cbranch_execz .LBB208_908
.LBB208_863:
	s_sext_i32_i16 s18, s42
	s_cmp_lt_i32 s18, 5
	s_cbranch_scc1 .LBB208_868
; %bb.864:
	s_cmp_lt_i32 s18, 8
	s_cbranch_scc1 .LBB208_869
; %bb.865:
	;; [unrolled: 3-line block ×3, first 2 shown]
	s_cmp_gt_i32 s18, 9
	s_cbranch_scc0 .LBB208_871
; %bb.867:
	global_load_dwordx2 v[2:3], v[0:1], off
	s_movk_i32 s18, 0x7fff
	v_mov_b32_e32 v5, 0x7fc0
	s_waitcnt vmcnt(0)
	v_cvt_f32_f64_e32 v2, v[2:3]
	v_bfe_u32 v3, v2, 16, 1
	v_cmp_o_f32_e32 vcc, v2, v2
	v_add3_u32 v2, v2, v3, s18
	s_mov_b64 s[18:19], 0
	v_cndmask_b32_sdwa v3, v5, v2, vcc dst_sel:DWORD dst_unused:UNUSED_PAD src0_sel:DWORD src1_sel:WORD_1
	s_branch .LBB208_872
.LBB208_868:
                                        ; implicit-def: $vgpr3
	s_branch .LBB208_889
.LBB208_869:
                                        ; implicit-def: $vgpr3
	s_branch .LBB208_878
.LBB208_870:
	s_mov_b64 s[18:19], -1
                                        ; implicit-def: $vgpr3
	s_branch .LBB208_875
.LBB208_871:
	s_mov_b64 s[18:19], -1
                                        ; implicit-def: $vgpr3
.LBB208_872:
	s_andn2_b64 vcc, exec, s[18:19]
	s_cbranch_vccnz .LBB208_874
; %bb.873:
	global_load_dword v2, v[0:1], off
	s_movk_i32 s18, 0x7fff
	s_waitcnt vmcnt(1)
	v_mov_b32_e32 v3, 0x7fc0
	s_waitcnt vmcnt(0)
	v_bfe_u32 v5, v2, 16, 1
	v_cmp_o_f32_e32 vcc, v2, v2
	v_add3_u32 v2, v2, v5, s18
	s_nop 0
	v_cndmask_b32_sdwa v3, v3, v2, vcc dst_sel:DWORD dst_unused:UNUSED_PAD src0_sel:DWORD src1_sel:WORD_1
.LBB208_874:
	s_mov_b64 s[18:19], 0
.LBB208_875:
	s_andn2_b64 vcc, exec, s[18:19]
	s_cbranch_vccnz .LBB208_877
; %bb.876:
	global_load_dword v2, v[0:1], off
	s_movk_i32 s18, 0x7fff
	v_mov_b32_e32 v5, 0x7fc0
	s_waitcnt vmcnt(0)
	v_cvt_f32_f16_e32 v3, v2
	v_cmp_o_f16_e32 vcc, v2, v2
	v_bfe_u32 v2, v3, 16, 1
	v_add3_u32 v2, v3, v2, s18
	v_cndmask_b32_sdwa v3, v5, v2, vcc dst_sel:DWORD dst_unused:UNUSED_PAD src0_sel:DWORD src1_sel:WORD_1
.LBB208_877:
	s_cbranch_execnz .LBB208_888
.LBB208_878:
	s_sext_i32_i16 s18, s42
	s_cmp_lt_i32 s18, 6
	s_cbranch_scc1 .LBB208_881
; %bb.879:
	s_cmp_gt_i32 s18, 6
	s_cbranch_scc0 .LBB208_882
; %bb.880:
	global_load_dwordx2 v[2:3], v[0:1], off
	s_movk_i32 s18, 0x7fff
	v_mov_b32_e32 v5, 0x7fc0
	s_waitcnt vmcnt(0)
	v_cvt_f32_f64_e32 v2, v[2:3]
	v_bfe_u32 v3, v2, 16, 1
	v_cmp_o_f32_e32 vcc, v2, v2
	v_add3_u32 v2, v2, v3, s18
	s_mov_b64 s[18:19], 0
	v_cndmask_b32_sdwa v3, v5, v2, vcc dst_sel:DWORD dst_unused:UNUSED_PAD src0_sel:DWORD src1_sel:WORD_1
	s_branch .LBB208_883
.LBB208_881:
	s_mov_b64 s[18:19], -1
                                        ; implicit-def: $vgpr3
	s_branch .LBB208_886
.LBB208_882:
	s_mov_b64 s[18:19], -1
                                        ; implicit-def: $vgpr3
.LBB208_883:
	s_andn2_b64 vcc, exec, s[18:19]
	s_cbranch_vccnz .LBB208_885
; %bb.884:
	global_load_dword v2, v[0:1], off
	s_movk_i32 s18, 0x7fff
	s_waitcnt vmcnt(1)
	v_mov_b32_e32 v3, 0x7fc0
	s_waitcnt vmcnt(0)
	v_bfe_u32 v5, v2, 16, 1
	v_cmp_o_f32_e32 vcc, v2, v2
	v_add3_u32 v2, v2, v5, s18
	s_nop 0
	v_cndmask_b32_sdwa v3, v3, v2, vcc dst_sel:DWORD dst_unused:UNUSED_PAD src0_sel:DWORD src1_sel:WORD_1
.LBB208_885:
	s_mov_b64 s[18:19], 0
.LBB208_886:
	s_andn2_b64 vcc, exec, s[18:19]
	s_cbranch_vccnz .LBB208_888
; %bb.887:
	global_load_ushort v2, v[0:1], off
	s_movk_i32 s18, 0x7fff
	v_mov_b32_e32 v5, 0x7fc0
	s_waitcnt vmcnt(0)
	v_cvt_f32_f16_e32 v3, v2
	v_cmp_o_f16_e32 vcc, v2, v2
	v_bfe_u32 v2, v3, 16, 1
	v_add3_u32 v2, v3, v2, s18
	v_cndmask_b32_sdwa v3, v5, v2, vcc dst_sel:DWORD dst_unused:UNUSED_PAD src0_sel:DWORD src1_sel:WORD_1
.LBB208_888:
	s_cbranch_execnz .LBB208_907
.LBB208_889:
	s_sext_i32_i16 s18, s42
	s_cmp_lt_i32 s18, 2
	s_cbranch_scc1 .LBB208_893
; %bb.890:
	s_cmp_lt_i32 s18, 3
	s_cbranch_scc1 .LBB208_894
; %bb.891:
	s_cmp_gt_i32 s18, 3
	s_cbranch_scc0 .LBB208_895
; %bb.892:
	global_load_dwordx2 v[2:3], v[0:1], off
	s_movk_i32 s18, 0x7fff
	s_waitcnt vmcnt(0)
	v_xor_b32_e32 v6, v2, v3
	v_ffbh_i32_e32 v5, v3
	v_ashrrev_i32_e32 v6, 31, v6
	v_add_u32_e32 v5, -1, v5
	v_add_u32_e32 v6, 32, v6
	v_min_u32_e32 v5, v5, v6
	v_lshlrev_b64 v[2:3], v5, v[2:3]
	v_min_u32_e32 v2, 1, v2
	v_or_b32_e32 v2, v3, v2
	v_cvt_f32_i32_e32 v2, v2
	v_sub_u32_e32 v3, 32, v5
	v_ldexp_f32 v2, v2, v3
	v_bfe_u32 v3, v2, 16, 1
	v_add3_u32 v2, v2, v3, s18
	v_lshrrev_b32_e32 v3, 16, v2
	s_mov_b64 s[18:19], 0
	s_branch .LBB208_896
.LBB208_893:
                                        ; implicit-def: $vgpr3
	s_branch .LBB208_902
.LBB208_894:
	s_mov_b64 s[18:19], -1
                                        ; implicit-def: $vgpr3
	s_branch .LBB208_899
.LBB208_895:
	s_mov_b64 s[18:19], -1
                                        ; implicit-def: $vgpr3
.LBB208_896:
	s_andn2_b64 vcc, exec, s[18:19]
	s_cbranch_vccnz .LBB208_898
; %bb.897:
	global_load_dword v2, v[0:1], off
	s_movk_i32 s18, 0x7fff
	s_waitcnt vmcnt(0)
	v_cvt_f32_i32_e32 v2, v2
	v_bfe_u32 v3, v2, 16, 1
	v_add3_u32 v2, v2, v3, s18
	v_lshrrev_b32_e32 v3, 16, v2
.LBB208_898:
	s_mov_b64 s[18:19], 0
.LBB208_899:
	s_andn2_b64 vcc, exec, s[18:19]
	s_cbranch_vccnz .LBB208_901
; %bb.900:
	global_load_sshort v2, v[0:1], off
	s_movk_i32 s18, 0x7fff
	s_waitcnt vmcnt(0)
	v_cvt_f32_i32_e32 v2, v2
	v_bfe_u32 v3, v2, 16, 1
	v_add3_u32 v2, v2, v3, s18
	v_lshrrev_b32_e32 v3, 16, v2
.LBB208_901:
	s_cbranch_execnz .LBB208_907
.LBB208_902:
	s_sext_i32_i16 s18, s42
	s_cmp_gt_i32 s18, 0
	s_cbranch_scc0 .LBB208_904
; %bb.903:
	global_load_sbyte v2, v[0:1], off
	s_movk_i32 s18, 0x7fff
	s_waitcnt vmcnt(0)
	v_cvt_f32_i32_e32 v2, v2
	v_bfe_u32 v3, v2, 16, 1
	v_add3_u32 v2, v2, v3, s18
	v_lshrrev_b32_e32 v3, 16, v2
	s_mov_b64 s[18:19], 0
	s_branch .LBB208_905
.LBB208_904:
	s_mov_b64 s[18:19], -1
                                        ; implicit-def: $vgpr3
.LBB208_905:
	s_andn2_b64 vcc, exec, s[18:19]
	s_cbranch_vccnz .LBB208_907
; %bb.906:
	global_load_ubyte v0, v[0:1], off
	s_movk_i32 s18, 0x7fff
	s_waitcnt vmcnt(0)
	v_cvt_f32_ubyte0_e32 v0, v0
	v_bfe_u32 v1, v0, 16, 1
	v_add3_u32 v0, v0, v1, s18
	v_lshrrev_b32_e32 v3, 16, v0
.LBB208_907:
	s_or_b64 s[0:1], s[0:1], exec
.LBB208_908:
	s_or_b64 exec, exec, s[14:15]
	s_mov_b64 s[20:21], 0
	s_mov_b64 s[18:19], 0
                                        ; implicit-def: $sgpr26
                                        ; implicit-def: $vgpr0_vgpr1
                                        ; implicit-def: $vgpr2
	s_and_saveexec_b64 s[14:15], s[0:1]
	s_cbranch_execz .LBB208_926
; %bb.909:
	s_waitcnt vmcnt(0)
	v_lshlrev_b32_e32 v0, 16, v3
	v_cvt_f64_f32_e32 v[0:1], v0
	v_rsq_f64_e32 v[2:3], v[0:1]
	s_mov_b32 s0, 0
	s_mov_b32 s1, 0x3fd80000
	v_mov_b32_e32 v5, 0x180
	v_mul_f64 v[0:1], v[2:3], -v[0:1]
	v_fma_f64 v[0:1], v[0:1], v[2:3], 1.0
	v_mul_f64 v[6:7], v[2:3], v[0:1]
	v_fma_f64 v[0:1], v[0:1], s[0:1], 0.5
	v_fma_f64 v[0:1], v[6:7], v[0:1], v[2:3]
	v_cmp_class_f64_e32 vcc, v[2:3], v5
	s_movk_i32 s0, 0x7fff
	s_and_b32 s26, s33, 0xff
	v_cndmask_b32_e32 v1, v3, v1, vcc
	v_cndmask_b32_e32 v0, v2, v0, vcc
	v_cvt_f32_f64_e32 v0, v[0:1]
	v_bfe_u32 v1, v0, 16, 1
	v_add3_u32 v1, v0, v1, s0
	v_cmp_o_f32_e32 vcc, v0, v0
	v_mov_b32_e32 v0, 0x7fc0
	s_cmp_lt_i32 s26, 11
	v_cndmask_b32_sdwa v2, v0, v1, vcc dst_sel:DWORD dst_unused:UNUSED_PAD src0_sel:DWORD src1_sel:WORD_1
	v_mul_lo_u32 v0, v4, s8
	v_ashrrev_i32_e32 v1, 31, v0
	v_lshl_add_u64 v[0:1], s[4:5], 0, v[0:1]
	s_cbranch_scc1 .LBB208_929
; %bb.910:
	s_and_b32 s27, 0xffff, s26
	s_mov_b64 s[20:21], -1
	s_cmp_gt_i32 s27, 25
	s_mov_b64 s[0:1], s[12:13]
	s_cbranch_scc0 .LBB208_947
; %bb.911:
	s_mov_b64 s[18:19], -1
	s_cmp_gt_i32 s27, 28
	s_mov_b64 s[0:1], s[12:13]
	s_cbranch_scc0 .LBB208_931
; %bb.912:
	s_cmp_gt_i32 s27, 43
	s_mov_b64 s[0:1], s[12:13]
	s_cbranch_scc0 .LBB208_923
; %bb.913:
	;; [unrolled: 4-line block ×3, first 2 shown]
	s_cmp_eq_u32 s27, 46
	s_mov_b64 s[0:1], -1
	s_cbranch_scc0 .LBB208_916
; %bb.915:
	v_and_b32_e32 v3, 0xffff, v2
	global_store_dword v[0:1], v3, off
	s_mov_b64 s[0:1], 0
.LBB208_916:
	s_mov_b64 s[18:19], 0
.LBB208_917:
	s_and_b64 vcc, exec, s[18:19]
	s_cbranch_vccz .LBB208_922
; %bb.918:
	s_cmp_eq_u32 s27, 44
	s_mov_b64 s[0:1], -1
	s_cbranch_scc0 .LBB208_922
; %bb.919:
	v_and_b32_e32 v4, 0xffff, v2
	v_bfe_u32 v3, v4, 7, 8
	s_movk_i32 s0, 0xff
	v_cmp_ne_u32_e32 vcc, s0, v3
	v_mov_b32_e32 v5, 0xff
	s_and_saveexec_b64 s[18:19], vcc
	s_cbranch_execz .LBB208_921
; %bb.920:
	v_lshlrev_b32_e32 v6, 16, v4
	s_mov_b32 s0, 0x3f0000
	v_lshrrev_b32_e32 v5, 7, v4
	v_and_b32_e32 v4, 64, v4
	v_and_or_b32 v3, v6, s0, v3
	v_cmp_ne_u32_e32 vcc, 0, v4
	v_cmp_ne_u32_e64 s[0:1], 0, v3
	s_and_b64 s[0:1], vcc, s[0:1]
	s_nop 0
	v_cndmask_b32_e64 v3, 0, 1, s[0:1]
	v_add_u32_e32 v5, v5, v3
.LBB208_921:
	s_or_b64 exec, exec, s[18:19]
	s_mov_b64 s[0:1], 0
	global_store_byte v[0:1], v5, off
.LBB208_922:
	s_mov_b64 s[18:19], 0
.LBB208_923:
	s_and_b64 vcc, exec, s[18:19]
	s_cbranch_vccz .LBB208_930
; %bb.924:
	s_cmp_eq_u32 s27, 29
	s_mov_b64 s[0:1], -1
	s_cbranch_scc0 .LBB208_930
; %bb.925:
	v_lshlrev_b32_e32 v3, 16, v2
	v_trunc_f32_e32 v3, v3
	v_mul_f32_e32 v4, 0x2f800000, v3
	v_floor_f32_e32 v4, v4
	v_fmamk_f32 v3, v4, 0xcf800000, v3
	v_cvt_u32_f32_e32 v5, v4
	v_cvt_u32_f32_e32 v4, v3
	s_mov_b64 s[0:1], 0
	s_mov_b64 s[18:19], 0
	global_store_dwordx2 v[0:1], v[4:5], off
	s_branch .LBB208_931
.LBB208_926:
	s_or_b64 exec, exec, s[14:15]
	s_and_saveexec_b64 s[0:1], s[12:13]
	s_cbranch_execnz .LBB208_989
.LBB208_927:
	s_or_b64 exec, exec, s[0:1]
	s_and_saveexec_b64 s[0:1], s[20:21]
	s_xor_b64 s[0:1], exec, s[0:1]
	s_cbranch_execz .LBB208_990
.LBB208_928:
	s_waitcnt vmcnt(0)
	v_and_b32_e32 v3, 0x7fff, v2
	v_cmp_ne_u16_e32 vcc, 0, v3
	s_nop 1
	v_cndmask_b32_e64 v3, 0, 1, vcc
	global_store_byte v[0:1], v3, off
	s_or_b64 exec, exec, s[0:1]
	s_and_saveexec_b64 s[0:1], s[18:19]
	s_xor_b64 s[0:1], exec, s[0:1]
	s_cbranch_execz .LBB208_1028
	s_branch .LBB208_991
.LBB208_929:
	s_mov_b64 s[18:19], -1
	s_mov_b64 s[0:1], s[12:13]
	s_branch .LBB208_988
.LBB208_930:
	s_mov_b64 s[18:19], 0
.LBB208_931:
	s_and_b64 vcc, exec, s[18:19]
	s_cbranch_vccz .LBB208_946
; %bb.932:
	s_cmp_lt_i32 s27, 27
	s_mov_b64 s[18:19], -1
	s_cbranch_scc1 .LBB208_938
; %bb.933:
	s_cmp_gt_i32 s27, 27
	s_cbranch_scc0 .LBB208_935
; %bb.934:
	v_lshlrev_b32_e32 v3, 16, v2
	v_cvt_u32_f32_e32 v3, v3
	s_mov_b64 s[18:19], 0
	global_store_dword v[0:1], v3, off
.LBB208_935:
	s_andn2_b64 vcc, exec, s[18:19]
	s_cbranch_vccnz .LBB208_937
; %bb.936:
	v_lshlrev_b32_e32 v3, 16, v2
	v_cvt_u32_f32_e32 v3, v3
	global_store_short v[0:1], v3, off
.LBB208_937:
	s_mov_b64 s[18:19], 0
.LBB208_938:
	s_andn2_b64 vcc, exec, s[18:19]
	s_cbranch_vccnz .LBB208_946
; %bb.939:
	v_lshlrev_b32_e32 v5, 16, v2
	v_and_b32_e32 v4, 0x7fffffff, v5
	s_mov_b32 s18, 0x43800000
	v_cmp_gt_u32_e32 vcc, s18, v4
	v_mov_b32_e32 v6, 0x80
	s_and_saveexec_b64 s[18:19], vcc
	s_cbranch_execz .LBB208_945
; %bb.940:
	s_mov_b32 s20, 0x3bffffff
	v_and_b32_e32 v3, 0xffff, v2
	v_cmp_lt_u32_e32 vcc, s20, v4
	s_mov_b64 s[20:21], 0
                                        ; implicit-def: $vgpr4
	s_and_saveexec_b64 s[22:23], vcc
	s_xor_b64 s[22:23], exec, s[22:23]
	s_cbranch_execz .LBB208_1043
; %bb.941:
	v_bfe_u32 v4, v3, 4, 1
	s_mov_b32 s24, 0x487ffff
	v_add3_u32 v4, v5, v4, s24
	s_mov_b64 s[20:21], exec
	v_lshrrev_b32_e32 v4, 20, v4
                                        ; implicit-def: $vgpr5
	s_andn2_saveexec_b64 s[22:23], s[22:23]
	s_cbranch_execnz .LBB208_1044
.LBB208_942:
	s_or_b64 exec, exec, s[22:23]
	v_mov_b32_e32 v6, 0
	s_and_saveexec_b64 s[22:23], s[20:21]
.LBB208_943:
	v_lshrrev_b32_e32 v3, 8, v3
	s_movk_i32 s20, 0x80
	v_and_or_b32 v6, v3, s20, v4
.LBB208_944:
	s_or_b64 exec, exec, s[22:23]
.LBB208_945:
	s_or_b64 exec, exec, s[18:19]
	global_store_byte v[0:1], v6, off
.LBB208_946:
	s_mov_b64 s[20:21], 0
.LBB208_947:
	s_mov_b64 s[18:19], 0
	s_and_b64 vcc, exec, s[20:21]
	s_cbranch_vccz .LBB208_987
; %bb.948:
	s_cmp_gt_i32 s27, 22
	s_mov_b64 s[20:21], -1
	s_cbranch_scc0 .LBB208_980
; %bb.949:
	s_cmp_lt_i32 s27, 24
	s_cbranch_scc1 .LBB208_969
; %bb.950:
	s_cmp_gt_i32 s27, 24
	s_cbranch_scc0 .LBB208_958
; %bb.951:
	v_lshlrev_b32_e32 v5, 16, v2
	v_and_b32_e32 v4, 0x7fffffff, v5
	s_mov_b32 s20, 0x47800000
	v_cmp_gt_u32_e32 vcc, s20, v4
	v_mov_b32_e32 v6, 0x80
	s_and_saveexec_b64 s[20:21], vcc
	s_cbranch_execz .LBB208_957
; %bb.952:
	s_mov_b32 s22, 0x37ffffff
	v_and_b32_e32 v3, 0xffff, v2
	v_cmp_lt_u32_e32 vcc, s22, v4
	s_mov_b64 s[22:23], 0
                                        ; implicit-def: $vgpr4
	s_and_saveexec_b64 s[24:25], vcc
	s_xor_b64 s[24:25], exec, s[24:25]
	s_cbranch_execz .LBB208_1167
; %bb.953:
	v_bfe_u32 v4, v3, 5, 1
	s_mov_b32 s28, 0x88fffff
	v_add3_u32 v4, v5, v4, s28
	s_mov_b64 s[22:23], exec
	v_lshrrev_b32_e32 v4, 21, v4
                                        ; implicit-def: $vgpr5
	s_andn2_saveexec_b64 s[24:25], s[24:25]
	s_cbranch_execnz .LBB208_1168
.LBB208_954:
	s_or_b64 exec, exec, s[24:25]
	v_mov_b32_e32 v6, 0
	s_and_saveexec_b64 s[24:25], s[22:23]
.LBB208_955:
	v_lshrrev_b32_e32 v3, 8, v3
	s_movk_i32 s22, 0x80
	v_and_or_b32 v6, v3, s22, v4
.LBB208_956:
	s_or_b64 exec, exec, s[24:25]
.LBB208_957:
	s_or_b64 exec, exec, s[20:21]
	s_mov_b64 s[20:21], 0
	global_store_byte v[0:1], v6, off
.LBB208_958:
	s_and_b64 vcc, exec, s[20:21]
	s_cbranch_vccz .LBB208_968
; %bb.959:
	v_lshlrev_b32_e32 v5, 16, v2
	v_and_b32_e32 v6, 0x7fffffff, v5
	s_mov_b32 s20, 0x43f00000
	v_and_b32_e32 v3, 0xffff, v2
	v_cmp_gt_u32_e32 vcc, s20, v6
                                        ; implicit-def: $vgpr4
	s_and_saveexec_b64 s[20:21], vcc
	s_xor_b64 s[20:21], exec, s[20:21]
	s_cbranch_execz .LBB208_965
; %bb.960:
	s_mov_b32 s22, 0x3c7fffff
	v_cmp_lt_u32_e32 vcc, s22, v6
                                        ; implicit-def: $vgpr4
	s_and_saveexec_b64 s[22:23], vcc
	s_xor_b64 s[22:23], exec, s[22:23]
; %bb.961:
	v_bfe_u32 v4, v3, 4, 1
	s_mov_b32 s24, 0x407ffff
	v_add3_u32 v4, v5, v4, s24
	v_lshrrev_b32_e32 v5, 20, v4
	v_and_b32_e32 v4, 0xff00000, v4
	s_mov_b32 s24, 0x7f00000
	v_mov_b32_e32 v6, 0x7e
	v_cmp_ne_u32_e32 vcc, s24, v4
	s_nop 1
	v_cndmask_b32_e32 v4, v6, v5, vcc
                                        ; implicit-def: $vgpr5
; %bb.962:
	s_andn2_saveexec_b64 s[22:23], s[22:23]
; %bb.963:
	s_mov_b32 s24, 0x46800000
	v_add_f32_e64 v4, |v5|, s24
; %bb.964:
	s_or_b64 exec, exec, s[22:23]
                                        ; implicit-def: $vgpr6
.LBB208_965:
	s_andn2_saveexec_b64 s[20:21], s[20:21]
; %bb.966:
	s_mov_b32 s22, 0x7f800000
	v_mov_b32_e32 v4, 0x7e
	v_mov_b32_e32 v5, 0x7f
	v_cmp_lt_u32_e32 vcc, s22, v6
	s_nop 1
	v_cndmask_b32_e32 v4, v4, v5, vcc
; %bb.967:
	s_or_b64 exec, exec, s[20:21]
	v_lshrrev_b32_e32 v3, 8, v3
	s_movk_i32 s20, 0x80
	v_and_or_b32 v3, v3, s20, v4
	global_store_byte v[0:1], v3, off
.LBB208_968:
	s_mov_b64 s[20:21], 0
.LBB208_969:
	s_andn2_b64 vcc, exec, s[20:21]
	s_cbranch_vccnz .LBB208_979
; %bb.970:
	v_lshlrev_b32_e32 v5, 16, v2
	v_and_b32_e32 v6, 0x7fffffff, v5
	s_mov_b32 s20, 0x47800000
	v_and_b32_e32 v3, 0xffff, v2
	v_cmp_gt_u32_e32 vcc, s20, v6
                                        ; implicit-def: $vgpr4
	s_and_saveexec_b64 s[20:21], vcc
	s_xor_b64 s[20:21], exec, s[20:21]
	s_cbranch_execz .LBB208_976
; %bb.971:
	s_mov_b32 s22, 0x387fffff
	v_cmp_lt_u32_e32 vcc, s22, v6
                                        ; implicit-def: $vgpr4
	s_and_saveexec_b64 s[22:23], vcc
	s_xor_b64 s[22:23], exec, s[22:23]
; %bb.972:
	v_bfe_u32 v4, v3, 5, 1
	s_mov_b32 s24, 0x80fffff
	v_add3_u32 v4, v5, v4, s24
	v_lshrrev_b32_e32 v4, 21, v4
                                        ; implicit-def: $vgpr5
; %bb.973:
	s_andn2_saveexec_b64 s[22:23], s[22:23]
; %bb.974:
	s_mov_b32 s24, 0x43000000
	v_add_f32_e64 v4, |v5|, s24
; %bb.975:
	s_or_b64 exec, exec, s[22:23]
                                        ; implicit-def: $vgpr6
.LBB208_976:
	s_andn2_saveexec_b64 s[20:21], s[20:21]
; %bb.977:
	s_mov_b32 s22, 0x7f800000
	v_mov_b32_e32 v4, 0x7c
	v_mov_b32_e32 v5, 0x7f
	v_cmp_lt_u32_e32 vcc, s22, v6
	s_nop 1
	v_cndmask_b32_e32 v4, v4, v5, vcc
; %bb.978:
	s_or_b64 exec, exec, s[20:21]
	v_lshrrev_b32_e32 v3, 8, v3
	s_movk_i32 s20, 0x80
	v_and_or_b32 v3, v3, s20, v4
	global_store_byte v[0:1], v3, off
.LBB208_979:
	s_mov_b64 s[20:21], 0
.LBB208_980:
	s_andn2_b64 vcc, exec, s[20:21]
	s_mov_b64 s[20:21], 0
	s_cbranch_vccnz .LBB208_988
; %bb.981:
	s_cmp_gt_i32 s27, 14
	s_mov_b64 s[22:23], -1
	s_cbranch_scc0 .LBB208_985
; %bb.982:
	s_cmp_eq_u32 s27, 15
	s_mov_b64 s[0:1], -1
	s_cbranch_scc0 .LBB208_984
; %bb.983:
	global_store_short v[0:1], v2, off
	s_mov_b64 s[0:1], 0
.LBB208_984:
	s_mov_b64 s[22:23], 0
.LBB208_985:
	s_and_b64 vcc, exec, s[22:23]
	s_cbranch_vccz .LBB208_988
; %bb.986:
	s_cmp_lg_u32 s27, 11
	s_cselect_b64 s[22:23], -1, 0
	s_andn2_b64 s[0:1], s[0:1], exec
	s_and_b64 s[22:23], s[22:23], exec
	s_mov_b64 s[20:21], -1
	s_or_b64 s[0:1], s[0:1], s[22:23]
	s_branch .LBB208_988
.LBB208_987:
	s_mov_b64 s[20:21], 0
.LBB208_988:
	s_andn2_b64 s[12:13], s[12:13], exec
	s_and_b64 s[0:1], s[0:1], exec
	s_and_b64 s[18:19], s[18:19], exec
	;; [unrolled: 1-line block ×3, first 2 shown]
	s_or_b64 s[12:13], s[12:13], s[0:1]
	s_or_b64 exec, exec, s[14:15]
	s_and_saveexec_b64 s[0:1], s[12:13]
	s_cbranch_execz .LBB208_927
.LBB208_989:
	s_or_b64 s[16:17], s[16:17], exec
	s_andn2_b64 s[20:21], s[20:21], exec
	s_trap 2
	s_or_b64 exec, exec, s[0:1]
	s_and_saveexec_b64 s[0:1], s[20:21]
	s_xor_b64 s[0:1], exec, s[0:1]
	s_cbranch_execnz .LBB208_928
.LBB208_990:
	s_or_b64 exec, exec, s[0:1]
	s_and_saveexec_b64 s[0:1], s[18:19]
	s_xor_b64 s[0:1], exec, s[0:1]
	s_cbranch_execz .LBB208_1028
.LBB208_991:
	s_sext_i32_i16 s14, s26
	s_cmp_lt_i32 s14, 5
	s_mov_b64 s[12:13], -1
	s_cbranch_scc1 .LBB208_1012
; %bb.992:
	s_cmp_lt_i32 s14, 8
	s_cbranch_scc1 .LBB208_1002
; %bb.993:
	s_cmp_lt_i32 s14, 9
	s_cbranch_scc1 .LBB208_999
; %bb.994:
	s_cmp_gt_i32 s14, 9
	s_cbranch_scc0 .LBB208_996
; %bb.995:
	s_waitcnt vmcnt(0)
	v_lshlrev_b32_e32 v3, 16, v2
	v_mov_b32_e32 v6, 0
	v_cvt_f64_f32_e32 v[4:5], v3
	v_mov_b32_e32 v7, v6
	s_mov_b64 s[12:13], 0
	global_store_dwordx4 v[0:1], v[4:7], off
.LBB208_996:
	s_andn2_b64 vcc, exec, s[12:13]
	s_cbranch_vccnz .LBB208_998
; %bb.997:
	s_waitcnt vmcnt(0)
	v_lshlrev_b32_e32 v4, 16, v2
	v_mov_b32_e32 v5, 0
	global_store_dwordx2 v[0:1], v[4:5], off
.LBB208_998:
	s_mov_b64 s[12:13], 0
.LBB208_999:
	s_andn2_b64 vcc, exec, s[12:13]
	s_cbranch_vccnz .LBB208_1001
; %bb.1000:
	s_waitcnt vmcnt(0)
	v_lshlrev_b32_e32 v3, 16, v2
	v_cvt_f16_f32_e32 v3, v3
	global_store_dword v[0:1], v3, off
.LBB208_1001:
	s_mov_b64 s[12:13], 0
.LBB208_1002:
	s_andn2_b64 vcc, exec, s[12:13]
	s_cbranch_vccnz .LBB208_1011
; %bb.1003:
	s_sext_i32_i16 s14, s26
	s_cmp_lt_i32 s14, 6
	s_mov_b64 s[12:13], -1
	s_cbranch_scc1 .LBB208_1009
; %bb.1004:
	s_cmp_gt_i32 s14, 6
	s_cbranch_scc0 .LBB208_1006
; %bb.1005:
	s_waitcnt vmcnt(0)
	v_lshlrev_b32_e32 v3, 16, v2
	v_cvt_f64_f32_e32 v[4:5], v3
	s_mov_b64 s[12:13], 0
	global_store_dwordx2 v[0:1], v[4:5], off
.LBB208_1006:
	s_andn2_b64 vcc, exec, s[12:13]
	s_cbranch_vccnz .LBB208_1008
; %bb.1007:
	s_waitcnt vmcnt(0)
	v_lshlrev_b32_e32 v3, 16, v2
	global_store_dword v[0:1], v3, off
.LBB208_1008:
	s_mov_b64 s[12:13], 0
.LBB208_1009:
	s_andn2_b64 vcc, exec, s[12:13]
	s_cbranch_vccnz .LBB208_1011
; %bb.1010:
	s_waitcnt vmcnt(0)
	v_lshlrev_b32_e32 v3, 16, v2
	v_cvt_f16_f32_e32 v3, v3
	global_store_short v[0:1], v3, off
.LBB208_1011:
	s_mov_b64 s[12:13], 0
.LBB208_1012:
	s_andn2_b64 vcc, exec, s[12:13]
	s_cbranch_vccnz .LBB208_1028
; %bb.1013:
	s_sext_i32_i16 s14, s26
	s_cmp_lt_i32 s14, 2
	s_mov_b64 s[12:13], -1
	s_cbranch_scc1 .LBB208_1023
; %bb.1014:
	s_cmp_lt_i32 s14, 3
	s_cbranch_scc1 .LBB208_1020
; %bb.1015:
	s_cmp_gt_i32 s14, 3
	s_cbranch_scc0 .LBB208_1017
; %bb.1016:
	s_waitcnt vmcnt(0)
	v_lshlrev_b32_e32 v3, 16, v2
	v_trunc_f32_e32 v3, v3
	s_mov_b32 s12, 0x2f800000
	v_mul_f32_e64 v4, |v3|, s12
	v_floor_f32_e32 v4, v4
	s_mov_b32 s12, 0xcf800000
	v_cvt_u32_f32_e32 v5, v4
	v_fma_f32 v4, v4, s12, |v3|
	v_cvt_u32_f32_e32 v4, v4
	v_ashrrev_i32_e32 v3, 31, v3
	v_xor_b32_e32 v5, v5, v3
	s_mov_b64 s[12:13], 0
	v_xor_b32_e32 v4, v4, v3
	v_sub_co_u32_e32 v4, vcc, v4, v3
	s_nop 1
	v_subb_co_u32_e32 v5, vcc, v5, v3, vcc
	global_store_dwordx2 v[0:1], v[4:5], off
.LBB208_1017:
	s_andn2_b64 vcc, exec, s[12:13]
	s_cbranch_vccnz .LBB208_1019
; %bb.1018:
	s_waitcnt vmcnt(0)
	v_lshlrev_b32_e32 v3, 16, v2
	v_cvt_i32_f32_e32 v3, v3
	global_store_dword v[0:1], v3, off
.LBB208_1019:
	s_mov_b64 s[12:13], 0
.LBB208_1020:
	s_andn2_b64 vcc, exec, s[12:13]
	s_cbranch_vccnz .LBB208_1022
; %bb.1021:
	s_waitcnt vmcnt(0)
	v_lshlrev_b32_e32 v3, 16, v2
	v_cvt_i32_f32_e32 v3, v3
	global_store_short v[0:1], v3, off
.LBB208_1022:
	s_mov_b64 s[12:13], 0
.LBB208_1023:
	s_andn2_b64 vcc, exec, s[12:13]
	s_cbranch_vccnz .LBB208_1028
; %bb.1024:
	s_sext_i32_i16 s14, s26
	s_mov_b64 s[12:13], -1
	s_cmp_gt_i32 s14, 0
	s_waitcnt vmcnt(0)
	v_lshlrev_b32_e32 v2, 16, v2
	s_cbranch_scc0 .LBB208_1026
; %bb.1025:
	v_cvt_i32_f32_e32 v3, v2
	s_mov_b64 s[12:13], 0
	global_store_byte v[0:1], v3, off
.LBB208_1026:
	s_andn2_b64 vcc, exec, s[12:13]
	s_cbranch_vccnz .LBB208_1028
; %bb.1027:
	v_trunc_f32_e32 v2, v2
	s_mov_b32 s12, 0x2f800000
	v_mul_f32_e64 v3, |v2|, s12
	v_floor_f32_e32 v3, v3
	s_mov_b32 s12, 0xcf800000
	v_fma_f32 v3, v3, s12, |v2|
	v_cvt_u32_f32_e32 v3, v3
	v_ashrrev_i32_e32 v2, 31, v2
	v_xor_b32_e32 v3, v3, v2
	v_sub_u32_e32 v2, v3, v2
	global_store_byte v[0:1], v2, off
.LBB208_1028:
	s_or_b64 exec, exec, s[0:1]
	s_and_b64 s[12:13], s[16:17], exec
                                        ; implicit-def: $vgpr4
.LBB208_1029:
	s_or_saveexec_b64 s[2:3], s[2:3]
	s_mov_b64 s[0:1], 0
                                        ; implicit-def: $sgpr20
                                        ; implicit-def: $vgpr0_vgpr1
                                        ; implicit-def: $vgpr2
	s_xor_b64 exec, exec, s[2:3]
	s_cbranch_execz .LBB208_1976
; %bb.1030:
	v_mul_lo_u32 v0, s9, v4
	v_ashrrev_i32_e32 v1, 31, v0
	s_and_b32 s22, 0xffff, s42
	s_cmp_lt_i32 s22, 11
	s_waitcnt vmcnt(0)
	v_lshl_add_u64 v[2:3], s[6:7], 0, v[0:1]
	s_cbranch_scc1 .LBB208_1037
; %bb.1031:
	s_cmp_gt_i32 s22, 25
	s_cbranch_scc0 .LBB208_1039
; %bb.1032:
	s_cmp_gt_i32 s22, 28
	s_cbranch_scc0 .LBB208_1040
; %bb.1033:
	s_cmp_gt_i32 s22, 43
	s_cbranch_scc0 .LBB208_1041
; %bb.1034:
	s_cmp_gt_i32 s22, 45
	s_cbranch_scc0 .LBB208_1042
; %bb.1035:
	s_cmp_eq_u32 s22, 46
	s_mov_b64 s[14:15], 0
	s_cbranch_scc0 .LBB208_1045
; %bb.1036:
	global_load_dword v5, v[2:3], off
	s_mov_b64 s[16:17], -1
	s_branch .LBB208_1046
.LBB208_1037:
	s_mov_b64 s[16:17], 0
                                        ; implicit-def: $vgpr5
	s_mov_b64 s[14:15], s[12:13]
	s_cbranch_execnz .LBB208_1108
.LBB208_1038:
	s_andn2_b64 vcc, exec, s[16:17]
	s_cbranch_vccz .LBB208_1153
	s_branch .LBB208_1974
.LBB208_1039:
	s_mov_b64 s[16:17], 0
                                        ; implicit-def: $vgpr5
	s_cbranch_execnz .LBB208_1073
	s_branch .LBB208_1104
.LBB208_1040:
	s_mov_b64 s[16:17], 0
                                        ; implicit-def: $vgpr5
	s_cbranch_execz .LBB208_1072
	s_branch .LBB208_1055
.LBB208_1041:
	s_mov_b64 s[16:17], 0
                                        ; implicit-def: $vgpr5
	s_cbranch_execnz .LBB208_1051
	s_branch .LBB208_1054
.LBB208_1042:
	s_mov_b64 s[14:15], -1
	s_mov_b64 s[16:17], 0
                                        ; implicit-def: $vgpr5
	s_branch .LBB208_1046
.LBB208_1043:
	s_andn2_saveexec_b64 s[22:23], s[22:23]
	s_cbranch_execz .LBB208_942
.LBB208_1044:
	s_mov_b32 s24, 0x46000000
	v_add_f32_e64 v4, |v5|, s24
	v_and_b32_e32 v4, 0xff, v4
	v_cmp_ne_u32_e32 vcc, 0, v4
	s_andn2_b64 s[20:21], s[20:21], exec
	s_and_b64 s[24:25], vcc, exec
	s_or_b64 s[20:21], s[20:21], s[24:25]
	s_or_b64 exec, exec, s[22:23]
	v_mov_b32_e32 v6, 0
	s_and_saveexec_b64 s[22:23], s[20:21]
	s_cbranch_execnz .LBB208_943
	s_branch .LBB208_944
.LBB208_1045:
	s_mov_b64 s[0:1], -1
                                        ; implicit-def: $vgpr5
	s_mov_b64 s[16:17], 0
.LBB208_1046:
	s_and_b64 vcc, exec, s[14:15]
	s_cbranch_vccz .LBB208_1049
; %bb.1047:
	s_cmp_eq_u32 s22, 44
	s_cbranch_scc0 .LBB208_1050
; %bb.1048:
	global_load_ubyte v1, v[2:3], off
	s_movk_i32 s14, 0xff
	s_waitcnt vmcnt(1)
	v_mov_b32_e32 v5, 0x7f800001
	v_mov_b32_e32 v6, 0x400000
	;; [unrolled: 1-line block ×3, first 2 shown]
	s_mov_b64 s[0:1], 0
	s_mov_b64 s[16:17], -1
	s_waitcnt vmcnt(0)
	v_lshlrev_b32_e32 v8, 23, v1
	v_cmp_ne_u32_e32 vcc, s14, v1
	s_nop 1
	v_cndmask_b32_e32 v5, v5, v8, vcc
	v_cmp_ne_u32_e32 vcc, 0, v1
	s_nop 1
	v_cndmask_b32_e32 v1, v6, v5, vcc
	v_add_u32_e32 v5, 0x7fff, v1
	v_cmp_o_f32_e32 vcc, v1, v1
	s_nop 1
	v_cndmask_b32_sdwa v5, v7, v5, vcc dst_sel:DWORD dst_unused:UNUSED_PAD src0_sel:DWORD src1_sel:WORD_1
.LBB208_1049:
	s_branch .LBB208_1054
.LBB208_1050:
	s_mov_b64 s[0:1], -1
                                        ; implicit-def: $vgpr5
	s_branch .LBB208_1054
.LBB208_1051:
	s_cmp_eq_u32 s22, 29
	s_cbranch_scc0 .LBB208_1053
; %bb.1052:
	global_load_dwordx2 v[6:7], v[2:3], off
	s_movk_i32 s14, 0x7fff
	s_mov_b64 s[0:1], 0
	s_mov_b64 s[16:17], -1
	s_waitcnt vmcnt(0)
	v_ffbh_u32_e32 v1, v7
	v_min_u32_e32 v1, 32, v1
	v_lshlrev_b64 v[6:7], v1, v[6:7]
	v_min_u32_e32 v5, 1, v6
	v_or_b32_e32 v5, v7, v5
	v_cvt_f32_u32_e32 v5, v5
	v_sub_u32_e32 v1, 32, v1
	v_ldexp_f32 v1, v5, v1
	v_bfe_u32 v5, v1, 16, 1
	v_add3_u32 v1, v1, v5, s14
	v_lshrrev_b32_e32 v5, 16, v1
	s_branch .LBB208_1054
.LBB208_1053:
	s_mov_b64 s[0:1], -1
                                        ; implicit-def: $vgpr5
.LBB208_1054:
	s_branch .LBB208_1072
.LBB208_1055:
	s_cmp_lt_i32 s22, 27
	s_cbranch_scc1 .LBB208_1058
; %bb.1056:
	s_cmp_gt_i32 s22, 27
	s_cbranch_scc0 .LBB208_1059
; %bb.1057:
	global_load_dword v1, v[2:3], off
	s_movk_i32 s14, 0x7fff
	s_waitcnt vmcnt(0)
	v_cvt_f32_u32_e32 v1, v1
	v_bfe_u32 v5, v1, 16, 1
	v_add3_u32 v1, v1, v5, s14
	v_lshrrev_b32_e32 v5, 16, v1
	s_mov_b64 s[14:15], 0
	s_branch .LBB208_1060
.LBB208_1058:
	s_mov_b64 s[14:15], -1
                                        ; implicit-def: $vgpr5
	s_branch .LBB208_1063
.LBB208_1059:
	s_mov_b64 s[14:15], -1
                                        ; implicit-def: $vgpr5
.LBB208_1060:
	s_andn2_b64 vcc, exec, s[14:15]
	s_cbranch_vccnz .LBB208_1062
; %bb.1061:
	global_load_ushort v1, v[2:3], off
	s_movk_i32 s14, 0x7fff
	s_waitcnt vmcnt(0)
	v_cvt_f32_u32_e32 v1, v1
	v_bfe_u32 v5, v1, 16, 1
	v_add3_u32 v1, v1, v5, s14
	v_lshrrev_b32_e32 v5, 16, v1
.LBB208_1062:
	s_mov_b64 s[14:15], 0
.LBB208_1063:
	s_andn2_b64 vcc, exec, s[14:15]
	s_cbranch_vccnz .LBB208_1071
; %bb.1064:
	global_load_ubyte v1, v[2:3], off
	s_movk_i32 s14, 0x7f
	s_waitcnt vmcnt(0)
	v_cmp_lt_i16_e32 vcc, s14, v1
	s_mov_b64 s[14:15], 0
	s_and_saveexec_b64 s[16:17], vcc
	s_xor_b64 s[16:17], exec, s[16:17]
	s_cbranch_execz .LBB208_1084
; %bb.1065:
	s_movk_i32 s14, 0x80
	v_cmp_eq_u16_e32 vcc, s14, v1
	s_mov_b64 s[14:15], -1
	s_and_saveexec_b64 s[18:19], vcc
; %bb.1066:
	s_xor_b64 s[14:15], exec, -1
; %bb.1067:
	s_or_b64 exec, exec, s[18:19]
	s_and_b64 s[14:15], s[14:15], exec
	s_or_saveexec_b64 s[16:17], s[16:17]
	v_mov_b32_e32 v5, 0x7f800001
	s_xor_b64 exec, exec, s[16:17]
	s_cbranch_execnz .LBB208_1085
.LBB208_1068:
	s_or_b64 exec, exec, s[16:17]
	s_and_saveexec_b64 s[16:17], s[14:15]
	s_cbranch_execz .LBB208_1070
.LBB208_1069:
	v_lshlrev_b32_e32 v5, 24, v1
	v_and_b32_e32 v1, 0xffff, v1
	v_and_b32_e32 v6, 7, v1
	v_ffbh_u32_e32 v8, v6
	v_min_u32_e32 v8, 32, v8
	v_subrev_u32_e32 v9, 28, v8
	v_bfe_u32 v7, v1, 3, 4
	v_lshlrev_b32_e32 v1, v9, v1
	v_sub_u32_e32 v8, 29, v8
	v_and_b32_e32 v1, 7, v1
	v_cmp_eq_u32_e32 vcc, 0, v7
	v_and_b32_e32 v5, 0x80000000, v5
	s_nop 0
	v_cndmask_b32_e32 v7, v7, v8, vcc
	v_cndmask_b32_e32 v1, v6, v1, vcc
	v_mov_b32_e32 v6, 0x3b800000
	v_lshlrev_b32_e32 v1, 20, v1
	v_lshl_add_u32 v6, v7, 23, v6
	v_or3_b32 v5, v5, v6, v1
.LBB208_1070:
	s_or_b64 exec, exec, s[16:17]
	v_bfe_u32 v1, v5, 16, 1
	s_movk_i32 s14, 0x7fff
	v_add3_u32 v1, v5, v1, s14
	v_cmp_o_f32_e32 vcc, v5, v5
	v_mov_b32_e32 v5, 0x7fc0
	s_nop 0
	v_cndmask_b32_sdwa v5, v5, v1, vcc dst_sel:DWORD dst_unused:UNUSED_PAD src0_sel:DWORD src1_sel:WORD_1
.LBB208_1071:
	s_mov_b64 s[16:17], -1
.LBB208_1072:
	s_branch .LBB208_1104
.LBB208_1073:
	s_cmp_gt_i32 s22, 22
	s_cbranch_scc0 .LBB208_1083
; %bb.1074:
	s_cmp_lt_i32 s22, 24
	s_cbranch_scc1 .LBB208_1086
; %bb.1075:
	s_cmp_gt_i32 s22, 24
	s_cbranch_scc0 .LBB208_1087
; %bb.1076:
	global_load_ubyte v1, v[2:3], off
	s_movk_i32 s10, 0x7f
	s_waitcnt vmcnt(0)
	v_cmp_lt_i16_e32 vcc, s10, v1
	s_mov_b64 s[10:11], 0
	s_and_saveexec_b64 s[14:15], vcc
	s_xor_b64 s[14:15], exec, s[14:15]
	s_cbranch_execz .LBB208_1098
; %bb.1077:
	s_movk_i32 s10, 0x80
	v_cmp_eq_u16_e32 vcc, s10, v1
	s_mov_b64 s[10:11], -1
	s_and_saveexec_b64 s[16:17], vcc
; %bb.1078:
	s_xor_b64 s[10:11], exec, -1
; %bb.1079:
	s_or_b64 exec, exec, s[16:17]
	s_and_b64 s[10:11], s[10:11], exec
	s_or_saveexec_b64 s[14:15], s[14:15]
	v_mov_b32_e32 v5, 0x7f800001
	s_xor_b64 exec, exec, s[14:15]
	s_cbranch_execnz .LBB208_1099
.LBB208_1080:
	s_or_b64 exec, exec, s[14:15]
	s_and_saveexec_b64 s[14:15], s[10:11]
	s_cbranch_execz .LBB208_1082
.LBB208_1081:
	v_lshlrev_b32_e32 v5, 24, v1
	v_and_b32_e32 v1, 0xffff, v1
	v_and_b32_e32 v6, 3, v1
	v_ffbh_u32_e32 v8, v6
	v_min_u32_e32 v8, 32, v8
	v_subrev_u32_e32 v9, 29, v8
	v_bfe_u32 v7, v1, 2, 5
	v_lshlrev_b32_e32 v1, v9, v1
	v_sub_u32_e32 v8, 30, v8
	v_and_b32_e32 v1, 3, v1
	v_cmp_eq_u32_e32 vcc, 0, v7
	v_and_b32_e32 v5, 0x80000000, v5
	s_nop 0
	v_cndmask_b32_e32 v7, v7, v8, vcc
	v_cndmask_b32_e32 v1, v6, v1, vcc
	v_mov_b32_e32 v6, 0x37800000
	v_lshlrev_b32_e32 v1, 21, v1
	v_lshl_add_u32 v6, v7, 23, v6
	v_or3_b32 v5, v5, v6, v1
.LBB208_1082:
	s_or_b64 exec, exec, s[14:15]
	v_bfe_u32 v1, v5, 16, 1
	s_movk_i32 s10, 0x7fff
	v_add3_u32 v1, v5, v1, s10
	v_cmp_o_f32_e32 vcc, v5, v5
	v_mov_b32_e32 v5, 0x7fc0
	s_mov_b64 s[10:11], 0
	v_cndmask_b32_sdwa v5, v5, v1, vcc dst_sel:DWORD dst_unused:UNUSED_PAD src0_sel:DWORD src1_sel:WORD_1
	s_branch .LBB208_1088
.LBB208_1083:
                                        ; implicit-def: $vgpr5
	s_mov_b64 s[10:11], 0
	s_branch .LBB208_1094
.LBB208_1084:
	s_or_saveexec_b64 s[16:17], s[16:17]
	v_mov_b32_e32 v5, 0x7f800001
	s_xor_b64 exec, exec, s[16:17]
	s_cbranch_execz .LBB208_1068
.LBB208_1085:
	v_cmp_ne_u16_e32 vcc, 0, v1
	s_andn2_b64 s[14:15], s[14:15], exec
	s_and_b64 s[18:19], vcc, exec
	v_mov_b32_e32 v5, 0
	s_or_b64 s[14:15], s[14:15], s[18:19]
	s_or_b64 exec, exec, s[16:17]
	s_and_saveexec_b64 s[16:17], s[14:15]
	s_cbranch_execnz .LBB208_1069
	s_branch .LBB208_1070
.LBB208_1086:
	s_mov_b64 s[10:11], -1
                                        ; implicit-def: $vgpr5
	s_branch .LBB208_1091
.LBB208_1087:
	s_mov_b64 s[10:11], -1
                                        ; implicit-def: $vgpr5
.LBB208_1088:
	s_and_b64 vcc, exec, s[10:11]
	s_cbranch_vccz .LBB208_1090
; %bb.1089:
	global_load_ubyte v1, v[2:3], off
	s_mov_b32 s10, 0x7f800000
	s_brev_b32 s11, 1
	s_movk_i32 s14, 0x7fff
	s_waitcnt vmcnt(0)
	v_lshlrev_b32_e32 v1, 24, v1
	v_and_b32_e32 v5, 0x7f000000, v1
	v_ffbh_u32_e32 v6, v5
	v_min_u32_e32 v6, 32, v6
	v_sub_u32_e64 v6, v6, 4 clamp
	v_lshlrev_b32_e32 v8, v6, v5
	v_lshlrev_b32_e32 v6, 23, v6
	v_lshrrev_b32_e32 v8, 4, v8
	v_add_u32_e32 v7, 0x1000000, v5
	v_sub_u32_e32 v6, v8, v6
	v_ashrrev_i32_e32 v7, 8, v7
	v_add_u32_e32 v6, 0x3c000000, v6
	v_and_or_b32 v6, v7, s10, v6
	v_cmp_ne_u32_e32 vcc, 0, v5
	s_nop 1
	v_cndmask_b32_e32 v5, 0, v6, vcc
	v_and_or_b32 v1, v1, s11, v5
	v_bfe_u32 v5, v5, 16, 1
	v_add3_u32 v5, v1, v5, s14
	v_cmp_o_f32_e32 vcc, v1, v1
	v_mov_b32_e32 v1, 0x7fc0
	s_nop 0
	v_cndmask_b32_sdwa v5, v1, v5, vcc dst_sel:DWORD dst_unused:UNUSED_PAD src0_sel:DWORD src1_sel:WORD_1
.LBB208_1090:
	s_mov_b64 s[10:11], 0
.LBB208_1091:
	s_andn2_b64 vcc, exec, s[10:11]
	s_cbranch_vccnz .LBB208_1093
; %bb.1092:
	global_load_ubyte v1, v[2:3], off
	s_movk_i32 s10, 0x7f00
	s_brev_b32 s11, 16
	s_brev_b32 s14, 1
	s_movk_i32 s15, 0x7fff
	s_waitcnt vmcnt(0)
	v_lshlrev_b16_e32 v5, 8, v1
	v_lshlrev_b32_e32 v1, 25, v1
	v_lshrrev_b32_e32 v6, 4, v1
	v_and_or_b32 v7, v5, s10, 0.5
	v_or_b32_e32 v6, 0x70000000, v6
	v_add_f32_e32 v7, -0.5, v7
	v_mul_f32_e32 v6, 0x7800000, v6
	v_cmp_gt_u32_e32 vcc, s11, v1
	v_bfe_i32 v5, v5, 0, 16
	s_nop 0
	v_cndmask_b32_e32 v1, v6, v7, vcc
	v_and_or_b32 v5, v5, s14, v1
	v_bfe_u32 v1, v1, 16, 1
	v_add3_u32 v1, v5, v1, s15
	v_cmp_o_f32_e32 vcc, v5, v5
	v_mov_b32_e32 v5, 0x7fc0
	s_nop 0
	v_cndmask_b32_sdwa v5, v5, v1, vcc dst_sel:DWORD dst_unused:UNUSED_PAD src0_sel:DWORD src1_sel:WORD_1
.LBB208_1093:
	s_mov_b64 s[16:17], -1
	s_mov_b64 s[10:11], 0
	s_cbranch_execnz .LBB208_1104
.LBB208_1094:
	s_cmp_gt_i32 s22, 14
	s_cbranch_scc0 .LBB208_1097
; %bb.1095:
	s_cmp_eq_u32 s22, 15
	s_cbranch_scc0 .LBB208_1100
; %bb.1096:
	global_load_ushort v5, v[2:3], off
	s_mov_b64 s[0:1], 0
	s_mov_b64 s[16:17], -1
	s_branch .LBB208_1101
.LBB208_1097:
	s_mov_b64 s[14:15], -1
                                        ; implicit-def: $vgpr5
	s_branch .LBB208_1102
.LBB208_1098:
	s_or_saveexec_b64 s[14:15], s[14:15]
	v_mov_b32_e32 v5, 0x7f800001
	s_xor_b64 exec, exec, s[14:15]
	s_cbranch_execz .LBB208_1080
.LBB208_1099:
	v_cmp_ne_u16_e32 vcc, 0, v1
	s_andn2_b64 s[10:11], s[10:11], exec
	s_and_b64 s[16:17], vcc, exec
	v_mov_b32_e32 v5, 0
	s_or_b64 s[10:11], s[10:11], s[16:17]
	s_or_b64 exec, exec, s[14:15]
	s_and_saveexec_b64 s[14:15], s[10:11]
	s_cbranch_execnz .LBB208_1081
	s_branch .LBB208_1082
.LBB208_1100:
	s_mov_b64 s[0:1], -1
                                        ; implicit-def: $vgpr5
.LBB208_1101:
	s_mov_b64 s[14:15], 0
.LBB208_1102:
	s_and_b64 vcc, exec, s[14:15]
	s_cbranch_vccz .LBB208_1104
; %bb.1103:
	s_cmp_lg_u32 s22, 11
	s_mov_b64 s[10:11], -1
	s_cselect_b64 s[0:1], -1, 0
.LBB208_1104:
	s_and_b64 vcc, exec, s[0:1]
	s_mov_b64 s[14:15], s[12:13]
	s_cbranch_vccnz .LBB208_1165
; %bb.1105:
	s_andn2_b64 vcc, exec, s[10:11]
	s_cbranch_vccnz .LBB208_1107
.LBB208_1106:
	global_load_ubyte v1, v[2:3], off
	s_mov_b64 s[16:17], -1
	s_waitcnt vmcnt(0)
	v_cmp_ne_u16_e32 vcc, 0, v1
	s_nop 1
	v_cndmask_b32_e64 v1, 0, 1.0, vcc
	v_lshrrev_b32_e32 v5, 16, v1
.LBB208_1107:
	s_branch .LBB208_1038
.LBB208_1108:
	s_cmp_lt_i32 s22, 5
	s_cbranch_scc1 .LBB208_1113
; %bb.1109:
	s_cmp_lt_i32 s22, 8
	s_cbranch_scc1 .LBB208_1114
; %bb.1110:
	;; [unrolled: 3-line block ×3, first 2 shown]
	s_cmp_gt_i32 s22, 9
	s_cbranch_scc0 .LBB208_1116
; %bb.1112:
	global_load_dwordx2 v[6:7], v[2:3], off
	s_movk_i32 s0, 0x7fff
	v_mov_b32_e32 v1, 0x7fc0
	s_waitcnt vmcnt(0)
	v_cvt_f32_f64_e32 v5, v[6:7]
	v_bfe_u32 v6, v5, 16, 1
	v_cmp_o_f32_e32 vcc, v5, v5
	v_add3_u32 v5, v5, v6, s0
	s_mov_b64 s[0:1], 0
	v_cndmask_b32_sdwa v5, v1, v5, vcc dst_sel:DWORD dst_unused:UNUSED_PAD src0_sel:DWORD src1_sel:WORD_1
	s_branch .LBB208_1117
.LBB208_1113:
                                        ; implicit-def: $vgpr5
	s_branch .LBB208_1134
.LBB208_1114:
                                        ; implicit-def: $vgpr5
	s_branch .LBB208_1123
.LBB208_1115:
	s_mov_b64 s[0:1], -1
                                        ; implicit-def: $vgpr5
	s_branch .LBB208_1120
.LBB208_1116:
	s_mov_b64 s[0:1], -1
                                        ; implicit-def: $vgpr5
.LBB208_1117:
	s_andn2_b64 vcc, exec, s[0:1]
	s_cbranch_vccnz .LBB208_1119
; %bb.1118:
	global_load_dword v1, v[2:3], off
	s_movk_i32 s0, 0x7fff
	s_waitcnt vmcnt(1)
	v_mov_b32_e32 v5, 0x7fc0
	s_waitcnt vmcnt(0)
	v_bfe_u32 v6, v1, 16, 1
	v_cmp_o_f32_e32 vcc, v1, v1
	v_add3_u32 v1, v1, v6, s0
	s_nop 0
	v_cndmask_b32_sdwa v5, v5, v1, vcc dst_sel:DWORD dst_unused:UNUSED_PAD src0_sel:DWORD src1_sel:WORD_1
.LBB208_1119:
	s_mov_b64 s[0:1], 0
.LBB208_1120:
	s_andn2_b64 vcc, exec, s[0:1]
	s_cbranch_vccnz .LBB208_1122
; %bb.1121:
	global_load_dword v1, v[2:3], off
	s_movk_i32 s0, 0x7fff
	v_mov_b32_e32 v6, 0x7fc0
	s_waitcnt vmcnt(0)
	v_cvt_f32_f16_e32 v5, v1
	v_cmp_o_f16_e32 vcc, v1, v1
	v_bfe_u32 v1, v5, 16, 1
	v_add3_u32 v1, v5, v1, s0
	v_cndmask_b32_sdwa v5, v6, v1, vcc dst_sel:DWORD dst_unused:UNUSED_PAD src0_sel:DWORD src1_sel:WORD_1
.LBB208_1122:
	s_cbranch_execnz .LBB208_1133
.LBB208_1123:
	s_cmp_lt_i32 s22, 6
	s_cbranch_scc1 .LBB208_1126
; %bb.1124:
	s_cmp_gt_i32 s22, 6
	s_cbranch_scc0 .LBB208_1127
; %bb.1125:
	global_load_dwordx2 v[6:7], v[2:3], off
	s_movk_i32 s0, 0x7fff
	v_mov_b32_e32 v1, 0x7fc0
	s_waitcnt vmcnt(0)
	v_cvt_f32_f64_e32 v5, v[6:7]
	v_bfe_u32 v6, v5, 16, 1
	v_cmp_o_f32_e32 vcc, v5, v5
	v_add3_u32 v5, v5, v6, s0
	s_mov_b64 s[0:1], 0
	v_cndmask_b32_sdwa v5, v1, v5, vcc dst_sel:DWORD dst_unused:UNUSED_PAD src0_sel:DWORD src1_sel:WORD_1
	s_branch .LBB208_1128
.LBB208_1126:
	s_mov_b64 s[0:1], -1
                                        ; implicit-def: $vgpr5
	s_branch .LBB208_1131
.LBB208_1127:
	s_mov_b64 s[0:1], -1
                                        ; implicit-def: $vgpr5
.LBB208_1128:
	s_andn2_b64 vcc, exec, s[0:1]
	s_cbranch_vccnz .LBB208_1130
; %bb.1129:
	global_load_dword v1, v[2:3], off
	s_movk_i32 s0, 0x7fff
	s_waitcnt vmcnt(1)
	v_mov_b32_e32 v5, 0x7fc0
	s_waitcnt vmcnt(0)
	v_bfe_u32 v6, v1, 16, 1
	v_cmp_o_f32_e32 vcc, v1, v1
	v_add3_u32 v1, v1, v6, s0
	s_nop 0
	v_cndmask_b32_sdwa v5, v5, v1, vcc dst_sel:DWORD dst_unused:UNUSED_PAD src0_sel:DWORD src1_sel:WORD_1
.LBB208_1130:
	s_mov_b64 s[0:1], 0
.LBB208_1131:
	s_andn2_b64 vcc, exec, s[0:1]
	s_cbranch_vccnz .LBB208_1133
; %bb.1132:
	global_load_ushort v1, v[2:3], off
	s_movk_i32 s0, 0x7fff
	v_mov_b32_e32 v6, 0x7fc0
	s_waitcnt vmcnt(0)
	v_cvt_f32_f16_e32 v5, v1
	v_cmp_o_f16_e32 vcc, v1, v1
	v_bfe_u32 v1, v5, 16, 1
	v_add3_u32 v1, v5, v1, s0
	v_cndmask_b32_sdwa v5, v6, v1, vcc dst_sel:DWORD dst_unused:UNUSED_PAD src0_sel:DWORD src1_sel:WORD_1
.LBB208_1133:
	s_cbranch_execnz .LBB208_1152
.LBB208_1134:
	s_cmp_lt_i32 s22, 2
	s_cbranch_scc1 .LBB208_1138
; %bb.1135:
	s_cmp_lt_i32 s22, 3
	s_cbranch_scc1 .LBB208_1139
; %bb.1136:
	s_cmp_gt_i32 s22, 3
	s_cbranch_scc0 .LBB208_1140
; %bb.1137:
	global_load_dwordx2 v[6:7], v[2:3], off
	s_movk_i32 s0, 0x7fff
	s_waitcnt vmcnt(0)
	v_xor_b32_e32 v5, v6, v7
	v_ffbh_i32_e32 v1, v7
	v_ashrrev_i32_e32 v5, 31, v5
	v_add_u32_e32 v1, -1, v1
	v_add_u32_e32 v5, 32, v5
	v_min_u32_e32 v1, v1, v5
	v_lshlrev_b64 v[6:7], v1, v[6:7]
	v_min_u32_e32 v5, 1, v6
	v_or_b32_e32 v5, v7, v5
	v_cvt_f32_i32_e32 v5, v5
	v_sub_u32_e32 v1, 32, v1
	v_ldexp_f32 v1, v5, v1
	v_bfe_u32 v5, v1, 16, 1
	v_add3_u32 v1, v1, v5, s0
	v_lshrrev_b32_e32 v5, 16, v1
	s_mov_b64 s[0:1], 0
	s_branch .LBB208_1141
.LBB208_1138:
                                        ; implicit-def: $vgpr5
	s_branch .LBB208_1147
.LBB208_1139:
	s_mov_b64 s[0:1], -1
                                        ; implicit-def: $vgpr5
	s_branch .LBB208_1144
.LBB208_1140:
	s_mov_b64 s[0:1], -1
                                        ; implicit-def: $vgpr5
.LBB208_1141:
	s_andn2_b64 vcc, exec, s[0:1]
	s_cbranch_vccnz .LBB208_1143
; %bb.1142:
	global_load_dword v1, v[2:3], off
	s_movk_i32 s0, 0x7fff
	s_waitcnt vmcnt(0)
	v_cvt_f32_i32_e32 v1, v1
	v_bfe_u32 v5, v1, 16, 1
	v_add3_u32 v1, v1, v5, s0
	v_lshrrev_b32_e32 v5, 16, v1
.LBB208_1143:
	s_mov_b64 s[0:1], 0
.LBB208_1144:
	s_andn2_b64 vcc, exec, s[0:1]
	s_cbranch_vccnz .LBB208_1146
; %bb.1145:
	global_load_sshort v1, v[2:3], off
	s_movk_i32 s0, 0x7fff
	s_waitcnt vmcnt(0)
	v_cvt_f32_i32_e32 v1, v1
	v_bfe_u32 v5, v1, 16, 1
	v_add3_u32 v1, v1, v5, s0
	v_lshrrev_b32_e32 v5, 16, v1
.LBB208_1146:
	s_cbranch_execnz .LBB208_1152
.LBB208_1147:
	s_cmp_gt_i32 s22, 0
	s_cbranch_scc0 .LBB208_1149
; %bb.1148:
	global_load_sbyte v1, v[2:3], off
	s_movk_i32 s0, 0x7fff
	s_waitcnt vmcnt(0)
	v_cvt_f32_i32_e32 v1, v1
	v_bfe_u32 v5, v1, 16, 1
	v_add3_u32 v1, v1, v5, s0
	v_lshrrev_b32_e32 v5, 16, v1
	s_mov_b64 s[0:1], 0
	s_branch .LBB208_1150
.LBB208_1149:
	s_mov_b64 s[0:1], -1
                                        ; implicit-def: $vgpr5
.LBB208_1150:
	s_andn2_b64 vcc, exec, s[0:1]
	s_cbranch_vccnz .LBB208_1152
; %bb.1151:
	global_load_ubyte v1, v[2:3], off
	s_movk_i32 s0, 0x7fff
	s_waitcnt vmcnt(0)
	v_cvt_f32_ubyte0_e32 v1, v1
	v_bfe_u32 v2, v1, 16, 1
	v_add3_u32 v1, v1, v2, s0
	v_lshrrev_b32_e32 v5, 16, v1
.LBB208_1152:
.LBB208_1153:
	s_lshl_b32 s9, s9, 7
	v_add_u32_e32 v0, s9, v0
	v_ashrrev_i32_e32 v1, 31, v0
	s_cmp_lt_i32 s22, 11
	v_lshl_add_u64 v[2:3], s[6:7], 0, v[0:1]
	s_cbranch_scc1 .LBB208_1160
; %bb.1154:
	s_cmp_gt_i32 s22, 25
	s_mov_b64 s[10:11], 0
	s_cbranch_scc0 .LBB208_1162
; %bb.1155:
	s_cmp_gt_i32 s22, 28
	s_cbranch_scc0 .LBB208_1163
; %bb.1156:
	s_cmp_gt_i32 s22, 43
	;; [unrolled: 3-line block ×3, first 2 shown]
	s_cbranch_scc0 .LBB208_1166
; %bb.1158:
	s_cmp_eq_u32 s22, 46
	s_mov_b64 s[18:19], 0
	s_cbranch_scc0 .LBB208_1169
; %bb.1159:
	global_load_dword v6, v[2:3], off
	s_mov_b64 s[0:1], 0
	s_mov_b64 s[16:17], -1
	s_branch .LBB208_1170
.LBB208_1160:
	s_mov_b64 s[16:17], 0
                                        ; implicit-def: $vgpr6
	s_cbranch_execnz .LBB208_1235
.LBB208_1161:
	s_andn2_b64 vcc, exec, s[16:17]
	s_cbranch_vccnz .LBB208_1974
	s_branch .LBB208_1282
.LBB208_1162:
	s_mov_b64 s[16:17], 0
	s_mov_b64 s[0:1], 0
                                        ; implicit-def: $vgpr6
	s_cbranch_execnz .LBB208_1199
	s_branch .LBB208_1231
.LBB208_1163:
	s_mov_b64 s[18:19], -1
	s_mov_b64 s[16:17], 0
	s_mov_b64 s[0:1], 0
                                        ; implicit-def: $vgpr6
	s_branch .LBB208_1180
.LBB208_1164:
	s_mov_b64 s[18:19], -1
	s_mov_b64 s[16:17], 0
	s_mov_b64 s[0:1], 0
                                        ; implicit-def: $vgpr6
	s_branch .LBB208_1175
.LBB208_1165:
	s_or_b64 s[14:15], s[12:13], exec
	s_trap 2
	s_cbranch_execz .LBB208_1106
	s_branch .LBB208_1107
.LBB208_1166:
	s_mov_b64 s[18:19], -1
	s_mov_b64 s[16:17], 0
	s_mov_b64 s[0:1], 0
                                        ; implicit-def: $vgpr6
	s_branch .LBB208_1170
.LBB208_1167:
	s_andn2_saveexec_b64 s[24:25], s[24:25]
	s_cbranch_execz .LBB208_954
.LBB208_1168:
	s_mov_b32 s28, 0x42800000
	v_add_f32_e64 v4, |v5|, s28
	v_and_b32_e32 v4, 0xff, v4
	v_cmp_ne_u32_e32 vcc, 0, v4
	s_andn2_b64 s[22:23], s[22:23], exec
	s_and_b64 s[28:29], vcc, exec
	s_or_b64 s[22:23], s[22:23], s[28:29]
	s_or_b64 exec, exec, s[24:25]
	v_mov_b32_e32 v6, 0
	s_and_saveexec_b64 s[24:25], s[22:23]
	s_cbranch_execnz .LBB208_955
	s_branch .LBB208_956
.LBB208_1169:
	s_mov_b64 s[0:1], -1
                                        ; implicit-def: $vgpr6
	s_mov_b64 s[16:17], 0
.LBB208_1170:
	s_and_b64 vcc, exec, s[18:19]
	s_cbranch_vccz .LBB208_1174
; %bb.1171:
	s_cmp_eq_u32 s22, 44
	s_cbranch_scc0 .LBB208_1173
; %bb.1172:
	global_load_ubyte v1, v[2:3], off
	s_movk_i32 s16, 0xff
	s_waitcnt vmcnt(1)
	v_mov_b32_e32 v6, 0x7f800001
	v_mov_b32_e32 v7, 0x400000
	;; [unrolled: 1-line block ×3, first 2 shown]
	s_mov_b64 s[0:1], 0
	s_waitcnt vmcnt(0)
	v_lshlrev_b32_e32 v9, 23, v1
	v_cmp_ne_u32_e32 vcc, s16, v1
	s_mov_b64 s[16:17], -1
	s_nop 0
	v_cndmask_b32_e32 v6, v6, v9, vcc
	v_cmp_ne_u32_e32 vcc, 0, v1
	s_nop 1
	v_cndmask_b32_e32 v1, v7, v6, vcc
	v_add_u32_e32 v6, 0x7fff, v1
	v_cmp_o_f32_e32 vcc, v1, v1
	s_nop 1
	v_cndmask_b32_sdwa v6, v8, v6, vcc dst_sel:DWORD dst_unused:UNUSED_PAD src0_sel:DWORD src1_sel:WORD_1
	s_branch .LBB208_1174
.LBB208_1173:
	s_mov_b64 s[0:1], -1
                                        ; implicit-def: $vgpr6
.LBB208_1174:
	s_mov_b64 s[18:19], 0
.LBB208_1175:
	s_and_b64 vcc, exec, s[18:19]
	s_cbranch_vccz .LBB208_1179
; %bb.1176:
	s_cmp_eq_u32 s22, 29
	s_cbranch_scc0 .LBB208_1178
; %bb.1177:
	global_load_dwordx2 v[6:7], v[2:3], off
	s_movk_i32 s16, 0x7fff
	s_mov_b64 s[0:1], 0
	s_mov_b64 s[18:19], 0
	s_waitcnt vmcnt(0)
	v_ffbh_u32_e32 v1, v7
	v_min_u32_e32 v1, 32, v1
	v_lshlrev_b64 v[6:7], v1, v[6:7]
	v_min_u32_e32 v6, 1, v6
	v_or_b32_e32 v6, v7, v6
	v_cvt_f32_u32_e32 v6, v6
	v_sub_u32_e32 v1, 32, v1
	v_ldexp_f32 v1, v6, v1
	v_bfe_u32 v6, v1, 16, 1
	v_add3_u32 v1, v1, v6, s16
	v_lshrrev_b32_e32 v6, 16, v1
	s_mov_b64 s[16:17], -1
	s_branch .LBB208_1180
.LBB208_1178:
	s_mov_b64 s[0:1], -1
                                        ; implicit-def: $vgpr6
.LBB208_1179:
	s_mov_b64 s[18:19], 0
.LBB208_1180:
	s_and_b64 vcc, exec, s[18:19]
	s_cbranch_vccz .LBB208_1198
; %bb.1181:
	s_cmp_lt_i32 s22, 27
	s_cbranch_scc1 .LBB208_1184
; %bb.1182:
	s_cmp_gt_i32 s22, 27
	s_cbranch_scc0 .LBB208_1185
; %bb.1183:
	global_load_dword v1, v[2:3], off
	s_movk_i32 s16, 0x7fff
	s_waitcnt vmcnt(0)
	v_cvt_f32_u32_e32 v1, v1
	v_bfe_u32 v6, v1, 16, 1
	v_add3_u32 v1, v1, v6, s16
	v_lshrrev_b32_e32 v6, 16, v1
	s_mov_b64 s[16:17], 0
	s_branch .LBB208_1186
.LBB208_1184:
	s_mov_b64 s[16:17], -1
                                        ; implicit-def: $vgpr6
	s_branch .LBB208_1189
.LBB208_1185:
	s_mov_b64 s[16:17], -1
                                        ; implicit-def: $vgpr6
.LBB208_1186:
	s_andn2_b64 vcc, exec, s[16:17]
	s_cbranch_vccnz .LBB208_1188
; %bb.1187:
	global_load_ushort v1, v[2:3], off
	s_movk_i32 s16, 0x7fff
	s_waitcnt vmcnt(0)
	v_cvt_f32_u32_e32 v1, v1
	v_bfe_u32 v6, v1, 16, 1
	v_add3_u32 v1, v1, v6, s16
	v_lshrrev_b32_e32 v6, 16, v1
.LBB208_1188:
	s_mov_b64 s[16:17], 0
.LBB208_1189:
	s_andn2_b64 vcc, exec, s[16:17]
	s_cbranch_vccnz .LBB208_1197
; %bb.1190:
	global_load_ubyte v1, v[2:3], off
	s_movk_i32 s16, 0x7f
	s_waitcnt vmcnt(0)
	v_cmp_lt_i16_e32 vcc, s16, v1
	s_mov_b64 s[16:17], 0
	s_and_saveexec_b64 s[18:19], vcc
	s_xor_b64 s[18:19], exec, s[18:19]
	s_cbranch_execz .LBB208_1210
; %bb.1191:
	s_movk_i32 s16, 0x80
	v_cmp_eq_u16_e32 vcc, s16, v1
	s_mov_b64 s[16:17], -1
	s_and_saveexec_b64 s[20:21], vcc
; %bb.1192:
	s_xor_b64 s[16:17], exec, -1
; %bb.1193:
	s_or_b64 exec, exec, s[20:21]
	s_and_b64 s[16:17], s[16:17], exec
	s_or_saveexec_b64 s[18:19], s[18:19]
	v_mov_b32_e32 v6, 0x7f800001
	s_xor_b64 exec, exec, s[18:19]
	s_cbranch_execnz .LBB208_1211
.LBB208_1194:
	s_or_b64 exec, exec, s[18:19]
	s_and_saveexec_b64 s[18:19], s[16:17]
	s_cbranch_execz .LBB208_1196
.LBB208_1195:
	v_lshlrev_b32_e32 v6, 24, v1
	v_and_b32_e32 v1, 0xffff, v1
	v_and_b32_e32 v7, 7, v1
	v_ffbh_u32_e32 v9, v7
	v_min_u32_e32 v9, 32, v9
	v_subrev_u32_e32 v10, 28, v9
	v_bfe_u32 v8, v1, 3, 4
	v_lshlrev_b32_e32 v1, v10, v1
	v_sub_u32_e32 v9, 29, v9
	v_and_b32_e32 v1, 7, v1
	v_cmp_eq_u32_e32 vcc, 0, v8
	v_and_b32_e32 v6, 0x80000000, v6
	s_nop 0
	v_cndmask_b32_e32 v8, v8, v9, vcc
	v_cndmask_b32_e32 v1, v7, v1, vcc
	v_mov_b32_e32 v7, 0x3b800000
	v_lshlrev_b32_e32 v1, 20, v1
	v_lshl_add_u32 v7, v8, 23, v7
	v_or3_b32 v6, v6, v7, v1
.LBB208_1196:
	s_or_b64 exec, exec, s[18:19]
	v_bfe_u32 v1, v6, 16, 1
	s_movk_i32 s16, 0x7fff
	v_add3_u32 v1, v6, v1, s16
	v_cmp_o_f32_e32 vcc, v6, v6
	v_mov_b32_e32 v6, 0x7fc0
	s_nop 0
	v_cndmask_b32_sdwa v6, v6, v1, vcc dst_sel:DWORD dst_unused:UNUSED_PAD src0_sel:DWORD src1_sel:WORD_1
.LBB208_1197:
	s_mov_b64 s[16:17], -1
.LBB208_1198:
	s_branch .LBB208_1231
.LBB208_1199:
	s_cmp_gt_i32 s22, 22
	s_cbranch_scc0 .LBB208_1209
; %bb.1200:
	s_cmp_lt_i32 s22, 24
	s_cbranch_scc1 .LBB208_1212
; %bb.1201:
	s_cmp_gt_i32 s22, 24
	s_cbranch_scc0 .LBB208_1213
; %bb.1202:
	global_load_ubyte v1, v[2:3], off
	s_movk_i32 s10, 0x7f
	s_waitcnt vmcnt(0)
	v_cmp_lt_i16_e32 vcc, s10, v1
	s_mov_b64 s[10:11], 0
	s_and_saveexec_b64 s[16:17], vcc
	s_xor_b64 s[16:17], exec, s[16:17]
	s_cbranch_execz .LBB208_1225
; %bb.1203:
	s_movk_i32 s10, 0x80
	v_cmp_eq_u16_e32 vcc, s10, v1
	s_mov_b64 s[10:11], -1
	s_and_saveexec_b64 s[18:19], vcc
; %bb.1204:
	s_xor_b64 s[10:11], exec, -1
; %bb.1205:
	s_or_b64 exec, exec, s[18:19]
	s_and_b64 s[10:11], s[10:11], exec
	s_or_saveexec_b64 s[16:17], s[16:17]
	v_mov_b32_e32 v6, 0x7f800001
	s_xor_b64 exec, exec, s[16:17]
	s_cbranch_execnz .LBB208_1226
.LBB208_1206:
	s_or_b64 exec, exec, s[16:17]
	s_and_saveexec_b64 s[16:17], s[10:11]
	s_cbranch_execz .LBB208_1208
.LBB208_1207:
	v_lshlrev_b32_e32 v6, 24, v1
	v_and_b32_e32 v1, 0xffff, v1
	v_and_b32_e32 v7, 3, v1
	v_ffbh_u32_e32 v9, v7
	v_min_u32_e32 v9, 32, v9
	v_subrev_u32_e32 v10, 29, v9
	v_bfe_u32 v8, v1, 2, 5
	v_lshlrev_b32_e32 v1, v10, v1
	v_sub_u32_e32 v9, 30, v9
	v_and_b32_e32 v1, 3, v1
	v_cmp_eq_u32_e32 vcc, 0, v8
	v_and_b32_e32 v6, 0x80000000, v6
	s_nop 0
	v_cndmask_b32_e32 v8, v8, v9, vcc
	v_cndmask_b32_e32 v1, v7, v1, vcc
	v_mov_b32_e32 v7, 0x37800000
	v_lshlrev_b32_e32 v1, 21, v1
	v_lshl_add_u32 v7, v8, 23, v7
	v_or3_b32 v6, v6, v7, v1
.LBB208_1208:
	s_or_b64 exec, exec, s[16:17]
	v_bfe_u32 v1, v6, 16, 1
	s_movk_i32 s10, 0x7fff
	v_add3_u32 v1, v6, v1, s10
	v_cmp_o_f32_e32 vcc, v6, v6
	v_mov_b32_e32 v6, 0x7fc0
	s_mov_b64 s[10:11], 0
	v_cndmask_b32_sdwa v6, v6, v1, vcc dst_sel:DWORD dst_unused:UNUSED_PAD src0_sel:DWORD src1_sel:WORD_1
	s_branch .LBB208_1214
.LBB208_1209:
	s_mov_b64 s[10:11], -1
                                        ; implicit-def: $vgpr6
	s_branch .LBB208_1220
.LBB208_1210:
	s_or_saveexec_b64 s[18:19], s[18:19]
	v_mov_b32_e32 v6, 0x7f800001
	s_xor_b64 exec, exec, s[18:19]
	s_cbranch_execz .LBB208_1194
.LBB208_1211:
	v_cmp_ne_u16_e32 vcc, 0, v1
	s_andn2_b64 s[16:17], s[16:17], exec
	s_and_b64 s[20:21], vcc, exec
	v_mov_b32_e32 v6, 0
	s_or_b64 s[16:17], s[16:17], s[20:21]
	s_or_b64 exec, exec, s[18:19]
	s_and_saveexec_b64 s[18:19], s[16:17]
	s_cbranch_execnz .LBB208_1195
	s_branch .LBB208_1196
.LBB208_1212:
	s_mov_b64 s[10:11], -1
                                        ; implicit-def: $vgpr6
	s_branch .LBB208_1217
.LBB208_1213:
	s_mov_b64 s[10:11], -1
                                        ; implicit-def: $vgpr6
.LBB208_1214:
	s_and_b64 vcc, exec, s[10:11]
	s_cbranch_vccz .LBB208_1216
; %bb.1215:
	global_load_ubyte v1, v[2:3], off
	s_mov_b32 s10, 0x7f800000
	s_brev_b32 s11, 1
	s_movk_i32 s16, 0x7fff
	s_waitcnt vmcnt(0)
	v_lshlrev_b32_e32 v1, 24, v1
	v_and_b32_e32 v6, 0x7f000000, v1
	v_ffbh_u32_e32 v7, v6
	v_min_u32_e32 v7, 32, v7
	v_sub_u32_e64 v7, v7, 4 clamp
	v_lshlrev_b32_e32 v9, v7, v6
	v_lshlrev_b32_e32 v7, 23, v7
	v_lshrrev_b32_e32 v9, 4, v9
	v_add_u32_e32 v8, 0x1000000, v6
	v_sub_u32_e32 v7, v9, v7
	v_ashrrev_i32_e32 v8, 8, v8
	v_add_u32_e32 v7, 0x3c000000, v7
	v_and_or_b32 v7, v8, s10, v7
	v_cmp_ne_u32_e32 vcc, 0, v6
	s_nop 1
	v_cndmask_b32_e32 v6, 0, v7, vcc
	v_and_or_b32 v1, v1, s11, v6
	v_bfe_u32 v6, v6, 16, 1
	v_add3_u32 v6, v1, v6, s16
	v_cmp_o_f32_e32 vcc, v1, v1
	v_mov_b32_e32 v1, 0x7fc0
	s_nop 0
	v_cndmask_b32_sdwa v6, v1, v6, vcc dst_sel:DWORD dst_unused:UNUSED_PAD src0_sel:DWORD src1_sel:WORD_1
.LBB208_1216:
	s_mov_b64 s[10:11], 0
.LBB208_1217:
	s_andn2_b64 vcc, exec, s[10:11]
	s_cbranch_vccnz .LBB208_1219
; %bb.1218:
	global_load_ubyte v1, v[2:3], off
	s_movk_i32 s10, 0x7f00
	s_brev_b32 s11, 16
	s_brev_b32 s16, 1
	s_movk_i32 s17, 0x7fff
	s_waitcnt vmcnt(0)
	v_lshlrev_b16_e32 v6, 8, v1
	v_lshlrev_b32_e32 v1, 25, v1
	v_lshrrev_b32_e32 v7, 4, v1
	v_and_or_b32 v8, v6, s10, 0.5
	v_or_b32_e32 v7, 0x70000000, v7
	v_add_f32_e32 v8, -0.5, v8
	v_mul_f32_e32 v7, 0x7800000, v7
	v_cmp_gt_u32_e32 vcc, s11, v1
	v_bfe_i32 v6, v6, 0, 16
	s_nop 0
	v_cndmask_b32_e32 v1, v7, v8, vcc
	v_and_or_b32 v6, v6, s16, v1
	v_bfe_u32 v1, v1, 16, 1
	v_add3_u32 v1, v6, v1, s17
	v_cmp_o_f32_e32 vcc, v6, v6
	v_mov_b32_e32 v6, 0x7fc0
	s_nop 0
	v_cndmask_b32_sdwa v6, v6, v1, vcc dst_sel:DWORD dst_unused:UNUSED_PAD src0_sel:DWORD src1_sel:WORD_1
.LBB208_1219:
	s_mov_b64 s[10:11], 0
	s_mov_b64 s[16:17], -1
.LBB208_1220:
	s_andn2_b64 vcc, exec, s[10:11]
	s_mov_b64 s[10:11], 0
	s_cbranch_vccnz .LBB208_1231
; %bb.1221:
	s_cmp_gt_i32 s22, 14
	s_cbranch_scc0 .LBB208_1224
; %bb.1222:
	s_cmp_eq_u32 s22, 15
	s_cbranch_scc0 .LBB208_1227
; %bb.1223:
	global_load_ushort v6, v[2:3], off
	s_mov_b64 s[0:1], 0
	s_mov_b64 s[16:17], -1
	s_branch .LBB208_1228
.LBB208_1224:
	s_mov_b64 s[18:19], -1
                                        ; implicit-def: $vgpr6
	s_branch .LBB208_1229
.LBB208_1225:
	s_or_saveexec_b64 s[16:17], s[16:17]
	v_mov_b32_e32 v6, 0x7f800001
	s_xor_b64 exec, exec, s[16:17]
	s_cbranch_execz .LBB208_1206
.LBB208_1226:
	v_cmp_ne_u16_e32 vcc, 0, v1
	s_andn2_b64 s[10:11], s[10:11], exec
	s_and_b64 s[18:19], vcc, exec
	v_mov_b32_e32 v6, 0
	s_or_b64 s[10:11], s[10:11], s[18:19]
	s_or_b64 exec, exec, s[16:17]
	s_and_saveexec_b64 s[16:17], s[10:11]
	s_cbranch_execnz .LBB208_1207
	s_branch .LBB208_1208
.LBB208_1227:
	s_mov_b64 s[0:1], -1
                                        ; implicit-def: $vgpr6
.LBB208_1228:
	s_mov_b64 s[18:19], 0
.LBB208_1229:
	s_and_b64 vcc, exec, s[18:19]
	s_cbranch_vccz .LBB208_1231
; %bb.1230:
	s_cmp_lg_u32 s22, 11
	s_mov_b64 s[10:11], -1
	s_cselect_b64 s[0:1], -1, 0
.LBB208_1231:
	s_and_b64 vcc, exec, s[0:1]
	s_cbranch_vccnz .LBB208_1294
; %bb.1232:
	s_andn2_b64 vcc, exec, s[10:11]
	s_cbranch_vccnz .LBB208_1234
.LBB208_1233:
	global_load_ubyte v1, v[2:3], off
	s_mov_b64 s[16:17], -1
	s_waitcnt vmcnt(0)
	v_cmp_ne_u16_e32 vcc, 0, v1
	s_nop 1
	v_cndmask_b32_e64 v1, 0, 1.0, vcc
	v_lshrrev_b32_e32 v6, 16, v1
.LBB208_1234:
	s_branch .LBB208_1161
.LBB208_1235:
	s_cmp_lt_i32 s22, 5
	s_cbranch_scc1 .LBB208_1240
; %bb.1236:
	s_cmp_lt_i32 s22, 8
	s_cbranch_scc1 .LBB208_1241
; %bb.1237:
	;; [unrolled: 3-line block ×3, first 2 shown]
	s_cmp_gt_i32 s22, 9
	s_cbranch_scc0 .LBB208_1243
; %bb.1239:
	global_load_dwordx2 v[6:7], v[2:3], off
	s_movk_i32 s0, 0x7fff
	v_mov_b32_e32 v1, 0x7fc0
	s_waitcnt vmcnt(0)
	v_cvt_f32_f64_e32 v6, v[6:7]
	v_bfe_u32 v7, v6, 16, 1
	v_cmp_o_f32_e32 vcc, v6, v6
	v_add3_u32 v6, v6, v7, s0
	s_mov_b64 s[0:1], 0
	v_cndmask_b32_sdwa v6, v1, v6, vcc dst_sel:DWORD dst_unused:UNUSED_PAD src0_sel:DWORD src1_sel:WORD_1
	s_branch .LBB208_1244
.LBB208_1240:
                                        ; implicit-def: $vgpr6
	s_branch .LBB208_1262
.LBB208_1241:
	s_mov_b64 s[0:1], -1
                                        ; implicit-def: $vgpr6
	s_branch .LBB208_1250
.LBB208_1242:
	s_mov_b64 s[0:1], -1
                                        ; implicit-def: $vgpr6
	s_branch .LBB208_1247
.LBB208_1243:
	s_mov_b64 s[0:1], -1
                                        ; implicit-def: $vgpr6
.LBB208_1244:
	s_andn2_b64 vcc, exec, s[0:1]
	s_cbranch_vccnz .LBB208_1246
; %bb.1245:
	global_load_dword v1, v[2:3], off
	s_movk_i32 s0, 0x7fff
	s_waitcnt vmcnt(1)
	v_mov_b32_e32 v6, 0x7fc0
	s_waitcnt vmcnt(0)
	v_bfe_u32 v7, v1, 16, 1
	v_cmp_o_f32_e32 vcc, v1, v1
	v_add3_u32 v1, v1, v7, s0
	s_nop 0
	v_cndmask_b32_sdwa v6, v6, v1, vcc dst_sel:DWORD dst_unused:UNUSED_PAD src0_sel:DWORD src1_sel:WORD_1
.LBB208_1246:
	s_mov_b64 s[0:1], 0
.LBB208_1247:
	s_andn2_b64 vcc, exec, s[0:1]
	s_cbranch_vccnz .LBB208_1249
; %bb.1248:
	global_load_dword v1, v[2:3], off
	s_movk_i32 s0, 0x7fff
	v_mov_b32_e32 v7, 0x7fc0
	s_waitcnt vmcnt(0)
	v_cvt_f32_f16_e32 v6, v1
	v_cmp_o_f16_e32 vcc, v1, v1
	v_bfe_u32 v1, v6, 16, 1
	v_add3_u32 v1, v6, v1, s0
	v_cndmask_b32_sdwa v6, v7, v1, vcc dst_sel:DWORD dst_unused:UNUSED_PAD src0_sel:DWORD src1_sel:WORD_1
.LBB208_1249:
	s_mov_b64 s[0:1], 0
.LBB208_1250:
	s_andn2_b64 vcc, exec, s[0:1]
	s_cbranch_vccnz .LBB208_1261
; %bb.1251:
	s_cmp_lt_i32 s22, 6
	s_cbranch_scc1 .LBB208_1254
; %bb.1252:
	s_cmp_gt_i32 s22, 6
	s_cbranch_scc0 .LBB208_1255
; %bb.1253:
	global_load_dwordx2 v[6:7], v[2:3], off
	s_movk_i32 s0, 0x7fff
	v_mov_b32_e32 v1, 0x7fc0
	s_waitcnt vmcnt(0)
	v_cvt_f32_f64_e32 v6, v[6:7]
	v_bfe_u32 v7, v6, 16, 1
	v_cmp_o_f32_e32 vcc, v6, v6
	v_add3_u32 v6, v6, v7, s0
	s_mov_b64 s[0:1], 0
	v_cndmask_b32_sdwa v6, v1, v6, vcc dst_sel:DWORD dst_unused:UNUSED_PAD src0_sel:DWORD src1_sel:WORD_1
	s_branch .LBB208_1256
.LBB208_1254:
	s_mov_b64 s[0:1], -1
                                        ; implicit-def: $vgpr6
	s_branch .LBB208_1259
.LBB208_1255:
	s_mov_b64 s[0:1], -1
                                        ; implicit-def: $vgpr6
.LBB208_1256:
	s_andn2_b64 vcc, exec, s[0:1]
	s_cbranch_vccnz .LBB208_1258
; %bb.1257:
	global_load_dword v1, v[2:3], off
	s_movk_i32 s0, 0x7fff
	s_waitcnt vmcnt(1)
	v_mov_b32_e32 v6, 0x7fc0
	s_waitcnt vmcnt(0)
	v_bfe_u32 v7, v1, 16, 1
	v_cmp_o_f32_e32 vcc, v1, v1
	v_add3_u32 v1, v1, v7, s0
	s_nop 0
	v_cndmask_b32_sdwa v6, v6, v1, vcc dst_sel:DWORD dst_unused:UNUSED_PAD src0_sel:DWORD src1_sel:WORD_1
.LBB208_1258:
	s_mov_b64 s[0:1], 0
.LBB208_1259:
	s_andn2_b64 vcc, exec, s[0:1]
	s_cbranch_vccnz .LBB208_1261
; %bb.1260:
	global_load_ushort v1, v[2:3], off
	s_movk_i32 s0, 0x7fff
	v_mov_b32_e32 v7, 0x7fc0
	s_waitcnt vmcnt(0)
	v_cvt_f32_f16_e32 v6, v1
	v_cmp_o_f16_e32 vcc, v1, v1
	v_bfe_u32 v1, v6, 16, 1
	v_add3_u32 v1, v6, v1, s0
	v_cndmask_b32_sdwa v6, v7, v1, vcc dst_sel:DWORD dst_unused:UNUSED_PAD src0_sel:DWORD src1_sel:WORD_1
.LBB208_1261:
	s_cbranch_execnz .LBB208_1281
.LBB208_1262:
	s_cmp_lt_i32 s22, 2
	s_cbranch_scc1 .LBB208_1266
; %bb.1263:
	s_cmp_lt_i32 s22, 3
	s_cbranch_scc1 .LBB208_1267
; %bb.1264:
	s_cmp_gt_i32 s22, 3
	s_cbranch_scc0 .LBB208_1268
; %bb.1265:
	global_load_dwordx2 v[6:7], v[2:3], off
	s_movk_i32 s0, 0x7fff
	s_waitcnt vmcnt(0)
	v_xor_b32_e32 v8, v6, v7
	v_ffbh_i32_e32 v1, v7
	v_ashrrev_i32_e32 v8, 31, v8
	v_add_u32_e32 v1, -1, v1
	v_add_u32_e32 v8, 32, v8
	v_min_u32_e32 v1, v1, v8
	v_lshlrev_b64 v[6:7], v1, v[6:7]
	v_min_u32_e32 v6, 1, v6
	v_or_b32_e32 v6, v7, v6
	v_cvt_f32_i32_e32 v6, v6
	v_sub_u32_e32 v1, 32, v1
	v_ldexp_f32 v1, v6, v1
	v_bfe_u32 v6, v1, 16, 1
	v_add3_u32 v1, v1, v6, s0
	v_lshrrev_b32_e32 v6, 16, v1
	s_mov_b64 s[0:1], 0
	s_branch .LBB208_1269
.LBB208_1266:
	s_mov_b64 s[0:1], -1
                                        ; implicit-def: $vgpr6
	s_branch .LBB208_1275
.LBB208_1267:
	s_mov_b64 s[0:1], -1
                                        ; implicit-def: $vgpr6
	s_branch .LBB208_1272
.LBB208_1268:
	s_mov_b64 s[0:1], -1
                                        ; implicit-def: $vgpr6
.LBB208_1269:
	s_andn2_b64 vcc, exec, s[0:1]
	s_cbranch_vccnz .LBB208_1271
; %bb.1270:
	global_load_dword v1, v[2:3], off
	s_movk_i32 s0, 0x7fff
	s_waitcnt vmcnt(0)
	v_cvt_f32_i32_e32 v1, v1
	v_bfe_u32 v6, v1, 16, 1
	v_add3_u32 v1, v1, v6, s0
	v_lshrrev_b32_e32 v6, 16, v1
.LBB208_1271:
	s_mov_b64 s[0:1], 0
.LBB208_1272:
	s_andn2_b64 vcc, exec, s[0:1]
	s_cbranch_vccnz .LBB208_1274
; %bb.1273:
	global_load_sshort v1, v[2:3], off
	s_movk_i32 s0, 0x7fff
	s_waitcnt vmcnt(0)
	v_cvt_f32_i32_e32 v1, v1
	v_bfe_u32 v6, v1, 16, 1
	v_add3_u32 v1, v1, v6, s0
	v_lshrrev_b32_e32 v6, 16, v1
.LBB208_1274:
	s_mov_b64 s[0:1], 0
.LBB208_1275:
	s_andn2_b64 vcc, exec, s[0:1]
	s_cbranch_vccnz .LBB208_1281
; %bb.1276:
	s_cmp_gt_i32 s22, 0
	s_cbranch_scc0 .LBB208_1278
; %bb.1277:
	global_load_sbyte v1, v[2:3], off
	s_movk_i32 s0, 0x7fff
	s_waitcnt vmcnt(0)
	v_cvt_f32_i32_e32 v1, v1
	v_bfe_u32 v6, v1, 16, 1
	v_add3_u32 v1, v1, v6, s0
	v_lshrrev_b32_e32 v6, 16, v1
	s_mov_b64 s[0:1], 0
	s_branch .LBB208_1279
.LBB208_1278:
	s_mov_b64 s[0:1], -1
                                        ; implicit-def: $vgpr6
.LBB208_1279:
	s_andn2_b64 vcc, exec, s[0:1]
	s_cbranch_vccnz .LBB208_1281
; %bb.1280:
	global_load_ubyte v1, v[2:3], off
	s_movk_i32 s0, 0x7fff
	s_waitcnt vmcnt(0)
	v_cvt_f32_ubyte0_e32 v1, v1
	v_bfe_u32 v2, v1, 16, 1
	v_add3_u32 v1, v1, v2, s0
	v_lshrrev_b32_e32 v6, 16, v1
.LBB208_1281:
.LBB208_1282:
	v_add_u32_e32 v0, s9, v0
	v_ashrrev_i32_e32 v1, 31, v0
	s_cmp_lt_i32 s22, 11
	v_lshl_add_u64 v[2:3], s[6:7], 0, v[0:1]
	s_cbranch_scc1 .LBB208_1289
; %bb.1283:
	s_cmp_gt_i32 s22, 25
	s_mov_b64 s[10:11], 0
	s_cbranch_scc0 .LBB208_1291
; %bb.1284:
	s_cmp_gt_i32 s22, 28
	s_cbranch_scc0 .LBB208_1292
; %bb.1285:
	s_cmp_gt_i32 s22, 43
	;; [unrolled: 3-line block ×3, first 2 shown]
	s_cbranch_scc0 .LBB208_1295
; %bb.1287:
	s_cmp_eq_u32 s22, 46
	s_mov_b64 s[18:19], 0
	s_cbranch_scc0 .LBB208_1296
; %bb.1288:
	global_load_dword v7, v[2:3], off
	s_mov_b64 s[0:1], 0
	s_mov_b64 s[16:17], -1
	s_branch .LBB208_1297
.LBB208_1289:
	s_mov_b64 s[16:17], 0
                                        ; implicit-def: $vgpr7
	s_cbranch_execnz .LBB208_1363
.LBB208_1290:
	s_andn2_b64 vcc, exec, s[16:17]
	s_cbranch_vccnz .LBB208_1974
	s_branch .LBB208_1411
.LBB208_1291:
	s_mov_b64 s[18:19], -1
	s_mov_b64 s[16:17], 0
	s_mov_b64 s[0:1], 0
                                        ; implicit-def: $vgpr7
	s_branch .LBB208_1326
.LBB208_1292:
	s_mov_b64 s[18:19], -1
	s_mov_b64 s[16:17], 0
	s_mov_b64 s[0:1], 0
                                        ; implicit-def: $vgpr7
	s_branch .LBB208_1307
.LBB208_1293:
	s_mov_b64 s[18:19], -1
	s_mov_b64 s[16:17], 0
	s_mov_b64 s[0:1], 0
                                        ; implicit-def: $vgpr7
	s_branch .LBB208_1302
.LBB208_1294:
	s_trap 2
	s_or_b64 s[14:15], s[14:15], exec
	s_cbranch_execz .LBB208_1233
	s_branch .LBB208_1234
.LBB208_1295:
	s_mov_b64 s[18:19], -1
	s_mov_b64 s[16:17], 0
	s_mov_b64 s[0:1], 0
                                        ; implicit-def: $vgpr7
	s_branch .LBB208_1297
.LBB208_1296:
	s_mov_b64 s[0:1], -1
                                        ; implicit-def: $vgpr7
	s_mov_b64 s[16:17], 0
.LBB208_1297:
	s_and_b64 vcc, exec, s[18:19]
	s_cbranch_vccz .LBB208_1301
; %bb.1298:
	s_cmp_eq_u32 s22, 44
	s_cbranch_scc0 .LBB208_1300
; %bb.1299:
	global_load_ubyte v1, v[2:3], off
	s_movk_i32 s16, 0xff
	s_waitcnt vmcnt(1)
	v_mov_b32_e32 v7, 0x7f800001
	v_mov_b32_e32 v8, 0x400000
	;; [unrolled: 1-line block ×3, first 2 shown]
	s_mov_b64 s[0:1], 0
	s_waitcnt vmcnt(0)
	v_lshlrev_b32_e32 v10, 23, v1
	v_cmp_ne_u32_e32 vcc, s16, v1
	s_mov_b64 s[16:17], -1
	s_nop 0
	v_cndmask_b32_e32 v7, v7, v10, vcc
	v_cmp_ne_u32_e32 vcc, 0, v1
	s_nop 1
	v_cndmask_b32_e32 v1, v8, v7, vcc
	v_add_u32_e32 v7, 0x7fff, v1
	v_cmp_o_f32_e32 vcc, v1, v1
	s_nop 1
	v_cndmask_b32_sdwa v7, v9, v7, vcc dst_sel:DWORD dst_unused:UNUSED_PAD src0_sel:DWORD src1_sel:WORD_1
	s_branch .LBB208_1301
.LBB208_1300:
	s_mov_b64 s[0:1], -1
                                        ; implicit-def: $vgpr7
.LBB208_1301:
	s_mov_b64 s[18:19], 0
.LBB208_1302:
	s_and_b64 vcc, exec, s[18:19]
	s_cbranch_vccz .LBB208_1306
; %bb.1303:
	s_cmp_eq_u32 s22, 29
	s_cbranch_scc0 .LBB208_1305
; %bb.1304:
	global_load_dwordx2 v[8:9], v[2:3], off
	s_movk_i32 s16, 0x7fff
	s_mov_b64 s[0:1], 0
	s_mov_b64 s[18:19], 0
	s_waitcnt vmcnt(0)
	v_ffbh_u32_e32 v1, v9
	v_min_u32_e32 v1, 32, v1
	v_lshlrev_b64 v[8:9], v1, v[8:9]
	v_min_u32_e32 v7, 1, v8
	v_or_b32_e32 v7, v9, v7
	v_cvt_f32_u32_e32 v7, v7
	v_sub_u32_e32 v1, 32, v1
	v_ldexp_f32 v1, v7, v1
	v_bfe_u32 v7, v1, 16, 1
	v_add3_u32 v1, v1, v7, s16
	v_lshrrev_b32_e32 v7, 16, v1
	s_mov_b64 s[16:17], -1
	s_branch .LBB208_1307
.LBB208_1305:
	s_mov_b64 s[0:1], -1
                                        ; implicit-def: $vgpr7
.LBB208_1306:
	s_mov_b64 s[18:19], 0
.LBB208_1307:
	s_and_b64 vcc, exec, s[18:19]
	s_cbranch_vccz .LBB208_1325
; %bb.1308:
	s_cmp_lt_i32 s22, 27
	s_cbranch_scc1 .LBB208_1311
; %bb.1309:
	s_cmp_gt_i32 s22, 27
	s_cbranch_scc0 .LBB208_1312
; %bb.1310:
	global_load_dword v1, v[2:3], off
	s_movk_i32 s16, 0x7fff
	s_waitcnt vmcnt(0)
	v_cvt_f32_u32_e32 v1, v1
	v_bfe_u32 v7, v1, 16, 1
	v_add3_u32 v1, v1, v7, s16
	v_lshrrev_b32_e32 v7, 16, v1
	s_mov_b64 s[16:17], 0
	s_branch .LBB208_1313
.LBB208_1311:
	s_mov_b64 s[16:17], -1
                                        ; implicit-def: $vgpr7
	s_branch .LBB208_1316
.LBB208_1312:
	s_mov_b64 s[16:17], -1
                                        ; implicit-def: $vgpr7
.LBB208_1313:
	s_andn2_b64 vcc, exec, s[16:17]
	s_cbranch_vccnz .LBB208_1315
; %bb.1314:
	global_load_ushort v1, v[2:3], off
	s_movk_i32 s16, 0x7fff
	s_waitcnt vmcnt(0)
	v_cvt_f32_u32_e32 v1, v1
	v_bfe_u32 v7, v1, 16, 1
	v_add3_u32 v1, v1, v7, s16
	v_lshrrev_b32_e32 v7, 16, v1
.LBB208_1315:
	s_mov_b64 s[16:17], 0
.LBB208_1316:
	s_andn2_b64 vcc, exec, s[16:17]
	s_cbranch_vccnz .LBB208_1324
; %bb.1317:
	global_load_ubyte v1, v[2:3], off
	s_movk_i32 s16, 0x7f
	s_waitcnt vmcnt(0)
	v_cmp_lt_i16_e32 vcc, s16, v1
	s_mov_b64 s[16:17], 0
	s_and_saveexec_b64 s[18:19], vcc
	s_xor_b64 s[18:19], exec, s[18:19]
	s_cbranch_execz .LBB208_1338
; %bb.1318:
	s_movk_i32 s16, 0x80
	v_cmp_eq_u16_e32 vcc, s16, v1
	s_mov_b64 s[16:17], -1
	s_and_saveexec_b64 s[20:21], vcc
; %bb.1319:
	s_xor_b64 s[16:17], exec, -1
; %bb.1320:
	s_or_b64 exec, exec, s[20:21]
	s_and_b64 s[16:17], s[16:17], exec
	s_or_saveexec_b64 s[18:19], s[18:19]
	v_mov_b32_e32 v7, 0x7f800001
	s_xor_b64 exec, exec, s[18:19]
	s_cbranch_execnz .LBB208_1339
.LBB208_1321:
	s_or_b64 exec, exec, s[18:19]
	s_and_saveexec_b64 s[18:19], s[16:17]
	s_cbranch_execz .LBB208_1323
.LBB208_1322:
	v_lshlrev_b32_e32 v7, 24, v1
	v_and_b32_e32 v1, 0xffff, v1
	v_and_b32_e32 v8, 7, v1
	v_ffbh_u32_e32 v10, v8
	v_min_u32_e32 v10, 32, v10
	v_subrev_u32_e32 v11, 28, v10
	v_bfe_u32 v9, v1, 3, 4
	v_lshlrev_b32_e32 v1, v11, v1
	v_sub_u32_e32 v10, 29, v10
	v_and_b32_e32 v1, 7, v1
	v_cmp_eq_u32_e32 vcc, 0, v9
	v_and_b32_e32 v7, 0x80000000, v7
	s_nop 0
	v_cndmask_b32_e32 v9, v9, v10, vcc
	v_cndmask_b32_e32 v1, v8, v1, vcc
	v_mov_b32_e32 v8, 0x3b800000
	v_lshlrev_b32_e32 v1, 20, v1
	v_lshl_add_u32 v8, v9, 23, v8
	v_or3_b32 v7, v7, v8, v1
.LBB208_1323:
	s_or_b64 exec, exec, s[18:19]
	v_bfe_u32 v1, v7, 16, 1
	s_movk_i32 s16, 0x7fff
	v_add3_u32 v1, v7, v1, s16
	v_cmp_o_f32_e32 vcc, v7, v7
	v_mov_b32_e32 v7, 0x7fc0
	s_nop 0
	v_cndmask_b32_sdwa v7, v7, v1, vcc dst_sel:DWORD dst_unused:UNUSED_PAD src0_sel:DWORD src1_sel:WORD_1
.LBB208_1324:
	s_mov_b64 s[16:17], -1
.LBB208_1325:
	s_mov_b64 s[18:19], 0
.LBB208_1326:
	s_and_b64 vcc, exec, s[18:19]
	s_cbranch_vccz .LBB208_1359
; %bb.1327:
	s_cmp_gt_i32 s22, 22
	s_cbranch_scc0 .LBB208_1337
; %bb.1328:
	s_cmp_lt_i32 s22, 24
	s_cbranch_scc1 .LBB208_1340
; %bb.1329:
	s_cmp_gt_i32 s22, 24
	s_cbranch_scc0 .LBB208_1341
; %bb.1330:
	global_load_ubyte v1, v[2:3], off
	s_movk_i32 s10, 0x7f
	s_waitcnt vmcnt(0)
	v_cmp_lt_i16_e32 vcc, s10, v1
	s_mov_b64 s[10:11], 0
	s_and_saveexec_b64 s[16:17], vcc
	s_xor_b64 s[16:17], exec, s[16:17]
	s_cbranch_execz .LBB208_1353
; %bb.1331:
	s_movk_i32 s10, 0x80
	v_cmp_eq_u16_e32 vcc, s10, v1
	s_mov_b64 s[10:11], -1
	s_and_saveexec_b64 s[18:19], vcc
; %bb.1332:
	s_xor_b64 s[10:11], exec, -1
; %bb.1333:
	s_or_b64 exec, exec, s[18:19]
	s_and_b64 s[10:11], s[10:11], exec
	s_or_saveexec_b64 s[16:17], s[16:17]
	v_mov_b32_e32 v7, 0x7f800001
	s_xor_b64 exec, exec, s[16:17]
	s_cbranch_execnz .LBB208_1354
.LBB208_1334:
	s_or_b64 exec, exec, s[16:17]
	s_and_saveexec_b64 s[16:17], s[10:11]
	s_cbranch_execz .LBB208_1336
.LBB208_1335:
	v_lshlrev_b32_e32 v7, 24, v1
	v_and_b32_e32 v1, 0xffff, v1
	v_and_b32_e32 v8, 3, v1
	v_ffbh_u32_e32 v10, v8
	v_min_u32_e32 v10, 32, v10
	v_subrev_u32_e32 v11, 29, v10
	v_bfe_u32 v9, v1, 2, 5
	v_lshlrev_b32_e32 v1, v11, v1
	v_sub_u32_e32 v10, 30, v10
	v_and_b32_e32 v1, 3, v1
	v_cmp_eq_u32_e32 vcc, 0, v9
	v_and_b32_e32 v7, 0x80000000, v7
	s_nop 0
	v_cndmask_b32_e32 v9, v9, v10, vcc
	v_cndmask_b32_e32 v1, v8, v1, vcc
	v_mov_b32_e32 v8, 0x37800000
	v_lshlrev_b32_e32 v1, 21, v1
	v_lshl_add_u32 v8, v9, 23, v8
	v_or3_b32 v7, v7, v8, v1
.LBB208_1336:
	s_or_b64 exec, exec, s[16:17]
	v_bfe_u32 v1, v7, 16, 1
	s_movk_i32 s10, 0x7fff
	v_add3_u32 v1, v7, v1, s10
	v_cmp_o_f32_e32 vcc, v7, v7
	v_mov_b32_e32 v7, 0x7fc0
	s_mov_b64 s[10:11], 0
	v_cndmask_b32_sdwa v7, v7, v1, vcc dst_sel:DWORD dst_unused:UNUSED_PAD src0_sel:DWORD src1_sel:WORD_1
	s_branch .LBB208_1342
.LBB208_1337:
	s_mov_b64 s[10:11], -1
                                        ; implicit-def: $vgpr7
	s_branch .LBB208_1348
.LBB208_1338:
	s_or_saveexec_b64 s[18:19], s[18:19]
	v_mov_b32_e32 v7, 0x7f800001
	s_xor_b64 exec, exec, s[18:19]
	s_cbranch_execz .LBB208_1321
.LBB208_1339:
	v_cmp_ne_u16_e32 vcc, 0, v1
	s_andn2_b64 s[16:17], s[16:17], exec
	s_and_b64 s[20:21], vcc, exec
	v_mov_b32_e32 v7, 0
	s_or_b64 s[16:17], s[16:17], s[20:21]
	s_or_b64 exec, exec, s[18:19]
	s_and_saveexec_b64 s[18:19], s[16:17]
	s_cbranch_execnz .LBB208_1322
	s_branch .LBB208_1323
.LBB208_1340:
	s_mov_b64 s[10:11], -1
                                        ; implicit-def: $vgpr7
	s_branch .LBB208_1345
.LBB208_1341:
	s_mov_b64 s[10:11], -1
                                        ; implicit-def: $vgpr7
.LBB208_1342:
	s_and_b64 vcc, exec, s[10:11]
	s_cbranch_vccz .LBB208_1344
; %bb.1343:
	global_load_ubyte v1, v[2:3], off
	s_mov_b32 s10, 0x7f800000
	s_brev_b32 s11, 1
	s_movk_i32 s16, 0x7fff
	s_waitcnt vmcnt(0)
	v_lshlrev_b32_e32 v1, 24, v1
	v_and_b32_e32 v7, 0x7f000000, v1
	v_ffbh_u32_e32 v8, v7
	v_min_u32_e32 v8, 32, v8
	v_sub_u32_e64 v8, v8, 4 clamp
	v_lshlrev_b32_e32 v10, v8, v7
	v_lshlrev_b32_e32 v8, 23, v8
	v_lshrrev_b32_e32 v10, 4, v10
	v_add_u32_e32 v9, 0x1000000, v7
	v_sub_u32_e32 v8, v10, v8
	v_ashrrev_i32_e32 v9, 8, v9
	v_add_u32_e32 v8, 0x3c000000, v8
	v_and_or_b32 v8, v9, s10, v8
	v_cmp_ne_u32_e32 vcc, 0, v7
	s_nop 1
	v_cndmask_b32_e32 v7, 0, v8, vcc
	v_and_or_b32 v1, v1, s11, v7
	v_bfe_u32 v7, v7, 16, 1
	v_add3_u32 v7, v1, v7, s16
	v_cmp_o_f32_e32 vcc, v1, v1
	v_mov_b32_e32 v1, 0x7fc0
	s_nop 0
	v_cndmask_b32_sdwa v7, v1, v7, vcc dst_sel:DWORD dst_unused:UNUSED_PAD src0_sel:DWORD src1_sel:WORD_1
.LBB208_1344:
	s_mov_b64 s[10:11], 0
.LBB208_1345:
	s_andn2_b64 vcc, exec, s[10:11]
	s_cbranch_vccnz .LBB208_1347
; %bb.1346:
	global_load_ubyte v1, v[2:3], off
	s_movk_i32 s10, 0x7f00
	s_brev_b32 s11, 16
	s_brev_b32 s16, 1
	s_movk_i32 s17, 0x7fff
	s_waitcnt vmcnt(0)
	v_lshlrev_b16_e32 v7, 8, v1
	v_lshlrev_b32_e32 v1, 25, v1
	v_lshrrev_b32_e32 v8, 4, v1
	v_and_or_b32 v9, v7, s10, 0.5
	v_or_b32_e32 v8, 0x70000000, v8
	v_add_f32_e32 v9, -0.5, v9
	v_mul_f32_e32 v8, 0x7800000, v8
	v_cmp_gt_u32_e32 vcc, s11, v1
	v_bfe_i32 v7, v7, 0, 16
	s_nop 0
	v_cndmask_b32_e32 v1, v8, v9, vcc
	v_and_or_b32 v7, v7, s16, v1
	v_bfe_u32 v1, v1, 16, 1
	v_add3_u32 v1, v7, v1, s17
	v_cmp_o_f32_e32 vcc, v7, v7
	v_mov_b32_e32 v7, 0x7fc0
	s_nop 0
	v_cndmask_b32_sdwa v7, v7, v1, vcc dst_sel:DWORD dst_unused:UNUSED_PAD src0_sel:DWORD src1_sel:WORD_1
.LBB208_1347:
	s_mov_b64 s[10:11], 0
	s_mov_b64 s[16:17], -1
.LBB208_1348:
	s_andn2_b64 vcc, exec, s[10:11]
	s_mov_b64 s[10:11], 0
	s_cbranch_vccnz .LBB208_1359
; %bb.1349:
	s_cmp_gt_i32 s22, 14
	s_cbranch_scc0 .LBB208_1352
; %bb.1350:
	s_cmp_eq_u32 s22, 15
	s_cbranch_scc0 .LBB208_1355
; %bb.1351:
	global_load_ushort v7, v[2:3], off
	s_mov_b64 s[0:1], 0
	s_mov_b64 s[16:17], -1
	s_branch .LBB208_1356
.LBB208_1352:
	s_mov_b64 s[18:19], -1
                                        ; implicit-def: $vgpr7
	s_branch .LBB208_1357
.LBB208_1353:
	s_or_saveexec_b64 s[16:17], s[16:17]
	v_mov_b32_e32 v7, 0x7f800001
	s_xor_b64 exec, exec, s[16:17]
	s_cbranch_execz .LBB208_1334
.LBB208_1354:
	v_cmp_ne_u16_e32 vcc, 0, v1
	s_andn2_b64 s[10:11], s[10:11], exec
	s_and_b64 s[18:19], vcc, exec
	v_mov_b32_e32 v7, 0
	s_or_b64 s[10:11], s[10:11], s[18:19]
	s_or_b64 exec, exec, s[16:17]
	s_and_saveexec_b64 s[16:17], s[10:11]
	s_cbranch_execnz .LBB208_1335
	s_branch .LBB208_1336
.LBB208_1355:
	s_mov_b64 s[0:1], -1
                                        ; implicit-def: $vgpr7
.LBB208_1356:
	s_mov_b64 s[18:19], 0
.LBB208_1357:
	s_and_b64 vcc, exec, s[18:19]
	s_cbranch_vccz .LBB208_1359
; %bb.1358:
	s_cmp_lg_u32 s22, 11
	s_mov_b64 s[10:11], -1
	s_cselect_b64 s[0:1], -1, 0
.LBB208_1359:
	s_and_b64 vcc, exec, s[0:1]
	s_cbranch_vccnz .LBB208_1422
; %bb.1360:
	s_andn2_b64 vcc, exec, s[10:11]
	s_cbranch_vccnz .LBB208_1362
.LBB208_1361:
	global_load_ubyte v1, v[2:3], off
	s_mov_b64 s[16:17], -1
	s_waitcnt vmcnt(0)
	v_cmp_ne_u16_e32 vcc, 0, v1
	s_nop 1
	v_cndmask_b32_e64 v1, 0, 1.0, vcc
	v_lshrrev_b32_e32 v7, 16, v1
.LBB208_1362:
	s_branch .LBB208_1290
.LBB208_1363:
	s_cmp_lt_i32 s22, 5
	s_cbranch_scc1 .LBB208_1368
; %bb.1364:
	s_cmp_lt_i32 s22, 8
	s_cbranch_scc1 .LBB208_1369
; %bb.1365:
	;; [unrolled: 3-line block ×3, first 2 shown]
	s_cmp_gt_i32 s22, 9
	s_cbranch_scc0 .LBB208_1371
; %bb.1367:
	global_load_dwordx2 v[8:9], v[2:3], off
	s_movk_i32 s0, 0x7fff
	v_mov_b32_e32 v1, 0x7fc0
	s_waitcnt vmcnt(0)
	v_cvt_f32_f64_e32 v7, v[8:9]
	v_bfe_u32 v8, v7, 16, 1
	v_cmp_o_f32_e32 vcc, v7, v7
	v_add3_u32 v7, v7, v8, s0
	s_mov_b64 s[0:1], 0
	v_cndmask_b32_sdwa v7, v1, v7, vcc dst_sel:DWORD dst_unused:UNUSED_PAD src0_sel:DWORD src1_sel:WORD_1
	s_branch .LBB208_1372
.LBB208_1368:
	s_mov_b64 s[0:1], -1
                                        ; implicit-def: $vgpr7
	s_branch .LBB208_1390
.LBB208_1369:
	s_mov_b64 s[0:1], -1
                                        ; implicit-def: $vgpr7
	s_branch .LBB208_1378
.LBB208_1370:
	s_mov_b64 s[0:1], -1
                                        ; implicit-def: $vgpr7
	s_branch .LBB208_1375
.LBB208_1371:
	s_mov_b64 s[0:1], -1
                                        ; implicit-def: $vgpr7
.LBB208_1372:
	s_andn2_b64 vcc, exec, s[0:1]
	s_cbranch_vccnz .LBB208_1374
; %bb.1373:
	global_load_dword v1, v[2:3], off
	s_movk_i32 s0, 0x7fff
	s_waitcnt vmcnt(1)
	v_mov_b32_e32 v7, 0x7fc0
	s_waitcnt vmcnt(0)
	v_bfe_u32 v8, v1, 16, 1
	v_cmp_o_f32_e32 vcc, v1, v1
	v_add3_u32 v1, v1, v8, s0
	s_nop 0
	v_cndmask_b32_sdwa v7, v7, v1, vcc dst_sel:DWORD dst_unused:UNUSED_PAD src0_sel:DWORD src1_sel:WORD_1
.LBB208_1374:
	s_mov_b64 s[0:1], 0
.LBB208_1375:
	s_andn2_b64 vcc, exec, s[0:1]
	s_cbranch_vccnz .LBB208_1377
; %bb.1376:
	global_load_dword v1, v[2:3], off
	s_movk_i32 s0, 0x7fff
	v_mov_b32_e32 v8, 0x7fc0
	s_waitcnt vmcnt(0)
	v_cvt_f32_f16_e32 v7, v1
	v_cmp_o_f16_e32 vcc, v1, v1
	v_bfe_u32 v1, v7, 16, 1
	v_add3_u32 v1, v7, v1, s0
	v_cndmask_b32_sdwa v7, v8, v1, vcc dst_sel:DWORD dst_unused:UNUSED_PAD src0_sel:DWORD src1_sel:WORD_1
.LBB208_1377:
	s_mov_b64 s[0:1], 0
.LBB208_1378:
	s_andn2_b64 vcc, exec, s[0:1]
	s_cbranch_vccnz .LBB208_1389
; %bb.1379:
	s_cmp_lt_i32 s22, 6
	s_cbranch_scc1 .LBB208_1382
; %bb.1380:
	s_cmp_gt_i32 s22, 6
	s_cbranch_scc0 .LBB208_1383
; %bb.1381:
	global_load_dwordx2 v[8:9], v[2:3], off
	s_movk_i32 s0, 0x7fff
	v_mov_b32_e32 v1, 0x7fc0
	s_waitcnt vmcnt(0)
	v_cvt_f32_f64_e32 v7, v[8:9]
	v_bfe_u32 v8, v7, 16, 1
	v_cmp_o_f32_e32 vcc, v7, v7
	v_add3_u32 v7, v7, v8, s0
	s_mov_b64 s[0:1], 0
	v_cndmask_b32_sdwa v7, v1, v7, vcc dst_sel:DWORD dst_unused:UNUSED_PAD src0_sel:DWORD src1_sel:WORD_1
	s_branch .LBB208_1384
.LBB208_1382:
	s_mov_b64 s[0:1], -1
                                        ; implicit-def: $vgpr7
	s_branch .LBB208_1387
.LBB208_1383:
	s_mov_b64 s[0:1], -1
                                        ; implicit-def: $vgpr7
.LBB208_1384:
	s_andn2_b64 vcc, exec, s[0:1]
	s_cbranch_vccnz .LBB208_1386
; %bb.1385:
	global_load_dword v1, v[2:3], off
	s_movk_i32 s0, 0x7fff
	s_waitcnt vmcnt(1)
	v_mov_b32_e32 v7, 0x7fc0
	s_waitcnt vmcnt(0)
	v_bfe_u32 v8, v1, 16, 1
	v_cmp_o_f32_e32 vcc, v1, v1
	v_add3_u32 v1, v1, v8, s0
	s_nop 0
	v_cndmask_b32_sdwa v7, v7, v1, vcc dst_sel:DWORD dst_unused:UNUSED_PAD src0_sel:DWORD src1_sel:WORD_1
.LBB208_1386:
	s_mov_b64 s[0:1], 0
.LBB208_1387:
	s_andn2_b64 vcc, exec, s[0:1]
	s_cbranch_vccnz .LBB208_1389
; %bb.1388:
	global_load_ushort v1, v[2:3], off
	s_movk_i32 s0, 0x7fff
	v_mov_b32_e32 v8, 0x7fc0
	s_waitcnt vmcnt(0)
	v_cvt_f32_f16_e32 v7, v1
	v_cmp_o_f16_e32 vcc, v1, v1
	v_bfe_u32 v1, v7, 16, 1
	v_add3_u32 v1, v7, v1, s0
	v_cndmask_b32_sdwa v7, v8, v1, vcc dst_sel:DWORD dst_unused:UNUSED_PAD src0_sel:DWORD src1_sel:WORD_1
.LBB208_1389:
	s_mov_b64 s[0:1], 0
.LBB208_1390:
	s_andn2_b64 vcc, exec, s[0:1]
	s_cbranch_vccnz .LBB208_1410
; %bb.1391:
	s_cmp_lt_i32 s22, 2
	s_cbranch_scc1 .LBB208_1395
; %bb.1392:
	s_cmp_lt_i32 s22, 3
	s_cbranch_scc1 .LBB208_1396
; %bb.1393:
	s_cmp_gt_i32 s22, 3
	s_cbranch_scc0 .LBB208_1397
; %bb.1394:
	global_load_dwordx2 v[8:9], v[2:3], off
	s_movk_i32 s0, 0x7fff
	s_waitcnt vmcnt(0)
	v_xor_b32_e32 v7, v8, v9
	v_ffbh_i32_e32 v1, v9
	v_ashrrev_i32_e32 v7, 31, v7
	v_add_u32_e32 v1, -1, v1
	v_add_u32_e32 v7, 32, v7
	v_min_u32_e32 v1, v1, v7
	v_lshlrev_b64 v[8:9], v1, v[8:9]
	v_min_u32_e32 v7, 1, v8
	v_or_b32_e32 v7, v9, v7
	v_cvt_f32_i32_e32 v7, v7
	v_sub_u32_e32 v1, 32, v1
	v_ldexp_f32 v1, v7, v1
	v_bfe_u32 v7, v1, 16, 1
	v_add3_u32 v1, v1, v7, s0
	v_lshrrev_b32_e32 v7, 16, v1
	s_mov_b64 s[0:1], 0
	s_branch .LBB208_1398
.LBB208_1395:
	s_mov_b64 s[0:1], -1
                                        ; implicit-def: $vgpr7
	s_branch .LBB208_1404
.LBB208_1396:
	s_mov_b64 s[0:1], -1
                                        ; implicit-def: $vgpr7
	s_branch .LBB208_1401
.LBB208_1397:
	s_mov_b64 s[0:1], -1
                                        ; implicit-def: $vgpr7
.LBB208_1398:
	s_andn2_b64 vcc, exec, s[0:1]
	s_cbranch_vccnz .LBB208_1400
; %bb.1399:
	global_load_dword v1, v[2:3], off
	s_movk_i32 s0, 0x7fff
	s_waitcnt vmcnt(0)
	v_cvt_f32_i32_e32 v1, v1
	v_bfe_u32 v7, v1, 16, 1
	v_add3_u32 v1, v1, v7, s0
	v_lshrrev_b32_e32 v7, 16, v1
.LBB208_1400:
	s_mov_b64 s[0:1], 0
.LBB208_1401:
	s_andn2_b64 vcc, exec, s[0:1]
	s_cbranch_vccnz .LBB208_1403
; %bb.1402:
	global_load_sshort v1, v[2:3], off
	s_movk_i32 s0, 0x7fff
	s_waitcnt vmcnt(0)
	v_cvt_f32_i32_e32 v1, v1
	v_bfe_u32 v7, v1, 16, 1
	v_add3_u32 v1, v1, v7, s0
	v_lshrrev_b32_e32 v7, 16, v1
.LBB208_1403:
	s_mov_b64 s[0:1], 0
.LBB208_1404:
	s_andn2_b64 vcc, exec, s[0:1]
	s_cbranch_vccnz .LBB208_1410
; %bb.1405:
	s_cmp_gt_i32 s22, 0
	s_cbranch_scc0 .LBB208_1407
; %bb.1406:
	global_load_sbyte v1, v[2:3], off
	s_movk_i32 s0, 0x7fff
	s_waitcnt vmcnt(0)
	v_cvt_f32_i32_e32 v1, v1
	v_bfe_u32 v7, v1, 16, 1
	v_add3_u32 v1, v1, v7, s0
	v_lshrrev_b32_e32 v7, 16, v1
	s_mov_b64 s[0:1], 0
	s_branch .LBB208_1408
.LBB208_1407:
	s_mov_b64 s[0:1], -1
                                        ; implicit-def: $vgpr7
.LBB208_1408:
	s_andn2_b64 vcc, exec, s[0:1]
	s_cbranch_vccnz .LBB208_1410
; %bb.1409:
	global_load_ubyte v1, v[2:3], off
	s_movk_i32 s0, 0x7fff
	s_waitcnt vmcnt(0)
	v_cvt_f32_ubyte0_e32 v1, v1
	v_bfe_u32 v2, v1, 16, 1
	v_add3_u32 v1, v1, v2, s0
	v_lshrrev_b32_e32 v7, 16, v1
.LBB208_1410:
.LBB208_1411:
	v_add_u32_e32 v0, s9, v0
	v_ashrrev_i32_e32 v1, 31, v0
	s_cmp_lt_i32 s22, 11
	v_lshl_add_u64 v[0:1], s[6:7], 0, v[0:1]
	s_cbranch_scc1 .LBB208_1418
; %bb.1412:
	s_cmp_gt_i32 s22, 25
	s_mov_b64 s[6:7], 0
	s_cbranch_scc0 .LBB208_1419
; %bb.1413:
	s_cmp_gt_i32 s22, 28
	s_cbranch_scc0 .LBB208_1420
; %bb.1414:
	s_cmp_gt_i32 s22, 43
	s_cbranch_scc0 .LBB208_1421
; %bb.1415:
	s_cmp_gt_i32 s22, 45
	s_cbranch_scc0 .LBB208_1423
; %bb.1416:
	s_cmp_eq_u32 s22, 46
	s_mov_b64 s[16:17], 0
	s_cbranch_scc0 .LBB208_1424
; %bb.1417:
	global_load_dword v8, v[0:1], off
	s_mov_b64 s[0:1], 0
	s_mov_b64 s[10:11], -1
	s_branch .LBB208_1425
.LBB208_1418:
	s_mov_b64 s[0:1], -1
	s_mov_b64 s[10:11], 0
                                        ; implicit-def: $vgpr8
	s_branch .LBB208_1491
.LBB208_1419:
	s_mov_b64 s[16:17], -1
	s_mov_b64 s[10:11], 0
	s_mov_b64 s[0:1], 0
                                        ; implicit-def: $vgpr8
	s_branch .LBB208_1454
.LBB208_1420:
	s_mov_b64 s[16:17], -1
	s_mov_b64 s[10:11], 0
	s_mov_b64 s[0:1], 0
                                        ; implicit-def: $vgpr8
	s_branch .LBB208_1435
.LBB208_1421:
	s_mov_b64 s[16:17], -1
	s_mov_b64 s[10:11], 0
	s_mov_b64 s[0:1], 0
                                        ; implicit-def: $vgpr8
	s_branch .LBB208_1430
.LBB208_1422:
	s_trap 2
	s_or_b64 s[14:15], s[14:15], exec
	s_cbranch_execz .LBB208_1361
	s_branch .LBB208_1362
.LBB208_1423:
	s_mov_b64 s[16:17], -1
	s_mov_b64 s[10:11], 0
	s_mov_b64 s[0:1], 0
                                        ; implicit-def: $vgpr8
	s_branch .LBB208_1425
.LBB208_1424:
	s_mov_b64 s[0:1], -1
                                        ; implicit-def: $vgpr8
	s_mov_b64 s[10:11], 0
.LBB208_1425:
	s_and_b64 vcc, exec, s[16:17]
	s_cbranch_vccz .LBB208_1429
; %bb.1426:
	s_cmp_eq_u32 s22, 44
	s_cbranch_scc0 .LBB208_1428
; %bb.1427:
	global_load_ubyte v2, v[0:1], off
	s_movk_i32 s9, 0xff
	v_mov_b32_e32 v3, 0x7f800001
	s_waitcnt vmcnt(1)
	v_mov_b32_e32 v8, 0x400000
	v_mov_b32_e32 v9, 0x7fc0
	s_mov_b64 s[0:1], 0
	s_mov_b64 s[10:11], -1
	s_waitcnt vmcnt(0)
	v_lshlrev_b32_e32 v10, 23, v2
	v_cmp_ne_u32_e32 vcc, s9, v2
	s_nop 1
	v_cndmask_b32_e32 v3, v3, v10, vcc
	v_cmp_ne_u32_e32 vcc, 0, v2
	s_nop 1
	v_cndmask_b32_e32 v2, v8, v3, vcc
	v_add_u32_e32 v3, 0x7fff, v2
	v_cmp_o_f32_e32 vcc, v2, v2
	s_nop 1
	v_cndmask_b32_sdwa v8, v9, v3, vcc dst_sel:DWORD dst_unused:UNUSED_PAD src0_sel:DWORD src1_sel:WORD_1
	s_branch .LBB208_1429
.LBB208_1428:
	s_mov_b64 s[0:1], -1
                                        ; implicit-def: $vgpr8
.LBB208_1429:
	s_mov_b64 s[16:17], 0
.LBB208_1430:
	s_and_b64 vcc, exec, s[16:17]
	s_cbranch_vccz .LBB208_1434
; %bb.1431:
	s_cmp_eq_u32 s22, 29
	s_cbranch_scc0 .LBB208_1433
; %bb.1432:
	global_load_dwordx2 v[2:3], v[0:1], off
	s_movk_i32 s9, 0x7fff
	s_mov_b64 s[0:1], 0
	s_mov_b64 s[10:11], -1
	s_mov_b64 s[16:17], 0
	s_waitcnt vmcnt(0)
	v_ffbh_u32_e32 v8, v3
	v_min_u32_e32 v8, 32, v8
	v_lshlrev_b64 v[2:3], v8, v[2:3]
	v_min_u32_e32 v2, 1, v2
	v_or_b32_e32 v2, v3, v2
	v_cvt_f32_u32_e32 v2, v2
	v_sub_u32_e32 v3, 32, v8
	v_ldexp_f32 v2, v2, v3
	v_bfe_u32 v3, v2, 16, 1
	v_add3_u32 v2, v2, v3, s9
	v_lshrrev_b32_e32 v8, 16, v2
	s_branch .LBB208_1435
.LBB208_1433:
	s_mov_b64 s[0:1], -1
                                        ; implicit-def: $vgpr8
.LBB208_1434:
	s_mov_b64 s[16:17], 0
.LBB208_1435:
	s_and_b64 vcc, exec, s[16:17]
	s_cbranch_vccz .LBB208_1453
; %bb.1436:
	s_cmp_lt_i32 s22, 27
	s_cbranch_scc1 .LBB208_1439
; %bb.1437:
	s_cmp_gt_i32 s22, 27
	s_cbranch_scc0 .LBB208_1440
; %bb.1438:
	global_load_dword v2, v[0:1], off
	s_movk_i32 s9, 0x7fff
	s_mov_b64 s[10:11], 0
	s_waitcnt vmcnt(0)
	v_cvt_f32_u32_e32 v2, v2
	v_bfe_u32 v3, v2, 16, 1
	v_add3_u32 v2, v2, v3, s9
	v_lshrrev_b32_e32 v8, 16, v2
	s_branch .LBB208_1441
.LBB208_1439:
	s_mov_b64 s[10:11], -1
                                        ; implicit-def: $vgpr8
	s_branch .LBB208_1444
.LBB208_1440:
	s_mov_b64 s[10:11], -1
                                        ; implicit-def: $vgpr8
.LBB208_1441:
	s_andn2_b64 vcc, exec, s[10:11]
	s_cbranch_vccnz .LBB208_1443
; %bb.1442:
	global_load_ushort v2, v[0:1], off
	s_movk_i32 s9, 0x7fff
	s_waitcnt vmcnt(0)
	v_cvt_f32_u32_e32 v2, v2
	v_bfe_u32 v3, v2, 16, 1
	v_add3_u32 v2, v2, v3, s9
	v_lshrrev_b32_e32 v8, 16, v2
.LBB208_1443:
	s_mov_b64 s[10:11], 0
.LBB208_1444:
	s_andn2_b64 vcc, exec, s[10:11]
	s_cbranch_vccnz .LBB208_1452
; %bb.1445:
	global_load_ubyte v2, v[0:1], off
	s_movk_i32 s9, 0x7f
	s_mov_b64 s[10:11], 0
	s_waitcnt vmcnt(0)
	v_cmp_lt_i16_e32 vcc, s9, v2
	s_and_saveexec_b64 s[16:17], vcc
	s_xor_b64 s[16:17], exec, s[16:17]
	s_cbranch_execz .LBB208_1466
; %bb.1446:
	s_movk_i32 s9, 0x80
	v_cmp_eq_u16_e32 vcc, s9, v2
	s_mov_b64 s[10:11], -1
	s_and_saveexec_b64 s[18:19], vcc
; %bb.1447:
	s_xor_b64 s[10:11], exec, -1
; %bb.1448:
	s_or_b64 exec, exec, s[18:19]
	s_and_b64 s[10:11], s[10:11], exec
	s_or_saveexec_b64 s[16:17], s[16:17]
	v_mov_b32_e32 v3, 0x7f800001
	s_xor_b64 exec, exec, s[16:17]
	s_cbranch_execnz .LBB208_1467
.LBB208_1449:
	s_or_b64 exec, exec, s[16:17]
	s_and_saveexec_b64 s[16:17], s[10:11]
	s_cbranch_execz .LBB208_1451
.LBB208_1450:
	v_lshlrev_b32_e32 v3, 24, v2
	v_and_b32_e32 v2, 0xffff, v2
	v_and_b32_e32 v8, 7, v2
	v_ffbh_u32_e32 v10, v8
	v_min_u32_e32 v10, 32, v10
	v_subrev_u32_e32 v11, 28, v10
	v_bfe_u32 v9, v2, 3, 4
	v_lshlrev_b32_e32 v2, v11, v2
	v_sub_u32_e32 v10, 29, v10
	v_and_b32_e32 v2, 7, v2
	v_cmp_eq_u32_e32 vcc, 0, v9
	v_and_b32_e32 v3, 0x80000000, v3
	s_nop 0
	v_cndmask_b32_e32 v9, v9, v10, vcc
	v_cndmask_b32_e32 v2, v8, v2, vcc
	v_mov_b32_e32 v8, 0x3b800000
	v_lshlrev_b32_e32 v2, 20, v2
	v_lshl_add_u32 v8, v9, 23, v8
	v_or3_b32 v3, v3, v8, v2
.LBB208_1451:
	s_or_b64 exec, exec, s[16:17]
	v_bfe_u32 v2, v3, 16, 1
	s_movk_i32 s9, 0x7fff
	v_add3_u32 v2, v3, v2, s9
	v_cmp_o_f32_e32 vcc, v3, v3
	v_mov_b32_e32 v3, 0x7fc0
	s_nop 0
	v_cndmask_b32_sdwa v8, v3, v2, vcc dst_sel:DWORD dst_unused:UNUSED_PAD src0_sel:DWORD src1_sel:WORD_1
.LBB208_1452:
	s_mov_b64 s[10:11], -1
.LBB208_1453:
	s_mov_b64 s[16:17], 0
.LBB208_1454:
	s_and_b64 vcc, exec, s[16:17]
	s_cbranch_vccz .LBB208_1487
; %bb.1455:
	s_cmp_gt_i32 s22, 22
	s_cbranch_scc0 .LBB208_1465
; %bb.1456:
	s_cmp_lt_i32 s22, 24
	s_cbranch_scc1 .LBB208_1468
; %bb.1457:
	s_cmp_gt_i32 s22, 24
	s_cbranch_scc0 .LBB208_1469
; %bb.1458:
	global_load_ubyte v2, v[0:1], off
	s_movk_i32 s6, 0x7f
	s_waitcnt vmcnt(0)
	v_cmp_lt_i16_e32 vcc, s6, v2
	s_mov_b64 s[6:7], 0
	s_and_saveexec_b64 s[10:11], vcc
	s_xor_b64 s[10:11], exec, s[10:11]
	s_cbranch_execz .LBB208_1481
; %bb.1459:
	s_movk_i32 s6, 0x80
	v_cmp_eq_u16_e32 vcc, s6, v2
	s_mov_b64 s[6:7], -1
	s_and_saveexec_b64 s[16:17], vcc
; %bb.1460:
	s_xor_b64 s[6:7], exec, -1
; %bb.1461:
	s_or_b64 exec, exec, s[16:17]
	s_and_b64 s[6:7], s[6:7], exec
	s_or_saveexec_b64 s[10:11], s[10:11]
	v_mov_b32_e32 v3, 0x7f800001
	s_xor_b64 exec, exec, s[10:11]
	s_cbranch_execnz .LBB208_1482
.LBB208_1462:
	s_or_b64 exec, exec, s[10:11]
	s_and_saveexec_b64 s[10:11], s[6:7]
	s_cbranch_execz .LBB208_1464
.LBB208_1463:
	v_lshlrev_b32_e32 v3, 24, v2
	v_and_b32_e32 v2, 0xffff, v2
	v_and_b32_e32 v8, 3, v2
	v_ffbh_u32_e32 v10, v8
	v_min_u32_e32 v10, 32, v10
	v_subrev_u32_e32 v11, 29, v10
	v_bfe_u32 v9, v2, 2, 5
	v_lshlrev_b32_e32 v2, v11, v2
	v_sub_u32_e32 v10, 30, v10
	v_and_b32_e32 v2, 3, v2
	v_cmp_eq_u32_e32 vcc, 0, v9
	v_and_b32_e32 v3, 0x80000000, v3
	s_nop 0
	v_cndmask_b32_e32 v9, v9, v10, vcc
	v_cndmask_b32_e32 v2, v8, v2, vcc
	v_mov_b32_e32 v8, 0x37800000
	v_lshlrev_b32_e32 v2, 21, v2
	v_lshl_add_u32 v8, v9, 23, v8
	v_or3_b32 v3, v3, v8, v2
.LBB208_1464:
	s_or_b64 exec, exec, s[10:11]
	v_bfe_u32 v2, v3, 16, 1
	s_movk_i32 s6, 0x7fff
	v_add3_u32 v2, v3, v2, s6
	v_cmp_o_f32_e32 vcc, v3, v3
	v_mov_b32_e32 v3, 0x7fc0
	s_mov_b64 s[6:7], 0
	v_cndmask_b32_sdwa v8, v3, v2, vcc dst_sel:DWORD dst_unused:UNUSED_PAD src0_sel:DWORD src1_sel:WORD_1
	s_branch .LBB208_1470
.LBB208_1465:
	s_mov_b64 s[6:7], -1
                                        ; implicit-def: $vgpr8
	s_branch .LBB208_1476
.LBB208_1466:
	s_or_saveexec_b64 s[16:17], s[16:17]
	v_mov_b32_e32 v3, 0x7f800001
	s_xor_b64 exec, exec, s[16:17]
	s_cbranch_execz .LBB208_1449
.LBB208_1467:
	v_cmp_ne_u16_e32 vcc, 0, v2
	s_andn2_b64 s[10:11], s[10:11], exec
	s_and_b64 s[18:19], vcc, exec
	v_mov_b32_e32 v3, 0
	s_or_b64 s[10:11], s[10:11], s[18:19]
	s_or_b64 exec, exec, s[16:17]
	s_and_saveexec_b64 s[16:17], s[10:11]
	s_cbranch_execnz .LBB208_1450
	s_branch .LBB208_1451
.LBB208_1468:
	s_mov_b64 s[6:7], -1
                                        ; implicit-def: $vgpr8
	s_branch .LBB208_1473
.LBB208_1469:
	s_mov_b64 s[6:7], -1
                                        ; implicit-def: $vgpr8
.LBB208_1470:
	s_and_b64 vcc, exec, s[6:7]
	s_cbranch_vccz .LBB208_1472
; %bb.1471:
	global_load_ubyte v2, v[0:1], off
	s_mov_b32 s6, 0x7f800000
	s_brev_b32 s7, 1
	s_movk_i32 s9, 0x7fff
	s_waitcnt vmcnt(0)
	v_lshlrev_b32_e32 v2, 24, v2
	v_and_b32_e32 v3, 0x7f000000, v2
	v_ffbh_u32_e32 v8, v3
	v_min_u32_e32 v8, 32, v8
	v_sub_u32_e64 v8, v8, 4 clamp
	v_lshlrev_b32_e32 v10, v8, v3
	v_lshlrev_b32_e32 v8, 23, v8
	v_lshrrev_b32_e32 v10, 4, v10
	v_add_u32_e32 v9, 0x1000000, v3
	v_sub_u32_e32 v8, v10, v8
	v_ashrrev_i32_e32 v9, 8, v9
	v_add_u32_e32 v8, 0x3c000000, v8
	v_and_or_b32 v8, v9, s6, v8
	v_cmp_ne_u32_e32 vcc, 0, v3
	s_nop 1
	v_cndmask_b32_e32 v3, 0, v8, vcc
	v_and_or_b32 v2, v2, s7, v3
	v_bfe_u32 v3, v3, 16, 1
	v_add3_u32 v3, v2, v3, s9
	v_cmp_o_f32_e32 vcc, v2, v2
	v_mov_b32_e32 v2, 0x7fc0
	s_nop 0
	v_cndmask_b32_sdwa v8, v2, v3, vcc dst_sel:DWORD dst_unused:UNUSED_PAD src0_sel:DWORD src1_sel:WORD_1
.LBB208_1472:
	s_mov_b64 s[6:7], 0
.LBB208_1473:
	s_andn2_b64 vcc, exec, s[6:7]
	s_cbranch_vccnz .LBB208_1475
; %bb.1474:
	global_load_ubyte v2, v[0:1], off
	s_movk_i32 s6, 0x7f00
	s_brev_b32 s7, 16
	s_brev_b32 s9, 1
	s_movk_i32 s10, 0x7fff
	s_waitcnt vmcnt(0)
	v_lshlrev_b16_e32 v3, 8, v2
	v_lshlrev_b32_e32 v2, 25, v2
	v_lshrrev_b32_e32 v8, 4, v2
	v_and_or_b32 v9, v3, s6, 0.5
	v_or_b32_e32 v8, 0x70000000, v8
	v_add_f32_e32 v9, -0.5, v9
	v_mul_f32_e32 v8, 0x7800000, v8
	v_cmp_gt_u32_e32 vcc, s7, v2
	v_bfe_i32 v3, v3, 0, 16
	s_nop 0
	v_cndmask_b32_e32 v2, v8, v9, vcc
	v_and_or_b32 v3, v3, s9, v2
	v_bfe_u32 v2, v2, 16, 1
	v_add3_u32 v2, v3, v2, s10
	v_cmp_o_f32_e32 vcc, v3, v3
	v_mov_b32_e32 v3, 0x7fc0
	s_nop 0
	v_cndmask_b32_sdwa v8, v3, v2, vcc dst_sel:DWORD dst_unused:UNUSED_PAD src0_sel:DWORD src1_sel:WORD_1
.LBB208_1475:
	s_mov_b64 s[6:7], 0
	s_mov_b64 s[10:11], -1
.LBB208_1476:
	s_andn2_b64 vcc, exec, s[6:7]
	s_mov_b64 s[6:7], 0
	s_cbranch_vccnz .LBB208_1487
; %bb.1477:
	s_cmp_gt_i32 s22, 14
	s_cbranch_scc0 .LBB208_1480
; %bb.1478:
	s_cmp_eq_u32 s22, 15
	s_cbranch_scc0 .LBB208_1483
; %bb.1479:
	global_load_ushort v8, v[0:1], off
	s_mov_b64 s[0:1], 0
	s_mov_b64 s[10:11], -1
	s_branch .LBB208_1484
.LBB208_1480:
	s_mov_b64 s[16:17], -1
                                        ; implicit-def: $vgpr8
	s_branch .LBB208_1485
.LBB208_1481:
	s_or_saveexec_b64 s[10:11], s[10:11]
	v_mov_b32_e32 v3, 0x7f800001
	s_xor_b64 exec, exec, s[10:11]
	s_cbranch_execz .LBB208_1462
.LBB208_1482:
	v_cmp_ne_u16_e32 vcc, 0, v2
	s_andn2_b64 s[6:7], s[6:7], exec
	s_and_b64 s[16:17], vcc, exec
	v_mov_b32_e32 v3, 0
	s_or_b64 s[6:7], s[6:7], s[16:17]
	s_or_b64 exec, exec, s[10:11]
	s_and_saveexec_b64 s[10:11], s[6:7]
	s_cbranch_execnz .LBB208_1463
	s_branch .LBB208_1464
.LBB208_1483:
	s_mov_b64 s[0:1], -1
                                        ; implicit-def: $vgpr8
.LBB208_1484:
	s_mov_b64 s[16:17], 0
.LBB208_1485:
	s_and_b64 vcc, exec, s[16:17]
	s_cbranch_vccz .LBB208_1487
; %bb.1486:
	s_cmp_lg_u32 s22, 11
	s_mov_b64 s[6:7], -1
	s_cselect_b64 s[0:1], -1, 0
.LBB208_1487:
	s_and_b64 vcc, exec, s[0:1]
	s_cbranch_vccnz .LBB208_2020
; %bb.1488:
	s_andn2_b64 vcc, exec, s[6:7]
	s_cbranch_vccnz .LBB208_1490
.LBB208_1489:
	global_load_ubyte v2, v[0:1], off
	s_mov_b64 s[10:11], -1
	s_waitcnt vmcnt(0)
	v_cmp_ne_u16_e32 vcc, 0, v2
	s_nop 1
	v_cndmask_b32_e64 v2, 0, 1.0, vcc
	v_lshrrev_b32_e32 v8, 16, v2
.LBB208_1490:
	s_mov_b64 s[0:1], 0
.LBB208_1491:
	s_and_b64 vcc, exec, s[0:1]
	s_cbranch_vccz .LBB208_1540
; %bb.1492:
	s_cmp_lt_i32 s22, 5
	s_cbranch_scc1 .LBB208_1497
; %bb.1493:
	s_cmp_lt_i32 s22, 8
	s_cbranch_scc1 .LBB208_1498
	;; [unrolled: 3-line block ×3, first 2 shown]
; %bb.1495:
	s_cmp_gt_i32 s22, 9
	s_cbranch_scc0 .LBB208_1500
; %bb.1496:
	global_load_dwordx2 v[2:3], v[0:1], off
	s_movk_i32 s0, 0x7fff
	s_waitcnt vmcnt(1)
	v_mov_b32_e32 v8, 0x7fc0
	s_waitcnt vmcnt(0)
	v_cvt_f32_f64_e32 v2, v[2:3]
	v_bfe_u32 v3, v2, 16, 1
	v_cmp_o_f32_e32 vcc, v2, v2
	v_add3_u32 v2, v2, v3, s0
	s_mov_b64 s[0:1], 0
	v_cndmask_b32_sdwa v8, v8, v2, vcc dst_sel:DWORD dst_unused:UNUSED_PAD src0_sel:DWORD src1_sel:WORD_1
	s_branch .LBB208_1501
.LBB208_1497:
	s_mov_b64 s[0:1], -1
                                        ; implicit-def: $vgpr8
	s_branch .LBB208_1519
.LBB208_1498:
	s_mov_b64 s[0:1], -1
                                        ; implicit-def: $vgpr8
	s_branch .LBB208_1507
.LBB208_1499:
	s_mov_b64 s[0:1], -1
                                        ; implicit-def: $vgpr8
	s_branch .LBB208_1504
.LBB208_1500:
	s_mov_b64 s[0:1], -1
                                        ; implicit-def: $vgpr8
.LBB208_1501:
	s_andn2_b64 vcc, exec, s[0:1]
	s_cbranch_vccnz .LBB208_1503
; %bb.1502:
	global_load_dword v2, v[0:1], off
	s_movk_i32 s0, 0x7fff
	v_mov_b32_e32 v3, 0x7fc0
	s_waitcnt vmcnt(0)
	v_bfe_u32 v8, v2, 16, 1
	v_cmp_o_f32_e32 vcc, v2, v2
	v_add3_u32 v2, v2, v8, s0
	s_nop 0
	v_cndmask_b32_sdwa v8, v3, v2, vcc dst_sel:DWORD dst_unused:UNUSED_PAD src0_sel:DWORD src1_sel:WORD_1
.LBB208_1503:
	s_mov_b64 s[0:1], 0
.LBB208_1504:
	s_andn2_b64 vcc, exec, s[0:1]
	s_cbranch_vccnz .LBB208_1506
; %bb.1505:
	global_load_dword v2, v[0:1], off
	s_movk_i32 s0, 0x7fff
	s_waitcnt vmcnt(1)
	v_mov_b32_e32 v8, 0x7fc0
	s_waitcnt vmcnt(0)
	v_cvt_f32_f16_e32 v3, v2
	v_cmp_o_f16_e32 vcc, v2, v2
	v_bfe_u32 v2, v3, 16, 1
	v_add3_u32 v2, v3, v2, s0
	v_cndmask_b32_sdwa v8, v8, v2, vcc dst_sel:DWORD dst_unused:UNUSED_PAD src0_sel:DWORD src1_sel:WORD_1
.LBB208_1506:
	s_mov_b64 s[0:1], 0
.LBB208_1507:
	s_andn2_b64 vcc, exec, s[0:1]
	s_cbranch_vccnz .LBB208_1518
; %bb.1508:
	s_cmp_lt_i32 s22, 6
	s_cbranch_scc1 .LBB208_1511
; %bb.1509:
	s_cmp_gt_i32 s22, 6
	s_cbranch_scc0 .LBB208_1512
; %bb.1510:
	global_load_dwordx2 v[2:3], v[0:1], off
	s_movk_i32 s0, 0x7fff
	s_waitcnt vmcnt(1)
	v_mov_b32_e32 v8, 0x7fc0
	s_waitcnt vmcnt(0)
	v_cvt_f32_f64_e32 v2, v[2:3]
	v_bfe_u32 v3, v2, 16, 1
	v_cmp_o_f32_e32 vcc, v2, v2
	v_add3_u32 v2, v2, v3, s0
	s_mov_b64 s[0:1], 0
	v_cndmask_b32_sdwa v8, v8, v2, vcc dst_sel:DWORD dst_unused:UNUSED_PAD src0_sel:DWORD src1_sel:WORD_1
	s_branch .LBB208_1513
.LBB208_1511:
	s_mov_b64 s[0:1], -1
                                        ; implicit-def: $vgpr8
	s_branch .LBB208_1516
.LBB208_1512:
	s_mov_b64 s[0:1], -1
                                        ; implicit-def: $vgpr8
.LBB208_1513:
	s_andn2_b64 vcc, exec, s[0:1]
	s_cbranch_vccnz .LBB208_1515
; %bb.1514:
	global_load_dword v2, v[0:1], off
	s_movk_i32 s0, 0x7fff
	v_mov_b32_e32 v3, 0x7fc0
	s_waitcnt vmcnt(0)
	v_bfe_u32 v8, v2, 16, 1
	v_cmp_o_f32_e32 vcc, v2, v2
	v_add3_u32 v2, v2, v8, s0
	s_nop 0
	v_cndmask_b32_sdwa v8, v3, v2, vcc dst_sel:DWORD dst_unused:UNUSED_PAD src0_sel:DWORD src1_sel:WORD_1
.LBB208_1515:
	s_mov_b64 s[0:1], 0
.LBB208_1516:
	s_andn2_b64 vcc, exec, s[0:1]
	s_cbranch_vccnz .LBB208_1518
; %bb.1517:
	global_load_ushort v2, v[0:1], off
	s_movk_i32 s0, 0x7fff
	s_waitcnt vmcnt(1)
	v_mov_b32_e32 v8, 0x7fc0
	s_waitcnt vmcnt(0)
	v_cvt_f32_f16_e32 v3, v2
	v_cmp_o_f16_e32 vcc, v2, v2
	v_bfe_u32 v2, v3, 16, 1
	v_add3_u32 v2, v3, v2, s0
	v_cndmask_b32_sdwa v8, v8, v2, vcc dst_sel:DWORD dst_unused:UNUSED_PAD src0_sel:DWORD src1_sel:WORD_1
.LBB208_1518:
	s_mov_b64 s[0:1], 0
.LBB208_1519:
	s_andn2_b64 vcc, exec, s[0:1]
	s_cbranch_vccnz .LBB208_1539
; %bb.1520:
	s_cmp_lt_i32 s22, 2
	s_cbranch_scc1 .LBB208_1524
; %bb.1521:
	s_cmp_lt_i32 s22, 3
	s_cbranch_scc1 .LBB208_1525
; %bb.1522:
	s_cmp_gt_i32 s22, 3
	s_cbranch_scc0 .LBB208_1526
; %bb.1523:
	global_load_dwordx2 v[2:3], v[0:1], off
	s_movk_i32 s0, 0x7fff
	s_waitcnt vmcnt(0)
	v_xor_b32_e32 v9, v2, v3
	v_ffbh_i32_e32 v8, v3
	v_ashrrev_i32_e32 v9, 31, v9
	v_add_u32_e32 v8, -1, v8
	v_add_u32_e32 v9, 32, v9
	v_min_u32_e32 v8, v8, v9
	v_lshlrev_b64 v[2:3], v8, v[2:3]
	v_min_u32_e32 v2, 1, v2
	v_or_b32_e32 v2, v3, v2
	v_cvt_f32_i32_e32 v2, v2
	v_sub_u32_e32 v3, 32, v8
	v_ldexp_f32 v2, v2, v3
	v_bfe_u32 v3, v2, 16, 1
	v_add3_u32 v2, v2, v3, s0
	v_lshrrev_b32_e32 v8, 16, v2
	s_mov_b64 s[0:1], 0
	s_branch .LBB208_1527
.LBB208_1524:
	s_mov_b64 s[0:1], -1
                                        ; implicit-def: $vgpr8
	s_branch .LBB208_1533
.LBB208_1525:
	s_mov_b64 s[0:1], -1
                                        ; implicit-def: $vgpr8
	s_branch .LBB208_1530
.LBB208_1526:
	s_mov_b64 s[0:1], -1
                                        ; implicit-def: $vgpr8
.LBB208_1527:
	s_andn2_b64 vcc, exec, s[0:1]
	s_cbranch_vccnz .LBB208_1529
; %bb.1528:
	global_load_dword v2, v[0:1], off
	s_movk_i32 s0, 0x7fff
	s_waitcnt vmcnt(0)
	v_cvt_f32_i32_e32 v2, v2
	v_bfe_u32 v3, v2, 16, 1
	v_add3_u32 v2, v2, v3, s0
	v_lshrrev_b32_e32 v8, 16, v2
.LBB208_1529:
	s_mov_b64 s[0:1], 0
.LBB208_1530:
	s_andn2_b64 vcc, exec, s[0:1]
	s_cbranch_vccnz .LBB208_1532
; %bb.1531:
	global_load_sshort v2, v[0:1], off
	s_movk_i32 s0, 0x7fff
	s_waitcnt vmcnt(0)
	v_cvt_f32_i32_e32 v2, v2
	v_bfe_u32 v3, v2, 16, 1
	v_add3_u32 v2, v2, v3, s0
	v_lshrrev_b32_e32 v8, 16, v2
.LBB208_1532:
	s_mov_b64 s[0:1], 0
.LBB208_1533:
	s_andn2_b64 vcc, exec, s[0:1]
	s_cbranch_vccnz .LBB208_1539
; %bb.1534:
	s_cmp_gt_i32 s22, 0
	s_cbranch_scc0 .LBB208_1536
; %bb.1535:
	global_load_sbyte v2, v[0:1], off
	s_movk_i32 s0, 0x7fff
	s_waitcnt vmcnt(0)
	v_cvt_f32_i32_e32 v2, v2
	v_bfe_u32 v3, v2, 16, 1
	v_add3_u32 v2, v2, v3, s0
	v_lshrrev_b32_e32 v8, 16, v2
	s_mov_b64 s[0:1], 0
	s_branch .LBB208_1537
.LBB208_1536:
	s_mov_b64 s[0:1], -1
                                        ; implicit-def: $vgpr8
.LBB208_1537:
	s_andn2_b64 vcc, exec, s[0:1]
	s_cbranch_vccnz .LBB208_1539
; %bb.1538:
	global_load_ubyte v0, v[0:1], off
	s_movk_i32 s0, 0x7fff
	s_waitcnt vmcnt(0)
	v_cvt_f32_ubyte0_e32 v0, v0
	v_bfe_u32 v1, v0, 16, 1
	v_add3_u32 v0, v0, v1, s0
	v_lshrrev_b32_e32 v8, 16, v0
.LBB208_1539:
	s_mov_b64 s[10:11], -1
.LBB208_1540:
	s_andn2_b64 vcc, exec, s[10:11]
	s_cbranch_vccnz .LBB208_1974
; %bb.1541:
	s_waitcnt vmcnt(0)
	v_lshlrev_b32_e32 v0, 16, v5
	v_cvt_f64_f32_e32 v[0:1], v0
	v_rsq_f64_e32 v[2:3], v[0:1]
	s_mov_b32 s0, 0
	s_mov_b32 s1, 0x3fd80000
	v_mov_b32_e32 v5, 0x180
	v_mul_f64 v[0:1], v[2:3], -v[0:1]
	v_fma_f64 v[0:1], v[0:1], v[2:3], 1.0
	v_mul_f64 v[10:11], v[2:3], v[0:1]
	v_fma_f64 v[0:1], v[0:1], s[0:1], 0.5
	v_fma_f64 v[0:1], v[10:11], v[0:1], v[2:3]
	v_cmp_class_f64_e32 vcc, v[2:3], v5
	s_movk_i32 s0, 0x7fff
	s_and_b32 s20, s33, 0xff
	v_cndmask_b32_e32 v1, v3, v1, vcc
	v_cndmask_b32_e32 v0, v2, v0, vcc
	v_cvt_f32_f64_e32 v0, v[0:1]
	v_bfe_u32 v1, v0, 16, 1
	v_add3_u32 v1, v0, v1, s0
	v_cmp_o_f32_e32 vcc, v0, v0
	v_mov_b32_e32 v0, 0x7fc0
	s_cmp_lt_i32 s20, 11
	v_cndmask_b32_sdwa v5, v0, v1, vcc dst_sel:DWORD dst_unused:UNUSED_PAD src0_sel:DWORD src1_sel:WORD_1
	v_mul_lo_u32 v0, s8, v4
	v_ashrrev_i32_e32 v1, 31, v0
	v_lshl_add_u64 v[2:3], s[4:5], 0, v[0:1]
	s_cbranch_scc1 .LBB208_1619
; %bb.1542:
	s_and_b32 s9, 0xffff, s20
	s_mov_b64 s[16:17], -1
	s_mov_b64 s[6:7], 0
	s_cmp_gt_i32 s9, 25
	s_mov_b64 s[10:11], 0
	s_mov_b64 s[0:1], 0
	s_cbranch_scc0 .LBB208_1575
; %bb.1543:
	s_cmp_gt_i32 s9, 28
	s_cbranch_scc0 .LBB208_1558
; %bb.1544:
	s_cmp_gt_i32 s9, 43
	;; [unrolled: 3-line block ×3, first 2 shown]
	s_cbranch_scc0 .LBB208_1548
; %bb.1546:
	s_mov_b64 s[0:1], -1
	s_mov_b64 s[16:17], 0
	s_cmp_eq_u32 s9, 46
	s_cbranch_scc0 .LBB208_1548
; %bb.1547:
	v_and_b32_e32 v1, 0xffff, v5
	global_store_dword v[2:3], v1, off
	s_mov_b64 s[0:1], 0
	s_mov_b64 s[10:11], -1
.LBB208_1548:
	s_and_b64 vcc, exec, s[16:17]
	s_cbranch_vccz .LBB208_1553
; %bb.1549:
	s_cmp_eq_u32 s9, 44
	s_mov_b64 s[0:1], -1
	s_cbranch_scc0 .LBB208_1553
; %bb.1550:
	v_and_b32_e32 v4, 0xffff, v5
	v_bfe_u32 v1, v4, 7, 8
	s_movk_i32 s0, 0xff
	v_cmp_ne_u32_e32 vcc, s0, v1
	v_mov_b32_e32 v9, 0xff
	s_and_saveexec_b64 s[10:11], vcc
	s_cbranch_execz .LBB208_1552
; %bb.1551:
	v_lshlrev_b32_e32 v10, 16, v4
	s_mov_b32 s0, 0x3f0000
	v_lshrrev_b32_e32 v9, 7, v4
	v_and_b32_e32 v4, 64, v4
	v_and_or_b32 v1, v10, s0, v1
	v_cmp_ne_u32_e32 vcc, 0, v4
	v_cmp_ne_u32_e64 s[0:1], 0, v1
	s_and_b64 s[0:1], vcc, s[0:1]
	s_nop 0
	v_cndmask_b32_e64 v1, 0, 1, s[0:1]
	v_add_u32_e32 v9, v9, v1
.LBB208_1552:
	s_or_b64 exec, exec, s[10:11]
	s_mov_b64 s[0:1], 0
	s_mov_b64 s[10:11], -1
	global_store_byte v[2:3], v9, off
.LBB208_1553:
	s_mov_b64 s[16:17], 0
.LBB208_1554:
	s_and_b64 vcc, exec, s[16:17]
	s_cbranch_vccz .LBB208_1557
; %bb.1555:
	s_cmp_eq_u32 s9, 29
	s_mov_b64 s[0:1], -1
	s_cbranch_scc0 .LBB208_1557
; %bb.1556:
	v_lshlrev_b32_e32 v1, 16, v5
	v_trunc_f32_e32 v1, v1
	v_mul_f32_e32 v4, 0x2f800000, v1
	v_floor_f32_e32 v4, v4
	v_fmamk_f32 v1, v4, 0xcf800000, v1
	v_cvt_u32_f32_e32 v11, v4
	v_cvt_u32_f32_e32 v10, v1
	s_mov_b64 s[0:1], 0
	s_mov_b64 s[10:11], -1
	global_store_dwordx2 v[2:3], v[10:11], off
.LBB208_1557:
	s_mov_b64 s[16:17], 0
.LBB208_1558:
	s_and_b64 vcc, exec, s[16:17]
	s_cbranch_vccz .LBB208_1574
; %bb.1559:
	s_cmp_lt_i32 s9, 27
	s_mov_b64 s[10:11], -1
	s_cbranch_scc1 .LBB208_1565
; %bb.1560:
	s_cmp_gt_i32 s9, 27
	s_cbranch_scc0 .LBB208_1562
; %bb.1561:
	v_lshlrev_b32_e32 v1, 16, v5
	v_cvt_u32_f32_e32 v1, v1
	s_mov_b64 s[10:11], 0
	global_store_dword v[2:3], v1, off
.LBB208_1562:
	s_andn2_b64 vcc, exec, s[10:11]
	s_cbranch_vccnz .LBB208_1564
; %bb.1563:
	v_lshlrev_b32_e32 v1, 16, v5
	v_cvt_u32_f32_e32 v1, v1
	global_store_short v[2:3], v1, off
.LBB208_1564:
	s_mov_b64 s[10:11], 0
.LBB208_1565:
	s_andn2_b64 vcc, exec, s[10:11]
	s_cbranch_vccnz .LBB208_1573
; %bb.1566:
	v_lshlrev_b32_e32 v9, 16, v5
	v_and_b32_e32 v4, 0x7fffffff, v9
	s_mov_b32 s10, 0x43800000
	v_cmp_gt_u32_e32 vcc, s10, v4
	v_mov_b32_e32 v10, 0x80
	s_and_saveexec_b64 s[10:11], vcc
	s_cbranch_execz .LBB208_1572
; %bb.1567:
	s_mov_b32 s16, 0x3bffffff
	v_and_b32_e32 v1, 0xffff, v5
	v_cmp_lt_u32_e32 vcc, s16, v4
	s_mov_b64 s[16:17], 0
                                        ; implicit-def: $vgpr4
	s_and_saveexec_b64 s[18:19], vcc
	s_xor_b64 s[18:19], exec, s[18:19]
	s_cbranch_execz .LBB208_2021
; %bb.1568:
	v_bfe_u32 v4, v1, 4, 1
	s_mov_b32 s21, 0x487ffff
	v_add3_u32 v4, v9, v4, s21
	s_mov_b64 s[16:17], exec
	v_lshrrev_b32_e32 v4, 20, v4
                                        ; implicit-def: $vgpr9
	s_andn2_saveexec_b64 s[18:19], s[18:19]
	s_cbranch_execnz .LBB208_2022
.LBB208_1569:
	s_or_b64 exec, exec, s[18:19]
	v_mov_b32_e32 v10, 0
	s_and_saveexec_b64 s[18:19], s[16:17]
.LBB208_1570:
	v_lshrrev_b32_e32 v1, 8, v1
	s_movk_i32 s16, 0x80
	v_and_or_b32 v10, v1, s16, v4
.LBB208_1571:
	s_or_b64 exec, exec, s[18:19]
.LBB208_1572:
	s_or_b64 exec, exec, s[10:11]
	global_store_byte v[2:3], v10, off
.LBB208_1573:
	s_mov_b64 s[10:11], -1
.LBB208_1574:
	s_mov_b64 s[16:17], 0
.LBB208_1575:
	s_and_b64 vcc, exec, s[16:17]
	s_cbranch_vccz .LBB208_1615
; %bb.1576:
	s_cmp_gt_i32 s9, 22
	s_mov_b64 s[6:7], -1
	s_cbranch_scc0 .LBB208_1608
; %bb.1577:
	s_cmp_lt_i32 s9, 24
	s_cbranch_scc1 .LBB208_1597
; %bb.1578:
	s_cmp_gt_i32 s9, 24
	s_cbranch_scc0 .LBB208_1586
; %bb.1579:
	v_lshlrev_b32_e32 v9, 16, v5
	v_and_b32_e32 v4, 0x7fffffff, v9
	s_mov_b32 s6, 0x47800000
	v_cmp_gt_u32_e32 vcc, s6, v4
	v_mov_b32_e32 v10, 0x80
	s_and_saveexec_b64 s[6:7], vcc
	s_cbranch_execz .LBB208_1585
; %bb.1580:
	s_mov_b32 s10, 0x37ffffff
	v_and_b32_e32 v1, 0xffff, v5
	v_cmp_lt_u32_e32 vcc, s10, v4
	s_mov_b64 s[10:11], 0
                                        ; implicit-def: $vgpr4
	s_and_saveexec_b64 s[16:17], vcc
	s_xor_b64 s[16:17], exec, s[16:17]
	s_cbranch_execz .LBB208_2024
; %bb.1581:
	v_bfe_u32 v4, v1, 5, 1
	s_mov_b32 s18, 0x88fffff
	v_add3_u32 v4, v9, v4, s18
	s_mov_b64 s[10:11], exec
	v_lshrrev_b32_e32 v4, 21, v4
                                        ; implicit-def: $vgpr9
	s_andn2_saveexec_b64 s[16:17], s[16:17]
	s_cbranch_execnz .LBB208_2025
.LBB208_1582:
	s_or_b64 exec, exec, s[16:17]
	v_mov_b32_e32 v10, 0
	s_and_saveexec_b64 s[16:17], s[10:11]
.LBB208_1583:
	v_lshrrev_b32_e32 v1, 8, v1
	s_movk_i32 s10, 0x80
	v_and_or_b32 v10, v1, s10, v4
.LBB208_1584:
	s_or_b64 exec, exec, s[16:17]
.LBB208_1585:
	s_or_b64 exec, exec, s[6:7]
	s_mov_b64 s[6:7], 0
	global_store_byte v[2:3], v10, off
.LBB208_1586:
	s_and_b64 vcc, exec, s[6:7]
	s_cbranch_vccz .LBB208_1596
; %bb.1587:
	v_lshlrev_b32_e32 v9, 16, v5
	v_and_b32_e32 v10, 0x7fffffff, v9
	s_mov_b32 s6, 0x43f00000
	v_and_b32_e32 v1, 0xffff, v5
	v_cmp_gt_u32_e32 vcc, s6, v10
                                        ; implicit-def: $vgpr4
	s_and_saveexec_b64 s[6:7], vcc
	s_xor_b64 s[6:7], exec, s[6:7]
	s_cbranch_execz .LBB208_1593
; %bb.1588:
	s_mov_b32 s10, 0x3c7fffff
	v_cmp_lt_u32_e32 vcc, s10, v10
                                        ; implicit-def: $vgpr4
	s_and_saveexec_b64 s[10:11], vcc
	s_xor_b64 s[10:11], exec, s[10:11]
; %bb.1589:
	v_bfe_u32 v4, v1, 4, 1
	s_mov_b32 s16, 0x407ffff
	v_add3_u32 v4, v9, v4, s16
	v_lshrrev_b32_e32 v9, 20, v4
	v_and_b32_e32 v4, 0xff00000, v4
	s_mov_b32 s16, 0x7f00000
	v_mov_b32_e32 v10, 0x7e
	v_cmp_ne_u32_e32 vcc, s16, v4
	s_nop 1
	v_cndmask_b32_e32 v4, v10, v9, vcc
                                        ; implicit-def: $vgpr9
; %bb.1590:
	s_andn2_saveexec_b64 s[10:11], s[10:11]
; %bb.1591:
	s_mov_b32 s16, 0x46800000
	v_add_f32_e64 v4, |v9|, s16
; %bb.1592:
	s_or_b64 exec, exec, s[10:11]
                                        ; implicit-def: $vgpr10
.LBB208_1593:
	s_andn2_saveexec_b64 s[6:7], s[6:7]
; %bb.1594:
	s_mov_b32 s10, 0x7f800000
	v_mov_b32_e32 v4, 0x7e
	v_mov_b32_e32 v9, 0x7f
	v_cmp_lt_u32_e32 vcc, s10, v10
	s_nop 1
	v_cndmask_b32_e32 v4, v4, v9, vcc
; %bb.1595:
	s_or_b64 exec, exec, s[6:7]
	v_lshrrev_b32_e32 v1, 8, v1
	s_movk_i32 s6, 0x80
	v_and_or_b32 v1, v1, s6, v4
	global_store_byte v[2:3], v1, off
.LBB208_1596:
	s_mov_b64 s[6:7], 0
.LBB208_1597:
	s_andn2_b64 vcc, exec, s[6:7]
	s_cbranch_vccnz .LBB208_1607
; %bb.1598:
	v_lshlrev_b32_e32 v9, 16, v5
	v_and_b32_e32 v10, 0x7fffffff, v9
	s_mov_b32 s6, 0x47800000
	v_and_b32_e32 v1, 0xffff, v5
	v_cmp_gt_u32_e32 vcc, s6, v10
                                        ; implicit-def: $vgpr4
	s_and_saveexec_b64 s[6:7], vcc
	s_xor_b64 s[6:7], exec, s[6:7]
	s_cbranch_execz .LBB208_1604
; %bb.1599:
	s_mov_b32 s10, 0x387fffff
	v_cmp_lt_u32_e32 vcc, s10, v10
                                        ; implicit-def: $vgpr4
	s_and_saveexec_b64 s[10:11], vcc
	s_xor_b64 s[10:11], exec, s[10:11]
; %bb.1600:
	v_bfe_u32 v4, v1, 5, 1
	s_mov_b32 s16, 0x80fffff
	v_add3_u32 v4, v9, v4, s16
	v_lshrrev_b32_e32 v4, 21, v4
                                        ; implicit-def: $vgpr9
; %bb.1601:
	s_andn2_saveexec_b64 s[10:11], s[10:11]
; %bb.1602:
	s_mov_b32 s16, 0x43000000
	v_add_f32_e64 v4, |v9|, s16
; %bb.1603:
	s_or_b64 exec, exec, s[10:11]
                                        ; implicit-def: $vgpr10
.LBB208_1604:
	s_andn2_saveexec_b64 s[6:7], s[6:7]
; %bb.1605:
	s_mov_b32 s10, 0x7f800000
	v_mov_b32_e32 v4, 0x7c
	v_mov_b32_e32 v9, 0x7f
	v_cmp_lt_u32_e32 vcc, s10, v10
	s_nop 1
	v_cndmask_b32_e32 v4, v4, v9, vcc
; %bb.1606:
	s_or_b64 exec, exec, s[6:7]
	v_lshrrev_b32_e32 v1, 8, v1
	s_movk_i32 s6, 0x80
	v_and_or_b32 v1, v1, s6, v4
	global_store_byte v[2:3], v1, off
.LBB208_1607:
	s_mov_b64 s[6:7], 0
	s_mov_b64 s[10:11], -1
.LBB208_1608:
	s_andn2_b64 vcc, exec, s[6:7]
	s_mov_b64 s[6:7], 0
	s_cbranch_vccnz .LBB208_1615
; %bb.1609:
	s_cmp_gt_i32 s9, 14
	s_mov_b64 s[16:17], -1
	s_cbranch_scc0 .LBB208_1613
; %bb.1610:
	s_cmp_eq_u32 s9, 15
	s_mov_b64 s[0:1], -1
	s_cbranch_scc0 .LBB208_1612
; %bb.1611:
	global_store_short v[2:3], v5, off
	s_mov_b64 s[0:1], 0
	s_mov_b64 s[10:11], -1
.LBB208_1612:
	s_mov_b64 s[16:17], 0
.LBB208_1613:
	s_and_b64 vcc, exec, s[16:17]
	s_cbranch_vccz .LBB208_1615
; %bb.1614:
	s_cmp_lg_u32 s9, 11
	s_mov_b64 s[6:7], -1
	s_cselect_b64 s[0:1], -1, 0
.LBB208_1615:
	s_and_b64 vcc, exec, s[0:1]
	s_cbranch_vccnz .LBB208_2023
; %bb.1616:
	s_andn2_b64 vcc, exec, s[6:7]
	s_cbranch_vccnz .LBB208_1618
.LBB208_1617:
	v_and_b32_e32 v1, 0x7fff, v5
	v_cmp_ne_u16_e32 vcc, 0, v1
	s_mov_b64 s[10:11], -1
	s_nop 0
	v_cndmask_b32_e64 v1, 0, 1, vcc
	global_store_byte v[2:3], v1, off
.LBB208_1618:
	s_mov_b64 s[0:1], 0
	s_branch .LBB208_1620
.LBB208_1619:
	s_mov_b64 s[0:1], -1
	s_mov_b64 s[10:11], 0
.LBB208_1620:
	s_and_b64 vcc, exec, s[0:1]
	s_cbranch_vccz .LBB208_1659
; %bb.1621:
	s_and_b32 s6, 0xffff, s20
	s_cmp_lt_i32 s6, 5
	s_mov_b64 s[0:1], -1
	s_cbranch_scc1 .LBB208_1642
; %bb.1622:
	s_cmp_lt_i32 s6, 8
	s_cbranch_scc1 .LBB208_1632
; %bb.1623:
	s_cmp_lt_i32 s6, 9
	s_cbranch_scc1 .LBB208_1629
; %bb.1624:
	s_cmp_gt_i32 s6, 9
	s_cbranch_scc0 .LBB208_1626
; %bb.1625:
	v_lshlrev_b32_e32 v1, 16, v5
	v_mov_b32_e32 v12, 0
	v_cvt_f64_f32_e32 v[10:11], v1
	v_mov_b32_e32 v13, v12
	global_store_dwordx4 v[2:3], v[10:13], off
	s_mov_b64 s[0:1], 0
.LBB208_1626:
	s_andn2_b64 vcc, exec, s[0:1]
	s_cbranch_vccnz .LBB208_1628
; %bb.1627:
	v_lshlrev_b32_e32 v10, 16, v5
	v_mov_b32_e32 v11, 0
	global_store_dwordx2 v[2:3], v[10:11], off
.LBB208_1628:
	s_mov_b64 s[0:1], 0
.LBB208_1629:
	s_andn2_b64 vcc, exec, s[0:1]
	s_cbranch_vccnz .LBB208_1631
; %bb.1630:
	v_lshlrev_b32_e32 v1, 16, v5
	v_cvt_f16_f32_e32 v1, v1
	global_store_dword v[2:3], v1, off
.LBB208_1631:
	s_mov_b64 s[0:1], 0
.LBB208_1632:
	s_andn2_b64 vcc, exec, s[0:1]
	s_cbranch_vccnz .LBB208_1641
; %bb.1633:
	s_cmp_lt_i32 s6, 6
	s_mov_b64 s[0:1], -1
	s_cbranch_scc1 .LBB208_1639
; %bb.1634:
	s_cmp_gt_i32 s6, 6
	s_cbranch_scc0 .LBB208_1636
; %bb.1635:
	v_lshlrev_b32_e32 v1, 16, v5
	v_cvt_f64_f32_e32 v[10:11], v1
	global_store_dwordx2 v[2:3], v[10:11], off
	s_mov_b64 s[0:1], 0
.LBB208_1636:
	s_andn2_b64 vcc, exec, s[0:1]
	s_cbranch_vccnz .LBB208_1638
; %bb.1637:
	v_lshlrev_b32_e32 v1, 16, v5
	global_store_dword v[2:3], v1, off
.LBB208_1638:
	s_mov_b64 s[0:1], 0
.LBB208_1639:
	s_andn2_b64 vcc, exec, s[0:1]
	s_cbranch_vccnz .LBB208_1641
; %bb.1640:
	v_lshlrev_b32_e32 v1, 16, v5
	v_cvt_f16_f32_e32 v1, v1
	global_store_short v[2:3], v1, off
.LBB208_1641:
	s_mov_b64 s[0:1], 0
.LBB208_1642:
	s_andn2_b64 vcc, exec, s[0:1]
	s_cbranch_vccnz .LBB208_1658
; %bb.1643:
	s_cmp_lt_i32 s6, 2
	s_mov_b64 s[0:1], -1
	s_cbranch_scc1 .LBB208_1653
; %bb.1644:
	s_cmp_lt_i32 s6, 3
	s_cbranch_scc1 .LBB208_1650
; %bb.1645:
	s_cmp_gt_i32 s6, 3
	s_cbranch_scc0 .LBB208_1647
; %bb.1646:
	v_lshlrev_b32_e32 v1, 16, v5
	v_trunc_f32_e32 v1, v1
	s_mov_b32 s0, 0x2f800000
	v_mul_f32_e64 v4, |v1|, s0
	v_floor_f32_e32 v4, v4
	s_mov_b32 s0, 0xcf800000
	v_cvt_u32_f32_e32 v9, v4
	v_fma_f32 v4, v4, s0, |v1|
	v_cvt_u32_f32_e32 v4, v4
	v_ashrrev_i32_e32 v1, 31, v1
	v_xor_b32_e32 v9, v9, v1
	s_mov_b64 s[0:1], 0
	v_xor_b32_e32 v4, v4, v1
	v_sub_co_u32_e32 v10, vcc, v4, v1
	s_nop 1
	v_subb_co_u32_e32 v11, vcc, v9, v1, vcc
	global_store_dwordx2 v[2:3], v[10:11], off
.LBB208_1647:
	s_andn2_b64 vcc, exec, s[0:1]
	s_cbranch_vccnz .LBB208_1649
; %bb.1648:
	v_lshlrev_b32_e32 v1, 16, v5
	v_cvt_i32_f32_e32 v1, v1
	global_store_dword v[2:3], v1, off
.LBB208_1649:
	s_mov_b64 s[0:1], 0
.LBB208_1650:
	s_andn2_b64 vcc, exec, s[0:1]
	s_cbranch_vccnz .LBB208_1652
; %bb.1651:
	v_lshlrev_b32_e32 v1, 16, v5
	v_cvt_i32_f32_e32 v1, v1
	global_store_short v[2:3], v1, off
.LBB208_1652:
	s_mov_b64 s[0:1], 0
.LBB208_1653:
	s_andn2_b64 vcc, exec, s[0:1]
	s_cbranch_vccnz .LBB208_1658
; %bb.1654:
	s_mov_b64 s[0:1], -1
	s_cmp_gt_i32 s6, 0
	v_lshlrev_b32_e32 v1, 16, v5
	s_cbranch_scc0 .LBB208_1656
; %bb.1655:
	v_cvt_i32_f32_e32 v4, v1
	s_mov_b64 s[0:1], 0
	global_store_byte v[2:3], v4, off
.LBB208_1656:
	s_andn2_b64 vcc, exec, s[0:1]
	s_cbranch_vccnz .LBB208_1658
; %bb.1657:
	v_trunc_f32_e32 v1, v1
	s_mov_b32 s0, 0x2f800000
	v_mul_f32_e64 v4, |v1|, s0
	v_floor_f32_e32 v4, v4
	s_mov_b32 s0, 0xcf800000
	v_fma_f32 v4, v4, s0, |v1|
	v_cvt_u32_f32_e32 v4, v4
	v_ashrrev_i32_e32 v1, 31, v1
	v_xor_b32_e32 v4, v4, v1
	v_sub_u32_e32 v1, v4, v1
	global_store_byte v[2:3], v1, off
.LBB208_1658:
	s_mov_b64 s[10:11], -1
.LBB208_1659:
	s_andn2_b64 vcc, exec, s[10:11]
	s_cbranch_vccnz .LBB208_1974
; %bb.1660:
	v_lshlrev_b32_e32 v1, 16, v6
	v_cvt_f64_f32_e32 v[2:3], v1
	v_rsq_f64_e32 v[4:5], v[2:3]
	s_mov_b32 s0, 0
	s_mov_b32 s1, 0x3fd80000
	v_mov_b32_e32 v1, 0x180
	v_mul_f64 v[2:3], v[4:5], -v[2:3]
	v_fma_f64 v[2:3], v[2:3], v[4:5], 1.0
	v_mul_f64 v[10:11], v[4:5], v[2:3]
	v_fma_f64 v[2:3], v[2:3], s[0:1], 0.5
	v_fma_f64 v[2:3], v[10:11], v[2:3], v[4:5]
	v_cmp_class_f64_e32 vcc, v[4:5], v1
	s_movk_i32 s0, 0x7fff
	s_lshl_b32 s18, s8, 7
	v_cndmask_b32_e32 v3, v5, v3, vcc
	v_cndmask_b32_e32 v2, v4, v2, vcc
	v_cvt_f32_f64_e32 v1, v[2:3]
	v_bfe_u32 v2, v1, 16, 1
	v_add3_u32 v2, v1, v2, s0
	v_cmp_o_f32_e32 vcc, v1, v1
	v_mov_b32_e32 v1, 0x7fc0
	v_add_u32_e32 v0, s18, v0
	v_cndmask_b32_sdwa v4, v1, v2, vcc dst_sel:DWORD dst_unused:UNUSED_PAD src0_sel:DWORD src1_sel:WORD_1
	v_ashrrev_i32_e32 v1, 31, v0
	s_cmp_lt_i32 s20, 11
	v_lshl_add_u64 v[2:3], s[4:5], 0, v[0:1]
	s_cbranch_scc1 .LBB208_1738
; %bb.1661:
	s_and_b32 s19, 0xffff, s20
	s_mov_b64 s[10:11], -1
	s_mov_b64 s[6:7], 0
	s_cmp_gt_i32 s19, 25
	s_mov_b64 s[8:9], 0
	s_mov_b64 s[0:1], 0
	s_cbranch_scc0 .LBB208_1694
; %bb.1662:
	s_cmp_gt_i32 s19, 28
	s_cbranch_scc0 .LBB208_1677
; %bb.1663:
	s_cmp_gt_i32 s19, 43
	;; [unrolled: 3-line block ×3, first 2 shown]
	s_cbranch_scc0 .LBB208_1667
; %bb.1665:
	s_mov_b64 s[0:1], -1
	s_mov_b64 s[10:11], 0
	s_cmp_eq_u32 s19, 46
	s_cbranch_scc0 .LBB208_1667
; %bb.1666:
	v_and_b32_e32 v1, 0xffff, v4
	global_store_dword v[2:3], v1, off
	s_mov_b64 s[0:1], 0
	s_mov_b64 s[8:9], -1
.LBB208_1667:
	s_and_b64 vcc, exec, s[10:11]
	s_cbranch_vccz .LBB208_1672
; %bb.1668:
	s_cmp_eq_u32 s19, 44
	s_mov_b64 s[0:1], -1
	s_cbranch_scc0 .LBB208_1672
; %bb.1669:
	v_and_b32_e32 v5, 0xffff, v4
	v_bfe_u32 v1, v5, 7, 8
	s_movk_i32 s0, 0xff
	v_cmp_ne_u32_e32 vcc, s0, v1
	v_mov_b32_e32 v6, 0xff
	s_and_saveexec_b64 s[8:9], vcc
	s_cbranch_execz .LBB208_1671
; %bb.1670:
	v_lshlrev_b32_e32 v9, 16, v5
	s_mov_b32 s0, 0x3f0000
	v_lshrrev_b32_e32 v6, 7, v5
	v_and_b32_e32 v5, 64, v5
	v_and_or_b32 v1, v9, s0, v1
	v_cmp_ne_u32_e32 vcc, 0, v5
	v_cmp_ne_u32_e64 s[0:1], 0, v1
	s_and_b64 s[0:1], vcc, s[0:1]
	s_nop 0
	v_cndmask_b32_e64 v1, 0, 1, s[0:1]
	v_add_u32_e32 v6, v6, v1
.LBB208_1671:
	s_or_b64 exec, exec, s[8:9]
	s_mov_b64 s[0:1], 0
	s_mov_b64 s[8:9], -1
	global_store_byte v[2:3], v6, off
.LBB208_1672:
	s_mov_b64 s[10:11], 0
.LBB208_1673:
	s_and_b64 vcc, exec, s[10:11]
	s_cbranch_vccz .LBB208_1676
; %bb.1674:
	s_cmp_eq_u32 s19, 29
	s_mov_b64 s[0:1], -1
	s_cbranch_scc0 .LBB208_1676
; %bb.1675:
	v_lshlrev_b32_e32 v1, 16, v4
	v_trunc_f32_e32 v1, v1
	v_mul_f32_e32 v5, 0x2f800000, v1
	v_floor_f32_e32 v5, v5
	v_fmamk_f32 v1, v5, 0xcf800000, v1
	v_cvt_u32_f32_e32 v11, v5
	v_cvt_u32_f32_e32 v10, v1
	s_mov_b64 s[0:1], 0
	s_mov_b64 s[8:9], -1
	global_store_dwordx2 v[2:3], v[10:11], off
.LBB208_1676:
	s_mov_b64 s[10:11], 0
.LBB208_1677:
	s_and_b64 vcc, exec, s[10:11]
	s_cbranch_vccz .LBB208_1693
; %bb.1678:
	s_cmp_lt_i32 s19, 27
	s_mov_b64 s[8:9], -1
	s_cbranch_scc1 .LBB208_1684
; %bb.1679:
	s_cmp_gt_i32 s19, 27
	s_cbranch_scc0 .LBB208_1681
; %bb.1680:
	v_lshlrev_b32_e32 v1, 16, v4
	v_cvt_u32_f32_e32 v1, v1
	s_mov_b64 s[8:9], 0
	global_store_dword v[2:3], v1, off
.LBB208_1681:
	s_andn2_b64 vcc, exec, s[8:9]
	s_cbranch_vccnz .LBB208_1683
; %bb.1682:
	v_lshlrev_b32_e32 v1, 16, v4
	v_cvt_u32_f32_e32 v1, v1
	global_store_short v[2:3], v1, off
.LBB208_1683:
	s_mov_b64 s[8:9], 0
.LBB208_1684:
	s_andn2_b64 vcc, exec, s[8:9]
	s_cbranch_vccnz .LBB208_1692
; %bb.1685:
	v_lshlrev_b32_e32 v6, 16, v4
	v_and_b32_e32 v5, 0x7fffffff, v6
	s_mov_b32 s8, 0x43800000
	v_cmp_gt_u32_e32 vcc, s8, v5
	v_mov_b32_e32 v9, 0x80
	s_and_saveexec_b64 s[8:9], vcc
	s_cbranch_execz .LBB208_1691
; %bb.1686:
	s_mov_b32 s10, 0x3bffffff
	v_and_b32_e32 v1, 0xffff, v4
	v_cmp_lt_u32_e32 vcc, s10, v5
	s_mov_b64 s[10:11], 0
                                        ; implicit-def: $vgpr5
	s_and_saveexec_b64 s[16:17], vcc
	s_xor_b64 s[16:17], exec, s[16:17]
	s_cbranch_execz .LBB208_2026
; %bb.1687:
	v_bfe_u32 v5, v1, 4, 1
	s_mov_b32 s21, 0x487ffff
	v_add3_u32 v5, v6, v5, s21
	s_mov_b64 s[10:11], exec
	v_lshrrev_b32_e32 v5, 20, v5
                                        ; implicit-def: $vgpr6
	s_andn2_saveexec_b64 s[16:17], s[16:17]
	s_cbranch_execnz .LBB208_2027
.LBB208_1688:
	s_or_b64 exec, exec, s[16:17]
	v_mov_b32_e32 v9, 0
	s_and_saveexec_b64 s[16:17], s[10:11]
.LBB208_1689:
	v_lshrrev_b32_e32 v1, 8, v1
	s_movk_i32 s10, 0x80
	v_and_or_b32 v9, v1, s10, v5
.LBB208_1690:
	s_or_b64 exec, exec, s[16:17]
.LBB208_1691:
	s_or_b64 exec, exec, s[8:9]
	global_store_byte v[2:3], v9, off
.LBB208_1692:
	s_mov_b64 s[8:9], -1
.LBB208_1693:
	s_mov_b64 s[10:11], 0
.LBB208_1694:
	s_and_b64 vcc, exec, s[10:11]
	s_cbranch_vccz .LBB208_1734
; %bb.1695:
	s_cmp_gt_i32 s19, 22
	s_mov_b64 s[6:7], -1
	s_cbranch_scc0 .LBB208_1727
; %bb.1696:
	s_cmp_lt_i32 s19, 24
	s_cbranch_scc1 .LBB208_1716
; %bb.1697:
	s_cmp_gt_i32 s19, 24
	s_cbranch_scc0 .LBB208_1705
; %bb.1698:
	v_lshlrev_b32_e32 v6, 16, v4
	v_and_b32_e32 v5, 0x7fffffff, v6
	s_mov_b32 s6, 0x47800000
	v_cmp_gt_u32_e32 vcc, s6, v5
	v_mov_b32_e32 v9, 0x80
	s_and_saveexec_b64 s[6:7], vcc
	s_cbranch_execz .LBB208_1704
; %bb.1699:
	s_mov_b32 s8, 0x37ffffff
	v_and_b32_e32 v1, 0xffff, v4
	v_cmp_lt_u32_e32 vcc, s8, v5
	s_mov_b64 s[8:9], 0
                                        ; implicit-def: $vgpr5
	s_and_saveexec_b64 s[10:11], vcc
	s_xor_b64 s[10:11], exec, s[10:11]
	s_cbranch_execz .LBB208_2029
; %bb.1700:
	v_bfe_u32 v5, v1, 5, 1
	s_mov_b32 s16, 0x88fffff
	v_add3_u32 v5, v6, v5, s16
	s_mov_b64 s[8:9], exec
	v_lshrrev_b32_e32 v5, 21, v5
                                        ; implicit-def: $vgpr6
	s_andn2_saveexec_b64 s[10:11], s[10:11]
	s_cbranch_execnz .LBB208_2030
.LBB208_1701:
	s_or_b64 exec, exec, s[10:11]
	v_mov_b32_e32 v9, 0
	s_and_saveexec_b64 s[10:11], s[8:9]
.LBB208_1702:
	v_lshrrev_b32_e32 v1, 8, v1
	s_movk_i32 s8, 0x80
	v_and_or_b32 v9, v1, s8, v5
.LBB208_1703:
	s_or_b64 exec, exec, s[10:11]
.LBB208_1704:
	s_or_b64 exec, exec, s[6:7]
	s_mov_b64 s[6:7], 0
	global_store_byte v[2:3], v9, off
.LBB208_1705:
	s_and_b64 vcc, exec, s[6:7]
	s_cbranch_vccz .LBB208_1715
; %bb.1706:
	v_lshlrev_b32_e32 v6, 16, v4
	v_and_b32_e32 v9, 0x7fffffff, v6
	s_mov_b32 s6, 0x43f00000
	v_and_b32_e32 v1, 0xffff, v4
	v_cmp_gt_u32_e32 vcc, s6, v9
                                        ; implicit-def: $vgpr5
	s_and_saveexec_b64 s[6:7], vcc
	s_xor_b64 s[6:7], exec, s[6:7]
	s_cbranch_execz .LBB208_1712
; %bb.1707:
	s_mov_b32 s8, 0x3c7fffff
	v_cmp_lt_u32_e32 vcc, s8, v9
                                        ; implicit-def: $vgpr5
	s_and_saveexec_b64 s[8:9], vcc
	s_xor_b64 s[8:9], exec, s[8:9]
; %bb.1708:
	v_bfe_u32 v5, v1, 4, 1
	s_mov_b32 s10, 0x407ffff
	v_add3_u32 v5, v6, v5, s10
	v_lshrrev_b32_e32 v6, 20, v5
	v_and_b32_e32 v5, 0xff00000, v5
	s_mov_b32 s10, 0x7f00000
	v_mov_b32_e32 v9, 0x7e
	v_cmp_ne_u32_e32 vcc, s10, v5
	s_nop 1
	v_cndmask_b32_e32 v5, v9, v6, vcc
                                        ; implicit-def: $vgpr6
; %bb.1709:
	s_andn2_saveexec_b64 s[8:9], s[8:9]
; %bb.1710:
	s_mov_b32 s10, 0x46800000
	v_add_f32_e64 v5, |v6|, s10
; %bb.1711:
	s_or_b64 exec, exec, s[8:9]
                                        ; implicit-def: $vgpr9
.LBB208_1712:
	s_andn2_saveexec_b64 s[6:7], s[6:7]
; %bb.1713:
	s_mov_b32 s8, 0x7f800000
	v_mov_b32_e32 v5, 0x7e
	v_mov_b32_e32 v6, 0x7f
	v_cmp_lt_u32_e32 vcc, s8, v9
	s_nop 1
	v_cndmask_b32_e32 v5, v5, v6, vcc
; %bb.1714:
	s_or_b64 exec, exec, s[6:7]
	v_lshrrev_b32_e32 v1, 8, v1
	s_movk_i32 s6, 0x80
	v_and_or_b32 v1, v1, s6, v5
	global_store_byte v[2:3], v1, off
.LBB208_1715:
	s_mov_b64 s[6:7], 0
.LBB208_1716:
	s_andn2_b64 vcc, exec, s[6:7]
	s_cbranch_vccnz .LBB208_1726
; %bb.1717:
	v_lshlrev_b32_e32 v6, 16, v4
	v_and_b32_e32 v9, 0x7fffffff, v6
	s_mov_b32 s6, 0x47800000
	v_and_b32_e32 v1, 0xffff, v4
	v_cmp_gt_u32_e32 vcc, s6, v9
                                        ; implicit-def: $vgpr5
	s_and_saveexec_b64 s[6:7], vcc
	s_xor_b64 s[6:7], exec, s[6:7]
	s_cbranch_execz .LBB208_1723
; %bb.1718:
	s_mov_b32 s8, 0x387fffff
	v_cmp_lt_u32_e32 vcc, s8, v9
                                        ; implicit-def: $vgpr5
	s_and_saveexec_b64 s[8:9], vcc
	s_xor_b64 s[8:9], exec, s[8:9]
; %bb.1719:
	v_bfe_u32 v5, v1, 5, 1
	s_mov_b32 s10, 0x80fffff
	v_add3_u32 v5, v6, v5, s10
	v_lshrrev_b32_e32 v5, 21, v5
                                        ; implicit-def: $vgpr6
; %bb.1720:
	s_andn2_saveexec_b64 s[8:9], s[8:9]
; %bb.1721:
	s_mov_b32 s10, 0x43000000
	v_add_f32_e64 v5, |v6|, s10
; %bb.1722:
	s_or_b64 exec, exec, s[8:9]
                                        ; implicit-def: $vgpr9
.LBB208_1723:
	s_andn2_saveexec_b64 s[6:7], s[6:7]
; %bb.1724:
	s_mov_b32 s8, 0x7f800000
	v_mov_b32_e32 v5, 0x7c
	v_mov_b32_e32 v6, 0x7f
	v_cmp_lt_u32_e32 vcc, s8, v9
	s_nop 1
	v_cndmask_b32_e32 v5, v5, v6, vcc
; %bb.1725:
	s_or_b64 exec, exec, s[6:7]
	v_lshrrev_b32_e32 v1, 8, v1
	s_movk_i32 s6, 0x80
	v_and_or_b32 v1, v1, s6, v5
	global_store_byte v[2:3], v1, off
.LBB208_1726:
	s_mov_b64 s[6:7], 0
	s_mov_b64 s[8:9], -1
.LBB208_1727:
	s_andn2_b64 vcc, exec, s[6:7]
	s_mov_b64 s[6:7], 0
	s_cbranch_vccnz .LBB208_1734
; %bb.1728:
	s_cmp_gt_i32 s19, 14
	s_mov_b64 s[10:11], -1
	s_cbranch_scc0 .LBB208_1732
; %bb.1729:
	s_cmp_eq_u32 s19, 15
	s_mov_b64 s[0:1], -1
	s_cbranch_scc0 .LBB208_1731
; %bb.1730:
	global_store_short v[2:3], v4, off
	s_mov_b64 s[0:1], 0
	s_mov_b64 s[8:9], -1
.LBB208_1731:
	s_mov_b64 s[10:11], 0
.LBB208_1732:
	s_and_b64 vcc, exec, s[10:11]
	s_cbranch_vccz .LBB208_1734
; %bb.1733:
	s_cmp_lg_u32 s19, 11
	s_mov_b64 s[6:7], -1
	s_cselect_b64 s[0:1], -1, 0
.LBB208_1734:
	s_and_b64 vcc, exec, s[0:1]
	s_cbranch_vccnz .LBB208_2028
; %bb.1735:
	s_andn2_b64 vcc, exec, s[6:7]
	s_cbranch_vccnz .LBB208_1737
.LBB208_1736:
	v_and_b32_e32 v1, 0x7fff, v4
	v_cmp_ne_u16_e32 vcc, 0, v1
	s_mov_b64 s[8:9], -1
	s_nop 0
	v_cndmask_b32_e64 v1, 0, 1, vcc
	global_store_byte v[2:3], v1, off
.LBB208_1737:
	s_mov_b64 s[0:1], 0
	s_branch .LBB208_1739
.LBB208_1738:
	s_mov_b64 s[0:1], -1
	s_mov_b64 s[8:9], 0
.LBB208_1739:
	s_and_b64 vcc, exec, s[0:1]
	s_cbranch_vccz .LBB208_1778
; %bb.1740:
	s_and_b32 s6, 0xffff, s20
	s_cmp_lt_i32 s6, 5
	s_mov_b64 s[0:1], -1
	s_cbranch_scc1 .LBB208_1761
; %bb.1741:
	s_cmp_lt_i32 s6, 8
	s_cbranch_scc1 .LBB208_1751
; %bb.1742:
	s_cmp_lt_i32 s6, 9
	s_cbranch_scc1 .LBB208_1748
; %bb.1743:
	s_cmp_gt_i32 s6, 9
	s_cbranch_scc0 .LBB208_1745
; %bb.1744:
	v_lshlrev_b32_e32 v1, 16, v4
	v_mov_b32_e32 v12, 0
	v_cvt_f64_f32_e32 v[10:11], v1
	v_mov_b32_e32 v13, v12
	global_store_dwordx4 v[2:3], v[10:13], off
	s_mov_b64 s[0:1], 0
.LBB208_1745:
	s_andn2_b64 vcc, exec, s[0:1]
	s_cbranch_vccnz .LBB208_1747
; %bb.1746:
	v_lshlrev_b32_e32 v10, 16, v4
	v_mov_b32_e32 v11, 0
	global_store_dwordx2 v[2:3], v[10:11], off
.LBB208_1747:
	s_mov_b64 s[0:1], 0
.LBB208_1748:
	s_andn2_b64 vcc, exec, s[0:1]
	s_cbranch_vccnz .LBB208_1750
; %bb.1749:
	v_lshlrev_b32_e32 v1, 16, v4
	v_cvt_f16_f32_e32 v1, v1
	global_store_dword v[2:3], v1, off
.LBB208_1750:
	s_mov_b64 s[0:1], 0
.LBB208_1751:
	s_andn2_b64 vcc, exec, s[0:1]
	s_cbranch_vccnz .LBB208_1760
; %bb.1752:
	s_cmp_lt_i32 s6, 6
	s_mov_b64 s[0:1], -1
	s_cbranch_scc1 .LBB208_1758
; %bb.1753:
	s_cmp_gt_i32 s6, 6
	s_cbranch_scc0 .LBB208_1755
; %bb.1754:
	v_lshlrev_b32_e32 v1, 16, v4
	v_cvt_f64_f32_e32 v[10:11], v1
	global_store_dwordx2 v[2:3], v[10:11], off
	s_mov_b64 s[0:1], 0
.LBB208_1755:
	s_andn2_b64 vcc, exec, s[0:1]
	s_cbranch_vccnz .LBB208_1757
; %bb.1756:
	v_lshlrev_b32_e32 v1, 16, v4
	global_store_dword v[2:3], v1, off
.LBB208_1757:
	s_mov_b64 s[0:1], 0
.LBB208_1758:
	s_andn2_b64 vcc, exec, s[0:1]
	s_cbranch_vccnz .LBB208_1760
; %bb.1759:
	v_lshlrev_b32_e32 v1, 16, v4
	v_cvt_f16_f32_e32 v1, v1
	global_store_short v[2:3], v1, off
.LBB208_1760:
	s_mov_b64 s[0:1], 0
.LBB208_1761:
	s_andn2_b64 vcc, exec, s[0:1]
	s_cbranch_vccnz .LBB208_1777
; %bb.1762:
	s_cmp_lt_i32 s6, 2
	s_mov_b64 s[0:1], -1
	s_cbranch_scc1 .LBB208_1772
; %bb.1763:
	s_cmp_lt_i32 s6, 3
	s_cbranch_scc1 .LBB208_1769
; %bb.1764:
	s_cmp_gt_i32 s6, 3
	s_cbranch_scc0 .LBB208_1766
; %bb.1765:
	v_lshlrev_b32_e32 v1, 16, v4
	v_trunc_f32_e32 v1, v1
	s_mov_b32 s0, 0x2f800000
	v_mul_f32_e64 v5, |v1|, s0
	v_floor_f32_e32 v5, v5
	s_mov_b32 s0, 0xcf800000
	v_cvt_u32_f32_e32 v6, v5
	v_fma_f32 v5, v5, s0, |v1|
	v_cvt_u32_f32_e32 v5, v5
	v_ashrrev_i32_e32 v1, 31, v1
	v_xor_b32_e32 v6, v6, v1
	s_mov_b64 s[0:1], 0
	v_xor_b32_e32 v5, v5, v1
	v_sub_co_u32_e32 v10, vcc, v5, v1
	s_nop 1
	v_subb_co_u32_e32 v11, vcc, v6, v1, vcc
	global_store_dwordx2 v[2:3], v[10:11], off
.LBB208_1766:
	s_andn2_b64 vcc, exec, s[0:1]
	s_cbranch_vccnz .LBB208_1768
; %bb.1767:
	v_lshlrev_b32_e32 v1, 16, v4
	v_cvt_i32_f32_e32 v1, v1
	global_store_dword v[2:3], v1, off
.LBB208_1768:
	s_mov_b64 s[0:1], 0
.LBB208_1769:
	s_andn2_b64 vcc, exec, s[0:1]
	s_cbranch_vccnz .LBB208_1771
; %bb.1770:
	v_lshlrev_b32_e32 v1, 16, v4
	v_cvt_i32_f32_e32 v1, v1
	global_store_short v[2:3], v1, off
.LBB208_1771:
	s_mov_b64 s[0:1], 0
.LBB208_1772:
	s_andn2_b64 vcc, exec, s[0:1]
	s_cbranch_vccnz .LBB208_1777
; %bb.1773:
	s_mov_b64 s[0:1], -1
	s_cmp_gt_i32 s6, 0
	v_lshlrev_b32_e32 v1, 16, v4
	s_cbranch_scc0 .LBB208_1775
; %bb.1774:
	v_cvt_i32_f32_e32 v4, v1
	s_mov_b64 s[0:1], 0
	global_store_byte v[2:3], v4, off
.LBB208_1775:
	s_andn2_b64 vcc, exec, s[0:1]
	s_cbranch_vccnz .LBB208_1777
; %bb.1776:
	v_trunc_f32_e32 v1, v1
	s_mov_b32 s0, 0x2f800000
	v_mul_f32_e64 v4, |v1|, s0
	v_floor_f32_e32 v4, v4
	s_mov_b32 s0, 0xcf800000
	v_fma_f32 v4, v4, s0, |v1|
	v_cvt_u32_f32_e32 v4, v4
	v_ashrrev_i32_e32 v1, 31, v1
	v_xor_b32_e32 v4, v4, v1
	v_sub_u32_e32 v1, v4, v1
	global_store_byte v[2:3], v1, off
.LBB208_1777:
	s_mov_b64 s[8:9], -1
.LBB208_1778:
	s_andn2_b64 vcc, exec, s[8:9]
	s_cbranch_vccnz .LBB208_1974
; %bb.1779:
	v_lshlrev_b32_e32 v1, 16, v7
	v_cvt_f64_f32_e32 v[2:3], v1
	v_rsq_f64_e32 v[4:5], v[2:3]
	s_mov_b32 s0, 0
	s_mov_b32 s1, 0x3fd80000
	v_mov_b32_e32 v1, 0x180
	v_mul_f64 v[2:3], v[4:5], -v[2:3]
	v_fma_f64 v[2:3], v[2:3], v[4:5], 1.0
	v_mul_f64 v[6:7], v[4:5], v[2:3]
	v_fma_f64 v[2:3], v[2:3], s[0:1], 0.5
	v_fma_f64 v[2:3], v[6:7], v[2:3], v[4:5]
	v_cmp_class_f64_e32 vcc, v[4:5], v1
	s_movk_i32 s0, 0x7fff
	v_add_u32_e32 v0, s18, v0
	v_cndmask_b32_e32 v3, v5, v3, vcc
	v_cndmask_b32_e32 v2, v4, v2, vcc
	v_cvt_f32_f64_e32 v1, v[2:3]
	v_bfe_u32 v2, v1, 16, 1
	v_add3_u32 v2, v1, v2, s0
	v_cmp_o_f32_e32 vcc, v1, v1
	v_mov_b32_e32 v1, 0x7fc0
	s_cmp_lt_i32 s20, 11
	v_cndmask_b32_sdwa v4, v1, v2, vcc dst_sel:DWORD dst_unused:UNUSED_PAD src0_sel:DWORD src1_sel:WORD_1
	v_ashrrev_i32_e32 v1, 31, v0
	v_lshl_add_u64 v[2:3], s[4:5], 0, v[0:1]
	s_cbranch_scc1 .LBB208_1857
; %bb.1780:
	s_and_b32 s19, 0xffff, s20
	s_mov_b64 s[10:11], -1
	s_mov_b64 s[6:7], 0
	s_cmp_gt_i32 s19, 25
	s_mov_b64 s[8:9], 0
	s_mov_b64 s[0:1], 0
	s_cbranch_scc0 .LBB208_1813
; %bb.1781:
	s_cmp_gt_i32 s19, 28
	s_cbranch_scc0 .LBB208_1796
; %bb.1782:
	s_cmp_gt_i32 s19, 43
	;; [unrolled: 3-line block ×3, first 2 shown]
	s_cbranch_scc0 .LBB208_1786
; %bb.1784:
	s_mov_b64 s[0:1], -1
	s_mov_b64 s[10:11], 0
	s_cmp_eq_u32 s19, 46
	s_cbranch_scc0 .LBB208_1786
; %bb.1785:
	v_and_b32_e32 v1, 0xffff, v4
	global_store_dword v[2:3], v1, off
	s_mov_b64 s[0:1], 0
	s_mov_b64 s[8:9], -1
.LBB208_1786:
	s_and_b64 vcc, exec, s[10:11]
	s_cbranch_vccz .LBB208_1791
; %bb.1787:
	s_cmp_eq_u32 s19, 44
	s_mov_b64 s[0:1], -1
	s_cbranch_scc0 .LBB208_1791
; %bb.1788:
	v_and_b32_e32 v5, 0xffff, v4
	v_bfe_u32 v1, v5, 7, 8
	s_movk_i32 s0, 0xff
	v_cmp_ne_u32_e32 vcc, s0, v1
	v_mov_b32_e32 v6, 0xff
	s_and_saveexec_b64 s[8:9], vcc
	s_cbranch_execz .LBB208_1790
; %bb.1789:
	v_lshlrev_b32_e32 v7, 16, v5
	s_mov_b32 s0, 0x3f0000
	v_lshrrev_b32_e32 v6, 7, v5
	v_and_b32_e32 v5, 64, v5
	v_and_or_b32 v1, v7, s0, v1
	v_cmp_ne_u32_e32 vcc, 0, v5
	v_cmp_ne_u32_e64 s[0:1], 0, v1
	s_and_b64 s[0:1], vcc, s[0:1]
	s_nop 0
	v_cndmask_b32_e64 v1, 0, 1, s[0:1]
	v_add_u32_e32 v6, v6, v1
.LBB208_1790:
	s_or_b64 exec, exec, s[8:9]
	s_mov_b64 s[0:1], 0
	s_mov_b64 s[8:9], -1
	global_store_byte v[2:3], v6, off
.LBB208_1791:
	s_mov_b64 s[10:11], 0
.LBB208_1792:
	s_and_b64 vcc, exec, s[10:11]
	s_cbranch_vccz .LBB208_1795
; %bb.1793:
	s_cmp_eq_u32 s19, 29
	s_mov_b64 s[0:1], -1
	s_cbranch_scc0 .LBB208_1795
; %bb.1794:
	v_lshlrev_b32_e32 v1, 16, v4
	v_trunc_f32_e32 v1, v1
	v_mul_f32_e32 v5, 0x2f800000, v1
	v_floor_f32_e32 v5, v5
	v_fmamk_f32 v1, v5, 0xcf800000, v1
	v_cvt_u32_f32_e32 v7, v5
	v_cvt_u32_f32_e32 v6, v1
	s_mov_b64 s[0:1], 0
	s_mov_b64 s[8:9], -1
	global_store_dwordx2 v[2:3], v[6:7], off
.LBB208_1795:
	s_mov_b64 s[10:11], 0
.LBB208_1796:
	s_and_b64 vcc, exec, s[10:11]
	s_cbranch_vccz .LBB208_1812
; %bb.1797:
	s_cmp_lt_i32 s19, 27
	s_mov_b64 s[8:9], -1
	s_cbranch_scc1 .LBB208_1803
; %bb.1798:
	s_cmp_gt_i32 s19, 27
	s_cbranch_scc0 .LBB208_1800
; %bb.1799:
	v_lshlrev_b32_e32 v1, 16, v4
	v_cvt_u32_f32_e32 v1, v1
	s_mov_b64 s[8:9], 0
	global_store_dword v[2:3], v1, off
.LBB208_1800:
	s_andn2_b64 vcc, exec, s[8:9]
	s_cbranch_vccnz .LBB208_1802
; %bb.1801:
	v_lshlrev_b32_e32 v1, 16, v4
	v_cvt_u32_f32_e32 v1, v1
	global_store_short v[2:3], v1, off
.LBB208_1802:
	s_mov_b64 s[8:9], 0
.LBB208_1803:
	s_andn2_b64 vcc, exec, s[8:9]
	s_cbranch_vccnz .LBB208_1811
; %bb.1804:
	v_lshlrev_b32_e32 v6, 16, v4
	v_and_b32_e32 v5, 0x7fffffff, v6
	s_mov_b32 s8, 0x43800000
	v_cmp_gt_u32_e32 vcc, s8, v5
	v_mov_b32_e32 v7, 0x80
	s_and_saveexec_b64 s[8:9], vcc
	s_cbranch_execz .LBB208_1810
; %bb.1805:
	s_mov_b32 s10, 0x3bffffff
	v_and_b32_e32 v1, 0xffff, v4
	v_cmp_lt_u32_e32 vcc, s10, v5
	s_mov_b64 s[10:11], 0
                                        ; implicit-def: $vgpr5
	s_and_saveexec_b64 s[16:17], vcc
	s_xor_b64 s[16:17], exec, s[16:17]
	s_cbranch_execz .LBB208_2031
; %bb.1806:
	v_bfe_u32 v5, v1, 4, 1
	s_mov_b32 s21, 0x487ffff
	v_add3_u32 v5, v6, v5, s21
	s_mov_b64 s[10:11], exec
	v_lshrrev_b32_e32 v5, 20, v5
                                        ; implicit-def: $vgpr6
	s_andn2_saveexec_b64 s[16:17], s[16:17]
	s_cbranch_execnz .LBB208_2032
.LBB208_1807:
	s_or_b64 exec, exec, s[16:17]
	v_mov_b32_e32 v7, 0
	s_and_saveexec_b64 s[16:17], s[10:11]
.LBB208_1808:
	v_lshrrev_b32_e32 v1, 8, v1
	s_movk_i32 s10, 0x80
	v_and_or_b32 v7, v1, s10, v5
.LBB208_1809:
	s_or_b64 exec, exec, s[16:17]
.LBB208_1810:
	s_or_b64 exec, exec, s[8:9]
	global_store_byte v[2:3], v7, off
.LBB208_1811:
	s_mov_b64 s[8:9], -1
.LBB208_1812:
	s_mov_b64 s[10:11], 0
.LBB208_1813:
	s_and_b64 vcc, exec, s[10:11]
	s_cbranch_vccz .LBB208_1853
; %bb.1814:
	s_cmp_gt_i32 s19, 22
	s_mov_b64 s[6:7], -1
	s_cbranch_scc0 .LBB208_1846
; %bb.1815:
	s_cmp_lt_i32 s19, 24
	s_cbranch_scc1 .LBB208_1835
; %bb.1816:
	s_cmp_gt_i32 s19, 24
	s_cbranch_scc0 .LBB208_1824
; %bb.1817:
	v_lshlrev_b32_e32 v6, 16, v4
	v_and_b32_e32 v5, 0x7fffffff, v6
	s_mov_b32 s6, 0x47800000
	v_cmp_gt_u32_e32 vcc, s6, v5
	v_mov_b32_e32 v7, 0x80
	s_and_saveexec_b64 s[6:7], vcc
	s_cbranch_execz .LBB208_1823
; %bb.1818:
	s_mov_b32 s8, 0x37ffffff
	v_and_b32_e32 v1, 0xffff, v4
	v_cmp_lt_u32_e32 vcc, s8, v5
	s_mov_b64 s[8:9], 0
                                        ; implicit-def: $vgpr5
	s_and_saveexec_b64 s[10:11], vcc
	s_xor_b64 s[10:11], exec, s[10:11]
	s_cbranch_execz .LBB208_2034
; %bb.1819:
	v_bfe_u32 v5, v1, 5, 1
	s_mov_b32 s16, 0x88fffff
	v_add3_u32 v5, v6, v5, s16
	s_mov_b64 s[8:9], exec
	v_lshrrev_b32_e32 v5, 21, v5
                                        ; implicit-def: $vgpr6
	s_andn2_saveexec_b64 s[10:11], s[10:11]
	s_cbranch_execnz .LBB208_2035
.LBB208_1820:
	s_or_b64 exec, exec, s[10:11]
	v_mov_b32_e32 v7, 0
	s_and_saveexec_b64 s[10:11], s[8:9]
.LBB208_1821:
	v_lshrrev_b32_e32 v1, 8, v1
	s_movk_i32 s8, 0x80
	v_and_or_b32 v7, v1, s8, v5
.LBB208_1822:
	s_or_b64 exec, exec, s[10:11]
.LBB208_1823:
	s_or_b64 exec, exec, s[6:7]
	s_mov_b64 s[6:7], 0
	global_store_byte v[2:3], v7, off
.LBB208_1824:
	s_and_b64 vcc, exec, s[6:7]
	s_cbranch_vccz .LBB208_1834
; %bb.1825:
	v_lshlrev_b32_e32 v6, 16, v4
	v_and_b32_e32 v7, 0x7fffffff, v6
	s_mov_b32 s6, 0x43f00000
	v_and_b32_e32 v1, 0xffff, v4
	v_cmp_gt_u32_e32 vcc, s6, v7
                                        ; implicit-def: $vgpr5
	s_and_saveexec_b64 s[6:7], vcc
	s_xor_b64 s[6:7], exec, s[6:7]
	s_cbranch_execz .LBB208_1831
; %bb.1826:
	s_mov_b32 s8, 0x3c7fffff
	v_cmp_lt_u32_e32 vcc, s8, v7
                                        ; implicit-def: $vgpr5
	s_and_saveexec_b64 s[8:9], vcc
	s_xor_b64 s[8:9], exec, s[8:9]
; %bb.1827:
	v_bfe_u32 v5, v1, 4, 1
	s_mov_b32 s10, 0x407ffff
	v_add3_u32 v5, v6, v5, s10
	v_lshrrev_b32_e32 v6, 20, v5
	v_and_b32_e32 v5, 0xff00000, v5
	s_mov_b32 s10, 0x7f00000
	v_mov_b32_e32 v7, 0x7e
	v_cmp_ne_u32_e32 vcc, s10, v5
	s_nop 1
	v_cndmask_b32_e32 v5, v7, v6, vcc
                                        ; implicit-def: $vgpr6
; %bb.1828:
	s_andn2_saveexec_b64 s[8:9], s[8:9]
; %bb.1829:
	s_mov_b32 s10, 0x46800000
	v_add_f32_e64 v5, |v6|, s10
; %bb.1830:
	s_or_b64 exec, exec, s[8:9]
                                        ; implicit-def: $vgpr7
.LBB208_1831:
	s_andn2_saveexec_b64 s[6:7], s[6:7]
; %bb.1832:
	s_mov_b32 s8, 0x7f800000
	v_mov_b32_e32 v5, 0x7e
	v_mov_b32_e32 v6, 0x7f
	v_cmp_lt_u32_e32 vcc, s8, v7
	s_nop 1
	v_cndmask_b32_e32 v5, v5, v6, vcc
; %bb.1833:
	s_or_b64 exec, exec, s[6:7]
	v_lshrrev_b32_e32 v1, 8, v1
	s_movk_i32 s6, 0x80
	v_and_or_b32 v1, v1, s6, v5
	global_store_byte v[2:3], v1, off
.LBB208_1834:
	s_mov_b64 s[6:7], 0
.LBB208_1835:
	s_andn2_b64 vcc, exec, s[6:7]
	s_cbranch_vccnz .LBB208_1845
; %bb.1836:
	v_lshlrev_b32_e32 v6, 16, v4
	v_and_b32_e32 v7, 0x7fffffff, v6
	s_mov_b32 s6, 0x47800000
	v_and_b32_e32 v1, 0xffff, v4
	v_cmp_gt_u32_e32 vcc, s6, v7
                                        ; implicit-def: $vgpr5
	s_and_saveexec_b64 s[6:7], vcc
	s_xor_b64 s[6:7], exec, s[6:7]
	s_cbranch_execz .LBB208_1842
; %bb.1837:
	s_mov_b32 s8, 0x387fffff
	v_cmp_lt_u32_e32 vcc, s8, v7
                                        ; implicit-def: $vgpr5
	s_and_saveexec_b64 s[8:9], vcc
	s_xor_b64 s[8:9], exec, s[8:9]
; %bb.1838:
	v_bfe_u32 v5, v1, 5, 1
	s_mov_b32 s10, 0x80fffff
	v_add3_u32 v5, v6, v5, s10
	v_lshrrev_b32_e32 v5, 21, v5
                                        ; implicit-def: $vgpr6
; %bb.1839:
	s_andn2_saveexec_b64 s[8:9], s[8:9]
; %bb.1840:
	s_mov_b32 s10, 0x43000000
	v_add_f32_e64 v5, |v6|, s10
; %bb.1841:
	s_or_b64 exec, exec, s[8:9]
                                        ; implicit-def: $vgpr7
.LBB208_1842:
	s_andn2_saveexec_b64 s[6:7], s[6:7]
; %bb.1843:
	s_mov_b32 s8, 0x7f800000
	v_mov_b32_e32 v5, 0x7c
	v_mov_b32_e32 v6, 0x7f
	v_cmp_lt_u32_e32 vcc, s8, v7
	s_nop 1
	v_cndmask_b32_e32 v5, v5, v6, vcc
; %bb.1844:
	s_or_b64 exec, exec, s[6:7]
	v_lshrrev_b32_e32 v1, 8, v1
	s_movk_i32 s6, 0x80
	v_and_or_b32 v1, v1, s6, v5
	global_store_byte v[2:3], v1, off
.LBB208_1845:
	s_mov_b64 s[6:7], 0
	s_mov_b64 s[8:9], -1
.LBB208_1846:
	s_andn2_b64 vcc, exec, s[6:7]
	s_mov_b64 s[6:7], 0
	s_cbranch_vccnz .LBB208_1853
; %bb.1847:
	s_cmp_gt_i32 s19, 14
	s_mov_b64 s[10:11], -1
	s_cbranch_scc0 .LBB208_1851
; %bb.1848:
	s_cmp_eq_u32 s19, 15
	s_mov_b64 s[0:1], -1
	s_cbranch_scc0 .LBB208_1850
; %bb.1849:
	global_store_short v[2:3], v4, off
	s_mov_b64 s[0:1], 0
	s_mov_b64 s[8:9], -1
.LBB208_1850:
	s_mov_b64 s[10:11], 0
.LBB208_1851:
	s_and_b64 vcc, exec, s[10:11]
	s_cbranch_vccz .LBB208_1853
; %bb.1852:
	s_cmp_lg_u32 s19, 11
	s_mov_b64 s[6:7], -1
	s_cselect_b64 s[0:1], -1, 0
.LBB208_1853:
	s_and_b64 vcc, exec, s[0:1]
	s_cbranch_vccnz .LBB208_2033
; %bb.1854:
	s_andn2_b64 vcc, exec, s[6:7]
	s_cbranch_vccnz .LBB208_1856
.LBB208_1855:
	v_and_b32_e32 v1, 0x7fff, v4
	v_cmp_ne_u16_e32 vcc, 0, v1
	s_mov_b64 s[8:9], -1
	s_nop 0
	v_cndmask_b32_e64 v1, 0, 1, vcc
	global_store_byte v[2:3], v1, off
.LBB208_1856:
	s_mov_b64 s[0:1], 0
	s_branch .LBB208_1858
.LBB208_1857:
	s_mov_b64 s[0:1], -1
	s_mov_b64 s[8:9], 0
.LBB208_1858:
	s_and_b64 vcc, exec, s[0:1]
	s_cbranch_vccz .LBB208_1897
; %bb.1859:
	s_and_b32 s6, 0xffff, s20
	s_cmp_lt_i32 s6, 5
	s_mov_b64 s[0:1], -1
	s_cbranch_scc1 .LBB208_1880
; %bb.1860:
	s_cmp_lt_i32 s6, 8
	s_cbranch_scc1 .LBB208_1870
; %bb.1861:
	s_cmp_lt_i32 s6, 9
	s_cbranch_scc1 .LBB208_1867
; %bb.1862:
	s_cmp_gt_i32 s6, 9
	s_cbranch_scc0 .LBB208_1864
; %bb.1863:
	v_lshlrev_b32_e32 v1, 16, v4
	v_mov_b32_e32 v12, 0
	v_cvt_f64_f32_e32 v[10:11], v1
	v_mov_b32_e32 v13, v12
	global_store_dwordx4 v[2:3], v[10:13], off
	s_mov_b64 s[0:1], 0
.LBB208_1864:
	s_andn2_b64 vcc, exec, s[0:1]
	s_cbranch_vccnz .LBB208_1866
; %bb.1865:
	v_lshlrev_b32_e32 v6, 16, v4
	v_mov_b32_e32 v7, 0
	global_store_dwordx2 v[2:3], v[6:7], off
.LBB208_1866:
	s_mov_b64 s[0:1], 0
.LBB208_1867:
	s_andn2_b64 vcc, exec, s[0:1]
	s_cbranch_vccnz .LBB208_1869
; %bb.1868:
	v_lshlrev_b32_e32 v1, 16, v4
	v_cvt_f16_f32_e32 v1, v1
	global_store_dword v[2:3], v1, off
.LBB208_1869:
	s_mov_b64 s[0:1], 0
.LBB208_1870:
	s_andn2_b64 vcc, exec, s[0:1]
	s_cbranch_vccnz .LBB208_1879
; %bb.1871:
	s_cmp_lt_i32 s6, 6
	s_mov_b64 s[0:1], -1
	s_cbranch_scc1 .LBB208_1877
; %bb.1872:
	s_cmp_gt_i32 s6, 6
	s_cbranch_scc0 .LBB208_1874
; %bb.1873:
	v_lshlrev_b32_e32 v1, 16, v4
	v_cvt_f64_f32_e32 v[6:7], v1
	global_store_dwordx2 v[2:3], v[6:7], off
	s_mov_b64 s[0:1], 0
.LBB208_1874:
	s_andn2_b64 vcc, exec, s[0:1]
	s_cbranch_vccnz .LBB208_1876
; %bb.1875:
	v_lshlrev_b32_e32 v1, 16, v4
	global_store_dword v[2:3], v1, off
.LBB208_1876:
	s_mov_b64 s[0:1], 0
.LBB208_1877:
	s_andn2_b64 vcc, exec, s[0:1]
	s_cbranch_vccnz .LBB208_1879
; %bb.1878:
	v_lshlrev_b32_e32 v1, 16, v4
	v_cvt_f16_f32_e32 v1, v1
	global_store_short v[2:3], v1, off
.LBB208_1879:
	s_mov_b64 s[0:1], 0
.LBB208_1880:
	s_andn2_b64 vcc, exec, s[0:1]
	s_cbranch_vccnz .LBB208_1896
; %bb.1881:
	s_cmp_lt_i32 s6, 2
	s_mov_b64 s[0:1], -1
	s_cbranch_scc1 .LBB208_1891
; %bb.1882:
	s_cmp_lt_i32 s6, 3
	s_cbranch_scc1 .LBB208_1888
; %bb.1883:
	s_cmp_gt_i32 s6, 3
	s_cbranch_scc0 .LBB208_1885
; %bb.1884:
	v_lshlrev_b32_e32 v1, 16, v4
	v_trunc_f32_e32 v1, v1
	s_mov_b32 s0, 0x2f800000
	v_mul_f32_e64 v5, |v1|, s0
	v_floor_f32_e32 v5, v5
	s_mov_b32 s0, 0xcf800000
	v_cvt_u32_f32_e32 v6, v5
	v_fma_f32 v5, v5, s0, |v1|
	v_cvt_u32_f32_e32 v5, v5
	v_ashrrev_i32_e32 v1, 31, v1
	v_xor_b32_e32 v7, v6, v1
	s_mov_b64 s[0:1], 0
	v_xor_b32_e32 v5, v5, v1
	v_sub_co_u32_e32 v6, vcc, v5, v1
	s_nop 1
	v_subb_co_u32_e32 v7, vcc, v7, v1, vcc
	global_store_dwordx2 v[2:3], v[6:7], off
.LBB208_1885:
	s_andn2_b64 vcc, exec, s[0:1]
	s_cbranch_vccnz .LBB208_1887
; %bb.1886:
	v_lshlrev_b32_e32 v1, 16, v4
	v_cvt_i32_f32_e32 v1, v1
	global_store_dword v[2:3], v1, off
.LBB208_1887:
	s_mov_b64 s[0:1], 0
.LBB208_1888:
	s_andn2_b64 vcc, exec, s[0:1]
	s_cbranch_vccnz .LBB208_1890
; %bb.1889:
	v_lshlrev_b32_e32 v1, 16, v4
	v_cvt_i32_f32_e32 v1, v1
	global_store_short v[2:3], v1, off
.LBB208_1890:
	s_mov_b64 s[0:1], 0
.LBB208_1891:
	s_andn2_b64 vcc, exec, s[0:1]
	s_cbranch_vccnz .LBB208_1896
; %bb.1892:
	s_mov_b64 s[0:1], -1
	s_cmp_gt_i32 s6, 0
	v_lshlrev_b32_e32 v1, 16, v4
	s_cbranch_scc0 .LBB208_1894
; %bb.1893:
	v_cvt_i32_f32_e32 v4, v1
	s_mov_b64 s[0:1], 0
	global_store_byte v[2:3], v4, off
.LBB208_1894:
	s_andn2_b64 vcc, exec, s[0:1]
	s_cbranch_vccnz .LBB208_1896
; %bb.1895:
	v_trunc_f32_e32 v1, v1
	s_mov_b32 s0, 0x2f800000
	v_mul_f32_e64 v4, |v1|, s0
	v_floor_f32_e32 v4, v4
	s_mov_b32 s0, 0xcf800000
	v_fma_f32 v4, v4, s0, |v1|
	v_cvt_u32_f32_e32 v4, v4
	v_ashrrev_i32_e32 v1, 31, v1
	v_xor_b32_e32 v4, v4, v1
	v_sub_u32_e32 v1, v4, v1
	global_store_byte v[2:3], v1, off
.LBB208_1896:
	s_mov_b64 s[8:9], -1
.LBB208_1897:
	s_andn2_b64 vcc, exec, s[8:9]
	s_cbranch_vccnz .LBB208_1974
; %bb.1898:
	v_lshlrev_b32_e32 v1, 16, v8
	v_cvt_f64_f32_e32 v[2:3], v1
	v_rsq_f64_e32 v[4:5], v[2:3]
	s_mov_b32 s0, 0
	s_mov_b32 s1, 0x3fd80000
	v_mov_b32_e32 v1, 0x180
	v_mul_f64 v[2:3], v[4:5], -v[2:3]
	v_fma_f64 v[2:3], v[2:3], v[4:5], 1.0
	v_mul_f64 v[6:7], v[4:5], v[2:3]
	v_fma_f64 v[2:3], v[2:3], s[0:1], 0.5
	v_fma_f64 v[2:3], v[6:7], v[2:3], v[4:5]
	v_cmp_class_f64_e32 vcc, v[4:5], v1
	s_movk_i32 s0, 0x7fff
	v_add_u32_e32 v0, s18, v0
	v_cndmask_b32_e32 v3, v5, v3, vcc
	v_cndmask_b32_e32 v2, v4, v2, vcc
	v_cvt_f32_f64_e32 v1, v[2:3]
	v_bfe_u32 v2, v1, 16, 1
	v_add3_u32 v2, v1, v2, s0
	v_cmp_o_f32_e32 vcc, v1, v1
	v_mov_b32_e32 v1, 0x7fc0
	s_cmp_lt_i32 s20, 11
	v_cndmask_b32_sdwa v2, v1, v2, vcc dst_sel:DWORD dst_unused:UNUSED_PAD src0_sel:DWORD src1_sel:WORD_1
	v_ashrrev_i32_e32 v1, 31, v0
	v_lshl_add_u64 v[0:1], s[4:5], 0, v[0:1]
	s_cbranch_scc1 .LBB208_2019
; %bb.1899:
	s_and_b32 s16, 0xffff, s20
	s_mov_b64 s[6:7], -1
	s_mov_b64 s[4:5], 0
	s_cmp_gt_i32 s16, 25
	s_mov_b64 s[0:1], 0
	s_cbranch_scc0 .LBB208_1932
; %bb.1900:
	s_cmp_gt_i32 s16, 28
	s_cbranch_scc0 .LBB208_1916
; %bb.1901:
	s_cmp_gt_i32 s16, 43
	;; [unrolled: 3-line block ×3, first 2 shown]
	s_cbranch_scc0 .LBB208_1906
; %bb.1903:
	s_cmp_eq_u32 s16, 46
	s_mov_b64 s[0:1], -1
	s_cbranch_scc0 .LBB208_1905
; %bb.1904:
	v_and_b32_e32 v3, 0xffff, v2
	global_store_dword v[0:1], v3, off
	s_mov_b64 s[0:1], 0
.LBB208_1905:
	s_mov_b64 s[6:7], 0
.LBB208_1906:
	s_and_b64 vcc, exec, s[6:7]
	s_cbranch_vccz .LBB208_1911
; %bb.1907:
	s_cmp_eq_u32 s16, 44
	s_mov_b64 s[0:1], -1
	s_cbranch_scc0 .LBB208_1911
; %bb.1908:
	v_and_b32_e32 v4, 0xffff, v2
	v_bfe_u32 v3, v4, 7, 8
	s_movk_i32 s0, 0xff
	v_cmp_ne_u32_e32 vcc, s0, v3
	v_mov_b32_e32 v5, 0xff
	s_and_saveexec_b64 s[6:7], vcc
	s_cbranch_execz .LBB208_1910
; %bb.1909:
	v_lshlrev_b32_e32 v6, 16, v4
	s_mov_b32 s0, 0x3f0000
	v_lshrrev_b32_e32 v5, 7, v4
	v_and_b32_e32 v4, 64, v4
	v_and_or_b32 v3, v6, s0, v3
	v_cmp_ne_u32_e32 vcc, 0, v4
	v_cmp_ne_u32_e64 s[0:1], 0, v3
	s_and_b64 s[0:1], vcc, s[0:1]
	s_nop 0
	v_cndmask_b32_e64 v3, 0, 1, s[0:1]
	v_add_u32_e32 v5, v5, v3
.LBB208_1910:
	s_or_b64 exec, exec, s[6:7]
	s_mov_b64 s[0:1], 0
	global_store_byte v[0:1], v5, off
.LBB208_1911:
	s_mov_b64 s[6:7], 0
.LBB208_1912:
	s_and_b64 vcc, exec, s[6:7]
	s_cbranch_vccz .LBB208_1915
; %bb.1913:
	s_cmp_eq_u32 s16, 29
	s_mov_b64 s[0:1], -1
	s_cbranch_scc0 .LBB208_1915
; %bb.1914:
	v_lshlrev_b32_e32 v3, 16, v2
	v_trunc_f32_e32 v3, v3
	v_mul_f32_e32 v4, 0x2f800000, v3
	v_floor_f32_e32 v4, v4
	v_fmamk_f32 v3, v4, 0xcf800000, v3
	v_cvt_u32_f32_e32 v5, v4
	v_cvt_u32_f32_e32 v4, v3
	s_mov_b64 s[0:1], 0
	global_store_dwordx2 v[0:1], v[4:5], off
.LBB208_1915:
	s_mov_b64 s[6:7], 0
.LBB208_1916:
	s_and_b64 vcc, exec, s[6:7]
	s_cbranch_vccz .LBB208_1931
; %bb.1917:
	s_cmp_lt_i32 s16, 27
	s_mov_b64 s[6:7], -1
	s_cbranch_scc1 .LBB208_1923
; %bb.1918:
	s_cmp_gt_i32 s16, 27
	s_cbranch_scc0 .LBB208_1920
; %bb.1919:
	v_lshlrev_b32_e32 v3, 16, v2
	v_cvt_u32_f32_e32 v3, v3
	s_mov_b64 s[6:7], 0
	global_store_dword v[0:1], v3, off
.LBB208_1920:
	s_andn2_b64 vcc, exec, s[6:7]
	s_cbranch_vccnz .LBB208_1922
; %bb.1921:
	v_lshlrev_b32_e32 v3, 16, v2
	v_cvt_u32_f32_e32 v3, v3
	global_store_short v[0:1], v3, off
.LBB208_1922:
	s_mov_b64 s[6:7], 0
.LBB208_1923:
	s_andn2_b64 vcc, exec, s[6:7]
	s_cbranch_vccnz .LBB208_1931
; %bb.1924:
	v_lshlrev_b32_e32 v5, 16, v2
	v_and_b32_e32 v4, 0x7fffffff, v5
	s_mov_b32 s6, 0x43800000
	v_cmp_gt_u32_e32 vcc, s6, v4
	v_mov_b32_e32 v6, 0x80
	s_and_saveexec_b64 s[6:7], vcc
	s_cbranch_execz .LBB208_1930
; %bb.1925:
	s_mov_b32 s8, 0x3bffffff
	v_and_b32_e32 v3, 0xffff, v2
	v_cmp_lt_u32_e32 vcc, s8, v4
	s_mov_b64 s[8:9], 0
                                        ; implicit-def: $vgpr4
	s_and_saveexec_b64 s[10:11], vcc
	s_xor_b64 s[10:11], exec, s[10:11]
	s_cbranch_execz .LBB208_2036
; %bb.1926:
	v_bfe_u32 v4, v3, 4, 1
	s_mov_b32 s17, 0x487ffff
	v_add3_u32 v4, v5, v4, s17
	s_mov_b64 s[8:9], exec
	v_lshrrev_b32_e32 v4, 20, v4
                                        ; implicit-def: $vgpr5
	s_andn2_saveexec_b64 s[10:11], s[10:11]
	s_cbranch_execnz .LBB208_2037
.LBB208_1927:
	s_or_b64 exec, exec, s[10:11]
	v_mov_b32_e32 v6, 0
	s_and_saveexec_b64 s[10:11], s[8:9]
.LBB208_1928:
	v_lshrrev_b32_e32 v3, 8, v3
	s_movk_i32 s8, 0x80
	v_and_or_b32 v6, v3, s8, v4
.LBB208_1929:
	s_or_b64 exec, exec, s[10:11]
.LBB208_1930:
	s_or_b64 exec, exec, s[6:7]
	global_store_byte v[0:1], v6, off
.LBB208_1931:
	s_mov_b64 s[6:7], 0
.LBB208_1932:
	s_and_b64 vcc, exec, s[6:7]
	s_cbranch_vccz .LBB208_1972
; %bb.1933:
	s_cmp_gt_i32 s16, 22
	s_mov_b64 s[4:5], -1
	s_cbranch_scc0 .LBB208_1965
; %bb.1934:
	s_cmp_lt_i32 s16, 24
	s_cbranch_scc1 .LBB208_1954
; %bb.1935:
	s_cmp_gt_i32 s16, 24
	s_cbranch_scc0 .LBB208_1943
; %bb.1936:
	v_lshlrev_b32_e32 v5, 16, v2
	v_and_b32_e32 v4, 0x7fffffff, v5
	s_mov_b32 s4, 0x47800000
	v_cmp_gt_u32_e32 vcc, s4, v4
	v_mov_b32_e32 v6, 0x80
	s_and_saveexec_b64 s[4:5], vcc
	s_cbranch_execz .LBB208_1942
; %bb.1937:
	s_mov_b32 s6, 0x37ffffff
	v_and_b32_e32 v3, 0xffff, v2
	v_cmp_lt_u32_e32 vcc, s6, v4
	s_mov_b64 s[6:7], 0
                                        ; implicit-def: $vgpr4
	s_and_saveexec_b64 s[8:9], vcc
	s_xor_b64 s[8:9], exec, s[8:9]
	s_cbranch_execz .LBB208_2039
; %bb.1938:
	v_bfe_u32 v4, v3, 5, 1
	s_mov_b32 s10, 0x88fffff
	v_add3_u32 v4, v5, v4, s10
	s_mov_b64 s[6:7], exec
	v_lshrrev_b32_e32 v4, 21, v4
                                        ; implicit-def: $vgpr5
	s_andn2_saveexec_b64 s[8:9], s[8:9]
	s_cbranch_execnz .LBB208_2040
.LBB208_1939:
	s_or_b64 exec, exec, s[8:9]
	v_mov_b32_e32 v6, 0
	s_and_saveexec_b64 s[8:9], s[6:7]
.LBB208_1940:
	v_lshrrev_b32_e32 v3, 8, v3
	s_movk_i32 s6, 0x80
	v_and_or_b32 v6, v3, s6, v4
.LBB208_1941:
	s_or_b64 exec, exec, s[8:9]
.LBB208_1942:
	s_or_b64 exec, exec, s[4:5]
	s_mov_b64 s[4:5], 0
	global_store_byte v[0:1], v6, off
.LBB208_1943:
	s_and_b64 vcc, exec, s[4:5]
	s_cbranch_vccz .LBB208_1953
; %bb.1944:
	v_lshlrev_b32_e32 v5, 16, v2
	v_and_b32_e32 v6, 0x7fffffff, v5
	s_mov_b32 s4, 0x43f00000
	v_and_b32_e32 v3, 0xffff, v2
	v_cmp_gt_u32_e32 vcc, s4, v6
                                        ; implicit-def: $vgpr4
	s_and_saveexec_b64 s[4:5], vcc
	s_xor_b64 s[4:5], exec, s[4:5]
	s_cbranch_execz .LBB208_1950
; %bb.1945:
	s_mov_b32 s6, 0x3c7fffff
	v_cmp_lt_u32_e32 vcc, s6, v6
                                        ; implicit-def: $vgpr4
	s_and_saveexec_b64 s[6:7], vcc
	s_xor_b64 s[6:7], exec, s[6:7]
; %bb.1946:
	v_bfe_u32 v4, v3, 4, 1
	s_mov_b32 s8, 0x407ffff
	v_add3_u32 v4, v5, v4, s8
	v_lshrrev_b32_e32 v5, 20, v4
	v_and_b32_e32 v4, 0xff00000, v4
	s_mov_b32 s8, 0x7f00000
	v_mov_b32_e32 v6, 0x7e
	v_cmp_ne_u32_e32 vcc, s8, v4
	s_nop 1
	v_cndmask_b32_e32 v4, v6, v5, vcc
                                        ; implicit-def: $vgpr5
; %bb.1947:
	s_andn2_saveexec_b64 s[6:7], s[6:7]
; %bb.1948:
	s_mov_b32 s8, 0x46800000
	v_add_f32_e64 v4, |v5|, s8
; %bb.1949:
	s_or_b64 exec, exec, s[6:7]
                                        ; implicit-def: $vgpr6
.LBB208_1950:
	s_andn2_saveexec_b64 s[4:5], s[4:5]
; %bb.1951:
	s_mov_b32 s6, 0x7f800000
	v_mov_b32_e32 v4, 0x7e
	v_mov_b32_e32 v5, 0x7f
	v_cmp_lt_u32_e32 vcc, s6, v6
	s_nop 1
	v_cndmask_b32_e32 v4, v4, v5, vcc
; %bb.1952:
	s_or_b64 exec, exec, s[4:5]
	v_lshrrev_b32_e32 v3, 8, v3
	s_movk_i32 s4, 0x80
	v_and_or_b32 v3, v3, s4, v4
	global_store_byte v[0:1], v3, off
.LBB208_1953:
	s_mov_b64 s[4:5], 0
.LBB208_1954:
	s_andn2_b64 vcc, exec, s[4:5]
	s_cbranch_vccnz .LBB208_1964
; %bb.1955:
	v_lshlrev_b32_e32 v5, 16, v2
	v_and_b32_e32 v6, 0x7fffffff, v5
	s_mov_b32 s4, 0x47800000
	v_and_b32_e32 v3, 0xffff, v2
	v_cmp_gt_u32_e32 vcc, s4, v6
                                        ; implicit-def: $vgpr4
	s_and_saveexec_b64 s[4:5], vcc
	s_xor_b64 s[4:5], exec, s[4:5]
	s_cbranch_execz .LBB208_1961
; %bb.1956:
	s_mov_b32 s6, 0x387fffff
	v_cmp_lt_u32_e32 vcc, s6, v6
                                        ; implicit-def: $vgpr4
	s_and_saveexec_b64 s[6:7], vcc
	s_xor_b64 s[6:7], exec, s[6:7]
; %bb.1957:
	v_bfe_u32 v4, v3, 5, 1
	s_mov_b32 s8, 0x80fffff
	v_add3_u32 v4, v5, v4, s8
	v_lshrrev_b32_e32 v4, 21, v4
                                        ; implicit-def: $vgpr5
; %bb.1958:
	s_andn2_saveexec_b64 s[6:7], s[6:7]
; %bb.1959:
	s_mov_b32 s8, 0x43000000
	v_add_f32_e64 v4, |v5|, s8
; %bb.1960:
	s_or_b64 exec, exec, s[6:7]
                                        ; implicit-def: $vgpr6
.LBB208_1961:
	s_andn2_saveexec_b64 s[4:5], s[4:5]
; %bb.1962:
	s_mov_b32 s6, 0x7f800000
	v_mov_b32_e32 v4, 0x7c
	v_mov_b32_e32 v5, 0x7f
	v_cmp_lt_u32_e32 vcc, s6, v6
	s_nop 1
	v_cndmask_b32_e32 v4, v4, v5, vcc
; %bb.1963:
	s_or_b64 exec, exec, s[4:5]
	v_lshrrev_b32_e32 v3, 8, v3
	s_movk_i32 s4, 0x80
	v_and_or_b32 v3, v3, s4, v4
	global_store_byte v[0:1], v3, off
.LBB208_1964:
	s_mov_b64 s[4:5], 0
.LBB208_1965:
	s_andn2_b64 vcc, exec, s[4:5]
	s_mov_b64 s[4:5], 0
	s_cbranch_vccnz .LBB208_1972
; %bb.1966:
	s_cmp_gt_i32 s16, 14
	s_mov_b64 s[6:7], -1
	s_cbranch_scc0 .LBB208_1970
; %bb.1967:
	s_cmp_eq_u32 s16, 15
	s_mov_b64 s[0:1], -1
	s_cbranch_scc0 .LBB208_1969
; %bb.1968:
	global_store_short v[0:1], v2, off
	s_mov_b64 s[0:1], 0
.LBB208_1969:
	s_mov_b64 s[6:7], 0
.LBB208_1970:
	s_and_b64 vcc, exec, s[6:7]
	s_cbranch_vccz .LBB208_1972
; %bb.1971:
	s_cmp_lg_u32 s16, 11
	s_mov_b64 s[4:5], -1
	s_cselect_b64 s[0:1], -1, 0
.LBB208_1972:
	s_and_b64 vcc, exec, s[0:1]
	s_cbranch_vccnz .LBB208_2038
.LBB208_1973:
	s_mov_b64 s[0:1], 0
	s_branch .LBB208_1975
.LBB208_1974:
	s_mov_b64 s[0:1], 0
	s_mov_b64 s[4:5], 0
                                        ; implicit-def: $sgpr20
                                        ; implicit-def: $vgpr0_vgpr1
                                        ; implicit-def: $vgpr2
.LBB208_1975:
	s_and_b64 s[10:11], s[4:5], exec
	s_andn2_b64 s[4:5], s[12:13], exec
	s_and_b64 s[6:7], s[14:15], exec
	s_and_b64 s[0:1], s[0:1], exec
	s_or_b64 s[12:13], s[4:5], s[6:7]
.LBB208_1976:
	s_or_b64 exec, exec, s[2:3]
	s_and_saveexec_b64 s[2:3], s[12:13]
	s_cbranch_execz .LBB208_1979
; %bb.1977:
	; divergent unreachable
	s_or_b64 exec, exec, s[2:3]
	s_and_saveexec_b64 s[2:3], s[10:11]
	s_xor_b64 s[2:3], exec, s[2:3]
	s_cbranch_execnz .LBB208_1980
.LBB208_1978:
	s_or_b64 exec, exec, s[2:3]
	s_and_saveexec_b64 s[2:3], s[0:1]
	s_cbranch_execnz .LBB208_1981
	s_branch .LBB208_2018
.LBB208_1979:
	s_or_b64 exec, exec, s[2:3]
	s_and_saveexec_b64 s[2:3], s[10:11]
	s_xor_b64 s[2:3], exec, s[2:3]
	s_cbranch_execz .LBB208_1978
.LBB208_1980:
	s_waitcnt vmcnt(0)
	v_and_b32_e32 v3, 0x7fff, v2
	v_cmp_ne_u16_e32 vcc, 0, v3
	s_nop 1
	v_cndmask_b32_e64 v3, 0, 1, vcc
	global_store_byte v[0:1], v3, off
	s_or_b64 exec, exec, s[2:3]
	s_and_saveexec_b64 s[2:3], s[0:1]
	s_cbranch_execz .LBB208_2018
.LBB208_1981:
	s_sext_i32_i16 s2, s20
	s_cmp_lt_i32 s2, 5
	s_mov_b64 s[0:1], -1
	s_cbranch_scc1 .LBB208_2002
; %bb.1982:
	s_cmp_lt_i32 s2, 8
	s_cbranch_scc1 .LBB208_1992
; %bb.1983:
	s_cmp_lt_i32 s2, 9
	s_cbranch_scc1 .LBB208_1989
; %bb.1984:
	s_cmp_gt_i32 s2, 9
	s_cbranch_scc0 .LBB208_1986
; %bb.1985:
	s_waitcnt vmcnt(0)
	v_lshlrev_b32_e32 v3, 16, v2
	v_mov_b32_e32 v6, 0
	v_cvt_f64_f32_e32 v[4:5], v3
	v_mov_b32_e32 v7, v6
	global_store_dwordx4 v[0:1], v[4:7], off
	s_mov_b64 s[0:1], 0
.LBB208_1986:
	s_andn2_b64 vcc, exec, s[0:1]
	s_cbranch_vccnz .LBB208_1988
; %bb.1987:
	s_waitcnt vmcnt(0)
	v_lshlrev_b32_e32 v4, 16, v2
	v_mov_b32_e32 v5, 0
	global_store_dwordx2 v[0:1], v[4:5], off
.LBB208_1988:
	s_mov_b64 s[0:1], 0
.LBB208_1989:
	s_andn2_b64 vcc, exec, s[0:1]
	s_cbranch_vccnz .LBB208_1991
; %bb.1990:
	s_waitcnt vmcnt(0)
	v_lshlrev_b32_e32 v3, 16, v2
	v_cvt_f16_f32_e32 v3, v3
	global_store_dword v[0:1], v3, off
.LBB208_1991:
	s_mov_b64 s[0:1], 0
.LBB208_1992:
	s_andn2_b64 vcc, exec, s[0:1]
	s_cbranch_vccnz .LBB208_2001
; %bb.1993:
	s_sext_i32_i16 s2, s20
	s_cmp_lt_i32 s2, 6
	s_mov_b64 s[0:1], -1
	s_cbranch_scc1 .LBB208_1999
; %bb.1994:
	s_cmp_gt_i32 s2, 6
	s_cbranch_scc0 .LBB208_1996
; %bb.1995:
	s_waitcnt vmcnt(0)
	v_lshlrev_b32_e32 v3, 16, v2
	v_cvt_f64_f32_e32 v[4:5], v3
	global_store_dwordx2 v[0:1], v[4:5], off
	s_mov_b64 s[0:1], 0
.LBB208_1996:
	s_andn2_b64 vcc, exec, s[0:1]
	s_cbranch_vccnz .LBB208_1998
; %bb.1997:
	s_waitcnt vmcnt(0)
	v_lshlrev_b32_e32 v3, 16, v2
	global_store_dword v[0:1], v3, off
.LBB208_1998:
	s_mov_b64 s[0:1], 0
.LBB208_1999:
	s_andn2_b64 vcc, exec, s[0:1]
	s_cbranch_vccnz .LBB208_2001
; %bb.2000:
	s_waitcnt vmcnt(0)
	v_lshlrev_b32_e32 v3, 16, v2
	v_cvt_f16_f32_e32 v3, v3
	global_store_short v[0:1], v3, off
.LBB208_2001:
	s_mov_b64 s[0:1], 0
.LBB208_2002:
	s_andn2_b64 vcc, exec, s[0:1]
	s_cbranch_vccnz .LBB208_2018
; %bb.2003:
	s_sext_i32_i16 s2, s20
	s_cmp_lt_i32 s2, 2
	s_mov_b64 s[0:1], -1
	s_cbranch_scc1 .LBB208_2013
; %bb.2004:
	s_cmp_lt_i32 s2, 3
	s_cbranch_scc1 .LBB208_2010
; %bb.2005:
	s_cmp_gt_i32 s2, 3
	s_cbranch_scc0 .LBB208_2007
; %bb.2006:
	s_waitcnt vmcnt(0)
	v_lshlrev_b32_e32 v3, 16, v2
	v_trunc_f32_e32 v3, v3
	s_mov_b32 s0, 0x2f800000
	v_mul_f32_e64 v4, |v3|, s0
	v_floor_f32_e32 v4, v4
	s_mov_b32 s0, 0xcf800000
	v_cvt_u32_f32_e32 v5, v4
	v_fma_f32 v4, v4, s0, |v3|
	v_cvt_u32_f32_e32 v4, v4
	v_ashrrev_i32_e32 v3, 31, v3
	v_xor_b32_e32 v5, v5, v3
	s_mov_b64 s[0:1], 0
	v_xor_b32_e32 v4, v4, v3
	v_sub_co_u32_e32 v4, vcc, v4, v3
	s_nop 1
	v_subb_co_u32_e32 v5, vcc, v5, v3, vcc
	global_store_dwordx2 v[0:1], v[4:5], off
.LBB208_2007:
	s_andn2_b64 vcc, exec, s[0:1]
	s_cbranch_vccnz .LBB208_2009
; %bb.2008:
	s_waitcnt vmcnt(0)
	v_lshlrev_b32_e32 v3, 16, v2
	v_cvt_i32_f32_e32 v3, v3
	global_store_dword v[0:1], v3, off
.LBB208_2009:
	s_mov_b64 s[0:1], 0
.LBB208_2010:
	s_andn2_b64 vcc, exec, s[0:1]
	s_cbranch_vccnz .LBB208_2012
; %bb.2011:
	s_waitcnt vmcnt(0)
	v_lshlrev_b32_e32 v3, 16, v2
	v_cvt_i32_f32_e32 v3, v3
	global_store_short v[0:1], v3, off
.LBB208_2012:
	s_mov_b64 s[0:1], 0
.LBB208_2013:
	s_andn2_b64 vcc, exec, s[0:1]
	s_cbranch_vccnz .LBB208_2018
; %bb.2014:
	s_sext_i32_i16 s2, s20
	s_mov_b64 s[0:1], -1
	s_cmp_gt_i32 s2, 0
	s_waitcnt vmcnt(0)
	v_lshlrev_b32_e32 v2, 16, v2
	s_cbranch_scc0 .LBB208_2016
; %bb.2015:
	v_cvt_i32_f32_e32 v3, v2
	s_mov_b64 s[0:1], 0
	global_store_byte v[0:1], v3, off
.LBB208_2016:
	s_andn2_b64 vcc, exec, s[0:1]
	s_cbranch_vccnz .LBB208_2018
; %bb.2017:
	v_trunc_f32_e32 v2, v2
	s_mov_b32 s0, 0x2f800000
	v_mul_f32_e64 v3, |v2|, s0
	v_floor_f32_e32 v3, v3
	s_mov_b32 s0, 0xcf800000
	v_fma_f32 v3, v3, s0, |v2|
	v_cvt_u32_f32_e32 v3, v3
	v_ashrrev_i32_e32 v2, 31, v2
	v_xor_b32_e32 v3, v3, v2
	v_sub_u32_e32 v2, v3, v2
	global_store_byte v[0:1], v2, off
	s_endpgm
.LBB208_2018:
	s_endpgm
.LBB208_2019:
	s_mov_b64 s[4:5], 0
	s_mov_b64 s[0:1], -1
	s_branch .LBB208_1975
.LBB208_2020:
	s_trap 2
	s_or_b64 s[14:15], s[14:15], exec
	s_cbranch_execz .LBB208_1489
	s_branch .LBB208_1490
.LBB208_2021:
	s_andn2_saveexec_b64 s[18:19], s[18:19]
	s_cbranch_execz .LBB208_1569
.LBB208_2022:
	s_mov_b32 s21, 0x46000000
	v_add_f32_e64 v4, |v9|, s21
	v_and_b32_e32 v4, 0xff, v4
	v_cmp_ne_u32_e32 vcc, 0, v4
	s_andn2_b64 s[16:17], s[16:17], exec
	s_and_b64 s[22:23], vcc, exec
	s_or_b64 s[16:17], s[16:17], s[22:23]
	s_or_b64 exec, exec, s[18:19]
	v_mov_b32_e32 v10, 0
	s_and_saveexec_b64 s[18:19], s[16:17]
	s_cbranch_execnz .LBB208_1570
	s_branch .LBB208_1571
.LBB208_2023:
	s_trap 2
	s_or_b64 s[14:15], s[14:15], exec
	s_cbranch_execz .LBB208_1617
	s_branch .LBB208_1618
.LBB208_2024:
	s_andn2_saveexec_b64 s[16:17], s[16:17]
	s_cbranch_execz .LBB208_1582
.LBB208_2025:
	s_mov_b32 s18, 0x42800000
	v_add_f32_e64 v4, |v9|, s18
	v_and_b32_e32 v4, 0xff, v4
	v_cmp_ne_u32_e32 vcc, 0, v4
	s_andn2_b64 s[10:11], s[10:11], exec
	s_and_b64 s[18:19], vcc, exec
	s_or_b64 s[10:11], s[10:11], s[18:19]
	s_or_b64 exec, exec, s[16:17]
	v_mov_b32_e32 v10, 0
	s_and_saveexec_b64 s[16:17], s[10:11]
	s_cbranch_execnz .LBB208_1583
	s_branch .LBB208_1584
.LBB208_2026:
	s_andn2_saveexec_b64 s[16:17], s[16:17]
	s_cbranch_execz .LBB208_1688
.LBB208_2027:
	s_mov_b32 s21, 0x46000000
	v_add_f32_e64 v5, |v6|, s21
	v_and_b32_e32 v5, 0xff, v5
	v_cmp_ne_u32_e32 vcc, 0, v5
	s_andn2_b64 s[10:11], s[10:11], exec
	s_and_b64 s[22:23], vcc, exec
	s_or_b64 s[10:11], s[10:11], s[22:23]
	s_or_b64 exec, exec, s[16:17]
	v_mov_b32_e32 v9, 0
	s_and_saveexec_b64 s[16:17], s[10:11]
	s_cbranch_execnz .LBB208_1689
	s_branch .LBB208_1690
.LBB208_2028:
	s_trap 2
	s_or_b64 s[14:15], s[14:15], exec
	s_cbranch_execz .LBB208_1736
	s_branch .LBB208_1737
.LBB208_2029:
	s_andn2_saveexec_b64 s[10:11], s[10:11]
	s_cbranch_execz .LBB208_1701
.LBB208_2030:
	s_mov_b32 s16, 0x42800000
	v_add_f32_e64 v5, |v6|, s16
	v_and_b32_e32 v5, 0xff, v5
	v_cmp_ne_u32_e32 vcc, 0, v5
	s_andn2_b64 s[8:9], s[8:9], exec
	s_and_b64 s[16:17], vcc, exec
	s_or_b64 s[8:9], s[8:9], s[16:17]
	s_or_b64 exec, exec, s[10:11]
	v_mov_b32_e32 v9, 0
	s_and_saveexec_b64 s[10:11], s[8:9]
	s_cbranch_execnz .LBB208_1702
	s_branch .LBB208_1703
.LBB208_2031:
	s_andn2_saveexec_b64 s[16:17], s[16:17]
	s_cbranch_execz .LBB208_1807
.LBB208_2032:
	s_mov_b32 s21, 0x46000000
	v_add_f32_e64 v5, |v6|, s21
	v_and_b32_e32 v5, 0xff, v5
	v_cmp_ne_u32_e32 vcc, 0, v5
	s_andn2_b64 s[10:11], s[10:11], exec
	s_and_b64 s[22:23], vcc, exec
	s_or_b64 s[10:11], s[10:11], s[22:23]
	s_or_b64 exec, exec, s[16:17]
	v_mov_b32_e32 v7, 0
	s_and_saveexec_b64 s[16:17], s[10:11]
	s_cbranch_execnz .LBB208_1808
	s_branch .LBB208_1809
.LBB208_2033:
	s_trap 2
	s_or_b64 s[14:15], s[14:15], exec
	s_cbranch_execz .LBB208_1855
	s_branch .LBB208_1856
.LBB208_2034:
	s_andn2_saveexec_b64 s[10:11], s[10:11]
	s_cbranch_execz .LBB208_1820
.LBB208_2035:
	s_mov_b32 s16, 0x42800000
	v_add_f32_e64 v5, |v6|, s16
	v_and_b32_e32 v5, 0xff, v5
	v_cmp_ne_u32_e32 vcc, 0, v5
	s_andn2_b64 s[8:9], s[8:9], exec
	s_and_b64 s[16:17], vcc, exec
	s_or_b64 s[8:9], s[8:9], s[16:17]
	s_or_b64 exec, exec, s[10:11]
	v_mov_b32_e32 v7, 0
	s_and_saveexec_b64 s[10:11], s[8:9]
	s_cbranch_execnz .LBB208_1821
	s_branch .LBB208_1822
.LBB208_2036:
	s_andn2_saveexec_b64 s[10:11], s[10:11]
	s_cbranch_execz .LBB208_1927
.LBB208_2037:
	s_mov_b32 s17, 0x46000000
	v_add_f32_e64 v4, |v5|, s17
	v_and_b32_e32 v4, 0xff, v4
	v_cmp_ne_u32_e32 vcc, 0, v4
	s_andn2_b64 s[8:9], s[8:9], exec
	s_and_b64 s[18:19], vcc, exec
	s_or_b64 s[8:9], s[8:9], s[18:19]
	s_or_b64 exec, exec, s[10:11]
	v_mov_b32_e32 v6, 0
	s_and_saveexec_b64 s[10:11], s[8:9]
	s_cbranch_execnz .LBB208_1928
	s_branch .LBB208_1929
.LBB208_2038:
	s_mov_b64 s[4:5], 0
	s_or_b64 s[14:15], s[14:15], exec
	s_trap 2
	s_branch .LBB208_1973
.LBB208_2039:
	s_andn2_saveexec_b64 s[8:9], s[8:9]
	s_cbranch_execz .LBB208_1939
.LBB208_2040:
	s_mov_b32 s10, 0x42800000
	v_add_f32_e64 v4, |v5|, s10
	v_and_b32_e32 v4, 0xff, v4
	v_cmp_ne_u32_e32 vcc, 0, v4
	s_andn2_b64 s[6:7], s[6:7], exec
	s_and_b64 s[10:11], vcc, exec
	s_or_b64 s[6:7], s[6:7], s[10:11]
	s_or_b64 exec, exec, s[8:9]
	v_mov_b32_e32 v6, 0
	s_and_saveexec_b64 s[8:9], s[6:7]
	s_cbranch_execnz .LBB208_1940
	s_branch .LBB208_1941
	.section	.rodata,"a",@progbits
	.p2align	6, 0x0
	.amdhsa_kernel _ZN2at6native32elementwise_kernel_manual_unrollILi128ELi4EZNS0_15gpu_kernel_implIZZZNS0_17rsqrt_kernel_cudaERNS_18TensorIteratorBaseEENKUlvE0_clEvENKUlvE1_clEvEUlN3c108BFloat16EE_EEvS4_RKT_EUlibE_EEviT1_
		.amdhsa_group_segment_fixed_size 0
		.amdhsa_private_segment_fixed_size 0
		.amdhsa_kernarg_size 40
		.amdhsa_user_sgpr_count 2
		.amdhsa_user_sgpr_dispatch_ptr 0
		.amdhsa_user_sgpr_queue_ptr 0
		.amdhsa_user_sgpr_kernarg_segment_ptr 1
		.amdhsa_user_sgpr_dispatch_id 0
		.amdhsa_user_sgpr_kernarg_preload_length 0
		.amdhsa_user_sgpr_kernarg_preload_offset 0
		.amdhsa_user_sgpr_private_segment_size 0
		.amdhsa_uses_dynamic_stack 0
		.amdhsa_enable_private_segment 0
		.amdhsa_system_sgpr_workgroup_id_x 1
		.amdhsa_system_sgpr_workgroup_id_y 0
		.amdhsa_system_sgpr_workgroup_id_z 0
		.amdhsa_system_sgpr_workgroup_info 0
		.amdhsa_system_vgpr_workitem_id 0
		.amdhsa_next_free_vgpr 14
		.amdhsa_next_free_sgpr 44
		.amdhsa_accum_offset 16
		.amdhsa_reserve_vcc 1
		.amdhsa_float_round_mode_32 0
		.amdhsa_float_round_mode_16_64 0
		.amdhsa_float_denorm_mode_32 3
		.amdhsa_float_denorm_mode_16_64 3
		.amdhsa_dx10_clamp 1
		.amdhsa_ieee_mode 1
		.amdhsa_fp16_overflow 0
		.amdhsa_tg_split 0
		.amdhsa_exception_fp_ieee_invalid_op 0
		.amdhsa_exception_fp_denorm_src 0
		.amdhsa_exception_fp_ieee_div_zero 0
		.amdhsa_exception_fp_ieee_overflow 0
		.amdhsa_exception_fp_ieee_underflow 0
		.amdhsa_exception_fp_ieee_inexact 0
		.amdhsa_exception_int_div_zero 0
	.end_amdhsa_kernel
	.section	.text._ZN2at6native32elementwise_kernel_manual_unrollILi128ELi4EZNS0_15gpu_kernel_implIZZZNS0_17rsqrt_kernel_cudaERNS_18TensorIteratorBaseEENKUlvE0_clEvENKUlvE1_clEvEUlN3c108BFloat16EE_EEvS4_RKT_EUlibE_EEviT1_,"axG",@progbits,_ZN2at6native32elementwise_kernel_manual_unrollILi128ELi4EZNS0_15gpu_kernel_implIZZZNS0_17rsqrt_kernel_cudaERNS_18TensorIteratorBaseEENKUlvE0_clEvENKUlvE1_clEvEUlN3c108BFloat16EE_EEvS4_RKT_EUlibE_EEviT1_,comdat
.Lfunc_end208:
	.size	_ZN2at6native32elementwise_kernel_manual_unrollILi128ELi4EZNS0_15gpu_kernel_implIZZZNS0_17rsqrt_kernel_cudaERNS_18TensorIteratorBaseEENKUlvE0_clEvENKUlvE1_clEvEUlN3c108BFloat16EE_EEvS4_RKT_EUlibE_EEviT1_, .Lfunc_end208-_ZN2at6native32elementwise_kernel_manual_unrollILi128ELi4EZNS0_15gpu_kernel_implIZZZNS0_17rsqrt_kernel_cudaERNS_18TensorIteratorBaseEENKUlvE0_clEvENKUlvE1_clEvEUlN3c108BFloat16EE_EEvS4_RKT_EUlibE_EEviT1_
                                        ; -- End function
	.set _ZN2at6native32elementwise_kernel_manual_unrollILi128ELi4EZNS0_15gpu_kernel_implIZZZNS0_17rsqrt_kernel_cudaERNS_18TensorIteratorBaseEENKUlvE0_clEvENKUlvE1_clEvEUlN3c108BFloat16EE_EEvS4_RKT_EUlibE_EEviT1_.num_vgpr, 14
	.set _ZN2at6native32elementwise_kernel_manual_unrollILi128ELi4EZNS0_15gpu_kernel_implIZZZNS0_17rsqrt_kernel_cudaERNS_18TensorIteratorBaseEENKUlvE0_clEvENKUlvE1_clEvEUlN3c108BFloat16EE_EEvS4_RKT_EUlibE_EEviT1_.num_agpr, 0
	.set _ZN2at6native32elementwise_kernel_manual_unrollILi128ELi4EZNS0_15gpu_kernel_implIZZZNS0_17rsqrt_kernel_cudaERNS_18TensorIteratorBaseEENKUlvE0_clEvENKUlvE1_clEvEUlN3c108BFloat16EE_EEvS4_RKT_EUlibE_EEviT1_.numbered_sgpr, 44
	.set _ZN2at6native32elementwise_kernel_manual_unrollILi128ELi4EZNS0_15gpu_kernel_implIZZZNS0_17rsqrt_kernel_cudaERNS_18TensorIteratorBaseEENKUlvE0_clEvENKUlvE1_clEvEUlN3c108BFloat16EE_EEvS4_RKT_EUlibE_EEviT1_.num_named_barrier, 0
	.set _ZN2at6native32elementwise_kernel_manual_unrollILi128ELi4EZNS0_15gpu_kernel_implIZZZNS0_17rsqrt_kernel_cudaERNS_18TensorIteratorBaseEENKUlvE0_clEvENKUlvE1_clEvEUlN3c108BFloat16EE_EEvS4_RKT_EUlibE_EEviT1_.private_seg_size, 0
	.set _ZN2at6native32elementwise_kernel_manual_unrollILi128ELi4EZNS0_15gpu_kernel_implIZZZNS0_17rsqrt_kernel_cudaERNS_18TensorIteratorBaseEENKUlvE0_clEvENKUlvE1_clEvEUlN3c108BFloat16EE_EEvS4_RKT_EUlibE_EEviT1_.uses_vcc, 1
	.set _ZN2at6native32elementwise_kernel_manual_unrollILi128ELi4EZNS0_15gpu_kernel_implIZZZNS0_17rsqrt_kernel_cudaERNS_18TensorIteratorBaseEENKUlvE0_clEvENKUlvE1_clEvEUlN3c108BFloat16EE_EEvS4_RKT_EUlibE_EEviT1_.uses_flat_scratch, 0
	.set _ZN2at6native32elementwise_kernel_manual_unrollILi128ELi4EZNS0_15gpu_kernel_implIZZZNS0_17rsqrt_kernel_cudaERNS_18TensorIteratorBaseEENKUlvE0_clEvENKUlvE1_clEvEUlN3c108BFloat16EE_EEvS4_RKT_EUlibE_EEviT1_.has_dyn_sized_stack, 0
	.set _ZN2at6native32elementwise_kernel_manual_unrollILi128ELi4EZNS0_15gpu_kernel_implIZZZNS0_17rsqrt_kernel_cudaERNS_18TensorIteratorBaseEENKUlvE0_clEvENKUlvE1_clEvEUlN3c108BFloat16EE_EEvS4_RKT_EUlibE_EEviT1_.has_recursion, 0
	.set _ZN2at6native32elementwise_kernel_manual_unrollILi128ELi4EZNS0_15gpu_kernel_implIZZZNS0_17rsqrt_kernel_cudaERNS_18TensorIteratorBaseEENKUlvE0_clEvENKUlvE1_clEvEUlN3c108BFloat16EE_EEvS4_RKT_EUlibE_EEviT1_.has_indirect_call, 0
	.section	.AMDGPU.csdata,"",@progbits
; Kernel info:
; codeLenInByte = 39120
; TotalNumSgprs: 50
; NumVgprs: 14
; NumAgprs: 0
; TotalNumVgprs: 14
; ScratchSize: 0
; MemoryBound: 0
; FloatMode: 240
; IeeeMode: 1
; LDSByteSize: 0 bytes/workgroup (compile time only)
; SGPRBlocks: 6
; VGPRBlocks: 1
; NumSGPRsForWavesPerEU: 50
; NumVGPRsForWavesPerEU: 14
; AccumOffset: 16
; Occupancy: 8
; WaveLimiterHint : 0
; COMPUTE_PGM_RSRC2:SCRATCH_EN: 0
; COMPUTE_PGM_RSRC2:USER_SGPR: 2
; COMPUTE_PGM_RSRC2:TRAP_HANDLER: 0
; COMPUTE_PGM_RSRC2:TGID_X_EN: 1
; COMPUTE_PGM_RSRC2:TGID_Y_EN: 0
; COMPUTE_PGM_RSRC2:TGID_Z_EN: 0
; COMPUTE_PGM_RSRC2:TIDIG_COMP_CNT: 0
; COMPUTE_PGM_RSRC3_GFX90A:ACCUM_OFFSET: 3
; COMPUTE_PGM_RSRC3_GFX90A:TG_SPLIT: 0
	.section	.text._ZN2at6native32elementwise_kernel_manual_unrollILi128ELi4EZNS0_15gpu_kernel_implIZZZNS0_17rsqrt_kernel_cudaERNS_18TensorIteratorBaseEENKUlvE0_clEvENKUlvE1_clEvEUlN3c108BFloat16EE_EEvS4_RKT_EUlibE0_EEviT1_,"axG",@progbits,_ZN2at6native32elementwise_kernel_manual_unrollILi128ELi4EZNS0_15gpu_kernel_implIZZZNS0_17rsqrt_kernel_cudaERNS_18TensorIteratorBaseEENKUlvE0_clEvENKUlvE1_clEvEUlN3c108BFloat16EE_EEvS4_RKT_EUlibE0_EEviT1_,comdat
	.globl	_ZN2at6native32elementwise_kernel_manual_unrollILi128ELi4EZNS0_15gpu_kernel_implIZZZNS0_17rsqrt_kernel_cudaERNS_18TensorIteratorBaseEENKUlvE0_clEvENKUlvE1_clEvEUlN3c108BFloat16EE_EEvS4_RKT_EUlibE0_EEviT1_ ; -- Begin function _ZN2at6native32elementwise_kernel_manual_unrollILi128ELi4EZNS0_15gpu_kernel_implIZZZNS0_17rsqrt_kernel_cudaERNS_18TensorIteratorBaseEENKUlvE0_clEvENKUlvE1_clEvEUlN3c108BFloat16EE_EEvS4_RKT_EUlibE0_EEviT1_
	.p2align	8
	.type	_ZN2at6native32elementwise_kernel_manual_unrollILi128ELi4EZNS0_15gpu_kernel_implIZZZNS0_17rsqrt_kernel_cudaERNS_18TensorIteratorBaseEENKUlvE0_clEvENKUlvE1_clEvEUlN3c108BFloat16EE_EEvS4_RKT_EUlibE0_EEviT1_,@function
_ZN2at6native32elementwise_kernel_manual_unrollILi128ELi4EZNS0_15gpu_kernel_implIZZZNS0_17rsqrt_kernel_cudaERNS_18TensorIteratorBaseEENKUlvE0_clEvENKUlvE1_clEvEUlN3c108BFloat16EE_EEvS4_RKT_EUlibE0_EEviT1_: ; @_ZN2at6native32elementwise_kernel_manual_unrollILi128ELi4EZNS0_15gpu_kernel_implIZZZNS0_17rsqrt_kernel_cudaERNS_18TensorIteratorBaseEENKUlvE0_clEvENKUlvE1_clEvEUlN3c108BFloat16EE_EEvS4_RKT_EUlibE0_EEviT1_
; %bb.0:
	s_load_dword s70, s[0:1], 0x0
	s_load_dword s33, s[0:1], 0x8
	s_add_u32 s34, s0, 8
	s_addc_u32 s35, s1, 0
	v_lshl_or_b32 v8, s2, 9, v0
	v_or_b32_e32 v16, 0x180, v8
	s_waitcnt lgkmcnt(0)
	s_add_i32 s72, s33, -1
	s_cmp_gt_u32 s72, 1
	v_cmp_le_i32_e32 vcc, s70, v16
	s_cselect_b64 s[42:43], -1, 0
	s_mov_b64 s[40:41], 0
	s_mov_b64 s[24:25], 0
	s_and_saveexec_b64 s[2:3], vcc
	s_xor_b64 s[44:45], exec, s[2:3]
	s_cbranch_execz .LBB209_1090
; %bb.1:
	v_mov_b32_e32 v0, 0
	global_load_ushort v0, v0, s[34:35] offset:345
	s_load_dwordx4 s[28:31], s[34:35], 0x4
	s_load_dwordx2 s[46:47], s[34:35], 0x14
	s_load_dwordx4 s[24:27], s[34:35], 0xc4
	s_load_dwordx4 s[20:23], s[34:35], 0x148
	s_cmp_lg_u32 s33, 0
	s_cselect_b64 s[52:53], -1, 0
	s_add_u32 s50, s34, 0xc4
	s_addc_u32 s51, s35, 0
	s_min_u32 s75, s72, 15
	s_cmp_gt_u32 s33, 1
	s_cselect_b64 s[48:49], -1, 0
	v_cmp_gt_i32_e32 vcc, s70, v8
	s_mov_b64 s[4:5], -1
	s_mov_b64 s[62:63], 0
	s_mov_b64 s[56:57], 0
	;; [unrolled: 1-line block ×3, first 2 shown]
	s_waitcnt vmcnt(0)
	v_readfirstlane_b32 s73, v0
	s_and_b32 s2, 0xffff, s73
	s_lshr_b32 s74, s2, 8
	s_and_saveexec_b64 s[58:59], vcc
	s_cbranch_execz .LBB209_267
; %bb.2:
	s_andn2_b64 vcc, exec, s[42:43]
	s_cbranch_vccnz .LBB209_8
; %bb.3:
	s_andn2_b64 vcc, exec, s[52:53]
	s_cbranch_vccnz .LBB209_9
; %bb.4:
	s_add_i32 s57, s75, 1
	s_cmp_eq_u32 s72, 2
	s_cbranch_scc1 .LBB209_10
; %bb.5:
	s_and_b32 s56, s57, 28
	s_mov_b32 s60, 0
	v_mov_b32_e32 v0, 0
	v_mov_b32_e32 v2, 0
	s_mov_b64 s[2:3], s[34:35]
	s_mov_b64 s[54:55], s[50:51]
	v_mov_b32_e32 v4, v8
.LBB209_6:                              ; =>This Inner Loop Header: Depth=1
	s_load_dwordx8 s[12:19], s[2:3], 0x4
	s_load_dwordx4 s[36:39], s[2:3], 0x24
	s_load_dwordx8 s[4:11], s[54:55], 0x0
	s_add_u32 s2, s2, 48
	s_addc_u32 s3, s3, 0
	s_waitcnt lgkmcnt(0)
	v_mul_hi_u32 v1, s13, v4
	v_add_u32_e32 v1, v4, v1
	v_lshrrev_b32_e32 v1, s14, v1
	v_mul_lo_u32 v3, v1, s12
	v_mul_hi_u32 v5, s16, v1
	v_sub_u32_e32 v3, v4, v3
	v_add_u32_e32 v4, v1, v5
	v_lshrrev_b32_e32 v4, s17, v4
	v_mul_lo_u32 v6, v4, s15
	v_mul_hi_u32 v7, s19, v4
	v_sub_u32_e32 v1, v1, v6
	v_add_u32_e32 v6, v4, v7
	v_mul_lo_u32 v5, v3, s5
	v_mul_lo_u32 v3, v3, s4
	;; [unrolled: 1-line block ×4, first 2 shown]
	v_lshrrev_b32_e32 v6, s36, v6
	v_add3_u32 v0, v3, v0, v1
	v_mul_hi_u32 v3, s38, v6
	v_add3_u32 v1, v5, v2, v7
	v_mul_lo_u32 v2, v6, s18
	v_add_u32_e32 v3, v6, v3
	v_sub_u32_e32 v2, v4, v2
	v_lshrrev_b32_e32 v4, s39, v3
	s_add_i32 s60, s60, 4
	v_mul_lo_u32 v3, v4, s37
	s_add_u32 s54, s54, 32
	v_sub_u32_e32 v3, v6, v3
	s_addc_u32 s55, s55, 0
	v_mul_lo_u32 v5, v2, s8
	v_mul_lo_u32 v2, v2, s9
	;; [unrolled: 1-line block ×4, first 2 shown]
	s_cmp_lg_u32 s56, s60
	v_add3_u32 v2, v2, v1, v3
	v_add3_u32 v0, v5, v0, v6
	s_cbranch_scc1 .LBB209_6
; %bb.7:
	v_mov_b32_e32 v1, v2
	s_branch .LBB209_11
.LBB209_8:
                                        ; implicit-def: $vgpr2
                                        ; implicit-def: $vgpr0
	s_branch .LBB209_15
.LBB209_9:
	v_mov_b32_e32 v2, 0
	v_mov_b32_e32 v0, 0
	s_branch .LBB209_14
.LBB209_10:
	v_mov_b32_e32 v0, 0
	s_mov_b32 s56, 0
	v_mov_b32_e32 v1, v0
                                        ; implicit-def: $vgpr2
	v_mov_b32_e32 v4, v8
.LBB209_11:
	s_and_b32 s6, s57, 3
	s_cmp_eq_u32 s6, 0
	s_cbranch_scc1 .LBB209_14
; %bb.12:
	s_lshl_b32 s2, s56, 3
	s_add_u32 s2, s34, s2
	s_addc_u32 s3, s35, 0
	s_add_u32 s2, s2, 0xc4
	s_addc_u32 s3, s3, 0
	s_mul_i32 s4, s56, 12
	s_add_u32 s4, s34, s4
	s_addc_u32 s5, s35, 0
.LBB209_13:                             ; =>This Inner Loop Header: Depth=1
	s_load_dwordx2 s[8:9], s[4:5], 0x4
	s_load_dword s7, s[4:5], 0xc
	s_load_dwordx2 s[10:11], s[2:3], 0x0
	v_mov_b32_e32 v2, v1
	s_add_u32 s4, s4, 12
	s_waitcnt lgkmcnt(0)
	v_mul_hi_u32 v1, s9, v4
	v_add_u32_e32 v1, v4, v1
	v_lshrrev_b32_e32 v1, s7, v1
	s_addc_u32 s5, s5, 0
	v_mul_lo_u32 v3, v1, s8
	s_add_u32 s2, s2, 8
	v_sub_u32_e32 v5, v4, v3
	s_addc_u32 s3, s3, 0
	s_add_i32 s6, s6, -1
	v_mov_b32_e32 v4, v1
	v_mad_u64_u32 v[2:3], s[8:9], v5, s11, v[2:3]
	v_mad_u64_u32 v[0:1], s[8:9], v5, s10, v[0:1]
	s_cmp_lg_u32 s6, 0
	v_mov_b32_e32 v1, v2
	s_cbranch_scc1 .LBB209_13
.LBB209_14:
	s_cbranch_execnz .LBB209_17
.LBB209_15:
	s_waitcnt lgkmcnt(0)
	v_mul_hi_u32 v0, s29, v8
	v_add_u32_e32 v0, v8, v0
	v_lshrrev_b32_e32 v1, s30, v0
	v_mul_lo_u32 v0, v1, s28
	v_sub_u32_e32 v0, v8, v0
	v_mul_lo_u32 v2, v0, s25
	s_andn2_b64 vcc, exec, s[48:49]
	v_mul_lo_u32 v0, v0, s24
	s_cbranch_vccnz .LBB209_17
; %bb.16:
	v_mul_hi_u32 v3, s46, v1
	v_add_u32_e32 v3, v1, v3
	v_lshrrev_b32_e32 v3, s47, v3
	v_mul_lo_u32 v3, v3, s31
	v_sub_u32_e32 v3, v1, v3
	v_mad_u64_u32 v[0:1], s[2:3], v3, s26, v[0:1]
	v_mad_u64_u32 v[2:3], s[2:3], v3, s27, v[2:3]
.LBB209_17:
	v_mov_b32_e32 v3, 0
	s_and_b32 s10, 0xffff, s74
	s_cmp_lt_i32 s10, 11
	s_waitcnt lgkmcnt(0)
	v_lshl_add_u64 v[2:3], s[22:23], 0, v[2:3]
	s_cbranch_scc1 .LBB209_24
; %bb.18:
	s_cmp_gt_i32 s10, 25
	s_cbranch_scc0 .LBB209_33
; %bb.19:
	s_cmp_gt_i32 s10, 28
	s_cbranch_scc0 .LBB209_36
; %bb.20:
	s_cmp_gt_i32 s10, 43
	s_cbranch_scc0 .LBB209_38
; %bb.21:
	s_cmp_gt_i32 s10, 45
	s_cbranch_scc0 .LBB209_40
; %bb.22:
	s_cmp_eq_u32 s10, 46
	s_mov_b64 s[6:7], 0
	s_cbranch_scc0 .LBB209_42
; %bb.23:
	global_load_dword v1, v[2:3], off
	s_mov_b64 s[2:3], -1
	s_mov_b64 s[4:5], 0
	s_branch .LBB209_44
.LBB209_24:
	s_mov_b64 s[4:5], 0
                                        ; implicit-def: $vgpr1
	s_mov_b64 s[2:3], 0
	s_cbranch_execnz .LBB209_217
.LBB209_25:
	s_andn2_b64 vcc, exec, s[2:3]
	s_cbranch_vccnz .LBB209_264
.LBB209_26:
	s_waitcnt vmcnt(0)
	v_lshlrev_b32_e32 v1, 16, v1
	v_cvt_f64_f32_e32 v[2:3], v1
	v_rsq_f64_e32 v[4:5], v[2:3]
	s_mov_b32 s2, 0
	s_mov_b32 s3, 0x3fd80000
	v_mov_b32_e32 v1, 0x180
	v_mul_f64 v[2:3], v[4:5], -v[2:3]
	v_fma_f64 v[2:3], v[2:3], v[4:5], 1.0
	v_mul_f64 v[6:7], v[4:5], v[2:3]
	v_fma_f64 v[2:3], v[2:3], s[2:3], 0.5
	v_fma_f64 v[2:3], v[6:7], v[2:3], v[4:5]
	v_cmp_class_f64_e32 vcc, v[4:5], v1
	s_movk_i32 s2, 0x7fff
	s_and_b32 s12, s73, 0xff
	v_cndmask_b32_e32 v3, v5, v3, vcc
	v_cndmask_b32_e32 v2, v4, v2, vcc
	v_cvt_f32_f64_e32 v1, v[2:3]
	v_bfe_u32 v2, v1, 16, 1
	v_add3_u32 v2, v1, v2, s2
	v_cmp_o_f32_e32 vcc, v1, v1
	v_mov_b32_e32 v1, 0x7fc0
	s_cmp_lt_i32 s12, 11
	v_cndmask_b32_sdwa v2, v1, v2, vcc dst_sel:DWORD dst_unused:UNUSED_PAD src0_sel:DWORD src1_sel:WORD_1
	v_mov_b32_e32 v1, 0
	v_lshl_add_u64 v[0:1], s[20:21], 0, v[0:1]
	s_cbranch_scc1 .LBB209_34
; %bb.27:
	s_and_b32 s13, 0xffff, s12
	s_cmp_gt_i32 s13, 25
	s_cbranch_scc0 .LBB209_37
; %bb.28:
	s_cmp_gt_i32 s13, 28
	s_cbranch_scc0 .LBB209_39
; %bb.29:
	;; [unrolled: 3-line block ×4, first 2 shown]
	s_mov_b64 s[8:9], 0
	s_mov_b64 s[2:3], -1
	s_cmp_eq_u32 s13, 46
	s_mov_b64 s[6:7], 0
	s_cbranch_scc0 .LBB209_48
; %bb.32:
	v_and_b32_e32 v3, 0xffff, v2
	global_store_dword v[0:1], v3, off
	s_mov_b64 s[6:7], -1
	s_mov_b64 s[2:3], 0
	s_branch .LBB209_48
.LBB209_33:
	s_mov_b64 s[4:5], 0
	s_mov_b64 s[2:3], 0
                                        ; implicit-def: $vgpr1
	s_cbranch_execnz .LBB209_182
	s_branch .LBB209_216
.LBB209_34:
	s_mov_b64 s[2:3], 0
	s_mov_b64 s[6:7], 0
	s_cbranch_execnz .LBB209_117
.LBB209_35:
	s_andn2_b64 vcc, exec, s[6:7]
	s_cbranch_vccnz .LBB209_265
	s_branch .LBB209_155
.LBB209_36:
	s_mov_b64 s[6:7], -1
	s_mov_b64 s[4:5], 0
	s_mov_b64 s[2:3], 0
                                        ; implicit-def: $vgpr1
	s_branch .LBB209_163
.LBB209_37:
	s_mov_b64 s[8:9], -1
	s_mov_b64 s[2:3], 0
	s_mov_b64 s[6:7], 0
	s_branch .LBB209_75
.LBB209_38:
	s_mov_b64 s[6:7], -1
	s_mov_b64 s[4:5], 0
	s_mov_b64 s[2:3], 0
                                        ; implicit-def: $vgpr1
	s_branch .LBB209_158
.LBB209_39:
	s_mov_b64 s[8:9], -1
	s_mov_b64 s[2:3], 0
	s_mov_b64 s[6:7], 0
	s_branch .LBB209_58
.LBB209_40:
	s_mov_b64 s[6:7], -1
	s_mov_b64 s[4:5], 0
	s_branch .LBB209_43
.LBB209_41:
	s_mov_b64 s[8:9], -1
	s_mov_b64 s[2:3], 0
	s_mov_b64 s[6:7], 0
	s_branch .LBB209_54
.LBB209_42:
	s_mov_b64 s[4:5], -1
.LBB209_43:
	s_mov_b64 s[2:3], 0
                                        ; implicit-def: $vgpr1
.LBB209_44:
	s_and_b64 vcc, exec, s[6:7]
	s_cbranch_vccz .LBB209_157
; %bb.45:
	s_cmp_eq_u32 s10, 44
	s_cbranch_scc0 .LBB209_156
; %bb.46:
	global_load_ubyte v1, v[2:3], off
	s_movk_i32 s4, 0xff
	v_mov_b32_e32 v4, 0x7f800001
	v_mov_b32_e32 v5, 0x400000
	;; [unrolled: 1-line block ×3, first 2 shown]
	s_mov_b64 s[2:3], -1
	s_waitcnt vmcnt(0)
	v_lshlrev_b32_e32 v7, 23, v1
	v_cmp_ne_u32_e32 vcc, s4, v1
	s_mov_b64 s[4:5], 0
	s_nop 0
	v_cndmask_b32_e32 v4, v4, v7, vcc
	v_cmp_ne_u32_e32 vcc, 0, v1
	s_nop 1
	v_cndmask_b32_e32 v1, v5, v4, vcc
	v_add_u32_e32 v4, 0x7fff, v1
	v_cmp_o_f32_e32 vcc, v1, v1
	s_nop 1
	v_cndmask_b32_sdwa v1, v6, v4, vcc dst_sel:DWORD dst_unused:UNUSED_PAD src0_sel:DWORD src1_sel:WORD_1
	s_branch .LBB209_157
.LBB209_47:
	s_mov_b64 s[8:9], -1
	s_mov_b64 s[2:3], 0
	s_mov_b64 s[6:7], 0
.LBB209_48:
	s_and_b64 vcc, exec, s[8:9]
	s_cbranch_vccz .LBB209_53
; %bb.49:
	s_cmp_eq_u32 s13, 44
	s_mov_b64 s[2:3], -1
	s_cbranch_scc0 .LBB209_53
; %bb.50:
	v_and_b32_e32 v4, 0xffff, v2
	v_bfe_u32 v3, v4, 7, 8
	s_movk_i32 s2, 0xff
	v_cmp_ne_u32_e32 vcc, s2, v3
	v_mov_b32_e32 v5, 0xff
	s_and_saveexec_b64 s[6:7], vcc
	s_cbranch_execz .LBB209_52
; %bb.51:
	v_lshlrev_b32_e32 v6, 16, v4
	s_mov_b32 s2, 0x3f0000
	v_lshrrev_b32_e32 v5, 7, v4
	v_and_b32_e32 v4, 64, v4
	v_and_or_b32 v3, v6, s2, v3
	v_cmp_ne_u32_e32 vcc, 0, v4
	v_cmp_ne_u32_e64 s[2:3], 0, v3
	s_and_b64 s[2:3], vcc, s[2:3]
	s_nop 0
	v_cndmask_b32_e64 v3, 0, 1, s[2:3]
	v_add_u32_e32 v5, v5, v3
.LBB209_52:
	s_or_b64 exec, exec, s[6:7]
	s_mov_b64 s[6:7], -1
	s_mov_b64 s[2:3], 0
	global_store_byte v[0:1], v5, off
.LBB209_53:
	s_mov_b64 s[8:9], 0
.LBB209_54:
	s_and_b64 vcc, exec, s[8:9]
	s_cbranch_vccz .LBB209_57
; %bb.55:
	s_cmp_eq_u32 s13, 29
	s_mov_b64 s[2:3], -1
	s_cbranch_scc0 .LBB209_57
; %bb.56:
	v_lshlrev_b32_e32 v3, 16, v2
	v_trunc_f32_e32 v3, v3
	v_mul_f32_e32 v4, 0x2f800000, v3
	v_floor_f32_e32 v4, v4
	v_fmamk_f32 v3, v4, 0xcf800000, v3
	v_cvt_u32_f32_e32 v5, v4
	v_cvt_u32_f32_e32 v4, v3
	s_mov_b64 s[6:7], -1
	s_mov_b64 s[2:3], 0
	s_mov_b64 s[8:9], 0
	global_store_dwordx2 v[0:1], v[4:5], off
	s_branch .LBB209_58
.LBB209_57:
	s_mov_b64 s[8:9], 0
.LBB209_58:
	s_and_b64 vcc, exec, s[8:9]
	s_cbranch_vccz .LBB209_74
; %bb.59:
	s_cmp_lt_i32 s13, 27
	s_mov_b64 s[6:7], -1
	s_cbranch_scc1 .LBB209_65
; %bb.60:
	s_cmp_gt_i32 s13, 27
	s_cbranch_scc0 .LBB209_62
; %bb.61:
	v_lshlrev_b32_e32 v3, 16, v2
	v_cvt_u32_f32_e32 v3, v3
	s_mov_b64 s[6:7], 0
	global_store_dword v[0:1], v3, off
.LBB209_62:
	s_andn2_b64 vcc, exec, s[6:7]
	s_cbranch_vccnz .LBB209_64
; %bb.63:
	v_lshlrev_b32_e32 v3, 16, v2
	v_cvt_u32_f32_e32 v3, v3
	global_store_short v[0:1], v3, off
.LBB209_64:
	s_mov_b64 s[6:7], 0
.LBB209_65:
	s_andn2_b64 vcc, exec, s[6:7]
	s_cbranch_vccnz .LBB209_73
; %bb.66:
	v_lshlrev_b32_e32 v5, 16, v2
	v_and_b32_e32 v4, 0x7fffffff, v5
	s_mov_b32 s6, 0x43800000
	v_cmp_gt_u32_e32 vcc, s6, v4
	v_mov_b32_e32 v6, 0x80
	s_and_saveexec_b64 s[6:7], vcc
	s_cbranch_execz .LBB209_72
; %bb.67:
	s_mov_b32 s8, 0x3bffffff
	v_and_b32_e32 v3, 0xffff, v2
	v_cmp_lt_u32_e32 vcc, s8, v4
	s_mov_b64 s[8:9], 0
                                        ; implicit-def: $vgpr4
	s_and_saveexec_b64 s[10:11], vcc
	s_xor_b64 s[10:11], exec, s[10:11]
	s_cbranch_execz .LBB209_309
; %bb.68:
	v_bfe_u32 v4, v3, 4, 1
	s_mov_b32 s14, 0x487ffff
	v_add3_u32 v4, v5, v4, s14
	s_mov_b64 s[8:9], exec
	v_lshrrev_b32_e32 v4, 20, v4
                                        ; implicit-def: $vgpr5
	s_andn2_saveexec_b64 s[10:11], s[10:11]
	s_cbranch_execnz .LBB209_310
.LBB209_69:
	s_or_b64 exec, exec, s[10:11]
	v_mov_b32_e32 v6, 0
	s_and_saveexec_b64 s[10:11], s[8:9]
.LBB209_70:
	v_lshrrev_b32_e32 v3, 8, v3
	s_movk_i32 s8, 0x80
	v_and_or_b32 v6, v3, s8, v4
.LBB209_71:
	s_or_b64 exec, exec, s[10:11]
.LBB209_72:
	s_or_b64 exec, exec, s[6:7]
	global_store_byte v[0:1], v6, off
.LBB209_73:
	s_mov_b64 s[6:7], -1
.LBB209_74:
	s_mov_b64 s[8:9], 0
.LBB209_75:
	s_and_b64 vcc, exec, s[8:9]
	s_cbranch_vccz .LBB209_116
; %bb.76:
	s_cmp_gt_i32 s13, 22
	s_mov_b64 s[8:9], -1
	s_cbranch_scc0 .LBB209_108
; %bb.77:
	s_cmp_lt_i32 s13, 24
	s_mov_b64 s[6:7], -1
	s_cbranch_scc1 .LBB209_97
; %bb.78:
	s_cmp_gt_i32 s13, 24
	s_cbranch_scc0 .LBB209_86
; %bb.79:
	v_lshlrev_b32_e32 v5, 16, v2
	v_and_b32_e32 v4, 0x7fffffff, v5
	s_mov_b32 s6, 0x47800000
	v_cmp_gt_u32_e32 vcc, s6, v4
	v_mov_b32_e32 v6, 0x80
	s_and_saveexec_b64 s[6:7], vcc
	s_cbranch_execz .LBB209_85
; %bb.80:
	s_mov_b32 s8, 0x37ffffff
	v_and_b32_e32 v3, 0xffff, v2
	v_cmp_lt_u32_e32 vcc, s8, v4
	s_mov_b64 s[8:9], 0
                                        ; implicit-def: $vgpr4
	s_and_saveexec_b64 s[10:11], vcc
	s_xor_b64 s[10:11], exec, s[10:11]
	s_cbranch_execz .LBB209_313
; %bb.81:
	v_bfe_u32 v4, v3, 5, 1
	s_mov_b32 s14, 0x88fffff
	v_add3_u32 v4, v5, v4, s14
	s_mov_b64 s[8:9], exec
	v_lshrrev_b32_e32 v4, 21, v4
                                        ; implicit-def: $vgpr5
	s_andn2_saveexec_b64 s[10:11], s[10:11]
	s_cbranch_execnz .LBB209_314
.LBB209_82:
	s_or_b64 exec, exec, s[10:11]
	v_mov_b32_e32 v6, 0
	s_and_saveexec_b64 s[10:11], s[8:9]
.LBB209_83:
	v_lshrrev_b32_e32 v3, 8, v3
	s_movk_i32 s8, 0x80
	v_and_or_b32 v6, v3, s8, v4
.LBB209_84:
	s_or_b64 exec, exec, s[10:11]
.LBB209_85:
	s_or_b64 exec, exec, s[6:7]
	s_mov_b64 s[6:7], 0
	global_store_byte v[0:1], v6, off
.LBB209_86:
	s_and_b64 vcc, exec, s[6:7]
	s_cbranch_vccz .LBB209_96
; %bb.87:
	v_lshlrev_b32_e32 v5, 16, v2
	v_and_b32_e32 v6, 0x7fffffff, v5
	s_mov_b32 s6, 0x43f00000
	v_and_b32_e32 v3, 0xffff, v2
	v_cmp_gt_u32_e32 vcc, s6, v6
                                        ; implicit-def: $vgpr4
	s_and_saveexec_b64 s[6:7], vcc
	s_xor_b64 s[6:7], exec, s[6:7]
	s_cbranch_execz .LBB209_93
; %bb.88:
	s_mov_b32 s8, 0x3c7fffff
	v_cmp_lt_u32_e32 vcc, s8, v6
                                        ; implicit-def: $vgpr4
	s_and_saveexec_b64 s[8:9], vcc
	s_xor_b64 s[8:9], exec, s[8:9]
; %bb.89:
	v_bfe_u32 v4, v3, 4, 1
	s_mov_b32 s10, 0x407ffff
	v_add3_u32 v4, v5, v4, s10
	v_lshrrev_b32_e32 v5, 20, v4
	v_and_b32_e32 v4, 0xff00000, v4
	s_mov_b32 s10, 0x7f00000
	v_mov_b32_e32 v6, 0x7e
	v_cmp_ne_u32_e32 vcc, s10, v4
	s_nop 1
	v_cndmask_b32_e32 v4, v6, v5, vcc
                                        ; implicit-def: $vgpr5
; %bb.90:
	s_andn2_saveexec_b64 s[8:9], s[8:9]
; %bb.91:
	s_mov_b32 s10, 0x46800000
	v_add_f32_e64 v4, |v5|, s10
; %bb.92:
	s_or_b64 exec, exec, s[8:9]
                                        ; implicit-def: $vgpr6
.LBB209_93:
	s_andn2_saveexec_b64 s[6:7], s[6:7]
; %bb.94:
	s_mov_b32 s8, 0x7f800000
	v_mov_b32_e32 v4, 0x7e
	v_mov_b32_e32 v5, 0x7f
	v_cmp_lt_u32_e32 vcc, s8, v6
	s_nop 1
	v_cndmask_b32_e32 v4, v4, v5, vcc
; %bb.95:
	s_or_b64 exec, exec, s[6:7]
	v_lshrrev_b32_e32 v3, 8, v3
	s_movk_i32 s6, 0x80
	v_and_or_b32 v3, v3, s6, v4
	global_store_byte v[0:1], v3, off
.LBB209_96:
	s_mov_b64 s[6:7], 0
.LBB209_97:
	s_andn2_b64 vcc, exec, s[6:7]
	s_cbranch_vccnz .LBB209_107
; %bb.98:
	v_lshlrev_b32_e32 v5, 16, v2
	v_and_b32_e32 v6, 0x7fffffff, v5
	s_mov_b32 s6, 0x47800000
	v_and_b32_e32 v3, 0xffff, v2
	v_cmp_gt_u32_e32 vcc, s6, v6
                                        ; implicit-def: $vgpr4
	s_and_saveexec_b64 s[6:7], vcc
	s_xor_b64 s[6:7], exec, s[6:7]
	s_cbranch_execz .LBB209_104
; %bb.99:
	s_mov_b32 s8, 0x387fffff
	v_cmp_lt_u32_e32 vcc, s8, v6
                                        ; implicit-def: $vgpr4
	s_and_saveexec_b64 s[8:9], vcc
	s_xor_b64 s[8:9], exec, s[8:9]
; %bb.100:
	v_bfe_u32 v4, v3, 5, 1
	s_mov_b32 s10, 0x80fffff
	v_add3_u32 v4, v5, v4, s10
	v_lshrrev_b32_e32 v4, 21, v4
                                        ; implicit-def: $vgpr5
; %bb.101:
	s_andn2_saveexec_b64 s[8:9], s[8:9]
; %bb.102:
	s_mov_b32 s10, 0x43000000
	v_add_f32_e64 v4, |v5|, s10
; %bb.103:
	s_or_b64 exec, exec, s[8:9]
                                        ; implicit-def: $vgpr6
.LBB209_104:
	s_andn2_saveexec_b64 s[6:7], s[6:7]
; %bb.105:
	s_mov_b32 s8, 0x7f800000
	v_mov_b32_e32 v4, 0x7c
	v_mov_b32_e32 v5, 0x7f
	v_cmp_lt_u32_e32 vcc, s8, v6
	s_nop 1
	v_cndmask_b32_e32 v4, v4, v5, vcc
; %bb.106:
	s_or_b64 exec, exec, s[6:7]
	v_lshrrev_b32_e32 v3, 8, v3
	s_movk_i32 s6, 0x80
	v_and_or_b32 v3, v3, s6, v4
	global_store_byte v[0:1], v3, off
.LBB209_107:
	s_mov_b64 s[8:9], 0
	s_mov_b64 s[6:7], -1
.LBB209_108:
	s_andn2_b64 vcc, exec, s[8:9]
	s_cbranch_vccnz .LBB209_116
; %bb.109:
	s_cmp_gt_i32 s13, 14
	s_mov_b64 s[8:9], -1
	s_cbranch_scc0 .LBB209_113
; %bb.110:
	s_cmp_eq_u32 s13, 15
	s_mov_b64 s[2:3], -1
	s_cbranch_scc0 .LBB209_112
; %bb.111:
	global_store_short v[0:1], v2, off
	s_mov_b64 s[6:7], -1
	s_mov_b64 s[2:3], 0
.LBB209_112:
	s_mov_b64 s[8:9], 0
.LBB209_113:
	s_and_b64 vcc, exec, s[8:9]
	s_cbranch_vccz .LBB209_116
; %bb.114:
	s_cmp_eq_u32 s13, 11
	s_mov_b64 s[2:3], -1
	s_cbranch_scc0 .LBB209_116
; %bb.115:
	v_and_b32_e32 v3, 0x7fff, v2
	v_cmp_ne_u16_e32 vcc, 0, v3
	s_mov_b64 s[6:7], -1
	s_mov_b64 s[2:3], 0
	v_cndmask_b32_e64 v3, 0, 1, vcc
	global_store_byte v[0:1], v3, off
.LBB209_116:
	s_branch .LBB209_35
.LBB209_117:
	s_and_b32 s8, 0xffff, s12
	s_cmp_lt_i32 s8, 5
	s_mov_b64 s[6:7], -1
	s_cbranch_scc1 .LBB209_138
; %bb.118:
	s_cmp_lt_i32 s8, 8
	s_cbranch_scc1 .LBB209_128
; %bb.119:
	s_cmp_lt_i32 s8, 9
	s_cbranch_scc1 .LBB209_125
; %bb.120:
	s_cmp_gt_i32 s8, 9
	s_cbranch_scc0 .LBB209_122
; %bb.121:
	v_lshlrev_b32_e32 v3, 16, v2
	v_mov_b32_e32 v6, 0
	v_cvt_f64_f32_e32 v[4:5], v3
	v_mov_b32_e32 v7, v6
	global_store_dwordx4 v[0:1], v[4:7], off
	s_mov_b64 s[6:7], 0
.LBB209_122:
	s_andn2_b64 vcc, exec, s[6:7]
	s_cbranch_vccnz .LBB209_124
; %bb.123:
	v_lshlrev_b32_e32 v4, 16, v2
	v_mov_b32_e32 v5, 0
	global_store_dwordx2 v[0:1], v[4:5], off
.LBB209_124:
	s_mov_b64 s[6:7], 0
.LBB209_125:
	s_andn2_b64 vcc, exec, s[6:7]
	s_cbranch_vccnz .LBB209_127
; %bb.126:
	v_lshlrev_b32_e32 v3, 16, v2
	v_cvt_f16_f32_e32 v3, v3
	global_store_dword v[0:1], v3, off
.LBB209_127:
	s_mov_b64 s[6:7], 0
.LBB209_128:
	s_andn2_b64 vcc, exec, s[6:7]
	s_cbranch_vccnz .LBB209_137
; %bb.129:
	s_cmp_lt_i32 s8, 6
	s_mov_b64 s[6:7], -1
	s_cbranch_scc1 .LBB209_135
; %bb.130:
	s_cmp_gt_i32 s8, 6
	s_cbranch_scc0 .LBB209_132
; %bb.131:
	v_lshlrev_b32_e32 v3, 16, v2
	v_cvt_f64_f32_e32 v[4:5], v3
	global_store_dwordx2 v[0:1], v[4:5], off
	s_mov_b64 s[6:7], 0
.LBB209_132:
	s_andn2_b64 vcc, exec, s[6:7]
	s_cbranch_vccnz .LBB209_134
; %bb.133:
	v_lshlrev_b32_e32 v3, 16, v2
	global_store_dword v[0:1], v3, off
.LBB209_134:
	s_mov_b64 s[6:7], 0
.LBB209_135:
	s_andn2_b64 vcc, exec, s[6:7]
	s_cbranch_vccnz .LBB209_137
; %bb.136:
	v_lshlrev_b32_e32 v3, 16, v2
	v_cvt_f16_f32_e32 v3, v3
	global_store_short v[0:1], v3, off
.LBB209_137:
	s_mov_b64 s[6:7], 0
.LBB209_138:
	s_andn2_b64 vcc, exec, s[6:7]
	s_cbranch_vccnz .LBB209_154
; %bb.139:
	s_cmp_lt_i32 s8, 2
	s_mov_b64 s[6:7], -1
	s_cbranch_scc1 .LBB209_149
; %bb.140:
	s_cmp_lt_i32 s8, 3
	s_cbranch_scc1 .LBB209_146
; %bb.141:
	s_cmp_gt_i32 s8, 3
	s_cbranch_scc0 .LBB209_143
; %bb.142:
	v_lshlrev_b32_e32 v3, 16, v2
	v_trunc_f32_e32 v3, v3
	s_mov_b32 s6, 0x2f800000
	v_mul_f32_e64 v4, |v3|, s6
	v_floor_f32_e32 v4, v4
	s_mov_b32 s6, 0xcf800000
	v_cvt_u32_f32_e32 v5, v4
	v_fma_f32 v4, v4, s6, |v3|
	v_cvt_u32_f32_e32 v4, v4
	v_ashrrev_i32_e32 v3, 31, v3
	v_xor_b32_e32 v5, v5, v3
	s_mov_b64 s[6:7], 0
	v_xor_b32_e32 v4, v4, v3
	v_sub_co_u32_e32 v4, vcc, v4, v3
	s_nop 1
	v_subb_co_u32_e32 v5, vcc, v5, v3, vcc
	global_store_dwordx2 v[0:1], v[4:5], off
.LBB209_143:
	s_andn2_b64 vcc, exec, s[6:7]
	s_cbranch_vccnz .LBB209_145
; %bb.144:
	v_lshlrev_b32_e32 v3, 16, v2
	v_cvt_i32_f32_e32 v3, v3
	global_store_dword v[0:1], v3, off
.LBB209_145:
	s_mov_b64 s[6:7], 0
.LBB209_146:
	s_andn2_b64 vcc, exec, s[6:7]
	s_cbranch_vccnz .LBB209_148
; %bb.147:
	v_lshlrev_b32_e32 v3, 16, v2
	v_cvt_i32_f32_e32 v3, v3
	global_store_short v[0:1], v3, off
.LBB209_148:
	s_mov_b64 s[6:7], 0
.LBB209_149:
	s_andn2_b64 vcc, exec, s[6:7]
	s_cbranch_vccnz .LBB209_154
; %bb.150:
	s_cmp_gt_i32 s8, 0
	s_mov_b64 s[6:7], -1
	s_cbranch_scc0 .LBB209_152
; %bb.151:
	v_lshlrev_b32_e32 v3, 16, v2
	v_cvt_i32_f32_e32 v3, v3
	s_mov_b64 s[6:7], 0
	global_store_byte v[0:1], v3, off
.LBB209_152:
	s_andn2_b64 vcc, exec, s[6:7]
	s_cbranch_vccnz .LBB209_154
; %bb.153:
	v_lshlrev_b32_e32 v2, 16, v2
	v_trunc_f32_e32 v2, v2
	s_mov_b32 s6, 0x2f800000
	v_mul_f32_e64 v3, |v2|, s6
	v_floor_f32_e32 v3, v3
	s_mov_b32 s6, 0xcf800000
	v_fma_f32 v3, v3, s6, |v2|
	v_cvt_u32_f32_e32 v3, v3
	v_ashrrev_i32_e32 v2, 31, v2
	v_xor_b32_e32 v3, v3, v2
	v_sub_u32_e32 v2, v3, v2
	global_store_byte v[0:1], v2, off
.LBB209_154:
.LBB209_155:
	v_add_u32_e32 v8, 0x80, v8
	s_mov_b64 s[6:7], -1
	s_branch .LBB209_266
.LBB209_156:
	s_mov_b64 s[4:5], -1
                                        ; implicit-def: $vgpr1
.LBB209_157:
	s_mov_b64 s[6:7], 0
.LBB209_158:
	s_and_b64 vcc, exec, s[6:7]
	s_cbranch_vccz .LBB209_162
; %bb.159:
	s_cmp_eq_u32 s10, 29
	s_cbranch_scc0 .LBB209_161
; %bb.160:
	global_load_dwordx2 v[4:5], v[2:3], off
	s_movk_i32 s4, 0x7fff
	s_mov_b64 s[2:3], -1
	s_mov_b64 s[6:7], 0
	s_waitcnt vmcnt(0)
	v_ffbh_u32_e32 v1, v5
	v_min_u32_e32 v1, 32, v1
	v_lshlrev_b64 v[4:5], v1, v[4:5]
	v_min_u32_e32 v4, 1, v4
	v_or_b32_e32 v4, v5, v4
	v_cvt_f32_u32_e32 v4, v4
	v_sub_u32_e32 v1, 32, v1
	v_ldexp_f32 v1, v4, v1
	v_bfe_u32 v4, v1, 16, 1
	v_add3_u32 v1, v1, v4, s4
	v_lshrrev_b32_e32 v1, 16, v1
	s_mov_b64 s[4:5], 0
	s_branch .LBB209_163
.LBB209_161:
	s_mov_b64 s[4:5], -1
                                        ; implicit-def: $vgpr1
.LBB209_162:
	s_mov_b64 s[6:7], 0
.LBB209_163:
	s_and_b64 vcc, exec, s[6:7]
	s_cbranch_vccz .LBB209_181
; %bb.164:
	s_cmp_lt_i32 s10, 27
	s_cbranch_scc1 .LBB209_167
; %bb.165:
	s_cmp_gt_i32 s10, 27
	s_cbranch_scc0 .LBB209_168
; %bb.166:
	global_load_dword v1, v[2:3], off
	s_movk_i32 s2, 0x7fff
	s_waitcnt vmcnt(0)
	v_cvt_f32_u32_e32 v1, v1
	v_bfe_u32 v4, v1, 16, 1
	v_add3_u32 v1, v1, v4, s2
	v_lshrrev_b32_e32 v1, 16, v1
	s_mov_b64 s[2:3], 0
	s_branch .LBB209_169
.LBB209_167:
	s_mov_b64 s[2:3], -1
                                        ; implicit-def: $vgpr1
	s_branch .LBB209_172
.LBB209_168:
	s_mov_b64 s[2:3], -1
                                        ; implicit-def: $vgpr1
.LBB209_169:
	s_andn2_b64 vcc, exec, s[2:3]
	s_cbranch_vccnz .LBB209_171
; %bb.170:
	global_load_ushort v1, v[2:3], off
	s_movk_i32 s2, 0x7fff
	s_waitcnt vmcnt(0)
	v_cvt_f32_u32_e32 v1, v1
	v_bfe_u32 v4, v1, 16, 1
	v_add3_u32 v1, v1, v4, s2
	v_lshrrev_b32_e32 v1, 16, v1
.LBB209_171:
	s_mov_b64 s[2:3], 0
.LBB209_172:
	s_andn2_b64 vcc, exec, s[2:3]
	s_cbranch_vccnz .LBB209_180
; %bb.173:
	global_load_ubyte v1, v[2:3], off
	s_movk_i32 s2, 0x7f
	s_waitcnt vmcnt(0)
	v_cmp_lt_i16_e32 vcc, s2, v1
	s_mov_b64 s[2:3], 0
	s_and_saveexec_b64 s[6:7], vcc
	s_xor_b64 s[6:7], exec, s[6:7]
	s_cbranch_execz .LBB209_193
; %bb.174:
	s_movk_i32 s2, 0x80
	v_cmp_eq_u16_e32 vcc, s2, v1
	s_mov_b64 s[2:3], -1
	s_and_saveexec_b64 s[8:9], vcc
; %bb.175:
	s_xor_b64 s[2:3], exec, -1
; %bb.176:
	s_or_b64 exec, exec, s[8:9]
	s_and_b64 s[2:3], s[2:3], exec
	s_or_saveexec_b64 s[6:7], s[6:7]
	v_mov_b32_e32 v4, 0x7f800001
	s_xor_b64 exec, exec, s[6:7]
	s_cbranch_execnz .LBB209_194
.LBB209_177:
	s_or_b64 exec, exec, s[6:7]
	s_and_saveexec_b64 s[6:7], s[2:3]
	s_cbranch_execz .LBB209_179
.LBB209_178:
	v_lshlrev_b32_e32 v4, 24, v1
	v_and_b32_e32 v1, 0xffff, v1
	v_and_b32_e32 v5, 7, v1
	v_ffbh_u32_e32 v7, v5
	v_min_u32_e32 v7, 32, v7
	v_subrev_u32_e32 v9, 28, v7
	v_bfe_u32 v6, v1, 3, 4
	v_lshlrev_b32_e32 v1, v9, v1
	v_sub_u32_e32 v7, 29, v7
	v_and_b32_e32 v1, 7, v1
	v_cmp_eq_u32_e32 vcc, 0, v6
	v_and_b32_e32 v4, 0x80000000, v4
	s_nop 0
	v_cndmask_b32_e32 v6, v6, v7, vcc
	v_cndmask_b32_e32 v1, v5, v1, vcc
	v_mov_b32_e32 v5, 0x3b800000
	v_lshlrev_b32_e32 v1, 20, v1
	v_lshl_add_u32 v5, v6, 23, v5
	v_or3_b32 v4, v4, v5, v1
.LBB209_179:
	s_or_b64 exec, exec, s[6:7]
	v_bfe_u32 v1, v4, 16, 1
	s_movk_i32 s2, 0x7fff
	v_add3_u32 v1, v4, v1, s2
	v_cmp_o_f32_e32 vcc, v4, v4
	v_mov_b32_e32 v4, 0x7fc0
	s_nop 0
	v_cndmask_b32_sdwa v1, v4, v1, vcc dst_sel:DWORD dst_unused:UNUSED_PAD src0_sel:DWORD src1_sel:WORD_1
.LBB209_180:
	s_mov_b64 s[2:3], -1
.LBB209_181:
	s_branch .LBB209_216
.LBB209_182:
	s_cmp_gt_i32 s10, 22
	s_cbranch_scc0 .LBB209_192
; %bb.183:
	s_cmp_lt_i32 s10, 24
	s_cbranch_scc1 .LBB209_195
; %bb.184:
	s_cmp_gt_i32 s10, 24
	s_cbranch_scc0 .LBB209_196
; %bb.185:
	global_load_ubyte v1, v[2:3], off
	s_movk_i32 s2, 0x7f
	s_waitcnt vmcnt(0)
	v_cmp_lt_i16_e32 vcc, s2, v1
	s_mov_b64 s[2:3], 0
	s_and_saveexec_b64 s[6:7], vcc
	s_xor_b64 s[6:7], exec, s[6:7]
	s_cbranch_execz .LBB209_208
; %bb.186:
	s_movk_i32 s2, 0x80
	v_cmp_eq_u16_e32 vcc, s2, v1
	s_mov_b64 s[2:3], -1
	s_and_saveexec_b64 s[8:9], vcc
; %bb.187:
	s_xor_b64 s[2:3], exec, -1
; %bb.188:
	s_or_b64 exec, exec, s[8:9]
	s_and_b64 s[2:3], s[2:3], exec
	s_or_saveexec_b64 s[6:7], s[6:7]
	v_mov_b32_e32 v4, 0x7f800001
	s_xor_b64 exec, exec, s[6:7]
	s_cbranch_execnz .LBB209_209
.LBB209_189:
	s_or_b64 exec, exec, s[6:7]
	s_and_saveexec_b64 s[6:7], s[2:3]
	s_cbranch_execz .LBB209_191
.LBB209_190:
	v_lshlrev_b32_e32 v4, 24, v1
	v_and_b32_e32 v1, 0xffff, v1
	v_and_b32_e32 v5, 3, v1
	v_ffbh_u32_e32 v7, v5
	v_min_u32_e32 v7, 32, v7
	v_subrev_u32_e32 v9, 29, v7
	v_bfe_u32 v6, v1, 2, 5
	v_lshlrev_b32_e32 v1, v9, v1
	v_sub_u32_e32 v7, 30, v7
	v_and_b32_e32 v1, 3, v1
	v_cmp_eq_u32_e32 vcc, 0, v6
	v_and_b32_e32 v4, 0x80000000, v4
	s_nop 0
	v_cndmask_b32_e32 v6, v6, v7, vcc
	v_cndmask_b32_e32 v1, v5, v1, vcc
	v_mov_b32_e32 v5, 0x37800000
	v_lshlrev_b32_e32 v1, 21, v1
	v_lshl_add_u32 v5, v6, 23, v5
	v_or3_b32 v4, v4, v5, v1
.LBB209_191:
	s_or_b64 exec, exec, s[6:7]
	v_bfe_u32 v1, v4, 16, 1
	s_movk_i32 s2, 0x7fff
	v_add3_u32 v1, v4, v1, s2
	v_cmp_o_f32_e32 vcc, v4, v4
	v_mov_b32_e32 v4, 0x7fc0
	s_mov_b64 s[2:3], 0
	v_cndmask_b32_sdwa v1, v4, v1, vcc dst_sel:DWORD dst_unused:UNUSED_PAD src0_sel:DWORD src1_sel:WORD_1
	s_branch .LBB209_197
.LBB209_192:
	s_mov_b64 s[6:7], -1
                                        ; implicit-def: $vgpr1
	s_branch .LBB209_203
.LBB209_193:
	s_or_saveexec_b64 s[6:7], s[6:7]
	v_mov_b32_e32 v4, 0x7f800001
	s_xor_b64 exec, exec, s[6:7]
	s_cbranch_execz .LBB209_177
.LBB209_194:
	v_cmp_ne_u16_e32 vcc, 0, v1
	s_andn2_b64 s[2:3], s[2:3], exec
	s_and_b64 s[8:9], vcc, exec
	v_mov_b32_e32 v4, 0
	s_or_b64 s[2:3], s[2:3], s[8:9]
	s_or_b64 exec, exec, s[6:7]
	s_and_saveexec_b64 s[6:7], s[2:3]
	s_cbranch_execnz .LBB209_178
	s_branch .LBB209_179
.LBB209_195:
	s_mov_b64 s[2:3], -1
                                        ; implicit-def: $vgpr1
	s_branch .LBB209_200
.LBB209_196:
	s_mov_b64 s[2:3], -1
                                        ; implicit-def: $vgpr1
.LBB209_197:
	s_and_b64 vcc, exec, s[2:3]
	s_cbranch_vccz .LBB209_199
; %bb.198:
	global_load_ubyte v1, v[2:3], off
	s_mov_b32 s2, 0x7f800000
	s_brev_b32 s3, 1
	s_movk_i32 s6, 0x7fff
	s_waitcnt vmcnt(0)
	v_lshlrev_b32_e32 v1, 24, v1
	v_and_b32_e32 v4, 0x7f000000, v1
	v_ffbh_u32_e32 v5, v4
	v_min_u32_e32 v5, 32, v5
	v_sub_u32_e64 v5, v5, 4 clamp
	v_lshlrev_b32_e32 v7, v5, v4
	v_lshlrev_b32_e32 v5, 23, v5
	v_lshrrev_b32_e32 v7, 4, v7
	v_add_u32_e32 v6, 0x1000000, v4
	v_sub_u32_e32 v5, v7, v5
	v_ashrrev_i32_e32 v6, 8, v6
	v_add_u32_e32 v5, 0x3c000000, v5
	v_and_or_b32 v5, v6, s2, v5
	v_cmp_ne_u32_e32 vcc, 0, v4
	s_nop 1
	v_cndmask_b32_e32 v4, 0, v5, vcc
	v_and_or_b32 v1, v1, s3, v4
	v_bfe_u32 v4, v4, 16, 1
	v_add3_u32 v4, v1, v4, s6
	v_cmp_o_f32_e32 vcc, v1, v1
	v_mov_b32_e32 v1, 0x7fc0
	s_nop 0
	v_cndmask_b32_sdwa v1, v1, v4, vcc dst_sel:DWORD dst_unused:UNUSED_PAD src0_sel:DWORD src1_sel:WORD_1
.LBB209_199:
	s_mov_b64 s[2:3], 0
.LBB209_200:
	s_andn2_b64 vcc, exec, s[2:3]
	s_cbranch_vccnz .LBB209_202
; %bb.201:
	global_load_ubyte v1, v[2:3], off
	s_movk_i32 s2, 0x7f00
	s_brev_b32 s3, 16
	s_brev_b32 s6, 1
	s_movk_i32 s7, 0x7fff
	s_waitcnt vmcnt(0)
	v_lshlrev_b16_e32 v4, 8, v1
	v_lshlrev_b32_e32 v1, 25, v1
	v_lshrrev_b32_e32 v5, 4, v1
	v_and_or_b32 v6, v4, s2, 0.5
	v_or_b32_e32 v5, 0x70000000, v5
	v_add_f32_e32 v6, -0.5, v6
	v_mul_f32_e32 v5, 0x7800000, v5
	v_cmp_gt_u32_e32 vcc, s3, v1
	v_bfe_i32 v4, v4, 0, 16
	s_nop 0
	v_cndmask_b32_e32 v1, v5, v6, vcc
	v_and_or_b32 v4, v4, s6, v1
	v_bfe_u32 v1, v1, 16, 1
	v_add3_u32 v1, v4, v1, s7
	v_cmp_o_f32_e32 vcc, v4, v4
	v_mov_b32_e32 v4, 0x7fc0
	s_nop 0
	v_cndmask_b32_sdwa v1, v4, v1, vcc dst_sel:DWORD dst_unused:UNUSED_PAD src0_sel:DWORD src1_sel:WORD_1
.LBB209_202:
	s_mov_b64 s[6:7], 0
	s_mov_b64 s[2:3], -1
.LBB209_203:
	s_andn2_b64 vcc, exec, s[6:7]
	s_cbranch_vccnz .LBB209_216
; %bb.204:
	s_cmp_gt_i32 s10, 14
	s_cbranch_scc0 .LBB209_207
; %bb.205:
	s_cmp_eq_u32 s10, 15
	s_cbranch_scc0 .LBB209_210
; %bb.206:
	global_load_ushort v1, v[2:3], off
	s_mov_b64 s[2:3], -1
	s_mov_b64 s[4:5], 0
	s_branch .LBB209_211
.LBB209_207:
	s_mov_b64 s[6:7], -1
                                        ; implicit-def: $vgpr1
	s_branch .LBB209_212
.LBB209_208:
	s_or_saveexec_b64 s[6:7], s[6:7]
	v_mov_b32_e32 v4, 0x7f800001
	s_xor_b64 exec, exec, s[6:7]
	s_cbranch_execz .LBB209_189
.LBB209_209:
	v_cmp_ne_u16_e32 vcc, 0, v1
	s_andn2_b64 s[2:3], s[2:3], exec
	s_and_b64 s[8:9], vcc, exec
	v_mov_b32_e32 v4, 0
	s_or_b64 s[2:3], s[2:3], s[8:9]
	s_or_b64 exec, exec, s[6:7]
	s_and_saveexec_b64 s[6:7], s[2:3]
	s_cbranch_execnz .LBB209_190
	s_branch .LBB209_191
.LBB209_210:
	s_mov_b64 s[4:5], -1
                                        ; implicit-def: $vgpr1
.LBB209_211:
	s_mov_b64 s[6:7], 0
.LBB209_212:
	s_and_b64 vcc, exec, s[6:7]
	s_cbranch_vccz .LBB209_216
; %bb.213:
	s_cmp_eq_u32 s10, 11
	s_cbranch_scc0 .LBB209_215
; %bb.214:
	global_load_ubyte v1, v[2:3], off
	s_mov_b64 s[2:3], -1
	s_mov_b64 s[4:5], 0
	s_waitcnt vmcnt(0)
	v_cmp_ne_u16_e32 vcc, 0, v1
	s_nop 1
	v_cndmask_b32_e64 v1, 0, 1.0, vcc
	v_lshrrev_b32_e32 v1, 16, v1
	s_branch .LBB209_216
.LBB209_215:
	s_mov_b64 s[4:5], -1
                                        ; implicit-def: $vgpr1
.LBB209_216:
	s_branch .LBB209_25
.LBB209_217:
	s_cmp_lt_i32 s10, 5
	s_cbranch_scc1 .LBB209_222
; %bb.218:
	s_cmp_lt_i32 s10, 8
	s_cbranch_scc1 .LBB209_223
; %bb.219:
	;; [unrolled: 3-line block ×3, first 2 shown]
	s_cmp_gt_i32 s10, 9
	s_cbranch_scc0 .LBB209_225
; %bb.221:
	global_load_dwordx2 v[4:5], v[2:3], off
	s_movk_i32 s2, 0x7fff
	s_waitcnt vmcnt(1)
	v_mov_b32_e32 v1, 0x7fc0
	s_waitcnt vmcnt(0)
	v_cvt_f32_f64_e32 v4, v[4:5]
	v_bfe_u32 v5, v4, 16, 1
	v_cmp_o_f32_e32 vcc, v4, v4
	v_add3_u32 v4, v4, v5, s2
	s_mov_b64 s[2:3], 0
	v_cndmask_b32_sdwa v1, v1, v4, vcc dst_sel:DWORD dst_unused:UNUSED_PAD src0_sel:DWORD src1_sel:WORD_1
	s_branch .LBB209_226
.LBB209_222:
                                        ; implicit-def: $vgpr1
	s_branch .LBB209_244
.LBB209_223:
	s_mov_b64 s[2:3], -1
                                        ; implicit-def: $vgpr1
	s_branch .LBB209_232
.LBB209_224:
	s_mov_b64 s[2:3], -1
                                        ; implicit-def: $vgpr1
	s_branch .LBB209_229
.LBB209_225:
	s_mov_b64 s[2:3], -1
                                        ; implicit-def: $vgpr1
.LBB209_226:
	s_andn2_b64 vcc, exec, s[2:3]
	s_cbranch_vccnz .LBB209_228
; %bb.227:
	global_load_dword v1, v[2:3], off
	s_movk_i32 s2, 0x7fff
	v_mov_b32_e32 v4, 0x7fc0
	s_waitcnt vmcnt(0)
	v_bfe_u32 v5, v1, 16, 1
	v_cmp_o_f32_e32 vcc, v1, v1
	v_add3_u32 v1, v1, v5, s2
	s_nop 0
	v_cndmask_b32_sdwa v1, v4, v1, vcc dst_sel:DWORD dst_unused:UNUSED_PAD src0_sel:DWORD src1_sel:WORD_1
.LBB209_228:
	s_mov_b64 s[2:3], 0
.LBB209_229:
	s_andn2_b64 vcc, exec, s[2:3]
	s_cbranch_vccnz .LBB209_231
; %bb.230:
	global_load_dword v1, v[2:3], off
	s_movk_i32 s2, 0x7fff
	v_mov_b32_e32 v5, 0x7fc0
	s_waitcnt vmcnt(0)
	v_cvt_f32_f16_e32 v4, v1
	v_cmp_o_f16_e32 vcc, v1, v1
	v_bfe_u32 v1, v4, 16, 1
	v_add3_u32 v1, v4, v1, s2
	v_cndmask_b32_sdwa v1, v5, v1, vcc dst_sel:DWORD dst_unused:UNUSED_PAD src0_sel:DWORD src1_sel:WORD_1
.LBB209_231:
	s_mov_b64 s[2:3], 0
.LBB209_232:
	s_andn2_b64 vcc, exec, s[2:3]
	s_cbranch_vccnz .LBB209_243
; %bb.233:
	s_cmp_lt_i32 s10, 6
	s_cbranch_scc1 .LBB209_236
; %bb.234:
	s_cmp_gt_i32 s10, 6
	s_cbranch_scc0 .LBB209_237
; %bb.235:
	global_load_dwordx2 v[4:5], v[2:3], off
	s_movk_i32 s2, 0x7fff
	s_waitcnt vmcnt(1)
	v_mov_b32_e32 v1, 0x7fc0
	s_waitcnt vmcnt(0)
	v_cvt_f32_f64_e32 v4, v[4:5]
	v_bfe_u32 v5, v4, 16, 1
	v_cmp_o_f32_e32 vcc, v4, v4
	v_add3_u32 v4, v4, v5, s2
	s_mov_b64 s[2:3], 0
	v_cndmask_b32_sdwa v1, v1, v4, vcc dst_sel:DWORD dst_unused:UNUSED_PAD src0_sel:DWORD src1_sel:WORD_1
	s_branch .LBB209_238
.LBB209_236:
	s_mov_b64 s[2:3], -1
                                        ; implicit-def: $vgpr1
	s_branch .LBB209_241
.LBB209_237:
	s_mov_b64 s[2:3], -1
                                        ; implicit-def: $vgpr1
.LBB209_238:
	s_andn2_b64 vcc, exec, s[2:3]
	s_cbranch_vccnz .LBB209_240
; %bb.239:
	global_load_dword v1, v[2:3], off
	s_movk_i32 s2, 0x7fff
	v_mov_b32_e32 v4, 0x7fc0
	s_waitcnt vmcnt(0)
	v_bfe_u32 v5, v1, 16, 1
	v_cmp_o_f32_e32 vcc, v1, v1
	v_add3_u32 v1, v1, v5, s2
	s_nop 0
	v_cndmask_b32_sdwa v1, v4, v1, vcc dst_sel:DWORD dst_unused:UNUSED_PAD src0_sel:DWORD src1_sel:WORD_1
.LBB209_240:
	s_mov_b64 s[2:3], 0
.LBB209_241:
	s_andn2_b64 vcc, exec, s[2:3]
	s_cbranch_vccnz .LBB209_243
; %bb.242:
	global_load_ushort v1, v[2:3], off
	s_movk_i32 s2, 0x7fff
	v_mov_b32_e32 v5, 0x7fc0
	s_waitcnt vmcnt(0)
	v_cvt_f32_f16_e32 v4, v1
	v_cmp_o_f16_e32 vcc, v1, v1
	v_bfe_u32 v1, v4, 16, 1
	v_add3_u32 v1, v4, v1, s2
	v_cndmask_b32_sdwa v1, v5, v1, vcc dst_sel:DWORD dst_unused:UNUSED_PAD src0_sel:DWORD src1_sel:WORD_1
.LBB209_243:
	s_cbranch_execnz .LBB209_263
.LBB209_244:
	s_cmp_lt_i32 s10, 2
	s_cbranch_scc1 .LBB209_248
; %bb.245:
	s_cmp_lt_i32 s10, 3
	s_cbranch_scc1 .LBB209_249
; %bb.246:
	s_cmp_gt_i32 s10, 3
	s_cbranch_scc0 .LBB209_250
; %bb.247:
	global_load_dwordx2 v[4:5], v[2:3], off
	s_movk_i32 s2, 0x7fff
	s_waitcnt vmcnt(0)
	v_xor_b32_e32 v6, v4, v5
	v_ffbh_i32_e32 v1, v5
	v_ashrrev_i32_e32 v6, 31, v6
	v_add_u32_e32 v1, -1, v1
	v_add_u32_e32 v6, 32, v6
	v_min_u32_e32 v1, v1, v6
	v_lshlrev_b64 v[4:5], v1, v[4:5]
	v_min_u32_e32 v4, 1, v4
	v_or_b32_e32 v4, v5, v4
	v_cvt_f32_i32_e32 v4, v4
	v_sub_u32_e32 v1, 32, v1
	v_ldexp_f32 v1, v4, v1
	v_bfe_u32 v4, v1, 16, 1
	v_add3_u32 v1, v1, v4, s2
	v_lshrrev_b32_e32 v1, 16, v1
	s_mov_b64 s[2:3], 0
	s_branch .LBB209_251
.LBB209_248:
	s_mov_b64 s[2:3], -1
                                        ; implicit-def: $vgpr1
	s_branch .LBB209_257
.LBB209_249:
	s_mov_b64 s[2:3], -1
                                        ; implicit-def: $vgpr1
	s_branch .LBB209_254
.LBB209_250:
	s_mov_b64 s[2:3], -1
                                        ; implicit-def: $vgpr1
.LBB209_251:
	s_andn2_b64 vcc, exec, s[2:3]
	s_cbranch_vccnz .LBB209_253
; %bb.252:
	global_load_dword v1, v[2:3], off
	s_movk_i32 s2, 0x7fff
	s_waitcnt vmcnt(0)
	v_cvt_f32_i32_e32 v1, v1
	v_bfe_u32 v4, v1, 16, 1
	v_add3_u32 v1, v1, v4, s2
	v_lshrrev_b32_e32 v1, 16, v1
.LBB209_253:
	s_mov_b64 s[2:3], 0
.LBB209_254:
	s_andn2_b64 vcc, exec, s[2:3]
	s_cbranch_vccnz .LBB209_256
; %bb.255:
	global_load_sshort v1, v[2:3], off
	s_movk_i32 s2, 0x7fff
	s_waitcnt vmcnt(0)
	v_cvt_f32_i32_e32 v1, v1
	v_bfe_u32 v4, v1, 16, 1
	v_add3_u32 v1, v1, v4, s2
	v_lshrrev_b32_e32 v1, 16, v1
.LBB209_256:
	s_mov_b64 s[2:3], 0
.LBB209_257:
	s_andn2_b64 vcc, exec, s[2:3]
	s_cbranch_vccnz .LBB209_263
; %bb.258:
	s_cmp_gt_i32 s10, 0
	s_cbranch_scc0 .LBB209_260
; %bb.259:
	global_load_sbyte v1, v[2:3], off
	s_movk_i32 s2, 0x7fff
	s_waitcnt vmcnt(0)
	v_cvt_f32_i32_e32 v1, v1
	v_bfe_u32 v4, v1, 16, 1
	v_add3_u32 v1, v1, v4, s2
	v_lshrrev_b32_e32 v1, 16, v1
	s_mov_b64 s[2:3], 0
	s_branch .LBB209_261
.LBB209_260:
	s_mov_b64 s[2:3], -1
                                        ; implicit-def: $vgpr1
.LBB209_261:
	s_andn2_b64 vcc, exec, s[2:3]
	s_cbranch_vccnz .LBB209_263
; %bb.262:
	global_load_ubyte v1, v[2:3], off
	s_movk_i32 s2, 0x7fff
	s_waitcnt vmcnt(0)
	v_cvt_f32_ubyte0_e32 v1, v1
	v_bfe_u32 v2, v1, 16, 1
	v_add3_u32 v1, v1, v2, s2
	v_lshrrev_b32_e32 v1, 16, v1
.LBB209_263:
	s_branch .LBB209_26
.LBB209_264:
	s_mov_b64 s[2:3], 0
.LBB209_265:
	s_mov_b64 s[6:7], 0
                                        ; implicit-def: $vgpr8
.LBB209_266:
	s_and_b64 s[54:55], s[2:3], exec
	s_and_b64 s[56:57], s[4:5], exec
	s_orn2_b64 s[4:5], s[6:7], exec
.LBB209_267:
	s_or_b64 exec, exec, s[58:59]
	s_mov_b64 s[8:9], 0
	s_mov_b64 s[2:3], 0
                                        ; implicit-def: $vgpr2_vgpr3
                                        ; implicit-def: $vgpr0
                                        ; implicit-def: $vgpr1
	s_and_saveexec_b64 s[58:59], s[4:5]
	s_cbranch_execz .LBB209_275
; %bb.268:
	v_cmp_gt_i32_e32 vcc, s70, v8
	s_mov_b64 s[2:3], -1
	s_mov_b64 s[60:61], s[56:57]
	s_mov_b64 s[62:63], s[54:55]
	s_and_saveexec_b64 s[64:65], vcc
	s_cbranch_execz .LBB209_544
; %bb.269:
	s_andn2_b64 vcc, exec, s[42:43]
	s_cbranch_vccnz .LBB209_278
; %bb.270:
	s_andn2_b64 vcc, exec, s[52:53]
	s_cbranch_vccnz .LBB209_279
; %bb.271:
	s_add_i32 s63, s75, 1
	s_cmp_eq_u32 s72, 2
	s_cbranch_scc1 .LBB209_280
; %bb.272:
	s_and_b32 s62, s63, 28
	s_mov_b32 s66, 0
	v_mov_b32_e32 v0, 0
	v_mov_b32_e32 v2, 0
	s_mov_b64 s[2:3], s[34:35]
	s_mov_b64 s[60:61], s[50:51]
	v_mov_b32_e32 v4, v8
.LBB209_273:                            ; =>This Inner Loop Header: Depth=1
	s_load_dwordx8 s[12:19], s[2:3], 0x4
	s_load_dwordx4 s[36:39], s[2:3], 0x24
	s_load_dwordx8 s[4:11], s[60:61], 0x0
	s_add_u32 s2, s2, 48
	s_addc_u32 s3, s3, 0
	s_waitcnt vmcnt(0) lgkmcnt(0)
	v_mul_hi_u32 v1, s13, v4
	v_add_u32_e32 v1, v4, v1
	v_lshrrev_b32_e32 v1, s14, v1
	v_mul_lo_u32 v3, v1, s12
	v_mul_hi_u32 v5, s16, v1
	v_sub_u32_e32 v3, v4, v3
	v_add_u32_e32 v4, v1, v5
	v_lshrrev_b32_e32 v4, s17, v4
	v_mul_lo_u32 v6, v4, s15
	v_mul_hi_u32 v7, s19, v4
	v_sub_u32_e32 v1, v1, v6
	v_add_u32_e32 v6, v4, v7
	v_mul_lo_u32 v5, v3, s5
	v_mul_lo_u32 v3, v3, s4
	v_mul_lo_u32 v7, v1, s7
	v_mul_lo_u32 v1, v1, s6
	v_lshrrev_b32_e32 v6, s36, v6
	v_add3_u32 v0, v3, v0, v1
	v_mul_hi_u32 v3, s38, v6
	v_add3_u32 v1, v5, v2, v7
	v_mul_lo_u32 v2, v6, s18
	v_add_u32_e32 v3, v6, v3
	v_sub_u32_e32 v2, v4, v2
	v_lshrrev_b32_e32 v4, s39, v3
	s_add_i32 s66, s66, 4
	v_mul_lo_u32 v3, v4, s37
	s_add_u32 s60, s60, 32
	v_sub_u32_e32 v3, v6, v3
	s_addc_u32 s61, s61, 0
	v_mul_lo_u32 v5, v2, s8
	v_mul_lo_u32 v2, v2, s9
	;; [unrolled: 1-line block ×4, first 2 shown]
	s_cmp_eq_u32 s62, s66
	v_add3_u32 v2, v2, v1, v3
	v_add3_u32 v0, v5, v0, v6
	s_cbranch_scc0 .LBB209_273
; %bb.274:
	v_mov_b32_e32 v1, v2
	s_branch .LBB209_281
.LBB209_275:
	s_or_b64 exec, exec, s[58:59]
	s_mov_b64 s[4:5], 0
	s_and_saveexec_b64 s[6:7], s[56:57]
	s_cbranch_execnz .LBB209_922
.LBB209_276:
	s_or_b64 exec, exec, s[6:7]
	s_and_saveexec_b64 s[6:7], s[62:63]
	s_xor_b64 s[6:7], exec, s[6:7]
	s_cbranch_execz .LBB209_923
.LBB209_277:
	global_load_ubyte v1, v[2:3], off
	s_or_b64 s[2:3], s[2:3], exec
	s_waitcnt vmcnt(0)
	v_cmp_ne_u16_e32 vcc, 0, v1
	s_nop 1
	v_cndmask_b32_e64 v1, 0, 1.0, vcc
	v_lshrrev_b32_e32 v1, 16, v1
	s_or_b64 exec, exec, s[6:7]
	s_and_saveexec_b64 s[6:7], s[8:9]
	s_cbranch_execz .LBB209_969
	s_branch .LBB209_924
.LBB209_278:
                                        ; implicit-def: $vgpr2
                                        ; implicit-def: $vgpr0
	s_andn2_b64 vcc, exec, s[2:3]
	s_cbranch_vccz .LBB209_285
	s_branch .LBB209_287
.LBB209_279:
	v_mov_b32_e32 v2, 0
	v_mov_b32_e32 v0, 0
	s_branch .LBB209_284
.LBB209_280:
	v_mov_b32_e32 v0, 0
	s_mov_b32 s62, 0
	s_waitcnt vmcnt(0)
	v_mov_b32_e32 v1, v0
                                        ; implicit-def: $vgpr2
	v_mov_b32_e32 v4, v8
.LBB209_281:
	s_and_b32 s6, s63, 3
	s_cmp_eq_u32 s6, 0
	s_cbranch_scc1 .LBB209_284
; %bb.282:
	s_lshl_b32 s2, s62, 3
	s_add_u32 s2, s34, s2
	s_addc_u32 s3, s35, 0
	s_add_u32 s2, s2, 0xc4
	s_addc_u32 s3, s3, 0
	s_mul_i32 s4, s62, 12
	s_add_u32 s4, s34, s4
	s_addc_u32 s5, s35, 0
.LBB209_283:                            ; =>This Inner Loop Header: Depth=1
	s_load_dwordx2 s[8:9], s[4:5], 0x4
	s_load_dword s7, s[4:5], 0xc
	s_load_dwordx2 s[10:11], s[2:3], 0x0
	v_mov_b32_e32 v2, v1
	s_add_u32 s4, s4, 12
	s_waitcnt lgkmcnt(0)
	v_mul_hi_u32 v1, s9, v4
	v_add_u32_e32 v1, v4, v1
	v_lshrrev_b32_e32 v1, s7, v1
	s_addc_u32 s5, s5, 0
	v_mul_lo_u32 v3, v1, s8
	s_add_u32 s2, s2, 8
	v_sub_u32_e32 v5, v4, v3
	s_addc_u32 s3, s3, 0
	s_add_i32 s6, s6, -1
	v_mov_b32_e32 v4, v1
	v_mad_u64_u32 v[2:3], s[8:9], v5, s11, v[2:3]
	v_mad_u64_u32 v[0:1], s[8:9], v5, s10, v[0:1]
	s_cmp_lg_u32 s6, 0
	v_mov_b32_e32 v1, v2
	s_cbranch_scc1 .LBB209_283
.LBB209_284:
	s_cbranch_execnz .LBB209_287
.LBB209_285:
	s_waitcnt lgkmcnt(0)
	v_mul_hi_u32 v0, s29, v8
	v_add_u32_e32 v0, v8, v0
	s_waitcnt vmcnt(0)
	v_lshrrev_b32_e32 v1, s30, v0
	v_mul_lo_u32 v0, v1, s28
	v_sub_u32_e32 v0, v8, v0
	v_mul_lo_u32 v2, v0, s25
	s_andn2_b64 vcc, exec, s[48:49]
	v_mul_lo_u32 v0, v0, s24
	s_cbranch_vccnz .LBB209_287
; %bb.286:
	v_mul_hi_u32 v3, s46, v1
	v_add_u32_e32 v3, v1, v3
	v_lshrrev_b32_e32 v3, s47, v3
	v_mul_lo_u32 v3, v3, s31
	v_sub_u32_e32 v3, v1, v3
	v_mad_u64_u32 v[0:1], s[2:3], v3, s26, v[0:1]
	v_mad_u64_u32 v[2:3], s[2:3], v3, s27, v[2:3]
.LBB209_287:
	v_mov_b32_e32 v3, 0
	s_and_b32 s10, 0xffff, s74
	s_cmp_lt_i32 s10, 11
	s_waitcnt lgkmcnt(0)
	v_lshl_add_u64 v[2:3], s[22:23], 0, v[2:3]
	s_cbranch_scc1 .LBB209_294
; %bb.288:
	s_cmp_gt_i32 s10, 25
	s_cbranch_scc0 .LBB209_303
; %bb.289:
	s_cmp_gt_i32 s10, 28
	s_cbranch_scc0 .LBB209_305
	;; [unrolled: 3-line block ×4, first 2 shown]
; %bb.292:
	s_cmp_eq_u32 s10, 46
	s_mov_b64 s[6:7], 0
	s_cbranch_scc0 .LBB209_315
; %bb.293:
	global_load_dword v1, v[2:3], off
	s_mov_b64 s[2:3], -1
	s_mov_b64 s[4:5], 0
	s_branch .LBB209_316
.LBB209_294:
	s_mov_b64 s[2:3], 0
                                        ; implicit-def: $vgpr1
	s_mov_b64 s[4:5], s[56:57]
	s_cbranch_execnz .LBB209_493
.LBB209_295:
	s_andn2_b64 vcc, exec, s[2:3]
	s_cbranch_vccnz .LBB209_541
.LBB209_296:
	s_waitcnt vmcnt(0)
	v_lshlrev_b32_e32 v1, 16, v1
	v_cvt_f64_f32_e32 v[2:3], v1
	v_rsq_f64_e32 v[4:5], v[2:3]
	s_mov_b32 s2, 0
	s_mov_b32 s3, 0x3fd80000
	v_mov_b32_e32 v1, 0x180
	v_mul_f64 v[2:3], v[4:5], -v[2:3]
	v_fma_f64 v[2:3], v[2:3], v[4:5], 1.0
	v_mul_f64 v[6:7], v[4:5], v[2:3]
	v_fma_f64 v[2:3], v[2:3], s[2:3], 0.5
	v_fma_f64 v[2:3], v[6:7], v[2:3], v[4:5]
	v_cmp_class_f64_e32 vcc, v[4:5], v1
	s_movk_i32 s2, 0x7fff
	s_and_b32 s12, s73, 0xff
	v_cndmask_b32_e32 v3, v5, v3, vcc
	v_cndmask_b32_e32 v2, v4, v2, vcc
	v_cvt_f32_f64_e32 v1, v[2:3]
	v_bfe_u32 v2, v1, 16, 1
	v_add3_u32 v2, v1, v2, s2
	v_cmp_o_f32_e32 vcc, v1, v1
	v_mov_b32_e32 v1, 0x7fc0
	s_cmp_lt_i32 s12, 11
	v_cndmask_b32_sdwa v2, v1, v2, vcc dst_sel:DWORD dst_unused:UNUSED_PAD src0_sel:DWORD src1_sel:WORD_1
	v_mov_b32_e32 v1, 0
	v_lshl_add_u64 v[0:1], s[20:21], 0, v[0:1]
	s_cbranch_scc1 .LBB209_304
; %bb.297:
	s_and_b32 s13, 0xffff, s12
	s_cmp_gt_i32 s13, 25
	s_cbranch_scc0 .LBB209_306
; %bb.298:
	s_cmp_gt_i32 s13, 28
	s_cbranch_scc0 .LBB209_308
; %bb.299:
	;; [unrolled: 3-line block ×4, first 2 shown]
	s_mov_b64 s[8:9], 0
	s_mov_b64 s[2:3], -1
	s_cmp_eq_u32 s13, 46
	s_mov_b64 s[6:7], 0
	s_cbranch_scc0 .LBB209_320
; %bb.302:
	v_and_b32_e32 v3, 0xffff, v2
	global_store_dword v[0:1], v3, off
	s_mov_b64 s[6:7], -1
	s_mov_b64 s[2:3], 0
	s_branch .LBB209_320
.LBB209_303:
	s_mov_b64 s[6:7], -1
	s_mov_b64 s[2:3], 0
	s_mov_b64 s[4:5], s[56:57]
                                        ; implicit-def: $vgpr1
	s_branch .LBB209_457
.LBB209_304:
	s_mov_b64 s[8:9], -1
	s_mov_b64 s[6:7], 0
	s_mov_b64 s[2:3], s[54:55]
	s_branch .LBB209_389
.LBB209_305:
	s_mov_b64 s[6:7], -1
	s_mov_b64 s[2:3], 0
	s_mov_b64 s[4:5], s[56:57]
                                        ; implicit-def: $vgpr1
	s_branch .LBB209_438
.LBB209_306:
	s_mov_b64 s[8:9], -1
	s_mov_b64 s[6:7], 0
	s_mov_b64 s[2:3], s[54:55]
	s_branch .LBB209_347
.LBB209_307:
	s_mov_b64 s[6:7], -1
	s_mov_b64 s[2:3], 0
	s_mov_b64 s[4:5], s[56:57]
                                        ; implicit-def: $vgpr1
	s_branch .LBB209_433
.LBB209_308:
	s_mov_b64 s[8:9], -1
	s_mov_b64 s[6:7], 0
	s_mov_b64 s[2:3], s[54:55]
	s_branch .LBB209_330
.LBB209_309:
	s_andn2_saveexec_b64 s[10:11], s[10:11]
	s_cbranch_execz .LBB209_69
.LBB209_310:
	s_mov_b32 s14, 0x46000000
	v_add_f32_e64 v4, |v5|, s14
	v_and_b32_e32 v4, 0xff, v4
	v_cmp_ne_u32_e32 vcc, 0, v4
	s_andn2_b64 s[8:9], s[8:9], exec
	s_and_b64 s[14:15], vcc, exec
	s_or_b64 s[8:9], s[8:9], s[14:15]
	s_or_b64 exec, exec, s[10:11]
	v_mov_b32_e32 v6, 0
	s_and_saveexec_b64 s[10:11], s[8:9]
	s_cbranch_execnz .LBB209_70
	s_branch .LBB209_71
.LBB209_311:
	s_mov_b64 s[6:7], -1
	s_mov_b64 s[2:3], 0
	s_mov_b64 s[4:5], s[56:57]
                                        ; implicit-def: $vgpr1
	s_branch .LBB209_316
.LBB209_312:
	s_mov_b64 s[8:9], -1
	s_mov_b64 s[6:7], 0
	s_mov_b64 s[2:3], s[54:55]
	s_branch .LBB209_326
.LBB209_313:
	s_andn2_saveexec_b64 s[10:11], s[10:11]
	s_cbranch_execz .LBB209_82
.LBB209_314:
	s_mov_b32 s14, 0x42800000
	v_add_f32_e64 v4, |v5|, s14
	v_and_b32_e32 v4, 0xff, v4
	v_cmp_ne_u32_e32 vcc, 0, v4
	s_andn2_b64 s[8:9], s[8:9], exec
	s_and_b64 s[14:15], vcc, exec
	s_or_b64 s[8:9], s[8:9], s[14:15]
	s_or_b64 exec, exec, s[10:11]
	v_mov_b32_e32 v6, 0
	s_and_saveexec_b64 s[10:11], s[8:9]
	s_cbranch_execnz .LBB209_83
	s_branch .LBB209_84
.LBB209_315:
	s_mov_b64 s[4:5], -1
                                        ; implicit-def: $vgpr1
	s_mov_b64 s[2:3], 0
.LBB209_316:
	s_and_b64 vcc, exec, s[6:7]
	s_cbranch_vccz .LBB209_432
; %bb.317:
	s_cmp_eq_u32 s10, 44
	s_cbranch_scc0 .LBB209_431
; %bb.318:
	global_load_ubyte v1, v[2:3], off
	s_movk_i32 s4, 0xff
	v_mov_b32_e32 v4, 0x7f800001
	v_mov_b32_e32 v5, 0x400000
	;; [unrolled: 1-line block ×3, first 2 shown]
	s_mov_b64 s[2:3], -1
	s_waitcnt vmcnt(0)
	v_lshlrev_b32_e32 v7, 23, v1
	v_cmp_ne_u32_e32 vcc, s4, v1
	s_mov_b64 s[4:5], 0
	s_nop 0
	v_cndmask_b32_e32 v4, v4, v7, vcc
	v_cmp_ne_u32_e32 vcc, 0, v1
	s_nop 1
	v_cndmask_b32_e32 v1, v5, v4, vcc
	v_add_u32_e32 v4, 0x7fff, v1
	v_cmp_o_f32_e32 vcc, v1, v1
	s_nop 1
	v_cndmask_b32_sdwa v1, v6, v4, vcc dst_sel:DWORD dst_unused:UNUSED_PAD src0_sel:DWORD src1_sel:WORD_1
	s_branch .LBB209_432
.LBB209_319:
	s_mov_b64 s[8:9], -1
	s_mov_b64 s[6:7], 0
	s_mov_b64 s[2:3], s[54:55]
.LBB209_320:
	s_and_b64 vcc, exec, s[8:9]
	s_cbranch_vccz .LBB209_325
; %bb.321:
	s_cmp_eq_u32 s13, 44
	s_mov_b64 s[2:3], -1
	s_cbranch_scc0 .LBB209_325
; %bb.322:
	v_and_b32_e32 v4, 0xffff, v2
	v_bfe_u32 v3, v4, 7, 8
	s_movk_i32 s2, 0xff
	v_cmp_ne_u32_e32 vcc, s2, v3
	v_mov_b32_e32 v5, 0xff
	s_and_saveexec_b64 s[6:7], vcc
	s_cbranch_execz .LBB209_324
; %bb.323:
	v_lshlrev_b32_e32 v6, 16, v4
	s_mov_b32 s2, 0x3f0000
	v_lshrrev_b32_e32 v5, 7, v4
	v_and_b32_e32 v4, 64, v4
	v_and_or_b32 v3, v6, s2, v3
	v_cmp_ne_u32_e32 vcc, 0, v4
	v_cmp_ne_u32_e64 s[2:3], 0, v3
	s_and_b64 s[2:3], vcc, s[2:3]
	s_nop 0
	v_cndmask_b32_e64 v3, 0, 1, s[2:3]
	v_add_u32_e32 v5, v5, v3
.LBB209_324:
	s_or_b64 exec, exec, s[6:7]
	s_mov_b64 s[6:7], -1
	s_mov_b64 s[2:3], 0
	global_store_byte v[0:1], v5, off
.LBB209_325:
	s_mov_b64 s[8:9], 0
.LBB209_326:
	s_and_b64 vcc, exec, s[8:9]
	s_cbranch_vccz .LBB209_329
; %bb.327:
	s_cmp_eq_u32 s13, 29
	s_mov_b64 s[2:3], -1
	s_cbranch_scc0 .LBB209_329
; %bb.328:
	v_lshlrev_b32_e32 v3, 16, v2
	v_trunc_f32_e32 v3, v3
	v_mul_f32_e32 v4, 0x2f800000, v3
	v_floor_f32_e32 v4, v4
	v_fmamk_f32 v3, v4, 0xcf800000, v3
	v_cvt_u32_f32_e32 v5, v4
	v_cvt_u32_f32_e32 v4, v3
	s_mov_b64 s[6:7], -1
	s_mov_b64 s[2:3], 0
	s_mov_b64 s[8:9], 0
	global_store_dwordx2 v[0:1], v[4:5], off
	s_branch .LBB209_330
.LBB209_329:
	s_mov_b64 s[8:9], 0
.LBB209_330:
	s_and_b64 vcc, exec, s[8:9]
	s_cbranch_vccz .LBB209_346
; %bb.331:
	s_cmp_lt_i32 s13, 27
	s_mov_b64 s[6:7], -1
	s_cbranch_scc1 .LBB209_337
; %bb.332:
	s_cmp_gt_i32 s13, 27
	s_cbranch_scc0 .LBB209_334
; %bb.333:
	v_lshlrev_b32_e32 v3, 16, v2
	v_cvt_u32_f32_e32 v3, v3
	s_mov_b64 s[6:7], 0
	global_store_dword v[0:1], v3, off
.LBB209_334:
	s_andn2_b64 vcc, exec, s[6:7]
	s_cbranch_vccnz .LBB209_336
; %bb.335:
	v_lshlrev_b32_e32 v3, 16, v2
	v_cvt_u32_f32_e32 v3, v3
	global_store_short v[0:1], v3, off
.LBB209_336:
	s_mov_b64 s[6:7], 0
.LBB209_337:
	s_andn2_b64 vcc, exec, s[6:7]
	s_cbranch_vccnz .LBB209_345
; %bb.338:
	v_lshlrev_b32_e32 v5, 16, v2
	v_and_b32_e32 v4, 0x7fffffff, v5
	s_mov_b32 s6, 0x43800000
	v_cmp_gt_u32_e32 vcc, s6, v4
	v_mov_b32_e32 v6, 0x80
	s_and_saveexec_b64 s[6:7], vcc
	s_cbranch_execz .LBB209_344
; %bb.339:
	s_mov_b32 s8, 0x3bffffff
	v_and_b32_e32 v3, 0xffff, v2
	v_cmp_lt_u32_e32 vcc, s8, v4
	s_mov_b64 s[8:9], 0
                                        ; implicit-def: $vgpr4
	s_and_saveexec_b64 s[10:11], vcc
	s_xor_b64 s[10:11], exec, s[10:11]
	s_cbranch_execz .LBB209_573
; %bb.340:
	v_bfe_u32 v4, v3, 4, 1
	s_mov_b32 s14, 0x487ffff
	v_add3_u32 v4, v5, v4, s14
	s_mov_b64 s[8:9], exec
	v_lshrrev_b32_e32 v4, 20, v4
                                        ; implicit-def: $vgpr5
	s_andn2_saveexec_b64 s[10:11], s[10:11]
	s_cbranch_execnz .LBB209_574
.LBB209_341:
	s_or_b64 exec, exec, s[10:11]
	v_mov_b32_e32 v6, 0
	s_and_saveexec_b64 s[10:11], s[8:9]
.LBB209_342:
	v_lshrrev_b32_e32 v3, 8, v3
	s_movk_i32 s8, 0x80
	v_and_or_b32 v6, v3, s8, v4
.LBB209_343:
	s_or_b64 exec, exec, s[10:11]
.LBB209_344:
	s_or_b64 exec, exec, s[6:7]
	global_store_byte v[0:1], v6, off
.LBB209_345:
	s_mov_b64 s[6:7], -1
.LBB209_346:
	s_mov_b64 s[8:9], 0
.LBB209_347:
	s_and_b64 vcc, exec, s[8:9]
	s_cbranch_vccz .LBB209_388
; %bb.348:
	s_cmp_gt_i32 s13, 22
	s_mov_b64 s[8:9], -1
	s_cbranch_scc0 .LBB209_380
; %bb.349:
	s_cmp_lt_i32 s13, 24
	s_mov_b64 s[6:7], -1
	s_cbranch_scc1 .LBB209_369
; %bb.350:
	s_cmp_gt_i32 s13, 24
	s_cbranch_scc0 .LBB209_358
; %bb.351:
	v_lshlrev_b32_e32 v5, 16, v2
	v_and_b32_e32 v4, 0x7fffffff, v5
	s_mov_b32 s6, 0x47800000
	v_cmp_gt_u32_e32 vcc, s6, v4
	v_mov_b32_e32 v6, 0x80
	s_and_saveexec_b64 s[6:7], vcc
	s_cbranch_execz .LBB209_357
; %bb.352:
	s_mov_b32 s8, 0x37ffffff
	v_and_b32_e32 v3, 0xffff, v2
	v_cmp_lt_u32_e32 vcc, s8, v4
	s_mov_b64 s[8:9], 0
                                        ; implicit-def: $vgpr4
	s_and_saveexec_b64 s[10:11], vcc
	s_xor_b64 s[10:11], exec, s[10:11]
	s_cbranch_execz .LBB209_576
; %bb.353:
	v_bfe_u32 v4, v3, 5, 1
	s_mov_b32 s14, 0x88fffff
	v_add3_u32 v4, v5, v4, s14
	s_mov_b64 s[8:9], exec
	v_lshrrev_b32_e32 v4, 21, v4
                                        ; implicit-def: $vgpr5
	s_andn2_saveexec_b64 s[10:11], s[10:11]
	s_cbranch_execnz .LBB209_577
.LBB209_354:
	s_or_b64 exec, exec, s[10:11]
	v_mov_b32_e32 v6, 0
	s_and_saveexec_b64 s[10:11], s[8:9]
.LBB209_355:
	v_lshrrev_b32_e32 v3, 8, v3
	s_movk_i32 s8, 0x80
	v_and_or_b32 v6, v3, s8, v4
.LBB209_356:
	s_or_b64 exec, exec, s[10:11]
.LBB209_357:
	s_or_b64 exec, exec, s[6:7]
	s_mov_b64 s[6:7], 0
	global_store_byte v[0:1], v6, off
.LBB209_358:
	s_and_b64 vcc, exec, s[6:7]
	s_cbranch_vccz .LBB209_368
; %bb.359:
	v_lshlrev_b32_e32 v5, 16, v2
	v_and_b32_e32 v6, 0x7fffffff, v5
	s_mov_b32 s6, 0x43f00000
	v_and_b32_e32 v3, 0xffff, v2
	v_cmp_gt_u32_e32 vcc, s6, v6
                                        ; implicit-def: $vgpr4
	s_and_saveexec_b64 s[6:7], vcc
	s_xor_b64 s[6:7], exec, s[6:7]
	s_cbranch_execz .LBB209_365
; %bb.360:
	s_mov_b32 s8, 0x3c7fffff
	v_cmp_lt_u32_e32 vcc, s8, v6
                                        ; implicit-def: $vgpr4
	s_and_saveexec_b64 s[8:9], vcc
	s_xor_b64 s[8:9], exec, s[8:9]
; %bb.361:
	v_bfe_u32 v4, v3, 4, 1
	s_mov_b32 s10, 0x407ffff
	v_add3_u32 v4, v5, v4, s10
	v_lshrrev_b32_e32 v5, 20, v4
	v_and_b32_e32 v4, 0xff00000, v4
	s_mov_b32 s10, 0x7f00000
	v_mov_b32_e32 v6, 0x7e
	v_cmp_ne_u32_e32 vcc, s10, v4
	s_nop 1
	v_cndmask_b32_e32 v4, v6, v5, vcc
                                        ; implicit-def: $vgpr5
; %bb.362:
	s_andn2_saveexec_b64 s[8:9], s[8:9]
; %bb.363:
	s_mov_b32 s10, 0x46800000
	v_add_f32_e64 v4, |v5|, s10
; %bb.364:
	s_or_b64 exec, exec, s[8:9]
                                        ; implicit-def: $vgpr6
.LBB209_365:
	s_andn2_saveexec_b64 s[6:7], s[6:7]
; %bb.366:
	s_mov_b32 s8, 0x7f800000
	v_mov_b32_e32 v4, 0x7e
	v_mov_b32_e32 v5, 0x7f
	v_cmp_lt_u32_e32 vcc, s8, v6
	s_nop 1
	v_cndmask_b32_e32 v4, v4, v5, vcc
; %bb.367:
	s_or_b64 exec, exec, s[6:7]
	v_lshrrev_b32_e32 v3, 8, v3
	s_movk_i32 s6, 0x80
	v_and_or_b32 v3, v3, s6, v4
	global_store_byte v[0:1], v3, off
.LBB209_368:
	s_mov_b64 s[6:7], 0
.LBB209_369:
	s_andn2_b64 vcc, exec, s[6:7]
	s_cbranch_vccnz .LBB209_379
; %bb.370:
	v_lshlrev_b32_e32 v5, 16, v2
	v_and_b32_e32 v6, 0x7fffffff, v5
	s_mov_b32 s6, 0x47800000
	v_and_b32_e32 v3, 0xffff, v2
	v_cmp_gt_u32_e32 vcc, s6, v6
                                        ; implicit-def: $vgpr4
	s_and_saveexec_b64 s[6:7], vcc
	s_xor_b64 s[6:7], exec, s[6:7]
	s_cbranch_execz .LBB209_376
; %bb.371:
	s_mov_b32 s8, 0x387fffff
	v_cmp_lt_u32_e32 vcc, s8, v6
                                        ; implicit-def: $vgpr4
	s_and_saveexec_b64 s[8:9], vcc
	s_xor_b64 s[8:9], exec, s[8:9]
; %bb.372:
	v_bfe_u32 v4, v3, 5, 1
	s_mov_b32 s10, 0x80fffff
	v_add3_u32 v4, v5, v4, s10
	v_lshrrev_b32_e32 v4, 21, v4
                                        ; implicit-def: $vgpr5
; %bb.373:
	s_andn2_saveexec_b64 s[8:9], s[8:9]
; %bb.374:
	s_mov_b32 s10, 0x43000000
	v_add_f32_e64 v4, |v5|, s10
; %bb.375:
	s_or_b64 exec, exec, s[8:9]
                                        ; implicit-def: $vgpr6
.LBB209_376:
	s_andn2_saveexec_b64 s[6:7], s[6:7]
; %bb.377:
	s_mov_b32 s8, 0x7f800000
	v_mov_b32_e32 v4, 0x7c
	v_mov_b32_e32 v5, 0x7f
	v_cmp_lt_u32_e32 vcc, s8, v6
	s_nop 1
	v_cndmask_b32_e32 v4, v4, v5, vcc
; %bb.378:
	s_or_b64 exec, exec, s[6:7]
	v_lshrrev_b32_e32 v3, 8, v3
	s_movk_i32 s6, 0x80
	v_and_or_b32 v3, v3, s6, v4
	global_store_byte v[0:1], v3, off
.LBB209_379:
	s_mov_b64 s[8:9], 0
	s_mov_b64 s[6:7], -1
.LBB209_380:
	s_andn2_b64 vcc, exec, s[8:9]
	s_cbranch_vccnz .LBB209_388
; %bb.381:
	s_cmp_gt_i32 s13, 14
	s_mov_b64 s[8:9], -1
	s_cbranch_scc0 .LBB209_385
; %bb.382:
	s_cmp_eq_u32 s13, 15
	s_mov_b64 s[2:3], -1
	s_cbranch_scc0 .LBB209_384
; %bb.383:
	global_store_short v[0:1], v2, off
	s_mov_b64 s[6:7], -1
	s_mov_b64 s[2:3], 0
.LBB209_384:
	s_mov_b64 s[8:9], 0
.LBB209_385:
	s_and_b64 vcc, exec, s[8:9]
	s_cbranch_vccz .LBB209_388
; %bb.386:
	s_cmp_eq_u32 s13, 11
	s_mov_b64 s[2:3], -1
	s_cbranch_scc0 .LBB209_388
; %bb.387:
	v_and_b32_e32 v3, 0x7fff, v2
	v_cmp_ne_u16_e32 vcc, 0, v3
	s_mov_b64 s[6:7], -1
	s_mov_b64 s[2:3], 0
	v_cndmask_b32_e64 v3, 0, 1, vcc
	global_store_byte v[0:1], v3, off
.LBB209_388:
	s_mov_b64 s[8:9], 0
.LBB209_389:
	s_and_b64 vcc, exec, s[8:9]
	s_cbranch_vccz .LBB209_428
; %bb.390:
	s_and_b32 s8, 0xffff, s12
	s_cmp_lt_i32 s8, 5
	s_mov_b64 s[6:7], -1
	s_cbranch_scc1 .LBB209_411
; %bb.391:
	s_cmp_lt_i32 s8, 8
	s_cbranch_scc1 .LBB209_401
; %bb.392:
	s_cmp_lt_i32 s8, 9
	s_cbranch_scc1 .LBB209_398
; %bb.393:
	s_cmp_gt_i32 s8, 9
	s_cbranch_scc0 .LBB209_395
; %bb.394:
	v_lshlrev_b32_e32 v3, 16, v2
	v_mov_b32_e32 v6, 0
	v_cvt_f64_f32_e32 v[4:5], v3
	v_mov_b32_e32 v7, v6
	s_mov_b64 s[6:7], 0
	global_store_dwordx4 v[0:1], v[4:7], off
.LBB209_395:
	s_andn2_b64 vcc, exec, s[6:7]
	s_cbranch_vccnz .LBB209_397
; %bb.396:
	v_lshlrev_b32_e32 v4, 16, v2
	v_mov_b32_e32 v5, 0
	global_store_dwordx2 v[0:1], v[4:5], off
.LBB209_397:
	s_mov_b64 s[6:7], 0
.LBB209_398:
	s_andn2_b64 vcc, exec, s[6:7]
	s_cbranch_vccnz .LBB209_400
; %bb.399:
	v_lshlrev_b32_e32 v3, 16, v2
	v_cvt_f16_f32_e32 v3, v3
	global_store_dword v[0:1], v3, off
.LBB209_400:
	s_mov_b64 s[6:7], 0
.LBB209_401:
	s_andn2_b64 vcc, exec, s[6:7]
	s_cbranch_vccnz .LBB209_410
; %bb.402:
	s_cmp_lt_i32 s8, 6
	s_mov_b64 s[6:7], -1
	s_cbranch_scc1 .LBB209_408
; %bb.403:
	s_cmp_gt_i32 s8, 6
	s_cbranch_scc0 .LBB209_405
; %bb.404:
	v_lshlrev_b32_e32 v3, 16, v2
	v_cvt_f64_f32_e32 v[4:5], v3
	s_mov_b64 s[6:7], 0
	global_store_dwordx2 v[0:1], v[4:5], off
.LBB209_405:
	s_andn2_b64 vcc, exec, s[6:7]
	s_cbranch_vccnz .LBB209_407
; %bb.406:
	v_lshlrev_b32_e32 v3, 16, v2
	global_store_dword v[0:1], v3, off
.LBB209_407:
	s_mov_b64 s[6:7], 0
.LBB209_408:
	s_andn2_b64 vcc, exec, s[6:7]
	s_cbranch_vccnz .LBB209_410
; %bb.409:
	v_lshlrev_b32_e32 v3, 16, v2
	v_cvt_f16_f32_e32 v3, v3
	global_store_short v[0:1], v3, off
.LBB209_410:
	s_mov_b64 s[6:7], 0
.LBB209_411:
	s_andn2_b64 vcc, exec, s[6:7]
	s_cbranch_vccnz .LBB209_427
; %bb.412:
	s_cmp_lt_i32 s8, 2
	s_mov_b64 s[6:7], -1
	s_cbranch_scc1 .LBB209_422
; %bb.413:
	s_cmp_lt_i32 s8, 3
	s_cbranch_scc1 .LBB209_419
; %bb.414:
	s_cmp_gt_i32 s8, 3
	s_cbranch_scc0 .LBB209_416
; %bb.415:
	v_lshlrev_b32_e32 v3, 16, v2
	v_trunc_f32_e32 v3, v3
	s_mov_b32 s6, 0x2f800000
	v_mul_f32_e64 v4, |v3|, s6
	v_floor_f32_e32 v4, v4
	s_mov_b32 s6, 0xcf800000
	v_cvt_u32_f32_e32 v5, v4
	v_fma_f32 v4, v4, s6, |v3|
	v_cvt_u32_f32_e32 v4, v4
	v_ashrrev_i32_e32 v3, 31, v3
	v_xor_b32_e32 v5, v5, v3
	s_mov_b64 s[6:7], 0
	v_xor_b32_e32 v4, v4, v3
	v_sub_co_u32_e32 v4, vcc, v4, v3
	s_nop 1
	v_subb_co_u32_e32 v5, vcc, v5, v3, vcc
	global_store_dwordx2 v[0:1], v[4:5], off
.LBB209_416:
	s_andn2_b64 vcc, exec, s[6:7]
	s_cbranch_vccnz .LBB209_418
; %bb.417:
	v_lshlrev_b32_e32 v3, 16, v2
	v_cvt_i32_f32_e32 v3, v3
	global_store_dword v[0:1], v3, off
.LBB209_418:
	s_mov_b64 s[6:7], 0
.LBB209_419:
	s_andn2_b64 vcc, exec, s[6:7]
	s_cbranch_vccnz .LBB209_421
; %bb.420:
	v_lshlrev_b32_e32 v3, 16, v2
	v_cvt_i32_f32_e32 v3, v3
	global_store_short v[0:1], v3, off
.LBB209_421:
	s_mov_b64 s[6:7], 0
.LBB209_422:
	s_andn2_b64 vcc, exec, s[6:7]
	s_cbranch_vccnz .LBB209_427
; %bb.423:
	s_mov_b64 s[6:7], -1
	s_cmp_gt_i32 s8, 0
	v_lshlrev_b32_e32 v2, 16, v2
	s_cbranch_scc0 .LBB209_425
; %bb.424:
	v_cvt_i32_f32_e32 v3, v2
	s_mov_b64 s[6:7], 0
	global_store_byte v[0:1], v3, off
.LBB209_425:
	s_andn2_b64 vcc, exec, s[6:7]
	s_cbranch_vccnz .LBB209_427
; %bb.426:
	v_trunc_f32_e32 v2, v2
	s_mov_b32 s6, 0x2f800000
	v_mul_f32_e64 v3, |v2|, s6
	v_floor_f32_e32 v3, v3
	s_mov_b32 s6, 0xcf800000
	v_fma_f32 v3, v3, s6, |v2|
	v_cvt_u32_f32_e32 v3, v3
	v_ashrrev_i32_e32 v2, 31, v2
	v_xor_b32_e32 v3, v3, v2
	v_sub_u32_e32 v2, v3, v2
	global_store_byte v[0:1], v2, off
.LBB209_427:
	s_mov_b64 s[6:7], -1
.LBB209_428:
	s_andn2_b64 vcc, exec, s[6:7]
	s_cbranch_vccnz .LBB209_430
; %bb.429:
	v_add_u32_e32 v8, 0x80, v8
	s_mov_b64 s[6:7], -1
	s_branch .LBB209_543
.LBB209_430:
	s_mov_b64 s[6:7], 0
	s_branch .LBB209_542
.LBB209_431:
	s_mov_b64 s[4:5], -1
                                        ; implicit-def: $vgpr1
.LBB209_432:
	s_mov_b64 s[6:7], 0
.LBB209_433:
	s_and_b64 vcc, exec, s[6:7]
	s_cbranch_vccz .LBB209_437
; %bb.434:
	s_cmp_eq_u32 s10, 29
	s_cbranch_scc0 .LBB209_436
; %bb.435:
	global_load_dwordx2 v[4:5], v[2:3], off
	s_movk_i32 s4, 0x7fff
	s_mov_b64 s[2:3], -1
	s_mov_b64 s[6:7], 0
	s_waitcnt vmcnt(0)
	v_ffbh_u32_e32 v1, v5
	v_min_u32_e32 v1, 32, v1
	v_lshlrev_b64 v[4:5], v1, v[4:5]
	v_min_u32_e32 v4, 1, v4
	v_or_b32_e32 v4, v5, v4
	v_cvt_f32_u32_e32 v4, v4
	v_sub_u32_e32 v1, 32, v1
	v_ldexp_f32 v1, v4, v1
	v_bfe_u32 v4, v1, 16, 1
	v_add3_u32 v1, v1, v4, s4
	v_lshrrev_b32_e32 v1, 16, v1
	s_mov_b64 s[4:5], 0
	s_branch .LBB209_438
.LBB209_436:
	s_mov_b64 s[4:5], -1
                                        ; implicit-def: $vgpr1
.LBB209_437:
	s_mov_b64 s[6:7], 0
.LBB209_438:
	s_and_b64 vcc, exec, s[6:7]
	s_cbranch_vccz .LBB209_456
; %bb.439:
	s_cmp_lt_i32 s10, 27
	s_cbranch_scc1 .LBB209_442
; %bb.440:
	s_cmp_gt_i32 s10, 27
	s_cbranch_scc0 .LBB209_443
; %bb.441:
	global_load_dword v1, v[2:3], off
	s_movk_i32 s2, 0x7fff
	s_waitcnt vmcnt(0)
	v_cvt_f32_u32_e32 v1, v1
	v_bfe_u32 v4, v1, 16, 1
	v_add3_u32 v1, v1, v4, s2
	v_lshrrev_b32_e32 v1, 16, v1
	s_mov_b64 s[2:3], 0
	s_branch .LBB209_444
.LBB209_442:
	s_mov_b64 s[2:3], -1
                                        ; implicit-def: $vgpr1
	s_branch .LBB209_447
.LBB209_443:
	s_mov_b64 s[2:3], -1
                                        ; implicit-def: $vgpr1
.LBB209_444:
	s_andn2_b64 vcc, exec, s[2:3]
	s_cbranch_vccnz .LBB209_446
; %bb.445:
	global_load_ushort v1, v[2:3], off
	s_movk_i32 s2, 0x7fff
	s_waitcnt vmcnt(0)
	v_cvt_f32_u32_e32 v1, v1
	v_bfe_u32 v4, v1, 16, 1
	v_add3_u32 v1, v1, v4, s2
	v_lshrrev_b32_e32 v1, 16, v1
.LBB209_446:
	s_mov_b64 s[2:3], 0
.LBB209_447:
	s_andn2_b64 vcc, exec, s[2:3]
	s_cbranch_vccnz .LBB209_455
; %bb.448:
	global_load_ubyte v1, v[2:3], off
	s_movk_i32 s2, 0x7f
	s_waitcnt vmcnt(0)
	v_cmp_lt_i16_e32 vcc, s2, v1
	s_mov_b64 s[2:3], 0
	s_and_saveexec_b64 s[6:7], vcc
	s_xor_b64 s[6:7], exec, s[6:7]
	s_cbranch_execz .LBB209_469
; %bb.449:
	s_movk_i32 s2, 0x80
	v_cmp_eq_u16_e32 vcc, s2, v1
	s_mov_b64 s[2:3], -1
	s_and_saveexec_b64 s[8:9], vcc
; %bb.450:
	s_xor_b64 s[2:3], exec, -1
; %bb.451:
	s_or_b64 exec, exec, s[8:9]
	s_and_b64 s[2:3], s[2:3], exec
	s_or_saveexec_b64 s[6:7], s[6:7]
	v_mov_b32_e32 v4, 0x7f800001
	s_xor_b64 exec, exec, s[6:7]
	s_cbranch_execnz .LBB209_470
.LBB209_452:
	s_or_b64 exec, exec, s[6:7]
	s_and_saveexec_b64 s[6:7], s[2:3]
	s_cbranch_execz .LBB209_454
.LBB209_453:
	v_lshlrev_b32_e32 v4, 24, v1
	v_and_b32_e32 v1, 0xffff, v1
	v_and_b32_e32 v5, 7, v1
	v_ffbh_u32_e32 v7, v5
	v_min_u32_e32 v7, 32, v7
	v_subrev_u32_e32 v9, 28, v7
	v_bfe_u32 v6, v1, 3, 4
	v_lshlrev_b32_e32 v1, v9, v1
	v_sub_u32_e32 v7, 29, v7
	v_and_b32_e32 v1, 7, v1
	v_cmp_eq_u32_e32 vcc, 0, v6
	v_and_b32_e32 v4, 0x80000000, v4
	s_nop 0
	v_cndmask_b32_e32 v6, v6, v7, vcc
	v_cndmask_b32_e32 v1, v5, v1, vcc
	v_mov_b32_e32 v5, 0x3b800000
	v_lshlrev_b32_e32 v1, 20, v1
	v_lshl_add_u32 v5, v6, 23, v5
	v_or3_b32 v4, v4, v5, v1
.LBB209_454:
	s_or_b64 exec, exec, s[6:7]
	v_bfe_u32 v1, v4, 16, 1
	s_movk_i32 s2, 0x7fff
	v_add3_u32 v1, v4, v1, s2
	v_cmp_o_f32_e32 vcc, v4, v4
	v_mov_b32_e32 v4, 0x7fc0
	s_nop 0
	v_cndmask_b32_sdwa v1, v4, v1, vcc dst_sel:DWORD dst_unused:UNUSED_PAD src0_sel:DWORD src1_sel:WORD_1
.LBB209_455:
	s_mov_b64 s[2:3], -1
.LBB209_456:
	s_mov_b64 s[6:7], 0
.LBB209_457:
	s_and_b64 vcc, exec, s[6:7]
	s_cbranch_vccz .LBB209_492
; %bb.458:
	s_cmp_gt_i32 s10, 22
	s_cbranch_scc0 .LBB209_468
; %bb.459:
	s_cmp_lt_i32 s10, 24
	s_cbranch_scc1 .LBB209_471
; %bb.460:
	s_cmp_gt_i32 s10, 24
	s_cbranch_scc0 .LBB209_472
; %bb.461:
	global_load_ubyte v1, v[2:3], off
	s_movk_i32 s2, 0x7f
	s_waitcnt vmcnt(0)
	v_cmp_lt_i16_e32 vcc, s2, v1
	s_mov_b64 s[2:3], 0
	s_and_saveexec_b64 s[6:7], vcc
	s_xor_b64 s[6:7], exec, s[6:7]
	s_cbranch_execz .LBB209_484
; %bb.462:
	s_movk_i32 s2, 0x80
	v_cmp_eq_u16_e32 vcc, s2, v1
	s_mov_b64 s[2:3], -1
	s_and_saveexec_b64 s[8:9], vcc
; %bb.463:
	s_xor_b64 s[2:3], exec, -1
; %bb.464:
	s_or_b64 exec, exec, s[8:9]
	s_and_b64 s[2:3], s[2:3], exec
	s_or_saveexec_b64 s[6:7], s[6:7]
	v_mov_b32_e32 v4, 0x7f800001
	s_xor_b64 exec, exec, s[6:7]
	s_cbranch_execnz .LBB209_485
.LBB209_465:
	s_or_b64 exec, exec, s[6:7]
	s_and_saveexec_b64 s[6:7], s[2:3]
	s_cbranch_execz .LBB209_467
.LBB209_466:
	v_lshlrev_b32_e32 v4, 24, v1
	v_and_b32_e32 v1, 0xffff, v1
	v_and_b32_e32 v5, 3, v1
	v_ffbh_u32_e32 v7, v5
	v_min_u32_e32 v7, 32, v7
	v_subrev_u32_e32 v9, 29, v7
	v_bfe_u32 v6, v1, 2, 5
	v_lshlrev_b32_e32 v1, v9, v1
	v_sub_u32_e32 v7, 30, v7
	v_and_b32_e32 v1, 3, v1
	v_cmp_eq_u32_e32 vcc, 0, v6
	v_and_b32_e32 v4, 0x80000000, v4
	s_nop 0
	v_cndmask_b32_e32 v6, v6, v7, vcc
	v_cndmask_b32_e32 v1, v5, v1, vcc
	v_mov_b32_e32 v5, 0x37800000
	v_lshlrev_b32_e32 v1, 21, v1
	v_lshl_add_u32 v5, v6, 23, v5
	v_or3_b32 v4, v4, v5, v1
.LBB209_467:
	s_or_b64 exec, exec, s[6:7]
	v_bfe_u32 v1, v4, 16, 1
	s_movk_i32 s2, 0x7fff
	v_add3_u32 v1, v4, v1, s2
	v_cmp_o_f32_e32 vcc, v4, v4
	v_mov_b32_e32 v4, 0x7fc0
	s_mov_b64 s[2:3], 0
	v_cndmask_b32_sdwa v1, v4, v1, vcc dst_sel:DWORD dst_unused:UNUSED_PAD src0_sel:DWORD src1_sel:WORD_1
	s_branch .LBB209_473
.LBB209_468:
	s_mov_b64 s[6:7], -1
                                        ; implicit-def: $vgpr1
	s_branch .LBB209_479
.LBB209_469:
	s_or_saveexec_b64 s[6:7], s[6:7]
	v_mov_b32_e32 v4, 0x7f800001
	s_xor_b64 exec, exec, s[6:7]
	s_cbranch_execz .LBB209_452
.LBB209_470:
	v_cmp_ne_u16_e32 vcc, 0, v1
	s_andn2_b64 s[2:3], s[2:3], exec
	s_and_b64 s[8:9], vcc, exec
	v_mov_b32_e32 v4, 0
	s_or_b64 s[2:3], s[2:3], s[8:9]
	s_or_b64 exec, exec, s[6:7]
	s_and_saveexec_b64 s[6:7], s[2:3]
	s_cbranch_execnz .LBB209_453
	s_branch .LBB209_454
.LBB209_471:
	s_mov_b64 s[2:3], -1
                                        ; implicit-def: $vgpr1
	s_branch .LBB209_476
.LBB209_472:
	s_mov_b64 s[2:3], -1
                                        ; implicit-def: $vgpr1
.LBB209_473:
	s_and_b64 vcc, exec, s[2:3]
	s_cbranch_vccz .LBB209_475
; %bb.474:
	global_load_ubyte v1, v[2:3], off
	s_mov_b32 s2, 0x7f800000
	s_brev_b32 s3, 1
	s_movk_i32 s6, 0x7fff
	s_waitcnt vmcnt(0)
	v_lshlrev_b32_e32 v1, 24, v1
	v_and_b32_e32 v4, 0x7f000000, v1
	v_ffbh_u32_e32 v5, v4
	v_min_u32_e32 v5, 32, v5
	v_sub_u32_e64 v5, v5, 4 clamp
	v_lshlrev_b32_e32 v7, v5, v4
	v_lshlrev_b32_e32 v5, 23, v5
	v_lshrrev_b32_e32 v7, 4, v7
	v_add_u32_e32 v6, 0x1000000, v4
	v_sub_u32_e32 v5, v7, v5
	v_ashrrev_i32_e32 v6, 8, v6
	v_add_u32_e32 v5, 0x3c000000, v5
	v_and_or_b32 v5, v6, s2, v5
	v_cmp_ne_u32_e32 vcc, 0, v4
	s_nop 1
	v_cndmask_b32_e32 v4, 0, v5, vcc
	v_and_or_b32 v1, v1, s3, v4
	v_bfe_u32 v4, v4, 16, 1
	v_add3_u32 v4, v1, v4, s6
	v_cmp_o_f32_e32 vcc, v1, v1
	v_mov_b32_e32 v1, 0x7fc0
	s_nop 0
	v_cndmask_b32_sdwa v1, v1, v4, vcc dst_sel:DWORD dst_unused:UNUSED_PAD src0_sel:DWORD src1_sel:WORD_1
.LBB209_475:
	s_mov_b64 s[2:3], 0
.LBB209_476:
	s_andn2_b64 vcc, exec, s[2:3]
	s_cbranch_vccnz .LBB209_478
; %bb.477:
	global_load_ubyte v1, v[2:3], off
	s_movk_i32 s2, 0x7f00
	s_brev_b32 s3, 16
	s_brev_b32 s6, 1
	s_movk_i32 s7, 0x7fff
	s_waitcnt vmcnt(0)
	v_lshlrev_b16_e32 v4, 8, v1
	v_lshlrev_b32_e32 v1, 25, v1
	v_lshrrev_b32_e32 v5, 4, v1
	v_and_or_b32 v6, v4, s2, 0.5
	v_or_b32_e32 v5, 0x70000000, v5
	v_add_f32_e32 v6, -0.5, v6
	v_mul_f32_e32 v5, 0x7800000, v5
	v_cmp_gt_u32_e32 vcc, s3, v1
	v_bfe_i32 v4, v4, 0, 16
	s_nop 0
	v_cndmask_b32_e32 v1, v5, v6, vcc
	v_and_or_b32 v4, v4, s6, v1
	v_bfe_u32 v1, v1, 16, 1
	v_add3_u32 v1, v4, v1, s7
	v_cmp_o_f32_e32 vcc, v4, v4
	v_mov_b32_e32 v4, 0x7fc0
	s_nop 0
	v_cndmask_b32_sdwa v1, v4, v1, vcc dst_sel:DWORD dst_unused:UNUSED_PAD src0_sel:DWORD src1_sel:WORD_1
.LBB209_478:
	s_mov_b64 s[6:7], 0
	s_mov_b64 s[2:3], -1
.LBB209_479:
	s_andn2_b64 vcc, exec, s[6:7]
	s_cbranch_vccnz .LBB209_492
; %bb.480:
	s_cmp_gt_i32 s10, 14
	s_cbranch_scc0 .LBB209_483
; %bb.481:
	s_cmp_eq_u32 s10, 15
	s_cbranch_scc0 .LBB209_486
; %bb.482:
	global_load_ushort v1, v[2:3], off
	s_mov_b64 s[2:3], -1
	s_mov_b64 s[4:5], 0
	s_branch .LBB209_487
.LBB209_483:
	s_mov_b64 s[6:7], -1
                                        ; implicit-def: $vgpr1
	s_branch .LBB209_488
.LBB209_484:
	s_or_saveexec_b64 s[6:7], s[6:7]
	v_mov_b32_e32 v4, 0x7f800001
	s_xor_b64 exec, exec, s[6:7]
	s_cbranch_execz .LBB209_465
.LBB209_485:
	v_cmp_ne_u16_e32 vcc, 0, v1
	s_andn2_b64 s[2:3], s[2:3], exec
	s_and_b64 s[8:9], vcc, exec
	v_mov_b32_e32 v4, 0
	s_or_b64 s[2:3], s[2:3], s[8:9]
	s_or_b64 exec, exec, s[6:7]
	s_and_saveexec_b64 s[6:7], s[2:3]
	s_cbranch_execnz .LBB209_466
	s_branch .LBB209_467
.LBB209_486:
	s_mov_b64 s[4:5], -1
                                        ; implicit-def: $vgpr1
.LBB209_487:
	s_mov_b64 s[6:7], 0
.LBB209_488:
	s_and_b64 vcc, exec, s[6:7]
	s_cbranch_vccz .LBB209_492
; %bb.489:
	s_cmp_eq_u32 s10, 11
	s_cbranch_scc0 .LBB209_491
; %bb.490:
	global_load_ubyte v1, v[2:3], off
	s_mov_b64 s[2:3], -1
	s_mov_b64 s[4:5], 0
	s_waitcnt vmcnt(0)
	v_cmp_ne_u16_e32 vcc, 0, v1
	s_nop 1
	v_cndmask_b32_e64 v1, 0, 1.0, vcc
	v_lshrrev_b32_e32 v1, 16, v1
	s_branch .LBB209_492
.LBB209_491:
	s_mov_b64 s[4:5], -1
                                        ; implicit-def: $vgpr1
.LBB209_492:
	s_branch .LBB209_295
.LBB209_493:
	s_cmp_lt_i32 s10, 5
	s_cbranch_scc1 .LBB209_498
; %bb.494:
	s_cmp_lt_i32 s10, 8
	s_cbranch_scc1 .LBB209_499
; %bb.495:
	;; [unrolled: 3-line block ×3, first 2 shown]
	s_cmp_gt_i32 s10, 9
	s_cbranch_scc0 .LBB209_501
; %bb.497:
	global_load_dwordx2 v[4:5], v[2:3], off
	s_movk_i32 s2, 0x7fff
	s_waitcnt vmcnt(1)
	v_mov_b32_e32 v1, 0x7fc0
	s_waitcnt vmcnt(0)
	v_cvt_f32_f64_e32 v4, v[4:5]
	v_bfe_u32 v5, v4, 16, 1
	v_cmp_o_f32_e32 vcc, v4, v4
	v_add3_u32 v4, v4, v5, s2
	s_mov_b64 s[2:3], 0
	v_cndmask_b32_sdwa v1, v1, v4, vcc dst_sel:DWORD dst_unused:UNUSED_PAD src0_sel:DWORD src1_sel:WORD_1
	s_branch .LBB209_502
.LBB209_498:
	s_mov_b64 s[2:3], -1
                                        ; implicit-def: $vgpr1
	s_branch .LBB209_520
.LBB209_499:
	s_mov_b64 s[2:3], -1
                                        ; implicit-def: $vgpr1
	s_branch .LBB209_508
.LBB209_500:
	s_mov_b64 s[2:3], -1
                                        ; implicit-def: $vgpr1
	s_branch .LBB209_505
.LBB209_501:
	s_mov_b64 s[2:3], -1
                                        ; implicit-def: $vgpr1
.LBB209_502:
	s_andn2_b64 vcc, exec, s[2:3]
	s_cbranch_vccnz .LBB209_504
; %bb.503:
	global_load_dword v1, v[2:3], off
	s_movk_i32 s2, 0x7fff
	v_mov_b32_e32 v4, 0x7fc0
	s_waitcnt vmcnt(0)
	v_bfe_u32 v5, v1, 16, 1
	v_cmp_o_f32_e32 vcc, v1, v1
	v_add3_u32 v1, v1, v5, s2
	s_nop 0
	v_cndmask_b32_sdwa v1, v4, v1, vcc dst_sel:DWORD dst_unused:UNUSED_PAD src0_sel:DWORD src1_sel:WORD_1
.LBB209_504:
	s_mov_b64 s[2:3], 0
.LBB209_505:
	s_andn2_b64 vcc, exec, s[2:3]
	s_cbranch_vccnz .LBB209_507
; %bb.506:
	global_load_dword v1, v[2:3], off
	s_movk_i32 s2, 0x7fff
	v_mov_b32_e32 v5, 0x7fc0
	s_waitcnt vmcnt(0)
	v_cvt_f32_f16_e32 v4, v1
	v_cmp_o_f16_e32 vcc, v1, v1
	v_bfe_u32 v1, v4, 16, 1
	v_add3_u32 v1, v4, v1, s2
	v_cndmask_b32_sdwa v1, v5, v1, vcc dst_sel:DWORD dst_unused:UNUSED_PAD src0_sel:DWORD src1_sel:WORD_1
.LBB209_507:
	s_mov_b64 s[2:3], 0
.LBB209_508:
	s_andn2_b64 vcc, exec, s[2:3]
	s_cbranch_vccnz .LBB209_519
; %bb.509:
	s_cmp_lt_i32 s10, 6
	s_cbranch_scc1 .LBB209_512
; %bb.510:
	s_cmp_gt_i32 s10, 6
	s_cbranch_scc0 .LBB209_513
; %bb.511:
	global_load_dwordx2 v[4:5], v[2:3], off
	s_movk_i32 s2, 0x7fff
	s_waitcnt vmcnt(1)
	v_mov_b32_e32 v1, 0x7fc0
	s_waitcnt vmcnt(0)
	v_cvt_f32_f64_e32 v4, v[4:5]
	v_bfe_u32 v5, v4, 16, 1
	v_cmp_o_f32_e32 vcc, v4, v4
	v_add3_u32 v4, v4, v5, s2
	s_mov_b64 s[2:3], 0
	v_cndmask_b32_sdwa v1, v1, v4, vcc dst_sel:DWORD dst_unused:UNUSED_PAD src0_sel:DWORD src1_sel:WORD_1
	s_branch .LBB209_514
.LBB209_512:
	s_mov_b64 s[2:3], -1
                                        ; implicit-def: $vgpr1
	s_branch .LBB209_517
.LBB209_513:
	s_mov_b64 s[2:3], -1
                                        ; implicit-def: $vgpr1
.LBB209_514:
	s_andn2_b64 vcc, exec, s[2:3]
	s_cbranch_vccnz .LBB209_516
; %bb.515:
	global_load_dword v1, v[2:3], off
	s_movk_i32 s2, 0x7fff
	v_mov_b32_e32 v4, 0x7fc0
	s_waitcnt vmcnt(0)
	v_bfe_u32 v5, v1, 16, 1
	v_cmp_o_f32_e32 vcc, v1, v1
	v_add3_u32 v1, v1, v5, s2
	s_nop 0
	v_cndmask_b32_sdwa v1, v4, v1, vcc dst_sel:DWORD dst_unused:UNUSED_PAD src0_sel:DWORD src1_sel:WORD_1
.LBB209_516:
	s_mov_b64 s[2:3], 0
.LBB209_517:
	s_andn2_b64 vcc, exec, s[2:3]
	s_cbranch_vccnz .LBB209_519
; %bb.518:
	global_load_ushort v1, v[2:3], off
	s_movk_i32 s2, 0x7fff
	v_mov_b32_e32 v5, 0x7fc0
	s_waitcnt vmcnt(0)
	v_cvt_f32_f16_e32 v4, v1
	v_cmp_o_f16_e32 vcc, v1, v1
	v_bfe_u32 v1, v4, 16, 1
	v_add3_u32 v1, v4, v1, s2
	v_cndmask_b32_sdwa v1, v5, v1, vcc dst_sel:DWORD dst_unused:UNUSED_PAD src0_sel:DWORD src1_sel:WORD_1
.LBB209_519:
	s_mov_b64 s[2:3], 0
.LBB209_520:
	s_andn2_b64 vcc, exec, s[2:3]
	s_cbranch_vccnz .LBB209_540
; %bb.521:
	s_cmp_lt_i32 s10, 2
	s_cbranch_scc1 .LBB209_525
; %bb.522:
	s_cmp_lt_i32 s10, 3
	s_cbranch_scc1 .LBB209_526
; %bb.523:
	s_cmp_gt_i32 s10, 3
	s_cbranch_scc0 .LBB209_527
; %bb.524:
	global_load_dwordx2 v[4:5], v[2:3], off
	s_movk_i32 s2, 0x7fff
	s_waitcnt vmcnt(0)
	v_xor_b32_e32 v6, v4, v5
	v_ffbh_i32_e32 v1, v5
	v_ashrrev_i32_e32 v6, 31, v6
	v_add_u32_e32 v1, -1, v1
	v_add_u32_e32 v6, 32, v6
	v_min_u32_e32 v1, v1, v6
	v_lshlrev_b64 v[4:5], v1, v[4:5]
	v_min_u32_e32 v4, 1, v4
	v_or_b32_e32 v4, v5, v4
	v_cvt_f32_i32_e32 v4, v4
	v_sub_u32_e32 v1, 32, v1
	v_ldexp_f32 v1, v4, v1
	v_bfe_u32 v4, v1, 16, 1
	v_add3_u32 v1, v1, v4, s2
	v_lshrrev_b32_e32 v1, 16, v1
	s_mov_b64 s[2:3], 0
	s_branch .LBB209_528
.LBB209_525:
	s_mov_b64 s[2:3], -1
                                        ; implicit-def: $vgpr1
	s_branch .LBB209_534
.LBB209_526:
	s_mov_b64 s[2:3], -1
                                        ; implicit-def: $vgpr1
	s_branch .LBB209_531
.LBB209_527:
	s_mov_b64 s[2:3], -1
                                        ; implicit-def: $vgpr1
.LBB209_528:
	s_andn2_b64 vcc, exec, s[2:3]
	s_cbranch_vccnz .LBB209_530
; %bb.529:
	global_load_dword v1, v[2:3], off
	s_movk_i32 s2, 0x7fff
	s_waitcnt vmcnt(0)
	v_cvt_f32_i32_e32 v1, v1
	v_bfe_u32 v4, v1, 16, 1
	v_add3_u32 v1, v1, v4, s2
	v_lshrrev_b32_e32 v1, 16, v1
.LBB209_530:
	s_mov_b64 s[2:3], 0
.LBB209_531:
	s_andn2_b64 vcc, exec, s[2:3]
	s_cbranch_vccnz .LBB209_533
; %bb.532:
	global_load_sshort v1, v[2:3], off
	s_movk_i32 s2, 0x7fff
	s_waitcnt vmcnt(0)
	v_cvt_f32_i32_e32 v1, v1
	v_bfe_u32 v4, v1, 16, 1
	v_add3_u32 v1, v1, v4, s2
	v_lshrrev_b32_e32 v1, 16, v1
.LBB209_533:
	s_mov_b64 s[2:3], 0
.LBB209_534:
	s_andn2_b64 vcc, exec, s[2:3]
	s_cbranch_vccnz .LBB209_540
; %bb.535:
	s_cmp_gt_i32 s10, 0
	s_cbranch_scc0 .LBB209_537
; %bb.536:
	global_load_sbyte v1, v[2:3], off
	s_movk_i32 s2, 0x7fff
	s_waitcnt vmcnt(0)
	v_cvt_f32_i32_e32 v1, v1
	v_bfe_u32 v4, v1, 16, 1
	v_add3_u32 v1, v1, v4, s2
	v_lshrrev_b32_e32 v1, 16, v1
	s_mov_b64 s[2:3], 0
	s_branch .LBB209_538
.LBB209_537:
	s_mov_b64 s[2:3], -1
                                        ; implicit-def: $vgpr1
.LBB209_538:
	s_andn2_b64 vcc, exec, s[2:3]
	s_cbranch_vccnz .LBB209_540
; %bb.539:
	global_load_ubyte v1, v[2:3], off
	s_movk_i32 s2, 0x7fff
	s_waitcnt vmcnt(0)
	v_cvt_f32_ubyte0_e32 v1, v1
	v_bfe_u32 v2, v1, 16, 1
	v_add3_u32 v1, v1, v2, s2
	v_lshrrev_b32_e32 v1, 16, v1
.LBB209_540:
	s_branch .LBB209_296
.LBB209_541:
	s_mov_b64 s[6:7], 0
	s_mov_b64 s[2:3], s[54:55]
.LBB209_542:
                                        ; implicit-def: $vgpr8
.LBB209_543:
	s_andn2_b64 s[8:9], s[54:55], exec
	s_and_b64 s[2:3], s[2:3], exec
	s_or_b64 s[62:63], s[8:9], s[2:3]
	s_andn2_b64 s[2:3], s[56:57], exec
	s_and_b64 s[4:5], s[4:5], exec
	s_or_b64 s[60:61], s[2:3], s[4:5]
	s_orn2_b64 s[2:3], s[6:7], exec
.LBB209_544:
	s_or_b64 exec, exec, s[64:65]
	s_mov_b64 s[4:5], 0
	s_mov_b64 s[6:7], 0
	;; [unrolled: 1-line block ×3, first 2 shown]
                                        ; implicit-def: $vgpr2_vgpr3
                                        ; implicit-def: $vgpr0
                                        ; implicit-def: $vgpr1
	s_and_saveexec_b64 s[64:65], s[2:3]
	s_cbranch_execz .LBB209_921
; %bb.545:
	v_cmp_gt_i32_e32 vcc, s70, v8
	s_mov_b64 s[6:7], -1
	s_mov_b64 s[2:3], s[60:61]
	s_mov_b64 s[68:69], s[62:63]
	s_and_saveexec_b64 s[66:67], vcc
	s_cbranch_execz .LBB209_820
; %bb.546:
	s_andn2_b64 vcc, exec, s[42:43]
	s_cbranch_vccnz .LBB209_552
; %bb.547:
	s_andn2_b64 vcc, exec, s[52:53]
	s_cbranch_vccnz .LBB209_553
; %bb.548:
	s_add_i32 s76, s75, 1
	s_cmp_eq_u32 s72, 2
	s_cbranch_scc1 .LBB209_554
; %bb.549:
	s_and_b32 s71, s76, 28
	s_mov_b32 s77, 0
	v_mov_b32_e32 v0, 0
	v_mov_b32_e32 v2, 0
	s_mov_b64 s[2:3], s[34:35]
	s_mov_b64 s[68:69], s[50:51]
	v_mov_b32_e32 v4, v8
.LBB209_550:                            ; =>This Inner Loop Header: Depth=1
	s_load_dwordx8 s[12:19], s[2:3], 0x4
	s_load_dwordx4 s[36:39], s[2:3], 0x24
	s_load_dwordx8 s[4:11], s[68:69], 0x0
	s_add_u32 s2, s2, 48
	s_addc_u32 s3, s3, 0
	s_waitcnt vmcnt(0) lgkmcnt(0)
	v_mul_hi_u32 v1, s13, v4
	v_add_u32_e32 v1, v4, v1
	v_lshrrev_b32_e32 v1, s14, v1
	v_mul_lo_u32 v3, v1, s12
	v_mul_hi_u32 v5, s16, v1
	v_sub_u32_e32 v3, v4, v3
	v_add_u32_e32 v4, v1, v5
	v_lshrrev_b32_e32 v4, s17, v4
	v_mul_lo_u32 v6, v4, s15
	v_mul_hi_u32 v7, s19, v4
	v_sub_u32_e32 v1, v1, v6
	v_add_u32_e32 v6, v4, v7
	v_mul_lo_u32 v5, v3, s5
	v_mul_lo_u32 v3, v3, s4
	;; [unrolled: 1-line block ×4, first 2 shown]
	v_lshrrev_b32_e32 v6, s36, v6
	v_add3_u32 v0, v3, v0, v1
	v_mul_hi_u32 v3, s38, v6
	v_add3_u32 v1, v5, v2, v7
	v_mul_lo_u32 v2, v6, s18
	v_add_u32_e32 v3, v6, v3
	v_sub_u32_e32 v2, v4, v2
	v_lshrrev_b32_e32 v4, s39, v3
	s_add_i32 s77, s77, 4
	v_mul_lo_u32 v3, v4, s37
	s_add_u32 s68, s68, 32
	v_sub_u32_e32 v3, v6, v3
	s_addc_u32 s69, s69, 0
	v_mul_lo_u32 v5, v2, s8
	v_mul_lo_u32 v2, v2, s9
	;; [unrolled: 1-line block ×4, first 2 shown]
	s_cmp_eq_u32 s71, s77
	v_add3_u32 v2, v2, v1, v3
	v_add3_u32 v0, v5, v0, v6
	s_cbranch_scc0 .LBB209_550
; %bb.551:
	v_mov_b32_e32 v1, v2
	s_branch .LBB209_555
.LBB209_552:
	s_mov_b64 s[2:3], -1
                                        ; implicit-def: $vgpr2
                                        ; implicit-def: $vgpr0
	s_branch .LBB209_559
.LBB209_553:
	v_mov_b32_e32 v2, 0
	v_mov_b32_e32 v0, 0
	s_branch .LBB209_558
.LBB209_554:
	v_mov_b32_e32 v0, 0
	s_mov_b32 s71, 0
	s_waitcnt vmcnt(0)
	v_mov_b32_e32 v1, v0
                                        ; implicit-def: $vgpr2
	v_mov_b32_e32 v4, v8
.LBB209_555:
	s_and_b32 s6, s76, 3
	s_cmp_eq_u32 s6, 0
	s_cbranch_scc1 .LBB209_558
; %bb.556:
	s_lshl_b32 s2, s71, 3
	s_add_u32 s2, s34, s2
	s_addc_u32 s3, s35, 0
	s_add_u32 s2, s2, 0xc4
	s_addc_u32 s3, s3, 0
	s_mul_i32 s4, s71, 12
	s_add_u32 s4, s34, s4
	s_addc_u32 s5, s35, 0
.LBB209_557:                            ; =>This Inner Loop Header: Depth=1
	s_load_dwordx2 s[8:9], s[4:5], 0x4
	s_load_dword s7, s[4:5], 0xc
	s_load_dwordx2 s[10:11], s[2:3], 0x0
	v_mov_b32_e32 v2, v1
	s_add_u32 s4, s4, 12
	s_waitcnt lgkmcnt(0)
	v_mul_hi_u32 v1, s9, v4
	v_add_u32_e32 v1, v4, v1
	v_lshrrev_b32_e32 v1, s7, v1
	s_addc_u32 s5, s5, 0
	v_mul_lo_u32 v3, v1, s8
	s_add_u32 s2, s2, 8
	v_sub_u32_e32 v5, v4, v3
	s_addc_u32 s3, s3, 0
	s_add_i32 s6, s6, -1
	v_mov_b32_e32 v4, v1
	v_mad_u64_u32 v[2:3], s[8:9], v5, s11, v[2:3]
	v_mad_u64_u32 v[0:1], s[8:9], v5, s10, v[0:1]
	s_cmp_lg_u32 s6, 0
	v_mov_b32_e32 v1, v2
	s_cbranch_scc1 .LBB209_557
.LBB209_558:
	s_mov_b64 s[2:3], 0
.LBB209_559:
	s_andn2_b64 vcc, exec, s[2:3]
	s_cbranch_vccnz .LBB209_562
; %bb.560:
	s_waitcnt lgkmcnt(0)
	v_mul_hi_u32 v0, s29, v8
	v_add_u32_e32 v0, v8, v0
	s_waitcnt vmcnt(0)
	v_lshrrev_b32_e32 v1, s30, v0
	v_mul_lo_u32 v0, v1, s28
	v_sub_u32_e32 v0, v8, v0
	v_mul_lo_u32 v2, v0, s25
	s_andn2_b64 vcc, exec, s[48:49]
	v_mul_lo_u32 v0, v0, s24
	s_cbranch_vccnz .LBB209_562
; %bb.561:
	v_mul_hi_u32 v3, s46, v1
	v_add_u32_e32 v3, v1, v3
	v_lshrrev_b32_e32 v3, s47, v3
	v_mul_lo_u32 v3, v3, s31
	v_sub_u32_e32 v3, v1, v3
	v_mad_u64_u32 v[0:1], s[2:3], v3, s26, v[0:1]
	v_mad_u64_u32 v[2:3], s[2:3], v3, s27, v[2:3]
.LBB209_562:
	v_mov_b32_e32 v3, 0
	s_and_b32 s10, 0xffff, s74
	s_cmp_lt_i32 s10, 11
	s_waitcnt lgkmcnt(0)
	v_lshl_add_u64 v[2:3], s[22:23], 0, v[2:3]
	s_cbranch_scc1 .LBB209_569
; %bb.563:
	s_cmp_gt_i32 s10, 25
	s_cbranch_scc0 .LBB209_570
; %bb.564:
	s_cmp_gt_i32 s10, 28
	s_cbranch_scc0 .LBB209_571
	;; [unrolled: 3-line block ×4, first 2 shown]
; %bb.567:
	s_cmp_eq_u32 s10, 46
	s_mov_b64 s[6:7], 0
	s_cbranch_scc0 .LBB209_578
; %bb.568:
	global_load_dword v1, v[2:3], off
	s_mov_b64 s[2:3], -1
	s_mov_b64 s[4:5], 0
	s_branch .LBB209_579
.LBB209_569:
	s_mov_b64 s[6:7], -1
	s_mov_b64 s[2:3], 0
                                        ; implicit-def: $vgpr1
	s_mov_b64 s[4:5], s[60:61]
	s_branch .LBB209_644
.LBB209_570:
	s_mov_b64 s[6:7], -1
	s_mov_b64 s[2:3], 0
	s_mov_b64 s[4:5], s[60:61]
                                        ; implicit-def: $vgpr1
	s_branch .LBB209_608
.LBB209_571:
	s_mov_b64 s[6:7], -1
	s_mov_b64 s[2:3], 0
	s_mov_b64 s[4:5], s[60:61]
                                        ; implicit-def: $vgpr1
	s_branch .LBB209_589
.LBB209_572:
	s_mov_b64 s[6:7], -1
	s_mov_b64 s[2:3], 0
	s_mov_b64 s[4:5], s[60:61]
                                        ; implicit-def: $vgpr1
	s_branch .LBB209_584
.LBB209_573:
	s_andn2_saveexec_b64 s[10:11], s[10:11]
	s_cbranch_execz .LBB209_341
.LBB209_574:
	s_mov_b32 s14, 0x46000000
	v_add_f32_e64 v4, |v5|, s14
	v_and_b32_e32 v4, 0xff, v4
	v_cmp_ne_u32_e32 vcc, 0, v4
	s_andn2_b64 s[8:9], s[8:9], exec
	s_and_b64 s[14:15], vcc, exec
	s_or_b64 s[8:9], s[8:9], s[14:15]
	s_or_b64 exec, exec, s[10:11]
	v_mov_b32_e32 v6, 0
	s_and_saveexec_b64 s[10:11], s[8:9]
	s_cbranch_execnz .LBB209_342
	s_branch .LBB209_343
.LBB209_575:
	s_mov_b64 s[6:7], -1
	s_mov_b64 s[2:3], 0
	s_mov_b64 s[4:5], s[60:61]
                                        ; implicit-def: $vgpr1
	s_branch .LBB209_579
.LBB209_576:
	s_andn2_saveexec_b64 s[10:11], s[10:11]
	s_cbranch_execz .LBB209_354
.LBB209_577:
	s_mov_b32 s14, 0x42800000
	v_add_f32_e64 v4, |v5|, s14
	v_and_b32_e32 v4, 0xff, v4
	v_cmp_ne_u32_e32 vcc, 0, v4
	s_andn2_b64 s[8:9], s[8:9], exec
	s_and_b64 s[14:15], vcc, exec
	s_or_b64 s[8:9], s[8:9], s[14:15]
	s_or_b64 exec, exec, s[10:11]
	v_mov_b32_e32 v6, 0
	s_and_saveexec_b64 s[10:11], s[8:9]
	s_cbranch_execnz .LBB209_355
	s_branch .LBB209_356
.LBB209_578:
	s_mov_b64 s[4:5], -1
                                        ; implicit-def: $vgpr1
	s_mov_b64 s[2:3], 0
.LBB209_579:
	s_and_b64 vcc, exec, s[6:7]
	s_cbranch_vccz .LBB209_583
; %bb.580:
	s_cmp_eq_u32 s10, 44
	s_cbranch_scc0 .LBB209_582
; %bb.581:
	global_load_ubyte v1, v[2:3], off
	s_movk_i32 s4, 0xff
	v_mov_b32_e32 v4, 0x7f800001
	v_mov_b32_e32 v5, 0x400000
	;; [unrolled: 1-line block ×3, first 2 shown]
	s_mov_b64 s[2:3], -1
	s_waitcnt vmcnt(0)
	v_lshlrev_b32_e32 v7, 23, v1
	v_cmp_ne_u32_e32 vcc, s4, v1
	s_mov_b64 s[4:5], 0
	s_nop 0
	v_cndmask_b32_e32 v4, v4, v7, vcc
	v_cmp_ne_u32_e32 vcc, 0, v1
	s_nop 1
	v_cndmask_b32_e32 v1, v5, v4, vcc
	v_add_u32_e32 v4, 0x7fff, v1
	v_cmp_o_f32_e32 vcc, v1, v1
	s_nop 1
	v_cndmask_b32_sdwa v1, v6, v4, vcc dst_sel:DWORD dst_unused:UNUSED_PAD src0_sel:DWORD src1_sel:WORD_1
	s_branch .LBB209_583
.LBB209_582:
	s_mov_b64 s[4:5], -1
                                        ; implicit-def: $vgpr1
.LBB209_583:
	s_mov_b64 s[6:7], 0
.LBB209_584:
	s_and_b64 vcc, exec, s[6:7]
	s_cbranch_vccz .LBB209_588
; %bb.585:
	s_cmp_eq_u32 s10, 29
	s_cbranch_scc0 .LBB209_587
; %bb.586:
	global_load_dwordx2 v[4:5], v[2:3], off
	s_movk_i32 s4, 0x7fff
	s_mov_b64 s[2:3], -1
	s_mov_b64 s[6:7], 0
	s_waitcnt vmcnt(0)
	v_ffbh_u32_e32 v1, v5
	v_min_u32_e32 v1, 32, v1
	v_lshlrev_b64 v[4:5], v1, v[4:5]
	v_min_u32_e32 v4, 1, v4
	v_or_b32_e32 v4, v5, v4
	v_cvt_f32_u32_e32 v4, v4
	v_sub_u32_e32 v1, 32, v1
	v_ldexp_f32 v1, v4, v1
	v_bfe_u32 v4, v1, 16, 1
	v_add3_u32 v1, v1, v4, s4
	v_lshrrev_b32_e32 v1, 16, v1
	s_mov_b64 s[4:5], 0
	s_branch .LBB209_589
.LBB209_587:
	s_mov_b64 s[4:5], -1
                                        ; implicit-def: $vgpr1
.LBB209_588:
	s_mov_b64 s[6:7], 0
.LBB209_589:
	s_and_b64 vcc, exec, s[6:7]
	s_cbranch_vccz .LBB209_607
; %bb.590:
	s_cmp_lt_i32 s10, 27
	s_cbranch_scc1 .LBB209_593
; %bb.591:
	s_cmp_gt_i32 s10, 27
	s_cbranch_scc0 .LBB209_594
; %bb.592:
	global_load_dword v1, v[2:3], off
	s_movk_i32 s2, 0x7fff
	s_waitcnt vmcnt(0)
	v_cvt_f32_u32_e32 v1, v1
	v_bfe_u32 v4, v1, 16, 1
	v_add3_u32 v1, v1, v4, s2
	v_lshrrev_b32_e32 v1, 16, v1
	s_mov_b64 s[2:3], 0
	s_branch .LBB209_595
.LBB209_593:
	s_mov_b64 s[2:3], -1
                                        ; implicit-def: $vgpr1
	s_branch .LBB209_598
.LBB209_594:
	s_mov_b64 s[2:3], -1
                                        ; implicit-def: $vgpr1
.LBB209_595:
	s_andn2_b64 vcc, exec, s[2:3]
	s_cbranch_vccnz .LBB209_597
; %bb.596:
	global_load_ushort v1, v[2:3], off
	s_movk_i32 s2, 0x7fff
	s_waitcnt vmcnt(0)
	v_cvt_f32_u32_e32 v1, v1
	v_bfe_u32 v4, v1, 16, 1
	v_add3_u32 v1, v1, v4, s2
	v_lshrrev_b32_e32 v1, 16, v1
.LBB209_597:
	s_mov_b64 s[2:3], 0
.LBB209_598:
	s_andn2_b64 vcc, exec, s[2:3]
	s_cbranch_vccnz .LBB209_606
; %bb.599:
	global_load_ubyte v1, v[2:3], off
	s_movk_i32 s2, 0x7f
	s_waitcnt vmcnt(0)
	v_cmp_lt_i16_e32 vcc, s2, v1
	s_mov_b64 s[2:3], 0
	s_and_saveexec_b64 s[6:7], vcc
	s_xor_b64 s[6:7], exec, s[6:7]
	s_cbranch_execz .LBB209_620
; %bb.600:
	s_movk_i32 s2, 0x80
	v_cmp_eq_u16_e32 vcc, s2, v1
	s_mov_b64 s[2:3], -1
	s_and_saveexec_b64 s[8:9], vcc
; %bb.601:
	s_xor_b64 s[2:3], exec, -1
; %bb.602:
	s_or_b64 exec, exec, s[8:9]
	s_and_b64 s[2:3], s[2:3], exec
	s_or_saveexec_b64 s[6:7], s[6:7]
	v_mov_b32_e32 v4, 0x7f800001
	s_xor_b64 exec, exec, s[6:7]
	s_cbranch_execnz .LBB209_621
.LBB209_603:
	s_or_b64 exec, exec, s[6:7]
	s_and_saveexec_b64 s[6:7], s[2:3]
	s_cbranch_execz .LBB209_605
.LBB209_604:
	v_lshlrev_b32_e32 v4, 24, v1
	v_and_b32_e32 v1, 0xffff, v1
	v_and_b32_e32 v5, 7, v1
	v_ffbh_u32_e32 v7, v5
	v_min_u32_e32 v7, 32, v7
	v_subrev_u32_e32 v9, 28, v7
	v_bfe_u32 v6, v1, 3, 4
	v_lshlrev_b32_e32 v1, v9, v1
	v_sub_u32_e32 v7, 29, v7
	v_and_b32_e32 v1, 7, v1
	v_cmp_eq_u32_e32 vcc, 0, v6
	v_and_b32_e32 v4, 0x80000000, v4
	s_nop 0
	v_cndmask_b32_e32 v6, v6, v7, vcc
	v_cndmask_b32_e32 v1, v5, v1, vcc
	v_mov_b32_e32 v5, 0x3b800000
	v_lshlrev_b32_e32 v1, 20, v1
	v_lshl_add_u32 v5, v6, 23, v5
	v_or3_b32 v4, v4, v5, v1
.LBB209_605:
	s_or_b64 exec, exec, s[6:7]
	v_bfe_u32 v1, v4, 16, 1
	s_movk_i32 s2, 0x7fff
	v_add3_u32 v1, v4, v1, s2
	v_cmp_o_f32_e32 vcc, v4, v4
	v_mov_b32_e32 v4, 0x7fc0
	s_nop 0
	v_cndmask_b32_sdwa v1, v4, v1, vcc dst_sel:DWORD dst_unused:UNUSED_PAD src0_sel:DWORD src1_sel:WORD_1
.LBB209_606:
	s_mov_b64 s[2:3], -1
.LBB209_607:
	s_mov_b64 s[6:7], 0
.LBB209_608:
	s_and_b64 vcc, exec, s[6:7]
	s_cbranch_vccz .LBB209_643
; %bb.609:
	s_cmp_gt_i32 s10, 22
	s_cbranch_scc0 .LBB209_619
; %bb.610:
	s_cmp_lt_i32 s10, 24
	s_cbranch_scc1 .LBB209_622
; %bb.611:
	s_cmp_gt_i32 s10, 24
	s_cbranch_scc0 .LBB209_623
; %bb.612:
	global_load_ubyte v1, v[2:3], off
	s_movk_i32 s2, 0x7f
	s_waitcnt vmcnt(0)
	v_cmp_lt_i16_e32 vcc, s2, v1
	s_mov_b64 s[2:3], 0
	s_and_saveexec_b64 s[6:7], vcc
	s_xor_b64 s[6:7], exec, s[6:7]
	s_cbranch_execz .LBB209_635
; %bb.613:
	s_movk_i32 s2, 0x80
	v_cmp_eq_u16_e32 vcc, s2, v1
	s_mov_b64 s[2:3], -1
	s_and_saveexec_b64 s[8:9], vcc
; %bb.614:
	s_xor_b64 s[2:3], exec, -1
; %bb.615:
	s_or_b64 exec, exec, s[8:9]
	s_and_b64 s[2:3], s[2:3], exec
	s_or_saveexec_b64 s[6:7], s[6:7]
	v_mov_b32_e32 v4, 0x7f800001
	s_xor_b64 exec, exec, s[6:7]
	s_cbranch_execnz .LBB209_636
.LBB209_616:
	s_or_b64 exec, exec, s[6:7]
	s_and_saveexec_b64 s[6:7], s[2:3]
	s_cbranch_execz .LBB209_618
.LBB209_617:
	v_lshlrev_b32_e32 v4, 24, v1
	v_and_b32_e32 v1, 0xffff, v1
	v_and_b32_e32 v5, 3, v1
	v_ffbh_u32_e32 v7, v5
	v_min_u32_e32 v7, 32, v7
	v_subrev_u32_e32 v9, 29, v7
	v_bfe_u32 v6, v1, 2, 5
	v_lshlrev_b32_e32 v1, v9, v1
	v_sub_u32_e32 v7, 30, v7
	v_and_b32_e32 v1, 3, v1
	v_cmp_eq_u32_e32 vcc, 0, v6
	v_and_b32_e32 v4, 0x80000000, v4
	s_nop 0
	v_cndmask_b32_e32 v6, v6, v7, vcc
	v_cndmask_b32_e32 v1, v5, v1, vcc
	v_mov_b32_e32 v5, 0x37800000
	v_lshlrev_b32_e32 v1, 21, v1
	v_lshl_add_u32 v5, v6, 23, v5
	v_or3_b32 v4, v4, v5, v1
.LBB209_618:
	s_or_b64 exec, exec, s[6:7]
	v_bfe_u32 v1, v4, 16, 1
	s_movk_i32 s2, 0x7fff
	v_add3_u32 v1, v4, v1, s2
	v_cmp_o_f32_e32 vcc, v4, v4
	v_mov_b32_e32 v4, 0x7fc0
	s_mov_b64 s[2:3], 0
	v_cndmask_b32_sdwa v1, v4, v1, vcc dst_sel:DWORD dst_unused:UNUSED_PAD src0_sel:DWORD src1_sel:WORD_1
	s_branch .LBB209_624
.LBB209_619:
	s_mov_b64 s[6:7], -1
                                        ; implicit-def: $vgpr1
	s_branch .LBB209_630
.LBB209_620:
	s_or_saveexec_b64 s[6:7], s[6:7]
	v_mov_b32_e32 v4, 0x7f800001
	s_xor_b64 exec, exec, s[6:7]
	s_cbranch_execz .LBB209_603
.LBB209_621:
	v_cmp_ne_u16_e32 vcc, 0, v1
	s_andn2_b64 s[2:3], s[2:3], exec
	s_and_b64 s[8:9], vcc, exec
	v_mov_b32_e32 v4, 0
	s_or_b64 s[2:3], s[2:3], s[8:9]
	s_or_b64 exec, exec, s[6:7]
	s_and_saveexec_b64 s[6:7], s[2:3]
	s_cbranch_execnz .LBB209_604
	s_branch .LBB209_605
.LBB209_622:
	s_mov_b64 s[2:3], -1
                                        ; implicit-def: $vgpr1
	s_branch .LBB209_627
.LBB209_623:
	s_mov_b64 s[2:3], -1
                                        ; implicit-def: $vgpr1
.LBB209_624:
	s_and_b64 vcc, exec, s[2:3]
	s_cbranch_vccz .LBB209_626
; %bb.625:
	global_load_ubyte v1, v[2:3], off
	s_mov_b32 s2, 0x7f800000
	s_brev_b32 s3, 1
	s_movk_i32 s6, 0x7fff
	s_waitcnt vmcnt(0)
	v_lshlrev_b32_e32 v1, 24, v1
	v_and_b32_e32 v4, 0x7f000000, v1
	v_ffbh_u32_e32 v5, v4
	v_min_u32_e32 v5, 32, v5
	v_sub_u32_e64 v5, v5, 4 clamp
	v_lshlrev_b32_e32 v7, v5, v4
	v_lshlrev_b32_e32 v5, 23, v5
	v_lshrrev_b32_e32 v7, 4, v7
	v_add_u32_e32 v6, 0x1000000, v4
	v_sub_u32_e32 v5, v7, v5
	v_ashrrev_i32_e32 v6, 8, v6
	v_add_u32_e32 v5, 0x3c000000, v5
	v_and_or_b32 v5, v6, s2, v5
	v_cmp_ne_u32_e32 vcc, 0, v4
	s_nop 1
	v_cndmask_b32_e32 v4, 0, v5, vcc
	v_and_or_b32 v1, v1, s3, v4
	v_bfe_u32 v4, v4, 16, 1
	v_add3_u32 v4, v1, v4, s6
	v_cmp_o_f32_e32 vcc, v1, v1
	v_mov_b32_e32 v1, 0x7fc0
	s_nop 0
	v_cndmask_b32_sdwa v1, v1, v4, vcc dst_sel:DWORD dst_unused:UNUSED_PAD src0_sel:DWORD src1_sel:WORD_1
.LBB209_626:
	s_mov_b64 s[2:3], 0
.LBB209_627:
	s_andn2_b64 vcc, exec, s[2:3]
	s_cbranch_vccnz .LBB209_629
; %bb.628:
	global_load_ubyte v1, v[2:3], off
	s_movk_i32 s2, 0x7f00
	s_brev_b32 s3, 16
	s_brev_b32 s6, 1
	s_movk_i32 s7, 0x7fff
	s_waitcnt vmcnt(0)
	v_lshlrev_b16_e32 v4, 8, v1
	v_lshlrev_b32_e32 v1, 25, v1
	v_lshrrev_b32_e32 v5, 4, v1
	v_and_or_b32 v6, v4, s2, 0.5
	v_or_b32_e32 v5, 0x70000000, v5
	v_add_f32_e32 v6, -0.5, v6
	v_mul_f32_e32 v5, 0x7800000, v5
	v_cmp_gt_u32_e32 vcc, s3, v1
	v_bfe_i32 v4, v4, 0, 16
	s_nop 0
	v_cndmask_b32_e32 v1, v5, v6, vcc
	v_and_or_b32 v4, v4, s6, v1
	v_bfe_u32 v1, v1, 16, 1
	v_add3_u32 v1, v4, v1, s7
	v_cmp_o_f32_e32 vcc, v4, v4
	v_mov_b32_e32 v4, 0x7fc0
	s_nop 0
	v_cndmask_b32_sdwa v1, v4, v1, vcc dst_sel:DWORD dst_unused:UNUSED_PAD src0_sel:DWORD src1_sel:WORD_1
.LBB209_629:
	s_mov_b64 s[6:7], 0
	s_mov_b64 s[2:3], -1
.LBB209_630:
	s_andn2_b64 vcc, exec, s[6:7]
	s_cbranch_vccnz .LBB209_643
; %bb.631:
	s_cmp_gt_i32 s10, 14
	s_cbranch_scc0 .LBB209_634
; %bb.632:
	s_cmp_eq_u32 s10, 15
	s_cbranch_scc0 .LBB209_637
; %bb.633:
	global_load_ushort v1, v[2:3], off
	s_mov_b64 s[2:3], -1
	s_mov_b64 s[4:5], 0
	s_branch .LBB209_638
.LBB209_634:
	s_mov_b64 s[6:7], -1
                                        ; implicit-def: $vgpr1
	s_branch .LBB209_639
.LBB209_635:
	s_or_saveexec_b64 s[6:7], s[6:7]
	v_mov_b32_e32 v4, 0x7f800001
	s_xor_b64 exec, exec, s[6:7]
	s_cbranch_execz .LBB209_616
.LBB209_636:
	v_cmp_ne_u16_e32 vcc, 0, v1
	s_andn2_b64 s[2:3], s[2:3], exec
	s_and_b64 s[8:9], vcc, exec
	v_mov_b32_e32 v4, 0
	s_or_b64 s[2:3], s[2:3], s[8:9]
	s_or_b64 exec, exec, s[6:7]
	s_and_saveexec_b64 s[6:7], s[2:3]
	s_cbranch_execnz .LBB209_617
	s_branch .LBB209_618
.LBB209_637:
	s_mov_b64 s[4:5], -1
                                        ; implicit-def: $vgpr1
.LBB209_638:
	s_mov_b64 s[6:7], 0
.LBB209_639:
	s_and_b64 vcc, exec, s[6:7]
	s_cbranch_vccz .LBB209_643
; %bb.640:
	s_cmp_eq_u32 s10, 11
	s_cbranch_scc0 .LBB209_642
; %bb.641:
	global_load_ubyte v1, v[2:3], off
	s_mov_b64 s[2:3], -1
	s_mov_b64 s[4:5], 0
	s_waitcnt vmcnt(0)
	v_cmp_ne_u16_e32 vcc, 0, v1
	s_nop 1
	v_cndmask_b32_e64 v1, 0, 1.0, vcc
	v_lshrrev_b32_e32 v1, 16, v1
	s_branch .LBB209_643
.LBB209_642:
	s_mov_b64 s[4:5], -1
                                        ; implicit-def: $vgpr1
.LBB209_643:
	s_mov_b64 s[6:7], 0
.LBB209_644:
	s_and_b64 vcc, exec, s[6:7]
	s_cbranch_vccz .LBB209_693
; %bb.645:
	s_cmp_lt_i32 s10, 5
	s_cbranch_scc1 .LBB209_650
; %bb.646:
	s_cmp_lt_i32 s10, 8
	s_cbranch_scc1 .LBB209_651
	;; [unrolled: 3-line block ×3, first 2 shown]
; %bb.648:
	s_cmp_gt_i32 s10, 9
	s_cbranch_scc0 .LBB209_653
; %bb.649:
	global_load_dwordx2 v[4:5], v[2:3], off
	s_movk_i32 s2, 0x7fff
	s_waitcnt vmcnt(1)
	v_mov_b32_e32 v1, 0x7fc0
	s_waitcnt vmcnt(0)
	v_cvt_f32_f64_e32 v4, v[4:5]
	v_bfe_u32 v5, v4, 16, 1
	v_cmp_o_f32_e32 vcc, v4, v4
	v_add3_u32 v4, v4, v5, s2
	s_mov_b64 s[2:3], 0
	v_cndmask_b32_sdwa v1, v1, v4, vcc dst_sel:DWORD dst_unused:UNUSED_PAD src0_sel:DWORD src1_sel:WORD_1
	s_branch .LBB209_654
.LBB209_650:
	s_mov_b64 s[2:3], -1
                                        ; implicit-def: $vgpr1
	s_branch .LBB209_672
.LBB209_651:
	s_mov_b64 s[2:3], -1
                                        ; implicit-def: $vgpr1
	s_branch .LBB209_660
.LBB209_652:
	s_mov_b64 s[2:3], -1
                                        ; implicit-def: $vgpr1
	s_branch .LBB209_657
.LBB209_653:
	s_mov_b64 s[2:3], -1
                                        ; implicit-def: $vgpr1
.LBB209_654:
	s_andn2_b64 vcc, exec, s[2:3]
	s_cbranch_vccnz .LBB209_656
; %bb.655:
	global_load_dword v1, v[2:3], off
	s_movk_i32 s2, 0x7fff
	v_mov_b32_e32 v4, 0x7fc0
	s_waitcnt vmcnt(0)
	v_bfe_u32 v5, v1, 16, 1
	v_cmp_o_f32_e32 vcc, v1, v1
	v_add3_u32 v1, v1, v5, s2
	s_nop 0
	v_cndmask_b32_sdwa v1, v4, v1, vcc dst_sel:DWORD dst_unused:UNUSED_PAD src0_sel:DWORD src1_sel:WORD_1
.LBB209_656:
	s_mov_b64 s[2:3], 0
.LBB209_657:
	s_andn2_b64 vcc, exec, s[2:3]
	s_cbranch_vccnz .LBB209_659
; %bb.658:
	global_load_dword v1, v[2:3], off
	s_movk_i32 s2, 0x7fff
	v_mov_b32_e32 v5, 0x7fc0
	s_waitcnt vmcnt(0)
	v_cvt_f32_f16_e32 v4, v1
	v_cmp_o_f16_e32 vcc, v1, v1
	v_bfe_u32 v1, v4, 16, 1
	v_add3_u32 v1, v4, v1, s2
	v_cndmask_b32_sdwa v1, v5, v1, vcc dst_sel:DWORD dst_unused:UNUSED_PAD src0_sel:DWORD src1_sel:WORD_1
.LBB209_659:
	s_mov_b64 s[2:3], 0
.LBB209_660:
	s_andn2_b64 vcc, exec, s[2:3]
	s_cbranch_vccnz .LBB209_671
; %bb.661:
	s_cmp_lt_i32 s10, 6
	s_cbranch_scc1 .LBB209_664
; %bb.662:
	s_cmp_gt_i32 s10, 6
	s_cbranch_scc0 .LBB209_665
; %bb.663:
	global_load_dwordx2 v[4:5], v[2:3], off
	s_movk_i32 s2, 0x7fff
	s_waitcnt vmcnt(1)
	v_mov_b32_e32 v1, 0x7fc0
	s_waitcnt vmcnt(0)
	v_cvt_f32_f64_e32 v4, v[4:5]
	v_bfe_u32 v5, v4, 16, 1
	v_cmp_o_f32_e32 vcc, v4, v4
	v_add3_u32 v4, v4, v5, s2
	s_mov_b64 s[2:3], 0
	v_cndmask_b32_sdwa v1, v1, v4, vcc dst_sel:DWORD dst_unused:UNUSED_PAD src0_sel:DWORD src1_sel:WORD_1
	s_branch .LBB209_666
.LBB209_664:
	s_mov_b64 s[2:3], -1
                                        ; implicit-def: $vgpr1
	s_branch .LBB209_669
.LBB209_665:
	s_mov_b64 s[2:3], -1
                                        ; implicit-def: $vgpr1
.LBB209_666:
	s_andn2_b64 vcc, exec, s[2:3]
	s_cbranch_vccnz .LBB209_668
; %bb.667:
	global_load_dword v1, v[2:3], off
	s_movk_i32 s2, 0x7fff
	v_mov_b32_e32 v4, 0x7fc0
	s_waitcnt vmcnt(0)
	v_bfe_u32 v5, v1, 16, 1
	v_cmp_o_f32_e32 vcc, v1, v1
	v_add3_u32 v1, v1, v5, s2
	s_nop 0
	v_cndmask_b32_sdwa v1, v4, v1, vcc dst_sel:DWORD dst_unused:UNUSED_PAD src0_sel:DWORD src1_sel:WORD_1
.LBB209_668:
	s_mov_b64 s[2:3], 0
.LBB209_669:
	s_andn2_b64 vcc, exec, s[2:3]
	s_cbranch_vccnz .LBB209_671
; %bb.670:
	global_load_ushort v1, v[2:3], off
	s_movk_i32 s2, 0x7fff
	v_mov_b32_e32 v5, 0x7fc0
	s_waitcnt vmcnt(0)
	v_cvt_f32_f16_e32 v4, v1
	v_cmp_o_f16_e32 vcc, v1, v1
	v_bfe_u32 v1, v4, 16, 1
	v_add3_u32 v1, v4, v1, s2
	v_cndmask_b32_sdwa v1, v5, v1, vcc dst_sel:DWORD dst_unused:UNUSED_PAD src0_sel:DWORD src1_sel:WORD_1
.LBB209_671:
	s_mov_b64 s[2:3], 0
.LBB209_672:
	s_andn2_b64 vcc, exec, s[2:3]
	s_cbranch_vccnz .LBB209_692
; %bb.673:
	s_cmp_lt_i32 s10, 2
	s_cbranch_scc1 .LBB209_677
; %bb.674:
	s_cmp_lt_i32 s10, 3
	s_cbranch_scc1 .LBB209_678
; %bb.675:
	s_cmp_gt_i32 s10, 3
	s_cbranch_scc0 .LBB209_679
; %bb.676:
	global_load_dwordx2 v[4:5], v[2:3], off
	s_movk_i32 s2, 0x7fff
	s_waitcnt vmcnt(0)
	v_xor_b32_e32 v6, v4, v5
	v_ffbh_i32_e32 v1, v5
	v_ashrrev_i32_e32 v6, 31, v6
	v_add_u32_e32 v1, -1, v1
	v_add_u32_e32 v6, 32, v6
	v_min_u32_e32 v1, v1, v6
	v_lshlrev_b64 v[4:5], v1, v[4:5]
	v_min_u32_e32 v4, 1, v4
	v_or_b32_e32 v4, v5, v4
	v_cvt_f32_i32_e32 v4, v4
	v_sub_u32_e32 v1, 32, v1
	v_ldexp_f32 v1, v4, v1
	v_bfe_u32 v4, v1, 16, 1
	v_add3_u32 v1, v1, v4, s2
	v_lshrrev_b32_e32 v1, 16, v1
	s_mov_b64 s[2:3], 0
	s_branch .LBB209_680
.LBB209_677:
	s_mov_b64 s[2:3], -1
                                        ; implicit-def: $vgpr1
	s_branch .LBB209_686
.LBB209_678:
	s_mov_b64 s[2:3], -1
                                        ; implicit-def: $vgpr1
	s_branch .LBB209_683
.LBB209_679:
	s_mov_b64 s[2:3], -1
                                        ; implicit-def: $vgpr1
.LBB209_680:
	s_andn2_b64 vcc, exec, s[2:3]
	s_cbranch_vccnz .LBB209_682
; %bb.681:
	global_load_dword v1, v[2:3], off
	s_movk_i32 s2, 0x7fff
	s_waitcnt vmcnt(0)
	v_cvt_f32_i32_e32 v1, v1
	v_bfe_u32 v4, v1, 16, 1
	v_add3_u32 v1, v1, v4, s2
	v_lshrrev_b32_e32 v1, 16, v1
.LBB209_682:
	s_mov_b64 s[2:3], 0
.LBB209_683:
	s_andn2_b64 vcc, exec, s[2:3]
	s_cbranch_vccnz .LBB209_685
; %bb.684:
	global_load_sshort v1, v[2:3], off
	s_movk_i32 s2, 0x7fff
	s_waitcnt vmcnt(0)
	v_cvt_f32_i32_e32 v1, v1
	v_bfe_u32 v4, v1, 16, 1
	v_add3_u32 v1, v1, v4, s2
	v_lshrrev_b32_e32 v1, 16, v1
.LBB209_685:
	s_mov_b64 s[2:3], 0
.LBB209_686:
	s_andn2_b64 vcc, exec, s[2:3]
	s_cbranch_vccnz .LBB209_692
; %bb.687:
	s_cmp_gt_i32 s10, 0
	s_cbranch_scc0 .LBB209_689
; %bb.688:
	global_load_sbyte v1, v[2:3], off
	s_movk_i32 s2, 0x7fff
	s_waitcnt vmcnt(0)
	v_cvt_f32_i32_e32 v1, v1
	v_bfe_u32 v4, v1, 16, 1
	v_add3_u32 v1, v1, v4, s2
	v_lshrrev_b32_e32 v1, 16, v1
	s_mov_b64 s[2:3], 0
	s_branch .LBB209_690
.LBB209_689:
	s_mov_b64 s[2:3], -1
                                        ; implicit-def: $vgpr1
.LBB209_690:
	s_andn2_b64 vcc, exec, s[2:3]
	s_cbranch_vccnz .LBB209_692
; %bb.691:
	global_load_ubyte v1, v[2:3], off
	s_movk_i32 s2, 0x7fff
	s_waitcnt vmcnt(0)
	v_cvt_f32_ubyte0_e32 v1, v1
	v_bfe_u32 v2, v1, 16, 1
	v_add3_u32 v1, v1, v2, s2
	v_lshrrev_b32_e32 v1, 16, v1
.LBB209_692:
	s_mov_b64 s[2:3], -1
.LBB209_693:
	s_andn2_b64 vcc, exec, s[2:3]
	s_cbranch_vccnz .LBB209_701
; %bb.694:
	s_waitcnt vmcnt(0)
	v_lshlrev_b32_e32 v1, 16, v1
	v_cvt_f64_f32_e32 v[2:3], v1
	v_rsq_f64_e32 v[4:5], v[2:3]
	s_mov_b32 s2, 0
	s_mov_b32 s3, 0x3fd80000
	v_mov_b32_e32 v1, 0x180
	v_mul_f64 v[2:3], v[4:5], -v[2:3]
	v_fma_f64 v[2:3], v[2:3], v[4:5], 1.0
	v_mul_f64 v[6:7], v[4:5], v[2:3]
	v_fma_f64 v[2:3], v[2:3], s[2:3], 0.5
	v_fma_f64 v[2:3], v[6:7], v[2:3], v[4:5]
	v_cmp_class_f64_e32 vcc, v[4:5], v1
	s_movk_i32 s2, 0x7fff
	s_and_b32 s12, s73, 0xff
	v_cndmask_b32_e32 v3, v5, v3, vcc
	v_cndmask_b32_e32 v2, v4, v2, vcc
	v_cvt_f32_f64_e32 v1, v[2:3]
	v_bfe_u32 v2, v1, 16, 1
	v_add3_u32 v2, v1, v2, s2
	v_cmp_o_f32_e32 vcc, v1, v1
	v_mov_b32_e32 v1, 0x7fc0
	s_cmp_lt_i32 s12, 11
	v_cndmask_b32_sdwa v2, v1, v2, vcc dst_sel:DWORD dst_unused:UNUSED_PAD src0_sel:DWORD src1_sel:WORD_1
	v_mov_b32_e32 v1, 0
	v_lshl_add_u64 v[0:1], s[20:21], 0, v[0:1]
	s_cbranch_scc1 .LBB209_702
; %bb.695:
	s_and_b32 s13, 0xffff, s12
	s_cmp_gt_i32 s13, 25
	s_cbranch_scc0 .LBB209_703
; %bb.696:
	s_cmp_gt_i32 s13, 28
	s_cbranch_scc0 .LBB209_704
; %bb.697:
	;; [unrolled: 3-line block ×4, first 2 shown]
	s_mov_b64 s[8:9], 0
	s_mov_b64 s[2:3], -1
	s_cmp_eq_u32 s13, 46
	s_mov_b64 s[6:7], 0
	s_cbranch_scc0 .LBB209_707
; %bb.700:
	v_and_b32_e32 v3, 0xffff, v2
	global_store_dword v[0:1], v3, off
	s_mov_b64 s[6:7], -1
	s_mov_b64 s[2:3], 0
	s_branch .LBB209_707
.LBB209_701:
	s_mov_b64 s[6:7], 0
	s_mov_b64 s[2:3], s[62:63]
	s_branch .LBB209_818
.LBB209_702:
	s_mov_b64 s[8:9], -1
	s_mov_b64 s[6:7], 0
	s_mov_b64 s[2:3], s[62:63]
	s_branch .LBB209_776
.LBB209_703:
	s_mov_b64 s[8:9], -1
	s_mov_b64 s[6:7], 0
	s_mov_b64 s[2:3], s[62:63]
	s_branch .LBB209_734
.LBB209_704:
	s_mov_b64 s[8:9], -1
	s_mov_b64 s[6:7], 0
	s_mov_b64 s[2:3], s[62:63]
	s_branch .LBB209_717
.LBB209_705:
	s_mov_b64 s[8:9], -1
	s_mov_b64 s[6:7], 0
	s_mov_b64 s[2:3], s[62:63]
	s_branch .LBB209_713
.LBB209_706:
	s_mov_b64 s[8:9], -1
	s_mov_b64 s[6:7], 0
	s_mov_b64 s[2:3], s[62:63]
.LBB209_707:
	s_and_b64 vcc, exec, s[8:9]
	s_cbranch_vccz .LBB209_712
; %bb.708:
	s_cmp_eq_u32 s13, 44
	s_mov_b64 s[2:3], -1
	s_cbranch_scc0 .LBB209_712
; %bb.709:
	v_and_b32_e32 v4, 0xffff, v2
	v_bfe_u32 v3, v4, 7, 8
	s_movk_i32 s2, 0xff
	v_cmp_ne_u32_e32 vcc, s2, v3
	v_mov_b32_e32 v5, 0xff
	s_and_saveexec_b64 s[6:7], vcc
	s_cbranch_execz .LBB209_711
; %bb.710:
	v_lshlrev_b32_e32 v6, 16, v4
	s_mov_b32 s2, 0x3f0000
	v_lshrrev_b32_e32 v5, 7, v4
	v_and_b32_e32 v4, 64, v4
	v_and_or_b32 v3, v6, s2, v3
	v_cmp_ne_u32_e32 vcc, 0, v4
	v_cmp_ne_u32_e64 s[2:3], 0, v3
	s_and_b64 s[2:3], vcc, s[2:3]
	s_nop 0
	v_cndmask_b32_e64 v3, 0, 1, s[2:3]
	v_add_u32_e32 v5, v5, v3
.LBB209_711:
	s_or_b64 exec, exec, s[6:7]
	s_mov_b64 s[6:7], -1
	s_mov_b64 s[2:3], 0
	global_store_byte v[0:1], v5, off
.LBB209_712:
	s_mov_b64 s[8:9], 0
.LBB209_713:
	s_and_b64 vcc, exec, s[8:9]
	s_cbranch_vccz .LBB209_716
; %bb.714:
	s_cmp_eq_u32 s13, 29
	s_mov_b64 s[2:3], -1
	s_cbranch_scc0 .LBB209_716
; %bb.715:
	v_lshlrev_b32_e32 v3, 16, v2
	v_trunc_f32_e32 v3, v3
	v_mul_f32_e32 v4, 0x2f800000, v3
	v_floor_f32_e32 v4, v4
	v_fmamk_f32 v3, v4, 0xcf800000, v3
	v_cvt_u32_f32_e32 v5, v4
	v_cvt_u32_f32_e32 v4, v3
	s_mov_b64 s[6:7], -1
	s_mov_b64 s[2:3], 0
	s_mov_b64 s[8:9], 0
	global_store_dwordx2 v[0:1], v[4:5], off
	s_branch .LBB209_717
.LBB209_716:
	s_mov_b64 s[8:9], 0
.LBB209_717:
	s_and_b64 vcc, exec, s[8:9]
	s_cbranch_vccz .LBB209_733
; %bb.718:
	s_cmp_lt_i32 s13, 27
	s_mov_b64 s[6:7], -1
	s_cbranch_scc1 .LBB209_724
; %bb.719:
	s_cmp_gt_i32 s13, 27
	s_cbranch_scc0 .LBB209_721
; %bb.720:
	v_lshlrev_b32_e32 v3, 16, v2
	v_cvt_u32_f32_e32 v3, v3
	s_mov_b64 s[6:7], 0
	global_store_dword v[0:1], v3, off
.LBB209_721:
	s_andn2_b64 vcc, exec, s[6:7]
	s_cbranch_vccnz .LBB209_723
; %bb.722:
	v_lshlrev_b32_e32 v3, 16, v2
	v_cvt_u32_f32_e32 v3, v3
	global_store_short v[0:1], v3, off
.LBB209_723:
	s_mov_b64 s[6:7], 0
.LBB209_724:
	s_andn2_b64 vcc, exec, s[6:7]
	s_cbranch_vccnz .LBB209_732
; %bb.725:
	v_lshlrev_b32_e32 v5, 16, v2
	v_and_b32_e32 v4, 0x7fffffff, v5
	s_mov_b32 s6, 0x43800000
	v_cmp_gt_u32_e32 vcc, s6, v4
	v_mov_b32_e32 v6, 0x80
	s_and_saveexec_b64 s[6:7], vcc
	s_cbranch_execz .LBB209_731
; %bb.726:
	s_mov_b32 s8, 0x3bffffff
	v_and_b32_e32 v3, 0xffff, v2
	v_cmp_lt_u32_e32 vcc, s8, v4
	s_mov_b64 s[8:9], 0
                                        ; implicit-def: $vgpr4
	s_and_saveexec_b64 s[10:11], vcc
	s_xor_b64 s[10:11], exec, s[10:11]
	s_cbranch_execz .LBB209_849
; %bb.727:
	v_bfe_u32 v4, v3, 4, 1
	s_mov_b32 s14, 0x487ffff
	v_add3_u32 v4, v5, v4, s14
	s_mov_b64 s[8:9], exec
	v_lshrrev_b32_e32 v4, 20, v4
                                        ; implicit-def: $vgpr5
	s_andn2_saveexec_b64 s[10:11], s[10:11]
	s_cbranch_execnz .LBB209_850
.LBB209_728:
	s_or_b64 exec, exec, s[10:11]
	v_mov_b32_e32 v6, 0
	s_and_saveexec_b64 s[10:11], s[8:9]
.LBB209_729:
	v_lshrrev_b32_e32 v3, 8, v3
	s_movk_i32 s8, 0x80
	v_and_or_b32 v6, v3, s8, v4
.LBB209_730:
	s_or_b64 exec, exec, s[10:11]
.LBB209_731:
	s_or_b64 exec, exec, s[6:7]
	global_store_byte v[0:1], v6, off
.LBB209_732:
	s_mov_b64 s[6:7], -1
.LBB209_733:
	s_mov_b64 s[8:9], 0
.LBB209_734:
	s_and_b64 vcc, exec, s[8:9]
	s_cbranch_vccz .LBB209_775
; %bb.735:
	s_cmp_gt_i32 s13, 22
	s_mov_b64 s[8:9], -1
	s_cbranch_scc0 .LBB209_767
; %bb.736:
	s_cmp_lt_i32 s13, 24
	s_mov_b64 s[6:7], -1
	s_cbranch_scc1 .LBB209_756
; %bb.737:
	s_cmp_gt_i32 s13, 24
	s_cbranch_scc0 .LBB209_745
; %bb.738:
	v_lshlrev_b32_e32 v5, 16, v2
	v_and_b32_e32 v4, 0x7fffffff, v5
	s_mov_b32 s6, 0x47800000
	v_cmp_gt_u32_e32 vcc, s6, v4
	v_mov_b32_e32 v6, 0x80
	s_and_saveexec_b64 s[6:7], vcc
	s_cbranch_execz .LBB209_744
; %bb.739:
	s_mov_b32 s8, 0x37ffffff
	v_and_b32_e32 v3, 0xffff, v2
	v_cmp_lt_u32_e32 vcc, s8, v4
	s_mov_b64 s[8:9], 0
                                        ; implicit-def: $vgpr4
	s_and_saveexec_b64 s[10:11], vcc
	s_xor_b64 s[10:11], exec, s[10:11]
	s_cbranch_execz .LBB209_852
; %bb.740:
	v_bfe_u32 v4, v3, 5, 1
	s_mov_b32 s14, 0x88fffff
	v_add3_u32 v4, v5, v4, s14
	s_mov_b64 s[8:9], exec
	v_lshrrev_b32_e32 v4, 21, v4
                                        ; implicit-def: $vgpr5
	s_andn2_saveexec_b64 s[10:11], s[10:11]
	s_cbranch_execnz .LBB209_853
.LBB209_741:
	s_or_b64 exec, exec, s[10:11]
	v_mov_b32_e32 v6, 0
	s_and_saveexec_b64 s[10:11], s[8:9]
.LBB209_742:
	v_lshrrev_b32_e32 v3, 8, v3
	s_movk_i32 s8, 0x80
	v_and_or_b32 v6, v3, s8, v4
.LBB209_743:
	s_or_b64 exec, exec, s[10:11]
.LBB209_744:
	s_or_b64 exec, exec, s[6:7]
	s_mov_b64 s[6:7], 0
	global_store_byte v[0:1], v6, off
.LBB209_745:
	s_and_b64 vcc, exec, s[6:7]
	s_cbranch_vccz .LBB209_755
; %bb.746:
	v_lshlrev_b32_e32 v5, 16, v2
	v_and_b32_e32 v6, 0x7fffffff, v5
	s_mov_b32 s6, 0x43f00000
	v_and_b32_e32 v3, 0xffff, v2
	v_cmp_gt_u32_e32 vcc, s6, v6
                                        ; implicit-def: $vgpr4
	s_and_saveexec_b64 s[6:7], vcc
	s_xor_b64 s[6:7], exec, s[6:7]
	s_cbranch_execz .LBB209_752
; %bb.747:
	s_mov_b32 s8, 0x3c7fffff
	v_cmp_lt_u32_e32 vcc, s8, v6
                                        ; implicit-def: $vgpr4
	s_and_saveexec_b64 s[8:9], vcc
	s_xor_b64 s[8:9], exec, s[8:9]
; %bb.748:
	v_bfe_u32 v4, v3, 4, 1
	s_mov_b32 s10, 0x407ffff
	v_add3_u32 v4, v5, v4, s10
	v_lshrrev_b32_e32 v5, 20, v4
	v_and_b32_e32 v4, 0xff00000, v4
	s_mov_b32 s10, 0x7f00000
	v_mov_b32_e32 v6, 0x7e
	v_cmp_ne_u32_e32 vcc, s10, v4
	s_nop 1
	v_cndmask_b32_e32 v4, v6, v5, vcc
                                        ; implicit-def: $vgpr5
; %bb.749:
	s_andn2_saveexec_b64 s[8:9], s[8:9]
; %bb.750:
	s_mov_b32 s10, 0x46800000
	v_add_f32_e64 v4, |v5|, s10
; %bb.751:
	s_or_b64 exec, exec, s[8:9]
                                        ; implicit-def: $vgpr6
.LBB209_752:
	s_andn2_saveexec_b64 s[6:7], s[6:7]
; %bb.753:
	s_mov_b32 s8, 0x7f800000
	v_mov_b32_e32 v4, 0x7e
	v_mov_b32_e32 v5, 0x7f
	v_cmp_lt_u32_e32 vcc, s8, v6
	s_nop 1
	v_cndmask_b32_e32 v4, v4, v5, vcc
; %bb.754:
	s_or_b64 exec, exec, s[6:7]
	v_lshrrev_b32_e32 v3, 8, v3
	s_movk_i32 s6, 0x80
	v_and_or_b32 v3, v3, s6, v4
	global_store_byte v[0:1], v3, off
.LBB209_755:
	s_mov_b64 s[6:7], 0
.LBB209_756:
	s_andn2_b64 vcc, exec, s[6:7]
	s_cbranch_vccnz .LBB209_766
; %bb.757:
	v_lshlrev_b32_e32 v5, 16, v2
	v_and_b32_e32 v6, 0x7fffffff, v5
	s_mov_b32 s6, 0x47800000
	v_and_b32_e32 v3, 0xffff, v2
	v_cmp_gt_u32_e32 vcc, s6, v6
                                        ; implicit-def: $vgpr4
	s_and_saveexec_b64 s[6:7], vcc
	s_xor_b64 s[6:7], exec, s[6:7]
	s_cbranch_execz .LBB209_763
; %bb.758:
	s_mov_b32 s8, 0x387fffff
	v_cmp_lt_u32_e32 vcc, s8, v6
                                        ; implicit-def: $vgpr4
	s_and_saveexec_b64 s[8:9], vcc
	s_xor_b64 s[8:9], exec, s[8:9]
; %bb.759:
	v_bfe_u32 v4, v3, 5, 1
	s_mov_b32 s10, 0x80fffff
	v_add3_u32 v4, v5, v4, s10
	v_lshrrev_b32_e32 v4, 21, v4
                                        ; implicit-def: $vgpr5
; %bb.760:
	s_andn2_saveexec_b64 s[8:9], s[8:9]
; %bb.761:
	s_mov_b32 s10, 0x43000000
	v_add_f32_e64 v4, |v5|, s10
; %bb.762:
	s_or_b64 exec, exec, s[8:9]
                                        ; implicit-def: $vgpr6
.LBB209_763:
	s_andn2_saveexec_b64 s[6:7], s[6:7]
; %bb.764:
	s_mov_b32 s8, 0x7f800000
	v_mov_b32_e32 v4, 0x7c
	v_mov_b32_e32 v5, 0x7f
	v_cmp_lt_u32_e32 vcc, s8, v6
	s_nop 1
	v_cndmask_b32_e32 v4, v4, v5, vcc
; %bb.765:
	s_or_b64 exec, exec, s[6:7]
	v_lshrrev_b32_e32 v3, 8, v3
	s_movk_i32 s6, 0x80
	v_and_or_b32 v3, v3, s6, v4
	global_store_byte v[0:1], v3, off
.LBB209_766:
	s_mov_b64 s[8:9], 0
	s_mov_b64 s[6:7], -1
.LBB209_767:
	s_andn2_b64 vcc, exec, s[8:9]
	s_cbranch_vccnz .LBB209_775
; %bb.768:
	s_cmp_gt_i32 s13, 14
	s_mov_b64 s[8:9], -1
	s_cbranch_scc0 .LBB209_772
; %bb.769:
	s_cmp_eq_u32 s13, 15
	s_mov_b64 s[2:3], -1
	s_cbranch_scc0 .LBB209_771
; %bb.770:
	global_store_short v[0:1], v2, off
	s_mov_b64 s[6:7], -1
	s_mov_b64 s[2:3], 0
.LBB209_771:
	s_mov_b64 s[8:9], 0
.LBB209_772:
	s_and_b64 vcc, exec, s[8:9]
	s_cbranch_vccz .LBB209_775
; %bb.773:
	s_cmp_eq_u32 s13, 11
	s_mov_b64 s[2:3], -1
	s_cbranch_scc0 .LBB209_775
; %bb.774:
	v_and_b32_e32 v3, 0x7fff, v2
	v_cmp_ne_u16_e32 vcc, 0, v3
	s_mov_b64 s[6:7], -1
	s_mov_b64 s[2:3], 0
	v_cndmask_b32_e64 v3, 0, 1, vcc
	global_store_byte v[0:1], v3, off
.LBB209_775:
	s_mov_b64 s[8:9], 0
.LBB209_776:
	s_and_b64 vcc, exec, s[8:9]
	s_cbranch_vccz .LBB209_815
; %bb.777:
	s_and_b32 s8, 0xffff, s12
	s_cmp_lt_i32 s8, 5
	s_mov_b64 s[6:7], -1
	s_cbranch_scc1 .LBB209_798
; %bb.778:
	s_cmp_lt_i32 s8, 8
	s_cbranch_scc1 .LBB209_788
; %bb.779:
	s_cmp_lt_i32 s8, 9
	s_cbranch_scc1 .LBB209_785
; %bb.780:
	s_cmp_gt_i32 s8, 9
	s_cbranch_scc0 .LBB209_782
; %bb.781:
	v_lshlrev_b32_e32 v3, 16, v2
	v_mov_b32_e32 v6, 0
	v_cvt_f64_f32_e32 v[4:5], v3
	v_mov_b32_e32 v7, v6
	s_mov_b64 s[6:7], 0
	global_store_dwordx4 v[0:1], v[4:7], off
.LBB209_782:
	s_andn2_b64 vcc, exec, s[6:7]
	s_cbranch_vccnz .LBB209_784
; %bb.783:
	v_lshlrev_b32_e32 v4, 16, v2
	v_mov_b32_e32 v5, 0
	global_store_dwordx2 v[0:1], v[4:5], off
.LBB209_784:
	s_mov_b64 s[6:7], 0
.LBB209_785:
	s_andn2_b64 vcc, exec, s[6:7]
	s_cbranch_vccnz .LBB209_787
; %bb.786:
	v_lshlrev_b32_e32 v3, 16, v2
	v_cvt_f16_f32_e32 v3, v3
	global_store_dword v[0:1], v3, off
.LBB209_787:
	s_mov_b64 s[6:7], 0
.LBB209_788:
	s_andn2_b64 vcc, exec, s[6:7]
	s_cbranch_vccnz .LBB209_797
; %bb.789:
	s_cmp_lt_i32 s8, 6
	s_mov_b64 s[6:7], -1
	s_cbranch_scc1 .LBB209_795
; %bb.790:
	s_cmp_gt_i32 s8, 6
	s_cbranch_scc0 .LBB209_792
; %bb.791:
	v_lshlrev_b32_e32 v3, 16, v2
	v_cvt_f64_f32_e32 v[4:5], v3
	s_mov_b64 s[6:7], 0
	global_store_dwordx2 v[0:1], v[4:5], off
.LBB209_792:
	s_andn2_b64 vcc, exec, s[6:7]
	s_cbranch_vccnz .LBB209_794
; %bb.793:
	v_lshlrev_b32_e32 v3, 16, v2
	global_store_dword v[0:1], v3, off
.LBB209_794:
	s_mov_b64 s[6:7], 0
.LBB209_795:
	s_andn2_b64 vcc, exec, s[6:7]
	s_cbranch_vccnz .LBB209_797
; %bb.796:
	v_lshlrev_b32_e32 v3, 16, v2
	v_cvt_f16_f32_e32 v3, v3
	global_store_short v[0:1], v3, off
.LBB209_797:
	s_mov_b64 s[6:7], 0
.LBB209_798:
	s_andn2_b64 vcc, exec, s[6:7]
	s_cbranch_vccnz .LBB209_814
; %bb.799:
	s_cmp_lt_i32 s8, 2
	s_mov_b64 s[6:7], -1
	s_cbranch_scc1 .LBB209_809
; %bb.800:
	s_cmp_lt_i32 s8, 3
	s_cbranch_scc1 .LBB209_806
; %bb.801:
	s_cmp_gt_i32 s8, 3
	s_cbranch_scc0 .LBB209_803
; %bb.802:
	v_lshlrev_b32_e32 v3, 16, v2
	v_trunc_f32_e32 v3, v3
	s_mov_b32 s6, 0x2f800000
	v_mul_f32_e64 v4, |v3|, s6
	v_floor_f32_e32 v4, v4
	s_mov_b32 s6, 0xcf800000
	v_cvt_u32_f32_e32 v5, v4
	v_fma_f32 v4, v4, s6, |v3|
	v_cvt_u32_f32_e32 v4, v4
	v_ashrrev_i32_e32 v3, 31, v3
	v_xor_b32_e32 v5, v5, v3
	s_mov_b64 s[6:7], 0
	v_xor_b32_e32 v4, v4, v3
	v_sub_co_u32_e32 v4, vcc, v4, v3
	s_nop 1
	v_subb_co_u32_e32 v5, vcc, v5, v3, vcc
	global_store_dwordx2 v[0:1], v[4:5], off
.LBB209_803:
	s_andn2_b64 vcc, exec, s[6:7]
	s_cbranch_vccnz .LBB209_805
; %bb.804:
	v_lshlrev_b32_e32 v3, 16, v2
	v_cvt_i32_f32_e32 v3, v3
	global_store_dword v[0:1], v3, off
.LBB209_805:
	s_mov_b64 s[6:7], 0
.LBB209_806:
	s_andn2_b64 vcc, exec, s[6:7]
	s_cbranch_vccnz .LBB209_808
; %bb.807:
	v_lshlrev_b32_e32 v3, 16, v2
	v_cvt_i32_f32_e32 v3, v3
	global_store_short v[0:1], v3, off
.LBB209_808:
	s_mov_b64 s[6:7], 0
.LBB209_809:
	s_andn2_b64 vcc, exec, s[6:7]
	s_cbranch_vccnz .LBB209_814
; %bb.810:
	s_mov_b64 s[6:7], -1
	s_cmp_gt_i32 s8, 0
	v_lshlrev_b32_e32 v2, 16, v2
	s_cbranch_scc0 .LBB209_812
; %bb.811:
	v_cvt_i32_f32_e32 v3, v2
	s_mov_b64 s[6:7], 0
	global_store_byte v[0:1], v3, off
.LBB209_812:
	s_andn2_b64 vcc, exec, s[6:7]
	s_cbranch_vccnz .LBB209_814
; %bb.813:
	v_trunc_f32_e32 v2, v2
	s_mov_b32 s6, 0x2f800000
	v_mul_f32_e64 v3, |v2|, s6
	v_floor_f32_e32 v3, v3
	s_mov_b32 s6, 0xcf800000
	v_fma_f32 v3, v3, s6, |v2|
	v_cvt_u32_f32_e32 v3, v3
	v_ashrrev_i32_e32 v2, 31, v2
	v_xor_b32_e32 v3, v3, v2
	v_sub_u32_e32 v2, v3, v2
	global_store_byte v[0:1], v2, off
.LBB209_814:
	s_mov_b64 s[6:7], -1
.LBB209_815:
	s_andn2_b64 vcc, exec, s[6:7]
	s_cbranch_vccnz .LBB209_817
; %bb.816:
	v_add_u32_e32 v8, 0x80, v8
	s_mov_b64 s[6:7], -1
	s_branch .LBB209_819
.LBB209_817:
	s_mov_b64 s[6:7], 0
.LBB209_818:
                                        ; implicit-def: $vgpr8
.LBB209_819:
	s_andn2_b64 s[8:9], s[62:63], exec
	s_and_b64 s[2:3], s[2:3], exec
	s_or_b64 s[68:69], s[8:9], s[2:3]
	s_andn2_b64 s[2:3], s[60:61], exec
	s_and_b64 s[4:5], s[4:5], exec
	s_or_b64 s[2:3], s[2:3], s[4:5]
	s_orn2_b64 s[6:7], s[6:7], exec
.LBB209_820:
	s_or_b64 exec, exec, s[66:67]
	s_mov_b64 s[4:5], 0
	s_mov_b64 s[10:11], 0
	;; [unrolled: 1-line block ×3, first 2 shown]
                                        ; implicit-def: $vgpr2_vgpr3
                                        ; implicit-def: $vgpr0
                                        ; implicit-def: $vgpr1
	s_and_saveexec_b64 s[66:67], s[6:7]
	s_cbranch_execz .LBB209_920
; %bb.821:
	v_cmp_gt_i32_e32 vcc, s70, v8
	s_mov_b64 s[6:7], 0
	s_mov_b64 s[12:13], s[2:3]
                                        ; implicit-def: $vgpr2_vgpr3
                                        ; implicit-def: $vgpr0
                                        ; implicit-def: $vgpr1
	s_and_saveexec_b64 s[70:71], vcc
	s_cbranch_execz .LBB209_919
; %bb.822:
	s_andn2_b64 vcc, exec, s[42:43]
	s_cbranch_vccnz .LBB209_828
; %bb.823:
	s_andn2_b64 vcc, exec, s[52:53]
	s_cbranch_vccnz .LBB209_829
; %bb.824:
	s_add_i32 s76, s75, 1
	s_cmp_eq_u32 s72, 2
	s_cbranch_scc1 .LBB209_830
; %bb.825:
	s_and_b32 s75, s76, 28
	s_mov_b32 s77, 0
	v_mov_b32_e32 v0, 0
	v_mov_b32_e32 v2, 0
	s_mov_b64 s[52:53], s[34:35]
	v_mov_b32_e32 v4, v8
.LBB209_826:                            ; =>This Inner Loop Header: Depth=1
	s_load_dwordx8 s[12:19], s[52:53], 0x4
	s_load_dwordx4 s[36:39], s[52:53], 0x24
	s_load_dwordx8 s[4:11], s[50:51], 0x0
	s_add_u32 s52, s52, 48
	s_addc_u32 s53, s53, 0
	s_waitcnt vmcnt(0) lgkmcnt(0)
	v_mul_hi_u32 v1, s13, v4
	v_add_u32_e32 v1, v4, v1
	v_lshrrev_b32_e32 v1, s14, v1
	v_mul_lo_u32 v3, v1, s12
	v_mul_hi_u32 v5, s16, v1
	v_sub_u32_e32 v3, v4, v3
	v_add_u32_e32 v4, v1, v5
	v_lshrrev_b32_e32 v4, s17, v4
	v_mul_lo_u32 v6, v4, s15
	v_mul_hi_u32 v7, s19, v4
	v_sub_u32_e32 v1, v1, v6
	v_add_u32_e32 v6, v4, v7
	v_mul_lo_u32 v5, v3, s5
	v_mul_lo_u32 v3, v3, s4
	;; [unrolled: 1-line block ×4, first 2 shown]
	v_lshrrev_b32_e32 v6, s36, v6
	v_add3_u32 v0, v3, v0, v1
	v_mul_hi_u32 v3, s38, v6
	v_add3_u32 v1, v5, v2, v7
	v_mul_lo_u32 v2, v6, s18
	v_add_u32_e32 v3, v6, v3
	v_sub_u32_e32 v2, v4, v2
	v_lshrrev_b32_e32 v4, s39, v3
	s_add_i32 s77, s77, 4
	v_mul_lo_u32 v3, v4, s37
	s_add_u32 s50, s50, 32
	v_sub_u32_e32 v3, v6, v3
	s_addc_u32 s51, s51, 0
	v_mul_lo_u32 v5, v2, s8
	v_mul_lo_u32 v2, v2, s9
	;; [unrolled: 1-line block ×4, first 2 shown]
	s_cmp_eq_u32 s75, s77
	v_add3_u32 v2, v2, v1, v3
	v_add3_u32 v0, v5, v0, v6
	s_cbranch_scc0 .LBB209_826
; %bb.827:
	v_mov_b32_e32 v1, v2
	s_branch .LBB209_831
.LBB209_828:
	s_mov_b64 s[4:5], -1
                                        ; implicit-def: $vgpr2
                                        ; implicit-def: $vgpr0
	s_branch .LBB209_835
.LBB209_829:
	v_mov_b32_e32 v2, 0
	v_mov_b32_e32 v0, 0
	s_branch .LBB209_834
.LBB209_830:
	v_mov_b32_e32 v0, 0
	s_mov_b32 s75, 0
	s_waitcnt vmcnt(0)
	v_mov_b32_e32 v1, v0
                                        ; implicit-def: $vgpr2
	v_mov_b32_e32 v4, v8
.LBB209_831:
	s_and_b32 s8, s76, 3
	s_cmp_eq_u32 s8, 0
	s_cbranch_scc1 .LBB209_834
; %bb.832:
	s_lshl_b32 s4, s75, 3
	s_add_u32 s4, s34, s4
	s_addc_u32 s5, s35, 0
	s_add_u32 s4, s4, 0xc4
	s_addc_u32 s5, s5, 0
	s_mul_i32 s6, s75, 12
	s_add_u32 s6, s34, s6
	s_addc_u32 s7, s35, 0
.LBB209_833:                            ; =>This Inner Loop Header: Depth=1
	s_load_dwordx2 s[10:11], s[6:7], 0x4
	s_load_dword s9, s[6:7], 0xc
	s_load_dwordx2 s[12:13], s[4:5], 0x0
	v_mov_b32_e32 v2, v1
	s_add_u32 s6, s6, 12
	s_waitcnt lgkmcnt(0)
	v_mul_hi_u32 v1, s11, v4
	v_add_u32_e32 v1, v4, v1
	v_lshrrev_b32_e32 v1, s9, v1
	s_addc_u32 s7, s7, 0
	v_mul_lo_u32 v3, v1, s10
	s_add_u32 s4, s4, 8
	v_sub_u32_e32 v5, v4, v3
	s_addc_u32 s5, s5, 0
	s_add_i32 s8, s8, -1
	v_mov_b32_e32 v4, v1
	v_mad_u64_u32 v[2:3], s[10:11], v5, s13, v[2:3]
	v_mad_u64_u32 v[0:1], s[10:11], v5, s12, v[0:1]
	s_cmp_lg_u32 s8, 0
	v_mov_b32_e32 v1, v2
	s_cbranch_scc1 .LBB209_833
.LBB209_834:
	s_mov_b64 s[4:5], 0
.LBB209_835:
	s_andn2_b64 vcc, exec, s[4:5]
	s_cbranch_vccnz .LBB209_838
; %bb.836:
	s_waitcnt lgkmcnt(0)
	v_mul_hi_u32 v0, s29, v8
	v_add_u32_e32 v0, v8, v0
	s_waitcnt vmcnt(0)
	v_lshrrev_b32_e32 v1, s30, v0
	v_mul_lo_u32 v0, v1, s28
	v_sub_u32_e32 v0, v8, v0
	v_mul_lo_u32 v2, v0, s25
	s_andn2_b64 vcc, exec, s[48:49]
	v_mul_lo_u32 v0, v0, s24
	s_cbranch_vccnz .LBB209_838
; %bb.837:
	v_mul_hi_u32 v3, s46, v1
	v_add_u32_e32 v3, v1, v3
	v_lshrrev_b32_e32 v3, s47, v3
	v_mul_lo_u32 v3, v3, s31
	v_sub_u32_e32 v3, v1, v3
	v_mad_u64_u32 v[0:1], s[4:5], v3, s26, v[0:1]
	v_mad_u64_u32 v[2:3], s[4:5], v3, s27, v[2:3]
.LBB209_838:
	v_mov_b32_e32 v3, 0
	s_and_b32 s14, 0xffff, s74
	s_cmp_lt_i32 s14, 11
	s_waitcnt lgkmcnt(0)
	v_lshl_add_u64 v[2:3], s[22:23], 0, v[2:3]
	s_cbranch_scc1 .LBB209_845
; %bb.839:
	s_cmp_gt_i32 s14, 25
	s_mov_b64 s[6:7], 0
	s_cbranch_scc0 .LBB209_846
; %bb.840:
	s_cmp_gt_i32 s14, 28
	s_cbranch_scc0 .LBB209_847
; %bb.841:
	s_cmp_gt_i32 s14, 43
	;; [unrolled: 3-line block ×3, first 2 shown]
	s_cbranch_scc0 .LBB209_851
; %bb.843:
	s_cmp_eq_u32 s14, 46
	s_mov_b64 s[10:11], 0
	s_cbranch_scc0 .LBB209_854
; %bb.844:
	global_load_dword v1, v[2:3], off
	s_mov_b64 s[4:5], 0
	s_mov_b64 s[8:9], -1
	s_branch .LBB209_855
.LBB209_845:
	s_mov_b64 s[10:11], -1
	s_mov_b64 s[8:9], 0
	s_mov_b64 s[6:7], 0
	;; [unrolled: 1-line block ×3, first 2 shown]
                                        ; implicit-def: $vgpr1
	s_branch .LBB209_918
.LBB209_846:
	s_mov_b64 s[10:11], -1
	s_mov_b64 s[8:9], 0
	s_mov_b64 s[4:5], s[2:3]
                                        ; implicit-def: $vgpr1
	s_branch .LBB209_884
.LBB209_847:
	s_mov_b64 s[10:11], -1
	s_mov_b64 s[8:9], 0
	s_mov_b64 s[4:5], s[2:3]
                                        ; implicit-def: $vgpr1
	s_branch .LBB209_865
.LBB209_848:
	s_mov_b64 s[10:11], -1
	s_mov_b64 s[8:9], 0
	s_mov_b64 s[4:5], s[2:3]
                                        ; implicit-def: $vgpr1
	s_branch .LBB209_860
.LBB209_849:
	s_andn2_saveexec_b64 s[10:11], s[10:11]
	s_cbranch_execz .LBB209_728
.LBB209_850:
	s_mov_b32 s14, 0x46000000
	v_add_f32_e64 v4, |v5|, s14
	v_and_b32_e32 v4, 0xff, v4
	v_cmp_ne_u32_e32 vcc, 0, v4
	s_andn2_b64 s[8:9], s[8:9], exec
	s_and_b64 s[14:15], vcc, exec
	s_or_b64 s[8:9], s[8:9], s[14:15]
	s_or_b64 exec, exec, s[10:11]
	v_mov_b32_e32 v6, 0
	s_and_saveexec_b64 s[10:11], s[8:9]
	s_cbranch_execnz .LBB209_729
	s_branch .LBB209_730
.LBB209_851:
	s_mov_b64 s[10:11], -1
	s_mov_b64 s[8:9], 0
	s_mov_b64 s[4:5], s[2:3]
                                        ; implicit-def: $vgpr1
	s_branch .LBB209_855
.LBB209_852:
	s_andn2_saveexec_b64 s[10:11], s[10:11]
	s_cbranch_execz .LBB209_741
.LBB209_853:
	s_mov_b32 s14, 0x42800000
	v_add_f32_e64 v4, |v5|, s14
	v_and_b32_e32 v4, 0xff, v4
	v_cmp_ne_u32_e32 vcc, 0, v4
	s_andn2_b64 s[8:9], s[8:9], exec
	s_and_b64 s[14:15], vcc, exec
	s_or_b64 s[8:9], s[8:9], s[14:15]
	s_or_b64 exec, exec, s[10:11]
	v_mov_b32_e32 v6, 0
	s_and_saveexec_b64 s[10:11], s[8:9]
	s_cbranch_execnz .LBB209_742
	s_branch .LBB209_743
.LBB209_854:
	s_mov_b64 s[4:5], -1
                                        ; implicit-def: $vgpr1
	s_mov_b64 s[8:9], 0
.LBB209_855:
	s_and_b64 vcc, exec, s[10:11]
	s_cbranch_vccz .LBB209_859
; %bb.856:
	s_cmp_eq_u32 s14, 44
	s_cbranch_scc0 .LBB209_858
; %bb.857:
	global_load_ubyte v1, v[2:3], off
	s_movk_i32 s8, 0xff
	v_mov_b32_e32 v4, 0x7f800001
	v_mov_b32_e32 v5, 0x400000
	;; [unrolled: 1-line block ×3, first 2 shown]
	s_mov_b64 s[4:5], 0
	s_waitcnt vmcnt(0)
	v_lshlrev_b32_e32 v7, 23, v1
	v_cmp_ne_u32_e32 vcc, s8, v1
	s_mov_b64 s[8:9], -1
	s_nop 0
	v_cndmask_b32_e32 v4, v4, v7, vcc
	v_cmp_ne_u32_e32 vcc, 0, v1
	s_nop 1
	v_cndmask_b32_e32 v1, v5, v4, vcc
	v_add_u32_e32 v4, 0x7fff, v1
	v_cmp_o_f32_e32 vcc, v1, v1
	s_nop 1
	v_cndmask_b32_sdwa v1, v6, v4, vcc dst_sel:DWORD dst_unused:UNUSED_PAD src0_sel:DWORD src1_sel:WORD_1
	s_branch .LBB209_859
.LBB209_858:
	s_mov_b64 s[4:5], -1
                                        ; implicit-def: $vgpr1
.LBB209_859:
	s_mov_b64 s[10:11], 0
.LBB209_860:
	s_and_b64 vcc, exec, s[10:11]
	s_cbranch_vccz .LBB209_864
; %bb.861:
	s_cmp_eq_u32 s14, 29
	s_cbranch_scc0 .LBB209_863
; %bb.862:
	global_load_dwordx2 v[4:5], v[2:3], off
	s_movk_i32 s8, 0x7fff
	s_mov_b64 s[4:5], 0
	s_mov_b64 s[10:11], 0
	s_waitcnt vmcnt(0)
	v_ffbh_u32_e32 v1, v5
	v_min_u32_e32 v1, 32, v1
	v_lshlrev_b64 v[4:5], v1, v[4:5]
	v_min_u32_e32 v4, 1, v4
	v_or_b32_e32 v4, v5, v4
	v_cvt_f32_u32_e32 v4, v4
	v_sub_u32_e32 v1, 32, v1
	v_ldexp_f32 v1, v4, v1
	v_bfe_u32 v4, v1, 16, 1
	v_add3_u32 v1, v1, v4, s8
	v_lshrrev_b32_e32 v1, 16, v1
	s_mov_b64 s[8:9], -1
	s_branch .LBB209_865
.LBB209_863:
	s_mov_b64 s[4:5], -1
                                        ; implicit-def: $vgpr1
.LBB209_864:
	s_mov_b64 s[10:11], 0
.LBB209_865:
	s_and_b64 vcc, exec, s[10:11]
	s_cbranch_vccz .LBB209_883
; %bb.866:
	s_cmp_lt_i32 s14, 27
	s_cbranch_scc1 .LBB209_869
; %bb.867:
	s_cmp_gt_i32 s14, 27
	s_cbranch_scc0 .LBB209_870
; %bb.868:
	global_load_dword v1, v[2:3], off
	s_movk_i32 s8, 0x7fff
	s_waitcnt vmcnt(0)
	v_cvt_f32_u32_e32 v1, v1
	v_bfe_u32 v4, v1, 16, 1
	v_add3_u32 v1, v1, v4, s8
	v_lshrrev_b32_e32 v1, 16, v1
	s_mov_b64 s[8:9], 0
	s_branch .LBB209_871
.LBB209_869:
	s_mov_b64 s[8:9], -1
                                        ; implicit-def: $vgpr1
	s_branch .LBB209_874
.LBB209_870:
	s_mov_b64 s[8:9], -1
                                        ; implicit-def: $vgpr1
.LBB209_871:
	s_andn2_b64 vcc, exec, s[8:9]
	s_cbranch_vccnz .LBB209_873
; %bb.872:
	global_load_ushort v1, v[2:3], off
	s_movk_i32 s8, 0x7fff
	s_waitcnt vmcnt(0)
	v_cvt_f32_u32_e32 v1, v1
	v_bfe_u32 v4, v1, 16, 1
	v_add3_u32 v1, v1, v4, s8
	v_lshrrev_b32_e32 v1, 16, v1
.LBB209_873:
	s_mov_b64 s[8:9], 0
.LBB209_874:
	s_andn2_b64 vcc, exec, s[8:9]
	s_cbranch_vccnz .LBB209_882
; %bb.875:
	global_load_ubyte v1, v[2:3], off
	s_movk_i32 s8, 0x7f
	s_waitcnt vmcnt(0)
	v_cmp_lt_i16_e32 vcc, s8, v1
	s_mov_b64 s[8:9], 0
	s_and_saveexec_b64 s[10:11], vcc
	s_xor_b64 s[10:11], exec, s[10:11]
	s_cbranch_execz .LBB209_896
; %bb.876:
	s_movk_i32 s8, 0x80
	v_cmp_eq_u16_e32 vcc, s8, v1
	s_mov_b64 s[8:9], -1
	s_and_saveexec_b64 s[12:13], vcc
; %bb.877:
	s_xor_b64 s[8:9], exec, -1
; %bb.878:
	s_or_b64 exec, exec, s[12:13]
	s_and_b64 s[8:9], s[8:9], exec
	s_or_saveexec_b64 s[10:11], s[10:11]
	v_mov_b32_e32 v4, 0x7f800001
	s_xor_b64 exec, exec, s[10:11]
	s_cbranch_execnz .LBB209_897
.LBB209_879:
	s_or_b64 exec, exec, s[10:11]
	s_and_saveexec_b64 s[10:11], s[8:9]
	s_cbranch_execz .LBB209_881
.LBB209_880:
	v_lshlrev_b32_e32 v4, 24, v1
	v_and_b32_e32 v1, 0xffff, v1
	v_and_b32_e32 v5, 7, v1
	v_ffbh_u32_e32 v7, v5
	v_min_u32_e32 v7, 32, v7
	v_subrev_u32_e32 v8, 28, v7
	v_bfe_u32 v6, v1, 3, 4
	v_lshlrev_b32_e32 v1, v8, v1
	v_sub_u32_e32 v7, 29, v7
	v_and_b32_e32 v1, 7, v1
	v_cmp_eq_u32_e32 vcc, 0, v6
	v_and_b32_e32 v4, 0x80000000, v4
	s_nop 0
	v_cndmask_b32_e32 v6, v6, v7, vcc
	v_cndmask_b32_e32 v1, v5, v1, vcc
	v_mov_b32_e32 v5, 0x3b800000
	v_lshlrev_b32_e32 v1, 20, v1
	v_lshl_add_u32 v5, v6, 23, v5
	v_or3_b32 v4, v4, v5, v1
.LBB209_881:
	s_or_b64 exec, exec, s[10:11]
	v_bfe_u32 v1, v4, 16, 1
	s_movk_i32 s8, 0x7fff
	v_add3_u32 v1, v4, v1, s8
	v_cmp_o_f32_e32 vcc, v4, v4
	v_mov_b32_e32 v4, 0x7fc0
	s_nop 0
	v_cndmask_b32_sdwa v1, v4, v1, vcc dst_sel:DWORD dst_unused:UNUSED_PAD src0_sel:DWORD src1_sel:WORD_1
.LBB209_882:
	s_mov_b64 s[8:9], -1
.LBB209_883:
	s_mov_b64 s[10:11], 0
.LBB209_884:
	s_and_b64 vcc, exec, s[10:11]
	s_cbranch_vccz .LBB209_917
; %bb.885:
	s_cmp_gt_i32 s14, 22
	s_cbranch_scc0 .LBB209_895
; %bb.886:
	s_cmp_lt_i32 s14, 24
	s_cbranch_scc1 .LBB209_898
; %bb.887:
	s_cmp_gt_i32 s14, 24
	s_cbranch_scc0 .LBB209_899
; %bb.888:
	global_load_ubyte v1, v[2:3], off
	s_movk_i32 s6, 0x7f
	s_waitcnt vmcnt(0)
	v_cmp_lt_i16_e32 vcc, s6, v1
	s_mov_b64 s[6:7], 0
	s_and_saveexec_b64 s[8:9], vcc
	s_xor_b64 s[8:9], exec, s[8:9]
	s_cbranch_execz .LBB209_911
; %bb.889:
	s_movk_i32 s6, 0x80
	v_cmp_eq_u16_e32 vcc, s6, v1
	s_mov_b64 s[6:7], -1
	s_and_saveexec_b64 s[10:11], vcc
; %bb.890:
	s_xor_b64 s[6:7], exec, -1
; %bb.891:
	s_or_b64 exec, exec, s[10:11]
	s_and_b64 s[6:7], s[6:7], exec
	s_or_saveexec_b64 s[8:9], s[8:9]
	v_mov_b32_e32 v4, 0x7f800001
	s_xor_b64 exec, exec, s[8:9]
	s_cbranch_execnz .LBB209_912
.LBB209_892:
	s_or_b64 exec, exec, s[8:9]
	s_and_saveexec_b64 s[8:9], s[6:7]
	s_cbranch_execz .LBB209_894
.LBB209_893:
	v_lshlrev_b32_e32 v4, 24, v1
	v_and_b32_e32 v1, 0xffff, v1
	v_and_b32_e32 v5, 3, v1
	v_ffbh_u32_e32 v7, v5
	v_min_u32_e32 v7, 32, v7
	v_subrev_u32_e32 v8, 29, v7
	v_bfe_u32 v6, v1, 2, 5
	v_lshlrev_b32_e32 v1, v8, v1
	v_sub_u32_e32 v7, 30, v7
	v_and_b32_e32 v1, 3, v1
	v_cmp_eq_u32_e32 vcc, 0, v6
	v_and_b32_e32 v4, 0x80000000, v4
	s_nop 0
	v_cndmask_b32_e32 v6, v6, v7, vcc
	v_cndmask_b32_e32 v1, v5, v1, vcc
	v_mov_b32_e32 v5, 0x37800000
	v_lshlrev_b32_e32 v1, 21, v1
	v_lshl_add_u32 v5, v6, 23, v5
	v_or3_b32 v4, v4, v5, v1
.LBB209_894:
	s_or_b64 exec, exec, s[8:9]
	v_bfe_u32 v1, v4, 16, 1
	s_movk_i32 s6, 0x7fff
	v_add3_u32 v1, v4, v1, s6
	v_cmp_o_f32_e32 vcc, v4, v4
	v_mov_b32_e32 v4, 0x7fc0
	s_mov_b64 s[6:7], 0
	v_cndmask_b32_sdwa v1, v4, v1, vcc dst_sel:DWORD dst_unused:UNUSED_PAD src0_sel:DWORD src1_sel:WORD_1
	s_branch .LBB209_900
.LBB209_895:
	s_mov_b64 s[6:7], -1
                                        ; implicit-def: $vgpr1
	s_branch .LBB209_906
.LBB209_896:
	s_or_saveexec_b64 s[10:11], s[10:11]
	v_mov_b32_e32 v4, 0x7f800001
	s_xor_b64 exec, exec, s[10:11]
	s_cbranch_execz .LBB209_879
.LBB209_897:
	v_cmp_ne_u16_e32 vcc, 0, v1
	s_andn2_b64 s[8:9], s[8:9], exec
	s_and_b64 s[12:13], vcc, exec
	v_mov_b32_e32 v4, 0
	s_or_b64 s[8:9], s[8:9], s[12:13]
	s_or_b64 exec, exec, s[10:11]
	s_and_saveexec_b64 s[10:11], s[8:9]
	s_cbranch_execnz .LBB209_880
	s_branch .LBB209_881
.LBB209_898:
	s_mov_b64 s[6:7], -1
                                        ; implicit-def: $vgpr1
	s_branch .LBB209_903
.LBB209_899:
	s_mov_b64 s[6:7], -1
                                        ; implicit-def: $vgpr1
.LBB209_900:
	s_and_b64 vcc, exec, s[6:7]
	s_cbranch_vccz .LBB209_902
; %bb.901:
	global_load_ubyte v1, v[2:3], off
	s_mov_b32 s6, 0x7f800000
	s_brev_b32 s7, 1
	s_movk_i32 s8, 0x7fff
	s_waitcnt vmcnt(0)
	v_lshlrev_b32_e32 v1, 24, v1
	v_and_b32_e32 v4, 0x7f000000, v1
	v_ffbh_u32_e32 v5, v4
	v_min_u32_e32 v5, 32, v5
	v_sub_u32_e64 v5, v5, 4 clamp
	v_lshlrev_b32_e32 v7, v5, v4
	v_lshlrev_b32_e32 v5, 23, v5
	v_lshrrev_b32_e32 v7, 4, v7
	v_add_u32_e32 v6, 0x1000000, v4
	v_sub_u32_e32 v5, v7, v5
	v_ashrrev_i32_e32 v6, 8, v6
	v_add_u32_e32 v5, 0x3c000000, v5
	v_and_or_b32 v5, v6, s6, v5
	v_cmp_ne_u32_e32 vcc, 0, v4
	s_nop 1
	v_cndmask_b32_e32 v4, 0, v5, vcc
	v_and_or_b32 v1, v1, s7, v4
	v_bfe_u32 v4, v4, 16, 1
	v_add3_u32 v4, v1, v4, s8
	v_cmp_o_f32_e32 vcc, v1, v1
	v_mov_b32_e32 v1, 0x7fc0
	s_nop 0
	v_cndmask_b32_sdwa v1, v1, v4, vcc dst_sel:DWORD dst_unused:UNUSED_PAD src0_sel:DWORD src1_sel:WORD_1
.LBB209_902:
	s_mov_b64 s[6:7], 0
.LBB209_903:
	s_andn2_b64 vcc, exec, s[6:7]
	s_cbranch_vccnz .LBB209_905
; %bb.904:
	global_load_ubyte v1, v[2:3], off
	s_movk_i32 s6, 0x7f00
	s_brev_b32 s7, 16
	s_brev_b32 s8, 1
	s_movk_i32 s9, 0x7fff
	s_waitcnt vmcnt(0)
	v_lshlrev_b16_e32 v4, 8, v1
	v_lshlrev_b32_e32 v1, 25, v1
	v_lshrrev_b32_e32 v5, 4, v1
	v_and_or_b32 v6, v4, s6, 0.5
	v_or_b32_e32 v5, 0x70000000, v5
	v_add_f32_e32 v6, -0.5, v6
	v_mul_f32_e32 v5, 0x7800000, v5
	v_cmp_gt_u32_e32 vcc, s7, v1
	v_bfe_i32 v4, v4, 0, 16
	s_nop 0
	v_cndmask_b32_e32 v1, v5, v6, vcc
	v_and_or_b32 v4, v4, s8, v1
	v_bfe_u32 v1, v1, 16, 1
	v_add3_u32 v1, v4, v1, s9
	v_cmp_o_f32_e32 vcc, v4, v4
	v_mov_b32_e32 v4, 0x7fc0
	s_nop 0
	v_cndmask_b32_sdwa v1, v4, v1, vcc dst_sel:DWORD dst_unused:UNUSED_PAD src0_sel:DWORD src1_sel:WORD_1
.LBB209_905:
	s_mov_b64 s[6:7], 0
	s_mov_b64 s[8:9], -1
.LBB209_906:
	s_andn2_b64 vcc, exec, s[6:7]
	s_mov_b64 s[6:7], 0
	s_cbranch_vccnz .LBB209_917
; %bb.907:
	s_cmp_gt_i32 s14, 14
	s_cbranch_scc0 .LBB209_910
; %bb.908:
	s_cmp_eq_u32 s14, 15
	s_cbranch_scc0 .LBB209_913
; %bb.909:
	global_load_ushort v1, v[2:3], off
	s_mov_b64 s[4:5], 0
	s_mov_b64 s[8:9], -1
	s_branch .LBB209_914
.LBB209_910:
	s_mov_b64 s[10:11], -1
                                        ; implicit-def: $vgpr1
	s_branch .LBB209_915
.LBB209_911:
	s_or_saveexec_b64 s[8:9], s[8:9]
	v_mov_b32_e32 v4, 0x7f800001
	s_xor_b64 exec, exec, s[8:9]
	s_cbranch_execz .LBB209_892
.LBB209_912:
	v_cmp_ne_u16_e32 vcc, 0, v1
	s_andn2_b64 s[6:7], s[6:7], exec
	s_and_b64 s[10:11], vcc, exec
	v_mov_b32_e32 v4, 0
	s_or_b64 s[6:7], s[6:7], s[10:11]
	s_or_b64 exec, exec, s[8:9]
	s_and_saveexec_b64 s[8:9], s[6:7]
	s_cbranch_execnz .LBB209_893
	s_branch .LBB209_894
.LBB209_913:
	s_mov_b64 s[4:5], -1
                                        ; implicit-def: $vgpr1
.LBB209_914:
	s_mov_b64 s[10:11], 0
.LBB209_915:
	s_and_b64 vcc, exec, s[10:11]
	s_cbranch_vccz .LBB209_917
; %bb.916:
	s_cmp_lg_u32 s14, 11
	s_cselect_b64 s[10:11], -1, 0
	s_andn2_b64 s[4:5], s[4:5], exec
	s_and_b64 s[10:11], s[10:11], exec
	s_mov_b64 s[6:7], -1
	s_or_b64 s[4:5], s[4:5], s[10:11]
.LBB209_917:
	s_mov_b64 s[10:11], 0
.LBB209_918:
	s_andn2_b64 s[12:13], s[2:3], exec
	s_and_b64 s[4:5], s[4:5], exec
	s_and_b64 s[8:9], s[8:9], exec
	;; [unrolled: 1-line block ×4, first 2 shown]
	s_or_b64 s[12:13], s[12:13], s[4:5]
.LBB209_919:
	s_or_b64 exec, exec, s[70:71]
	s_and_b64 s[4:5], s[6:7], exec
	s_andn2_b64 s[2:3], s[2:3], exec
	s_and_b64 s[6:7], s[12:13], exec
	s_and_b64 s[8:9], s[8:9], exec
	;; [unrolled: 1-line block ×3, first 2 shown]
	s_or_b64 s[2:3], s[2:3], s[6:7]
.LBB209_920:
	s_or_b64 exec, exec, s[66:67]
	s_andn2_b64 s[6:7], s[62:63], exec
	s_and_b64 s[12:13], s[68:69], exec
	s_or_b64 s[62:63], s[6:7], s[12:13]
	s_and_b64 s[6:7], s[10:11], exec
	s_andn2_b64 s[10:11], s[60:61], exec
	s_and_b64 s[2:3], s[2:3], exec
	s_and_b64 s[8:9], s[8:9], exec
	s_and_b64 s[4:5], s[4:5], exec
	s_or_b64 s[60:61], s[10:11], s[2:3]
.LBB209_921:
	s_or_b64 exec, exec, s[64:65]
	s_andn2_b64 s[2:3], s[54:55], exec
	s_and_b64 s[10:11], s[62:63], exec
	s_or_b64 s[54:55], s[2:3], s[10:11]
	s_and_b64 s[2:3], s[8:9], exec
	s_and_b64 s[8:9], s[6:7], exec
	;; [unrolled: 1-line block ×3, first 2 shown]
	s_andn2_b64 s[4:5], s[56:57], exec
	s_and_b64 s[6:7], s[60:61], exec
	s_or_b64 s[56:57], s[4:5], s[6:7]
	s_or_b64 exec, exec, s[58:59]
	s_mov_b64 s[4:5], 0
	s_and_saveexec_b64 s[6:7], s[56:57]
	s_cbranch_execz .LBB209_276
.LBB209_922:
	s_mov_b64 s[4:5], exec
	s_andn2_b64 s[62:63], s[62:63], exec
	s_trap 2
	s_or_b64 exec, exec, s[6:7]
	s_and_saveexec_b64 s[6:7], s[62:63]
	s_xor_b64 s[6:7], exec, s[6:7]
	s_cbranch_execnz .LBB209_277
.LBB209_923:
	s_or_b64 exec, exec, s[6:7]
	s_and_saveexec_b64 s[6:7], s[8:9]
	s_cbranch_execz .LBB209_969
.LBB209_924:
	s_sext_i32_i16 s8, s74
	s_cmp_lt_i32 s8, 5
	s_cbranch_scc1 .LBB209_929
; %bb.925:
	s_cmp_lt_i32 s8, 8
	s_cbranch_scc1 .LBB209_930
; %bb.926:
	;; [unrolled: 3-line block ×3, first 2 shown]
	s_cmp_gt_i32 s8, 9
	s_cbranch_scc0 .LBB209_932
; %bb.928:
	global_load_dwordx2 v[4:5], v[2:3], off
	s_movk_i32 s8, 0x7fff
	s_waitcnt vmcnt(1)
	v_mov_b32_e32 v1, 0x7fc0
	s_waitcnt vmcnt(0)
	v_cvt_f32_f64_e32 v4, v[4:5]
	v_bfe_u32 v5, v4, 16, 1
	v_cmp_o_f32_e32 vcc, v4, v4
	v_add3_u32 v4, v4, v5, s8
	s_mov_b64 s[8:9], 0
	v_cndmask_b32_sdwa v1, v1, v4, vcc dst_sel:DWORD dst_unused:UNUSED_PAD src0_sel:DWORD src1_sel:WORD_1
	s_branch .LBB209_933
.LBB209_929:
                                        ; implicit-def: $vgpr1
	s_branch .LBB209_950
.LBB209_930:
                                        ; implicit-def: $vgpr1
	s_branch .LBB209_939
.LBB209_931:
	s_mov_b64 s[8:9], -1
                                        ; implicit-def: $vgpr1
	s_branch .LBB209_936
.LBB209_932:
	s_mov_b64 s[8:9], -1
                                        ; implicit-def: $vgpr1
.LBB209_933:
	s_andn2_b64 vcc, exec, s[8:9]
	s_cbranch_vccnz .LBB209_935
; %bb.934:
	global_load_dword v1, v[2:3], off
	s_movk_i32 s8, 0x7fff
	v_mov_b32_e32 v4, 0x7fc0
	s_waitcnt vmcnt(0)
	v_bfe_u32 v5, v1, 16, 1
	v_cmp_o_f32_e32 vcc, v1, v1
	v_add3_u32 v1, v1, v5, s8
	s_nop 0
	v_cndmask_b32_sdwa v1, v4, v1, vcc dst_sel:DWORD dst_unused:UNUSED_PAD src0_sel:DWORD src1_sel:WORD_1
.LBB209_935:
	s_mov_b64 s[8:9], 0
.LBB209_936:
	s_andn2_b64 vcc, exec, s[8:9]
	s_cbranch_vccnz .LBB209_938
; %bb.937:
	global_load_dword v1, v[2:3], off
	s_movk_i32 s8, 0x7fff
	v_mov_b32_e32 v5, 0x7fc0
	s_waitcnt vmcnt(0)
	v_cvt_f32_f16_e32 v4, v1
	v_cmp_o_f16_e32 vcc, v1, v1
	v_bfe_u32 v1, v4, 16, 1
	v_add3_u32 v1, v4, v1, s8
	v_cndmask_b32_sdwa v1, v5, v1, vcc dst_sel:DWORD dst_unused:UNUSED_PAD src0_sel:DWORD src1_sel:WORD_1
.LBB209_938:
	s_cbranch_execnz .LBB209_949
.LBB209_939:
	s_sext_i32_i16 s8, s74
	s_cmp_lt_i32 s8, 6
	s_cbranch_scc1 .LBB209_942
; %bb.940:
	s_cmp_gt_i32 s8, 6
	s_cbranch_scc0 .LBB209_943
; %bb.941:
	global_load_dwordx2 v[4:5], v[2:3], off
	s_movk_i32 s8, 0x7fff
	s_waitcnt vmcnt(1)
	v_mov_b32_e32 v1, 0x7fc0
	s_waitcnt vmcnt(0)
	v_cvt_f32_f64_e32 v4, v[4:5]
	v_bfe_u32 v5, v4, 16, 1
	v_cmp_o_f32_e32 vcc, v4, v4
	v_add3_u32 v4, v4, v5, s8
	s_mov_b64 s[8:9], 0
	v_cndmask_b32_sdwa v1, v1, v4, vcc dst_sel:DWORD dst_unused:UNUSED_PAD src0_sel:DWORD src1_sel:WORD_1
	s_branch .LBB209_944
.LBB209_942:
	s_mov_b64 s[8:9], -1
                                        ; implicit-def: $vgpr1
	s_branch .LBB209_947
.LBB209_943:
	s_mov_b64 s[8:9], -1
                                        ; implicit-def: $vgpr1
.LBB209_944:
	s_andn2_b64 vcc, exec, s[8:9]
	s_cbranch_vccnz .LBB209_946
; %bb.945:
	global_load_dword v1, v[2:3], off
	s_movk_i32 s8, 0x7fff
	v_mov_b32_e32 v4, 0x7fc0
	s_waitcnt vmcnt(0)
	v_bfe_u32 v5, v1, 16, 1
	v_cmp_o_f32_e32 vcc, v1, v1
	v_add3_u32 v1, v1, v5, s8
	s_nop 0
	v_cndmask_b32_sdwa v1, v4, v1, vcc dst_sel:DWORD dst_unused:UNUSED_PAD src0_sel:DWORD src1_sel:WORD_1
.LBB209_946:
	s_mov_b64 s[8:9], 0
.LBB209_947:
	s_andn2_b64 vcc, exec, s[8:9]
	s_cbranch_vccnz .LBB209_949
; %bb.948:
	global_load_ushort v1, v[2:3], off
	s_movk_i32 s8, 0x7fff
	v_mov_b32_e32 v5, 0x7fc0
	s_waitcnt vmcnt(0)
	v_cvt_f32_f16_e32 v4, v1
	v_cmp_o_f16_e32 vcc, v1, v1
	v_bfe_u32 v1, v4, 16, 1
	v_add3_u32 v1, v4, v1, s8
	v_cndmask_b32_sdwa v1, v5, v1, vcc dst_sel:DWORD dst_unused:UNUSED_PAD src0_sel:DWORD src1_sel:WORD_1
.LBB209_949:
	s_cbranch_execnz .LBB209_968
.LBB209_950:
	s_sext_i32_i16 s8, s74
	s_cmp_lt_i32 s8, 2
	s_cbranch_scc1 .LBB209_954
; %bb.951:
	s_cmp_lt_i32 s8, 3
	s_cbranch_scc1 .LBB209_955
; %bb.952:
	s_cmp_gt_i32 s8, 3
	s_cbranch_scc0 .LBB209_956
; %bb.953:
	global_load_dwordx2 v[4:5], v[2:3], off
	s_movk_i32 s8, 0x7fff
	s_waitcnt vmcnt(0)
	v_xor_b32_e32 v6, v4, v5
	v_ffbh_i32_e32 v1, v5
	v_ashrrev_i32_e32 v6, 31, v6
	v_add_u32_e32 v1, -1, v1
	v_add_u32_e32 v6, 32, v6
	v_min_u32_e32 v1, v1, v6
	v_lshlrev_b64 v[4:5], v1, v[4:5]
	v_min_u32_e32 v4, 1, v4
	v_or_b32_e32 v4, v5, v4
	v_cvt_f32_i32_e32 v4, v4
	v_sub_u32_e32 v1, 32, v1
	v_ldexp_f32 v1, v4, v1
	v_bfe_u32 v4, v1, 16, 1
	v_add3_u32 v1, v1, v4, s8
	v_lshrrev_b32_e32 v1, 16, v1
	s_mov_b64 s[8:9], 0
	s_branch .LBB209_957
.LBB209_954:
                                        ; implicit-def: $vgpr1
	s_branch .LBB209_963
.LBB209_955:
	s_mov_b64 s[8:9], -1
                                        ; implicit-def: $vgpr1
	s_branch .LBB209_960
.LBB209_956:
	s_mov_b64 s[8:9], -1
                                        ; implicit-def: $vgpr1
.LBB209_957:
	s_andn2_b64 vcc, exec, s[8:9]
	s_cbranch_vccnz .LBB209_959
; %bb.958:
	global_load_dword v1, v[2:3], off
	s_movk_i32 s8, 0x7fff
	s_waitcnt vmcnt(0)
	v_cvt_f32_i32_e32 v1, v1
	v_bfe_u32 v4, v1, 16, 1
	v_add3_u32 v1, v1, v4, s8
	v_lshrrev_b32_e32 v1, 16, v1
.LBB209_959:
	s_mov_b64 s[8:9], 0
.LBB209_960:
	s_andn2_b64 vcc, exec, s[8:9]
	s_cbranch_vccnz .LBB209_962
; %bb.961:
	global_load_sshort v1, v[2:3], off
	s_movk_i32 s8, 0x7fff
	s_waitcnt vmcnt(0)
	v_cvt_f32_i32_e32 v1, v1
	v_bfe_u32 v4, v1, 16, 1
	v_add3_u32 v1, v1, v4, s8
	v_lshrrev_b32_e32 v1, 16, v1
.LBB209_962:
	s_cbranch_execnz .LBB209_968
.LBB209_963:
	s_sext_i32_i16 s8, s74
	s_cmp_gt_i32 s8, 0
	s_cbranch_scc0 .LBB209_965
; %bb.964:
	global_load_sbyte v1, v[2:3], off
	s_movk_i32 s8, 0x7fff
	s_waitcnt vmcnt(0)
	v_cvt_f32_i32_e32 v1, v1
	v_bfe_u32 v4, v1, 16, 1
	v_add3_u32 v1, v1, v4, s8
	v_lshrrev_b32_e32 v1, 16, v1
	s_mov_b64 s[8:9], 0
	s_branch .LBB209_966
.LBB209_965:
	s_mov_b64 s[8:9], -1
                                        ; implicit-def: $vgpr1
.LBB209_966:
	s_andn2_b64 vcc, exec, s[8:9]
	s_cbranch_vccnz .LBB209_968
; %bb.967:
	global_load_ubyte v1, v[2:3], off
	s_movk_i32 s8, 0x7fff
	s_waitcnt vmcnt(0)
	v_cvt_f32_ubyte0_e32 v1, v1
	v_bfe_u32 v2, v1, 16, 1
	v_add3_u32 v1, v1, v2, s8
	v_lshrrev_b32_e32 v1, 16, v1
.LBB209_968:
	s_or_b64 s[2:3], s[2:3], exec
.LBB209_969:
	s_or_b64 exec, exec, s[6:7]
	s_mov_b64 s[10:11], 0
	s_mov_b64 s[8:9], 0
                                        ; implicit-def: $sgpr16
                                        ; implicit-def: $vgpr2_vgpr3
                                        ; implicit-def: $vgpr4
	s_and_saveexec_b64 s[6:7], s[2:3]
	s_cbranch_execz .LBB209_987
; %bb.970:
	s_waitcnt vmcnt(0)
	v_lshlrev_b32_e32 v1, 16, v1
	v_cvt_f64_f32_e32 v[2:3], v1
	v_rsq_f64_e32 v[4:5], v[2:3]
	s_mov_b32 s2, 0
	s_mov_b32 s3, 0x3fd80000
	v_mov_b32_e32 v1, 0x180
	v_mul_f64 v[2:3], v[4:5], -v[2:3]
	v_fma_f64 v[2:3], v[2:3], v[4:5], 1.0
	v_mul_f64 v[6:7], v[4:5], v[2:3]
	v_fma_f64 v[2:3], v[2:3], s[2:3], 0.5
	v_fma_f64 v[2:3], v[6:7], v[2:3], v[4:5]
	v_cmp_class_f64_e32 vcc, v[4:5], v1
	s_movk_i32 s2, 0x7fff
	s_and_b32 s16, s73, 0xff
	v_cndmask_b32_e32 v3, v5, v3, vcc
	v_cndmask_b32_e32 v2, v4, v2, vcc
	v_cvt_f32_f64_e32 v1, v[2:3]
	v_bfe_u32 v2, v1, 16, 1
	v_add3_u32 v2, v1, v2, s2
	v_cmp_o_f32_e32 vcc, v1, v1
	v_mov_b32_e32 v1, 0x7fc0
	s_cmp_lt_i32 s16, 11
	v_cndmask_b32_sdwa v4, v1, v2, vcc dst_sel:DWORD dst_unused:UNUSED_PAD src0_sel:DWORD src1_sel:WORD_1
	v_mov_b32_e32 v1, 0
	s_waitcnt lgkmcnt(0)
	v_lshl_add_u64 v[2:3], s[20:21], 0, v[0:1]
	s_cbranch_scc1 .LBB209_990
; %bb.971:
	s_and_b32 s17, 0xffff, s16
	s_mov_b64 s[10:11], -1
	s_cmp_gt_i32 s17, 25
	s_mov_b64 s[2:3], s[54:55]
	s_cbranch_scc0 .LBB209_1008
; %bb.972:
	s_mov_b64 s[8:9], -1
	s_cmp_gt_i32 s17, 28
	s_mov_b64 s[2:3], s[54:55]
	s_cbranch_scc0 .LBB209_992
; %bb.973:
	s_cmp_gt_i32 s17, 43
	s_mov_b64 s[2:3], s[54:55]
	s_cbranch_scc0 .LBB209_984
; %bb.974:
	;; [unrolled: 4-line block ×3, first 2 shown]
	s_cmp_eq_u32 s17, 46
	s_mov_b64 s[2:3], -1
	s_cbranch_scc0 .LBB209_977
; %bb.976:
	v_and_b32_e32 v0, 0xffff, v4
	global_store_dword v[2:3], v0, off
	s_mov_b64 s[2:3], 0
.LBB209_977:
	s_mov_b64 s[8:9], 0
.LBB209_978:
	s_and_b64 vcc, exec, s[8:9]
	s_cbranch_vccz .LBB209_983
; %bb.979:
	s_cmp_eq_u32 s17, 44
	s_mov_b64 s[2:3], -1
	s_cbranch_scc0 .LBB209_983
; %bb.980:
	v_and_b32_e32 v1, 0xffff, v4
	v_bfe_u32 v0, v1, 7, 8
	s_movk_i32 s2, 0xff
	v_cmp_ne_u32_e32 vcc, s2, v0
	v_mov_b32_e32 v5, 0xff
	s_and_saveexec_b64 s[8:9], vcc
	s_cbranch_execz .LBB209_982
; %bb.981:
	v_lshlrev_b32_e32 v6, 16, v1
	s_mov_b32 s2, 0x3f0000
	v_lshrrev_b32_e32 v5, 7, v1
	v_and_b32_e32 v1, 64, v1
	v_and_or_b32 v0, v6, s2, v0
	v_cmp_ne_u32_e32 vcc, 0, v1
	v_cmp_ne_u32_e64 s[2:3], 0, v0
	s_and_b64 s[2:3], vcc, s[2:3]
	s_nop 0
	v_cndmask_b32_e64 v0, 0, 1, s[2:3]
	v_add_u32_e32 v5, v5, v0
.LBB209_982:
	s_or_b64 exec, exec, s[8:9]
	s_mov_b64 s[2:3], 0
	global_store_byte v[2:3], v5, off
.LBB209_983:
	s_mov_b64 s[8:9], 0
.LBB209_984:
	s_and_b64 vcc, exec, s[8:9]
	s_cbranch_vccz .LBB209_991
; %bb.985:
	s_cmp_eq_u32 s17, 29
	s_mov_b64 s[2:3], -1
	s_cbranch_scc0 .LBB209_991
; %bb.986:
	v_lshlrev_b32_e32 v0, 16, v4
	v_trunc_f32_e32 v0, v0
	v_mul_f32_e32 v1, 0x2f800000, v0
	v_floor_f32_e32 v5, v1
	v_fmamk_f32 v0, v5, 0xcf800000, v0
	v_cvt_u32_f32_e32 v1, v5
	v_cvt_u32_f32_e32 v0, v0
	s_mov_b64 s[2:3], 0
	s_mov_b64 s[8:9], 0
	global_store_dwordx2 v[2:3], v[0:1], off
	s_branch .LBB209_992
.LBB209_987:
	s_or_b64 exec, exec, s[6:7]
	s_and_saveexec_b64 s[2:3], s[54:55]
	s_cbranch_execnz .LBB209_1050
.LBB209_988:
	s_or_b64 exec, exec, s[2:3]
	s_and_saveexec_b64 s[2:3], s[10:11]
	s_xor_b64 s[2:3], exec, s[2:3]
	s_cbranch_execz .LBB209_1051
.LBB209_989:
	v_and_b32_e32 v0, 0x7fff, v4
	v_cmp_ne_u16_e32 vcc, 0, v0
	s_nop 1
	v_cndmask_b32_e64 v0, 0, 1, vcc
	global_store_byte v[2:3], v0, off
	s_or_b64 exec, exec, s[2:3]
	s_and_saveexec_b64 s[2:3], s[8:9]
	s_xor_b64 s[2:3], exec, s[2:3]
	s_cbranch_execz .LBB209_1089
	s_branch .LBB209_1052
.LBB209_990:
	s_mov_b64 s[8:9], -1
	s_mov_b64 s[2:3], s[54:55]
	s_branch .LBB209_1049
.LBB209_991:
	s_mov_b64 s[8:9], 0
.LBB209_992:
	s_and_b64 vcc, exec, s[8:9]
	s_cbranch_vccz .LBB209_1007
; %bb.993:
	s_cmp_lt_i32 s17, 27
	s_mov_b64 s[8:9], -1
	s_cbranch_scc1 .LBB209_999
; %bb.994:
	s_cmp_gt_i32 s17, 27
	s_cbranch_scc0 .LBB209_996
; %bb.995:
	v_lshlrev_b32_e32 v0, 16, v4
	v_cvt_u32_f32_e32 v0, v0
	s_mov_b64 s[8:9], 0
	global_store_dword v[2:3], v0, off
.LBB209_996:
	s_andn2_b64 vcc, exec, s[8:9]
	s_cbranch_vccnz .LBB209_998
; %bb.997:
	v_lshlrev_b32_e32 v0, 16, v4
	v_cvt_u32_f32_e32 v0, v0
	global_store_short v[2:3], v0, off
.LBB209_998:
	s_mov_b64 s[8:9], 0
.LBB209_999:
	s_andn2_b64 vcc, exec, s[8:9]
	s_cbranch_vccnz .LBB209_1007
; %bb.1000:
	v_lshlrev_b32_e32 v5, 16, v4
	v_and_b32_e32 v1, 0x7fffffff, v5
	s_mov_b32 s8, 0x43800000
	v_cmp_gt_u32_e32 vcc, s8, v1
	v_mov_b32_e32 v6, 0x80
	s_and_saveexec_b64 s[8:9], vcc
	s_cbranch_execz .LBB209_1006
; %bb.1001:
	s_mov_b32 s10, 0x3bffffff
	v_and_b32_e32 v0, 0xffff, v4
	v_cmp_lt_u32_e32 vcc, s10, v1
	s_mov_b64 s[10:11], 0
                                        ; implicit-def: $vgpr1
	s_and_saveexec_b64 s[12:13], vcc
	s_xor_b64 s[12:13], exec, s[12:13]
	s_cbranch_execz .LBB209_1160
; %bb.1002:
	v_bfe_u32 v1, v0, 4, 1
	s_mov_b32 s14, 0x487ffff
	v_add3_u32 v1, v5, v1, s14
	s_mov_b64 s[10:11], exec
	v_lshrrev_b32_e32 v1, 20, v1
                                        ; implicit-def: $vgpr5
	s_andn2_saveexec_b64 s[12:13], s[12:13]
	s_cbranch_execnz .LBB209_1161
.LBB209_1003:
	s_or_b64 exec, exec, s[12:13]
	v_mov_b32_e32 v6, 0
	s_and_saveexec_b64 s[12:13], s[10:11]
.LBB209_1004:
	v_lshrrev_b32_e32 v0, 8, v0
	s_movk_i32 s10, 0x80
	v_and_or_b32 v6, v0, s10, v1
.LBB209_1005:
	s_or_b64 exec, exec, s[12:13]
.LBB209_1006:
	s_or_b64 exec, exec, s[8:9]
	global_store_byte v[2:3], v6, off
.LBB209_1007:
	s_mov_b64 s[10:11], 0
.LBB209_1008:
	s_mov_b64 s[8:9], 0
	s_and_b64 vcc, exec, s[10:11]
	s_cbranch_vccz .LBB209_1048
; %bb.1009:
	s_cmp_gt_i32 s17, 22
	s_mov_b64 s[10:11], -1
	s_cbranch_scc0 .LBB209_1041
; %bb.1010:
	s_cmp_lt_i32 s17, 24
	s_cbranch_scc1 .LBB209_1030
; %bb.1011:
	s_cmp_gt_i32 s17, 24
	s_cbranch_scc0 .LBB209_1019
; %bb.1012:
	v_lshlrev_b32_e32 v5, 16, v4
	v_and_b32_e32 v1, 0x7fffffff, v5
	s_mov_b32 s10, 0x47800000
	v_cmp_gt_u32_e32 vcc, s10, v1
	v_mov_b32_e32 v6, 0x80
	s_and_saveexec_b64 s[10:11], vcc
	s_cbranch_execz .LBB209_1018
; %bb.1013:
	s_mov_b32 s12, 0x37ffffff
	v_and_b32_e32 v0, 0xffff, v4
	v_cmp_lt_u32_e32 vcc, s12, v1
	s_mov_b64 s[12:13], 0
                                        ; implicit-def: $vgpr1
	s_and_saveexec_b64 s[14:15], vcc
	s_xor_b64 s[14:15], exec, s[14:15]
	s_cbranch_execz .LBB209_1284
; %bb.1014:
	v_bfe_u32 v1, v0, 5, 1
	s_mov_b32 s18, 0x88fffff
	v_add3_u32 v1, v5, v1, s18
	s_mov_b64 s[12:13], exec
	v_lshrrev_b32_e32 v1, 21, v1
                                        ; implicit-def: $vgpr5
	s_andn2_saveexec_b64 s[14:15], s[14:15]
	s_cbranch_execnz .LBB209_1285
.LBB209_1015:
	s_or_b64 exec, exec, s[14:15]
	v_mov_b32_e32 v6, 0
	s_and_saveexec_b64 s[14:15], s[12:13]
.LBB209_1016:
	v_lshrrev_b32_e32 v0, 8, v0
	s_movk_i32 s12, 0x80
	v_and_or_b32 v6, v0, s12, v1
.LBB209_1017:
	s_or_b64 exec, exec, s[14:15]
.LBB209_1018:
	s_or_b64 exec, exec, s[10:11]
	s_mov_b64 s[10:11], 0
	global_store_byte v[2:3], v6, off
.LBB209_1019:
	s_and_b64 vcc, exec, s[10:11]
	s_cbranch_vccz .LBB209_1029
; %bb.1020:
	v_lshlrev_b32_e32 v5, 16, v4
	v_and_b32_e32 v6, 0x7fffffff, v5
	s_mov_b32 s10, 0x43f00000
	v_and_b32_e32 v0, 0xffff, v4
	v_cmp_gt_u32_e32 vcc, s10, v6
                                        ; implicit-def: $vgpr1
	s_and_saveexec_b64 s[10:11], vcc
	s_xor_b64 s[10:11], exec, s[10:11]
	s_cbranch_execz .LBB209_1026
; %bb.1021:
	s_mov_b32 s12, 0x3c7fffff
	v_cmp_lt_u32_e32 vcc, s12, v6
                                        ; implicit-def: $vgpr1
	s_and_saveexec_b64 s[12:13], vcc
	s_xor_b64 s[12:13], exec, s[12:13]
; %bb.1022:
	v_bfe_u32 v1, v0, 4, 1
	s_mov_b32 s14, 0x407ffff
	v_add3_u32 v1, v5, v1, s14
	v_lshrrev_b32_e32 v5, 20, v1
	v_and_b32_e32 v1, 0xff00000, v1
	s_mov_b32 s14, 0x7f00000
	v_mov_b32_e32 v6, 0x7e
	v_cmp_ne_u32_e32 vcc, s14, v1
	s_nop 1
	v_cndmask_b32_e32 v1, v6, v5, vcc
                                        ; implicit-def: $vgpr5
; %bb.1023:
	s_andn2_saveexec_b64 s[12:13], s[12:13]
; %bb.1024:
	s_mov_b32 s14, 0x46800000
	v_add_f32_e64 v1, |v5|, s14
; %bb.1025:
	s_or_b64 exec, exec, s[12:13]
                                        ; implicit-def: $vgpr6
.LBB209_1026:
	s_andn2_saveexec_b64 s[10:11], s[10:11]
; %bb.1027:
	s_mov_b32 s12, 0x7f800000
	v_mov_b32_e32 v1, 0x7e
	v_mov_b32_e32 v5, 0x7f
	v_cmp_lt_u32_e32 vcc, s12, v6
	s_nop 1
	v_cndmask_b32_e32 v1, v1, v5, vcc
; %bb.1028:
	s_or_b64 exec, exec, s[10:11]
	v_lshrrev_b32_e32 v0, 8, v0
	s_movk_i32 s10, 0x80
	v_and_or_b32 v0, v0, s10, v1
	global_store_byte v[2:3], v0, off
.LBB209_1029:
	s_mov_b64 s[10:11], 0
.LBB209_1030:
	s_andn2_b64 vcc, exec, s[10:11]
	s_cbranch_vccnz .LBB209_1040
; %bb.1031:
	v_lshlrev_b32_e32 v5, 16, v4
	v_and_b32_e32 v6, 0x7fffffff, v5
	s_mov_b32 s10, 0x47800000
	v_and_b32_e32 v0, 0xffff, v4
	v_cmp_gt_u32_e32 vcc, s10, v6
                                        ; implicit-def: $vgpr1
	s_and_saveexec_b64 s[10:11], vcc
	s_xor_b64 s[10:11], exec, s[10:11]
	s_cbranch_execz .LBB209_1037
; %bb.1032:
	s_mov_b32 s12, 0x387fffff
	v_cmp_lt_u32_e32 vcc, s12, v6
                                        ; implicit-def: $vgpr1
	s_and_saveexec_b64 s[12:13], vcc
	s_xor_b64 s[12:13], exec, s[12:13]
; %bb.1033:
	v_bfe_u32 v1, v0, 5, 1
	s_mov_b32 s14, 0x80fffff
	v_add3_u32 v1, v5, v1, s14
	v_lshrrev_b32_e32 v1, 21, v1
                                        ; implicit-def: $vgpr5
; %bb.1034:
	s_andn2_saveexec_b64 s[12:13], s[12:13]
; %bb.1035:
	s_mov_b32 s14, 0x43000000
	v_add_f32_e64 v1, |v5|, s14
; %bb.1036:
	s_or_b64 exec, exec, s[12:13]
                                        ; implicit-def: $vgpr6
.LBB209_1037:
	s_andn2_saveexec_b64 s[10:11], s[10:11]
; %bb.1038:
	s_mov_b32 s12, 0x7f800000
	v_mov_b32_e32 v1, 0x7c
	v_mov_b32_e32 v5, 0x7f
	v_cmp_lt_u32_e32 vcc, s12, v6
	s_nop 1
	v_cndmask_b32_e32 v1, v1, v5, vcc
; %bb.1039:
	s_or_b64 exec, exec, s[10:11]
	v_lshrrev_b32_e32 v0, 8, v0
	s_movk_i32 s10, 0x80
	v_and_or_b32 v0, v0, s10, v1
	global_store_byte v[2:3], v0, off
.LBB209_1040:
	s_mov_b64 s[10:11], 0
.LBB209_1041:
	s_andn2_b64 vcc, exec, s[10:11]
	s_mov_b64 s[10:11], 0
	s_cbranch_vccnz .LBB209_1049
; %bb.1042:
	s_cmp_gt_i32 s17, 14
	s_mov_b64 s[12:13], -1
	s_cbranch_scc0 .LBB209_1046
; %bb.1043:
	s_cmp_eq_u32 s17, 15
	s_mov_b64 s[2:3], -1
	s_cbranch_scc0 .LBB209_1045
; %bb.1044:
	global_store_short v[2:3], v4, off
	s_mov_b64 s[2:3], 0
.LBB209_1045:
	s_mov_b64 s[12:13], 0
.LBB209_1046:
	s_and_b64 vcc, exec, s[12:13]
	s_cbranch_vccz .LBB209_1049
; %bb.1047:
	s_cmp_lg_u32 s17, 11
	s_cselect_b64 s[12:13], -1, 0
	s_andn2_b64 s[2:3], s[2:3], exec
	s_and_b64 s[12:13], s[12:13], exec
	s_mov_b64 s[10:11], -1
	s_or_b64 s[2:3], s[2:3], s[12:13]
	s_branch .LBB209_1049
.LBB209_1048:
	s_mov_b64 s[10:11], 0
.LBB209_1049:
	s_andn2_b64 s[12:13], s[54:55], exec
	s_and_b64 s[2:3], s[2:3], exec
	s_and_b64 s[8:9], s[8:9], exec
	;; [unrolled: 1-line block ×3, first 2 shown]
	s_or_b64 s[54:55], s[12:13], s[2:3]
	s_or_b64 exec, exec, s[6:7]
	s_and_saveexec_b64 s[2:3], s[54:55]
	s_cbranch_execz .LBB209_988
.LBB209_1050:
	s_or_b64 s[4:5], s[4:5], exec
	s_andn2_b64 s[10:11], s[10:11], exec
	s_trap 2
	s_or_b64 exec, exec, s[2:3]
	s_and_saveexec_b64 s[2:3], s[10:11]
	s_xor_b64 s[2:3], exec, s[2:3]
	s_cbranch_execnz .LBB209_989
.LBB209_1051:
	s_or_b64 exec, exec, s[2:3]
	s_and_saveexec_b64 s[2:3], s[8:9]
	s_xor_b64 s[2:3], exec, s[2:3]
	s_cbranch_execz .LBB209_1089
.LBB209_1052:
	s_sext_i32_i16 s8, s16
	s_cmp_lt_i32 s8, 5
	s_mov_b64 s[6:7], -1
	s_cbranch_scc1 .LBB209_1073
; %bb.1053:
	s_cmp_lt_i32 s8, 8
	s_cbranch_scc1 .LBB209_1063
; %bb.1054:
	s_cmp_lt_i32 s8, 9
	s_cbranch_scc1 .LBB209_1060
; %bb.1055:
	s_cmp_gt_i32 s8, 9
	s_cbranch_scc0 .LBB209_1057
; %bb.1056:
	v_lshlrev_b32_e32 v0, 16, v4
	v_mov_b32_e32 v8, 0
	v_cvt_f64_f32_e32 v[6:7], v0
	v_mov_b32_e32 v9, v8
	s_mov_b64 s[6:7], 0
	global_store_dwordx4 v[2:3], v[6:9], off
.LBB209_1057:
	s_andn2_b64 vcc, exec, s[6:7]
	s_cbranch_vccnz .LBB209_1059
; %bb.1058:
	v_lshlrev_b32_e32 v0, 16, v4
	s_waitcnt vmcnt(0)
	v_mov_b32_e32 v1, 0
	global_store_dwordx2 v[2:3], v[0:1], off
.LBB209_1059:
	s_mov_b64 s[6:7], 0
.LBB209_1060:
	s_andn2_b64 vcc, exec, s[6:7]
	s_cbranch_vccnz .LBB209_1062
; %bb.1061:
	v_lshlrev_b32_e32 v0, 16, v4
	v_cvt_f16_f32_e32 v0, v0
	global_store_dword v[2:3], v0, off
.LBB209_1062:
	s_mov_b64 s[6:7], 0
.LBB209_1063:
	s_andn2_b64 vcc, exec, s[6:7]
	s_cbranch_vccnz .LBB209_1072
; %bb.1064:
	s_sext_i32_i16 s8, s16
	s_cmp_lt_i32 s8, 6
	s_mov_b64 s[6:7], -1
	s_cbranch_scc1 .LBB209_1070
; %bb.1065:
	s_cmp_gt_i32 s8, 6
	s_cbranch_scc0 .LBB209_1067
; %bb.1066:
	v_lshlrev_b32_e32 v0, 16, v4
	s_waitcnt vmcnt(0)
	v_cvt_f64_f32_e32 v[0:1], v0
	s_mov_b64 s[6:7], 0
	global_store_dwordx2 v[2:3], v[0:1], off
.LBB209_1067:
	s_andn2_b64 vcc, exec, s[6:7]
	s_cbranch_vccnz .LBB209_1069
; %bb.1068:
	v_lshlrev_b32_e32 v0, 16, v4
	global_store_dword v[2:3], v0, off
.LBB209_1069:
	s_mov_b64 s[6:7], 0
.LBB209_1070:
	s_andn2_b64 vcc, exec, s[6:7]
	s_cbranch_vccnz .LBB209_1072
; %bb.1071:
	v_lshlrev_b32_e32 v0, 16, v4
	v_cvt_f16_f32_e32 v0, v0
	global_store_short v[2:3], v0, off
.LBB209_1072:
	s_mov_b64 s[6:7], 0
.LBB209_1073:
	s_andn2_b64 vcc, exec, s[6:7]
	s_cbranch_vccnz .LBB209_1089
; %bb.1074:
	s_sext_i32_i16 s8, s16
	s_cmp_lt_i32 s8, 2
	s_mov_b64 s[6:7], -1
	s_cbranch_scc1 .LBB209_1084
; %bb.1075:
	s_cmp_lt_i32 s8, 3
	s_cbranch_scc1 .LBB209_1081
; %bb.1076:
	s_cmp_gt_i32 s8, 3
	s_cbranch_scc0 .LBB209_1078
; %bb.1077:
	v_lshlrev_b32_e32 v0, 16, v4
	v_trunc_f32_e32 v0, v0
	s_mov_b32 s6, 0x2f800000
	s_waitcnt vmcnt(0)
	v_mul_f32_e64 v1, |v0|, s6
	v_floor_f32_e32 v1, v1
	s_mov_b32 s6, 0xcf800000
	v_cvt_u32_f32_e32 v5, v1
	v_fma_f32 v1, v1, s6, |v0|
	v_cvt_u32_f32_e32 v1, v1
	v_ashrrev_i32_e32 v6, 31, v0
	v_xor_b32_e32 v5, v5, v6
	s_mov_b64 s[6:7], 0
	v_xor_b32_e32 v0, v1, v6
	v_sub_co_u32_e32 v0, vcc, v0, v6
	s_nop 1
	v_subb_co_u32_e32 v1, vcc, v5, v6, vcc
	global_store_dwordx2 v[2:3], v[0:1], off
.LBB209_1078:
	s_andn2_b64 vcc, exec, s[6:7]
	s_cbranch_vccnz .LBB209_1080
; %bb.1079:
	v_lshlrev_b32_e32 v0, 16, v4
	v_cvt_i32_f32_e32 v0, v0
	global_store_dword v[2:3], v0, off
.LBB209_1080:
	s_mov_b64 s[6:7], 0
.LBB209_1081:
	s_andn2_b64 vcc, exec, s[6:7]
	s_cbranch_vccnz .LBB209_1083
; %bb.1082:
	v_lshlrev_b32_e32 v0, 16, v4
	v_cvt_i32_f32_e32 v0, v0
	global_store_short v[2:3], v0, off
.LBB209_1083:
	s_mov_b64 s[6:7], 0
.LBB209_1084:
	s_andn2_b64 vcc, exec, s[6:7]
	s_cbranch_vccnz .LBB209_1089
; %bb.1085:
	s_sext_i32_i16 s6, s16
	s_cmp_gt_i32 s6, 0
	s_mov_b64 s[6:7], -1
	s_cbranch_scc0 .LBB209_1087
; %bb.1086:
	v_lshlrev_b32_e32 v0, 16, v4
	v_cvt_i32_f32_e32 v0, v0
	s_mov_b64 s[6:7], 0
	global_store_byte v[2:3], v0, off
.LBB209_1087:
	s_andn2_b64 vcc, exec, s[6:7]
	s_cbranch_vccnz .LBB209_1089
; %bb.1088:
	v_lshlrev_b32_e32 v0, 16, v4
	v_trunc_f32_e32 v0, v0
	s_mov_b32 s6, 0x2f800000
	s_waitcnt vmcnt(0)
	v_mul_f32_e64 v1, |v0|, s6
	v_floor_f32_e32 v1, v1
	s_mov_b32 s6, 0xcf800000
	v_fma_f32 v1, v1, s6, |v0|
	v_cvt_u32_f32_e32 v1, v1
	v_ashrrev_i32_e32 v0, 31, v0
	v_xor_b32_e32 v1, v1, v0
	v_sub_u32_e32 v0, v1, v0
	global_store_byte v[2:3], v0, off
.LBB209_1089:
	s_or_b64 exec, exec, s[2:3]
	s_waitcnt lgkmcnt(0)
	s_and_b64 s[24:25], s[4:5], exec
                                        ; implicit-def: $vgpr16
                                        ; implicit-def: $vgpr8
.LBB209_1090:
	s_or_saveexec_b64 s[26:27], s[44:45]
	s_mov_b64 s[6:7], 0
                                        ; implicit-def: $vgpr0_vgpr1
                                        ; implicit-def: $sgpr14
                                        ; implicit-def: $vgpr2
	s_xor_b64 exec, exec, s[26:27]
	s_cbranch_execz .LBB209_2093
; %bb.1091:
	v_cndmask_b32_e64 v0, 0, 1, s[42:43]
	v_cmp_ne_u32_e64 s[2:3], 1, v0
	s_andn2_b64 vcc, exec, s[42:43]
	s_cbranch_vccnz .LBB209_1097
; %bb.1092:
	s_cmp_lg_u32 s33, 0
	s_mov_b32 s36, 0
	s_cbranch_scc0 .LBB209_1098
; %bb.1093:
	s_min_u32 s37, s72, 15
	s_add_i32 s37, s37, 1
	s_cmp_eq_u32 s72, 2
	s_cbranch_scc1 .LBB209_1099
; %bb.1094:
	s_and_b32 s36, s37, 28
	s_add_u32 s28, s34, 0xc4
	s_addc_u32 s29, s35, 0
	s_mov_b32 s38, 0
	v_mov_b32_e32 v6, 0
	v_mov_b32_e32 v14, 0
	s_mov_b64 s[30:31], s[34:35]
	v_mov_b32_e32 v0, v8
.LBB209_1095:                           ; =>This Inner Loop Header: Depth=1
	s_load_dwordx8 s[12:19], s[30:31], 0x4
	s_load_dwordx4 s[20:23], s[30:31], 0x24
	s_load_dwordx8 s[4:11], s[28:29], 0x0
	s_add_u32 s30, s30, 48
	s_addc_u32 s31, s31, 0
	s_waitcnt vmcnt(0) lgkmcnt(0)
	v_mul_hi_u32 v1, s13, v0
	v_add_u32_e32 v1, v0, v1
	v_lshrrev_b32_e32 v1, s14, v1
	v_mul_lo_u32 v2, v1, s12
	v_mul_hi_u32 v3, s16, v1
	v_sub_u32_e32 v0, v0, v2
	v_add_u32_e32 v2, v1, v3
	v_lshrrev_b32_e32 v2, s17, v2
	v_mul_lo_u32 v4, v2, s15
	v_mul_hi_u32 v5, s19, v2
	v_sub_u32_e32 v1, v1, v4
	v_add_u32_e32 v4, v2, v5
	v_mul_lo_u32 v3, v0, s5
	v_mul_lo_u32 v0, v0, s4
	;; [unrolled: 1-line block ×4, first 2 shown]
	v_lshrrev_b32_e32 v4, s20, v4
	v_add3_u32 v1, v0, v6, v1
	v_add3_u32 v3, v3, v14, v5
	v_mul_lo_u32 v0, v4, s18
	v_mul_hi_u32 v5, s22, v4
	v_sub_u32_e32 v0, v2, v0
	v_add_u32_e32 v2, v4, v5
	v_mul_lo_u32 v5, v0, s8
	v_mul_lo_u32 v6, v0, s9
	v_lshrrev_b32_e32 v0, s23, v2
	s_add_i32 s38, s38, 4
	v_mul_lo_u32 v2, v0, s21
	s_add_u32 s28, s28, 32
	v_sub_u32_e32 v2, v4, v2
	s_addc_u32 s29, s29, 0
	v_mul_lo_u32 v4, v2, s10
	v_mul_lo_u32 v2, v2, s11
	s_cmp_lg_u32 s36, s38
	v_add3_u32 v14, v6, v3, v2
	v_add3_u32 v6, v5, v1, v4
	s_cbranch_scc1 .LBB209_1095
; %bb.1096:
	v_mov_b32_e32 v1, v14
	s_and_b32 s8, s37, 3
	s_cmp_eq_u32 s8, 0
	s_cbranch_scc0 .LBB209_1100
	s_branch .LBB209_1102
.LBB209_1097:
                                        ; implicit-def: $vgpr14
                                        ; implicit-def: $vgpr6
	s_branch .LBB209_1103
.LBB209_1098:
	v_mov_b32_e32 v14, 0
	v_mov_b32_e32 v6, 0
	s_branch .LBB209_1102
.LBB209_1099:
	v_mov_b32_e32 v6, 0
                                        ; implicit-def: $vgpr14
	s_waitcnt vmcnt(0)
	v_mov_b32_e32 v1, v6
	v_mov_b32_e32 v0, v8
	s_and_b32 s8, s37, 3
	s_cmp_eq_u32 s8, 0
	s_cbranch_scc1 .LBB209_1102
.LBB209_1100:
	s_lshl_b32 s4, s36, 3
	s_add_u32 s4, s34, s4
	s_addc_u32 s5, s35, 0
	s_add_u32 s4, s4, 0xc4
	s_addc_u32 s5, s5, 0
	s_mul_i32 s6, s36, 12
	s_add_u32 s6, s34, s6
	s_addc_u32 s7, s35, 0
.LBB209_1101:                           ; =>This Inner Loop Header: Depth=1
	s_load_dwordx2 s[10:11], s[6:7], 0x4
	s_load_dword s9, s[6:7], 0xc
	s_load_dwordx2 s[12:13], s[4:5], 0x0
	v_mov_b32_e32 v2, v1
	s_add_u32 s6, s6, 12
	s_waitcnt lgkmcnt(0)
	v_mul_hi_u32 v1, s11, v0
	v_add_u32_e32 v1, v0, v1
	v_lshrrev_b32_e32 v1, s9, v1
	s_addc_u32 s7, s7, 0
	v_mul_lo_u32 v3, v1, s10
	s_add_u32 s4, s4, 8
	v_sub_u32_e32 v3, v0, v3
	s_addc_u32 s5, s5, 0
	s_add_i32 s8, s8, -1
	v_mad_u64_u32 v[14:15], s[10:11], v3, s13, v[2:3]
	s_cmp_lg_u32 s8, 0
	v_mov_b32_e32 v0, v1
	v_mad_u64_u32 v[6:7], s[10:11], v3, s12, v[6:7]
	v_mov_b32_e32 v1, v14
	s_cbranch_scc1 .LBB209_1101
.LBB209_1102:
	s_cbranch_execnz .LBB209_1105
.LBB209_1103:
	s_load_dwordx4 s[4:7], s[34:35], 0x4
	s_load_dwordx2 s[8:9], s[34:35], 0xc4
	s_cmp_lt_u32 s33, 2
	s_waitcnt lgkmcnt(0)
	v_mul_hi_u32 v0, s5, v8
	v_add_u32_e32 v0, v8, v0
	v_lshrrev_b32_e32 v0, s6, v0
	s_waitcnt vmcnt(0)
	v_mul_lo_u32 v1, v0, s4
	v_sub_u32_e32 v1, v8, v1
	v_mul_lo_u32 v14, v1, s9
	v_mul_lo_u32 v6, v1, s8
	s_cbranch_scc1 .LBB209_1105
; %bb.1104:
	s_load_dwordx4 s[4:7], s[34:35], 0x10
	s_load_dwordx2 s[8:9], s[34:35], 0xcc
	s_waitcnt lgkmcnt(0)
	v_mul_hi_u32 v1, s5, v0
	v_add_u32_e32 v1, v0, v1
	v_lshrrev_b32_e32 v1, s6, v1
	v_mul_lo_u32 v1, v1, s4
	v_sub_u32_e32 v0, v0, v1
	v_mad_u64_u32 v[6:7], s[4:5], v0, s8, v[6:7]
	v_mad_u64_u32 v[14:15], s[4:5], v0, s9, v[14:15]
.LBB209_1105:
	s_and_b64 vcc, exec, s[2:3]
	v_add_u32_e32 v0, 0x80, v8
	s_cbranch_vccnz .LBB209_1111
; %bb.1106:
	s_cmp_lg_u32 s33, 0
	s_mov_b32 s36, 0
	s_cbranch_scc0 .LBB209_1112
; %bb.1107:
	s_min_u32 s37, s72, 15
	s_add_i32 s37, s37, 1
	s_cmp_eq_u32 s72, 2
	s_cbranch_scc1 .LBB209_1113
; %bb.1108:
	s_and_b32 s36, s37, 28
	s_add_u32 s28, s34, 0xc4
	s_addc_u32 s29, s35, 0
	s_mov_b32 s38, 0
	v_mov_b32_e32 v4, 0
	v_mov_b32_e32 v12, 0
	s_mov_b64 s[30:31], s[34:35]
	v_mov_b32_e32 v2, v0
.LBB209_1109:                           ; =>This Inner Loop Header: Depth=1
	s_load_dwordx8 s[12:19], s[30:31], 0x4
	s_load_dwordx4 s[20:23], s[30:31], 0x24
	s_load_dwordx8 s[4:11], s[28:29], 0x0
	s_add_u32 s30, s30, 48
	s_addc_u32 s31, s31, 0
	s_waitcnt vmcnt(0) lgkmcnt(0)
	v_mul_hi_u32 v1, s13, v2
	v_add_u32_e32 v1, v2, v1
	v_lshrrev_b32_e32 v1, s14, v1
	v_mul_lo_u32 v3, v1, s12
	v_mul_hi_u32 v5, s16, v1
	v_sub_u32_e32 v2, v2, v3
	v_add_u32_e32 v3, v1, v5
	v_lshrrev_b32_e32 v3, s17, v3
	v_mul_lo_u32 v7, v3, s15
	v_mul_hi_u32 v9, s19, v3
	v_sub_u32_e32 v1, v1, v7
	v_add_u32_e32 v7, v3, v9
	v_mul_lo_u32 v5, v2, s5
	v_mul_lo_u32 v2, v2, s4
	;; [unrolled: 1-line block ×4, first 2 shown]
	v_lshrrev_b32_e32 v7, s20, v7
	v_add3_u32 v1, v2, v4, v1
	v_add3_u32 v4, v5, v12, v9
	v_mul_lo_u32 v2, v7, s18
	v_mul_hi_u32 v5, s22, v7
	v_sub_u32_e32 v2, v3, v2
	v_add_u32_e32 v3, v7, v5
	v_mul_lo_u32 v5, v2, s8
	v_mul_lo_u32 v9, v2, s9
	v_lshrrev_b32_e32 v2, s23, v3
	s_add_i32 s38, s38, 4
	v_mul_lo_u32 v3, v2, s21
	s_add_u32 s28, s28, 32
	v_sub_u32_e32 v3, v7, v3
	s_addc_u32 s29, s29, 0
	v_mul_lo_u32 v7, v3, s10
	v_mul_lo_u32 v3, v3, s11
	s_cmp_lg_u32 s36, s38
	v_add3_u32 v12, v9, v4, v3
	v_add3_u32 v4, v5, v1, v7
	s_cbranch_scc1 .LBB209_1109
; %bb.1110:
	v_mov_b32_e32 v1, v12
	s_and_b32 s8, s37, 3
	s_cmp_eq_u32 s8, 0
	s_cbranch_scc0 .LBB209_1114
	s_branch .LBB209_1116
.LBB209_1111:
                                        ; implicit-def: $vgpr12
                                        ; implicit-def: $vgpr4
	s_branch .LBB209_1117
.LBB209_1112:
	v_mov_b32_e32 v12, 0
	v_mov_b32_e32 v4, 0
	s_branch .LBB209_1116
.LBB209_1113:
	v_mov_b32_e32 v4, 0
                                        ; implicit-def: $vgpr12
	s_waitcnt vmcnt(0)
	v_mov_b32_e32 v1, v4
	v_mov_b32_e32 v2, v0
	s_and_b32 s8, s37, 3
	s_cmp_eq_u32 s8, 0
	s_cbranch_scc1 .LBB209_1116
.LBB209_1114:
	s_lshl_b32 s4, s36, 3
	s_add_u32 s4, s34, s4
	s_addc_u32 s5, s35, 0
	s_add_u32 s4, s4, 0xc4
	s_addc_u32 s5, s5, 0
	s_mul_i32 s6, s36, 12
	s_add_u32 s6, s34, s6
	s_addc_u32 s7, s35, 0
.LBB209_1115:                           ; =>This Inner Loop Header: Depth=1
	s_load_dwordx2 s[10:11], s[6:7], 0x4
	s_load_dword s9, s[6:7], 0xc
	s_load_dwordx2 s[12:13], s[4:5], 0x0
	v_mov_b32_e32 v10, v1
	s_add_u32 s6, s6, 12
	s_waitcnt lgkmcnt(0)
	v_mul_hi_u32 v1, s11, v2
	v_add_u32_e32 v1, v2, v1
	v_lshrrev_b32_e32 v1, s9, v1
	s_addc_u32 s7, s7, 0
	v_mul_lo_u32 v3, v1, s10
	s_add_u32 s4, s4, 8
	v_sub_u32_e32 v3, v2, v3
	s_addc_u32 s5, s5, 0
	s_add_i32 s8, s8, -1
	v_mad_u64_u32 v[12:13], s[10:11], v3, s13, v[10:11]
	s_cmp_lg_u32 s8, 0
	v_mov_b32_e32 v2, v1
	v_mad_u64_u32 v[4:5], s[10:11], v3, s12, v[4:5]
	v_mov_b32_e32 v1, v12
	s_cbranch_scc1 .LBB209_1115
.LBB209_1116:
	s_cbranch_execnz .LBB209_1119
.LBB209_1117:
	s_load_dwordx4 s[4:7], s[34:35], 0x4
	s_load_dwordx2 s[8:9], s[34:35], 0xc4
	s_cmp_lt_u32 s33, 2
	s_waitcnt vmcnt(0) lgkmcnt(0)
	v_mul_hi_u32 v1, s5, v0
	v_add_u32_e32 v1, v0, v1
	v_lshrrev_b32_e32 v1, s6, v1
	v_mul_lo_u32 v2, v1, s4
	v_sub_u32_e32 v0, v0, v2
	v_mul_lo_u32 v12, v0, s9
	v_mul_lo_u32 v4, v0, s8
	s_cbranch_scc1 .LBB209_1119
; %bb.1118:
	s_load_dwordx4 s[4:7], s[34:35], 0x10
	s_load_dwordx2 s[8:9], s[34:35], 0xcc
	s_waitcnt lgkmcnt(0)
	v_mul_hi_u32 v0, s5, v1
	v_add_u32_e32 v0, v1, v0
	v_lshrrev_b32_e32 v0, s6, v0
	v_mul_lo_u32 v0, v0, s4
	v_sub_u32_e32 v0, v1, v0
	v_mad_u64_u32 v[4:5], s[4:5], v0, s8, v[4:5]
	v_mad_u64_u32 v[12:13], s[4:5], v0, s9, v[12:13]
.LBB209_1119:
	s_and_b64 vcc, exec, s[2:3]
	v_add_u32_e32 v0, 0x100, v8
	s_cbranch_vccnz .LBB209_1125
; %bb.1120:
	s_cmp_lg_u32 s33, 0
	s_mov_b32 s36, 0
	s_cbranch_scc0 .LBB209_1126
; %bb.1121:
	s_min_u32 s37, s72, 15
	s_add_i32 s37, s37, 1
	s_cmp_eq_u32 s72, 2
	s_cbranch_scc1 .LBB209_1127
; %bb.1122:
	s_and_b32 s36, s37, 28
	s_add_u32 s28, s34, 0xc4
	s_addc_u32 s29, s35, 0
	s_mov_b32 s38, 0
	v_mov_b32_e32 v2, 0
	v_mov_b32_e32 v10, 0
	s_mov_b64 s[30:31], s[34:35]
	v_mov_b32_e32 v5, v0
.LBB209_1123:                           ; =>This Inner Loop Header: Depth=1
	s_load_dwordx8 s[12:19], s[30:31], 0x4
	s_load_dwordx4 s[20:23], s[30:31], 0x24
	s_load_dwordx8 s[4:11], s[28:29], 0x0
	s_add_u32 s30, s30, 48
	s_addc_u32 s31, s31, 0
	s_waitcnt vmcnt(0) lgkmcnt(0)
	v_mul_hi_u32 v1, s13, v5
	v_add_u32_e32 v1, v5, v1
	v_lshrrev_b32_e32 v1, s14, v1
	v_mul_lo_u32 v3, v1, s12
	v_mul_hi_u32 v7, s16, v1
	v_sub_u32_e32 v3, v5, v3
	v_add_u32_e32 v5, v1, v7
	v_lshrrev_b32_e32 v5, s17, v5
	v_mul_lo_u32 v8, v5, s15
	v_mul_hi_u32 v9, s19, v5
	v_sub_u32_e32 v1, v1, v8
	v_add_u32_e32 v8, v5, v9
	v_mul_lo_u32 v7, v3, s5
	v_mul_lo_u32 v3, v3, s4
	v_mul_lo_u32 v9, v1, s7
	v_mul_lo_u32 v1, v1, s6
	v_lshrrev_b32_e32 v8, s20, v8
	v_add3_u32 v1, v3, v2, v1
	v_add3_u32 v2, v7, v10, v9
	v_mul_lo_u32 v3, v8, s18
	v_mul_hi_u32 v7, s22, v8
	v_sub_u32_e32 v3, v5, v3
	v_add_u32_e32 v5, v8, v7
	v_lshrrev_b32_e32 v5, s23, v5
	s_add_i32 s38, s38, 4
	v_mul_lo_u32 v9, v5, s21
	s_add_u32 s28, s28, 32
	v_sub_u32_e32 v8, v8, v9
	s_addc_u32 s29, s29, 0
	v_mul_lo_u32 v7, v3, s8
	v_mul_lo_u32 v3, v3, s9
	;; [unrolled: 1-line block ×4, first 2 shown]
	s_cmp_lg_u32 s36, s38
	v_add3_u32 v10, v3, v2, v8
	v_add3_u32 v2, v7, v1, v9
	s_cbranch_scc1 .LBB209_1123
; %bb.1124:
	v_mov_b32_e32 v1, v10
	s_and_b32 s8, s37, 3
	s_cmp_eq_u32 s8, 0
	s_cbranch_scc0 .LBB209_1128
	s_branch .LBB209_1130
.LBB209_1125:
                                        ; implicit-def: $vgpr10
                                        ; implicit-def: $vgpr2
	s_branch .LBB209_1131
.LBB209_1126:
	v_mov_b32_e32 v10, 0
	v_mov_b32_e32 v2, 0
	s_branch .LBB209_1130
.LBB209_1127:
	v_mov_b32_e32 v2, 0
                                        ; implicit-def: $vgpr10
	s_waitcnt vmcnt(0)
	v_mov_b32_e32 v1, v2
	v_mov_b32_e32 v5, v0
	s_and_b32 s8, s37, 3
	s_cmp_eq_u32 s8, 0
	s_cbranch_scc1 .LBB209_1130
.LBB209_1128:
	s_lshl_b32 s4, s36, 3
	s_add_u32 s4, s34, s4
	s_addc_u32 s5, s35, 0
	s_add_u32 s4, s4, 0xc4
	s_addc_u32 s5, s5, 0
	s_mul_i32 s6, s36, 12
	s_add_u32 s6, s34, s6
	s_addc_u32 s7, s35, 0
.LBB209_1129:                           ; =>This Inner Loop Header: Depth=1
	s_load_dwordx2 s[10:11], s[6:7], 0x4
	s_load_dword s9, s[6:7], 0xc
	s_load_dwordx2 s[12:13], s[4:5], 0x0
	v_mov_b32_e32 v8, v1
	s_add_u32 s6, s6, 12
	s_waitcnt lgkmcnt(0)
	v_mul_hi_u32 v1, s11, v5
	v_add_u32_e32 v1, v5, v1
	v_lshrrev_b32_e32 v1, s9, v1
	s_addc_u32 s7, s7, 0
	v_mul_lo_u32 v3, v1, s10
	s_add_u32 s4, s4, 8
	v_sub_u32_e32 v3, v5, v3
	s_addc_u32 s5, s5, 0
	s_add_i32 s8, s8, -1
	v_mad_u64_u32 v[10:11], s[10:11], v3, s13, v[8:9]
	s_cmp_lg_u32 s8, 0
	v_mov_b32_e32 v5, v1
	v_mad_u64_u32 v[2:3], s[10:11], v3, s12, v[2:3]
	v_mov_b32_e32 v1, v10
	s_cbranch_scc1 .LBB209_1129
.LBB209_1130:
	s_cbranch_execnz .LBB209_1133
.LBB209_1131:
	s_load_dwordx4 s[4:7], s[34:35], 0x4
	s_load_dwordx2 s[8:9], s[34:35], 0xc4
	s_cmp_lt_u32 s33, 2
	s_waitcnt vmcnt(0) lgkmcnt(0)
	v_mul_hi_u32 v1, s5, v0
	v_add_u32_e32 v1, v0, v1
	v_lshrrev_b32_e32 v1, s6, v1
	v_mul_lo_u32 v2, v1, s4
	v_sub_u32_e32 v0, v0, v2
	v_mul_lo_u32 v10, v0, s9
	v_mul_lo_u32 v2, v0, s8
	s_cbranch_scc1 .LBB209_1133
; %bb.1132:
	s_load_dwordx4 s[4:7], s[34:35], 0x10
	s_load_dwordx2 s[8:9], s[34:35], 0xcc
	s_waitcnt lgkmcnt(0)
	v_mul_hi_u32 v0, s5, v1
	v_add_u32_e32 v0, v1, v0
	v_lshrrev_b32_e32 v0, s6, v0
	v_mul_lo_u32 v0, v0, s4
	v_sub_u32_e32 v0, v1, v0
	v_mad_u64_u32 v[2:3], s[4:5], v0, s8, v[2:3]
	v_mad_u64_u32 v[10:11], s[4:5], v0, s9, v[10:11]
.LBB209_1133:
	s_and_b64 vcc, exec, s[2:3]
	s_cbranch_vccnz .LBB209_1139
; %bb.1134:
	s_cmp_lg_u32 s33, 0
	s_mov_b32 s30, 0
	s_cbranch_scc0 .LBB209_1140
; %bb.1135:
	s_min_u32 s31, s72, 15
	s_add_i32 s31, s31, 1
	s_cmp_eq_u32 s72, 2
	s_cbranch_scc1 .LBB209_1141
; %bb.1136:
	s_and_b32 s30, s31, 28
	s_add_u32 s2, s34, 0xc4
	s_addc_u32 s3, s35, 0
	s_mov_b32 s36, 0
	v_mov_b32_e32 v0, 0
	v_mov_b32_e32 v8, 0
	s_mov_b64 s[28:29], s[34:35]
	v_mov_b32_e32 v3, v16
.LBB209_1137:                           ; =>This Inner Loop Header: Depth=1
	s_load_dwordx8 s[12:19], s[28:29], 0x4
	s_load_dwordx4 s[20:23], s[28:29], 0x24
	s_load_dwordx8 s[4:11], s[2:3], 0x0
	s_add_u32 s28, s28, 48
	s_addc_u32 s29, s29, 0
	s_waitcnt vmcnt(0) lgkmcnt(0)
	v_mul_hi_u32 v1, s13, v3
	v_add_u32_e32 v1, v3, v1
	v_lshrrev_b32_e32 v1, s14, v1
	v_mul_lo_u32 v5, v1, s12
	v_mul_hi_u32 v7, s16, v1
	v_sub_u32_e32 v3, v3, v5
	v_add_u32_e32 v5, v1, v7
	v_lshrrev_b32_e32 v5, s17, v5
	v_mul_lo_u32 v9, v5, s15
	v_mul_hi_u32 v11, s19, v5
	v_sub_u32_e32 v1, v1, v9
	v_add_u32_e32 v9, v5, v11
	v_mul_lo_u32 v7, v3, s5
	v_mul_lo_u32 v3, v3, s4
	;; [unrolled: 1-line block ×4, first 2 shown]
	v_lshrrev_b32_e32 v9, s20, v9
	v_add3_u32 v0, v3, v0, v1
	v_add3_u32 v1, v7, v8, v11
	v_mul_lo_u32 v3, v9, s18
	v_mul_hi_u32 v7, s22, v9
	v_sub_u32_e32 v3, v5, v3
	v_add_u32_e32 v5, v9, v7
	v_mul_lo_u32 v7, v3, s8
	v_mul_lo_u32 v8, v3, s9
	v_lshrrev_b32_e32 v3, s23, v5
	s_add_i32 s36, s36, 4
	v_mul_lo_u32 v5, v3, s21
	s_add_u32 s2, s2, 32
	v_sub_u32_e32 v5, v9, v5
	s_addc_u32 s3, s3, 0
	v_mul_lo_u32 v9, v5, s10
	v_mul_lo_u32 v5, v5, s11
	s_cmp_lg_u32 s30, s36
	v_add3_u32 v8, v8, v1, v5
	v_add3_u32 v0, v7, v0, v9
	s_cbranch_scc1 .LBB209_1137
; %bb.1138:
	v_mov_b32_e32 v1, v8
	s_and_b32 s6, s31, 3
	s_cmp_eq_u32 s6, 0
	s_cbranch_scc0 .LBB209_1142
	s_branch .LBB209_1144
.LBB209_1139:
                                        ; implicit-def: $vgpr8
                                        ; implicit-def: $vgpr0
	s_branch .LBB209_1145
.LBB209_1140:
	v_mov_b32_e32 v8, 0
	v_mov_b32_e32 v0, 0
	s_branch .LBB209_1144
.LBB209_1141:
	v_mov_b32_e32 v0, 0
                                        ; implicit-def: $vgpr8
	s_waitcnt vmcnt(0)
	v_mov_b32_e32 v1, v0
	v_mov_b32_e32 v3, v16
	s_and_b32 s6, s31, 3
	s_cmp_eq_u32 s6, 0
	s_cbranch_scc1 .LBB209_1144
.LBB209_1142:
	s_lshl_b32 s2, s30, 3
	s_add_u32 s2, s34, s2
	s_addc_u32 s3, s35, 0
	s_add_u32 s2, s2, 0xc4
	s_addc_u32 s3, s3, 0
	s_mul_i32 s4, s30, 12
	s_add_u32 s4, s34, s4
	s_addc_u32 s5, s35, 0
.LBB209_1143:                           ; =>This Inner Loop Header: Depth=1
	s_load_dwordx2 s[8:9], s[4:5], 0x4
	s_load_dword s7, s[4:5], 0xc
	s_load_dwordx2 s[10:11], s[2:3], 0x0
	v_mov_b32_e32 v8, v1
	s_add_u32 s4, s4, 12
	s_waitcnt lgkmcnt(0)
	v_mul_hi_u32 v1, s9, v3
	v_add_u32_e32 v1, v3, v1
	v_lshrrev_b32_e32 v1, s7, v1
	s_addc_u32 s5, s5, 0
	v_mul_lo_u32 v5, v1, s8
	s_add_u32 s2, s2, 8
	v_sub_u32_e32 v5, v3, v5
	s_addc_u32 s3, s3, 0
	s_add_i32 s6, s6, -1
	v_mov_b32_e32 v3, v1
	v_mad_u64_u32 v[8:9], s[8:9], v5, s11, v[8:9]
	v_mad_u64_u32 v[0:1], s[8:9], v5, s10, v[0:1]
	s_cmp_lg_u32 s6, 0
	v_mov_b32_e32 v1, v8
	s_cbranch_scc1 .LBB209_1143
.LBB209_1144:
	s_cbranch_execnz .LBB209_1147
.LBB209_1145:
	s_load_dwordx4 s[4:7], s[34:35], 0x4
	s_load_dwordx2 s[2:3], s[34:35], 0xc4
	s_cmp_lt_u32 s33, 2
	s_waitcnt lgkmcnt(0)
	v_mul_hi_u32 v0, s5, v16
	v_add_u32_e32 v0, v16, v0
	s_waitcnt vmcnt(0)
	v_lshrrev_b32_e32 v1, s6, v0
	v_mul_lo_u32 v0, v1, s4
	v_sub_u32_e32 v0, v16, v0
	v_mul_lo_u32 v8, v0, s3
	v_mul_lo_u32 v0, v0, s2
	s_cbranch_scc1 .LBB209_1147
; %bb.1146:
	s_load_dwordx4 s[4:7], s[34:35], 0x10
	s_load_dwordx2 s[2:3], s[34:35], 0xcc
	s_waitcnt lgkmcnt(0)
	v_mul_hi_u32 v3, s5, v1
	v_add_u32_e32 v3, v1, v3
	v_lshrrev_b32_e32 v3, s6, v3
	v_mul_lo_u32 v3, v3, s4
	v_sub_u32_e32 v3, v1, v3
	v_mad_u64_u32 v[0:1], s[4:5], v3, s2, v[0:1]
	v_mad_u64_u32 v[8:9], s[2:3], v3, s3, v[8:9]
.LBB209_1147:
	s_load_dword s16, s[0:1], 0x160
	s_load_dwordx4 s[4:7], s[34:35], 0x148
	v_mov_b32_e32 v15, 0
	s_waitcnt lgkmcnt(0)
	s_bfe_u32 s14, s16, 0x80010
	s_cmp_lt_i32 s14, 11
	v_lshl_add_u64 v[14:15], s[6:7], 0, v[14:15]
	s_cbranch_scc1 .LBB209_1154
; %bb.1148:
	s_and_b32 s15, 0xffff, s14
	s_cmp_gt_i32 s15, 25
	s_mov_b64 s[8:9], 0
	s_cbranch_scc0 .LBB209_1156
; %bb.1149:
	s_cmp_gt_i32 s15, 28
	s_cbranch_scc0 .LBB209_1157
; %bb.1150:
	s_cmp_gt_i32 s15, 43
	;; [unrolled: 3-line block ×3, first 2 shown]
	s_cbranch_scc0 .LBB209_1159
; %bb.1152:
	s_cmp_eq_u32 s15, 46
	s_mov_b64 s[2:3], 0
	s_cbranch_scc0 .LBB209_1162
; %bb.1153:
	global_load_dword v1, v[14:15], off
	s_mov_b64 s[0:1], 0
	s_mov_b64 s[10:11], -1
	s_branch .LBB209_1163
.LBB209_1154:
	s_mov_b64 s[10:11], 0
                                        ; implicit-def: $vgpr1
	s_mov_b64 s[2:3], s[24:25]
	s_cbranch_execnz .LBB209_1225
.LBB209_1155:
	s_andn2_b64 vcc, exec, s[10:11]
	s_cbranch_vccz .LBB209_1270
	s_branch .LBB209_2091
.LBB209_1156:
	s_mov_b64 s[10:11], 0
	s_mov_b64 s[0:1], 0
                                        ; implicit-def: $vgpr1
	s_cbranch_execnz .LBB209_1190
	s_branch .LBB209_1221
.LBB209_1157:
	s_mov_b64 s[10:11], 0
	s_mov_b64 s[0:1], 0
                                        ; implicit-def: $vgpr1
	s_cbranch_execz .LBB209_1189
	s_branch .LBB209_1172
.LBB209_1158:
	s_mov_b64 s[10:11], 0
	s_mov_b64 s[0:1], 0
                                        ; implicit-def: $vgpr1
	s_cbranch_execnz .LBB209_1168
	s_branch .LBB209_1171
.LBB209_1159:
	s_mov_b64 s[2:3], -1
	s_mov_b64 s[10:11], 0
	s_mov_b64 s[0:1], 0
                                        ; implicit-def: $vgpr1
	s_branch .LBB209_1163
.LBB209_1160:
	s_andn2_saveexec_b64 s[12:13], s[12:13]
	s_cbranch_execz .LBB209_1003
.LBB209_1161:
	s_mov_b32 s14, 0x46000000
	v_add_f32_e64 v1, |v5|, s14
	v_and_b32_e32 v1, 0xff, v1
	v_cmp_ne_u32_e32 vcc, 0, v1
	s_andn2_b64 s[10:11], s[10:11], exec
	s_and_b64 s[14:15], vcc, exec
	s_or_b64 s[10:11], s[10:11], s[14:15]
	s_or_b64 exec, exec, s[12:13]
	v_mov_b32_e32 v6, 0
	s_and_saveexec_b64 s[12:13], s[10:11]
	s_cbranch_execnz .LBB209_1004
	s_branch .LBB209_1005
.LBB209_1162:
	s_mov_b64 s[0:1], -1
                                        ; implicit-def: $vgpr1
	s_mov_b64 s[10:11], 0
.LBB209_1163:
	s_and_b64 vcc, exec, s[2:3]
	s_cbranch_vccz .LBB209_1166
; %bb.1164:
	s_cmp_eq_u32 s15, 44
	s_cbranch_scc0 .LBB209_1167
; %bb.1165:
	global_load_ubyte v1, v[14:15], off
	s_movk_i32 s2, 0xff
	v_mov_b32_e32 v3, 0x7f800001
	v_mov_b32_e32 v5, 0x400000
	;; [unrolled: 1-line block ×3, first 2 shown]
	s_mov_b64 s[0:1], 0
	s_mov_b64 s[10:11], -1
	s_waitcnt vmcnt(0)
	v_lshlrev_b32_e32 v9, 23, v1
	v_cmp_ne_u32_e32 vcc, s2, v1
	s_nop 1
	v_cndmask_b32_e32 v3, v3, v9, vcc
	v_cmp_ne_u32_e32 vcc, 0, v1
	s_nop 1
	v_cndmask_b32_e32 v1, v5, v3, vcc
	v_add_u32_e32 v3, 0x7fff, v1
	v_cmp_o_f32_e32 vcc, v1, v1
	s_nop 1
	v_cndmask_b32_sdwa v1, v7, v3, vcc dst_sel:DWORD dst_unused:UNUSED_PAD src0_sel:DWORD src1_sel:WORD_1
.LBB209_1166:
	s_branch .LBB209_1171
.LBB209_1167:
	s_mov_b64 s[0:1], -1
                                        ; implicit-def: $vgpr1
	s_branch .LBB209_1171
.LBB209_1168:
	s_cmp_eq_u32 s15, 29
	s_cbranch_scc0 .LBB209_1170
; %bb.1169:
	global_load_dwordx2 v[16:17], v[14:15], off
	s_movk_i32 s2, 0x7fff
	s_mov_b64 s[0:1], 0
	s_mov_b64 s[10:11], -1
	s_waitcnt vmcnt(0)
	v_ffbh_u32_e32 v1, v17
	v_min_u32_e32 v1, 32, v1
	v_lshlrev_b64 v[16:17], v1, v[16:17]
	v_min_u32_e32 v3, 1, v16
	v_or_b32_e32 v3, v17, v3
	v_cvt_f32_u32_e32 v3, v3
	v_sub_u32_e32 v1, 32, v1
	v_ldexp_f32 v1, v3, v1
	v_bfe_u32 v3, v1, 16, 1
	v_add3_u32 v1, v1, v3, s2
	v_lshrrev_b32_e32 v1, 16, v1
	s_branch .LBB209_1171
.LBB209_1170:
	s_mov_b64 s[0:1], -1
                                        ; implicit-def: $vgpr1
.LBB209_1171:
	s_branch .LBB209_1189
.LBB209_1172:
	s_cmp_lt_i32 s15, 27
	s_cbranch_scc1 .LBB209_1175
; %bb.1173:
	s_cmp_gt_i32 s15, 27
	s_cbranch_scc0 .LBB209_1176
; %bb.1174:
	global_load_dword v1, v[14:15], off
	s_movk_i32 s2, 0x7fff
	s_waitcnt vmcnt(0)
	v_cvt_f32_u32_e32 v1, v1
	v_bfe_u32 v3, v1, 16, 1
	v_add3_u32 v1, v1, v3, s2
	v_lshrrev_b32_e32 v1, 16, v1
	s_mov_b64 s[2:3], 0
	s_branch .LBB209_1177
.LBB209_1175:
	s_mov_b64 s[2:3], -1
                                        ; implicit-def: $vgpr1
	s_branch .LBB209_1180
.LBB209_1176:
	s_mov_b64 s[2:3], -1
                                        ; implicit-def: $vgpr1
.LBB209_1177:
	s_andn2_b64 vcc, exec, s[2:3]
	s_cbranch_vccnz .LBB209_1179
; %bb.1178:
	global_load_ushort v1, v[14:15], off
	s_movk_i32 s2, 0x7fff
	s_waitcnt vmcnt(0)
	v_cvt_f32_u32_e32 v1, v1
	v_bfe_u32 v3, v1, 16, 1
	v_add3_u32 v1, v1, v3, s2
	v_lshrrev_b32_e32 v1, 16, v1
.LBB209_1179:
	s_mov_b64 s[2:3], 0
.LBB209_1180:
	s_andn2_b64 vcc, exec, s[2:3]
	s_cbranch_vccnz .LBB209_1188
; %bb.1181:
	global_load_ubyte v1, v[14:15], off
	s_movk_i32 s2, 0x7f
	s_waitcnt vmcnt(0)
	v_cmp_lt_i16_e32 vcc, s2, v1
	s_mov_b64 s[2:3], 0
	s_and_saveexec_b64 s[10:11], vcc
	s_xor_b64 s[10:11], exec, s[10:11]
	s_cbranch_execz .LBB209_1201
; %bb.1182:
	s_movk_i32 s2, 0x80
	v_cmp_eq_u16_e32 vcc, s2, v1
	s_mov_b64 s[2:3], -1
	s_and_saveexec_b64 s[12:13], vcc
; %bb.1183:
	s_xor_b64 s[2:3], exec, -1
; %bb.1184:
	s_or_b64 exec, exec, s[12:13]
	s_and_b64 s[2:3], s[2:3], exec
	s_or_saveexec_b64 s[10:11], s[10:11]
	v_mov_b32_e32 v3, 0x7f800001
	s_xor_b64 exec, exec, s[10:11]
	s_cbranch_execnz .LBB209_1202
.LBB209_1185:
	s_or_b64 exec, exec, s[10:11]
	s_and_saveexec_b64 s[10:11], s[2:3]
	s_cbranch_execz .LBB209_1187
.LBB209_1186:
	v_lshlrev_b32_e32 v3, 24, v1
	v_and_b32_e32 v1, 0xffff, v1
	v_and_b32_e32 v5, 7, v1
	v_ffbh_u32_e32 v9, v5
	v_min_u32_e32 v9, 32, v9
	v_subrev_u32_e32 v11, 28, v9
	v_bfe_u32 v7, v1, 3, 4
	v_lshlrev_b32_e32 v1, v11, v1
	v_sub_u32_e32 v9, 29, v9
	v_and_b32_e32 v1, 7, v1
	v_cmp_eq_u32_e32 vcc, 0, v7
	v_and_b32_e32 v3, 0x80000000, v3
	s_nop 0
	v_cndmask_b32_e32 v7, v7, v9, vcc
	v_cndmask_b32_e32 v1, v5, v1, vcc
	v_mov_b32_e32 v5, 0x3b800000
	v_lshlrev_b32_e32 v1, 20, v1
	v_lshl_add_u32 v5, v7, 23, v5
	v_or3_b32 v3, v3, v5, v1
.LBB209_1187:
	s_or_b64 exec, exec, s[10:11]
	v_bfe_u32 v1, v3, 16, 1
	s_movk_i32 s2, 0x7fff
	v_add3_u32 v1, v3, v1, s2
	v_cmp_o_f32_e32 vcc, v3, v3
	v_mov_b32_e32 v3, 0x7fc0
	s_nop 0
	v_cndmask_b32_sdwa v1, v3, v1, vcc dst_sel:DWORD dst_unused:UNUSED_PAD src0_sel:DWORD src1_sel:WORD_1
.LBB209_1188:
	s_mov_b64 s[10:11], -1
.LBB209_1189:
	s_branch .LBB209_1221
.LBB209_1190:
	s_cmp_gt_i32 s15, 22
	s_cbranch_scc0 .LBB209_1200
; %bb.1191:
	s_cmp_lt_i32 s15, 24
	s_cbranch_scc1 .LBB209_1203
; %bb.1192:
	s_cmp_gt_i32 s15, 24
	s_cbranch_scc0 .LBB209_1204
; %bb.1193:
	global_load_ubyte v1, v[14:15], off
	s_movk_i32 s2, 0x7f
	s_waitcnt vmcnt(0)
	v_cmp_lt_i16_e32 vcc, s2, v1
	s_mov_b64 s[2:3], 0
	s_and_saveexec_b64 s[8:9], vcc
	s_xor_b64 s[8:9], exec, s[8:9]
	s_cbranch_execz .LBB209_1215
; %bb.1194:
	s_movk_i32 s2, 0x80
	v_cmp_eq_u16_e32 vcc, s2, v1
	s_mov_b64 s[2:3], -1
	s_and_saveexec_b64 s[10:11], vcc
; %bb.1195:
	s_xor_b64 s[2:3], exec, -1
; %bb.1196:
	s_or_b64 exec, exec, s[10:11]
	s_and_b64 s[2:3], s[2:3], exec
	s_or_saveexec_b64 s[8:9], s[8:9]
	v_mov_b32_e32 v3, 0x7f800001
	s_xor_b64 exec, exec, s[8:9]
	s_cbranch_execnz .LBB209_1216
.LBB209_1197:
	s_or_b64 exec, exec, s[8:9]
	s_and_saveexec_b64 s[8:9], s[2:3]
	s_cbranch_execz .LBB209_1199
.LBB209_1198:
	v_lshlrev_b32_e32 v3, 24, v1
	v_and_b32_e32 v1, 0xffff, v1
	v_and_b32_e32 v5, 3, v1
	v_ffbh_u32_e32 v9, v5
	v_min_u32_e32 v9, 32, v9
	v_subrev_u32_e32 v11, 29, v9
	v_bfe_u32 v7, v1, 2, 5
	v_lshlrev_b32_e32 v1, v11, v1
	v_sub_u32_e32 v9, 30, v9
	v_and_b32_e32 v1, 3, v1
	v_cmp_eq_u32_e32 vcc, 0, v7
	v_and_b32_e32 v3, 0x80000000, v3
	s_nop 0
	v_cndmask_b32_e32 v7, v7, v9, vcc
	v_cndmask_b32_e32 v1, v5, v1, vcc
	v_mov_b32_e32 v5, 0x37800000
	v_lshlrev_b32_e32 v1, 21, v1
	v_lshl_add_u32 v5, v7, 23, v5
	v_or3_b32 v3, v3, v5, v1
.LBB209_1199:
	s_or_b64 exec, exec, s[8:9]
	v_bfe_u32 v1, v3, 16, 1
	s_movk_i32 s2, 0x7fff
	v_add3_u32 v1, v3, v1, s2
	v_cmp_o_f32_e32 vcc, v3, v3
	v_mov_b32_e32 v3, 0x7fc0
	s_mov_b64 s[2:3], 0
	v_cndmask_b32_sdwa v1, v3, v1, vcc dst_sel:DWORD dst_unused:UNUSED_PAD src0_sel:DWORD src1_sel:WORD_1
	s_branch .LBB209_1205
.LBB209_1200:
                                        ; implicit-def: $vgpr1
	s_mov_b64 s[8:9], 0
	s_branch .LBB209_1211
.LBB209_1201:
	s_or_saveexec_b64 s[10:11], s[10:11]
	v_mov_b32_e32 v3, 0x7f800001
	s_xor_b64 exec, exec, s[10:11]
	s_cbranch_execz .LBB209_1185
.LBB209_1202:
	v_cmp_ne_u16_e32 vcc, 0, v1
	s_andn2_b64 s[2:3], s[2:3], exec
	s_and_b64 s[12:13], vcc, exec
	v_mov_b32_e32 v3, 0
	s_or_b64 s[2:3], s[2:3], s[12:13]
	s_or_b64 exec, exec, s[10:11]
	s_and_saveexec_b64 s[10:11], s[2:3]
	s_cbranch_execnz .LBB209_1186
	s_branch .LBB209_1187
.LBB209_1203:
	s_mov_b64 s[2:3], -1
                                        ; implicit-def: $vgpr1
	s_branch .LBB209_1208
.LBB209_1204:
	s_mov_b64 s[2:3], -1
                                        ; implicit-def: $vgpr1
.LBB209_1205:
	s_and_b64 vcc, exec, s[2:3]
	s_cbranch_vccz .LBB209_1207
; %bb.1206:
	global_load_ubyte v1, v[14:15], off
	s_mov_b32 s2, 0x7f800000
	s_brev_b32 s3, 1
	s_movk_i32 s8, 0x7fff
	s_waitcnt vmcnt(0)
	v_lshlrev_b32_e32 v1, 24, v1
	v_and_b32_e32 v3, 0x7f000000, v1
	v_ffbh_u32_e32 v5, v3
	v_min_u32_e32 v5, 32, v5
	v_sub_u32_e64 v5, v5, 4 clamp
	v_lshlrev_b32_e32 v9, v5, v3
	v_lshlrev_b32_e32 v5, 23, v5
	v_lshrrev_b32_e32 v9, 4, v9
	v_add_u32_e32 v7, 0x1000000, v3
	v_sub_u32_e32 v5, v9, v5
	v_ashrrev_i32_e32 v7, 8, v7
	v_add_u32_e32 v5, 0x3c000000, v5
	v_and_or_b32 v5, v7, s2, v5
	v_cmp_ne_u32_e32 vcc, 0, v3
	s_nop 1
	v_cndmask_b32_e32 v3, 0, v5, vcc
	v_and_or_b32 v1, v1, s3, v3
	v_bfe_u32 v3, v3, 16, 1
	v_add3_u32 v3, v1, v3, s8
	v_cmp_o_f32_e32 vcc, v1, v1
	v_mov_b32_e32 v1, 0x7fc0
	s_nop 0
	v_cndmask_b32_sdwa v1, v1, v3, vcc dst_sel:DWORD dst_unused:UNUSED_PAD src0_sel:DWORD src1_sel:WORD_1
.LBB209_1207:
	s_mov_b64 s[2:3], 0
.LBB209_1208:
	s_andn2_b64 vcc, exec, s[2:3]
	s_cbranch_vccnz .LBB209_1210
; %bb.1209:
	global_load_ubyte v1, v[14:15], off
	s_movk_i32 s2, 0x7f00
	s_brev_b32 s3, 16
	s_brev_b32 s8, 1
	s_movk_i32 s9, 0x7fff
	s_waitcnt vmcnt(0)
	v_lshlrev_b16_e32 v3, 8, v1
	v_lshlrev_b32_e32 v1, 25, v1
	v_lshrrev_b32_e32 v5, 4, v1
	v_and_or_b32 v7, v3, s2, 0.5
	v_or_b32_e32 v5, 0x70000000, v5
	v_add_f32_e32 v7, -0.5, v7
	v_mul_f32_e32 v5, 0x7800000, v5
	v_cmp_gt_u32_e32 vcc, s3, v1
	v_bfe_i32 v3, v3, 0, 16
	s_nop 0
	v_cndmask_b32_e32 v1, v5, v7, vcc
	v_and_or_b32 v3, v3, s8, v1
	v_bfe_u32 v1, v1, 16, 1
	v_add3_u32 v1, v3, v1, s9
	v_cmp_o_f32_e32 vcc, v3, v3
	v_mov_b32_e32 v3, 0x7fc0
	s_nop 0
	v_cndmask_b32_sdwa v1, v3, v1, vcc dst_sel:DWORD dst_unused:UNUSED_PAD src0_sel:DWORD src1_sel:WORD_1
.LBB209_1210:
	s_mov_b64 s[10:11], -1
	s_mov_b64 s[8:9], 0
	s_cbranch_execnz .LBB209_1221
.LBB209_1211:
	s_cmp_gt_i32 s15, 14
	s_cbranch_scc0 .LBB209_1214
; %bb.1212:
	s_cmp_eq_u32 s15, 15
	s_cbranch_scc0 .LBB209_1217
; %bb.1213:
	global_load_ushort v1, v[14:15], off
	s_mov_b64 s[0:1], 0
	s_mov_b64 s[10:11], -1
	s_branch .LBB209_1218
.LBB209_1214:
	s_mov_b64 s[2:3], -1
                                        ; implicit-def: $vgpr1
	s_branch .LBB209_1219
.LBB209_1215:
	s_or_saveexec_b64 s[8:9], s[8:9]
	v_mov_b32_e32 v3, 0x7f800001
	s_xor_b64 exec, exec, s[8:9]
	s_cbranch_execz .LBB209_1197
.LBB209_1216:
	v_cmp_ne_u16_e32 vcc, 0, v1
	s_andn2_b64 s[2:3], s[2:3], exec
	s_and_b64 s[10:11], vcc, exec
	v_mov_b32_e32 v3, 0
	s_or_b64 s[2:3], s[2:3], s[10:11]
	s_or_b64 exec, exec, s[8:9]
	s_and_saveexec_b64 s[8:9], s[2:3]
	s_cbranch_execnz .LBB209_1198
	s_branch .LBB209_1199
.LBB209_1217:
	s_mov_b64 s[0:1], -1
                                        ; implicit-def: $vgpr1
.LBB209_1218:
	s_mov_b64 s[2:3], 0
.LBB209_1219:
	s_and_b64 vcc, exec, s[2:3]
	s_cbranch_vccz .LBB209_1221
; %bb.1220:
	s_cmp_lg_u32 s15, 11
	s_mov_b64 s[8:9], -1
	s_cselect_b64 s[0:1], -1, 0
.LBB209_1221:
	s_and_b64 vcc, exec, s[0:1]
	s_mov_b64 s[2:3], s[24:25]
	s_cbranch_vccnz .LBB209_1282
; %bb.1222:
	s_andn2_b64 vcc, exec, s[8:9]
	s_cbranch_vccnz .LBB209_1224
.LBB209_1223:
	global_load_ubyte v1, v[14:15], off
	s_mov_b64 s[10:11], -1
	s_waitcnt vmcnt(0)
	v_cmp_ne_u16_e32 vcc, 0, v1
	s_nop 1
	v_cndmask_b32_e64 v1, 0, 1.0, vcc
	v_lshrrev_b32_e32 v1, 16, v1
.LBB209_1224:
	s_branch .LBB209_1155
.LBB209_1225:
	s_and_b32 s8, 0xffff, s14
	s_cmp_lt_i32 s8, 5
	s_cbranch_scc1 .LBB209_1230
; %bb.1226:
	s_cmp_lt_i32 s8, 8
	s_cbranch_scc1 .LBB209_1231
; %bb.1227:
	;; [unrolled: 3-line block ×3, first 2 shown]
	s_cmp_gt_i32 s8, 9
	s_cbranch_scc0 .LBB209_1233
; %bb.1229:
	global_load_dwordx2 v[16:17], v[14:15], off
	s_movk_i32 s0, 0x7fff
	s_waitcnt vmcnt(1)
	v_mov_b32_e32 v1, 0x7fc0
	s_waitcnt vmcnt(0)
	v_cvt_f32_f64_e32 v3, v[16:17]
	v_bfe_u32 v5, v3, 16, 1
	v_cmp_o_f32_e32 vcc, v3, v3
	v_add3_u32 v3, v3, v5, s0
	s_mov_b64 s[0:1], 0
	v_cndmask_b32_sdwa v1, v1, v3, vcc dst_sel:DWORD dst_unused:UNUSED_PAD src0_sel:DWORD src1_sel:WORD_1
	s_branch .LBB209_1234
.LBB209_1230:
                                        ; implicit-def: $vgpr1
	s_branch .LBB209_1251
.LBB209_1231:
                                        ; implicit-def: $vgpr1
	s_branch .LBB209_1240
.LBB209_1232:
	s_mov_b64 s[0:1], -1
                                        ; implicit-def: $vgpr1
	s_branch .LBB209_1237
.LBB209_1233:
	s_mov_b64 s[0:1], -1
                                        ; implicit-def: $vgpr1
.LBB209_1234:
	s_andn2_b64 vcc, exec, s[0:1]
	s_cbranch_vccnz .LBB209_1236
; %bb.1235:
	global_load_dword v1, v[14:15], off
	s_movk_i32 s0, 0x7fff
	v_mov_b32_e32 v3, 0x7fc0
	s_waitcnt vmcnt(0)
	v_bfe_u32 v5, v1, 16, 1
	v_cmp_o_f32_e32 vcc, v1, v1
	v_add3_u32 v1, v1, v5, s0
	s_nop 0
	v_cndmask_b32_sdwa v1, v3, v1, vcc dst_sel:DWORD dst_unused:UNUSED_PAD src0_sel:DWORD src1_sel:WORD_1
.LBB209_1236:
	s_mov_b64 s[0:1], 0
.LBB209_1237:
	s_andn2_b64 vcc, exec, s[0:1]
	s_cbranch_vccnz .LBB209_1239
; %bb.1238:
	global_load_dword v1, v[14:15], off
	s_movk_i32 s0, 0x7fff
	v_mov_b32_e32 v5, 0x7fc0
	s_waitcnt vmcnt(0)
	v_cvt_f32_f16_e32 v3, v1
	v_cmp_o_f16_e32 vcc, v1, v1
	v_bfe_u32 v1, v3, 16, 1
	v_add3_u32 v1, v3, v1, s0
	v_cndmask_b32_sdwa v1, v5, v1, vcc dst_sel:DWORD dst_unused:UNUSED_PAD src0_sel:DWORD src1_sel:WORD_1
.LBB209_1239:
	s_cbranch_execnz .LBB209_1250
.LBB209_1240:
	s_cmp_lt_i32 s8, 6
	s_cbranch_scc1 .LBB209_1243
; %bb.1241:
	s_cmp_gt_i32 s8, 6
	s_cbranch_scc0 .LBB209_1244
; %bb.1242:
	global_load_dwordx2 v[16:17], v[14:15], off
	s_movk_i32 s0, 0x7fff
	s_waitcnt vmcnt(1)
	v_mov_b32_e32 v1, 0x7fc0
	s_waitcnt vmcnt(0)
	v_cvt_f32_f64_e32 v3, v[16:17]
	v_bfe_u32 v5, v3, 16, 1
	v_cmp_o_f32_e32 vcc, v3, v3
	v_add3_u32 v3, v3, v5, s0
	s_mov_b64 s[0:1], 0
	v_cndmask_b32_sdwa v1, v1, v3, vcc dst_sel:DWORD dst_unused:UNUSED_PAD src0_sel:DWORD src1_sel:WORD_1
	s_branch .LBB209_1245
.LBB209_1243:
	s_mov_b64 s[0:1], -1
                                        ; implicit-def: $vgpr1
	s_branch .LBB209_1248
.LBB209_1244:
	s_mov_b64 s[0:1], -1
                                        ; implicit-def: $vgpr1
.LBB209_1245:
	s_andn2_b64 vcc, exec, s[0:1]
	s_cbranch_vccnz .LBB209_1247
; %bb.1246:
	global_load_dword v1, v[14:15], off
	s_movk_i32 s0, 0x7fff
	v_mov_b32_e32 v3, 0x7fc0
	s_waitcnt vmcnt(0)
	v_bfe_u32 v5, v1, 16, 1
	v_cmp_o_f32_e32 vcc, v1, v1
	v_add3_u32 v1, v1, v5, s0
	s_nop 0
	v_cndmask_b32_sdwa v1, v3, v1, vcc dst_sel:DWORD dst_unused:UNUSED_PAD src0_sel:DWORD src1_sel:WORD_1
.LBB209_1247:
	s_mov_b64 s[0:1], 0
.LBB209_1248:
	s_andn2_b64 vcc, exec, s[0:1]
	s_cbranch_vccnz .LBB209_1250
; %bb.1249:
	global_load_ushort v1, v[14:15], off
	s_movk_i32 s0, 0x7fff
	v_mov_b32_e32 v5, 0x7fc0
	s_waitcnt vmcnt(0)
	v_cvt_f32_f16_e32 v3, v1
	v_cmp_o_f16_e32 vcc, v1, v1
	v_bfe_u32 v1, v3, 16, 1
	v_add3_u32 v1, v3, v1, s0
	v_cndmask_b32_sdwa v1, v5, v1, vcc dst_sel:DWORD dst_unused:UNUSED_PAD src0_sel:DWORD src1_sel:WORD_1
.LBB209_1250:
	s_cbranch_execnz .LBB209_1269
.LBB209_1251:
	s_cmp_lt_i32 s8, 2
	s_cbranch_scc1 .LBB209_1255
; %bb.1252:
	s_cmp_lt_i32 s8, 3
	s_cbranch_scc1 .LBB209_1256
; %bb.1253:
	s_cmp_gt_i32 s8, 3
	s_cbranch_scc0 .LBB209_1257
; %bb.1254:
	global_load_dwordx2 v[16:17], v[14:15], off
	s_movk_i32 s0, 0x7fff
	s_waitcnt vmcnt(0)
	v_xor_b32_e32 v3, v16, v17
	v_ffbh_i32_e32 v1, v17
	v_ashrrev_i32_e32 v3, 31, v3
	v_add_u32_e32 v1, -1, v1
	v_add_u32_e32 v3, 32, v3
	v_min_u32_e32 v1, v1, v3
	v_lshlrev_b64 v[16:17], v1, v[16:17]
	v_min_u32_e32 v3, 1, v16
	v_or_b32_e32 v3, v17, v3
	v_cvt_f32_i32_e32 v3, v3
	v_sub_u32_e32 v1, 32, v1
	v_ldexp_f32 v1, v3, v1
	v_bfe_u32 v3, v1, 16, 1
	v_add3_u32 v1, v1, v3, s0
	v_lshrrev_b32_e32 v1, 16, v1
	s_mov_b64 s[0:1], 0
	s_branch .LBB209_1258
.LBB209_1255:
                                        ; implicit-def: $vgpr1
	s_branch .LBB209_1264
.LBB209_1256:
	s_mov_b64 s[0:1], -1
                                        ; implicit-def: $vgpr1
	s_branch .LBB209_1261
.LBB209_1257:
	s_mov_b64 s[0:1], -1
                                        ; implicit-def: $vgpr1
.LBB209_1258:
	s_andn2_b64 vcc, exec, s[0:1]
	s_cbranch_vccnz .LBB209_1260
; %bb.1259:
	global_load_dword v1, v[14:15], off
	s_movk_i32 s0, 0x7fff
	s_waitcnt vmcnt(0)
	v_cvt_f32_i32_e32 v1, v1
	v_bfe_u32 v3, v1, 16, 1
	v_add3_u32 v1, v1, v3, s0
	v_lshrrev_b32_e32 v1, 16, v1
.LBB209_1260:
	s_mov_b64 s[0:1], 0
.LBB209_1261:
	s_andn2_b64 vcc, exec, s[0:1]
	s_cbranch_vccnz .LBB209_1263
; %bb.1262:
	global_load_sshort v1, v[14:15], off
	s_movk_i32 s0, 0x7fff
	s_waitcnt vmcnt(0)
	v_cvt_f32_i32_e32 v1, v1
	v_bfe_u32 v3, v1, 16, 1
	v_add3_u32 v1, v1, v3, s0
	v_lshrrev_b32_e32 v1, 16, v1
.LBB209_1263:
	s_cbranch_execnz .LBB209_1269
.LBB209_1264:
	s_cmp_gt_i32 s8, 0
	s_cbranch_scc0 .LBB209_1266
; %bb.1265:
	global_load_sbyte v1, v[14:15], off
	s_movk_i32 s0, 0x7fff
	s_waitcnt vmcnt(0)
	v_cvt_f32_i32_e32 v1, v1
	v_bfe_u32 v3, v1, 16, 1
	v_add3_u32 v1, v1, v3, s0
	v_lshrrev_b32_e32 v1, 16, v1
	s_mov_b64 s[0:1], 0
	s_branch .LBB209_1267
.LBB209_1266:
	s_mov_b64 s[0:1], -1
                                        ; implicit-def: $vgpr1
.LBB209_1267:
	s_andn2_b64 vcc, exec, s[0:1]
	s_cbranch_vccnz .LBB209_1269
; %bb.1268:
	global_load_ubyte v1, v[14:15], off
	s_movk_i32 s0, 0x7fff
	s_waitcnt vmcnt(0)
	v_cvt_f32_ubyte0_e32 v1, v1
	v_bfe_u32 v3, v1, 16, 1
	v_add3_u32 v1, v1, v3, s0
	v_lshrrev_b32_e32 v1, 16, v1
.LBB209_1269:
.LBB209_1270:
	s_lshr_b32 s0, s16, 16
	v_mov_b32_e32 v13, 0
	s_and_b32 s17, s0, 0xff
	s_cmp_lt_i32 s17, 11
	v_lshl_add_u64 v[12:13], s[6:7], 0, v[12:13]
	s_cbranch_scc1 .LBB209_1277
; %bb.1271:
	s_and_b32 s18, 0xffff, s17
	s_cmp_gt_i32 s18, 25
	s_mov_b64 s[8:9], 0
	s_cbranch_scc0 .LBB209_1279
; %bb.1272:
	s_cmp_gt_i32 s18, 28
	s_cbranch_scc0 .LBB209_1280
; %bb.1273:
	s_cmp_gt_i32 s18, 43
	s_cbranch_scc0 .LBB209_1281
; %bb.1274:
	s_cmp_gt_i32 s18, 45
	s_cbranch_scc0 .LBB209_1283
; %bb.1275:
	s_cmp_eq_u32 s18, 46
	s_mov_b64 s[12:13], 0
	s_cbranch_scc0 .LBB209_1286
; %bb.1276:
	global_load_dword v3, v[12:13], off
	s_mov_b64 s[0:1], 0
	s_mov_b64 s[10:11], -1
	s_branch .LBB209_1287
.LBB209_1277:
	s_mov_b64 s[10:11], 0
                                        ; implicit-def: $vgpr3
	s_cbranch_execnz .LBB209_1352
.LBB209_1278:
	s_andn2_b64 vcc, exec, s[10:11]
	s_cbranch_vccnz .LBB209_2091
	s_branch .LBB209_1399
.LBB209_1279:
	s_mov_b64 s[10:11], 0
	s_mov_b64 s[0:1], 0
                                        ; implicit-def: $vgpr3
	s_cbranch_execnz .LBB209_1316
	s_branch .LBB209_1348
.LBB209_1280:
	s_mov_b64 s[12:13], -1
	s_mov_b64 s[10:11], 0
	s_mov_b64 s[0:1], 0
                                        ; implicit-def: $vgpr3
	s_branch .LBB209_1297
.LBB209_1281:
	s_mov_b64 s[12:13], -1
	s_mov_b64 s[10:11], 0
	s_mov_b64 s[0:1], 0
                                        ; implicit-def: $vgpr3
	s_branch .LBB209_1292
.LBB209_1282:
	s_or_b64 s[2:3], s[24:25], exec
	s_trap 2
	s_cbranch_execz .LBB209_1223
	s_branch .LBB209_1224
.LBB209_1283:
	s_mov_b64 s[12:13], -1
	s_mov_b64 s[10:11], 0
	s_mov_b64 s[0:1], 0
                                        ; implicit-def: $vgpr3
	s_branch .LBB209_1287
.LBB209_1284:
	s_andn2_saveexec_b64 s[14:15], s[14:15]
	s_cbranch_execz .LBB209_1015
.LBB209_1285:
	s_mov_b32 s18, 0x42800000
	v_add_f32_e64 v1, |v5|, s18
	v_and_b32_e32 v1, 0xff, v1
	v_cmp_ne_u32_e32 vcc, 0, v1
	s_andn2_b64 s[12:13], s[12:13], exec
	s_and_b64 s[18:19], vcc, exec
	s_or_b64 s[12:13], s[12:13], s[18:19]
	s_or_b64 exec, exec, s[14:15]
	v_mov_b32_e32 v6, 0
	s_and_saveexec_b64 s[14:15], s[12:13]
	s_cbranch_execnz .LBB209_1016
	s_branch .LBB209_1017
.LBB209_1286:
	s_mov_b64 s[0:1], -1
                                        ; implicit-def: $vgpr3
	s_mov_b64 s[10:11], 0
.LBB209_1287:
	s_and_b64 vcc, exec, s[12:13]
	s_cbranch_vccz .LBB209_1291
; %bb.1288:
	s_cmp_eq_u32 s18, 44
	s_cbranch_scc0 .LBB209_1290
; %bb.1289:
	global_load_ubyte v3, v[12:13], off
	s_movk_i32 s10, 0xff
	v_mov_b32_e32 v5, 0x7f800001
	v_mov_b32_e32 v7, 0x400000
	;; [unrolled: 1-line block ×3, first 2 shown]
	s_mov_b64 s[0:1], 0
	s_waitcnt vmcnt(0)
	v_lshlrev_b32_e32 v11, 23, v3
	v_cmp_ne_u32_e32 vcc, s10, v3
	s_mov_b64 s[10:11], -1
	s_nop 0
	v_cndmask_b32_e32 v5, v5, v11, vcc
	v_cmp_ne_u32_e32 vcc, 0, v3
	s_nop 1
	v_cndmask_b32_e32 v3, v7, v5, vcc
	v_add_u32_e32 v5, 0x7fff, v3
	v_cmp_o_f32_e32 vcc, v3, v3
	s_nop 1
	v_cndmask_b32_sdwa v3, v9, v5, vcc dst_sel:DWORD dst_unused:UNUSED_PAD src0_sel:DWORD src1_sel:WORD_1
	s_branch .LBB209_1291
.LBB209_1290:
	s_mov_b64 s[0:1], -1
                                        ; implicit-def: $vgpr3
.LBB209_1291:
	s_mov_b64 s[12:13], 0
.LBB209_1292:
	s_and_b64 vcc, exec, s[12:13]
	s_cbranch_vccz .LBB209_1296
; %bb.1293:
	s_cmp_eq_u32 s18, 29
	s_cbranch_scc0 .LBB209_1295
; %bb.1294:
	global_load_dwordx2 v[14:15], v[12:13], off
	s_movk_i32 s10, 0x7fff
	s_mov_b64 s[0:1], 0
	s_mov_b64 s[12:13], 0
	s_waitcnt vmcnt(0)
	v_ffbh_u32_e32 v3, v15
	v_min_u32_e32 v3, 32, v3
	v_lshlrev_b64 v[14:15], v3, v[14:15]
	v_min_u32_e32 v5, 1, v14
	v_or_b32_e32 v5, v15, v5
	v_cvt_f32_u32_e32 v5, v5
	v_sub_u32_e32 v3, 32, v3
	v_ldexp_f32 v3, v5, v3
	v_bfe_u32 v5, v3, 16, 1
	v_add3_u32 v3, v3, v5, s10
	v_lshrrev_b32_e32 v3, 16, v3
	s_mov_b64 s[10:11], -1
	s_branch .LBB209_1297
.LBB209_1295:
	s_mov_b64 s[0:1], -1
                                        ; implicit-def: $vgpr3
.LBB209_1296:
	s_mov_b64 s[12:13], 0
.LBB209_1297:
	s_and_b64 vcc, exec, s[12:13]
	s_cbranch_vccz .LBB209_1315
; %bb.1298:
	s_cmp_lt_i32 s18, 27
	s_cbranch_scc1 .LBB209_1301
; %bb.1299:
	s_cmp_gt_i32 s18, 27
	s_cbranch_scc0 .LBB209_1302
; %bb.1300:
	global_load_dword v3, v[12:13], off
	s_movk_i32 s10, 0x7fff
	s_waitcnt vmcnt(0)
	v_cvt_f32_u32_e32 v3, v3
	v_bfe_u32 v5, v3, 16, 1
	v_add3_u32 v3, v3, v5, s10
	v_lshrrev_b32_e32 v3, 16, v3
	s_mov_b64 s[10:11], 0
	s_branch .LBB209_1303
.LBB209_1301:
	s_mov_b64 s[10:11], -1
                                        ; implicit-def: $vgpr3
	s_branch .LBB209_1306
.LBB209_1302:
	s_mov_b64 s[10:11], -1
                                        ; implicit-def: $vgpr3
.LBB209_1303:
	s_andn2_b64 vcc, exec, s[10:11]
	s_cbranch_vccnz .LBB209_1305
; %bb.1304:
	global_load_ushort v3, v[12:13], off
	s_movk_i32 s10, 0x7fff
	s_waitcnt vmcnt(0)
	v_cvt_f32_u32_e32 v3, v3
	v_bfe_u32 v5, v3, 16, 1
	v_add3_u32 v3, v3, v5, s10
	v_lshrrev_b32_e32 v3, 16, v3
.LBB209_1305:
	s_mov_b64 s[10:11], 0
.LBB209_1306:
	s_andn2_b64 vcc, exec, s[10:11]
	s_cbranch_vccnz .LBB209_1314
; %bb.1307:
	global_load_ubyte v3, v[12:13], off
	s_movk_i32 s10, 0x7f
	s_waitcnt vmcnt(0)
	v_cmp_lt_i16_e32 vcc, s10, v3
	s_mov_b64 s[10:11], 0
	s_and_saveexec_b64 s[12:13], vcc
	s_xor_b64 s[12:13], exec, s[12:13]
	s_cbranch_execz .LBB209_1327
; %bb.1308:
	s_movk_i32 s10, 0x80
	v_cmp_eq_u16_e32 vcc, s10, v3
	s_mov_b64 s[10:11], -1
	s_and_saveexec_b64 s[14:15], vcc
; %bb.1309:
	s_xor_b64 s[10:11], exec, -1
; %bb.1310:
	s_or_b64 exec, exec, s[14:15]
	s_and_b64 s[10:11], s[10:11], exec
	s_or_saveexec_b64 s[12:13], s[12:13]
	v_mov_b32_e32 v5, 0x7f800001
	s_xor_b64 exec, exec, s[12:13]
	s_cbranch_execnz .LBB209_1328
.LBB209_1311:
	s_or_b64 exec, exec, s[12:13]
	s_and_saveexec_b64 s[12:13], s[10:11]
	s_cbranch_execz .LBB209_1313
.LBB209_1312:
	v_lshlrev_b32_e32 v5, 24, v3
	v_and_b32_e32 v3, 0xffff, v3
	v_and_b32_e32 v7, 7, v3
	v_ffbh_u32_e32 v11, v7
	v_min_u32_e32 v11, 32, v11
	v_subrev_u32_e32 v14, 28, v11
	v_bfe_u32 v9, v3, 3, 4
	v_lshlrev_b32_e32 v3, v14, v3
	v_sub_u32_e32 v11, 29, v11
	v_and_b32_e32 v3, 7, v3
	v_cmp_eq_u32_e32 vcc, 0, v9
	v_and_b32_e32 v5, 0x80000000, v5
	s_nop 0
	v_cndmask_b32_e32 v9, v9, v11, vcc
	v_cndmask_b32_e32 v3, v7, v3, vcc
	v_mov_b32_e32 v7, 0x3b800000
	v_lshlrev_b32_e32 v3, 20, v3
	v_lshl_add_u32 v7, v9, 23, v7
	v_or3_b32 v5, v5, v7, v3
.LBB209_1313:
	s_or_b64 exec, exec, s[12:13]
	v_bfe_u32 v3, v5, 16, 1
	s_movk_i32 s10, 0x7fff
	v_add3_u32 v3, v5, v3, s10
	v_cmp_o_f32_e32 vcc, v5, v5
	v_mov_b32_e32 v5, 0x7fc0
	s_nop 0
	v_cndmask_b32_sdwa v3, v5, v3, vcc dst_sel:DWORD dst_unused:UNUSED_PAD src0_sel:DWORD src1_sel:WORD_1
.LBB209_1314:
	s_mov_b64 s[10:11], -1
.LBB209_1315:
	s_branch .LBB209_1348
.LBB209_1316:
	s_cmp_gt_i32 s18, 22
	s_cbranch_scc0 .LBB209_1326
; %bb.1317:
	s_cmp_lt_i32 s18, 24
	s_cbranch_scc1 .LBB209_1329
; %bb.1318:
	s_cmp_gt_i32 s18, 24
	s_cbranch_scc0 .LBB209_1330
; %bb.1319:
	global_load_ubyte v3, v[12:13], off
	s_movk_i32 s8, 0x7f
	s_waitcnt vmcnt(0)
	v_cmp_lt_i16_e32 vcc, s8, v3
	s_mov_b64 s[8:9], 0
	s_and_saveexec_b64 s[10:11], vcc
	s_xor_b64 s[10:11], exec, s[10:11]
	s_cbranch_execz .LBB209_1342
; %bb.1320:
	s_movk_i32 s8, 0x80
	v_cmp_eq_u16_e32 vcc, s8, v3
	s_mov_b64 s[8:9], -1
	s_and_saveexec_b64 s[12:13], vcc
; %bb.1321:
	s_xor_b64 s[8:9], exec, -1
; %bb.1322:
	s_or_b64 exec, exec, s[12:13]
	s_and_b64 s[8:9], s[8:9], exec
	s_or_saveexec_b64 s[10:11], s[10:11]
	v_mov_b32_e32 v5, 0x7f800001
	s_xor_b64 exec, exec, s[10:11]
	s_cbranch_execnz .LBB209_1343
.LBB209_1323:
	s_or_b64 exec, exec, s[10:11]
	s_and_saveexec_b64 s[10:11], s[8:9]
	s_cbranch_execz .LBB209_1325
.LBB209_1324:
	v_lshlrev_b32_e32 v5, 24, v3
	v_and_b32_e32 v3, 0xffff, v3
	v_and_b32_e32 v7, 3, v3
	v_ffbh_u32_e32 v11, v7
	v_min_u32_e32 v11, 32, v11
	v_subrev_u32_e32 v14, 29, v11
	v_bfe_u32 v9, v3, 2, 5
	v_lshlrev_b32_e32 v3, v14, v3
	v_sub_u32_e32 v11, 30, v11
	v_and_b32_e32 v3, 3, v3
	v_cmp_eq_u32_e32 vcc, 0, v9
	v_and_b32_e32 v5, 0x80000000, v5
	s_nop 0
	v_cndmask_b32_e32 v9, v9, v11, vcc
	v_cndmask_b32_e32 v3, v7, v3, vcc
	v_mov_b32_e32 v7, 0x37800000
	v_lshlrev_b32_e32 v3, 21, v3
	v_lshl_add_u32 v7, v9, 23, v7
	v_or3_b32 v5, v5, v7, v3
.LBB209_1325:
	s_or_b64 exec, exec, s[10:11]
	v_bfe_u32 v3, v5, 16, 1
	s_movk_i32 s8, 0x7fff
	v_add3_u32 v3, v5, v3, s8
	v_cmp_o_f32_e32 vcc, v5, v5
	v_mov_b32_e32 v5, 0x7fc0
	s_mov_b64 s[8:9], 0
	v_cndmask_b32_sdwa v3, v5, v3, vcc dst_sel:DWORD dst_unused:UNUSED_PAD src0_sel:DWORD src1_sel:WORD_1
	s_branch .LBB209_1331
.LBB209_1326:
	s_mov_b64 s[8:9], -1
                                        ; implicit-def: $vgpr3
	s_branch .LBB209_1337
.LBB209_1327:
	s_or_saveexec_b64 s[12:13], s[12:13]
	v_mov_b32_e32 v5, 0x7f800001
	s_xor_b64 exec, exec, s[12:13]
	s_cbranch_execz .LBB209_1311
.LBB209_1328:
	v_cmp_ne_u16_e32 vcc, 0, v3
	s_andn2_b64 s[10:11], s[10:11], exec
	s_and_b64 s[14:15], vcc, exec
	v_mov_b32_e32 v5, 0
	s_or_b64 s[10:11], s[10:11], s[14:15]
	s_or_b64 exec, exec, s[12:13]
	s_and_saveexec_b64 s[12:13], s[10:11]
	s_cbranch_execnz .LBB209_1312
	s_branch .LBB209_1313
.LBB209_1329:
	s_mov_b64 s[8:9], -1
                                        ; implicit-def: $vgpr3
	s_branch .LBB209_1334
.LBB209_1330:
	s_mov_b64 s[8:9], -1
                                        ; implicit-def: $vgpr3
.LBB209_1331:
	s_and_b64 vcc, exec, s[8:9]
	s_cbranch_vccz .LBB209_1333
; %bb.1332:
	global_load_ubyte v3, v[12:13], off
	s_mov_b32 s8, 0x7f800000
	s_brev_b32 s9, 1
	s_movk_i32 s10, 0x7fff
	s_waitcnt vmcnt(0)
	v_lshlrev_b32_e32 v3, 24, v3
	v_and_b32_e32 v5, 0x7f000000, v3
	v_ffbh_u32_e32 v7, v5
	v_min_u32_e32 v7, 32, v7
	v_sub_u32_e64 v7, v7, 4 clamp
	v_lshlrev_b32_e32 v11, v7, v5
	v_lshlrev_b32_e32 v7, 23, v7
	v_lshrrev_b32_e32 v11, 4, v11
	v_add_u32_e32 v9, 0x1000000, v5
	v_sub_u32_e32 v7, v11, v7
	v_ashrrev_i32_e32 v9, 8, v9
	v_add_u32_e32 v7, 0x3c000000, v7
	v_and_or_b32 v7, v9, s8, v7
	v_cmp_ne_u32_e32 vcc, 0, v5
	s_nop 1
	v_cndmask_b32_e32 v5, 0, v7, vcc
	v_and_or_b32 v3, v3, s9, v5
	v_bfe_u32 v5, v5, 16, 1
	v_add3_u32 v5, v3, v5, s10
	v_cmp_o_f32_e32 vcc, v3, v3
	v_mov_b32_e32 v3, 0x7fc0
	s_nop 0
	v_cndmask_b32_sdwa v3, v3, v5, vcc dst_sel:DWORD dst_unused:UNUSED_PAD src0_sel:DWORD src1_sel:WORD_1
.LBB209_1333:
	s_mov_b64 s[8:9], 0
.LBB209_1334:
	s_andn2_b64 vcc, exec, s[8:9]
	s_cbranch_vccnz .LBB209_1336
; %bb.1335:
	global_load_ubyte v3, v[12:13], off
	s_movk_i32 s8, 0x7f00
	s_brev_b32 s9, 16
	s_brev_b32 s10, 1
	s_movk_i32 s11, 0x7fff
	s_waitcnt vmcnt(0)
	v_lshlrev_b16_e32 v5, 8, v3
	v_lshlrev_b32_e32 v3, 25, v3
	v_lshrrev_b32_e32 v7, 4, v3
	v_and_or_b32 v9, v5, s8, 0.5
	v_or_b32_e32 v7, 0x70000000, v7
	v_add_f32_e32 v9, -0.5, v9
	v_mul_f32_e32 v7, 0x7800000, v7
	v_cmp_gt_u32_e32 vcc, s9, v3
	v_bfe_i32 v5, v5, 0, 16
	s_nop 0
	v_cndmask_b32_e32 v3, v7, v9, vcc
	v_and_or_b32 v5, v5, s10, v3
	v_bfe_u32 v3, v3, 16, 1
	v_add3_u32 v3, v5, v3, s11
	v_cmp_o_f32_e32 vcc, v5, v5
	v_mov_b32_e32 v5, 0x7fc0
	s_nop 0
	v_cndmask_b32_sdwa v3, v5, v3, vcc dst_sel:DWORD dst_unused:UNUSED_PAD src0_sel:DWORD src1_sel:WORD_1
.LBB209_1336:
	s_mov_b64 s[8:9], 0
	s_mov_b64 s[10:11], -1
.LBB209_1337:
	s_andn2_b64 vcc, exec, s[8:9]
	s_mov_b64 s[8:9], 0
	s_cbranch_vccnz .LBB209_1348
; %bb.1338:
	s_cmp_gt_i32 s18, 14
	s_cbranch_scc0 .LBB209_1341
; %bb.1339:
	s_cmp_eq_u32 s18, 15
	s_cbranch_scc0 .LBB209_1344
; %bb.1340:
	global_load_ushort v3, v[12:13], off
	s_mov_b64 s[0:1], 0
	s_mov_b64 s[10:11], -1
	s_branch .LBB209_1345
.LBB209_1341:
	s_mov_b64 s[12:13], -1
                                        ; implicit-def: $vgpr3
	s_branch .LBB209_1346
.LBB209_1342:
	s_or_saveexec_b64 s[10:11], s[10:11]
	v_mov_b32_e32 v5, 0x7f800001
	s_xor_b64 exec, exec, s[10:11]
	s_cbranch_execz .LBB209_1323
.LBB209_1343:
	v_cmp_ne_u16_e32 vcc, 0, v3
	s_andn2_b64 s[8:9], s[8:9], exec
	s_and_b64 s[12:13], vcc, exec
	v_mov_b32_e32 v5, 0
	s_or_b64 s[8:9], s[8:9], s[12:13]
	s_or_b64 exec, exec, s[10:11]
	s_and_saveexec_b64 s[10:11], s[8:9]
	s_cbranch_execnz .LBB209_1324
	s_branch .LBB209_1325
.LBB209_1344:
	s_mov_b64 s[0:1], -1
                                        ; implicit-def: $vgpr3
.LBB209_1345:
	s_mov_b64 s[12:13], 0
.LBB209_1346:
	s_and_b64 vcc, exec, s[12:13]
	s_cbranch_vccz .LBB209_1348
; %bb.1347:
	s_cmp_lg_u32 s18, 11
	s_mov_b64 s[8:9], -1
	s_cselect_b64 s[0:1], -1, 0
.LBB209_1348:
	s_and_b64 vcc, exec, s[0:1]
	s_cbranch_vccnz .LBB209_1411
; %bb.1349:
	s_andn2_b64 vcc, exec, s[8:9]
	s_cbranch_vccnz .LBB209_1351
.LBB209_1350:
	global_load_ubyte v3, v[12:13], off
	s_mov_b64 s[10:11], -1
	s_waitcnt vmcnt(0)
	v_cmp_ne_u16_e32 vcc, 0, v3
	s_nop 1
	v_cndmask_b32_e64 v3, 0, 1.0, vcc
	v_lshrrev_b32_e32 v3, 16, v3
.LBB209_1351:
	s_branch .LBB209_1278
.LBB209_1352:
	s_and_b32 s8, 0xffff, s17
	s_cmp_lt_i32 s8, 5
	s_cbranch_scc1 .LBB209_1357
; %bb.1353:
	s_cmp_lt_i32 s8, 8
	s_cbranch_scc1 .LBB209_1358
; %bb.1354:
	;; [unrolled: 3-line block ×3, first 2 shown]
	s_cmp_gt_i32 s8, 9
	s_cbranch_scc0 .LBB209_1360
; %bb.1356:
	global_load_dwordx2 v[14:15], v[12:13], off
	s_movk_i32 s0, 0x7fff
	s_waitcnt vmcnt(1)
	v_mov_b32_e32 v3, 0x7fc0
	s_waitcnt vmcnt(0)
	v_cvt_f32_f64_e32 v5, v[14:15]
	v_bfe_u32 v7, v5, 16, 1
	v_cmp_o_f32_e32 vcc, v5, v5
	v_add3_u32 v5, v5, v7, s0
	s_mov_b64 s[0:1], 0
	v_cndmask_b32_sdwa v3, v3, v5, vcc dst_sel:DWORD dst_unused:UNUSED_PAD src0_sel:DWORD src1_sel:WORD_1
	s_branch .LBB209_1361
.LBB209_1357:
                                        ; implicit-def: $vgpr3
	s_branch .LBB209_1379
.LBB209_1358:
	s_mov_b64 s[0:1], -1
                                        ; implicit-def: $vgpr3
	s_branch .LBB209_1367
.LBB209_1359:
	s_mov_b64 s[0:1], -1
                                        ; implicit-def: $vgpr3
	s_branch .LBB209_1364
.LBB209_1360:
	s_mov_b64 s[0:1], -1
                                        ; implicit-def: $vgpr3
.LBB209_1361:
	s_andn2_b64 vcc, exec, s[0:1]
	s_cbranch_vccnz .LBB209_1363
; %bb.1362:
	global_load_dword v3, v[12:13], off
	s_movk_i32 s0, 0x7fff
	v_mov_b32_e32 v5, 0x7fc0
	s_waitcnt vmcnt(0)
	v_bfe_u32 v7, v3, 16, 1
	v_cmp_o_f32_e32 vcc, v3, v3
	v_add3_u32 v3, v3, v7, s0
	s_nop 0
	v_cndmask_b32_sdwa v3, v5, v3, vcc dst_sel:DWORD dst_unused:UNUSED_PAD src0_sel:DWORD src1_sel:WORD_1
.LBB209_1363:
	s_mov_b64 s[0:1], 0
.LBB209_1364:
	s_andn2_b64 vcc, exec, s[0:1]
	s_cbranch_vccnz .LBB209_1366
; %bb.1365:
	global_load_dword v3, v[12:13], off
	s_movk_i32 s0, 0x7fff
	v_mov_b32_e32 v7, 0x7fc0
	s_waitcnt vmcnt(0)
	v_cvt_f32_f16_e32 v5, v3
	v_cmp_o_f16_e32 vcc, v3, v3
	v_bfe_u32 v3, v5, 16, 1
	v_add3_u32 v3, v5, v3, s0
	v_cndmask_b32_sdwa v3, v7, v3, vcc dst_sel:DWORD dst_unused:UNUSED_PAD src0_sel:DWORD src1_sel:WORD_1
.LBB209_1366:
	s_mov_b64 s[0:1], 0
.LBB209_1367:
	s_andn2_b64 vcc, exec, s[0:1]
	s_cbranch_vccnz .LBB209_1378
; %bb.1368:
	s_cmp_lt_i32 s8, 6
	s_cbranch_scc1 .LBB209_1371
; %bb.1369:
	s_cmp_gt_i32 s8, 6
	s_cbranch_scc0 .LBB209_1372
; %bb.1370:
	global_load_dwordx2 v[14:15], v[12:13], off
	s_movk_i32 s0, 0x7fff
	s_waitcnt vmcnt(1)
	v_mov_b32_e32 v3, 0x7fc0
	s_waitcnt vmcnt(0)
	v_cvt_f32_f64_e32 v5, v[14:15]
	v_bfe_u32 v7, v5, 16, 1
	v_cmp_o_f32_e32 vcc, v5, v5
	v_add3_u32 v5, v5, v7, s0
	s_mov_b64 s[0:1], 0
	v_cndmask_b32_sdwa v3, v3, v5, vcc dst_sel:DWORD dst_unused:UNUSED_PAD src0_sel:DWORD src1_sel:WORD_1
	s_branch .LBB209_1373
.LBB209_1371:
	s_mov_b64 s[0:1], -1
                                        ; implicit-def: $vgpr3
	s_branch .LBB209_1376
.LBB209_1372:
	s_mov_b64 s[0:1], -1
                                        ; implicit-def: $vgpr3
.LBB209_1373:
	s_andn2_b64 vcc, exec, s[0:1]
	s_cbranch_vccnz .LBB209_1375
; %bb.1374:
	global_load_dword v3, v[12:13], off
	s_movk_i32 s0, 0x7fff
	v_mov_b32_e32 v5, 0x7fc0
	s_waitcnt vmcnt(0)
	v_bfe_u32 v7, v3, 16, 1
	v_cmp_o_f32_e32 vcc, v3, v3
	v_add3_u32 v3, v3, v7, s0
	s_nop 0
	v_cndmask_b32_sdwa v3, v5, v3, vcc dst_sel:DWORD dst_unused:UNUSED_PAD src0_sel:DWORD src1_sel:WORD_1
.LBB209_1375:
	s_mov_b64 s[0:1], 0
.LBB209_1376:
	s_andn2_b64 vcc, exec, s[0:1]
	s_cbranch_vccnz .LBB209_1378
; %bb.1377:
	global_load_ushort v3, v[12:13], off
	s_movk_i32 s0, 0x7fff
	v_mov_b32_e32 v7, 0x7fc0
	s_waitcnt vmcnt(0)
	v_cvt_f32_f16_e32 v5, v3
	v_cmp_o_f16_e32 vcc, v3, v3
	v_bfe_u32 v3, v5, 16, 1
	v_add3_u32 v3, v5, v3, s0
	v_cndmask_b32_sdwa v3, v7, v3, vcc dst_sel:DWORD dst_unused:UNUSED_PAD src0_sel:DWORD src1_sel:WORD_1
.LBB209_1378:
	s_cbranch_execnz .LBB209_1398
.LBB209_1379:
	s_cmp_lt_i32 s8, 2
	s_cbranch_scc1 .LBB209_1383
; %bb.1380:
	s_cmp_lt_i32 s8, 3
	s_cbranch_scc1 .LBB209_1384
; %bb.1381:
	s_cmp_gt_i32 s8, 3
	s_cbranch_scc0 .LBB209_1385
; %bb.1382:
	global_load_dwordx2 v[14:15], v[12:13], off
	s_movk_i32 s0, 0x7fff
	s_waitcnt vmcnt(0)
	v_xor_b32_e32 v5, v14, v15
	v_ffbh_i32_e32 v3, v15
	v_ashrrev_i32_e32 v5, 31, v5
	v_add_u32_e32 v3, -1, v3
	v_add_u32_e32 v5, 32, v5
	v_min_u32_e32 v3, v3, v5
	v_lshlrev_b64 v[14:15], v3, v[14:15]
	v_min_u32_e32 v5, 1, v14
	v_or_b32_e32 v5, v15, v5
	v_cvt_f32_i32_e32 v5, v5
	v_sub_u32_e32 v3, 32, v3
	v_ldexp_f32 v3, v5, v3
	v_bfe_u32 v5, v3, 16, 1
	v_add3_u32 v3, v3, v5, s0
	v_lshrrev_b32_e32 v3, 16, v3
	s_mov_b64 s[0:1], 0
	s_branch .LBB209_1386
.LBB209_1383:
	s_mov_b64 s[0:1], -1
                                        ; implicit-def: $vgpr3
	s_branch .LBB209_1392
.LBB209_1384:
	s_mov_b64 s[0:1], -1
                                        ; implicit-def: $vgpr3
	s_branch .LBB209_1389
.LBB209_1385:
	s_mov_b64 s[0:1], -1
                                        ; implicit-def: $vgpr3
.LBB209_1386:
	s_andn2_b64 vcc, exec, s[0:1]
	s_cbranch_vccnz .LBB209_1388
; %bb.1387:
	global_load_dword v3, v[12:13], off
	s_movk_i32 s0, 0x7fff
	s_waitcnt vmcnt(0)
	v_cvt_f32_i32_e32 v3, v3
	v_bfe_u32 v5, v3, 16, 1
	v_add3_u32 v3, v3, v5, s0
	v_lshrrev_b32_e32 v3, 16, v3
.LBB209_1388:
	s_mov_b64 s[0:1], 0
.LBB209_1389:
	s_andn2_b64 vcc, exec, s[0:1]
	s_cbranch_vccnz .LBB209_1391
; %bb.1390:
	global_load_sshort v3, v[12:13], off
	s_movk_i32 s0, 0x7fff
	s_waitcnt vmcnt(0)
	v_cvt_f32_i32_e32 v3, v3
	v_bfe_u32 v5, v3, 16, 1
	v_add3_u32 v3, v3, v5, s0
	v_lshrrev_b32_e32 v3, 16, v3
.LBB209_1391:
	s_mov_b64 s[0:1], 0
.LBB209_1392:
	s_andn2_b64 vcc, exec, s[0:1]
	s_cbranch_vccnz .LBB209_1398
; %bb.1393:
	s_cmp_gt_i32 s8, 0
	s_cbranch_scc0 .LBB209_1395
; %bb.1394:
	global_load_sbyte v3, v[12:13], off
	s_movk_i32 s0, 0x7fff
	s_waitcnt vmcnt(0)
	v_cvt_f32_i32_e32 v3, v3
	v_bfe_u32 v5, v3, 16, 1
	v_add3_u32 v3, v3, v5, s0
	v_lshrrev_b32_e32 v3, 16, v3
	s_mov_b64 s[0:1], 0
	s_branch .LBB209_1396
.LBB209_1395:
	s_mov_b64 s[0:1], -1
                                        ; implicit-def: $vgpr3
.LBB209_1396:
	s_andn2_b64 vcc, exec, s[0:1]
	s_cbranch_vccnz .LBB209_1398
; %bb.1397:
	global_load_ubyte v3, v[12:13], off
	s_movk_i32 s0, 0x7fff
	s_waitcnt vmcnt(0)
	v_cvt_f32_ubyte0_e32 v3, v3
	v_bfe_u32 v5, v3, 16, 1
	v_add3_u32 v3, v3, v5, s0
	v_lshrrev_b32_e32 v3, 16, v3
.LBB209_1398:
.LBB209_1399:
	v_mov_b32_e32 v11, 0
	s_cmp_lt_i32 s17, 11
	v_lshl_add_u64 v[10:11], s[6:7], 0, v[10:11]
	s_cbranch_scc1 .LBB209_1406
; %bb.1400:
	s_and_b32 s18, 0xffff, s17
	s_cmp_gt_i32 s18, 25
	s_mov_b64 s[8:9], 0
	s_cbranch_scc0 .LBB209_1408
; %bb.1401:
	s_cmp_gt_i32 s18, 28
	s_cbranch_scc0 .LBB209_1409
; %bb.1402:
	s_cmp_gt_i32 s18, 43
	;; [unrolled: 3-line block ×3, first 2 shown]
	s_cbranch_scc0 .LBB209_1412
; %bb.1404:
	s_cmp_eq_u32 s18, 46
	s_mov_b64 s[12:13], 0
	s_cbranch_scc0 .LBB209_1413
; %bb.1405:
	global_load_dword v12, v[10:11], off
	s_mov_b64 s[0:1], 0
	s_mov_b64 s[10:11], -1
	s_branch .LBB209_1414
.LBB209_1406:
	s_mov_b64 s[10:11], 0
                                        ; implicit-def: $vgpr12
	s_cbranch_execnz .LBB209_1480
.LBB209_1407:
	s_andn2_b64 vcc, exec, s[10:11]
	s_cbranch_vccnz .LBB209_2091
	s_branch .LBB209_1528
.LBB209_1408:
	s_mov_b64 s[12:13], -1
	s_mov_b64 s[10:11], 0
	s_mov_b64 s[0:1], 0
                                        ; implicit-def: $vgpr12
	s_branch .LBB209_1443
.LBB209_1409:
	s_mov_b64 s[12:13], -1
	s_mov_b64 s[10:11], 0
	s_mov_b64 s[0:1], 0
                                        ; implicit-def: $vgpr12
	s_branch .LBB209_1424
.LBB209_1410:
	s_mov_b64 s[12:13], -1
	s_mov_b64 s[10:11], 0
	s_mov_b64 s[0:1], 0
                                        ; implicit-def: $vgpr12
	s_branch .LBB209_1419
.LBB209_1411:
	s_trap 2
	s_or_b64 s[2:3], s[2:3], exec
	s_cbranch_execz .LBB209_1350
	s_branch .LBB209_1351
.LBB209_1412:
	s_mov_b64 s[12:13], -1
	s_mov_b64 s[10:11], 0
	s_mov_b64 s[0:1], 0
                                        ; implicit-def: $vgpr12
	s_branch .LBB209_1414
.LBB209_1413:
	s_mov_b64 s[0:1], -1
                                        ; implicit-def: $vgpr12
	s_mov_b64 s[10:11], 0
.LBB209_1414:
	s_and_b64 vcc, exec, s[12:13]
	s_cbranch_vccz .LBB209_1418
; %bb.1415:
	s_cmp_eq_u32 s18, 44
	s_cbranch_scc0 .LBB209_1417
; %bb.1416:
	global_load_ubyte v5, v[10:11], off
	s_movk_i32 s10, 0xff
	v_mov_b32_e32 v7, 0x7f800001
	v_mov_b32_e32 v9, 0x400000
	s_waitcnt vmcnt(1)
	v_mov_b32_e32 v12, 0x7fc0
	s_mov_b64 s[0:1], 0
	s_waitcnt vmcnt(0)
	v_lshlrev_b32_e32 v13, 23, v5
	v_cmp_ne_u32_e32 vcc, s10, v5
	s_mov_b64 s[10:11], -1
	s_nop 0
	v_cndmask_b32_e32 v7, v7, v13, vcc
	v_cmp_ne_u32_e32 vcc, 0, v5
	s_nop 1
	v_cndmask_b32_e32 v5, v9, v7, vcc
	v_add_u32_e32 v7, 0x7fff, v5
	v_cmp_o_f32_e32 vcc, v5, v5
	s_nop 1
	v_cndmask_b32_sdwa v12, v12, v7, vcc dst_sel:DWORD dst_unused:UNUSED_PAD src0_sel:DWORD src1_sel:WORD_1
	s_branch .LBB209_1418
.LBB209_1417:
	s_mov_b64 s[0:1], -1
                                        ; implicit-def: $vgpr12
.LBB209_1418:
	s_mov_b64 s[12:13], 0
.LBB209_1419:
	s_and_b64 vcc, exec, s[12:13]
	s_cbranch_vccz .LBB209_1423
; %bb.1420:
	s_cmp_eq_u32 s18, 29
	s_cbranch_scc0 .LBB209_1422
; %bb.1421:
	global_load_dwordx2 v[12:13], v[10:11], off
	s_movk_i32 s10, 0x7fff
	s_mov_b64 s[0:1], 0
	s_mov_b64 s[12:13], 0
	s_waitcnt vmcnt(0)
	v_ffbh_u32_e32 v5, v13
	v_min_u32_e32 v5, 32, v5
	v_lshlrev_b64 v[12:13], v5, v[12:13]
	v_min_u32_e32 v7, 1, v12
	v_or_b32_e32 v7, v13, v7
	v_cvt_f32_u32_e32 v7, v7
	v_sub_u32_e32 v5, 32, v5
	v_ldexp_f32 v5, v7, v5
	v_bfe_u32 v7, v5, 16, 1
	v_add3_u32 v5, v5, v7, s10
	v_lshrrev_b32_e32 v12, 16, v5
	s_mov_b64 s[10:11], -1
	s_branch .LBB209_1424
.LBB209_1422:
	s_mov_b64 s[0:1], -1
                                        ; implicit-def: $vgpr12
.LBB209_1423:
	s_mov_b64 s[12:13], 0
.LBB209_1424:
	s_and_b64 vcc, exec, s[12:13]
	s_cbranch_vccz .LBB209_1442
; %bb.1425:
	s_cmp_lt_i32 s18, 27
	s_cbranch_scc1 .LBB209_1428
; %bb.1426:
	s_cmp_gt_i32 s18, 27
	s_cbranch_scc0 .LBB209_1429
; %bb.1427:
	global_load_dword v5, v[10:11], off
	s_movk_i32 s10, 0x7fff
	s_waitcnt vmcnt(0)
	v_cvt_f32_u32_e32 v5, v5
	v_bfe_u32 v7, v5, 16, 1
	v_add3_u32 v5, v5, v7, s10
	v_lshrrev_b32_e32 v12, 16, v5
	s_mov_b64 s[10:11], 0
	s_branch .LBB209_1430
.LBB209_1428:
	s_mov_b64 s[10:11], -1
                                        ; implicit-def: $vgpr12
	s_branch .LBB209_1433
.LBB209_1429:
	s_mov_b64 s[10:11], -1
                                        ; implicit-def: $vgpr12
.LBB209_1430:
	s_andn2_b64 vcc, exec, s[10:11]
	s_cbranch_vccnz .LBB209_1432
; %bb.1431:
	global_load_ushort v5, v[10:11], off
	s_movk_i32 s10, 0x7fff
	s_waitcnt vmcnt(0)
	v_cvt_f32_u32_e32 v5, v5
	v_bfe_u32 v7, v5, 16, 1
	v_add3_u32 v5, v5, v7, s10
	v_lshrrev_b32_e32 v12, 16, v5
.LBB209_1432:
	s_mov_b64 s[10:11], 0
.LBB209_1433:
	s_andn2_b64 vcc, exec, s[10:11]
	s_cbranch_vccnz .LBB209_1441
; %bb.1434:
	global_load_ubyte v5, v[10:11], off
	s_movk_i32 s10, 0x7f
	s_waitcnt vmcnt(0)
	v_cmp_lt_i16_e32 vcc, s10, v5
	s_mov_b64 s[10:11], 0
	s_and_saveexec_b64 s[12:13], vcc
	s_xor_b64 s[12:13], exec, s[12:13]
	s_cbranch_execz .LBB209_1455
; %bb.1435:
	s_movk_i32 s10, 0x80
	v_cmp_eq_u16_e32 vcc, s10, v5
	s_mov_b64 s[10:11], -1
	s_and_saveexec_b64 s[14:15], vcc
; %bb.1436:
	s_xor_b64 s[10:11], exec, -1
; %bb.1437:
	s_or_b64 exec, exec, s[14:15]
	s_and_b64 s[10:11], s[10:11], exec
	s_or_saveexec_b64 s[12:13], s[12:13]
	v_mov_b32_e32 v7, 0x7f800001
	s_xor_b64 exec, exec, s[12:13]
	s_cbranch_execnz .LBB209_1456
.LBB209_1438:
	s_or_b64 exec, exec, s[12:13]
	s_and_saveexec_b64 s[12:13], s[10:11]
	s_cbranch_execz .LBB209_1440
.LBB209_1439:
	v_lshlrev_b32_e32 v7, 24, v5
	v_and_b32_e32 v5, 0xffff, v5
	v_and_b32_e32 v9, 7, v5
	v_ffbh_u32_e32 v13, v9
	v_min_u32_e32 v13, 32, v13
	v_subrev_u32_e32 v14, 28, v13
	v_bfe_u32 v12, v5, 3, 4
	v_lshlrev_b32_e32 v5, v14, v5
	v_sub_u32_e32 v13, 29, v13
	v_and_b32_e32 v5, 7, v5
	v_cmp_eq_u32_e32 vcc, 0, v12
	v_and_b32_e32 v7, 0x80000000, v7
	s_nop 0
	v_cndmask_b32_e32 v12, v12, v13, vcc
	v_cndmask_b32_e32 v5, v9, v5, vcc
	v_mov_b32_e32 v9, 0x3b800000
	v_lshlrev_b32_e32 v5, 20, v5
	v_lshl_add_u32 v9, v12, 23, v9
	v_or3_b32 v7, v7, v9, v5
.LBB209_1440:
	s_or_b64 exec, exec, s[12:13]
	v_bfe_u32 v5, v7, 16, 1
	s_movk_i32 s10, 0x7fff
	v_add3_u32 v5, v7, v5, s10
	v_cmp_o_f32_e32 vcc, v7, v7
	v_mov_b32_e32 v7, 0x7fc0
	s_nop 0
	v_cndmask_b32_sdwa v12, v7, v5, vcc dst_sel:DWORD dst_unused:UNUSED_PAD src0_sel:DWORD src1_sel:WORD_1
.LBB209_1441:
	s_mov_b64 s[10:11], -1
.LBB209_1442:
	s_mov_b64 s[12:13], 0
.LBB209_1443:
	s_and_b64 vcc, exec, s[12:13]
	s_cbranch_vccz .LBB209_1476
; %bb.1444:
	s_cmp_gt_i32 s18, 22
	s_cbranch_scc0 .LBB209_1454
; %bb.1445:
	s_cmp_lt_i32 s18, 24
	s_cbranch_scc1 .LBB209_1457
; %bb.1446:
	s_cmp_gt_i32 s18, 24
	s_cbranch_scc0 .LBB209_1458
; %bb.1447:
	global_load_ubyte v5, v[10:11], off
	s_movk_i32 s8, 0x7f
	s_waitcnt vmcnt(0)
	v_cmp_lt_i16_e32 vcc, s8, v5
	s_mov_b64 s[8:9], 0
	s_and_saveexec_b64 s[10:11], vcc
	s_xor_b64 s[10:11], exec, s[10:11]
	s_cbranch_execz .LBB209_1470
; %bb.1448:
	s_movk_i32 s8, 0x80
	v_cmp_eq_u16_e32 vcc, s8, v5
	s_mov_b64 s[8:9], -1
	s_and_saveexec_b64 s[12:13], vcc
; %bb.1449:
	s_xor_b64 s[8:9], exec, -1
; %bb.1450:
	s_or_b64 exec, exec, s[12:13]
	s_and_b64 s[8:9], s[8:9], exec
	s_or_saveexec_b64 s[10:11], s[10:11]
	v_mov_b32_e32 v7, 0x7f800001
	s_xor_b64 exec, exec, s[10:11]
	s_cbranch_execnz .LBB209_1471
.LBB209_1451:
	s_or_b64 exec, exec, s[10:11]
	s_and_saveexec_b64 s[10:11], s[8:9]
	s_cbranch_execz .LBB209_1453
.LBB209_1452:
	v_lshlrev_b32_e32 v7, 24, v5
	v_and_b32_e32 v5, 0xffff, v5
	v_and_b32_e32 v9, 3, v5
	v_ffbh_u32_e32 v13, v9
	v_min_u32_e32 v13, 32, v13
	v_subrev_u32_e32 v14, 29, v13
	v_bfe_u32 v12, v5, 2, 5
	v_lshlrev_b32_e32 v5, v14, v5
	v_sub_u32_e32 v13, 30, v13
	v_and_b32_e32 v5, 3, v5
	v_cmp_eq_u32_e32 vcc, 0, v12
	v_and_b32_e32 v7, 0x80000000, v7
	s_nop 0
	v_cndmask_b32_e32 v12, v12, v13, vcc
	v_cndmask_b32_e32 v5, v9, v5, vcc
	v_mov_b32_e32 v9, 0x37800000
	v_lshlrev_b32_e32 v5, 21, v5
	v_lshl_add_u32 v9, v12, 23, v9
	v_or3_b32 v7, v7, v9, v5
.LBB209_1453:
	s_or_b64 exec, exec, s[10:11]
	v_bfe_u32 v5, v7, 16, 1
	s_movk_i32 s8, 0x7fff
	v_add3_u32 v5, v7, v5, s8
	v_cmp_o_f32_e32 vcc, v7, v7
	v_mov_b32_e32 v7, 0x7fc0
	s_mov_b64 s[8:9], 0
	v_cndmask_b32_sdwa v12, v7, v5, vcc dst_sel:DWORD dst_unused:UNUSED_PAD src0_sel:DWORD src1_sel:WORD_1
	s_branch .LBB209_1459
.LBB209_1454:
	s_mov_b64 s[8:9], -1
                                        ; implicit-def: $vgpr12
	s_branch .LBB209_1465
.LBB209_1455:
	s_or_saveexec_b64 s[12:13], s[12:13]
	v_mov_b32_e32 v7, 0x7f800001
	s_xor_b64 exec, exec, s[12:13]
	s_cbranch_execz .LBB209_1438
.LBB209_1456:
	v_cmp_ne_u16_e32 vcc, 0, v5
	s_andn2_b64 s[10:11], s[10:11], exec
	s_and_b64 s[14:15], vcc, exec
	v_mov_b32_e32 v7, 0
	s_or_b64 s[10:11], s[10:11], s[14:15]
	s_or_b64 exec, exec, s[12:13]
	s_and_saveexec_b64 s[12:13], s[10:11]
	s_cbranch_execnz .LBB209_1439
	s_branch .LBB209_1440
.LBB209_1457:
	s_mov_b64 s[8:9], -1
                                        ; implicit-def: $vgpr12
	s_branch .LBB209_1462
.LBB209_1458:
	s_mov_b64 s[8:9], -1
                                        ; implicit-def: $vgpr12
.LBB209_1459:
	s_and_b64 vcc, exec, s[8:9]
	s_cbranch_vccz .LBB209_1461
; %bb.1460:
	global_load_ubyte v5, v[10:11], off
	s_mov_b32 s8, 0x7f800000
	s_brev_b32 s9, 1
	s_movk_i32 s10, 0x7fff
	s_waitcnt vmcnt(0)
	v_lshlrev_b32_e32 v5, 24, v5
	v_and_b32_e32 v7, 0x7f000000, v5
	v_ffbh_u32_e32 v9, v7
	v_min_u32_e32 v9, 32, v9
	v_sub_u32_e64 v9, v9, 4 clamp
	v_lshlrev_b32_e32 v13, v9, v7
	v_lshlrev_b32_e32 v9, 23, v9
	v_lshrrev_b32_e32 v13, 4, v13
	v_add_u32_e32 v12, 0x1000000, v7
	v_sub_u32_e32 v9, v13, v9
	v_ashrrev_i32_e32 v12, 8, v12
	v_add_u32_e32 v9, 0x3c000000, v9
	v_and_or_b32 v9, v12, s8, v9
	v_cmp_ne_u32_e32 vcc, 0, v7
	s_nop 1
	v_cndmask_b32_e32 v7, 0, v9, vcc
	v_and_or_b32 v5, v5, s9, v7
	v_bfe_u32 v7, v7, 16, 1
	v_add3_u32 v7, v5, v7, s10
	v_cmp_o_f32_e32 vcc, v5, v5
	v_mov_b32_e32 v5, 0x7fc0
	s_nop 0
	v_cndmask_b32_sdwa v12, v5, v7, vcc dst_sel:DWORD dst_unused:UNUSED_PAD src0_sel:DWORD src1_sel:WORD_1
.LBB209_1461:
	s_mov_b64 s[8:9], 0
.LBB209_1462:
	s_andn2_b64 vcc, exec, s[8:9]
	s_cbranch_vccnz .LBB209_1464
; %bb.1463:
	global_load_ubyte v5, v[10:11], off
	s_movk_i32 s8, 0x7f00
	s_brev_b32 s9, 16
	s_brev_b32 s10, 1
	s_movk_i32 s11, 0x7fff
	s_waitcnt vmcnt(0)
	v_lshlrev_b16_e32 v7, 8, v5
	v_lshlrev_b32_e32 v5, 25, v5
	v_lshrrev_b32_e32 v9, 4, v5
	v_and_or_b32 v12, v7, s8, 0.5
	v_or_b32_e32 v9, 0x70000000, v9
	v_add_f32_e32 v12, -0.5, v12
	v_mul_f32_e32 v9, 0x7800000, v9
	v_cmp_gt_u32_e32 vcc, s9, v5
	v_bfe_i32 v7, v7, 0, 16
	s_nop 0
	v_cndmask_b32_e32 v5, v9, v12, vcc
	v_and_or_b32 v7, v7, s10, v5
	v_bfe_u32 v5, v5, 16, 1
	v_add3_u32 v5, v7, v5, s11
	v_cmp_o_f32_e32 vcc, v7, v7
	v_mov_b32_e32 v7, 0x7fc0
	s_nop 0
	v_cndmask_b32_sdwa v12, v7, v5, vcc dst_sel:DWORD dst_unused:UNUSED_PAD src0_sel:DWORD src1_sel:WORD_1
.LBB209_1464:
	s_mov_b64 s[8:9], 0
	s_mov_b64 s[10:11], -1
.LBB209_1465:
	s_andn2_b64 vcc, exec, s[8:9]
	s_mov_b64 s[8:9], 0
	s_cbranch_vccnz .LBB209_1476
; %bb.1466:
	s_cmp_gt_i32 s18, 14
	s_cbranch_scc0 .LBB209_1469
; %bb.1467:
	s_cmp_eq_u32 s18, 15
	s_cbranch_scc0 .LBB209_1472
; %bb.1468:
	global_load_ushort v12, v[10:11], off
	s_mov_b64 s[0:1], 0
	s_mov_b64 s[10:11], -1
	s_branch .LBB209_1473
.LBB209_1469:
	s_mov_b64 s[12:13], -1
                                        ; implicit-def: $vgpr12
	s_branch .LBB209_1474
.LBB209_1470:
	s_or_saveexec_b64 s[10:11], s[10:11]
	v_mov_b32_e32 v7, 0x7f800001
	s_xor_b64 exec, exec, s[10:11]
	s_cbranch_execz .LBB209_1451
.LBB209_1471:
	v_cmp_ne_u16_e32 vcc, 0, v5
	s_andn2_b64 s[8:9], s[8:9], exec
	s_and_b64 s[12:13], vcc, exec
	v_mov_b32_e32 v7, 0
	s_or_b64 s[8:9], s[8:9], s[12:13]
	s_or_b64 exec, exec, s[10:11]
	s_and_saveexec_b64 s[10:11], s[8:9]
	s_cbranch_execnz .LBB209_1452
	s_branch .LBB209_1453
.LBB209_1472:
	s_mov_b64 s[0:1], -1
                                        ; implicit-def: $vgpr12
.LBB209_1473:
	s_mov_b64 s[12:13], 0
.LBB209_1474:
	s_and_b64 vcc, exec, s[12:13]
	s_cbranch_vccz .LBB209_1476
; %bb.1475:
	s_cmp_lg_u32 s18, 11
	s_mov_b64 s[8:9], -1
	s_cselect_b64 s[0:1], -1, 0
.LBB209_1476:
	s_and_b64 vcc, exec, s[0:1]
	s_cbranch_vccnz .LBB209_1539
; %bb.1477:
	s_andn2_b64 vcc, exec, s[8:9]
	s_cbranch_vccnz .LBB209_1479
.LBB209_1478:
	global_load_ubyte v5, v[10:11], off
	s_mov_b64 s[10:11], -1
	s_waitcnt vmcnt(0)
	v_cmp_ne_u16_e32 vcc, 0, v5
	s_nop 1
	v_cndmask_b32_e64 v5, 0, 1.0, vcc
	v_lshrrev_b32_e32 v12, 16, v5
.LBB209_1479:
	s_branch .LBB209_1407
.LBB209_1480:
	s_and_b32 s8, 0xffff, s17
	s_cmp_lt_i32 s8, 5
	s_cbranch_scc1 .LBB209_1485
; %bb.1481:
	s_cmp_lt_i32 s8, 8
	s_cbranch_scc1 .LBB209_1486
; %bb.1482:
	;; [unrolled: 3-line block ×3, first 2 shown]
	s_cmp_gt_i32 s8, 9
	s_cbranch_scc0 .LBB209_1488
; %bb.1484:
	global_load_dwordx2 v[12:13], v[10:11], off
	s_movk_i32 s0, 0x7fff
	v_mov_b32_e32 v5, 0x7fc0
	s_waitcnt vmcnt(0)
	v_cvt_f32_f64_e32 v7, v[12:13]
	v_bfe_u32 v9, v7, 16, 1
	v_cmp_o_f32_e32 vcc, v7, v7
	v_add3_u32 v7, v7, v9, s0
	s_mov_b64 s[0:1], 0
	v_cndmask_b32_sdwa v12, v5, v7, vcc dst_sel:DWORD dst_unused:UNUSED_PAD src0_sel:DWORD src1_sel:WORD_1
	s_branch .LBB209_1489
.LBB209_1485:
	s_mov_b64 s[0:1], -1
                                        ; implicit-def: $vgpr12
	s_branch .LBB209_1507
.LBB209_1486:
	s_mov_b64 s[0:1], -1
                                        ; implicit-def: $vgpr12
	s_branch .LBB209_1495
.LBB209_1487:
	s_mov_b64 s[0:1], -1
                                        ; implicit-def: $vgpr12
	s_branch .LBB209_1492
.LBB209_1488:
	s_mov_b64 s[0:1], -1
                                        ; implicit-def: $vgpr12
.LBB209_1489:
	s_andn2_b64 vcc, exec, s[0:1]
	s_cbranch_vccnz .LBB209_1491
; %bb.1490:
	global_load_dword v5, v[10:11], off
	s_movk_i32 s0, 0x7fff
	v_mov_b32_e32 v7, 0x7fc0
	s_waitcnt vmcnt(0)
	v_bfe_u32 v9, v5, 16, 1
	v_cmp_o_f32_e32 vcc, v5, v5
	v_add3_u32 v5, v5, v9, s0
	s_nop 0
	v_cndmask_b32_sdwa v12, v7, v5, vcc dst_sel:DWORD dst_unused:UNUSED_PAD src0_sel:DWORD src1_sel:WORD_1
.LBB209_1491:
	s_mov_b64 s[0:1], 0
.LBB209_1492:
	s_andn2_b64 vcc, exec, s[0:1]
	s_cbranch_vccnz .LBB209_1494
; %bb.1493:
	global_load_dword v5, v[10:11], off
	s_movk_i32 s0, 0x7fff
	v_mov_b32_e32 v9, 0x7fc0
	s_waitcnt vmcnt(0)
	v_cvt_f32_f16_e32 v7, v5
	v_cmp_o_f16_e32 vcc, v5, v5
	v_bfe_u32 v5, v7, 16, 1
	v_add3_u32 v5, v7, v5, s0
	v_cndmask_b32_sdwa v12, v9, v5, vcc dst_sel:DWORD dst_unused:UNUSED_PAD src0_sel:DWORD src1_sel:WORD_1
.LBB209_1494:
	s_mov_b64 s[0:1], 0
.LBB209_1495:
	s_andn2_b64 vcc, exec, s[0:1]
	s_cbranch_vccnz .LBB209_1506
; %bb.1496:
	s_cmp_lt_i32 s8, 6
	s_cbranch_scc1 .LBB209_1499
; %bb.1497:
	s_cmp_gt_i32 s8, 6
	s_cbranch_scc0 .LBB209_1500
; %bb.1498:
	global_load_dwordx2 v[12:13], v[10:11], off
	s_movk_i32 s0, 0x7fff
	v_mov_b32_e32 v5, 0x7fc0
	s_waitcnt vmcnt(0)
	v_cvt_f32_f64_e32 v7, v[12:13]
	v_bfe_u32 v9, v7, 16, 1
	v_cmp_o_f32_e32 vcc, v7, v7
	v_add3_u32 v7, v7, v9, s0
	s_mov_b64 s[0:1], 0
	v_cndmask_b32_sdwa v12, v5, v7, vcc dst_sel:DWORD dst_unused:UNUSED_PAD src0_sel:DWORD src1_sel:WORD_1
	s_branch .LBB209_1501
.LBB209_1499:
	s_mov_b64 s[0:1], -1
                                        ; implicit-def: $vgpr12
	s_branch .LBB209_1504
.LBB209_1500:
	s_mov_b64 s[0:1], -1
                                        ; implicit-def: $vgpr12
.LBB209_1501:
	s_andn2_b64 vcc, exec, s[0:1]
	s_cbranch_vccnz .LBB209_1503
; %bb.1502:
	global_load_dword v5, v[10:11], off
	s_movk_i32 s0, 0x7fff
	v_mov_b32_e32 v7, 0x7fc0
	s_waitcnt vmcnt(0)
	v_bfe_u32 v9, v5, 16, 1
	v_cmp_o_f32_e32 vcc, v5, v5
	v_add3_u32 v5, v5, v9, s0
	s_nop 0
	v_cndmask_b32_sdwa v12, v7, v5, vcc dst_sel:DWORD dst_unused:UNUSED_PAD src0_sel:DWORD src1_sel:WORD_1
.LBB209_1503:
	s_mov_b64 s[0:1], 0
.LBB209_1504:
	s_andn2_b64 vcc, exec, s[0:1]
	s_cbranch_vccnz .LBB209_1506
; %bb.1505:
	global_load_ushort v5, v[10:11], off
	s_movk_i32 s0, 0x7fff
	v_mov_b32_e32 v9, 0x7fc0
	s_waitcnt vmcnt(0)
	v_cvt_f32_f16_e32 v7, v5
	v_cmp_o_f16_e32 vcc, v5, v5
	v_bfe_u32 v5, v7, 16, 1
	v_add3_u32 v5, v7, v5, s0
	v_cndmask_b32_sdwa v12, v9, v5, vcc dst_sel:DWORD dst_unused:UNUSED_PAD src0_sel:DWORD src1_sel:WORD_1
.LBB209_1506:
	s_mov_b64 s[0:1], 0
.LBB209_1507:
	s_andn2_b64 vcc, exec, s[0:1]
	s_cbranch_vccnz .LBB209_1527
; %bb.1508:
	s_cmp_lt_i32 s8, 2
	s_cbranch_scc1 .LBB209_1512
; %bb.1509:
	s_cmp_lt_i32 s8, 3
	s_cbranch_scc1 .LBB209_1513
; %bb.1510:
	s_cmp_gt_i32 s8, 3
	s_cbranch_scc0 .LBB209_1514
; %bb.1511:
	global_load_dwordx2 v[12:13], v[10:11], off
	s_movk_i32 s0, 0x7fff
	s_waitcnt vmcnt(0)
	v_xor_b32_e32 v7, v12, v13
	v_ffbh_i32_e32 v5, v13
	v_ashrrev_i32_e32 v7, 31, v7
	v_add_u32_e32 v5, -1, v5
	v_add_u32_e32 v7, 32, v7
	v_min_u32_e32 v5, v5, v7
	v_lshlrev_b64 v[12:13], v5, v[12:13]
	v_min_u32_e32 v7, 1, v12
	v_or_b32_e32 v7, v13, v7
	v_cvt_f32_i32_e32 v7, v7
	v_sub_u32_e32 v5, 32, v5
	v_ldexp_f32 v5, v7, v5
	v_bfe_u32 v7, v5, 16, 1
	v_add3_u32 v5, v5, v7, s0
	v_lshrrev_b32_e32 v12, 16, v5
	s_mov_b64 s[0:1], 0
	s_branch .LBB209_1515
.LBB209_1512:
	s_mov_b64 s[0:1], -1
                                        ; implicit-def: $vgpr12
	s_branch .LBB209_1521
.LBB209_1513:
	s_mov_b64 s[0:1], -1
                                        ; implicit-def: $vgpr12
	s_branch .LBB209_1518
.LBB209_1514:
	s_mov_b64 s[0:1], -1
                                        ; implicit-def: $vgpr12
.LBB209_1515:
	s_andn2_b64 vcc, exec, s[0:1]
	s_cbranch_vccnz .LBB209_1517
; %bb.1516:
	global_load_dword v5, v[10:11], off
	s_movk_i32 s0, 0x7fff
	s_waitcnt vmcnt(0)
	v_cvt_f32_i32_e32 v5, v5
	v_bfe_u32 v7, v5, 16, 1
	v_add3_u32 v5, v5, v7, s0
	v_lshrrev_b32_e32 v12, 16, v5
.LBB209_1517:
	s_mov_b64 s[0:1], 0
.LBB209_1518:
	s_andn2_b64 vcc, exec, s[0:1]
	s_cbranch_vccnz .LBB209_1520
; %bb.1519:
	global_load_sshort v5, v[10:11], off
	s_movk_i32 s0, 0x7fff
	s_waitcnt vmcnt(0)
	v_cvt_f32_i32_e32 v5, v5
	v_bfe_u32 v7, v5, 16, 1
	v_add3_u32 v5, v5, v7, s0
	v_lshrrev_b32_e32 v12, 16, v5
.LBB209_1520:
	s_mov_b64 s[0:1], 0
.LBB209_1521:
	s_andn2_b64 vcc, exec, s[0:1]
	s_cbranch_vccnz .LBB209_1527
; %bb.1522:
	s_cmp_gt_i32 s8, 0
	s_cbranch_scc0 .LBB209_1524
; %bb.1523:
	global_load_sbyte v5, v[10:11], off
	s_movk_i32 s0, 0x7fff
	s_waitcnt vmcnt(0)
	v_cvt_f32_i32_e32 v5, v5
	v_bfe_u32 v7, v5, 16, 1
	v_add3_u32 v5, v5, v7, s0
	v_lshrrev_b32_e32 v12, 16, v5
	s_mov_b64 s[0:1], 0
	s_branch .LBB209_1525
.LBB209_1524:
	s_mov_b64 s[0:1], -1
                                        ; implicit-def: $vgpr12
.LBB209_1525:
	s_andn2_b64 vcc, exec, s[0:1]
	s_cbranch_vccnz .LBB209_1527
; %bb.1526:
	global_load_ubyte v5, v[10:11], off
	s_movk_i32 s0, 0x7fff
	s_waitcnt vmcnt(0)
	v_cvt_f32_ubyte0_e32 v5, v5
	v_bfe_u32 v7, v5, 16, 1
	v_add3_u32 v5, v5, v7, s0
	v_lshrrev_b32_e32 v12, 16, v5
.LBB209_1527:
.LBB209_1528:
	v_mov_b32_e32 v9, 0
	s_cmp_lt_i32 s17, 11
	v_lshl_add_u64 v[8:9], s[6:7], 0, v[8:9]
	s_cbranch_scc1 .LBB209_1535
; %bb.1529:
	s_and_b32 s14, 0xffff, s17
	s_cmp_gt_i32 s14, 25
	s_mov_b64 s[6:7], 0
	s_cbranch_scc0 .LBB209_1536
; %bb.1530:
	s_cmp_gt_i32 s14, 28
	s_cbranch_scc0 .LBB209_1537
; %bb.1531:
	s_cmp_gt_i32 s14, 43
	;; [unrolled: 3-line block ×3, first 2 shown]
	s_cbranch_scc0 .LBB209_1540
; %bb.1533:
	s_cmp_eq_u32 s14, 46
	s_mov_b64 s[10:11], 0
	s_cbranch_scc0 .LBB209_1541
; %bb.1534:
	global_load_dword v10, v[8:9], off
	s_mov_b64 s[0:1], 0
	s_mov_b64 s[8:9], -1
	s_branch .LBB209_1542
.LBB209_1535:
	s_mov_b64 s[0:1], -1
	s_mov_b64 s[8:9], 0
                                        ; implicit-def: $vgpr10
	s_branch .LBB209_1608
.LBB209_1536:
	s_mov_b64 s[10:11], -1
	s_mov_b64 s[8:9], 0
	s_mov_b64 s[0:1], 0
                                        ; implicit-def: $vgpr10
	s_branch .LBB209_1571
.LBB209_1537:
	s_mov_b64 s[10:11], -1
	s_mov_b64 s[8:9], 0
	s_mov_b64 s[0:1], 0
                                        ; implicit-def: $vgpr10
	s_branch .LBB209_1552
.LBB209_1538:
	s_mov_b64 s[10:11], -1
	s_mov_b64 s[8:9], 0
	s_mov_b64 s[0:1], 0
                                        ; implicit-def: $vgpr10
	s_branch .LBB209_1547
.LBB209_1539:
	s_trap 2
	s_or_b64 s[2:3], s[2:3], exec
	s_cbranch_execz .LBB209_1478
	s_branch .LBB209_1479
.LBB209_1540:
	s_mov_b64 s[10:11], -1
	s_mov_b64 s[8:9], 0
	s_mov_b64 s[0:1], 0
                                        ; implicit-def: $vgpr10
	s_branch .LBB209_1542
.LBB209_1541:
	s_mov_b64 s[0:1], -1
                                        ; implicit-def: $vgpr10
	s_mov_b64 s[8:9], 0
.LBB209_1542:
	s_and_b64 vcc, exec, s[10:11]
	s_cbranch_vccz .LBB209_1546
; %bb.1543:
	s_cmp_eq_u32 s14, 44
	s_cbranch_scc0 .LBB209_1545
; %bb.1544:
	global_load_ubyte v5, v[8:9], off
	s_movk_i32 s8, 0xff
	v_mov_b32_e32 v7, 0x7f800001
	s_waitcnt vmcnt(1)
	v_mov_b32_e32 v10, 0x400000
	v_mov_b32_e32 v11, 0x7fc0
	s_mov_b64 s[0:1], 0
	s_waitcnt vmcnt(0)
	v_lshlrev_b32_e32 v13, 23, v5
	v_cmp_ne_u32_e32 vcc, s8, v5
	s_mov_b64 s[8:9], -1
	s_nop 0
	v_cndmask_b32_e32 v7, v7, v13, vcc
	v_cmp_ne_u32_e32 vcc, 0, v5
	s_nop 1
	v_cndmask_b32_e32 v5, v10, v7, vcc
	v_add_u32_e32 v7, 0x7fff, v5
	v_cmp_o_f32_e32 vcc, v5, v5
	s_nop 1
	v_cndmask_b32_sdwa v10, v11, v7, vcc dst_sel:DWORD dst_unused:UNUSED_PAD src0_sel:DWORD src1_sel:WORD_1
	s_branch .LBB209_1546
.LBB209_1545:
	s_mov_b64 s[0:1], -1
                                        ; implicit-def: $vgpr10
.LBB209_1546:
	s_mov_b64 s[10:11], 0
.LBB209_1547:
	s_and_b64 vcc, exec, s[10:11]
	s_cbranch_vccz .LBB209_1551
; %bb.1548:
	s_cmp_eq_u32 s14, 29
	s_cbranch_scc0 .LBB209_1550
; %bb.1549:
	global_load_dwordx2 v[10:11], v[8:9], off
	s_movk_i32 s8, 0x7fff
	s_mov_b64 s[0:1], 0
	s_mov_b64 s[10:11], 0
	s_waitcnt vmcnt(0)
	v_ffbh_u32_e32 v5, v11
	v_min_u32_e32 v5, 32, v5
	v_lshlrev_b64 v[10:11], v5, v[10:11]
	v_min_u32_e32 v7, 1, v10
	v_or_b32_e32 v7, v11, v7
	v_cvt_f32_u32_e32 v7, v7
	v_sub_u32_e32 v5, 32, v5
	v_ldexp_f32 v5, v7, v5
	v_bfe_u32 v7, v5, 16, 1
	v_add3_u32 v5, v5, v7, s8
	v_lshrrev_b32_e32 v10, 16, v5
	s_mov_b64 s[8:9], -1
	s_branch .LBB209_1552
.LBB209_1550:
	s_mov_b64 s[0:1], -1
                                        ; implicit-def: $vgpr10
.LBB209_1551:
	s_mov_b64 s[10:11], 0
.LBB209_1552:
	s_and_b64 vcc, exec, s[10:11]
	s_cbranch_vccz .LBB209_1570
; %bb.1553:
	s_cmp_lt_i32 s14, 27
	s_cbranch_scc1 .LBB209_1556
; %bb.1554:
	s_cmp_gt_i32 s14, 27
	s_cbranch_scc0 .LBB209_1557
; %bb.1555:
	global_load_dword v5, v[8:9], off
	s_movk_i32 s8, 0x7fff
	s_waitcnt vmcnt(0)
	v_cvt_f32_u32_e32 v5, v5
	v_bfe_u32 v7, v5, 16, 1
	v_add3_u32 v5, v5, v7, s8
	v_lshrrev_b32_e32 v10, 16, v5
	s_mov_b64 s[8:9], 0
	s_branch .LBB209_1558
.LBB209_1556:
	s_mov_b64 s[8:9], -1
                                        ; implicit-def: $vgpr10
	s_branch .LBB209_1561
.LBB209_1557:
	s_mov_b64 s[8:9], -1
                                        ; implicit-def: $vgpr10
.LBB209_1558:
	s_andn2_b64 vcc, exec, s[8:9]
	s_cbranch_vccnz .LBB209_1560
; %bb.1559:
	global_load_ushort v5, v[8:9], off
	s_movk_i32 s8, 0x7fff
	s_waitcnt vmcnt(0)
	v_cvt_f32_u32_e32 v5, v5
	v_bfe_u32 v7, v5, 16, 1
	v_add3_u32 v5, v5, v7, s8
	v_lshrrev_b32_e32 v10, 16, v5
.LBB209_1560:
	s_mov_b64 s[8:9], 0
.LBB209_1561:
	s_andn2_b64 vcc, exec, s[8:9]
	s_cbranch_vccnz .LBB209_1569
; %bb.1562:
	global_load_ubyte v5, v[8:9], off
	s_movk_i32 s8, 0x7f
	s_waitcnt vmcnt(0)
	v_cmp_lt_i16_e32 vcc, s8, v5
	s_mov_b64 s[8:9], 0
	s_and_saveexec_b64 s[10:11], vcc
	s_xor_b64 s[10:11], exec, s[10:11]
	s_cbranch_execz .LBB209_1583
; %bb.1563:
	s_movk_i32 s8, 0x80
	v_cmp_eq_u16_e32 vcc, s8, v5
	s_mov_b64 s[8:9], -1
	s_and_saveexec_b64 s[12:13], vcc
; %bb.1564:
	s_xor_b64 s[8:9], exec, -1
; %bb.1565:
	s_or_b64 exec, exec, s[12:13]
	s_and_b64 s[8:9], s[8:9], exec
	s_or_saveexec_b64 s[10:11], s[10:11]
	v_mov_b32_e32 v7, 0x7f800001
	s_xor_b64 exec, exec, s[10:11]
	s_cbranch_execnz .LBB209_1584
.LBB209_1566:
	s_or_b64 exec, exec, s[10:11]
	s_and_saveexec_b64 s[10:11], s[8:9]
	s_cbranch_execz .LBB209_1568
.LBB209_1567:
	v_lshlrev_b32_e32 v7, 24, v5
	v_and_b32_e32 v5, 0xffff, v5
	v_and_b32_e32 v10, 7, v5
	v_ffbh_u32_e32 v13, v10
	v_min_u32_e32 v13, 32, v13
	v_subrev_u32_e32 v14, 28, v13
	v_bfe_u32 v11, v5, 3, 4
	v_lshlrev_b32_e32 v5, v14, v5
	v_sub_u32_e32 v13, 29, v13
	v_and_b32_e32 v5, 7, v5
	v_cmp_eq_u32_e32 vcc, 0, v11
	v_and_b32_e32 v7, 0x80000000, v7
	s_nop 0
	v_cndmask_b32_e32 v11, v11, v13, vcc
	v_cndmask_b32_e32 v5, v10, v5, vcc
	v_mov_b32_e32 v10, 0x3b800000
	v_lshlrev_b32_e32 v5, 20, v5
	v_lshl_add_u32 v10, v11, 23, v10
	v_or3_b32 v7, v7, v10, v5
.LBB209_1568:
	s_or_b64 exec, exec, s[10:11]
	v_bfe_u32 v5, v7, 16, 1
	s_movk_i32 s8, 0x7fff
	v_add3_u32 v5, v7, v5, s8
	v_cmp_o_f32_e32 vcc, v7, v7
	v_mov_b32_e32 v7, 0x7fc0
	s_nop 0
	v_cndmask_b32_sdwa v10, v7, v5, vcc dst_sel:DWORD dst_unused:UNUSED_PAD src0_sel:DWORD src1_sel:WORD_1
.LBB209_1569:
	s_mov_b64 s[8:9], -1
.LBB209_1570:
	s_mov_b64 s[10:11], 0
.LBB209_1571:
	s_and_b64 vcc, exec, s[10:11]
	s_cbranch_vccz .LBB209_1604
; %bb.1572:
	s_cmp_gt_i32 s14, 22
	s_cbranch_scc0 .LBB209_1582
; %bb.1573:
	s_cmp_lt_i32 s14, 24
	s_cbranch_scc1 .LBB209_1585
; %bb.1574:
	s_cmp_gt_i32 s14, 24
	s_cbranch_scc0 .LBB209_1586
; %bb.1575:
	global_load_ubyte v5, v[8:9], off
	s_movk_i32 s6, 0x7f
	s_waitcnt vmcnt(0)
	v_cmp_lt_i16_e32 vcc, s6, v5
	s_mov_b64 s[6:7], 0
	s_and_saveexec_b64 s[8:9], vcc
	s_xor_b64 s[8:9], exec, s[8:9]
	s_cbranch_execz .LBB209_1598
; %bb.1576:
	s_movk_i32 s6, 0x80
	v_cmp_eq_u16_e32 vcc, s6, v5
	s_mov_b64 s[6:7], -1
	s_and_saveexec_b64 s[10:11], vcc
; %bb.1577:
	s_xor_b64 s[6:7], exec, -1
; %bb.1578:
	s_or_b64 exec, exec, s[10:11]
	s_and_b64 s[6:7], s[6:7], exec
	s_or_saveexec_b64 s[8:9], s[8:9]
	v_mov_b32_e32 v7, 0x7f800001
	s_xor_b64 exec, exec, s[8:9]
	s_cbranch_execnz .LBB209_1599
.LBB209_1579:
	s_or_b64 exec, exec, s[8:9]
	s_and_saveexec_b64 s[8:9], s[6:7]
	s_cbranch_execz .LBB209_1581
.LBB209_1580:
	v_lshlrev_b32_e32 v7, 24, v5
	v_and_b32_e32 v5, 0xffff, v5
	v_and_b32_e32 v10, 3, v5
	v_ffbh_u32_e32 v13, v10
	v_min_u32_e32 v13, 32, v13
	v_subrev_u32_e32 v14, 29, v13
	v_bfe_u32 v11, v5, 2, 5
	v_lshlrev_b32_e32 v5, v14, v5
	v_sub_u32_e32 v13, 30, v13
	v_and_b32_e32 v5, 3, v5
	v_cmp_eq_u32_e32 vcc, 0, v11
	v_and_b32_e32 v7, 0x80000000, v7
	s_nop 0
	v_cndmask_b32_e32 v11, v11, v13, vcc
	v_cndmask_b32_e32 v5, v10, v5, vcc
	v_mov_b32_e32 v10, 0x37800000
	v_lshlrev_b32_e32 v5, 21, v5
	v_lshl_add_u32 v10, v11, 23, v10
	v_or3_b32 v7, v7, v10, v5
.LBB209_1581:
	s_or_b64 exec, exec, s[8:9]
	v_bfe_u32 v5, v7, 16, 1
	s_movk_i32 s6, 0x7fff
	v_add3_u32 v5, v7, v5, s6
	v_cmp_o_f32_e32 vcc, v7, v7
	v_mov_b32_e32 v7, 0x7fc0
	s_mov_b64 s[6:7], 0
	v_cndmask_b32_sdwa v10, v7, v5, vcc dst_sel:DWORD dst_unused:UNUSED_PAD src0_sel:DWORD src1_sel:WORD_1
	s_branch .LBB209_1587
.LBB209_1582:
	s_mov_b64 s[6:7], -1
                                        ; implicit-def: $vgpr10
	s_branch .LBB209_1593
.LBB209_1583:
	s_or_saveexec_b64 s[10:11], s[10:11]
	v_mov_b32_e32 v7, 0x7f800001
	s_xor_b64 exec, exec, s[10:11]
	s_cbranch_execz .LBB209_1566
.LBB209_1584:
	v_cmp_ne_u16_e32 vcc, 0, v5
	s_andn2_b64 s[8:9], s[8:9], exec
	s_and_b64 s[12:13], vcc, exec
	v_mov_b32_e32 v7, 0
	s_or_b64 s[8:9], s[8:9], s[12:13]
	s_or_b64 exec, exec, s[10:11]
	s_and_saveexec_b64 s[10:11], s[8:9]
	s_cbranch_execnz .LBB209_1567
	s_branch .LBB209_1568
.LBB209_1585:
	s_mov_b64 s[6:7], -1
                                        ; implicit-def: $vgpr10
	s_branch .LBB209_1590
.LBB209_1586:
	s_mov_b64 s[6:7], -1
                                        ; implicit-def: $vgpr10
.LBB209_1587:
	s_and_b64 vcc, exec, s[6:7]
	s_cbranch_vccz .LBB209_1589
; %bb.1588:
	global_load_ubyte v5, v[8:9], off
	s_mov_b32 s6, 0x7f800000
	s_brev_b32 s7, 1
	s_movk_i32 s8, 0x7fff
	s_waitcnt vmcnt(0)
	v_lshlrev_b32_e32 v5, 24, v5
	v_and_b32_e32 v7, 0x7f000000, v5
	v_ffbh_u32_e32 v10, v7
	v_min_u32_e32 v10, 32, v10
	v_sub_u32_e64 v10, v10, 4 clamp
	v_lshlrev_b32_e32 v13, v10, v7
	v_lshlrev_b32_e32 v10, 23, v10
	v_lshrrev_b32_e32 v13, 4, v13
	v_add_u32_e32 v11, 0x1000000, v7
	v_sub_u32_e32 v10, v13, v10
	v_ashrrev_i32_e32 v11, 8, v11
	v_add_u32_e32 v10, 0x3c000000, v10
	v_and_or_b32 v10, v11, s6, v10
	v_cmp_ne_u32_e32 vcc, 0, v7
	s_nop 1
	v_cndmask_b32_e32 v7, 0, v10, vcc
	v_and_or_b32 v5, v5, s7, v7
	v_bfe_u32 v7, v7, 16, 1
	v_add3_u32 v7, v5, v7, s8
	v_cmp_o_f32_e32 vcc, v5, v5
	v_mov_b32_e32 v5, 0x7fc0
	s_nop 0
	v_cndmask_b32_sdwa v10, v5, v7, vcc dst_sel:DWORD dst_unused:UNUSED_PAD src0_sel:DWORD src1_sel:WORD_1
.LBB209_1589:
	s_mov_b64 s[6:7], 0
.LBB209_1590:
	s_andn2_b64 vcc, exec, s[6:7]
	s_cbranch_vccnz .LBB209_1592
; %bb.1591:
	global_load_ubyte v5, v[8:9], off
	s_movk_i32 s6, 0x7f00
	s_brev_b32 s7, 16
	s_brev_b32 s8, 1
	s_movk_i32 s9, 0x7fff
	s_waitcnt vmcnt(0)
	v_lshlrev_b16_e32 v7, 8, v5
	v_lshlrev_b32_e32 v5, 25, v5
	v_lshrrev_b32_e32 v10, 4, v5
	v_and_or_b32 v11, v7, s6, 0.5
	v_or_b32_e32 v10, 0x70000000, v10
	v_add_f32_e32 v11, -0.5, v11
	v_mul_f32_e32 v10, 0x7800000, v10
	v_cmp_gt_u32_e32 vcc, s7, v5
	v_bfe_i32 v7, v7, 0, 16
	s_nop 0
	v_cndmask_b32_e32 v5, v10, v11, vcc
	v_and_or_b32 v7, v7, s8, v5
	v_bfe_u32 v5, v5, 16, 1
	v_add3_u32 v5, v7, v5, s9
	v_cmp_o_f32_e32 vcc, v7, v7
	v_mov_b32_e32 v7, 0x7fc0
	s_nop 0
	v_cndmask_b32_sdwa v10, v7, v5, vcc dst_sel:DWORD dst_unused:UNUSED_PAD src0_sel:DWORD src1_sel:WORD_1
.LBB209_1592:
	s_mov_b64 s[6:7], 0
	s_mov_b64 s[8:9], -1
.LBB209_1593:
	s_andn2_b64 vcc, exec, s[6:7]
	s_mov_b64 s[6:7], 0
	s_cbranch_vccnz .LBB209_1604
; %bb.1594:
	s_cmp_gt_i32 s14, 14
	s_cbranch_scc0 .LBB209_1597
; %bb.1595:
	s_cmp_eq_u32 s14, 15
	s_cbranch_scc0 .LBB209_1600
; %bb.1596:
	global_load_ushort v10, v[8:9], off
	s_mov_b64 s[0:1], 0
	s_mov_b64 s[8:9], -1
	s_branch .LBB209_1601
.LBB209_1597:
	s_mov_b64 s[10:11], -1
                                        ; implicit-def: $vgpr10
	s_branch .LBB209_1602
.LBB209_1598:
	s_or_saveexec_b64 s[8:9], s[8:9]
	v_mov_b32_e32 v7, 0x7f800001
	s_xor_b64 exec, exec, s[8:9]
	s_cbranch_execz .LBB209_1579
.LBB209_1599:
	v_cmp_ne_u16_e32 vcc, 0, v5
	s_andn2_b64 s[6:7], s[6:7], exec
	s_and_b64 s[10:11], vcc, exec
	v_mov_b32_e32 v7, 0
	s_or_b64 s[6:7], s[6:7], s[10:11]
	s_or_b64 exec, exec, s[8:9]
	s_and_saveexec_b64 s[8:9], s[6:7]
	s_cbranch_execnz .LBB209_1580
	s_branch .LBB209_1581
.LBB209_1600:
	s_mov_b64 s[0:1], -1
                                        ; implicit-def: $vgpr10
.LBB209_1601:
	s_mov_b64 s[10:11], 0
.LBB209_1602:
	s_and_b64 vcc, exec, s[10:11]
	s_cbranch_vccz .LBB209_1604
; %bb.1603:
	s_cmp_lg_u32 s14, 11
	s_mov_b64 s[6:7], -1
	s_cselect_b64 s[0:1], -1, 0
.LBB209_1604:
	s_and_b64 vcc, exec, s[0:1]
	s_cbranch_vccnz .LBB209_2137
; %bb.1605:
	s_andn2_b64 vcc, exec, s[6:7]
	s_cbranch_vccnz .LBB209_1607
.LBB209_1606:
	global_load_ubyte v5, v[8:9], off
	s_mov_b64 s[8:9], -1
	s_waitcnt vmcnt(0)
	v_cmp_ne_u16_e32 vcc, 0, v5
	s_nop 1
	v_cndmask_b32_e64 v5, 0, 1.0, vcc
	v_lshrrev_b32_e32 v10, 16, v5
.LBB209_1607:
	s_mov_b64 s[0:1], 0
.LBB209_1608:
	s_and_b64 vcc, exec, s[0:1]
	s_cbranch_vccz .LBB209_1657
; %bb.1609:
	s_and_b32 s6, 0xffff, s17
	s_cmp_lt_i32 s6, 5
	s_cbranch_scc1 .LBB209_1614
; %bb.1610:
	s_cmp_lt_i32 s6, 8
	s_cbranch_scc1 .LBB209_1615
; %bb.1611:
	;; [unrolled: 3-line block ×3, first 2 shown]
	s_cmp_gt_i32 s6, 9
	s_cbranch_scc0 .LBB209_1617
; %bb.1613:
	global_load_dwordx2 v[10:11], v[8:9], off
	s_movk_i32 s0, 0x7fff
	v_mov_b32_e32 v5, 0x7fc0
	s_waitcnt vmcnt(0)
	v_cvt_f32_f64_e32 v7, v[10:11]
	v_bfe_u32 v10, v7, 16, 1
	v_cmp_o_f32_e32 vcc, v7, v7
	v_add3_u32 v7, v7, v10, s0
	s_mov_b64 s[0:1], 0
	v_cndmask_b32_sdwa v10, v5, v7, vcc dst_sel:DWORD dst_unused:UNUSED_PAD src0_sel:DWORD src1_sel:WORD_1
	s_branch .LBB209_1618
.LBB209_1614:
	s_mov_b64 s[0:1], -1
                                        ; implicit-def: $vgpr10
	s_branch .LBB209_1636
.LBB209_1615:
	s_mov_b64 s[0:1], -1
                                        ; implicit-def: $vgpr10
	s_branch .LBB209_1624
.LBB209_1616:
	s_mov_b64 s[0:1], -1
                                        ; implicit-def: $vgpr10
	s_branch .LBB209_1621
.LBB209_1617:
	s_mov_b64 s[0:1], -1
                                        ; implicit-def: $vgpr10
.LBB209_1618:
	s_andn2_b64 vcc, exec, s[0:1]
	s_cbranch_vccnz .LBB209_1620
; %bb.1619:
	global_load_dword v5, v[8:9], off
	s_movk_i32 s0, 0x7fff
	v_mov_b32_e32 v7, 0x7fc0
	s_waitcnt vmcnt(0)
	v_bfe_u32 v10, v5, 16, 1
	v_cmp_o_f32_e32 vcc, v5, v5
	v_add3_u32 v5, v5, v10, s0
	s_nop 0
	v_cndmask_b32_sdwa v10, v7, v5, vcc dst_sel:DWORD dst_unused:UNUSED_PAD src0_sel:DWORD src1_sel:WORD_1
.LBB209_1620:
	s_mov_b64 s[0:1], 0
.LBB209_1621:
	s_andn2_b64 vcc, exec, s[0:1]
	s_cbranch_vccnz .LBB209_1623
; %bb.1622:
	global_load_dword v5, v[8:9], off
	s_movk_i32 s0, 0x7fff
	s_waitcnt vmcnt(1)
	v_mov_b32_e32 v10, 0x7fc0
	s_waitcnt vmcnt(0)
	v_cvt_f32_f16_e32 v7, v5
	v_cmp_o_f16_e32 vcc, v5, v5
	v_bfe_u32 v5, v7, 16, 1
	v_add3_u32 v5, v7, v5, s0
	v_cndmask_b32_sdwa v10, v10, v5, vcc dst_sel:DWORD dst_unused:UNUSED_PAD src0_sel:DWORD src1_sel:WORD_1
.LBB209_1623:
	s_mov_b64 s[0:1], 0
.LBB209_1624:
	s_andn2_b64 vcc, exec, s[0:1]
	s_cbranch_vccnz .LBB209_1635
; %bb.1625:
	s_cmp_lt_i32 s6, 6
	s_cbranch_scc1 .LBB209_1628
; %bb.1626:
	s_cmp_gt_i32 s6, 6
	s_cbranch_scc0 .LBB209_1629
; %bb.1627:
	global_load_dwordx2 v[10:11], v[8:9], off
	s_movk_i32 s0, 0x7fff
	v_mov_b32_e32 v5, 0x7fc0
	s_waitcnt vmcnt(0)
	v_cvt_f32_f64_e32 v7, v[10:11]
	v_bfe_u32 v10, v7, 16, 1
	v_cmp_o_f32_e32 vcc, v7, v7
	v_add3_u32 v7, v7, v10, s0
	s_mov_b64 s[0:1], 0
	v_cndmask_b32_sdwa v10, v5, v7, vcc dst_sel:DWORD dst_unused:UNUSED_PAD src0_sel:DWORD src1_sel:WORD_1
	s_branch .LBB209_1630
.LBB209_1628:
	s_mov_b64 s[0:1], -1
                                        ; implicit-def: $vgpr10
	s_branch .LBB209_1633
.LBB209_1629:
	s_mov_b64 s[0:1], -1
                                        ; implicit-def: $vgpr10
.LBB209_1630:
	s_andn2_b64 vcc, exec, s[0:1]
	s_cbranch_vccnz .LBB209_1632
; %bb.1631:
	global_load_dword v5, v[8:9], off
	s_movk_i32 s0, 0x7fff
	v_mov_b32_e32 v7, 0x7fc0
	s_waitcnt vmcnt(0)
	v_bfe_u32 v10, v5, 16, 1
	v_cmp_o_f32_e32 vcc, v5, v5
	v_add3_u32 v5, v5, v10, s0
	s_nop 0
	v_cndmask_b32_sdwa v10, v7, v5, vcc dst_sel:DWORD dst_unused:UNUSED_PAD src0_sel:DWORD src1_sel:WORD_1
.LBB209_1632:
	s_mov_b64 s[0:1], 0
.LBB209_1633:
	s_andn2_b64 vcc, exec, s[0:1]
	s_cbranch_vccnz .LBB209_1635
; %bb.1634:
	global_load_ushort v5, v[8:9], off
	s_movk_i32 s0, 0x7fff
	s_waitcnt vmcnt(1)
	v_mov_b32_e32 v10, 0x7fc0
	s_waitcnt vmcnt(0)
	v_cvt_f32_f16_e32 v7, v5
	v_cmp_o_f16_e32 vcc, v5, v5
	v_bfe_u32 v5, v7, 16, 1
	v_add3_u32 v5, v7, v5, s0
	v_cndmask_b32_sdwa v10, v10, v5, vcc dst_sel:DWORD dst_unused:UNUSED_PAD src0_sel:DWORD src1_sel:WORD_1
.LBB209_1635:
	s_mov_b64 s[0:1], 0
.LBB209_1636:
	s_andn2_b64 vcc, exec, s[0:1]
	s_cbranch_vccnz .LBB209_1656
; %bb.1637:
	s_cmp_lt_i32 s6, 2
	s_cbranch_scc1 .LBB209_1641
; %bb.1638:
	s_cmp_lt_i32 s6, 3
	s_cbranch_scc1 .LBB209_1642
; %bb.1639:
	s_cmp_gt_i32 s6, 3
	s_cbranch_scc0 .LBB209_1643
; %bb.1640:
	global_load_dwordx2 v[10:11], v[8:9], off
	s_movk_i32 s0, 0x7fff
	s_waitcnt vmcnt(0)
	v_xor_b32_e32 v7, v10, v11
	v_ffbh_i32_e32 v5, v11
	v_ashrrev_i32_e32 v7, 31, v7
	v_add_u32_e32 v5, -1, v5
	v_add_u32_e32 v7, 32, v7
	v_min_u32_e32 v5, v5, v7
	v_lshlrev_b64 v[10:11], v5, v[10:11]
	v_min_u32_e32 v7, 1, v10
	v_or_b32_e32 v7, v11, v7
	v_cvt_f32_i32_e32 v7, v7
	v_sub_u32_e32 v5, 32, v5
	v_ldexp_f32 v5, v7, v5
	v_bfe_u32 v7, v5, 16, 1
	v_add3_u32 v5, v5, v7, s0
	v_lshrrev_b32_e32 v10, 16, v5
	s_mov_b64 s[0:1], 0
	s_branch .LBB209_1644
.LBB209_1641:
	s_mov_b64 s[0:1], -1
                                        ; implicit-def: $vgpr10
	s_branch .LBB209_1650
.LBB209_1642:
	s_mov_b64 s[0:1], -1
                                        ; implicit-def: $vgpr10
	s_branch .LBB209_1647
.LBB209_1643:
	s_mov_b64 s[0:1], -1
                                        ; implicit-def: $vgpr10
.LBB209_1644:
	s_andn2_b64 vcc, exec, s[0:1]
	s_cbranch_vccnz .LBB209_1646
; %bb.1645:
	global_load_dword v5, v[8:9], off
	s_movk_i32 s0, 0x7fff
	s_waitcnt vmcnt(0)
	v_cvt_f32_i32_e32 v5, v5
	v_bfe_u32 v7, v5, 16, 1
	v_add3_u32 v5, v5, v7, s0
	v_lshrrev_b32_e32 v10, 16, v5
.LBB209_1646:
	s_mov_b64 s[0:1], 0
.LBB209_1647:
	s_andn2_b64 vcc, exec, s[0:1]
	s_cbranch_vccnz .LBB209_1649
; %bb.1648:
	global_load_sshort v5, v[8:9], off
	s_movk_i32 s0, 0x7fff
	s_waitcnt vmcnt(0)
	v_cvt_f32_i32_e32 v5, v5
	v_bfe_u32 v7, v5, 16, 1
	v_add3_u32 v5, v5, v7, s0
	v_lshrrev_b32_e32 v10, 16, v5
.LBB209_1649:
	s_mov_b64 s[0:1], 0
.LBB209_1650:
	s_andn2_b64 vcc, exec, s[0:1]
	s_cbranch_vccnz .LBB209_1656
; %bb.1651:
	s_cmp_gt_i32 s6, 0
	s_cbranch_scc0 .LBB209_1653
; %bb.1652:
	global_load_sbyte v5, v[8:9], off
	s_movk_i32 s0, 0x7fff
	s_waitcnt vmcnt(0)
	v_cvt_f32_i32_e32 v5, v5
	v_bfe_u32 v7, v5, 16, 1
	v_add3_u32 v5, v5, v7, s0
	v_lshrrev_b32_e32 v10, 16, v5
	s_mov_b64 s[0:1], 0
	s_branch .LBB209_1654
.LBB209_1653:
	s_mov_b64 s[0:1], -1
                                        ; implicit-def: $vgpr10
.LBB209_1654:
	s_andn2_b64 vcc, exec, s[0:1]
	s_cbranch_vccnz .LBB209_1656
; %bb.1655:
	global_load_ubyte v5, v[8:9], off
	s_movk_i32 s0, 0x7fff
	s_waitcnt vmcnt(0)
	v_cvt_f32_ubyte0_e32 v5, v5
	v_bfe_u32 v7, v5, 16, 1
	v_add3_u32 v5, v5, v7, s0
	v_lshrrev_b32_e32 v10, 16, v5
.LBB209_1656:
	s_mov_b64 s[8:9], -1
.LBB209_1657:
	s_andn2_b64 vcc, exec, s[8:9]
	s_cbranch_vccnz .LBB209_2091
; %bb.1658:
	s_waitcnt vmcnt(0)
	v_lshlrev_b32_e32 v1, 16, v1
	v_cvt_f64_f32_e32 v[8:9], v1
	v_rsq_f64_e32 v[14:15], v[8:9]
	s_mov_b32 s0, 0
	s_mov_b32 s1, 0x3fd80000
	v_mov_b32_e32 v1, 0x180
	v_mul_f64 v[8:9], v[14:15], -v[8:9]
	v_fma_f64 v[8:9], v[8:9], v[14:15], 1.0
	v_mul_f64 v[16:17], v[14:15], v[8:9]
	v_fma_f64 v[8:9], v[8:9], s[0:1], 0.5
	v_fma_f64 v[8:9], v[16:17], v[8:9], v[14:15]
	v_cmp_class_f64_e32 vcc, v[14:15], v1
	s_movk_i32 s0, 0x7fff
	s_bfe_u32 s14, s16, 0x80008
	v_cndmask_b32_e32 v9, v15, v9, vcc
	v_cndmask_b32_e32 v8, v14, v8, vcc
	v_cvt_f32_f64_e32 v1, v[8:9]
	v_bfe_u32 v5, v1, 16, 1
	v_add3_u32 v5, v1, v5, s0
	v_cmp_o_f32_e32 vcc, v1, v1
	v_mov_b32_e32 v1, 0x7fc0
	v_mov_b32_e32 v7, 0
	v_cndmask_b32_sdwa v1, v1, v5, vcc dst_sel:DWORD dst_unused:UNUSED_PAD src0_sel:DWORD src1_sel:WORD_1
	s_cmp_lt_i32 s14, 11
	v_lshl_add_u64 v[6:7], s[4:5], 0, v[6:7]
	s_cbranch_scc1 .LBB209_1736
; %bb.1659:
	s_and_b32 s15, 0xffff, s14
	s_mov_b64 s[10:11], -1
	s_mov_b64 s[6:7], 0
	s_cmp_gt_i32 s15, 25
	s_mov_b64 s[8:9], 0
	s_mov_b64 s[0:1], 0
	s_cbranch_scc0 .LBB209_1692
; %bb.1660:
	s_cmp_gt_i32 s15, 28
	s_cbranch_scc0 .LBB209_1675
; %bb.1661:
	s_cmp_gt_i32 s15, 43
	;; [unrolled: 3-line block ×3, first 2 shown]
	s_cbranch_scc0 .LBB209_1665
; %bb.1663:
	s_mov_b64 s[0:1], -1
	s_mov_b64 s[10:11], 0
	s_cmp_eq_u32 s15, 46
	s_cbranch_scc0 .LBB209_1665
; %bb.1664:
	v_and_b32_e32 v5, 0xffff, v1
	global_store_dword v[6:7], v5, off
	s_mov_b64 s[0:1], 0
	s_mov_b64 s[8:9], -1
.LBB209_1665:
	s_and_b64 vcc, exec, s[10:11]
	s_cbranch_vccz .LBB209_1670
; %bb.1666:
	s_cmp_eq_u32 s15, 44
	s_mov_b64 s[0:1], -1
	s_cbranch_scc0 .LBB209_1670
; %bb.1667:
	v_and_b32_e32 v8, 0xffff, v1
	v_bfe_u32 v5, v8, 7, 8
	s_movk_i32 s0, 0xff
	v_cmp_ne_u32_e32 vcc, s0, v5
	v_mov_b32_e32 v9, 0xff
	s_and_saveexec_b64 s[8:9], vcc
	s_cbranch_execz .LBB209_1669
; %bb.1668:
	v_lshlrev_b32_e32 v11, 16, v8
	s_mov_b32 s0, 0x3f0000
	v_lshrrev_b32_e32 v9, 7, v8
	v_and_b32_e32 v8, 64, v8
	v_and_or_b32 v5, v11, s0, v5
	v_cmp_ne_u32_e32 vcc, 0, v8
	v_cmp_ne_u32_e64 s[0:1], 0, v5
	s_and_b64 s[0:1], vcc, s[0:1]
	s_nop 0
	v_cndmask_b32_e64 v5, 0, 1, s[0:1]
	v_add_u32_e32 v9, v9, v5
.LBB209_1669:
	s_or_b64 exec, exec, s[8:9]
	s_mov_b64 s[0:1], 0
	s_mov_b64 s[8:9], -1
	global_store_byte v[6:7], v9, off
.LBB209_1670:
	s_mov_b64 s[10:11], 0
.LBB209_1671:
	s_and_b64 vcc, exec, s[10:11]
	s_cbranch_vccz .LBB209_1674
; %bb.1672:
	s_cmp_eq_u32 s15, 29
	s_mov_b64 s[0:1], -1
	s_cbranch_scc0 .LBB209_1674
; %bb.1673:
	v_lshlrev_b32_e32 v5, 16, v1
	v_trunc_f32_e32 v5, v5
	v_mul_f32_e32 v8, 0x2f800000, v5
	v_floor_f32_e32 v8, v8
	v_fmamk_f32 v5, v8, 0xcf800000, v5
	v_cvt_u32_f32_e32 v9, v8
	v_cvt_u32_f32_e32 v8, v5
	s_mov_b64 s[0:1], 0
	s_mov_b64 s[8:9], -1
	global_store_dwordx2 v[6:7], v[8:9], off
.LBB209_1674:
	s_mov_b64 s[10:11], 0
.LBB209_1675:
	s_and_b64 vcc, exec, s[10:11]
	s_cbranch_vccz .LBB209_1691
; %bb.1676:
	s_cmp_lt_i32 s15, 27
	s_mov_b64 s[8:9], -1
	s_cbranch_scc1 .LBB209_1682
; %bb.1677:
	s_cmp_gt_i32 s15, 27
	s_cbranch_scc0 .LBB209_1679
; %bb.1678:
	v_lshlrev_b32_e32 v5, 16, v1
	v_cvt_u32_f32_e32 v5, v5
	s_mov_b64 s[8:9], 0
	global_store_dword v[6:7], v5, off
.LBB209_1679:
	s_andn2_b64 vcc, exec, s[8:9]
	s_cbranch_vccnz .LBB209_1681
; %bb.1680:
	v_lshlrev_b32_e32 v5, 16, v1
	v_cvt_u32_f32_e32 v5, v5
	global_store_short v[6:7], v5, off
.LBB209_1681:
	s_mov_b64 s[8:9], 0
.LBB209_1682:
	s_andn2_b64 vcc, exec, s[8:9]
	s_cbranch_vccnz .LBB209_1690
; %bb.1683:
	v_lshlrev_b32_e32 v9, 16, v1
	v_and_b32_e32 v8, 0x7fffffff, v9
	s_mov_b32 s8, 0x43800000
	v_cmp_gt_u32_e32 vcc, s8, v8
	v_mov_b32_e32 v11, 0x80
	s_and_saveexec_b64 s[8:9], vcc
	s_cbranch_execz .LBB209_1689
; %bb.1684:
	s_mov_b32 s10, 0x3bffffff
	v_and_b32_e32 v5, 0xffff, v1
	v_cmp_lt_u32_e32 vcc, s10, v8
	s_mov_b64 s[10:11], 0
                                        ; implicit-def: $vgpr8
	s_and_saveexec_b64 s[12:13], vcc
	s_xor_b64 s[12:13], exec, s[12:13]
	s_cbranch_execz .LBB209_2138
; %bb.1685:
	v_bfe_u32 v8, v5, 4, 1
	s_mov_b32 s17, 0x487ffff
	v_add3_u32 v8, v9, v8, s17
	s_mov_b64 s[10:11], exec
	v_lshrrev_b32_e32 v8, 20, v8
                                        ; implicit-def: $vgpr9
	s_andn2_saveexec_b64 s[12:13], s[12:13]
	s_cbranch_execnz .LBB209_2139
.LBB209_1686:
	s_or_b64 exec, exec, s[12:13]
	v_mov_b32_e32 v11, 0
	s_and_saveexec_b64 s[12:13], s[10:11]
.LBB209_1687:
	v_lshrrev_b32_e32 v5, 8, v5
	s_movk_i32 s10, 0x80
	v_and_or_b32 v11, v5, s10, v8
.LBB209_1688:
	s_or_b64 exec, exec, s[12:13]
.LBB209_1689:
	s_or_b64 exec, exec, s[8:9]
	global_store_byte v[6:7], v11, off
.LBB209_1690:
	s_mov_b64 s[8:9], -1
.LBB209_1691:
	s_mov_b64 s[10:11], 0
.LBB209_1692:
	s_and_b64 vcc, exec, s[10:11]
	s_cbranch_vccz .LBB209_1732
; %bb.1693:
	s_cmp_gt_i32 s15, 22
	s_mov_b64 s[6:7], -1
	s_cbranch_scc0 .LBB209_1725
; %bb.1694:
	s_cmp_lt_i32 s15, 24
	s_cbranch_scc1 .LBB209_1714
; %bb.1695:
	s_cmp_gt_i32 s15, 24
	s_cbranch_scc0 .LBB209_1703
; %bb.1696:
	v_lshlrev_b32_e32 v9, 16, v1
	v_and_b32_e32 v8, 0x7fffffff, v9
	s_mov_b32 s6, 0x47800000
	v_cmp_gt_u32_e32 vcc, s6, v8
	v_mov_b32_e32 v11, 0x80
	s_and_saveexec_b64 s[6:7], vcc
	s_cbranch_execz .LBB209_1702
; %bb.1697:
	s_mov_b32 s8, 0x37ffffff
	v_and_b32_e32 v5, 0xffff, v1
	v_cmp_lt_u32_e32 vcc, s8, v8
	s_mov_b64 s[8:9], 0
                                        ; implicit-def: $vgpr8
	s_and_saveexec_b64 s[10:11], vcc
	s_xor_b64 s[10:11], exec, s[10:11]
	s_cbranch_execz .LBB209_2141
; %bb.1698:
	v_bfe_u32 v8, v5, 5, 1
	s_mov_b32 s12, 0x88fffff
	v_add3_u32 v8, v9, v8, s12
	s_mov_b64 s[8:9], exec
	v_lshrrev_b32_e32 v8, 21, v8
                                        ; implicit-def: $vgpr9
	s_andn2_saveexec_b64 s[10:11], s[10:11]
	s_cbranch_execnz .LBB209_2142
.LBB209_1699:
	s_or_b64 exec, exec, s[10:11]
	v_mov_b32_e32 v11, 0
	s_and_saveexec_b64 s[10:11], s[8:9]
.LBB209_1700:
	v_lshrrev_b32_e32 v5, 8, v5
	s_movk_i32 s8, 0x80
	v_and_or_b32 v11, v5, s8, v8
.LBB209_1701:
	s_or_b64 exec, exec, s[10:11]
.LBB209_1702:
	s_or_b64 exec, exec, s[6:7]
	s_mov_b64 s[6:7], 0
	global_store_byte v[6:7], v11, off
.LBB209_1703:
	s_and_b64 vcc, exec, s[6:7]
	s_cbranch_vccz .LBB209_1713
; %bb.1704:
	v_lshlrev_b32_e32 v9, 16, v1
	v_and_b32_e32 v11, 0x7fffffff, v9
	s_mov_b32 s6, 0x43f00000
	v_and_b32_e32 v5, 0xffff, v1
	v_cmp_gt_u32_e32 vcc, s6, v11
                                        ; implicit-def: $vgpr8
	s_and_saveexec_b64 s[6:7], vcc
	s_xor_b64 s[6:7], exec, s[6:7]
	s_cbranch_execz .LBB209_1710
; %bb.1705:
	s_mov_b32 s8, 0x3c7fffff
	v_cmp_lt_u32_e32 vcc, s8, v11
                                        ; implicit-def: $vgpr8
	s_and_saveexec_b64 s[8:9], vcc
	s_xor_b64 s[8:9], exec, s[8:9]
; %bb.1706:
	v_bfe_u32 v8, v5, 4, 1
	s_mov_b32 s10, 0x407ffff
	v_add3_u32 v8, v9, v8, s10
	v_lshrrev_b32_e32 v9, 20, v8
	v_and_b32_e32 v8, 0xff00000, v8
	s_mov_b32 s10, 0x7f00000
	v_mov_b32_e32 v11, 0x7e
	v_cmp_ne_u32_e32 vcc, s10, v8
	s_nop 1
	v_cndmask_b32_e32 v8, v11, v9, vcc
                                        ; implicit-def: $vgpr9
; %bb.1707:
	s_andn2_saveexec_b64 s[8:9], s[8:9]
; %bb.1708:
	s_mov_b32 s10, 0x46800000
	v_add_f32_e64 v8, |v9|, s10
; %bb.1709:
	s_or_b64 exec, exec, s[8:9]
                                        ; implicit-def: $vgpr11
.LBB209_1710:
	s_andn2_saveexec_b64 s[6:7], s[6:7]
; %bb.1711:
	s_mov_b32 s8, 0x7f800000
	v_mov_b32_e32 v8, 0x7e
	v_mov_b32_e32 v9, 0x7f
	v_cmp_lt_u32_e32 vcc, s8, v11
	s_nop 1
	v_cndmask_b32_e32 v8, v8, v9, vcc
; %bb.1712:
	s_or_b64 exec, exec, s[6:7]
	v_lshrrev_b32_e32 v5, 8, v5
	s_movk_i32 s6, 0x80
	v_and_or_b32 v5, v5, s6, v8
	global_store_byte v[6:7], v5, off
.LBB209_1713:
	s_mov_b64 s[6:7], 0
.LBB209_1714:
	s_andn2_b64 vcc, exec, s[6:7]
	s_cbranch_vccnz .LBB209_1724
; %bb.1715:
	v_lshlrev_b32_e32 v9, 16, v1
	v_and_b32_e32 v11, 0x7fffffff, v9
	s_mov_b32 s6, 0x47800000
	v_and_b32_e32 v5, 0xffff, v1
	v_cmp_gt_u32_e32 vcc, s6, v11
                                        ; implicit-def: $vgpr8
	s_and_saveexec_b64 s[6:7], vcc
	s_xor_b64 s[6:7], exec, s[6:7]
	s_cbranch_execz .LBB209_1721
; %bb.1716:
	s_mov_b32 s8, 0x387fffff
	v_cmp_lt_u32_e32 vcc, s8, v11
                                        ; implicit-def: $vgpr8
	s_and_saveexec_b64 s[8:9], vcc
	s_xor_b64 s[8:9], exec, s[8:9]
; %bb.1717:
	v_bfe_u32 v8, v5, 5, 1
	s_mov_b32 s10, 0x80fffff
	v_add3_u32 v8, v9, v8, s10
	v_lshrrev_b32_e32 v8, 21, v8
                                        ; implicit-def: $vgpr9
; %bb.1718:
	s_andn2_saveexec_b64 s[8:9], s[8:9]
; %bb.1719:
	s_mov_b32 s10, 0x43000000
	v_add_f32_e64 v8, |v9|, s10
; %bb.1720:
	s_or_b64 exec, exec, s[8:9]
                                        ; implicit-def: $vgpr11
.LBB209_1721:
	s_andn2_saveexec_b64 s[6:7], s[6:7]
; %bb.1722:
	s_mov_b32 s8, 0x7f800000
	v_mov_b32_e32 v8, 0x7c
	v_mov_b32_e32 v9, 0x7f
	v_cmp_lt_u32_e32 vcc, s8, v11
	s_nop 1
	v_cndmask_b32_e32 v8, v8, v9, vcc
; %bb.1723:
	s_or_b64 exec, exec, s[6:7]
	v_lshrrev_b32_e32 v5, 8, v5
	s_movk_i32 s6, 0x80
	v_and_or_b32 v5, v5, s6, v8
	global_store_byte v[6:7], v5, off
.LBB209_1724:
	s_mov_b64 s[6:7], 0
	s_mov_b64 s[8:9], -1
.LBB209_1725:
	s_andn2_b64 vcc, exec, s[6:7]
	s_mov_b64 s[6:7], 0
	s_cbranch_vccnz .LBB209_1732
; %bb.1726:
	s_cmp_gt_i32 s15, 14
	s_mov_b64 s[10:11], -1
	s_cbranch_scc0 .LBB209_1730
; %bb.1727:
	s_cmp_eq_u32 s15, 15
	s_mov_b64 s[0:1], -1
	s_cbranch_scc0 .LBB209_1729
; %bb.1728:
	global_store_short v[6:7], v1, off
	s_mov_b64 s[0:1], 0
	s_mov_b64 s[8:9], -1
.LBB209_1729:
	s_mov_b64 s[10:11], 0
.LBB209_1730:
	s_and_b64 vcc, exec, s[10:11]
	s_cbranch_vccz .LBB209_1732
; %bb.1731:
	s_cmp_lg_u32 s15, 11
	s_mov_b64 s[6:7], -1
	s_cselect_b64 s[0:1], -1, 0
.LBB209_1732:
	s_and_b64 vcc, exec, s[0:1]
	s_cbranch_vccnz .LBB209_2140
; %bb.1733:
	s_andn2_b64 vcc, exec, s[6:7]
	s_cbranch_vccnz .LBB209_1735
.LBB209_1734:
	v_and_b32_e32 v5, 0x7fff, v1
	v_cmp_ne_u16_e32 vcc, 0, v5
	s_mov_b64 s[8:9], -1
	s_nop 0
	v_cndmask_b32_e64 v5, 0, 1, vcc
	global_store_byte v[6:7], v5, off
.LBB209_1735:
	s_mov_b64 s[0:1], 0
	s_branch .LBB209_1737
.LBB209_1736:
	s_mov_b64 s[0:1], -1
	s_mov_b64 s[8:9], 0
.LBB209_1737:
	s_and_b64 vcc, exec, s[0:1]
	s_cbranch_vccz .LBB209_1776
; %bb.1738:
	s_and_b32 s6, 0xffff, s14
	s_cmp_lt_i32 s6, 5
	s_mov_b64 s[0:1], -1
	s_cbranch_scc1 .LBB209_1759
; %bb.1739:
	s_cmp_lt_i32 s6, 8
	s_cbranch_scc1 .LBB209_1749
; %bb.1740:
	s_cmp_lt_i32 s6, 9
	s_cbranch_scc1 .LBB209_1746
; %bb.1741:
	s_cmp_gt_i32 s6, 9
	s_cbranch_scc0 .LBB209_1743
; %bb.1742:
	v_lshlrev_b32_e32 v5, 16, v1
	v_mov_b32_e32 v16, 0
	v_cvt_f64_f32_e32 v[14:15], v5
	v_mov_b32_e32 v17, v16
	global_store_dwordx4 v[6:7], v[14:17], off
	s_mov_b64 s[0:1], 0
.LBB209_1743:
	s_andn2_b64 vcc, exec, s[0:1]
	s_cbranch_vccnz .LBB209_1745
; %bb.1744:
	v_lshlrev_b32_e32 v8, 16, v1
	v_mov_b32_e32 v9, 0
	global_store_dwordx2 v[6:7], v[8:9], off
.LBB209_1745:
	s_mov_b64 s[0:1], 0
.LBB209_1746:
	s_andn2_b64 vcc, exec, s[0:1]
	s_cbranch_vccnz .LBB209_1748
; %bb.1747:
	v_lshlrev_b32_e32 v5, 16, v1
	v_cvt_f16_f32_e32 v5, v5
	global_store_dword v[6:7], v5, off
.LBB209_1748:
	s_mov_b64 s[0:1], 0
.LBB209_1749:
	s_andn2_b64 vcc, exec, s[0:1]
	s_cbranch_vccnz .LBB209_1758
; %bb.1750:
	s_cmp_lt_i32 s6, 6
	s_mov_b64 s[0:1], -1
	s_cbranch_scc1 .LBB209_1756
; %bb.1751:
	s_cmp_gt_i32 s6, 6
	s_cbranch_scc0 .LBB209_1753
; %bb.1752:
	v_lshlrev_b32_e32 v5, 16, v1
	v_cvt_f64_f32_e32 v[8:9], v5
	global_store_dwordx2 v[6:7], v[8:9], off
	s_mov_b64 s[0:1], 0
.LBB209_1753:
	s_andn2_b64 vcc, exec, s[0:1]
	s_cbranch_vccnz .LBB209_1755
; %bb.1754:
	v_lshlrev_b32_e32 v5, 16, v1
	global_store_dword v[6:7], v5, off
.LBB209_1755:
	s_mov_b64 s[0:1], 0
.LBB209_1756:
	s_andn2_b64 vcc, exec, s[0:1]
	s_cbranch_vccnz .LBB209_1758
; %bb.1757:
	v_lshlrev_b32_e32 v5, 16, v1
	v_cvt_f16_f32_e32 v5, v5
	global_store_short v[6:7], v5, off
.LBB209_1758:
	s_mov_b64 s[0:1], 0
.LBB209_1759:
	s_andn2_b64 vcc, exec, s[0:1]
	s_cbranch_vccnz .LBB209_1775
; %bb.1760:
	s_cmp_lt_i32 s6, 2
	s_mov_b64 s[0:1], -1
	s_cbranch_scc1 .LBB209_1770
; %bb.1761:
	s_cmp_lt_i32 s6, 3
	s_cbranch_scc1 .LBB209_1767
; %bb.1762:
	s_cmp_gt_i32 s6, 3
	s_cbranch_scc0 .LBB209_1764
; %bb.1763:
	v_lshlrev_b32_e32 v5, 16, v1
	v_trunc_f32_e32 v5, v5
	s_mov_b32 s0, 0x2f800000
	v_mul_f32_e64 v8, |v5|, s0
	v_floor_f32_e32 v8, v8
	s_mov_b32 s0, 0xcf800000
	v_cvt_u32_f32_e32 v9, v8
	v_fma_f32 v8, v8, s0, |v5|
	v_cvt_u32_f32_e32 v8, v8
	v_ashrrev_i32_e32 v5, 31, v5
	v_xor_b32_e32 v9, v9, v5
	s_mov_b64 s[0:1], 0
	v_xor_b32_e32 v8, v8, v5
	v_sub_co_u32_e32 v8, vcc, v8, v5
	s_nop 1
	v_subb_co_u32_e32 v9, vcc, v9, v5, vcc
	global_store_dwordx2 v[6:7], v[8:9], off
.LBB209_1764:
	s_andn2_b64 vcc, exec, s[0:1]
	s_cbranch_vccnz .LBB209_1766
; %bb.1765:
	v_lshlrev_b32_e32 v5, 16, v1
	v_cvt_i32_f32_e32 v5, v5
	global_store_dword v[6:7], v5, off
.LBB209_1766:
	s_mov_b64 s[0:1], 0
.LBB209_1767:
	s_andn2_b64 vcc, exec, s[0:1]
	s_cbranch_vccnz .LBB209_1769
; %bb.1768:
	v_lshlrev_b32_e32 v5, 16, v1
	v_cvt_i32_f32_e32 v5, v5
	global_store_short v[6:7], v5, off
.LBB209_1769:
	s_mov_b64 s[0:1], 0
.LBB209_1770:
	s_andn2_b64 vcc, exec, s[0:1]
	s_cbranch_vccnz .LBB209_1775
; %bb.1771:
	s_mov_b64 s[0:1], -1
	s_cmp_gt_i32 s6, 0
	v_lshlrev_b32_e32 v1, 16, v1
	s_cbranch_scc0 .LBB209_1773
; %bb.1772:
	v_cvt_i32_f32_e32 v5, v1
	s_mov_b64 s[0:1], 0
	global_store_byte v[6:7], v5, off
.LBB209_1773:
	s_andn2_b64 vcc, exec, s[0:1]
	s_cbranch_vccnz .LBB209_1775
; %bb.1774:
	v_trunc_f32_e32 v1, v1
	s_mov_b32 s0, 0x2f800000
	v_mul_f32_e64 v5, |v1|, s0
	v_floor_f32_e32 v5, v5
	s_mov_b32 s0, 0xcf800000
	v_fma_f32 v5, v5, s0, |v1|
	v_cvt_u32_f32_e32 v5, v5
	v_ashrrev_i32_e32 v1, 31, v1
	v_xor_b32_e32 v5, v5, v1
	v_sub_u32_e32 v1, v5, v1
	global_store_byte v[6:7], v1, off
.LBB209_1775:
	s_mov_b64 s[8:9], -1
.LBB209_1776:
	s_andn2_b64 vcc, exec, s[8:9]
	s_cbranch_vccnz .LBB209_2091
; %bb.1777:
	v_lshlrev_b32_e32 v1, 16, v3
	v_cvt_f64_f32_e32 v[6:7], v1
	v_rsq_f64_e32 v[8:9], v[6:7]
	s_lshr_b32 s0, s16, 8
	s_and_b32 s14, s0, 0xff
	s_mov_b32 s0, 0
	v_mul_f64 v[6:7], v[8:9], -v[6:7]
	v_fma_f64 v[6:7], v[6:7], v[8:9], 1.0
	s_mov_b32 s1, 0x3fd80000
	v_mul_f64 v[14:15], v[8:9], v[6:7]
	v_fma_f64 v[6:7], v[6:7], s[0:1], 0.5
	v_mov_b32_e32 v1, 0x180
	v_fma_f64 v[6:7], v[14:15], v[6:7], v[8:9]
	v_cmp_class_f64_e32 vcc, v[8:9], v1
	s_movk_i32 s0, 0x7fff
	v_mov_b32_e32 v5, 0
	v_cndmask_b32_e32 v7, v9, v7, vcc
	v_cndmask_b32_e32 v6, v8, v6, vcc
	v_cvt_f32_f64_e32 v1, v[6:7]
	v_bfe_u32 v3, v1, 16, 1
	v_add3_u32 v3, v1, v3, s0
	v_cmp_o_f32_e32 vcc, v1, v1
	v_mov_b32_e32 v1, 0x7fc0
	s_cmp_lt_i32 s14, 11
	v_cndmask_b32_sdwa v1, v1, v3, vcc dst_sel:DWORD dst_unused:UNUSED_PAD src0_sel:DWORD src1_sel:WORD_1
	v_lshl_add_u64 v[4:5], s[4:5], 0, v[4:5]
	s_cbranch_scc1 .LBB209_1855
; %bb.1778:
	s_and_b32 s15, 0xffff, s14
	s_mov_b64 s[10:11], -1
	s_mov_b64 s[6:7], 0
	s_cmp_gt_i32 s15, 25
	s_mov_b64 s[8:9], 0
	s_mov_b64 s[0:1], 0
	s_cbranch_scc0 .LBB209_1811
; %bb.1779:
	s_cmp_gt_i32 s15, 28
	s_cbranch_scc0 .LBB209_1794
; %bb.1780:
	s_cmp_gt_i32 s15, 43
	;; [unrolled: 3-line block ×3, first 2 shown]
	s_cbranch_scc0 .LBB209_1784
; %bb.1782:
	s_mov_b64 s[0:1], -1
	s_mov_b64 s[10:11], 0
	s_cmp_eq_u32 s15, 46
	s_cbranch_scc0 .LBB209_1784
; %bb.1783:
	v_and_b32_e32 v3, 0xffff, v1
	global_store_dword v[4:5], v3, off
	s_mov_b64 s[0:1], 0
	s_mov_b64 s[8:9], -1
.LBB209_1784:
	s_and_b64 vcc, exec, s[10:11]
	s_cbranch_vccz .LBB209_1789
; %bb.1785:
	s_cmp_eq_u32 s15, 44
	s_mov_b64 s[0:1], -1
	s_cbranch_scc0 .LBB209_1789
; %bb.1786:
	v_and_b32_e32 v6, 0xffff, v1
	v_bfe_u32 v3, v6, 7, 8
	s_movk_i32 s0, 0xff
	v_cmp_ne_u32_e32 vcc, s0, v3
	v_mov_b32_e32 v7, 0xff
	s_and_saveexec_b64 s[8:9], vcc
	s_cbranch_execz .LBB209_1788
; %bb.1787:
	v_lshlrev_b32_e32 v8, 16, v6
	s_mov_b32 s0, 0x3f0000
	v_lshrrev_b32_e32 v7, 7, v6
	v_and_b32_e32 v6, 64, v6
	v_and_or_b32 v3, v8, s0, v3
	v_cmp_ne_u32_e32 vcc, 0, v6
	v_cmp_ne_u32_e64 s[0:1], 0, v3
	s_and_b64 s[0:1], vcc, s[0:1]
	s_nop 0
	v_cndmask_b32_e64 v3, 0, 1, s[0:1]
	v_add_u32_e32 v7, v7, v3
.LBB209_1788:
	s_or_b64 exec, exec, s[8:9]
	s_mov_b64 s[0:1], 0
	s_mov_b64 s[8:9], -1
	global_store_byte v[4:5], v7, off
.LBB209_1789:
	s_mov_b64 s[10:11], 0
.LBB209_1790:
	s_and_b64 vcc, exec, s[10:11]
	s_cbranch_vccz .LBB209_1793
; %bb.1791:
	s_cmp_eq_u32 s15, 29
	s_mov_b64 s[0:1], -1
	s_cbranch_scc0 .LBB209_1793
; %bb.1792:
	v_lshlrev_b32_e32 v3, 16, v1
	v_trunc_f32_e32 v3, v3
	v_mul_f32_e32 v6, 0x2f800000, v3
	v_floor_f32_e32 v6, v6
	v_fmamk_f32 v3, v6, 0xcf800000, v3
	v_cvt_u32_f32_e32 v7, v6
	v_cvt_u32_f32_e32 v6, v3
	s_mov_b64 s[0:1], 0
	s_mov_b64 s[8:9], -1
	global_store_dwordx2 v[4:5], v[6:7], off
.LBB209_1793:
	s_mov_b64 s[10:11], 0
.LBB209_1794:
	s_and_b64 vcc, exec, s[10:11]
	s_cbranch_vccz .LBB209_1810
; %bb.1795:
	s_cmp_lt_i32 s15, 27
	s_mov_b64 s[8:9], -1
	s_cbranch_scc1 .LBB209_1801
; %bb.1796:
	s_cmp_gt_i32 s15, 27
	s_cbranch_scc0 .LBB209_1798
; %bb.1797:
	v_lshlrev_b32_e32 v3, 16, v1
	v_cvt_u32_f32_e32 v3, v3
	s_mov_b64 s[8:9], 0
	global_store_dword v[4:5], v3, off
.LBB209_1798:
	s_andn2_b64 vcc, exec, s[8:9]
	s_cbranch_vccnz .LBB209_1800
; %bb.1799:
	v_lshlrev_b32_e32 v3, 16, v1
	v_cvt_u32_f32_e32 v3, v3
	global_store_short v[4:5], v3, off
.LBB209_1800:
	s_mov_b64 s[8:9], 0
.LBB209_1801:
	s_andn2_b64 vcc, exec, s[8:9]
	s_cbranch_vccnz .LBB209_1809
; %bb.1802:
	v_lshlrev_b32_e32 v7, 16, v1
	v_and_b32_e32 v6, 0x7fffffff, v7
	s_mov_b32 s8, 0x43800000
	v_cmp_gt_u32_e32 vcc, s8, v6
	v_mov_b32_e32 v8, 0x80
	s_and_saveexec_b64 s[8:9], vcc
	s_cbranch_execz .LBB209_1808
; %bb.1803:
	s_mov_b32 s10, 0x3bffffff
	v_and_b32_e32 v3, 0xffff, v1
	v_cmp_lt_u32_e32 vcc, s10, v6
	s_mov_b64 s[10:11], 0
                                        ; implicit-def: $vgpr6
	s_and_saveexec_b64 s[12:13], vcc
	s_xor_b64 s[12:13], exec, s[12:13]
	s_cbranch_execz .LBB209_2143
; %bb.1804:
	v_bfe_u32 v6, v3, 4, 1
	s_mov_b32 s16, 0x487ffff
	v_add3_u32 v6, v7, v6, s16
	s_mov_b64 s[10:11], exec
	v_lshrrev_b32_e32 v6, 20, v6
                                        ; implicit-def: $vgpr7
	s_andn2_saveexec_b64 s[12:13], s[12:13]
	s_cbranch_execnz .LBB209_2144
.LBB209_1805:
	s_or_b64 exec, exec, s[12:13]
	v_mov_b32_e32 v8, 0
	s_and_saveexec_b64 s[12:13], s[10:11]
.LBB209_1806:
	v_lshrrev_b32_e32 v3, 8, v3
	s_movk_i32 s10, 0x80
	v_and_or_b32 v8, v3, s10, v6
.LBB209_1807:
	s_or_b64 exec, exec, s[12:13]
.LBB209_1808:
	s_or_b64 exec, exec, s[8:9]
	global_store_byte v[4:5], v8, off
.LBB209_1809:
	s_mov_b64 s[8:9], -1
.LBB209_1810:
	s_mov_b64 s[10:11], 0
.LBB209_1811:
	s_and_b64 vcc, exec, s[10:11]
	s_cbranch_vccz .LBB209_1851
; %bb.1812:
	s_cmp_gt_i32 s15, 22
	s_mov_b64 s[6:7], -1
	s_cbranch_scc0 .LBB209_1844
; %bb.1813:
	s_cmp_lt_i32 s15, 24
	s_cbranch_scc1 .LBB209_1833
; %bb.1814:
	s_cmp_gt_i32 s15, 24
	s_cbranch_scc0 .LBB209_1822
; %bb.1815:
	v_lshlrev_b32_e32 v7, 16, v1
	v_and_b32_e32 v6, 0x7fffffff, v7
	s_mov_b32 s6, 0x47800000
	v_cmp_gt_u32_e32 vcc, s6, v6
	v_mov_b32_e32 v8, 0x80
	s_and_saveexec_b64 s[6:7], vcc
	s_cbranch_execz .LBB209_1821
; %bb.1816:
	s_mov_b32 s8, 0x37ffffff
	v_and_b32_e32 v3, 0xffff, v1
	v_cmp_lt_u32_e32 vcc, s8, v6
	s_mov_b64 s[8:9], 0
                                        ; implicit-def: $vgpr6
	s_and_saveexec_b64 s[10:11], vcc
	s_xor_b64 s[10:11], exec, s[10:11]
	s_cbranch_execz .LBB209_2146
; %bb.1817:
	v_bfe_u32 v6, v3, 5, 1
	s_mov_b32 s12, 0x88fffff
	v_add3_u32 v6, v7, v6, s12
	s_mov_b64 s[8:9], exec
	v_lshrrev_b32_e32 v6, 21, v6
                                        ; implicit-def: $vgpr7
	s_andn2_saveexec_b64 s[10:11], s[10:11]
	s_cbranch_execnz .LBB209_2147
.LBB209_1818:
	s_or_b64 exec, exec, s[10:11]
	v_mov_b32_e32 v8, 0
	s_and_saveexec_b64 s[10:11], s[8:9]
.LBB209_1819:
	v_lshrrev_b32_e32 v3, 8, v3
	s_movk_i32 s8, 0x80
	v_and_or_b32 v8, v3, s8, v6
.LBB209_1820:
	s_or_b64 exec, exec, s[10:11]
.LBB209_1821:
	s_or_b64 exec, exec, s[6:7]
	s_mov_b64 s[6:7], 0
	global_store_byte v[4:5], v8, off
.LBB209_1822:
	s_and_b64 vcc, exec, s[6:7]
	s_cbranch_vccz .LBB209_1832
; %bb.1823:
	v_lshlrev_b32_e32 v7, 16, v1
	v_and_b32_e32 v8, 0x7fffffff, v7
	s_mov_b32 s6, 0x43f00000
	v_and_b32_e32 v3, 0xffff, v1
	v_cmp_gt_u32_e32 vcc, s6, v8
                                        ; implicit-def: $vgpr6
	s_and_saveexec_b64 s[6:7], vcc
	s_xor_b64 s[6:7], exec, s[6:7]
	s_cbranch_execz .LBB209_1829
; %bb.1824:
	s_mov_b32 s8, 0x3c7fffff
	v_cmp_lt_u32_e32 vcc, s8, v8
                                        ; implicit-def: $vgpr6
	s_and_saveexec_b64 s[8:9], vcc
	s_xor_b64 s[8:9], exec, s[8:9]
; %bb.1825:
	v_bfe_u32 v6, v3, 4, 1
	s_mov_b32 s10, 0x407ffff
	v_add3_u32 v6, v7, v6, s10
	v_lshrrev_b32_e32 v7, 20, v6
	v_and_b32_e32 v6, 0xff00000, v6
	s_mov_b32 s10, 0x7f00000
	v_mov_b32_e32 v8, 0x7e
	v_cmp_ne_u32_e32 vcc, s10, v6
	s_nop 1
	v_cndmask_b32_e32 v6, v8, v7, vcc
                                        ; implicit-def: $vgpr7
; %bb.1826:
	s_andn2_saveexec_b64 s[8:9], s[8:9]
; %bb.1827:
	s_mov_b32 s10, 0x46800000
	v_add_f32_e64 v6, |v7|, s10
; %bb.1828:
	s_or_b64 exec, exec, s[8:9]
                                        ; implicit-def: $vgpr8
.LBB209_1829:
	s_andn2_saveexec_b64 s[6:7], s[6:7]
; %bb.1830:
	s_mov_b32 s8, 0x7f800000
	v_mov_b32_e32 v6, 0x7e
	v_mov_b32_e32 v7, 0x7f
	v_cmp_lt_u32_e32 vcc, s8, v8
	s_nop 1
	v_cndmask_b32_e32 v6, v6, v7, vcc
; %bb.1831:
	s_or_b64 exec, exec, s[6:7]
	v_lshrrev_b32_e32 v3, 8, v3
	s_movk_i32 s6, 0x80
	v_and_or_b32 v3, v3, s6, v6
	global_store_byte v[4:5], v3, off
.LBB209_1832:
	s_mov_b64 s[6:7], 0
.LBB209_1833:
	s_andn2_b64 vcc, exec, s[6:7]
	s_cbranch_vccnz .LBB209_1843
; %bb.1834:
	v_lshlrev_b32_e32 v7, 16, v1
	v_and_b32_e32 v8, 0x7fffffff, v7
	s_mov_b32 s6, 0x47800000
	v_and_b32_e32 v3, 0xffff, v1
	v_cmp_gt_u32_e32 vcc, s6, v8
                                        ; implicit-def: $vgpr6
	s_and_saveexec_b64 s[6:7], vcc
	s_xor_b64 s[6:7], exec, s[6:7]
	s_cbranch_execz .LBB209_1840
; %bb.1835:
	s_mov_b32 s8, 0x387fffff
	v_cmp_lt_u32_e32 vcc, s8, v8
                                        ; implicit-def: $vgpr6
	s_and_saveexec_b64 s[8:9], vcc
	s_xor_b64 s[8:9], exec, s[8:9]
; %bb.1836:
	v_bfe_u32 v6, v3, 5, 1
	s_mov_b32 s10, 0x80fffff
	v_add3_u32 v6, v7, v6, s10
	v_lshrrev_b32_e32 v6, 21, v6
                                        ; implicit-def: $vgpr7
; %bb.1837:
	s_andn2_saveexec_b64 s[8:9], s[8:9]
; %bb.1838:
	s_mov_b32 s10, 0x43000000
	v_add_f32_e64 v6, |v7|, s10
; %bb.1839:
	s_or_b64 exec, exec, s[8:9]
                                        ; implicit-def: $vgpr8
.LBB209_1840:
	s_andn2_saveexec_b64 s[6:7], s[6:7]
; %bb.1841:
	s_mov_b32 s8, 0x7f800000
	v_mov_b32_e32 v6, 0x7c
	v_mov_b32_e32 v7, 0x7f
	v_cmp_lt_u32_e32 vcc, s8, v8
	s_nop 1
	v_cndmask_b32_e32 v6, v6, v7, vcc
; %bb.1842:
	s_or_b64 exec, exec, s[6:7]
	v_lshrrev_b32_e32 v3, 8, v3
	s_movk_i32 s6, 0x80
	v_and_or_b32 v3, v3, s6, v6
	global_store_byte v[4:5], v3, off
.LBB209_1843:
	s_mov_b64 s[6:7], 0
	s_mov_b64 s[8:9], -1
.LBB209_1844:
	s_andn2_b64 vcc, exec, s[6:7]
	s_mov_b64 s[6:7], 0
	s_cbranch_vccnz .LBB209_1851
; %bb.1845:
	s_cmp_gt_i32 s15, 14
	s_mov_b64 s[10:11], -1
	s_cbranch_scc0 .LBB209_1849
; %bb.1846:
	s_cmp_eq_u32 s15, 15
	s_mov_b64 s[0:1], -1
	s_cbranch_scc0 .LBB209_1848
; %bb.1847:
	global_store_short v[4:5], v1, off
	s_mov_b64 s[0:1], 0
	s_mov_b64 s[8:9], -1
.LBB209_1848:
	s_mov_b64 s[10:11], 0
.LBB209_1849:
	s_and_b64 vcc, exec, s[10:11]
	s_cbranch_vccz .LBB209_1851
; %bb.1850:
	s_cmp_lg_u32 s15, 11
	s_mov_b64 s[6:7], -1
	s_cselect_b64 s[0:1], -1, 0
.LBB209_1851:
	s_and_b64 vcc, exec, s[0:1]
	s_cbranch_vccnz .LBB209_2145
; %bb.1852:
	s_andn2_b64 vcc, exec, s[6:7]
	s_cbranch_vccnz .LBB209_1854
.LBB209_1853:
	v_and_b32_e32 v3, 0x7fff, v1
	v_cmp_ne_u16_e32 vcc, 0, v3
	s_mov_b64 s[8:9], -1
	s_nop 0
	v_cndmask_b32_e64 v3, 0, 1, vcc
	global_store_byte v[4:5], v3, off
.LBB209_1854:
	s_mov_b64 s[0:1], 0
	s_branch .LBB209_1856
.LBB209_1855:
	s_mov_b64 s[0:1], -1
	s_mov_b64 s[8:9], 0
.LBB209_1856:
	s_and_b64 vcc, exec, s[0:1]
	s_cbranch_vccz .LBB209_1895
; %bb.1857:
	s_and_b32 s6, 0xffff, s14
	s_cmp_lt_i32 s6, 5
	s_mov_b64 s[0:1], -1
	s_cbranch_scc1 .LBB209_1878
; %bb.1858:
	s_cmp_lt_i32 s6, 8
	s_cbranch_scc1 .LBB209_1868
; %bb.1859:
	s_cmp_lt_i32 s6, 9
	s_cbranch_scc1 .LBB209_1865
; %bb.1860:
	s_cmp_gt_i32 s6, 9
	s_cbranch_scc0 .LBB209_1862
; %bb.1861:
	v_lshlrev_b32_e32 v3, 16, v1
	v_mov_b32_e32 v8, 0
	v_cvt_f64_f32_e32 v[6:7], v3
	v_mov_b32_e32 v9, v8
	global_store_dwordx4 v[4:5], v[6:9], off
	s_mov_b64 s[0:1], 0
.LBB209_1862:
	s_andn2_b64 vcc, exec, s[0:1]
	s_cbranch_vccnz .LBB209_1864
; %bb.1863:
	v_lshlrev_b32_e32 v6, 16, v1
	v_mov_b32_e32 v7, 0
	global_store_dwordx2 v[4:5], v[6:7], off
.LBB209_1864:
	s_mov_b64 s[0:1], 0
.LBB209_1865:
	s_andn2_b64 vcc, exec, s[0:1]
	s_cbranch_vccnz .LBB209_1867
; %bb.1866:
	v_lshlrev_b32_e32 v3, 16, v1
	v_cvt_f16_f32_e32 v3, v3
	global_store_dword v[4:5], v3, off
.LBB209_1867:
	s_mov_b64 s[0:1], 0
.LBB209_1868:
	s_andn2_b64 vcc, exec, s[0:1]
	s_cbranch_vccnz .LBB209_1877
; %bb.1869:
	s_cmp_lt_i32 s6, 6
	s_mov_b64 s[0:1], -1
	s_cbranch_scc1 .LBB209_1875
; %bb.1870:
	s_cmp_gt_i32 s6, 6
	s_cbranch_scc0 .LBB209_1872
; %bb.1871:
	v_lshlrev_b32_e32 v3, 16, v1
	v_cvt_f64_f32_e32 v[6:7], v3
	global_store_dwordx2 v[4:5], v[6:7], off
	s_mov_b64 s[0:1], 0
.LBB209_1872:
	s_andn2_b64 vcc, exec, s[0:1]
	s_cbranch_vccnz .LBB209_1874
; %bb.1873:
	v_lshlrev_b32_e32 v3, 16, v1
	global_store_dword v[4:5], v3, off
.LBB209_1874:
	s_mov_b64 s[0:1], 0
.LBB209_1875:
	s_andn2_b64 vcc, exec, s[0:1]
	s_cbranch_vccnz .LBB209_1877
; %bb.1876:
	v_lshlrev_b32_e32 v3, 16, v1
	v_cvt_f16_f32_e32 v3, v3
	global_store_short v[4:5], v3, off
.LBB209_1877:
	s_mov_b64 s[0:1], 0
.LBB209_1878:
	s_andn2_b64 vcc, exec, s[0:1]
	s_cbranch_vccnz .LBB209_1894
; %bb.1879:
	s_cmp_lt_i32 s6, 2
	s_mov_b64 s[0:1], -1
	s_cbranch_scc1 .LBB209_1889
; %bb.1880:
	s_cmp_lt_i32 s6, 3
	s_cbranch_scc1 .LBB209_1886
; %bb.1881:
	s_cmp_gt_i32 s6, 3
	s_cbranch_scc0 .LBB209_1883
; %bb.1882:
	v_lshlrev_b32_e32 v3, 16, v1
	v_trunc_f32_e32 v3, v3
	s_mov_b32 s0, 0x2f800000
	v_mul_f32_e64 v6, |v3|, s0
	v_floor_f32_e32 v6, v6
	s_mov_b32 s0, 0xcf800000
	v_cvt_u32_f32_e32 v7, v6
	v_fma_f32 v6, v6, s0, |v3|
	v_cvt_u32_f32_e32 v6, v6
	v_ashrrev_i32_e32 v3, 31, v3
	v_xor_b32_e32 v7, v7, v3
	s_mov_b64 s[0:1], 0
	v_xor_b32_e32 v6, v6, v3
	v_sub_co_u32_e32 v6, vcc, v6, v3
	s_nop 1
	v_subb_co_u32_e32 v7, vcc, v7, v3, vcc
	global_store_dwordx2 v[4:5], v[6:7], off
.LBB209_1883:
	s_andn2_b64 vcc, exec, s[0:1]
	s_cbranch_vccnz .LBB209_1885
; %bb.1884:
	v_lshlrev_b32_e32 v3, 16, v1
	v_cvt_i32_f32_e32 v3, v3
	global_store_dword v[4:5], v3, off
.LBB209_1885:
	s_mov_b64 s[0:1], 0
.LBB209_1886:
	s_andn2_b64 vcc, exec, s[0:1]
	s_cbranch_vccnz .LBB209_1888
; %bb.1887:
	v_lshlrev_b32_e32 v3, 16, v1
	v_cvt_i32_f32_e32 v3, v3
	global_store_short v[4:5], v3, off
.LBB209_1888:
	s_mov_b64 s[0:1], 0
.LBB209_1889:
	s_andn2_b64 vcc, exec, s[0:1]
	s_cbranch_vccnz .LBB209_1894
; %bb.1890:
	s_mov_b64 s[0:1], -1
	s_cmp_gt_i32 s6, 0
	v_lshlrev_b32_e32 v1, 16, v1
	s_cbranch_scc0 .LBB209_1892
; %bb.1891:
	v_cvt_i32_f32_e32 v3, v1
	s_mov_b64 s[0:1], 0
	global_store_byte v[4:5], v3, off
.LBB209_1892:
	s_andn2_b64 vcc, exec, s[0:1]
	s_cbranch_vccnz .LBB209_1894
; %bb.1893:
	v_trunc_f32_e32 v1, v1
	s_mov_b32 s0, 0x2f800000
	v_mul_f32_e64 v3, |v1|, s0
	v_floor_f32_e32 v3, v3
	s_mov_b32 s0, 0xcf800000
	v_fma_f32 v3, v3, s0, |v1|
	v_cvt_u32_f32_e32 v3, v3
	v_ashrrev_i32_e32 v1, 31, v1
	v_xor_b32_e32 v3, v3, v1
	v_sub_u32_e32 v1, v3, v1
	global_store_byte v[4:5], v1, off
.LBB209_1894:
	s_mov_b64 s[8:9], -1
.LBB209_1895:
	s_andn2_b64 vcc, exec, s[8:9]
	s_cbranch_vccnz .LBB209_2091
; %bb.1896:
	v_lshlrev_b32_e32 v1, 16, v12
	v_cvt_f64_f32_e32 v[4:5], v1
	v_rsq_f64_e32 v[6:7], v[4:5]
	s_mov_b32 s0, 0
	s_mov_b32 s1, 0x3fd80000
	v_mov_b32_e32 v1, 0x180
	v_mul_f64 v[4:5], v[6:7], -v[4:5]
	v_fma_f64 v[4:5], v[4:5], v[6:7], 1.0
	v_mul_f64 v[8:9], v[6:7], v[4:5]
	v_fma_f64 v[4:5], v[4:5], s[0:1], 0.5
	v_fma_f64 v[4:5], v[8:9], v[4:5], v[6:7]
	v_cmp_class_f64_e32 vcc, v[6:7], v1
	s_movk_i32 s0, 0x7fff
	s_cmp_lt_i32 s14, 11
	v_cndmask_b32_e32 v5, v7, v5, vcc
	v_cndmask_b32_e32 v4, v6, v4, vcc
	v_cvt_f32_f64_e32 v1, v[4:5]
	v_bfe_u32 v3, v1, 16, 1
	v_add3_u32 v3, v1, v3, s0
	v_cmp_o_f32_e32 vcc, v1, v1
	v_mov_b32_e32 v1, 0x7fc0
	s_nop 0
	v_cndmask_b32_sdwa v1, v1, v3, vcc dst_sel:DWORD dst_unused:UNUSED_PAD src0_sel:DWORD src1_sel:WORD_1
	v_mov_b32_e32 v3, 0
	v_lshl_add_u64 v[2:3], s[4:5], 0, v[2:3]
	s_cbranch_scc1 .LBB209_1974
; %bb.1897:
	s_and_b32 s15, 0xffff, s14
	s_mov_b64 s[10:11], -1
	s_mov_b64 s[6:7], 0
	s_cmp_gt_i32 s15, 25
	s_mov_b64 s[8:9], 0
	s_mov_b64 s[0:1], 0
	s_cbranch_scc0 .LBB209_1930
; %bb.1898:
	s_cmp_gt_i32 s15, 28
	s_cbranch_scc0 .LBB209_1913
; %bb.1899:
	s_cmp_gt_i32 s15, 43
	s_cbranch_scc0 .LBB209_1909
; %bb.1900:
	s_cmp_gt_i32 s15, 45
	s_cbranch_scc0 .LBB209_1903
; %bb.1901:
	s_mov_b64 s[0:1], -1
	s_mov_b64 s[10:11], 0
	s_cmp_eq_u32 s15, 46
	s_cbranch_scc0 .LBB209_1903
; %bb.1902:
	v_and_b32_e32 v4, 0xffff, v1
	global_store_dword v[2:3], v4, off
	s_mov_b64 s[0:1], 0
	s_mov_b64 s[8:9], -1
.LBB209_1903:
	s_and_b64 vcc, exec, s[10:11]
	s_cbranch_vccz .LBB209_1908
; %bb.1904:
	s_cmp_eq_u32 s15, 44
	s_mov_b64 s[0:1], -1
	s_cbranch_scc0 .LBB209_1908
; %bb.1905:
	v_and_b32_e32 v5, 0xffff, v1
	v_bfe_u32 v4, v5, 7, 8
	s_movk_i32 s0, 0xff
	v_cmp_ne_u32_e32 vcc, s0, v4
	v_mov_b32_e32 v6, 0xff
	s_and_saveexec_b64 s[8:9], vcc
	s_cbranch_execz .LBB209_1907
; %bb.1906:
	v_lshlrev_b32_e32 v7, 16, v5
	s_mov_b32 s0, 0x3f0000
	v_lshrrev_b32_e32 v6, 7, v5
	v_and_b32_e32 v5, 64, v5
	v_and_or_b32 v4, v7, s0, v4
	v_cmp_ne_u32_e32 vcc, 0, v5
	v_cmp_ne_u32_e64 s[0:1], 0, v4
	s_and_b64 s[0:1], vcc, s[0:1]
	s_nop 0
	v_cndmask_b32_e64 v4, 0, 1, s[0:1]
	v_add_u32_e32 v6, v6, v4
.LBB209_1907:
	s_or_b64 exec, exec, s[8:9]
	s_mov_b64 s[0:1], 0
	s_mov_b64 s[8:9], -1
	global_store_byte v[2:3], v6, off
.LBB209_1908:
	s_mov_b64 s[10:11], 0
.LBB209_1909:
	s_and_b64 vcc, exec, s[10:11]
	s_cbranch_vccz .LBB209_1912
; %bb.1910:
	s_cmp_eq_u32 s15, 29
	s_mov_b64 s[0:1], -1
	s_cbranch_scc0 .LBB209_1912
; %bb.1911:
	v_lshlrev_b32_e32 v4, 16, v1
	v_trunc_f32_e32 v4, v4
	v_mul_f32_e32 v5, 0x2f800000, v4
	v_floor_f32_e32 v6, v5
	v_fmamk_f32 v4, v6, 0xcf800000, v4
	v_cvt_u32_f32_e32 v5, v6
	v_cvt_u32_f32_e32 v4, v4
	s_mov_b64 s[0:1], 0
	s_mov_b64 s[8:9], -1
	global_store_dwordx2 v[2:3], v[4:5], off
.LBB209_1912:
	s_mov_b64 s[10:11], 0
.LBB209_1913:
	s_and_b64 vcc, exec, s[10:11]
	s_cbranch_vccz .LBB209_1929
; %bb.1914:
	s_cmp_lt_i32 s15, 27
	s_mov_b64 s[8:9], -1
	s_cbranch_scc1 .LBB209_1920
; %bb.1915:
	s_cmp_gt_i32 s15, 27
	s_cbranch_scc0 .LBB209_1917
; %bb.1916:
	v_lshlrev_b32_e32 v4, 16, v1
	v_cvt_u32_f32_e32 v4, v4
	s_mov_b64 s[8:9], 0
	global_store_dword v[2:3], v4, off
.LBB209_1917:
	s_andn2_b64 vcc, exec, s[8:9]
	s_cbranch_vccnz .LBB209_1919
; %bb.1918:
	v_lshlrev_b32_e32 v4, 16, v1
	v_cvt_u32_f32_e32 v4, v4
	global_store_short v[2:3], v4, off
.LBB209_1919:
	s_mov_b64 s[8:9], 0
.LBB209_1920:
	s_andn2_b64 vcc, exec, s[8:9]
	s_cbranch_vccnz .LBB209_1928
; %bb.1921:
	v_lshlrev_b32_e32 v6, 16, v1
	v_and_b32_e32 v5, 0x7fffffff, v6
	s_mov_b32 s8, 0x43800000
	v_cmp_gt_u32_e32 vcc, s8, v5
	v_mov_b32_e32 v7, 0x80
	s_and_saveexec_b64 s[8:9], vcc
	s_cbranch_execz .LBB209_1927
; %bb.1922:
	s_mov_b32 s10, 0x3bffffff
	v_and_b32_e32 v4, 0xffff, v1
	v_cmp_lt_u32_e32 vcc, s10, v5
	s_mov_b64 s[10:11], 0
                                        ; implicit-def: $vgpr5
	s_and_saveexec_b64 s[12:13], vcc
	s_xor_b64 s[12:13], exec, s[12:13]
	s_cbranch_execz .LBB209_2148
; %bb.1923:
	v_bfe_u32 v5, v4, 4, 1
	s_mov_b32 s16, 0x487ffff
	v_add3_u32 v5, v6, v5, s16
	s_mov_b64 s[10:11], exec
	v_lshrrev_b32_e32 v5, 20, v5
                                        ; implicit-def: $vgpr6
	s_andn2_saveexec_b64 s[12:13], s[12:13]
	s_cbranch_execnz .LBB209_2149
.LBB209_1924:
	s_or_b64 exec, exec, s[12:13]
	v_mov_b32_e32 v7, 0
	s_and_saveexec_b64 s[12:13], s[10:11]
.LBB209_1925:
	v_lshrrev_b32_e32 v4, 8, v4
	s_movk_i32 s10, 0x80
	v_and_or_b32 v7, v4, s10, v5
.LBB209_1926:
	s_or_b64 exec, exec, s[12:13]
.LBB209_1927:
	s_or_b64 exec, exec, s[8:9]
	global_store_byte v[2:3], v7, off
.LBB209_1928:
	s_mov_b64 s[8:9], -1
.LBB209_1929:
	s_mov_b64 s[10:11], 0
.LBB209_1930:
	s_and_b64 vcc, exec, s[10:11]
	s_cbranch_vccz .LBB209_1970
; %bb.1931:
	s_cmp_gt_i32 s15, 22
	s_mov_b64 s[6:7], -1
	s_cbranch_scc0 .LBB209_1963
; %bb.1932:
	s_cmp_lt_i32 s15, 24
	s_cbranch_scc1 .LBB209_1952
; %bb.1933:
	s_cmp_gt_i32 s15, 24
	s_cbranch_scc0 .LBB209_1941
; %bb.1934:
	v_lshlrev_b32_e32 v6, 16, v1
	v_and_b32_e32 v5, 0x7fffffff, v6
	s_mov_b32 s6, 0x47800000
	v_cmp_gt_u32_e32 vcc, s6, v5
	v_mov_b32_e32 v7, 0x80
	s_and_saveexec_b64 s[6:7], vcc
	s_cbranch_execz .LBB209_1940
; %bb.1935:
	s_mov_b32 s8, 0x37ffffff
	v_and_b32_e32 v4, 0xffff, v1
	v_cmp_lt_u32_e32 vcc, s8, v5
	s_mov_b64 s[8:9], 0
                                        ; implicit-def: $vgpr5
	s_and_saveexec_b64 s[10:11], vcc
	s_xor_b64 s[10:11], exec, s[10:11]
	s_cbranch_execz .LBB209_2151
; %bb.1936:
	v_bfe_u32 v5, v4, 5, 1
	s_mov_b32 s12, 0x88fffff
	v_add3_u32 v5, v6, v5, s12
	s_mov_b64 s[8:9], exec
	v_lshrrev_b32_e32 v5, 21, v5
                                        ; implicit-def: $vgpr6
	s_andn2_saveexec_b64 s[10:11], s[10:11]
	s_cbranch_execnz .LBB209_2152
.LBB209_1937:
	s_or_b64 exec, exec, s[10:11]
	v_mov_b32_e32 v7, 0
	s_and_saveexec_b64 s[10:11], s[8:9]
.LBB209_1938:
	v_lshrrev_b32_e32 v4, 8, v4
	s_movk_i32 s8, 0x80
	v_and_or_b32 v7, v4, s8, v5
.LBB209_1939:
	s_or_b64 exec, exec, s[10:11]
.LBB209_1940:
	s_or_b64 exec, exec, s[6:7]
	s_mov_b64 s[6:7], 0
	global_store_byte v[2:3], v7, off
.LBB209_1941:
	s_and_b64 vcc, exec, s[6:7]
	s_cbranch_vccz .LBB209_1951
; %bb.1942:
	v_lshlrev_b32_e32 v6, 16, v1
	v_and_b32_e32 v7, 0x7fffffff, v6
	s_mov_b32 s6, 0x43f00000
	v_and_b32_e32 v4, 0xffff, v1
	v_cmp_gt_u32_e32 vcc, s6, v7
                                        ; implicit-def: $vgpr5
	s_and_saveexec_b64 s[6:7], vcc
	s_xor_b64 s[6:7], exec, s[6:7]
	s_cbranch_execz .LBB209_1948
; %bb.1943:
	s_mov_b32 s8, 0x3c7fffff
	v_cmp_lt_u32_e32 vcc, s8, v7
                                        ; implicit-def: $vgpr5
	s_and_saveexec_b64 s[8:9], vcc
	s_xor_b64 s[8:9], exec, s[8:9]
; %bb.1944:
	v_bfe_u32 v5, v4, 4, 1
	s_mov_b32 s10, 0x407ffff
	v_add3_u32 v5, v6, v5, s10
	v_lshrrev_b32_e32 v6, 20, v5
	v_and_b32_e32 v5, 0xff00000, v5
	s_mov_b32 s10, 0x7f00000
	v_mov_b32_e32 v7, 0x7e
	v_cmp_ne_u32_e32 vcc, s10, v5
	s_nop 1
	v_cndmask_b32_e32 v5, v7, v6, vcc
                                        ; implicit-def: $vgpr6
; %bb.1945:
	s_andn2_saveexec_b64 s[8:9], s[8:9]
; %bb.1946:
	s_mov_b32 s10, 0x46800000
	v_add_f32_e64 v5, |v6|, s10
; %bb.1947:
	s_or_b64 exec, exec, s[8:9]
                                        ; implicit-def: $vgpr7
.LBB209_1948:
	s_andn2_saveexec_b64 s[6:7], s[6:7]
; %bb.1949:
	s_mov_b32 s8, 0x7f800000
	v_mov_b32_e32 v5, 0x7e
	v_mov_b32_e32 v6, 0x7f
	v_cmp_lt_u32_e32 vcc, s8, v7
	s_nop 1
	v_cndmask_b32_e32 v5, v5, v6, vcc
; %bb.1950:
	s_or_b64 exec, exec, s[6:7]
	v_lshrrev_b32_e32 v4, 8, v4
	s_movk_i32 s6, 0x80
	v_and_or_b32 v4, v4, s6, v5
	global_store_byte v[2:3], v4, off
.LBB209_1951:
	s_mov_b64 s[6:7], 0
.LBB209_1952:
	s_andn2_b64 vcc, exec, s[6:7]
	s_cbranch_vccnz .LBB209_1962
; %bb.1953:
	v_lshlrev_b32_e32 v6, 16, v1
	v_and_b32_e32 v7, 0x7fffffff, v6
	s_mov_b32 s6, 0x47800000
	v_and_b32_e32 v4, 0xffff, v1
	v_cmp_gt_u32_e32 vcc, s6, v7
                                        ; implicit-def: $vgpr5
	s_and_saveexec_b64 s[6:7], vcc
	s_xor_b64 s[6:7], exec, s[6:7]
	s_cbranch_execz .LBB209_1959
; %bb.1954:
	s_mov_b32 s8, 0x387fffff
	v_cmp_lt_u32_e32 vcc, s8, v7
                                        ; implicit-def: $vgpr5
	s_and_saveexec_b64 s[8:9], vcc
	s_xor_b64 s[8:9], exec, s[8:9]
; %bb.1955:
	v_bfe_u32 v5, v4, 5, 1
	s_mov_b32 s10, 0x80fffff
	v_add3_u32 v5, v6, v5, s10
	v_lshrrev_b32_e32 v5, 21, v5
                                        ; implicit-def: $vgpr6
; %bb.1956:
	s_andn2_saveexec_b64 s[8:9], s[8:9]
; %bb.1957:
	s_mov_b32 s10, 0x43000000
	v_add_f32_e64 v5, |v6|, s10
; %bb.1958:
	s_or_b64 exec, exec, s[8:9]
                                        ; implicit-def: $vgpr7
.LBB209_1959:
	s_andn2_saveexec_b64 s[6:7], s[6:7]
; %bb.1960:
	s_mov_b32 s8, 0x7f800000
	v_mov_b32_e32 v5, 0x7c
	v_mov_b32_e32 v6, 0x7f
	v_cmp_lt_u32_e32 vcc, s8, v7
	s_nop 1
	v_cndmask_b32_e32 v5, v5, v6, vcc
; %bb.1961:
	s_or_b64 exec, exec, s[6:7]
	v_lshrrev_b32_e32 v4, 8, v4
	s_movk_i32 s6, 0x80
	v_and_or_b32 v4, v4, s6, v5
	global_store_byte v[2:3], v4, off
.LBB209_1962:
	s_mov_b64 s[6:7], 0
	s_mov_b64 s[8:9], -1
.LBB209_1963:
	s_andn2_b64 vcc, exec, s[6:7]
	s_mov_b64 s[6:7], 0
	s_cbranch_vccnz .LBB209_1970
; %bb.1964:
	s_cmp_gt_i32 s15, 14
	s_mov_b64 s[10:11], -1
	s_cbranch_scc0 .LBB209_1968
; %bb.1965:
	s_cmp_eq_u32 s15, 15
	s_mov_b64 s[0:1], -1
	s_cbranch_scc0 .LBB209_1967
; %bb.1966:
	global_store_short v[2:3], v1, off
	s_mov_b64 s[0:1], 0
	s_mov_b64 s[8:9], -1
.LBB209_1967:
	s_mov_b64 s[10:11], 0
.LBB209_1968:
	s_and_b64 vcc, exec, s[10:11]
	s_cbranch_vccz .LBB209_1970
; %bb.1969:
	s_cmp_lg_u32 s15, 11
	s_mov_b64 s[6:7], -1
	s_cselect_b64 s[0:1], -1, 0
.LBB209_1970:
	s_and_b64 vcc, exec, s[0:1]
	s_cbranch_vccnz .LBB209_2150
; %bb.1971:
	s_andn2_b64 vcc, exec, s[6:7]
	s_cbranch_vccnz .LBB209_1973
.LBB209_1972:
	v_and_b32_e32 v4, 0x7fff, v1
	v_cmp_ne_u16_e32 vcc, 0, v4
	s_mov_b64 s[8:9], -1
	s_nop 0
	v_cndmask_b32_e64 v4, 0, 1, vcc
	global_store_byte v[2:3], v4, off
.LBB209_1973:
	s_mov_b64 s[0:1], 0
	s_branch .LBB209_1975
.LBB209_1974:
	s_mov_b64 s[0:1], -1
	s_mov_b64 s[8:9], 0
.LBB209_1975:
	s_and_b64 vcc, exec, s[0:1]
	s_cbranch_vccz .LBB209_2014
; %bb.1976:
	s_and_b32 s6, 0xffff, s14
	s_cmp_lt_i32 s6, 5
	s_mov_b64 s[0:1], -1
	s_cbranch_scc1 .LBB209_1997
; %bb.1977:
	s_cmp_lt_i32 s6, 8
	s_cbranch_scc1 .LBB209_1987
; %bb.1978:
	s_cmp_lt_i32 s6, 9
	s_cbranch_scc1 .LBB209_1984
; %bb.1979:
	s_cmp_gt_i32 s6, 9
	s_cbranch_scc0 .LBB209_1981
; %bb.1980:
	v_lshlrev_b32_e32 v4, 16, v1
	v_mov_b32_e32 v6, 0
	v_cvt_f64_f32_e32 v[4:5], v4
	v_mov_b32_e32 v7, v6
	global_store_dwordx4 v[2:3], v[4:7], off
	s_mov_b64 s[0:1], 0
.LBB209_1981:
	s_andn2_b64 vcc, exec, s[0:1]
	s_cbranch_vccnz .LBB209_1983
; %bb.1982:
	v_lshlrev_b32_e32 v4, 16, v1
	v_mov_b32_e32 v5, 0
	global_store_dwordx2 v[2:3], v[4:5], off
.LBB209_1983:
	s_mov_b64 s[0:1], 0
.LBB209_1984:
	s_andn2_b64 vcc, exec, s[0:1]
	s_cbranch_vccnz .LBB209_1986
; %bb.1985:
	v_lshlrev_b32_e32 v4, 16, v1
	v_cvt_f16_f32_e32 v4, v4
	global_store_dword v[2:3], v4, off
.LBB209_1986:
	s_mov_b64 s[0:1], 0
.LBB209_1987:
	s_andn2_b64 vcc, exec, s[0:1]
	s_cbranch_vccnz .LBB209_1996
; %bb.1988:
	s_cmp_lt_i32 s6, 6
	s_mov_b64 s[0:1], -1
	s_cbranch_scc1 .LBB209_1994
; %bb.1989:
	s_cmp_gt_i32 s6, 6
	s_cbranch_scc0 .LBB209_1991
; %bb.1990:
	v_lshlrev_b32_e32 v4, 16, v1
	v_cvt_f64_f32_e32 v[4:5], v4
	global_store_dwordx2 v[2:3], v[4:5], off
	s_mov_b64 s[0:1], 0
.LBB209_1991:
	s_andn2_b64 vcc, exec, s[0:1]
	s_cbranch_vccnz .LBB209_1993
; %bb.1992:
	v_lshlrev_b32_e32 v4, 16, v1
	global_store_dword v[2:3], v4, off
.LBB209_1993:
	s_mov_b64 s[0:1], 0
.LBB209_1994:
	s_andn2_b64 vcc, exec, s[0:1]
	s_cbranch_vccnz .LBB209_1996
; %bb.1995:
	v_lshlrev_b32_e32 v4, 16, v1
	v_cvt_f16_f32_e32 v4, v4
	global_store_short v[2:3], v4, off
.LBB209_1996:
	s_mov_b64 s[0:1], 0
.LBB209_1997:
	s_andn2_b64 vcc, exec, s[0:1]
	s_cbranch_vccnz .LBB209_2013
; %bb.1998:
	s_cmp_lt_i32 s6, 2
	s_mov_b64 s[0:1], -1
	s_cbranch_scc1 .LBB209_2008
; %bb.1999:
	s_cmp_lt_i32 s6, 3
	s_cbranch_scc1 .LBB209_2005
; %bb.2000:
	s_cmp_gt_i32 s6, 3
	s_cbranch_scc0 .LBB209_2002
; %bb.2001:
	v_lshlrev_b32_e32 v4, 16, v1
	v_trunc_f32_e32 v4, v4
	s_mov_b32 s0, 0x2f800000
	v_mul_f32_e64 v5, |v4|, s0
	v_floor_f32_e32 v5, v5
	s_mov_b32 s0, 0xcf800000
	v_cvt_u32_f32_e32 v6, v5
	v_fma_f32 v5, v5, s0, |v4|
	v_cvt_u32_f32_e32 v5, v5
	v_ashrrev_i32_e32 v7, 31, v4
	v_xor_b32_e32 v6, v6, v7
	s_mov_b64 s[0:1], 0
	v_xor_b32_e32 v4, v5, v7
	v_sub_co_u32_e32 v4, vcc, v4, v7
	s_nop 1
	v_subb_co_u32_e32 v5, vcc, v6, v7, vcc
	global_store_dwordx2 v[2:3], v[4:5], off
.LBB209_2002:
	s_andn2_b64 vcc, exec, s[0:1]
	s_cbranch_vccnz .LBB209_2004
; %bb.2003:
	v_lshlrev_b32_e32 v4, 16, v1
	v_cvt_i32_f32_e32 v4, v4
	global_store_dword v[2:3], v4, off
.LBB209_2004:
	s_mov_b64 s[0:1], 0
.LBB209_2005:
	s_andn2_b64 vcc, exec, s[0:1]
	s_cbranch_vccnz .LBB209_2007
; %bb.2006:
	v_lshlrev_b32_e32 v4, 16, v1
	v_cvt_i32_f32_e32 v4, v4
	global_store_short v[2:3], v4, off
.LBB209_2007:
	s_mov_b64 s[0:1], 0
.LBB209_2008:
	s_andn2_b64 vcc, exec, s[0:1]
	s_cbranch_vccnz .LBB209_2013
; %bb.2009:
	s_cmp_gt_i32 s6, 0
	s_mov_b64 s[0:1], -1
	s_cbranch_scc0 .LBB209_2011
; %bb.2010:
	v_lshlrev_b32_e32 v4, 16, v1
	v_cvt_i32_f32_e32 v4, v4
	s_mov_b64 s[0:1], 0
	global_store_byte v[2:3], v4, off
.LBB209_2011:
	s_andn2_b64 vcc, exec, s[0:1]
	s_cbranch_vccnz .LBB209_2013
; %bb.2012:
	v_lshlrev_b32_e32 v1, 16, v1
	v_trunc_f32_e32 v1, v1
	s_mov_b32 s0, 0x2f800000
	v_mul_f32_e64 v4, |v1|, s0
	v_floor_f32_e32 v4, v4
	s_mov_b32 s0, 0xcf800000
	v_fma_f32 v4, v4, s0, |v1|
	v_cvt_u32_f32_e32 v4, v4
	v_ashrrev_i32_e32 v1, 31, v1
	v_xor_b32_e32 v4, v4, v1
	v_sub_u32_e32 v1, v4, v1
	global_store_byte v[2:3], v1, off
.LBB209_2013:
	s_mov_b64 s[8:9], -1
.LBB209_2014:
	s_andn2_b64 vcc, exec, s[8:9]
	s_cbranch_vccnz .LBB209_2091
; %bb.2015:
	v_lshlrev_b32_e32 v1, 16, v10
	v_cvt_f64_f32_e32 v[2:3], v1
	v_rsq_f64_e32 v[4:5], v[2:3]
	s_mov_b32 s0, 0
	s_mov_b32 s1, 0x3fd80000
	v_mov_b32_e32 v1, 0x180
	v_mul_f64 v[2:3], v[4:5], -v[2:3]
	v_fma_f64 v[2:3], v[2:3], v[4:5], 1.0
	v_mul_f64 v[6:7], v[4:5], v[2:3]
	v_fma_f64 v[2:3], v[2:3], s[0:1], 0.5
	v_fma_f64 v[2:3], v[6:7], v[2:3], v[4:5]
	v_cmp_class_f64_e32 vcc, v[4:5], v1
	s_movk_i32 s0, 0x7fff
	s_cmp_lt_i32 s14, 11
	v_cndmask_b32_e32 v3, v5, v3, vcc
	v_cndmask_b32_e32 v2, v4, v2, vcc
	v_cvt_f32_f64_e32 v1, v[2:3]
	v_bfe_u32 v2, v1, 16, 1
	v_add3_u32 v2, v1, v2, s0
	v_cmp_o_f32_e32 vcc, v1, v1
	v_mov_b32_e32 v1, 0x7fc0
	s_nop 0
	v_cndmask_b32_sdwa v2, v1, v2, vcc dst_sel:DWORD dst_unused:UNUSED_PAD src0_sel:DWORD src1_sel:WORD_1
	v_mov_b32_e32 v1, 0
	v_lshl_add_u64 v[0:1], s[4:5], 0, v[0:1]
	s_cbranch_scc1 .LBB209_2136
; %bb.2016:
	s_and_b32 s12, 0xffff, s14
	s_mov_b64 s[6:7], -1
	s_mov_b64 s[4:5], 0
	s_cmp_gt_i32 s12, 25
	s_mov_b64 s[0:1], 0
	s_cbranch_scc0 .LBB209_2049
; %bb.2017:
	s_cmp_gt_i32 s12, 28
	s_cbranch_scc0 .LBB209_2033
; %bb.2018:
	s_cmp_gt_i32 s12, 43
	;; [unrolled: 3-line block ×3, first 2 shown]
	s_cbranch_scc0 .LBB209_2023
; %bb.2020:
	s_cmp_eq_u32 s12, 46
	s_mov_b64 s[0:1], -1
	s_cbranch_scc0 .LBB209_2022
; %bb.2021:
	v_and_b32_e32 v3, 0xffff, v2
	global_store_dword v[0:1], v3, off
	s_mov_b64 s[0:1], 0
.LBB209_2022:
	s_mov_b64 s[6:7], 0
.LBB209_2023:
	s_and_b64 vcc, exec, s[6:7]
	s_cbranch_vccz .LBB209_2028
; %bb.2024:
	s_cmp_eq_u32 s12, 44
	s_mov_b64 s[0:1], -1
	s_cbranch_scc0 .LBB209_2028
; %bb.2025:
	v_and_b32_e32 v4, 0xffff, v2
	v_bfe_u32 v3, v4, 7, 8
	s_movk_i32 s0, 0xff
	v_cmp_ne_u32_e32 vcc, s0, v3
	v_mov_b32_e32 v5, 0xff
	s_and_saveexec_b64 s[6:7], vcc
	s_cbranch_execz .LBB209_2027
; %bb.2026:
	v_lshlrev_b32_e32 v6, 16, v4
	s_mov_b32 s0, 0x3f0000
	v_lshrrev_b32_e32 v5, 7, v4
	v_and_b32_e32 v4, 64, v4
	v_and_or_b32 v3, v6, s0, v3
	v_cmp_ne_u32_e32 vcc, 0, v4
	v_cmp_ne_u32_e64 s[0:1], 0, v3
	s_and_b64 s[0:1], vcc, s[0:1]
	s_nop 0
	v_cndmask_b32_e64 v3, 0, 1, s[0:1]
	v_add_u32_e32 v5, v5, v3
.LBB209_2027:
	s_or_b64 exec, exec, s[6:7]
	s_mov_b64 s[0:1], 0
	global_store_byte v[0:1], v5, off
.LBB209_2028:
	s_mov_b64 s[6:7], 0
.LBB209_2029:
	s_and_b64 vcc, exec, s[6:7]
	s_cbranch_vccz .LBB209_2032
; %bb.2030:
	s_cmp_eq_u32 s12, 29
	s_mov_b64 s[0:1], -1
	s_cbranch_scc0 .LBB209_2032
; %bb.2031:
	v_lshlrev_b32_e32 v3, 16, v2
	v_trunc_f32_e32 v3, v3
	v_mul_f32_e32 v4, 0x2f800000, v3
	v_floor_f32_e32 v4, v4
	v_fmamk_f32 v3, v4, 0xcf800000, v3
	v_cvt_u32_f32_e32 v5, v4
	v_cvt_u32_f32_e32 v4, v3
	s_mov_b64 s[0:1], 0
	global_store_dwordx2 v[0:1], v[4:5], off
.LBB209_2032:
	s_mov_b64 s[6:7], 0
.LBB209_2033:
	s_and_b64 vcc, exec, s[6:7]
	s_cbranch_vccz .LBB209_2048
; %bb.2034:
	s_cmp_lt_i32 s12, 27
	s_mov_b64 s[6:7], -1
	s_cbranch_scc1 .LBB209_2040
; %bb.2035:
	s_cmp_gt_i32 s12, 27
	s_cbranch_scc0 .LBB209_2037
; %bb.2036:
	v_lshlrev_b32_e32 v3, 16, v2
	v_cvt_u32_f32_e32 v3, v3
	s_mov_b64 s[6:7], 0
	global_store_dword v[0:1], v3, off
.LBB209_2037:
	s_andn2_b64 vcc, exec, s[6:7]
	s_cbranch_vccnz .LBB209_2039
; %bb.2038:
	v_lshlrev_b32_e32 v3, 16, v2
	v_cvt_u32_f32_e32 v3, v3
	global_store_short v[0:1], v3, off
.LBB209_2039:
	s_mov_b64 s[6:7], 0
.LBB209_2040:
	s_andn2_b64 vcc, exec, s[6:7]
	s_cbranch_vccnz .LBB209_2048
; %bb.2041:
	v_lshlrev_b32_e32 v5, 16, v2
	v_and_b32_e32 v4, 0x7fffffff, v5
	s_mov_b32 s6, 0x43800000
	v_cmp_gt_u32_e32 vcc, s6, v4
	v_mov_b32_e32 v6, 0x80
	s_and_saveexec_b64 s[6:7], vcc
	s_cbranch_execz .LBB209_2047
; %bb.2042:
	s_mov_b32 s8, 0x3bffffff
	v_and_b32_e32 v3, 0xffff, v2
	v_cmp_lt_u32_e32 vcc, s8, v4
	s_mov_b64 s[8:9], 0
                                        ; implicit-def: $vgpr4
	s_and_saveexec_b64 s[10:11], vcc
	s_xor_b64 s[10:11], exec, s[10:11]
	s_cbranch_execz .LBB209_2153
; %bb.2043:
	v_bfe_u32 v4, v3, 4, 1
	s_mov_b32 s13, 0x487ffff
	v_add3_u32 v4, v5, v4, s13
	s_mov_b64 s[8:9], exec
	v_lshrrev_b32_e32 v4, 20, v4
                                        ; implicit-def: $vgpr5
	s_andn2_saveexec_b64 s[10:11], s[10:11]
	s_cbranch_execnz .LBB209_2154
.LBB209_2044:
	s_or_b64 exec, exec, s[10:11]
	v_mov_b32_e32 v6, 0
	s_and_saveexec_b64 s[10:11], s[8:9]
.LBB209_2045:
	v_lshrrev_b32_e32 v3, 8, v3
	s_movk_i32 s8, 0x80
	v_and_or_b32 v6, v3, s8, v4
.LBB209_2046:
	s_or_b64 exec, exec, s[10:11]
.LBB209_2047:
	s_or_b64 exec, exec, s[6:7]
	global_store_byte v[0:1], v6, off
.LBB209_2048:
	s_mov_b64 s[6:7], 0
.LBB209_2049:
	s_and_b64 vcc, exec, s[6:7]
	s_cbranch_vccz .LBB209_2089
; %bb.2050:
	s_cmp_gt_i32 s12, 22
	s_mov_b64 s[4:5], -1
	s_cbranch_scc0 .LBB209_2082
; %bb.2051:
	s_cmp_lt_i32 s12, 24
	s_cbranch_scc1 .LBB209_2071
; %bb.2052:
	s_cmp_gt_i32 s12, 24
	s_cbranch_scc0 .LBB209_2060
; %bb.2053:
	v_lshlrev_b32_e32 v5, 16, v2
	v_and_b32_e32 v4, 0x7fffffff, v5
	s_mov_b32 s4, 0x47800000
	v_cmp_gt_u32_e32 vcc, s4, v4
	v_mov_b32_e32 v6, 0x80
	s_and_saveexec_b64 s[4:5], vcc
	s_cbranch_execz .LBB209_2059
; %bb.2054:
	s_mov_b32 s6, 0x37ffffff
	v_and_b32_e32 v3, 0xffff, v2
	v_cmp_lt_u32_e32 vcc, s6, v4
	s_mov_b64 s[6:7], 0
                                        ; implicit-def: $vgpr4
	s_and_saveexec_b64 s[8:9], vcc
	s_xor_b64 s[8:9], exec, s[8:9]
	s_cbranch_execz .LBB209_2156
; %bb.2055:
	v_bfe_u32 v4, v3, 5, 1
	s_mov_b32 s10, 0x88fffff
	v_add3_u32 v4, v5, v4, s10
	s_mov_b64 s[6:7], exec
	v_lshrrev_b32_e32 v4, 21, v4
                                        ; implicit-def: $vgpr5
	s_andn2_saveexec_b64 s[8:9], s[8:9]
	s_cbranch_execnz .LBB209_2157
.LBB209_2056:
	s_or_b64 exec, exec, s[8:9]
	v_mov_b32_e32 v6, 0
	s_and_saveexec_b64 s[8:9], s[6:7]
.LBB209_2057:
	v_lshrrev_b32_e32 v3, 8, v3
	s_movk_i32 s6, 0x80
	v_and_or_b32 v6, v3, s6, v4
.LBB209_2058:
	s_or_b64 exec, exec, s[8:9]
.LBB209_2059:
	s_or_b64 exec, exec, s[4:5]
	s_mov_b64 s[4:5], 0
	global_store_byte v[0:1], v6, off
.LBB209_2060:
	s_and_b64 vcc, exec, s[4:5]
	s_cbranch_vccz .LBB209_2070
; %bb.2061:
	v_lshlrev_b32_e32 v5, 16, v2
	v_and_b32_e32 v6, 0x7fffffff, v5
	s_mov_b32 s4, 0x43f00000
	v_and_b32_e32 v3, 0xffff, v2
	v_cmp_gt_u32_e32 vcc, s4, v6
                                        ; implicit-def: $vgpr4
	s_and_saveexec_b64 s[4:5], vcc
	s_xor_b64 s[4:5], exec, s[4:5]
	s_cbranch_execz .LBB209_2067
; %bb.2062:
	s_mov_b32 s6, 0x3c7fffff
	v_cmp_lt_u32_e32 vcc, s6, v6
                                        ; implicit-def: $vgpr4
	s_and_saveexec_b64 s[6:7], vcc
	s_xor_b64 s[6:7], exec, s[6:7]
; %bb.2063:
	v_bfe_u32 v4, v3, 4, 1
	s_mov_b32 s8, 0x407ffff
	v_add3_u32 v4, v5, v4, s8
	v_lshrrev_b32_e32 v5, 20, v4
	v_and_b32_e32 v4, 0xff00000, v4
	s_mov_b32 s8, 0x7f00000
	v_mov_b32_e32 v6, 0x7e
	v_cmp_ne_u32_e32 vcc, s8, v4
	s_nop 1
	v_cndmask_b32_e32 v4, v6, v5, vcc
                                        ; implicit-def: $vgpr5
; %bb.2064:
	s_andn2_saveexec_b64 s[6:7], s[6:7]
; %bb.2065:
	s_mov_b32 s8, 0x46800000
	v_add_f32_e64 v4, |v5|, s8
; %bb.2066:
	s_or_b64 exec, exec, s[6:7]
                                        ; implicit-def: $vgpr6
.LBB209_2067:
	s_andn2_saveexec_b64 s[4:5], s[4:5]
; %bb.2068:
	s_mov_b32 s6, 0x7f800000
	v_mov_b32_e32 v4, 0x7e
	v_mov_b32_e32 v5, 0x7f
	v_cmp_lt_u32_e32 vcc, s6, v6
	s_nop 1
	v_cndmask_b32_e32 v4, v4, v5, vcc
; %bb.2069:
	s_or_b64 exec, exec, s[4:5]
	v_lshrrev_b32_e32 v3, 8, v3
	s_movk_i32 s4, 0x80
	v_and_or_b32 v3, v3, s4, v4
	global_store_byte v[0:1], v3, off
.LBB209_2070:
	s_mov_b64 s[4:5], 0
.LBB209_2071:
	s_andn2_b64 vcc, exec, s[4:5]
	s_cbranch_vccnz .LBB209_2081
; %bb.2072:
	v_lshlrev_b32_e32 v5, 16, v2
	v_and_b32_e32 v6, 0x7fffffff, v5
	s_mov_b32 s4, 0x47800000
	v_and_b32_e32 v3, 0xffff, v2
	v_cmp_gt_u32_e32 vcc, s4, v6
                                        ; implicit-def: $vgpr4
	s_and_saveexec_b64 s[4:5], vcc
	s_xor_b64 s[4:5], exec, s[4:5]
	s_cbranch_execz .LBB209_2078
; %bb.2073:
	s_mov_b32 s6, 0x387fffff
	v_cmp_lt_u32_e32 vcc, s6, v6
                                        ; implicit-def: $vgpr4
	s_and_saveexec_b64 s[6:7], vcc
	s_xor_b64 s[6:7], exec, s[6:7]
; %bb.2074:
	v_bfe_u32 v4, v3, 5, 1
	s_mov_b32 s8, 0x80fffff
	v_add3_u32 v4, v5, v4, s8
	v_lshrrev_b32_e32 v4, 21, v4
                                        ; implicit-def: $vgpr5
; %bb.2075:
	s_andn2_saveexec_b64 s[6:7], s[6:7]
; %bb.2076:
	s_mov_b32 s8, 0x43000000
	v_add_f32_e64 v4, |v5|, s8
; %bb.2077:
	s_or_b64 exec, exec, s[6:7]
                                        ; implicit-def: $vgpr6
.LBB209_2078:
	s_andn2_saveexec_b64 s[4:5], s[4:5]
; %bb.2079:
	s_mov_b32 s6, 0x7f800000
	v_mov_b32_e32 v4, 0x7c
	v_mov_b32_e32 v5, 0x7f
	v_cmp_lt_u32_e32 vcc, s6, v6
	s_nop 1
	v_cndmask_b32_e32 v4, v4, v5, vcc
; %bb.2080:
	s_or_b64 exec, exec, s[4:5]
	v_lshrrev_b32_e32 v3, 8, v3
	s_movk_i32 s4, 0x80
	v_and_or_b32 v3, v3, s4, v4
	global_store_byte v[0:1], v3, off
.LBB209_2081:
	s_mov_b64 s[4:5], 0
.LBB209_2082:
	s_andn2_b64 vcc, exec, s[4:5]
	s_mov_b64 s[4:5], 0
	s_cbranch_vccnz .LBB209_2089
; %bb.2083:
	s_cmp_gt_i32 s12, 14
	s_mov_b64 s[6:7], -1
	s_cbranch_scc0 .LBB209_2087
; %bb.2084:
	s_cmp_eq_u32 s12, 15
	s_mov_b64 s[0:1], -1
	s_cbranch_scc0 .LBB209_2086
; %bb.2085:
	global_store_short v[0:1], v2, off
	s_mov_b64 s[0:1], 0
.LBB209_2086:
	s_mov_b64 s[6:7], 0
.LBB209_2087:
	s_and_b64 vcc, exec, s[6:7]
	s_cbranch_vccz .LBB209_2089
; %bb.2088:
	s_cmp_lg_u32 s12, 11
	s_mov_b64 s[4:5], -1
	s_cselect_b64 s[0:1], -1, 0
.LBB209_2089:
	s_and_b64 vcc, exec, s[0:1]
	s_cbranch_vccnz .LBB209_2155
.LBB209_2090:
	s_mov_b64 s[0:1], 0
	s_branch .LBB209_2092
.LBB209_2091:
	s_mov_b64 s[0:1], 0
	s_mov_b64 s[4:5], 0
                                        ; implicit-def: $vgpr0_vgpr1
                                        ; implicit-def: $sgpr14
                                        ; implicit-def: $vgpr2
.LBB209_2092:
	s_and_b64 s[6:7], s[0:1], exec
	s_andn2_b64 s[0:1], s[24:25], exec
	s_and_b64 s[2:3], s[2:3], exec
	s_and_b64 s[40:41], s[4:5], exec
	s_or_b64 s[24:25], s[0:1], s[2:3]
.LBB209_2093:
	s_or_b64 exec, exec, s[26:27]
	s_and_saveexec_b64 s[0:1], s[24:25]
	s_cbranch_execz .LBB209_2096
; %bb.2094:
	; divergent unreachable
	s_or_b64 exec, exec, s[0:1]
	s_and_saveexec_b64 s[0:1], s[40:41]
	s_xor_b64 s[0:1], exec, s[0:1]
	s_cbranch_execnz .LBB209_2097
.LBB209_2095:
	s_or_b64 exec, exec, s[0:1]
	s_and_saveexec_b64 s[0:1], s[6:7]
	s_cbranch_execnz .LBB209_2098
	s_branch .LBB209_2135
.LBB209_2096:
	s_or_b64 exec, exec, s[0:1]
	s_and_saveexec_b64 s[0:1], s[40:41]
	s_xor_b64 s[0:1], exec, s[0:1]
	s_cbranch_execz .LBB209_2095
.LBB209_2097:
	s_waitcnt vmcnt(0)
	v_and_b32_e32 v3, 0x7fff, v2
	v_cmp_ne_u16_e32 vcc, 0, v3
	s_nop 1
	v_cndmask_b32_e64 v3, 0, 1, vcc
	global_store_byte v[0:1], v3, off
	s_or_b64 exec, exec, s[0:1]
	s_and_saveexec_b64 s[0:1], s[6:7]
	s_cbranch_execz .LBB209_2135
.LBB209_2098:
	s_sext_i32_i16 s2, s14
	s_cmp_lt_i32 s2, 5
	s_mov_b64 s[0:1], -1
	s_cbranch_scc1 .LBB209_2119
; %bb.2099:
	s_cmp_lt_i32 s2, 8
	s_cbranch_scc1 .LBB209_2109
; %bb.2100:
	s_cmp_lt_i32 s2, 9
	s_cbranch_scc1 .LBB209_2106
; %bb.2101:
	s_cmp_gt_i32 s2, 9
	s_cbranch_scc0 .LBB209_2103
; %bb.2102:
	s_waitcnt vmcnt(0)
	v_lshlrev_b32_e32 v3, 16, v2
	v_mov_b32_e32 v6, 0
	v_cvt_f64_f32_e32 v[4:5], v3
	v_mov_b32_e32 v7, v6
	global_store_dwordx4 v[0:1], v[4:7], off
	s_mov_b64 s[0:1], 0
.LBB209_2103:
	s_andn2_b64 vcc, exec, s[0:1]
	s_cbranch_vccnz .LBB209_2105
; %bb.2104:
	v_lshlrev_b32_e32 v4, 16, v2
	v_mov_b32_e32 v5, 0
	s_waitcnt vmcnt(0)
	global_store_dwordx2 v[0:1], v[4:5], off
.LBB209_2105:
	s_mov_b64 s[0:1], 0
.LBB209_2106:
	s_andn2_b64 vcc, exec, s[0:1]
	s_cbranch_vccnz .LBB209_2108
; %bb.2107:
	s_waitcnt vmcnt(0)
	v_lshlrev_b32_e32 v3, 16, v2
	v_cvt_f16_f32_e32 v3, v3
	global_store_dword v[0:1], v3, off
.LBB209_2108:
	s_mov_b64 s[0:1], 0
.LBB209_2109:
	s_andn2_b64 vcc, exec, s[0:1]
	s_cbranch_vccnz .LBB209_2118
; %bb.2110:
	s_sext_i32_i16 s2, s14
	s_cmp_lt_i32 s2, 6
	s_mov_b64 s[0:1], -1
	s_cbranch_scc1 .LBB209_2116
; %bb.2111:
	s_cmp_gt_i32 s2, 6
	s_cbranch_scc0 .LBB209_2113
; %bb.2112:
	s_waitcnt vmcnt(0)
	v_lshlrev_b32_e32 v3, 16, v2
	v_cvt_f64_f32_e32 v[4:5], v3
	global_store_dwordx2 v[0:1], v[4:5], off
	s_mov_b64 s[0:1], 0
.LBB209_2113:
	s_andn2_b64 vcc, exec, s[0:1]
	s_cbranch_vccnz .LBB209_2115
; %bb.2114:
	s_waitcnt vmcnt(0)
	v_lshlrev_b32_e32 v3, 16, v2
	global_store_dword v[0:1], v3, off
.LBB209_2115:
	s_mov_b64 s[0:1], 0
.LBB209_2116:
	s_andn2_b64 vcc, exec, s[0:1]
	s_cbranch_vccnz .LBB209_2118
; %bb.2117:
	s_waitcnt vmcnt(0)
	v_lshlrev_b32_e32 v3, 16, v2
	v_cvt_f16_f32_e32 v3, v3
	global_store_short v[0:1], v3, off
.LBB209_2118:
	s_mov_b64 s[0:1], 0
.LBB209_2119:
	s_andn2_b64 vcc, exec, s[0:1]
	s_cbranch_vccnz .LBB209_2135
; %bb.2120:
	s_sext_i32_i16 s2, s14
	s_cmp_lt_i32 s2, 2
	s_mov_b64 s[0:1], -1
	s_cbranch_scc1 .LBB209_2130
; %bb.2121:
	s_cmp_lt_i32 s2, 3
	s_cbranch_scc1 .LBB209_2127
; %bb.2122:
	s_cmp_gt_i32 s2, 3
	s_cbranch_scc0 .LBB209_2124
; %bb.2123:
	s_waitcnt vmcnt(0)
	v_lshlrev_b32_e32 v3, 16, v2
	v_trunc_f32_e32 v3, v3
	s_mov_b32 s0, 0x2f800000
	v_mul_f32_e64 v4, |v3|, s0
	v_floor_f32_e32 v4, v4
	s_mov_b32 s0, 0xcf800000
	v_cvt_u32_f32_e32 v5, v4
	v_fma_f32 v4, v4, s0, |v3|
	v_cvt_u32_f32_e32 v4, v4
	v_ashrrev_i32_e32 v3, 31, v3
	v_xor_b32_e32 v5, v5, v3
	s_mov_b64 s[0:1], 0
	v_xor_b32_e32 v4, v4, v3
	v_sub_co_u32_e32 v4, vcc, v4, v3
	s_nop 1
	v_subb_co_u32_e32 v5, vcc, v5, v3, vcc
	global_store_dwordx2 v[0:1], v[4:5], off
.LBB209_2124:
	s_andn2_b64 vcc, exec, s[0:1]
	s_cbranch_vccnz .LBB209_2126
; %bb.2125:
	s_waitcnt vmcnt(0)
	v_lshlrev_b32_e32 v3, 16, v2
	v_cvt_i32_f32_e32 v3, v3
	global_store_dword v[0:1], v3, off
.LBB209_2126:
	s_mov_b64 s[0:1], 0
.LBB209_2127:
	s_andn2_b64 vcc, exec, s[0:1]
	s_cbranch_vccnz .LBB209_2129
; %bb.2128:
	s_waitcnt vmcnt(0)
	v_lshlrev_b32_e32 v3, 16, v2
	v_cvt_i32_f32_e32 v3, v3
	global_store_short v[0:1], v3, off
.LBB209_2129:
	s_mov_b64 s[0:1], 0
.LBB209_2130:
	s_andn2_b64 vcc, exec, s[0:1]
	s_cbranch_vccnz .LBB209_2135
; %bb.2131:
	s_sext_i32_i16 s0, s14
	s_cmp_gt_i32 s0, 0
	s_mov_b64 s[0:1], -1
	s_cbranch_scc0 .LBB209_2133
; %bb.2132:
	s_waitcnt vmcnt(0)
	v_lshlrev_b32_e32 v3, 16, v2
	v_cvt_i32_f32_e32 v3, v3
	s_mov_b64 s[0:1], 0
	global_store_byte v[0:1], v3, off
.LBB209_2133:
	s_andn2_b64 vcc, exec, s[0:1]
	s_cbranch_vccnz .LBB209_2135
; %bb.2134:
	v_lshlrev_b32_e32 v2, 16, v2
	v_trunc_f32_e32 v2, v2
	s_mov_b32 s0, 0x2f800000
	s_waitcnt vmcnt(0)
	v_mul_f32_e64 v3, |v2|, s0
	v_floor_f32_e32 v3, v3
	s_mov_b32 s0, 0xcf800000
	v_fma_f32 v3, v3, s0, |v2|
	v_cvt_u32_f32_e32 v3, v3
	v_ashrrev_i32_e32 v2, 31, v2
	v_xor_b32_e32 v3, v3, v2
	v_sub_u32_e32 v2, v3, v2
	global_store_byte v[0:1], v2, off
	s_endpgm
.LBB209_2135:
	s_endpgm
.LBB209_2136:
	s_mov_b64 s[4:5], 0
	s_mov_b64 s[0:1], -1
	s_branch .LBB209_2092
.LBB209_2137:
	s_trap 2
	s_or_b64 s[2:3], s[2:3], exec
	s_cbranch_execz .LBB209_1606
	s_branch .LBB209_1607
.LBB209_2138:
	s_andn2_saveexec_b64 s[12:13], s[12:13]
	s_cbranch_execz .LBB209_1686
.LBB209_2139:
	s_mov_b32 s17, 0x46000000
	v_add_f32_e64 v8, |v9|, s17
	v_and_b32_e32 v8, 0xff, v8
	v_cmp_ne_u32_e32 vcc, 0, v8
	s_andn2_b64 s[10:11], s[10:11], exec
	s_and_b64 s[18:19], vcc, exec
	s_or_b64 s[10:11], s[10:11], s[18:19]
	s_or_b64 exec, exec, s[12:13]
	v_mov_b32_e32 v11, 0
	s_and_saveexec_b64 s[12:13], s[10:11]
	s_cbranch_execnz .LBB209_1687
	s_branch .LBB209_1688
.LBB209_2140:
	s_trap 2
	s_or_b64 s[2:3], s[2:3], exec
	s_cbranch_execz .LBB209_1734
	s_branch .LBB209_1735
.LBB209_2141:
	s_andn2_saveexec_b64 s[10:11], s[10:11]
	s_cbranch_execz .LBB209_1699
.LBB209_2142:
	s_mov_b32 s12, 0x42800000
	v_add_f32_e64 v8, |v9|, s12
	v_and_b32_e32 v8, 0xff, v8
	v_cmp_ne_u32_e32 vcc, 0, v8
	s_andn2_b64 s[8:9], s[8:9], exec
	s_and_b64 s[12:13], vcc, exec
	s_or_b64 s[8:9], s[8:9], s[12:13]
	s_or_b64 exec, exec, s[10:11]
	v_mov_b32_e32 v11, 0
	s_and_saveexec_b64 s[10:11], s[8:9]
	s_cbranch_execnz .LBB209_1700
	s_branch .LBB209_1701
.LBB209_2143:
	s_andn2_saveexec_b64 s[12:13], s[12:13]
	s_cbranch_execz .LBB209_1805
.LBB209_2144:
	s_mov_b32 s16, 0x46000000
	v_add_f32_e64 v6, |v7|, s16
	v_and_b32_e32 v6, 0xff, v6
	v_cmp_ne_u32_e32 vcc, 0, v6
	s_andn2_b64 s[10:11], s[10:11], exec
	s_and_b64 s[16:17], vcc, exec
	s_or_b64 s[10:11], s[10:11], s[16:17]
	s_or_b64 exec, exec, s[12:13]
	v_mov_b32_e32 v8, 0
	s_and_saveexec_b64 s[12:13], s[10:11]
	s_cbranch_execnz .LBB209_1806
	s_branch .LBB209_1807
.LBB209_2145:
	s_trap 2
	s_or_b64 s[2:3], s[2:3], exec
	s_cbranch_execz .LBB209_1853
	s_branch .LBB209_1854
.LBB209_2146:
	s_andn2_saveexec_b64 s[10:11], s[10:11]
	s_cbranch_execz .LBB209_1818
.LBB209_2147:
	s_mov_b32 s12, 0x42800000
	v_add_f32_e64 v6, |v7|, s12
	v_and_b32_e32 v6, 0xff, v6
	v_cmp_ne_u32_e32 vcc, 0, v6
	s_andn2_b64 s[8:9], s[8:9], exec
	s_and_b64 s[12:13], vcc, exec
	s_or_b64 s[8:9], s[8:9], s[12:13]
	s_or_b64 exec, exec, s[10:11]
	v_mov_b32_e32 v8, 0
	s_and_saveexec_b64 s[10:11], s[8:9]
	s_cbranch_execnz .LBB209_1819
	s_branch .LBB209_1820
.LBB209_2148:
	s_andn2_saveexec_b64 s[12:13], s[12:13]
	s_cbranch_execz .LBB209_1924
.LBB209_2149:
	s_mov_b32 s16, 0x46000000
	v_add_f32_e64 v5, |v6|, s16
	v_and_b32_e32 v5, 0xff, v5
	v_cmp_ne_u32_e32 vcc, 0, v5
	s_andn2_b64 s[10:11], s[10:11], exec
	s_and_b64 s[16:17], vcc, exec
	s_or_b64 s[10:11], s[10:11], s[16:17]
	s_or_b64 exec, exec, s[12:13]
	v_mov_b32_e32 v7, 0
	s_and_saveexec_b64 s[12:13], s[10:11]
	s_cbranch_execnz .LBB209_1925
	s_branch .LBB209_1926
.LBB209_2150:
	s_trap 2
	s_or_b64 s[2:3], s[2:3], exec
	s_cbranch_execz .LBB209_1972
	s_branch .LBB209_1973
.LBB209_2151:
	s_andn2_saveexec_b64 s[10:11], s[10:11]
	s_cbranch_execz .LBB209_1937
.LBB209_2152:
	s_mov_b32 s12, 0x42800000
	v_add_f32_e64 v5, |v6|, s12
	v_and_b32_e32 v5, 0xff, v5
	v_cmp_ne_u32_e32 vcc, 0, v5
	s_andn2_b64 s[8:9], s[8:9], exec
	s_and_b64 s[12:13], vcc, exec
	s_or_b64 s[8:9], s[8:9], s[12:13]
	s_or_b64 exec, exec, s[10:11]
	v_mov_b32_e32 v7, 0
	s_and_saveexec_b64 s[10:11], s[8:9]
	s_cbranch_execnz .LBB209_1938
	s_branch .LBB209_1939
.LBB209_2153:
	s_andn2_saveexec_b64 s[10:11], s[10:11]
	s_cbranch_execz .LBB209_2044
.LBB209_2154:
	s_mov_b32 s13, 0x46000000
	v_add_f32_e64 v4, |v5|, s13
	v_and_b32_e32 v4, 0xff, v4
	v_cmp_ne_u32_e32 vcc, 0, v4
	s_andn2_b64 s[8:9], s[8:9], exec
	s_and_b64 s[16:17], vcc, exec
	s_or_b64 s[8:9], s[8:9], s[16:17]
	s_or_b64 exec, exec, s[10:11]
	v_mov_b32_e32 v6, 0
	s_and_saveexec_b64 s[10:11], s[8:9]
	s_cbranch_execnz .LBB209_2045
	s_branch .LBB209_2046
.LBB209_2155:
	s_mov_b64 s[4:5], 0
	s_or_b64 s[2:3], s[2:3], exec
	s_trap 2
	s_branch .LBB209_2090
.LBB209_2156:
	s_andn2_saveexec_b64 s[8:9], s[8:9]
	s_cbranch_execz .LBB209_2056
.LBB209_2157:
	s_mov_b32 s10, 0x42800000
	v_add_f32_e64 v4, |v5|, s10
	v_and_b32_e32 v4, 0xff, v4
	v_cmp_ne_u32_e32 vcc, 0, v4
	s_andn2_b64 s[6:7], s[6:7], exec
	s_and_b64 s[10:11], vcc, exec
	s_or_b64 s[6:7], s[6:7], s[10:11]
	s_or_b64 exec, exec, s[8:9]
	v_mov_b32_e32 v6, 0
	s_and_saveexec_b64 s[8:9], s[6:7]
	s_cbranch_execnz .LBB209_2057
	s_branch .LBB209_2058
	.section	.rodata,"a",@progbits
	.p2align	6, 0x0
	.amdhsa_kernel _ZN2at6native32elementwise_kernel_manual_unrollILi128ELi4EZNS0_15gpu_kernel_implIZZZNS0_17rsqrt_kernel_cudaERNS_18TensorIteratorBaseEENKUlvE0_clEvENKUlvE1_clEvEUlN3c108BFloat16EE_EEvS4_RKT_EUlibE0_EEviT1_
		.amdhsa_group_segment_fixed_size 0
		.amdhsa_private_segment_fixed_size 0
		.amdhsa_kernarg_size 360
		.amdhsa_user_sgpr_count 2
		.amdhsa_user_sgpr_dispatch_ptr 0
		.amdhsa_user_sgpr_queue_ptr 0
		.amdhsa_user_sgpr_kernarg_segment_ptr 1
		.amdhsa_user_sgpr_dispatch_id 0
		.amdhsa_user_sgpr_kernarg_preload_length 0
		.amdhsa_user_sgpr_kernarg_preload_offset 0
		.amdhsa_user_sgpr_private_segment_size 0
		.amdhsa_uses_dynamic_stack 0
		.amdhsa_enable_private_segment 0
		.amdhsa_system_sgpr_workgroup_id_x 1
		.amdhsa_system_sgpr_workgroup_id_y 0
		.amdhsa_system_sgpr_workgroup_id_z 0
		.amdhsa_system_sgpr_workgroup_info 0
		.amdhsa_system_vgpr_workitem_id 0
		.amdhsa_next_free_vgpr 18
		.amdhsa_next_free_sgpr 78
		.amdhsa_accum_offset 20
		.amdhsa_reserve_vcc 1
		.amdhsa_float_round_mode_32 0
		.amdhsa_float_round_mode_16_64 0
		.amdhsa_float_denorm_mode_32 3
		.amdhsa_float_denorm_mode_16_64 3
		.amdhsa_dx10_clamp 1
		.amdhsa_ieee_mode 1
		.amdhsa_fp16_overflow 0
		.amdhsa_tg_split 0
		.amdhsa_exception_fp_ieee_invalid_op 0
		.amdhsa_exception_fp_denorm_src 0
		.amdhsa_exception_fp_ieee_div_zero 0
		.amdhsa_exception_fp_ieee_overflow 0
		.amdhsa_exception_fp_ieee_underflow 0
		.amdhsa_exception_fp_ieee_inexact 0
		.amdhsa_exception_int_div_zero 0
	.end_amdhsa_kernel
	.section	.text._ZN2at6native32elementwise_kernel_manual_unrollILi128ELi4EZNS0_15gpu_kernel_implIZZZNS0_17rsqrt_kernel_cudaERNS_18TensorIteratorBaseEENKUlvE0_clEvENKUlvE1_clEvEUlN3c108BFloat16EE_EEvS4_RKT_EUlibE0_EEviT1_,"axG",@progbits,_ZN2at6native32elementwise_kernel_manual_unrollILi128ELi4EZNS0_15gpu_kernel_implIZZZNS0_17rsqrt_kernel_cudaERNS_18TensorIteratorBaseEENKUlvE0_clEvENKUlvE1_clEvEUlN3c108BFloat16EE_EEvS4_RKT_EUlibE0_EEviT1_,comdat
.Lfunc_end209:
	.size	_ZN2at6native32elementwise_kernel_manual_unrollILi128ELi4EZNS0_15gpu_kernel_implIZZZNS0_17rsqrt_kernel_cudaERNS_18TensorIteratorBaseEENKUlvE0_clEvENKUlvE1_clEvEUlN3c108BFloat16EE_EEvS4_RKT_EUlibE0_EEviT1_, .Lfunc_end209-_ZN2at6native32elementwise_kernel_manual_unrollILi128ELi4EZNS0_15gpu_kernel_implIZZZNS0_17rsqrt_kernel_cudaERNS_18TensorIteratorBaseEENKUlvE0_clEvENKUlvE1_clEvEUlN3c108BFloat16EE_EEvS4_RKT_EUlibE0_EEviT1_
                                        ; -- End function
	.set _ZN2at6native32elementwise_kernel_manual_unrollILi128ELi4EZNS0_15gpu_kernel_implIZZZNS0_17rsqrt_kernel_cudaERNS_18TensorIteratorBaseEENKUlvE0_clEvENKUlvE1_clEvEUlN3c108BFloat16EE_EEvS4_RKT_EUlibE0_EEviT1_.num_vgpr, 18
	.set _ZN2at6native32elementwise_kernel_manual_unrollILi128ELi4EZNS0_15gpu_kernel_implIZZZNS0_17rsqrt_kernel_cudaERNS_18TensorIteratorBaseEENKUlvE0_clEvENKUlvE1_clEvEUlN3c108BFloat16EE_EEvS4_RKT_EUlibE0_EEviT1_.num_agpr, 0
	.set _ZN2at6native32elementwise_kernel_manual_unrollILi128ELi4EZNS0_15gpu_kernel_implIZZZNS0_17rsqrt_kernel_cudaERNS_18TensorIteratorBaseEENKUlvE0_clEvENKUlvE1_clEvEUlN3c108BFloat16EE_EEvS4_RKT_EUlibE0_EEviT1_.numbered_sgpr, 78
	.set _ZN2at6native32elementwise_kernel_manual_unrollILi128ELi4EZNS0_15gpu_kernel_implIZZZNS0_17rsqrt_kernel_cudaERNS_18TensorIteratorBaseEENKUlvE0_clEvENKUlvE1_clEvEUlN3c108BFloat16EE_EEvS4_RKT_EUlibE0_EEviT1_.num_named_barrier, 0
	.set _ZN2at6native32elementwise_kernel_manual_unrollILi128ELi4EZNS0_15gpu_kernel_implIZZZNS0_17rsqrt_kernel_cudaERNS_18TensorIteratorBaseEENKUlvE0_clEvENKUlvE1_clEvEUlN3c108BFloat16EE_EEvS4_RKT_EUlibE0_EEviT1_.private_seg_size, 0
	.set _ZN2at6native32elementwise_kernel_manual_unrollILi128ELi4EZNS0_15gpu_kernel_implIZZZNS0_17rsqrt_kernel_cudaERNS_18TensorIteratorBaseEENKUlvE0_clEvENKUlvE1_clEvEUlN3c108BFloat16EE_EEvS4_RKT_EUlibE0_EEviT1_.uses_vcc, 1
	.set _ZN2at6native32elementwise_kernel_manual_unrollILi128ELi4EZNS0_15gpu_kernel_implIZZZNS0_17rsqrt_kernel_cudaERNS_18TensorIteratorBaseEENKUlvE0_clEvENKUlvE1_clEvEUlN3c108BFloat16EE_EEvS4_RKT_EUlibE0_EEviT1_.uses_flat_scratch, 0
	.set _ZN2at6native32elementwise_kernel_manual_unrollILi128ELi4EZNS0_15gpu_kernel_implIZZZNS0_17rsqrt_kernel_cudaERNS_18TensorIteratorBaseEENKUlvE0_clEvENKUlvE1_clEvEUlN3c108BFloat16EE_EEvS4_RKT_EUlibE0_EEviT1_.has_dyn_sized_stack, 0
	.set _ZN2at6native32elementwise_kernel_manual_unrollILi128ELi4EZNS0_15gpu_kernel_implIZZZNS0_17rsqrt_kernel_cudaERNS_18TensorIteratorBaseEENKUlvE0_clEvENKUlvE1_clEvEUlN3c108BFloat16EE_EEvS4_RKT_EUlibE0_EEviT1_.has_recursion, 0
	.set _ZN2at6native32elementwise_kernel_manual_unrollILi128ELi4EZNS0_15gpu_kernel_implIZZZNS0_17rsqrt_kernel_cudaERNS_18TensorIteratorBaseEENKUlvE0_clEvENKUlvE1_clEvEUlN3c108BFloat16EE_EEvS4_RKT_EUlibE0_EEviT1_.has_indirect_call, 0
	.section	.AMDGPU.csdata,"",@progbits
; Kernel info:
; codeLenInByte = 44640
; TotalNumSgprs: 84
; NumVgprs: 18
; NumAgprs: 0
; TotalNumVgprs: 18
; ScratchSize: 0
; MemoryBound: 0
; FloatMode: 240
; IeeeMode: 1
; LDSByteSize: 0 bytes/workgroup (compile time only)
; SGPRBlocks: 10
; VGPRBlocks: 2
; NumSGPRsForWavesPerEU: 84
; NumVGPRsForWavesPerEU: 18
; AccumOffset: 20
; Occupancy: 8
; WaveLimiterHint : 1
; COMPUTE_PGM_RSRC2:SCRATCH_EN: 0
; COMPUTE_PGM_RSRC2:USER_SGPR: 2
; COMPUTE_PGM_RSRC2:TRAP_HANDLER: 0
; COMPUTE_PGM_RSRC2:TGID_X_EN: 1
; COMPUTE_PGM_RSRC2:TGID_Y_EN: 0
; COMPUTE_PGM_RSRC2:TGID_Z_EN: 0
; COMPUTE_PGM_RSRC2:TIDIG_COMP_CNT: 0
; COMPUTE_PGM_RSRC3_GFX90A:ACCUM_OFFSET: 4
; COMPUTE_PGM_RSRC3_GFX90A:TG_SPLIT: 0
	.section	.text._ZN2at6native29vectorized_elementwise_kernelILi16EZZZNS0_17rsqrt_kernel_cudaERNS_18TensorIteratorBaseEENKUlvE0_clEvENKUlvE2_clEvEUlN3c104HalfEE_St5arrayIPcLm2EEEEviT0_T1_,"axG",@progbits,_ZN2at6native29vectorized_elementwise_kernelILi16EZZZNS0_17rsqrt_kernel_cudaERNS_18TensorIteratorBaseEENKUlvE0_clEvENKUlvE2_clEvEUlN3c104HalfEE_St5arrayIPcLm2EEEEviT0_T1_,comdat
	.globl	_ZN2at6native29vectorized_elementwise_kernelILi16EZZZNS0_17rsqrt_kernel_cudaERNS_18TensorIteratorBaseEENKUlvE0_clEvENKUlvE2_clEvEUlN3c104HalfEE_St5arrayIPcLm2EEEEviT0_T1_ ; -- Begin function _ZN2at6native29vectorized_elementwise_kernelILi16EZZZNS0_17rsqrt_kernel_cudaERNS_18TensorIteratorBaseEENKUlvE0_clEvENKUlvE2_clEvEUlN3c104HalfEE_St5arrayIPcLm2EEEEviT0_T1_
	.p2align	8
	.type	_ZN2at6native29vectorized_elementwise_kernelILi16EZZZNS0_17rsqrt_kernel_cudaERNS_18TensorIteratorBaseEENKUlvE0_clEvENKUlvE2_clEvEUlN3c104HalfEE_St5arrayIPcLm2EEEEviT0_T1_,@function
_ZN2at6native29vectorized_elementwise_kernelILi16EZZZNS0_17rsqrt_kernel_cudaERNS_18TensorIteratorBaseEENKUlvE0_clEvENKUlvE2_clEvEUlN3c104HalfEE_St5arrayIPcLm2EEEEviT0_T1_: ; @_ZN2at6native29vectorized_elementwise_kernelILi16EZZZNS0_17rsqrt_kernel_cudaERNS_18TensorIteratorBaseEENKUlvE0_clEvENKUlvE2_clEvEUlN3c104HalfEE_St5arrayIPcLm2EEEEviT0_T1_
; %bb.0:
	s_load_dword s3, s[0:1], 0x0
	s_load_dwordx4 s[4:7], s[0:1], 0x8
	s_lshl_b32 s2, s2, 11
	s_mov_b64 s[0:1], -1
	s_waitcnt lgkmcnt(0)
	s_sub_i32 s10, s3, s2
	s_cmpk_gt_i32 s10, 0x7ff
	s_cbranch_scc0 .LBB210_2
; %bb.1:
	s_ashr_i32 s3, s2, 31
	s_lshl_b64 s[0:1], s[2:3], 1
	s_add_u32 s8, s6, s0
	s_addc_u32 s9, s7, s1
	v_lshlrev_b32_e32 v1, 4, v0
	global_load_dwordx4 v[2:5], v1, s[8:9]
	s_mov_b32 s8, 0
	s_mov_b32 s9, 0x3fd80000
	v_mov_b32_e32 v24, 0x180
	s_movk_i32 s3, 0x1ff
	s_movk_i32 s11, 0xffe
	v_mov_b32_e32 v25, 0x7c00
	v_mov_b32_e32 v26, 0x7e00
	s_movk_i32 s12, 0x40f
	s_mov_b32 s13, 0x8000
	s_add_u32 s0, s4, s0
	s_addc_u32 s1, s5, s1
	s_waitcnt vmcnt(0)
	v_cvt_f32_f16_e32 v6, v2
	v_cvt_f32_f16_sdwa v2, v2 dst_sel:DWORD dst_unused:UNUSED_PAD src0_sel:WORD_1
	v_cvt_f32_f16_e32 v10, v3
	v_cvt_f32_f16_sdwa v3, v3 dst_sel:DWORD dst_unused:UNUSED_PAD src0_sel:WORD_1
	v_cvt_f64_f32_e32 v[6:7], v6
	v_cvt_f64_f32_e32 v[8:9], v2
	v_rsq_f64_e32 v[12:13], v[6:7]
	v_rsq_f64_e32 v[14:15], v[8:9]
	v_cvt_f64_f32_e32 v[10:11], v10
	v_rsq_f64_e32 v[16:17], v[10:11]
	v_mul_f64 v[6:7], v[12:13], -v[6:7]
	v_mul_f64 v[8:9], v[14:15], -v[8:9]
	v_fma_f64 v[6:7], v[6:7], v[12:13], 1.0
	v_fma_f64 v[8:9], v[8:9], v[14:15], 1.0
	v_mul_f64 v[18:19], v[12:13], v[6:7]
	v_fma_f64 v[6:7], v[6:7], s[8:9], 0.5
	v_mul_f64 v[20:21], v[14:15], v[8:9]
	v_fma_f64 v[8:9], v[8:9], s[8:9], 0.5
	v_fma_f64 v[6:7], v[18:19], v[6:7], v[12:13]
	v_cmp_class_f64_e32 vcc, v[12:13], v24
	v_fma_f64 v[8:9], v[20:21], v[8:9], v[14:15]
	v_mul_f64 v[10:11], v[16:17], -v[10:11]
	v_cndmask_b32_e32 v2, v12, v6, vcc
	v_cndmask_b32_e32 v6, v13, v7, vcc
	v_cmp_class_f64_e32 vcc, v[14:15], v24
	v_and_or_b32 v2, v6, s3, v2
	v_bfe_u32 v12, v6, 20, 11
	v_cndmask_b32_e32 v7, v14, v8, vcc
	v_cndmask_b32_e32 v8, v15, v9, vcc
	v_and_or_b32 v7, v8, s3, v7
	v_cmp_ne_u32_e32 vcc, 0, v2
	v_lshrrev_b32_e32 v9, 8, v6
	v_lshrrev_b32_e32 v13, 8, v8
	v_cndmask_b32_e64 v2, 0, 1, vcc
	v_cmp_ne_u32_e32 vcc, 0, v7
	v_bfe_u32 v14, v8, 20, 11
	v_sub_u32_e32 v15, 0x3f1, v12
	v_cndmask_b32_e64 v7, 0, 1, vcc
	v_and_or_b32 v2, v9, s11, v2
	v_fma_f64 v[10:11], v[10:11], v[16:17], 1.0
	v_sub_u32_e32 v18, 0x3f1, v14
	v_med3_i32 v9, v15, 0, 13
	v_and_or_b32 v7, v13, s11, v7
	v_or_b32_e32 v15, 0x1000, v2
	v_mul_f64 v[22:23], v[16:17], v[10:11]
	v_fma_f64 v[10:11], v[10:11], s[8:9], 0.5
	v_add_u32_e32 v12, 0xfffffc10, v12
	v_med3_i32 v13, v18, 0, 13
	v_cmp_ne_u32_e32 vcc, 0, v2
	v_or_b32_e32 v19, 0x1000, v7
	v_lshrrev_b32_e32 v21, v9, v15
	v_fma_f64 v[10:11], v[22:23], v[10:11], v[16:17]
	v_add_u32_e32 v14, 0xfffffc10, v14
	v_lshl_or_b32 v18, v12, 12, v2
	v_cndmask_b32_e32 v2, v25, v26, vcc
	v_cmp_ne_u32_e32 vcc, 0, v7
	v_lshrrev_b32_e32 v22, v13, v19
	v_lshlrev_b32_e32 v9, v9, v21
	v_lshl_or_b32 v20, v14, 12, v7
	v_cndmask_b32_e32 v7, v25, v26, vcc
	v_lshlrev_b32_e32 v13, v13, v22
	v_cmp_ne_u32_e32 vcc, v9, v15
	v_lshrrev_b32_e32 v6, 16, v6
	v_lshrrev_b32_e32 v8, 16, v8
	v_cndmask_b32_e64 v9, 0, 1, vcc
	v_cmp_ne_u32_e32 vcc, v13, v19
	v_or_b32_e32 v9, v21, v9
	s_nop 0
	v_cndmask_b32_e64 v13, 0, 1, vcc
	v_cmp_gt_i32_e32 vcc, 1, v12
	v_or_b32_e32 v13, v22, v13
	s_nop 0
	v_cndmask_b32_e32 v9, v18, v9, vcc
	v_cmp_gt_i32_e32 vcc, 1, v14
	v_and_b32_e32 v15, 7, v9
	v_lshrrev_b32_e32 v9, 2, v9
	v_cndmask_b32_e32 v13, v20, v13, vcc
	v_cmp_lt_i32_e32 vcc, 5, v15
	v_and_b32_e32 v18, 7, v13
	v_lshrrev_b32_e32 v13, 2, v13
	v_cndmask_b32_e64 v19, 0, 1, vcc
	v_cmp_eq_u32_e32 vcc, 3, v15
	s_nop 1
	v_cndmask_b32_e64 v15, 0, 1, vcc
	v_cmp_lt_i32_e32 vcc, 5, v18
	v_or_b32_e32 v15, v15, v19
	v_add_u32_e32 v9, v9, v15
	v_cndmask_b32_e64 v20, 0, 1, vcc
	v_cmp_eq_u32_e32 vcc, 3, v18
	s_nop 1
	v_cndmask_b32_e64 v18, 0, 1, vcc
	v_or_b32_e32 v18, v18, v20
	v_cmp_gt_i32_e32 vcc, 31, v12
	v_add_u32_e32 v13, v13, v18
	s_nop 0
	v_cndmask_b32_e32 v9, v25, v9, vcc
	v_cmp_gt_i32_e32 vcc, 31, v14
	s_nop 1
	v_cndmask_b32_e32 v13, v25, v13, vcc
	v_cmp_eq_u32_e32 vcc, s12, v12
	s_nop 1
	v_cndmask_b32_e32 v2, v9, v2, vcc
	v_cmp_eq_u32_e32 vcc, s12, v14
	v_and_or_b32 v12, v6, s13, v2
	s_nop 0
	v_cndmask_b32_e32 v7, v13, v7, vcc
	v_cmp_class_f64_e32 vcc, v[16:17], v24
	v_and_or_b32 v13, v8, s13, v7
	s_nop 0
	v_cndmask_b32_e32 v2, v16, v10, vcc
	v_cndmask_b32_e32 v8, v17, v11, vcc
	v_and_or_b32 v2, v8, s3, v2
	v_cmp_ne_u32_e32 vcc, 0, v2
	v_lshrrev_b32_e32 v6, 8, v8
	v_bfe_u32 v7, v8, 20, 11
	v_cndmask_b32_e64 v2, 0, 1, vcc
	v_and_or_b32 v2, v6, s11, v2
	v_sub_u32_e32 v9, 0x3f1, v7
	v_or_b32_e32 v6, 0x1000, v2
	v_med3_i32 v9, v9, 0, 13
	v_lshrrev_b32_e32 v10, v9, v6
	v_lshlrev_b32_e32 v9, v9, v10
	v_cmp_ne_u32_e32 vcc, v9, v6
	v_add_u32_e32 v9, 0xfffffc10, v7
	v_lshl_or_b32 v7, v9, 12, v2
	v_cndmask_b32_e64 v6, 0, 1, vcc
	v_or_b32_e32 v6, v10, v6
	v_cmp_gt_i32_e32 vcc, 1, v9
	v_lshrrev_b32_e32 v8, 16, v8
	s_nop 0
	v_cndmask_b32_e32 v6, v7, v6, vcc
	v_and_b32_e32 v7, 7, v6
	v_cmp_lt_i32_e32 vcc, 5, v7
	v_lshrrev_b32_e32 v6, 2, v6
	s_nop 0
	v_cndmask_b32_e64 v10, 0, 1, vcc
	v_cmp_eq_u32_e32 vcc, 3, v7
	s_nop 1
	v_cndmask_b32_e64 v7, 0, 1, vcc
	v_or_b32_e32 v7, v7, v10
	v_add_u32_e32 v6, v6, v7
	v_cmp_gt_i32_e32 vcc, 31, v9
	s_nop 1
	v_cndmask_b32_e32 v10, v25, v6, vcc
	v_cmp_ne_u32_e32 vcc, 0, v2
	v_cvt_f64_f32_e32 v[2:3], v3
	v_rsq_f64_e32 v[6:7], v[2:3]
	v_cndmask_b32_e32 v11, v25, v26, vcc
	v_cmp_eq_u32_e32 vcc, s12, v9
	v_mul_f64 v[2:3], v[6:7], -v[2:3]
	s_nop 0
	v_cndmask_b32_e32 v9, v10, v11, vcc
	v_fma_f64 v[2:3], v[2:3], v[6:7], 1.0
	v_and_or_b32 v10, v8, s13, v9
	v_mul_f64 v[8:9], v[6:7], v[2:3]
	v_fma_f64 v[2:3], v[2:3], s[8:9], 0.5
	v_fma_f64 v[2:3], v[8:9], v[2:3], v[6:7]
	v_cmp_class_f64_e32 vcc, v[6:7], v24
	s_nop 1
	v_cndmask_b32_e32 v2, v6, v2, vcc
	v_cndmask_b32_e32 v8, v7, v3, vcc
	v_and_or_b32 v2, v8, s3, v2
	v_cmp_ne_u32_e32 vcc, 0, v2
	v_lshrrev_b32_e32 v3, 8, v8
	v_bfe_u32 v6, v8, 20, 11
	v_cndmask_b32_e64 v2, 0, 1, vcc
	v_and_or_b32 v2, v3, s11, v2
	v_sub_u32_e32 v7, 0x3f1, v6
	v_or_b32_e32 v3, 0x1000, v2
	v_med3_i32 v7, v7, 0, 13
	v_lshrrev_b32_e32 v9, v7, v3
	v_lshlrev_b32_e32 v7, v7, v9
	v_cmp_ne_u32_e32 vcc, v7, v3
	v_lshrrev_b32_e32 v8, 16, v8
	s_nop 0
	v_cndmask_b32_e64 v3, 0, 1, vcc
	v_or_b32_e32 v3, v9, v3
	v_add_u32_e32 v9, 0xfffffc10, v6
	v_lshl_or_b32 v6, v9, 12, v2
	v_cmp_gt_i32_e32 vcc, 1, v9
	s_nop 1
	v_cndmask_b32_e32 v3, v6, v3, vcc
	v_and_b32_e32 v6, 7, v3
	v_cmp_lt_i32_e32 vcc, 5, v6
	v_lshrrev_b32_e32 v3, 2, v3
	s_nop 0
	v_cndmask_b32_e64 v7, 0, 1, vcc
	v_cmp_eq_u32_e32 vcc, 3, v6
	s_nop 1
	v_cndmask_b32_e64 v6, 0, 1, vcc
	v_or_b32_e32 v6, v6, v7
	v_add_u32_e32 v3, v3, v6
	v_cvt_f32_f16_e32 v6, v4
	v_cmp_gt_i32_e32 vcc, 31, v9
	v_cvt_f32_f16_sdwa v4, v4 dst_sel:DWORD dst_unused:UNUSED_PAD src0_sel:WORD_1
	s_nop 0
	v_cndmask_b32_e32 v11, v25, v3, vcc
	v_cmp_ne_u32_e32 vcc, 0, v2
	v_cvt_f64_f32_e32 v[2:3], v6
	v_rsq_f64_e32 v[6:7], v[2:3]
	v_cndmask_b32_e32 v14, v25, v26, vcc
	v_cmp_eq_u32_e32 vcc, s12, v9
	v_mul_f64 v[2:3], v[6:7], -v[2:3]
	s_nop 0
	v_cndmask_b32_e32 v9, v11, v14, vcc
	v_fma_f64 v[2:3], v[2:3], v[6:7], 1.0
	v_and_or_b32 v11, v8, s13, v9
	v_mul_f64 v[8:9], v[6:7], v[2:3]
	v_fma_f64 v[2:3], v[2:3], s[8:9], 0.5
	v_fma_f64 v[2:3], v[8:9], v[2:3], v[6:7]
	v_cmp_class_f64_e32 vcc, v[6:7], v24
	s_nop 1
	v_cndmask_b32_e32 v2, v6, v2, vcc
	v_cndmask_b32_e32 v8, v7, v3, vcc
	v_and_or_b32 v2, v8, s3, v2
	v_cmp_ne_u32_e32 vcc, 0, v2
	v_lshrrev_b32_e32 v3, 8, v8
	v_bfe_u32 v6, v8, 20, 11
	v_cndmask_b32_e64 v2, 0, 1, vcc
	v_and_or_b32 v2, v3, s11, v2
	v_sub_u32_e32 v7, 0x3f1, v6
	v_or_b32_e32 v3, 0x1000, v2
	v_med3_i32 v7, v7, 0, 13
	v_lshrrev_b32_e32 v9, v7, v3
	v_lshlrev_b32_e32 v7, v7, v9
	v_cmp_ne_u32_e32 vcc, v7, v3
	v_lshrrev_b32_e32 v8, 16, v8
	s_nop 0
	v_cndmask_b32_e64 v3, 0, 1, vcc
	v_or_b32_e32 v3, v9, v3
	v_add_u32_e32 v9, 0xfffffc10, v6
	v_lshl_or_b32 v6, v9, 12, v2
	v_cmp_gt_i32_e32 vcc, 1, v9
	s_nop 1
	v_cndmask_b32_e32 v3, v6, v3, vcc
	v_and_b32_e32 v6, 7, v3
	v_cmp_lt_i32_e32 vcc, 5, v6
	v_lshrrev_b32_e32 v3, 2, v3
	s_nop 0
	v_cndmask_b32_e64 v7, 0, 1, vcc
	v_cmp_eq_u32_e32 vcc, 3, v6
	s_nop 1
	v_cndmask_b32_e64 v6, 0, 1, vcc
	v_or_b32_e32 v6, v6, v7
	v_add_u32_e32 v3, v3, v6
	v_cmp_gt_i32_e32 vcc, 31, v9
	s_nop 1
	v_cndmask_b32_e32 v14, v25, v3, vcc
	v_cmp_ne_u32_e32 vcc, 0, v2
	v_cvt_f64_f32_e32 v[2:3], v4
	v_rsq_f64_e32 v[6:7], v[2:3]
	v_cndmask_b32_e32 v15, v25, v26, vcc
	v_cmp_eq_u32_e32 vcc, s12, v9
	v_mul_f64 v[2:3], v[6:7], -v[2:3]
	s_nop 0
	v_cndmask_b32_e32 v4, v14, v15, vcc
	v_fma_f64 v[2:3], v[2:3], v[6:7], 1.0
	v_and_or_b32 v14, v8, s13, v4
	v_mul_f64 v[8:9], v[6:7], v[2:3]
	v_fma_f64 v[2:3], v[2:3], s[8:9], 0.5
	v_fma_f64 v[2:3], v[8:9], v[2:3], v[6:7]
	v_cmp_class_f64_e32 vcc, v[6:7], v24
	s_nop 1
	v_cndmask_b32_e32 v2, v6, v2, vcc
	v_cndmask_b32_e32 v4, v7, v3, vcc
	v_and_or_b32 v2, v4, s3, v2
	v_cmp_ne_u32_e32 vcc, 0, v2
	v_lshrrev_b32_e32 v3, 8, v4
	v_bfe_u32 v6, v4, 20, 11
	v_cndmask_b32_e64 v2, 0, 1, vcc
	v_and_or_b32 v2, v3, s11, v2
	v_sub_u32_e32 v7, 0x3f1, v6
	v_or_b32_e32 v3, 0x1000, v2
	v_med3_i32 v7, v7, 0, 13
	v_lshrrev_b32_e32 v8, v7, v3
	v_lshlrev_b32_e32 v7, v7, v8
	v_cmp_ne_u32_e32 vcc, v7, v3
	v_lshrrev_b32_e32 v4, 16, v4
	s_nop 0
	v_cndmask_b32_e64 v3, 0, 1, vcc
	v_or_b32_e32 v3, v8, v3
	v_add_u32_e32 v8, 0xfffffc10, v6
	v_lshl_or_b32 v6, v8, 12, v2
	v_cmp_gt_i32_e32 vcc, 1, v8
	s_nop 1
	v_cndmask_b32_e32 v3, v6, v3, vcc
	v_and_b32_e32 v6, 7, v3
	v_cmp_lt_i32_e32 vcc, 5, v6
	v_lshrrev_b32_e32 v3, 2, v3
	s_nop 0
	v_cndmask_b32_e64 v7, 0, 1, vcc
	v_cmp_eq_u32_e32 vcc, 3, v6
	s_nop 1
	v_cndmask_b32_e64 v6, 0, 1, vcc
	v_or_b32_e32 v6, v6, v7
	v_add_u32_e32 v3, v3, v6
	v_cvt_f32_f16_e32 v6, v5
	v_cmp_gt_i32_e32 vcc, 31, v8
	s_nop 1
	v_cndmask_b32_e32 v9, v25, v3, vcc
	v_cmp_ne_u32_e32 vcc, 0, v2
	v_cvt_f64_f32_e32 v[2:3], v6
	v_rsq_f64_e32 v[6:7], v[2:3]
	v_cndmask_b32_e32 v15, v25, v26, vcc
	v_cmp_eq_u32_e32 vcc, s12, v8
	v_mul_f64 v[2:3], v[6:7], -v[2:3]
	s_nop 0
	v_cndmask_b32_e32 v8, v9, v15, vcc
	v_fma_f64 v[2:3], v[2:3], v[6:7], 1.0
	v_and_or_b32 v15, v4, s13, v8
	v_mul_f64 v[8:9], v[6:7], v[2:3]
	v_fma_f64 v[2:3], v[2:3], s[8:9], 0.5
	v_fma_f64 v[2:3], v[8:9], v[2:3], v[6:7]
	v_cmp_class_f64_e32 vcc, v[6:7], v24
	s_nop 1
	v_cndmask_b32_e32 v2, v6, v2, vcc
	v_cndmask_b32_e32 v6, v7, v3, vcc
	v_and_or_b32 v2, v6, s3, v2
	v_cmp_ne_u32_e32 vcc, 0, v2
	v_lshrrev_b32_e32 v3, 8, v6
	v_bfe_u32 v4, v6, 20, 11
	v_cndmask_b32_e64 v2, 0, 1, vcc
	v_and_or_b32 v2, v3, s11, v2
	v_sub_u32_e32 v7, 0x3f1, v4
	v_or_b32_e32 v3, 0x1000, v2
	v_med3_i32 v7, v7, 0, 13
	v_lshrrev_b32_e32 v8, v7, v3
	v_lshlrev_b32_e32 v7, v7, v8
	v_cmp_ne_u32_e32 vcc, v7, v3
	v_add_u32_e32 v7, 0xfffffc10, v4
	v_lshl_or_b32 v4, v7, 12, v2
	v_cndmask_b32_e64 v3, 0, 1, vcc
	v_or_b32_e32 v3, v8, v3
	v_cmp_gt_i32_e32 vcc, 1, v7
	v_lshrrev_b32_e32 v6, 16, v6
	s_nop 0
	v_cndmask_b32_e32 v3, v4, v3, vcc
	v_and_b32_e32 v4, 7, v3
	v_cmp_lt_i32_e32 vcc, 5, v4
	v_lshrrev_b32_e32 v3, 2, v3
	s_nop 0
	v_cndmask_b32_e64 v8, 0, 1, vcc
	v_cmp_eq_u32_e32 vcc, 3, v4
	s_nop 1
	v_cndmask_b32_e64 v4, 0, 1, vcc
	v_or_b32_e32 v4, v4, v8
	v_add_u32_e32 v3, v3, v4
	v_cvt_f32_f16_sdwa v4, v5 dst_sel:DWORD dst_unused:UNUSED_PAD src0_sel:WORD_1
	v_cmp_gt_i32_e32 vcc, 31, v7
	s_nop 1
	v_cndmask_b32_e32 v8, v25, v3, vcc
	v_cmp_ne_u32_e32 vcc, 0, v2
	v_cvt_f64_f32_e32 v[2:3], v4
	v_rsq_f64_e32 v[4:5], v[2:3]
	v_cndmask_b32_e32 v9, v25, v26, vcc
	v_cmp_eq_u32_e32 vcc, s12, v7
	v_mul_f64 v[2:3], v[4:5], -v[2:3]
	s_nop 0
	v_cndmask_b32_e32 v7, v8, v9, vcc
	v_fma_f64 v[2:3], v[2:3], v[4:5], 1.0
	v_and_or_b32 v8, v6, s13, v7
	v_mul_f64 v[6:7], v[4:5], v[2:3]
	v_fma_f64 v[2:3], v[2:3], s[8:9], 0.5
	v_fma_f64 v[2:3], v[6:7], v[2:3], v[4:5]
	v_cmp_class_f64_e32 vcc, v[4:5], v24
	s_nop 1
	v_cndmask_b32_e32 v2, v4, v2, vcc
	v_cndmask_b32_e32 v3, v5, v3, vcc
	v_and_or_b32 v2, v3, s3, v2
	v_cmp_ne_u32_e32 vcc, 0, v2
	v_lshrrev_b32_e32 v4, 8, v3
	v_bfe_u32 v5, v3, 20, 11
	v_cndmask_b32_e64 v2, 0, 1, vcc
	v_and_or_b32 v2, v4, s11, v2
	v_sub_u32_e32 v6, 0x3f1, v5
	v_or_b32_e32 v4, 0x1000, v2
	v_med3_i32 v6, v6, 0, 13
	v_lshrrev_b32_e32 v7, v6, v4
	v_lshlrev_b32_e32 v6, v6, v7
	v_cmp_ne_u32_e32 vcc, v6, v4
	v_add_u32_e32 v5, 0xfffffc10, v5
	v_lshl_or_b32 v6, v5, 12, v2
	v_cndmask_b32_e64 v4, 0, 1, vcc
	v_or_b32_e32 v4, v7, v4
	v_cmp_gt_i32_e32 vcc, 1, v5
	v_lshrrev_b32_e32 v3, 16, v3
	s_mov_b32 s3, 0x5040100
	v_cndmask_b32_e32 v4, v6, v4, vcc
	v_and_b32_e32 v6, 7, v4
	v_cmp_lt_i32_e32 vcc, 5, v6
	v_lshrrev_b32_e32 v4, 2, v4
	s_nop 0
	v_cndmask_b32_e64 v7, 0, 1, vcc
	v_cmp_eq_u32_e32 vcc, 3, v6
	s_nop 1
	v_cndmask_b32_e64 v6, 0, 1, vcc
	v_or_b32_e32 v6, v6, v7
	v_add_u32_e32 v4, v4, v6
	v_cmp_gt_i32_e32 vcc, 31, v5
	s_nop 1
	v_cndmask_b32_e32 v4, v25, v4, vcc
	v_cmp_ne_u32_e32 vcc, 0, v2
	s_nop 1
	v_cndmask_b32_e32 v2, v25, v26, vcc
	v_cmp_eq_u32_e32 vcc, s12, v5
	s_nop 1
	v_cndmask_b32_e32 v2, v4, v2, vcc
	v_and_or_b32 v2, v3, s13, v2
	v_perm_b32 v5, v2, v8, s3
	v_perm_b32 v4, v15, v14, s3
	;; [unrolled: 1-line block ×4, first 2 shown]
	global_store_dwordx4 v1, v[2:5], s[0:1]
	s_mov_b64 s[0:1], 0
.LBB210_2:
	s_andn2_b64 vcc, exec, s[0:1]
	s_cbranch_vccnz .LBB210_41
; %bb.3:
	v_cmp_gt_i32_e32 vcc, s10, v0
	v_mov_b64_e32 v[16:17], 0
	v_or_b32_e32 v2, s2, v0
	v_mov_b64_e32 v[18:19], 0
	v_mov_b32_e32 v1, v0
	s_and_saveexec_b64 s[0:1], vcc
	s_cbranch_execz .LBB210_5
; %bb.4:
	v_mov_b32_e32 v3, 0
	v_lshl_add_u64 v[4:5], v[2:3], 1, s[6:7]
	global_load_ushort v1, v[4:5], off
	s_waitcnt vmcnt(0)
	v_cvt_f32_f16_e32 v3, v1
	v_or_b32_e32 v1, 0x100, v0
	v_cvt_f64_f32_e32 v[18:19], v3
.LBB210_5:
	s_or_b64 exec, exec, s[0:1]
	v_cmp_gt_i32_e64 s[0:1], s10, v1
	s_and_saveexec_b64 s[8:9], s[0:1]
	s_cbranch_execz .LBB210_7
; %bb.6:
	v_add_u32_e32 v4, s2, v1
	v_mov_b32_e32 v5, 0
	v_lshl_add_u64 v[4:5], v[4:5], 1, s[6:7]
	global_load_ushort v3, v[4:5], off
	v_add_u32_e32 v1, 0x100, v1
	s_waitcnt vmcnt(0)
	v_cvt_f32_f16_e32 v3, v3
	v_cvt_f64_f32_e32 v[16:17], v3
.LBB210_7:
	s_or_b64 exec, exec, s[8:9]
	v_cmp_gt_i32_e64 s[0:1], s10, v1
	v_mov_b64_e32 v[12:13], 0
	v_mov_b64_e32 v[14:15], 0
	s_and_saveexec_b64 s[8:9], s[0:1]
	s_cbranch_execz .LBB210_9
; %bb.8:
	v_add_u32_e32 v4, s2, v1
	v_mov_b32_e32 v5, 0
	v_lshl_add_u64 v[4:5], v[4:5], 1, s[6:7]
	global_load_ushort v3, v[4:5], off
	v_add_u32_e32 v1, 0x100, v1
	s_waitcnt vmcnt(0)
	v_cvt_f32_f16_e32 v3, v3
	v_cvt_f64_f32_e32 v[14:15], v3
.LBB210_9:
	s_or_b64 exec, exec, s[8:9]
	v_cmp_gt_i32_e64 s[0:1], s10, v1
	s_and_saveexec_b64 s[8:9], s[0:1]
	s_cbranch_execz .LBB210_11
; %bb.10:
	v_add_u32_e32 v4, s2, v1
	v_mov_b32_e32 v5, 0
	v_lshl_add_u64 v[4:5], v[4:5], 1, s[6:7]
	global_load_ushort v3, v[4:5], off
	v_add_u32_e32 v1, 0x100, v1
	s_waitcnt vmcnt(0)
	v_cvt_f32_f16_e32 v3, v3
	v_cvt_f64_f32_e32 v[12:13], v3
.LBB210_11:
	s_or_b64 exec, exec, s[8:9]
	v_cmp_gt_i32_e64 s[0:1], s10, v1
	v_mov_b64_e32 v[8:9], 0
	v_mov_b64_e32 v[10:11], 0
	s_and_saveexec_b64 s[8:9], s[0:1]
	s_cbranch_execz .LBB210_13
; %bb.12:
	v_add_u32_e32 v4, s2, v1
	v_mov_b32_e32 v5, 0
	v_lshl_add_u64 v[4:5], v[4:5], 1, s[6:7]
	global_load_ushort v3, v[4:5], off
	v_add_u32_e32 v1, 0x100, v1
	s_waitcnt vmcnt(0)
	v_cvt_f32_f16_e32 v3, v3
	v_cvt_f64_f32_e32 v[10:11], v3
.LBB210_13:
	s_or_b64 exec, exec, s[8:9]
	v_cmp_gt_i32_e64 s[0:1], s10, v1
	s_and_saveexec_b64 s[8:9], s[0:1]
	s_cbranch_execz .LBB210_15
; %bb.14:
	v_add_u32_e32 v4, s2, v1
	v_mov_b32_e32 v5, 0
	v_lshl_add_u64 v[4:5], v[4:5], 1, s[6:7]
	global_load_ushort v3, v[4:5], off
	v_add_u32_e32 v1, 0x100, v1
	s_waitcnt vmcnt(0)
	v_cvt_f32_f16_e32 v3, v3
	v_cvt_f64_f32_e32 v[8:9], v3
.LBB210_15:
	s_or_b64 exec, exec, s[8:9]
	v_cmp_gt_i32_e64 s[0:1], s10, v1
	v_mov_b64_e32 v[4:5], 0
	v_mov_b64_e32 v[6:7], 0
	s_and_saveexec_b64 s[8:9], s[0:1]
	s_cbranch_execnz .LBB210_42
; %bb.16:
	s_or_b64 exec, exec, s[8:9]
	v_cmp_gt_i32_e64 s[0:1], s10, v1
	s_and_saveexec_b64 s[8:9], s[0:1]
	s_cbranch_execnz .LBB210_43
.LBB210_17:
	s_or_b64 exec, exec, s[8:9]
                                        ; implicit-def: $vgpr1
	s_and_saveexec_b64 s[6:7], vcc
	s_cbranch_execz .LBB210_19
.LBB210_18:
	v_rsq_f64_e32 v[20:21], v[18:19]
	s_mov_b32 s0, 0
	s_mov_b32 s1, 0x3fd80000
	v_mov_b32_e32 v1, 0x180
	v_mul_f64 v[18:19], v[20:21], -v[18:19]
	v_fma_f64 v[18:19], v[18:19], v[20:21], 1.0
	v_mul_f64 v[22:23], v[20:21], v[18:19]
	v_fma_f64 v[18:19], v[18:19], s[0:1], 0.5
	v_fma_f64 v[18:19], v[22:23], v[18:19], v[20:21]
	v_cmp_class_f64_e64 s[0:1], v[20:21], v1
	s_nop 1
	v_cndmask_b32_e64 v1, v20, v18, s[0:1]
	v_cndmask_b32_e64 v3, v21, v19, s[0:1]
	s_movk_i32 s0, 0x1ff
	v_and_or_b32 v1, v3, s0, v1
	v_cmp_ne_u32_e64 s[0:1], 0, v1
	v_lshrrev_b32_e32 v18, 8, v3
	v_bfe_u32 v19, v3, 20, 11
	v_cndmask_b32_e64 v1, 0, 1, s[0:1]
	s_movk_i32 s0, 0xffe
	v_and_or_b32 v1, v18, s0, v1
	v_sub_u32_e32 v20, 0x3f1, v19
	v_or_b32_e32 v18, 0x1000, v1
	v_med3_i32 v20, v20, 0, 13
	v_lshrrev_b32_e32 v21, v20, v18
	v_lshlrev_b32_e32 v20, v20, v21
	v_cmp_ne_u32_e64 s[0:1], v20, v18
	v_add_u32_e32 v19, 0xfffffc10, v19
	v_lshl_or_b32 v20, v19, 12, v1
	v_cndmask_b32_e64 v18, 0, 1, s[0:1]
	v_or_b32_e32 v18, v21, v18
	v_cmp_gt_i32_e64 s[0:1], 1, v19
	v_lshrrev_b32_e32 v3, 16, v3
	s_nop 0
	v_cndmask_b32_e64 v18, v20, v18, s[0:1]
	v_and_b32_e32 v20, 7, v18
	v_cmp_lt_i32_e64 s[0:1], 5, v20
	v_lshrrev_b32_e32 v18, 2, v18
	s_nop 0
	v_cndmask_b32_e64 v21, 0, 1, s[0:1]
	v_cmp_eq_u32_e64 s[0:1], 3, v20
	s_nop 1
	v_cndmask_b32_e64 v20, 0, 1, s[0:1]
	v_or_b32_e32 v20, v20, v21
	v_add_u32_e32 v18, v18, v20
	v_mov_b32_e32 v20, 0x7c00
	v_cmp_gt_i32_e64 s[0:1], 31, v19
	v_mov_b32_e32 v21, 0x7e00
	s_nop 0
	v_cndmask_b32_e64 v18, v20, v18, s[0:1]
	v_cmp_ne_u32_e64 s[0:1], 0, v1
	s_nop 1
	v_cndmask_b32_e64 v1, v20, v21, s[0:1]
	s_movk_i32 s0, 0x40f
	v_cmp_eq_u32_e64 s[0:1], s0, v19
	s_nop 1
	v_cndmask_b32_e64 v1, v18, v1, s[0:1]
	s_mov_b32 s0, 0x8000
	v_and_or_b32 v1, v3, s0, v1
.LBB210_19:
	s_or_b64 exec, exec, s[6:7]
	v_or_b32_e32 v18, 0x100, v0
	v_cmp_gt_i32_e64 s[0:1], s10, v18
                                        ; implicit-def: $vgpr19
	s_and_saveexec_b64 s[6:7], s[0:1]
	s_cbranch_execz .LBB210_21
; %bb.20:
	v_rsq_f64_e32 v[20:21], v[16:17]
	s_mov_b32 s0, 0
	s_mov_b32 s1, 0x3fd80000
	v_mov_b32_e32 v3, 0x180
	v_mul_f64 v[16:17], v[20:21], -v[16:17]
	v_fma_f64 v[16:17], v[16:17], v[20:21], 1.0
	v_mul_f64 v[22:23], v[20:21], v[16:17]
	v_fma_f64 v[16:17], v[16:17], s[0:1], 0.5
	v_fma_f64 v[16:17], v[22:23], v[16:17], v[20:21]
	v_cmp_class_f64_e64 s[0:1], v[20:21], v3
	s_nop 1
	v_cndmask_b32_e64 v3, v20, v16, s[0:1]
	v_cndmask_b32_e64 v16, v21, v17, s[0:1]
	s_movk_i32 s0, 0x1ff
	v_and_or_b32 v3, v16, s0, v3
	v_cmp_ne_u32_e64 s[0:1], 0, v3
	v_lshrrev_b32_e32 v17, 8, v16
	v_bfe_u32 v19, v16, 20, 11
	v_cndmask_b32_e64 v3, 0, 1, s[0:1]
	s_movk_i32 s0, 0xffe
	v_and_or_b32 v3, v17, s0, v3
	v_sub_u32_e32 v20, 0x3f1, v19
	v_or_b32_e32 v17, 0x1000, v3
	v_med3_i32 v20, v20, 0, 13
	v_lshrrev_b32_e32 v21, v20, v17
	v_lshlrev_b32_e32 v20, v20, v21
	v_cmp_ne_u32_e64 s[0:1], v20, v17
	v_add_u32_e32 v19, 0xfffffc10, v19
	v_lshl_or_b32 v20, v19, 12, v3
	v_cndmask_b32_e64 v17, 0, 1, s[0:1]
	v_or_b32_e32 v17, v21, v17
	v_cmp_gt_i32_e64 s[0:1], 1, v19
	v_lshrrev_b32_e32 v16, 16, v16
	s_nop 0
	v_cndmask_b32_e64 v17, v20, v17, s[0:1]
	v_and_b32_e32 v20, 7, v17
	v_cmp_lt_i32_e64 s[0:1], 5, v20
	v_lshrrev_b32_e32 v17, 2, v17
	s_nop 0
	v_cndmask_b32_e64 v21, 0, 1, s[0:1]
	v_cmp_eq_u32_e64 s[0:1], 3, v20
	s_nop 1
	v_cndmask_b32_e64 v20, 0, 1, s[0:1]
	v_or_b32_e32 v20, v20, v21
	v_add_u32_e32 v17, v17, v20
	v_mov_b32_e32 v20, 0x7c00
	v_cmp_gt_i32_e64 s[0:1], 31, v19
	v_mov_b32_e32 v21, 0x7e00
	s_nop 0
	v_cndmask_b32_e64 v17, v20, v17, s[0:1]
	v_cmp_ne_u32_e64 s[0:1], 0, v3
	s_nop 1
	v_cndmask_b32_e64 v3, v20, v21, s[0:1]
	s_movk_i32 s0, 0x40f
	v_cmp_eq_u32_e64 s[0:1], s0, v19
	s_nop 1
	v_cndmask_b32_e64 v3, v17, v3, s[0:1]
	s_mov_b32 s0, 0x8000
	v_and_or_b32 v19, v16, s0, v3
.LBB210_21:
	s_or_b64 exec, exec, s[6:7]
	v_or_b32_e32 v3, 0x200, v0
	v_cmp_gt_i32_e64 s[0:1], s10, v3
                                        ; implicit-def: $vgpr16
	s_and_saveexec_b64 s[6:7], s[0:1]
	s_cbranch_execz .LBB210_23
; %bb.22:
	v_rsq_f64_e32 v[16:17], v[14:15]
	s_mov_b32 s0, 0
	s_mov_b32 s1, 0x3fd80000
	v_mov_b32_e32 v3, 0x180
	v_mul_f64 v[14:15], v[16:17], -v[14:15]
	v_fma_f64 v[14:15], v[14:15], v[16:17], 1.0
	v_mul_f64 v[20:21], v[16:17], v[14:15]
	v_fma_f64 v[14:15], v[14:15], s[0:1], 0.5
	v_fma_f64 v[14:15], v[20:21], v[14:15], v[16:17]
	v_cmp_class_f64_e64 s[0:1], v[16:17], v3
	s_nop 1
	v_cndmask_b32_e64 v3, v16, v14, s[0:1]
	v_cndmask_b32_e64 v14, v17, v15, s[0:1]
	s_movk_i32 s0, 0x1ff
	v_and_or_b32 v3, v14, s0, v3
	v_cmp_ne_u32_e64 s[0:1], 0, v3
	v_lshrrev_b32_e32 v15, 8, v14
	v_bfe_u32 v16, v14, 20, 11
	v_cndmask_b32_e64 v3, 0, 1, s[0:1]
	s_movk_i32 s0, 0xffe
	v_and_or_b32 v3, v15, s0, v3
	v_sub_u32_e32 v17, 0x3f1, v16
	v_or_b32_e32 v15, 0x1000, v3
	v_med3_i32 v17, v17, 0, 13
	v_lshrrev_b32_e32 v20, v17, v15
	v_lshlrev_b32_e32 v17, v17, v20
	v_cmp_ne_u32_e64 s[0:1], v17, v15
	v_add_u32_e32 v16, 0xfffffc10, v16
	v_lshl_or_b32 v17, v16, 12, v3
	v_cndmask_b32_e64 v15, 0, 1, s[0:1]
	v_or_b32_e32 v15, v20, v15
	v_cmp_gt_i32_e64 s[0:1], 1, v16
	v_lshrrev_b32_e32 v14, 16, v14
	s_nop 0
	v_cndmask_b32_e64 v15, v17, v15, s[0:1]
	v_and_b32_e32 v17, 7, v15
	v_cmp_lt_i32_e64 s[0:1], 5, v17
	v_lshrrev_b32_e32 v15, 2, v15
	s_nop 0
	v_cndmask_b32_e64 v20, 0, 1, s[0:1]
	v_cmp_eq_u32_e64 s[0:1], 3, v17
	s_nop 1
	v_cndmask_b32_e64 v17, 0, 1, s[0:1]
	v_or_b32_e32 v17, v17, v20
	v_add_u32_e32 v15, v15, v17
	v_mov_b32_e32 v17, 0x7c00
	v_cmp_gt_i32_e64 s[0:1], 31, v16
	v_mov_b32_e32 v20, 0x7e00
	s_nop 0
	v_cndmask_b32_e64 v15, v17, v15, s[0:1]
	v_cmp_ne_u32_e64 s[0:1], 0, v3
	s_nop 1
	v_cndmask_b32_e64 v3, v17, v20, s[0:1]
	s_movk_i32 s0, 0x40f
	v_cmp_eq_u32_e64 s[0:1], s0, v16
	s_nop 1
	v_cndmask_b32_e64 v3, v15, v3, s[0:1]
	s_mov_b32 s0, 0x8000
	v_and_or_b32 v16, v14, s0, v3
.LBB210_23:
	s_or_b64 exec, exec, s[6:7]
	v_or_b32_e32 v3, 0x300, v0
	v_cmp_gt_i32_e64 s[0:1], s10, v3
                                        ; implicit-def: $vgpr14
	s_and_saveexec_b64 s[6:7], s[0:1]
	s_cbranch_execz .LBB210_25
; %bb.24:
	v_rsq_f64_e32 v[14:15], v[12:13]
	s_mov_b32 s0, 0
	s_mov_b32 s1, 0x3fd80000
	v_mov_b32_e32 v3, 0x180
	v_mul_f64 v[12:13], v[14:15], -v[12:13]
	v_fma_f64 v[12:13], v[12:13], v[14:15], 1.0
	v_mul_f64 v[20:21], v[14:15], v[12:13]
	v_fma_f64 v[12:13], v[12:13], s[0:1], 0.5
	v_fma_f64 v[12:13], v[20:21], v[12:13], v[14:15]
	v_cmp_class_f64_e64 s[0:1], v[14:15], v3
	s_nop 1
	v_cndmask_b32_e64 v3, v14, v12, s[0:1]
	v_cndmask_b32_e64 v12, v15, v13, s[0:1]
	s_movk_i32 s0, 0x1ff
	v_and_or_b32 v3, v12, s0, v3
	v_cmp_ne_u32_e64 s[0:1], 0, v3
	v_lshrrev_b32_e32 v13, 8, v12
	v_bfe_u32 v14, v12, 20, 11
	v_cndmask_b32_e64 v3, 0, 1, s[0:1]
	s_movk_i32 s0, 0xffe
	v_and_or_b32 v3, v13, s0, v3
	v_sub_u32_e32 v15, 0x3f1, v14
	v_or_b32_e32 v13, 0x1000, v3
	v_med3_i32 v15, v15, 0, 13
	v_lshrrev_b32_e32 v17, v15, v13
	v_lshlrev_b32_e32 v15, v15, v17
	v_cmp_ne_u32_e64 s[0:1], v15, v13
	v_add_u32_e32 v14, 0xfffffc10, v14
	v_lshl_or_b32 v15, v14, 12, v3
	v_cndmask_b32_e64 v13, 0, 1, s[0:1]
	v_or_b32_e32 v13, v17, v13
	v_cmp_gt_i32_e64 s[0:1], 1, v14
	v_lshrrev_b32_e32 v12, 16, v12
	s_nop 0
	v_cndmask_b32_e64 v13, v15, v13, s[0:1]
	v_and_b32_e32 v15, 7, v13
	v_cmp_lt_i32_e64 s[0:1], 5, v15
	v_lshrrev_b32_e32 v13, 2, v13
	s_nop 0
	v_cndmask_b32_e64 v17, 0, 1, s[0:1]
	v_cmp_eq_u32_e64 s[0:1], 3, v15
	s_nop 1
	v_cndmask_b32_e64 v15, 0, 1, s[0:1]
	v_or_b32_e32 v15, v15, v17
	v_add_u32_e32 v13, v13, v15
	v_mov_b32_e32 v15, 0x7c00
	v_cmp_gt_i32_e64 s[0:1], 31, v14
	v_mov_b32_e32 v17, 0x7e00
	s_nop 0
	v_cndmask_b32_e64 v13, v15, v13, s[0:1]
	v_cmp_ne_u32_e64 s[0:1], 0, v3
	s_nop 1
	v_cndmask_b32_e64 v3, v15, v17, s[0:1]
	s_movk_i32 s0, 0x40f
	v_cmp_eq_u32_e64 s[0:1], s0, v14
	s_nop 1
	v_cndmask_b32_e64 v3, v13, v3, s[0:1]
	s_mov_b32 s0, 0x8000
	v_and_or_b32 v14, v12, s0, v3
.LBB210_25:
	s_or_b64 exec, exec, s[6:7]
	v_or_b32_e32 v3, 0x400, v0
	v_cmp_gt_i32_e64 s[0:1], s10, v3
                                        ; implicit-def: $vgpr12
	s_and_saveexec_b64 s[6:7], s[0:1]
	s_cbranch_execz .LBB210_27
; %bb.26:
	v_rsq_f64_e32 v[12:13], v[10:11]
	s_mov_b32 s0, 0
	s_mov_b32 s1, 0x3fd80000
	v_mov_b32_e32 v3, 0x180
	v_mul_f64 v[10:11], v[12:13], -v[10:11]
	v_fma_f64 v[10:11], v[10:11], v[12:13], 1.0
	v_mul_f64 v[20:21], v[12:13], v[10:11]
	v_fma_f64 v[10:11], v[10:11], s[0:1], 0.5
	v_fma_f64 v[10:11], v[20:21], v[10:11], v[12:13]
	v_cmp_class_f64_e64 s[0:1], v[12:13], v3
	s_nop 1
	v_cndmask_b32_e64 v3, v12, v10, s[0:1]
	v_cndmask_b32_e64 v10, v13, v11, s[0:1]
	s_movk_i32 s0, 0x1ff
	v_and_or_b32 v3, v10, s0, v3
	v_cmp_ne_u32_e64 s[0:1], 0, v3
	v_lshrrev_b32_e32 v11, 8, v10
	v_bfe_u32 v12, v10, 20, 11
	v_cndmask_b32_e64 v3, 0, 1, s[0:1]
	s_movk_i32 s0, 0xffe
	v_and_or_b32 v3, v11, s0, v3
	v_sub_u32_e32 v13, 0x3f1, v12
	v_or_b32_e32 v11, 0x1000, v3
	v_med3_i32 v13, v13, 0, 13
	v_lshrrev_b32_e32 v15, v13, v11
	v_lshlrev_b32_e32 v13, v13, v15
	v_cmp_ne_u32_e64 s[0:1], v13, v11
	v_add_u32_e32 v12, 0xfffffc10, v12
	v_lshl_or_b32 v13, v12, 12, v3
	v_cndmask_b32_e64 v11, 0, 1, s[0:1]
	v_or_b32_e32 v11, v15, v11
	v_cmp_gt_i32_e64 s[0:1], 1, v12
	v_lshrrev_b32_e32 v10, 16, v10
	s_nop 0
	v_cndmask_b32_e64 v11, v13, v11, s[0:1]
	v_and_b32_e32 v13, 7, v11
	v_cmp_lt_i32_e64 s[0:1], 5, v13
	v_lshrrev_b32_e32 v11, 2, v11
	s_nop 0
	v_cndmask_b32_e64 v15, 0, 1, s[0:1]
	v_cmp_eq_u32_e64 s[0:1], 3, v13
	s_nop 1
	v_cndmask_b32_e64 v13, 0, 1, s[0:1]
	v_or_b32_e32 v13, v13, v15
	v_add_u32_e32 v11, v11, v13
	v_mov_b32_e32 v13, 0x7c00
	v_cmp_gt_i32_e64 s[0:1], 31, v12
	v_mov_b32_e32 v15, 0x7e00
	s_nop 0
	v_cndmask_b32_e64 v11, v13, v11, s[0:1]
	v_cmp_ne_u32_e64 s[0:1], 0, v3
	s_nop 1
	v_cndmask_b32_e64 v3, v13, v15, s[0:1]
	s_movk_i32 s0, 0x40f
	v_cmp_eq_u32_e64 s[0:1], s0, v12
	s_nop 1
	v_cndmask_b32_e64 v3, v11, v3, s[0:1]
	s_mov_b32 s0, 0x8000
	v_and_or_b32 v12, v10, s0, v3
.LBB210_27:
	s_or_b64 exec, exec, s[6:7]
	v_or_b32_e32 v3, 0x500, v0
	v_cmp_gt_i32_e64 s[0:1], s10, v3
                                        ; implicit-def: $vgpr10
	s_and_saveexec_b64 s[6:7], s[0:1]
	s_cbranch_execz .LBB210_29
; %bb.28:
	v_rsq_f64_e32 v[10:11], v[8:9]
	s_mov_b32 s0, 0
	s_mov_b32 s1, 0x3fd80000
	v_mov_b32_e32 v3, 0x180
	v_mul_f64 v[8:9], v[10:11], -v[8:9]
	v_fma_f64 v[8:9], v[8:9], v[10:11], 1.0
	v_mul_f64 v[20:21], v[10:11], v[8:9]
	v_fma_f64 v[8:9], v[8:9], s[0:1], 0.5
	v_fma_f64 v[8:9], v[20:21], v[8:9], v[10:11]
	v_cmp_class_f64_e64 s[0:1], v[10:11], v3
	s_nop 1
	v_cndmask_b32_e64 v3, v10, v8, s[0:1]
	v_cndmask_b32_e64 v8, v11, v9, s[0:1]
	s_movk_i32 s0, 0x1ff
	v_and_or_b32 v3, v8, s0, v3
	v_cmp_ne_u32_e64 s[0:1], 0, v3
	v_lshrrev_b32_e32 v9, 8, v8
	v_bfe_u32 v10, v8, 20, 11
	v_cndmask_b32_e64 v3, 0, 1, s[0:1]
	s_movk_i32 s0, 0xffe
	v_and_or_b32 v3, v9, s0, v3
	v_sub_u32_e32 v11, 0x3f1, v10
	v_or_b32_e32 v9, 0x1000, v3
	v_med3_i32 v11, v11, 0, 13
	v_lshrrev_b32_e32 v13, v11, v9
	v_lshlrev_b32_e32 v11, v11, v13
	v_cmp_ne_u32_e64 s[0:1], v11, v9
	v_add_u32_e32 v10, 0xfffffc10, v10
	v_lshl_or_b32 v11, v10, 12, v3
	v_cndmask_b32_e64 v9, 0, 1, s[0:1]
	v_or_b32_e32 v9, v13, v9
	v_cmp_gt_i32_e64 s[0:1], 1, v10
	v_lshrrev_b32_e32 v8, 16, v8
	s_nop 0
	v_cndmask_b32_e64 v9, v11, v9, s[0:1]
	v_and_b32_e32 v11, 7, v9
	v_cmp_lt_i32_e64 s[0:1], 5, v11
	v_lshrrev_b32_e32 v9, 2, v9
	s_nop 0
	v_cndmask_b32_e64 v13, 0, 1, s[0:1]
	v_cmp_eq_u32_e64 s[0:1], 3, v11
	s_nop 1
	v_cndmask_b32_e64 v11, 0, 1, s[0:1]
	v_or_b32_e32 v11, v11, v13
	v_add_u32_e32 v9, v9, v11
	v_mov_b32_e32 v11, 0x7c00
	v_cmp_gt_i32_e64 s[0:1], 31, v10
	v_mov_b32_e32 v13, 0x7e00
	s_nop 0
	v_cndmask_b32_e64 v9, v11, v9, s[0:1]
	v_cmp_ne_u32_e64 s[0:1], 0, v3
	s_nop 1
	v_cndmask_b32_e64 v3, v11, v13, s[0:1]
	s_movk_i32 s0, 0x40f
	v_cmp_eq_u32_e64 s[0:1], s0, v10
	s_nop 1
	v_cndmask_b32_e64 v3, v9, v3, s[0:1]
	s_mov_b32 s0, 0x8000
	v_and_or_b32 v10, v8, s0, v3
.LBB210_29:
	s_or_b64 exec, exec, s[6:7]
	v_or_b32_e32 v3, 0x600, v0
	v_cmp_gt_i32_e64 s[0:1], s10, v3
                                        ; implicit-def: $vgpr8
	s_and_saveexec_b64 s[6:7], s[0:1]
	s_cbranch_execz .LBB210_31
; %bb.30:
	v_rsq_f64_e32 v[8:9], v[6:7]
	s_mov_b32 s0, 0
	s_mov_b32 s1, 0x3fd80000
	v_mov_b32_e32 v3, 0x180
	v_mul_f64 v[6:7], v[8:9], -v[6:7]
	v_fma_f64 v[6:7], v[6:7], v[8:9], 1.0
	v_mul_f64 v[20:21], v[8:9], v[6:7]
	v_fma_f64 v[6:7], v[6:7], s[0:1], 0.5
	v_fma_f64 v[6:7], v[20:21], v[6:7], v[8:9]
	v_cmp_class_f64_e64 s[0:1], v[8:9], v3
	s_nop 1
	v_cndmask_b32_e64 v3, v8, v6, s[0:1]
	v_cndmask_b32_e64 v6, v9, v7, s[0:1]
	s_movk_i32 s0, 0x1ff
	v_and_or_b32 v3, v6, s0, v3
	v_cmp_ne_u32_e64 s[0:1], 0, v3
	v_lshrrev_b32_e32 v7, 8, v6
	v_bfe_u32 v8, v6, 20, 11
	v_cndmask_b32_e64 v3, 0, 1, s[0:1]
	s_movk_i32 s0, 0xffe
	v_and_or_b32 v3, v7, s0, v3
	v_sub_u32_e32 v9, 0x3f1, v8
	v_or_b32_e32 v7, 0x1000, v3
	v_med3_i32 v9, v9, 0, 13
	v_lshrrev_b32_e32 v11, v9, v7
	v_lshlrev_b32_e32 v9, v9, v11
	v_cmp_ne_u32_e64 s[0:1], v9, v7
	v_add_u32_e32 v8, 0xfffffc10, v8
	v_lshl_or_b32 v9, v8, 12, v3
	v_cndmask_b32_e64 v7, 0, 1, s[0:1]
	v_or_b32_e32 v7, v11, v7
	v_cmp_gt_i32_e64 s[0:1], 1, v8
	v_lshrrev_b32_e32 v6, 16, v6
	s_nop 0
	v_cndmask_b32_e64 v7, v9, v7, s[0:1]
	v_and_b32_e32 v9, 7, v7
	v_cmp_lt_i32_e64 s[0:1], 5, v9
	v_lshrrev_b32_e32 v7, 2, v7
	s_nop 0
	v_cndmask_b32_e64 v11, 0, 1, s[0:1]
	v_cmp_eq_u32_e64 s[0:1], 3, v9
	s_nop 1
	v_cndmask_b32_e64 v9, 0, 1, s[0:1]
	v_or_b32_e32 v9, v9, v11
	v_add_u32_e32 v7, v7, v9
	v_mov_b32_e32 v9, 0x7c00
	v_cmp_gt_i32_e64 s[0:1], 31, v8
	v_mov_b32_e32 v11, 0x7e00
	s_nop 0
	v_cndmask_b32_e64 v7, v9, v7, s[0:1]
	v_cmp_ne_u32_e64 s[0:1], 0, v3
	s_nop 1
	v_cndmask_b32_e64 v3, v9, v11, s[0:1]
	s_movk_i32 s0, 0x40f
	v_cmp_eq_u32_e64 s[0:1], s0, v8
	s_nop 1
	v_cndmask_b32_e64 v3, v7, v3, s[0:1]
	s_mov_b32 s0, 0x8000
	v_and_or_b32 v8, v6, s0, v3
.LBB210_31:
	s_or_b64 exec, exec, s[6:7]
	v_or_b32_e32 v3, 0x700, v0
	v_cmp_gt_i32_e64 s[0:1], s10, v3
                                        ; implicit-def: $vgpr6
	s_and_saveexec_b64 s[6:7], s[0:1]
	s_cbranch_execnz .LBB210_44
; %bb.32:
	s_or_b64 exec, exec, s[6:7]
	s_and_saveexec_b64 s[0:1], vcc
	s_xor_b64 s[0:1], exec, s[0:1]
	s_cbranch_execnz .LBB210_45
.LBB210_33:
	s_or_b64 exec, exec, s[0:1]
	v_cmp_gt_i32_e32 vcc, s10, v0
	s_and_saveexec_b64 s[0:1], vcc
	s_cbranch_execnz .LBB210_46
.LBB210_34:
	s_or_b64 exec, exec, s[0:1]
	v_cmp_gt_i32_e32 vcc, s10, v0
	s_and_saveexec_b64 s[0:1], vcc
	s_cbranch_execnz .LBB210_47
.LBB210_35:
	s_or_b64 exec, exec, s[0:1]
	v_cmp_gt_i32_e32 vcc, s10, v0
	s_and_saveexec_b64 s[0:1], vcc
	s_cbranch_execnz .LBB210_48
.LBB210_36:
	s_or_b64 exec, exec, s[0:1]
	v_cmp_gt_i32_e32 vcc, s10, v0
	s_and_saveexec_b64 s[0:1], vcc
	s_cbranch_execnz .LBB210_49
.LBB210_37:
	s_or_b64 exec, exec, s[0:1]
	v_cmp_gt_i32_e32 vcc, s10, v0
	s_and_saveexec_b64 s[0:1], vcc
	s_cbranch_execnz .LBB210_50
.LBB210_38:
	s_or_b64 exec, exec, s[0:1]
	v_cmp_gt_i32_e32 vcc, s10, v0
	s_and_saveexec_b64 s[0:1], vcc
	s_cbranch_execnz .LBB210_51
.LBB210_39:
	s_or_b64 exec, exec, s[0:1]
	v_cmp_gt_i32_e32 vcc, s10, v0
	s_and_saveexec_b64 s[0:1], vcc
	s_cbranch_execz .LBB210_41
.LBB210_40:
	v_add_u32_e32 v0, s2, v0
	v_mov_b32_e32 v1, 0
	v_lshl_add_u64 v[0:1], v[0:1], 1, s[4:5]
	global_store_short v[0:1], v6, off
.LBB210_41:
	s_endpgm
.LBB210_42:
	v_add_u32_e32 v6, s2, v1
	v_mov_b32_e32 v7, 0
	v_lshl_add_u64 v[6:7], v[6:7], 1, s[6:7]
	global_load_ushort v3, v[6:7], off
	v_add_u32_e32 v1, 0x100, v1
	s_waitcnt vmcnt(0)
	v_cvt_f32_f16_e32 v3, v3
	v_cvt_f64_f32_e32 v[6:7], v3
	s_or_b64 exec, exec, s[8:9]
	v_cmp_gt_i32_e64 s[0:1], s10, v1
	s_and_saveexec_b64 s[8:9], s[0:1]
	s_cbranch_execz .LBB210_17
.LBB210_43:
	v_add_u32_e32 v4, s2, v1
	v_mov_b32_e32 v5, 0
	v_lshl_add_u64 v[4:5], v[4:5], 1, s[6:7]
	global_load_ushort v1, v[4:5], off
	s_waitcnt vmcnt(0)
	v_cvt_f32_f16_e32 v1, v1
	v_cvt_f64_f32_e32 v[4:5], v1
	s_or_b64 exec, exec, s[8:9]
                                        ; implicit-def: $vgpr1
	s_and_saveexec_b64 s[6:7], vcc
	s_cbranch_execnz .LBB210_18
	s_branch .LBB210_19
.LBB210_44:
	v_rsq_f64_e32 v[6:7], v[4:5]
	s_mov_b32 s0, 0
	s_mov_b32 s1, 0x3fd80000
	v_mov_b32_e32 v3, 0x180
	v_mul_f64 v[4:5], v[6:7], -v[4:5]
	v_fma_f64 v[4:5], v[4:5], v[6:7], 1.0
	v_mul_f64 v[20:21], v[6:7], v[4:5]
	v_fma_f64 v[4:5], v[4:5], s[0:1], 0.5
	v_fma_f64 v[4:5], v[20:21], v[4:5], v[6:7]
	v_cmp_class_f64_e64 s[0:1], v[6:7], v3
	s_nop 1
	v_cndmask_b32_e64 v3, v6, v4, s[0:1]
	v_cndmask_b32_e64 v4, v7, v5, s[0:1]
	s_movk_i32 s0, 0x1ff
	v_and_or_b32 v3, v4, s0, v3
	v_cmp_ne_u32_e64 s[0:1], 0, v3
	v_lshrrev_b32_e32 v5, 8, v4
	v_bfe_u32 v6, v4, 20, 11
	v_cndmask_b32_e64 v3, 0, 1, s[0:1]
	s_movk_i32 s0, 0xffe
	v_and_or_b32 v3, v5, s0, v3
	v_sub_u32_e32 v7, 0x3f1, v6
	v_or_b32_e32 v5, 0x1000, v3
	v_med3_i32 v7, v7, 0, 13
	v_lshrrev_b32_e32 v9, v7, v5
	v_lshlrev_b32_e32 v7, v7, v9
	v_cmp_ne_u32_e64 s[0:1], v7, v5
	v_add_u32_e32 v6, 0xfffffc10, v6
	v_lshl_or_b32 v7, v6, 12, v3
	v_cndmask_b32_e64 v5, 0, 1, s[0:1]
	v_or_b32_e32 v5, v9, v5
	v_cmp_gt_i32_e64 s[0:1], 1, v6
	v_lshrrev_b32_e32 v4, 16, v4
	s_nop 0
	v_cndmask_b32_e64 v5, v7, v5, s[0:1]
	v_and_b32_e32 v7, 7, v5
	v_cmp_lt_i32_e64 s[0:1], 5, v7
	v_lshrrev_b32_e32 v5, 2, v5
	s_nop 0
	v_cndmask_b32_e64 v9, 0, 1, s[0:1]
	v_cmp_eq_u32_e64 s[0:1], 3, v7
	s_nop 1
	v_cndmask_b32_e64 v7, 0, 1, s[0:1]
	v_or_b32_e32 v7, v7, v9
	v_add_u32_e32 v5, v5, v7
	v_mov_b32_e32 v7, 0x7c00
	v_cmp_gt_i32_e64 s[0:1], 31, v6
	v_mov_b32_e32 v9, 0x7e00
	s_nop 0
	v_cndmask_b32_e64 v5, v7, v5, s[0:1]
	v_cmp_ne_u32_e64 s[0:1], 0, v3
	s_nop 1
	v_cndmask_b32_e64 v3, v7, v9, s[0:1]
	s_movk_i32 s0, 0x40f
	v_cmp_eq_u32_e64 s[0:1], s0, v6
	s_nop 1
	v_cndmask_b32_e64 v3, v5, v3, s[0:1]
	s_mov_b32 s0, 0x8000
	v_and_or_b32 v6, v4, s0, v3
	s_or_b64 exec, exec, s[6:7]
	s_and_saveexec_b64 s[0:1], vcc
	s_xor_b64 s[0:1], exec, s[0:1]
	s_cbranch_execz .LBB210_33
.LBB210_45:
	v_mov_b32_e32 v3, 0
	v_lshl_add_u64 v[2:3], v[2:3], 1, s[4:5]
	v_mov_b32_e32 v0, v18
	global_store_short v[2:3], v1, off
	s_or_b64 exec, exec, s[0:1]
	v_cmp_gt_i32_e32 vcc, s10, v0
	s_and_saveexec_b64 s[0:1], vcc
	s_cbranch_execz .LBB210_34
.LBB210_46:
	v_add_u32_e32 v2, s2, v0
	v_mov_b32_e32 v3, 0
	v_lshl_add_u64 v[2:3], v[2:3], 1, s[4:5]
	v_add_u32_e32 v0, 0x100, v0
	global_store_short v[2:3], v19, off
	s_or_b64 exec, exec, s[0:1]
	v_cmp_gt_i32_e32 vcc, s10, v0
	s_and_saveexec_b64 s[0:1], vcc
	s_cbranch_execz .LBB210_35
.LBB210_47:
	v_add_u32_e32 v2, s2, v0
	v_mov_b32_e32 v3, 0
	v_lshl_add_u64 v[2:3], v[2:3], 1, s[4:5]
	v_add_u32_e32 v0, 0x100, v0
	global_store_short v[2:3], v16, off
	s_or_b64 exec, exec, s[0:1]
	v_cmp_gt_i32_e32 vcc, s10, v0
	s_and_saveexec_b64 s[0:1], vcc
	s_cbranch_execz .LBB210_36
.LBB210_48:
	v_add_u32_e32 v2, s2, v0
	v_mov_b32_e32 v3, 0
	v_lshl_add_u64 v[2:3], v[2:3], 1, s[4:5]
	v_add_u32_e32 v0, 0x100, v0
	global_store_short v[2:3], v14, off
	s_or_b64 exec, exec, s[0:1]
	v_cmp_gt_i32_e32 vcc, s10, v0
	s_and_saveexec_b64 s[0:1], vcc
	s_cbranch_execz .LBB210_37
.LBB210_49:
	v_add_u32_e32 v2, s2, v0
	v_mov_b32_e32 v3, 0
	v_lshl_add_u64 v[2:3], v[2:3], 1, s[4:5]
	v_add_u32_e32 v0, 0x100, v0
	global_store_short v[2:3], v12, off
	s_or_b64 exec, exec, s[0:1]
	v_cmp_gt_i32_e32 vcc, s10, v0
	s_and_saveexec_b64 s[0:1], vcc
	s_cbranch_execz .LBB210_38
.LBB210_50:
	v_add_u32_e32 v2, s2, v0
	v_mov_b32_e32 v3, 0
	v_lshl_add_u64 v[2:3], v[2:3], 1, s[4:5]
	v_add_u32_e32 v0, 0x100, v0
	global_store_short v[2:3], v10, off
	s_or_b64 exec, exec, s[0:1]
	v_cmp_gt_i32_e32 vcc, s10, v0
	s_and_saveexec_b64 s[0:1], vcc
	s_cbranch_execz .LBB210_39
.LBB210_51:
	v_add_u32_e32 v2, s2, v0
	v_mov_b32_e32 v3, 0
	v_lshl_add_u64 v[2:3], v[2:3], 1, s[4:5]
	v_add_u32_e32 v0, 0x100, v0
	global_store_short v[2:3], v8, off
	s_or_b64 exec, exec, s[0:1]
	v_cmp_gt_i32_e32 vcc, s10, v0
	s_and_saveexec_b64 s[0:1], vcc
	s_cbranch_execnz .LBB210_40
	s_branch .LBB210_41
	.section	.rodata,"a",@progbits
	.p2align	6, 0x0
	.amdhsa_kernel _ZN2at6native29vectorized_elementwise_kernelILi16EZZZNS0_17rsqrt_kernel_cudaERNS_18TensorIteratorBaseEENKUlvE0_clEvENKUlvE2_clEvEUlN3c104HalfEE_St5arrayIPcLm2EEEEviT0_T1_
		.amdhsa_group_segment_fixed_size 0
		.amdhsa_private_segment_fixed_size 0
		.amdhsa_kernarg_size 24
		.amdhsa_user_sgpr_count 2
		.amdhsa_user_sgpr_dispatch_ptr 0
		.amdhsa_user_sgpr_queue_ptr 0
		.amdhsa_user_sgpr_kernarg_segment_ptr 1
		.amdhsa_user_sgpr_dispatch_id 0
		.amdhsa_user_sgpr_kernarg_preload_length 0
		.amdhsa_user_sgpr_kernarg_preload_offset 0
		.amdhsa_user_sgpr_private_segment_size 0
		.amdhsa_uses_dynamic_stack 0
		.amdhsa_enable_private_segment 0
		.amdhsa_system_sgpr_workgroup_id_x 1
		.amdhsa_system_sgpr_workgroup_id_y 0
		.amdhsa_system_sgpr_workgroup_id_z 0
		.amdhsa_system_sgpr_workgroup_info 0
		.amdhsa_system_vgpr_workitem_id 0
		.amdhsa_next_free_vgpr 27
		.amdhsa_next_free_sgpr 14
		.amdhsa_accum_offset 28
		.amdhsa_reserve_vcc 1
		.amdhsa_float_round_mode_32 0
		.amdhsa_float_round_mode_16_64 0
		.amdhsa_float_denorm_mode_32 3
		.amdhsa_float_denorm_mode_16_64 3
		.amdhsa_dx10_clamp 1
		.amdhsa_ieee_mode 1
		.amdhsa_fp16_overflow 0
		.amdhsa_tg_split 0
		.amdhsa_exception_fp_ieee_invalid_op 0
		.amdhsa_exception_fp_denorm_src 0
		.amdhsa_exception_fp_ieee_div_zero 0
		.amdhsa_exception_fp_ieee_overflow 0
		.amdhsa_exception_fp_ieee_underflow 0
		.amdhsa_exception_fp_ieee_inexact 0
		.amdhsa_exception_int_div_zero 0
	.end_amdhsa_kernel
	.section	.text._ZN2at6native29vectorized_elementwise_kernelILi16EZZZNS0_17rsqrt_kernel_cudaERNS_18TensorIteratorBaseEENKUlvE0_clEvENKUlvE2_clEvEUlN3c104HalfEE_St5arrayIPcLm2EEEEviT0_T1_,"axG",@progbits,_ZN2at6native29vectorized_elementwise_kernelILi16EZZZNS0_17rsqrt_kernel_cudaERNS_18TensorIteratorBaseEENKUlvE0_clEvENKUlvE2_clEvEUlN3c104HalfEE_St5arrayIPcLm2EEEEviT0_T1_,comdat
.Lfunc_end210:
	.size	_ZN2at6native29vectorized_elementwise_kernelILi16EZZZNS0_17rsqrt_kernel_cudaERNS_18TensorIteratorBaseEENKUlvE0_clEvENKUlvE2_clEvEUlN3c104HalfEE_St5arrayIPcLm2EEEEviT0_T1_, .Lfunc_end210-_ZN2at6native29vectorized_elementwise_kernelILi16EZZZNS0_17rsqrt_kernel_cudaERNS_18TensorIteratorBaseEENKUlvE0_clEvENKUlvE2_clEvEUlN3c104HalfEE_St5arrayIPcLm2EEEEviT0_T1_
                                        ; -- End function
	.set _ZN2at6native29vectorized_elementwise_kernelILi16EZZZNS0_17rsqrt_kernel_cudaERNS_18TensorIteratorBaseEENKUlvE0_clEvENKUlvE2_clEvEUlN3c104HalfEE_St5arrayIPcLm2EEEEviT0_T1_.num_vgpr, 27
	.set _ZN2at6native29vectorized_elementwise_kernelILi16EZZZNS0_17rsqrt_kernel_cudaERNS_18TensorIteratorBaseEENKUlvE0_clEvENKUlvE2_clEvEUlN3c104HalfEE_St5arrayIPcLm2EEEEviT0_T1_.num_agpr, 0
	.set _ZN2at6native29vectorized_elementwise_kernelILi16EZZZNS0_17rsqrt_kernel_cudaERNS_18TensorIteratorBaseEENKUlvE0_clEvENKUlvE2_clEvEUlN3c104HalfEE_St5arrayIPcLm2EEEEviT0_T1_.numbered_sgpr, 14
	.set _ZN2at6native29vectorized_elementwise_kernelILi16EZZZNS0_17rsqrt_kernel_cudaERNS_18TensorIteratorBaseEENKUlvE0_clEvENKUlvE2_clEvEUlN3c104HalfEE_St5arrayIPcLm2EEEEviT0_T1_.num_named_barrier, 0
	.set _ZN2at6native29vectorized_elementwise_kernelILi16EZZZNS0_17rsqrt_kernel_cudaERNS_18TensorIteratorBaseEENKUlvE0_clEvENKUlvE2_clEvEUlN3c104HalfEE_St5arrayIPcLm2EEEEviT0_T1_.private_seg_size, 0
	.set _ZN2at6native29vectorized_elementwise_kernelILi16EZZZNS0_17rsqrt_kernel_cudaERNS_18TensorIteratorBaseEENKUlvE0_clEvENKUlvE2_clEvEUlN3c104HalfEE_St5arrayIPcLm2EEEEviT0_T1_.uses_vcc, 1
	.set _ZN2at6native29vectorized_elementwise_kernelILi16EZZZNS0_17rsqrt_kernel_cudaERNS_18TensorIteratorBaseEENKUlvE0_clEvENKUlvE2_clEvEUlN3c104HalfEE_St5arrayIPcLm2EEEEviT0_T1_.uses_flat_scratch, 0
	.set _ZN2at6native29vectorized_elementwise_kernelILi16EZZZNS0_17rsqrt_kernel_cudaERNS_18TensorIteratorBaseEENKUlvE0_clEvENKUlvE2_clEvEUlN3c104HalfEE_St5arrayIPcLm2EEEEviT0_T1_.has_dyn_sized_stack, 0
	.set _ZN2at6native29vectorized_elementwise_kernelILi16EZZZNS0_17rsqrt_kernel_cudaERNS_18TensorIteratorBaseEENKUlvE0_clEvENKUlvE2_clEvEUlN3c104HalfEE_St5arrayIPcLm2EEEEviT0_T1_.has_recursion, 0
	.set _ZN2at6native29vectorized_elementwise_kernelILi16EZZZNS0_17rsqrt_kernel_cudaERNS_18TensorIteratorBaseEENKUlvE0_clEvENKUlvE2_clEvEUlN3c104HalfEE_St5arrayIPcLm2EEEEviT0_T1_.has_indirect_call, 0
	.section	.AMDGPU.csdata,"",@progbits
; Kernel info:
; codeLenInByte = 6800
; TotalNumSgprs: 20
; NumVgprs: 27
; NumAgprs: 0
; TotalNumVgprs: 27
; ScratchSize: 0
; MemoryBound: 0
; FloatMode: 240
; IeeeMode: 1
; LDSByteSize: 0 bytes/workgroup (compile time only)
; SGPRBlocks: 2
; VGPRBlocks: 3
; NumSGPRsForWavesPerEU: 20
; NumVGPRsForWavesPerEU: 27
; AccumOffset: 28
; Occupancy: 8
; WaveLimiterHint : 0
; COMPUTE_PGM_RSRC2:SCRATCH_EN: 0
; COMPUTE_PGM_RSRC2:USER_SGPR: 2
; COMPUTE_PGM_RSRC2:TRAP_HANDLER: 0
; COMPUTE_PGM_RSRC2:TGID_X_EN: 1
; COMPUTE_PGM_RSRC2:TGID_Y_EN: 0
; COMPUTE_PGM_RSRC2:TGID_Z_EN: 0
; COMPUTE_PGM_RSRC2:TIDIG_COMP_CNT: 0
; COMPUTE_PGM_RSRC3_GFX90A:ACCUM_OFFSET: 6
; COMPUTE_PGM_RSRC3_GFX90A:TG_SPLIT: 0
	.section	.text._ZN2at6native29vectorized_elementwise_kernelILi8EZZZNS0_17rsqrt_kernel_cudaERNS_18TensorIteratorBaseEENKUlvE0_clEvENKUlvE2_clEvEUlN3c104HalfEE_St5arrayIPcLm2EEEEviT0_T1_,"axG",@progbits,_ZN2at6native29vectorized_elementwise_kernelILi8EZZZNS0_17rsqrt_kernel_cudaERNS_18TensorIteratorBaseEENKUlvE0_clEvENKUlvE2_clEvEUlN3c104HalfEE_St5arrayIPcLm2EEEEviT0_T1_,comdat
	.globl	_ZN2at6native29vectorized_elementwise_kernelILi8EZZZNS0_17rsqrt_kernel_cudaERNS_18TensorIteratorBaseEENKUlvE0_clEvENKUlvE2_clEvEUlN3c104HalfEE_St5arrayIPcLm2EEEEviT0_T1_ ; -- Begin function _ZN2at6native29vectorized_elementwise_kernelILi8EZZZNS0_17rsqrt_kernel_cudaERNS_18TensorIteratorBaseEENKUlvE0_clEvENKUlvE2_clEvEUlN3c104HalfEE_St5arrayIPcLm2EEEEviT0_T1_
	.p2align	8
	.type	_ZN2at6native29vectorized_elementwise_kernelILi8EZZZNS0_17rsqrt_kernel_cudaERNS_18TensorIteratorBaseEENKUlvE0_clEvENKUlvE2_clEvEUlN3c104HalfEE_St5arrayIPcLm2EEEEviT0_T1_,@function
_ZN2at6native29vectorized_elementwise_kernelILi8EZZZNS0_17rsqrt_kernel_cudaERNS_18TensorIteratorBaseEENKUlvE0_clEvENKUlvE2_clEvEUlN3c104HalfEE_St5arrayIPcLm2EEEEviT0_T1_: ; @_ZN2at6native29vectorized_elementwise_kernelILi8EZZZNS0_17rsqrt_kernel_cudaERNS_18TensorIteratorBaseEENKUlvE0_clEvENKUlvE2_clEvEUlN3c104HalfEE_St5arrayIPcLm2EEEEviT0_T1_
; %bb.0:
	s_load_dword s3, s[0:1], 0x0
	s_load_dwordx4 s[4:7], s[0:1], 0x8
	s_lshl_b32 s2, s2, 11
	s_mov_b64 s[0:1], -1
	s_waitcnt lgkmcnt(0)
	s_sub_i32 s10, s3, s2
	s_cmpk_gt_i32 s10, 0x7ff
	s_cbranch_scc0 .LBB211_2
; %bb.1:
	s_ashr_i32 s3, s2, 31
	s_lshl_b64 s[0:1], s[2:3], 1
	s_add_u32 s8, s6, s0
	s_addc_u32 s9, s7, s1
	v_lshlrev_b32_e32 v1, 4, v0
	global_load_dwordx4 v[2:5], v1, s[8:9]
	s_mov_b32 s8, 0
	s_mov_b32 s9, 0x3fd80000
	v_mov_b32_e32 v24, 0x180
	s_movk_i32 s3, 0x1ff
	s_movk_i32 s11, 0xffe
	v_mov_b32_e32 v25, 0x7c00
	v_mov_b32_e32 v26, 0x7e00
	s_movk_i32 s12, 0x40f
	s_mov_b32 s13, 0x8000
	s_add_u32 s0, s4, s0
	s_addc_u32 s1, s5, s1
	s_waitcnt vmcnt(0)
	v_cvt_f32_f16_e32 v6, v2
	v_cvt_f32_f16_sdwa v2, v2 dst_sel:DWORD dst_unused:UNUSED_PAD src0_sel:WORD_1
	v_cvt_f32_f16_e32 v10, v3
	v_cvt_f32_f16_sdwa v3, v3 dst_sel:DWORD dst_unused:UNUSED_PAD src0_sel:WORD_1
	v_cvt_f64_f32_e32 v[6:7], v6
	v_cvt_f64_f32_e32 v[8:9], v2
	v_rsq_f64_e32 v[12:13], v[6:7]
	v_rsq_f64_e32 v[14:15], v[8:9]
	v_cvt_f64_f32_e32 v[10:11], v10
	v_rsq_f64_e32 v[16:17], v[10:11]
	v_mul_f64 v[6:7], v[12:13], -v[6:7]
	v_mul_f64 v[8:9], v[14:15], -v[8:9]
	v_fma_f64 v[6:7], v[6:7], v[12:13], 1.0
	v_fma_f64 v[8:9], v[8:9], v[14:15], 1.0
	v_mul_f64 v[18:19], v[12:13], v[6:7]
	v_fma_f64 v[6:7], v[6:7], s[8:9], 0.5
	v_mul_f64 v[20:21], v[14:15], v[8:9]
	v_fma_f64 v[8:9], v[8:9], s[8:9], 0.5
	v_fma_f64 v[6:7], v[18:19], v[6:7], v[12:13]
	v_cmp_class_f64_e32 vcc, v[12:13], v24
	v_fma_f64 v[8:9], v[20:21], v[8:9], v[14:15]
	v_mul_f64 v[10:11], v[16:17], -v[10:11]
	v_cndmask_b32_e32 v2, v12, v6, vcc
	v_cndmask_b32_e32 v6, v13, v7, vcc
	v_cmp_class_f64_e32 vcc, v[14:15], v24
	v_and_or_b32 v2, v6, s3, v2
	v_bfe_u32 v12, v6, 20, 11
	v_cndmask_b32_e32 v7, v14, v8, vcc
	v_cndmask_b32_e32 v8, v15, v9, vcc
	v_and_or_b32 v7, v8, s3, v7
	v_cmp_ne_u32_e32 vcc, 0, v2
	v_lshrrev_b32_e32 v9, 8, v6
	v_lshrrev_b32_e32 v13, 8, v8
	v_cndmask_b32_e64 v2, 0, 1, vcc
	v_cmp_ne_u32_e32 vcc, 0, v7
	v_bfe_u32 v14, v8, 20, 11
	v_sub_u32_e32 v15, 0x3f1, v12
	v_cndmask_b32_e64 v7, 0, 1, vcc
	v_and_or_b32 v2, v9, s11, v2
	v_fma_f64 v[10:11], v[10:11], v[16:17], 1.0
	v_sub_u32_e32 v18, 0x3f1, v14
	v_med3_i32 v9, v15, 0, 13
	v_and_or_b32 v7, v13, s11, v7
	v_or_b32_e32 v15, 0x1000, v2
	v_mul_f64 v[22:23], v[16:17], v[10:11]
	v_fma_f64 v[10:11], v[10:11], s[8:9], 0.5
	v_add_u32_e32 v12, 0xfffffc10, v12
	v_med3_i32 v13, v18, 0, 13
	v_cmp_ne_u32_e32 vcc, 0, v2
	v_or_b32_e32 v19, 0x1000, v7
	v_lshrrev_b32_e32 v21, v9, v15
	v_fma_f64 v[10:11], v[22:23], v[10:11], v[16:17]
	v_add_u32_e32 v14, 0xfffffc10, v14
	v_lshl_or_b32 v18, v12, 12, v2
	v_cndmask_b32_e32 v2, v25, v26, vcc
	v_cmp_ne_u32_e32 vcc, 0, v7
	v_lshrrev_b32_e32 v22, v13, v19
	v_lshlrev_b32_e32 v9, v9, v21
	v_lshl_or_b32 v20, v14, 12, v7
	v_cndmask_b32_e32 v7, v25, v26, vcc
	v_lshlrev_b32_e32 v13, v13, v22
	v_cmp_ne_u32_e32 vcc, v9, v15
	v_lshrrev_b32_e32 v6, 16, v6
	v_lshrrev_b32_e32 v8, 16, v8
	v_cndmask_b32_e64 v9, 0, 1, vcc
	v_cmp_ne_u32_e32 vcc, v13, v19
	v_or_b32_e32 v9, v21, v9
	s_nop 0
	v_cndmask_b32_e64 v13, 0, 1, vcc
	v_cmp_gt_i32_e32 vcc, 1, v12
	v_or_b32_e32 v13, v22, v13
	s_nop 0
	v_cndmask_b32_e32 v9, v18, v9, vcc
	v_cmp_gt_i32_e32 vcc, 1, v14
	v_and_b32_e32 v15, 7, v9
	v_lshrrev_b32_e32 v9, 2, v9
	v_cndmask_b32_e32 v13, v20, v13, vcc
	v_cmp_lt_i32_e32 vcc, 5, v15
	v_and_b32_e32 v18, 7, v13
	v_lshrrev_b32_e32 v13, 2, v13
	v_cndmask_b32_e64 v19, 0, 1, vcc
	v_cmp_eq_u32_e32 vcc, 3, v15
	s_nop 1
	v_cndmask_b32_e64 v15, 0, 1, vcc
	v_cmp_lt_i32_e32 vcc, 5, v18
	v_or_b32_e32 v15, v15, v19
	v_add_u32_e32 v9, v9, v15
	v_cndmask_b32_e64 v20, 0, 1, vcc
	v_cmp_eq_u32_e32 vcc, 3, v18
	s_nop 1
	v_cndmask_b32_e64 v18, 0, 1, vcc
	v_or_b32_e32 v18, v18, v20
	v_cmp_gt_i32_e32 vcc, 31, v12
	v_add_u32_e32 v13, v13, v18
	s_nop 0
	v_cndmask_b32_e32 v9, v25, v9, vcc
	v_cmp_gt_i32_e32 vcc, 31, v14
	s_nop 1
	v_cndmask_b32_e32 v13, v25, v13, vcc
	v_cmp_eq_u32_e32 vcc, s12, v12
	s_nop 1
	v_cndmask_b32_e32 v2, v9, v2, vcc
	v_cmp_eq_u32_e32 vcc, s12, v14
	v_and_or_b32 v12, v6, s13, v2
	s_nop 0
	v_cndmask_b32_e32 v7, v13, v7, vcc
	v_cmp_class_f64_e32 vcc, v[16:17], v24
	v_and_or_b32 v13, v8, s13, v7
	s_nop 0
	v_cndmask_b32_e32 v2, v16, v10, vcc
	v_cndmask_b32_e32 v8, v17, v11, vcc
	v_and_or_b32 v2, v8, s3, v2
	v_cmp_ne_u32_e32 vcc, 0, v2
	v_lshrrev_b32_e32 v6, 8, v8
	v_bfe_u32 v7, v8, 20, 11
	v_cndmask_b32_e64 v2, 0, 1, vcc
	v_and_or_b32 v2, v6, s11, v2
	v_sub_u32_e32 v9, 0x3f1, v7
	v_or_b32_e32 v6, 0x1000, v2
	v_med3_i32 v9, v9, 0, 13
	v_lshrrev_b32_e32 v10, v9, v6
	v_lshlrev_b32_e32 v9, v9, v10
	v_cmp_ne_u32_e32 vcc, v9, v6
	v_add_u32_e32 v9, 0xfffffc10, v7
	v_lshl_or_b32 v7, v9, 12, v2
	v_cndmask_b32_e64 v6, 0, 1, vcc
	v_or_b32_e32 v6, v10, v6
	v_cmp_gt_i32_e32 vcc, 1, v9
	v_lshrrev_b32_e32 v8, 16, v8
	s_nop 0
	v_cndmask_b32_e32 v6, v7, v6, vcc
	v_and_b32_e32 v7, 7, v6
	v_cmp_lt_i32_e32 vcc, 5, v7
	v_lshrrev_b32_e32 v6, 2, v6
	s_nop 0
	v_cndmask_b32_e64 v10, 0, 1, vcc
	v_cmp_eq_u32_e32 vcc, 3, v7
	s_nop 1
	v_cndmask_b32_e64 v7, 0, 1, vcc
	v_or_b32_e32 v7, v7, v10
	v_add_u32_e32 v6, v6, v7
	v_cmp_gt_i32_e32 vcc, 31, v9
	s_nop 1
	v_cndmask_b32_e32 v10, v25, v6, vcc
	v_cmp_ne_u32_e32 vcc, 0, v2
	v_cvt_f64_f32_e32 v[2:3], v3
	v_rsq_f64_e32 v[6:7], v[2:3]
	v_cndmask_b32_e32 v11, v25, v26, vcc
	v_cmp_eq_u32_e32 vcc, s12, v9
	v_mul_f64 v[2:3], v[6:7], -v[2:3]
	s_nop 0
	v_cndmask_b32_e32 v9, v10, v11, vcc
	v_fma_f64 v[2:3], v[2:3], v[6:7], 1.0
	v_and_or_b32 v10, v8, s13, v9
	v_mul_f64 v[8:9], v[6:7], v[2:3]
	v_fma_f64 v[2:3], v[2:3], s[8:9], 0.5
	v_fma_f64 v[2:3], v[8:9], v[2:3], v[6:7]
	v_cmp_class_f64_e32 vcc, v[6:7], v24
	s_nop 1
	v_cndmask_b32_e32 v2, v6, v2, vcc
	v_cndmask_b32_e32 v8, v7, v3, vcc
	v_and_or_b32 v2, v8, s3, v2
	v_cmp_ne_u32_e32 vcc, 0, v2
	v_lshrrev_b32_e32 v3, 8, v8
	v_bfe_u32 v6, v8, 20, 11
	v_cndmask_b32_e64 v2, 0, 1, vcc
	v_and_or_b32 v2, v3, s11, v2
	v_sub_u32_e32 v7, 0x3f1, v6
	v_or_b32_e32 v3, 0x1000, v2
	v_med3_i32 v7, v7, 0, 13
	v_lshrrev_b32_e32 v9, v7, v3
	v_lshlrev_b32_e32 v7, v7, v9
	v_cmp_ne_u32_e32 vcc, v7, v3
	v_lshrrev_b32_e32 v8, 16, v8
	s_nop 0
	v_cndmask_b32_e64 v3, 0, 1, vcc
	v_or_b32_e32 v3, v9, v3
	v_add_u32_e32 v9, 0xfffffc10, v6
	v_lshl_or_b32 v6, v9, 12, v2
	v_cmp_gt_i32_e32 vcc, 1, v9
	s_nop 1
	v_cndmask_b32_e32 v3, v6, v3, vcc
	v_and_b32_e32 v6, 7, v3
	v_cmp_lt_i32_e32 vcc, 5, v6
	v_lshrrev_b32_e32 v3, 2, v3
	s_nop 0
	v_cndmask_b32_e64 v7, 0, 1, vcc
	v_cmp_eq_u32_e32 vcc, 3, v6
	s_nop 1
	v_cndmask_b32_e64 v6, 0, 1, vcc
	v_or_b32_e32 v6, v6, v7
	v_add_u32_e32 v3, v3, v6
	v_cvt_f32_f16_e32 v6, v4
	v_cmp_gt_i32_e32 vcc, 31, v9
	v_cvt_f32_f16_sdwa v4, v4 dst_sel:DWORD dst_unused:UNUSED_PAD src0_sel:WORD_1
	s_nop 0
	v_cndmask_b32_e32 v11, v25, v3, vcc
	v_cmp_ne_u32_e32 vcc, 0, v2
	v_cvt_f64_f32_e32 v[2:3], v6
	v_rsq_f64_e32 v[6:7], v[2:3]
	v_cndmask_b32_e32 v14, v25, v26, vcc
	v_cmp_eq_u32_e32 vcc, s12, v9
	v_mul_f64 v[2:3], v[6:7], -v[2:3]
	s_nop 0
	v_cndmask_b32_e32 v9, v11, v14, vcc
	v_fma_f64 v[2:3], v[2:3], v[6:7], 1.0
	v_and_or_b32 v11, v8, s13, v9
	v_mul_f64 v[8:9], v[6:7], v[2:3]
	v_fma_f64 v[2:3], v[2:3], s[8:9], 0.5
	v_fma_f64 v[2:3], v[8:9], v[2:3], v[6:7]
	v_cmp_class_f64_e32 vcc, v[6:7], v24
	s_nop 1
	v_cndmask_b32_e32 v2, v6, v2, vcc
	v_cndmask_b32_e32 v8, v7, v3, vcc
	v_and_or_b32 v2, v8, s3, v2
	v_cmp_ne_u32_e32 vcc, 0, v2
	v_lshrrev_b32_e32 v3, 8, v8
	v_bfe_u32 v6, v8, 20, 11
	v_cndmask_b32_e64 v2, 0, 1, vcc
	v_and_or_b32 v2, v3, s11, v2
	v_sub_u32_e32 v7, 0x3f1, v6
	v_or_b32_e32 v3, 0x1000, v2
	v_med3_i32 v7, v7, 0, 13
	v_lshrrev_b32_e32 v9, v7, v3
	v_lshlrev_b32_e32 v7, v7, v9
	v_cmp_ne_u32_e32 vcc, v7, v3
	v_lshrrev_b32_e32 v8, 16, v8
	s_nop 0
	v_cndmask_b32_e64 v3, 0, 1, vcc
	v_or_b32_e32 v3, v9, v3
	v_add_u32_e32 v9, 0xfffffc10, v6
	v_lshl_or_b32 v6, v9, 12, v2
	v_cmp_gt_i32_e32 vcc, 1, v9
	s_nop 1
	v_cndmask_b32_e32 v3, v6, v3, vcc
	v_and_b32_e32 v6, 7, v3
	v_cmp_lt_i32_e32 vcc, 5, v6
	v_lshrrev_b32_e32 v3, 2, v3
	s_nop 0
	v_cndmask_b32_e64 v7, 0, 1, vcc
	v_cmp_eq_u32_e32 vcc, 3, v6
	s_nop 1
	v_cndmask_b32_e64 v6, 0, 1, vcc
	v_or_b32_e32 v6, v6, v7
	v_add_u32_e32 v3, v3, v6
	v_cmp_gt_i32_e32 vcc, 31, v9
	s_nop 1
	v_cndmask_b32_e32 v14, v25, v3, vcc
	v_cmp_ne_u32_e32 vcc, 0, v2
	v_cvt_f64_f32_e32 v[2:3], v4
	v_rsq_f64_e32 v[6:7], v[2:3]
	v_cndmask_b32_e32 v15, v25, v26, vcc
	v_cmp_eq_u32_e32 vcc, s12, v9
	v_mul_f64 v[2:3], v[6:7], -v[2:3]
	s_nop 0
	v_cndmask_b32_e32 v4, v14, v15, vcc
	v_fma_f64 v[2:3], v[2:3], v[6:7], 1.0
	v_and_or_b32 v14, v8, s13, v4
	v_mul_f64 v[8:9], v[6:7], v[2:3]
	v_fma_f64 v[2:3], v[2:3], s[8:9], 0.5
	v_fma_f64 v[2:3], v[8:9], v[2:3], v[6:7]
	v_cmp_class_f64_e32 vcc, v[6:7], v24
	s_nop 1
	v_cndmask_b32_e32 v2, v6, v2, vcc
	v_cndmask_b32_e32 v4, v7, v3, vcc
	v_and_or_b32 v2, v4, s3, v2
	v_cmp_ne_u32_e32 vcc, 0, v2
	v_lshrrev_b32_e32 v3, 8, v4
	v_bfe_u32 v6, v4, 20, 11
	v_cndmask_b32_e64 v2, 0, 1, vcc
	v_and_or_b32 v2, v3, s11, v2
	v_sub_u32_e32 v7, 0x3f1, v6
	v_or_b32_e32 v3, 0x1000, v2
	v_med3_i32 v7, v7, 0, 13
	v_lshrrev_b32_e32 v8, v7, v3
	v_lshlrev_b32_e32 v7, v7, v8
	v_cmp_ne_u32_e32 vcc, v7, v3
	v_lshrrev_b32_e32 v4, 16, v4
	s_nop 0
	v_cndmask_b32_e64 v3, 0, 1, vcc
	v_or_b32_e32 v3, v8, v3
	v_add_u32_e32 v8, 0xfffffc10, v6
	v_lshl_or_b32 v6, v8, 12, v2
	v_cmp_gt_i32_e32 vcc, 1, v8
	s_nop 1
	v_cndmask_b32_e32 v3, v6, v3, vcc
	v_and_b32_e32 v6, 7, v3
	v_cmp_lt_i32_e32 vcc, 5, v6
	v_lshrrev_b32_e32 v3, 2, v3
	s_nop 0
	v_cndmask_b32_e64 v7, 0, 1, vcc
	v_cmp_eq_u32_e32 vcc, 3, v6
	s_nop 1
	v_cndmask_b32_e64 v6, 0, 1, vcc
	v_or_b32_e32 v6, v6, v7
	v_add_u32_e32 v3, v3, v6
	v_cvt_f32_f16_e32 v6, v5
	v_cmp_gt_i32_e32 vcc, 31, v8
	s_nop 1
	v_cndmask_b32_e32 v9, v25, v3, vcc
	v_cmp_ne_u32_e32 vcc, 0, v2
	v_cvt_f64_f32_e32 v[2:3], v6
	v_rsq_f64_e32 v[6:7], v[2:3]
	v_cndmask_b32_e32 v15, v25, v26, vcc
	v_cmp_eq_u32_e32 vcc, s12, v8
	v_mul_f64 v[2:3], v[6:7], -v[2:3]
	s_nop 0
	v_cndmask_b32_e32 v8, v9, v15, vcc
	v_fma_f64 v[2:3], v[2:3], v[6:7], 1.0
	v_and_or_b32 v15, v4, s13, v8
	v_mul_f64 v[8:9], v[6:7], v[2:3]
	v_fma_f64 v[2:3], v[2:3], s[8:9], 0.5
	v_fma_f64 v[2:3], v[8:9], v[2:3], v[6:7]
	v_cmp_class_f64_e32 vcc, v[6:7], v24
	s_nop 1
	v_cndmask_b32_e32 v2, v6, v2, vcc
	v_cndmask_b32_e32 v6, v7, v3, vcc
	v_and_or_b32 v2, v6, s3, v2
	v_cmp_ne_u32_e32 vcc, 0, v2
	v_lshrrev_b32_e32 v3, 8, v6
	v_bfe_u32 v4, v6, 20, 11
	v_cndmask_b32_e64 v2, 0, 1, vcc
	v_and_or_b32 v2, v3, s11, v2
	v_sub_u32_e32 v7, 0x3f1, v4
	v_or_b32_e32 v3, 0x1000, v2
	v_med3_i32 v7, v7, 0, 13
	v_lshrrev_b32_e32 v8, v7, v3
	v_lshlrev_b32_e32 v7, v7, v8
	v_cmp_ne_u32_e32 vcc, v7, v3
	v_add_u32_e32 v7, 0xfffffc10, v4
	v_lshl_or_b32 v4, v7, 12, v2
	v_cndmask_b32_e64 v3, 0, 1, vcc
	v_or_b32_e32 v3, v8, v3
	v_cmp_gt_i32_e32 vcc, 1, v7
	v_lshrrev_b32_e32 v6, 16, v6
	s_nop 0
	v_cndmask_b32_e32 v3, v4, v3, vcc
	v_and_b32_e32 v4, 7, v3
	v_cmp_lt_i32_e32 vcc, 5, v4
	v_lshrrev_b32_e32 v3, 2, v3
	s_nop 0
	v_cndmask_b32_e64 v8, 0, 1, vcc
	v_cmp_eq_u32_e32 vcc, 3, v4
	s_nop 1
	v_cndmask_b32_e64 v4, 0, 1, vcc
	v_or_b32_e32 v4, v4, v8
	v_add_u32_e32 v3, v3, v4
	v_cvt_f32_f16_sdwa v4, v5 dst_sel:DWORD dst_unused:UNUSED_PAD src0_sel:WORD_1
	v_cmp_gt_i32_e32 vcc, 31, v7
	s_nop 1
	v_cndmask_b32_e32 v8, v25, v3, vcc
	v_cmp_ne_u32_e32 vcc, 0, v2
	v_cvt_f64_f32_e32 v[2:3], v4
	v_rsq_f64_e32 v[4:5], v[2:3]
	v_cndmask_b32_e32 v9, v25, v26, vcc
	v_cmp_eq_u32_e32 vcc, s12, v7
	v_mul_f64 v[2:3], v[4:5], -v[2:3]
	s_nop 0
	v_cndmask_b32_e32 v7, v8, v9, vcc
	v_fma_f64 v[2:3], v[2:3], v[4:5], 1.0
	v_and_or_b32 v8, v6, s13, v7
	v_mul_f64 v[6:7], v[4:5], v[2:3]
	v_fma_f64 v[2:3], v[2:3], s[8:9], 0.5
	v_fma_f64 v[2:3], v[6:7], v[2:3], v[4:5]
	v_cmp_class_f64_e32 vcc, v[4:5], v24
	s_nop 1
	v_cndmask_b32_e32 v2, v4, v2, vcc
	v_cndmask_b32_e32 v3, v5, v3, vcc
	v_and_or_b32 v2, v3, s3, v2
	v_cmp_ne_u32_e32 vcc, 0, v2
	v_lshrrev_b32_e32 v4, 8, v3
	v_bfe_u32 v5, v3, 20, 11
	v_cndmask_b32_e64 v2, 0, 1, vcc
	v_and_or_b32 v2, v4, s11, v2
	v_sub_u32_e32 v6, 0x3f1, v5
	v_or_b32_e32 v4, 0x1000, v2
	v_med3_i32 v6, v6, 0, 13
	v_lshrrev_b32_e32 v7, v6, v4
	v_lshlrev_b32_e32 v6, v6, v7
	v_cmp_ne_u32_e32 vcc, v6, v4
	v_add_u32_e32 v5, 0xfffffc10, v5
	v_lshl_or_b32 v6, v5, 12, v2
	v_cndmask_b32_e64 v4, 0, 1, vcc
	v_or_b32_e32 v4, v7, v4
	v_cmp_gt_i32_e32 vcc, 1, v5
	v_lshrrev_b32_e32 v3, 16, v3
	s_mov_b32 s3, 0x5040100
	v_cndmask_b32_e32 v4, v6, v4, vcc
	v_and_b32_e32 v6, 7, v4
	v_cmp_lt_i32_e32 vcc, 5, v6
	v_lshrrev_b32_e32 v4, 2, v4
	s_nop 0
	v_cndmask_b32_e64 v7, 0, 1, vcc
	v_cmp_eq_u32_e32 vcc, 3, v6
	s_nop 1
	v_cndmask_b32_e64 v6, 0, 1, vcc
	v_or_b32_e32 v6, v6, v7
	v_add_u32_e32 v4, v4, v6
	v_cmp_gt_i32_e32 vcc, 31, v5
	s_nop 1
	v_cndmask_b32_e32 v4, v25, v4, vcc
	v_cmp_ne_u32_e32 vcc, 0, v2
	s_nop 1
	v_cndmask_b32_e32 v2, v25, v26, vcc
	v_cmp_eq_u32_e32 vcc, s12, v5
	s_nop 1
	v_cndmask_b32_e32 v2, v4, v2, vcc
	v_and_or_b32 v2, v3, s13, v2
	v_perm_b32 v5, v2, v8, s3
	v_perm_b32 v4, v15, v14, s3
	v_perm_b32 v3, v11, v10, s3
	v_perm_b32 v2, v13, v12, s3
	global_store_dwordx4 v1, v[2:5], s[0:1]
	s_mov_b64 s[0:1], 0
.LBB211_2:
	s_andn2_b64 vcc, exec, s[0:1]
	s_cbranch_vccnz .LBB211_41
; %bb.3:
	v_cmp_gt_i32_e32 vcc, s10, v0
	v_mov_b64_e32 v[16:17], 0
	v_or_b32_e32 v2, s2, v0
	v_mov_b64_e32 v[18:19], 0
	v_mov_b32_e32 v1, v0
	s_and_saveexec_b64 s[0:1], vcc
	s_cbranch_execz .LBB211_5
; %bb.4:
	v_mov_b32_e32 v3, 0
	v_lshl_add_u64 v[4:5], v[2:3], 1, s[6:7]
	global_load_ushort v1, v[4:5], off
	s_waitcnt vmcnt(0)
	v_cvt_f32_f16_e32 v3, v1
	v_or_b32_e32 v1, 0x100, v0
	v_cvt_f64_f32_e32 v[18:19], v3
.LBB211_5:
	s_or_b64 exec, exec, s[0:1]
	v_cmp_gt_i32_e64 s[0:1], s10, v1
	s_and_saveexec_b64 s[8:9], s[0:1]
	s_cbranch_execz .LBB211_7
; %bb.6:
	v_add_u32_e32 v4, s2, v1
	v_mov_b32_e32 v5, 0
	v_lshl_add_u64 v[4:5], v[4:5], 1, s[6:7]
	global_load_ushort v3, v[4:5], off
	v_add_u32_e32 v1, 0x100, v1
	s_waitcnt vmcnt(0)
	v_cvt_f32_f16_e32 v3, v3
	v_cvt_f64_f32_e32 v[16:17], v3
.LBB211_7:
	s_or_b64 exec, exec, s[8:9]
	v_cmp_gt_i32_e64 s[0:1], s10, v1
	v_mov_b64_e32 v[12:13], 0
	v_mov_b64_e32 v[14:15], 0
	s_and_saveexec_b64 s[8:9], s[0:1]
	s_cbranch_execz .LBB211_9
; %bb.8:
	v_add_u32_e32 v4, s2, v1
	v_mov_b32_e32 v5, 0
	v_lshl_add_u64 v[4:5], v[4:5], 1, s[6:7]
	global_load_ushort v3, v[4:5], off
	v_add_u32_e32 v1, 0x100, v1
	s_waitcnt vmcnt(0)
	v_cvt_f32_f16_e32 v3, v3
	v_cvt_f64_f32_e32 v[14:15], v3
.LBB211_9:
	s_or_b64 exec, exec, s[8:9]
	v_cmp_gt_i32_e64 s[0:1], s10, v1
	s_and_saveexec_b64 s[8:9], s[0:1]
	s_cbranch_execz .LBB211_11
; %bb.10:
	v_add_u32_e32 v4, s2, v1
	v_mov_b32_e32 v5, 0
	v_lshl_add_u64 v[4:5], v[4:5], 1, s[6:7]
	global_load_ushort v3, v[4:5], off
	v_add_u32_e32 v1, 0x100, v1
	s_waitcnt vmcnt(0)
	v_cvt_f32_f16_e32 v3, v3
	v_cvt_f64_f32_e32 v[12:13], v3
.LBB211_11:
	s_or_b64 exec, exec, s[8:9]
	v_cmp_gt_i32_e64 s[0:1], s10, v1
	v_mov_b64_e32 v[8:9], 0
	v_mov_b64_e32 v[10:11], 0
	s_and_saveexec_b64 s[8:9], s[0:1]
	s_cbranch_execz .LBB211_13
; %bb.12:
	v_add_u32_e32 v4, s2, v1
	v_mov_b32_e32 v5, 0
	v_lshl_add_u64 v[4:5], v[4:5], 1, s[6:7]
	global_load_ushort v3, v[4:5], off
	v_add_u32_e32 v1, 0x100, v1
	s_waitcnt vmcnt(0)
	v_cvt_f32_f16_e32 v3, v3
	v_cvt_f64_f32_e32 v[10:11], v3
.LBB211_13:
	s_or_b64 exec, exec, s[8:9]
	v_cmp_gt_i32_e64 s[0:1], s10, v1
	s_and_saveexec_b64 s[8:9], s[0:1]
	s_cbranch_execz .LBB211_15
; %bb.14:
	v_add_u32_e32 v4, s2, v1
	v_mov_b32_e32 v5, 0
	v_lshl_add_u64 v[4:5], v[4:5], 1, s[6:7]
	global_load_ushort v3, v[4:5], off
	v_add_u32_e32 v1, 0x100, v1
	s_waitcnt vmcnt(0)
	v_cvt_f32_f16_e32 v3, v3
	v_cvt_f64_f32_e32 v[8:9], v3
.LBB211_15:
	s_or_b64 exec, exec, s[8:9]
	v_cmp_gt_i32_e64 s[0:1], s10, v1
	v_mov_b64_e32 v[4:5], 0
	v_mov_b64_e32 v[6:7], 0
	s_and_saveexec_b64 s[8:9], s[0:1]
	s_cbranch_execnz .LBB211_42
; %bb.16:
	s_or_b64 exec, exec, s[8:9]
	v_cmp_gt_i32_e64 s[0:1], s10, v1
	s_and_saveexec_b64 s[8:9], s[0:1]
	s_cbranch_execnz .LBB211_43
.LBB211_17:
	s_or_b64 exec, exec, s[8:9]
                                        ; implicit-def: $vgpr1
	s_and_saveexec_b64 s[6:7], vcc
	s_cbranch_execz .LBB211_19
.LBB211_18:
	v_rsq_f64_e32 v[20:21], v[18:19]
	s_mov_b32 s0, 0
	s_mov_b32 s1, 0x3fd80000
	v_mov_b32_e32 v1, 0x180
	v_mul_f64 v[18:19], v[20:21], -v[18:19]
	v_fma_f64 v[18:19], v[18:19], v[20:21], 1.0
	v_mul_f64 v[22:23], v[20:21], v[18:19]
	v_fma_f64 v[18:19], v[18:19], s[0:1], 0.5
	v_fma_f64 v[18:19], v[22:23], v[18:19], v[20:21]
	v_cmp_class_f64_e64 s[0:1], v[20:21], v1
	s_nop 1
	v_cndmask_b32_e64 v1, v20, v18, s[0:1]
	v_cndmask_b32_e64 v3, v21, v19, s[0:1]
	s_movk_i32 s0, 0x1ff
	v_and_or_b32 v1, v3, s0, v1
	v_cmp_ne_u32_e64 s[0:1], 0, v1
	v_lshrrev_b32_e32 v18, 8, v3
	v_bfe_u32 v19, v3, 20, 11
	v_cndmask_b32_e64 v1, 0, 1, s[0:1]
	s_movk_i32 s0, 0xffe
	v_and_or_b32 v1, v18, s0, v1
	v_sub_u32_e32 v20, 0x3f1, v19
	v_or_b32_e32 v18, 0x1000, v1
	v_med3_i32 v20, v20, 0, 13
	v_lshrrev_b32_e32 v21, v20, v18
	v_lshlrev_b32_e32 v20, v20, v21
	v_cmp_ne_u32_e64 s[0:1], v20, v18
	v_add_u32_e32 v19, 0xfffffc10, v19
	v_lshl_or_b32 v20, v19, 12, v1
	v_cndmask_b32_e64 v18, 0, 1, s[0:1]
	v_or_b32_e32 v18, v21, v18
	v_cmp_gt_i32_e64 s[0:1], 1, v19
	v_lshrrev_b32_e32 v3, 16, v3
	s_nop 0
	v_cndmask_b32_e64 v18, v20, v18, s[0:1]
	v_and_b32_e32 v20, 7, v18
	v_cmp_lt_i32_e64 s[0:1], 5, v20
	v_lshrrev_b32_e32 v18, 2, v18
	s_nop 0
	v_cndmask_b32_e64 v21, 0, 1, s[0:1]
	v_cmp_eq_u32_e64 s[0:1], 3, v20
	s_nop 1
	v_cndmask_b32_e64 v20, 0, 1, s[0:1]
	v_or_b32_e32 v20, v20, v21
	v_add_u32_e32 v18, v18, v20
	v_mov_b32_e32 v20, 0x7c00
	v_cmp_gt_i32_e64 s[0:1], 31, v19
	v_mov_b32_e32 v21, 0x7e00
	s_nop 0
	v_cndmask_b32_e64 v18, v20, v18, s[0:1]
	v_cmp_ne_u32_e64 s[0:1], 0, v1
	s_nop 1
	v_cndmask_b32_e64 v1, v20, v21, s[0:1]
	s_movk_i32 s0, 0x40f
	v_cmp_eq_u32_e64 s[0:1], s0, v19
	s_nop 1
	v_cndmask_b32_e64 v1, v18, v1, s[0:1]
	s_mov_b32 s0, 0x8000
	v_and_or_b32 v1, v3, s0, v1
.LBB211_19:
	s_or_b64 exec, exec, s[6:7]
	v_or_b32_e32 v18, 0x100, v0
	v_cmp_gt_i32_e64 s[0:1], s10, v18
                                        ; implicit-def: $vgpr19
	s_and_saveexec_b64 s[6:7], s[0:1]
	s_cbranch_execz .LBB211_21
; %bb.20:
	v_rsq_f64_e32 v[20:21], v[16:17]
	s_mov_b32 s0, 0
	s_mov_b32 s1, 0x3fd80000
	v_mov_b32_e32 v3, 0x180
	v_mul_f64 v[16:17], v[20:21], -v[16:17]
	v_fma_f64 v[16:17], v[16:17], v[20:21], 1.0
	v_mul_f64 v[22:23], v[20:21], v[16:17]
	v_fma_f64 v[16:17], v[16:17], s[0:1], 0.5
	v_fma_f64 v[16:17], v[22:23], v[16:17], v[20:21]
	v_cmp_class_f64_e64 s[0:1], v[20:21], v3
	s_nop 1
	v_cndmask_b32_e64 v3, v20, v16, s[0:1]
	v_cndmask_b32_e64 v16, v21, v17, s[0:1]
	s_movk_i32 s0, 0x1ff
	v_and_or_b32 v3, v16, s0, v3
	v_cmp_ne_u32_e64 s[0:1], 0, v3
	v_lshrrev_b32_e32 v17, 8, v16
	v_bfe_u32 v19, v16, 20, 11
	v_cndmask_b32_e64 v3, 0, 1, s[0:1]
	s_movk_i32 s0, 0xffe
	v_and_or_b32 v3, v17, s0, v3
	v_sub_u32_e32 v20, 0x3f1, v19
	v_or_b32_e32 v17, 0x1000, v3
	v_med3_i32 v20, v20, 0, 13
	v_lshrrev_b32_e32 v21, v20, v17
	v_lshlrev_b32_e32 v20, v20, v21
	v_cmp_ne_u32_e64 s[0:1], v20, v17
	v_add_u32_e32 v19, 0xfffffc10, v19
	v_lshl_or_b32 v20, v19, 12, v3
	v_cndmask_b32_e64 v17, 0, 1, s[0:1]
	v_or_b32_e32 v17, v21, v17
	v_cmp_gt_i32_e64 s[0:1], 1, v19
	v_lshrrev_b32_e32 v16, 16, v16
	s_nop 0
	v_cndmask_b32_e64 v17, v20, v17, s[0:1]
	v_and_b32_e32 v20, 7, v17
	v_cmp_lt_i32_e64 s[0:1], 5, v20
	v_lshrrev_b32_e32 v17, 2, v17
	s_nop 0
	v_cndmask_b32_e64 v21, 0, 1, s[0:1]
	v_cmp_eq_u32_e64 s[0:1], 3, v20
	s_nop 1
	v_cndmask_b32_e64 v20, 0, 1, s[0:1]
	v_or_b32_e32 v20, v20, v21
	v_add_u32_e32 v17, v17, v20
	v_mov_b32_e32 v20, 0x7c00
	v_cmp_gt_i32_e64 s[0:1], 31, v19
	v_mov_b32_e32 v21, 0x7e00
	s_nop 0
	v_cndmask_b32_e64 v17, v20, v17, s[0:1]
	v_cmp_ne_u32_e64 s[0:1], 0, v3
	s_nop 1
	v_cndmask_b32_e64 v3, v20, v21, s[0:1]
	s_movk_i32 s0, 0x40f
	v_cmp_eq_u32_e64 s[0:1], s0, v19
	s_nop 1
	v_cndmask_b32_e64 v3, v17, v3, s[0:1]
	s_mov_b32 s0, 0x8000
	v_and_or_b32 v19, v16, s0, v3
.LBB211_21:
	s_or_b64 exec, exec, s[6:7]
	v_or_b32_e32 v3, 0x200, v0
	v_cmp_gt_i32_e64 s[0:1], s10, v3
                                        ; implicit-def: $vgpr16
	s_and_saveexec_b64 s[6:7], s[0:1]
	s_cbranch_execz .LBB211_23
; %bb.22:
	v_rsq_f64_e32 v[16:17], v[14:15]
	s_mov_b32 s0, 0
	s_mov_b32 s1, 0x3fd80000
	v_mov_b32_e32 v3, 0x180
	v_mul_f64 v[14:15], v[16:17], -v[14:15]
	v_fma_f64 v[14:15], v[14:15], v[16:17], 1.0
	v_mul_f64 v[20:21], v[16:17], v[14:15]
	v_fma_f64 v[14:15], v[14:15], s[0:1], 0.5
	v_fma_f64 v[14:15], v[20:21], v[14:15], v[16:17]
	v_cmp_class_f64_e64 s[0:1], v[16:17], v3
	s_nop 1
	v_cndmask_b32_e64 v3, v16, v14, s[0:1]
	v_cndmask_b32_e64 v14, v17, v15, s[0:1]
	s_movk_i32 s0, 0x1ff
	v_and_or_b32 v3, v14, s0, v3
	v_cmp_ne_u32_e64 s[0:1], 0, v3
	v_lshrrev_b32_e32 v15, 8, v14
	v_bfe_u32 v16, v14, 20, 11
	v_cndmask_b32_e64 v3, 0, 1, s[0:1]
	s_movk_i32 s0, 0xffe
	v_and_or_b32 v3, v15, s0, v3
	v_sub_u32_e32 v17, 0x3f1, v16
	v_or_b32_e32 v15, 0x1000, v3
	v_med3_i32 v17, v17, 0, 13
	v_lshrrev_b32_e32 v20, v17, v15
	v_lshlrev_b32_e32 v17, v17, v20
	v_cmp_ne_u32_e64 s[0:1], v17, v15
	v_add_u32_e32 v16, 0xfffffc10, v16
	v_lshl_or_b32 v17, v16, 12, v3
	v_cndmask_b32_e64 v15, 0, 1, s[0:1]
	v_or_b32_e32 v15, v20, v15
	v_cmp_gt_i32_e64 s[0:1], 1, v16
	v_lshrrev_b32_e32 v14, 16, v14
	s_nop 0
	v_cndmask_b32_e64 v15, v17, v15, s[0:1]
	v_and_b32_e32 v17, 7, v15
	v_cmp_lt_i32_e64 s[0:1], 5, v17
	v_lshrrev_b32_e32 v15, 2, v15
	s_nop 0
	v_cndmask_b32_e64 v20, 0, 1, s[0:1]
	v_cmp_eq_u32_e64 s[0:1], 3, v17
	s_nop 1
	v_cndmask_b32_e64 v17, 0, 1, s[0:1]
	v_or_b32_e32 v17, v17, v20
	v_add_u32_e32 v15, v15, v17
	v_mov_b32_e32 v17, 0x7c00
	v_cmp_gt_i32_e64 s[0:1], 31, v16
	v_mov_b32_e32 v20, 0x7e00
	s_nop 0
	v_cndmask_b32_e64 v15, v17, v15, s[0:1]
	v_cmp_ne_u32_e64 s[0:1], 0, v3
	s_nop 1
	v_cndmask_b32_e64 v3, v17, v20, s[0:1]
	s_movk_i32 s0, 0x40f
	v_cmp_eq_u32_e64 s[0:1], s0, v16
	s_nop 1
	v_cndmask_b32_e64 v3, v15, v3, s[0:1]
	s_mov_b32 s0, 0x8000
	v_and_or_b32 v16, v14, s0, v3
.LBB211_23:
	s_or_b64 exec, exec, s[6:7]
	v_or_b32_e32 v3, 0x300, v0
	v_cmp_gt_i32_e64 s[0:1], s10, v3
                                        ; implicit-def: $vgpr14
	s_and_saveexec_b64 s[6:7], s[0:1]
	s_cbranch_execz .LBB211_25
; %bb.24:
	v_rsq_f64_e32 v[14:15], v[12:13]
	s_mov_b32 s0, 0
	s_mov_b32 s1, 0x3fd80000
	v_mov_b32_e32 v3, 0x180
	v_mul_f64 v[12:13], v[14:15], -v[12:13]
	v_fma_f64 v[12:13], v[12:13], v[14:15], 1.0
	v_mul_f64 v[20:21], v[14:15], v[12:13]
	v_fma_f64 v[12:13], v[12:13], s[0:1], 0.5
	v_fma_f64 v[12:13], v[20:21], v[12:13], v[14:15]
	v_cmp_class_f64_e64 s[0:1], v[14:15], v3
	s_nop 1
	v_cndmask_b32_e64 v3, v14, v12, s[0:1]
	v_cndmask_b32_e64 v12, v15, v13, s[0:1]
	s_movk_i32 s0, 0x1ff
	v_and_or_b32 v3, v12, s0, v3
	v_cmp_ne_u32_e64 s[0:1], 0, v3
	v_lshrrev_b32_e32 v13, 8, v12
	v_bfe_u32 v14, v12, 20, 11
	v_cndmask_b32_e64 v3, 0, 1, s[0:1]
	s_movk_i32 s0, 0xffe
	v_and_or_b32 v3, v13, s0, v3
	v_sub_u32_e32 v15, 0x3f1, v14
	v_or_b32_e32 v13, 0x1000, v3
	v_med3_i32 v15, v15, 0, 13
	v_lshrrev_b32_e32 v17, v15, v13
	v_lshlrev_b32_e32 v15, v15, v17
	v_cmp_ne_u32_e64 s[0:1], v15, v13
	v_add_u32_e32 v14, 0xfffffc10, v14
	v_lshl_or_b32 v15, v14, 12, v3
	v_cndmask_b32_e64 v13, 0, 1, s[0:1]
	v_or_b32_e32 v13, v17, v13
	v_cmp_gt_i32_e64 s[0:1], 1, v14
	v_lshrrev_b32_e32 v12, 16, v12
	s_nop 0
	v_cndmask_b32_e64 v13, v15, v13, s[0:1]
	v_and_b32_e32 v15, 7, v13
	v_cmp_lt_i32_e64 s[0:1], 5, v15
	v_lshrrev_b32_e32 v13, 2, v13
	s_nop 0
	v_cndmask_b32_e64 v17, 0, 1, s[0:1]
	v_cmp_eq_u32_e64 s[0:1], 3, v15
	s_nop 1
	v_cndmask_b32_e64 v15, 0, 1, s[0:1]
	v_or_b32_e32 v15, v15, v17
	v_add_u32_e32 v13, v13, v15
	v_mov_b32_e32 v15, 0x7c00
	v_cmp_gt_i32_e64 s[0:1], 31, v14
	v_mov_b32_e32 v17, 0x7e00
	s_nop 0
	v_cndmask_b32_e64 v13, v15, v13, s[0:1]
	v_cmp_ne_u32_e64 s[0:1], 0, v3
	s_nop 1
	v_cndmask_b32_e64 v3, v15, v17, s[0:1]
	s_movk_i32 s0, 0x40f
	v_cmp_eq_u32_e64 s[0:1], s0, v14
	s_nop 1
	v_cndmask_b32_e64 v3, v13, v3, s[0:1]
	s_mov_b32 s0, 0x8000
	v_and_or_b32 v14, v12, s0, v3
.LBB211_25:
	s_or_b64 exec, exec, s[6:7]
	v_or_b32_e32 v3, 0x400, v0
	v_cmp_gt_i32_e64 s[0:1], s10, v3
                                        ; implicit-def: $vgpr12
	s_and_saveexec_b64 s[6:7], s[0:1]
	s_cbranch_execz .LBB211_27
; %bb.26:
	v_rsq_f64_e32 v[12:13], v[10:11]
	s_mov_b32 s0, 0
	s_mov_b32 s1, 0x3fd80000
	v_mov_b32_e32 v3, 0x180
	v_mul_f64 v[10:11], v[12:13], -v[10:11]
	v_fma_f64 v[10:11], v[10:11], v[12:13], 1.0
	v_mul_f64 v[20:21], v[12:13], v[10:11]
	v_fma_f64 v[10:11], v[10:11], s[0:1], 0.5
	v_fma_f64 v[10:11], v[20:21], v[10:11], v[12:13]
	v_cmp_class_f64_e64 s[0:1], v[12:13], v3
	s_nop 1
	v_cndmask_b32_e64 v3, v12, v10, s[0:1]
	v_cndmask_b32_e64 v10, v13, v11, s[0:1]
	s_movk_i32 s0, 0x1ff
	v_and_or_b32 v3, v10, s0, v3
	v_cmp_ne_u32_e64 s[0:1], 0, v3
	v_lshrrev_b32_e32 v11, 8, v10
	v_bfe_u32 v12, v10, 20, 11
	v_cndmask_b32_e64 v3, 0, 1, s[0:1]
	s_movk_i32 s0, 0xffe
	v_and_or_b32 v3, v11, s0, v3
	v_sub_u32_e32 v13, 0x3f1, v12
	v_or_b32_e32 v11, 0x1000, v3
	v_med3_i32 v13, v13, 0, 13
	v_lshrrev_b32_e32 v15, v13, v11
	v_lshlrev_b32_e32 v13, v13, v15
	v_cmp_ne_u32_e64 s[0:1], v13, v11
	v_add_u32_e32 v12, 0xfffffc10, v12
	v_lshl_or_b32 v13, v12, 12, v3
	v_cndmask_b32_e64 v11, 0, 1, s[0:1]
	v_or_b32_e32 v11, v15, v11
	v_cmp_gt_i32_e64 s[0:1], 1, v12
	v_lshrrev_b32_e32 v10, 16, v10
	s_nop 0
	v_cndmask_b32_e64 v11, v13, v11, s[0:1]
	v_and_b32_e32 v13, 7, v11
	v_cmp_lt_i32_e64 s[0:1], 5, v13
	v_lshrrev_b32_e32 v11, 2, v11
	s_nop 0
	v_cndmask_b32_e64 v15, 0, 1, s[0:1]
	v_cmp_eq_u32_e64 s[0:1], 3, v13
	s_nop 1
	v_cndmask_b32_e64 v13, 0, 1, s[0:1]
	v_or_b32_e32 v13, v13, v15
	v_add_u32_e32 v11, v11, v13
	v_mov_b32_e32 v13, 0x7c00
	v_cmp_gt_i32_e64 s[0:1], 31, v12
	v_mov_b32_e32 v15, 0x7e00
	s_nop 0
	v_cndmask_b32_e64 v11, v13, v11, s[0:1]
	v_cmp_ne_u32_e64 s[0:1], 0, v3
	s_nop 1
	v_cndmask_b32_e64 v3, v13, v15, s[0:1]
	s_movk_i32 s0, 0x40f
	v_cmp_eq_u32_e64 s[0:1], s0, v12
	s_nop 1
	v_cndmask_b32_e64 v3, v11, v3, s[0:1]
	s_mov_b32 s0, 0x8000
	v_and_or_b32 v12, v10, s0, v3
.LBB211_27:
	s_or_b64 exec, exec, s[6:7]
	v_or_b32_e32 v3, 0x500, v0
	v_cmp_gt_i32_e64 s[0:1], s10, v3
                                        ; implicit-def: $vgpr10
	s_and_saveexec_b64 s[6:7], s[0:1]
	s_cbranch_execz .LBB211_29
; %bb.28:
	v_rsq_f64_e32 v[10:11], v[8:9]
	s_mov_b32 s0, 0
	s_mov_b32 s1, 0x3fd80000
	v_mov_b32_e32 v3, 0x180
	v_mul_f64 v[8:9], v[10:11], -v[8:9]
	v_fma_f64 v[8:9], v[8:9], v[10:11], 1.0
	v_mul_f64 v[20:21], v[10:11], v[8:9]
	v_fma_f64 v[8:9], v[8:9], s[0:1], 0.5
	v_fma_f64 v[8:9], v[20:21], v[8:9], v[10:11]
	v_cmp_class_f64_e64 s[0:1], v[10:11], v3
	s_nop 1
	v_cndmask_b32_e64 v3, v10, v8, s[0:1]
	v_cndmask_b32_e64 v8, v11, v9, s[0:1]
	s_movk_i32 s0, 0x1ff
	v_and_or_b32 v3, v8, s0, v3
	v_cmp_ne_u32_e64 s[0:1], 0, v3
	v_lshrrev_b32_e32 v9, 8, v8
	v_bfe_u32 v10, v8, 20, 11
	v_cndmask_b32_e64 v3, 0, 1, s[0:1]
	s_movk_i32 s0, 0xffe
	v_and_or_b32 v3, v9, s0, v3
	v_sub_u32_e32 v11, 0x3f1, v10
	v_or_b32_e32 v9, 0x1000, v3
	v_med3_i32 v11, v11, 0, 13
	v_lshrrev_b32_e32 v13, v11, v9
	v_lshlrev_b32_e32 v11, v11, v13
	v_cmp_ne_u32_e64 s[0:1], v11, v9
	v_add_u32_e32 v10, 0xfffffc10, v10
	v_lshl_or_b32 v11, v10, 12, v3
	v_cndmask_b32_e64 v9, 0, 1, s[0:1]
	v_or_b32_e32 v9, v13, v9
	v_cmp_gt_i32_e64 s[0:1], 1, v10
	v_lshrrev_b32_e32 v8, 16, v8
	s_nop 0
	v_cndmask_b32_e64 v9, v11, v9, s[0:1]
	v_and_b32_e32 v11, 7, v9
	v_cmp_lt_i32_e64 s[0:1], 5, v11
	v_lshrrev_b32_e32 v9, 2, v9
	s_nop 0
	v_cndmask_b32_e64 v13, 0, 1, s[0:1]
	v_cmp_eq_u32_e64 s[0:1], 3, v11
	s_nop 1
	v_cndmask_b32_e64 v11, 0, 1, s[0:1]
	v_or_b32_e32 v11, v11, v13
	v_add_u32_e32 v9, v9, v11
	v_mov_b32_e32 v11, 0x7c00
	v_cmp_gt_i32_e64 s[0:1], 31, v10
	v_mov_b32_e32 v13, 0x7e00
	s_nop 0
	v_cndmask_b32_e64 v9, v11, v9, s[0:1]
	v_cmp_ne_u32_e64 s[0:1], 0, v3
	s_nop 1
	v_cndmask_b32_e64 v3, v11, v13, s[0:1]
	s_movk_i32 s0, 0x40f
	v_cmp_eq_u32_e64 s[0:1], s0, v10
	s_nop 1
	v_cndmask_b32_e64 v3, v9, v3, s[0:1]
	s_mov_b32 s0, 0x8000
	v_and_or_b32 v10, v8, s0, v3
.LBB211_29:
	s_or_b64 exec, exec, s[6:7]
	v_or_b32_e32 v3, 0x600, v0
	v_cmp_gt_i32_e64 s[0:1], s10, v3
                                        ; implicit-def: $vgpr8
	s_and_saveexec_b64 s[6:7], s[0:1]
	s_cbranch_execz .LBB211_31
; %bb.30:
	v_rsq_f64_e32 v[8:9], v[6:7]
	s_mov_b32 s0, 0
	s_mov_b32 s1, 0x3fd80000
	v_mov_b32_e32 v3, 0x180
	v_mul_f64 v[6:7], v[8:9], -v[6:7]
	v_fma_f64 v[6:7], v[6:7], v[8:9], 1.0
	v_mul_f64 v[20:21], v[8:9], v[6:7]
	v_fma_f64 v[6:7], v[6:7], s[0:1], 0.5
	v_fma_f64 v[6:7], v[20:21], v[6:7], v[8:9]
	v_cmp_class_f64_e64 s[0:1], v[8:9], v3
	s_nop 1
	v_cndmask_b32_e64 v3, v8, v6, s[0:1]
	v_cndmask_b32_e64 v6, v9, v7, s[0:1]
	s_movk_i32 s0, 0x1ff
	v_and_or_b32 v3, v6, s0, v3
	v_cmp_ne_u32_e64 s[0:1], 0, v3
	v_lshrrev_b32_e32 v7, 8, v6
	v_bfe_u32 v8, v6, 20, 11
	v_cndmask_b32_e64 v3, 0, 1, s[0:1]
	s_movk_i32 s0, 0xffe
	v_and_or_b32 v3, v7, s0, v3
	v_sub_u32_e32 v9, 0x3f1, v8
	v_or_b32_e32 v7, 0x1000, v3
	v_med3_i32 v9, v9, 0, 13
	v_lshrrev_b32_e32 v11, v9, v7
	v_lshlrev_b32_e32 v9, v9, v11
	v_cmp_ne_u32_e64 s[0:1], v9, v7
	v_add_u32_e32 v8, 0xfffffc10, v8
	v_lshl_or_b32 v9, v8, 12, v3
	v_cndmask_b32_e64 v7, 0, 1, s[0:1]
	v_or_b32_e32 v7, v11, v7
	v_cmp_gt_i32_e64 s[0:1], 1, v8
	v_lshrrev_b32_e32 v6, 16, v6
	s_nop 0
	v_cndmask_b32_e64 v7, v9, v7, s[0:1]
	v_and_b32_e32 v9, 7, v7
	v_cmp_lt_i32_e64 s[0:1], 5, v9
	v_lshrrev_b32_e32 v7, 2, v7
	s_nop 0
	v_cndmask_b32_e64 v11, 0, 1, s[0:1]
	v_cmp_eq_u32_e64 s[0:1], 3, v9
	s_nop 1
	v_cndmask_b32_e64 v9, 0, 1, s[0:1]
	v_or_b32_e32 v9, v9, v11
	v_add_u32_e32 v7, v7, v9
	v_mov_b32_e32 v9, 0x7c00
	v_cmp_gt_i32_e64 s[0:1], 31, v8
	v_mov_b32_e32 v11, 0x7e00
	s_nop 0
	v_cndmask_b32_e64 v7, v9, v7, s[0:1]
	v_cmp_ne_u32_e64 s[0:1], 0, v3
	s_nop 1
	v_cndmask_b32_e64 v3, v9, v11, s[0:1]
	s_movk_i32 s0, 0x40f
	v_cmp_eq_u32_e64 s[0:1], s0, v8
	s_nop 1
	v_cndmask_b32_e64 v3, v7, v3, s[0:1]
	s_mov_b32 s0, 0x8000
	v_and_or_b32 v8, v6, s0, v3
.LBB211_31:
	s_or_b64 exec, exec, s[6:7]
	v_or_b32_e32 v3, 0x700, v0
	v_cmp_gt_i32_e64 s[0:1], s10, v3
                                        ; implicit-def: $vgpr6
	s_and_saveexec_b64 s[6:7], s[0:1]
	s_cbranch_execnz .LBB211_44
; %bb.32:
	s_or_b64 exec, exec, s[6:7]
	s_and_saveexec_b64 s[0:1], vcc
	s_xor_b64 s[0:1], exec, s[0:1]
	s_cbranch_execnz .LBB211_45
.LBB211_33:
	s_or_b64 exec, exec, s[0:1]
	v_cmp_gt_i32_e32 vcc, s10, v0
	s_and_saveexec_b64 s[0:1], vcc
	s_cbranch_execnz .LBB211_46
.LBB211_34:
	s_or_b64 exec, exec, s[0:1]
	v_cmp_gt_i32_e32 vcc, s10, v0
	s_and_saveexec_b64 s[0:1], vcc
	s_cbranch_execnz .LBB211_47
.LBB211_35:
	s_or_b64 exec, exec, s[0:1]
	v_cmp_gt_i32_e32 vcc, s10, v0
	s_and_saveexec_b64 s[0:1], vcc
	s_cbranch_execnz .LBB211_48
.LBB211_36:
	s_or_b64 exec, exec, s[0:1]
	v_cmp_gt_i32_e32 vcc, s10, v0
	s_and_saveexec_b64 s[0:1], vcc
	s_cbranch_execnz .LBB211_49
.LBB211_37:
	s_or_b64 exec, exec, s[0:1]
	v_cmp_gt_i32_e32 vcc, s10, v0
	s_and_saveexec_b64 s[0:1], vcc
	s_cbranch_execnz .LBB211_50
.LBB211_38:
	s_or_b64 exec, exec, s[0:1]
	v_cmp_gt_i32_e32 vcc, s10, v0
	s_and_saveexec_b64 s[0:1], vcc
	s_cbranch_execnz .LBB211_51
.LBB211_39:
	s_or_b64 exec, exec, s[0:1]
	v_cmp_gt_i32_e32 vcc, s10, v0
	s_and_saveexec_b64 s[0:1], vcc
	s_cbranch_execz .LBB211_41
.LBB211_40:
	v_add_u32_e32 v0, s2, v0
	v_mov_b32_e32 v1, 0
	v_lshl_add_u64 v[0:1], v[0:1], 1, s[4:5]
	global_store_short v[0:1], v6, off
.LBB211_41:
	s_endpgm
.LBB211_42:
	v_add_u32_e32 v6, s2, v1
	v_mov_b32_e32 v7, 0
	v_lshl_add_u64 v[6:7], v[6:7], 1, s[6:7]
	global_load_ushort v3, v[6:7], off
	v_add_u32_e32 v1, 0x100, v1
	s_waitcnt vmcnt(0)
	v_cvt_f32_f16_e32 v3, v3
	v_cvt_f64_f32_e32 v[6:7], v3
	s_or_b64 exec, exec, s[8:9]
	v_cmp_gt_i32_e64 s[0:1], s10, v1
	s_and_saveexec_b64 s[8:9], s[0:1]
	s_cbranch_execz .LBB211_17
.LBB211_43:
	v_add_u32_e32 v4, s2, v1
	v_mov_b32_e32 v5, 0
	v_lshl_add_u64 v[4:5], v[4:5], 1, s[6:7]
	global_load_ushort v1, v[4:5], off
	s_waitcnt vmcnt(0)
	v_cvt_f32_f16_e32 v1, v1
	v_cvt_f64_f32_e32 v[4:5], v1
	s_or_b64 exec, exec, s[8:9]
                                        ; implicit-def: $vgpr1
	s_and_saveexec_b64 s[6:7], vcc
	s_cbranch_execnz .LBB211_18
	s_branch .LBB211_19
.LBB211_44:
	v_rsq_f64_e32 v[6:7], v[4:5]
	s_mov_b32 s0, 0
	s_mov_b32 s1, 0x3fd80000
	v_mov_b32_e32 v3, 0x180
	v_mul_f64 v[4:5], v[6:7], -v[4:5]
	v_fma_f64 v[4:5], v[4:5], v[6:7], 1.0
	v_mul_f64 v[20:21], v[6:7], v[4:5]
	v_fma_f64 v[4:5], v[4:5], s[0:1], 0.5
	v_fma_f64 v[4:5], v[20:21], v[4:5], v[6:7]
	v_cmp_class_f64_e64 s[0:1], v[6:7], v3
	s_nop 1
	v_cndmask_b32_e64 v3, v6, v4, s[0:1]
	v_cndmask_b32_e64 v4, v7, v5, s[0:1]
	s_movk_i32 s0, 0x1ff
	v_and_or_b32 v3, v4, s0, v3
	v_cmp_ne_u32_e64 s[0:1], 0, v3
	v_lshrrev_b32_e32 v5, 8, v4
	v_bfe_u32 v6, v4, 20, 11
	v_cndmask_b32_e64 v3, 0, 1, s[0:1]
	s_movk_i32 s0, 0xffe
	v_and_or_b32 v3, v5, s0, v3
	v_sub_u32_e32 v7, 0x3f1, v6
	v_or_b32_e32 v5, 0x1000, v3
	v_med3_i32 v7, v7, 0, 13
	v_lshrrev_b32_e32 v9, v7, v5
	v_lshlrev_b32_e32 v7, v7, v9
	v_cmp_ne_u32_e64 s[0:1], v7, v5
	v_add_u32_e32 v6, 0xfffffc10, v6
	v_lshl_or_b32 v7, v6, 12, v3
	v_cndmask_b32_e64 v5, 0, 1, s[0:1]
	v_or_b32_e32 v5, v9, v5
	v_cmp_gt_i32_e64 s[0:1], 1, v6
	v_lshrrev_b32_e32 v4, 16, v4
	s_nop 0
	v_cndmask_b32_e64 v5, v7, v5, s[0:1]
	v_and_b32_e32 v7, 7, v5
	v_cmp_lt_i32_e64 s[0:1], 5, v7
	v_lshrrev_b32_e32 v5, 2, v5
	s_nop 0
	v_cndmask_b32_e64 v9, 0, 1, s[0:1]
	v_cmp_eq_u32_e64 s[0:1], 3, v7
	s_nop 1
	v_cndmask_b32_e64 v7, 0, 1, s[0:1]
	v_or_b32_e32 v7, v7, v9
	v_add_u32_e32 v5, v5, v7
	v_mov_b32_e32 v7, 0x7c00
	v_cmp_gt_i32_e64 s[0:1], 31, v6
	v_mov_b32_e32 v9, 0x7e00
	s_nop 0
	v_cndmask_b32_e64 v5, v7, v5, s[0:1]
	v_cmp_ne_u32_e64 s[0:1], 0, v3
	s_nop 1
	v_cndmask_b32_e64 v3, v7, v9, s[0:1]
	s_movk_i32 s0, 0x40f
	v_cmp_eq_u32_e64 s[0:1], s0, v6
	s_nop 1
	v_cndmask_b32_e64 v3, v5, v3, s[0:1]
	s_mov_b32 s0, 0x8000
	v_and_or_b32 v6, v4, s0, v3
	s_or_b64 exec, exec, s[6:7]
	s_and_saveexec_b64 s[0:1], vcc
	s_xor_b64 s[0:1], exec, s[0:1]
	s_cbranch_execz .LBB211_33
.LBB211_45:
	v_mov_b32_e32 v3, 0
	v_lshl_add_u64 v[2:3], v[2:3], 1, s[4:5]
	v_mov_b32_e32 v0, v18
	global_store_short v[2:3], v1, off
	s_or_b64 exec, exec, s[0:1]
	v_cmp_gt_i32_e32 vcc, s10, v0
	s_and_saveexec_b64 s[0:1], vcc
	s_cbranch_execz .LBB211_34
.LBB211_46:
	v_add_u32_e32 v2, s2, v0
	v_mov_b32_e32 v3, 0
	v_lshl_add_u64 v[2:3], v[2:3], 1, s[4:5]
	v_add_u32_e32 v0, 0x100, v0
	global_store_short v[2:3], v19, off
	s_or_b64 exec, exec, s[0:1]
	v_cmp_gt_i32_e32 vcc, s10, v0
	s_and_saveexec_b64 s[0:1], vcc
	s_cbranch_execz .LBB211_35
.LBB211_47:
	v_add_u32_e32 v2, s2, v0
	v_mov_b32_e32 v3, 0
	v_lshl_add_u64 v[2:3], v[2:3], 1, s[4:5]
	v_add_u32_e32 v0, 0x100, v0
	global_store_short v[2:3], v16, off
	s_or_b64 exec, exec, s[0:1]
	v_cmp_gt_i32_e32 vcc, s10, v0
	s_and_saveexec_b64 s[0:1], vcc
	s_cbranch_execz .LBB211_36
.LBB211_48:
	v_add_u32_e32 v2, s2, v0
	v_mov_b32_e32 v3, 0
	v_lshl_add_u64 v[2:3], v[2:3], 1, s[4:5]
	v_add_u32_e32 v0, 0x100, v0
	global_store_short v[2:3], v14, off
	s_or_b64 exec, exec, s[0:1]
	v_cmp_gt_i32_e32 vcc, s10, v0
	s_and_saveexec_b64 s[0:1], vcc
	s_cbranch_execz .LBB211_37
.LBB211_49:
	v_add_u32_e32 v2, s2, v0
	v_mov_b32_e32 v3, 0
	v_lshl_add_u64 v[2:3], v[2:3], 1, s[4:5]
	v_add_u32_e32 v0, 0x100, v0
	global_store_short v[2:3], v12, off
	s_or_b64 exec, exec, s[0:1]
	v_cmp_gt_i32_e32 vcc, s10, v0
	s_and_saveexec_b64 s[0:1], vcc
	s_cbranch_execz .LBB211_38
.LBB211_50:
	v_add_u32_e32 v2, s2, v0
	v_mov_b32_e32 v3, 0
	v_lshl_add_u64 v[2:3], v[2:3], 1, s[4:5]
	v_add_u32_e32 v0, 0x100, v0
	global_store_short v[2:3], v10, off
	s_or_b64 exec, exec, s[0:1]
	v_cmp_gt_i32_e32 vcc, s10, v0
	s_and_saveexec_b64 s[0:1], vcc
	s_cbranch_execz .LBB211_39
.LBB211_51:
	v_add_u32_e32 v2, s2, v0
	v_mov_b32_e32 v3, 0
	v_lshl_add_u64 v[2:3], v[2:3], 1, s[4:5]
	v_add_u32_e32 v0, 0x100, v0
	global_store_short v[2:3], v8, off
	s_or_b64 exec, exec, s[0:1]
	v_cmp_gt_i32_e32 vcc, s10, v0
	s_and_saveexec_b64 s[0:1], vcc
	s_cbranch_execnz .LBB211_40
	s_branch .LBB211_41
	.section	.rodata,"a",@progbits
	.p2align	6, 0x0
	.amdhsa_kernel _ZN2at6native29vectorized_elementwise_kernelILi8EZZZNS0_17rsqrt_kernel_cudaERNS_18TensorIteratorBaseEENKUlvE0_clEvENKUlvE2_clEvEUlN3c104HalfEE_St5arrayIPcLm2EEEEviT0_T1_
		.amdhsa_group_segment_fixed_size 0
		.amdhsa_private_segment_fixed_size 0
		.amdhsa_kernarg_size 24
		.amdhsa_user_sgpr_count 2
		.amdhsa_user_sgpr_dispatch_ptr 0
		.amdhsa_user_sgpr_queue_ptr 0
		.amdhsa_user_sgpr_kernarg_segment_ptr 1
		.amdhsa_user_sgpr_dispatch_id 0
		.amdhsa_user_sgpr_kernarg_preload_length 0
		.amdhsa_user_sgpr_kernarg_preload_offset 0
		.amdhsa_user_sgpr_private_segment_size 0
		.amdhsa_uses_dynamic_stack 0
		.amdhsa_enable_private_segment 0
		.amdhsa_system_sgpr_workgroup_id_x 1
		.amdhsa_system_sgpr_workgroup_id_y 0
		.amdhsa_system_sgpr_workgroup_id_z 0
		.amdhsa_system_sgpr_workgroup_info 0
		.amdhsa_system_vgpr_workitem_id 0
		.amdhsa_next_free_vgpr 27
		.amdhsa_next_free_sgpr 14
		.amdhsa_accum_offset 28
		.amdhsa_reserve_vcc 1
		.amdhsa_float_round_mode_32 0
		.amdhsa_float_round_mode_16_64 0
		.amdhsa_float_denorm_mode_32 3
		.amdhsa_float_denorm_mode_16_64 3
		.amdhsa_dx10_clamp 1
		.amdhsa_ieee_mode 1
		.amdhsa_fp16_overflow 0
		.amdhsa_tg_split 0
		.amdhsa_exception_fp_ieee_invalid_op 0
		.amdhsa_exception_fp_denorm_src 0
		.amdhsa_exception_fp_ieee_div_zero 0
		.amdhsa_exception_fp_ieee_overflow 0
		.amdhsa_exception_fp_ieee_underflow 0
		.amdhsa_exception_fp_ieee_inexact 0
		.amdhsa_exception_int_div_zero 0
	.end_amdhsa_kernel
	.section	.text._ZN2at6native29vectorized_elementwise_kernelILi8EZZZNS0_17rsqrt_kernel_cudaERNS_18TensorIteratorBaseEENKUlvE0_clEvENKUlvE2_clEvEUlN3c104HalfEE_St5arrayIPcLm2EEEEviT0_T1_,"axG",@progbits,_ZN2at6native29vectorized_elementwise_kernelILi8EZZZNS0_17rsqrt_kernel_cudaERNS_18TensorIteratorBaseEENKUlvE0_clEvENKUlvE2_clEvEUlN3c104HalfEE_St5arrayIPcLm2EEEEviT0_T1_,comdat
.Lfunc_end211:
	.size	_ZN2at6native29vectorized_elementwise_kernelILi8EZZZNS0_17rsqrt_kernel_cudaERNS_18TensorIteratorBaseEENKUlvE0_clEvENKUlvE2_clEvEUlN3c104HalfEE_St5arrayIPcLm2EEEEviT0_T1_, .Lfunc_end211-_ZN2at6native29vectorized_elementwise_kernelILi8EZZZNS0_17rsqrt_kernel_cudaERNS_18TensorIteratorBaseEENKUlvE0_clEvENKUlvE2_clEvEUlN3c104HalfEE_St5arrayIPcLm2EEEEviT0_T1_
                                        ; -- End function
	.set _ZN2at6native29vectorized_elementwise_kernelILi8EZZZNS0_17rsqrt_kernel_cudaERNS_18TensorIteratorBaseEENKUlvE0_clEvENKUlvE2_clEvEUlN3c104HalfEE_St5arrayIPcLm2EEEEviT0_T1_.num_vgpr, 27
	.set _ZN2at6native29vectorized_elementwise_kernelILi8EZZZNS0_17rsqrt_kernel_cudaERNS_18TensorIteratorBaseEENKUlvE0_clEvENKUlvE2_clEvEUlN3c104HalfEE_St5arrayIPcLm2EEEEviT0_T1_.num_agpr, 0
	.set _ZN2at6native29vectorized_elementwise_kernelILi8EZZZNS0_17rsqrt_kernel_cudaERNS_18TensorIteratorBaseEENKUlvE0_clEvENKUlvE2_clEvEUlN3c104HalfEE_St5arrayIPcLm2EEEEviT0_T1_.numbered_sgpr, 14
	.set _ZN2at6native29vectorized_elementwise_kernelILi8EZZZNS0_17rsqrt_kernel_cudaERNS_18TensorIteratorBaseEENKUlvE0_clEvENKUlvE2_clEvEUlN3c104HalfEE_St5arrayIPcLm2EEEEviT0_T1_.num_named_barrier, 0
	.set _ZN2at6native29vectorized_elementwise_kernelILi8EZZZNS0_17rsqrt_kernel_cudaERNS_18TensorIteratorBaseEENKUlvE0_clEvENKUlvE2_clEvEUlN3c104HalfEE_St5arrayIPcLm2EEEEviT0_T1_.private_seg_size, 0
	.set _ZN2at6native29vectorized_elementwise_kernelILi8EZZZNS0_17rsqrt_kernel_cudaERNS_18TensorIteratorBaseEENKUlvE0_clEvENKUlvE2_clEvEUlN3c104HalfEE_St5arrayIPcLm2EEEEviT0_T1_.uses_vcc, 1
	.set _ZN2at6native29vectorized_elementwise_kernelILi8EZZZNS0_17rsqrt_kernel_cudaERNS_18TensorIteratorBaseEENKUlvE0_clEvENKUlvE2_clEvEUlN3c104HalfEE_St5arrayIPcLm2EEEEviT0_T1_.uses_flat_scratch, 0
	.set _ZN2at6native29vectorized_elementwise_kernelILi8EZZZNS0_17rsqrt_kernel_cudaERNS_18TensorIteratorBaseEENKUlvE0_clEvENKUlvE2_clEvEUlN3c104HalfEE_St5arrayIPcLm2EEEEviT0_T1_.has_dyn_sized_stack, 0
	.set _ZN2at6native29vectorized_elementwise_kernelILi8EZZZNS0_17rsqrt_kernel_cudaERNS_18TensorIteratorBaseEENKUlvE0_clEvENKUlvE2_clEvEUlN3c104HalfEE_St5arrayIPcLm2EEEEviT0_T1_.has_recursion, 0
	.set _ZN2at6native29vectorized_elementwise_kernelILi8EZZZNS0_17rsqrt_kernel_cudaERNS_18TensorIteratorBaseEENKUlvE0_clEvENKUlvE2_clEvEUlN3c104HalfEE_St5arrayIPcLm2EEEEviT0_T1_.has_indirect_call, 0
	.section	.AMDGPU.csdata,"",@progbits
; Kernel info:
; codeLenInByte = 6800
; TotalNumSgprs: 20
; NumVgprs: 27
; NumAgprs: 0
; TotalNumVgprs: 27
; ScratchSize: 0
; MemoryBound: 0
; FloatMode: 240
; IeeeMode: 1
; LDSByteSize: 0 bytes/workgroup (compile time only)
; SGPRBlocks: 2
; VGPRBlocks: 3
; NumSGPRsForWavesPerEU: 20
; NumVGPRsForWavesPerEU: 27
; AccumOffset: 28
; Occupancy: 8
; WaveLimiterHint : 0
; COMPUTE_PGM_RSRC2:SCRATCH_EN: 0
; COMPUTE_PGM_RSRC2:USER_SGPR: 2
; COMPUTE_PGM_RSRC2:TRAP_HANDLER: 0
; COMPUTE_PGM_RSRC2:TGID_X_EN: 1
; COMPUTE_PGM_RSRC2:TGID_Y_EN: 0
; COMPUTE_PGM_RSRC2:TGID_Z_EN: 0
; COMPUTE_PGM_RSRC2:TIDIG_COMP_CNT: 0
; COMPUTE_PGM_RSRC3_GFX90A:ACCUM_OFFSET: 6
; COMPUTE_PGM_RSRC3_GFX90A:TG_SPLIT: 0
	.section	.text._ZN2at6native29vectorized_elementwise_kernelILi4EZZZNS0_17rsqrt_kernel_cudaERNS_18TensorIteratorBaseEENKUlvE0_clEvENKUlvE2_clEvEUlN3c104HalfEE_St5arrayIPcLm2EEEEviT0_T1_,"axG",@progbits,_ZN2at6native29vectorized_elementwise_kernelILi4EZZZNS0_17rsqrt_kernel_cudaERNS_18TensorIteratorBaseEENKUlvE0_clEvENKUlvE2_clEvEUlN3c104HalfEE_St5arrayIPcLm2EEEEviT0_T1_,comdat
	.globl	_ZN2at6native29vectorized_elementwise_kernelILi4EZZZNS0_17rsqrt_kernel_cudaERNS_18TensorIteratorBaseEENKUlvE0_clEvENKUlvE2_clEvEUlN3c104HalfEE_St5arrayIPcLm2EEEEviT0_T1_ ; -- Begin function _ZN2at6native29vectorized_elementwise_kernelILi4EZZZNS0_17rsqrt_kernel_cudaERNS_18TensorIteratorBaseEENKUlvE0_clEvENKUlvE2_clEvEUlN3c104HalfEE_St5arrayIPcLm2EEEEviT0_T1_
	.p2align	8
	.type	_ZN2at6native29vectorized_elementwise_kernelILi4EZZZNS0_17rsqrt_kernel_cudaERNS_18TensorIteratorBaseEENKUlvE0_clEvENKUlvE2_clEvEUlN3c104HalfEE_St5arrayIPcLm2EEEEviT0_T1_,@function
_ZN2at6native29vectorized_elementwise_kernelILi4EZZZNS0_17rsqrt_kernel_cudaERNS_18TensorIteratorBaseEENKUlvE0_clEvENKUlvE2_clEvEUlN3c104HalfEE_St5arrayIPcLm2EEEEviT0_T1_: ; @_ZN2at6native29vectorized_elementwise_kernelILi4EZZZNS0_17rsqrt_kernel_cudaERNS_18TensorIteratorBaseEENKUlvE0_clEvENKUlvE2_clEvEUlN3c104HalfEE_St5arrayIPcLm2EEEEviT0_T1_
; %bb.0:
	s_load_dword s3, s[0:1], 0x0
	s_load_dwordx4 s[4:7], s[0:1], 0x8
	s_lshl_b32 s2, s2, 11
	s_mov_b64 s[0:1], -1
	s_waitcnt lgkmcnt(0)
	s_sub_i32 s10, s3, s2
	s_cmpk_gt_i32 s10, 0x7ff
	s_cbranch_scc0 .LBB212_2
; %bb.1:
	s_ashr_i32 s3, s2, 31
	s_lshl_b64 s[0:1], s[2:3], 1
	s_add_u32 s12, s6, s0
	s_addc_u32 s13, s7, s1
	v_lshlrev_b32_e32 v1, 3, v0
	global_load_dwordx2 v[4:5], v1, s[12:13]
	global_load_dwordx2 v[2:3], v1, s[12:13] offset:2048
	s_mov_b32 s8, 0
	s_mov_b32 s9, 0x3fd80000
	v_mov_b32_e32 v24, 0x180
	s_movk_i32 s3, 0x1ff
	s_movk_i32 s11, 0xffe
	v_mov_b32_e32 v25, 0x7c00
	v_mov_b32_e32 v26, 0x7e00
	s_movk_i32 s12, 0x40f
	s_mov_b32 s13, 0x8000
	s_add_u32 s0, s4, s0
	s_addc_u32 s1, s5, s1
	s_waitcnt vmcnt(1)
	v_cvt_f32_f16_e32 v6, v4
	v_cvt_f32_f16_sdwa v4, v4 dst_sel:DWORD dst_unused:UNUSED_PAD src0_sel:WORD_1
	v_cvt_f32_f16_e32 v10, v5
	v_cvt_f32_f16_sdwa v5, v5 dst_sel:DWORD dst_unused:UNUSED_PAD src0_sel:WORD_1
	v_cvt_f64_f32_e32 v[6:7], v6
	v_cvt_f64_f32_e32 v[8:9], v4
	v_rsq_f64_e32 v[12:13], v[6:7]
	v_rsq_f64_e32 v[14:15], v[8:9]
	v_cvt_f64_f32_e32 v[10:11], v10
	v_rsq_f64_e32 v[16:17], v[10:11]
	v_mul_f64 v[6:7], v[12:13], -v[6:7]
	v_mul_f64 v[8:9], v[14:15], -v[8:9]
	v_fma_f64 v[6:7], v[6:7], v[12:13], 1.0
	v_fma_f64 v[8:9], v[8:9], v[14:15], 1.0
	v_mul_f64 v[18:19], v[12:13], v[6:7]
	v_fma_f64 v[6:7], v[6:7], s[8:9], 0.5
	v_mul_f64 v[20:21], v[14:15], v[8:9]
	v_fma_f64 v[8:9], v[8:9], s[8:9], 0.5
	v_fma_f64 v[6:7], v[18:19], v[6:7], v[12:13]
	v_cmp_class_f64_e32 vcc, v[12:13], v24
	v_fma_f64 v[8:9], v[20:21], v[8:9], v[14:15]
	v_mul_f64 v[10:11], v[16:17], -v[10:11]
	v_cndmask_b32_e32 v4, v12, v6, vcc
	v_cndmask_b32_e32 v6, v13, v7, vcc
	v_cmp_class_f64_e32 vcc, v[14:15], v24
	v_and_or_b32 v4, v6, s3, v4
	v_bfe_u32 v12, v6, 20, 11
	v_cndmask_b32_e32 v7, v14, v8, vcc
	v_cndmask_b32_e32 v8, v15, v9, vcc
	v_and_or_b32 v7, v8, s3, v7
	v_cmp_ne_u32_e32 vcc, 0, v4
	v_lshrrev_b32_e32 v9, 8, v6
	v_lshrrev_b32_e32 v13, 8, v8
	v_cndmask_b32_e64 v4, 0, 1, vcc
	v_cmp_ne_u32_e32 vcc, 0, v7
	v_bfe_u32 v14, v8, 20, 11
	v_sub_u32_e32 v15, 0x3f1, v12
	v_cndmask_b32_e64 v7, 0, 1, vcc
	v_and_or_b32 v4, v9, s11, v4
	v_fma_f64 v[10:11], v[10:11], v[16:17], 1.0
	v_sub_u32_e32 v18, 0x3f1, v14
	v_med3_i32 v9, v15, 0, 13
	v_and_or_b32 v7, v13, s11, v7
	v_or_b32_e32 v15, 0x1000, v4
	v_mul_f64 v[22:23], v[16:17], v[10:11]
	v_fma_f64 v[10:11], v[10:11], s[8:9], 0.5
	v_add_u32_e32 v12, 0xfffffc10, v12
	v_med3_i32 v13, v18, 0, 13
	v_cmp_ne_u32_e32 vcc, 0, v4
	v_or_b32_e32 v19, 0x1000, v7
	v_lshrrev_b32_e32 v21, v9, v15
	v_fma_f64 v[10:11], v[22:23], v[10:11], v[16:17]
	v_add_u32_e32 v14, 0xfffffc10, v14
	v_lshl_or_b32 v18, v12, 12, v4
	v_cndmask_b32_e32 v4, v25, v26, vcc
	v_cmp_ne_u32_e32 vcc, 0, v7
	v_lshrrev_b32_e32 v22, v13, v19
	v_lshlrev_b32_e32 v9, v9, v21
	v_lshl_or_b32 v20, v14, 12, v7
	v_cndmask_b32_e32 v7, v25, v26, vcc
	v_lshlrev_b32_e32 v13, v13, v22
	v_cmp_ne_u32_e32 vcc, v9, v15
	v_lshrrev_b32_e32 v6, 16, v6
	v_lshrrev_b32_e32 v8, 16, v8
	v_cndmask_b32_e64 v9, 0, 1, vcc
	v_cmp_ne_u32_e32 vcc, v13, v19
	v_or_b32_e32 v9, v21, v9
	s_nop 0
	v_cndmask_b32_e64 v13, 0, 1, vcc
	v_cmp_gt_i32_e32 vcc, 1, v12
	v_or_b32_e32 v13, v22, v13
	s_nop 0
	v_cndmask_b32_e32 v9, v18, v9, vcc
	v_cmp_gt_i32_e32 vcc, 1, v14
	v_and_b32_e32 v15, 7, v9
	v_lshrrev_b32_e32 v9, 2, v9
	v_cndmask_b32_e32 v13, v20, v13, vcc
	v_cmp_lt_i32_e32 vcc, 5, v15
	v_and_b32_e32 v18, 7, v13
	v_lshrrev_b32_e32 v13, 2, v13
	v_cndmask_b32_e64 v19, 0, 1, vcc
	v_cmp_eq_u32_e32 vcc, 3, v15
	s_nop 1
	v_cndmask_b32_e64 v15, 0, 1, vcc
	v_cmp_lt_i32_e32 vcc, 5, v18
	v_or_b32_e32 v15, v15, v19
	v_add_u32_e32 v9, v9, v15
	v_cndmask_b32_e64 v20, 0, 1, vcc
	v_cmp_eq_u32_e32 vcc, 3, v18
	s_nop 1
	v_cndmask_b32_e64 v18, 0, 1, vcc
	v_or_b32_e32 v18, v18, v20
	v_cmp_gt_i32_e32 vcc, 31, v12
	v_add_u32_e32 v13, v13, v18
	s_nop 0
	v_cndmask_b32_e32 v9, v25, v9, vcc
	v_cmp_gt_i32_e32 vcc, 31, v14
	s_nop 1
	v_cndmask_b32_e32 v13, v25, v13, vcc
	v_cmp_eq_u32_e32 vcc, s12, v12
	s_nop 1
	v_cndmask_b32_e32 v4, v9, v4, vcc
	v_cmp_eq_u32_e32 vcc, s12, v14
	v_and_or_b32 v12, v6, s13, v4
	s_nop 0
	v_cndmask_b32_e32 v7, v13, v7, vcc
	v_cmp_class_f64_e32 vcc, v[16:17], v24
	v_and_or_b32 v13, v8, s13, v7
	s_nop 0
	v_cndmask_b32_e32 v4, v16, v10, vcc
	v_cndmask_b32_e32 v8, v17, v11, vcc
	v_and_or_b32 v4, v8, s3, v4
	v_cmp_ne_u32_e32 vcc, 0, v4
	v_lshrrev_b32_e32 v6, 8, v8
	v_bfe_u32 v7, v8, 20, 11
	v_cndmask_b32_e64 v4, 0, 1, vcc
	v_and_or_b32 v4, v6, s11, v4
	v_sub_u32_e32 v9, 0x3f1, v7
	v_or_b32_e32 v6, 0x1000, v4
	v_med3_i32 v9, v9, 0, 13
	v_lshrrev_b32_e32 v10, v9, v6
	v_lshlrev_b32_e32 v9, v9, v10
	v_cmp_ne_u32_e32 vcc, v9, v6
	v_add_u32_e32 v9, 0xfffffc10, v7
	v_lshl_or_b32 v7, v9, 12, v4
	v_cndmask_b32_e64 v6, 0, 1, vcc
	v_or_b32_e32 v6, v10, v6
	v_cmp_gt_i32_e32 vcc, 1, v9
	v_lshrrev_b32_e32 v8, 16, v8
	s_nop 0
	v_cndmask_b32_e32 v6, v7, v6, vcc
	v_and_b32_e32 v7, 7, v6
	v_cmp_lt_i32_e32 vcc, 5, v7
	v_lshrrev_b32_e32 v6, 2, v6
	s_nop 0
	v_cndmask_b32_e64 v10, 0, 1, vcc
	v_cmp_eq_u32_e32 vcc, 3, v7
	s_nop 1
	v_cndmask_b32_e64 v7, 0, 1, vcc
	v_or_b32_e32 v7, v7, v10
	v_add_u32_e32 v6, v6, v7
	v_cmp_gt_i32_e32 vcc, 31, v9
	s_nop 1
	v_cndmask_b32_e32 v10, v25, v6, vcc
	v_cmp_ne_u32_e32 vcc, 0, v4
	v_cvt_f64_f32_e32 v[4:5], v5
	v_rsq_f64_e32 v[6:7], v[4:5]
	v_cndmask_b32_e32 v11, v25, v26, vcc
	v_cmp_eq_u32_e32 vcc, s12, v9
	v_mul_f64 v[4:5], v[6:7], -v[4:5]
	s_nop 0
	v_cndmask_b32_e32 v9, v10, v11, vcc
	v_fma_f64 v[4:5], v[4:5], v[6:7], 1.0
	v_and_or_b32 v10, v8, s13, v9
	v_mul_f64 v[8:9], v[6:7], v[4:5]
	v_fma_f64 v[4:5], v[4:5], s[8:9], 0.5
	v_fma_f64 v[4:5], v[8:9], v[4:5], v[6:7]
	v_cmp_class_f64_e32 vcc, v[6:7], v24
	s_nop 1
	v_cndmask_b32_e32 v4, v6, v4, vcc
	v_cndmask_b32_e32 v8, v7, v5, vcc
	v_and_or_b32 v4, v8, s3, v4
	v_cmp_ne_u32_e32 vcc, 0, v4
	v_lshrrev_b32_e32 v5, 8, v8
	v_bfe_u32 v6, v8, 20, 11
	v_cndmask_b32_e64 v4, 0, 1, vcc
	v_and_or_b32 v4, v5, s11, v4
	v_sub_u32_e32 v7, 0x3f1, v6
	v_or_b32_e32 v5, 0x1000, v4
	v_med3_i32 v7, v7, 0, 13
	v_lshrrev_b32_e32 v9, v7, v5
	v_lshlrev_b32_e32 v7, v7, v9
	v_cmp_ne_u32_e32 vcc, v7, v5
	v_lshrrev_b32_e32 v8, 16, v8
	s_nop 0
	v_cndmask_b32_e64 v5, 0, 1, vcc
	v_or_b32_e32 v5, v9, v5
	v_add_u32_e32 v9, 0xfffffc10, v6
	v_lshl_or_b32 v6, v9, 12, v4
	v_cmp_gt_i32_e32 vcc, 1, v9
	s_nop 1
	v_cndmask_b32_e32 v5, v6, v5, vcc
	v_and_b32_e32 v6, 7, v5
	v_cmp_lt_i32_e32 vcc, 5, v6
	v_lshrrev_b32_e32 v5, 2, v5
	s_nop 0
	v_cndmask_b32_e64 v7, 0, 1, vcc
	v_cmp_eq_u32_e32 vcc, 3, v6
	s_nop 1
	v_cndmask_b32_e64 v6, 0, 1, vcc
	v_or_b32_e32 v6, v6, v7
	v_add_u32_e32 v5, v5, v6
	s_waitcnt vmcnt(0)
	v_cvt_f32_f16_e32 v6, v2
	v_cmp_gt_i32_e32 vcc, 31, v9
	v_cvt_f32_f16_sdwa v2, v2 dst_sel:DWORD dst_unused:UNUSED_PAD src0_sel:WORD_1
	s_nop 0
	v_cndmask_b32_e32 v11, v25, v5, vcc
	v_cmp_ne_u32_e32 vcc, 0, v4
	v_cvt_f64_f32_e32 v[4:5], v6
	v_rsq_f64_e32 v[6:7], v[4:5]
	v_cndmask_b32_e32 v14, v25, v26, vcc
	v_cmp_eq_u32_e32 vcc, s12, v9
	v_mul_f64 v[4:5], v[6:7], -v[4:5]
	s_nop 0
	v_cndmask_b32_e32 v9, v11, v14, vcc
	v_fma_f64 v[4:5], v[4:5], v[6:7], 1.0
	v_and_or_b32 v11, v8, s13, v9
	v_mul_f64 v[8:9], v[6:7], v[4:5]
	v_fma_f64 v[4:5], v[4:5], s[8:9], 0.5
	v_fma_f64 v[4:5], v[8:9], v[4:5], v[6:7]
	v_cmp_class_f64_e32 vcc, v[6:7], v24
	s_nop 1
	v_cndmask_b32_e32 v4, v6, v4, vcc
	v_cndmask_b32_e32 v8, v7, v5, vcc
	v_and_or_b32 v4, v8, s3, v4
	v_cmp_ne_u32_e32 vcc, 0, v4
	v_lshrrev_b32_e32 v5, 8, v8
	v_bfe_u32 v6, v8, 20, 11
	v_cndmask_b32_e64 v4, 0, 1, vcc
	v_and_or_b32 v4, v5, s11, v4
	v_sub_u32_e32 v7, 0x3f1, v6
	v_or_b32_e32 v5, 0x1000, v4
	v_med3_i32 v7, v7, 0, 13
	v_lshrrev_b32_e32 v9, v7, v5
	v_lshlrev_b32_e32 v7, v7, v9
	v_cmp_ne_u32_e32 vcc, v7, v5
	v_lshrrev_b32_e32 v8, 16, v8
	s_nop 0
	v_cndmask_b32_e64 v5, 0, 1, vcc
	v_or_b32_e32 v5, v9, v5
	v_add_u32_e32 v9, 0xfffffc10, v6
	v_lshl_or_b32 v6, v9, 12, v4
	v_cmp_gt_i32_e32 vcc, 1, v9
	s_nop 1
	v_cndmask_b32_e32 v5, v6, v5, vcc
	v_and_b32_e32 v6, 7, v5
	v_cmp_lt_i32_e32 vcc, 5, v6
	v_lshrrev_b32_e32 v5, 2, v5
	s_nop 0
	v_cndmask_b32_e64 v7, 0, 1, vcc
	v_cmp_eq_u32_e32 vcc, 3, v6
	s_nop 1
	v_cndmask_b32_e64 v6, 0, 1, vcc
	v_or_b32_e32 v6, v6, v7
	v_add_u32_e32 v5, v5, v6
	v_cmp_gt_i32_e32 vcc, 31, v9
	s_nop 1
	v_cndmask_b32_e32 v14, v25, v5, vcc
	v_cmp_ne_u32_e32 vcc, 0, v4
	v_cvt_f64_f32_e32 v[4:5], v2
	v_rsq_f64_e32 v[6:7], v[4:5]
	v_cndmask_b32_e32 v15, v25, v26, vcc
	v_cmp_eq_u32_e32 vcc, s12, v9
	v_mul_f64 v[4:5], v[6:7], -v[4:5]
	s_nop 0
	v_cndmask_b32_e32 v2, v14, v15, vcc
	v_fma_f64 v[4:5], v[4:5], v[6:7], 1.0
	v_and_or_b32 v14, v8, s13, v2
	v_mul_f64 v[8:9], v[6:7], v[4:5]
	v_fma_f64 v[4:5], v[4:5], s[8:9], 0.5
	v_fma_f64 v[4:5], v[8:9], v[4:5], v[6:7]
	v_cmp_class_f64_e32 vcc, v[6:7], v24
	s_nop 1
	v_cndmask_b32_e32 v2, v6, v4, vcc
	v_cndmask_b32_e32 v8, v7, v5, vcc
	v_and_or_b32 v2, v8, s3, v2
	v_cmp_ne_u32_e32 vcc, 0, v2
	v_lshrrev_b32_e32 v4, 8, v8
	v_bfe_u32 v5, v8, 20, 11
	v_cndmask_b32_e64 v2, 0, 1, vcc
	v_and_or_b32 v2, v4, s11, v2
	v_sub_u32_e32 v6, 0x3f1, v5
	v_or_b32_e32 v4, 0x1000, v2
	v_med3_i32 v6, v6, 0, 13
	v_lshrrev_b32_e32 v7, v6, v4
	v_lshlrev_b32_e32 v6, v6, v7
	v_cmp_ne_u32_e32 vcc, v6, v4
	v_add_u32_e32 v9, 0xfffffc10, v5
	v_lshl_or_b32 v5, v9, 12, v2
	v_cndmask_b32_e64 v4, 0, 1, vcc
	v_or_b32_e32 v4, v7, v4
	v_cmp_gt_i32_e32 vcc, 1, v9
	v_lshrrev_b32_e32 v8, 16, v8
	s_nop 0
	v_cndmask_b32_e32 v4, v5, v4, vcc
	v_and_b32_e32 v5, 7, v4
	v_cmp_lt_i32_e32 vcc, 5, v5
	v_lshrrev_b32_e32 v4, 2, v4
	s_nop 0
	v_cndmask_b32_e64 v6, 0, 1, vcc
	v_cmp_eq_u32_e32 vcc, 3, v5
	s_nop 1
	v_cndmask_b32_e64 v5, 0, 1, vcc
	v_or_b32_e32 v5, v5, v6
	v_add_u32_e32 v4, v4, v5
	v_cvt_f32_f16_e32 v5, v3
	v_cmp_gt_i32_e32 vcc, 31, v9
	v_cvt_f32_f16_sdwa v3, v3 dst_sel:DWORD dst_unused:UNUSED_PAD src0_sel:WORD_1
	s_nop 0
	v_cndmask_b32_e32 v15, v25, v4, vcc
	v_cvt_f64_f32_e32 v[4:5], v5
	v_rsq_f64_e32 v[6:7], v[4:5]
	v_cmp_ne_u32_e32 vcc, 0, v2
	v_mul_f64 v[4:5], v[6:7], -v[4:5]
	s_nop 0
	v_cndmask_b32_e32 v2, v25, v26, vcc
	v_cmp_eq_u32_e32 vcc, s12, v9
	v_fma_f64 v[4:5], v[4:5], v[6:7], 1.0
	s_nop 0
	v_cndmask_b32_e32 v2, v15, v2, vcc
	v_and_or_b32 v15, v8, s13, v2
	v_mul_f64 v[8:9], v[6:7], v[4:5]
	v_fma_f64 v[4:5], v[4:5], s[8:9], 0.5
	v_fma_f64 v[4:5], v[8:9], v[4:5], v[6:7]
	v_cmp_class_f64_e32 vcc, v[6:7], v24
	s_nop 1
	v_cndmask_b32_e32 v2, v6, v4, vcc
	v_cndmask_b32_e32 v6, v7, v5, vcc
	v_and_or_b32 v2, v6, s3, v2
	v_cmp_ne_u32_e32 vcc, 0, v2
	v_lshrrev_b32_e32 v4, 8, v6
	v_bfe_u32 v5, v6, 20, 11
	v_cndmask_b32_e64 v2, 0, 1, vcc
	v_and_or_b32 v2, v4, s11, v2
	v_sub_u32_e32 v7, 0x3f1, v5
	v_or_b32_e32 v4, 0x1000, v2
	v_med3_i32 v7, v7, 0, 13
	v_lshrrev_b32_e32 v8, v7, v4
	v_lshlrev_b32_e32 v7, v7, v8
	v_cmp_ne_u32_e32 vcc, v7, v4
	v_add_u32_e32 v7, 0xfffffc10, v5
	v_lshl_or_b32 v5, v7, 12, v2
	v_cndmask_b32_e64 v4, 0, 1, vcc
	v_or_b32_e32 v4, v8, v4
	v_cmp_gt_i32_e32 vcc, 1, v7
	v_lshrrev_b32_e32 v6, 16, v6
	s_nop 0
	v_cndmask_b32_e32 v4, v5, v4, vcc
	v_and_b32_e32 v5, 7, v4
	v_cmp_lt_i32_e32 vcc, 5, v5
	v_lshrrev_b32_e32 v4, 2, v4
	s_nop 0
	v_cndmask_b32_e64 v8, 0, 1, vcc
	v_cmp_eq_u32_e32 vcc, 3, v5
	s_nop 1
	v_cndmask_b32_e64 v5, 0, 1, vcc
	v_or_b32_e32 v5, v5, v8
	v_add_u32_e32 v4, v4, v5
	v_cmp_gt_i32_e32 vcc, 31, v7
	s_nop 1
	v_cndmask_b32_e32 v8, v25, v4, vcc
	v_cmp_ne_u32_e32 vcc, 0, v2
	v_cvt_f64_f32_e32 v[2:3], v3
	v_rsq_f64_e32 v[4:5], v[2:3]
	v_cndmask_b32_e32 v9, v25, v26, vcc
	v_cmp_eq_u32_e32 vcc, s12, v7
	v_mul_f64 v[2:3], v[4:5], -v[2:3]
	s_nop 0
	v_cndmask_b32_e32 v7, v8, v9, vcc
	v_fma_f64 v[2:3], v[2:3], v[4:5], 1.0
	v_and_or_b32 v8, v6, s13, v7
	v_mul_f64 v[6:7], v[4:5], v[2:3]
	v_fma_f64 v[2:3], v[2:3], s[8:9], 0.5
	v_fma_f64 v[2:3], v[6:7], v[2:3], v[4:5]
	v_cmp_class_f64_e32 vcc, v[4:5], v24
	s_nop 1
	v_cndmask_b32_e32 v2, v4, v2, vcc
	v_cndmask_b32_e32 v3, v5, v3, vcc
	v_and_or_b32 v2, v3, s3, v2
	v_cmp_ne_u32_e32 vcc, 0, v2
	v_lshrrev_b32_e32 v4, 8, v3
	v_bfe_u32 v5, v3, 20, 11
	v_cndmask_b32_e64 v2, 0, 1, vcc
	v_and_or_b32 v2, v4, s11, v2
	v_sub_u32_e32 v6, 0x3f1, v5
	v_or_b32_e32 v4, 0x1000, v2
	v_med3_i32 v6, v6, 0, 13
	v_lshrrev_b32_e32 v7, v6, v4
	v_lshlrev_b32_e32 v6, v6, v7
	v_cmp_ne_u32_e32 vcc, v6, v4
	v_add_u32_e32 v5, 0xfffffc10, v5
	v_lshl_or_b32 v6, v5, 12, v2
	v_cndmask_b32_e64 v4, 0, 1, vcc
	v_or_b32_e32 v4, v7, v4
	v_cmp_gt_i32_e32 vcc, 1, v5
	v_lshrrev_b32_e32 v3, 16, v3
	s_mov_b32 s3, 0x5040100
	v_cndmask_b32_e32 v4, v6, v4, vcc
	v_and_b32_e32 v6, 7, v4
	v_cmp_lt_i32_e32 vcc, 5, v6
	v_lshrrev_b32_e32 v4, 2, v4
	s_nop 0
	v_cndmask_b32_e64 v7, 0, 1, vcc
	v_cmp_eq_u32_e32 vcc, 3, v6
	s_nop 1
	v_cndmask_b32_e64 v6, 0, 1, vcc
	v_or_b32_e32 v6, v6, v7
	v_add_u32_e32 v4, v4, v6
	v_cmp_gt_i32_e32 vcc, 31, v5
	s_nop 1
	v_cndmask_b32_e32 v4, v25, v4, vcc
	v_cmp_ne_u32_e32 vcc, 0, v2
	s_nop 1
	v_cndmask_b32_e32 v2, v25, v26, vcc
	v_cmp_eq_u32_e32 vcc, s12, v5
	s_nop 1
	v_cndmask_b32_e32 v2, v4, v2, vcc
	v_and_or_b32 v4, v3, s13, v2
	v_perm_b32 v3, v11, v10, s3
	v_perm_b32 v2, v13, v12, s3
	global_store_dwordx2 v1, v[2:3], s[0:1]
	v_perm_b32 v3, v4, v8, s3
	v_perm_b32 v2, v15, v14, s3
	global_store_dwordx2 v1, v[2:3], s[0:1] offset:2048
	s_mov_b64 s[0:1], 0
.LBB212_2:
	s_andn2_b64 vcc, exec, s[0:1]
	s_cbranch_vccnz .LBB212_41
; %bb.3:
	v_cmp_gt_i32_e32 vcc, s10, v0
	v_mov_b64_e32 v[16:17], 0
	v_or_b32_e32 v2, s2, v0
	v_mov_b64_e32 v[18:19], 0
	v_mov_b32_e32 v1, v0
	s_and_saveexec_b64 s[0:1], vcc
	s_cbranch_execz .LBB212_5
; %bb.4:
	v_mov_b32_e32 v3, 0
	v_lshl_add_u64 v[4:5], v[2:3], 1, s[6:7]
	global_load_ushort v1, v[4:5], off
	s_waitcnt vmcnt(0)
	v_cvt_f32_f16_e32 v3, v1
	v_or_b32_e32 v1, 0x100, v0
	v_cvt_f64_f32_e32 v[18:19], v3
.LBB212_5:
	s_or_b64 exec, exec, s[0:1]
	v_cmp_gt_i32_e64 s[0:1], s10, v1
	s_and_saveexec_b64 s[8:9], s[0:1]
	s_cbranch_execz .LBB212_7
; %bb.6:
	v_add_u32_e32 v4, s2, v1
	v_mov_b32_e32 v5, 0
	v_lshl_add_u64 v[4:5], v[4:5], 1, s[6:7]
	global_load_ushort v3, v[4:5], off
	v_add_u32_e32 v1, 0x100, v1
	s_waitcnt vmcnt(0)
	v_cvt_f32_f16_e32 v3, v3
	v_cvt_f64_f32_e32 v[16:17], v3
.LBB212_7:
	s_or_b64 exec, exec, s[8:9]
	v_cmp_gt_i32_e64 s[0:1], s10, v1
	v_mov_b64_e32 v[12:13], 0
	v_mov_b64_e32 v[14:15], 0
	s_and_saveexec_b64 s[8:9], s[0:1]
	s_cbranch_execz .LBB212_9
; %bb.8:
	v_add_u32_e32 v4, s2, v1
	v_mov_b32_e32 v5, 0
	v_lshl_add_u64 v[4:5], v[4:5], 1, s[6:7]
	global_load_ushort v3, v[4:5], off
	v_add_u32_e32 v1, 0x100, v1
	s_waitcnt vmcnt(0)
	v_cvt_f32_f16_e32 v3, v3
	v_cvt_f64_f32_e32 v[14:15], v3
.LBB212_9:
	s_or_b64 exec, exec, s[8:9]
	v_cmp_gt_i32_e64 s[0:1], s10, v1
	s_and_saveexec_b64 s[8:9], s[0:1]
	s_cbranch_execz .LBB212_11
; %bb.10:
	v_add_u32_e32 v4, s2, v1
	v_mov_b32_e32 v5, 0
	v_lshl_add_u64 v[4:5], v[4:5], 1, s[6:7]
	global_load_ushort v3, v[4:5], off
	v_add_u32_e32 v1, 0x100, v1
	s_waitcnt vmcnt(0)
	v_cvt_f32_f16_e32 v3, v3
	v_cvt_f64_f32_e32 v[12:13], v3
.LBB212_11:
	s_or_b64 exec, exec, s[8:9]
	v_cmp_gt_i32_e64 s[0:1], s10, v1
	v_mov_b64_e32 v[8:9], 0
	v_mov_b64_e32 v[10:11], 0
	s_and_saveexec_b64 s[8:9], s[0:1]
	s_cbranch_execz .LBB212_13
; %bb.12:
	v_add_u32_e32 v4, s2, v1
	v_mov_b32_e32 v5, 0
	v_lshl_add_u64 v[4:5], v[4:5], 1, s[6:7]
	global_load_ushort v3, v[4:5], off
	v_add_u32_e32 v1, 0x100, v1
	s_waitcnt vmcnt(0)
	v_cvt_f32_f16_e32 v3, v3
	v_cvt_f64_f32_e32 v[10:11], v3
.LBB212_13:
	s_or_b64 exec, exec, s[8:9]
	v_cmp_gt_i32_e64 s[0:1], s10, v1
	s_and_saveexec_b64 s[8:9], s[0:1]
	s_cbranch_execz .LBB212_15
; %bb.14:
	v_add_u32_e32 v4, s2, v1
	v_mov_b32_e32 v5, 0
	v_lshl_add_u64 v[4:5], v[4:5], 1, s[6:7]
	global_load_ushort v3, v[4:5], off
	v_add_u32_e32 v1, 0x100, v1
	s_waitcnt vmcnt(0)
	v_cvt_f32_f16_e32 v3, v3
	v_cvt_f64_f32_e32 v[8:9], v3
.LBB212_15:
	s_or_b64 exec, exec, s[8:9]
	v_cmp_gt_i32_e64 s[0:1], s10, v1
	v_mov_b64_e32 v[4:5], 0
	v_mov_b64_e32 v[6:7], 0
	s_and_saveexec_b64 s[8:9], s[0:1]
	s_cbranch_execnz .LBB212_42
; %bb.16:
	s_or_b64 exec, exec, s[8:9]
	v_cmp_gt_i32_e64 s[0:1], s10, v1
	s_and_saveexec_b64 s[8:9], s[0:1]
	s_cbranch_execnz .LBB212_43
.LBB212_17:
	s_or_b64 exec, exec, s[8:9]
                                        ; implicit-def: $vgpr1
	s_and_saveexec_b64 s[6:7], vcc
	s_cbranch_execz .LBB212_19
.LBB212_18:
	v_rsq_f64_e32 v[20:21], v[18:19]
	s_mov_b32 s0, 0
	s_mov_b32 s1, 0x3fd80000
	v_mov_b32_e32 v1, 0x180
	v_mul_f64 v[18:19], v[20:21], -v[18:19]
	v_fma_f64 v[18:19], v[18:19], v[20:21], 1.0
	v_mul_f64 v[22:23], v[20:21], v[18:19]
	v_fma_f64 v[18:19], v[18:19], s[0:1], 0.5
	v_fma_f64 v[18:19], v[22:23], v[18:19], v[20:21]
	v_cmp_class_f64_e64 s[0:1], v[20:21], v1
	s_nop 1
	v_cndmask_b32_e64 v1, v20, v18, s[0:1]
	v_cndmask_b32_e64 v3, v21, v19, s[0:1]
	s_movk_i32 s0, 0x1ff
	v_and_or_b32 v1, v3, s0, v1
	v_cmp_ne_u32_e64 s[0:1], 0, v1
	v_lshrrev_b32_e32 v18, 8, v3
	v_bfe_u32 v19, v3, 20, 11
	v_cndmask_b32_e64 v1, 0, 1, s[0:1]
	s_movk_i32 s0, 0xffe
	v_and_or_b32 v1, v18, s0, v1
	v_sub_u32_e32 v20, 0x3f1, v19
	v_or_b32_e32 v18, 0x1000, v1
	v_med3_i32 v20, v20, 0, 13
	v_lshrrev_b32_e32 v21, v20, v18
	v_lshlrev_b32_e32 v20, v20, v21
	v_cmp_ne_u32_e64 s[0:1], v20, v18
	v_add_u32_e32 v19, 0xfffffc10, v19
	v_lshl_or_b32 v20, v19, 12, v1
	v_cndmask_b32_e64 v18, 0, 1, s[0:1]
	v_or_b32_e32 v18, v21, v18
	v_cmp_gt_i32_e64 s[0:1], 1, v19
	v_lshrrev_b32_e32 v3, 16, v3
	s_nop 0
	v_cndmask_b32_e64 v18, v20, v18, s[0:1]
	v_and_b32_e32 v20, 7, v18
	v_cmp_lt_i32_e64 s[0:1], 5, v20
	v_lshrrev_b32_e32 v18, 2, v18
	s_nop 0
	v_cndmask_b32_e64 v21, 0, 1, s[0:1]
	v_cmp_eq_u32_e64 s[0:1], 3, v20
	s_nop 1
	v_cndmask_b32_e64 v20, 0, 1, s[0:1]
	v_or_b32_e32 v20, v20, v21
	v_add_u32_e32 v18, v18, v20
	v_mov_b32_e32 v20, 0x7c00
	v_cmp_gt_i32_e64 s[0:1], 31, v19
	v_mov_b32_e32 v21, 0x7e00
	s_nop 0
	v_cndmask_b32_e64 v18, v20, v18, s[0:1]
	v_cmp_ne_u32_e64 s[0:1], 0, v1
	s_nop 1
	v_cndmask_b32_e64 v1, v20, v21, s[0:1]
	s_movk_i32 s0, 0x40f
	v_cmp_eq_u32_e64 s[0:1], s0, v19
	s_nop 1
	v_cndmask_b32_e64 v1, v18, v1, s[0:1]
	s_mov_b32 s0, 0x8000
	v_and_or_b32 v1, v3, s0, v1
.LBB212_19:
	s_or_b64 exec, exec, s[6:7]
	v_or_b32_e32 v18, 0x100, v0
	v_cmp_gt_i32_e64 s[0:1], s10, v18
                                        ; implicit-def: $vgpr19
	s_and_saveexec_b64 s[6:7], s[0:1]
	s_cbranch_execz .LBB212_21
; %bb.20:
	v_rsq_f64_e32 v[20:21], v[16:17]
	s_mov_b32 s0, 0
	s_mov_b32 s1, 0x3fd80000
	v_mov_b32_e32 v3, 0x180
	v_mul_f64 v[16:17], v[20:21], -v[16:17]
	v_fma_f64 v[16:17], v[16:17], v[20:21], 1.0
	v_mul_f64 v[22:23], v[20:21], v[16:17]
	v_fma_f64 v[16:17], v[16:17], s[0:1], 0.5
	v_fma_f64 v[16:17], v[22:23], v[16:17], v[20:21]
	v_cmp_class_f64_e64 s[0:1], v[20:21], v3
	s_nop 1
	v_cndmask_b32_e64 v3, v20, v16, s[0:1]
	v_cndmask_b32_e64 v16, v21, v17, s[0:1]
	s_movk_i32 s0, 0x1ff
	v_and_or_b32 v3, v16, s0, v3
	v_cmp_ne_u32_e64 s[0:1], 0, v3
	v_lshrrev_b32_e32 v17, 8, v16
	v_bfe_u32 v19, v16, 20, 11
	v_cndmask_b32_e64 v3, 0, 1, s[0:1]
	s_movk_i32 s0, 0xffe
	v_and_or_b32 v3, v17, s0, v3
	v_sub_u32_e32 v20, 0x3f1, v19
	v_or_b32_e32 v17, 0x1000, v3
	v_med3_i32 v20, v20, 0, 13
	v_lshrrev_b32_e32 v21, v20, v17
	v_lshlrev_b32_e32 v20, v20, v21
	v_cmp_ne_u32_e64 s[0:1], v20, v17
	v_add_u32_e32 v19, 0xfffffc10, v19
	v_lshl_or_b32 v20, v19, 12, v3
	v_cndmask_b32_e64 v17, 0, 1, s[0:1]
	v_or_b32_e32 v17, v21, v17
	v_cmp_gt_i32_e64 s[0:1], 1, v19
	v_lshrrev_b32_e32 v16, 16, v16
	s_nop 0
	v_cndmask_b32_e64 v17, v20, v17, s[0:1]
	v_and_b32_e32 v20, 7, v17
	v_cmp_lt_i32_e64 s[0:1], 5, v20
	v_lshrrev_b32_e32 v17, 2, v17
	s_nop 0
	v_cndmask_b32_e64 v21, 0, 1, s[0:1]
	v_cmp_eq_u32_e64 s[0:1], 3, v20
	s_nop 1
	v_cndmask_b32_e64 v20, 0, 1, s[0:1]
	v_or_b32_e32 v20, v20, v21
	v_add_u32_e32 v17, v17, v20
	v_mov_b32_e32 v20, 0x7c00
	v_cmp_gt_i32_e64 s[0:1], 31, v19
	v_mov_b32_e32 v21, 0x7e00
	s_nop 0
	v_cndmask_b32_e64 v17, v20, v17, s[0:1]
	v_cmp_ne_u32_e64 s[0:1], 0, v3
	s_nop 1
	v_cndmask_b32_e64 v3, v20, v21, s[0:1]
	s_movk_i32 s0, 0x40f
	v_cmp_eq_u32_e64 s[0:1], s0, v19
	s_nop 1
	v_cndmask_b32_e64 v3, v17, v3, s[0:1]
	s_mov_b32 s0, 0x8000
	v_and_or_b32 v19, v16, s0, v3
.LBB212_21:
	s_or_b64 exec, exec, s[6:7]
	v_or_b32_e32 v3, 0x200, v0
	v_cmp_gt_i32_e64 s[0:1], s10, v3
                                        ; implicit-def: $vgpr16
	s_and_saveexec_b64 s[6:7], s[0:1]
	s_cbranch_execz .LBB212_23
; %bb.22:
	v_rsq_f64_e32 v[16:17], v[14:15]
	s_mov_b32 s0, 0
	s_mov_b32 s1, 0x3fd80000
	v_mov_b32_e32 v3, 0x180
	v_mul_f64 v[14:15], v[16:17], -v[14:15]
	v_fma_f64 v[14:15], v[14:15], v[16:17], 1.0
	v_mul_f64 v[20:21], v[16:17], v[14:15]
	v_fma_f64 v[14:15], v[14:15], s[0:1], 0.5
	v_fma_f64 v[14:15], v[20:21], v[14:15], v[16:17]
	v_cmp_class_f64_e64 s[0:1], v[16:17], v3
	s_nop 1
	v_cndmask_b32_e64 v3, v16, v14, s[0:1]
	v_cndmask_b32_e64 v14, v17, v15, s[0:1]
	s_movk_i32 s0, 0x1ff
	v_and_or_b32 v3, v14, s0, v3
	v_cmp_ne_u32_e64 s[0:1], 0, v3
	v_lshrrev_b32_e32 v15, 8, v14
	v_bfe_u32 v16, v14, 20, 11
	v_cndmask_b32_e64 v3, 0, 1, s[0:1]
	s_movk_i32 s0, 0xffe
	v_and_or_b32 v3, v15, s0, v3
	v_sub_u32_e32 v17, 0x3f1, v16
	v_or_b32_e32 v15, 0x1000, v3
	v_med3_i32 v17, v17, 0, 13
	v_lshrrev_b32_e32 v20, v17, v15
	v_lshlrev_b32_e32 v17, v17, v20
	v_cmp_ne_u32_e64 s[0:1], v17, v15
	v_add_u32_e32 v16, 0xfffffc10, v16
	v_lshl_or_b32 v17, v16, 12, v3
	v_cndmask_b32_e64 v15, 0, 1, s[0:1]
	v_or_b32_e32 v15, v20, v15
	v_cmp_gt_i32_e64 s[0:1], 1, v16
	v_lshrrev_b32_e32 v14, 16, v14
	s_nop 0
	v_cndmask_b32_e64 v15, v17, v15, s[0:1]
	v_and_b32_e32 v17, 7, v15
	v_cmp_lt_i32_e64 s[0:1], 5, v17
	v_lshrrev_b32_e32 v15, 2, v15
	s_nop 0
	v_cndmask_b32_e64 v20, 0, 1, s[0:1]
	v_cmp_eq_u32_e64 s[0:1], 3, v17
	s_nop 1
	v_cndmask_b32_e64 v17, 0, 1, s[0:1]
	v_or_b32_e32 v17, v17, v20
	v_add_u32_e32 v15, v15, v17
	v_mov_b32_e32 v17, 0x7c00
	v_cmp_gt_i32_e64 s[0:1], 31, v16
	v_mov_b32_e32 v20, 0x7e00
	s_nop 0
	v_cndmask_b32_e64 v15, v17, v15, s[0:1]
	v_cmp_ne_u32_e64 s[0:1], 0, v3
	s_nop 1
	v_cndmask_b32_e64 v3, v17, v20, s[0:1]
	s_movk_i32 s0, 0x40f
	v_cmp_eq_u32_e64 s[0:1], s0, v16
	s_nop 1
	v_cndmask_b32_e64 v3, v15, v3, s[0:1]
	s_mov_b32 s0, 0x8000
	v_and_or_b32 v16, v14, s0, v3
.LBB212_23:
	s_or_b64 exec, exec, s[6:7]
	v_or_b32_e32 v3, 0x300, v0
	v_cmp_gt_i32_e64 s[0:1], s10, v3
                                        ; implicit-def: $vgpr14
	s_and_saveexec_b64 s[6:7], s[0:1]
	s_cbranch_execz .LBB212_25
; %bb.24:
	v_rsq_f64_e32 v[14:15], v[12:13]
	s_mov_b32 s0, 0
	s_mov_b32 s1, 0x3fd80000
	v_mov_b32_e32 v3, 0x180
	v_mul_f64 v[12:13], v[14:15], -v[12:13]
	v_fma_f64 v[12:13], v[12:13], v[14:15], 1.0
	v_mul_f64 v[20:21], v[14:15], v[12:13]
	v_fma_f64 v[12:13], v[12:13], s[0:1], 0.5
	v_fma_f64 v[12:13], v[20:21], v[12:13], v[14:15]
	v_cmp_class_f64_e64 s[0:1], v[14:15], v3
	s_nop 1
	v_cndmask_b32_e64 v3, v14, v12, s[0:1]
	v_cndmask_b32_e64 v12, v15, v13, s[0:1]
	s_movk_i32 s0, 0x1ff
	v_and_or_b32 v3, v12, s0, v3
	v_cmp_ne_u32_e64 s[0:1], 0, v3
	v_lshrrev_b32_e32 v13, 8, v12
	v_bfe_u32 v14, v12, 20, 11
	v_cndmask_b32_e64 v3, 0, 1, s[0:1]
	s_movk_i32 s0, 0xffe
	v_and_or_b32 v3, v13, s0, v3
	v_sub_u32_e32 v15, 0x3f1, v14
	v_or_b32_e32 v13, 0x1000, v3
	v_med3_i32 v15, v15, 0, 13
	v_lshrrev_b32_e32 v17, v15, v13
	v_lshlrev_b32_e32 v15, v15, v17
	v_cmp_ne_u32_e64 s[0:1], v15, v13
	v_add_u32_e32 v14, 0xfffffc10, v14
	v_lshl_or_b32 v15, v14, 12, v3
	v_cndmask_b32_e64 v13, 0, 1, s[0:1]
	v_or_b32_e32 v13, v17, v13
	v_cmp_gt_i32_e64 s[0:1], 1, v14
	v_lshrrev_b32_e32 v12, 16, v12
	s_nop 0
	v_cndmask_b32_e64 v13, v15, v13, s[0:1]
	v_and_b32_e32 v15, 7, v13
	v_cmp_lt_i32_e64 s[0:1], 5, v15
	v_lshrrev_b32_e32 v13, 2, v13
	s_nop 0
	v_cndmask_b32_e64 v17, 0, 1, s[0:1]
	v_cmp_eq_u32_e64 s[0:1], 3, v15
	s_nop 1
	v_cndmask_b32_e64 v15, 0, 1, s[0:1]
	v_or_b32_e32 v15, v15, v17
	v_add_u32_e32 v13, v13, v15
	v_mov_b32_e32 v15, 0x7c00
	v_cmp_gt_i32_e64 s[0:1], 31, v14
	v_mov_b32_e32 v17, 0x7e00
	s_nop 0
	v_cndmask_b32_e64 v13, v15, v13, s[0:1]
	v_cmp_ne_u32_e64 s[0:1], 0, v3
	s_nop 1
	v_cndmask_b32_e64 v3, v15, v17, s[0:1]
	s_movk_i32 s0, 0x40f
	v_cmp_eq_u32_e64 s[0:1], s0, v14
	s_nop 1
	v_cndmask_b32_e64 v3, v13, v3, s[0:1]
	s_mov_b32 s0, 0x8000
	v_and_or_b32 v14, v12, s0, v3
.LBB212_25:
	s_or_b64 exec, exec, s[6:7]
	v_or_b32_e32 v3, 0x400, v0
	v_cmp_gt_i32_e64 s[0:1], s10, v3
                                        ; implicit-def: $vgpr12
	s_and_saveexec_b64 s[6:7], s[0:1]
	s_cbranch_execz .LBB212_27
; %bb.26:
	v_rsq_f64_e32 v[12:13], v[10:11]
	s_mov_b32 s0, 0
	s_mov_b32 s1, 0x3fd80000
	v_mov_b32_e32 v3, 0x180
	v_mul_f64 v[10:11], v[12:13], -v[10:11]
	v_fma_f64 v[10:11], v[10:11], v[12:13], 1.0
	v_mul_f64 v[20:21], v[12:13], v[10:11]
	v_fma_f64 v[10:11], v[10:11], s[0:1], 0.5
	v_fma_f64 v[10:11], v[20:21], v[10:11], v[12:13]
	v_cmp_class_f64_e64 s[0:1], v[12:13], v3
	s_nop 1
	v_cndmask_b32_e64 v3, v12, v10, s[0:1]
	v_cndmask_b32_e64 v10, v13, v11, s[0:1]
	s_movk_i32 s0, 0x1ff
	v_and_or_b32 v3, v10, s0, v3
	v_cmp_ne_u32_e64 s[0:1], 0, v3
	v_lshrrev_b32_e32 v11, 8, v10
	v_bfe_u32 v12, v10, 20, 11
	v_cndmask_b32_e64 v3, 0, 1, s[0:1]
	s_movk_i32 s0, 0xffe
	v_and_or_b32 v3, v11, s0, v3
	v_sub_u32_e32 v13, 0x3f1, v12
	v_or_b32_e32 v11, 0x1000, v3
	v_med3_i32 v13, v13, 0, 13
	v_lshrrev_b32_e32 v15, v13, v11
	v_lshlrev_b32_e32 v13, v13, v15
	v_cmp_ne_u32_e64 s[0:1], v13, v11
	v_add_u32_e32 v12, 0xfffffc10, v12
	v_lshl_or_b32 v13, v12, 12, v3
	v_cndmask_b32_e64 v11, 0, 1, s[0:1]
	v_or_b32_e32 v11, v15, v11
	v_cmp_gt_i32_e64 s[0:1], 1, v12
	v_lshrrev_b32_e32 v10, 16, v10
	s_nop 0
	v_cndmask_b32_e64 v11, v13, v11, s[0:1]
	v_and_b32_e32 v13, 7, v11
	v_cmp_lt_i32_e64 s[0:1], 5, v13
	v_lshrrev_b32_e32 v11, 2, v11
	s_nop 0
	v_cndmask_b32_e64 v15, 0, 1, s[0:1]
	v_cmp_eq_u32_e64 s[0:1], 3, v13
	s_nop 1
	v_cndmask_b32_e64 v13, 0, 1, s[0:1]
	v_or_b32_e32 v13, v13, v15
	v_add_u32_e32 v11, v11, v13
	v_mov_b32_e32 v13, 0x7c00
	v_cmp_gt_i32_e64 s[0:1], 31, v12
	v_mov_b32_e32 v15, 0x7e00
	s_nop 0
	v_cndmask_b32_e64 v11, v13, v11, s[0:1]
	v_cmp_ne_u32_e64 s[0:1], 0, v3
	s_nop 1
	v_cndmask_b32_e64 v3, v13, v15, s[0:1]
	s_movk_i32 s0, 0x40f
	v_cmp_eq_u32_e64 s[0:1], s0, v12
	s_nop 1
	v_cndmask_b32_e64 v3, v11, v3, s[0:1]
	s_mov_b32 s0, 0x8000
	v_and_or_b32 v12, v10, s0, v3
.LBB212_27:
	s_or_b64 exec, exec, s[6:7]
	v_or_b32_e32 v3, 0x500, v0
	v_cmp_gt_i32_e64 s[0:1], s10, v3
                                        ; implicit-def: $vgpr10
	s_and_saveexec_b64 s[6:7], s[0:1]
	s_cbranch_execz .LBB212_29
; %bb.28:
	v_rsq_f64_e32 v[10:11], v[8:9]
	s_mov_b32 s0, 0
	s_mov_b32 s1, 0x3fd80000
	v_mov_b32_e32 v3, 0x180
	v_mul_f64 v[8:9], v[10:11], -v[8:9]
	v_fma_f64 v[8:9], v[8:9], v[10:11], 1.0
	v_mul_f64 v[20:21], v[10:11], v[8:9]
	v_fma_f64 v[8:9], v[8:9], s[0:1], 0.5
	v_fma_f64 v[8:9], v[20:21], v[8:9], v[10:11]
	v_cmp_class_f64_e64 s[0:1], v[10:11], v3
	s_nop 1
	v_cndmask_b32_e64 v3, v10, v8, s[0:1]
	v_cndmask_b32_e64 v8, v11, v9, s[0:1]
	s_movk_i32 s0, 0x1ff
	v_and_or_b32 v3, v8, s0, v3
	v_cmp_ne_u32_e64 s[0:1], 0, v3
	v_lshrrev_b32_e32 v9, 8, v8
	v_bfe_u32 v10, v8, 20, 11
	v_cndmask_b32_e64 v3, 0, 1, s[0:1]
	s_movk_i32 s0, 0xffe
	v_and_or_b32 v3, v9, s0, v3
	v_sub_u32_e32 v11, 0x3f1, v10
	v_or_b32_e32 v9, 0x1000, v3
	v_med3_i32 v11, v11, 0, 13
	v_lshrrev_b32_e32 v13, v11, v9
	v_lshlrev_b32_e32 v11, v11, v13
	v_cmp_ne_u32_e64 s[0:1], v11, v9
	v_add_u32_e32 v10, 0xfffffc10, v10
	v_lshl_or_b32 v11, v10, 12, v3
	v_cndmask_b32_e64 v9, 0, 1, s[0:1]
	v_or_b32_e32 v9, v13, v9
	v_cmp_gt_i32_e64 s[0:1], 1, v10
	v_lshrrev_b32_e32 v8, 16, v8
	s_nop 0
	v_cndmask_b32_e64 v9, v11, v9, s[0:1]
	v_and_b32_e32 v11, 7, v9
	v_cmp_lt_i32_e64 s[0:1], 5, v11
	v_lshrrev_b32_e32 v9, 2, v9
	s_nop 0
	v_cndmask_b32_e64 v13, 0, 1, s[0:1]
	v_cmp_eq_u32_e64 s[0:1], 3, v11
	s_nop 1
	v_cndmask_b32_e64 v11, 0, 1, s[0:1]
	v_or_b32_e32 v11, v11, v13
	v_add_u32_e32 v9, v9, v11
	v_mov_b32_e32 v11, 0x7c00
	v_cmp_gt_i32_e64 s[0:1], 31, v10
	v_mov_b32_e32 v13, 0x7e00
	s_nop 0
	v_cndmask_b32_e64 v9, v11, v9, s[0:1]
	v_cmp_ne_u32_e64 s[0:1], 0, v3
	s_nop 1
	v_cndmask_b32_e64 v3, v11, v13, s[0:1]
	s_movk_i32 s0, 0x40f
	v_cmp_eq_u32_e64 s[0:1], s0, v10
	s_nop 1
	v_cndmask_b32_e64 v3, v9, v3, s[0:1]
	s_mov_b32 s0, 0x8000
	v_and_or_b32 v10, v8, s0, v3
.LBB212_29:
	s_or_b64 exec, exec, s[6:7]
	v_or_b32_e32 v3, 0x600, v0
	v_cmp_gt_i32_e64 s[0:1], s10, v3
                                        ; implicit-def: $vgpr8
	s_and_saveexec_b64 s[6:7], s[0:1]
	s_cbranch_execz .LBB212_31
; %bb.30:
	v_rsq_f64_e32 v[8:9], v[6:7]
	s_mov_b32 s0, 0
	s_mov_b32 s1, 0x3fd80000
	v_mov_b32_e32 v3, 0x180
	v_mul_f64 v[6:7], v[8:9], -v[6:7]
	v_fma_f64 v[6:7], v[6:7], v[8:9], 1.0
	v_mul_f64 v[20:21], v[8:9], v[6:7]
	v_fma_f64 v[6:7], v[6:7], s[0:1], 0.5
	v_fma_f64 v[6:7], v[20:21], v[6:7], v[8:9]
	v_cmp_class_f64_e64 s[0:1], v[8:9], v3
	s_nop 1
	v_cndmask_b32_e64 v3, v8, v6, s[0:1]
	v_cndmask_b32_e64 v6, v9, v7, s[0:1]
	s_movk_i32 s0, 0x1ff
	v_and_or_b32 v3, v6, s0, v3
	v_cmp_ne_u32_e64 s[0:1], 0, v3
	v_lshrrev_b32_e32 v7, 8, v6
	v_bfe_u32 v8, v6, 20, 11
	v_cndmask_b32_e64 v3, 0, 1, s[0:1]
	s_movk_i32 s0, 0xffe
	v_and_or_b32 v3, v7, s0, v3
	v_sub_u32_e32 v9, 0x3f1, v8
	v_or_b32_e32 v7, 0x1000, v3
	v_med3_i32 v9, v9, 0, 13
	v_lshrrev_b32_e32 v11, v9, v7
	v_lshlrev_b32_e32 v9, v9, v11
	v_cmp_ne_u32_e64 s[0:1], v9, v7
	v_add_u32_e32 v8, 0xfffffc10, v8
	v_lshl_or_b32 v9, v8, 12, v3
	v_cndmask_b32_e64 v7, 0, 1, s[0:1]
	v_or_b32_e32 v7, v11, v7
	v_cmp_gt_i32_e64 s[0:1], 1, v8
	v_lshrrev_b32_e32 v6, 16, v6
	s_nop 0
	v_cndmask_b32_e64 v7, v9, v7, s[0:1]
	v_and_b32_e32 v9, 7, v7
	v_cmp_lt_i32_e64 s[0:1], 5, v9
	v_lshrrev_b32_e32 v7, 2, v7
	s_nop 0
	v_cndmask_b32_e64 v11, 0, 1, s[0:1]
	v_cmp_eq_u32_e64 s[0:1], 3, v9
	s_nop 1
	v_cndmask_b32_e64 v9, 0, 1, s[0:1]
	v_or_b32_e32 v9, v9, v11
	v_add_u32_e32 v7, v7, v9
	v_mov_b32_e32 v9, 0x7c00
	v_cmp_gt_i32_e64 s[0:1], 31, v8
	v_mov_b32_e32 v11, 0x7e00
	s_nop 0
	v_cndmask_b32_e64 v7, v9, v7, s[0:1]
	v_cmp_ne_u32_e64 s[0:1], 0, v3
	s_nop 1
	v_cndmask_b32_e64 v3, v9, v11, s[0:1]
	s_movk_i32 s0, 0x40f
	v_cmp_eq_u32_e64 s[0:1], s0, v8
	s_nop 1
	v_cndmask_b32_e64 v3, v7, v3, s[0:1]
	s_mov_b32 s0, 0x8000
	v_and_or_b32 v8, v6, s0, v3
.LBB212_31:
	s_or_b64 exec, exec, s[6:7]
	v_or_b32_e32 v3, 0x700, v0
	v_cmp_gt_i32_e64 s[0:1], s10, v3
                                        ; implicit-def: $vgpr6
	s_and_saveexec_b64 s[6:7], s[0:1]
	s_cbranch_execnz .LBB212_44
; %bb.32:
	s_or_b64 exec, exec, s[6:7]
	s_and_saveexec_b64 s[0:1], vcc
	s_xor_b64 s[0:1], exec, s[0:1]
	s_cbranch_execnz .LBB212_45
.LBB212_33:
	s_or_b64 exec, exec, s[0:1]
	v_cmp_gt_i32_e32 vcc, s10, v0
	s_and_saveexec_b64 s[0:1], vcc
	s_cbranch_execnz .LBB212_46
.LBB212_34:
	s_or_b64 exec, exec, s[0:1]
	v_cmp_gt_i32_e32 vcc, s10, v0
	s_and_saveexec_b64 s[0:1], vcc
	s_cbranch_execnz .LBB212_47
.LBB212_35:
	s_or_b64 exec, exec, s[0:1]
	v_cmp_gt_i32_e32 vcc, s10, v0
	s_and_saveexec_b64 s[0:1], vcc
	s_cbranch_execnz .LBB212_48
.LBB212_36:
	s_or_b64 exec, exec, s[0:1]
	v_cmp_gt_i32_e32 vcc, s10, v0
	s_and_saveexec_b64 s[0:1], vcc
	s_cbranch_execnz .LBB212_49
.LBB212_37:
	s_or_b64 exec, exec, s[0:1]
	v_cmp_gt_i32_e32 vcc, s10, v0
	s_and_saveexec_b64 s[0:1], vcc
	s_cbranch_execnz .LBB212_50
.LBB212_38:
	s_or_b64 exec, exec, s[0:1]
	v_cmp_gt_i32_e32 vcc, s10, v0
	s_and_saveexec_b64 s[0:1], vcc
	s_cbranch_execnz .LBB212_51
.LBB212_39:
	s_or_b64 exec, exec, s[0:1]
	v_cmp_gt_i32_e32 vcc, s10, v0
	s_and_saveexec_b64 s[0:1], vcc
	s_cbranch_execz .LBB212_41
.LBB212_40:
	v_add_u32_e32 v0, s2, v0
	v_mov_b32_e32 v1, 0
	v_lshl_add_u64 v[0:1], v[0:1], 1, s[4:5]
	global_store_short v[0:1], v6, off
.LBB212_41:
	s_endpgm
.LBB212_42:
	v_add_u32_e32 v6, s2, v1
	v_mov_b32_e32 v7, 0
	v_lshl_add_u64 v[6:7], v[6:7], 1, s[6:7]
	global_load_ushort v3, v[6:7], off
	v_add_u32_e32 v1, 0x100, v1
	s_waitcnt vmcnt(0)
	v_cvt_f32_f16_e32 v3, v3
	v_cvt_f64_f32_e32 v[6:7], v3
	s_or_b64 exec, exec, s[8:9]
	v_cmp_gt_i32_e64 s[0:1], s10, v1
	s_and_saveexec_b64 s[8:9], s[0:1]
	s_cbranch_execz .LBB212_17
.LBB212_43:
	v_add_u32_e32 v4, s2, v1
	v_mov_b32_e32 v5, 0
	v_lshl_add_u64 v[4:5], v[4:5], 1, s[6:7]
	global_load_ushort v1, v[4:5], off
	s_waitcnt vmcnt(0)
	v_cvt_f32_f16_e32 v1, v1
	v_cvt_f64_f32_e32 v[4:5], v1
	s_or_b64 exec, exec, s[8:9]
                                        ; implicit-def: $vgpr1
	s_and_saveexec_b64 s[6:7], vcc
	s_cbranch_execnz .LBB212_18
	s_branch .LBB212_19
.LBB212_44:
	v_rsq_f64_e32 v[6:7], v[4:5]
	s_mov_b32 s0, 0
	s_mov_b32 s1, 0x3fd80000
	v_mov_b32_e32 v3, 0x180
	v_mul_f64 v[4:5], v[6:7], -v[4:5]
	v_fma_f64 v[4:5], v[4:5], v[6:7], 1.0
	v_mul_f64 v[20:21], v[6:7], v[4:5]
	v_fma_f64 v[4:5], v[4:5], s[0:1], 0.5
	v_fma_f64 v[4:5], v[20:21], v[4:5], v[6:7]
	v_cmp_class_f64_e64 s[0:1], v[6:7], v3
	s_nop 1
	v_cndmask_b32_e64 v3, v6, v4, s[0:1]
	v_cndmask_b32_e64 v4, v7, v5, s[0:1]
	s_movk_i32 s0, 0x1ff
	v_and_or_b32 v3, v4, s0, v3
	v_cmp_ne_u32_e64 s[0:1], 0, v3
	v_lshrrev_b32_e32 v5, 8, v4
	v_bfe_u32 v6, v4, 20, 11
	v_cndmask_b32_e64 v3, 0, 1, s[0:1]
	s_movk_i32 s0, 0xffe
	v_and_or_b32 v3, v5, s0, v3
	v_sub_u32_e32 v7, 0x3f1, v6
	v_or_b32_e32 v5, 0x1000, v3
	v_med3_i32 v7, v7, 0, 13
	v_lshrrev_b32_e32 v9, v7, v5
	v_lshlrev_b32_e32 v7, v7, v9
	v_cmp_ne_u32_e64 s[0:1], v7, v5
	v_add_u32_e32 v6, 0xfffffc10, v6
	v_lshl_or_b32 v7, v6, 12, v3
	v_cndmask_b32_e64 v5, 0, 1, s[0:1]
	v_or_b32_e32 v5, v9, v5
	v_cmp_gt_i32_e64 s[0:1], 1, v6
	v_lshrrev_b32_e32 v4, 16, v4
	s_nop 0
	v_cndmask_b32_e64 v5, v7, v5, s[0:1]
	v_and_b32_e32 v7, 7, v5
	v_cmp_lt_i32_e64 s[0:1], 5, v7
	v_lshrrev_b32_e32 v5, 2, v5
	s_nop 0
	v_cndmask_b32_e64 v9, 0, 1, s[0:1]
	v_cmp_eq_u32_e64 s[0:1], 3, v7
	s_nop 1
	v_cndmask_b32_e64 v7, 0, 1, s[0:1]
	v_or_b32_e32 v7, v7, v9
	v_add_u32_e32 v5, v5, v7
	v_mov_b32_e32 v7, 0x7c00
	v_cmp_gt_i32_e64 s[0:1], 31, v6
	v_mov_b32_e32 v9, 0x7e00
	s_nop 0
	v_cndmask_b32_e64 v5, v7, v5, s[0:1]
	v_cmp_ne_u32_e64 s[0:1], 0, v3
	s_nop 1
	v_cndmask_b32_e64 v3, v7, v9, s[0:1]
	s_movk_i32 s0, 0x40f
	v_cmp_eq_u32_e64 s[0:1], s0, v6
	s_nop 1
	v_cndmask_b32_e64 v3, v5, v3, s[0:1]
	s_mov_b32 s0, 0x8000
	v_and_or_b32 v6, v4, s0, v3
	s_or_b64 exec, exec, s[6:7]
	s_and_saveexec_b64 s[0:1], vcc
	s_xor_b64 s[0:1], exec, s[0:1]
	s_cbranch_execz .LBB212_33
.LBB212_45:
	v_mov_b32_e32 v3, 0
	v_lshl_add_u64 v[2:3], v[2:3], 1, s[4:5]
	v_mov_b32_e32 v0, v18
	global_store_short v[2:3], v1, off
	s_or_b64 exec, exec, s[0:1]
	v_cmp_gt_i32_e32 vcc, s10, v0
	s_and_saveexec_b64 s[0:1], vcc
	s_cbranch_execz .LBB212_34
.LBB212_46:
	v_add_u32_e32 v2, s2, v0
	v_mov_b32_e32 v3, 0
	v_lshl_add_u64 v[2:3], v[2:3], 1, s[4:5]
	v_add_u32_e32 v0, 0x100, v0
	global_store_short v[2:3], v19, off
	s_or_b64 exec, exec, s[0:1]
	v_cmp_gt_i32_e32 vcc, s10, v0
	s_and_saveexec_b64 s[0:1], vcc
	s_cbranch_execz .LBB212_35
.LBB212_47:
	v_add_u32_e32 v2, s2, v0
	v_mov_b32_e32 v3, 0
	v_lshl_add_u64 v[2:3], v[2:3], 1, s[4:5]
	v_add_u32_e32 v0, 0x100, v0
	global_store_short v[2:3], v16, off
	s_or_b64 exec, exec, s[0:1]
	v_cmp_gt_i32_e32 vcc, s10, v0
	s_and_saveexec_b64 s[0:1], vcc
	s_cbranch_execz .LBB212_36
.LBB212_48:
	v_add_u32_e32 v2, s2, v0
	v_mov_b32_e32 v3, 0
	v_lshl_add_u64 v[2:3], v[2:3], 1, s[4:5]
	v_add_u32_e32 v0, 0x100, v0
	global_store_short v[2:3], v14, off
	s_or_b64 exec, exec, s[0:1]
	v_cmp_gt_i32_e32 vcc, s10, v0
	s_and_saveexec_b64 s[0:1], vcc
	s_cbranch_execz .LBB212_37
.LBB212_49:
	v_add_u32_e32 v2, s2, v0
	v_mov_b32_e32 v3, 0
	v_lshl_add_u64 v[2:3], v[2:3], 1, s[4:5]
	v_add_u32_e32 v0, 0x100, v0
	global_store_short v[2:3], v12, off
	s_or_b64 exec, exec, s[0:1]
	v_cmp_gt_i32_e32 vcc, s10, v0
	s_and_saveexec_b64 s[0:1], vcc
	s_cbranch_execz .LBB212_38
.LBB212_50:
	v_add_u32_e32 v2, s2, v0
	v_mov_b32_e32 v3, 0
	v_lshl_add_u64 v[2:3], v[2:3], 1, s[4:5]
	v_add_u32_e32 v0, 0x100, v0
	global_store_short v[2:3], v10, off
	s_or_b64 exec, exec, s[0:1]
	v_cmp_gt_i32_e32 vcc, s10, v0
	s_and_saveexec_b64 s[0:1], vcc
	s_cbranch_execz .LBB212_39
.LBB212_51:
	v_add_u32_e32 v2, s2, v0
	v_mov_b32_e32 v3, 0
	v_lshl_add_u64 v[2:3], v[2:3], 1, s[4:5]
	v_add_u32_e32 v0, 0x100, v0
	global_store_short v[2:3], v8, off
	s_or_b64 exec, exec, s[0:1]
	v_cmp_gt_i32_e32 vcc, s10, v0
	s_and_saveexec_b64 s[0:1], vcc
	s_cbranch_execnz .LBB212_40
	s_branch .LBB212_41
	.section	.rodata,"a",@progbits
	.p2align	6, 0x0
	.amdhsa_kernel _ZN2at6native29vectorized_elementwise_kernelILi4EZZZNS0_17rsqrt_kernel_cudaERNS_18TensorIteratorBaseEENKUlvE0_clEvENKUlvE2_clEvEUlN3c104HalfEE_St5arrayIPcLm2EEEEviT0_T1_
		.amdhsa_group_segment_fixed_size 0
		.amdhsa_private_segment_fixed_size 0
		.amdhsa_kernarg_size 24
		.amdhsa_user_sgpr_count 2
		.amdhsa_user_sgpr_dispatch_ptr 0
		.amdhsa_user_sgpr_queue_ptr 0
		.amdhsa_user_sgpr_kernarg_segment_ptr 1
		.amdhsa_user_sgpr_dispatch_id 0
		.amdhsa_user_sgpr_kernarg_preload_length 0
		.amdhsa_user_sgpr_kernarg_preload_offset 0
		.amdhsa_user_sgpr_private_segment_size 0
		.amdhsa_uses_dynamic_stack 0
		.amdhsa_enable_private_segment 0
		.amdhsa_system_sgpr_workgroup_id_x 1
		.amdhsa_system_sgpr_workgroup_id_y 0
		.amdhsa_system_sgpr_workgroup_id_z 0
		.amdhsa_system_sgpr_workgroup_info 0
		.amdhsa_system_vgpr_workitem_id 0
		.amdhsa_next_free_vgpr 27
		.amdhsa_next_free_sgpr 14
		.amdhsa_accum_offset 28
		.amdhsa_reserve_vcc 1
		.amdhsa_float_round_mode_32 0
		.amdhsa_float_round_mode_16_64 0
		.amdhsa_float_denorm_mode_32 3
		.amdhsa_float_denorm_mode_16_64 3
		.amdhsa_dx10_clamp 1
		.amdhsa_ieee_mode 1
		.amdhsa_fp16_overflow 0
		.amdhsa_tg_split 0
		.amdhsa_exception_fp_ieee_invalid_op 0
		.amdhsa_exception_fp_denorm_src 0
		.amdhsa_exception_fp_ieee_div_zero 0
		.amdhsa_exception_fp_ieee_overflow 0
		.amdhsa_exception_fp_ieee_underflow 0
		.amdhsa_exception_fp_ieee_inexact 0
		.amdhsa_exception_int_div_zero 0
	.end_amdhsa_kernel
	.section	.text._ZN2at6native29vectorized_elementwise_kernelILi4EZZZNS0_17rsqrt_kernel_cudaERNS_18TensorIteratorBaseEENKUlvE0_clEvENKUlvE2_clEvEUlN3c104HalfEE_St5arrayIPcLm2EEEEviT0_T1_,"axG",@progbits,_ZN2at6native29vectorized_elementwise_kernelILi4EZZZNS0_17rsqrt_kernel_cudaERNS_18TensorIteratorBaseEENKUlvE0_clEvENKUlvE2_clEvEUlN3c104HalfEE_St5arrayIPcLm2EEEEviT0_T1_,comdat
.Lfunc_end212:
	.size	_ZN2at6native29vectorized_elementwise_kernelILi4EZZZNS0_17rsqrt_kernel_cudaERNS_18TensorIteratorBaseEENKUlvE0_clEvENKUlvE2_clEvEUlN3c104HalfEE_St5arrayIPcLm2EEEEviT0_T1_, .Lfunc_end212-_ZN2at6native29vectorized_elementwise_kernelILi4EZZZNS0_17rsqrt_kernel_cudaERNS_18TensorIteratorBaseEENKUlvE0_clEvENKUlvE2_clEvEUlN3c104HalfEE_St5arrayIPcLm2EEEEviT0_T1_
                                        ; -- End function
	.set _ZN2at6native29vectorized_elementwise_kernelILi4EZZZNS0_17rsqrt_kernel_cudaERNS_18TensorIteratorBaseEENKUlvE0_clEvENKUlvE2_clEvEUlN3c104HalfEE_St5arrayIPcLm2EEEEviT0_T1_.num_vgpr, 27
	.set _ZN2at6native29vectorized_elementwise_kernelILi4EZZZNS0_17rsqrt_kernel_cudaERNS_18TensorIteratorBaseEENKUlvE0_clEvENKUlvE2_clEvEUlN3c104HalfEE_St5arrayIPcLm2EEEEviT0_T1_.num_agpr, 0
	.set _ZN2at6native29vectorized_elementwise_kernelILi4EZZZNS0_17rsqrt_kernel_cudaERNS_18TensorIteratorBaseEENKUlvE0_clEvENKUlvE2_clEvEUlN3c104HalfEE_St5arrayIPcLm2EEEEviT0_T1_.numbered_sgpr, 14
	.set _ZN2at6native29vectorized_elementwise_kernelILi4EZZZNS0_17rsqrt_kernel_cudaERNS_18TensorIteratorBaseEENKUlvE0_clEvENKUlvE2_clEvEUlN3c104HalfEE_St5arrayIPcLm2EEEEviT0_T1_.num_named_barrier, 0
	.set _ZN2at6native29vectorized_elementwise_kernelILi4EZZZNS0_17rsqrt_kernel_cudaERNS_18TensorIteratorBaseEENKUlvE0_clEvENKUlvE2_clEvEUlN3c104HalfEE_St5arrayIPcLm2EEEEviT0_T1_.private_seg_size, 0
	.set _ZN2at6native29vectorized_elementwise_kernelILi4EZZZNS0_17rsqrt_kernel_cudaERNS_18TensorIteratorBaseEENKUlvE0_clEvENKUlvE2_clEvEUlN3c104HalfEE_St5arrayIPcLm2EEEEviT0_T1_.uses_vcc, 1
	.set _ZN2at6native29vectorized_elementwise_kernelILi4EZZZNS0_17rsqrt_kernel_cudaERNS_18TensorIteratorBaseEENKUlvE0_clEvENKUlvE2_clEvEUlN3c104HalfEE_St5arrayIPcLm2EEEEviT0_T1_.uses_flat_scratch, 0
	.set _ZN2at6native29vectorized_elementwise_kernelILi4EZZZNS0_17rsqrt_kernel_cudaERNS_18TensorIteratorBaseEENKUlvE0_clEvENKUlvE2_clEvEUlN3c104HalfEE_St5arrayIPcLm2EEEEviT0_T1_.has_dyn_sized_stack, 0
	.set _ZN2at6native29vectorized_elementwise_kernelILi4EZZZNS0_17rsqrt_kernel_cudaERNS_18TensorIteratorBaseEENKUlvE0_clEvENKUlvE2_clEvEUlN3c104HalfEE_St5arrayIPcLm2EEEEviT0_T1_.has_recursion, 0
	.set _ZN2at6native29vectorized_elementwise_kernelILi4EZZZNS0_17rsqrt_kernel_cudaERNS_18TensorIteratorBaseEENKUlvE0_clEvENKUlvE2_clEvEUlN3c104HalfEE_St5arrayIPcLm2EEEEviT0_T1_.has_indirect_call, 0
	.section	.AMDGPU.csdata,"",@progbits
; Kernel info:
; codeLenInByte = 6820
; TotalNumSgprs: 20
; NumVgprs: 27
; NumAgprs: 0
; TotalNumVgprs: 27
; ScratchSize: 0
; MemoryBound: 0
; FloatMode: 240
; IeeeMode: 1
; LDSByteSize: 0 bytes/workgroup (compile time only)
; SGPRBlocks: 2
; VGPRBlocks: 3
; NumSGPRsForWavesPerEU: 20
; NumVGPRsForWavesPerEU: 27
; AccumOffset: 28
; Occupancy: 8
; WaveLimiterHint : 1
; COMPUTE_PGM_RSRC2:SCRATCH_EN: 0
; COMPUTE_PGM_RSRC2:USER_SGPR: 2
; COMPUTE_PGM_RSRC2:TRAP_HANDLER: 0
; COMPUTE_PGM_RSRC2:TGID_X_EN: 1
; COMPUTE_PGM_RSRC2:TGID_Y_EN: 0
; COMPUTE_PGM_RSRC2:TGID_Z_EN: 0
; COMPUTE_PGM_RSRC2:TIDIG_COMP_CNT: 0
; COMPUTE_PGM_RSRC3_GFX90A:ACCUM_OFFSET: 6
; COMPUTE_PGM_RSRC3_GFX90A:TG_SPLIT: 0
	.section	.text._ZN2at6native29vectorized_elementwise_kernelILi2EZZZNS0_17rsqrt_kernel_cudaERNS_18TensorIteratorBaseEENKUlvE0_clEvENKUlvE2_clEvEUlN3c104HalfEE_St5arrayIPcLm2EEEEviT0_T1_,"axG",@progbits,_ZN2at6native29vectorized_elementwise_kernelILi2EZZZNS0_17rsqrt_kernel_cudaERNS_18TensorIteratorBaseEENKUlvE0_clEvENKUlvE2_clEvEUlN3c104HalfEE_St5arrayIPcLm2EEEEviT0_T1_,comdat
	.globl	_ZN2at6native29vectorized_elementwise_kernelILi2EZZZNS0_17rsqrt_kernel_cudaERNS_18TensorIteratorBaseEENKUlvE0_clEvENKUlvE2_clEvEUlN3c104HalfEE_St5arrayIPcLm2EEEEviT0_T1_ ; -- Begin function _ZN2at6native29vectorized_elementwise_kernelILi2EZZZNS0_17rsqrt_kernel_cudaERNS_18TensorIteratorBaseEENKUlvE0_clEvENKUlvE2_clEvEUlN3c104HalfEE_St5arrayIPcLm2EEEEviT0_T1_
	.p2align	8
	.type	_ZN2at6native29vectorized_elementwise_kernelILi2EZZZNS0_17rsqrt_kernel_cudaERNS_18TensorIteratorBaseEENKUlvE0_clEvENKUlvE2_clEvEUlN3c104HalfEE_St5arrayIPcLm2EEEEviT0_T1_,@function
_ZN2at6native29vectorized_elementwise_kernelILi2EZZZNS0_17rsqrt_kernel_cudaERNS_18TensorIteratorBaseEENKUlvE0_clEvENKUlvE2_clEvEUlN3c104HalfEE_St5arrayIPcLm2EEEEviT0_T1_: ; @_ZN2at6native29vectorized_elementwise_kernelILi2EZZZNS0_17rsqrt_kernel_cudaERNS_18TensorIteratorBaseEENKUlvE0_clEvENKUlvE2_clEvEUlN3c104HalfEE_St5arrayIPcLm2EEEEviT0_T1_
; %bb.0:
	s_load_dword s3, s[0:1], 0x0
	s_load_dwordx4 s[4:7], s[0:1], 0x8
	s_lshl_b32 s2, s2, 11
	s_mov_b64 s[0:1], -1
	s_waitcnt lgkmcnt(0)
	s_sub_i32 s10, s3, s2
	s_cmpk_gt_i32 s10, 0x7ff
	s_cbranch_scc0 .LBB213_2
; %bb.1:
	s_ashr_i32 s3, s2, 31
	s_lshl_b64 s[0:1], s[2:3], 1
	s_add_u32 s12, s6, s0
	s_addc_u32 s13, s7, s1
	v_lshlrev_b32_e32 v1, 2, v0
	global_load_dword v2, v1, s[12:13]
	global_load_dword v20, v1, s[12:13] offset:1024
	global_load_dword v24, v1, s[12:13] offset:2048
	;; [unrolled: 1-line block ×3, first 2 shown]
	s_mov_b32 s8, 0
	s_mov_b32 s9, 0x3fd80000
	v_mov_b32_e32 v21, 0x180
	s_movk_i32 s3, 0x1ff
	s_movk_i32 s11, 0xffe
	v_mov_b32_e32 v22, 0x7c00
	v_mov_b32_e32 v23, 0x7e00
	s_movk_i32 s12, 0x40f
	s_mov_b32 s13, 0x8000
	s_add_u32 s0, s4, s0
	s_addc_u32 s1, s5, s1
	s_waitcnt vmcnt(3)
	v_cvt_f32_f16_e32 v3, v2
	v_cvt_f32_f16_sdwa v4, v2 dst_sel:DWORD dst_unused:UNUSED_PAD src0_sel:WORD_1
	s_waitcnt vmcnt(2)
	v_cvt_f32_f16_e32 v6, v20
	v_cvt_f64_f32_e32 v[2:3], v3
	v_cvt_f64_f32_e32 v[4:5], v4
	v_rsq_f64_e32 v[8:9], v[2:3]
	v_rsq_f64_e32 v[10:11], v[4:5]
	v_cvt_f64_f32_e32 v[6:7], v6
	v_rsq_f64_e32 v[12:13], v[6:7]
	v_mul_f64 v[2:3], v[8:9], -v[2:3]
	v_mul_f64 v[4:5], v[10:11], -v[4:5]
	v_fma_f64 v[2:3], v[2:3], v[8:9], 1.0
	v_fma_f64 v[4:5], v[4:5], v[10:11], 1.0
	v_mul_f64 v[14:15], v[8:9], v[2:3]
	v_fma_f64 v[2:3], v[2:3], s[8:9], 0.5
	v_mul_f64 v[16:17], v[10:11], v[4:5]
	v_fma_f64 v[4:5], v[4:5], s[8:9], 0.5
	v_fma_f64 v[2:3], v[14:15], v[2:3], v[8:9]
	v_cmp_class_f64_e32 vcc, v[8:9], v21
	v_fma_f64 v[4:5], v[16:17], v[4:5], v[10:11]
	v_mul_f64 v[6:7], v[12:13], -v[6:7]
	v_cndmask_b32_e32 v2, v8, v2, vcc
	v_cndmask_b32_e32 v3, v9, v3, vcc
	v_cmp_class_f64_e32 vcc, v[10:11], v21
	v_and_or_b32 v2, v3, s3, v2
	v_lshrrev_b32_e32 v8, 8, v3
	v_cndmask_b32_e32 v4, v10, v4, vcc
	v_cndmask_b32_e32 v5, v11, v5, vcc
	v_and_or_b32 v4, v5, s3, v4
	v_cmp_ne_u32_e32 vcc, 0, v2
	v_bfe_u32 v9, v3, 20, 11
	v_lshrrev_b32_e32 v10, 8, v5
	v_cndmask_b32_e64 v2, 0, 1, vcc
	v_cmp_ne_u32_e32 vcc, 0, v4
	v_bfe_u32 v11, v5, 20, 11
	v_sub_u32_e32 v14, 0x3f1, v9
	v_cndmask_b32_e64 v4, 0, 1, vcc
	v_and_or_b32 v2, v8, s11, v2
	v_sub_u32_e32 v15, 0x3f1, v11
	v_med3_i32 v8, v14, 0, 13
	v_and_or_b32 v4, v10, s11, v4
	v_or_b32_e32 v14, 0x1000, v2
	v_add_u32_e32 v9, 0xfffffc10, v9
	v_med3_i32 v10, v15, 0, 13
	v_cmp_ne_u32_e32 vcc, 0, v2
	v_or_b32_e32 v16, 0x1000, v4
	v_lshrrev_b32_e32 v26, v8, v14
	v_add_u32_e32 v11, 0xfffffc10, v11
	v_lshl_or_b32 v15, v9, 12, v2
	v_cndmask_b32_e32 v2, v22, v23, vcc
	v_cmp_ne_u32_e32 vcc, 0, v4
	v_lshrrev_b32_e32 v27, v10, v16
	v_lshlrev_b32_e32 v8, v8, v26
	v_lshl_or_b32 v17, v11, 12, v4
	v_cndmask_b32_e32 v4, v22, v23, vcc
	v_lshlrev_b32_e32 v10, v10, v27
	v_cmp_ne_u32_e32 vcc, v8, v14
	v_fma_f64 v[6:7], v[6:7], v[12:13], 1.0
	v_lshrrev_b32_e32 v3, 16, v3
	v_cndmask_b32_e64 v8, 0, 1, vcc
	v_cmp_ne_u32_e32 vcc, v10, v16
	v_or_b32_e32 v8, v26, v8
	v_mul_f64 v[18:19], v[12:13], v[6:7]
	v_cndmask_b32_e64 v10, 0, 1, vcc
	v_cmp_gt_i32_e32 vcc, 1, v9
	v_or_b32_e32 v10, v27, v10
	v_lshrrev_b32_e32 v5, 16, v5
	v_cndmask_b32_e32 v8, v15, v8, vcc
	v_cmp_gt_i32_e32 vcc, 1, v11
	v_and_b32_e32 v14, 7, v8
	v_lshrrev_b32_e32 v8, 2, v8
	v_cndmask_b32_e32 v10, v17, v10, vcc
	v_cmp_lt_i32_e32 vcc, 5, v14
	v_and_b32_e32 v15, 7, v10
	v_lshrrev_b32_e32 v10, 2, v10
	v_cndmask_b32_e64 v16, 0, 1, vcc
	v_cmp_eq_u32_e32 vcc, 3, v14
	s_nop 1
	v_cndmask_b32_e64 v14, 0, 1, vcc
	v_cmp_lt_i32_e32 vcc, 5, v15
	v_or_b32_e32 v14, v14, v16
	v_add_u32_e32 v8, v8, v14
	v_cndmask_b32_e64 v17, 0, 1, vcc
	v_cmp_eq_u32_e32 vcc, 3, v15
	s_nop 1
	v_cndmask_b32_e64 v15, 0, 1, vcc
	v_or_b32_e32 v15, v15, v17
	v_cmp_gt_i32_e32 vcc, 31, v9
	v_add_u32_e32 v10, v10, v15
	s_nop 0
	v_cndmask_b32_e32 v8, v22, v8, vcc
	v_cmp_gt_i32_e32 vcc, 31, v11
	s_nop 1
	v_cndmask_b32_e32 v10, v22, v10, vcc
	v_cmp_eq_u32_e32 vcc, s12, v9
	s_nop 1
	v_cndmask_b32_e32 v2, v8, v2, vcc
	v_cmp_eq_u32_e32 vcc, s12, v11
	v_and_or_b32 v8, v3, s13, v2
	v_fma_f64 v[2:3], v[6:7], s[8:9], 0.5
	v_cndmask_b32_e32 v4, v10, v4, vcc
	v_fma_f64 v[2:3], v[18:19], v[2:3], v[12:13]
	v_cmp_class_f64_e32 vcc, v[12:13], v21
	v_and_or_b32 v9, v5, s13, v4
	s_nop 0
	v_cndmask_b32_e32 v2, v12, v2, vcc
	v_cndmask_b32_e32 v6, v13, v3, vcc
	v_and_or_b32 v2, v6, s3, v2
	v_cmp_ne_u32_e32 vcc, 0, v2
	v_lshrrev_b32_e32 v3, 8, v6
	v_bfe_u32 v4, v6, 20, 11
	v_cndmask_b32_e64 v2, 0, 1, vcc
	v_and_or_b32 v2, v3, s11, v2
	v_sub_u32_e32 v5, 0x3f1, v4
	v_or_b32_e32 v3, 0x1000, v2
	v_med3_i32 v5, v5, 0, 13
	v_lshrrev_b32_e32 v7, v5, v3
	v_lshlrev_b32_e32 v5, v5, v7
	v_cmp_ne_u32_e32 vcc, v5, v3
	v_lshrrev_b32_e32 v6, 16, v6
	s_nop 0
	v_cndmask_b32_e64 v3, 0, 1, vcc
	v_or_b32_e32 v3, v7, v3
	v_add_u32_e32 v7, 0xfffffc10, v4
	v_lshl_or_b32 v4, v7, 12, v2
	v_cmp_gt_i32_e32 vcc, 1, v7
	s_nop 1
	v_cndmask_b32_e32 v3, v4, v3, vcc
	v_and_b32_e32 v4, 7, v3
	v_cmp_lt_i32_e32 vcc, 5, v4
	v_lshrrev_b32_e32 v3, 2, v3
	s_nop 0
	v_cndmask_b32_e64 v5, 0, 1, vcc
	v_cmp_eq_u32_e32 vcc, 3, v4
	s_nop 1
	v_cndmask_b32_e64 v4, 0, 1, vcc
	v_or_b32_e32 v4, v4, v5
	v_add_u32_e32 v3, v3, v4
	v_cvt_f32_f16_sdwa v4, v20 dst_sel:DWORD dst_unused:UNUSED_PAD src0_sel:WORD_1
	v_cmp_gt_i32_e32 vcc, 31, v7
	s_nop 1
	v_cndmask_b32_e32 v10, v22, v3, vcc
	v_cmp_ne_u32_e32 vcc, 0, v2
	v_cvt_f64_f32_e32 v[2:3], v4
	v_rsq_f64_e32 v[4:5], v[2:3]
	v_cndmask_b32_e32 v11, v22, v23, vcc
	v_cmp_eq_u32_e32 vcc, s12, v7
	v_mul_f64 v[2:3], v[4:5], -v[2:3]
	s_nop 0
	v_cndmask_b32_e32 v7, v10, v11, vcc
	v_fma_f64 v[2:3], v[2:3], v[4:5], 1.0
	v_and_or_b32 v10, v6, s13, v7
	v_mul_f64 v[6:7], v[4:5], v[2:3]
	v_fma_f64 v[2:3], v[2:3], s[8:9], 0.5
	v_fma_f64 v[2:3], v[6:7], v[2:3], v[4:5]
	v_cmp_class_f64_e32 vcc, v[4:5], v21
	s_nop 1
	v_cndmask_b32_e32 v2, v4, v2, vcc
	v_cndmask_b32_e32 v6, v5, v3, vcc
	v_and_or_b32 v2, v6, s3, v2
	v_cmp_ne_u32_e32 vcc, 0, v2
	v_lshrrev_b32_e32 v3, 8, v6
	v_bfe_u32 v4, v6, 20, 11
	v_cndmask_b32_e64 v2, 0, 1, vcc
	v_and_or_b32 v2, v3, s11, v2
	v_sub_u32_e32 v5, 0x3f1, v4
	v_or_b32_e32 v3, 0x1000, v2
	v_med3_i32 v5, v5, 0, 13
	v_lshrrev_b32_e32 v7, v5, v3
	v_lshlrev_b32_e32 v5, v5, v7
	v_cmp_ne_u32_e32 vcc, v5, v3
	v_lshrrev_b32_e32 v6, 16, v6
	s_nop 0
	v_cndmask_b32_e64 v3, 0, 1, vcc
	v_or_b32_e32 v3, v7, v3
	v_add_u32_e32 v7, 0xfffffc10, v4
	v_lshl_or_b32 v4, v7, 12, v2
	v_cmp_gt_i32_e32 vcc, 1, v7
	s_nop 1
	v_cndmask_b32_e32 v3, v4, v3, vcc
	v_and_b32_e32 v4, 7, v3
	v_cmp_lt_i32_e32 vcc, 5, v4
	v_lshrrev_b32_e32 v3, 2, v3
	s_nop 0
	v_cndmask_b32_e64 v5, 0, 1, vcc
	v_cmp_eq_u32_e32 vcc, 3, v4
	s_nop 1
	v_cndmask_b32_e64 v4, 0, 1, vcc
	v_or_b32_e32 v4, v4, v5
	v_add_u32_e32 v3, v3, v4
	s_waitcnt vmcnt(1)
	v_cvt_f32_f16_e32 v4, v24
	v_cmp_gt_i32_e32 vcc, 31, v7
	s_nop 1
	v_cndmask_b32_e32 v11, v22, v3, vcc
	v_cmp_ne_u32_e32 vcc, 0, v2
	v_cvt_f64_f32_e32 v[2:3], v4
	v_rsq_f64_e32 v[4:5], v[2:3]
	v_cndmask_b32_e32 v12, v22, v23, vcc
	v_cmp_eq_u32_e32 vcc, s12, v7
	v_mul_f64 v[2:3], v[4:5], -v[2:3]
	s_nop 0
	v_cndmask_b32_e32 v7, v11, v12, vcc
	v_fma_f64 v[2:3], v[2:3], v[4:5], 1.0
	v_and_or_b32 v11, v6, s13, v7
	v_mul_f64 v[6:7], v[4:5], v[2:3]
	v_fma_f64 v[2:3], v[2:3], s[8:9], 0.5
	v_fma_f64 v[2:3], v[6:7], v[2:3], v[4:5]
	v_cmp_class_f64_e32 vcc, v[4:5], v21
	s_nop 1
	v_cndmask_b32_e32 v2, v4, v2, vcc
	v_cndmask_b32_e32 v6, v5, v3, vcc
	v_and_or_b32 v2, v6, s3, v2
	v_cmp_ne_u32_e32 vcc, 0, v2
	v_lshrrev_b32_e32 v3, 8, v6
	v_bfe_u32 v4, v6, 20, 11
	v_cndmask_b32_e64 v2, 0, 1, vcc
	v_and_or_b32 v2, v3, s11, v2
	v_sub_u32_e32 v5, 0x3f1, v4
	v_or_b32_e32 v3, 0x1000, v2
	v_med3_i32 v5, v5, 0, 13
	v_lshrrev_b32_e32 v7, v5, v3
	v_lshlrev_b32_e32 v5, v5, v7
	v_cmp_ne_u32_e32 vcc, v5, v3
	v_lshrrev_b32_e32 v6, 16, v6
	s_nop 0
	v_cndmask_b32_e64 v3, 0, 1, vcc
	v_or_b32_e32 v3, v7, v3
	v_add_u32_e32 v7, 0xfffffc10, v4
	v_lshl_or_b32 v4, v7, 12, v2
	v_cmp_gt_i32_e32 vcc, 1, v7
	s_nop 1
	v_cndmask_b32_e32 v3, v4, v3, vcc
	v_and_b32_e32 v4, 7, v3
	v_cmp_lt_i32_e32 vcc, 5, v4
	v_lshrrev_b32_e32 v3, 2, v3
	s_nop 0
	v_cndmask_b32_e64 v5, 0, 1, vcc
	v_cmp_eq_u32_e32 vcc, 3, v4
	s_nop 1
	v_cndmask_b32_e64 v4, 0, 1, vcc
	v_or_b32_e32 v4, v4, v5
	v_add_u32_e32 v3, v3, v4
	v_cvt_f32_f16_sdwa v4, v24 dst_sel:DWORD dst_unused:UNUSED_PAD src0_sel:WORD_1
	v_cmp_gt_i32_e32 vcc, 31, v7
	s_nop 1
	v_cndmask_b32_e32 v12, v22, v3, vcc
	v_cmp_ne_u32_e32 vcc, 0, v2
	v_cvt_f64_f32_e32 v[2:3], v4
	v_rsq_f64_e32 v[4:5], v[2:3]
	v_cndmask_b32_e32 v13, v22, v23, vcc
	v_cmp_eq_u32_e32 vcc, s12, v7
	v_mul_f64 v[2:3], v[4:5], -v[2:3]
	s_nop 0
	v_cndmask_b32_e32 v7, v12, v13, vcc
	v_fma_f64 v[2:3], v[2:3], v[4:5], 1.0
	v_and_or_b32 v12, v6, s13, v7
	v_mul_f64 v[6:7], v[4:5], v[2:3]
	v_fma_f64 v[2:3], v[2:3], s[8:9], 0.5
	v_fma_f64 v[2:3], v[6:7], v[2:3], v[4:5]
	v_cmp_class_f64_e32 vcc, v[4:5], v21
	s_nop 1
	v_cndmask_b32_e32 v2, v4, v2, vcc
	v_cndmask_b32_e32 v6, v5, v3, vcc
	v_and_or_b32 v2, v6, s3, v2
	v_cmp_ne_u32_e32 vcc, 0, v2
	v_lshrrev_b32_e32 v3, 8, v6
	v_bfe_u32 v4, v6, 20, 11
	v_cndmask_b32_e64 v2, 0, 1, vcc
	v_and_or_b32 v2, v3, s11, v2
	v_sub_u32_e32 v5, 0x3f1, v4
	v_or_b32_e32 v3, 0x1000, v2
	v_med3_i32 v5, v5, 0, 13
	v_lshrrev_b32_e32 v7, v5, v3
	v_lshlrev_b32_e32 v5, v5, v7
	v_cmp_ne_u32_e32 vcc, v5, v3
	v_lshrrev_b32_e32 v6, 16, v6
	s_nop 0
	v_cndmask_b32_e64 v3, 0, 1, vcc
	v_or_b32_e32 v3, v7, v3
	v_add_u32_e32 v7, 0xfffffc10, v4
	v_lshl_or_b32 v4, v7, 12, v2
	v_cmp_gt_i32_e32 vcc, 1, v7
	s_nop 1
	v_cndmask_b32_e32 v3, v4, v3, vcc
	v_and_b32_e32 v4, 7, v3
	v_cmp_lt_i32_e32 vcc, 5, v4
	v_lshrrev_b32_e32 v3, 2, v3
	s_nop 0
	v_cndmask_b32_e64 v5, 0, 1, vcc
	v_cmp_eq_u32_e32 vcc, 3, v4
	s_nop 1
	v_cndmask_b32_e64 v4, 0, 1, vcc
	v_or_b32_e32 v4, v4, v5
	v_add_u32_e32 v3, v3, v4
	s_waitcnt vmcnt(0)
	v_cvt_f32_f16_e32 v4, v25
	v_cmp_gt_i32_e32 vcc, 31, v7
	s_nop 1
	v_cndmask_b32_e32 v13, v22, v3, vcc
	v_cmp_ne_u32_e32 vcc, 0, v2
	v_cvt_f64_f32_e32 v[2:3], v4
	v_rsq_f64_e32 v[4:5], v[2:3]
	v_cndmask_b32_e32 v14, v22, v23, vcc
	v_cmp_eq_u32_e32 vcc, s12, v7
	v_mul_f64 v[2:3], v[4:5], -v[2:3]
	s_nop 0
	v_cndmask_b32_e32 v7, v13, v14, vcc
	v_fma_f64 v[2:3], v[2:3], v[4:5], 1.0
	v_and_or_b32 v13, v6, s13, v7
	v_mul_f64 v[6:7], v[4:5], v[2:3]
	v_fma_f64 v[2:3], v[2:3], s[8:9], 0.5
	v_fma_f64 v[2:3], v[6:7], v[2:3], v[4:5]
	v_cmp_class_f64_e32 vcc, v[4:5], v21
	s_nop 1
	v_cndmask_b32_e32 v2, v4, v2, vcc
	v_cndmask_b32_e32 v6, v5, v3, vcc
	v_and_or_b32 v2, v6, s3, v2
	v_cmp_ne_u32_e32 vcc, 0, v2
	v_lshrrev_b32_e32 v3, 8, v6
	v_bfe_u32 v4, v6, 20, 11
	v_cndmask_b32_e64 v2, 0, 1, vcc
	v_and_or_b32 v2, v3, s11, v2
	v_sub_u32_e32 v5, 0x3f1, v4
	v_or_b32_e32 v3, 0x1000, v2
	v_med3_i32 v5, v5, 0, 13
	v_lshrrev_b32_e32 v7, v5, v3
	v_lshlrev_b32_e32 v5, v5, v7
	v_cmp_ne_u32_e32 vcc, v5, v3
	v_lshrrev_b32_e32 v6, 16, v6
	s_nop 0
	v_cndmask_b32_e64 v3, 0, 1, vcc
	v_or_b32_e32 v3, v7, v3
	v_add_u32_e32 v7, 0xfffffc10, v4
	v_lshl_or_b32 v4, v7, 12, v2
	v_cmp_gt_i32_e32 vcc, 1, v7
	s_nop 1
	v_cndmask_b32_e32 v3, v4, v3, vcc
	v_and_b32_e32 v4, 7, v3
	v_cmp_lt_i32_e32 vcc, 5, v4
	v_lshrrev_b32_e32 v3, 2, v3
	s_nop 0
	v_cndmask_b32_e64 v5, 0, 1, vcc
	v_cmp_eq_u32_e32 vcc, 3, v4
	s_nop 1
	v_cndmask_b32_e64 v4, 0, 1, vcc
	v_or_b32_e32 v4, v4, v5
	v_add_u32_e32 v3, v3, v4
	v_cvt_f32_f16_sdwa v4, v25 dst_sel:DWORD dst_unused:UNUSED_PAD src0_sel:WORD_1
	v_cmp_gt_i32_e32 vcc, 31, v7
	s_nop 1
	v_cndmask_b32_e32 v14, v22, v3, vcc
	v_cmp_ne_u32_e32 vcc, 0, v2
	v_cvt_f64_f32_e32 v[2:3], v4
	v_rsq_f64_e32 v[4:5], v[2:3]
	v_cndmask_b32_e32 v15, v22, v23, vcc
	v_cmp_eq_u32_e32 vcc, s12, v7
	v_mul_f64 v[2:3], v[4:5], -v[2:3]
	s_nop 0
	v_cndmask_b32_e32 v7, v14, v15, vcc
	v_fma_f64 v[2:3], v[2:3], v[4:5], 1.0
	v_and_or_b32 v14, v6, s13, v7
	v_mul_f64 v[6:7], v[4:5], v[2:3]
	v_fma_f64 v[2:3], v[2:3], s[8:9], 0.5
	v_fma_f64 v[2:3], v[6:7], v[2:3], v[4:5]
	v_cmp_class_f64_e32 vcc, v[4:5], v21
	s_nop 1
	v_cndmask_b32_e32 v2, v4, v2, vcc
	v_cndmask_b32_e32 v3, v5, v3, vcc
	v_and_or_b32 v2, v3, s3, v2
	v_cmp_ne_u32_e32 vcc, 0, v2
	v_lshrrev_b32_e32 v4, 8, v3
	v_bfe_u32 v5, v3, 20, 11
	v_cndmask_b32_e64 v2, 0, 1, vcc
	v_and_or_b32 v2, v4, s11, v2
	v_sub_u32_e32 v6, 0x3f1, v5
	v_or_b32_e32 v4, 0x1000, v2
	v_med3_i32 v6, v6, 0, 13
	v_lshrrev_b32_e32 v7, v6, v4
	v_lshlrev_b32_e32 v6, v6, v7
	v_cmp_ne_u32_e32 vcc, v6, v4
	v_add_u32_e32 v5, 0xfffffc10, v5
	v_lshl_or_b32 v6, v5, 12, v2
	v_cndmask_b32_e64 v4, 0, 1, vcc
	v_or_b32_e32 v4, v7, v4
	v_cmp_gt_i32_e32 vcc, 1, v5
	v_lshrrev_b32_e32 v3, 16, v3
	s_mov_b32 s3, 0x5040100
	v_cndmask_b32_e32 v4, v6, v4, vcc
	v_and_b32_e32 v6, 7, v4
	v_cmp_lt_i32_e32 vcc, 5, v6
	v_lshrrev_b32_e32 v4, 2, v4
	s_nop 0
	v_cndmask_b32_e64 v7, 0, 1, vcc
	v_cmp_eq_u32_e32 vcc, 3, v6
	s_nop 1
	v_cndmask_b32_e64 v6, 0, 1, vcc
	v_or_b32_e32 v6, v6, v7
	v_add_u32_e32 v4, v4, v6
	v_cmp_gt_i32_e32 vcc, 31, v5
	s_nop 1
	v_cndmask_b32_e32 v4, v22, v4, vcc
	v_cmp_ne_u32_e32 vcc, 0, v2
	s_nop 1
	v_cndmask_b32_e32 v2, v22, v23, vcc
	v_cmp_eq_u32_e32 vcc, s12, v5
	s_nop 1
	v_cndmask_b32_e32 v2, v4, v2, vcc
	v_and_or_b32 v2, v3, s13, v2
	v_perm_b32 v3, v9, v8, s3
	global_store_dword v1, v3, s[0:1]
	v_perm_b32 v3, v11, v10, s3
	global_store_dword v1, v3, s[0:1] offset:1024
	v_perm_b32 v3, v13, v12, s3
	v_perm_b32 v2, v2, v14, s3
	global_store_dword v1, v3, s[0:1] offset:2048
	global_store_dword v1, v2, s[0:1] offset:3072
	s_mov_b64 s[0:1], 0
.LBB213_2:
	s_andn2_b64 vcc, exec, s[0:1]
	s_cbranch_vccnz .LBB213_41
; %bb.3:
	v_cmp_gt_i32_e32 vcc, s10, v0
	v_mov_b64_e32 v[16:17], 0
	v_or_b32_e32 v2, s2, v0
	v_mov_b64_e32 v[18:19], 0
	v_mov_b32_e32 v1, v0
	s_and_saveexec_b64 s[0:1], vcc
	s_cbranch_execz .LBB213_5
; %bb.4:
	v_mov_b32_e32 v3, 0
	v_lshl_add_u64 v[4:5], v[2:3], 1, s[6:7]
	global_load_ushort v1, v[4:5], off
	s_waitcnt vmcnt(0)
	v_cvt_f32_f16_e32 v3, v1
	v_or_b32_e32 v1, 0x100, v0
	v_cvt_f64_f32_e32 v[18:19], v3
.LBB213_5:
	s_or_b64 exec, exec, s[0:1]
	v_cmp_gt_i32_e64 s[0:1], s10, v1
	s_and_saveexec_b64 s[8:9], s[0:1]
	s_cbranch_execz .LBB213_7
; %bb.6:
	v_add_u32_e32 v4, s2, v1
	v_mov_b32_e32 v5, 0
	v_lshl_add_u64 v[4:5], v[4:5], 1, s[6:7]
	global_load_ushort v3, v[4:5], off
	v_add_u32_e32 v1, 0x100, v1
	s_waitcnt vmcnt(0)
	v_cvt_f32_f16_e32 v3, v3
	v_cvt_f64_f32_e32 v[16:17], v3
.LBB213_7:
	s_or_b64 exec, exec, s[8:9]
	v_cmp_gt_i32_e64 s[0:1], s10, v1
	v_mov_b64_e32 v[12:13], 0
	v_mov_b64_e32 v[14:15], 0
	s_and_saveexec_b64 s[8:9], s[0:1]
	s_cbranch_execz .LBB213_9
; %bb.8:
	v_add_u32_e32 v4, s2, v1
	v_mov_b32_e32 v5, 0
	v_lshl_add_u64 v[4:5], v[4:5], 1, s[6:7]
	global_load_ushort v3, v[4:5], off
	v_add_u32_e32 v1, 0x100, v1
	s_waitcnt vmcnt(0)
	v_cvt_f32_f16_e32 v3, v3
	v_cvt_f64_f32_e32 v[14:15], v3
.LBB213_9:
	s_or_b64 exec, exec, s[8:9]
	v_cmp_gt_i32_e64 s[0:1], s10, v1
	s_and_saveexec_b64 s[8:9], s[0:1]
	s_cbranch_execz .LBB213_11
; %bb.10:
	v_add_u32_e32 v4, s2, v1
	v_mov_b32_e32 v5, 0
	v_lshl_add_u64 v[4:5], v[4:5], 1, s[6:7]
	global_load_ushort v3, v[4:5], off
	v_add_u32_e32 v1, 0x100, v1
	s_waitcnt vmcnt(0)
	v_cvt_f32_f16_e32 v3, v3
	v_cvt_f64_f32_e32 v[12:13], v3
.LBB213_11:
	s_or_b64 exec, exec, s[8:9]
	v_cmp_gt_i32_e64 s[0:1], s10, v1
	v_mov_b64_e32 v[8:9], 0
	v_mov_b64_e32 v[10:11], 0
	s_and_saveexec_b64 s[8:9], s[0:1]
	s_cbranch_execz .LBB213_13
; %bb.12:
	v_add_u32_e32 v4, s2, v1
	v_mov_b32_e32 v5, 0
	v_lshl_add_u64 v[4:5], v[4:5], 1, s[6:7]
	global_load_ushort v3, v[4:5], off
	v_add_u32_e32 v1, 0x100, v1
	s_waitcnt vmcnt(0)
	v_cvt_f32_f16_e32 v3, v3
	v_cvt_f64_f32_e32 v[10:11], v3
.LBB213_13:
	s_or_b64 exec, exec, s[8:9]
	v_cmp_gt_i32_e64 s[0:1], s10, v1
	s_and_saveexec_b64 s[8:9], s[0:1]
	s_cbranch_execz .LBB213_15
; %bb.14:
	v_add_u32_e32 v4, s2, v1
	v_mov_b32_e32 v5, 0
	v_lshl_add_u64 v[4:5], v[4:5], 1, s[6:7]
	global_load_ushort v3, v[4:5], off
	v_add_u32_e32 v1, 0x100, v1
	s_waitcnt vmcnt(0)
	v_cvt_f32_f16_e32 v3, v3
	v_cvt_f64_f32_e32 v[8:9], v3
.LBB213_15:
	s_or_b64 exec, exec, s[8:9]
	v_cmp_gt_i32_e64 s[0:1], s10, v1
	v_mov_b64_e32 v[4:5], 0
	v_mov_b64_e32 v[6:7], 0
	s_and_saveexec_b64 s[8:9], s[0:1]
	s_cbranch_execnz .LBB213_42
; %bb.16:
	s_or_b64 exec, exec, s[8:9]
	v_cmp_gt_i32_e64 s[0:1], s10, v1
	s_and_saveexec_b64 s[8:9], s[0:1]
	s_cbranch_execnz .LBB213_43
.LBB213_17:
	s_or_b64 exec, exec, s[8:9]
                                        ; implicit-def: $vgpr1
	s_and_saveexec_b64 s[6:7], vcc
	s_cbranch_execz .LBB213_19
.LBB213_18:
	v_rsq_f64_e32 v[20:21], v[18:19]
	s_mov_b32 s0, 0
	s_mov_b32 s1, 0x3fd80000
	v_mov_b32_e32 v1, 0x180
	v_mul_f64 v[18:19], v[20:21], -v[18:19]
	v_fma_f64 v[18:19], v[18:19], v[20:21], 1.0
	v_mul_f64 v[22:23], v[20:21], v[18:19]
	v_fma_f64 v[18:19], v[18:19], s[0:1], 0.5
	v_fma_f64 v[18:19], v[22:23], v[18:19], v[20:21]
	v_cmp_class_f64_e64 s[0:1], v[20:21], v1
	s_nop 1
	v_cndmask_b32_e64 v1, v20, v18, s[0:1]
	v_cndmask_b32_e64 v3, v21, v19, s[0:1]
	s_movk_i32 s0, 0x1ff
	v_and_or_b32 v1, v3, s0, v1
	v_cmp_ne_u32_e64 s[0:1], 0, v1
	v_lshrrev_b32_e32 v18, 8, v3
	v_bfe_u32 v19, v3, 20, 11
	v_cndmask_b32_e64 v1, 0, 1, s[0:1]
	s_movk_i32 s0, 0xffe
	v_and_or_b32 v1, v18, s0, v1
	v_sub_u32_e32 v20, 0x3f1, v19
	v_or_b32_e32 v18, 0x1000, v1
	v_med3_i32 v20, v20, 0, 13
	v_lshrrev_b32_e32 v21, v20, v18
	v_lshlrev_b32_e32 v20, v20, v21
	v_cmp_ne_u32_e64 s[0:1], v20, v18
	v_add_u32_e32 v19, 0xfffffc10, v19
	v_lshl_or_b32 v20, v19, 12, v1
	v_cndmask_b32_e64 v18, 0, 1, s[0:1]
	v_or_b32_e32 v18, v21, v18
	v_cmp_gt_i32_e64 s[0:1], 1, v19
	v_lshrrev_b32_e32 v3, 16, v3
	s_nop 0
	v_cndmask_b32_e64 v18, v20, v18, s[0:1]
	v_and_b32_e32 v20, 7, v18
	v_cmp_lt_i32_e64 s[0:1], 5, v20
	v_lshrrev_b32_e32 v18, 2, v18
	s_nop 0
	v_cndmask_b32_e64 v21, 0, 1, s[0:1]
	v_cmp_eq_u32_e64 s[0:1], 3, v20
	s_nop 1
	v_cndmask_b32_e64 v20, 0, 1, s[0:1]
	v_or_b32_e32 v20, v20, v21
	v_add_u32_e32 v18, v18, v20
	v_mov_b32_e32 v20, 0x7c00
	v_cmp_gt_i32_e64 s[0:1], 31, v19
	v_mov_b32_e32 v21, 0x7e00
	s_nop 0
	v_cndmask_b32_e64 v18, v20, v18, s[0:1]
	v_cmp_ne_u32_e64 s[0:1], 0, v1
	s_nop 1
	v_cndmask_b32_e64 v1, v20, v21, s[0:1]
	s_movk_i32 s0, 0x40f
	v_cmp_eq_u32_e64 s[0:1], s0, v19
	s_nop 1
	v_cndmask_b32_e64 v1, v18, v1, s[0:1]
	s_mov_b32 s0, 0x8000
	v_and_or_b32 v1, v3, s0, v1
.LBB213_19:
	s_or_b64 exec, exec, s[6:7]
	v_or_b32_e32 v18, 0x100, v0
	v_cmp_gt_i32_e64 s[0:1], s10, v18
                                        ; implicit-def: $vgpr19
	s_and_saveexec_b64 s[6:7], s[0:1]
	s_cbranch_execz .LBB213_21
; %bb.20:
	v_rsq_f64_e32 v[20:21], v[16:17]
	s_mov_b32 s0, 0
	s_mov_b32 s1, 0x3fd80000
	v_mov_b32_e32 v3, 0x180
	v_mul_f64 v[16:17], v[20:21], -v[16:17]
	v_fma_f64 v[16:17], v[16:17], v[20:21], 1.0
	v_mul_f64 v[22:23], v[20:21], v[16:17]
	v_fma_f64 v[16:17], v[16:17], s[0:1], 0.5
	v_fma_f64 v[16:17], v[22:23], v[16:17], v[20:21]
	v_cmp_class_f64_e64 s[0:1], v[20:21], v3
	s_nop 1
	v_cndmask_b32_e64 v3, v20, v16, s[0:1]
	v_cndmask_b32_e64 v16, v21, v17, s[0:1]
	s_movk_i32 s0, 0x1ff
	v_and_or_b32 v3, v16, s0, v3
	v_cmp_ne_u32_e64 s[0:1], 0, v3
	v_lshrrev_b32_e32 v17, 8, v16
	v_bfe_u32 v19, v16, 20, 11
	v_cndmask_b32_e64 v3, 0, 1, s[0:1]
	s_movk_i32 s0, 0xffe
	v_and_or_b32 v3, v17, s0, v3
	v_sub_u32_e32 v20, 0x3f1, v19
	v_or_b32_e32 v17, 0x1000, v3
	v_med3_i32 v20, v20, 0, 13
	v_lshrrev_b32_e32 v21, v20, v17
	v_lshlrev_b32_e32 v20, v20, v21
	v_cmp_ne_u32_e64 s[0:1], v20, v17
	v_add_u32_e32 v19, 0xfffffc10, v19
	v_lshl_or_b32 v20, v19, 12, v3
	v_cndmask_b32_e64 v17, 0, 1, s[0:1]
	v_or_b32_e32 v17, v21, v17
	v_cmp_gt_i32_e64 s[0:1], 1, v19
	v_lshrrev_b32_e32 v16, 16, v16
	s_nop 0
	v_cndmask_b32_e64 v17, v20, v17, s[0:1]
	v_and_b32_e32 v20, 7, v17
	v_cmp_lt_i32_e64 s[0:1], 5, v20
	v_lshrrev_b32_e32 v17, 2, v17
	s_nop 0
	v_cndmask_b32_e64 v21, 0, 1, s[0:1]
	v_cmp_eq_u32_e64 s[0:1], 3, v20
	s_nop 1
	v_cndmask_b32_e64 v20, 0, 1, s[0:1]
	v_or_b32_e32 v20, v20, v21
	v_add_u32_e32 v17, v17, v20
	v_mov_b32_e32 v20, 0x7c00
	v_cmp_gt_i32_e64 s[0:1], 31, v19
	v_mov_b32_e32 v21, 0x7e00
	s_nop 0
	v_cndmask_b32_e64 v17, v20, v17, s[0:1]
	v_cmp_ne_u32_e64 s[0:1], 0, v3
	s_nop 1
	v_cndmask_b32_e64 v3, v20, v21, s[0:1]
	s_movk_i32 s0, 0x40f
	v_cmp_eq_u32_e64 s[0:1], s0, v19
	s_nop 1
	v_cndmask_b32_e64 v3, v17, v3, s[0:1]
	s_mov_b32 s0, 0x8000
	v_and_or_b32 v19, v16, s0, v3
.LBB213_21:
	s_or_b64 exec, exec, s[6:7]
	v_or_b32_e32 v3, 0x200, v0
	v_cmp_gt_i32_e64 s[0:1], s10, v3
                                        ; implicit-def: $vgpr16
	s_and_saveexec_b64 s[6:7], s[0:1]
	s_cbranch_execz .LBB213_23
; %bb.22:
	v_rsq_f64_e32 v[16:17], v[14:15]
	s_mov_b32 s0, 0
	s_mov_b32 s1, 0x3fd80000
	v_mov_b32_e32 v3, 0x180
	v_mul_f64 v[14:15], v[16:17], -v[14:15]
	v_fma_f64 v[14:15], v[14:15], v[16:17], 1.0
	v_mul_f64 v[20:21], v[16:17], v[14:15]
	v_fma_f64 v[14:15], v[14:15], s[0:1], 0.5
	v_fma_f64 v[14:15], v[20:21], v[14:15], v[16:17]
	v_cmp_class_f64_e64 s[0:1], v[16:17], v3
	s_nop 1
	v_cndmask_b32_e64 v3, v16, v14, s[0:1]
	v_cndmask_b32_e64 v14, v17, v15, s[0:1]
	s_movk_i32 s0, 0x1ff
	v_and_or_b32 v3, v14, s0, v3
	v_cmp_ne_u32_e64 s[0:1], 0, v3
	v_lshrrev_b32_e32 v15, 8, v14
	v_bfe_u32 v16, v14, 20, 11
	v_cndmask_b32_e64 v3, 0, 1, s[0:1]
	s_movk_i32 s0, 0xffe
	v_and_or_b32 v3, v15, s0, v3
	v_sub_u32_e32 v17, 0x3f1, v16
	v_or_b32_e32 v15, 0x1000, v3
	v_med3_i32 v17, v17, 0, 13
	v_lshrrev_b32_e32 v20, v17, v15
	v_lshlrev_b32_e32 v17, v17, v20
	v_cmp_ne_u32_e64 s[0:1], v17, v15
	v_add_u32_e32 v16, 0xfffffc10, v16
	v_lshl_or_b32 v17, v16, 12, v3
	v_cndmask_b32_e64 v15, 0, 1, s[0:1]
	v_or_b32_e32 v15, v20, v15
	v_cmp_gt_i32_e64 s[0:1], 1, v16
	v_lshrrev_b32_e32 v14, 16, v14
	s_nop 0
	v_cndmask_b32_e64 v15, v17, v15, s[0:1]
	v_and_b32_e32 v17, 7, v15
	v_cmp_lt_i32_e64 s[0:1], 5, v17
	v_lshrrev_b32_e32 v15, 2, v15
	s_nop 0
	v_cndmask_b32_e64 v20, 0, 1, s[0:1]
	v_cmp_eq_u32_e64 s[0:1], 3, v17
	s_nop 1
	v_cndmask_b32_e64 v17, 0, 1, s[0:1]
	v_or_b32_e32 v17, v17, v20
	v_add_u32_e32 v15, v15, v17
	v_mov_b32_e32 v17, 0x7c00
	v_cmp_gt_i32_e64 s[0:1], 31, v16
	v_mov_b32_e32 v20, 0x7e00
	s_nop 0
	v_cndmask_b32_e64 v15, v17, v15, s[0:1]
	v_cmp_ne_u32_e64 s[0:1], 0, v3
	s_nop 1
	v_cndmask_b32_e64 v3, v17, v20, s[0:1]
	s_movk_i32 s0, 0x40f
	v_cmp_eq_u32_e64 s[0:1], s0, v16
	s_nop 1
	v_cndmask_b32_e64 v3, v15, v3, s[0:1]
	s_mov_b32 s0, 0x8000
	v_and_or_b32 v16, v14, s0, v3
.LBB213_23:
	s_or_b64 exec, exec, s[6:7]
	v_or_b32_e32 v3, 0x300, v0
	v_cmp_gt_i32_e64 s[0:1], s10, v3
                                        ; implicit-def: $vgpr14
	s_and_saveexec_b64 s[6:7], s[0:1]
	s_cbranch_execz .LBB213_25
; %bb.24:
	v_rsq_f64_e32 v[14:15], v[12:13]
	s_mov_b32 s0, 0
	s_mov_b32 s1, 0x3fd80000
	v_mov_b32_e32 v3, 0x180
	v_mul_f64 v[12:13], v[14:15], -v[12:13]
	v_fma_f64 v[12:13], v[12:13], v[14:15], 1.0
	v_mul_f64 v[20:21], v[14:15], v[12:13]
	v_fma_f64 v[12:13], v[12:13], s[0:1], 0.5
	v_fma_f64 v[12:13], v[20:21], v[12:13], v[14:15]
	v_cmp_class_f64_e64 s[0:1], v[14:15], v3
	s_nop 1
	v_cndmask_b32_e64 v3, v14, v12, s[0:1]
	v_cndmask_b32_e64 v12, v15, v13, s[0:1]
	s_movk_i32 s0, 0x1ff
	v_and_or_b32 v3, v12, s0, v3
	v_cmp_ne_u32_e64 s[0:1], 0, v3
	v_lshrrev_b32_e32 v13, 8, v12
	v_bfe_u32 v14, v12, 20, 11
	v_cndmask_b32_e64 v3, 0, 1, s[0:1]
	s_movk_i32 s0, 0xffe
	v_and_or_b32 v3, v13, s0, v3
	v_sub_u32_e32 v15, 0x3f1, v14
	v_or_b32_e32 v13, 0x1000, v3
	v_med3_i32 v15, v15, 0, 13
	v_lshrrev_b32_e32 v17, v15, v13
	v_lshlrev_b32_e32 v15, v15, v17
	v_cmp_ne_u32_e64 s[0:1], v15, v13
	v_add_u32_e32 v14, 0xfffffc10, v14
	v_lshl_or_b32 v15, v14, 12, v3
	v_cndmask_b32_e64 v13, 0, 1, s[0:1]
	v_or_b32_e32 v13, v17, v13
	v_cmp_gt_i32_e64 s[0:1], 1, v14
	v_lshrrev_b32_e32 v12, 16, v12
	s_nop 0
	v_cndmask_b32_e64 v13, v15, v13, s[0:1]
	v_and_b32_e32 v15, 7, v13
	v_cmp_lt_i32_e64 s[0:1], 5, v15
	v_lshrrev_b32_e32 v13, 2, v13
	s_nop 0
	v_cndmask_b32_e64 v17, 0, 1, s[0:1]
	v_cmp_eq_u32_e64 s[0:1], 3, v15
	s_nop 1
	v_cndmask_b32_e64 v15, 0, 1, s[0:1]
	v_or_b32_e32 v15, v15, v17
	v_add_u32_e32 v13, v13, v15
	v_mov_b32_e32 v15, 0x7c00
	v_cmp_gt_i32_e64 s[0:1], 31, v14
	v_mov_b32_e32 v17, 0x7e00
	s_nop 0
	v_cndmask_b32_e64 v13, v15, v13, s[0:1]
	v_cmp_ne_u32_e64 s[0:1], 0, v3
	s_nop 1
	v_cndmask_b32_e64 v3, v15, v17, s[0:1]
	s_movk_i32 s0, 0x40f
	v_cmp_eq_u32_e64 s[0:1], s0, v14
	s_nop 1
	v_cndmask_b32_e64 v3, v13, v3, s[0:1]
	s_mov_b32 s0, 0x8000
	v_and_or_b32 v14, v12, s0, v3
.LBB213_25:
	s_or_b64 exec, exec, s[6:7]
	v_or_b32_e32 v3, 0x400, v0
	v_cmp_gt_i32_e64 s[0:1], s10, v3
                                        ; implicit-def: $vgpr12
	s_and_saveexec_b64 s[6:7], s[0:1]
	s_cbranch_execz .LBB213_27
; %bb.26:
	v_rsq_f64_e32 v[12:13], v[10:11]
	s_mov_b32 s0, 0
	s_mov_b32 s1, 0x3fd80000
	v_mov_b32_e32 v3, 0x180
	v_mul_f64 v[10:11], v[12:13], -v[10:11]
	v_fma_f64 v[10:11], v[10:11], v[12:13], 1.0
	v_mul_f64 v[20:21], v[12:13], v[10:11]
	v_fma_f64 v[10:11], v[10:11], s[0:1], 0.5
	v_fma_f64 v[10:11], v[20:21], v[10:11], v[12:13]
	v_cmp_class_f64_e64 s[0:1], v[12:13], v3
	s_nop 1
	v_cndmask_b32_e64 v3, v12, v10, s[0:1]
	v_cndmask_b32_e64 v10, v13, v11, s[0:1]
	s_movk_i32 s0, 0x1ff
	v_and_or_b32 v3, v10, s0, v3
	v_cmp_ne_u32_e64 s[0:1], 0, v3
	v_lshrrev_b32_e32 v11, 8, v10
	v_bfe_u32 v12, v10, 20, 11
	v_cndmask_b32_e64 v3, 0, 1, s[0:1]
	s_movk_i32 s0, 0xffe
	v_and_or_b32 v3, v11, s0, v3
	v_sub_u32_e32 v13, 0x3f1, v12
	v_or_b32_e32 v11, 0x1000, v3
	v_med3_i32 v13, v13, 0, 13
	v_lshrrev_b32_e32 v15, v13, v11
	v_lshlrev_b32_e32 v13, v13, v15
	v_cmp_ne_u32_e64 s[0:1], v13, v11
	v_add_u32_e32 v12, 0xfffffc10, v12
	v_lshl_or_b32 v13, v12, 12, v3
	v_cndmask_b32_e64 v11, 0, 1, s[0:1]
	v_or_b32_e32 v11, v15, v11
	v_cmp_gt_i32_e64 s[0:1], 1, v12
	v_lshrrev_b32_e32 v10, 16, v10
	s_nop 0
	v_cndmask_b32_e64 v11, v13, v11, s[0:1]
	v_and_b32_e32 v13, 7, v11
	v_cmp_lt_i32_e64 s[0:1], 5, v13
	v_lshrrev_b32_e32 v11, 2, v11
	s_nop 0
	v_cndmask_b32_e64 v15, 0, 1, s[0:1]
	v_cmp_eq_u32_e64 s[0:1], 3, v13
	s_nop 1
	v_cndmask_b32_e64 v13, 0, 1, s[0:1]
	v_or_b32_e32 v13, v13, v15
	v_add_u32_e32 v11, v11, v13
	v_mov_b32_e32 v13, 0x7c00
	v_cmp_gt_i32_e64 s[0:1], 31, v12
	v_mov_b32_e32 v15, 0x7e00
	s_nop 0
	v_cndmask_b32_e64 v11, v13, v11, s[0:1]
	v_cmp_ne_u32_e64 s[0:1], 0, v3
	s_nop 1
	v_cndmask_b32_e64 v3, v13, v15, s[0:1]
	s_movk_i32 s0, 0x40f
	v_cmp_eq_u32_e64 s[0:1], s0, v12
	s_nop 1
	v_cndmask_b32_e64 v3, v11, v3, s[0:1]
	s_mov_b32 s0, 0x8000
	v_and_or_b32 v12, v10, s0, v3
.LBB213_27:
	s_or_b64 exec, exec, s[6:7]
	v_or_b32_e32 v3, 0x500, v0
	v_cmp_gt_i32_e64 s[0:1], s10, v3
                                        ; implicit-def: $vgpr10
	s_and_saveexec_b64 s[6:7], s[0:1]
	s_cbranch_execz .LBB213_29
; %bb.28:
	v_rsq_f64_e32 v[10:11], v[8:9]
	s_mov_b32 s0, 0
	s_mov_b32 s1, 0x3fd80000
	v_mov_b32_e32 v3, 0x180
	v_mul_f64 v[8:9], v[10:11], -v[8:9]
	v_fma_f64 v[8:9], v[8:9], v[10:11], 1.0
	v_mul_f64 v[20:21], v[10:11], v[8:9]
	v_fma_f64 v[8:9], v[8:9], s[0:1], 0.5
	v_fma_f64 v[8:9], v[20:21], v[8:9], v[10:11]
	v_cmp_class_f64_e64 s[0:1], v[10:11], v3
	s_nop 1
	v_cndmask_b32_e64 v3, v10, v8, s[0:1]
	v_cndmask_b32_e64 v8, v11, v9, s[0:1]
	s_movk_i32 s0, 0x1ff
	v_and_or_b32 v3, v8, s0, v3
	v_cmp_ne_u32_e64 s[0:1], 0, v3
	v_lshrrev_b32_e32 v9, 8, v8
	v_bfe_u32 v10, v8, 20, 11
	v_cndmask_b32_e64 v3, 0, 1, s[0:1]
	s_movk_i32 s0, 0xffe
	v_and_or_b32 v3, v9, s0, v3
	v_sub_u32_e32 v11, 0x3f1, v10
	v_or_b32_e32 v9, 0x1000, v3
	v_med3_i32 v11, v11, 0, 13
	v_lshrrev_b32_e32 v13, v11, v9
	v_lshlrev_b32_e32 v11, v11, v13
	v_cmp_ne_u32_e64 s[0:1], v11, v9
	v_add_u32_e32 v10, 0xfffffc10, v10
	v_lshl_or_b32 v11, v10, 12, v3
	v_cndmask_b32_e64 v9, 0, 1, s[0:1]
	v_or_b32_e32 v9, v13, v9
	v_cmp_gt_i32_e64 s[0:1], 1, v10
	v_lshrrev_b32_e32 v8, 16, v8
	s_nop 0
	v_cndmask_b32_e64 v9, v11, v9, s[0:1]
	v_and_b32_e32 v11, 7, v9
	v_cmp_lt_i32_e64 s[0:1], 5, v11
	v_lshrrev_b32_e32 v9, 2, v9
	s_nop 0
	v_cndmask_b32_e64 v13, 0, 1, s[0:1]
	v_cmp_eq_u32_e64 s[0:1], 3, v11
	s_nop 1
	v_cndmask_b32_e64 v11, 0, 1, s[0:1]
	v_or_b32_e32 v11, v11, v13
	v_add_u32_e32 v9, v9, v11
	v_mov_b32_e32 v11, 0x7c00
	v_cmp_gt_i32_e64 s[0:1], 31, v10
	v_mov_b32_e32 v13, 0x7e00
	s_nop 0
	v_cndmask_b32_e64 v9, v11, v9, s[0:1]
	v_cmp_ne_u32_e64 s[0:1], 0, v3
	s_nop 1
	v_cndmask_b32_e64 v3, v11, v13, s[0:1]
	s_movk_i32 s0, 0x40f
	v_cmp_eq_u32_e64 s[0:1], s0, v10
	s_nop 1
	v_cndmask_b32_e64 v3, v9, v3, s[0:1]
	s_mov_b32 s0, 0x8000
	v_and_or_b32 v10, v8, s0, v3
.LBB213_29:
	s_or_b64 exec, exec, s[6:7]
	v_or_b32_e32 v3, 0x600, v0
	v_cmp_gt_i32_e64 s[0:1], s10, v3
                                        ; implicit-def: $vgpr8
	s_and_saveexec_b64 s[6:7], s[0:1]
	s_cbranch_execz .LBB213_31
; %bb.30:
	v_rsq_f64_e32 v[8:9], v[6:7]
	s_mov_b32 s0, 0
	s_mov_b32 s1, 0x3fd80000
	v_mov_b32_e32 v3, 0x180
	v_mul_f64 v[6:7], v[8:9], -v[6:7]
	v_fma_f64 v[6:7], v[6:7], v[8:9], 1.0
	v_mul_f64 v[20:21], v[8:9], v[6:7]
	v_fma_f64 v[6:7], v[6:7], s[0:1], 0.5
	v_fma_f64 v[6:7], v[20:21], v[6:7], v[8:9]
	v_cmp_class_f64_e64 s[0:1], v[8:9], v3
	s_nop 1
	v_cndmask_b32_e64 v3, v8, v6, s[0:1]
	v_cndmask_b32_e64 v6, v9, v7, s[0:1]
	s_movk_i32 s0, 0x1ff
	v_and_or_b32 v3, v6, s0, v3
	v_cmp_ne_u32_e64 s[0:1], 0, v3
	v_lshrrev_b32_e32 v7, 8, v6
	v_bfe_u32 v8, v6, 20, 11
	v_cndmask_b32_e64 v3, 0, 1, s[0:1]
	s_movk_i32 s0, 0xffe
	v_and_or_b32 v3, v7, s0, v3
	v_sub_u32_e32 v9, 0x3f1, v8
	v_or_b32_e32 v7, 0x1000, v3
	v_med3_i32 v9, v9, 0, 13
	v_lshrrev_b32_e32 v11, v9, v7
	v_lshlrev_b32_e32 v9, v9, v11
	v_cmp_ne_u32_e64 s[0:1], v9, v7
	v_add_u32_e32 v8, 0xfffffc10, v8
	v_lshl_or_b32 v9, v8, 12, v3
	v_cndmask_b32_e64 v7, 0, 1, s[0:1]
	v_or_b32_e32 v7, v11, v7
	v_cmp_gt_i32_e64 s[0:1], 1, v8
	v_lshrrev_b32_e32 v6, 16, v6
	s_nop 0
	v_cndmask_b32_e64 v7, v9, v7, s[0:1]
	v_and_b32_e32 v9, 7, v7
	v_cmp_lt_i32_e64 s[0:1], 5, v9
	v_lshrrev_b32_e32 v7, 2, v7
	s_nop 0
	v_cndmask_b32_e64 v11, 0, 1, s[0:1]
	v_cmp_eq_u32_e64 s[0:1], 3, v9
	s_nop 1
	v_cndmask_b32_e64 v9, 0, 1, s[0:1]
	v_or_b32_e32 v9, v9, v11
	v_add_u32_e32 v7, v7, v9
	v_mov_b32_e32 v9, 0x7c00
	v_cmp_gt_i32_e64 s[0:1], 31, v8
	v_mov_b32_e32 v11, 0x7e00
	s_nop 0
	v_cndmask_b32_e64 v7, v9, v7, s[0:1]
	v_cmp_ne_u32_e64 s[0:1], 0, v3
	s_nop 1
	v_cndmask_b32_e64 v3, v9, v11, s[0:1]
	s_movk_i32 s0, 0x40f
	v_cmp_eq_u32_e64 s[0:1], s0, v8
	s_nop 1
	v_cndmask_b32_e64 v3, v7, v3, s[0:1]
	s_mov_b32 s0, 0x8000
	v_and_or_b32 v8, v6, s0, v3
.LBB213_31:
	s_or_b64 exec, exec, s[6:7]
	v_or_b32_e32 v3, 0x700, v0
	v_cmp_gt_i32_e64 s[0:1], s10, v3
                                        ; implicit-def: $vgpr6
	s_and_saveexec_b64 s[6:7], s[0:1]
	s_cbranch_execnz .LBB213_44
; %bb.32:
	s_or_b64 exec, exec, s[6:7]
	s_and_saveexec_b64 s[0:1], vcc
	s_xor_b64 s[0:1], exec, s[0:1]
	s_cbranch_execnz .LBB213_45
.LBB213_33:
	s_or_b64 exec, exec, s[0:1]
	v_cmp_gt_i32_e32 vcc, s10, v0
	s_and_saveexec_b64 s[0:1], vcc
	s_cbranch_execnz .LBB213_46
.LBB213_34:
	s_or_b64 exec, exec, s[0:1]
	v_cmp_gt_i32_e32 vcc, s10, v0
	s_and_saveexec_b64 s[0:1], vcc
	s_cbranch_execnz .LBB213_47
.LBB213_35:
	s_or_b64 exec, exec, s[0:1]
	v_cmp_gt_i32_e32 vcc, s10, v0
	s_and_saveexec_b64 s[0:1], vcc
	s_cbranch_execnz .LBB213_48
.LBB213_36:
	s_or_b64 exec, exec, s[0:1]
	v_cmp_gt_i32_e32 vcc, s10, v0
	s_and_saveexec_b64 s[0:1], vcc
	s_cbranch_execnz .LBB213_49
.LBB213_37:
	s_or_b64 exec, exec, s[0:1]
	v_cmp_gt_i32_e32 vcc, s10, v0
	s_and_saveexec_b64 s[0:1], vcc
	s_cbranch_execnz .LBB213_50
.LBB213_38:
	s_or_b64 exec, exec, s[0:1]
	v_cmp_gt_i32_e32 vcc, s10, v0
	s_and_saveexec_b64 s[0:1], vcc
	s_cbranch_execnz .LBB213_51
.LBB213_39:
	s_or_b64 exec, exec, s[0:1]
	v_cmp_gt_i32_e32 vcc, s10, v0
	s_and_saveexec_b64 s[0:1], vcc
	s_cbranch_execz .LBB213_41
.LBB213_40:
	v_add_u32_e32 v0, s2, v0
	v_mov_b32_e32 v1, 0
	v_lshl_add_u64 v[0:1], v[0:1], 1, s[4:5]
	global_store_short v[0:1], v6, off
.LBB213_41:
	s_endpgm
.LBB213_42:
	v_add_u32_e32 v6, s2, v1
	v_mov_b32_e32 v7, 0
	v_lshl_add_u64 v[6:7], v[6:7], 1, s[6:7]
	global_load_ushort v3, v[6:7], off
	v_add_u32_e32 v1, 0x100, v1
	s_waitcnt vmcnt(0)
	v_cvt_f32_f16_e32 v3, v3
	v_cvt_f64_f32_e32 v[6:7], v3
	s_or_b64 exec, exec, s[8:9]
	v_cmp_gt_i32_e64 s[0:1], s10, v1
	s_and_saveexec_b64 s[8:9], s[0:1]
	s_cbranch_execz .LBB213_17
.LBB213_43:
	v_add_u32_e32 v4, s2, v1
	v_mov_b32_e32 v5, 0
	v_lshl_add_u64 v[4:5], v[4:5], 1, s[6:7]
	global_load_ushort v1, v[4:5], off
	s_waitcnt vmcnt(0)
	v_cvt_f32_f16_e32 v1, v1
	v_cvt_f64_f32_e32 v[4:5], v1
	s_or_b64 exec, exec, s[8:9]
                                        ; implicit-def: $vgpr1
	s_and_saveexec_b64 s[6:7], vcc
	s_cbranch_execnz .LBB213_18
	s_branch .LBB213_19
.LBB213_44:
	v_rsq_f64_e32 v[6:7], v[4:5]
	s_mov_b32 s0, 0
	s_mov_b32 s1, 0x3fd80000
	v_mov_b32_e32 v3, 0x180
	v_mul_f64 v[4:5], v[6:7], -v[4:5]
	v_fma_f64 v[4:5], v[4:5], v[6:7], 1.0
	v_mul_f64 v[20:21], v[6:7], v[4:5]
	v_fma_f64 v[4:5], v[4:5], s[0:1], 0.5
	v_fma_f64 v[4:5], v[20:21], v[4:5], v[6:7]
	v_cmp_class_f64_e64 s[0:1], v[6:7], v3
	s_nop 1
	v_cndmask_b32_e64 v3, v6, v4, s[0:1]
	v_cndmask_b32_e64 v4, v7, v5, s[0:1]
	s_movk_i32 s0, 0x1ff
	v_and_or_b32 v3, v4, s0, v3
	v_cmp_ne_u32_e64 s[0:1], 0, v3
	v_lshrrev_b32_e32 v5, 8, v4
	v_bfe_u32 v6, v4, 20, 11
	v_cndmask_b32_e64 v3, 0, 1, s[0:1]
	s_movk_i32 s0, 0xffe
	v_and_or_b32 v3, v5, s0, v3
	v_sub_u32_e32 v7, 0x3f1, v6
	v_or_b32_e32 v5, 0x1000, v3
	v_med3_i32 v7, v7, 0, 13
	v_lshrrev_b32_e32 v9, v7, v5
	v_lshlrev_b32_e32 v7, v7, v9
	v_cmp_ne_u32_e64 s[0:1], v7, v5
	v_add_u32_e32 v6, 0xfffffc10, v6
	v_lshl_or_b32 v7, v6, 12, v3
	v_cndmask_b32_e64 v5, 0, 1, s[0:1]
	v_or_b32_e32 v5, v9, v5
	v_cmp_gt_i32_e64 s[0:1], 1, v6
	v_lshrrev_b32_e32 v4, 16, v4
	s_nop 0
	v_cndmask_b32_e64 v5, v7, v5, s[0:1]
	v_and_b32_e32 v7, 7, v5
	v_cmp_lt_i32_e64 s[0:1], 5, v7
	v_lshrrev_b32_e32 v5, 2, v5
	s_nop 0
	v_cndmask_b32_e64 v9, 0, 1, s[0:1]
	v_cmp_eq_u32_e64 s[0:1], 3, v7
	s_nop 1
	v_cndmask_b32_e64 v7, 0, 1, s[0:1]
	v_or_b32_e32 v7, v7, v9
	v_add_u32_e32 v5, v5, v7
	v_mov_b32_e32 v7, 0x7c00
	v_cmp_gt_i32_e64 s[0:1], 31, v6
	v_mov_b32_e32 v9, 0x7e00
	s_nop 0
	v_cndmask_b32_e64 v5, v7, v5, s[0:1]
	v_cmp_ne_u32_e64 s[0:1], 0, v3
	s_nop 1
	v_cndmask_b32_e64 v3, v7, v9, s[0:1]
	s_movk_i32 s0, 0x40f
	v_cmp_eq_u32_e64 s[0:1], s0, v6
	s_nop 1
	v_cndmask_b32_e64 v3, v5, v3, s[0:1]
	s_mov_b32 s0, 0x8000
	v_and_or_b32 v6, v4, s0, v3
	s_or_b64 exec, exec, s[6:7]
	s_and_saveexec_b64 s[0:1], vcc
	s_xor_b64 s[0:1], exec, s[0:1]
	s_cbranch_execz .LBB213_33
.LBB213_45:
	v_mov_b32_e32 v3, 0
	v_lshl_add_u64 v[2:3], v[2:3], 1, s[4:5]
	v_mov_b32_e32 v0, v18
	global_store_short v[2:3], v1, off
	s_or_b64 exec, exec, s[0:1]
	v_cmp_gt_i32_e32 vcc, s10, v0
	s_and_saveexec_b64 s[0:1], vcc
	s_cbranch_execz .LBB213_34
.LBB213_46:
	v_add_u32_e32 v2, s2, v0
	v_mov_b32_e32 v3, 0
	v_lshl_add_u64 v[2:3], v[2:3], 1, s[4:5]
	v_add_u32_e32 v0, 0x100, v0
	global_store_short v[2:3], v19, off
	s_or_b64 exec, exec, s[0:1]
	v_cmp_gt_i32_e32 vcc, s10, v0
	s_and_saveexec_b64 s[0:1], vcc
	s_cbranch_execz .LBB213_35
.LBB213_47:
	v_add_u32_e32 v2, s2, v0
	v_mov_b32_e32 v3, 0
	v_lshl_add_u64 v[2:3], v[2:3], 1, s[4:5]
	v_add_u32_e32 v0, 0x100, v0
	global_store_short v[2:3], v16, off
	s_or_b64 exec, exec, s[0:1]
	v_cmp_gt_i32_e32 vcc, s10, v0
	s_and_saveexec_b64 s[0:1], vcc
	s_cbranch_execz .LBB213_36
.LBB213_48:
	v_add_u32_e32 v2, s2, v0
	v_mov_b32_e32 v3, 0
	v_lshl_add_u64 v[2:3], v[2:3], 1, s[4:5]
	v_add_u32_e32 v0, 0x100, v0
	global_store_short v[2:3], v14, off
	s_or_b64 exec, exec, s[0:1]
	v_cmp_gt_i32_e32 vcc, s10, v0
	s_and_saveexec_b64 s[0:1], vcc
	s_cbranch_execz .LBB213_37
.LBB213_49:
	v_add_u32_e32 v2, s2, v0
	v_mov_b32_e32 v3, 0
	v_lshl_add_u64 v[2:3], v[2:3], 1, s[4:5]
	v_add_u32_e32 v0, 0x100, v0
	global_store_short v[2:3], v12, off
	s_or_b64 exec, exec, s[0:1]
	v_cmp_gt_i32_e32 vcc, s10, v0
	s_and_saveexec_b64 s[0:1], vcc
	s_cbranch_execz .LBB213_38
.LBB213_50:
	v_add_u32_e32 v2, s2, v0
	v_mov_b32_e32 v3, 0
	v_lshl_add_u64 v[2:3], v[2:3], 1, s[4:5]
	v_add_u32_e32 v0, 0x100, v0
	global_store_short v[2:3], v10, off
	s_or_b64 exec, exec, s[0:1]
	v_cmp_gt_i32_e32 vcc, s10, v0
	s_and_saveexec_b64 s[0:1], vcc
	s_cbranch_execz .LBB213_39
.LBB213_51:
	v_add_u32_e32 v2, s2, v0
	v_mov_b32_e32 v3, 0
	v_lshl_add_u64 v[2:3], v[2:3], 1, s[4:5]
	v_add_u32_e32 v0, 0x100, v0
	global_store_short v[2:3], v8, off
	s_or_b64 exec, exec, s[0:1]
	v_cmp_gt_i32_e32 vcc, s10, v0
	s_and_saveexec_b64 s[0:1], vcc
	s_cbranch_execnz .LBB213_40
	s_branch .LBB213_41
	.section	.rodata,"a",@progbits
	.p2align	6, 0x0
	.amdhsa_kernel _ZN2at6native29vectorized_elementwise_kernelILi2EZZZNS0_17rsqrt_kernel_cudaERNS_18TensorIteratorBaseEENKUlvE0_clEvENKUlvE2_clEvEUlN3c104HalfEE_St5arrayIPcLm2EEEEviT0_T1_
		.amdhsa_group_segment_fixed_size 0
		.amdhsa_private_segment_fixed_size 0
		.amdhsa_kernarg_size 24
		.amdhsa_user_sgpr_count 2
		.amdhsa_user_sgpr_dispatch_ptr 0
		.amdhsa_user_sgpr_queue_ptr 0
		.amdhsa_user_sgpr_kernarg_segment_ptr 1
		.amdhsa_user_sgpr_dispatch_id 0
		.amdhsa_user_sgpr_kernarg_preload_length 0
		.amdhsa_user_sgpr_kernarg_preload_offset 0
		.amdhsa_user_sgpr_private_segment_size 0
		.amdhsa_uses_dynamic_stack 0
		.amdhsa_enable_private_segment 0
		.amdhsa_system_sgpr_workgroup_id_x 1
		.amdhsa_system_sgpr_workgroup_id_y 0
		.amdhsa_system_sgpr_workgroup_id_z 0
		.amdhsa_system_sgpr_workgroup_info 0
		.amdhsa_system_vgpr_workitem_id 0
		.amdhsa_next_free_vgpr 28
		.amdhsa_next_free_sgpr 14
		.amdhsa_accum_offset 28
		.amdhsa_reserve_vcc 1
		.amdhsa_float_round_mode_32 0
		.amdhsa_float_round_mode_16_64 0
		.amdhsa_float_denorm_mode_32 3
		.amdhsa_float_denorm_mode_16_64 3
		.amdhsa_dx10_clamp 1
		.amdhsa_ieee_mode 1
		.amdhsa_fp16_overflow 0
		.amdhsa_tg_split 0
		.amdhsa_exception_fp_ieee_invalid_op 0
		.amdhsa_exception_fp_denorm_src 0
		.amdhsa_exception_fp_ieee_div_zero 0
		.amdhsa_exception_fp_ieee_overflow 0
		.amdhsa_exception_fp_ieee_underflow 0
		.amdhsa_exception_fp_ieee_inexact 0
		.amdhsa_exception_int_div_zero 0
	.end_amdhsa_kernel
	.section	.text._ZN2at6native29vectorized_elementwise_kernelILi2EZZZNS0_17rsqrt_kernel_cudaERNS_18TensorIteratorBaseEENKUlvE0_clEvENKUlvE2_clEvEUlN3c104HalfEE_St5arrayIPcLm2EEEEviT0_T1_,"axG",@progbits,_ZN2at6native29vectorized_elementwise_kernelILi2EZZZNS0_17rsqrt_kernel_cudaERNS_18TensorIteratorBaseEENKUlvE0_clEvENKUlvE2_clEvEUlN3c104HalfEE_St5arrayIPcLm2EEEEviT0_T1_,comdat
.Lfunc_end213:
	.size	_ZN2at6native29vectorized_elementwise_kernelILi2EZZZNS0_17rsqrt_kernel_cudaERNS_18TensorIteratorBaseEENKUlvE0_clEvENKUlvE2_clEvEUlN3c104HalfEE_St5arrayIPcLm2EEEEviT0_T1_, .Lfunc_end213-_ZN2at6native29vectorized_elementwise_kernelILi2EZZZNS0_17rsqrt_kernel_cudaERNS_18TensorIteratorBaseEENKUlvE0_clEvENKUlvE2_clEvEUlN3c104HalfEE_St5arrayIPcLm2EEEEviT0_T1_
                                        ; -- End function
	.set _ZN2at6native29vectorized_elementwise_kernelILi2EZZZNS0_17rsqrt_kernel_cudaERNS_18TensorIteratorBaseEENKUlvE0_clEvENKUlvE2_clEvEUlN3c104HalfEE_St5arrayIPcLm2EEEEviT0_T1_.num_vgpr, 28
	.set _ZN2at6native29vectorized_elementwise_kernelILi2EZZZNS0_17rsqrt_kernel_cudaERNS_18TensorIteratorBaseEENKUlvE0_clEvENKUlvE2_clEvEUlN3c104HalfEE_St5arrayIPcLm2EEEEviT0_T1_.num_agpr, 0
	.set _ZN2at6native29vectorized_elementwise_kernelILi2EZZZNS0_17rsqrt_kernel_cudaERNS_18TensorIteratorBaseEENKUlvE0_clEvENKUlvE2_clEvEUlN3c104HalfEE_St5arrayIPcLm2EEEEviT0_T1_.numbered_sgpr, 14
	.set _ZN2at6native29vectorized_elementwise_kernelILi2EZZZNS0_17rsqrt_kernel_cudaERNS_18TensorIteratorBaseEENKUlvE0_clEvENKUlvE2_clEvEUlN3c104HalfEE_St5arrayIPcLm2EEEEviT0_T1_.num_named_barrier, 0
	.set _ZN2at6native29vectorized_elementwise_kernelILi2EZZZNS0_17rsqrt_kernel_cudaERNS_18TensorIteratorBaseEENKUlvE0_clEvENKUlvE2_clEvEUlN3c104HalfEE_St5arrayIPcLm2EEEEviT0_T1_.private_seg_size, 0
	.set _ZN2at6native29vectorized_elementwise_kernelILi2EZZZNS0_17rsqrt_kernel_cudaERNS_18TensorIteratorBaseEENKUlvE0_clEvENKUlvE2_clEvEUlN3c104HalfEE_St5arrayIPcLm2EEEEviT0_T1_.uses_vcc, 1
	.set _ZN2at6native29vectorized_elementwise_kernelILi2EZZZNS0_17rsqrt_kernel_cudaERNS_18TensorIteratorBaseEENKUlvE0_clEvENKUlvE2_clEvEUlN3c104HalfEE_St5arrayIPcLm2EEEEviT0_T1_.uses_flat_scratch, 0
	.set _ZN2at6native29vectorized_elementwise_kernelILi2EZZZNS0_17rsqrt_kernel_cudaERNS_18TensorIteratorBaseEENKUlvE0_clEvENKUlvE2_clEvEUlN3c104HalfEE_St5arrayIPcLm2EEEEviT0_T1_.has_dyn_sized_stack, 0
	.set _ZN2at6native29vectorized_elementwise_kernelILi2EZZZNS0_17rsqrt_kernel_cudaERNS_18TensorIteratorBaseEENKUlvE0_clEvENKUlvE2_clEvEUlN3c104HalfEE_St5arrayIPcLm2EEEEviT0_T1_.has_recursion, 0
	.set _ZN2at6native29vectorized_elementwise_kernelILi2EZZZNS0_17rsqrt_kernel_cudaERNS_18TensorIteratorBaseEENKUlvE0_clEvENKUlvE2_clEvEUlN3c104HalfEE_St5arrayIPcLm2EEEEviT0_T1_.has_indirect_call, 0
	.section	.AMDGPU.csdata,"",@progbits
; Kernel info:
; codeLenInByte = 6856
; TotalNumSgprs: 20
; NumVgprs: 28
; NumAgprs: 0
; TotalNumVgprs: 28
; ScratchSize: 0
; MemoryBound: 0
; FloatMode: 240
; IeeeMode: 1
; LDSByteSize: 0 bytes/workgroup (compile time only)
; SGPRBlocks: 2
; VGPRBlocks: 3
; NumSGPRsForWavesPerEU: 20
; NumVGPRsForWavesPerEU: 28
; AccumOffset: 28
; Occupancy: 8
; WaveLimiterHint : 1
; COMPUTE_PGM_RSRC2:SCRATCH_EN: 0
; COMPUTE_PGM_RSRC2:USER_SGPR: 2
; COMPUTE_PGM_RSRC2:TRAP_HANDLER: 0
; COMPUTE_PGM_RSRC2:TGID_X_EN: 1
; COMPUTE_PGM_RSRC2:TGID_Y_EN: 0
; COMPUTE_PGM_RSRC2:TGID_Z_EN: 0
; COMPUTE_PGM_RSRC2:TIDIG_COMP_CNT: 0
; COMPUTE_PGM_RSRC3_GFX90A:ACCUM_OFFSET: 6
; COMPUTE_PGM_RSRC3_GFX90A:TG_SPLIT: 0
	.section	.text._ZN2at6native27unrolled_elementwise_kernelIZZZNS0_17rsqrt_kernel_cudaERNS_18TensorIteratorBaseEENKUlvE0_clEvENKUlvE2_clEvEUlN3c104HalfEE_St5arrayIPcLm2EELi4E23TrivialOffsetCalculatorILi1EjESD_NS0_6memory15LoadWithoutCastENSE_16StoreWithoutCastEEEviT_T0_T2_T3_T4_T5_,"axG",@progbits,_ZN2at6native27unrolled_elementwise_kernelIZZZNS0_17rsqrt_kernel_cudaERNS_18TensorIteratorBaseEENKUlvE0_clEvENKUlvE2_clEvEUlN3c104HalfEE_St5arrayIPcLm2EELi4E23TrivialOffsetCalculatorILi1EjESD_NS0_6memory15LoadWithoutCastENSE_16StoreWithoutCastEEEviT_T0_T2_T3_T4_T5_,comdat
	.globl	_ZN2at6native27unrolled_elementwise_kernelIZZZNS0_17rsqrt_kernel_cudaERNS_18TensorIteratorBaseEENKUlvE0_clEvENKUlvE2_clEvEUlN3c104HalfEE_St5arrayIPcLm2EELi4E23TrivialOffsetCalculatorILi1EjESD_NS0_6memory15LoadWithoutCastENSE_16StoreWithoutCastEEEviT_T0_T2_T3_T4_T5_ ; -- Begin function _ZN2at6native27unrolled_elementwise_kernelIZZZNS0_17rsqrt_kernel_cudaERNS_18TensorIteratorBaseEENKUlvE0_clEvENKUlvE2_clEvEUlN3c104HalfEE_St5arrayIPcLm2EELi4E23TrivialOffsetCalculatorILi1EjESD_NS0_6memory15LoadWithoutCastENSE_16StoreWithoutCastEEEviT_T0_T2_T3_T4_T5_
	.p2align	8
	.type	_ZN2at6native27unrolled_elementwise_kernelIZZZNS0_17rsqrt_kernel_cudaERNS_18TensorIteratorBaseEENKUlvE0_clEvENKUlvE2_clEvEUlN3c104HalfEE_St5arrayIPcLm2EELi4E23TrivialOffsetCalculatorILi1EjESD_NS0_6memory15LoadWithoutCastENSE_16StoreWithoutCastEEEviT_T0_T2_T3_T4_T5_,@function
_ZN2at6native27unrolled_elementwise_kernelIZZZNS0_17rsqrt_kernel_cudaERNS_18TensorIteratorBaseEENKUlvE0_clEvENKUlvE2_clEvEUlN3c104HalfEE_St5arrayIPcLm2EELi4E23TrivialOffsetCalculatorILi1EjESD_NS0_6memory15LoadWithoutCastENSE_16StoreWithoutCastEEEviT_T0_T2_T3_T4_T5_: ; @_ZN2at6native27unrolled_elementwise_kernelIZZZNS0_17rsqrt_kernel_cudaERNS_18TensorIteratorBaseEENKUlvE0_clEvENKUlvE2_clEvEUlN3c104HalfEE_St5arrayIPcLm2EELi4E23TrivialOffsetCalculatorILi1EjESD_NS0_6memory15LoadWithoutCastENSE_16StoreWithoutCastEEEviT_T0_T2_T3_T4_T5_
; %bb.0:
	s_load_dword s3, s[0:1], 0x0
	s_load_dwordx4 s[4:7], s[0:1], 0x8
	s_lshl_b32 s8, s2, 10
	v_mov_b64_e32 v[8:9], 0
	v_or_b32_e32 v2, s8, v0
	s_waitcnt lgkmcnt(0)
	s_sub_i32 s9, s3, s8
	v_cmp_gt_i32_e32 vcc, s9, v0
	v_mov_b64_e32 v[10:11], 0
	v_mov_b32_e32 v1, v0
	s_and_saveexec_b64 s[0:1], vcc
	s_cbranch_execz .LBB214_2
; %bb.1:
	v_mov_b32_e32 v3, 0
	v_lshl_add_u64 v[4:5], v[2:3], 1, s[6:7]
	global_load_ushort v1, v[4:5], off
	s_waitcnt vmcnt(0)
	v_cvt_f32_f16_e32 v3, v1
	v_or_b32_e32 v1, 0x100, v0
	v_cvt_f64_f32_e32 v[10:11], v3
.LBB214_2:
	s_or_b64 exec, exec, s[0:1]
	v_cmp_gt_i32_e64 s[0:1], s9, v1
	s_and_saveexec_b64 s[2:3], s[0:1]
	s_cbranch_execz .LBB214_4
; %bb.3:
	v_add_u32_e32 v4, s8, v1
	v_mov_b32_e32 v5, 0
	v_lshl_add_u64 v[4:5], v[4:5], 1, s[6:7]
	global_load_ushort v3, v[4:5], off
	v_add_u32_e32 v1, 0x100, v1
	s_waitcnt vmcnt(0)
	v_cvt_f32_f16_e32 v3, v3
	v_cvt_f64_f32_e32 v[8:9], v3
.LBB214_4:
	s_or_b64 exec, exec, s[2:3]
	v_cmp_gt_i32_e64 s[0:1], s9, v1
	v_mov_b64_e32 v[4:5], 0
	v_mov_b64_e32 v[6:7], 0
	s_and_saveexec_b64 s[2:3], s[0:1]
	s_cbranch_execnz .LBB214_18
; %bb.5:
	s_or_b64 exec, exec, s[2:3]
	v_cmp_gt_i32_e64 s[0:1], s9, v1
	s_and_saveexec_b64 s[2:3], s[0:1]
	s_cbranch_execnz .LBB214_19
.LBB214_6:
	s_or_b64 exec, exec, s[2:3]
                                        ; implicit-def: $vgpr1
	s_and_saveexec_b64 s[2:3], vcc
	s_cbranch_execz .LBB214_8
.LBB214_7:
	v_rsq_f64_e32 v[12:13], v[10:11]
	s_mov_b32 s0, 0
	s_mov_b32 s1, 0x3fd80000
	v_mov_b32_e32 v1, 0x180
	v_mul_f64 v[10:11], v[12:13], -v[10:11]
	v_fma_f64 v[10:11], v[10:11], v[12:13], 1.0
	v_mul_f64 v[14:15], v[12:13], v[10:11]
	v_fma_f64 v[10:11], v[10:11], s[0:1], 0.5
	v_fma_f64 v[10:11], v[14:15], v[10:11], v[12:13]
	v_cmp_class_f64_e64 s[0:1], v[12:13], v1
	s_nop 1
	v_cndmask_b32_e64 v1, v12, v10, s[0:1]
	v_cndmask_b32_e64 v3, v13, v11, s[0:1]
	s_movk_i32 s0, 0x1ff
	v_and_or_b32 v1, v3, s0, v1
	v_cmp_ne_u32_e64 s[0:1], 0, v1
	v_lshrrev_b32_e32 v10, 8, v3
	v_bfe_u32 v11, v3, 20, 11
	v_cndmask_b32_e64 v1, 0, 1, s[0:1]
	s_movk_i32 s0, 0xffe
	v_and_or_b32 v1, v10, s0, v1
	v_sub_u32_e32 v12, 0x3f1, v11
	v_or_b32_e32 v10, 0x1000, v1
	v_med3_i32 v12, v12, 0, 13
	v_lshrrev_b32_e32 v13, v12, v10
	v_lshlrev_b32_e32 v12, v12, v13
	v_cmp_ne_u32_e64 s[0:1], v12, v10
	v_add_u32_e32 v11, 0xfffffc10, v11
	v_lshl_or_b32 v12, v11, 12, v1
	v_cndmask_b32_e64 v10, 0, 1, s[0:1]
	v_or_b32_e32 v10, v13, v10
	v_cmp_gt_i32_e64 s[0:1], 1, v11
	v_lshrrev_b32_e32 v3, 16, v3
	s_nop 0
	v_cndmask_b32_e64 v10, v12, v10, s[0:1]
	v_and_b32_e32 v12, 7, v10
	v_cmp_lt_i32_e64 s[0:1], 5, v12
	v_lshrrev_b32_e32 v10, 2, v10
	s_nop 0
	v_cndmask_b32_e64 v13, 0, 1, s[0:1]
	v_cmp_eq_u32_e64 s[0:1], 3, v12
	s_nop 1
	v_cndmask_b32_e64 v12, 0, 1, s[0:1]
	v_or_b32_e32 v12, v12, v13
	v_add_u32_e32 v10, v10, v12
	v_mov_b32_e32 v12, 0x7c00
	v_cmp_gt_i32_e64 s[0:1], 31, v11
	v_mov_b32_e32 v13, 0x7e00
	s_nop 0
	v_cndmask_b32_e64 v10, v12, v10, s[0:1]
	v_cmp_ne_u32_e64 s[0:1], 0, v1
	s_nop 1
	v_cndmask_b32_e64 v1, v12, v13, s[0:1]
	s_movk_i32 s0, 0x40f
	v_cmp_eq_u32_e64 s[0:1], s0, v11
	s_nop 1
	v_cndmask_b32_e64 v1, v10, v1, s[0:1]
	s_mov_b32 s0, 0x8000
	v_and_or_b32 v1, v3, s0, v1
.LBB214_8:
	s_or_b64 exec, exec, s[2:3]
	v_or_b32_e32 v10, 0x100, v0
	v_cmp_gt_i32_e64 s[0:1], s9, v10
                                        ; implicit-def: $vgpr11
	s_and_saveexec_b64 s[2:3], s[0:1]
	s_cbranch_execz .LBB214_10
; %bb.9:
	v_rsq_f64_e32 v[12:13], v[8:9]
	s_mov_b32 s0, 0
	s_mov_b32 s1, 0x3fd80000
	v_mov_b32_e32 v3, 0x180
	v_mul_f64 v[8:9], v[12:13], -v[8:9]
	v_fma_f64 v[8:9], v[8:9], v[12:13], 1.0
	v_mul_f64 v[14:15], v[12:13], v[8:9]
	v_fma_f64 v[8:9], v[8:9], s[0:1], 0.5
	v_fma_f64 v[8:9], v[14:15], v[8:9], v[12:13]
	v_cmp_class_f64_e64 s[0:1], v[12:13], v3
	s_nop 1
	v_cndmask_b32_e64 v3, v12, v8, s[0:1]
	v_cndmask_b32_e64 v8, v13, v9, s[0:1]
	s_movk_i32 s0, 0x1ff
	v_and_or_b32 v3, v8, s0, v3
	v_cmp_ne_u32_e64 s[0:1], 0, v3
	v_lshrrev_b32_e32 v9, 8, v8
	v_bfe_u32 v11, v8, 20, 11
	v_cndmask_b32_e64 v3, 0, 1, s[0:1]
	s_movk_i32 s0, 0xffe
	v_and_or_b32 v3, v9, s0, v3
	v_sub_u32_e32 v12, 0x3f1, v11
	v_or_b32_e32 v9, 0x1000, v3
	v_med3_i32 v12, v12, 0, 13
	v_lshrrev_b32_e32 v13, v12, v9
	v_lshlrev_b32_e32 v12, v12, v13
	v_cmp_ne_u32_e64 s[0:1], v12, v9
	v_add_u32_e32 v11, 0xfffffc10, v11
	v_lshl_or_b32 v12, v11, 12, v3
	v_cndmask_b32_e64 v9, 0, 1, s[0:1]
	v_or_b32_e32 v9, v13, v9
	v_cmp_gt_i32_e64 s[0:1], 1, v11
	v_lshrrev_b32_e32 v8, 16, v8
	s_nop 0
	v_cndmask_b32_e64 v9, v12, v9, s[0:1]
	v_and_b32_e32 v12, 7, v9
	v_cmp_lt_i32_e64 s[0:1], 5, v12
	v_lshrrev_b32_e32 v9, 2, v9
	s_nop 0
	v_cndmask_b32_e64 v13, 0, 1, s[0:1]
	v_cmp_eq_u32_e64 s[0:1], 3, v12
	s_nop 1
	v_cndmask_b32_e64 v12, 0, 1, s[0:1]
	v_or_b32_e32 v12, v12, v13
	v_add_u32_e32 v9, v9, v12
	v_mov_b32_e32 v12, 0x7c00
	v_cmp_gt_i32_e64 s[0:1], 31, v11
	v_mov_b32_e32 v13, 0x7e00
	s_nop 0
	v_cndmask_b32_e64 v9, v12, v9, s[0:1]
	v_cmp_ne_u32_e64 s[0:1], 0, v3
	s_nop 1
	v_cndmask_b32_e64 v3, v12, v13, s[0:1]
	s_movk_i32 s0, 0x40f
	v_cmp_eq_u32_e64 s[0:1], s0, v11
	s_nop 1
	v_cndmask_b32_e64 v3, v9, v3, s[0:1]
	s_mov_b32 s0, 0x8000
	v_and_or_b32 v11, v8, s0, v3
.LBB214_10:
	s_or_b64 exec, exec, s[2:3]
	v_or_b32_e32 v3, 0x200, v0
	v_cmp_gt_i32_e64 s[0:1], s9, v3
                                        ; implicit-def: $vgpr8
	s_and_saveexec_b64 s[2:3], s[0:1]
	s_cbranch_execz .LBB214_12
; %bb.11:
	v_rsq_f64_e32 v[8:9], v[6:7]
	s_mov_b32 s0, 0
	s_mov_b32 s1, 0x3fd80000
	v_mov_b32_e32 v3, 0x180
	v_mul_f64 v[6:7], v[8:9], -v[6:7]
	v_fma_f64 v[6:7], v[6:7], v[8:9], 1.0
	v_mul_f64 v[12:13], v[8:9], v[6:7]
	v_fma_f64 v[6:7], v[6:7], s[0:1], 0.5
	v_fma_f64 v[6:7], v[12:13], v[6:7], v[8:9]
	v_cmp_class_f64_e64 s[0:1], v[8:9], v3
	s_nop 1
	v_cndmask_b32_e64 v3, v8, v6, s[0:1]
	v_cndmask_b32_e64 v6, v9, v7, s[0:1]
	s_movk_i32 s0, 0x1ff
	v_and_or_b32 v3, v6, s0, v3
	v_cmp_ne_u32_e64 s[0:1], 0, v3
	v_lshrrev_b32_e32 v7, 8, v6
	v_bfe_u32 v8, v6, 20, 11
	v_cndmask_b32_e64 v3, 0, 1, s[0:1]
	s_movk_i32 s0, 0xffe
	v_and_or_b32 v3, v7, s0, v3
	v_sub_u32_e32 v9, 0x3f1, v8
	v_or_b32_e32 v7, 0x1000, v3
	v_med3_i32 v9, v9, 0, 13
	v_lshrrev_b32_e32 v12, v9, v7
	v_lshlrev_b32_e32 v9, v9, v12
	v_cmp_ne_u32_e64 s[0:1], v9, v7
	v_add_u32_e32 v8, 0xfffffc10, v8
	v_lshl_or_b32 v9, v8, 12, v3
	v_cndmask_b32_e64 v7, 0, 1, s[0:1]
	v_or_b32_e32 v7, v12, v7
	v_cmp_gt_i32_e64 s[0:1], 1, v8
	v_lshrrev_b32_e32 v6, 16, v6
	s_nop 0
	v_cndmask_b32_e64 v7, v9, v7, s[0:1]
	v_and_b32_e32 v9, 7, v7
	v_cmp_lt_i32_e64 s[0:1], 5, v9
	v_lshrrev_b32_e32 v7, 2, v7
	s_nop 0
	v_cndmask_b32_e64 v12, 0, 1, s[0:1]
	v_cmp_eq_u32_e64 s[0:1], 3, v9
	s_nop 1
	v_cndmask_b32_e64 v9, 0, 1, s[0:1]
	v_or_b32_e32 v9, v9, v12
	v_add_u32_e32 v7, v7, v9
	v_mov_b32_e32 v9, 0x7c00
	v_cmp_gt_i32_e64 s[0:1], 31, v8
	v_mov_b32_e32 v12, 0x7e00
	s_nop 0
	v_cndmask_b32_e64 v7, v9, v7, s[0:1]
	v_cmp_ne_u32_e64 s[0:1], 0, v3
	s_nop 1
	v_cndmask_b32_e64 v3, v9, v12, s[0:1]
	s_movk_i32 s0, 0x40f
	v_cmp_eq_u32_e64 s[0:1], s0, v8
	s_nop 1
	v_cndmask_b32_e64 v3, v7, v3, s[0:1]
	s_mov_b32 s0, 0x8000
	v_and_or_b32 v8, v6, s0, v3
.LBB214_12:
	s_or_b64 exec, exec, s[2:3]
	v_or_b32_e32 v3, 0x300, v0
	v_cmp_gt_i32_e64 s[0:1], s9, v3
                                        ; implicit-def: $vgpr6
	s_and_saveexec_b64 s[2:3], s[0:1]
	s_cbranch_execnz .LBB214_20
; %bb.13:
	s_or_b64 exec, exec, s[2:3]
	s_and_saveexec_b64 s[0:1], vcc
	s_xor_b64 s[0:1], exec, s[0:1]
	s_cbranch_execnz .LBB214_21
.LBB214_14:
	s_or_b64 exec, exec, s[0:1]
	v_cmp_gt_i32_e32 vcc, s9, v0
	s_and_saveexec_b64 s[0:1], vcc
	s_cbranch_execnz .LBB214_22
.LBB214_15:
	s_or_b64 exec, exec, s[0:1]
	v_cmp_gt_i32_e32 vcc, s9, v0
	s_and_saveexec_b64 s[0:1], vcc
	s_cbranch_execnz .LBB214_23
.LBB214_16:
	s_or_b64 exec, exec, s[0:1]
	v_cmp_gt_i32_e32 vcc, s9, v0
	s_and_saveexec_b64 s[0:1], vcc
	s_cbranch_execnz .LBB214_24
.LBB214_17:
	s_endpgm
.LBB214_18:
	v_add_u32_e32 v6, s8, v1
	v_mov_b32_e32 v7, 0
	v_lshl_add_u64 v[6:7], v[6:7], 1, s[6:7]
	global_load_ushort v3, v[6:7], off
	v_add_u32_e32 v1, 0x100, v1
	s_waitcnt vmcnt(0)
	v_cvt_f32_f16_e32 v3, v3
	v_cvt_f64_f32_e32 v[6:7], v3
	s_or_b64 exec, exec, s[2:3]
	v_cmp_gt_i32_e64 s[0:1], s9, v1
	s_and_saveexec_b64 s[2:3], s[0:1]
	s_cbranch_execz .LBB214_6
.LBB214_19:
	v_add_u32_e32 v4, s8, v1
	v_mov_b32_e32 v5, 0
	v_lshl_add_u64 v[4:5], v[4:5], 1, s[6:7]
	global_load_ushort v1, v[4:5], off
	s_waitcnt vmcnt(0)
	v_cvt_f32_f16_e32 v1, v1
	v_cvt_f64_f32_e32 v[4:5], v1
	s_or_b64 exec, exec, s[2:3]
                                        ; implicit-def: $vgpr1
	s_and_saveexec_b64 s[2:3], vcc
	s_cbranch_execnz .LBB214_7
	s_branch .LBB214_8
.LBB214_20:
	v_rsq_f64_e32 v[6:7], v[4:5]
	s_mov_b32 s0, 0
	s_mov_b32 s1, 0x3fd80000
	v_mov_b32_e32 v3, 0x180
	v_mul_f64 v[4:5], v[6:7], -v[4:5]
	v_fma_f64 v[4:5], v[4:5], v[6:7], 1.0
	v_mul_f64 v[12:13], v[6:7], v[4:5]
	v_fma_f64 v[4:5], v[4:5], s[0:1], 0.5
	v_fma_f64 v[4:5], v[12:13], v[4:5], v[6:7]
	v_cmp_class_f64_e64 s[0:1], v[6:7], v3
	s_nop 1
	v_cndmask_b32_e64 v3, v6, v4, s[0:1]
	v_cndmask_b32_e64 v4, v7, v5, s[0:1]
	s_movk_i32 s0, 0x1ff
	v_and_or_b32 v3, v4, s0, v3
	v_cmp_ne_u32_e64 s[0:1], 0, v3
	v_lshrrev_b32_e32 v5, 8, v4
	v_bfe_u32 v6, v4, 20, 11
	v_cndmask_b32_e64 v3, 0, 1, s[0:1]
	s_movk_i32 s0, 0xffe
	v_and_or_b32 v3, v5, s0, v3
	v_sub_u32_e32 v7, 0x3f1, v6
	v_or_b32_e32 v5, 0x1000, v3
	v_med3_i32 v7, v7, 0, 13
	v_lshrrev_b32_e32 v9, v7, v5
	v_lshlrev_b32_e32 v7, v7, v9
	v_cmp_ne_u32_e64 s[0:1], v7, v5
	v_add_u32_e32 v6, 0xfffffc10, v6
	v_lshl_or_b32 v7, v6, 12, v3
	v_cndmask_b32_e64 v5, 0, 1, s[0:1]
	v_or_b32_e32 v5, v9, v5
	v_cmp_gt_i32_e64 s[0:1], 1, v6
	v_lshrrev_b32_e32 v4, 16, v4
	s_nop 0
	v_cndmask_b32_e64 v5, v7, v5, s[0:1]
	v_and_b32_e32 v7, 7, v5
	v_cmp_lt_i32_e64 s[0:1], 5, v7
	v_lshrrev_b32_e32 v5, 2, v5
	s_nop 0
	v_cndmask_b32_e64 v9, 0, 1, s[0:1]
	v_cmp_eq_u32_e64 s[0:1], 3, v7
	s_nop 1
	v_cndmask_b32_e64 v7, 0, 1, s[0:1]
	v_or_b32_e32 v7, v7, v9
	v_add_u32_e32 v5, v5, v7
	v_mov_b32_e32 v7, 0x7c00
	v_cmp_gt_i32_e64 s[0:1], 31, v6
	v_mov_b32_e32 v9, 0x7e00
	s_nop 0
	v_cndmask_b32_e64 v5, v7, v5, s[0:1]
	v_cmp_ne_u32_e64 s[0:1], 0, v3
	s_nop 1
	v_cndmask_b32_e64 v3, v7, v9, s[0:1]
	s_movk_i32 s0, 0x40f
	v_cmp_eq_u32_e64 s[0:1], s0, v6
	s_nop 1
	v_cndmask_b32_e64 v3, v5, v3, s[0:1]
	s_mov_b32 s0, 0x8000
	v_and_or_b32 v6, v4, s0, v3
	s_or_b64 exec, exec, s[2:3]
	s_and_saveexec_b64 s[0:1], vcc
	s_xor_b64 s[0:1], exec, s[0:1]
	s_cbranch_execz .LBB214_14
.LBB214_21:
	v_mov_b32_e32 v3, 0
	v_lshl_add_u64 v[2:3], v[2:3], 1, s[4:5]
	v_mov_b32_e32 v0, v10
	global_store_short v[2:3], v1, off
	s_or_b64 exec, exec, s[0:1]
	v_cmp_gt_i32_e32 vcc, s9, v0
	s_and_saveexec_b64 s[0:1], vcc
	s_cbranch_execz .LBB214_15
.LBB214_22:
	v_add_u32_e32 v2, 0x100, v0
	v_add_u32_e32 v0, s8, v0
	v_mov_b32_e32 v1, 0
	v_lshl_add_u64 v[0:1], v[0:1], 1, s[4:5]
	global_store_short v[0:1], v11, off
	v_mov_b32_e32 v0, v2
	s_or_b64 exec, exec, s[0:1]
	v_cmp_gt_i32_e32 vcc, s9, v0
	s_and_saveexec_b64 s[0:1], vcc
	s_cbranch_execz .LBB214_16
.LBB214_23:
	v_add_u32_e32 v2, 0x100, v0
	v_add_u32_e32 v0, s8, v0
	v_mov_b32_e32 v1, 0
	v_lshl_add_u64 v[0:1], v[0:1], 1, s[4:5]
	global_store_short v[0:1], v8, off
	v_mov_b32_e32 v0, v2
	s_or_b64 exec, exec, s[0:1]
	v_cmp_gt_i32_e32 vcc, s9, v0
	s_and_saveexec_b64 s[0:1], vcc
	s_cbranch_execz .LBB214_17
.LBB214_24:
	v_add_u32_e32 v0, s8, v0
	v_mov_b32_e32 v1, 0
	v_lshl_add_u64 v[0:1], v[0:1], 1, s[4:5]
	global_store_short v[0:1], v6, off
	s_endpgm
	.section	.rodata,"a",@progbits
	.p2align	6, 0x0
	.amdhsa_kernel _ZN2at6native27unrolled_elementwise_kernelIZZZNS0_17rsqrt_kernel_cudaERNS_18TensorIteratorBaseEENKUlvE0_clEvENKUlvE2_clEvEUlN3c104HalfEE_St5arrayIPcLm2EELi4E23TrivialOffsetCalculatorILi1EjESD_NS0_6memory15LoadWithoutCastENSE_16StoreWithoutCastEEEviT_T0_T2_T3_T4_T5_
		.amdhsa_group_segment_fixed_size 0
		.amdhsa_private_segment_fixed_size 0
		.amdhsa_kernarg_size 28
		.amdhsa_user_sgpr_count 2
		.amdhsa_user_sgpr_dispatch_ptr 0
		.amdhsa_user_sgpr_queue_ptr 0
		.amdhsa_user_sgpr_kernarg_segment_ptr 1
		.amdhsa_user_sgpr_dispatch_id 0
		.amdhsa_user_sgpr_kernarg_preload_length 0
		.amdhsa_user_sgpr_kernarg_preload_offset 0
		.amdhsa_user_sgpr_private_segment_size 0
		.amdhsa_uses_dynamic_stack 0
		.amdhsa_enable_private_segment 0
		.amdhsa_system_sgpr_workgroup_id_x 1
		.amdhsa_system_sgpr_workgroup_id_y 0
		.amdhsa_system_sgpr_workgroup_id_z 0
		.amdhsa_system_sgpr_workgroup_info 0
		.amdhsa_system_vgpr_workitem_id 0
		.amdhsa_next_free_vgpr 16
		.amdhsa_next_free_sgpr 10
		.amdhsa_accum_offset 16
		.amdhsa_reserve_vcc 1
		.amdhsa_float_round_mode_32 0
		.amdhsa_float_round_mode_16_64 0
		.amdhsa_float_denorm_mode_32 3
		.amdhsa_float_denorm_mode_16_64 3
		.amdhsa_dx10_clamp 1
		.amdhsa_ieee_mode 1
		.amdhsa_fp16_overflow 0
		.amdhsa_tg_split 0
		.amdhsa_exception_fp_ieee_invalid_op 0
		.amdhsa_exception_fp_denorm_src 0
		.amdhsa_exception_fp_ieee_div_zero 0
		.amdhsa_exception_fp_ieee_overflow 0
		.amdhsa_exception_fp_ieee_underflow 0
		.amdhsa_exception_fp_ieee_inexact 0
		.amdhsa_exception_int_div_zero 0
	.end_amdhsa_kernel
	.section	.text._ZN2at6native27unrolled_elementwise_kernelIZZZNS0_17rsqrt_kernel_cudaERNS_18TensorIteratorBaseEENKUlvE0_clEvENKUlvE2_clEvEUlN3c104HalfEE_St5arrayIPcLm2EELi4E23TrivialOffsetCalculatorILi1EjESD_NS0_6memory15LoadWithoutCastENSE_16StoreWithoutCastEEEviT_T0_T2_T3_T4_T5_,"axG",@progbits,_ZN2at6native27unrolled_elementwise_kernelIZZZNS0_17rsqrt_kernel_cudaERNS_18TensorIteratorBaseEENKUlvE0_clEvENKUlvE2_clEvEUlN3c104HalfEE_St5arrayIPcLm2EELi4E23TrivialOffsetCalculatorILi1EjESD_NS0_6memory15LoadWithoutCastENSE_16StoreWithoutCastEEEviT_T0_T2_T3_T4_T5_,comdat
.Lfunc_end214:
	.size	_ZN2at6native27unrolled_elementwise_kernelIZZZNS0_17rsqrt_kernel_cudaERNS_18TensorIteratorBaseEENKUlvE0_clEvENKUlvE2_clEvEUlN3c104HalfEE_St5arrayIPcLm2EELi4E23TrivialOffsetCalculatorILi1EjESD_NS0_6memory15LoadWithoutCastENSE_16StoreWithoutCastEEEviT_T0_T2_T3_T4_T5_, .Lfunc_end214-_ZN2at6native27unrolled_elementwise_kernelIZZZNS0_17rsqrt_kernel_cudaERNS_18TensorIteratorBaseEENKUlvE0_clEvENKUlvE2_clEvEUlN3c104HalfEE_St5arrayIPcLm2EELi4E23TrivialOffsetCalculatorILi1EjESD_NS0_6memory15LoadWithoutCastENSE_16StoreWithoutCastEEEviT_T0_T2_T3_T4_T5_
                                        ; -- End function
	.set _ZN2at6native27unrolled_elementwise_kernelIZZZNS0_17rsqrt_kernel_cudaERNS_18TensorIteratorBaseEENKUlvE0_clEvENKUlvE2_clEvEUlN3c104HalfEE_St5arrayIPcLm2EELi4E23TrivialOffsetCalculatorILi1EjESD_NS0_6memory15LoadWithoutCastENSE_16StoreWithoutCastEEEviT_T0_T2_T3_T4_T5_.num_vgpr, 16
	.set _ZN2at6native27unrolled_elementwise_kernelIZZZNS0_17rsqrt_kernel_cudaERNS_18TensorIteratorBaseEENKUlvE0_clEvENKUlvE2_clEvEUlN3c104HalfEE_St5arrayIPcLm2EELi4E23TrivialOffsetCalculatorILi1EjESD_NS0_6memory15LoadWithoutCastENSE_16StoreWithoutCastEEEviT_T0_T2_T3_T4_T5_.num_agpr, 0
	.set _ZN2at6native27unrolled_elementwise_kernelIZZZNS0_17rsqrt_kernel_cudaERNS_18TensorIteratorBaseEENKUlvE0_clEvENKUlvE2_clEvEUlN3c104HalfEE_St5arrayIPcLm2EELi4E23TrivialOffsetCalculatorILi1EjESD_NS0_6memory15LoadWithoutCastENSE_16StoreWithoutCastEEEviT_T0_T2_T3_T4_T5_.numbered_sgpr, 10
	.set _ZN2at6native27unrolled_elementwise_kernelIZZZNS0_17rsqrt_kernel_cudaERNS_18TensorIteratorBaseEENKUlvE0_clEvENKUlvE2_clEvEUlN3c104HalfEE_St5arrayIPcLm2EELi4E23TrivialOffsetCalculatorILi1EjESD_NS0_6memory15LoadWithoutCastENSE_16StoreWithoutCastEEEviT_T0_T2_T3_T4_T5_.num_named_barrier, 0
	.set _ZN2at6native27unrolled_elementwise_kernelIZZZNS0_17rsqrt_kernel_cudaERNS_18TensorIteratorBaseEENKUlvE0_clEvENKUlvE2_clEvEUlN3c104HalfEE_St5arrayIPcLm2EELi4E23TrivialOffsetCalculatorILi1EjESD_NS0_6memory15LoadWithoutCastENSE_16StoreWithoutCastEEEviT_T0_T2_T3_T4_T5_.private_seg_size, 0
	.set _ZN2at6native27unrolled_elementwise_kernelIZZZNS0_17rsqrt_kernel_cudaERNS_18TensorIteratorBaseEENKUlvE0_clEvENKUlvE2_clEvEUlN3c104HalfEE_St5arrayIPcLm2EELi4E23TrivialOffsetCalculatorILi1EjESD_NS0_6memory15LoadWithoutCastENSE_16StoreWithoutCastEEEviT_T0_T2_T3_T4_T5_.uses_vcc, 1
	.set _ZN2at6native27unrolled_elementwise_kernelIZZZNS0_17rsqrt_kernel_cudaERNS_18TensorIteratorBaseEENKUlvE0_clEvENKUlvE2_clEvEUlN3c104HalfEE_St5arrayIPcLm2EELi4E23TrivialOffsetCalculatorILi1EjESD_NS0_6memory15LoadWithoutCastENSE_16StoreWithoutCastEEEviT_T0_T2_T3_T4_T5_.uses_flat_scratch, 0
	.set _ZN2at6native27unrolled_elementwise_kernelIZZZNS0_17rsqrt_kernel_cudaERNS_18TensorIteratorBaseEENKUlvE0_clEvENKUlvE2_clEvEUlN3c104HalfEE_St5arrayIPcLm2EELi4E23TrivialOffsetCalculatorILi1EjESD_NS0_6memory15LoadWithoutCastENSE_16StoreWithoutCastEEEviT_T0_T2_T3_T4_T5_.has_dyn_sized_stack, 0
	.set _ZN2at6native27unrolled_elementwise_kernelIZZZNS0_17rsqrt_kernel_cudaERNS_18TensorIteratorBaseEENKUlvE0_clEvENKUlvE2_clEvEUlN3c104HalfEE_St5arrayIPcLm2EELi4E23TrivialOffsetCalculatorILi1EjESD_NS0_6memory15LoadWithoutCastENSE_16StoreWithoutCastEEEviT_T0_T2_T3_T4_T5_.has_recursion, 0
	.set _ZN2at6native27unrolled_elementwise_kernelIZZZNS0_17rsqrt_kernel_cudaERNS_18TensorIteratorBaseEENKUlvE0_clEvENKUlvE2_clEvEUlN3c104HalfEE_St5arrayIPcLm2EELi4E23TrivialOffsetCalculatorILi1EjESD_NS0_6memory15LoadWithoutCastENSE_16StoreWithoutCastEEEviT_T0_T2_T3_T4_T5_.has_indirect_call, 0
	.section	.AMDGPU.csdata,"",@progbits
; Kernel info:
; codeLenInByte = 2228
; TotalNumSgprs: 16
; NumVgprs: 16
; NumAgprs: 0
; TotalNumVgprs: 16
; ScratchSize: 0
; MemoryBound: 0
; FloatMode: 240
; IeeeMode: 1
; LDSByteSize: 0 bytes/workgroup (compile time only)
; SGPRBlocks: 1
; VGPRBlocks: 1
; NumSGPRsForWavesPerEU: 16
; NumVGPRsForWavesPerEU: 16
; AccumOffset: 16
; Occupancy: 8
; WaveLimiterHint : 0
; COMPUTE_PGM_RSRC2:SCRATCH_EN: 0
; COMPUTE_PGM_RSRC2:USER_SGPR: 2
; COMPUTE_PGM_RSRC2:TRAP_HANDLER: 0
; COMPUTE_PGM_RSRC2:TGID_X_EN: 1
; COMPUTE_PGM_RSRC2:TGID_Y_EN: 0
; COMPUTE_PGM_RSRC2:TGID_Z_EN: 0
; COMPUTE_PGM_RSRC2:TIDIG_COMP_CNT: 0
; COMPUTE_PGM_RSRC3_GFX90A:ACCUM_OFFSET: 3
; COMPUTE_PGM_RSRC3_GFX90A:TG_SPLIT: 0
	.section	.text._ZN2at6native32elementwise_kernel_manual_unrollILi128ELi8EZNS0_22gpu_kernel_impl_nocastIZZZNS0_17rsqrt_kernel_cudaERNS_18TensorIteratorBaseEENKUlvE0_clEvENKUlvE2_clEvEUlN3c104HalfEE_EEvS4_RKT_EUlibE_EEviT1_,"axG",@progbits,_ZN2at6native32elementwise_kernel_manual_unrollILi128ELi8EZNS0_22gpu_kernel_impl_nocastIZZZNS0_17rsqrt_kernel_cudaERNS_18TensorIteratorBaseEENKUlvE0_clEvENKUlvE2_clEvEUlN3c104HalfEE_EEvS4_RKT_EUlibE_EEviT1_,comdat
	.globl	_ZN2at6native32elementwise_kernel_manual_unrollILi128ELi8EZNS0_22gpu_kernel_impl_nocastIZZZNS0_17rsqrt_kernel_cudaERNS_18TensorIteratorBaseEENKUlvE0_clEvENKUlvE2_clEvEUlN3c104HalfEE_EEvS4_RKT_EUlibE_EEviT1_ ; -- Begin function _ZN2at6native32elementwise_kernel_manual_unrollILi128ELi8EZNS0_22gpu_kernel_impl_nocastIZZZNS0_17rsqrt_kernel_cudaERNS_18TensorIteratorBaseEENKUlvE0_clEvENKUlvE2_clEvEUlN3c104HalfEE_EEvS4_RKT_EUlibE_EEviT1_
	.p2align	8
	.type	_ZN2at6native32elementwise_kernel_manual_unrollILi128ELi8EZNS0_22gpu_kernel_impl_nocastIZZZNS0_17rsqrt_kernel_cudaERNS_18TensorIteratorBaseEENKUlvE0_clEvENKUlvE2_clEvEUlN3c104HalfEE_EEvS4_RKT_EUlibE_EEviT1_,@function
_ZN2at6native32elementwise_kernel_manual_unrollILi128ELi8EZNS0_22gpu_kernel_impl_nocastIZZZNS0_17rsqrt_kernel_cudaERNS_18TensorIteratorBaseEENKUlvE0_clEvENKUlvE2_clEvEUlN3c104HalfEE_EEvS4_RKT_EUlibE_EEviT1_: ; @_ZN2at6native32elementwise_kernel_manual_unrollILi128ELi8EZNS0_22gpu_kernel_impl_nocastIZZZNS0_17rsqrt_kernel_cudaERNS_18TensorIteratorBaseEENKUlvE0_clEvENKUlvE2_clEvEUlN3c104HalfEE_EEvS4_RKT_EUlibE_EEviT1_
; %bb.0:
	s_load_dword s55, s[0:1], 0x0
	s_load_dword s33, s[0:1], 0x8
	s_add_u32 s34, s0, 8
	s_addc_u32 s35, s1, 0
	v_lshl_or_b32 v22, s2, 10, v0
	v_or_b32_e32 v32, 0x380, v22
	s_waitcnt lgkmcnt(0)
	s_add_i32 s54, s33, -1
	s_cmp_gt_u32 s54, 1
	v_cmp_le_i32_e32 vcc, s55, v32
	s_cselect_b64 s[36:37], -1, 0
	s_and_saveexec_b64 s[0:1], vcc
	s_xor_b64 s[38:39], exec, s[0:1]
	s_cbranch_execz .LBB215_8
; %bb.1:
	s_load_dwordx4 s[24:27], s[34:35], 0x4
	s_load_dwordx2 s[40:41], s[34:35], 0x14
	s_load_dwordx4 s[20:23], s[34:35], 0xc4
	s_load_dwordx4 s[16:19], s[34:35], 0x148
	s_cmp_lg_u32 s33, 0
	s_cselect_b64 s[46:47], -1, 0
	s_add_u32 s44, s34, 0xc4
	s_addc_u32 s45, s35, 0
	s_min_u32 s56, s54, 15
	s_cmp_gt_u32 s33, 1
	s_cselect_b64 s[42:43], -1, 0
	v_cmp_gt_i32_e32 vcc, s55, v22
	s_and_saveexec_b64 s[48:49], vcc
	s_cbranch_execz .LBB215_15
; %bb.2:
	s_andn2_b64 vcc, exec, s[36:37]
	s_cbranch_vccnz .LBB215_23
; %bb.3:
	s_andn2_b64 vcc, exec, s[46:47]
	s_cbranch_vccnz .LBB215_131
; %bb.4:
	s_add_i32 s58, s56, 1
	s_cmp_eq_u32 s54, 2
	s_cbranch_scc1 .LBB215_133
; %bb.5:
	s_and_b32 s57, s58, 28
	s_mov_b32 s59, 0
	v_mov_b32_e32 v0, 0
	v_mov_b32_e32 v2, 0
	s_mov_b64 s[50:51], s[34:35]
	s_mov_b64 s[52:53], s[44:45]
	v_mov_b32_e32 v4, v22
.LBB215_6:                              ; =>This Inner Loop Header: Depth=1
	s_load_dwordx8 s[8:15], s[50:51], 0x4
	s_load_dwordx4 s[28:31], s[50:51], 0x24
	s_load_dwordx8 s[0:7], s[52:53], 0x0
	s_add_u32 s50, s50, 48
	s_addc_u32 s51, s51, 0
	s_waitcnt lgkmcnt(0)
	v_mul_hi_u32 v1, s9, v4
	v_add_u32_e32 v1, v4, v1
	v_lshrrev_b32_e32 v1, s10, v1
	v_mul_lo_u32 v3, v1, s8
	v_mul_hi_u32 v5, s12, v1
	v_sub_u32_e32 v3, v4, v3
	v_add_u32_e32 v4, v1, v5
	v_lshrrev_b32_e32 v4, s13, v4
	v_mul_lo_u32 v6, v4, s11
	v_mul_hi_u32 v7, s15, v4
	v_sub_u32_e32 v1, v1, v6
	v_add_u32_e32 v6, v4, v7
	v_mul_lo_u32 v5, v3, s1
	v_mul_lo_u32 v3, v3, s0
	;; [unrolled: 1-line block ×4, first 2 shown]
	v_lshrrev_b32_e32 v6, s28, v6
	v_add3_u32 v0, v3, v0, v1
	v_mul_hi_u32 v3, s30, v6
	v_add3_u32 v1, v5, v2, v7
	v_mul_lo_u32 v2, v6, s14
	v_add_u32_e32 v3, v6, v3
	v_sub_u32_e32 v2, v4, v2
	v_lshrrev_b32_e32 v4, s31, v3
	s_add_i32 s59, s59, 4
	v_mul_lo_u32 v3, v4, s29
	s_add_u32 s52, s52, 32
	v_sub_u32_e32 v3, v6, v3
	s_addc_u32 s53, s53, 0
	v_mul_lo_u32 v5, v2, s4
	v_mul_lo_u32 v2, v2, s5
	;; [unrolled: 1-line block ×4, first 2 shown]
	s_cmp_lg_u32 s57, s59
	v_add3_u32 v2, v2, v1, v3
	v_add3_u32 v0, v5, v0, v6
	s_cbranch_scc1 .LBB215_6
; %bb.7:
	v_mov_b32_e32 v1, v2
	s_branch .LBB215_134
.LBB215_8:
	s_andn2_saveexec_b64 s[0:1], s[38:39]
	s_cbranch_execz .LBB215_228
.LBB215_9:
	v_cndmask_b32_e64 v0, 0, 1, s[36:37]
	v_cmp_ne_u32_e64 s[0:1], 1, v0
	s_andn2_b64 vcc, exec, s[36:37]
	s_cbranch_vccnz .LBB215_22
; %bb.10:
	s_cmp_lg_u32 s33, 0
	s_waitcnt lgkmcnt(0)
	s_mov_b32 s26, 0
	s_cbranch_scc0 .LBB215_25
; %bb.11:
	s_min_u32 s27, s54, 15
	s_add_i32 s27, s27, 1
	s_cmp_eq_u32 s54, 2
	s_cbranch_scc1 .LBB215_26
; %bb.12:
	s_and_b32 s26, s27, 28
	s_add_u32 s2, s34, 0xc4
	s_addc_u32 s3, s35, 0
	s_mov_b32 s28, 0
	v_mov_b32_e32 v0, 0
	v_mov_b32_e32 v6, 0
	s_mov_b64 s[24:25], s[34:35]
	v_mov_b32_e32 v2, v22
.LBB215_13:                             ; =>This Inner Loop Header: Depth=1
	s_load_dwordx8 s[12:19], s[24:25], 0x4
	s_load_dwordx4 s[20:23], s[24:25], 0x24
	s_load_dwordx8 s[4:11], s[2:3], 0x0
	s_add_u32 s24, s24, 48
	s_addc_u32 s25, s25, 0
	s_waitcnt lgkmcnt(0)
	v_mul_hi_u32 v1, s13, v2
	v_add_u32_e32 v1, v2, v1
	v_lshrrev_b32_e32 v1, s14, v1
	v_mul_lo_u32 v3, v1, s12
	v_mul_hi_u32 v4, s16, v1
	v_sub_u32_e32 v2, v2, v3
	v_add_u32_e32 v3, v1, v4
	v_lshrrev_b32_e32 v3, s17, v3
	v_mul_lo_u32 v5, v3, s15
	v_mul_hi_u32 v7, s19, v3
	v_sub_u32_e32 v1, v1, v5
	v_add_u32_e32 v5, v3, v7
	v_mul_lo_u32 v4, v2, s5
	v_mul_lo_u32 v2, v2, s4
	v_mul_lo_u32 v7, v1, s7
	v_mul_lo_u32 v1, v1, s6
	v_lshrrev_b32_e32 v5, s20, v5
	v_add3_u32 v0, v2, v0, v1
	v_add3_u32 v1, v4, v6, v7
	v_mul_lo_u32 v2, v5, s18
	v_mul_hi_u32 v4, s22, v5
	v_sub_u32_e32 v2, v3, v2
	v_add_u32_e32 v3, v5, v4
	v_mul_lo_u32 v4, v2, s8
	v_mul_lo_u32 v6, v2, s9
	v_lshrrev_b32_e32 v2, s23, v3
	s_add_i32 s28, s28, 4
	v_mul_lo_u32 v3, v2, s21
	s_add_u32 s2, s2, 32
	v_sub_u32_e32 v3, v5, v3
	s_addc_u32 s3, s3, 0
	v_mul_lo_u32 v5, v3, s10
	v_mul_lo_u32 v3, v3, s11
	s_cmp_lg_u32 s26, s28
	v_add3_u32 v6, v6, v1, v3
	v_add3_u32 v0, v4, v0, v5
	s_cbranch_scc1 .LBB215_13
; %bb.14:
	v_mov_b32_e32 v1, v6
	s_and_b32 s6, s27, 3
	s_cmp_eq_u32 s6, 0
	s_cbranch_scc0 .LBB215_27
	s_branch .LBB215_29
.LBB215_15:
	s_or_b64 exec, exec, s[48:49]
	v_cmp_gt_i32_e32 vcc, s55, v22
	s_and_saveexec_b64 s[48:49], vcc
	s_cbranch_execz .LBB215_141
.LBB215_16:
	s_andn2_b64 vcc, exec, s[36:37]
	s_cbranch_vccnz .LBB215_24
; %bb.17:
	s_andn2_b64 vcc, exec, s[46:47]
	s_cbranch_vccnz .LBB215_132
; %bb.18:
	s_add_i32 s58, s56, 1
	s_cmp_eq_u32 s54, 2
	s_cbranch_scc1 .LBB215_150
; %bb.19:
	s_and_b32 s57, s58, 28
	s_mov_b32 s59, 0
	v_mov_b32_e32 v0, 0
	v_mov_b32_e32 v2, 0
	s_mov_b64 s[50:51], s[34:35]
	s_mov_b64 s[52:53], s[44:45]
	v_mov_b32_e32 v4, v22
.LBB215_20:                             ; =>This Inner Loop Header: Depth=1
	s_load_dwordx8 s[8:15], s[50:51], 0x4
	s_load_dwordx4 s[28:31], s[50:51], 0x24
	s_load_dwordx8 s[0:7], s[52:53], 0x0
	s_add_u32 s50, s50, 48
	s_addc_u32 s51, s51, 0
	s_waitcnt lgkmcnt(0)
	v_mul_hi_u32 v1, s9, v4
	v_add_u32_e32 v1, v4, v1
	v_lshrrev_b32_e32 v1, s10, v1
	v_mul_lo_u32 v3, v1, s8
	v_mul_hi_u32 v5, s12, v1
	v_sub_u32_e32 v3, v4, v3
	v_add_u32_e32 v4, v1, v5
	v_lshrrev_b32_e32 v4, s13, v4
	v_mul_lo_u32 v6, v4, s11
	v_mul_hi_u32 v7, s15, v4
	v_sub_u32_e32 v1, v1, v6
	v_add_u32_e32 v6, v4, v7
	v_mul_lo_u32 v5, v3, s1
	v_mul_lo_u32 v3, v3, s0
	;; [unrolled: 1-line block ×4, first 2 shown]
	v_lshrrev_b32_e32 v6, s28, v6
	v_add3_u32 v0, v3, v0, v1
	v_mul_hi_u32 v3, s30, v6
	v_add3_u32 v1, v5, v2, v7
	v_mul_lo_u32 v2, v6, s14
	v_add_u32_e32 v3, v6, v3
	v_sub_u32_e32 v2, v4, v2
	v_lshrrev_b32_e32 v4, s31, v3
	s_add_i32 s59, s59, 4
	v_mul_lo_u32 v3, v4, s29
	s_add_u32 s52, s52, 32
	v_sub_u32_e32 v3, v6, v3
	s_addc_u32 s53, s53, 0
	v_mul_lo_u32 v5, v2, s4
	v_mul_lo_u32 v2, v2, s5
	;; [unrolled: 1-line block ×4, first 2 shown]
	s_cmp_eq_u32 s57, s59
	v_add3_u32 v2, v2, v1, v3
	v_add3_u32 v0, v5, v0, v6
	s_cbranch_scc0 .LBB215_20
; %bb.21:
	v_mov_b32_e32 v1, v2
	s_branch .LBB215_151
.LBB215_22:
                                        ; implicit-def: $vgpr6
                                        ; implicit-def: $vgpr0
	s_branch .LBB215_30
.LBB215_23:
                                        ; implicit-def: $vgpr2
                                        ; implicit-def: $vgpr0
	s_branch .LBB215_138
.LBB215_24:
                                        ; implicit-def: $vgpr2
                                        ; implicit-def: $vgpr0
	s_branch .LBB215_155
.LBB215_25:
	v_mov_b32_e32 v6, 0
	v_mov_b32_e32 v0, 0
	s_branch .LBB215_29
.LBB215_26:
	v_mov_b32_e32 v0, 0
                                        ; implicit-def: $vgpr6
	v_mov_b32_e32 v1, v0
	v_mov_b32_e32 v2, v22
	s_and_b32 s6, s27, 3
	s_cmp_eq_u32 s6, 0
	s_cbranch_scc1 .LBB215_29
.LBB215_27:
	s_lshl_b32 s2, s26, 3
	s_add_u32 s2, s34, s2
	s_addc_u32 s3, s35, 0
	s_add_u32 s2, s2, 0xc4
	s_addc_u32 s3, s3, 0
	s_mul_i32 s4, s26, 12
	s_add_u32 s4, s34, s4
	s_addc_u32 s5, s35, 0
.LBB215_28:                             ; =>This Inner Loop Header: Depth=1
	s_load_dwordx2 s[8:9], s[4:5], 0x4
	s_load_dword s7, s[4:5], 0xc
	s_load_dwordx2 s[10:11], s[2:3], 0x0
	v_mov_b32_e32 v4, v1
	s_add_u32 s4, s4, 12
	s_waitcnt lgkmcnt(0)
	v_mul_hi_u32 v1, s9, v2
	v_add_u32_e32 v1, v2, v1
	v_lshrrev_b32_e32 v1, s7, v1
	s_addc_u32 s5, s5, 0
	v_mul_lo_u32 v3, v1, s8
	s_add_u32 s2, s2, 8
	v_sub_u32_e32 v3, v2, v3
	s_addc_u32 s3, s3, 0
	s_add_i32 s6, s6, -1
	v_mov_b32_e32 v2, v1
	v_mad_u64_u32 v[6:7], s[8:9], v3, s11, v[4:5]
	v_mad_u64_u32 v[0:1], s[8:9], v3, s10, v[0:1]
	s_cmp_lg_u32 s6, 0
	v_mov_b32_e32 v1, v6
	s_cbranch_scc1 .LBB215_28
.LBB215_29:
	s_cbranch_execnz .LBB215_32
.LBB215_30:
	s_load_dwordx4 s[4:7], s[34:35], 0x4
	s_load_dwordx2 s[2:3], s[34:35], 0xc4
	s_cmp_lt_u32 s33, 2
	s_waitcnt lgkmcnt(0)
	v_mul_hi_u32 v0, s5, v22
	v_add_u32_e32 v0, v22, v0
	v_lshrrev_b32_e32 v1, s6, v0
	v_mul_lo_u32 v0, v1, s4
	v_sub_u32_e32 v0, v22, v0
	v_mul_lo_u32 v6, v0, s3
	v_mul_lo_u32 v0, v0, s2
	s_cbranch_scc1 .LBB215_32
; %bb.31:
	s_load_dwordx4 s[4:7], s[34:35], 0x10
	s_load_dwordx2 s[2:3], s[34:35], 0xcc
	s_waitcnt lgkmcnt(0)
	v_mul_hi_u32 v2, s5, v1
	v_add_u32_e32 v2, v1, v2
	v_lshrrev_b32_e32 v2, s6, v2
	v_mul_lo_u32 v2, v2, s4
	v_sub_u32_e32 v2, v1, v2
	v_mad_u64_u32 v[0:1], s[4:5], v2, s2, v[0:1]
	v_mad_u64_u32 v[6:7], s[2:3], v2, s3, v[6:7]
.LBB215_32:
	s_and_b64 vcc, exec, s[0:1]
	v_add_u32_e32 v4, 0x80, v22
	s_cbranch_vccnz .LBB215_38
; %bb.33:
	s_cmp_lg_u32 s33, 0
	s_waitcnt lgkmcnt(0)
	s_mov_b32 s26, 0
	s_cbranch_scc0 .LBB215_39
; %bb.34:
	s_min_u32 s27, s54, 15
	s_add_i32 s27, s27, 1
	s_cmp_eq_u32 s54, 2
	s_cbranch_scc1 .LBB215_40
; %bb.35:
	s_and_b32 s26, s27, 28
	s_add_u32 s2, s34, 0xc4
	s_addc_u32 s3, s35, 0
	s_mov_b32 s28, 0
	v_mov_b32_e32 v2, 0
	v_mov_b32_e32 v10, 0
	s_mov_b64 s[24:25], s[34:35]
	v_mov_b32_e32 v5, v4
.LBB215_36:                             ; =>This Inner Loop Header: Depth=1
	s_load_dwordx8 s[12:19], s[24:25], 0x4
	s_load_dwordx4 s[20:23], s[24:25], 0x24
	s_load_dwordx8 s[4:11], s[2:3], 0x0
	s_add_u32 s24, s24, 48
	s_addc_u32 s25, s25, 0
	s_waitcnt lgkmcnt(0)
	v_mul_hi_u32 v1, s13, v5
	v_add_u32_e32 v1, v5, v1
	v_lshrrev_b32_e32 v1, s14, v1
	v_mul_lo_u32 v3, v1, s12
	v_mul_hi_u32 v7, s16, v1
	v_sub_u32_e32 v3, v5, v3
	v_add_u32_e32 v5, v1, v7
	v_lshrrev_b32_e32 v5, s17, v5
	v_mul_lo_u32 v8, v5, s15
	v_mul_hi_u32 v9, s19, v5
	v_sub_u32_e32 v1, v1, v8
	v_add_u32_e32 v8, v5, v9
	v_mul_lo_u32 v7, v3, s5
	v_mul_lo_u32 v3, v3, s4
	;; [unrolled: 1-line block ×4, first 2 shown]
	v_lshrrev_b32_e32 v8, s20, v8
	v_add3_u32 v1, v3, v2, v1
	v_add3_u32 v2, v7, v10, v9
	v_mul_lo_u32 v3, v8, s18
	v_mul_hi_u32 v7, s22, v8
	v_sub_u32_e32 v3, v5, v3
	v_add_u32_e32 v5, v8, v7
	v_lshrrev_b32_e32 v5, s23, v5
	s_add_i32 s28, s28, 4
	v_mul_lo_u32 v9, v5, s21
	s_add_u32 s2, s2, 32
	v_sub_u32_e32 v8, v8, v9
	s_addc_u32 s3, s3, 0
	v_mul_lo_u32 v7, v3, s8
	v_mul_lo_u32 v3, v3, s9
	;; [unrolled: 1-line block ×4, first 2 shown]
	s_cmp_lg_u32 s26, s28
	v_add3_u32 v10, v3, v2, v8
	v_add3_u32 v2, v7, v1, v9
	s_cbranch_scc1 .LBB215_36
; %bb.37:
	v_mov_b32_e32 v1, v10
	s_and_b32 s6, s27, 3
	s_cmp_eq_u32 s6, 0
	s_cbranch_scc0 .LBB215_41
	s_branch .LBB215_43
.LBB215_38:
                                        ; implicit-def: $vgpr10
                                        ; implicit-def: $vgpr2
	s_branch .LBB215_44
.LBB215_39:
	v_mov_b32_e32 v10, 0
	v_mov_b32_e32 v2, 0
	s_branch .LBB215_43
.LBB215_40:
	v_mov_b32_e32 v2, 0
                                        ; implicit-def: $vgpr10
	v_mov_b32_e32 v1, v2
	v_mov_b32_e32 v5, v4
	s_and_b32 s6, s27, 3
	s_cmp_eq_u32 s6, 0
	s_cbranch_scc1 .LBB215_43
.LBB215_41:
	s_lshl_b32 s2, s26, 3
	s_add_u32 s2, s34, s2
	s_addc_u32 s3, s35, 0
	s_add_u32 s2, s2, 0xc4
	s_addc_u32 s3, s3, 0
	s_mul_i32 s4, s26, 12
	s_add_u32 s4, s34, s4
	s_addc_u32 s5, s35, 0
.LBB215_42:                             ; =>This Inner Loop Header: Depth=1
	s_load_dwordx2 s[8:9], s[4:5], 0x4
	s_load_dword s7, s[4:5], 0xc
	s_load_dwordx2 s[10:11], s[2:3], 0x0
	v_mov_b32_e32 v8, v1
	s_add_u32 s4, s4, 12
	s_waitcnt lgkmcnt(0)
	v_mul_hi_u32 v1, s9, v5
	v_add_u32_e32 v1, v5, v1
	v_lshrrev_b32_e32 v1, s7, v1
	s_addc_u32 s5, s5, 0
	v_mul_lo_u32 v3, v1, s8
	s_add_u32 s2, s2, 8
	v_sub_u32_e32 v3, v5, v3
	s_addc_u32 s3, s3, 0
	s_add_i32 s6, s6, -1
	v_mad_u64_u32 v[10:11], s[8:9], v3, s11, v[8:9]
	s_cmp_lg_u32 s6, 0
	v_mov_b32_e32 v5, v1
	v_mad_u64_u32 v[2:3], s[8:9], v3, s10, v[2:3]
	v_mov_b32_e32 v1, v10
	s_cbranch_scc1 .LBB215_42
.LBB215_43:
	s_cbranch_execnz .LBB215_46
.LBB215_44:
	s_load_dwordx4 s[4:7], s[34:35], 0x4
	s_load_dwordx2 s[2:3], s[34:35], 0xc4
	s_cmp_lt_u32 s33, 2
	s_waitcnt lgkmcnt(0)
	v_mul_hi_u32 v1, s5, v4
	v_add_u32_e32 v1, v4, v1
	v_lshrrev_b32_e32 v1, s6, v1
	v_mul_lo_u32 v2, v1, s4
	v_sub_u32_e32 v2, v4, v2
	v_mul_lo_u32 v10, v2, s3
	v_mul_lo_u32 v2, v2, s2
	s_cbranch_scc1 .LBB215_46
; %bb.45:
	s_load_dwordx4 s[4:7], s[34:35], 0x10
	s_load_dwordx2 s[2:3], s[34:35], 0xcc
	s_waitcnt lgkmcnt(0)
	v_mul_hi_u32 v3, s5, v1
	v_add_u32_e32 v3, v1, v3
	v_lshrrev_b32_e32 v3, s6, v3
	v_mul_lo_u32 v3, v3, s4
	v_sub_u32_e32 v1, v1, v3
	v_mad_u64_u32 v[2:3], s[4:5], v1, s2, v[2:3]
	v_mad_u64_u32 v[10:11], s[2:3], v1, s3, v[10:11]
.LBB215_46:
	s_and_b64 vcc, exec, s[0:1]
	v_add_u32_e32 v3, 0x100, v22
	s_cbranch_vccnz .LBB215_52
; %bb.47:
	s_cmp_lg_u32 s33, 0
	s_waitcnt lgkmcnt(0)
	s_mov_b32 s26, 0
	s_cbranch_scc0 .LBB215_53
; %bb.48:
	s_min_u32 s27, s54, 15
	s_add_i32 s27, s27, 1
	s_cmp_eq_u32 s54, 2
	s_cbranch_scc1 .LBB215_54
; %bb.49:
	s_and_b32 s26, s27, 28
	s_add_u32 s2, s34, 0xc4
	s_addc_u32 s3, s35, 0
	s_mov_b32 s28, 0
	v_mov_b32_e32 v4, 0
	v_mov_b32_e32 v14, 0
	s_mov_b64 s[24:25], s[34:35]
	v_mov_b32_e32 v7, v3
.LBB215_50:                             ; =>This Inner Loop Header: Depth=1
	s_load_dwordx8 s[12:19], s[24:25], 0x4
	s_load_dwordx4 s[20:23], s[24:25], 0x24
	s_load_dwordx8 s[4:11], s[2:3], 0x0
	s_add_u32 s24, s24, 48
	s_addc_u32 s25, s25, 0
	s_waitcnt lgkmcnt(0)
	v_mul_hi_u32 v1, s13, v7
	v_add_u32_e32 v1, v7, v1
	v_lshrrev_b32_e32 v1, s14, v1
	v_mul_lo_u32 v5, v1, s12
	v_mul_hi_u32 v8, s16, v1
	v_sub_u32_e32 v5, v7, v5
	v_add_u32_e32 v7, v1, v8
	v_lshrrev_b32_e32 v7, s17, v7
	v_mul_lo_u32 v9, v7, s15
	v_mul_hi_u32 v11, s19, v7
	v_sub_u32_e32 v1, v1, v9
	v_add_u32_e32 v9, v7, v11
	v_mul_lo_u32 v8, v5, s5
	v_mul_lo_u32 v5, v5, s4
	;; [unrolled: 1-line block ×4, first 2 shown]
	v_lshrrev_b32_e32 v9, s20, v9
	v_add3_u32 v1, v5, v4, v1
	v_add3_u32 v4, v8, v14, v11
	v_mul_lo_u32 v5, v9, s18
	v_mul_hi_u32 v8, s22, v9
	v_sub_u32_e32 v5, v7, v5
	v_add_u32_e32 v7, v9, v8
	v_lshrrev_b32_e32 v7, s23, v7
	s_add_i32 s28, s28, 4
	v_mul_lo_u32 v11, v7, s21
	s_add_u32 s2, s2, 32
	v_sub_u32_e32 v9, v9, v11
	s_addc_u32 s3, s3, 0
	v_mul_lo_u32 v8, v5, s8
	v_mul_lo_u32 v5, v5, s9
	;; [unrolled: 1-line block ×4, first 2 shown]
	s_cmp_lg_u32 s26, s28
	v_add3_u32 v14, v5, v4, v9
	v_add3_u32 v4, v8, v1, v11
	s_cbranch_scc1 .LBB215_50
; %bb.51:
	v_mov_b32_e32 v1, v14
	s_and_b32 s6, s27, 3
	s_cmp_eq_u32 s6, 0
	s_cbranch_scc0 .LBB215_55
	s_branch .LBB215_57
.LBB215_52:
                                        ; implicit-def: $vgpr14
                                        ; implicit-def: $vgpr4
	s_branch .LBB215_58
.LBB215_53:
	v_mov_b32_e32 v14, 0
	v_mov_b32_e32 v4, 0
	s_branch .LBB215_57
.LBB215_54:
	v_mov_b32_e32 v4, 0
                                        ; implicit-def: $vgpr14
	v_mov_b32_e32 v1, v4
	v_mov_b32_e32 v7, v3
	s_and_b32 s6, s27, 3
	s_cmp_eq_u32 s6, 0
	s_cbranch_scc1 .LBB215_57
.LBB215_55:
	s_lshl_b32 s2, s26, 3
	s_add_u32 s2, s34, s2
	s_addc_u32 s3, s35, 0
	s_add_u32 s2, s2, 0xc4
	s_addc_u32 s3, s3, 0
	s_mul_i32 s4, s26, 12
	s_add_u32 s4, s34, s4
	s_addc_u32 s5, s35, 0
.LBB215_56:                             ; =>This Inner Loop Header: Depth=1
	s_load_dwordx2 s[8:9], s[4:5], 0x4
	s_load_dword s7, s[4:5], 0xc
	s_load_dwordx2 s[10:11], s[2:3], 0x0
	v_mov_b32_e32 v8, v1
	s_add_u32 s4, s4, 12
	s_waitcnt lgkmcnt(0)
	v_mul_hi_u32 v1, s9, v7
	v_add_u32_e32 v1, v7, v1
	v_lshrrev_b32_e32 v1, s7, v1
	s_addc_u32 s5, s5, 0
	v_mul_lo_u32 v5, v1, s8
	s_add_u32 s2, s2, 8
	v_sub_u32_e32 v5, v7, v5
	s_addc_u32 s3, s3, 0
	s_add_i32 s6, s6, -1
	v_mad_u64_u32 v[14:15], s[8:9], v5, s11, v[8:9]
	s_cmp_lg_u32 s6, 0
	v_mov_b32_e32 v7, v1
	v_mad_u64_u32 v[4:5], s[8:9], v5, s10, v[4:5]
	v_mov_b32_e32 v1, v14
	s_cbranch_scc1 .LBB215_56
.LBB215_57:
	s_cbranch_execnz .LBB215_60
.LBB215_58:
	s_load_dwordx4 s[4:7], s[34:35], 0x4
	s_load_dwordx2 s[2:3], s[34:35], 0xc4
	s_cmp_lt_u32 s33, 2
	s_waitcnt lgkmcnt(0)
	v_mul_hi_u32 v1, s5, v3
	v_add_u32_e32 v1, v3, v1
	v_lshrrev_b32_e32 v1, s6, v1
	v_mul_lo_u32 v4, v1, s4
	v_sub_u32_e32 v3, v3, v4
	v_mul_lo_u32 v14, v3, s3
	v_mul_lo_u32 v4, v3, s2
	s_cbranch_scc1 .LBB215_60
; %bb.59:
	s_load_dwordx4 s[4:7], s[34:35], 0x10
	s_load_dwordx2 s[2:3], s[34:35], 0xcc
	s_waitcnt lgkmcnt(0)
	v_mul_hi_u32 v3, s5, v1
	v_add_u32_e32 v3, v1, v3
	v_lshrrev_b32_e32 v3, s6, v3
	v_mul_lo_u32 v3, v3, s4
	v_sub_u32_e32 v1, v1, v3
	v_mad_u64_u32 v[4:5], s[4:5], v1, s2, v[4:5]
	v_mad_u64_u32 v[14:15], s[2:3], v1, s3, v[14:15]
.LBB215_60:
	s_and_b64 vcc, exec, s[0:1]
	v_add_u32_e32 v3, 0x180, v22
	s_cbranch_vccnz .LBB215_66
; %bb.61:
	s_cmp_lg_u32 s33, 0
	s_waitcnt lgkmcnt(0)
	s_mov_b32 s26, 0
	s_cbranch_scc0 .LBB215_67
; %bb.62:
	s_min_u32 s27, s54, 15
	s_add_i32 s27, s27, 1
	s_cmp_eq_u32 s54, 2
	s_cbranch_scc1 .LBB215_68
; %bb.63:
	s_and_b32 s26, s27, 28
	s_add_u32 s2, s34, 0xc4
	s_addc_u32 s3, s35, 0
	s_mov_b32 s28, 0
	v_mov_b32_e32 v8, 0
	v_mov_b32_e32 v16, 0
	s_mov_b64 s[24:25], s[34:35]
	v_mov_b32_e32 v5, v3
.LBB215_64:                             ; =>This Inner Loop Header: Depth=1
	s_load_dwordx8 s[12:19], s[24:25], 0x4
	s_load_dwordx4 s[20:23], s[24:25], 0x24
	s_load_dwordx8 s[4:11], s[2:3], 0x0
	s_add_u32 s24, s24, 48
	s_addc_u32 s25, s25, 0
	s_waitcnt lgkmcnt(0)
	v_mul_hi_u32 v1, s13, v5
	v_add_u32_e32 v1, v5, v1
	v_lshrrev_b32_e32 v1, s14, v1
	v_mul_lo_u32 v7, v1, s12
	v_mul_hi_u32 v9, s16, v1
	v_sub_u32_e32 v5, v5, v7
	v_add_u32_e32 v7, v1, v9
	v_lshrrev_b32_e32 v7, s17, v7
	v_mul_lo_u32 v11, v7, s15
	v_mul_hi_u32 v12, s19, v7
	v_sub_u32_e32 v1, v1, v11
	v_add_u32_e32 v11, v7, v12
	v_mul_lo_u32 v9, v5, s5
	v_mul_lo_u32 v5, v5, s4
	v_mul_lo_u32 v12, v1, s7
	v_mul_lo_u32 v1, v1, s6
	v_lshrrev_b32_e32 v11, s20, v11
	v_add3_u32 v1, v5, v8, v1
	v_add3_u32 v8, v9, v16, v12
	v_mul_lo_u32 v5, v11, s18
	v_mul_hi_u32 v9, s22, v11
	v_sub_u32_e32 v5, v7, v5
	v_add_u32_e32 v7, v11, v9
	v_mul_lo_u32 v9, v5, s8
	v_mul_lo_u32 v12, v5, s9
	v_lshrrev_b32_e32 v5, s23, v7
	s_add_i32 s28, s28, 4
	v_mul_lo_u32 v7, v5, s21
	s_add_u32 s2, s2, 32
	v_sub_u32_e32 v7, v11, v7
	s_addc_u32 s3, s3, 0
	v_mul_lo_u32 v11, v7, s10
	v_mul_lo_u32 v7, v7, s11
	s_cmp_lg_u32 s26, s28
	v_add3_u32 v16, v12, v8, v7
	v_add3_u32 v8, v9, v1, v11
	s_cbranch_scc1 .LBB215_64
; %bb.65:
	v_mov_b32_e32 v1, v16
	s_and_b32 s6, s27, 3
	s_cmp_eq_u32 s6, 0
	s_cbranch_scc0 .LBB215_69
	s_branch .LBB215_71
.LBB215_66:
                                        ; implicit-def: $vgpr16
                                        ; implicit-def: $vgpr8
	s_branch .LBB215_72
.LBB215_67:
	v_mov_b32_e32 v16, 0
	v_mov_b32_e32 v8, 0
	s_branch .LBB215_71
.LBB215_68:
	v_mov_b32_e32 v8, 0
                                        ; implicit-def: $vgpr16
	v_mov_b32_e32 v1, v8
	v_mov_b32_e32 v5, v3
	s_and_b32 s6, s27, 3
	s_cmp_eq_u32 s6, 0
	s_cbranch_scc1 .LBB215_71
.LBB215_69:
	s_lshl_b32 s2, s26, 3
	s_add_u32 s2, s34, s2
	s_addc_u32 s3, s35, 0
	s_add_u32 s2, s2, 0xc4
	s_addc_u32 s3, s3, 0
	s_mul_i32 s4, s26, 12
	s_add_u32 s4, s34, s4
	s_addc_u32 s5, s35, 0
.LBB215_70:                             ; =>This Inner Loop Header: Depth=1
	s_load_dwordx2 s[8:9], s[4:5], 0x4
	s_load_dword s7, s[4:5], 0xc
	s_load_dwordx2 s[10:11], s[2:3], 0x0
	v_mov_b32_e32 v12, v1
	s_add_u32 s4, s4, 12
	s_waitcnt lgkmcnt(0)
	v_mul_hi_u32 v1, s9, v5
	v_add_u32_e32 v1, v5, v1
	v_lshrrev_b32_e32 v1, s7, v1
	s_addc_u32 s5, s5, 0
	v_mul_lo_u32 v7, v1, s8
	s_add_u32 s2, s2, 8
	v_sub_u32_e32 v7, v5, v7
	s_addc_u32 s3, s3, 0
	s_add_i32 s6, s6, -1
	v_mad_u64_u32 v[16:17], s[8:9], v7, s11, v[12:13]
	s_cmp_lg_u32 s6, 0
	v_mov_b32_e32 v5, v1
	v_mad_u64_u32 v[8:9], s[8:9], v7, s10, v[8:9]
	v_mov_b32_e32 v1, v16
	s_cbranch_scc1 .LBB215_70
.LBB215_71:
	s_cbranch_execnz .LBB215_74
.LBB215_72:
	s_load_dwordx4 s[4:7], s[34:35], 0x4
	s_load_dwordx2 s[2:3], s[34:35], 0xc4
	s_cmp_lt_u32 s33, 2
	s_waitcnt lgkmcnt(0)
	v_mul_hi_u32 v1, s5, v3
	v_add_u32_e32 v1, v3, v1
	v_lshrrev_b32_e32 v1, s6, v1
	v_mul_lo_u32 v5, v1, s4
	v_sub_u32_e32 v3, v3, v5
	v_mul_lo_u32 v16, v3, s3
	v_mul_lo_u32 v8, v3, s2
	s_cbranch_scc1 .LBB215_74
; %bb.73:
	s_load_dwordx4 s[4:7], s[34:35], 0x10
	s_load_dwordx2 s[2:3], s[34:35], 0xcc
	s_waitcnt lgkmcnt(0)
	v_mul_hi_u32 v3, s5, v1
	v_add_u32_e32 v3, v1, v3
	v_lshrrev_b32_e32 v3, s6, v3
	v_mul_lo_u32 v3, v3, s4
	v_sub_u32_e32 v1, v1, v3
	v_mad_u64_u32 v[8:9], s[4:5], v1, s2, v[8:9]
	v_mad_u64_u32 v[16:17], s[2:3], v1, s3, v[16:17]
.LBB215_74:
	s_and_b64 vcc, exec, s[0:1]
	v_add_u32_e32 v3, 0x200, v22
	s_cbranch_vccnz .LBB215_80
; %bb.75:
	s_cmp_lg_u32 s33, 0
	s_waitcnt lgkmcnt(0)
	s_mov_b32 s26, 0
	s_cbranch_scc0 .LBB215_81
; %bb.76:
	s_min_u32 s27, s54, 15
	s_add_i32 s27, s27, 1
	s_cmp_eq_u32 s54, 2
	s_cbranch_scc1 .LBB215_82
; %bb.77:
	s_and_b32 s26, s27, 28
	s_add_u32 s2, s34, 0xc4
	s_addc_u32 s3, s35, 0
	s_mov_b32 s28, 0
	v_mov_b32_e32 v12, 0
	v_mov_b32_e32 v20, 0
	s_mov_b64 s[24:25], s[34:35]
	v_mov_b32_e32 v5, v3
.LBB215_78:                             ; =>This Inner Loop Header: Depth=1
	s_load_dwordx8 s[12:19], s[24:25], 0x4
	s_load_dwordx4 s[20:23], s[24:25], 0x24
	s_load_dwordx8 s[4:11], s[2:3], 0x0
	s_add_u32 s24, s24, 48
	s_addc_u32 s25, s25, 0
	s_waitcnt lgkmcnt(0)
	v_mul_hi_u32 v1, s13, v5
	v_add_u32_e32 v1, v5, v1
	v_lshrrev_b32_e32 v1, s14, v1
	v_mul_lo_u32 v7, v1, s12
	v_mul_hi_u32 v9, s16, v1
	v_sub_u32_e32 v5, v5, v7
	v_add_u32_e32 v7, v1, v9
	v_lshrrev_b32_e32 v7, s17, v7
	v_mul_lo_u32 v11, v7, s15
	v_mul_hi_u32 v13, s19, v7
	v_sub_u32_e32 v1, v1, v11
	v_add_u32_e32 v11, v7, v13
	v_mul_lo_u32 v9, v5, s5
	v_mul_lo_u32 v5, v5, s4
	;; [unrolled: 1-line block ×4, first 2 shown]
	v_lshrrev_b32_e32 v11, s20, v11
	v_add3_u32 v1, v5, v12, v1
	v_mul_lo_u32 v5, v11, s18
	v_mul_hi_u32 v12, s22, v11
	v_sub_u32_e32 v5, v7, v5
	v_add_u32_e32 v7, v11, v12
	v_add3_u32 v9, v9, v20, v13
	v_mul_lo_u32 v12, v5, s8
	v_mul_lo_u32 v13, v5, s9
	v_lshrrev_b32_e32 v5, s23, v7
	s_add_i32 s28, s28, 4
	v_mul_lo_u32 v7, v5, s21
	s_add_u32 s2, s2, 32
	v_sub_u32_e32 v7, v11, v7
	s_addc_u32 s3, s3, 0
	v_mul_lo_u32 v11, v7, s10
	v_mul_lo_u32 v7, v7, s11
	s_cmp_lg_u32 s26, s28
	v_add3_u32 v20, v13, v9, v7
	v_add3_u32 v12, v12, v1, v11
	s_cbranch_scc1 .LBB215_78
; %bb.79:
	v_mov_b32_e32 v1, v20
	s_and_b32 s6, s27, 3
	s_cmp_eq_u32 s6, 0
	s_cbranch_scc0 .LBB215_83
	s_branch .LBB215_85
.LBB215_80:
                                        ; implicit-def: $vgpr20
                                        ; implicit-def: $vgpr12
	s_branch .LBB215_86
.LBB215_81:
	v_mov_b32_e32 v20, 0
	v_mov_b32_e32 v12, 0
	s_branch .LBB215_85
.LBB215_82:
	v_mov_b32_e32 v12, 0
                                        ; implicit-def: $vgpr20
	v_mov_b32_e32 v1, v12
	v_mov_b32_e32 v5, v3
	s_and_b32 s6, s27, 3
	s_cmp_eq_u32 s6, 0
	s_cbranch_scc1 .LBB215_85
.LBB215_83:
	s_lshl_b32 s2, s26, 3
	s_add_u32 s2, s34, s2
	s_addc_u32 s3, s35, 0
	s_add_u32 s2, s2, 0xc4
	s_addc_u32 s3, s3, 0
	s_mul_i32 s4, s26, 12
	s_add_u32 s4, s34, s4
	s_addc_u32 s5, s35, 0
.LBB215_84:                             ; =>This Inner Loop Header: Depth=1
	s_load_dwordx2 s[8:9], s[4:5], 0x4
	s_load_dword s7, s[4:5], 0xc
	s_load_dwordx2 s[10:11], s[2:3], 0x0
	v_mov_b32_e32 v18, v1
	s_add_u32 s4, s4, 12
	s_waitcnt lgkmcnt(0)
	v_mul_hi_u32 v1, s9, v5
	v_add_u32_e32 v1, v5, v1
	v_lshrrev_b32_e32 v1, s7, v1
	s_addc_u32 s5, s5, 0
	v_mul_lo_u32 v7, v1, s8
	s_add_u32 s2, s2, 8
	v_sub_u32_e32 v7, v5, v7
	s_addc_u32 s3, s3, 0
	s_add_i32 s6, s6, -1
	v_mad_u64_u32 v[20:21], s[8:9], v7, s11, v[18:19]
	s_cmp_lg_u32 s6, 0
	v_mov_b32_e32 v5, v1
	v_mad_u64_u32 v[12:13], s[8:9], v7, s10, v[12:13]
	v_mov_b32_e32 v1, v20
	s_cbranch_scc1 .LBB215_84
.LBB215_85:
	s_cbranch_execnz .LBB215_88
.LBB215_86:
	s_load_dwordx4 s[4:7], s[34:35], 0x4
	s_load_dwordx2 s[2:3], s[34:35], 0xc4
	s_cmp_lt_u32 s33, 2
	s_waitcnt lgkmcnt(0)
	v_mul_hi_u32 v1, s5, v3
	v_add_u32_e32 v1, v3, v1
	v_lshrrev_b32_e32 v1, s6, v1
	v_mul_lo_u32 v5, v1, s4
	v_sub_u32_e32 v3, v3, v5
	v_mul_lo_u32 v20, v3, s3
	v_mul_lo_u32 v12, v3, s2
	s_cbranch_scc1 .LBB215_88
; %bb.87:
	s_load_dwordx4 s[4:7], s[34:35], 0x10
	s_load_dwordx2 s[2:3], s[34:35], 0xcc
	s_waitcnt lgkmcnt(0)
	v_mul_hi_u32 v3, s5, v1
	v_add_u32_e32 v3, v1, v3
	v_lshrrev_b32_e32 v3, s6, v3
	v_mul_lo_u32 v3, v3, s4
	v_sub_u32_e32 v1, v1, v3
	v_mad_u64_u32 v[12:13], s[4:5], v1, s2, v[12:13]
	v_mad_u64_u32 v[20:21], s[2:3], v1, s3, v[20:21]
.LBB215_88:
	s_and_b64 vcc, exec, s[0:1]
	v_add_u32_e32 v3, 0x280, v22
	s_cbranch_vccnz .LBB215_94
; %bb.89:
	s_cmp_lg_u32 s33, 0
	s_waitcnt lgkmcnt(0)
	s_mov_b32 s26, 0
	s_cbranch_scc0 .LBB215_95
; %bb.90:
	s_min_u32 s27, s54, 15
	s_add_i32 s27, s27, 1
	s_cmp_eq_u32 s54, 2
	s_cbranch_scc1 .LBB215_96
; %bb.91:
	s_and_b32 s26, s27, 28
	s_add_u32 s2, s34, 0xc4
	s_addc_u32 s3, s35, 0
	s_mov_b32 s28, 0
	v_mov_b32_e32 v18, 0
	v_mov_b32_e32 v24, 0
	s_mov_b64 s[24:25], s[34:35]
	v_mov_b32_e32 v5, v3
.LBB215_92:                             ; =>This Inner Loop Header: Depth=1
	s_load_dwordx8 s[12:19], s[24:25], 0x4
	s_load_dwordx4 s[20:23], s[24:25], 0x24
	s_load_dwordx8 s[4:11], s[2:3], 0x0
	s_add_u32 s24, s24, 48
	s_addc_u32 s25, s25, 0
	s_waitcnt lgkmcnt(0)
	v_mul_hi_u32 v1, s13, v5
	v_add_u32_e32 v1, v5, v1
	v_lshrrev_b32_e32 v1, s14, v1
	v_mul_lo_u32 v7, v1, s12
	v_mul_hi_u32 v9, s16, v1
	v_sub_u32_e32 v5, v5, v7
	v_add_u32_e32 v7, v1, v9
	v_lshrrev_b32_e32 v7, s17, v7
	v_mul_lo_u32 v11, v7, s15
	v_mul_hi_u32 v13, s19, v7
	v_sub_u32_e32 v1, v1, v11
	v_add_u32_e32 v11, v7, v13
	v_mul_lo_u32 v9, v5, s5
	v_mul_lo_u32 v5, v5, s4
	;; [unrolled: 1-line block ×4, first 2 shown]
	v_lshrrev_b32_e32 v11, s20, v11
	v_add3_u32 v1, v5, v18, v1
	v_add3_u32 v9, v9, v24, v13
	v_mul_lo_u32 v5, v11, s18
	v_mul_hi_u32 v13, s22, v11
	v_sub_u32_e32 v5, v7, v5
	v_add_u32_e32 v7, v11, v13
	v_mul_lo_u32 v13, v5, s8
	v_mul_lo_u32 v15, v5, s9
	v_lshrrev_b32_e32 v5, s23, v7
	s_add_i32 s28, s28, 4
	v_mul_lo_u32 v7, v5, s21
	s_add_u32 s2, s2, 32
	v_sub_u32_e32 v7, v11, v7
	s_addc_u32 s3, s3, 0
	v_mul_lo_u32 v11, v7, s10
	v_mul_lo_u32 v7, v7, s11
	s_cmp_lg_u32 s26, s28
	v_add3_u32 v24, v15, v9, v7
	v_add3_u32 v18, v13, v1, v11
	s_cbranch_scc1 .LBB215_92
; %bb.93:
	v_mov_b32_e32 v1, v24
	s_and_b32 s6, s27, 3
	s_cmp_eq_u32 s6, 0
	s_cbranch_scc0 .LBB215_97
	s_branch .LBB215_99
.LBB215_94:
                                        ; implicit-def: $vgpr24
                                        ; implicit-def: $vgpr18
	s_branch .LBB215_100
.LBB215_95:
	v_mov_b32_e32 v24, 0
	v_mov_b32_e32 v18, 0
	s_branch .LBB215_99
.LBB215_96:
	v_mov_b32_e32 v18, 0
                                        ; implicit-def: $vgpr24
	v_mov_b32_e32 v1, v18
	v_mov_b32_e32 v5, v3
	s_and_b32 s6, s27, 3
	s_cmp_eq_u32 s6, 0
	s_cbranch_scc1 .LBB215_99
.LBB215_97:
	s_lshl_b32 s2, s26, 3
	s_add_u32 s2, s34, s2
	s_addc_u32 s3, s35, 0
	s_add_u32 s2, s2, 0xc4
	s_addc_u32 s3, s3, 0
	s_mul_i32 s4, s26, 12
	s_add_u32 s4, s34, s4
	s_addc_u32 s5, s35, 0
.LBB215_98:                             ; =>This Inner Loop Header: Depth=1
	s_load_dwordx2 s[8:9], s[4:5], 0x4
	s_load_dword s7, s[4:5], 0xc
	s_load_dwordx2 s[10:11], s[2:3], 0x0
	v_mov_b32_e32 v24, v1
	s_add_u32 s4, s4, 12
	s_waitcnt lgkmcnt(0)
	v_mul_hi_u32 v1, s9, v5
	v_add_u32_e32 v1, v5, v1
	v_lshrrev_b32_e32 v1, s7, v1
	s_addc_u32 s5, s5, 0
	v_mul_lo_u32 v7, v1, s8
	s_add_u32 s2, s2, 8
	v_sub_u32_e32 v7, v5, v7
	s_addc_u32 s3, s3, 0
	s_add_i32 s6, s6, -1
	v_mad_u64_u32 v[24:25], s[8:9], v7, s11, v[24:25]
	s_cmp_lg_u32 s6, 0
	v_mov_b32_e32 v5, v1
	v_mad_u64_u32 v[18:19], s[8:9], v7, s10, v[18:19]
	v_mov_b32_e32 v1, v24
	s_cbranch_scc1 .LBB215_98
.LBB215_99:
	s_cbranch_execnz .LBB215_102
.LBB215_100:
	s_load_dwordx4 s[4:7], s[34:35], 0x4
	s_load_dwordx2 s[2:3], s[34:35], 0xc4
	s_cmp_lt_u32 s33, 2
	s_waitcnt lgkmcnt(0)
	v_mul_hi_u32 v1, s5, v3
	v_add_u32_e32 v1, v3, v1
	v_lshrrev_b32_e32 v1, s6, v1
	v_mul_lo_u32 v5, v1, s4
	v_sub_u32_e32 v3, v3, v5
	v_mul_lo_u32 v24, v3, s3
	v_mul_lo_u32 v18, v3, s2
	s_cbranch_scc1 .LBB215_102
; %bb.101:
	s_load_dwordx4 s[4:7], s[34:35], 0x10
	s_load_dwordx2 s[2:3], s[34:35], 0xcc
	s_waitcnt lgkmcnt(0)
	v_mul_hi_u32 v3, s5, v1
	v_add_u32_e32 v3, v1, v3
	v_lshrrev_b32_e32 v3, s6, v3
	v_mul_lo_u32 v3, v3, s4
	v_sub_u32_e32 v1, v1, v3
	v_mad_u64_u32 v[18:19], s[4:5], v1, s2, v[18:19]
	v_mad_u64_u32 v[24:25], s[2:3], v1, s3, v[24:25]
.LBB215_102:
	s_and_b64 vcc, exec, s[0:1]
	v_add_u32_e32 v3, 0x300, v22
	s_cbranch_vccnz .LBB215_108
; %bb.103:
	s_cmp_lg_u32 s33, 0
	s_waitcnt lgkmcnt(0)
	s_mov_b32 s26, 0
	s_cbranch_scc0 .LBB215_109
; %bb.104:
	s_min_u32 s27, s54, 15
	s_add_i32 s27, s27, 1
	s_cmp_eq_u32 s54, 2
	s_cbranch_scc1 .LBB215_110
; %bb.105:
	s_and_b32 s26, s27, 28
	s_add_u32 s2, s34, 0xc4
	s_addc_u32 s3, s35, 0
	s_mov_b32 s28, 0
	v_mov_b32_e32 v22, 0
	v_mov_b32_e32 v26, 0
	s_mov_b64 s[24:25], s[34:35]
	v_mov_b32_e32 v5, v3
.LBB215_106:                            ; =>This Inner Loop Header: Depth=1
	s_load_dwordx8 s[12:19], s[24:25], 0x4
	s_load_dwordx4 s[20:23], s[24:25], 0x24
	s_load_dwordx8 s[4:11], s[2:3], 0x0
	s_add_u32 s24, s24, 48
	s_addc_u32 s25, s25, 0
	s_waitcnt lgkmcnt(0)
	v_mul_hi_u32 v1, s13, v5
	v_add_u32_e32 v1, v5, v1
	v_lshrrev_b32_e32 v1, s14, v1
	v_mul_lo_u32 v7, v1, s12
	v_mul_hi_u32 v9, s16, v1
	v_sub_u32_e32 v5, v5, v7
	v_add_u32_e32 v7, v1, v9
	v_lshrrev_b32_e32 v7, s17, v7
	v_mul_lo_u32 v11, v7, s15
	v_mul_hi_u32 v13, s19, v7
	v_sub_u32_e32 v1, v1, v11
	v_add_u32_e32 v11, v7, v13
	v_mul_lo_u32 v9, v5, s5
	v_mul_lo_u32 v5, v5, s4
	;; [unrolled: 1-line block ×4, first 2 shown]
	v_lshrrev_b32_e32 v11, s20, v11
	v_add3_u32 v1, v5, v22, v1
	v_add3_u32 v9, v9, v26, v13
	v_mul_lo_u32 v5, v11, s18
	v_mul_hi_u32 v13, s22, v11
	v_sub_u32_e32 v5, v7, v5
	v_add_u32_e32 v7, v11, v13
	v_mul_lo_u32 v13, v5, s8
	v_mul_lo_u32 v15, v5, s9
	v_lshrrev_b32_e32 v5, s23, v7
	s_add_i32 s28, s28, 4
	v_mul_lo_u32 v7, v5, s21
	s_add_u32 s2, s2, 32
	v_sub_u32_e32 v7, v11, v7
	s_addc_u32 s3, s3, 0
	v_mul_lo_u32 v11, v7, s10
	v_mul_lo_u32 v7, v7, s11
	s_cmp_lg_u32 s26, s28
	v_add3_u32 v26, v15, v9, v7
	v_add3_u32 v22, v13, v1, v11
	s_cbranch_scc1 .LBB215_106
; %bb.107:
	v_mov_b32_e32 v1, v26
	s_and_b32 s6, s27, 3
	s_cmp_eq_u32 s6, 0
	s_cbranch_scc0 .LBB215_111
	s_branch .LBB215_113
.LBB215_108:
                                        ; implicit-def: $vgpr26
                                        ; implicit-def: $vgpr22
	s_branch .LBB215_114
.LBB215_109:
	v_mov_b32_e32 v26, 0
	v_mov_b32_e32 v22, 0
	s_branch .LBB215_113
.LBB215_110:
	v_mov_b32_e32 v22, 0
                                        ; implicit-def: $vgpr26
	v_mov_b32_e32 v1, v22
	v_mov_b32_e32 v5, v3
	s_and_b32 s6, s27, 3
	s_cmp_eq_u32 s6, 0
	s_cbranch_scc1 .LBB215_113
.LBB215_111:
	s_lshl_b32 s2, s26, 3
	s_add_u32 s2, s34, s2
	s_addc_u32 s3, s35, 0
	s_add_u32 s2, s2, 0xc4
	s_addc_u32 s3, s3, 0
	s_mul_i32 s4, s26, 12
	s_add_u32 s4, s34, s4
	s_addc_u32 s5, s35, 0
.LBB215_112:                            ; =>This Inner Loop Header: Depth=1
	s_load_dwordx2 s[8:9], s[4:5], 0x4
	s_load_dword s7, s[4:5], 0xc
	s_load_dwordx2 s[10:11], s[2:3], 0x0
	v_mov_b32_e32 v26, v1
	s_add_u32 s4, s4, 12
	s_waitcnt lgkmcnt(0)
	v_mul_hi_u32 v1, s9, v5
	v_add_u32_e32 v1, v5, v1
	v_lshrrev_b32_e32 v1, s7, v1
	s_addc_u32 s5, s5, 0
	v_mul_lo_u32 v7, v1, s8
	s_add_u32 s2, s2, 8
	v_sub_u32_e32 v7, v5, v7
	s_addc_u32 s3, s3, 0
	s_add_i32 s6, s6, -1
	v_mad_u64_u32 v[26:27], s[8:9], v7, s11, v[26:27]
	s_cmp_lg_u32 s6, 0
	v_mov_b32_e32 v5, v1
	v_mad_u64_u32 v[22:23], s[8:9], v7, s10, v[22:23]
	v_mov_b32_e32 v1, v26
	s_cbranch_scc1 .LBB215_112
.LBB215_113:
	s_cbranch_execnz .LBB215_116
.LBB215_114:
	s_load_dwordx4 s[4:7], s[34:35], 0x4
	s_load_dwordx2 s[2:3], s[34:35], 0xc4
	s_cmp_lt_u32 s33, 2
	s_waitcnt lgkmcnt(0)
	v_mul_hi_u32 v1, s5, v3
	v_add_u32_e32 v1, v3, v1
	v_lshrrev_b32_e32 v1, s6, v1
	v_mul_lo_u32 v5, v1, s4
	v_sub_u32_e32 v3, v3, v5
	v_mul_lo_u32 v26, v3, s3
	v_mul_lo_u32 v22, v3, s2
	s_cbranch_scc1 .LBB215_116
; %bb.115:
	s_load_dwordx4 s[4:7], s[34:35], 0x10
	s_load_dwordx2 s[2:3], s[34:35], 0xcc
	s_waitcnt lgkmcnt(0)
	v_mul_hi_u32 v3, s5, v1
	v_add_u32_e32 v3, v1, v3
	v_lshrrev_b32_e32 v3, s6, v3
	v_mul_lo_u32 v3, v3, s4
	v_sub_u32_e32 v1, v1, v3
	v_mad_u64_u32 v[22:23], s[4:5], v1, s2, v[22:23]
	v_mad_u64_u32 v[26:27], s[2:3], v1, s3, v[26:27]
.LBB215_116:
	s_and_b64 vcc, exec, s[0:1]
	s_cbranch_vccnz .LBB215_122
; %bb.117:
	s_cmp_lg_u32 s33, 0
	s_waitcnt lgkmcnt(0)
	s_mov_b32 s24, 0
	s_cbranch_scc0 .LBB215_123
; %bb.118:
	s_min_u32 s25, s54, 15
	s_add_i32 s25, s25, 1
	s_cmp_eq_u32 s54, 2
	s_cbranch_scc1 .LBB215_124
; %bb.119:
	s_and_b32 s24, s25, 28
	s_add_u32 s20, s34, 0xc4
	s_addc_u32 s21, s35, 0
	s_mov_b32 s26, 0
	v_mov_b32_e32 v28, 0
	v_mov_b32_e32 v30, 0
	s_mov_b64 s[22:23], s[34:35]
	v_mov_b32_e32 v3, v32
.LBB215_120:                            ; =>This Inner Loop Header: Depth=1
	s_load_dwordx8 s[8:15], s[22:23], 0x4
	s_load_dwordx4 s[16:19], s[22:23], 0x24
	s_load_dwordx8 s[0:7], s[20:21], 0x0
	s_add_u32 s22, s22, 48
	s_addc_u32 s23, s23, 0
	s_waitcnt lgkmcnt(0)
	v_mul_hi_u32 v1, s9, v3
	v_add_u32_e32 v1, v3, v1
	v_lshrrev_b32_e32 v1, s10, v1
	v_mul_lo_u32 v5, v1, s8
	v_mul_hi_u32 v7, s12, v1
	v_sub_u32_e32 v3, v3, v5
	v_add_u32_e32 v5, v1, v7
	v_lshrrev_b32_e32 v5, s13, v5
	v_mul_lo_u32 v9, v5, s11
	v_mul_hi_u32 v11, s15, v5
	v_sub_u32_e32 v1, v1, v9
	v_add_u32_e32 v9, v5, v11
	v_mul_lo_u32 v7, v3, s1
	v_mul_lo_u32 v3, v3, s0
	;; [unrolled: 1-line block ×4, first 2 shown]
	v_lshrrev_b32_e32 v9, s16, v9
	v_add3_u32 v1, v3, v28, v1
	v_add3_u32 v7, v7, v30, v11
	v_mul_lo_u32 v3, v9, s14
	v_mul_hi_u32 v11, s18, v9
	v_sub_u32_e32 v3, v5, v3
	v_add_u32_e32 v5, v9, v11
	v_mul_lo_u32 v11, v3, s4
	v_mul_lo_u32 v13, v3, s5
	v_lshrrev_b32_e32 v3, s19, v5
	s_add_i32 s26, s26, 4
	v_mul_lo_u32 v5, v3, s17
	s_add_u32 s20, s20, 32
	v_sub_u32_e32 v5, v9, v5
	s_addc_u32 s21, s21, 0
	v_mul_lo_u32 v9, v5, s6
	v_mul_lo_u32 v5, v5, s7
	s_cmp_lg_u32 s24, s26
	v_add3_u32 v30, v13, v7, v5
	v_add3_u32 v28, v11, v1, v9
	s_cbranch_scc1 .LBB215_120
; %bb.121:
	v_mov_b32_e32 v1, v30
	s_and_b32 s4, s25, 3
	s_cmp_eq_u32 s4, 0
	s_cbranch_scc0 .LBB215_125
	s_branch .LBB215_127
.LBB215_122:
                                        ; implicit-def: $vgpr30
                                        ; implicit-def: $vgpr28
	s_branch .LBB215_128
.LBB215_123:
	v_mov_b32_e32 v30, 0
	v_mov_b32_e32 v28, 0
	s_branch .LBB215_127
.LBB215_124:
	v_mov_b32_e32 v28, 0
                                        ; implicit-def: $vgpr30
	v_mov_b32_e32 v1, v28
	v_mov_b32_e32 v3, v32
	s_and_b32 s4, s25, 3
	s_cmp_eq_u32 s4, 0
	s_cbranch_scc1 .LBB215_127
.LBB215_125:
	s_lshl_b32 s0, s24, 3
	s_add_u32 s0, s34, s0
	s_addc_u32 s1, s35, 0
	s_add_u32 s0, s0, 0xc4
	s_addc_u32 s1, s1, 0
	s_mul_i32 s2, s24, 12
	s_add_u32 s2, s34, s2
	s_addc_u32 s3, s35, 0
.LBB215_126:                            ; =>This Inner Loop Header: Depth=1
	s_load_dwordx2 s[6:7], s[2:3], 0x4
	s_load_dword s5, s[2:3], 0xc
	s_load_dwordx2 s[8:9], s[0:1], 0x0
	v_mov_b32_e32 v30, v1
	s_add_u32 s2, s2, 12
	s_waitcnt lgkmcnt(0)
	v_mul_hi_u32 v1, s7, v3
	v_add_u32_e32 v1, v3, v1
	v_lshrrev_b32_e32 v1, s5, v1
	s_addc_u32 s3, s3, 0
	v_mul_lo_u32 v5, v1, s6
	s_add_u32 s0, s0, 8
	v_sub_u32_e32 v5, v3, v5
	s_addc_u32 s1, s1, 0
	s_add_i32 s4, s4, -1
	v_mad_u64_u32 v[30:31], s[6:7], v5, s9, v[30:31]
	s_cmp_lg_u32 s4, 0
	v_mov_b32_e32 v3, v1
	v_mad_u64_u32 v[28:29], s[6:7], v5, s8, v[28:29]
	v_mov_b32_e32 v1, v30
	s_cbranch_scc1 .LBB215_126
.LBB215_127:
	s_cbranch_execnz .LBB215_130
.LBB215_128:
	s_load_dwordx4 s[0:3], s[34:35], 0x4
	s_load_dwordx2 s[4:5], s[34:35], 0xc4
	s_cmp_lt_u32 s33, 2
	s_waitcnt lgkmcnt(0)
	v_mul_hi_u32 v1, s1, v32
	v_add_u32_e32 v1, v32, v1
	v_lshrrev_b32_e32 v1, s2, v1
	v_mul_lo_u32 v3, v1, s0
	v_sub_u32_e32 v3, v32, v3
	v_mul_lo_u32 v30, v3, s5
	v_mul_lo_u32 v28, v3, s4
	s_cbranch_scc1 .LBB215_130
; %bb.129:
	s_load_dwordx4 s[0:3], s[34:35], 0x10
	s_load_dwordx2 s[4:5], s[34:35], 0xcc
	s_waitcnt lgkmcnt(0)
	v_mul_hi_u32 v3, s1, v1
	v_add_u32_e32 v3, v1, v3
	v_lshrrev_b32_e32 v3, s2, v3
	v_mul_lo_u32 v3, v3, s0
	v_sub_u32_e32 v1, v1, v3
	v_mad_u64_u32 v[28:29], s[0:1], v1, s4, v[28:29]
	v_mad_u64_u32 v[30:31], s[0:1], v1, s5, v[30:31]
.LBB215_130:
	s_load_dwordx4 s[4:7], s[34:35], 0x148
	s_mov_b32 s2, 0
	s_mov_b32 s3, 0x3fd80000
	v_mov_b32_e32 v5, 0x180
	s_movk_i32 s10, 0x1ff
	s_waitcnt lgkmcnt(0)
	global_load_ushort v7, v6, s[6:7]
	global_load_ushort v9, v10, s[6:7]
	;; [unrolled: 1-line block ×5, first 2 shown]
	s_movk_i32 s9, 0xffe
	v_mov_b32_e32 v1, 0x7c00
	v_mov_b32_e32 v3, 0x7e00
	s_movk_i32 s8, 0x40f
	s_mov_b32 s11, 0x8000
	s_waitcnt vmcnt(4)
	v_cvt_f32_f16_e32 v6, v7
	s_waitcnt vmcnt(3)
	v_cvt_f32_f16_e32 v7, v9
	;; [unrolled: 2-line block ×4, first 2 shown]
	v_cvt_f64_f32_e32 v[10:11], v6
	v_cvt_f64_f32_e32 v[14:15], v7
	v_rsq_f64_e32 v[32:33], v[10:11]
	v_cvt_f64_f32_e32 v[16:17], v9
	v_rsq_f64_e32 v[34:35], v[14:15]
	v_rsq_f64_e32 v[6:7], v[16:17]
	v_mul_f64 v[10:11], v[32:33], -v[10:11]
	v_fma_f64 v[10:11], v[10:11], v[32:33], 1.0
	v_mul_f64 v[14:15], v[34:35], -v[14:15]
	v_mul_f64 v[16:17], v[6:7], -v[16:17]
	v_fma_f64 v[14:15], v[14:15], v[34:35], 1.0
	v_mul_f64 v[20:21], v[32:33], v[10:11]
	v_fma_f64 v[10:11], v[10:11], s[2:3], 0.5
	v_fma_f64 v[16:17], v[16:17], v[6:7], 1.0
	v_mul_f64 v[36:37], v[34:35], v[14:15]
	v_fma_f64 v[14:15], v[14:15], s[2:3], 0.5
	v_fma_f64 v[10:11], v[20:21], v[10:11], v[32:33]
	v_cmp_class_f64_e32 vcc, v[32:33], v5
	v_mul_f64 v[38:39], v[6:7], v[16:17]
	v_fma_f64 v[16:17], v[16:17], s[2:3], 0.5
	v_fma_f64 v[14:15], v[36:37], v[14:15], v[34:35]
	v_cndmask_b32_e32 v9, v32, v10, vcc
	v_cndmask_b32_e32 v10, v33, v11, vcc
	v_cmp_class_f64_e32 vcc, v[34:35], v5
	v_fma_f64 v[16:17], v[38:39], v[16:17], v[6:7]
	s_nop 0
	v_cndmask_b32_e32 v11, v34, v14, vcc
	v_cndmask_b32_e32 v14, v35, v15, vcc
	v_cmp_class_f64_e32 vcc, v[6:7], v5
	v_and_or_b32 v11, v14, s10, v11
	v_lshrrev_b32_e32 v20, 8, v14
	v_cndmask_b32_e32 v15, v6, v16, vcc
	v_and_or_b32 v6, v10, s10, v9
	v_cmp_ne_u32_e64 s[0:1], 0, v6
	v_lshrrev_b32_e32 v9, 8, v10
	v_bfe_u32 v16, v10, 20, 11
	v_cndmask_b32_e64 v6, 0, 1, s[0:1]
	v_cmp_ne_u32_e64 s[0:1], 0, v11
	v_bfe_u32 v21, v14, 20, 11
	v_sub_u32_e32 v23, 0x3f1, v16
	v_cndmask_b32_e64 v11, 0, 1, s[0:1]
	v_and_or_b32 v6, v9, s9, v6
	v_sub_u32_e32 v25, 0x3f1, v21
	v_med3_i32 v9, v23, 0, 13
	v_and_or_b32 v11, v20, s9, v11
	v_or_b32_e32 v23, 0x1000, v6
	v_add_u32_e32 v16, 0xfffffc10, v16
	v_med3_i32 v20, v25, 0, 13
	v_cmp_ne_u32_e64 s[0:1], 0, v6
	v_or_b32_e32 v27, 0x1000, v11
	v_lshrrev_b32_e32 v31, v9, v23
	v_add_u32_e32 v21, 0xfffffc10, v21
	v_lshl_or_b32 v25, v16, 12, v6
	v_cndmask_b32_e64 v6, v1, v3, s[0:1]
	v_cmp_ne_u32_e64 s[0:1], 0, v11
	v_lshrrev_b32_e32 v32, v20, v27
	v_lshlrev_b32_e32 v9, v9, v31
	v_lshl_or_b32 v29, v21, 12, v11
	v_cndmask_b32_e64 v11, v1, v3, s[0:1]
	v_lshlrev_b32_e32 v20, v20, v32
	v_cmp_ne_u32_e64 s[0:1], v9, v23
	v_lshrrev_b32_e32 v10, 16, v10
	v_cndmask_b32_e32 v7, v7, v17, vcc
	v_cndmask_b32_e64 v9, 0, 1, s[0:1]
	v_cmp_ne_u32_e64 s[0:1], v20, v27
	v_or_b32_e32 v9, v31, v9
	v_lshrrev_b32_e32 v14, 16, v14
	v_cndmask_b32_e64 v20, 0, 1, s[0:1]
	v_cmp_gt_i32_e64 s[0:1], 1, v16
	v_or_b32_e32 v20, v32, v20
	s_nop 0
	v_cndmask_b32_e64 v9, v25, v9, s[0:1]
	v_cmp_gt_i32_e64 s[0:1], 1, v21
	v_and_b32_e32 v23, 7, v9
	v_lshrrev_b32_e32 v9, 2, v9
	v_cndmask_b32_e64 v20, v29, v20, s[0:1]
	v_cmp_lt_i32_e64 s[0:1], 5, v23
	v_and_b32_e32 v25, 7, v20
	v_lshrrev_b32_e32 v20, 2, v20
	v_cndmask_b32_e64 v27, 0, 1, s[0:1]
	v_cmp_eq_u32_e64 s[0:1], 3, v23
	s_nop 1
	v_cndmask_b32_e64 v23, 0, 1, s[0:1]
	v_cmp_lt_i32_e64 s[0:1], 5, v25
	v_or_b32_e32 v23, v23, v27
	v_add_u32_e32 v9, v9, v23
	v_cndmask_b32_e64 v29, 0, 1, s[0:1]
	v_cmp_eq_u32_e64 s[0:1], 3, v25
	s_nop 1
	v_cndmask_b32_e64 v25, 0, 1, s[0:1]
	v_or_b32_e32 v25, v25, v29
	v_cmp_gt_i32_e64 s[0:1], 31, v16
	v_add_u32_e32 v20, v20, v25
	s_nop 0
	v_cndmask_b32_e64 v9, v1, v9, s[0:1]
	v_cmp_gt_i32_e64 s[0:1], 31, v21
	s_nop 1
	v_cndmask_b32_e64 v20, v1, v20, s[0:1]
	v_cmp_eq_u32_e64 s[0:1], s8, v16
	s_nop 1
	v_cndmask_b32_e64 v6, v9, v6, s[0:1]
	v_cmp_eq_u32_e64 s[0:1], s8, v21
	v_and_or_b32 v6, v10, s11, v6
	v_and_or_b32 v10, v7, s10, v15
	v_cndmask_b32_e64 v9, v20, v11, s[0:1]
	v_cmp_ne_u32_e32 vcc, 0, v10
	v_and_or_b32 v9, v14, s11, v9
	v_lshrrev_b32_e32 v11, 8, v7
	v_cndmask_b32_e64 v10, 0, 1, vcc
	v_bfe_u32 v14, v7, 20, 11
	v_and_or_b32 v10, v11, s9, v10
	v_sub_u32_e32 v15, 0x3f1, v14
	v_or_b32_e32 v11, 0x1000, v10
	v_med3_i32 v15, v15, 0, 13
	v_lshrrev_b32_e32 v16, v15, v11
	v_lshlrev_b32_e32 v15, v15, v16
	v_cmp_ne_u32_e32 vcc, v15, v11
	v_lshrrev_b32_e32 v7, 16, v7
	s_nop 0
	v_cndmask_b32_e64 v11, 0, 1, vcc
	v_or_b32_e32 v11, v16, v11
	v_add_u32_e32 v16, 0xfffffc10, v14
	v_lshl_or_b32 v14, v16, 12, v10
	v_cmp_gt_i32_e32 vcc, 1, v16
	s_nop 1
	v_cndmask_b32_e32 v11, v14, v11, vcc
	v_and_b32_e32 v14, 7, v11
	v_cmp_lt_i32_e32 vcc, 5, v14
	v_lshrrev_b32_e32 v11, 2, v11
	s_nop 0
	v_cndmask_b32_e64 v15, 0, 1, vcc
	v_cmp_eq_u32_e32 vcc, 3, v14
	s_nop 1
	v_cndmask_b32_e64 v14, 0, 1, vcc
	v_or_b32_e32 v14, v14, v15
	v_add_u32_e32 v11, v11, v14
	v_cmp_gt_i32_e32 vcc, 31, v16
	s_nop 1
	v_cndmask_b32_e32 v17, v1, v11, vcc
	v_cmp_ne_u32_e32 vcc, 0, v10
	v_cvt_f64_f32_e32 v[10:11], v13
	v_rsq_f64_e32 v[14:15], v[10:11]
	v_cndmask_b32_e32 v20, v1, v3, vcc
	v_cmp_eq_u32_e32 vcc, s8, v16
	v_mul_f64 v[10:11], v[14:15], -v[10:11]
	s_nop 0
	v_cndmask_b32_e32 v13, v17, v20, vcc
	v_and_or_b32 v7, v7, s11, v13
	global_load_ushort v13, v24, s[6:7]
	v_fma_f64 v[10:11], v[10:11], v[14:15], 1.0
	v_mul_f64 v[16:17], v[14:15], v[10:11]
	v_fma_f64 v[10:11], v[10:11], s[2:3], 0.5
	v_fma_f64 v[10:11], v[16:17], v[10:11], v[14:15]
	v_cmp_class_f64_e32 vcc, v[14:15], v5
	s_nop 1
	v_cndmask_b32_e32 v10, v14, v10, vcc
	v_cndmask_b32_e32 v11, v15, v11, vcc
	v_and_or_b32 v10, v11, s10, v10
	v_cmp_ne_u32_e32 vcc, 0, v10
	v_lshrrev_b32_e32 v14, 8, v11
	v_bfe_u32 v15, v11, 20, 11
	v_cndmask_b32_e64 v10, 0, 1, vcc
	v_and_or_b32 v10, v14, s9, v10
	v_sub_u32_e32 v16, 0x3f1, v15
	v_or_b32_e32 v14, 0x1000, v10
	v_med3_i32 v16, v16, 0, 13
	v_lshrrev_b32_e32 v17, v16, v14
	v_lshlrev_b32_e32 v16, v16, v17
	v_cmp_ne_u32_e32 vcc, v16, v14
	v_add_u32_e32 v20, 0xfffffc10, v15
	v_lshl_or_b32 v15, v20, 12, v10
	v_cndmask_b32_e64 v14, 0, 1, vcc
	v_or_b32_e32 v14, v17, v14
	v_cmp_gt_i32_e32 vcc, 1, v20
	v_lshrrev_b32_e32 v11, 16, v11
	s_nop 0
	v_cndmask_b32_e32 v14, v15, v14, vcc
	v_and_b32_e32 v15, 7, v14
	v_cmp_lt_i32_e32 vcc, 5, v15
	v_lshrrev_b32_e32 v14, 2, v14
	s_nop 0
	v_cndmask_b32_e64 v16, 0, 1, vcc
	v_cmp_eq_u32_e32 vcc, 3, v15
	s_nop 1
	v_cndmask_b32_e64 v15, 0, 1, vcc
	v_or_b32_e32 v15, v15, v16
	v_add_u32_e32 v14, v14, v15
	v_cmp_gt_i32_e32 vcc, 31, v20
	s_waitcnt vmcnt(1)
	v_cvt_f32_f16_e32 v15, v19
	v_cndmask_b32_e32 v19, v1, v14, vcc
	v_cmp_ne_u32_e32 vcc, 0, v10
	v_cvt_f64_f32_e32 v[14:15], v15
	v_rsq_f64_e32 v[16:17], v[14:15]
	v_cndmask_b32_e32 v10, v1, v3, vcc
	v_cmp_eq_u32_e32 vcc, s8, v20
	v_mul_f64 v[14:15], v[16:17], -v[14:15]
	s_nop 0
	v_cndmask_b32_e32 v10, v19, v10, vcc
	v_and_or_b32 v10, v11, s11, v10
	global_load_ushort v11, v26, s[6:7]
	v_fma_f64 v[14:15], v[14:15], v[16:17], 1.0
	v_mul_f64 v[20:21], v[16:17], v[14:15]
	v_fma_f64 v[14:15], v[14:15], s[2:3], 0.5
	v_fma_f64 v[14:15], v[20:21], v[14:15], v[16:17]
	v_cmp_class_f64_e32 vcc, v[16:17], v5
	s_waitcnt vmcnt(1)
	v_cvt_f32_f16_e32 v13, v13
	v_cndmask_b32_e32 v14, v16, v14, vcc
	v_cndmask_b32_e32 v19, v17, v15, vcc
	v_and_or_b32 v14, v19, s10, v14
	v_cmp_ne_u32_e32 vcc, 0, v14
	v_lshrrev_b32_e32 v15, 8, v19
	v_bfe_u32 v16, v19, 20, 11
	v_cndmask_b32_e64 v14, 0, 1, vcc
	v_and_or_b32 v14, v15, s9, v14
	v_sub_u32_e32 v17, 0x3f1, v16
	v_or_b32_e32 v15, 0x1000, v14
	v_med3_i32 v17, v17, 0, 13
	v_lshrrev_b32_e32 v20, v17, v15
	v_lshlrev_b32_e32 v17, v17, v20
	v_cmp_ne_u32_e32 vcc, v17, v15
	v_add_u32_e32 v16, 0xfffffc10, v16
	v_lshl_or_b32 v17, v16, 12, v14
	v_cndmask_b32_e64 v15, 0, 1, vcc
	v_or_b32_e32 v15, v20, v15
	v_cmp_gt_i32_e32 vcc, 1, v16
	s_waitcnt vmcnt(0)
	v_cvt_f32_f16_e32 v11, v11
	v_cndmask_b32_e32 v15, v17, v15, vcc
	v_and_b32_e32 v17, 7, v15
	v_cmp_lt_i32_e32 vcc, 5, v17
	v_lshrrev_b32_e32 v15, 2, v15
	s_nop 0
	v_cndmask_b32_e64 v20, 0, 1, vcc
	v_cmp_eq_u32_e32 vcc, 3, v17
	s_nop 1
	v_cndmask_b32_e64 v17, 0, 1, vcc
	v_or_b32_e32 v17, v17, v20
	v_add_u32_e32 v15, v15, v17
	v_cmp_gt_i32_e32 vcc, 31, v16
	s_nop 1
	v_cndmask_b32_e32 v15, v1, v15, vcc
	v_cmp_ne_u32_e32 vcc, 0, v14
	s_nop 1
	v_cndmask_b32_e32 v14, v1, v3, vcc
	v_cmp_eq_u32_e32 vcc, s8, v16
	s_nop 1
	v_cndmask_b32_e32 v20, v15, v14, vcc
	v_cvt_f64_f32_e32 v[14:15], v13
	v_lshrrev_b32_e32 v13, 16, v19
	global_load_ushort v19, v30, s[6:7]
	v_rsq_f64_e32 v[16:17], v[14:15]
	v_and_or_b32 v13, v13, s11, v20
	v_mul_f64 v[14:15], v[16:17], -v[14:15]
	v_fma_f64 v[14:15], v[14:15], v[16:17], 1.0
	v_mul_f64 v[20:21], v[16:17], v[14:15]
	v_fma_f64 v[14:15], v[14:15], s[2:3], 0.5
	v_fma_f64 v[14:15], v[20:21], v[14:15], v[16:17]
	v_cmp_class_f64_e32 vcc, v[16:17], v5
	s_nop 1
	v_cndmask_b32_e32 v14, v16, v14, vcc
	v_cndmask_b32_e32 v20, v17, v15, vcc
	v_and_or_b32 v14, v20, s10, v14
	v_cmp_ne_u32_e32 vcc, 0, v14
	v_lshrrev_b32_e32 v15, 8, v20
	v_bfe_u32 v16, v20, 20, 11
	v_cndmask_b32_e64 v14, 0, 1, vcc
	v_and_or_b32 v14, v15, s9, v14
	v_sub_u32_e32 v17, 0x3f1, v16
	v_or_b32_e32 v15, 0x1000, v14
	v_med3_i32 v17, v17, 0, 13
	v_lshrrev_b32_e32 v21, v17, v15
	v_lshlrev_b32_e32 v17, v17, v21
	v_cmp_ne_u32_e32 vcc, v17, v15
	v_lshrrev_b32_e32 v20, 16, v20
	s_nop 0
	v_cndmask_b32_e64 v15, 0, 1, vcc
	v_or_b32_e32 v15, v21, v15
	v_add_u32_e32 v21, 0xfffffc10, v16
	v_lshl_or_b32 v16, v21, 12, v14
	v_cmp_gt_i32_e32 vcc, 1, v21
	s_nop 1
	v_cndmask_b32_e32 v15, v16, v15, vcc
	v_and_b32_e32 v16, 7, v15
	v_cmp_lt_i32_e32 vcc, 5, v16
	v_lshrrev_b32_e32 v15, 2, v15
	s_nop 0
	v_cndmask_b32_e64 v17, 0, 1, vcc
	v_cmp_eq_u32_e32 vcc, 3, v16
	s_nop 1
	v_cndmask_b32_e64 v16, 0, 1, vcc
	v_or_b32_e32 v16, v16, v17
	v_add_u32_e32 v15, v15, v16
	v_cmp_gt_i32_e32 vcc, 31, v21
	s_nop 1
	v_cndmask_b32_e32 v23, v1, v15, vcc
	v_cmp_ne_u32_e32 vcc, 0, v14
	v_cvt_f64_f32_e32 v[14:15], v11
	v_rsq_f64_e32 v[16:17], v[14:15]
	v_cndmask_b32_e32 v24, v1, v3, vcc
	v_cmp_eq_u32_e32 vcc, s8, v21
	v_mul_f64 v[14:15], v[16:17], -v[14:15]
	s_nop 0
	v_cndmask_b32_e32 v11, v23, v24, vcc
	v_fma_f64 v[14:15], v[14:15], v[16:17], 1.0
	v_and_or_b32 v11, v20, s11, v11
	v_mul_f64 v[20:21], v[16:17], v[14:15]
	v_fma_f64 v[14:15], v[14:15], s[2:3], 0.5
	v_fma_f64 v[14:15], v[20:21], v[14:15], v[16:17]
	v_cmp_class_f64_e32 vcc, v[16:17], v5
	s_nop 1
	v_cndmask_b32_e32 v14, v16, v14, vcc
	v_cndmask_b32_e32 v20, v17, v15, vcc
	v_and_or_b32 v14, v20, s10, v14
	v_cmp_ne_u32_e32 vcc, 0, v14
	v_lshrrev_b32_e32 v15, 8, v20
	v_bfe_u32 v16, v20, 20, 11
	v_cndmask_b32_e64 v14, 0, 1, vcc
	v_and_or_b32 v14, v15, s9, v14
	v_sub_u32_e32 v17, 0x3f1, v16
	v_or_b32_e32 v15, 0x1000, v14
	v_med3_i32 v17, v17, 0, 13
	v_lshrrev_b32_e32 v21, v17, v15
	v_lshlrev_b32_e32 v17, v17, v21
	v_cmp_ne_u32_e32 vcc, v17, v15
	v_lshrrev_b32_e32 v20, 16, v20
	s_nop 0
	v_cndmask_b32_e64 v15, 0, 1, vcc
	v_or_b32_e32 v15, v21, v15
	v_add_u32_e32 v21, 0xfffffc10, v16
	v_lshl_or_b32 v16, v21, 12, v14
	v_cmp_gt_i32_e32 vcc, 1, v21
	s_nop 1
	v_cndmask_b32_e32 v15, v16, v15, vcc
	v_and_b32_e32 v16, 7, v15
	v_cmp_lt_i32_e32 vcc, 5, v16
	v_lshrrev_b32_e32 v15, 2, v15
	s_nop 0
	v_cndmask_b32_e64 v17, 0, 1, vcc
	v_cmp_eq_u32_e32 vcc, 3, v16
	s_nop 1
	v_cndmask_b32_e64 v16, 0, 1, vcc
	v_or_b32_e32 v16, v16, v17
	v_add_u32_e32 v15, v15, v16
	s_waitcnt vmcnt(0)
	v_cvt_f32_f16_e32 v16, v19
	v_cmp_gt_i32_e32 vcc, 31, v21
	s_nop 1
	v_cndmask_b32_e32 v19, v1, v15, vcc
	v_cmp_ne_u32_e32 vcc, 0, v14
	v_cvt_f64_f32_e32 v[14:15], v16
	v_rsq_f64_e32 v[16:17], v[14:15]
	v_cndmask_b32_e32 v23, v1, v3, vcc
	v_cmp_eq_u32_e32 vcc, s8, v21
	v_mul_f64 v[14:15], v[16:17], -v[14:15]
	s_nop 0
	v_cndmask_b32_e32 v19, v19, v23, vcc
	v_fma_f64 v[14:15], v[14:15], v[16:17], 1.0
	v_and_or_b32 v19, v20, s11, v19
	v_mul_f64 v[20:21], v[16:17], v[14:15]
	v_fma_f64 v[14:15], v[14:15], s[2:3], 0.5
	v_fma_f64 v[14:15], v[20:21], v[14:15], v[16:17]
	v_cmp_class_f64_e32 vcc, v[16:17], v5
	s_nop 1
	v_cndmask_b32_e32 v5, v16, v14, vcc
	v_cndmask_b32_e32 v14, v17, v15, vcc
	v_and_or_b32 v5, v14, s10, v5
	v_cmp_ne_u32_e32 vcc, 0, v5
	v_lshrrev_b32_e32 v15, 8, v14
	v_bfe_u32 v16, v14, 20, 11
	v_cndmask_b32_e64 v5, 0, 1, vcc
	v_and_or_b32 v5, v15, s9, v5
	v_sub_u32_e32 v17, 0x3f1, v16
	v_or_b32_e32 v15, 0x1000, v5
	v_med3_i32 v17, v17, 0, 13
	v_lshrrev_b32_e32 v20, v17, v15
	v_lshlrev_b32_e32 v17, v17, v20
	v_cmp_ne_u32_e32 vcc, v17, v15
	v_add_u32_e32 v16, 0xfffffc10, v16
	v_lshl_or_b32 v17, v16, 12, v5
	v_cndmask_b32_e64 v15, 0, 1, vcc
	v_or_b32_e32 v15, v20, v15
	v_cmp_gt_i32_e32 vcc, 1, v16
	s_nop 1
	v_cndmask_b32_e32 v15, v17, v15, vcc
	v_and_b32_e32 v17, 7, v15
	v_cmp_lt_i32_e32 vcc, 5, v17
	v_lshrrev_b32_e32 v15, 2, v15
	s_nop 0
	v_cndmask_b32_e64 v20, 0, 1, vcc
	v_cmp_eq_u32_e32 vcc, 3, v17
	s_nop 1
	v_cndmask_b32_e64 v17, 0, 1, vcc
	v_or_b32_e32 v17, v17, v20
	v_add_u32_e32 v15, v15, v17
	v_cmp_gt_i32_e32 vcc, 31, v16
	s_nop 1
	v_cndmask_b32_e32 v15, v1, v15, vcc
	v_cmp_ne_u32_e32 vcc, 0, v5
	s_nop 1
	v_cndmask_b32_e32 v1, v1, v3, vcc
	v_cmp_eq_u32_e32 vcc, s8, v16
	v_lshrrev_b32_e32 v3, 16, v14
	s_nop 0
	v_cndmask_b32_e32 v1, v15, v1, vcc
	v_and_or_b32 v1, v3, s11, v1
	global_store_short v0, v6, s[4:5]
	global_store_short v2, v9, s[4:5]
	;; [unrolled: 1-line block ×8, first 2 shown]
	s_endpgm
.LBB215_131:
	v_mov_b32_e32 v2, 0
	v_mov_b32_e32 v0, 0
	s_branch .LBB215_137
.LBB215_132:
	v_mov_b32_e32 v2, 0
	v_mov_b32_e32 v0, 0
	s_branch .LBB215_154
.LBB215_133:
	v_mov_b32_e32 v0, 0
	s_mov_b32 s57, 0
	v_mov_b32_e32 v1, v0
                                        ; implicit-def: $vgpr2
	v_mov_b32_e32 v4, v22
.LBB215_134:
	s_and_b32 s4, s58, 3
	s_cmp_eq_u32 s4, 0
	s_cbranch_scc1 .LBB215_137
; %bb.135:
	s_lshl_b32 s0, s57, 3
	s_add_u32 s0, s34, s0
	s_addc_u32 s1, s35, 0
	s_add_u32 s0, s0, 0xc4
	s_addc_u32 s1, s1, 0
	s_mul_i32 s2, s57, 12
	s_add_u32 s2, s34, s2
	s_addc_u32 s3, s35, 0
.LBB215_136:                            ; =>This Inner Loop Header: Depth=1
	s_load_dwordx2 s[6:7], s[2:3], 0x4
	s_load_dword s5, s[2:3], 0xc
	s_load_dwordx2 s[8:9], s[0:1], 0x0
	v_mov_b32_e32 v2, v1
	s_add_u32 s2, s2, 12
	s_waitcnt lgkmcnt(0)
	v_mul_hi_u32 v1, s7, v4
	v_add_u32_e32 v1, v4, v1
	v_lshrrev_b32_e32 v1, s5, v1
	s_addc_u32 s3, s3, 0
	v_mul_lo_u32 v3, v1, s6
	s_add_u32 s0, s0, 8
	v_sub_u32_e32 v5, v4, v3
	s_addc_u32 s1, s1, 0
	s_add_i32 s4, s4, -1
	v_mov_b32_e32 v4, v1
	v_mad_u64_u32 v[2:3], s[6:7], v5, s9, v[2:3]
	v_mad_u64_u32 v[0:1], s[6:7], v5, s8, v[0:1]
	s_cmp_lg_u32 s4, 0
	v_mov_b32_e32 v1, v2
	s_cbranch_scc1 .LBB215_136
.LBB215_137:
	s_cbranch_execnz .LBB215_140
.LBB215_138:
	s_waitcnt lgkmcnt(0)
	v_mul_hi_u32 v0, s25, v22
	v_add_u32_e32 v0, v22, v0
	v_lshrrev_b32_e32 v1, s26, v0
	v_mul_lo_u32 v0, v1, s24
	v_sub_u32_e32 v0, v22, v0
	v_mul_lo_u32 v2, v0, s21
	s_andn2_b64 vcc, exec, s[42:43]
	v_mul_lo_u32 v0, v0, s20
	s_cbranch_vccnz .LBB215_140
; %bb.139:
	v_mul_hi_u32 v3, s40, v1
	v_add_u32_e32 v3, v1, v3
	v_lshrrev_b32_e32 v3, s41, v3
	v_mul_lo_u32 v3, v3, s27
	v_sub_u32_e32 v3, v1, v3
	v_mad_u64_u32 v[0:1], s[0:1], v3, s22, v[0:1]
	v_mad_u64_u32 v[2:3], s[0:1], v3, s23, v[2:3]
.LBB215_140:
	s_waitcnt lgkmcnt(0)
	global_load_ushort v1, v2, s[18:19]
	s_mov_b32 s0, 0
	s_mov_b32 s1, 0x3fd80000
	v_mov_b32_e32 v8, 0x180
	s_movk_i32 s2, 0x1ff
	s_movk_i32 s3, 0xffe
	v_mov_b32_e32 v9, 0x7c00
	s_movk_i32 s4, 0x40f
	s_mov_b32 s5, 0x8000
	v_add_u32_e32 v22, 0x80, v22
	s_waitcnt vmcnt(0)
	v_cvt_f32_f16_e32 v1, v1
	v_cvt_f64_f32_e32 v[2:3], v1
	v_rsq_f64_e32 v[4:5], v[2:3]
	v_mov_b32_e32 v1, 0x7e00
	v_mul_f64 v[2:3], v[4:5], -v[2:3]
	v_fma_f64 v[2:3], v[2:3], v[4:5], 1.0
	v_mul_f64 v[6:7], v[4:5], v[2:3]
	v_fma_f64 v[2:3], v[2:3], s[0:1], 0.5
	v_fma_f64 v[2:3], v[6:7], v[2:3], v[4:5]
	v_cmp_class_f64_e32 vcc, v[4:5], v8
	s_nop 1
	v_cndmask_b32_e32 v2, v4, v2, vcc
	v_cndmask_b32_e32 v3, v5, v3, vcc
	v_and_or_b32 v2, v3, s2, v2
	v_cmp_ne_u32_e32 vcc, 0, v2
	v_lshrrev_b32_e32 v4, 8, v3
	v_bfe_u32 v5, v3, 20, 11
	v_cndmask_b32_e64 v2, 0, 1, vcc
	v_sub_u32_e32 v6, 0x3f1, v5
	v_and_or_b32 v2, v4, s3, v2
	v_add_u32_e32 v5, 0xfffffc10, v5
	v_med3_i32 v4, v6, 0, 13
	v_or_b32_e32 v6, 0x1000, v2
	v_lshl_or_b32 v7, v5, 12, v2
	v_cmp_ne_u32_e32 vcc, 0, v2
	v_lshrrev_b32_e32 v2, v4, v6
	v_lshlrev_b32_e32 v4, v4, v2
	v_cndmask_b32_e32 v1, v9, v1, vcc
	v_cmp_ne_u32_e32 vcc, v4, v6
	v_lshrrev_b32_e32 v3, 16, v3
	s_nop 0
	v_cndmask_b32_e64 v4, 0, 1, vcc
	v_or_b32_e32 v2, v2, v4
	v_cmp_gt_i32_e32 vcc, 1, v5
	s_nop 1
	v_cndmask_b32_e32 v2, v7, v2, vcc
	v_and_b32_e32 v4, 7, v2
	v_cmp_lt_i32_e32 vcc, 5, v4
	v_lshrrev_b32_e32 v2, 2, v2
	s_nop 0
	v_cndmask_b32_e64 v6, 0, 1, vcc
	v_cmp_eq_u32_e32 vcc, 3, v4
	s_nop 1
	v_cndmask_b32_e64 v4, 0, 1, vcc
	v_or_b32_e32 v4, v4, v6
	v_add_u32_e32 v2, v2, v4
	v_cmp_gt_i32_e32 vcc, 31, v5
	s_nop 1
	v_cndmask_b32_e32 v2, v9, v2, vcc
	v_cmp_eq_u32_e32 vcc, s4, v5
	s_nop 1
	v_cndmask_b32_e32 v1, v2, v1, vcc
	v_and_or_b32 v1, v3, s5, v1
	global_store_short v0, v1, s[16:17]
	s_or_b64 exec, exec, s[48:49]
	v_cmp_gt_i32_e32 vcc, s55, v22
	s_and_saveexec_b64 s[48:49], vcc
	s_cbranch_execnz .LBB215_16
.LBB215_141:
	s_or_b64 exec, exec, s[48:49]
	v_cmp_gt_i32_e32 vcc, s55, v22
	s_and_saveexec_b64 s[48:49], vcc
	s_cbranch_execz .LBB215_158
.LBB215_142:
	s_andn2_b64 vcc, exec, s[36:37]
	s_cbranch_vccnz .LBB215_148
; %bb.143:
	s_andn2_b64 vcc, exec, s[46:47]
	s_cbranch_vccnz .LBB215_149
; %bb.144:
	s_add_i32 s58, s56, 1
	s_cmp_eq_u32 s54, 2
	s_cbranch_scc1 .LBB215_167
; %bb.145:
	s_and_b32 s57, s58, 28
	s_mov_b32 s59, 0
	v_mov_b32_e32 v0, 0
	v_mov_b32_e32 v2, 0
	s_mov_b64 s[50:51], s[34:35]
	s_mov_b64 s[52:53], s[44:45]
	v_mov_b32_e32 v4, v22
.LBB215_146:                            ; =>This Inner Loop Header: Depth=1
	s_load_dwordx8 s[8:15], s[50:51], 0x4
	s_load_dwordx4 s[28:31], s[50:51], 0x24
	s_load_dwordx8 s[0:7], s[52:53], 0x0
	s_add_u32 s50, s50, 48
	s_addc_u32 s51, s51, 0
	s_waitcnt lgkmcnt(0)
	v_mul_hi_u32 v1, s9, v4
	v_add_u32_e32 v1, v4, v1
	v_lshrrev_b32_e32 v1, s10, v1
	v_mul_lo_u32 v3, v1, s8
	v_mul_hi_u32 v5, s12, v1
	v_sub_u32_e32 v3, v4, v3
	v_add_u32_e32 v4, v1, v5
	v_lshrrev_b32_e32 v4, s13, v4
	v_mul_lo_u32 v6, v4, s11
	v_mul_hi_u32 v7, s15, v4
	v_sub_u32_e32 v1, v1, v6
	v_add_u32_e32 v6, v4, v7
	v_mul_lo_u32 v5, v3, s1
	v_mul_lo_u32 v3, v3, s0
	;; [unrolled: 1-line block ×4, first 2 shown]
	v_lshrrev_b32_e32 v6, s28, v6
	v_add3_u32 v0, v3, v0, v1
	v_mul_hi_u32 v3, s30, v6
	v_add3_u32 v1, v5, v2, v7
	v_mul_lo_u32 v2, v6, s14
	v_add_u32_e32 v3, v6, v3
	v_sub_u32_e32 v2, v4, v2
	v_lshrrev_b32_e32 v4, s31, v3
	s_add_i32 s59, s59, 4
	v_mul_lo_u32 v3, v4, s29
	s_add_u32 s52, s52, 32
	v_sub_u32_e32 v3, v6, v3
	s_addc_u32 s53, s53, 0
	v_mul_lo_u32 v5, v2, s4
	v_mul_lo_u32 v2, v2, s5
	;; [unrolled: 1-line block ×4, first 2 shown]
	s_cmp_eq_u32 s57, s59
	v_add3_u32 v2, v2, v1, v3
	v_add3_u32 v0, v5, v0, v6
	s_cbranch_scc0 .LBB215_146
; %bb.147:
	v_mov_b32_e32 v1, v2
	s_branch .LBB215_168
.LBB215_148:
                                        ; implicit-def: $vgpr2
                                        ; implicit-def: $vgpr0
	s_branch .LBB215_172
.LBB215_149:
	v_mov_b32_e32 v2, 0
	v_mov_b32_e32 v0, 0
	s_branch .LBB215_171
.LBB215_150:
	v_mov_b32_e32 v0, 0
	s_mov_b32 s57, 0
	v_mov_b32_e32 v1, v0
                                        ; implicit-def: $vgpr2
	v_mov_b32_e32 v4, v22
.LBB215_151:
	s_and_b32 s4, s58, 3
	s_cmp_eq_u32 s4, 0
	s_cbranch_scc1 .LBB215_154
; %bb.152:
	s_lshl_b32 s0, s57, 3
	s_add_u32 s0, s34, s0
	s_addc_u32 s1, s35, 0
	s_add_u32 s0, s0, 0xc4
	s_addc_u32 s1, s1, 0
	s_mul_i32 s2, s57, 12
	s_add_u32 s2, s34, s2
	s_addc_u32 s3, s35, 0
.LBB215_153:                            ; =>This Inner Loop Header: Depth=1
	s_load_dwordx2 s[6:7], s[2:3], 0x4
	s_load_dword s5, s[2:3], 0xc
	s_load_dwordx2 s[8:9], s[0:1], 0x0
	v_mov_b32_e32 v2, v1
	s_add_u32 s2, s2, 12
	s_waitcnt lgkmcnt(0)
	v_mul_hi_u32 v1, s7, v4
	v_add_u32_e32 v1, v4, v1
	v_lshrrev_b32_e32 v1, s5, v1
	s_addc_u32 s3, s3, 0
	v_mul_lo_u32 v3, v1, s6
	s_add_u32 s0, s0, 8
	v_sub_u32_e32 v5, v4, v3
	s_addc_u32 s1, s1, 0
	s_add_i32 s4, s4, -1
	v_mov_b32_e32 v4, v1
	v_mad_u64_u32 v[2:3], s[6:7], v5, s9, v[2:3]
	v_mad_u64_u32 v[0:1], s[6:7], v5, s8, v[0:1]
	s_cmp_lg_u32 s4, 0
	v_mov_b32_e32 v1, v2
	s_cbranch_scc1 .LBB215_153
.LBB215_154:
	s_cbranch_execnz .LBB215_157
.LBB215_155:
	s_waitcnt lgkmcnt(0)
	v_mul_hi_u32 v0, s25, v22
	v_add_u32_e32 v0, v22, v0
	v_lshrrev_b32_e32 v1, s26, v0
	v_mul_lo_u32 v0, v1, s24
	v_sub_u32_e32 v0, v22, v0
	v_mul_lo_u32 v2, v0, s21
	s_andn2_b64 vcc, exec, s[42:43]
	v_mul_lo_u32 v0, v0, s20
	s_cbranch_vccnz .LBB215_157
; %bb.156:
	v_mul_hi_u32 v3, s40, v1
	v_add_u32_e32 v3, v1, v3
	v_lshrrev_b32_e32 v3, s41, v3
	v_mul_lo_u32 v3, v3, s27
	v_sub_u32_e32 v3, v1, v3
	v_mad_u64_u32 v[0:1], s[0:1], v3, s22, v[0:1]
	v_mad_u64_u32 v[2:3], s[0:1], v3, s23, v[2:3]
.LBB215_157:
	s_waitcnt lgkmcnt(0)
	global_load_ushort v1, v2, s[18:19]
	s_mov_b32 s0, 0
	s_mov_b32 s1, 0x3fd80000
	v_mov_b32_e32 v8, 0x180
	s_movk_i32 s2, 0x1ff
	s_movk_i32 s3, 0xffe
	v_mov_b32_e32 v9, 0x7c00
	s_movk_i32 s4, 0x40f
	s_mov_b32 s5, 0x8000
	v_add_u32_e32 v22, 0x80, v22
	s_waitcnt vmcnt(0)
	v_cvt_f32_f16_e32 v1, v1
	v_cvt_f64_f32_e32 v[2:3], v1
	v_rsq_f64_e32 v[4:5], v[2:3]
	v_mov_b32_e32 v1, 0x7e00
	v_mul_f64 v[2:3], v[4:5], -v[2:3]
	v_fma_f64 v[2:3], v[2:3], v[4:5], 1.0
	v_mul_f64 v[6:7], v[4:5], v[2:3]
	v_fma_f64 v[2:3], v[2:3], s[0:1], 0.5
	v_fma_f64 v[2:3], v[6:7], v[2:3], v[4:5]
	v_cmp_class_f64_e32 vcc, v[4:5], v8
	s_nop 1
	v_cndmask_b32_e32 v2, v4, v2, vcc
	v_cndmask_b32_e32 v3, v5, v3, vcc
	v_and_or_b32 v2, v3, s2, v2
	v_cmp_ne_u32_e32 vcc, 0, v2
	v_lshrrev_b32_e32 v4, 8, v3
	v_bfe_u32 v5, v3, 20, 11
	v_cndmask_b32_e64 v2, 0, 1, vcc
	v_sub_u32_e32 v6, 0x3f1, v5
	v_and_or_b32 v2, v4, s3, v2
	v_add_u32_e32 v5, 0xfffffc10, v5
	v_med3_i32 v4, v6, 0, 13
	v_or_b32_e32 v6, 0x1000, v2
	v_lshl_or_b32 v7, v5, 12, v2
	v_cmp_ne_u32_e32 vcc, 0, v2
	v_lshrrev_b32_e32 v2, v4, v6
	v_lshlrev_b32_e32 v4, v4, v2
	v_cndmask_b32_e32 v1, v9, v1, vcc
	v_cmp_ne_u32_e32 vcc, v4, v6
	v_lshrrev_b32_e32 v3, 16, v3
	s_nop 0
	v_cndmask_b32_e64 v4, 0, 1, vcc
	v_or_b32_e32 v2, v2, v4
	v_cmp_gt_i32_e32 vcc, 1, v5
	s_nop 1
	v_cndmask_b32_e32 v2, v7, v2, vcc
	v_and_b32_e32 v4, 7, v2
	v_cmp_lt_i32_e32 vcc, 5, v4
	v_lshrrev_b32_e32 v2, 2, v2
	s_nop 0
	v_cndmask_b32_e64 v6, 0, 1, vcc
	v_cmp_eq_u32_e32 vcc, 3, v4
	s_nop 1
	v_cndmask_b32_e64 v4, 0, 1, vcc
	v_or_b32_e32 v4, v4, v6
	v_add_u32_e32 v2, v2, v4
	v_cmp_gt_i32_e32 vcc, 31, v5
	s_nop 1
	v_cndmask_b32_e32 v2, v9, v2, vcc
	v_cmp_eq_u32_e32 vcc, s4, v5
	s_nop 1
	v_cndmask_b32_e32 v1, v2, v1, vcc
	v_and_or_b32 v1, v3, s5, v1
	global_store_short v0, v1, s[16:17]
	s_or_b64 exec, exec, s[48:49]
	v_cmp_gt_i32_e32 vcc, s55, v22
	s_and_saveexec_b64 s[48:49], vcc
	s_cbranch_execnz .LBB215_142
.LBB215_158:
	s_or_b64 exec, exec, s[48:49]
	v_cmp_gt_i32_e32 vcc, s55, v22
	s_and_saveexec_b64 s[48:49], vcc
	s_cbranch_execz .LBB215_175
.LBB215_159:
	s_andn2_b64 vcc, exec, s[36:37]
	s_cbranch_vccnz .LBB215_165
; %bb.160:
	s_andn2_b64 vcc, exec, s[46:47]
	s_cbranch_vccnz .LBB215_166
; %bb.161:
	s_add_i32 s58, s56, 1
	s_cmp_eq_u32 s54, 2
	s_cbranch_scc1 .LBB215_184
; %bb.162:
	s_and_b32 s57, s58, 28
	s_mov_b32 s59, 0
	v_mov_b32_e32 v0, 0
	v_mov_b32_e32 v2, 0
	s_mov_b64 s[50:51], s[34:35]
	s_mov_b64 s[52:53], s[44:45]
	v_mov_b32_e32 v4, v22
.LBB215_163:                            ; =>This Inner Loop Header: Depth=1
	s_load_dwordx8 s[8:15], s[50:51], 0x4
	s_load_dwordx4 s[28:31], s[50:51], 0x24
	s_load_dwordx8 s[0:7], s[52:53], 0x0
	s_add_u32 s50, s50, 48
	s_addc_u32 s51, s51, 0
	s_waitcnt lgkmcnt(0)
	v_mul_hi_u32 v1, s9, v4
	v_add_u32_e32 v1, v4, v1
	v_lshrrev_b32_e32 v1, s10, v1
	v_mul_lo_u32 v3, v1, s8
	v_mul_hi_u32 v5, s12, v1
	v_sub_u32_e32 v3, v4, v3
	v_add_u32_e32 v4, v1, v5
	v_lshrrev_b32_e32 v4, s13, v4
	v_mul_lo_u32 v6, v4, s11
	v_mul_hi_u32 v7, s15, v4
	v_sub_u32_e32 v1, v1, v6
	v_add_u32_e32 v6, v4, v7
	v_mul_lo_u32 v5, v3, s1
	v_mul_lo_u32 v3, v3, s0
	;; [unrolled: 1-line block ×4, first 2 shown]
	v_lshrrev_b32_e32 v6, s28, v6
	v_add3_u32 v0, v3, v0, v1
	v_mul_hi_u32 v3, s30, v6
	v_add3_u32 v1, v5, v2, v7
	v_mul_lo_u32 v2, v6, s14
	v_add_u32_e32 v3, v6, v3
	v_sub_u32_e32 v2, v4, v2
	v_lshrrev_b32_e32 v4, s31, v3
	s_add_i32 s59, s59, 4
	v_mul_lo_u32 v3, v4, s29
	s_add_u32 s52, s52, 32
	v_sub_u32_e32 v3, v6, v3
	s_addc_u32 s53, s53, 0
	v_mul_lo_u32 v5, v2, s4
	v_mul_lo_u32 v2, v2, s5
	;; [unrolled: 1-line block ×4, first 2 shown]
	s_cmp_eq_u32 s57, s59
	v_add3_u32 v2, v2, v1, v3
	v_add3_u32 v0, v5, v0, v6
	s_cbranch_scc0 .LBB215_163
; %bb.164:
	v_mov_b32_e32 v1, v2
	s_branch .LBB215_185
.LBB215_165:
                                        ; implicit-def: $vgpr2
                                        ; implicit-def: $vgpr0
	s_branch .LBB215_189
.LBB215_166:
	v_mov_b32_e32 v2, 0
	v_mov_b32_e32 v0, 0
	s_branch .LBB215_188
.LBB215_167:
	v_mov_b32_e32 v0, 0
	s_mov_b32 s57, 0
	v_mov_b32_e32 v1, v0
                                        ; implicit-def: $vgpr2
	v_mov_b32_e32 v4, v22
.LBB215_168:
	s_and_b32 s4, s58, 3
	s_cmp_eq_u32 s4, 0
	s_cbranch_scc1 .LBB215_171
; %bb.169:
	s_lshl_b32 s0, s57, 3
	s_add_u32 s0, s34, s0
	s_addc_u32 s1, s35, 0
	s_add_u32 s0, s0, 0xc4
	s_addc_u32 s1, s1, 0
	s_mul_i32 s2, s57, 12
	s_add_u32 s2, s34, s2
	s_addc_u32 s3, s35, 0
.LBB215_170:                            ; =>This Inner Loop Header: Depth=1
	s_load_dwordx2 s[6:7], s[2:3], 0x4
	s_load_dword s5, s[2:3], 0xc
	s_load_dwordx2 s[8:9], s[0:1], 0x0
	v_mov_b32_e32 v2, v1
	s_add_u32 s2, s2, 12
	s_waitcnt lgkmcnt(0)
	v_mul_hi_u32 v1, s7, v4
	v_add_u32_e32 v1, v4, v1
	v_lshrrev_b32_e32 v1, s5, v1
	s_addc_u32 s3, s3, 0
	v_mul_lo_u32 v3, v1, s6
	s_add_u32 s0, s0, 8
	v_sub_u32_e32 v5, v4, v3
	s_addc_u32 s1, s1, 0
	s_add_i32 s4, s4, -1
	v_mov_b32_e32 v4, v1
	v_mad_u64_u32 v[2:3], s[6:7], v5, s9, v[2:3]
	v_mad_u64_u32 v[0:1], s[6:7], v5, s8, v[0:1]
	s_cmp_lg_u32 s4, 0
	v_mov_b32_e32 v1, v2
	s_cbranch_scc1 .LBB215_170
.LBB215_171:
	s_cbranch_execnz .LBB215_174
.LBB215_172:
	s_waitcnt lgkmcnt(0)
	v_mul_hi_u32 v0, s25, v22
	v_add_u32_e32 v0, v22, v0
	v_lshrrev_b32_e32 v1, s26, v0
	v_mul_lo_u32 v0, v1, s24
	v_sub_u32_e32 v0, v22, v0
	v_mul_lo_u32 v2, v0, s21
	s_andn2_b64 vcc, exec, s[42:43]
	v_mul_lo_u32 v0, v0, s20
	s_cbranch_vccnz .LBB215_174
; %bb.173:
	v_mul_hi_u32 v3, s40, v1
	v_add_u32_e32 v3, v1, v3
	v_lshrrev_b32_e32 v3, s41, v3
	v_mul_lo_u32 v3, v3, s27
	v_sub_u32_e32 v3, v1, v3
	v_mad_u64_u32 v[0:1], s[0:1], v3, s22, v[0:1]
	v_mad_u64_u32 v[2:3], s[0:1], v3, s23, v[2:3]
.LBB215_174:
	s_waitcnt lgkmcnt(0)
	global_load_ushort v1, v2, s[18:19]
	s_mov_b32 s0, 0
	s_mov_b32 s1, 0x3fd80000
	v_mov_b32_e32 v8, 0x180
	s_movk_i32 s2, 0x1ff
	s_movk_i32 s3, 0xffe
	v_mov_b32_e32 v9, 0x7c00
	s_movk_i32 s4, 0x40f
	s_mov_b32 s5, 0x8000
	v_add_u32_e32 v22, 0x80, v22
	s_waitcnt vmcnt(0)
	v_cvt_f32_f16_e32 v1, v1
	v_cvt_f64_f32_e32 v[2:3], v1
	v_rsq_f64_e32 v[4:5], v[2:3]
	v_mov_b32_e32 v1, 0x7e00
	v_mul_f64 v[2:3], v[4:5], -v[2:3]
	v_fma_f64 v[2:3], v[2:3], v[4:5], 1.0
	v_mul_f64 v[6:7], v[4:5], v[2:3]
	v_fma_f64 v[2:3], v[2:3], s[0:1], 0.5
	v_fma_f64 v[2:3], v[6:7], v[2:3], v[4:5]
	v_cmp_class_f64_e32 vcc, v[4:5], v8
	s_nop 1
	v_cndmask_b32_e32 v2, v4, v2, vcc
	v_cndmask_b32_e32 v3, v5, v3, vcc
	v_and_or_b32 v2, v3, s2, v2
	v_cmp_ne_u32_e32 vcc, 0, v2
	v_lshrrev_b32_e32 v4, 8, v3
	v_bfe_u32 v5, v3, 20, 11
	v_cndmask_b32_e64 v2, 0, 1, vcc
	v_sub_u32_e32 v6, 0x3f1, v5
	v_and_or_b32 v2, v4, s3, v2
	v_add_u32_e32 v5, 0xfffffc10, v5
	v_med3_i32 v4, v6, 0, 13
	v_or_b32_e32 v6, 0x1000, v2
	v_lshl_or_b32 v7, v5, 12, v2
	v_cmp_ne_u32_e32 vcc, 0, v2
	v_lshrrev_b32_e32 v2, v4, v6
	v_lshlrev_b32_e32 v4, v4, v2
	v_cndmask_b32_e32 v1, v9, v1, vcc
	v_cmp_ne_u32_e32 vcc, v4, v6
	v_lshrrev_b32_e32 v3, 16, v3
	s_nop 0
	v_cndmask_b32_e64 v4, 0, 1, vcc
	v_or_b32_e32 v2, v2, v4
	v_cmp_gt_i32_e32 vcc, 1, v5
	s_nop 1
	v_cndmask_b32_e32 v2, v7, v2, vcc
	v_and_b32_e32 v4, 7, v2
	v_cmp_lt_i32_e32 vcc, 5, v4
	v_lshrrev_b32_e32 v2, 2, v2
	s_nop 0
	v_cndmask_b32_e64 v6, 0, 1, vcc
	v_cmp_eq_u32_e32 vcc, 3, v4
	s_nop 1
	v_cndmask_b32_e64 v4, 0, 1, vcc
	v_or_b32_e32 v4, v4, v6
	v_add_u32_e32 v2, v2, v4
	v_cmp_gt_i32_e32 vcc, 31, v5
	s_nop 1
	v_cndmask_b32_e32 v2, v9, v2, vcc
	v_cmp_eq_u32_e32 vcc, s4, v5
	s_nop 1
	v_cndmask_b32_e32 v1, v2, v1, vcc
	v_and_or_b32 v1, v3, s5, v1
	global_store_short v0, v1, s[16:17]
	s_or_b64 exec, exec, s[48:49]
	v_cmp_gt_i32_e32 vcc, s55, v22
	s_and_saveexec_b64 s[48:49], vcc
	s_cbranch_execnz .LBB215_159
.LBB215_175:
	s_or_b64 exec, exec, s[48:49]
	v_cmp_gt_i32_e32 vcc, s55, v22
	s_and_saveexec_b64 s[48:49], vcc
	s_cbranch_execz .LBB215_192
.LBB215_176:
	s_andn2_b64 vcc, exec, s[36:37]
	s_cbranch_vccnz .LBB215_182
; %bb.177:
	s_andn2_b64 vcc, exec, s[46:47]
	s_cbranch_vccnz .LBB215_183
; %bb.178:
	s_add_i32 s58, s56, 1
	s_cmp_eq_u32 s54, 2
	s_cbranch_scc1 .LBB215_201
; %bb.179:
	s_and_b32 s57, s58, 28
	s_mov_b32 s59, 0
	v_mov_b32_e32 v0, 0
	v_mov_b32_e32 v2, 0
	s_mov_b64 s[50:51], s[34:35]
	s_mov_b64 s[52:53], s[44:45]
	v_mov_b32_e32 v4, v22
.LBB215_180:                            ; =>This Inner Loop Header: Depth=1
	s_load_dwordx8 s[8:15], s[50:51], 0x4
	s_load_dwordx4 s[28:31], s[50:51], 0x24
	s_load_dwordx8 s[0:7], s[52:53], 0x0
	s_add_u32 s50, s50, 48
	s_addc_u32 s51, s51, 0
	s_waitcnt lgkmcnt(0)
	v_mul_hi_u32 v1, s9, v4
	v_add_u32_e32 v1, v4, v1
	v_lshrrev_b32_e32 v1, s10, v1
	v_mul_lo_u32 v3, v1, s8
	v_mul_hi_u32 v5, s12, v1
	v_sub_u32_e32 v3, v4, v3
	v_add_u32_e32 v4, v1, v5
	v_lshrrev_b32_e32 v4, s13, v4
	v_mul_lo_u32 v6, v4, s11
	v_mul_hi_u32 v7, s15, v4
	v_sub_u32_e32 v1, v1, v6
	v_add_u32_e32 v6, v4, v7
	v_mul_lo_u32 v5, v3, s1
	v_mul_lo_u32 v3, v3, s0
	;; [unrolled: 1-line block ×4, first 2 shown]
	v_lshrrev_b32_e32 v6, s28, v6
	v_add3_u32 v0, v3, v0, v1
	v_mul_hi_u32 v3, s30, v6
	v_add3_u32 v1, v5, v2, v7
	v_mul_lo_u32 v2, v6, s14
	v_add_u32_e32 v3, v6, v3
	v_sub_u32_e32 v2, v4, v2
	v_lshrrev_b32_e32 v4, s31, v3
	s_add_i32 s59, s59, 4
	v_mul_lo_u32 v3, v4, s29
	s_add_u32 s52, s52, 32
	v_sub_u32_e32 v3, v6, v3
	s_addc_u32 s53, s53, 0
	v_mul_lo_u32 v5, v2, s4
	v_mul_lo_u32 v2, v2, s5
	;; [unrolled: 1-line block ×4, first 2 shown]
	s_cmp_eq_u32 s57, s59
	v_add3_u32 v2, v2, v1, v3
	v_add3_u32 v0, v5, v0, v6
	s_cbranch_scc0 .LBB215_180
; %bb.181:
	v_mov_b32_e32 v1, v2
	s_branch .LBB215_202
.LBB215_182:
                                        ; implicit-def: $vgpr2
                                        ; implicit-def: $vgpr0
	s_branch .LBB215_206
.LBB215_183:
	v_mov_b32_e32 v2, 0
	v_mov_b32_e32 v0, 0
	s_branch .LBB215_205
.LBB215_184:
	v_mov_b32_e32 v0, 0
	s_mov_b32 s57, 0
	v_mov_b32_e32 v1, v0
                                        ; implicit-def: $vgpr2
	v_mov_b32_e32 v4, v22
.LBB215_185:
	s_and_b32 s4, s58, 3
	s_cmp_eq_u32 s4, 0
	s_cbranch_scc1 .LBB215_188
; %bb.186:
	s_lshl_b32 s0, s57, 3
	s_add_u32 s0, s34, s0
	s_addc_u32 s1, s35, 0
	s_add_u32 s0, s0, 0xc4
	s_addc_u32 s1, s1, 0
	s_mul_i32 s2, s57, 12
	s_add_u32 s2, s34, s2
	s_addc_u32 s3, s35, 0
.LBB215_187:                            ; =>This Inner Loop Header: Depth=1
	s_load_dwordx2 s[6:7], s[2:3], 0x4
	s_load_dword s5, s[2:3], 0xc
	s_load_dwordx2 s[8:9], s[0:1], 0x0
	v_mov_b32_e32 v2, v1
	s_add_u32 s2, s2, 12
	s_waitcnt lgkmcnt(0)
	v_mul_hi_u32 v1, s7, v4
	v_add_u32_e32 v1, v4, v1
	v_lshrrev_b32_e32 v1, s5, v1
	s_addc_u32 s3, s3, 0
	v_mul_lo_u32 v3, v1, s6
	s_add_u32 s0, s0, 8
	v_sub_u32_e32 v5, v4, v3
	s_addc_u32 s1, s1, 0
	s_add_i32 s4, s4, -1
	v_mov_b32_e32 v4, v1
	v_mad_u64_u32 v[2:3], s[6:7], v5, s9, v[2:3]
	v_mad_u64_u32 v[0:1], s[6:7], v5, s8, v[0:1]
	s_cmp_lg_u32 s4, 0
	v_mov_b32_e32 v1, v2
	s_cbranch_scc1 .LBB215_187
.LBB215_188:
	s_cbranch_execnz .LBB215_191
.LBB215_189:
	s_waitcnt lgkmcnt(0)
	v_mul_hi_u32 v0, s25, v22
	v_add_u32_e32 v0, v22, v0
	v_lshrrev_b32_e32 v1, s26, v0
	v_mul_lo_u32 v0, v1, s24
	v_sub_u32_e32 v0, v22, v0
	v_mul_lo_u32 v2, v0, s21
	s_andn2_b64 vcc, exec, s[42:43]
	v_mul_lo_u32 v0, v0, s20
	s_cbranch_vccnz .LBB215_191
; %bb.190:
	v_mul_hi_u32 v3, s40, v1
	v_add_u32_e32 v3, v1, v3
	v_lshrrev_b32_e32 v3, s41, v3
	v_mul_lo_u32 v3, v3, s27
	v_sub_u32_e32 v3, v1, v3
	v_mad_u64_u32 v[0:1], s[0:1], v3, s22, v[0:1]
	v_mad_u64_u32 v[2:3], s[0:1], v3, s23, v[2:3]
.LBB215_191:
	s_waitcnt lgkmcnt(0)
	global_load_ushort v1, v2, s[18:19]
	s_mov_b32 s0, 0
	s_mov_b32 s1, 0x3fd80000
	v_mov_b32_e32 v8, 0x180
	s_movk_i32 s2, 0x1ff
	s_movk_i32 s3, 0xffe
	v_mov_b32_e32 v9, 0x7c00
	s_movk_i32 s4, 0x40f
	s_mov_b32 s5, 0x8000
	v_add_u32_e32 v22, 0x80, v22
	s_waitcnt vmcnt(0)
	v_cvt_f32_f16_e32 v1, v1
	v_cvt_f64_f32_e32 v[2:3], v1
	v_rsq_f64_e32 v[4:5], v[2:3]
	v_mov_b32_e32 v1, 0x7e00
	v_mul_f64 v[2:3], v[4:5], -v[2:3]
	v_fma_f64 v[2:3], v[2:3], v[4:5], 1.0
	v_mul_f64 v[6:7], v[4:5], v[2:3]
	v_fma_f64 v[2:3], v[2:3], s[0:1], 0.5
	v_fma_f64 v[2:3], v[6:7], v[2:3], v[4:5]
	v_cmp_class_f64_e32 vcc, v[4:5], v8
	s_nop 1
	v_cndmask_b32_e32 v2, v4, v2, vcc
	v_cndmask_b32_e32 v3, v5, v3, vcc
	v_and_or_b32 v2, v3, s2, v2
	v_cmp_ne_u32_e32 vcc, 0, v2
	v_lshrrev_b32_e32 v4, 8, v3
	v_bfe_u32 v5, v3, 20, 11
	v_cndmask_b32_e64 v2, 0, 1, vcc
	v_sub_u32_e32 v6, 0x3f1, v5
	v_and_or_b32 v2, v4, s3, v2
	v_add_u32_e32 v5, 0xfffffc10, v5
	v_med3_i32 v4, v6, 0, 13
	v_or_b32_e32 v6, 0x1000, v2
	v_lshl_or_b32 v7, v5, 12, v2
	v_cmp_ne_u32_e32 vcc, 0, v2
	v_lshrrev_b32_e32 v2, v4, v6
	v_lshlrev_b32_e32 v4, v4, v2
	v_cndmask_b32_e32 v1, v9, v1, vcc
	v_cmp_ne_u32_e32 vcc, v4, v6
	v_lshrrev_b32_e32 v3, 16, v3
	s_nop 0
	v_cndmask_b32_e64 v4, 0, 1, vcc
	v_or_b32_e32 v2, v2, v4
	v_cmp_gt_i32_e32 vcc, 1, v5
	s_nop 1
	v_cndmask_b32_e32 v2, v7, v2, vcc
	v_and_b32_e32 v4, 7, v2
	v_cmp_lt_i32_e32 vcc, 5, v4
	v_lshrrev_b32_e32 v2, 2, v2
	s_nop 0
	v_cndmask_b32_e64 v6, 0, 1, vcc
	v_cmp_eq_u32_e32 vcc, 3, v4
	s_nop 1
	v_cndmask_b32_e64 v4, 0, 1, vcc
	v_or_b32_e32 v4, v4, v6
	v_add_u32_e32 v2, v2, v4
	v_cmp_gt_i32_e32 vcc, 31, v5
	s_nop 1
	v_cndmask_b32_e32 v2, v9, v2, vcc
	v_cmp_eq_u32_e32 vcc, s4, v5
	s_nop 1
	v_cndmask_b32_e32 v1, v2, v1, vcc
	v_and_or_b32 v1, v3, s5, v1
	global_store_short v0, v1, s[16:17]
	s_or_b64 exec, exec, s[48:49]
	v_cmp_gt_i32_e32 vcc, s55, v22
	s_and_saveexec_b64 s[48:49], vcc
	s_cbranch_execnz .LBB215_176
.LBB215_192:
	s_or_b64 exec, exec, s[48:49]
	v_cmp_gt_i32_e32 vcc, s55, v22
	s_and_saveexec_b64 s[48:49], vcc
	s_cbranch_execz .LBB215_209
.LBB215_193:
	s_andn2_b64 vcc, exec, s[36:37]
	s_cbranch_vccnz .LBB215_199
; %bb.194:
	s_andn2_b64 vcc, exec, s[46:47]
	s_cbranch_vccnz .LBB215_200
; %bb.195:
	s_add_i32 s58, s56, 1
	s_cmp_eq_u32 s54, 2
	s_cbranch_scc1 .LBB215_218
; %bb.196:
	s_and_b32 s57, s58, 28
	s_mov_b32 s59, 0
	v_mov_b32_e32 v0, 0
	v_mov_b32_e32 v2, 0
	s_mov_b64 s[50:51], s[34:35]
	s_mov_b64 s[52:53], s[44:45]
	v_mov_b32_e32 v4, v22
.LBB215_197:                            ; =>This Inner Loop Header: Depth=1
	s_load_dwordx8 s[8:15], s[50:51], 0x4
	s_load_dwordx4 s[28:31], s[50:51], 0x24
	s_load_dwordx8 s[0:7], s[52:53], 0x0
	s_add_u32 s50, s50, 48
	s_addc_u32 s51, s51, 0
	s_waitcnt lgkmcnt(0)
	v_mul_hi_u32 v1, s9, v4
	v_add_u32_e32 v1, v4, v1
	v_lshrrev_b32_e32 v1, s10, v1
	v_mul_lo_u32 v3, v1, s8
	v_mul_hi_u32 v5, s12, v1
	v_sub_u32_e32 v3, v4, v3
	v_add_u32_e32 v4, v1, v5
	v_lshrrev_b32_e32 v4, s13, v4
	v_mul_lo_u32 v6, v4, s11
	v_mul_hi_u32 v7, s15, v4
	v_sub_u32_e32 v1, v1, v6
	v_add_u32_e32 v6, v4, v7
	v_mul_lo_u32 v5, v3, s1
	v_mul_lo_u32 v3, v3, s0
	;; [unrolled: 1-line block ×4, first 2 shown]
	v_lshrrev_b32_e32 v6, s28, v6
	v_add3_u32 v0, v3, v0, v1
	v_mul_hi_u32 v3, s30, v6
	v_add3_u32 v1, v5, v2, v7
	v_mul_lo_u32 v2, v6, s14
	v_add_u32_e32 v3, v6, v3
	v_sub_u32_e32 v2, v4, v2
	v_lshrrev_b32_e32 v4, s31, v3
	s_add_i32 s59, s59, 4
	v_mul_lo_u32 v3, v4, s29
	s_add_u32 s52, s52, 32
	v_sub_u32_e32 v3, v6, v3
	s_addc_u32 s53, s53, 0
	v_mul_lo_u32 v5, v2, s4
	v_mul_lo_u32 v2, v2, s5
	;; [unrolled: 1-line block ×4, first 2 shown]
	s_cmp_eq_u32 s57, s59
	v_add3_u32 v2, v2, v1, v3
	v_add3_u32 v0, v5, v0, v6
	s_cbranch_scc0 .LBB215_197
; %bb.198:
	v_mov_b32_e32 v1, v2
	s_branch .LBB215_219
.LBB215_199:
                                        ; implicit-def: $vgpr2
                                        ; implicit-def: $vgpr0
	s_branch .LBB215_223
.LBB215_200:
	v_mov_b32_e32 v2, 0
	v_mov_b32_e32 v0, 0
	s_branch .LBB215_222
.LBB215_201:
	v_mov_b32_e32 v0, 0
	s_mov_b32 s57, 0
	v_mov_b32_e32 v1, v0
                                        ; implicit-def: $vgpr2
	v_mov_b32_e32 v4, v22
.LBB215_202:
	s_and_b32 s4, s58, 3
	s_cmp_eq_u32 s4, 0
	s_cbranch_scc1 .LBB215_205
; %bb.203:
	s_lshl_b32 s0, s57, 3
	s_add_u32 s0, s34, s0
	s_addc_u32 s1, s35, 0
	s_add_u32 s0, s0, 0xc4
	s_addc_u32 s1, s1, 0
	s_mul_i32 s2, s57, 12
	s_add_u32 s2, s34, s2
	s_addc_u32 s3, s35, 0
.LBB215_204:                            ; =>This Inner Loop Header: Depth=1
	s_load_dwordx2 s[6:7], s[2:3], 0x4
	s_load_dword s5, s[2:3], 0xc
	s_load_dwordx2 s[8:9], s[0:1], 0x0
	v_mov_b32_e32 v2, v1
	s_add_u32 s2, s2, 12
	s_waitcnt lgkmcnt(0)
	v_mul_hi_u32 v1, s7, v4
	v_add_u32_e32 v1, v4, v1
	v_lshrrev_b32_e32 v1, s5, v1
	s_addc_u32 s3, s3, 0
	v_mul_lo_u32 v3, v1, s6
	s_add_u32 s0, s0, 8
	v_sub_u32_e32 v5, v4, v3
	s_addc_u32 s1, s1, 0
	s_add_i32 s4, s4, -1
	v_mov_b32_e32 v4, v1
	v_mad_u64_u32 v[2:3], s[6:7], v5, s9, v[2:3]
	v_mad_u64_u32 v[0:1], s[6:7], v5, s8, v[0:1]
	s_cmp_lg_u32 s4, 0
	v_mov_b32_e32 v1, v2
	s_cbranch_scc1 .LBB215_204
.LBB215_205:
	s_cbranch_execnz .LBB215_208
.LBB215_206:
	s_waitcnt lgkmcnt(0)
	v_mul_hi_u32 v0, s25, v22
	v_add_u32_e32 v0, v22, v0
	v_lshrrev_b32_e32 v1, s26, v0
	v_mul_lo_u32 v0, v1, s24
	v_sub_u32_e32 v0, v22, v0
	v_mul_lo_u32 v2, v0, s21
	s_andn2_b64 vcc, exec, s[42:43]
	v_mul_lo_u32 v0, v0, s20
	s_cbranch_vccnz .LBB215_208
; %bb.207:
	v_mul_hi_u32 v3, s40, v1
	v_add_u32_e32 v3, v1, v3
	v_lshrrev_b32_e32 v3, s41, v3
	v_mul_lo_u32 v3, v3, s27
	v_sub_u32_e32 v3, v1, v3
	v_mad_u64_u32 v[0:1], s[0:1], v3, s22, v[0:1]
	v_mad_u64_u32 v[2:3], s[0:1], v3, s23, v[2:3]
.LBB215_208:
	s_waitcnt lgkmcnt(0)
	global_load_ushort v1, v2, s[18:19]
	s_mov_b32 s0, 0
	s_mov_b32 s1, 0x3fd80000
	v_mov_b32_e32 v8, 0x180
	s_movk_i32 s2, 0x1ff
	s_movk_i32 s3, 0xffe
	v_mov_b32_e32 v9, 0x7c00
	s_movk_i32 s4, 0x40f
	s_mov_b32 s5, 0x8000
	v_add_u32_e32 v22, 0x80, v22
	s_waitcnt vmcnt(0)
	v_cvt_f32_f16_e32 v1, v1
	v_cvt_f64_f32_e32 v[2:3], v1
	v_rsq_f64_e32 v[4:5], v[2:3]
	v_mov_b32_e32 v1, 0x7e00
	v_mul_f64 v[2:3], v[4:5], -v[2:3]
	v_fma_f64 v[2:3], v[2:3], v[4:5], 1.0
	v_mul_f64 v[6:7], v[4:5], v[2:3]
	v_fma_f64 v[2:3], v[2:3], s[0:1], 0.5
	v_fma_f64 v[2:3], v[6:7], v[2:3], v[4:5]
	v_cmp_class_f64_e32 vcc, v[4:5], v8
	s_nop 1
	v_cndmask_b32_e32 v2, v4, v2, vcc
	v_cndmask_b32_e32 v3, v5, v3, vcc
	v_and_or_b32 v2, v3, s2, v2
	v_cmp_ne_u32_e32 vcc, 0, v2
	v_lshrrev_b32_e32 v4, 8, v3
	v_bfe_u32 v5, v3, 20, 11
	v_cndmask_b32_e64 v2, 0, 1, vcc
	v_sub_u32_e32 v6, 0x3f1, v5
	v_and_or_b32 v2, v4, s3, v2
	v_add_u32_e32 v5, 0xfffffc10, v5
	v_med3_i32 v4, v6, 0, 13
	v_or_b32_e32 v6, 0x1000, v2
	v_lshl_or_b32 v7, v5, 12, v2
	v_cmp_ne_u32_e32 vcc, 0, v2
	v_lshrrev_b32_e32 v2, v4, v6
	v_lshlrev_b32_e32 v4, v4, v2
	v_cndmask_b32_e32 v1, v9, v1, vcc
	v_cmp_ne_u32_e32 vcc, v4, v6
	v_lshrrev_b32_e32 v3, 16, v3
	s_nop 0
	v_cndmask_b32_e64 v4, 0, 1, vcc
	v_or_b32_e32 v2, v2, v4
	v_cmp_gt_i32_e32 vcc, 1, v5
	s_nop 1
	v_cndmask_b32_e32 v2, v7, v2, vcc
	v_and_b32_e32 v4, 7, v2
	v_cmp_lt_i32_e32 vcc, 5, v4
	v_lshrrev_b32_e32 v2, 2, v2
	s_nop 0
	v_cndmask_b32_e64 v6, 0, 1, vcc
	v_cmp_eq_u32_e32 vcc, 3, v4
	s_nop 1
	v_cndmask_b32_e64 v4, 0, 1, vcc
	v_or_b32_e32 v4, v4, v6
	v_add_u32_e32 v2, v2, v4
	v_cmp_gt_i32_e32 vcc, 31, v5
	s_nop 1
	v_cndmask_b32_e32 v2, v9, v2, vcc
	v_cmp_eq_u32_e32 vcc, s4, v5
	s_nop 1
	v_cndmask_b32_e32 v1, v2, v1, vcc
	v_and_or_b32 v1, v3, s5, v1
	global_store_short v0, v1, s[16:17]
	s_or_b64 exec, exec, s[48:49]
	v_cmp_gt_i32_e32 vcc, s55, v22
	s_and_saveexec_b64 s[48:49], vcc
	s_cbranch_execnz .LBB215_193
.LBB215_209:
	s_or_b64 exec, exec, s[48:49]
	v_cmp_gt_i32_e32 vcc, s55, v22
	s_and_saveexec_b64 s[48:49], vcc
	s_cbranch_execz .LBB215_226
.LBB215_210:
	s_andn2_b64 vcc, exec, s[36:37]
	s_cbranch_vccnz .LBB215_216
; %bb.211:
	s_andn2_b64 vcc, exec, s[46:47]
	s_cbranch_vccnz .LBB215_217
; %bb.212:
	s_add_i32 s58, s56, 1
	s_cmp_eq_u32 s54, 2
	s_cbranch_scc1 .LBB215_229
; %bb.213:
	s_and_b32 s57, s58, 28
	s_mov_b32 s59, 0
	v_mov_b32_e32 v0, 0
	v_mov_b32_e32 v2, 0
	s_mov_b64 s[50:51], s[34:35]
	s_mov_b64 s[52:53], s[44:45]
	v_mov_b32_e32 v4, v22
.LBB215_214:                            ; =>This Inner Loop Header: Depth=1
	s_load_dwordx8 s[8:15], s[50:51], 0x4
	s_load_dwordx4 s[28:31], s[50:51], 0x24
	s_load_dwordx8 s[0:7], s[52:53], 0x0
	s_add_u32 s50, s50, 48
	s_addc_u32 s51, s51, 0
	s_waitcnt lgkmcnt(0)
	v_mul_hi_u32 v1, s9, v4
	v_add_u32_e32 v1, v4, v1
	v_lshrrev_b32_e32 v1, s10, v1
	v_mul_lo_u32 v3, v1, s8
	v_mul_hi_u32 v5, s12, v1
	v_sub_u32_e32 v3, v4, v3
	v_add_u32_e32 v4, v1, v5
	v_lshrrev_b32_e32 v4, s13, v4
	v_mul_lo_u32 v6, v4, s11
	v_mul_hi_u32 v7, s15, v4
	v_sub_u32_e32 v1, v1, v6
	v_add_u32_e32 v6, v4, v7
	v_mul_lo_u32 v5, v3, s1
	v_mul_lo_u32 v3, v3, s0
	;; [unrolled: 1-line block ×4, first 2 shown]
	v_lshrrev_b32_e32 v6, s28, v6
	v_add3_u32 v0, v3, v0, v1
	v_mul_hi_u32 v3, s30, v6
	v_add3_u32 v1, v5, v2, v7
	v_mul_lo_u32 v2, v6, s14
	v_add_u32_e32 v3, v6, v3
	v_sub_u32_e32 v2, v4, v2
	v_lshrrev_b32_e32 v4, s31, v3
	s_add_i32 s59, s59, 4
	v_mul_lo_u32 v3, v4, s29
	s_add_u32 s52, s52, 32
	v_sub_u32_e32 v3, v6, v3
	s_addc_u32 s53, s53, 0
	v_mul_lo_u32 v5, v2, s4
	v_mul_lo_u32 v2, v2, s5
	;; [unrolled: 1-line block ×4, first 2 shown]
	s_cmp_eq_u32 s57, s59
	v_add3_u32 v2, v2, v1, v3
	v_add3_u32 v0, v5, v0, v6
	s_cbranch_scc0 .LBB215_214
; %bb.215:
	v_mov_b32_e32 v1, v2
	s_branch .LBB215_230
.LBB215_216:
                                        ; implicit-def: $vgpr2
                                        ; implicit-def: $vgpr0
	s_branch .LBB215_234
.LBB215_217:
	v_mov_b32_e32 v2, 0
	v_mov_b32_e32 v0, 0
	s_branch .LBB215_233
.LBB215_218:
	v_mov_b32_e32 v0, 0
	s_mov_b32 s57, 0
	v_mov_b32_e32 v1, v0
                                        ; implicit-def: $vgpr2
	v_mov_b32_e32 v4, v22
.LBB215_219:
	s_and_b32 s4, s58, 3
	s_cmp_eq_u32 s4, 0
	s_cbranch_scc1 .LBB215_222
; %bb.220:
	s_lshl_b32 s0, s57, 3
	s_add_u32 s0, s34, s0
	s_addc_u32 s1, s35, 0
	s_add_u32 s0, s0, 0xc4
	s_addc_u32 s1, s1, 0
	s_mul_i32 s2, s57, 12
	s_add_u32 s2, s34, s2
	s_addc_u32 s3, s35, 0
.LBB215_221:                            ; =>This Inner Loop Header: Depth=1
	s_load_dwordx2 s[6:7], s[2:3], 0x4
	s_load_dword s5, s[2:3], 0xc
	s_load_dwordx2 s[8:9], s[0:1], 0x0
	v_mov_b32_e32 v2, v1
	s_add_u32 s2, s2, 12
	s_waitcnt lgkmcnt(0)
	v_mul_hi_u32 v1, s7, v4
	v_add_u32_e32 v1, v4, v1
	v_lshrrev_b32_e32 v1, s5, v1
	s_addc_u32 s3, s3, 0
	v_mul_lo_u32 v3, v1, s6
	s_add_u32 s0, s0, 8
	v_sub_u32_e32 v5, v4, v3
	s_addc_u32 s1, s1, 0
	s_add_i32 s4, s4, -1
	v_mov_b32_e32 v4, v1
	v_mad_u64_u32 v[2:3], s[6:7], v5, s9, v[2:3]
	v_mad_u64_u32 v[0:1], s[6:7], v5, s8, v[0:1]
	s_cmp_lg_u32 s4, 0
	v_mov_b32_e32 v1, v2
	s_cbranch_scc1 .LBB215_221
.LBB215_222:
	s_cbranch_execnz .LBB215_225
.LBB215_223:
	s_waitcnt lgkmcnt(0)
	v_mul_hi_u32 v0, s25, v22
	v_add_u32_e32 v0, v22, v0
	v_lshrrev_b32_e32 v1, s26, v0
	v_mul_lo_u32 v0, v1, s24
	v_sub_u32_e32 v0, v22, v0
	v_mul_lo_u32 v2, v0, s21
	s_andn2_b64 vcc, exec, s[42:43]
	v_mul_lo_u32 v0, v0, s20
	s_cbranch_vccnz .LBB215_225
; %bb.224:
	v_mul_hi_u32 v3, s40, v1
	v_add_u32_e32 v3, v1, v3
	v_lshrrev_b32_e32 v3, s41, v3
	v_mul_lo_u32 v3, v3, s27
	v_sub_u32_e32 v3, v1, v3
	v_mad_u64_u32 v[0:1], s[0:1], v3, s22, v[0:1]
	v_mad_u64_u32 v[2:3], s[0:1], v3, s23, v[2:3]
.LBB215_225:
	s_waitcnt lgkmcnt(0)
	global_load_ushort v1, v2, s[18:19]
	s_mov_b32 s0, 0
	s_mov_b32 s1, 0x3fd80000
	v_mov_b32_e32 v8, 0x180
	s_movk_i32 s2, 0x1ff
	s_movk_i32 s3, 0xffe
	v_mov_b32_e32 v9, 0x7c00
	s_movk_i32 s4, 0x40f
	s_mov_b32 s5, 0x8000
	v_add_u32_e32 v22, 0x80, v22
	s_waitcnt vmcnt(0)
	v_cvt_f32_f16_e32 v1, v1
	v_cvt_f64_f32_e32 v[2:3], v1
	v_rsq_f64_e32 v[4:5], v[2:3]
	v_mov_b32_e32 v1, 0x7e00
	v_mul_f64 v[2:3], v[4:5], -v[2:3]
	v_fma_f64 v[2:3], v[2:3], v[4:5], 1.0
	v_mul_f64 v[6:7], v[4:5], v[2:3]
	v_fma_f64 v[2:3], v[2:3], s[0:1], 0.5
	v_fma_f64 v[2:3], v[6:7], v[2:3], v[4:5]
	v_cmp_class_f64_e32 vcc, v[4:5], v8
	s_nop 1
	v_cndmask_b32_e32 v2, v4, v2, vcc
	v_cndmask_b32_e32 v3, v5, v3, vcc
	v_and_or_b32 v2, v3, s2, v2
	v_cmp_ne_u32_e32 vcc, 0, v2
	v_lshrrev_b32_e32 v4, 8, v3
	v_bfe_u32 v5, v3, 20, 11
	v_cndmask_b32_e64 v2, 0, 1, vcc
	v_sub_u32_e32 v6, 0x3f1, v5
	v_and_or_b32 v2, v4, s3, v2
	v_add_u32_e32 v5, 0xfffffc10, v5
	v_med3_i32 v4, v6, 0, 13
	v_or_b32_e32 v6, 0x1000, v2
	v_lshl_or_b32 v7, v5, 12, v2
	v_cmp_ne_u32_e32 vcc, 0, v2
	v_lshrrev_b32_e32 v2, v4, v6
	v_lshlrev_b32_e32 v4, v4, v2
	v_cndmask_b32_e32 v1, v9, v1, vcc
	v_cmp_ne_u32_e32 vcc, v4, v6
	v_lshrrev_b32_e32 v3, 16, v3
	s_nop 0
	v_cndmask_b32_e64 v4, 0, 1, vcc
	v_or_b32_e32 v2, v2, v4
	v_cmp_gt_i32_e32 vcc, 1, v5
	s_nop 1
	v_cndmask_b32_e32 v2, v7, v2, vcc
	v_and_b32_e32 v4, 7, v2
	v_cmp_lt_i32_e32 vcc, 5, v4
	v_lshrrev_b32_e32 v2, 2, v2
	s_nop 0
	v_cndmask_b32_e64 v6, 0, 1, vcc
	v_cmp_eq_u32_e32 vcc, 3, v4
	s_nop 1
	v_cndmask_b32_e64 v4, 0, 1, vcc
	v_or_b32_e32 v4, v4, v6
	v_add_u32_e32 v2, v2, v4
	v_cmp_gt_i32_e32 vcc, 31, v5
	s_nop 1
	v_cndmask_b32_e32 v2, v9, v2, vcc
	v_cmp_eq_u32_e32 vcc, s4, v5
	s_nop 1
	v_cndmask_b32_e32 v1, v2, v1, vcc
	v_and_or_b32 v1, v3, s5, v1
	global_store_short v0, v1, s[16:17]
	s_or_b64 exec, exec, s[48:49]
	v_cmp_gt_i32_e32 vcc, s55, v22
	s_and_saveexec_b64 s[48:49], vcc
	s_cbranch_execnz .LBB215_210
.LBB215_226:
	s_or_b64 exec, exec, s[48:49]
	v_cmp_gt_i32_e32 vcc, s55, v22
	s_and_saveexec_b64 s[48:49], vcc
	s_cbranch_execnz .LBB215_237
.LBB215_227:
	s_or_b64 exec, exec, s[48:49]
                                        ; implicit-def: $vgpr32
                                        ; implicit-def: $vgpr22
	s_andn2_saveexec_b64 s[0:1], s[38:39]
	s_cbranch_execnz .LBB215_9
.LBB215_228:
	s_endpgm
.LBB215_229:
	v_mov_b32_e32 v0, 0
	s_mov_b32 s57, 0
	v_mov_b32_e32 v1, v0
                                        ; implicit-def: $vgpr2
	v_mov_b32_e32 v4, v22
.LBB215_230:
	s_and_b32 s4, s58, 3
	s_cmp_eq_u32 s4, 0
	s_cbranch_scc1 .LBB215_233
; %bb.231:
	s_lshl_b32 s0, s57, 3
	s_add_u32 s0, s34, s0
	s_addc_u32 s1, s35, 0
	s_add_u32 s0, s0, 0xc4
	s_addc_u32 s1, s1, 0
	s_mul_i32 s2, s57, 12
	s_add_u32 s2, s34, s2
	s_addc_u32 s3, s35, 0
.LBB215_232:                            ; =>This Inner Loop Header: Depth=1
	s_load_dwordx2 s[6:7], s[2:3], 0x4
	s_load_dword s5, s[2:3], 0xc
	s_load_dwordx2 s[8:9], s[0:1], 0x0
	v_mov_b32_e32 v2, v1
	s_add_u32 s2, s2, 12
	s_waitcnt lgkmcnt(0)
	v_mul_hi_u32 v1, s7, v4
	v_add_u32_e32 v1, v4, v1
	v_lshrrev_b32_e32 v1, s5, v1
	s_addc_u32 s3, s3, 0
	v_mul_lo_u32 v3, v1, s6
	s_add_u32 s0, s0, 8
	v_sub_u32_e32 v5, v4, v3
	s_addc_u32 s1, s1, 0
	s_add_i32 s4, s4, -1
	v_mov_b32_e32 v4, v1
	v_mad_u64_u32 v[2:3], s[6:7], v5, s9, v[2:3]
	v_mad_u64_u32 v[0:1], s[6:7], v5, s8, v[0:1]
	s_cmp_lg_u32 s4, 0
	v_mov_b32_e32 v1, v2
	s_cbranch_scc1 .LBB215_232
.LBB215_233:
	s_cbranch_execnz .LBB215_236
.LBB215_234:
	s_waitcnt lgkmcnt(0)
	v_mul_hi_u32 v0, s25, v22
	v_add_u32_e32 v0, v22, v0
	v_lshrrev_b32_e32 v1, s26, v0
	v_mul_lo_u32 v0, v1, s24
	v_sub_u32_e32 v0, v22, v0
	v_mul_lo_u32 v2, v0, s21
	s_andn2_b64 vcc, exec, s[42:43]
	v_mul_lo_u32 v0, v0, s20
	s_cbranch_vccnz .LBB215_236
; %bb.235:
	v_mul_hi_u32 v3, s40, v1
	v_add_u32_e32 v3, v1, v3
	v_lshrrev_b32_e32 v3, s41, v3
	v_mul_lo_u32 v3, v3, s27
	v_sub_u32_e32 v3, v1, v3
	v_mad_u64_u32 v[0:1], s[0:1], v3, s22, v[0:1]
	v_mad_u64_u32 v[2:3], s[0:1], v3, s23, v[2:3]
.LBB215_236:
	s_waitcnt lgkmcnt(0)
	global_load_ushort v1, v2, s[18:19]
	s_mov_b32 s0, 0
	s_mov_b32 s1, 0x3fd80000
	v_mov_b32_e32 v8, 0x180
	s_movk_i32 s2, 0x1ff
	s_movk_i32 s3, 0xffe
	v_mov_b32_e32 v9, 0x7c00
	s_movk_i32 s4, 0x40f
	s_mov_b32 s5, 0x8000
	v_add_u32_e32 v22, 0x80, v22
	s_waitcnt vmcnt(0)
	v_cvt_f32_f16_e32 v1, v1
	v_cvt_f64_f32_e32 v[2:3], v1
	v_rsq_f64_e32 v[4:5], v[2:3]
	v_mov_b32_e32 v1, 0x7e00
	v_mul_f64 v[2:3], v[4:5], -v[2:3]
	v_fma_f64 v[2:3], v[2:3], v[4:5], 1.0
	v_mul_f64 v[6:7], v[4:5], v[2:3]
	v_fma_f64 v[2:3], v[2:3], s[0:1], 0.5
	v_fma_f64 v[2:3], v[6:7], v[2:3], v[4:5]
	v_cmp_class_f64_e32 vcc, v[4:5], v8
	s_nop 1
	v_cndmask_b32_e32 v2, v4, v2, vcc
	v_cndmask_b32_e32 v3, v5, v3, vcc
	v_and_or_b32 v2, v3, s2, v2
	v_cmp_ne_u32_e32 vcc, 0, v2
	v_lshrrev_b32_e32 v4, 8, v3
	v_bfe_u32 v5, v3, 20, 11
	v_cndmask_b32_e64 v2, 0, 1, vcc
	v_sub_u32_e32 v6, 0x3f1, v5
	v_and_or_b32 v2, v4, s3, v2
	v_add_u32_e32 v5, 0xfffffc10, v5
	v_med3_i32 v4, v6, 0, 13
	v_or_b32_e32 v6, 0x1000, v2
	v_lshl_or_b32 v7, v5, 12, v2
	v_cmp_ne_u32_e32 vcc, 0, v2
	v_lshrrev_b32_e32 v2, v4, v6
	v_lshlrev_b32_e32 v4, v4, v2
	v_cndmask_b32_e32 v1, v9, v1, vcc
	v_cmp_ne_u32_e32 vcc, v4, v6
	v_lshrrev_b32_e32 v3, 16, v3
	s_nop 0
	v_cndmask_b32_e64 v4, 0, 1, vcc
	v_or_b32_e32 v2, v2, v4
	v_cmp_gt_i32_e32 vcc, 1, v5
	s_nop 1
	v_cndmask_b32_e32 v2, v7, v2, vcc
	v_and_b32_e32 v4, 7, v2
	v_cmp_lt_i32_e32 vcc, 5, v4
	v_lshrrev_b32_e32 v2, 2, v2
	s_nop 0
	v_cndmask_b32_e64 v6, 0, 1, vcc
	v_cmp_eq_u32_e32 vcc, 3, v4
	s_nop 1
	v_cndmask_b32_e64 v4, 0, 1, vcc
	v_or_b32_e32 v4, v4, v6
	v_add_u32_e32 v2, v2, v4
	v_cmp_gt_i32_e32 vcc, 31, v5
	s_nop 1
	v_cndmask_b32_e32 v2, v9, v2, vcc
	v_cmp_eq_u32_e32 vcc, s4, v5
	s_nop 1
	v_cndmask_b32_e32 v1, v2, v1, vcc
	v_and_or_b32 v1, v3, s5, v1
	global_store_short v0, v1, s[16:17]
	s_or_b64 exec, exec, s[48:49]
	v_cmp_gt_i32_e32 vcc, s55, v22
	s_and_saveexec_b64 s[48:49], vcc
	s_cbranch_execz .LBB215_227
.LBB215_237:
	s_andn2_b64 vcc, exec, s[36:37]
	s_cbranch_vccnz .LBB215_243
; %bb.238:
	s_andn2_b64 vcc, exec, s[46:47]
	s_cbranch_vccnz .LBB215_244
; %bb.239:
	s_add_i32 s56, s56, 1
	s_cmp_eq_u32 s54, 2
	s_cbranch_scc1 .LBB215_245
; %bb.240:
	s_and_b32 s50, s56, 28
	s_mov_b32 s51, 0
	v_mov_b32_e32 v0, 0
	v_mov_b32_e32 v2, 0
	s_mov_b64 s[46:47], s[34:35]
	v_mov_b32_e32 v4, v22
.LBB215_241:                            ; =>This Inner Loop Header: Depth=1
	s_load_dwordx8 s[8:15], s[46:47], 0x4
	s_load_dwordx4 s[28:31], s[46:47], 0x24
	s_load_dwordx8 s[0:7], s[44:45], 0x0
	s_add_u32 s46, s46, 48
	s_addc_u32 s47, s47, 0
	s_waitcnt lgkmcnt(0)
	v_mul_hi_u32 v1, s9, v4
	v_add_u32_e32 v1, v4, v1
	v_lshrrev_b32_e32 v1, s10, v1
	v_mul_lo_u32 v3, v1, s8
	v_mul_hi_u32 v5, s12, v1
	v_sub_u32_e32 v3, v4, v3
	v_add_u32_e32 v4, v1, v5
	v_lshrrev_b32_e32 v4, s13, v4
	v_mul_lo_u32 v6, v4, s11
	v_mul_hi_u32 v7, s15, v4
	v_sub_u32_e32 v1, v1, v6
	v_add_u32_e32 v6, v4, v7
	v_mul_lo_u32 v5, v3, s1
	v_mul_lo_u32 v3, v3, s0
	;; [unrolled: 1-line block ×4, first 2 shown]
	v_lshrrev_b32_e32 v6, s28, v6
	v_add3_u32 v0, v3, v0, v1
	v_mul_hi_u32 v3, s30, v6
	v_add3_u32 v1, v5, v2, v7
	v_mul_lo_u32 v2, v6, s14
	v_add_u32_e32 v3, v6, v3
	v_sub_u32_e32 v2, v4, v2
	v_lshrrev_b32_e32 v4, s31, v3
	s_add_i32 s51, s51, 4
	v_mul_lo_u32 v3, v4, s29
	s_add_u32 s44, s44, 32
	v_sub_u32_e32 v3, v6, v3
	s_addc_u32 s45, s45, 0
	v_mul_lo_u32 v5, v2, s4
	v_mul_lo_u32 v2, v2, s5
	v_mul_lo_u32 v6, v3, s6
	v_mul_lo_u32 v3, v3, s7
	s_cmp_eq_u32 s50, s51
	v_add3_u32 v2, v2, v1, v3
	v_add3_u32 v0, v5, v0, v6
	s_cbranch_scc0 .LBB215_241
; %bb.242:
	v_mov_b32_e32 v1, v2
	s_branch .LBB215_246
.LBB215_243:
                                        ; implicit-def: $vgpr2
                                        ; implicit-def: $vgpr0
	s_branch .LBB215_250
.LBB215_244:
	v_mov_b32_e32 v2, 0
	v_mov_b32_e32 v0, 0
	s_branch .LBB215_249
.LBB215_245:
	v_mov_b32_e32 v0, 0
	s_mov_b32 s50, 0
	v_mov_b32_e32 v1, v0
                                        ; implicit-def: $vgpr2
	v_mov_b32_e32 v4, v22
.LBB215_246:
	s_and_b32 s4, s56, 3
	s_cmp_eq_u32 s4, 0
	s_cbranch_scc1 .LBB215_249
; %bb.247:
	s_lshl_b32 s0, s50, 3
	s_add_u32 s0, s34, s0
	s_addc_u32 s1, s35, 0
	s_add_u32 s0, s0, 0xc4
	s_addc_u32 s1, s1, 0
	s_mul_i32 s2, s50, 12
	s_add_u32 s2, s34, s2
	s_addc_u32 s3, s35, 0
.LBB215_248:                            ; =>This Inner Loop Header: Depth=1
	s_load_dwordx2 s[6:7], s[2:3], 0x4
	s_load_dword s5, s[2:3], 0xc
	s_load_dwordx2 s[8:9], s[0:1], 0x0
	v_mov_b32_e32 v2, v1
	s_add_u32 s2, s2, 12
	s_waitcnt lgkmcnt(0)
	v_mul_hi_u32 v1, s7, v4
	v_add_u32_e32 v1, v4, v1
	v_lshrrev_b32_e32 v1, s5, v1
	s_addc_u32 s3, s3, 0
	v_mul_lo_u32 v3, v1, s6
	s_add_u32 s0, s0, 8
	v_sub_u32_e32 v5, v4, v3
	s_addc_u32 s1, s1, 0
	s_add_i32 s4, s4, -1
	v_mov_b32_e32 v4, v1
	v_mad_u64_u32 v[2:3], s[6:7], v5, s9, v[2:3]
	v_mad_u64_u32 v[0:1], s[6:7], v5, s8, v[0:1]
	s_cmp_lg_u32 s4, 0
	v_mov_b32_e32 v1, v2
	s_cbranch_scc1 .LBB215_248
.LBB215_249:
	s_cbranch_execnz .LBB215_252
.LBB215_250:
	s_waitcnt lgkmcnt(0)
	v_mul_hi_u32 v0, s25, v22
	v_add_u32_e32 v0, v22, v0
	v_lshrrev_b32_e32 v1, s26, v0
	v_mul_lo_u32 v0, v1, s24
	v_sub_u32_e32 v0, v22, v0
	v_mul_lo_u32 v2, v0, s21
	s_andn2_b64 vcc, exec, s[42:43]
	v_mul_lo_u32 v0, v0, s20
	s_cbranch_vccnz .LBB215_252
; %bb.251:
	v_mul_hi_u32 v3, s40, v1
	v_add_u32_e32 v3, v1, v3
	v_lshrrev_b32_e32 v3, s41, v3
	v_mul_lo_u32 v3, v3, s27
	v_sub_u32_e32 v3, v1, v3
	v_mad_u64_u32 v[0:1], s[0:1], v3, s22, v[0:1]
	v_mad_u64_u32 v[2:3], s[0:1], v3, s23, v[2:3]
.LBB215_252:
	s_waitcnt lgkmcnt(0)
	global_load_ushort v1, v2, s[18:19]
	s_mov_b32 s0, 0
	s_mov_b32 s1, 0x3fd80000
	v_mov_b32_e32 v8, 0x180
	s_movk_i32 s2, 0x1ff
	s_movk_i32 s3, 0xffe
	v_mov_b32_e32 v9, 0x7e00
	s_movk_i32 s4, 0x40f
	s_waitcnt vmcnt(0)
	v_cvt_f32_f16_e32 v1, v1
	v_cvt_f64_f32_e32 v[2:3], v1
	v_rsq_f64_e32 v[4:5], v[2:3]
	v_mov_b32_e32 v1, 0x7c00
	v_mul_f64 v[2:3], v[4:5], -v[2:3]
	v_fma_f64 v[2:3], v[2:3], v[4:5], 1.0
	v_mul_f64 v[6:7], v[4:5], v[2:3]
	v_fma_f64 v[2:3], v[2:3], s[0:1], 0.5
	v_fma_f64 v[2:3], v[6:7], v[2:3], v[4:5]
	v_cmp_class_f64_e32 vcc, v[4:5], v8
	s_mov_b32 s0, 0x8000
	s_nop 0
	v_cndmask_b32_e32 v2, v4, v2, vcc
	v_cndmask_b32_e32 v3, v5, v3, vcc
	v_and_or_b32 v2, v3, s2, v2
	v_cmp_ne_u32_e32 vcc, 0, v2
	v_lshrrev_b32_e32 v4, 8, v3
	v_bfe_u32 v5, v3, 20, 11
	v_cndmask_b32_e64 v2, 0, 1, vcc
	v_sub_u32_e32 v6, 0x3f1, v5
	v_and_or_b32 v2, v4, s3, v2
	v_med3_i32 v4, v6, 0, 13
	v_or_b32_e32 v6, 0x1000, v2
	v_lshrrev_b32_e32 v8, v4, v6
	v_add_u32_e32 v5, 0xfffffc10, v5
	v_cmp_ne_u32_e32 vcc, 0, v2
	v_lshlrev_b32_e32 v4, v4, v8
	v_lshl_or_b32 v7, v5, 12, v2
	v_cndmask_b32_e32 v2, v1, v9, vcc
	v_cmp_ne_u32_e32 vcc, v4, v6
	v_lshrrev_b32_e32 v3, 16, v3
	s_nop 0
	v_cndmask_b32_e64 v4, 0, 1, vcc
	v_or_b32_e32 v4, v8, v4
	v_cmp_gt_i32_e32 vcc, 1, v5
	s_nop 1
	v_cndmask_b32_e32 v4, v7, v4, vcc
	v_and_b32_e32 v6, 7, v4
	v_cmp_lt_i32_e32 vcc, 5, v6
	v_lshrrev_b32_e32 v4, 2, v4
	s_nop 0
	v_cndmask_b32_e64 v7, 0, 1, vcc
	v_cmp_eq_u32_e32 vcc, 3, v6
	s_nop 1
	v_cndmask_b32_e64 v6, 0, 1, vcc
	v_or_b32_e32 v6, v6, v7
	v_add_u32_e32 v4, v4, v6
	v_cmp_gt_i32_e32 vcc, 31, v5
	s_nop 1
	v_cndmask_b32_e32 v1, v1, v4, vcc
	v_cmp_eq_u32_e32 vcc, s4, v5
	s_nop 1
	v_cndmask_b32_e32 v1, v1, v2, vcc
	v_and_or_b32 v1, v3, s0, v1
	global_store_short v0, v1, s[16:17]
	s_or_b64 exec, exec, s[48:49]
                                        ; implicit-def: $vgpr32
                                        ; implicit-def: $vgpr22
	s_andn2_saveexec_b64 s[0:1], s[38:39]
	s_cbranch_execz .LBB215_228
	s_branch .LBB215_9
	.section	.rodata,"a",@progbits
	.p2align	6, 0x0
	.amdhsa_kernel _ZN2at6native32elementwise_kernel_manual_unrollILi128ELi8EZNS0_22gpu_kernel_impl_nocastIZZZNS0_17rsqrt_kernel_cudaERNS_18TensorIteratorBaseEENKUlvE0_clEvENKUlvE2_clEvEUlN3c104HalfEE_EEvS4_RKT_EUlibE_EEviT1_
		.amdhsa_group_segment_fixed_size 0
		.amdhsa_private_segment_fixed_size 0
		.amdhsa_kernarg_size 360
		.amdhsa_user_sgpr_count 2
		.amdhsa_user_sgpr_dispatch_ptr 0
		.amdhsa_user_sgpr_queue_ptr 0
		.amdhsa_user_sgpr_kernarg_segment_ptr 1
		.amdhsa_user_sgpr_dispatch_id 0
		.amdhsa_user_sgpr_kernarg_preload_length 0
		.amdhsa_user_sgpr_kernarg_preload_offset 0
		.amdhsa_user_sgpr_private_segment_size 0
		.amdhsa_uses_dynamic_stack 0
		.amdhsa_enable_private_segment 0
		.amdhsa_system_sgpr_workgroup_id_x 1
		.amdhsa_system_sgpr_workgroup_id_y 0
		.amdhsa_system_sgpr_workgroup_id_z 0
		.amdhsa_system_sgpr_workgroup_info 0
		.amdhsa_system_vgpr_workitem_id 0
		.amdhsa_next_free_vgpr 40
		.amdhsa_next_free_sgpr 60
		.amdhsa_accum_offset 40
		.amdhsa_reserve_vcc 1
		.amdhsa_float_round_mode_32 0
		.amdhsa_float_round_mode_16_64 0
		.amdhsa_float_denorm_mode_32 3
		.amdhsa_float_denorm_mode_16_64 3
		.amdhsa_dx10_clamp 1
		.amdhsa_ieee_mode 1
		.amdhsa_fp16_overflow 0
		.amdhsa_tg_split 0
		.amdhsa_exception_fp_ieee_invalid_op 0
		.amdhsa_exception_fp_denorm_src 0
		.amdhsa_exception_fp_ieee_div_zero 0
		.amdhsa_exception_fp_ieee_overflow 0
		.amdhsa_exception_fp_ieee_underflow 0
		.amdhsa_exception_fp_ieee_inexact 0
		.amdhsa_exception_int_div_zero 0
	.end_amdhsa_kernel
	.section	.text._ZN2at6native32elementwise_kernel_manual_unrollILi128ELi8EZNS0_22gpu_kernel_impl_nocastIZZZNS0_17rsqrt_kernel_cudaERNS_18TensorIteratorBaseEENKUlvE0_clEvENKUlvE2_clEvEUlN3c104HalfEE_EEvS4_RKT_EUlibE_EEviT1_,"axG",@progbits,_ZN2at6native32elementwise_kernel_manual_unrollILi128ELi8EZNS0_22gpu_kernel_impl_nocastIZZZNS0_17rsqrt_kernel_cudaERNS_18TensorIteratorBaseEENKUlvE0_clEvENKUlvE2_clEvEUlN3c104HalfEE_EEvS4_RKT_EUlibE_EEviT1_,comdat
.Lfunc_end215:
	.size	_ZN2at6native32elementwise_kernel_manual_unrollILi128ELi8EZNS0_22gpu_kernel_impl_nocastIZZZNS0_17rsqrt_kernel_cudaERNS_18TensorIteratorBaseEENKUlvE0_clEvENKUlvE2_clEvEUlN3c104HalfEE_EEvS4_RKT_EUlibE_EEviT1_, .Lfunc_end215-_ZN2at6native32elementwise_kernel_manual_unrollILi128ELi8EZNS0_22gpu_kernel_impl_nocastIZZZNS0_17rsqrt_kernel_cudaERNS_18TensorIteratorBaseEENKUlvE0_clEvENKUlvE2_clEvEUlN3c104HalfEE_EEvS4_RKT_EUlibE_EEviT1_
                                        ; -- End function
	.set _ZN2at6native32elementwise_kernel_manual_unrollILi128ELi8EZNS0_22gpu_kernel_impl_nocastIZZZNS0_17rsqrt_kernel_cudaERNS_18TensorIteratorBaseEENKUlvE0_clEvENKUlvE2_clEvEUlN3c104HalfEE_EEvS4_RKT_EUlibE_EEviT1_.num_vgpr, 40
	.set _ZN2at6native32elementwise_kernel_manual_unrollILi128ELi8EZNS0_22gpu_kernel_impl_nocastIZZZNS0_17rsqrt_kernel_cudaERNS_18TensorIteratorBaseEENKUlvE0_clEvENKUlvE2_clEvEUlN3c104HalfEE_EEvS4_RKT_EUlibE_EEviT1_.num_agpr, 0
	.set _ZN2at6native32elementwise_kernel_manual_unrollILi128ELi8EZNS0_22gpu_kernel_impl_nocastIZZZNS0_17rsqrt_kernel_cudaERNS_18TensorIteratorBaseEENKUlvE0_clEvENKUlvE2_clEvEUlN3c104HalfEE_EEvS4_RKT_EUlibE_EEviT1_.numbered_sgpr, 60
	.set _ZN2at6native32elementwise_kernel_manual_unrollILi128ELi8EZNS0_22gpu_kernel_impl_nocastIZZZNS0_17rsqrt_kernel_cudaERNS_18TensorIteratorBaseEENKUlvE0_clEvENKUlvE2_clEvEUlN3c104HalfEE_EEvS4_RKT_EUlibE_EEviT1_.num_named_barrier, 0
	.set _ZN2at6native32elementwise_kernel_manual_unrollILi128ELi8EZNS0_22gpu_kernel_impl_nocastIZZZNS0_17rsqrt_kernel_cudaERNS_18TensorIteratorBaseEENKUlvE0_clEvENKUlvE2_clEvEUlN3c104HalfEE_EEvS4_RKT_EUlibE_EEviT1_.private_seg_size, 0
	.set _ZN2at6native32elementwise_kernel_manual_unrollILi128ELi8EZNS0_22gpu_kernel_impl_nocastIZZZNS0_17rsqrt_kernel_cudaERNS_18TensorIteratorBaseEENKUlvE0_clEvENKUlvE2_clEvEUlN3c104HalfEE_EEvS4_RKT_EUlibE_EEviT1_.uses_vcc, 1
	.set _ZN2at6native32elementwise_kernel_manual_unrollILi128ELi8EZNS0_22gpu_kernel_impl_nocastIZZZNS0_17rsqrt_kernel_cudaERNS_18TensorIteratorBaseEENKUlvE0_clEvENKUlvE2_clEvEUlN3c104HalfEE_EEvS4_RKT_EUlibE_EEviT1_.uses_flat_scratch, 0
	.set _ZN2at6native32elementwise_kernel_manual_unrollILi128ELi8EZNS0_22gpu_kernel_impl_nocastIZZZNS0_17rsqrt_kernel_cudaERNS_18TensorIteratorBaseEENKUlvE0_clEvENKUlvE2_clEvEUlN3c104HalfEE_EEvS4_RKT_EUlibE_EEviT1_.has_dyn_sized_stack, 0
	.set _ZN2at6native32elementwise_kernel_manual_unrollILi128ELi8EZNS0_22gpu_kernel_impl_nocastIZZZNS0_17rsqrt_kernel_cudaERNS_18TensorIteratorBaseEENKUlvE0_clEvENKUlvE2_clEvEUlN3c104HalfEE_EEvS4_RKT_EUlibE_EEviT1_.has_recursion, 0
	.set _ZN2at6native32elementwise_kernel_manual_unrollILi128ELi8EZNS0_22gpu_kernel_impl_nocastIZZZNS0_17rsqrt_kernel_cudaERNS_18TensorIteratorBaseEENKUlvE0_clEvENKUlvE2_clEvEUlN3c104HalfEE_EEvS4_RKT_EUlibE_EEviT1_.has_indirect_call, 0
	.section	.AMDGPU.csdata,"",@progbits
; Kernel info:
; codeLenInByte = 16424
; TotalNumSgprs: 66
; NumVgprs: 40
; NumAgprs: 0
; TotalNumVgprs: 40
; ScratchSize: 0
; MemoryBound: 0
; FloatMode: 240
; IeeeMode: 1
; LDSByteSize: 0 bytes/workgroup (compile time only)
; SGPRBlocks: 8
; VGPRBlocks: 4
; NumSGPRsForWavesPerEU: 66
; NumVGPRsForWavesPerEU: 40
; AccumOffset: 40
; Occupancy: 8
; WaveLimiterHint : 1
; COMPUTE_PGM_RSRC2:SCRATCH_EN: 0
; COMPUTE_PGM_RSRC2:USER_SGPR: 2
; COMPUTE_PGM_RSRC2:TRAP_HANDLER: 0
; COMPUTE_PGM_RSRC2:TGID_X_EN: 1
; COMPUTE_PGM_RSRC2:TGID_Y_EN: 0
; COMPUTE_PGM_RSRC2:TGID_Z_EN: 0
; COMPUTE_PGM_RSRC2:TIDIG_COMP_CNT: 0
; COMPUTE_PGM_RSRC3_GFX90A:ACCUM_OFFSET: 9
; COMPUTE_PGM_RSRC3_GFX90A:TG_SPLIT: 0
	.section	.text._ZN2at6native32elementwise_kernel_manual_unrollILi128ELi4EZNS0_15gpu_kernel_implIZZZNS0_17rsqrt_kernel_cudaERNS_18TensorIteratorBaseEENKUlvE0_clEvENKUlvE2_clEvEUlN3c104HalfEE_EEvS4_RKT_EUlibE_EEviT1_,"axG",@progbits,_ZN2at6native32elementwise_kernel_manual_unrollILi128ELi4EZNS0_15gpu_kernel_implIZZZNS0_17rsqrt_kernel_cudaERNS_18TensorIteratorBaseEENKUlvE0_clEvENKUlvE2_clEvEUlN3c104HalfEE_EEvS4_RKT_EUlibE_EEviT1_,comdat
	.globl	_ZN2at6native32elementwise_kernel_manual_unrollILi128ELi4EZNS0_15gpu_kernel_implIZZZNS0_17rsqrt_kernel_cudaERNS_18TensorIteratorBaseEENKUlvE0_clEvENKUlvE2_clEvEUlN3c104HalfEE_EEvS4_RKT_EUlibE_EEviT1_ ; -- Begin function _ZN2at6native32elementwise_kernel_manual_unrollILi128ELi4EZNS0_15gpu_kernel_implIZZZNS0_17rsqrt_kernel_cudaERNS_18TensorIteratorBaseEENKUlvE0_clEvENKUlvE2_clEvEUlN3c104HalfEE_EEvS4_RKT_EUlibE_EEviT1_
	.p2align	8
	.type	_ZN2at6native32elementwise_kernel_manual_unrollILi128ELi4EZNS0_15gpu_kernel_implIZZZNS0_17rsqrt_kernel_cudaERNS_18TensorIteratorBaseEENKUlvE0_clEvENKUlvE2_clEvEUlN3c104HalfEE_EEvS4_RKT_EUlibE_EEviT1_,@function
_ZN2at6native32elementwise_kernel_manual_unrollILi128ELi4EZNS0_15gpu_kernel_implIZZZNS0_17rsqrt_kernel_cudaERNS_18TensorIteratorBaseEENKUlvE0_clEvENKUlvE2_clEvEUlN3c104HalfEE_EEvS4_RKT_EUlibE_EEviT1_: ; @_ZN2at6native32elementwise_kernel_manual_unrollILi128ELi4EZNS0_15gpu_kernel_implIZZZNS0_17rsqrt_kernel_cudaERNS_18TensorIteratorBaseEENKUlvE0_clEvENKUlvE2_clEvEUlN3c104HalfEE_EEvS4_RKT_EUlibE_EEviT1_
; %bb.0:
	v_mov_b32_e32 v1, 0
	global_load_ushort v1, v1, s[0:1] offset:33
	s_load_dwordx4 s[4:7], s[0:1], 0x8
	s_load_dwordx2 s[8:9], s[0:1], 0x18
	s_load_dword s38, s[0:1], 0x0
	v_lshl_or_b32 v4, s2, 9, v0
	v_or_b32_e32 v0, 0x180, v4
	s_mov_b64 s[10:11], 0
	s_mov_b64 s[12:13], 0
	s_waitcnt lgkmcnt(0)
	v_cmp_le_i32_e32 vcc, s38, v0
	s_waitcnt vmcnt(0)
	v_readfirstlane_b32 s33, v1
	s_and_b32 s0, 0xffff, s33
	s_lshr_b32 s42, s0, 8
	s_and_saveexec_b64 s[0:1], vcc
	s_xor_b64 s[2:3], exec, s[0:1]
	s_cbranch_execz .LBB216_1027
; %bb.1:
	v_cmp_gt_i32_e32 vcc, s38, v4
	s_mov_b64 s[18:19], -1
	s_mov_b64 s[20:21], 0
	s_mov_b64 s[14:15], 0
	s_and_saveexec_b64 s[16:17], vcc
	s_cbranch_execz .LBB216_252
; %bb.2:
	v_mul_lo_u32 v0, v4, s9
	v_ashrrev_i32_e32 v1, 31, v0
	s_and_b32 s22, 0xffff, s42
	s_cmp_lt_i32 s22, 11
	v_lshl_add_u64 v[0:1], s[6:7], 0, v[0:1]
	s_cbranch_scc1 .LBB216_9
; %bb.3:
	s_cmp_gt_i32 s22, 25
	s_cbranch_scc0 .LBB216_18
; %bb.4:
	s_cmp_gt_i32 s22, 28
	s_cbranch_scc0 .LBB216_22
	;; [unrolled: 3-line block ×4, first 2 shown]
; %bb.7:
	s_cmp_eq_u32 s22, 46
	s_cbranch_scc0 .LBB216_28
; %bb.8:
	global_load_dword v2, v[0:1], off
	s_mov_b64 s[0:1], -1
	s_waitcnt vmcnt(0)
	v_lshlrev_b32_e32 v2, 16, v2
	v_cvt_f16_f32_e32 v2, v2
	s_branch .LBB216_30
.LBB216_9:
                                        ; implicit-def: $vgpr2
	s_mov_b64 s[0:1], 0
	s_cbranch_execnz .LBB216_203
.LBB216_10:
	s_andn2_b64 vcc, exec, s[0:1]
	s_cbranch_vccnz .LBB216_250
.LBB216_11:
	s_waitcnt vmcnt(0)
	v_cvt_f32_f16_e32 v0, v2
	s_mov_b32 s0, 0
	s_mov_b32 s1, 0x3fd80000
	v_mov_b32_e32 v5, 0x180
	v_cvt_f64_f32_e32 v[0:1], v0
	v_rsq_f64_e32 v[2:3], v[0:1]
	s_and_b32 s24, s33, 0xff
	s_cmp_lt_i32 s24, 11
	v_mul_f64 v[0:1], v[2:3], -v[0:1]
	v_fma_f64 v[0:1], v[0:1], v[2:3], 1.0
	v_mul_f64 v[6:7], v[2:3], v[0:1]
	v_fma_f64 v[0:1], v[0:1], s[0:1], 0.5
	v_fma_f64 v[0:1], v[6:7], v[0:1], v[2:3]
	v_cmp_class_f64_e32 vcc, v[2:3], v5
	s_movk_i32 s0, 0x1ff
	s_nop 0
	v_cndmask_b32_e32 v0, v2, v0, vcc
	v_cndmask_b32_e32 v1, v3, v1, vcc
	v_and_or_b32 v0, v1, s0, v0
	v_cmp_ne_u32_e32 vcc, 0, v0
	v_lshrrev_b32_e32 v2, 8, v1
	s_movk_i32 s0, 0xffe
	v_cndmask_b32_e64 v0, 0, 1, vcc
	v_bfe_u32 v3, v1, 20, 11
	v_and_or_b32 v0, v2, s0, v0
	v_sub_u32_e32 v5, 0x3f1, v3
	v_or_b32_e32 v2, 0x1000, v0
	v_med3_i32 v5, v5, 0, 13
	v_lshrrev_b32_e32 v6, v5, v2
	v_lshlrev_b32_e32 v5, v5, v6
	v_cmp_ne_u32_e32 vcc, v5, v2
	v_add_u32_e32 v3, 0xfffffc10, v3
	v_lshl_or_b32 v5, v3, 12, v0
	v_cndmask_b32_e64 v2, 0, 1, vcc
	v_or_b32_e32 v2, v6, v2
	v_cmp_gt_i32_e32 vcc, 1, v3
	s_movk_i32 s0, 0x40f
	v_lshrrev_b32_e32 v1, 16, v1
	v_cndmask_b32_e32 v2, v5, v2, vcc
	v_and_b32_e32 v5, 7, v2
	v_cmp_lt_i32_e32 vcc, 5, v5
	v_lshrrev_b32_e32 v2, 2, v2
	s_nop 0
	v_cndmask_b32_e64 v6, 0, 1, vcc
	v_cmp_eq_u32_e32 vcc, 3, v5
	s_nop 1
	v_cndmask_b32_e64 v5, 0, 1, vcc
	v_or_b32_e32 v5, v5, v6
	v_add_u32_e32 v2, v2, v5
	v_mov_b32_e32 v5, 0x7c00
	v_cmp_gt_i32_e32 vcc, 31, v3
	v_mov_b32_e32 v6, 0x7e00
	s_nop 0
	v_cndmask_b32_e32 v2, v5, v2, vcc
	v_cmp_ne_u32_e32 vcc, 0, v0
	s_nop 1
	v_cndmask_b32_e32 v0, v5, v6, vcc
	v_cmp_eq_u32_e32 vcc, s0, v3
	s_mov_b32 s0, 0x8000
	s_nop 0
	v_cndmask_b32_e32 v0, v2, v0, vcc
	v_and_or_b32 v2, v1, s0, v0
	v_mul_lo_u32 v0, v4, s8
	v_ashrrev_i32_e32 v1, 31, v0
	v_lshl_add_u64 v[0:1], s[4:5], 0, v[0:1]
	s_cbranch_scc1 .LBB216_19
; %bb.12:
	s_and_b32 s25, 0xffff, s24
	s_cmp_gt_i32 s25, 25
	s_cbranch_scc0 .LBB216_23
; %bb.13:
	s_cmp_gt_i32 s25, 28
	s_cbranch_scc0 .LBB216_25
; %bb.14:
	;; [unrolled: 3-line block ×4, first 2 shown]
	s_mov_b64 s[18:19], 0
	s_mov_b64 s[0:1], -1
	s_cmp_eq_u32 s25, 46
	s_mov_b64 s[12:13], 0
	s_cbranch_scc0 .LBB216_34
; %bb.17:
	v_cvt_f32_f16_e32 v3, v2
	s_movk_i32 s0, 0x7fff
	v_cmp_o_f16_e32 vcc, v2, v2
	v_mov_b32_e32 v5, 0x7fc0
	v_bfe_u32 v6, v3, 16, 1
	v_add3_u32 v3, v3, v6, s0
	v_cndmask_b32_sdwa v3, v5, v3, vcc dst_sel:DWORD dst_unused:UNUSED_PAD src0_sel:DWORD src1_sel:WORD_1
	global_store_dword v[0:1], v3, off
	s_mov_b64 s[12:13], -1
	s_mov_b64 s[0:1], 0
	s_branch .LBB216_34
.LBB216_18:
	s_mov_b64 s[0:1], 0
                                        ; implicit-def: $vgpr2
	s_cbranch_execnz .LBB216_168
	s_branch .LBB216_202
.LBB216_19:
	s_mov_b64 s[0:1], 0
	s_mov_b64 s[12:13], 0
	s_cbranch_execnz .LBB216_103
.LBB216_20:
	s_andn2_b64 vcc, exec, s[12:13]
	s_cbranch_vccnz .LBB216_141
.LBB216_21:
	v_add_u32_e32 v4, 0x80, v4
	s_mov_b64 s[18:19], -1
	s_branch .LBB216_251
.LBB216_22:
	s_mov_b64 s[12:13], -1
	s_mov_b64 s[0:1], 0
                                        ; implicit-def: $vgpr2
	s_branch .LBB216_149
.LBB216_23:
	s_mov_b64 s[18:19], -1
	s_mov_b64 s[0:1], 0
	s_mov_b64 s[12:13], 0
	s_branch .LBB216_61
.LBB216_24:
	s_mov_b64 s[12:13], -1
	s_mov_b64 s[0:1], 0
                                        ; implicit-def: $vgpr2
	s_branch .LBB216_144
.LBB216_25:
	s_mov_b64 s[18:19], -1
	s_mov_b64 s[0:1], 0
	s_mov_b64 s[12:13], 0
	s_branch .LBB216_44
.LBB216_26:
	s_mov_b64 s[12:13], -1
	s_branch .LBB216_29
.LBB216_27:
	s_mov_b64 s[18:19], -1
	s_mov_b64 s[0:1], 0
	s_mov_b64 s[12:13], 0
	s_branch .LBB216_40
.LBB216_28:
	s_mov_b64 s[14:15], -1
.LBB216_29:
	s_mov_b64 s[0:1], 0
                                        ; implicit-def: $vgpr2
.LBB216_30:
	s_and_b64 vcc, exec, s[12:13]
	s_cbranch_vccz .LBB216_143
; %bb.31:
	s_cmp_eq_u32 s22, 44
	s_cbranch_scc0 .LBB216_142
; %bb.32:
	global_load_ubyte v2, v[0:1], off
	s_movk_i32 s12, 0xff
	v_mov_b32_e32 v5, 0x7e00
	s_mov_b64 s[0:1], -1
	s_mov_b64 s[14:15], 0
	s_waitcnt vmcnt(0)
	v_lshlrev_b32_e32 v3, 23, v2
	v_cvt_f16_f32_e32 v3, v3
	v_cmp_ne_u32_e32 vcc, s12, v2
	s_nop 1
	v_cndmask_b32_e32 v3, v5, v3, vcc
	v_cmp_ne_u32_e32 vcc, 0, v2
	s_nop 1
	v_cndmask_b32_e32 v2, 0, v3, vcc
	s_branch .LBB216_143
.LBB216_33:
	s_mov_b64 s[18:19], -1
	s_mov_b64 s[0:1], 0
	s_mov_b64 s[12:13], 0
.LBB216_34:
	s_and_b64 vcc, exec, s[18:19]
	s_cbranch_vccz .LBB216_39
; %bb.35:
	s_cmp_eq_u32 s25, 44
	s_mov_b64 s[0:1], -1
	s_cbranch_scc0 .LBB216_39
; %bb.36:
	v_cvt_f32_f16_e32 v3, v2
	s_movk_i32 s0, 0xff
	v_mov_b32_e32 v6, 0xff
	v_bfe_u32 v5, v3, 23, 8
	v_cmp_ne_u32_e32 vcc, s0, v5
	s_and_saveexec_b64 s[12:13], vcc
; %bb.37:
	s_mov_b32 s0, 0x3fffff
	v_lshrrev_b32_e32 v6, 23, v3
	v_and_b32_e32 v7, 0x400000, v3
	v_and_or_b32 v3, v3, s0, v5
	v_cmp_ne_u32_e32 vcc, 0, v7
	v_cmp_ne_u32_e64 s[0:1], 0, v3
	s_and_b64 s[0:1], vcc, s[0:1]
	s_nop 0
	v_cndmask_b32_e64 v3, 0, 1, s[0:1]
	v_add_u32_e32 v6, v6, v3
; %bb.38:
	s_or_b64 exec, exec, s[12:13]
	s_mov_b64 s[12:13], -1
	s_mov_b64 s[0:1], 0
	global_store_byte v[0:1], v6, off
.LBB216_39:
	s_mov_b64 s[18:19], 0
.LBB216_40:
	s_and_b64 vcc, exec, s[18:19]
	s_cbranch_vccz .LBB216_43
; %bb.41:
	s_cmp_eq_u32 s25, 29
	s_mov_b64 s[0:1], -1
	s_cbranch_scc0 .LBB216_43
; %bb.42:
	v_cvt_f32_f16_e32 v3, v2
	v_mov_b32_e32 v7, 0
	s_mov_b64 s[12:13], -1
	s_mov_b64 s[0:1], 0
	v_cvt_u32_f32_e32 v6, v3
	s_mov_b64 s[18:19], 0
	global_store_dwordx2 v[0:1], v[6:7], off
	s_branch .LBB216_44
.LBB216_43:
	s_mov_b64 s[18:19], 0
.LBB216_44:
	s_and_b64 vcc, exec, s[18:19]
	s_cbranch_vccz .LBB216_60
; %bb.45:
	s_cmp_lt_i32 s25, 27
	s_mov_b64 s[12:13], -1
	s_cbranch_scc1 .LBB216_51
; %bb.46:
	s_cmp_gt_i32 s25, 27
	s_cbranch_scc0 .LBB216_48
; %bb.47:
	v_cvt_f32_f16_e32 v3, v2
	s_mov_b64 s[12:13], 0
	v_cvt_u32_f32_e32 v3, v3
	global_store_dword v[0:1], v3, off
.LBB216_48:
	s_andn2_b64 vcc, exec, s[12:13]
	s_cbranch_vccnz .LBB216_50
; %bb.49:
	v_cvt_u16_f16_e32 v3, v2
	global_store_short v[0:1], v3, off
.LBB216_50:
	s_mov_b64 s[12:13], 0
.LBB216_51:
	s_andn2_b64 vcc, exec, s[12:13]
	s_cbranch_vccnz .LBB216_59
; %bb.52:
	v_cvt_f32_f16_e32 v3, v2
	s_mov_b32 s12, 0x43800000
	v_mov_b32_e32 v6, 0x80
	v_and_b32_e32 v5, 0x7fffffff, v3
	v_cmp_gt_u32_e32 vcc, s12, v5
	s_and_saveexec_b64 s[12:13], vcc
	s_cbranch_execz .LBB216_58
; %bb.53:
	s_mov_b32 s18, 0x3bffffff
	v_cmp_lt_u32_e32 vcc, s18, v5
	s_mov_b64 s[18:19], 0
                                        ; implicit-def: $vgpr5
	s_and_saveexec_b64 s[22:23], vcc
	s_xor_b64 s[22:23], exec, s[22:23]
	s_cbranch_execz .LBB216_279
; %bb.54:
	v_bfe_u32 v5, v3, 20, 1
	s_mov_b32 s26, 0x487ffff
	v_add3_u32 v5, v3, v5, s26
	s_mov_b64 s[18:19], exec
	v_lshrrev_b32_e32 v5, 20, v5
	s_andn2_saveexec_b64 s[22:23], s[22:23]
	s_cbranch_execnz .LBB216_280
.LBB216_55:
	s_or_b64 exec, exec, s[22:23]
	v_mov_b32_e32 v6, 0
	s_and_saveexec_b64 s[22:23], s[18:19]
.LBB216_56:
	v_lshrrev_b32_e32 v3, 24, v3
	s_movk_i32 s18, 0x80
	v_and_or_b32 v6, v3, s18, v5
.LBB216_57:
	s_or_b64 exec, exec, s[22:23]
.LBB216_58:
	s_or_b64 exec, exec, s[12:13]
	global_store_byte v[0:1], v6, off
.LBB216_59:
	s_mov_b64 s[12:13], -1
.LBB216_60:
	s_mov_b64 s[18:19], 0
.LBB216_61:
	s_and_b64 vcc, exec, s[18:19]
	s_cbranch_vccz .LBB216_102
; %bb.62:
	s_cmp_gt_i32 s25, 22
	s_mov_b64 s[18:19], -1
	s_cbranch_scc0 .LBB216_94
; %bb.63:
	s_cmp_lt_i32 s25, 24
	s_mov_b64 s[12:13], -1
	s_cbranch_scc1 .LBB216_83
; %bb.64:
	s_cmp_gt_i32 s25, 24
	s_cbranch_scc0 .LBB216_72
; %bb.65:
	v_cvt_f32_f16_e32 v3, v2
	s_mov_b32 s12, 0x47800000
	v_mov_b32_e32 v6, 0x80
	v_and_b32_e32 v5, 0x7fffffff, v3
	v_cmp_gt_u32_e32 vcc, s12, v5
	s_and_saveexec_b64 s[12:13], vcc
	s_cbranch_execz .LBB216_71
; %bb.66:
	s_mov_b32 s18, 0x37ffffff
	v_cmp_lt_u32_e32 vcc, s18, v5
	s_mov_b64 s[18:19], 0
                                        ; implicit-def: $vgpr5
	s_and_saveexec_b64 s[22:23], vcc
	s_xor_b64 s[22:23], exec, s[22:23]
	s_cbranch_execz .LBB216_283
; %bb.67:
	v_bfe_u32 v5, v3, 21, 1
	s_mov_b32 s26, 0x88fffff
	v_add3_u32 v5, v3, v5, s26
	s_mov_b64 s[18:19], exec
	v_lshrrev_b32_e32 v5, 21, v5
	s_andn2_saveexec_b64 s[22:23], s[22:23]
	s_cbranch_execnz .LBB216_284
.LBB216_68:
	s_or_b64 exec, exec, s[22:23]
	v_mov_b32_e32 v6, 0
	s_and_saveexec_b64 s[22:23], s[18:19]
.LBB216_69:
	v_lshrrev_b32_e32 v3, 24, v3
	s_movk_i32 s18, 0x80
	v_and_or_b32 v6, v3, s18, v5
.LBB216_70:
	s_or_b64 exec, exec, s[22:23]
.LBB216_71:
	s_or_b64 exec, exec, s[12:13]
	s_mov_b64 s[12:13], 0
	global_store_byte v[0:1], v6, off
.LBB216_72:
	s_and_b64 vcc, exec, s[12:13]
	s_cbranch_vccz .LBB216_82
; %bb.73:
	v_cvt_f32_f16_e32 v3, v2
	s_mov_b32 s12, 0x43f00000
                                        ; implicit-def: $vgpr5
	v_and_b32_e32 v6, 0x7fffffff, v3
	v_cmp_gt_u32_e32 vcc, s12, v6
	s_and_saveexec_b64 s[12:13], vcc
	s_xor_b64 s[12:13], exec, s[12:13]
	s_cbranch_execz .LBB216_79
; %bb.74:
	s_mov_b32 s18, 0x3c7fffff
	v_cmp_lt_u32_e32 vcc, s18, v6
                                        ; implicit-def: $vgpr5
	s_and_saveexec_b64 s[18:19], vcc
	s_xor_b64 s[18:19], exec, s[18:19]
; %bb.75:
	v_bfe_u32 v5, v3, 20, 1
	s_mov_b32 s22, 0x407ffff
	v_add3_u32 v5, v3, v5, s22
	v_lshrrev_b32_e32 v6, 20, v5
	v_and_b32_e32 v5, 0xff00000, v5
	s_mov_b32 s22, 0x7f00000
	v_mov_b32_e32 v7, 0x7e
	v_cmp_ne_u32_e32 vcc, s22, v5
	s_nop 1
	v_cndmask_b32_e32 v5, v7, v6, vcc
; %bb.76:
	s_andn2_saveexec_b64 s[18:19], s[18:19]
; %bb.77:
	s_mov_b32 s22, 0x46800000
	v_add_f32_e64 v5, |v3|, s22
; %bb.78:
	s_or_b64 exec, exec, s[18:19]
                                        ; implicit-def: $vgpr6
.LBB216_79:
	s_andn2_saveexec_b64 s[12:13], s[12:13]
; %bb.80:
	s_mov_b32 s18, 0x7f800000
	v_mov_b32_e32 v5, 0x7e
	v_mov_b32_e32 v7, 0x7f
	v_cmp_lt_u32_e32 vcc, s18, v6
	s_nop 1
	v_cndmask_b32_e32 v5, v5, v7, vcc
; %bb.81:
	s_or_b64 exec, exec, s[12:13]
	v_lshrrev_b32_e32 v3, 24, v3
	s_movk_i32 s12, 0x80
	v_and_or_b32 v3, v3, s12, v5
	global_store_byte v[0:1], v3, off
.LBB216_82:
	s_mov_b64 s[12:13], 0
.LBB216_83:
	s_andn2_b64 vcc, exec, s[12:13]
	s_cbranch_vccnz .LBB216_93
; %bb.84:
	v_cvt_f32_f16_e32 v3, v2
	s_mov_b32 s12, 0x47800000
                                        ; implicit-def: $vgpr5
	v_and_b32_e32 v6, 0x7fffffff, v3
	v_cmp_gt_u32_e32 vcc, s12, v6
	s_and_saveexec_b64 s[12:13], vcc
	s_xor_b64 s[12:13], exec, s[12:13]
	s_cbranch_execz .LBB216_90
; %bb.85:
	s_mov_b32 s18, 0x387fffff
	v_cmp_lt_u32_e32 vcc, s18, v6
                                        ; implicit-def: $vgpr5
	s_and_saveexec_b64 s[18:19], vcc
	s_xor_b64 s[18:19], exec, s[18:19]
; %bb.86:
	v_bfe_u32 v5, v3, 21, 1
	s_mov_b32 s22, 0x80fffff
	v_add3_u32 v5, v3, v5, s22
	v_lshrrev_b32_e32 v5, 21, v5
; %bb.87:
	s_andn2_saveexec_b64 s[18:19], s[18:19]
; %bb.88:
	s_mov_b32 s22, 0x43000000
	v_add_f32_e64 v5, |v3|, s22
; %bb.89:
	s_or_b64 exec, exec, s[18:19]
                                        ; implicit-def: $vgpr6
.LBB216_90:
	s_andn2_saveexec_b64 s[12:13], s[12:13]
; %bb.91:
	s_mov_b32 s18, 0x7f800000
	v_mov_b32_e32 v5, 0x7c
	v_mov_b32_e32 v7, 0x7f
	v_cmp_lt_u32_e32 vcc, s18, v6
	s_nop 1
	v_cndmask_b32_e32 v5, v5, v7, vcc
; %bb.92:
	s_or_b64 exec, exec, s[12:13]
	v_lshrrev_b32_e32 v3, 24, v3
	s_movk_i32 s12, 0x80
	v_and_or_b32 v3, v3, s12, v5
	global_store_byte v[0:1], v3, off
.LBB216_93:
	s_mov_b64 s[18:19], 0
	s_mov_b64 s[12:13], -1
.LBB216_94:
	s_andn2_b64 vcc, exec, s[18:19]
	s_cbranch_vccnz .LBB216_102
; %bb.95:
	s_cmp_gt_i32 s25, 14
	s_mov_b64 s[18:19], -1
	s_cbranch_scc0 .LBB216_99
; %bb.96:
	s_cmp_eq_u32 s25, 15
	s_mov_b64 s[0:1], -1
	s_cbranch_scc0 .LBB216_98
; %bb.97:
	v_cvt_f32_f16_e32 v3, v2
	s_movk_i32 s0, 0x7fff
	v_cmp_o_f16_e32 vcc, v2, v2
	v_mov_b32_e32 v5, 0x7fc0
	v_bfe_u32 v6, v3, 16, 1
	v_add3_u32 v3, v3, v6, s0
	v_cndmask_b32_sdwa v3, v5, v3, vcc dst_sel:DWORD dst_unused:UNUSED_PAD src0_sel:DWORD src1_sel:WORD_1
	global_store_short v[0:1], v3, off
	s_mov_b64 s[12:13], -1
	s_mov_b64 s[0:1], 0
.LBB216_98:
	s_mov_b64 s[18:19], 0
.LBB216_99:
	s_and_b64 vcc, exec, s[18:19]
	s_cbranch_vccz .LBB216_102
; %bb.100:
	s_cmp_eq_u32 s25, 11
	s_mov_b64 s[0:1], -1
	s_cbranch_scc0 .LBB216_102
; %bb.101:
	v_cmp_neq_f16_e32 vcc, 0, v2
	s_mov_b64 s[12:13], -1
	s_mov_b64 s[0:1], 0
	v_cndmask_b32_e64 v3, 0, 1, vcc
	global_store_byte v[0:1], v3, off
.LBB216_102:
	s_branch .LBB216_20
.LBB216_103:
	s_and_b32 s18, 0xffff, s24
	s_cmp_lt_i32 s18, 5
	s_mov_b64 s[12:13], -1
	s_cbranch_scc1 .LBB216_124
; %bb.104:
	s_cmp_lt_i32 s18, 8
	s_cbranch_scc1 .LBB216_114
; %bb.105:
	s_cmp_lt_i32 s18, 9
	s_cbranch_scc1 .LBB216_111
; %bb.106:
	s_cmp_gt_i32 s18, 9
	s_cbranch_scc0 .LBB216_108
; %bb.107:
	v_cvt_f32_f16_e32 v3, v2
	v_mov_b32_e32 v8, 0
	v_mov_b32_e32 v9, v8
	s_mov_b64 s[12:13], 0
	v_cvt_f64_f32_e32 v[6:7], v3
	global_store_dwordx4 v[0:1], v[6:9], off
.LBB216_108:
	s_andn2_b64 vcc, exec, s[12:13]
	s_cbranch_vccnz .LBB216_110
; %bb.109:
	v_cvt_f32_f16_e32 v6, v2
	v_mov_b32_e32 v7, 0
	global_store_dwordx2 v[0:1], v[6:7], off
.LBB216_110:
	s_mov_b64 s[12:13], 0
.LBB216_111:
	s_andn2_b64 vcc, exec, s[12:13]
	s_cbranch_vccnz .LBB216_113
; %bb.112:
	v_and_b32_e32 v3, 0xffff, v2
	global_store_dword v[0:1], v3, off
.LBB216_113:
	s_mov_b64 s[12:13], 0
.LBB216_114:
	s_andn2_b64 vcc, exec, s[12:13]
	s_cbranch_vccnz .LBB216_123
; %bb.115:
	s_cmp_lt_i32 s18, 6
	s_mov_b64 s[12:13], -1
	s_cbranch_scc1 .LBB216_121
; %bb.116:
	s_cmp_gt_i32 s18, 6
	s_cbranch_scc0 .LBB216_118
; %bb.117:
	v_cvt_f32_f16_e32 v3, v2
	s_mov_b64 s[12:13], 0
	v_cvt_f64_f32_e32 v[6:7], v3
	global_store_dwordx2 v[0:1], v[6:7], off
.LBB216_118:
	s_andn2_b64 vcc, exec, s[12:13]
	s_cbranch_vccnz .LBB216_120
; %bb.119:
	v_cvt_f32_f16_e32 v3, v2
	global_store_dword v[0:1], v3, off
.LBB216_120:
	s_mov_b64 s[12:13], 0
.LBB216_121:
	s_andn2_b64 vcc, exec, s[12:13]
	s_cbranch_vccnz .LBB216_123
; %bb.122:
	global_store_short v[0:1], v2, off
.LBB216_123:
	s_mov_b64 s[12:13], 0
.LBB216_124:
	s_andn2_b64 vcc, exec, s[12:13]
	s_cbranch_vccnz .LBB216_140
; %bb.125:
	s_cmp_lt_i32 s18, 2
	s_mov_b64 s[12:13], -1
	s_cbranch_scc1 .LBB216_135
; %bb.126:
	s_cmp_lt_i32 s18, 3
	s_cbranch_scc1 .LBB216_132
; %bb.127:
	s_cmp_gt_i32 s18, 3
	s_cbranch_scc0 .LBB216_129
; %bb.128:
	v_cvt_f32_f16_e32 v3, v2
	s_mov_b64 s[12:13], 0
	v_cvt_i32_f32_e32 v6, v3
	v_ashrrev_i32_e32 v7, 31, v6
	global_store_dwordx2 v[0:1], v[6:7], off
.LBB216_129:
	s_andn2_b64 vcc, exec, s[12:13]
	s_cbranch_vccnz .LBB216_131
; %bb.130:
	v_cvt_f32_f16_e32 v3, v2
	v_cvt_i32_f32_e32 v3, v3
	global_store_dword v[0:1], v3, off
.LBB216_131:
	s_mov_b64 s[12:13], 0
.LBB216_132:
	s_andn2_b64 vcc, exec, s[12:13]
	s_cbranch_vccnz .LBB216_134
; %bb.133:
	v_cvt_i16_f16_e32 v3, v2
	global_store_short v[0:1], v3, off
.LBB216_134:
	s_mov_b64 s[12:13], 0
.LBB216_135:
	s_andn2_b64 vcc, exec, s[12:13]
	s_cbranch_vccnz .LBB216_140
; %bb.136:
	s_cmp_gt_i32 s18, 0
	s_mov_b64 s[12:13], -1
	s_cbranch_scc0 .LBB216_138
; %bb.137:
	v_cvt_i16_f16_e32 v3, v2
	global_store_byte v[0:1], v3, off
	s_mov_b64 s[12:13], 0
.LBB216_138:
	s_andn2_b64 vcc, exec, s[12:13]
	s_cbranch_vccnz .LBB216_140
; %bb.139:
	v_cvt_f32_f16_e32 v2, v2
	v_cvt_i32_f32_e32 v2, v2
	global_store_byte v[0:1], v2, off
.LBB216_140:
	s_branch .LBB216_21
.LBB216_141:
	s_mov_b64 s[18:19], 0
                                        ; implicit-def: $vgpr4
	s_branch .LBB216_251
.LBB216_142:
	s_mov_b64 s[14:15], -1
                                        ; implicit-def: $vgpr2
.LBB216_143:
	s_mov_b64 s[12:13], 0
.LBB216_144:
	s_and_b64 vcc, exec, s[12:13]
	s_cbranch_vccz .LBB216_148
; %bb.145:
	s_cmp_eq_u32 s22, 29
	s_cbranch_scc0 .LBB216_147
; %bb.146:
	global_load_dwordx2 v[2:3], v[0:1], off
	s_mov_b64 s[0:1], -1
	s_mov_b64 s[14:15], 0
	s_mov_b64 s[12:13], 0
	s_waitcnt vmcnt(0)
	v_ffbh_u32_e32 v5, v3
	v_min_u32_e32 v5, 32, v5
	v_lshlrev_b64 v[2:3], v5, v[2:3]
	v_min_u32_e32 v2, 1, v2
	v_or_b32_e32 v2, v3, v2
	v_cvt_f32_u32_e32 v2, v2
	v_sub_u32_e32 v3, 32, v5
	v_ldexp_f32 v2, v2, v3
	v_cvt_f16_f32_e32 v2, v2
	s_branch .LBB216_149
.LBB216_147:
	s_mov_b64 s[14:15], -1
                                        ; implicit-def: $vgpr2
.LBB216_148:
	s_mov_b64 s[12:13], 0
.LBB216_149:
	s_and_b64 vcc, exec, s[12:13]
	s_cbranch_vccz .LBB216_167
; %bb.150:
	s_cmp_lt_i32 s22, 27
	s_cbranch_scc1 .LBB216_153
; %bb.151:
	s_cmp_gt_i32 s22, 27
	s_cbranch_scc0 .LBB216_154
; %bb.152:
	global_load_dword v2, v[0:1], off
	s_mov_b64 s[0:1], 0
	s_waitcnt vmcnt(0)
	v_cvt_f32_u32_e32 v2, v2
	v_cvt_f16_f32_e32 v2, v2
	s_branch .LBB216_155
.LBB216_153:
	s_mov_b64 s[0:1], -1
                                        ; implicit-def: $vgpr2
	s_branch .LBB216_158
.LBB216_154:
	s_mov_b64 s[0:1], -1
                                        ; implicit-def: $vgpr2
.LBB216_155:
	s_andn2_b64 vcc, exec, s[0:1]
	s_cbranch_vccnz .LBB216_157
; %bb.156:
	global_load_ushort v2, v[0:1], off
	s_waitcnt vmcnt(0)
	v_cvt_f16_u16_e32 v2, v2
.LBB216_157:
	s_mov_b64 s[0:1], 0
.LBB216_158:
	s_andn2_b64 vcc, exec, s[0:1]
	s_cbranch_vccnz .LBB216_166
; %bb.159:
	global_load_ubyte v3, v[0:1], off
	s_movk_i32 s0, 0x7f
	s_waitcnt vmcnt(0)
	v_cmp_lt_i16_e32 vcc, s0, v3
	s_mov_b64 s[0:1], 0
	s_and_saveexec_b64 s[12:13], vcc
	s_xor_b64 s[12:13], exec, s[12:13]
	s_cbranch_execz .LBB216_179
; %bb.160:
	s_movk_i32 s0, 0x80
	v_cmp_eq_u16_e32 vcc, s0, v3
	s_mov_b64 s[0:1], -1
	s_and_saveexec_b64 s[18:19], vcc
; %bb.161:
	s_xor_b64 s[0:1], exec, -1
; %bb.162:
	s_or_b64 exec, exec, s[18:19]
	s_and_b64 s[0:1], s[0:1], exec
	s_or_saveexec_b64 s[12:13], s[12:13]
	v_mov_b32_e32 v2, 0x7e00
	s_xor_b64 exec, exec, s[12:13]
	s_cbranch_execnz .LBB216_180
.LBB216_163:
	s_or_b64 exec, exec, s[12:13]
	s_and_saveexec_b64 s[12:13], s[0:1]
	s_cbranch_execz .LBB216_165
.LBB216_164:
	v_lshlrev_b32_e32 v2, 24, v3
	v_and_b32_e32 v3, 0xffff, v3
	v_and_b32_e32 v5, 7, v3
	v_ffbh_u32_e32 v7, v5
	v_min_u32_e32 v7, 32, v7
	v_subrev_u32_e32 v8, 28, v7
	v_bfe_u32 v6, v3, 3, 4
	v_lshlrev_b32_e32 v3, v8, v3
	v_sub_u32_e32 v7, 29, v7
	v_and_b32_e32 v3, 7, v3
	v_cmp_eq_u32_e32 vcc, 0, v6
	v_and_b32_e32 v2, 0x80000000, v2
	s_nop 0
	v_cndmask_b32_e32 v6, v6, v7, vcc
	v_cndmask_b32_e32 v3, v5, v3, vcc
	v_mov_b32_e32 v5, 0x3b800000
	v_lshlrev_b32_e32 v3, 20, v3
	v_lshl_add_u32 v5, v6, 23, v5
	v_or3_b32 v2, v2, v5, v3
	v_cvt_f16_f32_e32 v2, v2
.LBB216_165:
	s_or_b64 exec, exec, s[12:13]
.LBB216_166:
	s_mov_b64 s[0:1], -1
.LBB216_167:
	s_branch .LBB216_202
.LBB216_168:
	s_cmp_gt_i32 s22, 22
	s_cbranch_scc0 .LBB216_178
; %bb.169:
	s_cmp_lt_i32 s22, 24
	s_cbranch_scc1 .LBB216_181
; %bb.170:
	s_cmp_gt_i32 s22, 24
	s_cbranch_scc0 .LBB216_182
; %bb.171:
	global_load_ubyte v3, v[0:1], off
	s_movk_i32 s0, 0x7f
	s_waitcnt vmcnt(0)
	v_cmp_lt_i16_e32 vcc, s0, v3
	s_mov_b64 s[0:1], 0
	s_and_saveexec_b64 s[12:13], vcc
	s_xor_b64 s[12:13], exec, s[12:13]
	s_cbranch_execz .LBB216_194
; %bb.172:
	s_movk_i32 s0, 0x80
	v_cmp_eq_u16_e32 vcc, s0, v3
	s_mov_b64 s[0:1], -1
	s_and_saveexec_b64 s[18:19], vcc
; %bb.173:
	s_xor_b64 s[0:1], exec, -1
; %bb.174:
	s_or_b64 exec, exec, s[18:19]
	s_and_b64 s[0:1], s[0:1], exec
	s_or_saveexec_b64 s[12:13], s[12:13]
	v_mov_b32_e32 v2, 0x7e00
	s_xor_b64 exec, exec, s[12:13]
	s_cbranch_execnz .LBB216_195
.LBB216_175:
	s_or_b64 exec, exec, s[12:13]
	s_and_saveexec_b64 s[12:13], s[0:1]
	s_cbranch_execz .LBB216_177
.LBB216_176:
	v_lshlrev_b32_e32 v2, 24, v3
	v_and_b32_e32 v3, 0xffff, v3
	v_and_b32_e32 v5, 3, v3
	v_ffbh_u32_e32 v7, v5
	v_min_u32_e32 v7, 32, v7
	v_subrev_u32_e32 v8, 29, v7
	v_bfe_u32 v6, v3, 2, 5
	v_lshlrev_b32_e32 v3, v8, v3
	v_sub_u32_e32 v7, 30, v7
	v_and_b32_e32 v3, 3, v3
	v_cmp_eq_u32_e32 vcc, 0, v6
	v_and_b32_e32 v2, 0x80000000, v2
	s_nop 0
	v_cndmask_b32_e32 v6, v6, v7, vcc
	v_cndmask_b32_e32 v3, v5, v3, vcc
	v_mov_b32_e32 v5, 0x37800000
	v_lshlrev_b32_e32 v3, 21, v3
	v_lshl_add_u32 v5, v6, 23, v5
	v_or3_b32 v2, v2, v5, v3
	v_cvt_f16_f32_e32 v2, v2
.LBB216_177:
	s_or_b64 exec, exec, s[12:13]
	s_mov_b64 s[0:1], 0
	s_branch .LBB216_183
.LBB216_178:
	s_mov_b64 s[12:13], -1
                                        ; implicit-def: $vgpr2
	s_branch .LBB216_189
.LBB216_179:
	s_or_saveexec_b64 s[12:13], s[12:13]
	v_mov_b32_e32 v2, 0x7e00
	s_xor_b64 exec, exec, s[12:13]
	s_cbranch_execz .LBB216_163
.LBB216_180:
	v_cmp_ne_u16_e32 vcc, 0, v3
	s_andn2_b64 s[0:1], s[0:1], exec
	s_and_b64 s[18:19], vcc, exec
	s_or_b64 s[0:1], s[0:1], s[18:19]
	v_mov_b32_e32 v2, v3
	s_or_b64 exec, exec, s[12:13]
	s_and_saveexec_b64 s[12:13], s[0:1]
	s_cbranch_execnz .LBB216_164
	s_branch .LBB216_165
.LBB216_181:
	s_mov_b64 s[0:1], -1
                                        ; implicit-def: $vgpr2
	s_branch .LBB216_186
.LBB216_182:
	s_mov_b64 s[0:1], -1
                                        ; implicit-def: $vgpr2
.LBB216_183:
	s_and_b64 vcc, exec, s[0:1]
	s_cbranch_vccz .LBB216_185
; %bb.184:
	global_load_ubyte v2, v[0:1], off
	s_mov_b32 s0, 0x7f800000
	s_waitcnt vmcnt(0)
	v_lshlrev_b32_e32 v2, 24, v2
	v_and_b32_e32 v3, 0x7f000000, v2
	v_ffbh_u32_e32 v5, v3
	v_min_u32_e32 v5, 32, v5
	v_sub_u32_e64 v5, v5, 4 clamp
	v_lshlrev_b32_e32 v7, v5, v3
	v_lshlrev_b32_e32 v5, 23, v5
	v_lshrrev_b32_e32 v7, 4, v7
	v_add_u32_e32 v6, 0x1000000, v3
	v_sub_u32_e32 v5, v7, v5
	v_ashrrev_i32_e32 v6, 8, v6
	v_add_u32_e32 v5, 0x3c000000, v5
	v_and_or_b32 v5, v6, s0, v5
	v_cmp_ne_u32_e32 vcc, 0, v3
	s_brev_b32 s0, 1
	s_nop 0
	v_cndmask_b32_e32 v3, 0, v5, vcc
	v_and_or_b32 v2, v2, s0, v3
	v_cvt_f16_f32_e32 v2, v2
.LBB216_185:
	s_mov_b64 s[0:1], 0
.LBB216_186:
	s_andn2_b64 vcc, exec, s[0:1]
	s_cbranch_vccnz .LBB216_188
; %bb.187:
	global_load_ubyte v2, v[0:1], off
	s_movk_i32 s0, 0x7f00
	s_brev_b32 s1, 16
	s_waitcnt vmcnt(0)
	v_lshlrev_b16_e32 v3, 8, v2
	v_lshlrev_b32_e32 v2, 25, v2
	v_lshrrev_b32_e32 v5, 4, v2
	v_and_or_b32 v6, v3, s0, 0.5
	v_or_b32_e32 v5, 0x70000000, v5
	v_add_f32_e32 v6, -0.5, v6
	v_mul_f32_e32 v5, 0x7800000, v5
	v_cmp_gt_u32_e32 vcc, s1, v2
	v_bfe_i32 v3, v3, 0, 16
	s_brev_b32 s0, 1
	v_cndmask_b32_e32 v2, v5, v6, vcc
	v_and_or_b32 v2, v3, s0, v2
	v_cvt_f16_f32_e32 v2, v2
.LBB216_188:
	s_mov_b64 s[12:13], 0
	s_mov_b64 s[0:1], -1
.LBB216_189:
	s_andn2_b64 vcc, exec, s[12:13]
	s_cbranch_vccnz .LBB216_202
; %bb.190:
	s_cmp_gt_i32 s22, 14
	s_cbranch_scc0 .LBB216_193
; %bb.191:
	s_cmp_eq_u32 s22, 15
	s_cbranch_scc0 .LBB216_196
; %bb.192:
	global_load_ushort v2, v[0:1], off
	s_mov_b64 s[0:1], -1
	s_mov_b64 s[14:15], 0
	s_waitcnt vmcnt(0)
	v_lshlrev_b32_e32 v2, 16, v2
	v_cvt_f16_f32_e32 v2, v2
	s_branch .LBB216_197
.LBB216_193:
	s_mov_b64 s[12:13], -1
                                        ; implicit-def: $vgpr2
	s_branch .LBB216_198
.LBB216_194:
	s_or_saveexec_b64 s[12:13], s[12:13]
	v_mov_b32_e32 v2, 0x7e00
	s_xor_b64 exec, exec, s[12:13]
	s_cbranch_execz .LBB216_175
.LBB216_195:
	v_cmp_ne_u16_e32 vcc, 0, v3
	s_andn2_b64 s[0:1], s[0:1], exec
	s_and_b64 s[18:19], vcc, exec
	s_or_b64 s[0:1], s[0:1], s[18:19]
	v_mov_b32_e32 v2, v3
	s_or_b64 exec, exec, s[12:13]
	s_and_saveexec_b64 s[12:13], s[0:1]
	s_cbranch_execnz .LBB216_176
	s_branch .LBB216_177
.LBB216_196:
	s_mov_b64 s[14:15], -1
                                        ; implicit-def: $vgpr2
.LBB216_197:
	s_mov_b64 s[12:13], 0
.LBB216_198:
	s_and_b64 vcc, exec, s[12:13]
	s_cbranch_vccz .LBB216_202
; %bb.199:
	s_cmp_eq_u32 s22, 11
	s_cbranch_scc0 .LBB216_201
; %bb.200:
	global_load_ubyte v2, v[0:1], off
	v_mov_b32_e32 v3, 0x3c00
	s_mov_b64 s[0:1], -1
	s_mov_b64 s[14:15], 0
	s_waitcnt vmcnt(0)
	v_cmp_ne_u16_e32 vcc, 0, v2
	s_nop 1
	v_cndmask_b32_e32 v2, 0, v3, vcc
	s_branch .LBB216_202
.LBB216_201:
	s_mov_b64 s[14:15], -1
                                        ; implicit-def: $vgpr2
.LBB216_202:
	s_branch .LBB216_10
.LBB216_203:
	s_cmp_lt_i32 s22, 5
	s_cbranch_scc1 .LBB216_208
; %bb.204:
	s_cmp_lt_i32 s22, 8
	s_cbranch_scc1 .LBB216_209
; %bb.205:
	;; [unrolled: 3-line block ×3, first 2 shown]
	s_cmp_gt_i32 s22, 9
	s_cbranch_scc0 .LBB216_211
; %bb.207:
	global_load_dwordx2 v[2:3], v[0:1], off
	s_movk_i32 s0, 0x1ff
	s_movk_i32 s1, 0xffe
	v_mov_b32_e32 v5, 0x7c00
	v_mov_b32_e32 v6, 0x7e00
	s_movk_i32 s12, 0x40f
	s_mov_b32 s13, 0x8000
	s_waitcnt vmcnt(0)
	v_and_or_b32 v2, v3, s0, v2
	v_cmp_ne_u32_e32 vcc, 0, v2
	v_lshrrev_b32_e32 v7, 8, v3
	v_bfe_u32 v8, v3, 20, 11
	v_cndmask_b32_e64 v2, 0, 1, vcc
	v_sub_u32_e32 v9, 0x3f1, v8
	v_and_or_b32 v2, v7, s1, v2
	v_add_u32_e32 v8, 0xfffffc10, v8
	v_med3_i32 v7, v9, 0, 13
	v_or_b32_e32 v9, 0x1000, v2
	v_cmp_ne_u32_e32 vcc, 0, v2
	v_lshl_or_b32 v10, v8, 12, v2
	v_lshrrev_b32_e32 v3, 16, v3
	v_cndmask_b32_e32 v2, v5, v6, vcc
	v_lshrrev_b32_e32 v6, v7, v9
	v_lshlrev_b32_e32 v7, v7, v6
	v_cmp_ne_u32_e32 vcc, v7, v9
	s_mov_b64 s[0:1], 0
	s_nop 0
	v_cndmask_b32_e64 v7, 0, 1, vcc
	v_or_b32_e32 v6, v6, v7
	v_cmp_gt_i32_e32 vcc, 1, v8
	s_nop 1
	v_cndmask_b32_e32 v6, v10, v6, vcc
	v_and_b32_e32 v7, 7, v6
	v_cmp_lt_i32_e32 vcc, 5, v7
	v_lshrrev_b32_e32 v6, 2, v6
	s_nop 0
	v_cndmask_b32_e64 v9, 0, 1, vcc
	v_cmp_eq_u32_e32 vcc, 3, v7
	s_nop 1
	v_cndmask_b32_e64 v7, 0, 1, vcc
	v_or_b32_e32 v7, v7, v9
	v_add_u32_e32 v6, v6, v7
	v_cmp_gt_i32_e32 vcc, 31, v8
	s_nop 1
	v_cndmask_b32_e32 v5, v5, v6, vcc
	v_cmp_eq_u32_e32 vcc, s12, v8
	s_nop 1
	v_cndmask_b32_e32 v2, v5, v2, vcc
	v_and_or_b32 v2, v3, s13, v2
	s_branch .LBB216_212
.LBB216_208:
                                        ; implicit-def: $vgpr2
	s_branch .LBB216_230
.LBB216_209:
	s_mov_b64 s[0:1], -1
                                        ; implicit-def: $vgpr2
	s_branch .LBB216_218
.LBB216_210:
	s_mov_b64 s[0:1], -1
                                        ; implicit-def: $vgpr2
	s_branch .LBB216_215
.LBB216_211:
	s_mov_b64 s[0:1], -1
                                        ; implicit-def: $vgpr2
.LBB216_212:
	s_andn2_b64 vcc, exec, s[0:1]
	s_cbranch_vccnz .LBB216_214
; %bb.213:
	global_load_dword v2, v[0:1], off
	s_waitcnt vmcnt(0)
	v_cvt_f16_f32_e32 v2, v2
.LBB216_214:
	s_mov_b64 s[0:1], 0
.LBB216_215:
	s_andn2_b64 vcc, exec, s[0:1]
	s_cbranch_vccnz .LBB216_217
; %bb.216:
	global_load_dword v2, v[0:1], off
.LBB216_217:
	s_mov_b64 s[0:1], 0
.LBB216_218:
	s_andn2_b64 vcc, exec, s[0:1]
	s_cbranch_vccnz .LBB216_229
; %bb.219:
	s_cmp_lt_i32 s22, 6
	s_cbranch_scc1 .LBB216_222
; %bb.220:
	s_cmp_gt_i32 s22, 6
	s_cbranch_scc0 .LBB216_223
; %bb.221:
	global_load_dwordx2 v[2:3], v[0:1], off
	s_movk_i32 s0, 0x1ff
	s_movk_i32 s1, 0xffe
	v_mov_b32_e32 v5, 0x7c00
	v_mov_b32_e32 v6, 0x7e00
	s_movk_i32 s12, 0x40f
	s_mov_b32 s13, 0x8000
	s_waitcnt vmcnt(0)
	v_and_or_b32 v2, v3, s0, v2
	v_cmp_ne_u32_e32 vcc, 0, v2
	v_lshrrev_b32_e32 v7, 8, v3
	v_bfe_u32 v8, v3, 20, 11
	v_cndmask_b32_e64 v2, 0, 1, vcc
	v_sub_u32_e32 v9, 0x3f1, v8
	v_and_or_b32 v2, v7, s1, v2
	v_add_u32_e32 v8, 0xfffffc10, v8
	v_med3_i32 v7, v9, 0, 13
	v_or_b32_e32 v9, 0x1000, v2
	v_cmp_ne_u32_e32 vcc, 0, v2
	v_lshl_or_b32 v10, v8, 12, v2
	v_lshrrev_b32_e32 v3, 16, v3
	v_cndmask_b32_e32 v2, v5, v6, vcc
	v_lshrrev_b32_e32 v6, v7, v9
	v_lshlrev_b32_e32 v7, v7, v6
	v_cmp_ne_u32_e32 vcc, v7, v9
	s_mov_b64 s[0:1], 0
	s_nop 0
	v_cndmask_b32_e64 v7, 0, 1, vcc
	v_or_b32_e32 v6, v6, v7
	v_cmp_gt_i32_e32 vcc, 1, v8
	s_nop 1
	v_cndmask_b32_e32 v6, v10, v6, vcc
	v_and_b32_e32 v7, 7, v6
	v_cmp_lt_i32_e32 vcc, 5, v7
	v_lshrrev_b32_e32 v6, 2, v6
	s_nop 0
	v_cndmask_b32_e64 v9, 0, 1, vcc
	v_cmp_eq_u32_e32 vcc, 3, v7
	s_nop 1
	v_cndmask_b32_e64 v7, 0, 1, vcc
	v_or_b32_e32 v7, v7, v9
	v_add_u32_e32 v6, v6, v7
	v_cmp_gt_i32_e32 vcc, 31, v8
	s_nop 1
	v_cndmask_b32_e32 v5, v5, v6, vcc
	v_cmp_eq_u32_e32 vcc, s12, v8
	s_nop 1
	v_cndmask_b32_e32 v2, v5, v2, vcc
	v_and_or_b32 v2, v3, s13, v2
	s_branch .LBB216_224
.LBB216_222:
	s_mov_b64 s[0:1], -1
                                        ; implicit-def: $vgpr2
	s_branch .LBB216_227
.LBB216_223:
	s_mov_b64 s[0:1], -1
                                        ; implicit-def: $vgpr2
.LBB216_224:
	s_andn2_b64 vcc, exec, s[0:1]
	s_cbranch_vccnz .LBB216_226
; %bb.225:
	global_load_dword v2, v[0:1], off
	s_waitcnt vmcnt(0)
	v_cvt_f16_f32_e32 v2, v2
.LBB216_226:
	s_mov_b64 s[0:1], 0
.LBB216_227:
	s_andn2_b64 vcc, exec, s[0:1]
	s_cbranch_vccnz .LBB216_229
; %bb.228:
	global_load_ushort v2, v[0:1], off
.LBB216_229:
	s_cbranch_execnz .LBB216_249
.LBB216_230:
	s_cmp_lt_i32 s22, 2
	s_cbranch_scc1 .LBB216_234
; %bb.231:
	s_cmp_lt_i32 s22, 3
	s_cbranch_scc1 .LBB216_235
; %bb.232:
	s_cmp_gt_i32 s22, 3
	s_cbranch_scc0 .LBB216_236
; %bb.233:
	global_load_dwordx2 v[2:3], v[0:1], off
	s_mov_b64 s[0:1], 0
	s_waitcnt vmcnt(0)
	v_xor_b32_e32 v6, v2, v3
	v_ffbh_i32_e32 v5, v3
	v_ashrrev_i32_e32 v6, 31, v6
	v_add_u32_e32 v5, -1, v5
	v_add_u32_e32 v6, 32, v6
	v_min_u32_e32 v5, v5, v6
	v_lshlrev_b64 v[2:3], v5, v[2:3]
	v_min_u32_e32 v2, 1, v2
	v_or_b32_e32 v2, v3, v2
	v_cvt_f32_i32_e32 v2, v2
	v_sub_u32_e32 v3, 32, v5
	v_ldexp_f32 v2, v2, v3
	v_cvt_f16_f32_e32 v2, v2
	s_branch .LBB216_237
.LBB216_234:
	s_mov_b64 s[0:1], -1
                                        ; implicit-def: $vgpr2
	s_branch .LBB216_243
.LBB216_235:
	s_mov_b64 s[0:1], -1
                                        ; implicit-def: $vgpr2
	s_branch .LBB216_240
.LBB216_236:
	s_mov_b64 s[0:1], -1
                                        ; implicit-def: $vgpr2
.LBB216_237:
	s_andn2_b64 vcc, exec, s[0:1]
	s_cbranch_vccnz .LBB216_239
; %bb.238:
	global_load_dword v2, v[0:1], off
	s_waitcnt vmcnt(0)
	v_cvt_f32_i32_e32 v2, v2
	v_cvt_f16_f32_e32 v2, v2
.LBB216_239:
	s_mov_b64 s[0:1], 0
.LBB216_240:
	s_andn2_b64 vcc, exec, s[0:1]
	s_cbranch_vccnz .LBB216_242
; %bb.241:
	global_load_ushort v2, v[0:1], off
	s_waitcnt vmcnt(0)
	v_cvt_f16_i16_e32 v2, v2
.LBB216_242:
	s_mov_b64 s[0:1], 0
.LBB216_243:
	s_andn2_b64 vcc, exec, s[0:1]
	s_cbranch_vccnz .LBB216_249
; %bb.244:
	s_cmp_gt_i32 s22, 0
	s_cbranch_scc0 .LBB216_246
; %bb.245:
	global_load_sbyte v2, v[0:1], off
	s_mov_b64 s[0:1], 0
	s_waitcnt vmcnt(0)
	v_cvt_f16_i16_e32 v2, v2
	s_branch .LBB216_247
.LBB216_246:
	s_mov_b64 s[0:1], -1
                                        ; implicit-def: $vgpr2
.LBB216_247:
	s_andn2_b64 vcc, exec, s[0:1]
	s_cbranch_vccnz .LBB216_249
; %bb.248:
	global_load_ubyte v0, v[0:1], off
	s_waitcnt vmcnt(0)
	v_cvt_f16_u16_e32 v2, v0
.LBB216_249:
	s_branch .LBB216_11
.LBB216_250:
	s_mov_b64 s[0:1], 0
                                        ; implicit-def: $vgpr4
	s_mov_b64 s[18:19], 0
.LBB216_251:
	s_and_b64 s[12:13], s[0:1], exec
	s_and_b64 s[14:15], s[14:15], exec
	s_orn2_b64 s[18:19], s[18:19], exec
.LBB216_252:
	s_or_b64 exec, exec, s[16:17]
	s_mov_b64 s[22:23], 0
	s_mov_b64 s[0:1], 0
                                        ; implicit-def: $vgpr0_vgpr1
                                        ; implicit-def: $vgpr3
	s_and_saveexec_b64 s[16:17], s[18:19]
	s_cbranch_execz .LBB216_261
; %bb.253:
	v_cmp_gt_i32_e32 vcc, s38, v4
	s_mov_b64 s[0:1], -1
	s_mov_b64 s[18:19], s[14:15]
	s_mov_b64 s[20:21], s[12:13]
	s_and_saveexec_b64 s[22:23], vcc
	s_cbranch_execz .LBB216_513
; %bb.254:
	v_mul_lo_u32 v0, v4, s9
	v_ashrrev_i32_e32 v1, 31, v0
	s_and_b32 s26, 0xffff, s42
	s_cmp_lt_i32 s26, 11
	v_lshl_add_u64 v[0:1], s[6:7], 0, v[0:1]
	s_cbranch_scc1 .LBB216_264
; %bb.255:
	s_cmp_gt_i32 s26, 25
	s_cbranch_scc0 .LBB216_273
; %bb.256:
	s_cmp_gt_i32 s26, 28
	s_cbranch_scc0 .LBB216_275
	;; [unrolled: 3-line block ×4, first 2 shown]
; %bb.259:
	s_cmp_eq_u32 s26, 46
	s_mov_b64 s[20:21], 0
	s_cbranch_scc0 .LBB216_285
; %bb.260:
	global_load_dword v2, v[0:1], off
	s_mov_b64 s[18:19], 0
	s_waitcnt vmcnt(0)
	v_lshlrev_b32_e32 v2, 16, v2
	v_cvt_f16_f32_e32 v2, v2
	s_branch .LBB216_286
.LBB216_261:
	s_or_b64 exec, exec, s[16:17]
	s_mov_b64 s[16:17], 0
	s_and_saveexec_b64 s[18:19], s[14:15]
	s_cbranch_execnz .LBB216_859
.LBB216_262:
	s_or_b64 exec, exec, s[18:19]
	s_and_saveexec_b64 s[14:15], s[20:21]
	s_xor_b64 s[14:15], exec, s[14:15]
	s_cbranch_execz .LBB216_860
.LBB216_263:
	global_load_ubyte v2, v[0:1], off
	v_mov_b32_e32 v3, 0x3c00
	s_or_b64 s[0:1], s[0:1], exec
	s_waitcnt vmcnt(0)
	v_cmp_ne_u16_e32 vcc, 0, v2
	s_nop 1
	v_cndmask_b32_e32 v3, 0, v3, vcc
	s_or_b64 exec, exec, s[14:15]
	s_and_saveexec_b64 s[14:15], s[22:23]
	s_cbranch_execz .LBB216_906
	s_branch .LBB216_861
.LBB216_264:
	s_mov_b64 s[0:1], 0
                                        ; implicit-def: $vgpr2
	s_mov_b64 s[18:19], s[14:15]
	s_cbranch_execnz .LBB216_463
.LBB216_265:
	s_andn2_b64 vcc, exec, s[0:1]
	s_cbranch_vccnz .LBB216_511
.LBB216_266:
	s_waitcnt vmcnt(0)
	v_cvt_f32_f16_e32 v0, v2
	s_mov_b32 s0, 0
	s_mov_b32 s1, 0x3fd80000
	v_mov_b32_e32 v5, 0x180
	v_cvt_f64_f32_e32 v[0:1], v0
	v_rsq_f64_e32 v[2:3], v[0:1]
	s_and_b32 s28, s33, 0xff
	s_cmp_lt_i32 s28, 11
	v_mul_f64 v[0:1], v[2:3], -v[0:1]
	v_fma_f64 v[0:1], v[0:1], v[2:3], 1.0
	v_mul_f64 v[6:7], v[2:3], v[0:1]
	v_fma_f64 v[0:1], v[0:1], s[0:1], 0.5
	v_fma_f64 v[0:1], v[6:7], v[0:1], v[2:3]
	v_cmp_class_f64_e32 vcc, v[2:3], v5
	s_movk_i32 s0, 0x1ff
	s_nop 0
	v_cndmask_b32_e32 v0, v2, v0, vcc
	v_cndmask_b32_e32 v1, v3, v1, vcc
	v_and_or_b32 v0, v1, s0, v0
	v_cmp_ne_u32_e32 vcc, 0, v0
	v_lshrrev_b32_e32 v2, 8, v1
	s_movk_i32 s0, 0xffe
	v_cndmask_b32_e64 v0, 0, 1, vcc
	v_bfe_u32 v3, v1, 20, 11
	v_and_or_b32 v0, v2, s0, v0
	v_sub_u32_e32 v5, 0x3f1, v3
	v_or_b32_e32 v2, 0x1000, v0
	v_med3_i32 v5, v5, 0, 13
	v_lshrrev_b32_e32 v6, v5, v2
	v_lshlrev_b32_e32 v5, v5, v6
	v_cmp_ne_u32_e32 vcc, v5, v2
	v_add_u32_e32 v3, 0xfffffc10, v3
	v_lshl_or_b32 v5, v3, 12, v0
	v_cndmask_b32_e64 v2, 0, 1, vcc
	v_or_b32_e32 v2, v6, v2
	v_cmp_gt_i32_e32 vcc, 1, v3
	s_movk_i32 s0, 0x40f
	v_lshrrev_b32_e32 v1, 16, v1
	v_cndmask_b32_e32 v2, v5, v2, vcc
	v_and_b32_e32 v5, 7, v2
	v_cmp_lt_i32_e32 vcc, 5, v5
	v_lshrrev_b32_e32 v2, 2, v2
	s_nop 0
	v_cndmask_b32_e64 v6, 0, 1, vcc
	v_cmp_eq_u32_e32 vcc, 3, v5
	s_nop 1
	v_cndmask_b32_e64 v5, 0, 1, vcc
	v_or_b32_e32 v5, v5, v6
	v_add_u32_e32 v2, v2, v5
	v_mov_b32_e32 v5, 0x7c00
	v_cmp_gt_i32_e32 vcc, 31, v3
	v_mov_b32_e32 v6, 0x7e00
	s_nop 0
	v_cndmask_b32_e32 v2, v5, v2, vcc
	v_cmp_ne_u32_e32 vcc, 0, v0
	s_nop 1
	v_cndmask_b32_e32 v0, v5, v6, vcc
	v_cmp_eq_u32_e32 vcc, s0, v3
	s_mov_b32 s0, 0x8000
	s_nop 0
	v_cndmask_b32_e32 v0, v2, v0, vcc
	v_and_or_b32 v2, v1, s0, v0
	v_mul_lo_u32 v0, v4, s8
	v_ashrrev_i32_e32 v1, 31, v0
	v_lshl_add_u64 v[0:1], s[4:5], 0, v[0:1]
	s_cbranch_scc1 .LBB216_274
; %bb.267:
	s_and_b32 s29, 0xffff, s28
	s_cmp_gt_i32 s29, 25
	s_cbranch_scc0 .LBB216_276
; %bb.268:
	s_cmp_gt_i32 s29, 28
	s_cbranch_scc0 .LBB216_278
; %bb.269:
	;; [unrolled: 3-line block ×4, first 2 shown]
	s_mov_b64 s[24:25], 0
	s_mov_b64 s[0:1], -1
	s_cmp_eq_u32 s29, 46
	s_mov_b64 s[20:21], 0
	s_cbranch_scc0 .LBB216_290
; %bb.272:
	v_cvt_f32_f16_e32 v3, v2
	s_movk_i32 s0, 0x7fff
	v_cmp_o_f16_e32 vcc, v2, v2
	v_mov_b32_e32 v5, 0x7fc0
	v_bfe_u32 v6, v3, 16, 1
	v_add3_u32 v3, v3, v6, s0
	v_cndmask_b32_sdwa v3, v5, v3, vcc dst_sel:DWORD dst_unused:UNUSED_PAD src0_sel:DWORD src1_sel:WORD_1
	global_store_dword v[0:1], v3, off
	s_mov_b64 s[20:21], -1
	s_mov_b64 s[0:1], 0
	s_branch .LBB216_290
.LBB216_273:
	s_mov_b64 s[20:21], -1
	s_mov_b64 s[0:1], 0
	s_mov_b64 s[18:19], s[14:15]
                                        ; implicit-def: $vgpr2
	s_branch .LBB216_427
.LBB216_274:
	s_mov_b64 s[24:25], -1
	s_mov_b64 s[20:21], 0
	s_mov_b64 s[0:1], s[12:13]
	s_branch .LBB216_359
.LBB216_275:
	s_mov_b64 s[20:21], -1
	s_mov_b64 s[0:1], 0
	s_mov_b64 s[18:19], s[14:15]
                                        ; implicit-def: $vgpr2
	s_branch .LBB216_408
.LBB216_276:
	s_mov_b64 s[24:25], -1
	s_mov_b64 s[20:21], 0
	s_mov_b64 s[0:1], s[12:13]
	s_branch .LBB216_317
.LBB216_277:
	s_mov_b64 s[20:21], -1
	s_mov_b64 s[0:1], 0
	s_mov_b64 s[18:19], s[14:15]
                                        ; implicit-def: $vgpr2
	s_branch .LBB216_403
.LBB216_278:
	s_mov_b64 s[24:25], -1
	s_mov_b64 s[20:21], 0
	s_mov_b64 s[0:1], s[12:13]
	s_branch .LBB216_300
.LBB216_279:
	s_andn2_saveexec_b64 s[22:23], s[22:23]
	s_cbranch_execz .LBB216_55
.LBB216_280:
	s_mov_b32 s26, 0x46000000
	v_add_f32_e64 v5, |v3|, s26
	v_and_b32_e32 v5, 0xff, v5
	v_cmp_ne_u32_e32 vcc, 0, v5
	s_andn2_b64 s[18:19], s[18:19], exec
	s_and_b64 s[26:27], vcc, exec
	s_or_b64 s[18:19], s[18:19], s[26:27]
	s_or_b64 exec, exec, s[22:23]
	v_mov_b32_e32 v6, 0
	s_and_saveexec_b64 s[22:23], s[18:19]
	s_cbranch_execnz .LBB216_56
	s_branch .LBB216_57
.LBB216_281:
	s_mov_b64 s[20:21], -1
	s_mov_b64 s[0:1], 0
	s_mov_b64 s[18:19], s[14:15]
                                        ; implicit-def: $vgpr2
	s_branch .LBB216_286
.LBB216_282:
	s_mov_b64 s[24:25], -1
	s_mov_b64 s[20:21], 0
	s_mov_b64 s[0:1], s[12:13]
	s_branch .LBB216_296
.LBB216_283:
	s_andn2_saveexec_b64 s[22:23], s[22:23]
	s_cbranch_execz .LBB216_68
.LBB216_284:
	s_mov_b32 s26, 0x42800000
	v_add_f32_e64 v5, |v3|, s26
	v_and_b32_e32 v5, 0xff, v5
	v_cmp_ne_u32_e32 vcc, 0, v5
	s_andn2_b64 s[18:19], s[18:19], exec
	s_and_b64 s[26:27], vcc, exec
	s_or_b64 s[18:19], s[18:19], s[26:27]
	s_or_b64 exec, exec, s[22:23]
	v_mov_b32_e32 v6, 0
	s_and_saveexec_b64 s[22:23], s[18:19]
	s_cbranch_execnz .LBB216_69
	s_branch .LBB216_70
.LBB216_285:
	s_mov_b64 s[18:19], -1
                                        ; implicit-def: $vgpr2
	s_mov_b64 s[0:1], 0
.LBB216_286:
	s_and_b64 vcc, exec, s[20:21]
	s_cbranch_vccz .LBB216_402
; %bb.287:
	s_cmp_eq_u32 s26, 44
	s_cbranch_scc0 .LBB216_401
; %bb.288:
	global_load_ubyte v2, v[0:1], off
	s_movk_i32 s18, 0xff
	v_mov_b32_e32 v5, 0x7e00
	s_mov_b64 s[0:1], -1
	s_waitcnt vmcnt(0)
	v_lshlrev_b32_e32 v3, 23, v2
	v_cvt_f16_f32_e32 v3, v3
	v_cmp_ne_u32_e32 vcc, s18, v2
	s_mov_b64 s[18:19], 0
	s_nop 0
	v_cndmask_b32_e32 v3, v5, v3, vcc
	v_cmp_ne_u32_e32 vcc, 0, v2
	s_nop 1
	v_cndmask_b32_e32 v2, 0, v3, vcc
	s_branch .LBB216_402
.LBB216_289:
	s_mov_b64 s[24:25], -1
	s_mov_b64 s[20:21], 0
	s_mov_b64 s[0:1], s[12:13]
.LBB216_290:
	s_and_b64 vcc, exec, s[24:25]
	s_cbranch_vccz .LBB216_295
; %bb.291:
	s_cmp_eq_u32 s29, 44
	s_mov_b64 s[0:1], -1
	s_cbranch_scc0 .LBB216_295
; %bb.292:
	v_cvt_f32_f16_e32 v3, v2
	s_movk_i32 s0, 0xff
	v_mov_b32_e32 v6, 0xff
	v_bfe_u32 v5, v3, 23, 8
	v_cmp_ne_u32_e32 vcc, s0, v5
	s_and_saveexec_b64 s[20:21], vcc
; %bb.293:
	s_mov_b32 s0, 0x3fffff
	v_lshrrev_b32_e32 v6, 23, v3
	v_and_b32_e32 v7, 0x400000, v3
	v_and_or_b32 v3, v3, s0, v5
	v_cmp_ne_u32_e32 vcc, 0, v7
	v_cmp_ne_u32_e64 s[0:1], 0, v3
	s_and_b64 s[0:1], vcc, s[0:1]
	s_nop 0
	v_cndmask_b32_e64 v3, 0, 1, s[0:1]
	v_add_u32_e32 v6, v6, v3
; %bb.294:
	s_or_b64 exec, exec, s[20:21]
	s_mov_b64 s[20:21], -1
	s_mov_b64 s[0:1], 0
	global_store_byte v[0:1], v6, off
.LBB216_295:
	s_mov_b64 s[24:25], 0
.LBB216_296:
	s_and_b64 vcc, exec, s[24:25]
	s_cbranch_vccz .LBB216_299
; %bb.297:
	s_cmp_eq_u32 s29, 29
	s_mov_b64 s[0:1], -1
	s_cbranch_scc0 .LBB216_299
; %bb.298:
	v_cvt_f32_f16_e32 v3, v2
	v_mov_b32_e32 v7, 0
	s_mov_b64 s[20:21], -1
	s_mov_b64 s[0:1], 0
	v_cvt_u32_f32_e32 v6, v3
	s_mov_b64 s[24:25], 0
	global_store_dwordx2 v[0:1], v[6:7], off
	s_branch .LBB216_300
.LBB216_299:
	s_mov_b64 s[24:25], 0
.LBB216_300:
	s_and_b64 vcc, exec, s[24:25]
	s_cbranch_vccz .LBB216_316
; %bb.301:
	s_cmp_lt_i32 s29, 27
	s_mov_b64 s[20:21], -1
	s_cbranch_scc1 .LBB216_307
; %bb.302:
	s_cmp_gt_i32 s29, 27
	s_cbranch_scc0 .LBB216_304
; %bb.303:
	v_cvt_f32_f16_e32 v3, v2
	s_mov_b64 s[20:21], 0
	v_cvt_u32_f32_e32 v3, v3
	global_store_dword v[0:1], v3, off
.LBB216_304:
	s_andn2_b64 vcc, exec, s[20:21]
	s_cbranch_vccnz .LBB216_306
; %bb.305:
	v_cvt_u16_f16_e32 v3, v2
	global_store_short v[0:1], v3, off
.LBB216_306:
	s_mov_b64 s[20:21], 0
.LBB216_307:
	s_andn2_b64 vcc, exec, s[20:21]
	s_cbranch_vccnz .LBB216_315
; %bb.308:
	v_cvt_f32_f16_e32 v3, v2
	s_mov_b32 s20, 0x43800000
	v_mov_b32_e32 v6, 0x80
	v_and_b32_e32 v5, 0x7fffffff, v3
	v_cmp_gt_u32_e32 vcc, s20, v5
	s_and_saveexec_b64 s[20:21], vcc
	s_cbranch_execz .LBB216_314
; %bb.309:
	s_mov_b32 s24, 0x3bffffff
	v_cmp_lt_u32_e32 vcc, s24, v5
	s_mov_b64 s[24:25], 0
                                        ; implicit-def: $vgpr5
	s_and_saveexec_b64 s[26:27], vcc
	s_xor_b64 s[26:27], exec, s[26:27]
	s_cbranch_execz .LBB216_526
; %bb.310:
	v_bfe_u32 v5, v3, 20, 1
	s_mov_b32 s30, 0x487ffff
	v_add3_u32 v5, v3, v5, s30
	s_mov_b64 s[24:25], exec
	v_lshrrev_b32_e32 v5, 20, v5
	s_andn2_saveexec_b64 s[26:27], s[26:27]
	s_cbranch_execnz .LBB216_527
.LBB216_311:
	s_or_b64 exec, exec, s[26:27]
	v_mov_b32_e32 v6, 0
	s_and_saveexec_b64 s[26:27], s[24:25]
.LBB216_312:
	v_lshrrev_b32_e32 v3, 24, v3
	s_movk_i32 s24, 0x80
	v_and_or_b32 v6, v3, s24, v5
.LBB216_313:
	s_or_b64 exec, exec, s[26:27]
.LBB216_314:
	s_or_b64 exec, exec, s[20:21]
	global_store_byte v[0:1], v6, off
.LBB216_315:
	s_mov_b64 s[20:21], -1
.LBB216_316:
	s_mov_b64 s[24:25], 0
.LBB216_317:
	s_and_b64 vcc, exec, s[24:25]
	s_cbranch_vccz .LBB216_358
; %bb.318:
	s_cmp_gt_i32 s29, 22
	s_mov_b64 s[24:25], -1
	s_cbranch_scc0 .LBB216_350
; %bb.319:
	s_cmp_lt_i32 s29, 24
	s_mov_b64 s[20:21], -1
	s_cbranch_scc1 .LBB216_339
; %bb.320:
	s_cmp_gt_i32 s29, 24
	s_cbranch_scc0 .LBB216_328
; %bb.321:
	v_cvt_f32_f16_e32 v3, v2
	s_mov_b32 s20, 0x47800000
	v_mov_b32_e32 v6, 0x80
	v_and_b32_e32 v5, 0x7fffffff, v3
	v_cmp_gt_u32_e32 vcc, s20, v5
	s_and_saveexec_b64 s[20:21], vcc
	s_cbranch_execz .LBB216_327
; %bb.322:
	s_mov_b32 s24, 0x37ffffff
	v_cmp_lt_u32_e32 vcc, s24, v5
	s_mov_b64 s[24:25], 0
                                        ; implicit-def: $vgpr5
	s_and_saveexec_b64 s[26:27], vcc
	s_xor_b64 s[26:27], exec, s[26:27]
	s_cbranch_execz .LBB216_529
; %bb.323:
	v_bfe_u32 v5, v3, 21, 1
	s_mov_b32 s30, 0x88fffff
	v_add3_u32 v5, v3, v5, s30
	s_mov_b64 s[24:25], exec
	v_lshrrev_b32_e32 v5, 21, v5
	s_andn2_saveexec_b64 s[26:27], s[26:27]
	s_cbranch_execnz .LBB216_530
.LBB216_324:
	s_or_b64 exec, exec, s[26:27]
	v_mov_b32_e32 v6, 0
	s_and_saveexec_b64 s[26:27], s[24:25]
.LBB216_325:
	v_lshrrev_b32_e32 v3, 24, v3
	s_movk_i32 s24, 0x80
	v_and_or_b32 v6, v3, s24, v5
.LBB216_326:
	s_or_b64 exec, exec, s[26:27]
.LBB216_327:
	s_or_b64 exec, exec, s[20:21]
	s_mov_b64 s[20:21], 0
	global_store_byte v[0:1], v6, off
.LBB216_328:
	s_and_b64 vcc, exec, s[20:21]
	s_cbranch_vccz .LBB216_338
; %bb.329:
	v_cvt_f32_f16_e32 v3, v2
	s_mov_b32 s20, 0x43f00000
                                        ; implicit-def: $vgpr5
	v_and_b32_e32 v6, 0x7fffffff, v3
	v_cmp_gt_u32_e32 vcc, s20, v6
	s_and_saveexec_b64 s[20:21], vcc
	s_xor_b64 s[20:21], exec, s[20:21]
	s_cbranch_execz .LBB216_335
; %bb.330:
	s_mov_b32 s24, 0x3c7fffff
	v_cmp_lt_u32_e32 vcc, s24, v6
                                        ; implicit-def: $vgpr5
	s_and_saveexec_b64 s[24:25], vcc
	s_xor_b64 s[24:25], exec, s[24:25]
; %bb.331:
	v_bfe_u32 v5, v3, 20, 1
	s_mov_b32 s26, 0x407ffff
	v_add3_u32 v5, v3, v5, s26
	v_lshrrev_b32_e32 v6, 20, v5
	v_and_b32_e32 v5, 0xff00000, v5
	s_mov_b32 s26, 0x7f00000
	v_mov_b32_e32 v7, 0x7e
	v_cmp_ne_u32_e32 vcc, s26, v5
	s_nop 1
	v_cndmask_b32_e32 v5, v7, v6, vcc
; %bb.332:
	s_andn2_saveexec_b64 s[24:25], s[24:25]
; %bb.333:
	s_mov_b32 s26, 0x46800000
	v_add_f32_e64 v5, |v3|, s26
; %bb.334:
	s_or_b64 exec, exec, s[24:25]
                                        ; implicit-def: $vgpr6
.LBB216_335:
	s_andn2_saveexec_b64 s[20:21], s[20:21]
; %bb.336:
	s_mov_b32 s24, 0x7f800000
	v_mov_b32_e32 v5, 0x7e
	v_mov_b32_e32 v7, 0x7f
	v_cmp_lt_u32_e32 vcc, s24, v6
	s_nop 1
	v_cndmask_b32_e32 v5, v5, v7, vcc
; %bb.337:
	s_or_b64 exec, exec, s[20:21]
	v_lshrrev_b32_e32 v3, 24, v3
	s_movk_i32 s20, 0x80
	v_and_or_b32 v3, v3, s20, v5
	global_store_byte v[0:1], v3, off
.LBB216_338:
	s_mov_b64 s[20:21], 0
.LBB216_339:
	s_andn2_b64 vcc, exec, s[20:21]
	s_cbranch_vccnz .LBB216_349
; %bb.340:
	v_cvt_f32_f16_e32 v3, v2
	s_mov_b32 s20, 0x47800000
                                        ; implicit-def: $vgpr5
	v_and_b32_e32 v6, 0x7fffffff, v3
	v_cmp_gt_u32_e32 vcc, s20, v6
	s_and_saveexec_b64 s[20:21], vcc
	s_xor_b64 s[20:21], exec, s[20:21]
	s_cbranch_execz .LBB216_346
; %bb.341:
	s_mov_b32 s24, 0x387fffff
	v_cmp_lt_u32_e32 vcc, s24, v6
                                        ; implicit-def: $vgpr5
	s_and_saveexec_b64 s[24:25], vcc
	s_xor_b64 s[24:25], exec, s[24:25]
; %bb.342:
	v_bfe_u32 v5, v3, 21, 1
	s_mov_b32 s26, 0x80fffff
	v_add3_u32 v5, v3, v5, s26
	v_lshrrev_b32_e32 v5, 21, v5
; %bb.343:
	s_andn2_saveexec_b64 s[24:25], s[24:25]
; %bb.344:
	s_mov_b32 s26, 0x43000000
	v_add_f32_e64 v5, |v3|, s26
; %bb.345:
	s_or_b64 exec, exec, s[24:25]
                                        ; implicit-def: $vgpr6
.LBB216_346:
	s_andn2_saveexec_b64 s[20:21], s[20:21]
; %bb.347:
	s_mov_b32 s24, 0x7f800000
	v_mov_b32_e32 v5, 0x7c
	v_mov_b32_e32 v7, 0x7f
	v_cmp_lt_u32_e32 vcc, s24, v6
	s_nop 1
	v_cndmask_b32_e32 v5, v5, v7, vcc
; %bb.348:
	s_or_b64 exec, exec, s[20:21]
	v_lshrrev_b32_e32 v3, 24, v3
	s_movk_i32 s20, 0x80
	v_and_or_b32 v3, v3, s20, v5
	global_store_byte v[0:1], v3, off
.LBB216_349:
	s_mov_b64 s[24:25], 0
	s_mov_b64 s[20:21], -1
.LBB216_350:
	s_andn2_b64 vcc, exec, s[24:25]
	s_cbranch_vccnz .LBB216_358
; %bb.351:
	s_cmp_gt_i32 s29, 14
	s_mov_b64 s[24:25], -1
	s_cbranch_scc0 .LBB216_355
; %bb.352:
	s_cmp_eq_u32 s29, 15
	s_mov_b64 s[0:1], -1
	s_cbranch_scc0 .LBB216_354
; %bb.353:
	v_cvt_f32_f16_e32 v3, v2
	s_movk_i32 s0, 0x7fff
	v_cmp_o_f16_e32 vcc, v2, v2
	v_mov_b32_e32 v5, 0x7fc0
	v_bfe_u32 v6, v3, 16, 1
	v_add3_u32 v3, v3, v6, s0
	v_cndmask_b32_sdwa v3, v5, v3, vcc dst_sel:DWORD dst_unused:UNUSED_PAD src0_sel:DWORD src1_sel:WORD_1
	global_store_short v[0:1], v3, off
	s_mov_b64 s[20:21], -1
	s_mov_b64 s[0:1], 0
.LBB216_354:
	s_mov_b64 s[24:25], 0
.LBB216_355:
	s_and_b64 vcc, exec, s[24:25]
	s_cbranch_vccz .LBB216_358
; %bb.356:
	s_cmp_eq_u32 s29, 11
	s_mov_b64 s[0:1], -1
	s_cbranch_scc0 .LBB216_358
; %bb.357:
	v_cmp_neq_f16_e32 vcc, 0, v2
	s_mov_b64 s[20:21], -1
	s_mov_b64 s[0:1], 0
	v_cndmask_b32_e64 v3, 0, 1, vcc
	global_store_byte v[0:1], v3, off
.LBB216_358:
	s_mov_b64 s[24:25], 0
.LBB216_359:
	s_and_b64 vcc, exec, s[24:25]
	s_cbranch_vccz .LBB216_398
; %bb.360:
	s_and_b32 s24, 0xffff, s28
	s_cmp_lt_i32 s24, 5
	s_mov_b64 s[20:21], -1
	s_cbranch_scc1 .LBB216_381
; %bb.361:
	s_cmp_lt_i32 s24, 8
	s_cbranch_scc1 .LBB216_371
; %bb.362:
	s_cmp_lt_i32 s24, 9
	s_cbranch_scc1 .LBB216_368
; %bb.363:
	s_cmp_gt_i32 s24, 9
	s_cbranch_scc0 .LBB216_365
; %bb.364:
	v_cvt_f32_f16_e32 v3, v2
	v_mov_b32_e32 v8, 0
	v_mov_b32_e32 v9, v8
	s_mov_b64 s[20:21], 0
	v_cvt_f64_f32_e32 v[6:7], v3
	global_store_dwordx4 v[0:1], v[6:9], off
.LBB216_365:
	s_andn2_b64 vcc, exec, s[20:21]
	s_cbranch_vccnz .LBB216_367
; %bb.366:
	v_cvt_f32_f16_e32 v6, v2
	v_mov_b32_e32 v7, 0
	global_store_dwordx2 v[0:1], v[6:7], off
.LBB216_367:
	s_mov_b64 s[20:21], 0
.LBB216_368:
	s_andn2_b64 vcc, exec, s[20:21]
	s_cbranch_vccnz .LBB216_370
; %bb.369:
	v_and_b32_e32 v3, 0xffff, v2
	global_store_dword v[0:1], v3, off
.LBB216_370:
	s_mov_b64 s[20:21], 0
.LBB216_371:
	s_andn2_b64 vcc, exec, s[20:21]
	s_cbranch_vccnz .LBB216_380
; %bb.372:
	s_cmp_lt_i32 s24, 6
	s_mov_b64 s[20:21], -1
	s_cbranch_scc1 .LBB216_378
; %bb.373:
	s_cmp_gt_i32 s24, 6
	s_cbranch_scc0 .LBB216_375
; %bb.374:
	v_cvt_f32_f16_e32 v3, v2
	s_mov_b64 s[20:21], 0
	v_cvt_f64_f32_e32 v[6:7], v3
	global_store_dwordx2 v[0:1], v[6:7], off
.LBB216_375:
	s_andn2_b64 vcc, exec, s[20:21]
	s_cbranch_vccnz .LBB216_377
; %bb.376:
	v_cvt_f32_f16_e32 v3, v2
	global_store_dword v[0:1], v3, off
.LBB216_377:
	s_mov_b64 s[20:21], 0
.LBB216_378:
	s_andn2_b64 vcc, exec, s[20:21]
	s_cbranch_vccnz .LBB216_380
; %bb.379:
	global_store_short v[0:1], v2, off
.LBB216_380:
	s_mov_b64 s[20:21], 0
.LBB216_381:
	s_andn2_b64 vcc, exec, s[20:21]
	s_cbranch_vccnz .LBB216_397
; %bb.382:
	s_cmp_lt_i32 s24, 2
	s_mov_b64 s[20:21], -1
	s_cbranch_scc1 .LBB216_392
; %bb.383:
	s_cmp_lt_i32 s24, 3
	s_cbranch_scc1 .LBB216_389
; %bb.384:
	s_cmp_gt_i32 s24, 3
	s_cbranch_scc0 .LBB216_386
; %bb.385:
	v_cvt_f32_f16_e32 v3, v2
	s_mov_b64 s[20:21], 0
	v_cvt_i32_f32_e32 v6, v3
	v_ashrrev_i32_e32 v7, 31, v6
	global_store_dwordx2 v[0:1], v[6:7], off
.LBB216_386:
	s_andn2_b64 vcc, exec, s[20:21]
	s_cbranch_vccnz .LBB216_388
; %bb.387:
	v_cvt_f32_f16_e32 v3, v2
	v_cvt_i32_f32_e32 v3, v3
	global_store_dword v[0:1], v3, off
.LBB216_388:
	s_mov_b64 s[20:21], 0
.LBB216_389:
	s_andn2_b64 vcc, exec, s[20:21]
	s_cbranch_vccnz .LBB216_391
; %bb.390:
	v_cvt_i16_f16_e32 v3, v2
	global_store_short v[0:1], v3, off
.LBB216_391:
	s_mov_b64 s[20:21], 0
.LBB216_392:
	s_andn2_b64 vcc, exec, s[20:21]
	s_cbranch_vccnz .LBB216_397
; %bb.393:
	s_cmp_gt_i32 s24, 0
	s_mov_b64 s[20:21], -1
	s_cbranch_scc0 .LBB216_395
; %bb.394:
	v_cvt_i16_f16_e32 v3, v2
	s_mov_b64 s[20:21], 0
	global_store_byte v[0:1], v3, off
.LBB216_395:
	s_andn2_b64 vcc, exec, s[20:21]
	s_cbranch_vccnz .LBB216_397
; %bb.396:
	v_cvt_f32_f16_e32 v2, v2
	v_cvt_i32_f32_e32 v2, v2
	global_store_byte v[0:1], v2, off
.LBB216_397:
	s_mov_b64 s[20:21], -1
.LBB216_398:
	s_andn2_b64 vcc, exec, s[20:21]
	s_cbranch_vccnz .LBB216_400
; %bb.399:
	v_add_u32_e32 v4, 0x80, v4
	s_mov_b64 s[24:25], -1
	s_branch .LBB216_512
.LBB216_400:
	s_mov_b64 s[24:25], 0
                                        ; implicit-def: $vgpr4
	s_branch .LBB216_512
.LBB216_401:
	s_mov_b64 s[18:19], -1
                                        ; implicit-def: $vgpr2
.LBB216_402:
	s_mov_b64 s[20:21], 0
.LBB216_403:
	s_and_b64 vcc, exec, s[20:21]
	s_cbranch_vccz .LBB216_407
; %bb.404:
	s_cmp_eq_u32 s26, 29
	s_cbranch_scc0 .LBB216_406
; %bb.405:
	global_load_dwordx2 v[2:3], v[0:1], off
	s_mov_b64 s[0:1], -1
	s_mov_b64 s[18:19], 0
	s_mov_b64 s[20:21], 0
	s_waitcnt vmcnt(0)
	v_ffbh_u32_e32 v5, v3
	v_min_u32_e32 v5, 32, v5
	v_lshlrev_b64 v[2:3], v5, v[2:3]
	v_min_u32_e32 v2, 1, v2
	v_or_b32_e32 v2, v3, v2
	v_cvt_f32_u32_e32 v2, v2
	v_sub_u32_e32 v3, 32, v5
	v_ldexp_f32 v2, v2, v3
	v_cvt_f16_f32_e32 v2, v2
	s_branch .LBB216_408
.LBB216_406:
	s_mov_b64 s[18:19], -1
                                        ; implicit-def: $vgpr2
.LBB216_407:
	s_mov_b64 s[20:21], 0
.LBB216_408:
	s_and_b64 vcc, exec, s[20:21]
	s_cbranch_vccz .LBB216_426
; %bb.409:
	s_cmp_lt_i32 s26, 27
	s_cbranch_scc1 .LBB216_412
; %bb.410:
	s_cmp_gt_i32 s26, 27
	s_cbranch_scc0 .LBB216_413
; %bb.411:
	global_load_dword v2, v[0:1], off
	s_mov_b64 s[0:1], 0
	s_waitcnt vmcnt(0)
	v_cvt_f32_u32_e32 v2, v2
	v_cvt_f16_f32_e32 v2, v2
	s_branch .LBB216_414
.LBB216_412:
	s_mov_b64 s[0:1], -1
                                        ; implicit-def: $vgpr2
	s_branch .LBB216_417
.LBB216_413:
	s_mov_b64 s[0:1], -1
                                        ; implicit-def: $vgpr2
.LBB216_414:
	s_andn2_b64 vcc, exec, s[0:1]
	s_cbranch_vccnz .LBB216_416
; %bb.415:
	global_load_ushort v2, v[0:1], off
	s_waitcnt vmcnt(0)
	v_cvt_f16_u16_e32 v2, v2
.LBB216_416:
	s_mov_b64 s[0:1], 0
.LBB216_417:
	s_andn2_b64 vcc, exec, s[0:1]
	s_cbranch_vccnz .LBB216_425
; %bb.418:
	global_load_ubyte v3, v[0:1], off
	s_movk_i32 s0, 0x7f
	s_waitcnt vmcnt(0)
	v_cmp_lt_i16_e32 vcc, s0, v3
	s_mov_b64 s[0:1], 0
	s_and_saveexec_b64 s[20:21], vcc
	s_xor_b64 s[20:21], exec, s[20:21]
	s_cbranch_execz .LBB216_439
; %bb.419:
	s_movk_i32 s0, 0x80
	v_cmp_eq_u16_e32 vcc, s0, v3
	s_mov_b64 s[0:1], -1
	s_and_saveexec_b64 s[24:25], vcc
; %bb.420:
	s_xor_b64 s[0:1], exec, -1
; %bb.421:
	s_or_b64 exec, exec, s[24:25]
	s_and_b64 s[0:1], s[0:1], exec
	s_or_saveexec_b64 s[20:21], s[20:21]
	v_mov_b32_e32 v2, 0x7e00
	s_xor_b64 exec, exec, s[20:21]
	s_cbranch_execnz .LBB216_440
.LBB216_422:
	s_or_b64 exec, exec, s[20:21]
	s_and_saveexec_b64 s[20:21], s[0:1]
	s_cbranch_execz .LBB216_424
.LBB216_423:
	v_lshlrev_b32_e32 v2, 24, v3
	v_and_b32_e32 v3, 0xffff, v3
	v_and_b32_e32 v5, 7, v3
	v_ffbh_u32_e32 v7, v5
	v_min_u32_e32 v7, 32, v7
	v_subrev_u32_e32 v8, 28, v7
	v_bfe_u32 v6, v3, 3, 4
	v_lshlrev_b32_e32 v3, v8, v3
	v_sub_u32_e32 v7, 29, v7
	v_and_b32_e32 v3, 7, v3
	v_cmp_eq_u32_e32 vcc, 0, v6
	v_and_b32_e32 v2, 0x80000000, v2
	s_nop 0
	v_cndmask_b32_e32 v6, v6, v7, vcc
	v_cndmask_b32_e32 v3, v5, v3, vcc
	v_mov_b32_e32 v5, 0x3b800000
	v_lshlrev_b32_e32 v3, 20, v3
	v_lshl_add_u32 v5, v6, 23, v5
	v_or3_b32 v2, v2, v5, v3
	v_cvt_f16_f32_e32 v2, v2
.LBB216_424:
	s_or_b64 exec, exec, s[20:21]
.LBB216_425:
	s_mov_b64 s[0:1], -1
.LBB216_426:
	s_mov_b64 s[20:21], 0
.LBB216_427:
	s_and_b64 vcc, exec, s[20:21]
	s_cbranch_vccz .LBB216_462
; %bb.428:
	s_cmp_gt_i32 s26, 22
	s_cbranch_scc0 .LBB216_438
; %bb.429:
	s_cmp_lt_i32 s26, 24
	s_cbranch_scc1 .LBB216_441
; %bb.430:
	s_cmp_gt_i32 s26, 24
	s_cbranch_scc0 .LBB216_442
; %bb.431:
	global_load_ubyte v3, v[0:1], off
	s_movk_i32 s0, 0x7f
	s_waitcnt vmcnt(0)
	v_cmp_lt_i16_e32 vcc, s0, v3
	s_mov_b64 s[0:1], 0
	s_and_saveexec_b64 s[20:21], vcc
	s_xor_b64 s[20:21], exec, s[20:21]
	s_cbranch_execz .LBB216_454
; %bb.432:
	s_movk_i32 s0, 0x80
	v_cmp_eq_u16_e32 vcc, s0, v3
	s_mov_b64 s[0:1], -1
	s_and_saveexec_b64 s[24:25], vcc
; %bb.433:
	s_xor_b64 s[0:1], exec, -1
; %bb.434:
	s_or_b64 exec, exec, s[24:25]
	s_and_b64 s[0:1], s[0:1], exec
	s_or_saveexec_b64 s[20:21], s[20:21]
	v_mov_b32_e32 v2, 0x7e00
	s_xor_b64 exec, exec, s[20:21]
	s_cbranch_execnz .LBB216_455
.LBB216_435:
	s_or_b64 exec, exec, s[20:21]
	s_and_saveexec_b64 s[20:21], s[0:1]
	s_cbranch_execz .LBB216_437
.LBB216_436:
	v_lshlrev_b32_e32 v2, 24, v3
	v_and_b32_e32 v3, 0xffff, v3
	v_and_b32_e32 v5, 3, v3
	v_ffbh_u32_e32 v7, v5
	v_min_u32_e32 v7, 32, v7
	v_subrev_u32_e32 v8, 29, v7
	v_bfe_u32 v6, v3, 2, 5
	v_lshlrev_b32_e32 v3, v8, v3
	v_sub_u32_e32 v7, 30, v7
	v_and_b32_e32 v3, 3, v3
	v_cmp_eq_u32_e32 vcc, 0, v6
	v_and_b32_e32 v2, 0x80000000, v2
	s_nop 0
	v_cndmask_b32_e32 v6, v6, v7, vcc
	v_cndmask_b32_e32 v3, v5, v3, vcc
	v_mov_b32_e32 v5, 0x37800000
	v_lshlrev_b32_e32 v3, 21, v3
	v_lshl_add_u32 v5, v6, 23, v5
	v_or3_b32 v2, v2, v5, v3
	v_cvt_f16_f32_e32 v2, v2
.LBB216_437:
	s_or_b64 exec, exec, s[20:21]
	s_mov_b64 s[0:1], 0
	s_branch .LBB216_443
.LBB216_438:
	s_mov_b64 s[20:21], -1
                                        ; implicit-def: $vgpr2
	s_branch .LBB216_449
.LBB216_439:
	s_or_saveexec_b64 s[20:21], s[20:21]
	v_mov_b32_e32 v2, 0x7e00
	s_xor_b64 exec, exec, s[20:21]
	s_cbranch_execz .LBB216_422
.LBB216_440:
	v_cmp_ne_u16_e32 vcc, 0, v3
	s_andn2_b64 s[0:1], s[0:1], exec
	s_and_b64 s[24:25], vcc, exec
	s_or_b64 s[0:1], s[0:1], s[24:25]
	v_mov_b32_e32 v2, v3
	s_or_b64 exec, exec, s[20:21]
	s_and_saveexec_b64 s[20:21], s[0:1]
	s_cbranch_execnz .LBB216_423
	s_branch .LBB216_424
.LBB216_441:
	s_mov_b64 s[0:1], -1
                                        ; implicit-def: $vgpr2
	s_branch .LBB216_446
.LBB216_442:
	s_mov_b64 s[0:1], -1
                                        ; implicit-def: $vgpr2
.LBB216_443:
	s_and_b64 vcc, exec, s[0:1]
	s_cbranch_vccz .LBB216_445
; %bb.444:
	global_load_ubyte v2, v[0:1], off
	s_mov_b32 s0, 0x7f800000
	s_waitcnt vmcnt(0)
	v_lshlrev_b32_e32 v2, 24, v2
	v_and_b32_e32 v3, 0x7f000000, v2
	v_ffbh_u32_e32 v5, v3
	v_min_u32_e32 v5, 32, v5
	v_sub_u32_e64 v5, v5, 4 clamp
	v_lshlrev_b32_e32 v7, v5, v3
	v_lshlrev_b32_e32 v5, 23, v5
	v_lshrrev_b32_e32 v7, 4, v7
	v_add_u32_e32 v6, 0x1000000, v3
	v_sub_u32_e32 v5, v7, v5
	v_ashrrev_i32_e32 v6, 8, v6
	v_add_u32_e32 v5, 0x3c000000, v5
	v_and_or_b32 v5, v6, s0, v5
	v_cmp_ne_u32_e32 vcc, 0, v3
	s_brev_b32 s0, 1
	s_nop 0
	v_cndmask_b32_e32 v3, 0, v5, vcc
	v_and_or_b32 v2, v2, s0, v3
	v_cvt_f16_f32_e32 v2, v2
.LBB216_445:
	s_mov_b64 s[0:1], 0
.LBB216_446:
	s_andn2_b64 vcc, exec, s[0:1]
	s_cbranch_vccnz .LBB216_448
; %bb.447:
	global_load_ubyte v2, v[0:1], off
	s_movk_i32 s0, 0x7f00
	s_brev_b32 s1, 16
	s_waitcnt vmcnt(0)
	v_lshlrev_b16_e32 v3, 8, v2
	v_lshlrev_b32_e32 v2, 25, v2
	v_lshrrev_b32_e32 v5, 4, v2
	v_and_or_b32 v6, v3, s0, 0.5
	v_or_b32_e32 v5, 0x70000000, v5
	v_add_f32_e32 v6, -0.5, v6
	v_mul_f32_e32 v5, 0x7800000, v5
	v_cmp_gt_u32_e32 vcc, s1, v2
	v_bfe_i32 v3, v3, 0, 16
	s_brev_b32 s0, 1
	v_cndmask_b32_e32 v2, v5, v6, vcc
	v_and_or_b32 v2, v3, s0, v2
	v_cvt_f16_f32_e32 v2, v2
.LBB216_448:
	s_mov_b64 s[20:21], 0
	s_mov_b64 s[0:1], -1
.LBB216_449:
	s_andn2_b64 vcc, exec, s[20:21]
	s_cbranch_vccnz .LBB216_462
; %bb.450:
	s_cmp_gt_i32 s26, 14
	s_cbranch_scc0 .LBB216_453
; %bb.451:
	s_cmp_eq_u32 s26, 15
	s_cbranch_scc0 .LBB216_456
; %bb.452:
	global_load_ushort v2, v[0:1], off
	s_mov_b64 s[0:1], -1
	s_mov_b64 s[18:19], 0
	s_waitcnt vmcnt(0)
	v_lshlrev_b32_e32 v2, 16, v2
	v_cvt_f16_f32_e32 v2, v2
	s_branch .LBB216_457
.LBB216_453:
	s_mov_b64 s[20:21], -1
                                        ; implicit-def: $vgpr2
	s_branch .LBB216_458
.LBB216_454:
	s_or_saveexec_b64 s[20:21], s[20:21]
	v_mov_b32_e32 v2, 0x7e00
	s_xor_b64 exec, exec, s[20:21]
	s_cbranch_execz .LBB216_435
.LBB216_455:
	v_cmp_ne_u16_e32 vcc, 0, v3
	s_andn2_b64 s[0:1], s[0:1], exec
	s_and_b64 s[24:25], vcc, exec
	s_or_b64 s[0:1], s[0:1], s[24:25]
	v_mov_b32_e32 v2, v3
	s_or_b64 exec, exec, s[20:21]
	s_and_saveexec_b64 s[20:21], s[0:1]
	s_cbranch_execnz .LBB216_436
	s_branch .LBB216_437
.LBB216_456:
	s_mov_b64 s[18:19], -1
                                        ; implicit-def: $vgpr2
.LBB216_457:
	s_mov_b64 s[20:21], 0
.LBB216_458:
	s_and_b64 vcc, exec, s[20:21]
	s_cbranch_vccz .LBB216_462
; %bb.459:
	s_cmp_eq_u32 s26, 11
	s_cbranch_scc0 .LBB216_461
; %bb.460:
	global_load_ubyte v2, v[0:1], off
	v_mov_b32_e32 v3, 0x3c00
	s_mov_b64 s[0:1], -1
	s_mov_b64 s[18:19], 0
	s_waitcnt vmcnt(0)
	v_cmp_ne_u16_e32 vcc, 0, v2
	s_nop 1
	v_cndmask_b32_e32 v2, 0, v3, vcc
	s_branch .LBB216_462
.LBB216_461:
	s_mov_b64 s[18:19], -1
                                        ; implicit-def: $vgpr2
.LBB216_462:
	s_branch .LBB216_265
.LBB216_463:
	s_cmp_lt_i32 s26, 5
	s_cbranch_scc1 .LBB216_468
; %bb.464:
	s_cmp_lt_i32 s26, 8
	s_cbranch_scc1 .LBB216_469
; %bb.465:
	;; [unrolled: 3-line block ×3, first 2 shown]
	s_cmp_gt_i32 s26, 9
	s_cbranch_scc0 .LBB216_471
; %bb.467:
	global_load_dwordx2 v[2:3], v[0:1], off
	s_movk_i32 s0, 0x1ff
	s_movk_i32 s1, 0xffe
	v_mov_b32_e32 v5, 0x7c00
	v_mov_b32_e32 v6, 0x7e00
	s_movk_i32 s20, 0x40f
	s_mov_b32 s21, 0x8000
	s_waitcnt vmcnt(0)
	v_and_or_b32 v2, v3, s0, v2
	v_cmp_ne_u32_e32 vcc, 0, v2
	v_lshrrev_b32_e32 v7, 8, v3
	v_bfe_u32 v8, v3, 20, 11
	v_cndmask_b32_e64 v2, 0, 1, vcc
	v_sub_u32_e32 v9, 0x3f1, v8
	v_and_or_b32 v2, v7, s1, v2
	v_add_u32_e32 v8, 0xfffffc10, v8
	v_med3_i32 v7, v9, 0, 13
	v_or_b32_e32 v9, 0x1000, v2
	v_cmp_ne_u32_e32 vcc, 0, v2
	v_lshl_or_b32 v10, v8, 12, v2
	v_lshrrev_b32_e32 v3, 16, v3
	v_cndmask_b32_e32 v2, v5, v6, vcc
	v_lshrrev_b32_e32 v6, v7, v9
	v_lshlrev_b32_e32 v7, v7, v6
	v_cmp_ne_u32_e32 vcc, v7, v9
	s_mov_b64 s[0:1], 0
	s_nop 0
	v_cndmask_b32_e64 v7, 0, 1, vcc
	v_or_b32_e32 v6, v6, v7
	v_cmp_gt_i32_e32 vcc, 1, v8
	s_nop 1
	v_cndmask_b32_e32 v6, v10, v6, vcc
	v_and_b32_e32 v7, 7, v6
	v_cmp_lt_i32_e32 vcc, 5, v7
	v_lshrrev_b32_e32 v6, 2, v6
	s_nop 0
	v_cndmask_b32_e64 v9, 0, 1, vcc
	v_cmp_eq_u32_e32 vcc, 3, v7
	s_nop 1
	v_cndmask_b32_e64 v7, 0, 1, vcc
	v_or_b32_e32 v7, v7, v9
	v_add_u32_e32 v6, v6, v7
	v_cmp_gt_i32_e32 vcc, 31, v8
	s_nop 1
	v_cndmask_b32_e32 v5, v5, v6, vcc
	v_cmp_eq_u32_e32 vcc, s20, v8
	s_nop 1
	v_cndmask_b32_e32 v2, v5, v2, vcc
	v_and_or_b32 v2, v3, s21, v2
	s_branch .LBB216_472
.LBB216_468:
	s_mov_b64 s[0:1], -1
                                        ; implicit-def: $vgpr2
	s_branch .LBB216_490
.LBB216_469:
	s_mov_b64 s[0:1], -1
                                        ; implicit-def: $vgpr2
	s_branch .LBB216_478
.LBB216_470:
	s_mov_b64 s[0:1], -1
                                        ; implicit-def: $vgpr2
	s_branch .LBB216_475
.LBB216_471:
	s_mov_b64 s[0:1], -1
                                        ; implicit-def: $vgpr2
.LBB216_472:
	s_andn2_b64 vcc, exec, s[0:1]
	s_cbranch_vccnz .LBB216_474
; %bb.473:
	global_load_dword v2, v[0:1], off
	s_waitcnt vmcnt(0)
	v_cvt_f16_f32_e32 v2, v2
.LBB216_474:
	s_mov_b64 s[0:1], 0
.LBB216_475:
	s_andn2_b64 vcc, exec, s[0:1]
	s_cbranch_vccnz .LBB216_477
; %bb.476:
	global_load_dword v2, v[0:1], off
.LBB216_477:
	s_mov_b64 s[0:1], 0
.LBB216_478:
	s_andn2_b64 vcc, exec, s[0:1]
	s_cbranch_vccnz .LBB216_489
; %bb.479:
	s_cmp_lt_i32 s26, 6
	s_cbranch_scc1 .LBB216_482
; %bb.480:
	s_cmp_gt_i32 s26, 6
	s_cbranch_scc0 .LBB216_483
; %bb.481:
	global_load_dwordx2 v[2:3], v[0:1], off
	s_movk_i32 s0, 0x1ff
	s_movk_i32 s1, 0xffe
	v_mov_b32_e32 v5, 0x7c00
	v_mov_b32_e32 v6, 0x7e00
	s_movk_i32 s20, 0x40f
	s_mov_b32 s21, 0x8000
	s_waitcnt vmcnt(0)
	v_and_or_b32 v2, v3, s0, v2
	v_cmp_ne_u32_e32 vcc, 0, v2
	v_lshrrev_b32_e32 v7, 8, v3
	v_bfe_u32 v8, v3, 20, 11
	v_cndmask_b32_e64 v2, 0, 1, vcc
	v_sub_u32_e32 v9, 0x3f1, v8
	v_and_or_b32 v2, v7, s1, v2
	v_add_u32_e32 v8, 0xfffffc10, v8
	v_med3_i32 v7, v9, 0, 13
	v_or_b32_e32 v9, 0x1000, v2
	v_cmp_ne_u32_e32 vcc, 0, v2
	v_lshl_or_b32 v10, v8, 12, v2
	v_lshrrev_b32_e32 v3, 16, v3
	v_cndmask_b32_e32 v2, v5, v6, vcc
	v_lshrrev_b32_e32 v6, v7, v9
	v_lshlrev_b32_e32 v7, v7, v6
	v_cmp_ne_u32_e32 vcc, v7, v9
	s_mov_b64 s[0:1], 0
	s_nop 0
	v_cndmask_b32_e64 v7, 0, 1, vcc
	v_or_b32_e32 v6, v6, v7
	v_cmp_gt_i32_e32 vcc, 1, v8
	s_nop 1
	v_cndmask_b32_e32 v6, v10, v6, vcc
	v_and_b32_e32 v7, 7, v6
	v_cmp_lt_i32_e32 vcc, 5, v7
	v_lshrrev_b32_e32 v6, 2, v6
	s_nop 0
	v_cndmask_b32_e64 v9, 0, 1, vcc
	v_cmp_eq_u32_e32 vcc, 3, v7
	s_nop 1
	v_cndmask_b32_e64 v7, 0, 1, vcc
	v_or_b32_e32 v7, v7, v9
	v_add_u32_e32 v6, v6, v7
	v_cmp_gt_i32_e32 vcc, 31, v8
	s_nop 1
	v_cndmask_b32_e32 v5, v5, v6, vcc
	v_cmp_eq_u32_e32 vcc, s20, v8
	s_nop 1
	v_cndmask_b32_e32 v2, v5, v2, vcc
	v_and_or_b32 v2, v3, s21, v2
	s_branch .LBB216_484
.LBB216_482:
	s_mov_b64 s[0:1], -1
                                        ; implicit-def: $vgpr2
	s_branch .LBB216_487
.LBB216_483:
	s_mov_b64 s[0:1], -1
                                        ; implicit-def: $vgpr2
.LBB216_484:
	s_andn2_b64 vcc, exec, s[0:1]
	s_cbranch_vccnz .LBB216_486
; %bb.485:
	global_load_dword v2, v[0:1], off
	s_waitcnt vmcnt(0)
	v_cvt_f16_f32_e32 v2, v2
.LBB216_486:
	s_mov_b64 s[0:1], 0
.LBB216_487:
	s_andn2_b64 vcc, exec, s[0:1]
	s_cbranch_vccnz .LBB216_489
; %bb.488:
	global_load_ushort v2, v[0:1], off
.LBB216_489:
	s_mov_b64 s[0:1], 0
.LBB216_490:
	s_andn2_b64 vcc, exec, s[0:1]
	s_cbranch_vccnz .LBB216_510
; %bb.491:
	s_cmp_lt_i32 s26, 2
	s_cbranch_scc1 .LBB216_495
; %bb.492:
	s_cmp_lt_i32 s26, 3
	s_cbranch_scc1 .LBB216_496
; %bb.493:
	s_cmp_gt_i32 s26, 3
	s_cbranch_scc0 .LBB216_497
; %bb.494:
	global_load_dwordx2 v[2:3], v[0:1], off
	s_mov_b64 s[0:1], 0
	s_waitcnt vmcnt(0)
	v_xor_b32_e32 v6, v2, v3
	v_ffbh_i32_e32 v5, v3
	v_ashrrev_i32_e32 v6, 31, v6
	v_add_u32_e32 v5, -1, v5
	v_add_u32_e32 v6, 32, v6
	v_min_u32_e32 v5, v5, v6
	v_lshlrev_b64 v[2:3], v5, v[2:3]
	v_min_u32_e32 v2, 1, v2
	v_or_b32_e32 v2, v3, v2
	v_cvt_f32_i32_e32 v2, v2
	v_sub_u32_e32 v3, 32, v5
	v_ldexp_f32 v2, v2, v3
	v_cvt_f16_f32_e32 v2, v2
	s_branch .LBB216_498
.LBB216_495:
	s_mov_b64 s[0:1], -1
                                        ; implicit-def: $vgpr2
	s_branch .LBB216_504
.LBB216_496:
	s_mov_b64 s[0:1], -1
                                        ; implicit-def: $vgpr2
	s_branch .LBB216_501
.LBB216_497:
	s_mov_b64 s[0:1], -1
                                        ; implicit-def: $vgpr2
.LBB216_498:
	s_andn2_b64 vcc, exec, s[0:1]
	s_cbranch_vccnz .LBB216_500
; %bb.499:
	global_load_dword v2, v[0:1], off
	s_waitcnt vmcnt(0)
	v_cvt_f32_i32_e32 v2, v2
	v_cvt_f16_f32_e32 v2, v2
.LBB216_500:
	s_mov_b64 s[0:1], 0
.LBB216_501:
	s_andn2_b64 vcc, exec, s[0:1]
	s_cbranch_vccnz .LBB216_503
; %bb.502:
	global_load_ushort v2, v[0:1], off
	s_waitcnt vmcnt(0)
	v_cvt_f16_i16_e32 v2, v2
.LBB216_503:
	s_mov_b64 s[0:1], 0
.LBB216_504:
	s_andn2_b64 vcc, exec, s[0:1]
	s_cbranch_vccnz .LBB216_510
; %bb.505:
	s_cmp_gt_i32 s26, 0
	s_cbranch_scc0 .LBB216_507
; %bb.506:
	global_load_sbyte v2, v[0:1], off
	s_mov_b64 s[0:1], 0
	s_waitcnt vmcnt(0)
	v_cvt_f16_i16_e32 v2, v2
	s_branch .LBB216_508
.LBB216_507:
	s_mov_b64 s[0:1], -1
                                        ; implicit-def: $vgpr2
.LBB216_508:
	s_andn2_b64 vcc, exec, s[0:1]
	s_cbranch_vccnz .LBB216_510
; %bb.509:
	global_load_ubyte v0, v[0:1], off
	s_waitcnt vmcnt(0)
	v_cvt_f16_u16_e32 v2, v0
.LBB216_510:
	s_branch .LBB216_266
.LBB216_511:
	s_mov_b64 s[24:25], 0
                                        ; implicit-def: $vgpr4
	s_mov_b64 s[0:1], s[12:13]
.LBB216_512:
	s_andn2_b64 s[20:21], s[12:13], exec
	s_and_b64 s[0:1], s[0:1], exec
	s_or_b64 s[20:21], s[20:21], s[0:1]
	s_andn2_b64 s[0:1], s[14:15], exec
	s_and_b64 s[18:19], s[18:19], exec
	s_or_b64 s[18:19], s[0:1], s[18:19]
	s_orn2_b64 s[0:1], s[24:25], exec
.LBB216_513:
	s_or_b64 exec, exec, s[22:23]
	s_mov_b64 s[24:25], 0
	s_mov_b64 s[26:27], 0
	;; [unrolled: 1-line block ×3, first 2 shown]
                                        ; implicit-def: $vgpr0_vgpr1
                                        ; implicit-def: $vgpr3
	s_and_saveexec_b64 s[22:23], s[0:1]
	s_cbranch_execz .LBB216_858
; %bb.514:
	v_cmp_gt_i32_e32 vcc, s38, v4
	s_mov_b64 s[34:35], -1
	s_mov_b64 s[0:1], s[18:19]
	s_mov_b64 s[28:29], s[20:21]
	s_and_saveexec_b64 s[24:25], vcc
	s_cbranch_execz .LBB216_772
; %bb.515:
	v_mul_lo_u32 v0, v4, s9
	v_ashrrev_i32_e32 v1, 31, v0
	s_and_b32 s34, 0xffff, s42
	s_cmp_lt_i32 s34, 11
	v_lshl_add_u64 v[0:1], s[6:7], 0, v[0:1]
	s_cbranch_scc1 .LBB216_522
; %bb.516:
	s_cmp_gt_i32 s34, 25
	s_cbranch_scc0 .LBB216_523
; %bb.517:
	s_cmp_gt_i32 s34, 28
	s_cbranch_scc0 .LBB216_524
; %bb.518:
	s_cmp_gt_i32 s34, 43
	s_cbranch_scc0 .LBB216_525
; %bb.519:
	s_cmp_gt_i32 s34, 45
	s_cbranch_scc0 .LBB216_528
; %bb.520:
	s_cmp_eq_u32 s34, 46
	s_mov_b64 s[28:29], 0
	s_cbranch_scc0 .LBB216_531
; %bb.521:
	global_load_dword v2, v[0:1], off
	s_mov_b64 s[0:1], -1
	s_waitcnt vmcnt(0)
	v_lshlrev_b32_e32 v2, 16, v2
	v_cvt_f16_f32_e32 v2, v2
	s_branch .LBB216_532
.LBB216_522:
	s_mov_b64 s[28:29], -1
	s_mov_b64 s[0:1], 0
                                        ; implicit-def: $vgpr2
	s_mov_b64 s[26:27], s[18:19]
	s_branch .LBB216_597
.LBB216_523:
	s_mov_b64 s[28:29], -1
	s_mov_b64 s[0:1], 0
	s_mov_b64 s[26:27], s[18:19]
                                        ; implicit-def: $vgpr2
	s_branch .LBB216_561
.LBB216_524:
	s_mov_b64 s[28:29], -1
	s_mov_b64 s[0:1], 0
	s_mov_b64 s[26:27], s[18:19]
                                        ; implicit-def: $vgpr2
	s_branch .LBB216_542
.LBB216_525:
	s_mov_b64 s[28:29], -1
	s_mov_b64 s[0:1], 0
	s_mov_b64 s[26:27], s[18:19]
                                        ; implicit-def: $vgpr2
	s_branch .LBB216_537
.LBB216_526:
	s_andn2_saveexec_b64 s[26:27], s[26:27]
	s_cbranch_execz .LBB216_311
.LBB216_527:
	s_mov_b32 s30, 0x46000000
	v_add_f32_e64 v5, |v3|, s30
	v_and_b32_e32 v5, 0xff, v5
	v_cmp_ne_u32_e32 vcc, 0, v5
	s_andn2_b64 s[24:25], s[24:25], exec
	s_and_b64 s[30:31], vcc, exec
	s_or_b64 s[24:25], s[24:25], s[30:31]
	s_or_b64 exec, exec, s[26:27]
	v_mov_b32_e32 v6, 0
	s_and_saveexec_b64 s[26:27], s[24:25]
	s_cbranch_execnz .LBB216_312
	s_branch .LBB216_313
.LBB216_528:
	s_mov_b64 s[28:29], -1
	s_mov_b64 s[0:1], 0
	s_mov_b64 s[26:27], s[18:19]
                                        ; implicit-def: $vgpr2
	s_branch .LBB216_532
.LBB216_529:
	s_andn2_saveexec_b64 s[26:27], s[26:27]
	s_cbranch_execz .LBB216_324
.LBB216_530:
	s_mov_b32 s30, 0x42800000
	v_add_f32_e64 v5, |v3|, s30
	v_and_b32_e32 v5, 0xff, v5
	v_cmp_ne_u32_e32 vcc, 0, v5
	s_andn2_b64 s[24:25], s[24:25], exec
	s_and_b64 s[30:31], vcc, exec
	s_or_b64 s[24:25], s[24:25], s[30:31]
	s_or_b64 exec, exec, s[26:27]
	v_mov_b32_e32 v6, 0
	s_and_saveexec_b64 s[26:27], s[24:25]
	s_cbranch_execnz .LBB216_325
	s_branch .LBB216_326
.LBB216_531:
	s_mov_b64 s[26:27], -1
                                        ; implicit-def: $vgpr2
	s_mov_b64 s[0:1], 0
.LBB216_532:
	s_and_b64 vcc, exec, s[28:29]
	s_cbranch_vccz .LBB216_536
; %bb.533:
	s_cmp_eq_u32 s34, 44
	s_cbranch_scc0 .LBB216_535
; %bb.534:
	global_load_ubyte v2, v[0:1], off
	s_movk_i32 s26, 0xff
	v_mov_b32_e32 v5, 0x7e00
	s_mov_b64 s[0:1], -1
	s_waitcnt vmcnt(0)
	v_lshlrev_b32_e32 v3, 23, v2
	v_cvt_f16_f32_e32 v3, v3
	v_cmp_ne_u32_e32 vcc, s26, v2
	s_mov_b64 s[26:27], 0
	s_nop 0
	v_cndmask_b32_e32 v3, v5, v3, vcc
	v_cmp_ne_u32_e32 vcc, 0, v2
	s_nop 1
	v_cndmask_b32_e32 v2, 0, v3, vcc
	s_branch .LBB216_536
.LBB216_535:
	s_mov_b64 s[26:27], -1
                                        ; implicit-def: $vgpr2
.LBB216_536:
	s_mov_b64 s[28:29], 0
.LBB216_537:
	s_and_b64 vcc, exec, s[28:29]
	s_cbranch_vccz .LBB216_541
; %bb.538:
	s_cmp_eq_u32 s34, 29
	s_cbranch_scc0 .LBB216_540
; %bb.539:
	global_load_dwordx2 v[2:3], v[0:1], off
	s_mov_b64 s[0:1], -1
	s_mov_b64 s[26:27], 0
	s_mov_b64 s[28:29], 0
	s_waitcnt vmcnt(0)
	v_ffbh_u32_e32 v5, v3
	v_min_u32_e32 v5, 32, v5
	v_lshlrev_b64 v[2:3], v5, v[2:3]
	v_min_u32_e32 v2, 1, v2
	v_or_b32_e32 v2, v3, v2
	v_cvt_f32_u32_e32 v2, v2
	v_sub_u32_e32 v3, 32, v5
	v_ldexp_f32 v2, v2, v3
	v_cvt_f16_f32_e32 v2, v2
	s_branch .LBB216_542
.LBB216_540:
	s_mov_b64 s[26:27], -1
                                        ; implicit-def: $vgpr2
.LBB216_541:
	s_mov_b64 s[28:29], 0
.LBB216_542:
	s_and_b64 vcc, exec, s[28:29]
	s_cbranch_vccz .LBB216_560
; %bb.543:
	s_cmp_lt_i32 s34, 27
	s_cbranch_scc1 .LBB216_546
; %bb.544:
	s_cmp_gt_i32 s34, 27
	s_cbranch_scc0 .LBB216_547
; %bb.545:
	global_load_dword v2, v[0:1], off
	s_mov_b64 s[0:1], 0
	s_waitcnt vmcnt(0)
	v_cvt_f32_u32_e32 v2, v2
	v_cvt_f16_f32_e32 v2, v2
	s_branch .LBB216_548
.LBB216_546:
	s_mov_b64 s[0:1], -1
                                        ; implicit-def: $vgpr2
	s_branch .LBB216_551
.LBB216_547:
	s_mov_b64 s[0:1], -1
                                        ; implicit-def: $vgpr2
.LBB216_548:
	s_andn2_b64 vcc, exec, s[0:1]
	s_cbranch_vccnz .LBB216_550
; %bb.549:
	global_load_ushort v2, v[0:1], off
	s_waitcnt vmcnt(0)
	v_cvt_f16_u16_e32 v2, v2
.LBB216_550:
	s_mov_b64 s[0:1], 0
.LBB216_551:
	s_andn2_b64 vcc, exec, s[0:1]
	s_cbranch_vccnz .LBB216_559
; %bb.552:
	global_load_ubyte v3, v[0:1], off
	s_movk_i32 s0, 0x7f
	s_waitcnt vmcnt(0)
	v_cmp_lt_i16_e32 vcc, s0, v3
	s_mov_b64 s[0:1], 0
	s_and_saveexec_b64 s[28:29], vcc
	s_xor_b64 s[28:29], exec, s[28:29]
	s_cbranch_execz .LBB216_573
; %bb.553:
	s_movk_i32 s0, 0x80
	v_cmp_eq_u16_e32 vcc, s0, v3
	s_mov_b64 s[0:1], -1
	s_and_saveexec_b64 s[30:31], vcc
; %bb.554:
	s_xor_b64 s[0:1], exec, -1
; %bb.555:
	s_or_b64 exec, exec, s[30:31]
	s_and_b64 s[0:1], s[0:1], exec
	s_or_saveexec_b64 s[28:29], s[28:29]
	v_mov_b32_e32 v2, 0x7e00
	s_xor_b64 exec, exec, s[28:29]
	s_cbranch_execnz .LBB216_574
.LBB216_556:
	s_or_b64 exec, exec, s[28:29]
	s_and_saveexec_b64 s[28:29], s[0:1]
	s_cbranch_execz .LBB216_558
.LBB216_557:
	v_lshlrev_b32_e32 v2, 24, v3
	v_and_b32_e32 v3, 0xffff, v3
	v_and_b32_e32 v5, 7, v3
	v_ffbh_u32_e32 v7, v5
	v_min_u32_e32 v7, 32, v7
	v_subrev_u32_e32 v8, 28, v7
	v_bfe_u32 v6, v3, 3, 4
	v_lshlrev_b32_e32 v3, v8, v3
	v_sub_u32_e32 v7, 29, v7
	v_and_b32_e32 v3, 7, v3
	v_cmp_eq_u32_e32 vcc, 0, v6
	v_and_b32_e32 v2, 0x80000000, v2
	s_nop 0
	v_cndmask_b32_e32 v6, v6, v7, vcc
	v_cndmask_b32_e32 v3, v5, v3, vcc
	v_mov_b32_e32 v5, 0x3b800000
	v_lshlrev_b32_e32 v3, 20, v3
	v_lshl_add_u32 v5, v6, 23, v5
	v_or3_b32 v2, v2, v5, v3
	v_cvt_f16_f32_e32 v2, v2
.LBB216_558:
	s_or_b64 exec, exec, s[28:29]
.LBB216_559:
	s_mov_b64 s[0:1], -1
.LBB216_560:
	s_mov_b64 s[28:29], 0
.LBB216_561:
	s_and_b64 vcc, exec, s[28:29]
	s_cbranch_vccz .LBB216_596
; %bb.562:
	s_cmp_gt_i32 s34, 22
	s_cbranch_scc0 .LBB216_572
; %bb.563:
	s_cmp_lt_i32 s34, 24
	s_cbranch_scc1 .LBB216_575
; %bb.564:
	s_cmp_gt_i32 s34, 24
	s_cbranch_scc0 .LBB216_576
; %bb.565:
	global_load_ubyte v3, v[0:1], off
	s_movk_i32 s0, 0x7f
	s_waitcnt vmcnt(0)
	v_cmp_lt_i16_e32 vcc, s0, v3
	s_mov_b64 s[0:1], 0
	s_and_saveexec_b64 s[28:29], vcc
	s_xor_b64 s[28:29], exec, s[28:29]
	s_cbranch_execz .LBB216_588
; %bb.566:
	s_movk_i32 s0, 0x80
	v_cmp_eq_u16_e32 vcc, s0, v3
	s_mov_b64 s[0:1], -1
	s_and_saveexec_b64 s[30:31], vcc
; %bb.567:
	s_xor_b64 s[0:1], exec, -1
; %bb.568:
	s_or_b64 exec, exec, s[30:31]
	s_and_b64 s[0:1], s[0:1], exec
	s_or_saveexec_b64 s[28:29], s[28:29]
	v_mov_b32_e32 v2, 0x7e00
	s_xor_b64 exec, exec, s[28:29]
	s_cbranch_execnz .LBB216_589
.LBB216_569:
	s_or_b64 exec, exec, s[28:29]
	s_and_saveexec_b64 s[28:29], s[0:1]
	s_cbranch_execz .LBB216_571
.LBB216_570:
	v_lshlrev_b32_e32 v2, 24, v3
	v_and_b32_e32 v3, 0xffff, v3
	v_and_b32_e32 v5, 3, v3
	v_ffbh_u32_e32 v7, v5
	v_min_u32_e32 v7, 32, v7
	v_subrev_u32_e32 v8, 29, v7
	v_bfe_u32 v6, v3, 2, 5
	v_lshlrev_b32_e32 v3, v8, v3
	v_sub_u32_e32 v7, 30, v7
	v_and_b32_e32 v3, 3, v3
	v_cmp_eq_u32_e32 vcc, 0, v6
	v_and_b32_e32 v2, 0x80000000, v2
	s_nop 0
	v_cndmask_b32_e32 v6, v6, v7, vcc
	v_cndmask_b32_e32 v3, v5, v3, vcc
	v_mov_b32_e32 v5, 0x37800000
	v_lshlrev_b32_e32 v3, 21, v3
	v_lshl_add_u32 v5, v6, 23, v5
	v_or3_b32 v2, v2, v5, v3
	v_cvt_f16_f32_e32 v2, v2
.LBB216_571:
	s_or_b64 exec, exec, s[28:29]
	s_mov_b64 s[0:1], 0
	s_branch .LBB216_577
.LBB216_572:
	s_mov_b64 s[28:29], -1
                                        ; implicit-def: $vgpr2
	s_branch .LBB216_583
.LBB216_573:
	s_or_saveexec_b64 s[28:29], s[28:29]
	v_mov_b32_e32 v2, 0x7e00
	s_xor_b64 exec, exec, s[28:29]
	s_cbranch_execz .LBB216_556
.LBB216_574:
	v_cmp_ne_u16_e32 vcc, 0, v3
	s_andn2_b64 s[0:1], s[0:1], exec
	s_and_b64 s[30:31], vcc, exec
	s_or_b64 s[0:1], s[0:1], s[30:31]
	v_mov_b32_e32 v2, v3
	s_or_b64 exec, exec, s[28:29]
	s_and_saveexec_b64 s[28:29], s[0:1]
	s_cbranch_execnz .LBB216_557
	s_branch .LBB216_558
.LBB216_575:
	s_mov_b64 s[0:1], -1
                                        ; implicit-def: $vgpr2
	s_branch .LBB216_580
.LBB216_576:
	s_mov_b64 s[0:1], -1
                                        ; implicit-def: $vgpr2
.LBB216_577:
	s_and_b64 vcc, exec, s[0:1]
	s_cbranch_vccz .LBB216_579
; %bb.578:
	global_load_ubyte v2, v[0:1], off
	s_mov_b32 s0, 0x7f800000
	s_waitcnt vmcnt(0)
	v_lshlrev_b32_e32 v2, 24, v2
	v_and_b32_e32 v3, 0x7f000000, v2
	v_ffbh_u32_e32 v5, v3
	v_min_u32_e32 v5, 32, v5
	v_sub_u32_e64 v5, v5, 4 clamp
	v_lshlrev_b32_e32 v7, v5, v3
	v_lshlrev_b32_e32 v5, 23, v5
	v_lshrrev_b32_e32 v7, 4, v7
	v_add_u32_e32 v6, 0x1000000, v3
	v_sub_u32_e32 v5, v7, v5
	v_ashrrev_i32_e32 v6, 8, v6
	v_add_u32_e32 v5, 0x3c000000, v5
	v_and_or_b32 v5, v6, s0, v5
	v_cmp_ne_u32_e32 vcc, 0, v3
	s_brev_b32 s0, 1
	s_nop 0
	v_cndmask_b32_e32 v3, 0, v5, vcc
	v_and_or_b32 v2, v2, s0, v3
	v_cvt_f16_f32_e32 v2, v2
.LBB216_579:
	s_mov_b64 s[0:1], 0
.LBB216_580:
	s_andn2_b64 vcc, exec, s[0:1]
	s_cbranch_vccnz .LBB216_582
; %bb.581:
	global_load_ubyte v2, v[0:1], off
	s_movk_i32 s0, 0x7f00
	s_brev_b32 s1, 16
	s_waitcnt vmcnt(0)
	v_lshlrev_b16_e32 v3, 8, v2
	v_lshlrev_b32_e32 v2, 25, v2
	v_lshrrev_b32_e32 v5, 4, v2
	v_and_or_b32 v6, v3, s0, 0.5
	v_or_b32_e32 v5, 0x70000000, v5
	v_add_f32_e32 v6, -0.5, v6
	v_mul_f32_e32 v5, 0x7800000, v5
	v_cmp_gt_u32_e32 vcc, s1, v2
	v_bfe_i32 v3, v3, 0, 16
	s_brev_b32 s0, 1
	v_cndmask_b32_e32 v2, v5, v6, vcc
	v_and_or_b32 v2, v3, s0, v2
	v_cvt_f16_f32_e32 v2, v2
.LBB216_582:
	s_mov_b64 s[28:29], 0
	s_mov_b64 s[0:1], -1
.LBB216_583:
	s_andn2_b64 vcc, exec, s[28:29]
	s_cbranch_vccnz .LBB216_596
; %bb.584:
	s_cmp_gt_i32 s34, 14
	s_cbranch_scc0 .LBB216_587
; %bb.585:
	s_cmp_eq_u32 s34, 15
	s_cbranch_scc0 .LBB216_590
; %bb.586:
	global_load_ushort v2, v[0:1], off
	s_mov_b64 s[0:1], -1
	s_mov_b64 s[26:27], 0
	s_waitcnt vmcnt(0)
	v_lshlrev_b32_e32 v2, 16, v2
	v_cvt_f16_f32_e32 v2, v2
	s_branch .LBB216_591
.LBB216_587:
	s_mov_b64 s[28:29], -1
                                        ; implicit-def: $vgpr2
	s_branch .LBB216_592
.LBB216_588:
	s_or_saveexec_b64 s[28:29], s[28:29]
	v_mov_b32_e32 v2, 0x7e00
	s_xor_b64 exec, exec, s[28:29]
	s_cbranch_execz .LBB216_569
.LBB216_589:
	v_cmp_ne_u16_e32 vcc, 0, v3
	s_andn2_b64 s[0:1], s[0:1], exec
	s_and_b64 s[30:31], vcc, exec
	s_or_b64 s[0:1], s[0:1], s[30:31]
	v_mov_b32_e32 v2, v3
	s_or_b64 exec, exec, s[28:29]
	s_and_saveexec_b64 s[28:29], s[0:1]
	s_cbranch_execnz .LBB216_570
	s_branch .LBB216_571
.LBB216_590:
	s_mov_b64 s[26:27], -1
                                        ; implicit-def: $vgpr2
.LBB216_591:
	s_mov_b64 s[28:29], 0
.LBB216_592:
	s_and_b64 vcc, exec, s[28:29]
	s_cbranch_vccz .LBB216_596
; %bb.593:
	s_cmp_eq_u32 s34, 11
	s_cbranch_scc0 .LBB216_595
; %bb.594:
	global_load_ubyte v2, v[0:1], off
	v_mov_b32_e32 v3, 0x3c00
	s_mov_b64 s[0:1], -1
	s_mov_b64 s[26:27], 0
	s_waitcnt vmcnt(0)
	v_cmp_ne_u16_e32 vcc, 0, v2
	s_nop 1
	v_cndmask_b32_e32 v2, 0, v3, vcc
	s_branch .LBB216_596
.LBB216_595:
	s_mov_b64 s[26:27], -1
                                        ; implicit-def: $vgpr2
.LBB216_596:
	s_mov_b64 s[28:29], 0
.LBB216_597:
	s_and_b64 vcc, exec, s[28:29]
	s_cbranch_vccz .LBB216_646
; %bb.598:
	s_cmp_lt_i32 s34, 5
	s_cbranch_scc1 .LBB216_603
; %bb.599:
	s_cmp_lt_i32 s34, 8
	s_cbranch_scc1 .LBB216_604
	;; [unrolled: 3-line block ×3, first 2 shown]
; %bb.601:
	s_cmp_gt_i32 s34, 9
	s_cbranch_scc0 .LBB216_606
; %bb.602:
	global_load_dwordx2 v[2:3], v[0:1], off
	s_movk_i32 s0, 0x1ff
	s_movk_i32 s1, 0xffe
	v_mov_b32_e32 v5, 0x7c00
	v_mov_b32_e32 v6, 0x7e00
	s_movk_i32 s28, 0x40f
	s_mov_b32 s29, 0x8000
	s_waitcnt vmcnt(0)
	v_and_or_b32 v2, v3, s0, v2
	v_cmp_ne_u32_e32 vcc, 0, v2
	v_lshrrev_b32_e32 v7, 8, v3
	v_bfe_u32 v8, v3, 20, 11
	v_cndmask_b32_e64 v2, 0, 1, vcc
	v_sub_u32_e32 v9, 0x3f1, v8
	v_and_or_b32 v2, v7, s1, v2
	v_add_u32_e32 v8, 0xfffffc10, v8
	v_med3_i32 v7, v9, 0, 13
	v_or_b32_e32 v9, 0x1000, v2
	v_cmp_ne_u32_e32 vcc, 0, v2
	v_lshl_or_b32 v10, v8, 12, v2
	v_lshrrev_b32_e32 v3, 16, v3
	v_cndmask_b32_e32 v2, v5, v6, vcc
	v_lshrrev_b32_e32 v6, v7, v9
	v_lshlrev_b32_e32 v7, v7, v6
	v_cmp_ne_u32_e32 vcc, v7, v9
	s_mov_b64 s[0:1], 0
	s_nop 0
	v_cndmask_b32_e64 v7, 0, 1, vcc
	v_or_b32_e32 v6, v6, v7
	v_cmp_gt_i32_e32 vcc, 1, v8
	s_nop 1
	v_cndmask_b32_e32 v6, v10, v6, vcc
	v_and_b32_e32 v7, 7, v6
	v_cmp_lt_i32_e32 vcc, 5, v7
	v_lshrrev_b32_e32 v6, 2, v6
	s_nop 0
	v_cndmask_b32_e64 v9, 0, 1, vcc
	v_cmp_eq_u32_e32 vcc, 3, v7
	s_nop 1
	v_cndmask_b32_e64 v7, 0, 1, vcc
	v_or_b32_e32 v7, v7, v9
	v_add_u32_e32 v6, v6, v7
	v_cmp_gt_i32_e32 vcc, 31, v8
	s_nop 1
	v_cndmask_b32_e32 v5, v5, v6, vcc
	v_cmp_eq_u32_e32 vcc, s28, v8
	s_nop 1
	v_cndmask_b32_e32 v2, v5, v2, vcc
	v_and_or_b32 v2, v3, s29, v2
	s_branch .LBB216_607
.LBB216_603:
	s_mov_b64 s[0:1], -1
                                        ; implicit-def: $vgpr2
	s_branch .LBB216_625
.LBB216_604:
	s_mov_b64 s[0:1], -1
                                        ; implicit-def: $vgpr2
	s_branch .LBB216_613
.LBB216_605:
	s_mov_b64 s[0:1], -1
                                        ; implicit-def: $vgpr2
	s_branch .LBB216_610
.LBB216_606:
	s_mov_b64 s[0:1], -1
                                        ; implicit-def: $vgpr2
.LBB216_607:
	s_andn2_b64 vcc, exec, s[0:1]
	s_cbranch_vccnz .LBB216_609
; %bb.608:
	global_load_dword v2, v[0:1], off
	s_waitcnt vmcnt(0)
	v_cvt_f16_f32_e32 v2, v2
.LBB216_609:
	s_mov_b64 s[0:1], 0
.LBB216_610:
	s_andn2_b64 vcc, exec, s[0:1]
	s_cbranch_vccnz .LBB216_612
; %bb.611:
	global_load_dword v2, v[0:1], off
.LBB216_612:
	s_mov_b64 s[0:1], 0
.LBB216_613:
	s_andn2_b64 vcc, exec, s[0:1]
	s_cbranch_vccnz .LBB216_624
; %bb.614:
	s_cmp_lt_i32 s34, 6
	s_cbranch_scc1 .LBB216_617
; %bb.615:
	s_cmp_gt_i32 s34, 6
	s_cbranch_scc0 .LBB216_618
; %bb.616:
	global_load_dwordx2 v[2:3], v[0:1], off
	s_movk_i32 s0, 0x1ff
	s_movk_i32 s1, 0xffe
	v_mov_b32_e32 v5, 0x7c00
	v_mov_b32_e32 v6, 0x7e00
	s_movk_i32 s28, 0x40f
	s_mov_b32 s29, 0x8000
	s_waitcnt vmcnt(0)
	v_and_or_b32 v2, v3, s0, v2
	v_cmp_ne_u32_e32 vcc, 0, v2
	v_lshrrev_b32_e32 v7, 8, v3
	v_bfe_u32 v8, v3, 20, 11
	v_cndmask_b32_e64 v2, 0, 1, vcc
	v_sub_u32_e32 v9, 0x3f1, v8
	v_and_or_b32 v2, v7, s1, v2
	v_add_u32_e32 v8, 0xfffffc10, v8
	v_med3_i32 v7, v9, 0, 13
	v_or_b32_e32 v9, 0x1000, v2
	v_cmp_ne_u32_e32 vcc, 0, v2
	v_lshl_or_b32 v10, v8, 12, v2
	v_lshrrev_b32_e32 v3, 16, v3
	v_cndmask_b32_e32 v2, v5, v6, vcc
	v_lshrrev_b32_e32 v6, v7, v9
	v_lshlrev_b32_e32 v7, v7, v6
	v_cmp_ne_u32_e32 vcc, v7, v9
	s_mov_b64 s[0:1], 0
	s_nop 0
	v_cndmask_b32_e64 v7, 0, 1, vcc
	v_or_b32_e32 v6, v6, v7
	v_cmp_gt_i32_e32 vcc, 1, v8
	s_nop 1
	v_cndmask_b32_e32 v6, v10, v6, vcc
	v_and_b32_e32 v7, 7, v6
	v_cmp_lt_i32_e32 vcc, 5, v7
	v_lshrrev_b32_e32 v6, 2, v6
	s_nop 0
	v_cndmask_b32_e64 v9, 0, 1, vcc
	v_cmp_eq_u32_e32 vcc, 3, v7
	s_nop 1
	v_cndmask_b32_e64 v7, 0, 1, vcc
	v_or_b32_e32 v7, v7, v9
	v_add_u32_e32 v6, v6, v7
	v_cmp_gt_i32_e32 vcc, 31, v8
	s_nop 1
	v_cndmask_b32_e32 v5, v5, v6, vcc
	v_cmp_eq_u32_e32 vcc, s28, v8
	s_nop 1
	v_cndmask_b32_e32 v2, v5, v2, vcc
	v_and_or_b32 v2, v3, s29, v2
	s_branch .LBB216_619
.LBB216_617:
	s_mov_b64 s[0:1], -1
                                        ; implicit-def: $vgpr2
	s_branch .LBB216_622
.LBB216_618:
	s_mov_b64 s[0:1], -1
                                        ; implicit-def: $vgpr2
.LBB216_619:
	s_andn2_b64 vcc, exec, s[0:1]
	s_cbranch_vccnz .LBB216_621
; %bb.620:
	global_load_dword v2, v[0:1], off
	s_waitcnt vmcnt(0)
	v_cvt_f16_f32_e32 v2, v2
.LBB216_621:
	s_mov_b64 s[0:1], 0
.LBB216_622:
	s_andn2_b64 vcc, exec, s[0:1]
	s_cbranch_vccnz .LBB216_624
; %bb.623:
	global_load_ushort v2, v[0:1], off
.LBB216_624:
	s_mov_b64 s[0:1], 0
.LBB216_625:
	s_andn2_b64 vcc, exec, s[0:1]
	s_cbranch_vccnz .LBB216_645
; %bb.626:
	s_cmp_lt_i32 s34, 2
	s_cbranch_scc1 .LBB216_630
; %bb.627:
	s_cmp_lt_i32 s34, 3
	s_cbranch_scc1 .LBB216_631
; %bb.628:
	s_cmp_gt_i32 s34, 3
	s_cbranch_scc0 .LBB216_632
; %bb.629:
	global_load_dwordx2 v[2:3], v[0:1], off
	s_mov_b64 s[0:1], 0
	s_waitcnt vmcnt(0)
	v_xor_b32_e32 v6, v2, v3
	v_ffbh_i32_e32 v5, v3
	v_ashrrev_i32_e32 v6, 31, v6
	v_add_u32_e32 v5, -1, v5
	v_add_u32_e32 v6, 32, v6
	v_min_u32_e32 v5, v5, v6
	v_lshlrev_b64 v[2:3], v5, v[2:3]
	v_min_u32_e32 v2, 1, v2
	v_or_b32_e32 v2, v3, v2
	v_cvt_f32_i32_e32 v2, v2
	v_sub_u32_e32 v3, 32, v5
	v_ldexp_f32 v2, v2, v3
	v_cvt_f16_f32_e32 v2, v2
	s_branch .LBB216_633
.LBB216_630:
	s_mov_b64 s[0:1], -1
                                        ; implicit-def: $vgpr2
	s_branch .LBB216_639
.LBB216_631:
	s_mov_b64 s[0:1], -1
                                        ; implicit-def: $vgpr2
	s_branch .LBB216_636
.LBB216_632:
	s_mov_b64 s[0:1], -1
                                        ; implicit-def: $vgpr2
.LBB216_633:
	s_andn2_b64 vcc, exec, s[0:1]
	s_cbranch_vccnz .LBB216_635
; %bb.634:
	global_load_dword v2, v[0:1], off
	s_waitcnt vmcnt(0)
	v_cvt_f32_i32_e32 v2, v2
	v_cvt_f16_f32_e32 v2, v2
.LBB216_635:
	s_mov_b64 s[0:1], 0
.LBB216_636:
	s_andn2_b64 vcc, exec, s[0:1]
	s_cbranch_vccnz .LBB216_638
; %bb.637:
	global_load_ushort v2, v[0:1], off
	s_waitcnt vmcnt(0)
	v_cvt_f16_i16_e32 v2, v2
.LBB216_638:
	s_mov_b64 s[0:1], 0
.LBB216_639:
	s_andn2_b64 vcc, exec, s[0:1]
	s_cbranch_vccnz .LBB216_645
; %bb.640:
	s_cmp_gt_i32 s34, 0
	s_cbranch_scc0 .LBB216_642
; %bb.641:
	global_load_sbyte v2, v[0:1], off
	s_mov_b64 s[0:1], 0
	s_waitcnt vmcnt(0)
	v_cvt_f16_i16_e32 v2, v2
	s_branch .LBB216_643
.LBB216_642:
	s_mov_b64 s[0:1], -1
                                        ; implicit-def: $vgpr2
.LBB216_643:
	s_andn2_b64 vcc, exec, s[0:1]
	s_cbranch_vccnz .LBB216_645
; %bb.644:
	global_load_ubyte v0, v[0:1], off
	s_waitcnt vmcnt(0)
	v_cvt_f16_u16_e32 v2, v0
.LBB216_645:
	s_mov_b64 s[0:1], -1
.LBB216_646:
	s_andn2_b64 vcc, exec, s[0:1]
	s_cbranch_vccnz .LBB216_654
; %bb.647:
	s_waitcnt vmcnt(0)
	v_cvt_f32_f16_e32 v0, v2
	s_mov_b32 s0, 0
	s_mov_b32 s1, 0x3fd80000
	v_mov_b32_e32 v5, 0x180
	v_cvt_f64_f32_e32 v[0:1], v0
	v_rsq_f64_e32 v[2:3], v[0:1]
	s_and_b32 s36, s33, 0xff
	s_cmp_lt_i32 s36, 11
	v_mul_f64 v[0:1], v[2:3], -v[0:1]
	v_fma_f64 v[0:1], v[0:1], v[2:3], 1.0
	v_mul_f64 v[6:7], v[2:3], v[0:1]
	v_fma_f64 v[0:1], v[0:1], s[0:1], 0.5
	v_fma_f64 v[0:1], v[6:7], v[0:1], v[2:3]
	v_cmp_class_f64_e32 vcc, v[2:3], v5
	s_movk_i32 s0, 0x1ff
	s_nop 0
	v_cndmask_b32_e32 v0, v2, v0, vcc
	v_cndmask_b32_e32 v1, v3, v1, vcc
	v_and_or_b32 v0, v1, s0, v0
	v_cmp_ne_u32_e32 vcc, 0, v0
	v_lshrrev_b32_e32 v2, 8, v1
	s_movk_i32 s0, 0xffe
	v_cndmask_b32_e64 v0, 0, 1, vcc
	v_bfe_u32 v3, v1, 20, 11
	v_and_or_b32 v0, v2, s0, v0
	v_sub_u32_e32 v5, 0x3f1, v3
	v_or_b32_e32 v2, 0x1000, v0
	v_med3_i32 v5, v5, 0, 13
	v_lshrrev_b32_e32 v6, v5, v2
	v_lshlrev_b32_e32 v5, v5, v6
	v_cmp_ne_u32_e32 vcc, v5, v2
	v_add_u32_e32 v3, 0xfffffc10, v3
	v_lshl_or_b32 v5, v3, 12, v0
	v_cndmask_b32_e64 v2, 0, 1, vcc
	v_or_b32_e32 v2, v6, v2
	v_cmp_gt_i32_e32 vcc, 1, v3
	s_movk_i32 s0, 0x40f
	v_lshrrev_b32_e32 v1, 16, v1
	v_cndmask_b32_e32 v2, v5, v2, vcc
	v_and_b32_e32 v5, 7, v2
	v_cmp_lt_i32_e32 vcc, 5, v5
	v_lshrrev_b32_e32 v2, 2, v2
	s_nop 0
	v_cndmask_b32_e64 v6, 0, 1, vcc
	v_cmp_eq_u32_e32 vcc, 3, v5
	s_nop 1
	v_cndmask_b32_e64 v5, 0, 1, vcc
	v_or_b32_e32 v5, v5, v6
	v_add_u32_e32 v2, v2, v5
	v_mov_b32_e32 v5, 0x7c00
	v_cmp_gt_i32_e32 vcc, 31, v3
	v_mov_b32_e32 v6, 0x7e00
	s_nop 0
	v_cndmask_b32_e32 v2, v5, v2, vcc
	v_cmp_ne_u32_e32 vcc, 0, v0
	s_nop 1
	v_cndmask_b32_e32 v0, v5, v6, vcc
	v_cmp_eq_u32_e32 vcc, s0, v3
	s_mov_b32 s0, 0x8000
	s_nop 0
	v_cndmask_b32_e32 v0, v2, v0, vcc
	v_and_or_b32 v2, v1, s0, v0
	v_mul_lo_u32 v0, v4, s8
	v_ashrrev_i32_e32 v1, 31, v0
	v_lshl_add_u64 v[0:1], s[4:5], 0, v[0:1]
	s_cbranch_scc1 .LBB216_655
; %bb.648:
	s_and_b32 s37, 0xffff, s36
	s_cmp_gt_i32 s37, 25
	s_cbranch_scc0 .LBB216_656
; %bb.649:
	s_cmp_gt_i32 s37, 28
	s_cbranch_scc0 .LBB216_657
; %bb.650:
	;; [unrolled: 3-line block ×4, first 2 shown]
	s_mov_b64 s[30:31], 0
	s_mov_b64 s[0:1], -1
	s_cmp_eq_u32 s37, 46
	s_mov_b64 s[28:29], 0
	s_cbranch_scc0 .LBB216_660
; %bb.653:
	v_cvt_f32_f16_e32 v3, v2
	s_movk_i32 s0, 0x7fff
	v_cmp_o_f16_e32 vcc, v2, v2
	v_mov_b32_e32 v5, 0x7fc0
	v_bfe_u32 v6, v3, 16, 1
	v_add3_u32 v3, v3, v6, s0
	v_cndmask_b32_sdwa v3, v5, v3, vcc dst_sel:DWORD dst_unused:UNUSED_PAD src0_sel:DWORD src1_sel:WORD_1
	global_store_dword v[0:1], v3, off
	s_mov_b64 s[28:29], -1
	s_mov_b64 s[0:1], 0
	s_branch .LBB216_660
.LBB216_654:
	s_mov_b64 s[30:31], 0
                                        ; implicit-def: $vgpr4
	s_mov_b64 s[0:1], s[20:21]
	s_branch .LBB216_771
.LBB216_655:
	s_mov_b64 s[30:31], -1
	s_mov_b64 s[28:29], 0
	s_mov_b64 s[0:1], s[20:21]
	s_branch .LBB216_729
.LBB216_656:
	s_mov_b64 s[30:31], -1
	s_mov_b64 s[28:29], 0
	s_mov_b64 s[0:1], s[20:21]
	s_branch .LBB216_687
.LBB216_657:
	s_mov_b64 s[30:31], -1
	s_mov_b64 s[28:29], 0
	s_mov_b64 s[0:1], s[20:21]
	s_branch .LBB216_670
.LBB216_658:
	s_mov_b64 s[30:31], -1
	s_mov_b64 s[28:29], 0
	s_mov_b64 s[0:1], s[20:21]
	s_branch .LBB216_666
.LBB216_659:
	s_mov_b64 s[30:31], -1
	s_mov_b64 s[28:29], 0
	s_mov_b64 s[0:1], s[20:21]
.LBB216_660:
	s_and_b64 vcc, exec, s[30:31]
	s_cbranch_vccz .LBB216_665
; %bb.661:
	s_cmp_eq_u32 s37, 44
	s_mov_b64 s[0:1], -1
	s_cbranch_scc0 .LBB216_665
; %bb.662:
	v_cvt_f32_f16_e32 v3, v2
	s_movk_i32 s0, 0xff
	v_mov_b32_e32 v6, 0xff
	v_bfe_u32 v5, v3, 23, 8
	v_cmp_ne_u32_e32 vcc, s0, v5
	s_and_saveexec_b64 s[28:29], vcc
; %bb.663:
	s_mov_b32 s0, 0x3fffff
	v_lshrrev_b32_e32 v6, 23, v3
	v_and_b32_e32 v7, 0x400000, v3
	v_and_or_b32 v3, v3, s0, v5
	v_cmp_ne_u32_e32 vcc, 0, v7
	v_cmp_ne_u32_e64 s[0:1], 0, v3
	s_and_b64 s[0:1], vcc, s[0:1]
	s_nop 0
	v_cndmask_b32_e64 v3, 0, 1, s[0:1]
	v_add_u32_e32 v6, v6, v3
; %bb.664:
	s_or_b64 exec, exec, s[28:29]
	s_mov_b64 s[28:29], -1
	s_mov_b64 s[0:1], 0
	global_store_byte v[0:1], v6, off
.LBB216_665:
	s_mov_b64 s[30:31], 0
.LBB216_666:
	s_and_b64 vcc, exec, s[30:31]
	s_cbranch_vccz .LBB216_669
; %bb.667:
	s_cmp_eq_u32 s37, 29
	s_mov_b64 s[0:1], -1
	s_cbranch_scc0 .LBB216_669
; %bb.668:
	v_cvt_f32_f16_e32 v3, v2
	v_mov_b32_e32 v7, 0
	s_mov_b64 s[28:29], -1
	s_mov_b64 s[0:1], 0
	v_cvt_u32_f32_e32 v6, v3
	s_mov_b64 s[30:31], 0
	global_store_dwordx2 v[0:1], v[6:7], off
	s_branch .LBB216_670
.LBB216_669:
	s_mov_b64 s[30:31], 0
.LBB216_670:
	s_and_b64 vcc, exec, s[30:31]
	s_cbranch_vccz .LBB216_686
; %bb.671:
	s_cmp_lt_i32 s37, 27
	s_mov_b64 s[28:29], -1
	s_cbranch_scc1 .LBB216_677
; %bb.672:
	s_cmp_gt_i32 s37, 27
	s_cbranch_scc0 .LBB216_674
; %bb.673:
	v_cvt_f32_f16_e32 v3, v2
	s_mov_b64 s[28:29], 0
	v_cvt_u32_f32_e32 v3, v3
	global_store_dword v[0:1], v3, off
.LBB216_674:
	s_andn2_b64 vcc, exec, s[28:29]
	s_cbranch_vccnz .LBB216_676
; %bb.675:
	v_cvt_u16_f16_e32 v3, v2
	global_store_short v[0:1], v3, off
.LBB216_676:
	s_mov_b64 s[28:29], 0
.LBB216_677:
	s_andn2_b64 vcc, exec, s[28:29]
	s_cbranch_vccnz .LBB216_685
; %bb.678:
	v_cvt_f32_f16_e32 v3, v2
	s_mov_b32 s28, 0x43800000
	v_mov_b32_e32 v6, 0x80
	v_and_b32_e32 v5, 0x7fffffff, v3
	v_cmp_gt_u32_e32 vcc, s28, v5
	s_and_saveexec_b64 s[28:29], vcc
	s_cbranch_execz .LBB216_684
; %bb.679:
	s_mov_b32 s30, 0x3bffffff
	v_cmp_lt_u32_e32 vcc, s30, v5
	s_mov_b64 s[30:31], 0
                                        ; implicit-def: $vgpr5
	s_and_saveexec_b64 s[34:35], vcc
	s_xor_b64 s[34:35], exec, s[34:35]
	s_cbranch_execz .LBB216_785
; %bb.680:
	v_bfe_u32 v5, v3, 20, 1
	s_mov_b32 s39, 0x487ffff
	v_add3_u32 v5, v3, v5, s39
	s_mov_b64 s[30:31], exec
	v_lshrrev_b32_e32 v5, 20, v5
	s_andn2_saveexec_b64 s[34:35], s[34:35]
	s_cbranch_execnz .LBB216_786
.LBB216_681:
	s_or_b64 exec, exec, s[34:35]
	v_mov_b32_e32 v6, 0
	s_and_saveexec_b64 s[34:35], s[30:31]
.LBB216_682:
	v_lshrrev_b32_e32 v3, 24, v3
	s_movk_i32 s30, 0x80
	v_and_or_b32 v6, v3, s30, v5
.LBB216_683:
	s_or_b64 exec, exec, s[34:35]
.LBB216_684:
	s_or_b64 exec, exec, s[28:29]
	global_store_byte v[0:1], v6, off
.LBB216_685:
	s_mov_b64 s[28:29], -1
.LBB216_686:
	s_mov_b64 s[30:31], 0
.LBB216_687:
	s_and_b64 vcc, exec, s[30:31]
	s_cbranch_vccz .LBB216_728
; %bb.688:
	s_cmp_gt_i32 s37, 22
	s_mov_b64 s[30:31], -1
	s_cbranch_scc0 .LBB216_720
; %bb.689:
	s_cmp_lt_i32 s37, 24
	s_mov_b64 s[28:29], -1
	s_cbranch_scc1 .LBB216_709
; %bb.690:
	s_cmp_gt_i32 s37, 24
	s_cbranch_scc0 .LBB216_698
; %bb.691:
	v_cvt_f32_f16_e32 v3, v2
	s_mov_b32 s28, 0x47800000
	v_mov_b32_e32 v6, 0x80
	v_and_b32_e32 v5, 0x7fffffff, v3
	v_cmp_gt_u32_e32 vcc, s28, v5
	s_and_saveexec_b64 s[28:29], vcc
	s_cbranch_execz .LBB216_697
; %bb.692:
	s_mov_b32 s30, 0x37ffffff
	v_cmp_lt_u32_e32 vcc, s30, v5
	s_mov_b64 s[30:31], 0
                                        ; implicit-def: $vgpr5
	s_and_saveexec_b64 s[34:35], vcc
	s_xor_b64 s[34:35], exec, s[34:35]
	s_cbranch_execz .LBB216_788
; %bb.693:
	v_bfe_u32 v5, v3, 21, 1
	s_mov_b32 s39, 0x88fffff
	v_add3_u32 v5, v3, v5, s39
	s_mov_b64 s[30:31], exec
	v_lshrrev_b32_e32 v5, 21, v5
	s_andn2_saveexec_b64 s[34:35], s[34:35]
	s_cbranch_execnz .LBB216_789
.LBB216_694:
	s_or_b64 exec, exec, s[34:35]
	v_mov_b32_e32 v6, 0
	s_and_saveexec_b64 s[34:35], s[30:31]
.LBB216_695:
	v_lshrrev_b32_e32 v3, 24, v3
	s_movk_i32 s30, 0x80
	v_and_or_b32 v6, v3, s30, v5
.LBB216_696:
	s_or_b64 exec, exec, s[34:35]
.LBB216_697:
	s_or_b64 exec, exec, s[28:29]
	s_mov_b64 s[28:29], 0
	global_store_byte v[0:1], v6, off
.LBB216_698:
	s_and_b64 vcc, exec, s[28:29]
	s_cbranch_vccz .LBB216_708
; %bb.699:
	v_cvt_f32_f16_e32 v3, v2
	s_mov_b32 s28, 0x43f00000
                                        ; implicit-def: $vgpr5
	v_and_b32_e32 v6, 0x7fffffff, v3
	v_cmp_gt_u32_e32 vcc, s28, v6
	s_and_saveexec_b64 s[28:29], vcc
	s_xor_b64 s[28:29], exec, s[28:29]
	s_cbranch_execz .LBB216_705
; %bb.700:
	s_mov_b32 s30, 0x3c7fffff
	v_cmp_lt_u32_e32 vcc, s30, v6
                                        ; implicit-def: $vgpr5
	s_and_saveexec_b64 s[30:31], vcc
	s_xor_b64 s[30:31], exec, s[30:31]
; %bb.701:
	v_bfe_u32 v5, v3, 20, 1
	s_mov_b32 s34, 0x407ffff
	v_add3_u32 v5, v3, v5, s34
	v_lshrrev_b32_e32 v6, 20, v5
	v_and_b32_e32 v5, 0xff00000, v5
	s_mov_b32 s34, 0x7f00000
	v_mov_b32_e32 v7, 0x7e
	v_cmp_ne_u32_e32 vcc, s34, v5
	s_nop 1
	v_cndmask_b32_e32 v5, v7, v6, vcc
; %bb.702:
	s_andn2_saveexec_b64 s[30:31], s[30:31]
; %bb.703:
	s_mov_b32 s34, 0x46800000
	v_add_f32_e64 v5, |v3|, s34
; %bb.704:
	s_or_b64 exec, exec, s[30:31]
                                        ; implicit-def: $vgpr6
.LBB216_705:
	s_andn2_saveexec_b64 s[28:29], s[28:29]
; %bb.706:
	s_mov_b32 s30, 0x7f800000
	v_mov_b32_e32 v5, 0x7e
	v_mov_b32_e32 v7, 0x7f
	v_cmp_lt_u32_e32 vcc, s30, v6
	s_nop 1
	v_cndmask_b32_e32 v5, v5, v7, vcc
; %bb.707:
	s_or_b64 exec, exec, s[28:29]
	v_lshrrev_b32_e32 v3, 24, v3
	s_movk_i32 s28, 0x80
	v_and_or_b32 v3, v3, s28, v5
	global_store_byte v[0:1], v3, off
.LBB216_708:
	s_mov_b64 s[28:29], 0
.LBB216_709:
	s_andn2_b64 vcc, exec, s[28:29]
	s_cbranch_vccnz .LBB216_719
; %bb.710:
	v_cvt_f32_f16_e32 v3, v2
	s_mov_b32 s28, 0x47800000
                                        ; implicit-def: $vgpr5
	v_and_b32_e32 v6, 0x7fffffff, v3
	v_cmp_gt_u32_e32 vcc, s28, v6
	s_and_saveexec_b64 s[28:29], vcc
	s_xor_b64 s[28:29], exec, s[28:29]
	s_cbranch_execz .LBB216_716
; %bb.711:
	s_mov_b32 s30, 0x387fffff
	v_cmp_lt_u32_e32 vcc, s30, v6
                                        ; implicit-def: $vgpr5
	s_and_saveexec_b64 s[30:31], vcc
	s_xor_b64 s[30:31], exec, s[30:31]
; %bb.712:
	v_bfe_u32 v5, v3, 21, 1
	s_mov_b32 s34, 0x80fffff
	v_add3_u32 v5, v3, v5, s34
	v_lshrrev_b32_e32 v5, 21, v5
; %bb.713:
	s_andn2_saveexec_b64 s[30:31], s[30:31]
; %bb.714:
	s_mov_b32 s34, 0x43000000
	v_add_f32_e64 v5, |v3|, s34
; %bb.715:
	s_or_b64 exec, exec, s[30:31]
                                        ; implicit-def: $vgpr6
.LBB216_716:
	s_andn2_saveexec_b64 s[28:29], s[28:29]
; %bb.717:
	s_mov_b32 s30, 0x7f800000
	v_mov_b32_e32 v5, 0x7c
	v_mov_b32_e32 v7, 0x7f
	v_cmp_lt_u32_e32 vcc, s30, v6
	s_nop 1
	v_cndmask_b32_e32 v5, v5, v7, vcc
; %bb.718:
	s_or_b64 exec, exec, s[28:29]
	v_lshrrev_b32_e32 v3, 24, v3
	s_movk_i32 s28, 0x80
	v_and_or_b32 v3, v3, s28, v5
	global_store_byte v[0:1], v3, off
.LBB216_719:
	s_mov_b64 s[30:31], 0
	s_mov_b64 s[28:29], -1
.LBB216_720:
	s_andn2_b64 vcc, exec, s[30:31]
	s_cbranch_vccnz .LBB216_728
; %bb.721:
	s_cmp_gt_i32 s37, 14
	s_mov_b64 s[30:31], -1
	s_cbranch_scc0 .LBB216_725
; %bb.722:
	s_cmp_eq_u32 s37, 15
	s_mov_b64 s[0:1], -1
	s_cbranch_scc0 .LBB216_724
; %bb.723:
	v_cvt_f32_f16_e32 v3, v2
	s_movk_i32 s0, 0x7fff
	v_cmp_o_f16_e32 vcc, v2, v2
	v_mov_b32_e32 v5, 0x7fc0
	v_bfe_u32 v6, v3, 16, 1
	v_add3_u32 v3, v3, v6, s0
	v_cndmask_b32_sdwa v3, v5, v3, vcc dst_sel:DWORD dst_unused:UNUSED_PAD src0_sel:DWORD src1_sel:WORD_1
	global_store_short v[0:1], v3, off
	s_mov_b64 s[28:29], -1
	s_mov_b64 s[0:1], 0
.LBB216_724:
	s_mov_b64 s[30:31], 0
.LBB216_725:
	s_and_b64 vcc, exec, s[30:31]
	s_cbranch_vccz .LBB216_728
; %bb.726:
	s_cmp_eq_u32 s37, 11
	s_mov_b64 s[0:1], -1
	s_cbranch_scc0 .LBB216_728
; %bb.727:
	v_cmp_neq_f16_e32 vcc, 0, v2
	s_mov_b64 s[28:29], -1
	s_mov_b64 s[0:1], 0
	v_cndmask_b32_e64 v3, 0, 1, vcc
	global_store_byte v[0:1], v3, off
.LBB216_728:
	s_mov_b64 s[30:31], 0
.LBB216_729:
	s_and_b64 vcc, exec, s[30:31]
	s_cbranch_vccz .LBB216_768
; %bb.730:
	s_and_b32 s30, 0xffff, s36
	s_cmp_lt_i32 s30, 5
	s_mov_b64 s[28:29], -1
	s_cbranch_scc1 .LBB216_751
; %bb.731:
	s_cmp_lt_i32 s30, 8
	s_cbranch_scc1 .LBB216_741
; %bb.732:
	s_cmp_lt_i32 s30, 9
	s_cbranch_scc1 .LBB216_738
; %bb.733:
	s_cmp_gt_i32 s30, 9
	s_cbranch_scc0 .LBB216_735
; %bb.734:
	v_cvt_f32_f16_e32 v3, v2
	v_mov_b32_e32 v8, 0
	v_mov_b32_e32 v9, v8
	s_mov_b64 s[28:29], 0
	v_cvt_f64_f32_e32 v[6:7], v3
	global_store_dwordx4 v[0:1], v[6:9], off
.LBB216_735:
	s_andn2_b64 vcc, exec, s[28:29]
	s_cbranch_vccnz .LBB216_737
; %bb.736:
	v_cvt_f32_f16_e32 v6, v2
	v_mov_b32_e32 v7, 0
	global_store_dwordx2 v[0:1], v[6:7], off
.LBB216_737:
	s_mov_b64 s[28:29], 0
.LBB216_738:
	s_andn2_b64 vcc, exec, s[28:29]
	s_cbranch_vccnz .LBB216_740
; %bb.739:
	v_and_b32_e32 v3, 0xffff, v2
	global_store_dword v[0:1], v3, off
.LBB216_740:
	s_mov_b64 s[28:29], 0
.LBB216_741:
	s_andn2_b64 vcc, exec, s[28:29]
	s_cbranch_vccnz .LBB216_750
; %bb.742:
	s_cmp_lt_i32 s30, 6
	s_mov_b64 s[28:29], -1
	s_cbranch_scc1 .LBB216_748
; %bb.743:
	s_cmp_gt_i32 s30, 6
	s_cbranch_scc0 .LBB216_745
; %bb.744:
	v_cvt_f32_f16_e32 v3, v2
	s_mov_b64 s[28:29], 0
	v_cvt_f64_f32_e32 v[6:7], v3
	global_store_dwordx2 v[0:1], v[6:7], off
.LBB216_745:
	s_andn2_b64 vcc, exec, s[28:29]
	s_cbranch_vccnz .LBB216_747
; %bb.746:
	v_cvt_f32_f16_e32 v3, v2
	global_store_dword v[0:1], v3, off
.LBB216_747:
	s_mov_b64 s[28:29], 0
.LBB216_748:
	s_andn2_b64 vcc, exec, s[28:29]
	s_cbranch_vccnz .LBB216_750
; %bb.749:
	global_store_short v[0:1], v2, off
.LBB216_750:
	s_mov_b64 s[28:29], 0
.LBB216_751:
	s_andn2_b64 vcc, exec, s[28:29]
	s_cbranch_vccnz .LBB216_767
; %bb.752:
	s_cmp_lt_i32 s30, 2
	s_mov_b64 s[28:29], -1
	s_cbranch_scc1 .LBB216_762
; %bb.753:
	s_cmp_lt_i32 s30, 3
	s_cbranch_scc1 .LBB216_759
; %bb.754:
	s_cmp_gt_i32 s30, 3
	s_cbranch_scc0 .LBB216_756
; %bb.755:
	v_cvt_f32_f16_e32 v3, v2
	s_mov_b64 s[28:29], 0
	v_cvt_i32_f32_e32 v6, v3
	v_ashrrev_i32_e32 v7, 31, v6
	global_store_dwordx2 v[0:1], v[6:7], off
.LBB216_756:
	s_andn2_b64 vcc, exec, s[28:29]
	s_cbranch_vccnz .LBB216_758
; %bb.757:
	v_cvt_f32_f16_e32 v3, v2
	v_cvt_i32_f32_e32 v3, v3
	global_store_dword v[0:1], v3, off
.LBB216_758:
	s_mov_b64 s[28:29], 0
.LBB216_759:
	s_andn2_b64 vcc, exec, s[28:29]
	s_cbranch_vccnz .LBB216_761
; %bb.760:
	v_cvt_i16_f16_e32 v3, v2
	global_store_short v[0:1], v3, off
.LBB216_761:
	s_mov_b64 s[28:29], 0
.LBB216_762:
	s_andn2_b64 vcc, exec, s[28:29]
	s_cbranch_vccnz .LBB216_767
; %bb.763:
	s_cmp_gt_i32 s30, 0
	s_mov_b64 s[28:29], -1
	s_cbranch_scc0 .LBB216_765
; %bb.764:
	v_cvt_i16_f16_e32 v3, v2
	s_mov_b64 s[28:29], 0
	global_store_byte v[0:1], v3, off
.LBB216_765:
	s_andn2_b64 vcc, exec, s[28:29]
	s_cbranch_vccnz .LBB216_767
; %bb.766:
	v_cvt_f32_f16_e32 v2, v2
	v_cvt_i32_f32_e32 v2, v2
	global_store_byte v[0:1], v2, off
.LBB216_767:
	s_mov_b64 s[28:29], -1
.LBB216_768:
	s_andn2_b64 vcc, exec, s[28:29]
	s_cbranch_vccnz .LBB216_770
; %bb.769:
	v_add_u32_e32 v4, 0x80, v4
	s_mov_b64 s[30:31], -1
	s_branch .LBB216_771
.LBB216_770:
	s_mov_b64 s[30:31], 0
                                        ; implicit-def: $vgpr4
.LBB216_771:
	s_andn2_b64 s[28:29], s[20:21], exec
	s_and_b64 s[0:1], s[0:1], exec
	s_or_b64 s[28:29], s[28:29], s[0:1]
	s_andn2_b64 s[0:1], s[18:19], exec
	s_and_b64 s[26:27], s[26:27], exec
	s_or_b64 s[0:1], s[0:1], s[26:27]
	s_orn2_b64 s[34:35], s[30:31], exec
.LBB216_772:
	s_or_b64 exec, exec, s[24:25]
	s_mov_b64 s[30:31], 0
	s_mov_b64 s[26:27], 0
	;; [unrolled: 1-line block ×3, first 2 shown]
                                        ; implicit-def: $vgpr0_vgpr1
                                        ; implicit-def: $vgpr3
	s_and_saveexec_b64 s[24:25], s[34:35]
	s_cbranch_execz .LBB216_857
; %bb.773:
	v_cmp_gt_i32_e32 vcc, s38, v4
	s_mov_b64 s[34:35], 0
	s_mov_b64 s[38:39], s[0:1]
	;; [unrolled: 1-line block ×3, first 2 shown]
                                        ; implicit-def: $vgpr0_vgpr1
                                        ; implicit-def: $vgpr3
	s_and_saveexec_b64 s[26:27], vcc
	s_cbranch_execz .LBB216_856
; %bb.774:
	v_mul_lo_u32 v0, v4, s9
	v_ashrrev_i32_e32 v1, 31, v0
	s_and_b32 s43, 0xffff, s42
	s_cmp_lt_i32 s43, 11
	v_lshl_add_u64 v[0:1], s[6:7], 0, v[0:1]
	s_cbranch_scc1 .LBB216_781
; %bb.775:
	s_cmp_gt_i32 s43, 25
	s_cbranch_scc0 .LBB216_782
; %bb.776:
	s_cmp_gt_i32 s43, 28
	s_cbranch_scc0 .LBB216_783
	;; [unrolled: 3-line block ×4, first 2 shown]
; %bb.779:
	s_cmp_eq_u32 s43, 46
	s_mov_b64 s[38:39], 0
	s_cbranch_scc0 .LBB216_790
; %bb.780:
	global_load_dword v2, v[0:1], off
	s_mov_b64 s[36:37], -1
	s_waitcnt vmcnt(0)
	v_lshlrev_b32_e32 v2, 16, v2
	v_cvt_f16_f32_e32 v3, v2
	s_branch .LBB216_792
.LBB216_781:
	s_mov_b64 s[38:39], -1
                                        ; implicit-def: $vgpr3
	s_mov_b64 s[30:31], s[0:1]
	s_branch .LBB216_855
.LBB216_782:
	s_mov_b64 s[38:39], -1
	s_mov_b64 s[30:31], s[0:1]
                                        ; implicit-def: $vgpr3
	s_branch .LBB216_821
.LBB216_783:
	s_mov_b64 s[38:39], -1
	s_mov_b64 s[30:31], s[0:1]
                                        ; implicit-def: $vgpr3
	s_branch .LBB216_802
.LBB216_784:
	s_mov_b64 s[38:39], -1
	s_mov_b64 s[30:31], s[0:1]
                                        ; implicit-def: $vgpr3
	s_branch .LBB216_797
.LBB216_785:
	s_andn2_saveexec_b64 s[34:35], s[34:35]
	s_cbranch_execz .LBB216_681
.LBB216_786:
	s_mov_b32 s39, 0x46000000
	v_add_f32_e64 v5, |v3|, s39
	v_and_b32_e32 v5, 0xff, v5
	v_cmp_ne_u32_e32 vcc, 0, v5
	s_andn2_b64 s[30:31], s[30:31], exec
	s_and_b64 s[40:41], vcc, exec
	s_or_b64 s[30:31], s[30:31], s[40:41]
	s_or_b64 exec, exec, s[34:35]
	v_mov_b32_e32 v6, 0
	s_and_saveexec_b64 s[34:35], s[30:31]
	s_cbranch_execnz .LBB216_682
	s_branch .LBB216_683
.LBB216_787:
	s_mov_b64 s[38:39], -1
	s_mov_b64 s[30:31], s[0:1]
	s_branch .LBB216_791
.LBB216_788:
	s_andn2_saveexec_b64 s[34:35], s[34:35]
	s_cbranch_execz .LBB216_694
.LBB216_789:
	s_mov_b32 s39, 0x42800000
	v_add_f32_e64 v5, |v3|, s39
	v_and_b32_e32 v5, 0xff, v5
	v_cmp_ne_u32_e32 vcc, 0, v5
	s_andn2_b64 s[30:31], s[30:31], exec
	s_and_b64 s[40:41], vcc, exec
	s_or_b64 s[30:31], s[30:31], s[40:41]
	s_or_b64 exec, exec, s[34:35]
	v_mov_b32_e32 v6, 0
	s_and_saveexec_b64 s[34:35], s[30:31]
	s_cbranch_execnz .LBB216_695
	s_branch .LBB216_696
.LBB216_790:
	s_mov_b64 s[30:31], -1
.LBB216_791:
                                        ; implicit-def: $vgpr3
.LBB216_792:
	s_and_b64 vcc, exec, s[38:39]
	s_cbranch_vccz .LBB216_796
; %bb.793:
	s_cmp_eq_u32 s43, 44
	s_cbranch_scc0 .LBB216_795
; %bb.794:
	global_load_ubyte v2, v[0:1], off
	s_movk_i32 s36, 0xff
	v_mov_b32_e32 v5, 0x7e00
	s_mov_b64 s[30:31], 0
	s_waitcnt vmcnt(0)
	v_lshlrev_b32_e32 v3, 23, v2
	v_cvt_f16_f32_e32 v3, v3
	v_cmp_ne_u32_e32 vcc, s36, v2
	s_mov_b64 s[36:37], -1
	s_nop 0
	v_cndmask_b32_e32 v3, v5, v3, vcc
	v_cmp_ne_u32_e32 vcc, 0, v2
	s_nop 1
	v_cndmask_b32_e32 v3, 0, v3, vcc
	s_branch .LBB216_796
.LBB216_795:
	s_mov_b64 s[30:31], -1
                                        ; implicit-def: $vgpr3
.LBB216_796:
	s_mov_b64 s[38:39], 0
.LBB216_797:
	s_and_b64 vcc, exec, s[38:39]
	s_cbranch_vccz .LBB216_801
; %bb.798:
	s_cmp_eq_u32 s43, 29
	s_cbranch_scc0 .LBB216_800
; %bb.799:
	global_load_dwordx2 v[2:3], v[0:1], off
	s_mov_b64 s[30:31], 0
	s_mov_b64 s[36:37], -1
	s_mov_b64 s[38:39], 0
	s_waitcnt vmcnt(0)
	v_ffbh_u32_e32 v5, v3
	v_min_u32_e32 v5, 32, v5
	v_lshlrev_b64 v[2:3], v5, v[2:3]
	v_min_u32_e32 v2, 1, v2
	v_or_b32_e32 v2, v3, v2
	v_cvt_f32_u32_e32 v2, v2
	v_sub_u32_e32 v3, 32, v5
	v_ldexp_f32 v2, v2, v3
	v_cvt_f16_f32_e32 v3, v2
	s_branch .LBB216_802
.LBB216_800:
	s_mov_b64 s[30:31], -1
                                        ; implicit-def: $vgpr3
.LBB216_801:
	s_mov_b64 s[38:39], 0
.LBB216_802:
	s_and_b64 vcc, exec, s[38:39]
	s_cbranch_vccz .LBB216_820
; %bb.803:
	s_cmp_lt_i32 s43, 27
	s_cbranch_scc1 .LBB216_806
; %bb.804:
	s_cmp_gt_i32 s43, 27
	s_cbranch_scc0 .LBB216_807
; %bb.805:
	global_load_dword v2, v[0:1], off
	s_mov_b64 s[36:37], 0
	s_waitcnt vmcnt(0)
	v_cvt_f32_u32_e32 v2, v2
	v_cvt_f16_f32_e32 v3, v2
	s_branch .LBB216_808
.LBB216_806:
	s_mov_b64 s[36:37], -1
                                        ; implicit-def: $vgpr3
	s_branch .LBB216_811
.LBB216_807:
	s_mov_b64 s[36:37], -1
                                        ; implicit-def: $vgpr3
.LBB216_808:
	s_andn2_b64 vcc, exec, s[36:37]
	s_cbranch_vccnz .LBB216_810
; %bb.809:
	global_load_ushort v2, v[0:1], off
	s_waitcnt vmcnt(0)
	v_cvt_f16_u16_e32 v3, v2
.LBB216_810:
	s_mov_b64 s[36:37], 0
.LBB216_811:
	s_andn2_b64 vcc, exec, s[36:37]
	s_cbranch_vccnz .LBB216_819
; %bb.812:
	global_load_ubyte v2, v[0:1], off
	s_movk_i32 s36, 0x7f
	s_waitcnt vmcnt(0)
	v_cmp_lt_i16_e32 vcc, s36, v2
	s_mov_b64 s[36:37], 0
	s_and_saveexec_b64 s[38:39], vcc
	s_xor_b64 s[38:39], exec, s[38:39]
	s_cbranch_execz .LBB216_833
; %bb.813:
	s_movk_i32 s36, 0x80
	v_cmp_eq_u16_e32 vcc, s36, v2
	s_mov_b64 s[36:37], -1
	s_and_saveexec_b64 s[40:41], vcc
; %bb.814:
	s_xor_b64 s[36:37], exec, -1
; %bb.815:
	s_or_b64 exec, exec, s[40:41]
	s_and_b64 s[36:37], s[36:37], exec
	s_or_saveexec_b64 s[38:39], s[38:39]
	v_mov_b32_e32 v3, 0x7e00
	s_xor_b64 exec, exec, s[38:39]
	s_cbranch_execnz .LBB216_834
.LBB216_816:
	s_or_b64 exec, exec, s[38:39]
	s_and_saveexec_b64 s[38:39], s[36:37]
	s_cbranch_execz .LBB216_818
.LBB216_817:
	v_lshlrev_b32_e32 v3, 24, v2
	v_and_b32_e32 v2, 0xffff, v2
	v_and_b32_e32 v5, 7, v2
	v_ffbh_u32_e32 v7, v5
	v_min_u32_e32 v7, 32, v7
	v_subrev_u32_e32 v8, 28, v7
	v_bfe_u32 v6, v2, 3, 4
	v_lshlrev_b32_e32 v2, v8, v2
	v_sub_u32_e32 v7, 29, v7
	v_and_b32_e32 v2, 7, v2
	v_cmp_eq_u32_e32 vcc, 0, v6
	v_and_b32_e32 v3, 0x80000000, v3
	s_nop 0
	v_cndmask_b32_e32 v6, v6, v7, vcc
	v_cndmask_b32_e32 v2, v5, v2, vcc
	v_mov_b32_e32 v5, 0x3b800000
	v_lshlrev_b32_e32 v2, 20, v2
	v_lshl_add_u32 v5, v6, 23, v5
	v_or3_b32 v2, v3, v5, v2
	v_cvt_f16_f32_e32 v3, v2
.LBB216_818:
	s_or_b64 exec, exec, s[38:39]
.LBB216_819:
	s_mov_b64 s[36:37], -1
.LBB216_820:
	s_mov_b64 s[38:39], 0
.LBB216_821:
	s_and_b64 vcc, exec, s[38:39]
	s_cbranch_vccz .LBB216_854
; %bb.822:
	s_cmp_gt_i32 s43, 22
	s_cbranch_scc0 .LBB216_832
; %bb.823:
	s_cmp_lt_i32 s43, 24
	s_cbranch_scc1 .LBB216_835
; %bb.824:
	s_cmp_gt_i32 s43, 24
	s_cbranch_scc0 .LBB216_836
; %bb.825:
	global_load_ubyte v2, v[0:1], off
	s_movk_i32 s34, 0x7f
	s_waitcnt vmcnt(0)
	v_cmp_lt_i16_e32 vcc, s34, v2
	s_mov_b64 s[34:35], 0
	s_and_saveexec_b64 s[36:37], vcc
	s_xor_b64 s[36:37], exec, s[36:37]
	s_cbranch_execz .LBB216_848
; %bb.826:
	s_movk_i32 s34, 0x80
	v_cmp_eq_u16_e32 vcc, s34, v2
	s_mov_b64 s[34:35], -1
	s_and_saveexec_b64 s[38:39], vcc
; %bb.827:
	s_xor_b64 s[34:35], exec, -1
; %bb.828:
	s_or_b64 exec, exec, s[38:39]
	s_and_b64 s[34:35], s[34:35], exec
	s_or_saveexec_b64 s[36:37], s[36:37]
	v_mov_b32_e32 v3, 0x7e00
	s_xor_b64 exec, exec, s[36:37]
	s_cbranch_execnz .LBB216_849
.LBB216_829:
	s_or_b64 exec, exec, s[36:37]
	s_and_saveexec_b64 s[36:37], s[34:35]
	s_cbranch_execz .LBB216_831
.LBB216_830:
	v_lshlrev_b32_e32 v3, 24, v2
	v_and_b32_e32 v2, 0xffff, v2
	v_and_b32_e32 v5, 3, v2
	v_ffbh_u32_e32 v7, v5
	v_min_u32_e32 v7, 32, v7
	v_subrev_u32_e32 v8, 29, v7
	v_bfe_u32 v6, v2, 2, 5
	v_lshlrev_b32_e32 v2, v8, v2
	v_sub_u32_e32 v7, 30, v7
	v_and_b32_e32 v2, 3, v2
	v_cmp_eq_u32_e32 vcc, 0, v6
	v_and_b32_e32 v3, 0x80000000, v3
	s_nop 0
	v_cndmask_b32_e32 v6, v6, v7, vcc
	v_cndmask_b32_e32 v2, v5, v2, vcc
	v_mov_b32_e32 v5, 0x37800000
	v_lshlrev_b32_e32 v2, 21, v2
	v_lshl_add_u32 v5, v6, 23, v5
	v_or3_b32 v2, v3, v5, v2
	v_cvt_f16_f32_e32 v3, v2
.LBB216_831:
	s_or_b64 exec, exec, s[36:37]
	s_mov_b64 s[34:35], 0
	s_branch .LBB216_837
.LBB216_832:
	s_mov_b64 s[34:35], -1
                                        ; implicit-def: $vgpr3
	s_branch .LBB216_843
.LBB216_833:
	s_or_saveexec_b64 s[38:39], s[38:39]
	v_mov_b32_e32 v3, 0x7e00
	s_xor_b64 exec, exec, s[38:39]
	s_cbranch_execz .LBB216_816
.LBB216_834:
	v_cmp_ne_u16_e32 vcc, 0, v2
	s_andn2_b64 s[36:37], s[36:37], exec
	s_and_b64 s[40:41], vcc, exec
	s_or_b64 s[36:37], s[36:37], s[40:41]
	v_mov_b32_e32 v3, v2
	s_or_b64 exec, exec, s[38:39]
	s_and_saveexec_b64 s[38:39], s[36:37]
	s_cbranch_execnz .LBB216_817
	s_branch .LBB216_818
.LBB216_835:
	s_mov_b64 s[34:35], -1
                                        ; implicit-def: $vgpr3
	s_branch .LBB216_840
.LBB216_836:
	s_mov_b64 s[34:35], -1
                                        ; implicit-def: $vgpr3
.LBB216_837:
	s_and_b64 vcc, exec, s[34:35]
	s_cbranch_vccz .LBB216_839
; %bb.838:
	global_load_ubyte v2, v[0:1], off
	s_mov_b32 s34, 0x7f800000
	s_waitcnt vmcnt(0)
	v_lshlrev_b32_e32 v2, 24, v2
	v_and_b32_e32 v3, 0x7f000000, v2
	v_ffbh_u32_e32 v5, v3
	v_min_u32_e32 v5, 32, v5
	v_sub_u32_e64 v5, v5, 4 clamp
	v_lshlrev_b32_e32 v7, v5, v3
	v_lshlrev_b32_e32 v5, 23, v5
	v_lshrrev_b32_e32 v7, 4, v7
	v_add_u32_e32 v6, 0x1000000, v3
	v_sub_u32_e32 v5, v7, v5
	v_ashrrev_i32_e32 v6, 8, v6
	v_add_u32_e32 v5, 0x3c000000, v5
	v_and_or_b32 v5, v6, s34, v5
	v_cmp_ne_u32_e32 vcc, 0, v3
	s_brev_b32 s34, 1
	s_nop 0
	v_cndmask_b32_e32 v3, 0, v5, vcc
	v_and_or_b32 v2, v2, s34, v3
	v_cvt_f16_f32_e32 v3, v2
.LBB216_839:
	s_mov_b64 s[34:35], 0
.LBB216_840:
	s_andn2_b64 vcc, exec, s[34:35]
	s_cbranch_vccnz .LBB216_842
; %bb.841:
	global_load_ubyte v2, v[0:1], off
	s_movk_i32 s34, 0x7f00
	s_brev_b32 s35, 16
	s_waitcnt vmcnt(0)
	v_lshlrev_b16_e32 v3, 8, v2
	v_lshlrev_b32_e32 v2, 25, v2
	v_lshrrev_b32_e32 v5, 4, v2
	v_and_or_b32 v6, v3, s34, 0.5
	v_or_b32_e32 v5, 0x70000000, v5
	v_add_f32_e32 v6, -0.5, v6
	v_mul_f32_e32 v5, 0x7800000, v5
	v_cmp_gt_u32_e32 vcc, s35, v2
	v_bfe_i32 v3, v3, 0, 16
	s_brev_b32 s34, 1
	v_cndmask_b32_e32 v2, v5, v6, vcc
	v_and_or_b32 v2, v3, s34, v2
	v_cvt_f16_f32_e32 v3, v2
.LBB216_842:
	s_mov_b64 s[34:35], 0
	s_mov_b64 s[36:37], -1
.LBB216_843:
	s_andn2_b64 vcc, exec, s[34:35]
	s_mov_b64 s[34:35], 0
	s_cbranch_vccnz .LBB216_854
; %bb.844:
	s_cmp_gt_i32 s43, 14
	s_cbranch_scc0 .LBB216_847
; %bb.845:
	s_cmp_eq_u32 s43, 15
	s_cbranch_scc0 .LBB216_850
; %bb.846:
	global_load_ushort v2, v[0:1], off
	s_mov_b64 s[30:31], 0
	s_mov_b64 s[36:37], -1
	s_waitcnt vmcnt(0)
	v_lshlrev_b32_e32 v2, 16, v2
	v_cvt_f16_f32_e32 v3, v2
	s_branch .LBB216_851
.LBB216_847:
	s_mov_b64 s[38:39], -1
                                        ; implicit-def: $vgpr3
	s_branch .LBB216_852
.LBB216_848:
	s_or_saveexec_b64 s[36:37], s[36:37]
	v_mov_b32_e32 v3, 0x7e00
	s_xor_b64 exec, exec, s[36:37]
	s_cbranch_execz .LBB216_829
.LBB216_849:
	v_cmp_ne_u16_e32 vcc, 0, v2
	s_andn2_b64 s[34:35], s[34:35], exec
	s_and_b64 s[38:39], vcc, exec
	s_or_b64 s[34:35], s[34:35], s[38:39]
	v_mov_b32_e32 v3, v2
	s_or_b64 exec, exec, s[36:37]
	s_and_saveexec_b64 s[36:37], s[34:35]
	s_cbranch_execnz .LBB216_830
	s_branch .LBB216_831
.LBB216_850:
	s_mov_b64 s[30:31], -1
                                        ; implicit-def: $vgpr3
.LBB216_851:
	s_mov_b64 s[38:39], 0
.LBB216_852:
	s_and_b64 vcc, exec, s[38:39]
	s_cbranch_vccz .LBB216_854
; %bb.853:
	s_cmp_lg_u32 s43, 11
	s_cselect_b64 s[38:39], -1, 0
	s_andn2_b64 s[30:31], s[30:31], exec
	s_and_b64 s[38:39], s[38:39], exec
	s_mov_b64 s[34:35], -1
	s_or_b64 s[30:31], s[30:31], s[38:39]
.LBB216_854:
	s_mov_b64 s[38:39], 0
.LBB216_855:
	s_and_b64 s[40:41], s[38:39], exec
	s_andn2_b64 s[38:39], s[0:1], exec
	s_and_b64 s[30:31], s[30:31], exec
	s_and_b64 s[36:37], s[36:37], exec
	;; [unrolled: 1-line block ×3, first 2 shown]
	s_or_b64 s[38:39], s[38:39], s[30:31]
.LBB216_856:
	s_or_b64 exec, exec, s[26:27]
	s_and_b64 s[30:31], s[34:35], exec
	s_andn2_b64 s[0:1], s[0:1], exec
	s_and_b64 s[34:35], s[38:39], exec
	s_and_b64 s[36:37], s[36:37], exec
	;; [unrolled: 1-line block ×3, first 2 shown]
	s_or_b64 s[0:1], s[0:1], s[34:35]
.LBB216_857:
	s_or_b64 exec, exec, s[24:25]
	s_andn2_b64 s[20:21], s[20:21], exec
	s_and_b64 s[24:25], s[28:29], exec
	s_andn2_b64 s[18:19], s[18:19], exec
	s_and_b64 s[0:1], s[0:1], exec
	s_or_b64 s[20:21], s[20:21], s[24:25]
	s_and_b64 s[28:29], s[36:37], exec
	s_and_b64 s[26:27], s[26:27], exec
	;; [unrolled: 1-line block ×3, first 2 shown]
	s_or_b64 s[18:19], s[18:19], s[0:1]
.LBB216_858:
	s_or_b64 exec, exec, s[22:23]
	s_andn2_b64 s[0:1], s[12:13], exec
	s_and_b64 s[12:13], s[20:21], exec
	s_andn2_b64 s[14:15], s[14:15], exec
	s_and_b64 s[18:19], s[18:19], exec
	s_or_b64 s[12:13], s[0:1], s[12:13]
	s_and_b64 s[0:1], s[28:29], exec
	s_and_b64 s[22:23], s[26:27], exec
	;; [unrolled: 1-line block ×3, first 2 shown]
	s_or_b64 s[14:15], s[14:15], s[18:19]
	s_or_b64 exec, exec, s[16:17]
	s_mov_b64 s[16:17], 0
	s_and_saveexec_b64 s[18:19], s[14:15]
	s_cbranch_execz .LBB216_262
.LBB216_859:
	s_mov_b64 s[16:17], exec
	s_andn2_b64 s[20:21], s[20:21], exec
	s_trap 2
	s_or_b64 exec, exec, s[18:19]
	s_and_saveexec_b64 s[14:15], s[20:21]
	s_xor_b64 s[14:15], exec, s[14:15]
	s_cbranch_execnz .LBB216_263
.LBB216_860:
	s_or_b64 exec, exec, s[14:15]
	s_and_saveexec_b64 s[14:15], s[22:23]
	s_cbranch_execz .LBB216_906
.LBB216_861:
	s_sext_i32_i16 s18, s42
	s_cmp_lt_i32 s18, 5
	s_cbranch_scc1 .LBB216_866
; %bb.862:
	s_cmp_lt_i32 s18, 8
	s_cbranch_scc1 .LBB216_867
; %bb.863:
	;; [unrolled: 3-line block ×3, first 2 shown]
	s_cmp_gt_i32 s18, 9
	s_cbranch_scc0 .LBB216_869
; %bb.865:
	global_load_dwordx2 v[2:3], v[0:1], off
	s_movk_i32 s18, 0x1ff
	s_movk_i32 s19, 0xffe
	v_mov_b32_e32 v5, 0x7c00
	v_mov_b32_e32 v6, 0x7e00
	s_movk_i32 s20, 0x40f
	s_mov_b32 s21, 0x8000
	s_waitcnt vmcnt(0)
	v_and_or_b32 v2, v3, s18, v2
	v_cmp_ne_u32_e32 vcc, 0, v2
	v_lshrrev_b32_e32 v7, 8, v3
	v_bfe_u32 v8, v3, 20, 11
	v_cndmask_b32_e64 v2, 0, 1, vcc
	v_sub_u32_e32 v9, 0x3f1, v8
	v_and_or_b32 v2, v7, s19, v2
	v_add_u32_e32 v8, 0xfffffc10, v8
	v_med3_i32 v7, v9, 0, 13
	v_or_b32_e32 v9, 0x1000, v2
	v_cmp_ne_u32_e32 vcc, 0, v2
	v_lshl_or_b32 v10, v8, 12, v2
	v_lshrrev_b32_e32 v3, 16, v3
	v_cndmask_b32_e32 v2, v5, v6, vcc
	v_lshrrev_b32_e32 v6, v7, v9
	v_lshlrev_b32_e32 v7, v7, v6
	v_cmp_ne_u32_e32 vcc, v7, v9
	s_mov_b64 s[18:19], 0
	s_nop 0
	v_cndmask_b32_e64 v7, 0, 1, vcc
	v_or_b32_e32 v6, v6, v7
	v_cmp_gt_i32_e32 vcc, 1, v8
	s_nop 1
	v_cndmask_b32_e32 v6, v10, v6, vcc
	v_and_b32_e32 v7, 7, v6
	v_cmp_lt_i32_e32 vcc, 5, v7
	v_lshrrev_b32_e32 v6, 2, v6
	s_nop 0
	v_cndmask_b32_e64 v9, 0, 1, vcc
	v_cmp_eq_u32_e32 vcc, 3, v7
	s_nop 1
	v_cndmask_b32_e64 v7, 0, 1, vcc
	v_or_b32_e32 v7, v7, v9
	v_add_u32_e32 v6, v6, v7
	v_cmp_gt_i32_e32 vcc, 31, v8
	s_nop 1
	v_cndmask_b32_e32 v5, v5, v6, vcc
	v_cmp_eq_u32_e32 vcc, s20, v8
	s_nop 1
	v_cndmask_b32_e32 v2, v5, v2, vcc
	v_and_or_b32 v3, v3, s21, v2
	s_branch .LBB216_870
.LBB216_866:
                                        ; implicit-def: $vgpr3
	s_branch .LBB216_887
.LBB216_867:
                                        ; implicit-def: $vgpr3
	s_branch .LBB216_876
.LBB216_868:
	s_mov_b64 s[18:19], -1
                                        ; implicit-def: $vgpr3
	s_branch .LBB216_873
.LBB216_869:
	s_mov_b64 s[18:19], -1
                                        ; implicit-def: $vgpr3
.LBB216_870:
	s_andn2_b64 vcc, exec, s[18:19]
	s_cbranch_vccnz .LBB216_872
; %bb.871:
	global_load_dword v2, v[0:1], off
	s_waitcnt vmcnt(0)
	v_cvt_f16_f32_e32 v3, v2
.LBB216_872:
	s_mov_b64 s[18:19], 0
.LBB216_873:
	s_andn2_b64 vcc, exec, s[18:19]
	s_cbranch_vccnz .LBB216_875
; %bb.874:
	global_load_dword v3, v[0:1], off
.LBB216_875:
	s_cbranch_execnz .LBB216_886
.LBB216_876:
	s_sext_i32_i16 s18, s42
	s_cmp_lt_i32 s18, 6
	s_cbranch_scc1 .LBB216_879
; %bb.877:
	s_cmp_gt_i32 s18, 6
	s_cbranch_scc0 .LBB216_880
; %bb.878:
	global_load_dwordx2 v[2:3], v[0:1], off
	s_movk_i32 s18, 0x1ff
	s_movk_i32 s19, 0xffe
	v_mov_b32_e32 v5, 0x7c00
	v_mov_b32_e32 v6, 0x7e00
	s_movk_i32 s20, 0x40f
	s_mov_b32 s21, 0x8000
	s_waitcnt vmcnt(0)
	v_and_or_b32 v2, v3, s18, v2
	v_cmp_ne_u32_e32 vcc, 0, v2
	v_lshrrev_b32_e32 v7, 8, v3
	v_bfe_u32 v8, v3, 20, 11
	v_cndmask_b32_e64 v2, 0, 1, vcc
	v_sub_u32_e32 v9, 0x3f1, v8
	v_and_or_b32 v2, v7, s19, v2
	v_add_u32_e32 v8, 0xfffffc10, v8
	v_med3_i32 v7, v9, 0, 13
	v_or_b32_e32 v9, 0x1000, v2
	v_cmp_ne_u32_e32 vcc, 0, v2
	v_lshl_or_b32 v10, v8, 12, v2
	v_lshrrev_b32_e32 v3, 16, v3
	v_cndmask_b32_e32 v2, v5, v6, vcc
	v_lshrrev_b32_e32 v6, v7, v9
	v_lshlrev_b32_e32 v7, v7, v6
	v_cmp_ne_u32_e32 vcc, v7, v9
	s_mov_b64 s[18:19], 0
	s_nop 0
	v_cndmask_b32_e64 v7, 0, 1, vcc
	v_or_b32_e32 v6, v6, v7
	v_cmp_gt_i32_e32 vcc, 1, v8
	s_nop 1
	v_cndmask_b32_e32 v6, v10, v6, vcc
	v_and_b32_e32 v7, 7, v6
	v_cmp_lt_i32_e32 vcc, 5, v7
	v_lshrrev_b32_e32 v6, 2, v6
	s_nop 0
	v_cndmask_b32_e64 v9, 0, 1, vcc
	v_cmp_eq_u32_e32 vcc, 3, v7
	s_nop 1
	v_cndmask_b32_e64 v7, 0, 1, vcc
	v_or_b32_e32 v7, v7, v9
	v_add_u32_e32 v6, v6, v7
	v_cmp_gt_i32_e32 vcc, 31, v8
	s_nop 1
	v_cndmask_b32_e32 v5, v5, v6, vcc
	v_cmp_eq_u32_e32 vcc, s20, v8
	s_nop 1
	v_cndmask_b32_e32 v2, v5, v2, vcc
	v_and_or_b32 v3, v3, s21, v2
	s_branch .LBB216_881
.LBB216_879:
	s_mov_b64 s[18:19], -1
                                        ; implicit-def: $vgpr3
	s_branch .LBB216_884
.LBB216_880:
	s_mov_b64 s[18:19], -1
                                        ; implicit-def: $vgpr3
.LBB216_881:
	s_andn2_b64 vcc, exec, s[18:19]
	s_cbranch_vccnz .LBB216_883
; %bb.882:
	global_load_dword v2, v[0:1], off
	s_waitcnt vmcnt(0)
	v_cvt_f16_f32_e32 v3, v2
.LBB216_883:
	s_mov_b64 s[18:19], 0
.LBB216_884:
	s_andn2_b64 vcc, exec, s[18:19]
	s_cbranch_vccnz .LBB216_886
; %bb.885:
	global_load_ushort v3, v[0:1], off
.LBB216_886:
	s_cbranch_execnz .LBB216_905
.LBB216_887:
	s_sext_i32_i16 s18, s42
	s_cmp_lt_i32 s18, 2
	s_cbranch_scc1 .LBB216_891
; %bb.888:
	s_cmp_lt_i32 s18, 3
	s_cbranch_scc1 .LBB216_892
; %bb.889:
	s_cmp_gt_i32 s18, 3
	s_cbranch_scc0 .LBB216_893
; %bb.890:
	global_load_dwordx2 v[2:3], v[0:1], off
	s_mov_b64 s[18:19], 0
	s_waitcnt vmcnt(0)
	v_xor_b32_e32 v6, v2, v3
	v_ffbh_i32_e32 v5, v3
	v_ashrrev_i32_e32 v6, 31, v6
	v_add_u32_e32 v5, -1, v5
	v_add_u32_e32 v6, 32, v6
	v_min_u32_e32 v5, v5, v6
	v_lshlrev_b64 v[2:3], v5, v[2:3]
	v_min_u32_e32 v2, 1, v2
	v_or_b32_e32 v2, v3, v2
	v_cvt_f32_i32_e32 v2, v2
	v_sub_u32_e32 v3, 32, v5
	v_ldexp_f32 v2, v2, v3
	v_cvt_f16_f32_e32 v3, v2
	s_branch .LBB216_894
.LBB216_891:
                                        ; implicit-def: $vgpr3
	s_branch .LBB216_900
.LBB216_892:
	s_mov_b64 s[18:19], -1
                                        ; implicit-def: $vgpr3
	s_branch .LBB216_897
.LBB216_893:
	s_mov_b64 s[18:19], -1
                                        ; implicit-def: $vgpr3
.LBB216_894:
	s_andn2_b64 vcc, exec, s[18:19]
	s_cbranch_vccnz .LBB216_896
; %bb.895:
	global_load_dword v2, v[0:1], off
	s_waitcnt vmcnt(0)
	v_cvt_f32_i32_e32 v2, v2
	v_cvt_f16_f32_e32 v3, v2
.LBB216_896:
	s_mov_b64 s[18:19], 0
.LBB216_897:
	s_andn2_b64 vcc, exec, s[18:19]
	s_cbranch_vccnz .LBB216_899
; %bb.898:
	global_load_ushort v2, v[0:1], off
	s_waitcnt vmcnt(0)
	v_cvt_f16_i16_e32 v3, v2
.LBB216_899:
	s_cbranch_execnz .LBB216_905
.LBB216_900:
	s_sext_i32_i16 s18, s42
	s_cmp_gt_i32 s18, 0
	s_cbranch_scc0 .LBB216_902
; %bb.901:
	global_load_sbyte v2, v[0:1], off
	s_mov_b64 s[18:19], 0
	s_waitcnt vmcnt(0)
	v_cvt_f16_i16_e32 v3, v2
	s_branch .LBB216_903
.LBB216_902:
	s_mov_b64 s[18:19], -1
                                        ; implicit-def: $vgpr3
.LBB216_903:
	s_andn2_b64 vcc, exec, s[18:19]
	s_cbranch_vccnz .LBB216_905
; %bb.904:
	global_load_ubyte v0, v[0:1], off
	s_waitcnt vmcnt(0)
	v_cvt_f16_u16_e32 v3, v0
.LBB216_905:
	s_or_b64 s[0:1], s[0:1], exec
.LBB216_906:
	s_or_b64 exec, exec, s[14:15]
	s_mov_b64 s[20:21], 0
	s_mov_b64 s[18:19], 0
                                        ; implicit-def: $sgpr26
                                        ; implicit-def: $vgpr0_vgpr1
                                        ; implicit-def: $vgpr2
	s_and_saveexec_b64 s[14:15], s[0:1]
	s_cbranch_execz .LBB216_924
; %bb.907:
	s_waitcnt vmcnt(0)
	v_cvt_f32_f16_e32 v0, v3
	s_mov_b32 s0, 0
	s_mov_b32 s1, 0x3fd80000
	v_mov_b32_e32 v5, 0x180
	v_cvt_f64_f32_e32 v[0:1], v0
	v_rsq_f64_e32 v[2:3], v[0:1]
	s_and_b32 s26, s33, 0xff
	s_cmp_lt_i32 s26, 11
	v_mul_f64 v[0:1], v[2:3], -v[0:1]
	v_fma_f64 v[0:1], v[0:1], v[2:3], 1.0
	v_mul_f64 v[6:7], v[2:3], v[0:1]
	v_fma_f64 v[0:1], v[0:1], s[0:1], 0.5
	v_fma_f64 v[0:1], v[6:7], v[0:1], v[2:3]
	v_cmp_class_f64_e32 vcc, v[2:3], v5
	s_movk_i32 s0, 0x1ff
	s_nop 0
	v_cndmask_b32_e32 v0, v2, v0, vcc
	v_cndmask_b32_e32 v1, v3, v1, vcc
	v_and_or_b32 v0, v1, s0, v0
	v_cmp_ne_u32_e32 vcc, 0, v0
	v_lshrrev_b32_e32 v2, 8, v1
	s_movk_i32 s0, 0xffe
	v_cndmask_b32_e64 v0, 0, 1, vcc
	v_bfe_u32 v3, v1, 20, 11
	v_and_or_b32 v0, v2, s0, v0
	v_sub_u32_e32 v5, 0x3f1, v3
	v_or_b32_e32 v2, 0x1000, v0
	v_med3_i32 v5, v5, 0, 13
	v_lshrrev_b32_e32 v6, v5, v2
	v_lshlrev_b32_e32 v5, v5, v6
	v_cmp_ne_u32_e32 vcc, v5, v2
	v_add_u32_e32 v3, 0xfffffc10, v3
	v_lshl_or_b32 v5, v3, 12, v0
	v_cndmask_b32_e64 v2, 0, 1, vcc
	v_or_b32_e32 v2, v6, v2
	v_cmp_gt_i32_e32 vcc, 1, v3
	s_movk_i32 s0, 0x40f
	v_lshrrev_b32_e32 v1, 16, v1
	v_cndmask_b32_e32 v2, v5, v2, vcc
	v_and_b32_e32 v5, 7, v2
	v_cmp_lt_i32_e32 vcc, 5, v5
	v_lshrrev_b32_e32 v2, 2, v2
	s_nop 0
	v_cndmask_b32_e64 v6, 0, 1, vcc
	v_cmp_eq_u32_e32 vcc, 3, v5
	s_nop 1
	v_cndmask_b32_e64 v5, 0, 1, vcc
	v_or_b32_e32 v5, v5, v6
	v_add_u32_e32 v2, v2, v5
	v_mov_b32_e32 v5, 0x7c00
	v_cmp_gt_i32_e32 vcc, 31, v3
	v_mov_b32_e32 v6, 0x7e00
	s_nop 0
	v_cndmask_b32_e32 v2, v5, v2, vcc
	v_cmp_ne_u32_e32 vcc, 0, v0
	s_nop 1
	v_cndmask_b32_e32 v0, v5, v6, vcc
	v_cmp_eq_u32_e32 vcc, s0, v3
	s_mov_b32 s0, 0x8000
	s_nop 0
	v_cndmask_b32_e32 v0, v2, v0, vcc
	v_and_or_b32 v2, v1, s0, v0
	v_mul_lo_u32 v0, v4, s8
	v_ashrrev_i32_e32 v1, 31, v0
	v_lshl_add_u64 v[0:1], s[4:5], 0, v[0:1]
	s_cbranch_scc1 .LBB216_927
; %bb.908:
	s_and_b32 s27, 0xffff, s26
	s_mov_b64 s[20:21], -1
	s_cmp_gt_i32 s27, 25
	s_mov_b64 s[0:1], s[12:13]
	s_cbranch_scc0 .LBB216_945
; %bb.909:
	s_mov_b64 s[18:19], -1
	s_cmp_gt_i32 s27, 28
	s_mov_b64 s[0:1], s[12:13]
	s_cbranch_scc0 .LBB216_929
; %bb.910:
	s_cmp_gt_i32 s27, 43
	s_mov_b64 s[0:1], s[12:13]
	s_cbranch_scc0 .LBB216_921
; %bb.911:
	;; [unrolled: 4-line block ×3, first 2 shown]
	s_cmp_eq_u32 s27, 46
	s_mov_b64 s[0:1], -1
	s_cbranch_scc0 .LBB216_914
; %bb.913:
	v_cvt_f32_f16_e32 v3, v2
	s_movk_i32 s0, 0x7fff
	v_cmp_o_f16_e32 vcc, v2, v2
	v_mov_b32_e32 v4, 0x7fc0
	v_bfe_u32 v5, v3, 16, 1
	v_add3_u32 v3, v3, v5, s0
	v_cndmask_b32_sdwa v3, v4, v3, vcc dst_sel:DWORD dst_unused:UNUSED_PAD src0_sel:DWORD src1_sel:WORD_1
	global_store_dword v[0:1], v3, off
	s_mov_b64 s[0:1], 0
.LBB216_914:
	s_mov_b64 s[18:19], 0
.LBB216_915:
	s_and_b64 vcc, exec, s[18:19]
	s_cbranch_vccz .LBB216_920
; %bb.916:
	s_cmp_eq_u32 s27, 44
	s_mov_b64 s[0:1], -1
	s_cbranch_scc0 .LBB216_920
; %bb.917:
	v_cvt_f32_f16_e32 v3, v2
	s_movk_i32 s0, 0xff
	v_mov_b32_e32 v5, 0xff
	v_bfe_u32 v4, v3, 23, 8
	v_cmp_ne_u32_e32 vcc, s0, v4
	s_and_saveexec_b64 s[18:19], vcc
; %bb.918:
	s_mov_b32 s0, 0x3fffff
	v_lshrrev_b32_e32 v5, 23, v3
	v_and_b32_e32 v6, 0x400000, v3
	v_and_or_b32 v3, v3, s0, v4
	v_cmp_ne_u32_e32 vcc, 0, v6
	v_cmp_ne_u32_e64 s[0:1], 0, v3
	s_and_b64 s[0:1], vcc, s[0:1]
	s_nop 0
	v_cndmask_b32_e64 v3, 0, 1, s[0:1]
	v_add_u32_e32 v5, v5, v3
; %bb.919:
	s_or_b64 exec, exec, s[18:19]
	s_mov_b64 s[0:1], 0
	global_store_byte v[0:1], v5, off
.LBB216_920:
	s_mov_b64 s[18:19], 0
.LBB216_921:
	s_and_b64 vcc, exec, s[18:19]
	s_cbranch_vccz .LBB216_928
; %bb.922:
	s_cmp_eq_u32 s27, 29
	s_mov_b64 s[0:1], -1
	s_cbranch_scc0 .LBB216_928
; %bb.923:
	v_cvt_f32_f16_e32 v3, v2
	v_mov_b32_e32 v5, 0
	s_mov_b64 s[0:1], 0
	s_mov_b64 s[18:19], 0
	v_cvt_u32_f32_e32 v4, v3
	global_store_dwordx2 v[0:1], v[4:5], off
	s_branch .LBB216_929
.LBB216_924:
	s_or_b64 exec, exec, s[14:15]
	s_and_saveexec_b64 s[0:1], s[12:13]
	s_cbranch_execnz .LBB216_987
.LBB216_925:
	s_or_b64 exec, exec, s[0:1]
	s_and_saveexec_b64 s[0:1], s[20:21]
	s_xor_b64 s[0:1], exec, s[0:1]
	s_cbranch_execz .LBB216_988
.LBB216_926:
	s_waitcnt vmcnt(0)
	v_cmp_neq_f16_e32 vcc, 0, v2
	s_nop 1
	v_cndmask_b32_e64 v3, 0, 1, vcc
	global_store_byte v[0:1], v3, off
	s_or_b64 exec, exec, s[0:1]
	s_and_saveexec_b64 s[0:1], s[18:19]
	s_xor_b64 s[0:1], exec, s[0:1]
	s_cbranch_execz .LBB216_1026
	s_branch .LBB216_989
.LBB216_927:
	s_mov_b64 s[18:19], -1
	s_mov_b64 s[0:1], s[12:13]
	s_branch .LBB216_986
.LBB216_928:
	s_mov_b64 s[18:19], 0
.LBB216_929:
	s_and_b64 vcc, exec, s[18:19]
	s_cbranch_vccz .LBB216_944
; %bb.930:
	s_cmp_lt_i32 s27, 27
	s_mov_b64 s[18:19], -1
	s_cbranch_scc1 .LBB216_936
; %bb.931:
	s_cmp_gt_i32 s27, 27
	s_cbranch_scc0 .LBB216_933
; %bb.932:
	v_cvt_f32_f16_e32 v3, v2
	s_mov_b64 s[18:19], 0
	v_cvt_u32_f32_e32 v3, v3
	global_store_dword v[0:1], v3, off
.LBB216_933:
	s_andn2_b64 vcc, exec, s[18:19]
	s_cbranch_vccnz .LBB216_935
; %bb.934:
	v_cvt_u16_f16_e32 v3, v2
	global_store_short v[0:1], v3, off
.LBB216_935:
	s_mov_b64 s[18:19], 0
.LBB216_936:
	s_andn2_b64 vcc, exec, s[18:19]
	s_cbranch_vccnz .LBB216_944
; %bb.937:
	v_cvt_f32_f16_e32 v3, v2
	s_mov_b32 s18, 0x43800000
	v_mov_b32_e32 v5, 0x80
	v_and_b32_e32 v4, 0x7fffffff, v3
	v_cmp_gt_u32_e32 vcc, s18, v4
	s_and_saveexec_b64 s[18:19], vcc
	s_cbranch_execz .LBB216_943
; %bb.938:
	s_mov_b32 s20, 0x3bffffff
	v_cmp_lt_u32_e32 vcc, s20, v4
	s_mov_b64 s[20:21], 0
                                        ; implicit-def: $vgpr4
	s_and_saveexec_b64 s[22:23], vcc
	s_xor_b64 s[22:23], exec, s[22:23]
	s_cbranch_execz .LBB216_1041
; %bb.939:
	v_bfe_u32 v4, v3, 20, 1
	s_mov_b32 s24, 0x487ffff
	v_add3_u32 v4, v3, v4, s24
	s_mov_b64 s[20:21], exec
	v_lshrrev_b32_e32 v4, 20, v4
	s_andn2_saveexec_b64 s[22:23], s[22:23]
	s_cbranch_execnz .LBB216_1042
.LBB216_940:
	s_or_b64 exec, exec, s[22:23]
	v_mov_b32_e32 v5, 0
	s_and_saveexec_b64 s[22:23], s[20:21]
.LBB216_941:
	v_lshrrev_b32_e32 v3, 24, v3
	s_movk_i32 s20, 0x80
	v_and_or_b32 v5, v3, s20, v4
.LBB216_942:
	s_or_b64 exec, exec, s[22:23]
.LBB216_943:
	s_or_b64 exec, exec, s[18:19]
	global_store_byte v[0:1], v5, off
.LBB216_944:
	s_mov_b64 s[20:21], 0
.LBB216_945:
	s_mov_b64 s[18:19], 0
	s_and_b64 vcc, exec, s[20:21]
	s_cbranch_vccz .LBB216_985
; %bb.946:
	s_cmp_gt_i32 s27, 22
	s_mov_b64 s[20:21], -1
	s_cbranch_scc0 .LBB216_978
; %bb.947:
	s_cmp_lt_i32 s27, 24
	s_cbranch_scc1 .LBB216_967
; %bb.948:
	s_cmp_gt_i32 s27, 24
	s_cbranch_scc0 .LBB216_956
; %bb.949:
	v_cvt_f32_f16_e32 v3, v2
	s_mov_b32 s20, 0x47800000
	v_mov_b32_e32 v5, 0x80
	v_and_b32_e32 v4, 0x7fffffff, v3
	v_cmp_gt_u32_e32 vcc, s20, v4
	s_and_saveexec_b64 s[20:21], vcc
	s_cbranch_execz .LBB216_955
; %bb.950:
	s_mov_b32 s22, 0x37ffffff
	v_cmp_lt_u32_e32 vcc, s22, v4
	s_mov_b64 s[22:23], 0
                                        ; implicit-def: $vgpr4
	s_and_saveexec_b64 s[24:25], vcc
	s_xor_b64 s[24:25], exec, s[24:25]
	s_cbranch_execz .LBB216_1166
; %bb.951:
	v_bfe_u32 v4, v3, 21, 1
	s_mov_b32 s28, 0x88fffff
	v_add3_u32 v4, v3, v4, s28
	s_mov_b64 s[22:23], exec
	v_lshrrev_b32_e32 v4, 21, v4
	s_andn2_saveexec_b64 s[24:25], s[24:25]
	s_cbranch_execnz .LBB216_1167
.LBB216_952:
	s_or_b64 exec, exec, s[24:25]
	v_mov_b32_e32 v5, 0
	s_and_saveexec_b64 s[24:25], s[22:23]
.LBB216_953:
	v_lshrrev_b32_e32 v3, 24, v3
	s_movk_i32 s22, 0x80
	v_and_or_b32 v5, v3, s22, v4
.LBB216_954:
	s_or_b64 exec, exec, s[24:25]
.LBB216_955:
	s_or_b64 exec, exec, s[20:21]
	s_mov_b64 s[20:21], 0
	global_store_byte v[0:1], v5, off
.LBB216_956:
	s_and_b64 vcc, exec, s[20:21]
	s_cbranch_vccz .LBB216_966
; %bb.957:
	v_cvt_f32_f16_e32 v3, v2
	s_mov_b32 s20, 0x43f00000
                                        ; implicit-def: $vgpr4
	v_and_b32_e32 v5, 0x7fffffff, v3
	v_cmp_gt_u32_e32 vcc, s20, v5
	s_and_saveexec_b64 s[20:21], vcc
	s_xor_b64 s[20:21], exec, s[20:21]
	s_cbranch_execz .LBB216_963
; %bb.958:
	s_mov_b32 s22, 0x3c7fffff
	v_cmp_lt_u32_e32 vcc, s22, v5
                                        ; implicit-def: $vgpr4
	s_and_saveexec_b64 s[22:23], vcc
	s_xor_b64 s[22:23], exec, s[22:23]
; %bb.959:
	v_bfe_u32 v4, v3, 20, 1
	s_mov_b32 s24, 0x407ffff
	v_add3_u32 v4, v3, v4, s24
	v_lshrrev_b32_e32 v5, 20, v4
	v_and_b32_e32 v4, 0xff00000, v4
	s_mov_b32 s24, 0x7f00000
	v_mov_b32_e32 v6, 0x7e
	v_cmp_ne_u32_e32 vcc, s24, v4
	s_nop 1
	v_cndmask_b32_e32 v4, v6, v5, vcc
; %bb.960:
	s_andn2_saveexec_b64 s[22:23], s[22:23]
; %bb.961:
	s_mov_b32 s24, 0x46800000
	v_add_f32_e64 v4, |v3|, s24
; %bb.962:
	s_or_b64 exec, exec, s[22:23]
                                        ; implicit-def: $vgpr5
.LBB216_963:
	s_andn2_saveexec_b64 s[20:21], s[20:21]
; %bb.964:
	s_mov_b32 s22, 0x7f800000
	v_mov_b32_e32 v4, 0x7e
	v_mov_b32_e32 v6, 0x7f
	v_cmp_lt_u32_e32 vcc, s22, v5
	s_nop 1
	v_cndmask_b32_e32 v4, v4, v6, vcc
; %bb.965:
	s_or_b64 exec, exec, s[20:21]
	v_lshrrev_b32_e32 v3, 24, v3
	s_movk_i32 s20, 0x80
	v_and_or_b32 v3, v3, s20, v4
	global_store_byte v[0:1], v3, off
.LBB216_966:
	s_mov_b64 s[20:21], 0
.LBB216_967:
	s_andn2_b64 vcc, exec, s[20:21]
	s_cbranch_vccnz .LBB216_977
; %bb.968:
	v_cvt_f32_f16_e32 v3, v2
	s_mov_b32 s20, 0x47800000
                                        ; implicit-def: $vgpr4
	v_and_b32_e32 v5, 0x7fffffff, v3
	v_cmp_gt_u32_e32 vcc, s20, v5
	s_and_saveexec_b64 s[20:21], vcc
	s_xor_b64 s[20:21], exec, s[20:21]
	s_cbranch_execz .LBB216_974
; %bb.969:
	s_mov_b32 s22, 0x387fffff
	v_cmp_lt_u32_e32 vcc, s22, v5
                                        ; implicit-def: $vgpr4
	s_and_saveexec_b64 s[22:23], vcc
	s_xor_b64 s[22:23], exec, s[22:23]
; %bb.970:
	v_bfe_u32 v4, v3, 21, 1
	s_mov_b32 s24, 0x80fffff
	v_add3_u32 v4, v3, v4, s24
	v_lshrrev_b32_e32 v4, 21, v4
; %bb.971:
	s_andn2_saveexec_b64 s[22:23], s[22:23]
; %bb.972:
	s_mov_b32 s24, 0x43000000
	v_add_f32_e64 v4, |v3|, s24
; %bb.973:
	s_or_b64 exec, exec, s[22:23]
                                        ; implicit-def: $vgpr5
.LBB216_974:
	s_andn2_saveexec_b64 s[20:21], s[20:21]
; %bb.975:
	s_mov_b32 s22, 0x7f800000
	v_mov_b32_e32 v4, 0x7c
	v_mov_b32_e32 v6, 0x7f
	v_cmp_lt_u32_e32 vcc, s22, v5
	s_nop 1
	v_cndmask_b32_e32 v4, v4, v6, vcc
; %bb.976:
	s_or_b64 exec, exec, s[20:21]
	v_lshrrev_b32_e32 v3, 24, v3
	s_movk_i32 s20, 0x80
	v_and_or_b32 v3, v3, s20, v4
	global_store_byte v[0:1], v3, off
.LBB216_977:
	s_mov_b64 s[20:21], 0
.LBB216_978:
	s_andn2_b64 vcc, exec, s[20:21]
	s_mov_b64 s[20:21], 0
	s_cbranch_vccnz .LBB216_986
; %bb.979:
	s_cmp_gt_i32 s27, 14
	s_mov_b64 s[22:23], -1
	s_cbranch_scc0 .LBB216_983
; %bb.980:
	s_cmp_eq_u32 s27, 15
	s_mov_b64 s[0:1], -1
	s_cbranch_scc0 .LBB216_982
; %bb.981:
	v_cvt_f32_f16_e32 v3, v2
	s_movk_i32 s0, 0x7fff
	v_cmp_o_f16_e32 vcc, v2, v2
	v_mov_b32_e32 v4, 0x7fc0
	v_bfe_u32 v5, v3, 16, 1
	v_add3_u32 v3, v3, v5, s0
	v_cndmask_b32_sdwa v3, v4, v3, vcc dst_sel:DWORD dst_unused:UNUSED_PAD src0_sel:DWORD src1_sel:WORD_1
	global_store_short v[0:1], v3, off
	s_mov_b64 s[0:1], 0
.LBB216_982:
	s_mov_b64 s[22:23], 0
.LBB216_983:
	s_and_b64 vcc, exec, s[22:23]
	s_cbranch_vccz .LBB216_986
; %bb.984:
	s_cmp_lg_u32 s27, 11
	s_cselect_b64 s[22:23], -1, 0
	s_andn2_b64 s[0:1], s[0:1], exec
	s_and_b64 s[22:23], s[22:23], exec
	s_mov_b64 s[20:21], -1
	s_or_b64 s[0:1], s[0:1], s[22:23]
	s_branch .LBB216_986
.LBB216_985:
	s_mov_b64 s[20:21], 0
.LBB216_986:
	s_andn2_b64 s[12:13], s[12:13], exec
	s_and_b64 s[0:1], s[0:1], exec
	s_and_b64 s[18:19], s[18:19], exec
	;; [unrolled: 1-line block ×3, first 2 shown]
	s_or_b64 s[12:13], s[12:13], s[0:1]
	s_or_b64 exec, exec, s[14:15]
	s_and_saveexec_b64 s[0:1], s[12:13]
	s_cbranch_execz .LBB216_925
.LBB216_987:
	s_or_b64 s[16:17], s[16:17], exec
	s_andn2_b64 s[20:21], s[20:21], exec
	s_trap 2
	s_or_b64 exec, exec, s[0:1]
	s_and_saveexec_b64 s[0:1], s[20:21]
	s_xor_b64 s[0:1], exec, s[0:1]
	s_cbranch_execnz .LBB216_926
.LBB216_988:
	s_or_b64 exec, exec, s[0:1]
	s_and_saveexec_b64 s[0:1], s[18:19]
	s_xor_b64 s[0:1], exec, s[0:1]
	s_cbranch_execz .LBB216_1026
.LBB216_989:
	s_sext_i32_i16 s14, s26
	s_cmp_lt_i32 s14, 5
	s_mov_b64 s[12:13], -1
	s_cbranch_scc1 .LBB216_1010
; %bb.990:
	s_cmp_lt_i32 s14, 8
	s_cbranch_scc1 .LBB216_1000
; %bb.991:
	s_cmp_lt_i32 s14, 9
	s_cbranch_scc1 .LBB216_997
; %bb.992:
	s_cmp_gt_i32 s14, 9
	s_cbranch_scc0 .LBB216_994
; %bb.993:
	s_waitcnt vmcnt(0)
	v_cvt_f32_f16_e32 v3, v2
	v_mov_b32_e32 v6, 0
	v_mov_b32_e32 v7, v6
	s_mov_b64 s[12:13], 0
	v_cvt_f64_f32_e32 v[4:5], v3
	global_store_dwordx4 v[0:1], v[4:7], off
.LBB216_994:
	s_andn2_b64 vcc, exec, s[12:13]
	s_cbranch_vccnz .LBB216_996
; %bb.995:
	s_waitcnt vmcnt(0)
	v_cvt_f32_f16_e32 v4, v2
	v_mov_b32_e32 v5, 0
	global_store_dwordx2 v[0:1], v[4:5], off
.LBB216_996:
	s_mov_b64 s[12:13], 0
.LBB216_997:
	s_andn2_b64 vcc, exec, s[12:13]
	s_cbranch_vccnz .LBB216_999
; %bb.998:
	s_waitcnt vmcnt(0)
	v_and_b32_e32 v3, 0xffff, v2
	global_store_dword v[0:1], v3, off
.LBB216_999:
	s_mov_b64 s[12:13], 0
.LBB216_1000:
	s_andn2_b64 vcc, exec, s[12:13]
	s_cbranch_vccnz .LBB216_1009
; %bb.1001:
	s_sext_i32_i16 s14, s26
	s_cmp_lt_i32 s14, 6
	s_mov_b64 s[12:13], -1
	s_cbranch_scc1 .LBB216_1007
; %bb.1002:
	s_cmp_gt_i32 s14, 6
	s_cbranch_scc0 .LBB216_1004
; %bb.1003:
	s_waitcnt vmcnt(0)
	v_cvt_f32_f16_e32 v3, v2
	s_mov_b64 s[12:13], 0
	v_cvt_f64_f32_e32 v[4:5], v3
	global_store_dwordx2 v[0:1], v[4:5], off
.LBB216_1004:
	s_andn2_b64 vcc, exec, s[12:13]
	s_cbranch_vccnz .LBB216_1006
; %bb.1005:
	s_waitcnt vmcnt(0)
	v_cvt_f32_f16_e32 v3, v2
	global_store_dword v[0:1], v3, off
.LBB216_1006:
	s_mov_b64 s[12:13], 0
.LBB216_1007:
	s_andn2_b64 vcc, exec, s[12:13]
	s_cbranch_vccnz .LBB216_1009
; %bb.1008:
	s_waitcnt vmcnt(0)
	global_store_short v[0:1], v2, off
.LBB216_1009:
	s_mov_b64 s[12:13], 0
.LBB216_1010:
	s_andn2_b64 vcc, exec, s[12:13]
	s_cbranch_vccnz .LBB216_1026
; %bb.1011:
	s_sext_i32_i16 s14, s26
	s_cmp_lt_i32 s14, 2
	s_mov_b64 s[12:13], -1
	s_cbranch_scc1 .LBB216_1021
; %bb.1012:
	s_cmp_lt_i32 s14, 3
	s_cbranch_scc1 .LBB216_1018
; %bb.1013:
	s_cmp_gt_i32 s14, 3
	s_cbranch_scc0 .LBB216_1015
; %bb.1014:
	s_waitcnt vmcnt(0)
	v_cvt_f32_f16_e32 v3, v2
	s_mov_b64 s[12:13], 0
	v_cvt_i32_f32_e32 v4, v3
	v_ashrrev_i32_e32 v5, 31, v4
	global_store_dwordx2 v[0:1], v[4:5], off
.LBB216_1015:
	s_andn2_b64 vcc, exec, s[12:13]
	s_cbranch_vccnz .LBB216_1017
; %bb.1016:
	s_waitcnt vmcnt(0)
	v_cvt_f32_f16_e32 v3, v2
	v_cvt_i32_f32_e32 v3, v3
	global_store_dword v[0:1], v3, off
.LBB216_1017:
	s_mov_b64 s[12:13], 0
.LBB216_1018:
	s_andn2_b64 vcc, exec, s[12:13]
	s_cbranch_vccnz .LBB216_1020
; %bb.1019:
	s_waitcnt vmcnt(0)
	v_cvt_i16_f16_e32 v3, v2
	global_store_short v[0:1], v3, off
.LBB216_1020:
	s_mov_b64 s[12:13], 0
.LBB216_1021:
	s_andn2_b64 vcc, exec, s[12:13]
	s_cbranch_vccnz .LBB216_1026
; %bb.1022:
	s_sext_i32_i16 s12, s26
	s_cmp_gt_i32 s12, 0
	s_mov_b64 s[12:13], -1
	s_cbranch_scc0 .LBB216_1024
; %bb.1023:
	s_waitcnt vmcnt(0)
	v_cvt_i16_f16_e32 v3, v2
	s_mov_b64 s[12:13], 0
	global_store_byte v[0:1], v3, off
.LBB216_1024:
	s_andn2_b64 vcc, exec, s[12:13]
	s_cbranch_vccnz .LBB216_1026
; %bb.1025:
	s_waitcnt vmcnt(0)
	v_cvt_f32_f16_e32 v2, v2
	v_cvt_i32_f32_e32 v2, v2
	global_store_byte v[0:1], v2, off
.LBB216_1026:
	s_or_b64 exec, exec, s[0:1]
	s_and_b64 s[12:13], s[16:17], exec
                                        ; implicit-def: $vgpr4
.LBB216_1027:
	s_or_saveexec_b64 s[2:3], s[2:3]
	s_mov_b64 s[0:1], 0
                                        ; implicit-def: $sgpr20
                                        ; implicit-def: $vgpr0_vgpr1
                                        ; implicit-def: $vgpr2
	s_xor_b64 exec, exec, s[2:3]
	s_cbranch_execz .LBB216_1975
; %bb.1028:
	v_mul_lo_u32 v0, s9, v4
	v_ashrrev_i32_e32 v1, 31, v0
	s_and_b32 s22, 0xffff, s42
	s_cmp_lt_i32 s22, 11
	s_waitcnt vmcnt(0)
	v_lshl_add_u64 v[2:3], s[6:7], 0, v[0:1]
	s_cbranch_scc1 .LBB216_1035
; %bb.1029:
	s_cmp_gt_i32 s22, 25
	s_cbranch_scc0 .LBB216_1037
; %bb.1030:
	s_cmp_gt_i32 s22, 28
	s_cbranch_scc0 .LBB216_1038
	;; [unrolled: 3-line block ×4, first 2 shown]
; %bb.1033:
	s_cmp_eq_u32 s22, 46
	s_mov_b64 s[14:15], 0
	s_cbranch_scc0 .LBB216_1043
; %bb.1034:
	global_load_dword v1, v[2:3], off
	s_mov_b64 s[16:17], -1
	s_waitcnt vmcnt(0)
	v_lshlrev_b32_e32 v1, 16, v1
	v_cvt_f16_f32_e32 v5, v1
	s_branch .LBB216_1044
.LBB216_1035:
	s_mov_b64 s[16:17], 0
                                        ; implicit-def: $vgpr5
	s_mov_b64 s[14:15], s[12:13]
	s_cbranch_execnz .LBB216_1107
.LBB216_1036:
	s_andn2_b64 vcc, exec, s[16:17]
	s_cbranch_vccz .LBB216_1152
	s_branch .LBB216_1973
.LBB216_1037:
	s_mov_b64 s[16:17], 0
                                        ; implicit-def: $vgpr5
	s_cbranch_execnz .LBB216_1072
	s_branch .LBB216_1103
.LBB216_1038:
	s_mov_b64 s[14:15], -1
	s_mov_b64 s[16:17], 0
                                        ; implicit-def: $vgpr5
	s_branch .LBB216_1053
.LBB216_1039:
	s_mov_b64 s[16:17], 0
                                        ; implicit-def: $vgpr5
	s_cbranch_execnz .LBB216_1049
	s_branch .LBB216_1052
.LBB216_1040:
	s_mov_b64 s[14:15], -1
	s_mov_b64 s[16:17], 0
                                        ; implicit-def: $vgpr5
	s_branch .LBB216_1044
.LBB216_1041:
	s_andn2_saveexec_b64 s[22:23], s[22:23]
	s_cbranch_execz .LBB216_940
.LBB216_1042:
	s_mov_b32 s24, 0x46000000
	v_add_f32_e64 v4, |v3|, s24
	v_and_b32_e32 v4, 0xff, v4
	v_cmp_ne_u32_e32 vcc, 0, v4
	s_andn2_b64 s[20:21], s[20:21], exec
	s_and_b64 s[24:25], vcc, exec
	s_or_b64 s[20:21], s[20:21], s[24:25]
	s_or_b64 exec, exec, s[22:23]
	v_mov_b32_e32 v5, 0
	s_and_saveexec_b64 s[22:23], s[20:21]
	s_cbranch_execnz .LBB216_941
	s_branch .LBB216_942
.LBB216_1043:
	s_mov_b64 s[0:1], -1
                                        ; implicit-def: $vgpr5
	s_mov_b64 s[16:17], 0
.LBB216_1044:
	s_and_b64 vcc, exec, s[14:15]
	s_cbranch_vccz .LBB216_1047
; %bb.1045:
	s_cmp_eq_u32 s22, 44
	s_cbranch_scc0 .LBB216_1048
; %bb.1046:
	global_load_ubyte v1, v[2:3], off
	s_movk_i32 s14, 0xff
	v_mov_b32_e32 v6, 0x7e00
	s_mov_b64 s[0:1], 0
	s_mov_b64 s[16:17], -1
	s_waitcnt vmcnt(0)
	v_lshlrev_b32_e32 v5, 23, v1
	v_cvt_f16_f32_e32 v5, v5
	v_cmp_ne_u32_e32 vcc, s14, v1
	s_nop 1
	v_cndmask_b32_e32 v5, v6, v5, vcc
	v_cmp_ne_u32_e32 vcc, 0, v1
	s_nop 1
	v_cndmask_b32_e32 v5, 0, v5, vcc
.LBB216_1047:
	s_branch .LBB216_1052
.LBB216_1048:
	s_mov_b64 s[0:1], -1
                                        ; implicit-def: $vgpr5
	s_branch .LBB216_1052
.LBB216_1049:
	s_cmp_eq_u32 s22, 29
	s_cbranch_scc0 .LBB216_1051
; %bb.1050:
	global_load_dwordx2 v[6:7], v[2:3], off
	s_mov_b64 s[0:1], 0
	s_mov_b64 s[16:17], -1
	s_mov_b64 s[14:15], 0
	s_waitcnt vmcnt(0)
	v_ffbh_u32_e32 v1, v7
	v_min_u32_e32 v1, 32, v1
	v_lshlrev_b64 v[6:7], v1, v[6:7]
	v_min_u32_e32 v5, 1, v6
	v_or_b32_e32 v5, v7, v5
	v_cvt_f32_u32_e32 v5, v5
	v_sub_u32_e32 v1, 32, v1
	v_ldexp_f32 v1, v5, v1
	v_cvt_f16_f32_e32 v5, v1
	s_branch .LBB216_1053
.LBB216_1051:
	s_mov_b64 s[0:1], -1
                                        ; implicit-def: $vgpr5
.LBB216_1052:
	s_mov_b64 s[14:15], 0
.LBB216_1053:
	s_and_b64 vcc, exec, s[14:15]
	s_cbranch_vccz .LBB216_1071
; %bb.1054:
	s_cmp_lt_i32 s22, 27
	s_cbranch_scc1 .LBB216_1057
; %bb.1055:
	s_cmp_gt_i32 s22, 27
	s_cbranch_scc0 .LBB216_1058
; %bb.1056:
	global_load_dword v1, v[2:3], off
	s_mov_b64 s[14:15], 0
	s_waitcnt vmcnt(0)
	v_cvt_f32_u32_e32 v1, v1
	v_cvt_f16_f32_e32 v5, v1
	s_branch .LBB216_1059
.LBB216_1057:
	s_mov_b64 s[14:15], -1
                                        ; implicit-def: $vgpr5
	s_branch .LBB216_1062
.LBB216_1058:
	s_mov_b64 s[14:15], -1
                                        ; implicit-def: $vgpr5
.LBB216_1059:
	s_andn2_b64 vcc, exec, s[14:15]
	s_cbranch_vccnz .LBB216_1061
; %bb.1060:
	global_load_ushort v1, v[2:3], off
	s_waitcnt vmcnt(0)
	v_cvt_f16_u16_e32 v5, v1
.LBB216_1061:
	s_mov_b64 s[14:15], 0
.LBB216_1062:
	s_andn2_b64 vcc, exec, s[14:15]
	s_cbranch_vccnz .LBB216_1070
; %bb.1063:
	global_load_ubyte v1, v[2:3], off
	s_movk_i32 s14, 0x7f
	s_waitcnt vmcnt(0)
	v_cmp_lt_i16_e32 vcc, s14, v1
	s_mov_b64 s[14:15], 0
	s_and_saveexec_b64 s[16:17], vcc
	s_xor_b64 s[16:17], exec, s[16:17]
	s_cbranch_execz .LBB216_1083
; %bb.1064:
	s_movk_i32 s14, 0x80
	v_cmp_eq_u16_e32 vcc, s14, v1
	s_mov_b64 s[14:15], -1
	s_and_saveexec_b64 s[18:19], vcc
; %bb.1065:
	s_xor_b64 s[14:15], exec, -1
; %bb.1066:
	s_or_b64 exec, exec, s[18:19]
	s_and_b64 s[14:15], s[14:15], exec
	s_or_saveexec_b64 s[16:17], s[16:17]
	v_mov_b32_e32 v5, 0x7e00
	s_xor_b64 exec, exec, s[16:17]
	s_cbranch_execnz .LBB216_1084
.LBB216_1067:
	s_or_b64 exec, exec, s[16:17]
	s_and_saveexec_b64 s[16:17], s[14:15]
	s_cbranch_execz .LBB216_1069
.LBB216_1068:
	v_lshlrev_b32_e32 v5, 24, v1
	v_and_b32_e32 v1, 0xffff, v1
	v_and_b32_e32 v6, 7, v1
	v_ffbh_u32_e32 v8, v6
	v_min_u32_e32 v8, 32, v8
	v_subrev_u32_e32 v9, 28, v8
	v_bfe_u32 v7, v1, 3, 4
	v_lshlrev_b32_e32 v1, v9, v1
	v_sub_u32_e32 v8, 29, v8
	v_and_b32_e32 v1, 7, v1
	v_cmp_eq_u32_e32 vcc, 0, v7
	v_and_b32_e32 v5, 0x80000000, v5
	s_nop 0
	v_cndmask_b32_e32 v7, v7, v8, vcc
	v_cndmask_b32_e32 v1, v6, v1, vcc
	v_mov_b32_e32 v6, 0x3b800000
	v_lshlrev_b32_e32 v1, 20, v1
	v_lshl_add_u32 v6, v7, 23, v6
	v_or3_b32 v1, v5, v6, v1
	v_cvt_f16_f32_e32 v5, v1
.LBB216_1069:
	s_or_b64 exec, exec, s[16:17]
.LBB216_1070:
	s_mov_b64 s[16:17], -1
.LBB216_1071:
	s_branch .LBB216_1103
.LBB216_1072:
	s_cmp_gt_i32 s22, 22
	s_cbranch_scc0 .LBB216_1082
; %bb.1073:
	s_cmp_lt_i32 s22, 24
	s_cbranch_scc1 .LBB216_1085
; %bb.1074:
	s_cmp_gt_i32 s22, 24
	s_cbranch_scc0 .LBB216_1086
; %bb.1075:
	global_load_ubyte v1, v[2:3], off
	s_movk_i32 s10, 0x7f
	s_waitcnt vmcnt(0)
	v_cmp_lt_i16_e32 vcc, s10, v1
	s_mov_b64 s[10:11], 0
	s_and_saveexec_b64 s[14:15], vcc
	s_xor_b64 s[14:15], exec, s[14:15]
	s_cbranch_execz .LBB216_1097
; %bb.1076:
	s_movk_i32 s10, 0x80
	v_cmp_eq_u16_e32 vcc, s10, v1
	s_mov_b64 s[10:11], -1
	s_and_saveexec_b64 s[16:17], vcc
; %bb.1077:
	s_xor_b64 s[10:11], exec, -1
; %bb.1078:
	s_or_b64 exec, exec, s[16:17]
	s_and_b64 s[10:11], s[10:11], exec
	s_or_saveexec_b64 s[14:15], s[14:15]
	v_mov_b32_e32 v5, 0x7e00
	s_xor_b64 exec, exec, s[14:15]
	s_cbranch_execnz .LBB216_1098
.LBB216_1079:
	s_or_b64 exec, exec, s[14:15]
	s_and_saveexec_b64 s[14:15], s[10:11]
	s_cbranch_execz .LBB216_1081
.LBB216_1080:
	v_lshlrev_b32_e32 v5, 24, v1
	v_and_b32_e32 v1, 0xffff, v1
	v_and_b32_e32 v6, 3, v1
	v_ffbh_u32_e32 v8, v6
	v_min_u32_e32 v8, 32, v8
	v_subrev_u32_e32 v9, 29, v8
	v_bfe_u32 v7, v1, 2, 5
	v_lshlrev_b32_e32 v1, v9, v1
	v_sub_u32_e32 v8, 30, v8
	v_and_b32_e32 v1, 3, v1
	v_cmp_eq_u32_e32 vcc, 0, v7
	v_and_b32_e32 v5, 0x80000000, v5
	s_nop 0
	v_cndmask_b32_e32 v7, v7, v8, vcc
	v_cndmask_b32_e32 v1, v6, v1, vcc
	v_mov_b32_e32 v6, 0x37800000
	v_lshlrev_b32_e32 v1, 21, v1
	v_lshl_add_u32 v6, v7, 23, v6
	v_or3_b32 v1, v5, v6, v1
	v_cvt_f16_f32_e32 v5, v1
.LBB216_1081:
	s_or_b64 exec, exec, s[14:15]
	s_mov_b64 s[10:11], 0
	s_branch .LBB216_1087
.LBB216_1082:
                                        ; implicit-def: $vgpr5
	s_mov_b64 s[10:11], 0
	s_branch .LBB216_1093
.LBB216_1083:
	s_or_saveexec_b64 s[16:17], s[16:17]
	v_mov_b32_e32 v5, 0x7e00
	s_xor_b64 exec, exec, s[16:17]
	s_cbranch_execz .LBB216_1067
.LBB216_1084:
	v_cmp_ne_u16_e32 vcc, 0, v1
	s_andn2_b64 s[14:15], s[14:15], exec
	s_and_b64 s[18:19], vcc, exec
	s_or_b64 s[14:15], s[14:15], s[18:19]
	v_mov_b32_e32 v5, v1
	s_or_b64 exec, exec, s[16:17]
	s_and_saveexec_b64 s[16:17], s[14:15]
	s_cbranch_execnz .LBB216_1068
	s_branch .LBB216_1069
.LBB216_1085:
	s_mov_b64 s[10:11], -1
                                        ; implicit-def: $vgpr5
	s_branch .LBB216_1090
.LBB216_1086:
	s_mov_b64 s[10:11], -1
                                        ; implicit-def: $vgpr5
.LBB216_1087:
	s_and_b64 vcc, exec, s[10:11]
	s_cbranch_vccz .LBB216_1089
; %bb.1088:
	global_load_ubyte v1, v[2:3], off
	s_mov_b32 s10, 0x7f800000
	s_waitcnt vmcnt(0)
	v_lshlrev_b32_e32 v1, 24, v1
	v_and_b32_e32 v5, 0x7f000000, v1
	v_ffbh_u32_e32 v6, v5
	v_min_u32_e32 v6, 32, v6
	v_sub_u32_e64 v6, v6, 4 clamp
	v_lshlrev_b32_e32 v8, v6, v5
	v_lshlrev_b32_e32 v6, 23, v6
	v_lshrrev_b32_e32 v8, 4, v8
	v_add_u32_e32 v7, 0x1000000, v5
	v_sub_u32_e32 v6, v8, v6
	v_ashrrev_i32_e32 v7, 8, v7
	v_add_u32_e32 v6, 0x3c000000, v6
	v_and_or_b32 v6, v7, s10, v6
	v_cmp_ne_u32_e32 vcc, 0, v5
	s_brev_b32 s10, 1
	s_nop 0
	v_cndmask_b32_e32 v5, 0, v6, vcc
	v_and_or_b32 v1, v1, s10, v5
	v_cvt_f16_f32_e32 v5, v1
.LBB216_1089:
	s_mov_b64 s[10:11], 0
.LBB216_1090:
	s_andn2_b64 vcc, exec, s[10:11]
	s_cbranch_vccnz .LBB216_1092
; %bb.1091:
	global_load_ubyte v1, v[2:3], off
	s_movk_i32 s10, 0x7f00
	s_brev_b32 s11, 16
	s_waitcnt vmcnt(0)
	v_lshlrev_b16_e32 v5, 8, v1
	v_lshlrev_b32_e32 v1, 25, v1
	v_lshrrev_b32_e32 v6, 4, v1
	v_and_or_b32 v7, v5, s10, 0.5
	v_or_b32_e32 v6, 0x70000000, v6
	v_add_f32_e32 v7, -0.5, v7
	v_mul_f32_e32 v6, 0x7800000, v6
	v_cmp_gt_u32_e32 vcc, s11, v1
	v_bfe_i32 v5, v5, 0, 16
	s_brev_b32 s10, 1
	v_cndmask_b32_e32 v1, v6, v7, vcc
	v_and_or_b32 v1, v5, s10, v1
	v_cvt_f16_f32_e32 v5, v1
.LBB216_1092:
	s_mov_b64 s[16:17], -1
	s_mov_b64 s[10:11], 0
	s_cbranch_execnz .LBB216_1103
.LBB216_1093:
	s_cmp_gt_i32 s22, 14
	s_cbranch_scc0 .LBB216_1096
; %bb.1094:
	s_cmp_eq_u32 s22, 15
	s_cbranch_scc0 .LBB216_1099
; %bb.1095:
	global_load_ushort v1, v[2:3], off
	s_mov_b64 s[0:1], 0
	s_mov_b64 s[16:17], -1
	s_waitcnt vmcnt(0)
	v_lshlrev_b32_e32 v1, 16, v1
	v_cvt_f16_f32_e32 v5, v1
	s_branch .LBB216_1100
.LBB216_1096:
	s_mov_b64 s[14:15], -1
                                        ; implicit-def: $vgpr5
	s_branch .LBB216_1101
.LBB216_1097:
	s_or_saveexec_b64 s[14:15], s[14:15]
	v_mov_b32_e32 v5, 0x7e00
	s_xor_b64 exec, exec, s[14:15]
	s_cbranch_execz .LBB216_1079
.LBB216_1098:
	v_cmp_ne_u16_e32 vcc, 0, v1
	s_andn2_b64 s[10:11], s[10:11], exec
	s_and_b64 s[16:17], vcc, exec
	s_or_b64 s[10:11], s[10:11], s[16:17]
	v_mov_b32_e32 v5, v1
	s_or_b64 exec, exec, s[14:15]
	s_and_saveexec_b64 s[14:15], s[10:11]
	s_cbranch_execnz .LBB216_1080
	s_branch .LBB216_1081
.LBB216_1099:
	s_mov_b64 s[0:1], -1
                                        ; implicit-def: $vgpr5
.LBB216_1100:
	s_mov_b64 s[14:15], 0
.LBB216_1101:
	s_and_b64 vcc, exec, s[14:15]
	s_cbranch_vccz .LBB216_1103
; %bb.1102:
	s_cmp_lg_u32 s22, 11
	s_mov_b64 s[10:11], -1
	s_cselect_b64 s[0:1], -1, 0
.LBB216_1103:
	s_and_b64 vcc, exec, s[0:1]
	s_mov_b64 s[14:15], s[12:13]
	s_cbranch_vccnz .LBB216_1164
; %bb.1104:
	s_andn2_b64 vcc, exec, s[10:11]
	s_cbranch_vccnz .LBB216_1106
.LBB216_1105:
	global_load_ubyte v1, v[2:3], off
	v_mov_b32_e32 v5, 0x3c00
	s_mov_b64 s[16:17], -1
	s_waitcnt vmcnt(0)
	v_cmp_ne_u16_e32 vcc, 0, v1
	s_nop 1
	v_cndmask_b32_e32 v5, 0, v5, vcc
.LBB216_1106:
	s_branch .LBB216_1036
.LBB216_1107:
	s_cmp_lt_i32 s22, 5
	s_cbranch_scc1 .LBB216_1112
; %bb.1108:
	s_cmp_lt_i32 s22, 8
	s_cbranch_scc1 .LBB216_1113
; %bb.1109:
	;; [unrolled: 3-line block ×3, first 2 shown]
	s_cmp_gt_i32 s22, 9
	s_cbranch_scc0 .LBB216_1115
; %bb.1111:
	global_load_dwordx2 v[6:7], v[2:3], off
	s_movk_i32 s0, 0x1ff
	s_movk_i32 s1, 0xffe
	v_mov_b32_e32 v1, 0x7c00
	v_mov_b32_e32 v5, 0x7e00
	s_movk_i32 s10, 0x40f
	s_mov_b32 s11, 0x8000
	s_waitcnt vmcnt(0)
	v_and_or_b32 v6, v7, s0, v6
	v_cmp_ne_u32_e32 vcc, 0, v6
	v_lshrrev_b32_e32 v8, 8, v7
	v_bfe_u32 v9, v7, 20, 11
	v_cndmask_b32_e64 v6, 0, 1, vcc
	v_sub_u32_e32 v10, 0x3f1, v9
	v_and_or_b32 v6, v8, s1, v6
	v_add_u32_e32 v9, 0xfffffc10, v9
	v_med3_i32 v8, v10, 0, 13
	v_or_b32_e32 v10, 0x1000, v6
	v_lshl_or_b32 v11, v9, 12, v6
	v_cmp_ne_u32_e32 vcc, 0, v6
	v_lshrrev_b32_e32 v6, v8, v10
	v_lshlrev_b32_e32 v8, v8, v6
	v_cndmask_b32_e32 v5, v1, v5, vcc
	v_cmp_ne_u32_e32 vcc, v8, v10
	v_lshrrev_b32_e32 v7, 16, v7
	s_mov_b64 s[0:1], 0
	v_cndmask_b32_e64 v8, 0, 1, vcc
	v_or_b32_e32 v6, v6, v8
	v_cmp_gt_i32_e32 vcc, 1, v9
	s_nop 1
	v_cndmask_b32_e32 v6, v11, v6, vcc
	v_and_b32_e32 v8, 7, v6
	v_cmp_lt_i32_e32 vcc, 5, v8
	v_lshrrev_b32_e32 v6, 2, v6
	s_nop 0
	v_cndmask_b32_e64 v10, 0, 1, vcc
	v_cmp_eq_u32_e32 vcc, 3, v8
	s_nop 1
	v_cndmask_b32_e64 v8, 0, 1, vcc
	v_or_b32_e32 v8, v8, v10
	v_add_u32_e32 v6, v6, v8
	v_cmp_gt_i32_e32 vcc, 31, v9
	s_nop 1
	v_cndmask_b32_e32 v1, v1, v6, vcc
	v_cmp_eq_u32_e32 vcc, s10, v9
	s_nop 1
	v_cndmask_b32_e32 v1, v1, v5, vcc
	v_and_or_b32 v5, v7, s11, v1
	s_branch .LBB216_1116
.LBB216_1112:
                                        ; implicit-def: $vgpr5
	s_branch .LBB216_1133
.LBB216_1113:
                                        ; implicit-def: $vgpr5
	s_branch .LBB216_1122
.LBB216_1114:
	s_mov_b64 s[0:1], -1
                                        ; implicit-def: $vgpr5
	s_branch .LBB216_1119
.LBB216_1115:
	s_mov_b64 s[0:1], -1
                                        ; implicit-def: $vgpr5
.LBB216_1116:
	s_andn2_b64 vcc, exec, s[0:1]
	s_cbranch_vccnz .LBB216_1118
; %bb.1117:
	global_load_dword v1, v[2:3], off
	s_waitcnt vmcnt(0)
	v_cvt_f16_f32_e32 v5, v1
.LBB216_1118:
	s_mov_b64 s[0:1], 0
.LBB216_1119:
	s_andn2_b64 vcc, exec, s[0:1]
	s_cbranch_vccnz .LBB216_1121
; %bb.1120:
	global_load_dword v5, v[2:3], off
.LBB216_1121:
	s_cbranch_execnz .LBB216_1132
.LBB216_1122:
	s_cmp_lt_i32 s22, 6
	s_cbranch_scc1 .LBB216_1125
; %bb.1123:
	s_cmp_gt_i32 s22, 6
	s_cbranch_scc0 .LBB216_1126
; %bb.1124:
	global_load_dwordx2 v[6:7], v[2:3], off
	s_movk_i32 s0, 0x1ff
	s_movk_i32 s1, 0xffe
	v_mov_b32_e32 v1, 0x7c00
	s_waitcnt vmcnt(1)
	v_mov_b32_e32 v5, 0x7e00
	s_movk_i32 s10, 0x40f
	s_mov_b32 s11, 0x8000
	s_waitcnt vmcnt(0)
	v_and_or_b32 v6, v7, s0, v6
	v_cmp_ne_u32_e32 vcc, 0, v6
	v_lshrrev_b32_e32 v8, 8, v7
	v_bfe_u32 v9, v7, 20, 11
	v_cndmask_b32_e64 v6, 0, 1, vcc
	v_sub_u32_e32 v10, 0x3f1, v9
	v_and_or_b32 v6, v8, s1, v6
	v_add_u32_e32 v9, 0xfffffc10, v9
	v_med3_i32 v8, v10, 0, 13
	v_or_b32_e32 v10, 0x1000, v6
	v_lshl_or_b32 v11, v9, 12, v6
	v_cmp_ne_u32_e32 vcc, 0, v6
	v_lshrrev_b32_e32 v6, v8, v10
	v_lshlrev_b32_e32 v8, v8, v6
	v_cndmask_b32_e32 v5, v1, v5, vcc
	v_cmp_ne_u32_e32 vcc, v8, v10
	v_lshrrev_b32_e32 v7, 16, v7
	s_mov_b64 s[0:1], 0
	v_cndmask_b32_e64 v8, 0, 1, vcc
	v_or_b32_e32 v6, v6, v8
	v_cmp_gt_i32_e32 vcc, 1, v9
	s_nop 1
	v_cndmask_b32_e32 v6, v11, v6, vcc
	v_and_b32_e32 v8, 7, v6
	v_cmp_lt_i32_e32 vcc, 5, v8
	v_lshrrev_b32_e32 v6, 2, v6
	s_nop 0
	v_cndmask_b32_e64 v10, 0, 1, vcc
	v_cmp_eq_u32_e32 vcc, 3, v8
	s_nop 1
	v_cndmask_b32_e64 v8, 0, 1, vcc
	v_or_b32_e32 v8, v8, v10
	v_add_u32_e32 v6, v6, v8
	v_cmp_gt_i32_e32 vcc, 31, v9
	s_nop 1
	v_cndmask_b32_e32 v1, v1, v6, vcc
	v_cmp_eq_u32_e32 vcc, s10, v9
	s_nop 1
	v_cndmask_b32_e32 v1, v1, v5, vcc
	v_and_or_b32 v5, v7, s11, v1
	s_branch .LBB216_1127
.LBB216_1125:
	s_mov_b64 s[0:1], -1
                                        ; implicit-def: $vgpr5
	s_branch .LBB216_1130
.LBB216_1126:
	s_mov_b64 s[0:1], -1
                                        ; implicit-def: $vgpr5
.LBB216_1127:
	s_andn2_b64 vcc, exec, s[0:1]
	s_cbranch_vccnz .LBB216_1129
; %bb.1128:
	global_load_dword v1, v[2:3], off
	s_waitcnt vmcnt(0)
	v_cvt_f16_f32_e32 v5, v1
.LBB216_1129:
	s_mov_b64 s[0:1], 0
.LBB216_1130:
	s_andn2_b64 vcc, exec, s[0:1]
	s_cbranch_vccnz .LBB216_1132
; %bb.1131:
	global_load_ushort v5, v[2:3], off
.LBB216_1132:
	s_cbranch_execnz .LBB216_1151
.LBB216_1133:
	s_cmp_lt_i32 s22, 2
	s_cbranch_scc1 .LBB216_1137
; %bb.1134:
	s_cmp_lt_i32 s22, 3
	s_cbranch_scc1 .LBB216_1138
; %bb.1135:
	s_cmp_gt_i32 s22, 3
	s_cbranch_scc0 .LBB216_1139
; %bb.1136:
	global_load_dwordx2 v[6:7], v[2:3], off
	s_mov_b64 s[0:1], 0
	s_waitcnt vmcnt(0)
	v_xor_b32_e32 v5, v6, v7
	v_ffbh_i32_e32 v1, v7
	v_ashrrev_i32_e32 v5, 31, v5
	v_add_u32_e32 v1, -1, v1
	v_add_u32_e32 v5, 32, v5
	v_min_u32_e32 v1, v1, v5
	v_lshlrev_b64 v[6:7], v1, v[6:7]
	v_min_u32_e32 v5, 1, v6
	v_or_b32_e32 v5, v7, v5
	v_cvt_f32_i32_e32 v5, v5
	v_sub_u32_e32 v1, 32, v1
	v_ldexp_f32 v1, v5, v1
	v_cvt_f16_f32_e32 v5, v1
	s_branch .LBB216_1140
.LBB216_1137:
                                        ; implicit-def: $vgpr5
	s_branch .LBB216_1146
.LBB216_1138:
	s_mov_b64 s[0:1], -1
                                        ; implicit-def: $vgpr5
	s_branch .LBB216_1143
.LBB216_1139:
	s_mov_b64 s[0:1], -1
                                        ; implicit-def: $vgpr5
.LBB216_1140:
	s_andn2_b64 vcc, exec, s[0:1]
	s_cbranch_vccnz .LBB216_1142
; %bb.1141:
	global_load_dword v1, v[2:3], off
	s_waitcnt vmcnt(0)
	v_cvt_f32_i32_e32 v1, v1
	v_cvt_f16_f32_e32 v5, v1
.LBB216_1142:
	s_mov_b64 s[0:1], 0
.LBB216_1143:
	s_andn2_b64 vcc, exec, s[0:1]
	s_cbranch_vccnz .LBB216_1145
; %bb.1144:
	global_load_ushort v1, v[2:3], off
	s_waitcnt vmcnt(0)
	v_cvt_f16_i16_e32 v5, v1
.LBB216_1145:
	s_cbranch_execnz .LBB216_1151
.LBB216_1146:
	s_cmp_gt_i32 s22, 0
	s_cbranch_scc0 .LBB216_1148
; %bb.1147:
	global_load_sbyte v1, v[2:3], off
	s_mov_b64 s[0:1], 0
	s_waitcnt vmcnt(0)
	v_cvt_f16_i16_e32 v5, v1
	s_branch .LBB216_1149
.LBB216_1148:
	s_mov_b64 s[0:1], -1
                                        ; implicit-def: $vgpr5
.LBB216_1149:
	s_andn2_b64 vcc, exec, s[0:1]
	s_cbranch_vccnz .LBB216_1151
; %bb.1150:
	global_load_ubyte v1, v[2:3], off
	s_waitcnt vmcnt(0)
	v_cvt_f16_u16_e32 v5, v1
.LBB216_1151:
.LBB216_1152:
	s_lshl_b32 s9, s9, 7
	v_add_u32_e32 v0, s9, v0
	v_ashrrev_i32_e32 v1, 31, v0
	s_cmp_lt_i32 s22, 11
	v_lshl_add_u64 v[2:3], s[6:7], 0, v[0:1]
	s_cbranch_scc1 .LBB216_1159
; %bb.1153:
	s_cmp_gt_i32 s22, 25
	s_mov_b64 s[10:11], 0
	s_cbranch_scc0 .LBB216_1161
; %bb.1154:
	s_cmp_gt_i32 s22, 28
	s_cbranch_scc0 .LBB216_1162
; %bb.1155:
	s_cmp_gt_i32 s22, 43
	;; [unrolled: 3-line block ×3, first 2 shown]
	s_cbranch_scc0 .LBB216_1165
; %bb.1157:
	s_cmp_eq_u32 s22, 46
	s_mov_b64 s[18:19], 0
	s_cbranch_scc0 .LBB216_1168
; %bb.1158:
	global_load_dword v1, v[2:3], off
	s_mov_b64 s[0:1], 0
	s_mov_b64 s[16:17], -1
	s_waitcnt vmcnt(0)
	v_lshlrev_b32_e32 v1, 16, v1
	v_cvt_f16_f32_e32 v6, v1
	s_branch .LBB216_1169
.LBB216_1159:
	s_mov_b64 s[16:17], 0
                                        ; implicit-def: $vgpr6
	s_cbranch_execnz .LBB216_1234
.LBB216_1160:
	s_andn2_b64 vcc, exec, s[16:17]
	s_cbranch_vccnz .LBB216_1973
	s_branch .LBB216_1281
.LBB216_1161:
	s_mov_b64 s[16:17], 0
	s_mov_b64 s[0:1], 0
                                        ; implicit-def: $vgpr6
	s_cbranch_execnz .LBB216_1198
	s_branch .LBB216_1230
.LBB216_1162:
	s_mov_b64 s[18:19], -1
	s_mov_b64 s[16:17], 0
	s_mov_b64 s[0:1], 0
                                        ; implicit-def: $vgpr6
	s_branch .LBB216_1179
.LBB216_1163:
	s_mov_b64 s[18:19], -1
	s_mov_b64 s[16:17], 0
	s_mov_b64 s[0:1], 0
                                        ; implicit-def: $vgpr6
	s_branch .LBB216_1174
.LBB216_1164:
	s_or_b64 s[14:15], s[12:13], exec
	s_trap 2
	s_cbranch_execz .LBB216_1105
	s_branch .LBB216_1106
.LBB216_1165:
	s_mov_b64 s[18:19], -1
	s_mov_b64 s[16:17], 0
	s_mov_b64 s[0:1], 0
                                        ; implicit-def: $vgpr6
	s_branch .LBB216_1169
.LBB216_1166:
	s_andn2_saveexec_b64 s[24:25], s[24:25]
	s_cbranch_execz .LBB216_952
.LBB216_1167:
	s_mov_b32 s28, 0x42800000
	v_add_f32_e64 v4, |v3|, s28
	v_and_b32_e32 v4, 0xff, v4
	v_cmp_ne_u32_e32 vcc, 0, v4
	s_andn2_b64 s[22:23], s[22:23], exec
	s_and_b64 s[28:29], vcc, exec
	s_or_b64 s[22:23], s[22:23], s[28:29]
	s_or_b64 exec, exec, s[24:25]
	v_mov_b32_e32 v5, 0
	s_and_saveexec_b64 s[24:25], s[22:23]
	s_cbranch_execnz .LBB216_953
	s_branch .LBB216_954
.LBB216_1168:
	s_mov_b64 s[0:1], -1
                                        ; implicit-def: $vgpr6
	s_mov_b64 s[16:17], 0
.LBB216_1169:
	s_and_b64 vcc, exec, s[18:19]
	s_cbranch_vccz .LBB216_1173
; %bb.1170:
	s_cmp_eq_u32 s22, 44
	s_cbranch_scc0 .LBB216_1172
; %bb.1171:
	global_load_ubyte v1, v[2:3], off
	s_movk_i32 s16, 0xff
	v_mov_b32_e32 v7, 0x7e00
	s_mov_b64 s[0:1], 0
	s_waitcnt vmcnt(0)
	v_lshlrev_b32_e32 v6, 23, v1
	v_cvt_f16_f32_e32 v6, v6
	v_cmp_ne_u32_e32 vcc, s16, v1
	s_mov_b64 s[16:17], -1
	s_nop 0
	v_cndmask_b32_e32 v6, v7, v6, vcc
	v_cmp_ne_u32_e32 vcc, 0, v1
	s_nop 1
	v_cndmask_b32_e32 v6, 0, v6, vcc
	s_branch .LBB216_1173
.LBB216_1172:
	s_mov_b64 s[0:1], -1
                                        ; implicit-def: $vgpr6
.LBB216_1173:
	s_mov_b64 s[18:19], 0
.LBB216_1174:
	s_and_b64 vcc, exec, s[18:19]
	s_cbranch_vccz .LBB216_1178
; %bb.1175:
	s_cmp_eq_u32 s22, 29
	s_cbranch_scc0 .LBB216_1177
; %bb.1176:
	global_load_dwordx2 v[6:7], v[2:3], off
	s_mov_b64 s[0:1], 0
	s_mov_b64 s[16:17], -1
	s_mov_b64 s[18:19], 0
	s_waitcnt vmcnt(0)
	v_ffbh_u32_e32 v1, v7
	v_min_u32_e32 v1, 32, v1
	v_lshlrev_b64 v[6:7], v1, v[6:7]
	v_min_u32_e32 v6, 1, v6
	v_or_b32_e32 v6, v7, v6
	v_cvt_f32_u32_e32 v6, v6
	v_sub_u32_e32 v1, 32, v1
	v_ldexp_f32 v1, v6, v1
	v_cvt_f16_f32_e32 v6, v1
	s_branch .LBB216_1179
.LBB216_1177:
	s_mov_b64 s[0:1], -1
                                        ; implicit-def: $vgpr6
.LBB216_1178:
	s_mov_b64 s[18:19], 0
.LBB216_1179:
	s_and_b64 vcc, exec, s[18:19]
	s_cbranch_vccz .LBB216_1197
; %bb.1180:
	s_cmp_lt_i32 s22, 27
	s_cbranch_scc1 .LBB216_1183
; %bb.1181:
	s_cmp_gt_i32 s22, 27
	s_cbranch_scc0 .LBB216_1184
; %bb.1182:
	global_load_dword v1, v[2:3], off
	s_mov_b64 s[16:17], 0
	s_waitcnt vmcnt(0)
	v_cvt_f32_u32_e32 v1, v1
	v_cvt_f16_f32_e32 v6, v1
	s_branch .LBB216_1185
.LBB216_1183:
	s_mov_b64 s[16:17], -1
                                        ; implicit-def: $vgpr6
	s_branch .LBB216_1188
.LBB216_1184:
	s_mov_b64 s[16:17], -1
                                        ; implicit-def: $vgpr6
.LBB216_1185:
	s_andn2_b64 vcc, exec, s[16:17]
	s_cbranch_vccnz .LBB216_1187
; %bb.1186:
	global_load_ushort v1, v[2:3], off
	s_waitcnt vmcnt(0)
	v_cvt_f16_u16_e32 v6, v1
.LBB216_1187:
	s_mov_b64 s[16:17], 0
.LBB216_1188:
	s_andn2_b64 vcc, exec, s[16:17]
	s_cbranch_vccnz .LBB216_1196
; %bb.1189:
	global_load_ubyte v1, v[2:3], off
	s_movk_i32 s16, 0x7f
	s_waitcnt vmcnt(0)
	v_cmp_lt_i16_e32 vcc, s16, v1
	s_mov_b64 s[16:17], 0
	s_and_saveexec_b64 s[18:19], vcc
	s_xor_b64 s[18:19], exec, s[18:19]
	s_cbranch_execz .LBB216_1209
; %bb.1190:
	s_movk_i32 s16, 0x80
	v_cmp_eq_u16_e32 vcc, s16, v1
	s_mov_b64 s[16:17], -1
	s_and_saveexec_b64 s[20:21], vcc
; %bb.1191:
	s_xor_b64 s[16:17], exec, -1
; %bb.1192:
	s_or_b64 exec, exec, s[20:21]
	s_and_b64 s[16:17], s[16:17], exec
	s_or_saveexec_b64 s[18:19], s[18:19]
	v_mov_b32_e32 v6, 0x7e00
	s_xor_b64 exec, exec, s[18:19]
	s_cbranch_execnz .LBB216_1210
.LBB216_1193:
	s_or_b64 exec, exec, s[18:19]
	s_and_saveexec_b64 s[18:19], s[16:17]
	s_cbranch_execz .LBB216_1195
.LBB216_1194:
	v_lshlrev_b32_e32 v6, 24, v1
	v_and_b32_e32 v1, 0xffff, v1
	v_and_b32_e32 v7, 7, v1
	v_ffbh_u32_e32 v9, v7
	v_min_u32_e32 v9, 32, v9
	v_subrev_u32_e32 v10, 28, v9
	v_bfe_u32 v8, v1, 3, 4
	v_lshlrev_b32_e32 v1, v10, v1
	v_sub_u32_e32 v9, 29, v9
	v_and_b32_e32 v1, 7, v1
	v_cmp_eq_u32_e32 vcc, 0, v8
	v_and_b32_e32 v6, 0x80000000, v6
	s_nop 0
	v_cndmask_b32_e32 v8, v8, v9, vcc
	v_cndmask_b32_e32 v1, v7, v1, vcc
	v_mov_b32_e32 v7, 0x3b800000
	v_lshlrev_b32_e32 v1, 20, v1
	v_lshl_add_u32 v7, v8, 23, v7
	v_or3_b32 v1, v6, v7, v1
	v_cvt_f16_f32_e32 v6, v1
.LBB216_1195:
	s_or_b64 exec, exec, s[18:19]
.LBB216_1196:
	s_mov_b64 s[16:17], -1
.LBB216_1197:
	s_branch .LBB216_1230
.LBB216_1198:
	s_cmp_gt_i32 s22, 22
	s_cbranch_scc0 .LBB216_1208
; %bb.1199:
	s_cmp_lt_i32 s22, 24
	s_cbranch_scc1 .LBB216_1211
; %bb.1200:
	s_cmp_gt_i32 s22, 24
	s_cbranch_scc0 .LBB216_1212
; %bb.1201:
	global_load_ubyte v1, v[2:3], off
	s_movk_i32 s10, 0x7f
	s_waitcnt vmcnt(0)
	v_cmp_lt_i16_e32 vcc, s10, v1
	s_mov_b64 s[10:11], 0
	s_and_saveexec_b64 s[16:17], vcc
	s_xor_b64 s[16:17], exec, s[16:17]
	s_cbranch_execz .LBB216_1224
; %bb.1202:
	s_movk_i32 s10, 0x80
	v_cmp_eq_u16_e32 vcc, s10, v1
	s_mov_b64 s[10:11], -1
	s_and_saveexec_b64 s[18:19], vcc
; %bb.1203:
	s_xor_b64 s[10:11], exec, -1
; %bb.1204:
	s_or_b64 exec, exec, s[18:19]
	s_and_b64 s[10:11], s[10:11], exec
	s_or_saveexec_b64 s[16:17], s[16:17]
	v_mov_b32_e32 v6, 0x7e00
	s_xor_b64 exec, exec, s[16:17]
	s_cbranch_execnz .LBB216_1225
.LBB216_1205:
	s_or_b64 exec, exec, s[16:17]
	s_and_saveexec_b64 s[16:17], s[10:11]
	s_cbranch_execz .LBB216_1207
.LBB216_1206:
	v_lshlrev_b32_e32 v6, 24, v1
	v_and_b32_e32 v1, 0xffff, v1
	v_and_b32_e32 v7, 3, v1
	v_ffbh_u32_e32 v9, v7
	v_min_u32_e32 v9, 32, v9
	v_subrev_u32_e32 v10, 29, v9
	v_bfe_u32 v8, v1, 2, 5
	v_lshlrev_b32_e32 v1, v10, v1
	v_sub_u32_e32 v9, 30, v9
	v_and_b32_e32 v1, 3, v1
	v_cmp_eq_u32_e32 vcc, 0, v8
	v_and_b32_e32 v6, 0x80000000, v6
	s_nop 0
	v_cndmask_b32_e32 v8, v8, v9, vcc
	v_cndmask_b32_e32 v1, v7, v1, vcc
	v_mov_b32_e32 v7, 0x37800000
	v_lshlrev_b32_e32 v1, 21, v1
	v_lshl_add_u32 v7, v8, 23, v7
	v_or3_b32 v1, v6, v7, v1
	v_cvt_f16_f32_e32 v6, v1
.LBB216_1207:
	s_or_b64 exec, exec, s[16:17]
	s_mov_b64 s[10:11], 0
	s_branch .LBB216_1213
.LBB216_1208:
	s_mov_b64 s[10:11], -1
                                        ; implicit-def: $vgpr6
	s_branch .LBB216_1219
.LBB216_1209:
	s_or_saveexec_b64 s[18:19], s[18:19]
	v_mov_b32_e32 v6, 0x7e00
	s_xor_b64 exec, exec, s[18:19]
	s_cbranch_execz .LBB216_1193
.LBB216_1210:
	v_cmp_ne_u16_e32 vcc, 0, v1
	s_andn2_b64 s[16:17], s[16:17], exec
	s_and_b64 s[20:21], vcc, exec
	s_or_b64 s[16:17], s[16:17], s[20:21]
	v_mov_b32_e32 v6, v1
	s_or_b64 exec, exec, s[18:19]
	s_and_saveexec_b64 s[18:19], s[16:17]
	s_cbranch_execnz .LBB216_1194
	s_branch .LBB216_1195
.LBB216_1211:
	s_mov_b64 s[10:11], -1
                                        ; implicit-def: $vgpr6
	s_branch .LBB216_1216
.LBB216_1212:
	s_mov_b64 s[10:11], -1
                                        ; implicit-def: $vgpr6
.LBB216_1213:
	s_and_b64 vcc, exec, s[10:11]
	s_cbranch_vccz .LBB216_1215
; %bb.1214:
	global_load_ubyte v1, v[2:3], off
	s_mov_b32 s10, 0x7f800000
	s_waitcnt vmcnt(0)
	v_lshlrev_b32_e32 v1, 24, v1
	v_and_b32_e32 v6, 0x7f000000, v1
	v_ffbh_u32_e32 v7, v6
	v_min_u32_e32 v7, 32, v7
	v_sub_u32_e64 v7, v7, 4 clamp
	v_lshlrev_b32_e32 v9, v7, v6
	v_lshlrev_b32_e32 v7, 23, v7
	v_lshrrev_b32_e32 v9, 4, v9
	v_add_u32_e32 v8, 0x1000000, v6
	v_sub_u32_e32 v7, v9, v7
	v_ashrrev_i32_e32 v8, 8, v8
	v_add_u32_e32 v7, 0x3c000000, v7
	v_and_or_b32 v7, v8, s10, v7
	v_cmp_ne_u32_e32 vcc, 0, v6
	s_brev_b32 s10, 1
	s_nop 0
	v_cndmask_b32_e32 v6, 0, v7, vcc
	v_and_or_b32 v1, v1, s10, v6
	v_cvt_f16_f32_e32 v6, v1
.LBB216_1215:
	s_mov_b64 s[10:11], 0
.LBB216_1216:
	s_andn2_b64 vcc, exec, s[10:11]
	s_cbranch_vccnz .LBB216_1218
; %bb.1217:
	global_load_ubyte v1, v[2:3], off
	s_movk_i32 s10, 0x7f00
	s_brev_b32 s11, 16
	s_waitcnt vmcnt(0)
	v_lshlrev_b16_e32 v6, 8, v1
	v_lshlrev_b32_e32 v1, 25, v1
	v_lshrrev_b32_e32 v7, 4, v1
	v_and_or_b32 v8, v6, s10, 0.5
	v_or_b32_e32 v7, 0x70000000, v7
	v_add_f32_e32 v8, -0.5, v8
	v_mul_f32_e32 v7, 0x7800000, v7
	v_cmp_gt_u32_e32 vcc, s11, v1
	v_bfe_i32 v6, v6, 0, 16
	s_brev_b32 s10, 1
	v_cndmask_b32_e32 v1, v7, v8, vcc
	v_and_or_b32 v1, v6, s10, v1
	v_cvt_f16_f32_e32 v6, v1
.LBB216_1218:
	s_mov_b64 s[10:11], 0
	s_mov_b64 s[16:17], -1
.LBB216_1219:
	s_andn2_b64 vcc, exec, s[10:11]
	s_mov_b64 s[10:11], 0
	s_cbranch_vccnz .LBB216_1230
; %bb.1220:
	s_cmp_gt_i32 s22, 14
	s_cbranch_scc0 .LBB216_1223
; %bb.1221:
	s_cmp_eq_u32 s22, 15
	s_cbranch_scc0 .LBB216_1226
; %bb.1222:
	global_load_ushort v1, v[2:3], off
	s_mov_b64 s[0:1], 0
	s_mov_b64 s[16:17], -1
	s_waitcnt vmcnt(0)
	v_lshlrev_b32_e32 v1, 16, v1
	v_cvt_f16_f32_e32 v6, v1
	s_branch .LBB216_1227
.LBB216_1223:
	s_mov_b64 s[18:19], -1
                                        ; implicit-def: $vgpr6
	s_branch .LBB216_1228
.LBB216_1224:
	s_or_saveexec_b64 s[16:17], s[16:17]
	v_mov_b32_e32 v6, 0x7e00
	s_xor_b64 exec, exec, s[16:17]
	s_cbranch_execz .LBB216_1205
.LBB216_1225:
	v_cmp_ne_u16_e32 vcc, 0, v1
	s_andn2_b64 s[10:11], s[10:11], exec
	s_and_b64 s[18:19], vcc, exec
	s_or_b64 s[10:11], s[10:11], s[18:19]
	v_mov_b32_e32 v6, v1
	s_or_b64 exec, exec, s[16:17]
	s_and_saveexec_b64 s[16:17], s[10:11]
	s_cbranch_execnz .LBB216_1206
	s_branch .LBB216_1207
.LBB216_1226:
	s_mov_b64 s[0:1], -1
                                        ; implicit-def: $vgpr6
.LBB216_1227:
	s_mov_b64 s[18:19], 0
.LBB216_1228:
	s_and_b64 vcc, exec, s[18:19]
	s_cbranch_vccz .LBB216_1230
; %bb.1229:
	s_cmp_lg_u32 s22, 11
	s_mov_b64 s[10:11], -1
	s_cselect_b64 s[0:1], -1, 0
.LBB216_1230:
	s_and_b64 vcc, exec, s[0:1]
	s_cbranch_vccnz .LBB216_1293
; %bb.1231:
	s_andn2_b64 vcc, exec, s[10:11]
	s_cbranch_vccnz .LBB216_1233
.LBB216_1232:
	global_load_ubyte v1, v[2:3], off
	v_mov_b32_e32 v6, 0x3c00
	s_mov_b64 s[16:17], -1
	s_waitcnt vmcnt(0)
	v_cmp_ne_u16_e32 vcc, 0, v1
	s_nop 1
	v_cndmask_b32_e32 v6, 0, v6, vcc
.LBB216_1233:
	s_branch .LBB216_1160
.LBB216_1234:
	s_cmp_lt_i32 s22, 5
	s_cbranch_scc1 .LBB216_1239
; %bb.1235:
	s_cmp_lt_i32 s22, 8
	s_cbranch_scc1 .LBB216_1240
; %bb.1236:
	;; [unrolled: 3-line block ×3, first 2 shown]
	s_cmp_gt_i32 s22, 9
	s_cbranch_scc0 .LBB216_1242
; %bb.1238:
	global_load_dwordx2 v[6:7], v[2:3], off
	s_movk_i32 s0, 0x1ff
	s_movk_i32 s1, 0xffe
	v_mov_b32_e32 v1, 0x7c00
	v_mov_b32_e32 v8, 0x7e00
	s_movk_i32 s10, 0x40f
	s_mov_b32 s11, 0x8000
	s_waitcnt vmcnt(0)
	v_and_or_b32 v6, v7, s0, v6
	v_cmp_ne_u32_e32 vcc, 0, v6
	v_lshrrev_b32_e32 v9, 8, v7
	v_bfe_u32 v10, v7, 20, 11
	v_cndmask_b32_e64 v6, 0, 1, vcc
	v_sub_u32_e32 v11, 0x3f1, v10
	v_and_or_b32 v6, v9, s1, v6
	v_add_u32_e32 v10, 0xfffffc10, v10
	v_med3_i32 v9, v11, 0, 13
	v_or_b32_e32 v11, 0x1000, v6
	v_cmp_ne_u32_e32 vcc, 0, v6
	v_lshl_or_b32 v12, v10, 12, v6
	v_lshrrev_b32_e32 v7, 16, v7
	v_cndmask_b32_e32 v6, v1, v8, vcc
	v_lshrrev_b32_e32 v8, v9, v11
	v_lshlrev_b32_e32 v9, v9, v8
	v_cmp_ne_u32_e32 vcc, v9, v11
	s_mov_b64 s[0:1], 0
	s_nop 0
	v_cndmask_b32_e64 v9, 0, 1, vcc
	v_or_b32_e32 v8, v8, v9
	v_cmp_gt_i32_e32 vcc, 1, v10
	s_nop 1
	v_cndmask_b32_e32 v8, v12, v8, vcc
	v_and_b32_e32 v9, 7, v8
	v_cmp_lt_i32_e32 vcc, 5, v9
	v_lshrrev_b32_e32 v8, 2, v8
	s_nop 0
	v_cndmask_b32_e64 v11, 0, 1, vcc
	v_cmp_eq_u32_e32 vcc, 3, v9
	s_nop 1
	v_cndmask_b32_e64 v9, 0, 1, vcc
	v_or_b32_e32 v9, v9, v11
	v_add_u32_e32 v8, v8, v9
	v_cmp_gt_i32_e32 vcc, 31, v10
	s_nop 1
	v_cndmask_b32_e32 v1, v1, v8, vcc
	v_cmp_eq_u32_e32 vcc, s10, v10
	s_nop 1
	v_cndmask_b32_e32 v1, v1, v6, vcc
	v_and_or_b32 v6, v7, s11, v1
	s_branch .LBB216_1243
.LBB216_1239:
                                        ; implicit-def: $vgpr6
	s_branch .LBB216_1261
.LBB216_1240:
	s_mov_b64 s[0:1], -1
                                        ; implicit-def: $vgpr6
	s_branch .LBB216_1249
.LBB216_1241:
	s_mov_b64 s[0:1], -1
                                        ; implicit-def: $vgpr6
	s_branch .LBB216_1246
.LBB216_1242:
	s_mov_b64 s[0:1], -1
                                        ; implicit-def: $vgpr6
.LBB216_1243:
	s_andn2_b64 vcc, exec, s[0:1]
	s_cbranch_vccnz .LBB216_1245
; %bb.1244:
	global_load_dword v1, v[2:3], off
	s_waitcnt vmcnt(0)
	v_cvt_f16_f32_e32 v6, v1
.LBB216_1245:
	s_mov_b64 s[0:1], 0
.LBB216_1246:
	s_andn2_b64 vcc, exec, s[0:1]
	s_cbranch_vccnz .LBB216_1248
; %bb.1247:
	global_load_dword v6, v[2:3], off
.LBB216_1248:
	s_mov_b64 s[0:1], 0
.LBB216_1249:
	s_andn2_b64 vcc, exec, s[0:1]
	s_cbranch_vccnz .LBB216_1260
; %bb.1250:
	s_cmp_lt_i32 s22, 6
	s_cbranch_scc1 .LBB216_1253
; %bb.1251:
	s_cmp_gt_i32 s22, 6
	s_cbranch_scc0 .LBB216_1254
; %bb.1252:
	global_load_dwordx2 v[6:7], v[2:3], off
	s_movk_i32 s0, 0x1ff
	s_movk_i32 s1, 0xffe
	v_mov_b32_e32 v1, 0x7c00
	v_mov_b32_e32 v8, 0x7e00
	s_movk_i32 s10, 0x40f
	s_mov_b32 s11, 0x8000
	s_waitcnt vmcnt(0)
	v_and_or_b32 v6, v7, s0, v6
	v_cmp_ne_u32_e32 vcc, 0, v6
	v_lshrrev_b32_e32 v9, 8, v7
	v_bfe_u32 v10, v7, 20, 11
	v_cndmask_b32_e64 v6, 0, 1, vcc
	v_sub_u32_e32 v11, 0x3f1, v10
	v_and_or_b32 v6, v9, s1, v6
	v_add_u32_e32 v10, 0xfffffc10, v10
	v_med3_i32 v9, v11, 0, 13
	v_or_b32_e32 v11, 0x1000, v6
	v_cmp_ne_u32_e32 vcc, 0, v6
	v_lshl_or_b32 v12, v10, 12, v6
	v_lshrrev_b32_e32 v7, 16, v7
	v_cndmask_b32_e32 v6, v1, v8, vcc
	v_lshrrev_b32_e32 v8, v9, v11
	v_lshlrev_b32_e32 v9, v9, v8
	v_cmp_ne_u32_e32 vcc, v9, v11
	s_mov_b64 s[0:1], 0
	s_nop 0
	v_cndmask_b32_e64 v9, 0, 1, vcc
	v_or_b32_e32 v8, v8, v9
	v_cmp_gt_i32_e32 vcc, 1, v10
	s_nop 1
	v_cndmask_b32_e32 v8, v12, v8, vcc
	v_and_b32_e32 v9, 7, v8
	v_cmp_lt_i32_e32 vcc, 5, v9
	v_lshrrev_b32_e32 v8, 2, v8
	s_nop 0
	v_cndmask_b32_e64 v11, 0, 1, vcc
	v_cmp_eq_u32_e32 vcc, 3, v9
	s_nop 1
	v_cndmask_b32_e64 v9, 0, 1, vcc
	v_or_b32_e32 v9, v9, v11
	v_add_u32_e32 v8, v8, v9
	v_cmp_gt_i32_e32 vcc, 31, v10
	s_nop 1
	v_cndmask_b32_e32 v1, v1, v8, vcc
	v_cmp_eq_u32_e32 vcc, s10, v10
	s_nop 1
	v_cndmask_b32_e32 v1, v1, v6, vcc
	v_and_or_b32 v6, v7, s11, v1
	s_branch .LBB216_1255
.LBB216_1253:
	s_mov_b64 s[0:1], -1
                                        ; implicit-def: $vgpr6
	s_branch .LBB216_1258
.LBB216_1254:
	s_mov_b64 s[0:1], -1
                                        ; implicit-def: $vgpr6
.LBB216_1255:
	s_andn2_b64 vcc, exec, s[0:1]
	s_cbranch_vccnz .LBB216_1257
; %bb.1256:
	global_load_dword v1, v[2:3], off
	s_waitcnt vmcnt(0)
	v_cvt_f16_f32_e32 v6, v1
.LBB216_1257:
	s_mov_b64 s[0:1], 0
.LBB216_1258:
	s_andn2_b64 vcc, exec, s[0:1]
	s_cbranch_vccnz .LBB216_1260
; %bb.1259:
	global_load_ushort v6, v[2:3], off
.LBB216_1260:
	s_cbranch_execnz .LBB216_1280
.LBB216_1261:
	s_cmp_lt_i32 s22, 2
	s_cbranch_scc1 .LBB216_1265
; %bb.1262:
	s_cmp_lt_i32 s22, 3
	s_cbranch_scc1 .LBB216_1266
; %bb.1263:
	s_cmp_gt_i32 s22, 3
	s_cbranch_scc0 .LBB216_1267
; %bb.1264:
	global_load_dwordx2 v[6:7], v[2:3], off
	s_mov_b64 s[0:1], 0
	s_waitcnt vmcnt(0)
	v_xor_b32_e32 v8, v6, v7
	v_ffbh_i32_e32 v1, v7
	v_ashrrev_i32_e32 v8, 31, v8
	v_add_u32_e32 v1, -1, v1
	v_add_u32_e32 v8, 32, v8
	v_min_u32_e32 v1, v1, v8
	v_lshlrev_b64 v[6:7], v1, v[6:7]
	v_min_u32_e32 v6, 1, v6
	v_or_b32_e32 v6, v7, v6
	v_cvt_f32_i32_e32 v6, v6
	v_sub_u32_e32 v1, 32, v1
	v_ldexp_f32 v1, v6, v1
	v_cvt_f16_f32_e32 v6, v1
	s_branch .LBB216_1268
.LBB216_1265:
	s_mov_b64 s[0:1], -1
                                        ; implicit-def: $vgpr6
	s_branch .LBB216_1274
.LBB216_1266:
	s_mov_b64 s[0:1], -1
                                        ; implicit-def: $vgpr6
	s_branch .LBB216_1271
.LBB216_1267:
	s_mov_b64 s[0:1], -1
                                        ; implicit-def: $vgpr6
.LBB216_1268:
	s_andn2_b64 vcc, exec, s[0:1]
	s_cbranch_vccnz .LBB216_1270
; %bb.1269:
	global_load_dword v1, v[2:3], off
	s_waitcnt vmcnt(0)
	v_cvt_f32_i32_e32 v1, v1
	v_cvt_f16_f32_e32 v6, v1
.LBB216_1270:
	s_mov_b64 s[0:1], 0
.LBB216_1271:
	s_andn2_b64 vcc, exec, s[0:1]
	s_cbranch_vccnz .LBB216_1273
; %bb.1272:
	global_load_ushort v1, v[2:3], off
	s_waitcnt vmcnt(0)
	v_cvt_f16_i16_e32 v6, v1
.LBB216_1273:
	s_mov_b64 s[0:1], 0
.LBB216_1274:
	s_andn2_b64 vcc, exec, s[0:1]
	s_cbranch_vccnz .LBB216_1280
; %bb.1275:
	s_cmp_gt_i32 s22, 0
	s_cbranch_scc0 .LBB216_1277
; %bb.1276:
	global_load_sbyte v1, v[2:3], off
	s_mov_b64 s[0:1], 0
	s_waitcnt vmcnt(0)
	v_cvt_f16_i16_e32 v6, v1
	s_branch .LBB216_1278
.LBB216_1277:
	s_mov_b64 s[0:1], -1
                                        ; implicit-def: $vgpr6
.LBB216_1278:
	s_andn2_b64 vcc, exec, s[0:1]
	s_cbranch_vccnz .LBB216_1280
; %bb.1279:
	global_load_ubyte v1, v[2:3], off
	s_waitcnt vmcnt(0)
	v_cvt_f16_u16_e32 v6, v1
.LBB216_1280:
.LBB216_1281:
	v_add_u32_e32 v0, s9, v0
	v_ashrrev_i32_e32 v1, 31, v0
	s_cmp_lt_i32 s22, 11
	v_lshl_add_u64 v[2:3], s[6:7], 0, v[0:1]
	s_cbranch_scc1 .LBB216_1288
; %bb.1282:
	s_cmp_gt_i32 s22, 25
	s_mov_b64 s[10:11], 0
	s_cbranch_scc0 .LBB216_1290
; %bb.1283:
	s_cmp_gt_i32 s22, 28
	s_cbranch_scc0 .LBB216_1291
; %bb.1284:
	s_cmp_gt_i32 s22, 43
	;; [unrolled: 3-line block ×3, first 2 shown]
	s_cbranch_scc0 .LBB216_1294
; %bb.1286:
	s_cmp_eq_u32 s22, 46
	s_mov_b64 s[18:19], 0
	s_cbranch_scc0 .LBB216_1295
; %bb.1287:
	global_load_dword v1, v[2:3], off
	s_mov_b64 s[0:1], 0
	s_mov_b64 s[16:17], -1
	s_waitcnt vmcnt(0)
	v_lshlrev_b32_e32 v1, 16, v1
	v_cvt_f16_f32_e32 v7, v1
	s_branch .LBB216_1296
.LBB216_1288:
	s_mov_b64 s[16:17], 0
                                        ; implicit-def: $vgpr7
	s_cbranch_execnz .LBB216_1362
.LBB216_1289:
	s_andn2_b64 vcc, exec, s[16:17]
	s_cbranch_vccnz .LBB216_1973
	s_branch .LBB216_1410
.LBB216_1290:
	s_mov_b64 s[18:19], -1
	s_mov_b64 s[16:17], 0
	s_mov_b64 s[0:1], 0
                                        ; implicit-def: $vgpr7
	s_branch .LBB216_1325
.LBB216_1291:
	s_mov_b64 s[18:19], -1
	s_mov_b64 s[16:17], 0
	s_mov_b64 s[0:1], 0
                                        ; implicit-def: $vgpr7
	s_branch .LBB216_1306
.LBB216_1292:
	s_mov_b64 s[18:19], -1
	s_mov_b64 s[16:17], 0
	s_mov_b64 s[0:1], 0
                                        ; implicit-def: $vgpr7
	s_branch .LBB216_1301
.LBB216_1293:
	s_trap 2
	s_or_b64 s[14:15], s[14:15], exec
	s_cbranch_execz .LBB216_1232
	s_branch .LBB216_1233
.LBB216_1294:
	s_mov_b64 s[18:19], -1
	s_mov_b64 s[16:17], 0
	s_mov_b64 s[0:1], 0
                                        ; implicit-def: $vgpr7
	s_branch .LBB216_1296
.LBB216_1295:
	s_mov_b64 s[0:1], -1
                                        ; implicit-def: $vgpr7
	s_mov_b64 s[16:17], 0
.LBB216_1296:
	s_and_b64 vcc, exec, s[18:19]
	s_cbranch_vccz .LBB216_1300
; %bb.1297:
	s_cmp_eq_u32 s22, 44
	s_cbranch_scc0 .LBB216_1299
; %bb.1298:
	global_load_ubyte v1, v[2:3], off
	s_movk_i32 s16, 0xff
	v_mov_b32_e32 v8, 0x7e00
	s_mov_b64 s[0:1], 0
	s_waitcnt vmcnt(0)
	v_lshlrev_b32_e32 v7, 23, v1
	v_cvt_f16_f32_e32 v7, v7
	v_cmp_ne_u32_e32 vcc, s16, v1
	s_mov_b64 s[16:17], -1
	s_nop 0
	v_cndmask_b32_e32 v7, v8, v7, vcc
	v_cmp_ne_u32_e32 vcc, 0, v1
	s_nop 1
	v_cndmask_b32_e32 v7, 0, v7, vcc
	s_branch .LBB216_1300
.LBB216_1299:
	s_mov_b64 s[0:1], -1
                                        ; implicit-def: $vgpr7
.LBB216_1300:
	s_mov_b64 s[18:19], 0
.LBB216_1301:
	s_and_b64 vcc, exec, s[18:19]
	s_cbranch_vccz .LBB216_1305
; %bb.1302:
	s_cmp_eq_u32 s22, 29
	s_cbranch_scc0 .LBB216_1304
; %bb.1303:
	global_load_dwordx2 v[8:9], v[2:3], off
	s_mov_b64 s[0:1], 0
	s_mov_b64 s[16:17], -1
	s_mov_b64 s[18:19], 0
	s_waitcnt vmcnt(0)
	v_ffbh_u32_e32 v1, v9
	v_min_u32_e32 v1, 32, v1
	v_lshlrev_b64 v[8:9], v1, v[8:9]
	v_min_u32_e32 v7, 1, v8
	v_or_b32_e32 v7, v9, v7
	v_cvt_f32_u32_e32 v7, v7
	v_sub_u32_e32 v1, 32, v1
	v_ldexp_f32 v1, v7, v1
	v_cvt_f16_f32_e32 v7, v1
	s_branch .LBB216_1306
.LBB216_1304:
	s_mov_b64 s[0:1], -1
                                        ; implicit-def: $vgpr7
.LBB216_1305:
	s_mov_b64 s[18:19], 0
.LBB216_1306:
	s_and_b64 vcc, exec, s[18:19]
	s_cbranch_vccz .LBB216_1324
; %bb.1307:
	s_cmp_lt_i32 s22, 27
	s_cbranch_scc1 .LBB216_1310
; %bb.1308:
	s_cmp_gt_i32 s22, 27
	s_cbranch_scc0 .LBB216_1311
; %bb.1309:
	global_load_dword v1, v[2:3], off
	s_mov_b64 s[16:17], 0
	s_waitcnt vmcnt(0)
	v_cvt_f32_u32_e32 v1, v1
	v_cvt_f16_f32_e32 v7, v1
	s_branch .LBB216_1312
.LBB216_1310:
	s_mov_b64 s[16:17], -1
                                        ; implicit-def: $vgpr7
	s_branch .LBB216_1315
.LBB216_1311:
	s_mov_b64 s[16:17], -1
                                        ; implicit-def: $vgpr7
.LBB216_1312:
	s_andn2_b64 vcc, exec, s[16:17]
	s_cbranch_vccnz .LBB216_1314
; %bb.1313:
	global_load_ushort v1, v[2:3], off
	s_waitcnt vmcnt(0)
	v_cvt_f16_u16_e32 v7, v1
.LBB216_1314:
	s_mov_b64 s[16:17], 0
.LBB216_1315:
	s_andn2_b64 vcc, exec, s[16:17]
	s_cbranch_vccnz .LBB216_1323
; %bb.1316:
	global_load_ubyte v1, v[2:3], off
	s_movk_i32 s16, 0x7f
	s_waitcnt vmcnt(0)
	v_cmp_lt_i16_e32 vcc, s16, v1
	s_mov_b64 s[16:17], 0
	s_and_saveexec_b64 s[18:19], vcc
	s_xor_b64 s[18:19], exec, s[18:19]
	s_cbranch_execz .LBB216_1337
; %bb.1317:
	s_movk_i32 s16, 0x80
	v_cmp_eq_u16_e32 vcc, s16, v1
	s_mov_b64 s[16:17], -1
	s_and_saveexec_b64 s[20:21], vcc
; %bb.1318:
	s_xor_b64 s[16:17], exec, -1
; %bb.1319:
	s_or_b64 exec, exec, s[20:21]
	s_and_b64 s[16:17], s[16:17], exec
	s_or_saveexec_b64 s[18:19], s[18:19]
	v_mov_b32_e32 v7, 0x7e00
	s_xor_b64 exec, exec, s[18:19]
	s_cbranch_execnz .LBB216_1338
.LBB216_1320:
	s_or_b64 exec, exec, s[18:19]
	s_and_saveexec_b64 s[18:19], s[16:17]
	s_cbranch_execz .LBB216_1322
.LBB216_1321:
	v_lshlrev_b32_e32 v7, 24, v1
	v_and_b32_e32 v1, 0xffff, v1
	v_and_b32_e32 v8, 7, v1
	v_ffbh_u32_e32 v10, v8
	v_min_u32_e32 v10, 32, v10
	v_subrev_u32_e32 v11, 28, v10
	v_bfe_u32 v9, v1, 3, 4
	v_lshlrev_b32_e32 v1, v11, v1
	v_sub_u32_e32 v10, 29, v10
	v_and_b32_e32 v1, 7, v1
	v_cmp_eq_u32_e32 vcc, 0, v9
	v_and_b32_e32 v7, 0x80000000, v7
	s_nop 0
	v_cndmask_b32_e32 v9, v9, v10, vcc
	v_cndmask_b32_e32 v1, v8, v1, vcc
	v_mov_b32_e32 v8, 0x3b800000
	v_lshlrev_b32_e32 v1, 20, v1
	v_lshl_add_u32 v8, v9, 23, v8
	v_or3_b32 v1, v7, v8, v1
	v_cvt_f16_f32_e32 v7, v1
.LBB216_1322:
	s_or_b64 exec, exec, s[18:19]
.LBB216_1323:
	s_mov_b64 s[16:17], -1
.LBB216_1324:
	s_mov_b64 s[18:19], 0
.LBB216_1325:
	s_and_b64 vcc, exec, s[18:19]
	s_cbranch_vccz .LBB216_1358
; %bb.1326:
	s_cmp_gt_i32 s22, 22
	s_cbranch_scc0 .LBB216_1336
; %bb.1327:
	s_cmp_lt_i32 s22, 24
	s_cbranch_scc1 .LBB216_1339
; %bb.1328:
	s_cmp_gt_i32 s22, 24
	s_cbranch_scc0 .LBB216_1340
; %bb.1329:
	global_load_ubyte v1, v[2:3], off
	s_movk_i32 s10, 0x7f
	s_waitcnt vmcnt(0)
	v_cmp_lt_i16_e32 vcc, s10, v1
	s_mov_b64 s[10:11], 0
	s_and_saveexec_b64 s[16:17], vcc
	s_xor_b64 s[16:17], exec, s[16:17]
	s_cbranch_execz .LBB216_1352
; %bb.1330:
	s_movk_i32 s10, 0x80
	v_cmp_eq_u16_e32 vcc, s10, v1
	s_mov_b64 s[10:11], -1
	s_and_saveexec_b64 s[18:19], vcc
; %bb.1331:
	s_xor_b64 s[10:11], exec, -1
; %bb.1332:
	s_or_b64 exec, exec, s[18:19]
	s_and_b64 s[10:11], s[10:11], exec
	s_or_saveexec_b64 s[16:17], s[16:17]
	v_mov_b32_e32 v7, 0x7e00
	s_xor_b64 exec, exec, s[16:17]
	s_cbranch_execnz .LBB216_1353
.LBB216_1333:
	s_or_b64 exec, exec, s[16:17]
	s_and_saveexec_b64 s[16:17], s[10:11]
	s_cbranch_execz .LBB216_1335
.LBB216_1334:
	v_lshlrev_b32_e32 v7, 24, v1
	v_and_b32_e32 v1, 0xffff, v1
	v_and_b32_e32 v8, 3, v1
	v_ffbh_u32_e32 v10, v8
	v_min_u32_e32 v10, 32, v10
	v_subrev_u32_e32 v11, 29, v10
	v_bfe_u32 v9, v1, 2, 5
	v_lshlrev_b32_e32 v1, v11, v1
	v_sub_u32_e32 v10, 30, v10
	v_and_b32_e32 v1, 3, v1
	v_cmp_eq_u32_e32 vcc, 0, v9
	v_and_b32_e32 v7, 0x80000000, v7
	s_nop 0
	v_cndmask_b32_e32 v9, v9, v10, vcc
	v_cndmask_b32_e32 v1, v8, v1, vcc
	v_mov_b32_e32 v8, 0x37800000
	v_lshlrev_b32_e32 v1, 21, v1
	v_lshl_add_u32 v8, v9, 23, v8
	v_or3_b32 v1, v7, v8, v1
	v_cvt_f16_f32_e32 v7, v1
.LBB216_1335:
	s_or_b64 exec, exec, s[16:17]
	s_mov_b64 s[10:11], 0
	s_branch .LBB216_1341
.LBB216_1336:
	s_mov_b64 s[10:11], -1
                                        ; implicit-def: $vgpr7
	s_branch .LBB216_1347
.LBB216_1337:
	s_or_saveexec_b64 s[18:19], s[18:19]
	v_mov_b32_e32 v7, 0x7e00
	s_xor_b64 exec, exec, s[18:19]
	s_cbranch_execz .LBB216_1320
.LBB216_1338:
	v_cmp_ne_u16_e32 vcc, 0, v1
	s_andn2_b64 s[16:17], s[16:17], exec
	s_and_b64 s[20:21], vcc, exec
	s_or_b64 s[16:17], s[16:17], s[20:21]
	v_mov_b32_e32 v7, v1
	s_or_b64 exec, exec, s[18:19]
	s_and_saveexec_b64 s[18:19], s[16:17]
	s_cbranch_execnz .LBB216_1321
	s_branch .LBB216_1322
.LBB216_1339:
	s_mov_b64 s[10:11], -1
                                        ; implicit-def: $vgpr7
	s_branch .LBB216_1344
.LBB216_1340:
	s_mov_b64 s[10:11], -1
                                        ; implicit-def: $vgpr7
.LBB216_1341:
	s_and_b64 vcc, exec, s[10:11]
	s_cbranch_vccz .LBB216_1343
; %bb.1342:
	global_load_ubyte v1, v[2:3], off
	s_mov_b32 s10, 0x7f800000
	s_waitcnt vmcnt(0)
	v_lshlrev_b32_e32 v1, 24, v1
	v_and_b32_e32 v7, 0x7f000000, v1
	v_ffbh_u32_e32 v8, v7
	v_min_u32_e32 v8, 32, v8
	v_sub_u32_e64 v8, v8, 4 clamp
	v_lshlrev_b32_e32 v10, v8, v7
	v_lshlrev_b32_e32 v8, 23, v8
	v_lshrrev_b32_e32 v10, 4, v10
	v_add_u32_e32 v9, 0x1000000, v7
	v_sub_u32_e32 v8, v10, v8
	v_ashrrev_i32_e32 v9, 8, v9
	v_add_u32_e32 v8, 0x3c000000, v8
	v_and_or_b32 v8, v9, s10, v8
	v_cmp_ne_u32_e32 vcc, 0, v7
	s_brev_b32 s10, 1
	s_nop 0
	v_cndmask_b32_e32 v7, 0, v8, vcc
	v_and_or_b32 v1, v1, s10, v7
	v_cvt_f16_f32_e32 v7, v1
.LBB216_1343:
	s_mov_b64 s[10:11], 0
.LBB216_1344:
	s_andn2_b64 vcc, exec, s[10:11]
	s_cbranch_vccnz .LBB216_1346
; %bb.1345:
	global_load_ubyte v1, v[2:3], off
	s_movk_i32 s10, 0x7f00
	s_brev_b32 s11, 16
	s_waitcnt vmcnt(0)
	v_lshlrev_b16_e32 v7, 8, v1
	v_lshlrev_b32_e32 v1, 25, v1
	v_lshrrev_b32_e32 v8, 4, v1
	v_and_or_b32 v9, v7, s10, 0.5
	v_or_b32_e32 v8, 0x70000000, v8
	v_add_f32_e32 v9, -0.5, v9
	v_mul_f32_e32 v8, 0x7800000, v8
	v_cmp_gt_u32_e32 vcc, s11, v1
	v_bfe_i32 v7, v7, 0, 16
	s_brev_b32 s10, 1
	v_cndmask_b32_e32 v1, v8, v9, vcc
	v_and_or_b32 v1, v7, s10, v1
	v_cvt_f16_f32_e32 v7, v1
.LBB216_1346:
	s_mov_b64 s[10:11], 0
	s_mov_b64 s[16:17], -1
.LBB216_1347:
	s_andn2_b64 vcc, exec, s[10:11]
	s_mov_b64 s[10:11], 0
	s_cbranch_vccnz .LBB216_1358
; %bb.1348:
	s_cmp_gt_i32 s22, 14
	s_cbranch_scc0 .LBB216_1351
; %bb.1349:
	s_cmp_eq_u32 s22, 15
	s_cbranch_scc0 .LBB216_1354
; %bb.1350:
	global_load_ushort v1, v[2:3], off
	s_mov_b64 s[0:1], 0
	s_mov_b64 s[16:17], -1
	s_waitcnt vmcnt(0)
	v_lshlrev_b32_e32 v1, 16, v1
	v_cvt_f16_f32_e32 v7, v1
	s_branch .LBB216_1355
.LBB216_1351:
	s_mov_b64 s[18:19], -1
                                        ; implicit-def: $vgpr7
	s_branch .LBB216_1356
.LBB216_1352:
	s_or_saveexec_b64 s[16:17], s[16:17]
	v_mov_b32_e32 v7, 0x7e00
	s_xor_b64 exec, exec, s[16:17]
	s_cbranch_execz .LBB216_1333
.LBB216_1353:
	v_cmp_ne_u16_e32 vcc, 0, v1
	s_andn2_b64 s[10:11], s[10:11], exec
	s_and_b64 s[18:19], vcc, exec
	s_or_b64 s[10:11], s[10:11], s[18:19]
	v_mov_b32_e32 v7, v1
	s_or_b64 exec, exec, s[16:17]
	s_and_saveexec_b64 s[16:17], s[10:11]
	s_cbranch_execnz .LBB216_1334
	s_branch .LBB216_1335
.LBB216_1354:
	s_mov_b64 s[0:1], -1
                                        ; implicit-def: $vgpr7
.LBB216_1355:
	s_mov_b64 s[18:19], 0
.LBB216_1356:
	s_and_b64 vcc, exec, s[18:19]
	s_cbranch_vccz .LBB216_1358
; %bb.1357:
	s_cmp_lg_u32 s22, 11
	s_mov_b64 s[10:11], -1
	s_cselect_b64 s[0:1], -1, 0
.LBB216_1358:
	s_and_b64 vcc, exec, s[0:1]
	s_cbranch_vccnz .LBB216_1421
; %bb.1359:
	s_andn2_b64 vcc, exec, s[10:11]
	s_cbranch_vccnz .LBB216_1361
.LBB216_1360:
	global_load_ubyte v1, v[2:3], off
	v_mov_b32_e32 v7, 0x3c00
	s_mov_b64 s[16:17], -1
	s_waitcnt vmcnt(0)
	v_cmp_ne_u16_e32 vcc, 0, v1
	s_nop 1
	v_cndmask_b32_e32 v7, 0, v7, vcc
.LBB216_1361:
	s_branch .LBB216_1289
.LBB216_1362:
	s_cmp_lt_i32 s22, 5
	s_cbranch_scc1 .LBB216_1367
; %bb.1363:
	s_cmp_lt_i32 s22, 8
	s_cbranch_scc1 .LBB216_1368
; %bb.1364:
	s_cmp_lt_i32 s22, 9
	s_cbranch_scc1 .LBB216_1369
; %bb.1365:
	s_cmp_gt_i32 s22, 9
	s_cbranch_scc0 .LBB216_1370
; %bb.1366:
	global_load_dwordx2 v[8:9], v[2:3], off
	s_movk_i32 s0, 0x1ff
	s_movk_i32 s1, 0xffe
	v_mov_b32_e32 v1, 0x7c00
	v_mov_b32_e32 v7, 0x7e00
	s_movk_i32 s10, 0x40f
	s_mov_b32 s11, 0x8000
	s_waitcnt vmcnt(0)
	v_and_or_b32 v8, v9, s0, v8
	v_cmp_ne_u32_e32 vcc, 0, v8
	v_lshrrev_b32_e32 v10, 8, v9
	v_bfe_u32 v11, v9, 20, 11
	v_cndmask_b32_e64 v8, 0, 1, vcc
	v_sub_u32_e32 v12, 0x3f1, v11
	v_and_or_b32 v8, v10, s1, v8
	v_add_u32_e32 v11, 0xfffffc10, v11
	v_med3_i32 v10, v12, 0, 13
	v_or_b32_e32 v12, 0x1000, v8
	v_lshl_or_b32 v13, v11, 12, v8
	v_cmp_ne_u32_e32 vcc, 0, v8
	v_lshrrev_b32_e32 v8, v10, v12
	v_lshlrev_b32_e32 v10, v10, v8
	v_cndmask_b32_e32 v7, v1, v7, vcc
	v_cmp_ne_u32_e32 vcc, v10, v12
	v_lshrrev_b32_e32 v9, 16, v9
	s_mov_b64 s[0:1], 0
	v_cndmask_b32_e64 v10, 0, 1, vcc
	v_or_b32_e32 v8, v8, v10
	v_cmp_gt_i32_e32 vcc, 1, v11
	s_nop 1
	v_cndmask_b32_e32 v8, v13, v8, vcc
	v_and_b32_e32 v10, 7, v8
	v_cmp_lt_i32_e32 vcc, 5, v10
	v_lshrrev_b32_e32 v8, 2, v8
	s_nop 0
	v_cndmask_b32_e64 v12, 0, 1, vcc
	v_cmp_eq_u32_e32 vcc, 3, v10
	s_nop 1
	v_cndmask_b32_e64 v10, 0, 1, vcc
	v_or_b32_e32 v10, v10, v12
	v_add_u32_e32 v8, v8, v10
	v_cmp_gt_i32_e32 vcc, 31, v11
	s_nop 1
	v_cndmask_b32_e32 v1, v1, v8, vcc
	v_cmp_eq_u32_e32 vcc, s10, v11
	s_nop 1
	v_cndmask_b32_e32 v1, v1, v7, vcc
	v_and_or_b32 v7, v9, s11, v1
	s_branch .LBB216_1371
.LBB216_1367:
	s_mov_b64 s[0:1], -1
                                        ; implicit-def: $vgpr7
	s_branch .LBB216_1389
.LBB216_1368:
	s_mov_b64 s[0:1], -1
                                        ; implicit-def: $vgpr7
	s_branch .LBB216_1377
.LBB216_1369:
	s_mov_b64 s[0:1], -1
                                        ; implicit-def: $vgpr7
	s_branch .LBB216_1374
.LBB216_1370:
	s_mov_b64 s[0:1], -1
                                        ; implicit-def: $vgpr7
.LBB216_1371:
	s_andn2_b64 vcc, exec, s[0:1]
	s_cbranch_vccnz .LBB216_1373
; %bb.1372:
	global_load_dword v1, v[2:3], off
	s_waitcnt vmcnt(0)
	v_cvt_f16_f32_e32 v7, v1
.LBB216_1373:
	s_mov_b64 s[0:1], 0
.LBB216_1374:
	s_andn2_b64 vcc, exec, s[0:1]
	s_cbranch_vccnz .LBB216_1376
; %bb.1375:
	global_load_dword v7, v[2:3], off
.LBB216_1376:
	s_mov_b64 s[0:1], 0
.LBB216_1377:
	s_andn2_b64 vcc, exec, s[0:1]
	s_cbranch_vccnz .LBB216_1388
; %bb.1378:
	s_cmp_lt_i32 s22, 6
	s_cbranch_scc1 .LBB216_1381
; %bb.1379:
	s_cmp_gt_i32 s22, 6
	s_cbranch_scc0 .LBB216_1382
; %bb.1380:
	global_load_dwordx2 v[8:9], v[2:3], off
	s_movk_i32 s0, 0x1ff
	s_movk_i32 s1, 0xffe
	v_mov_b32_e32 v1, 0x7c00
	s_waitcnt vmcnt(1)
	v_mov_b32_e32 v7, 0x7e00
	s_movk_i32 s10, 0x40f
	s_mov_b32 s11, 0x8000
	s_waitcnt vmcnt(0)
	v_and_or_b32 v8, v9, s0, v8
	v_cmp_ne_u32_e32 vcc, 0, v8
	v_lshrrev_b32_e32 v10, 8, v9
	v_bfe_u32 v11, v9, 20, 11
	v_cndmask_b32_e64 v8, 0, 1, vcc
	v_sub_u32_e32 v12, 0x3f1, v11
	v_and_or_b32 v8, v10, s1, v8
	v_add_u32_e32 v11, 0xfffffc10, v11
	v_med3_i32 v10, v12, 0, 13
	v_or_b32_e32 v12, 0x1000, v8
	v_lshl_or_b32 v13, v11, 12, v8
	v_cmp_ne_u32_e32 vcc, 0, v8
	v_lshrrev_b32_e32 v8, v10, v12
	v_lshlrev_b32_e32 v10, v10, v8
	v_cndmask_b32_e32 v7, v1, v7, vcc
	v_cmp_ne_u32_e32 vcc, v10, v12
	v_lshrrev_b32_e32 v9, 16, v9
	s_mov_b64 s[0:1], 0
	v_cndmask_b32_e64 v10, 0, 1, vcc
	v_or_b32_e32 v8, v8, v10
	v_cmp_gt_i32_e32 vcc, 1, v11
	s_nop 1
	v_cndmask_b32_e32 v8, v13, v8, vcc
	v_and_b32_e32 v10, 7, v8
	v_cmp_lt_i32_e32 vcc, 5, v10
	v_lshrrev_b32_e32 v8, 2, v8
	s_nop 0
	v_cndmask_b32_e64 v12, 0, 1, vcc
	v_cmp_eq_u32_e32 vcc, 3, v10
	s_nop 1
	v_cndmask_b32_e64 v10, 0, 1, vcc
	v_or_b32_e32 v10, v10, v12
	v_add_u32_e32 v8, v8, v10
	v_cmp_gt_i32_e32 vcc, 31, v11
	s_nop 1
	v_cndmask_b32_e32 v1, v1, v8, vcc
	v_cmp_eq_u32_e32 vcc, s10, v11
	s_nop 1
	v_cndmask_b32_e32 v1, v1, v7, vcc
	v_and_or_b32 v7, v9, s11, v1
	s_branch .LBB216_1383
.LBB216_1381:
	s_mov_b64 s[0:1], -1
                                        ; implicit-def: $vgpr7
	s_branch .LBB216_1386
.LBB216_1382:
	s_mov_b64 s[0:1], -1
                                        ; implicit-def: $vgpr7
.LBB216_1383:
	s_andn2_b64 vcc, exec, s[0:1]
	s_cbranch_vccnz .LBB216_1385
; %bb.1384:
	global_load_dword v1, v[2:3], off
	s_waitcnt vmcnt(0)
	v_cvt_f16_f32_e32 v7, v1
.LBB216_1385:
	s_mov_b64 s[0:1], 0
.LBB216_1386:
	s_andn2_b64 vcc, exec, s[0:1]
	s_cbranch_vccnz .LBB216_1388
; %bb.1387:
	global_load_ushort v7, v[2:3], off
.LBB216_1388:
	s_mov_b64 s[0:1], 0
.LBB216_1389:
	s_andn2_b64 vcc, exec, s[0:1]
	s_cbranch_vccnz .LBB216_1409
; %bb.1390:
	s_cmp_lt_i32 s22, 2
	s_cbranch_scc1 .LBB216_1394
; %bb.1391:
	s_cmp_lt_i32 s22, 3
	s_cbranch_scc1 .LBB216_1395
; %bb.1392:
	s_cmp_gt_i32 s22, 3
	s_cbranch_scc0 .LBB216_1396
; %bb.1393:
	global_load_dwordx2 v[8:9], v[2:3], off
	s_mov_b64 s[0:1], 0
	s_waitcnt vmcnt(0)
	v_xor_b32_e32 v7, v8, v9
	v_ffbh_i32_e32 v1, v9
	v_ashrrev_i32_e32 v7, 31, v7
	v_add_u32_e32 v1, -1, v1
	v_add_u32_e32 v7, 32, v7
	v_min_u32_e32 v1, v1, v7
	v_lshlrev_b64 v[8:9], v1, v[8:9]
	v_min_u32_e32 v7, 1, v8
	v_or_b32_e32 v7, v9, v7
	v_cvt_f32_i32_e32 v7, v7
	v_sub_u32_e32 v1, 32, v1
	v_ldexp_f32 v1, v7, v1
	v_cvt_f16_f32_e32 v7, v1
	s_branch .LBB216_1397
.LBB216_1394:
	s_mov_b64 s[0:1], -1
                                        ; implicit-def: $vgpr7
	s_branch .LBB216_1403
.LBB216_1395:
	s_mov_b64 s[0:1], -1
                                        ; implicit-def: $vgpr7
	s_branch .LBB216_1400
.LBB216_1396:
	s_mov_b64 s[0:1], -1
                                        ; implicit-def: $vgpr7
.LBB216_1397:
	s_andn2_b64 vcc, exec, s[0:1]
	s_cbranch_vccnz .LBB216_1399
; %bb.1398:
	global_load_dword v1, v[2:3], off
	s_waitcnt vmcnt(0)
	v_cvt_f32_i32_e32 v1, v1
	v_cvt_f16_f32_e32 v7, v1
.LBB216_1399:
	s_mov_b64 s[0:1], 0
.LBB216_1400:
	s_andn2_b64 vcc, exec, s[0:1]
	s_cbranch_vccnz .LBB216_1402
; %bb.1401:
	global_load_ushort v1, v[2:3], off
	s_waitcnt vmcnt(0)
	v_cvt_f16_i16_e32 v7, v1
.LBB216_1402:
	s_mov_b64 s[0:1], 0
.LBB216_1403:
	s_andn2_b64 vcc, exec, s[0:1]
	s_cbranch_vccnz .LBB216_1409
; %bb.1404:
	s_cmp_gt_i32 s22, 0
	s_cbranch_scc0 .LBB216_1406
; %bb.1405:
	global_load_sbyte v1, v[2:3], off
	s_mov_b64 s[0:1], 0
	s_waitcnt vmcnt(0)
	v_cvt_f16_i16_e32 v7, v1
	s_branch .LBB216_1407
.LBB216_1406:
	s_mov_b64 s[0:1], -1
                                        ; implicit-def: $vgpr7
.LBB216_1407:
	s_andn2_b64 vcc, exec, s[0:1]
	s_cbranch_vccnz .LBB216_1409
; %bb.1408:
	global_load_ubyte v1, v[2:3], off
	s_waitcnt vmcnt(0)
	v_cvt_f16_u16_e32 v7, v1
.LBB216_1409:
.LBB216_1410:
	v_add_u32_e32 v0, s9, v0
	v_ashrrev_i32_e32 v1, 31, v0
	s_cmp_lt_i32 s22, 11
	v_lshl_add_u64 v[0:1], s[6:7], 0, v[0:1]
	s_cbranch_scc1 .LBB216_1417
; %bb.1411:
	s_cmp_gt_i32 s22, 25
	s_mov_b64 s[6:7], 0
	s_cbranch_scc0 .LBB216_1418
; %bb.1412:
	s_cmp_gt_i32 s22, 28
	s_cbranch_scc0 .LBB216_1419
; %bb.1413:
	s_cmp_gt_i32 s22, 43
	;; [unrolled: 3-line block ×3, first 2 shown]
	s_cbranch_scc0 .LBB216_1422
; %bb.1415:
	s_cmp_eq_u32 s22, 46
	s_mov_b64 s[16:17], 0
	s_cbranch_scc0 .LBB216_1423
; %bb.1416:
	global_load_dword v2, v[0:1], off
	s_mov_b64 s[0:1], 0
	s_mov_b64 s[10:11], -1
	s_waitcnt vmcnt(0)
	v_lshlrev_b32_e32 v2, 16, v2
	v_cvt_f16_f32_e32 v8, v2
	s_branch .LBB216_1424
.LBB216_1417:
	s_mov_b64 s[0:1], -1
	s_mov_b64 s[10:11], 0
                                        ; implicit-def: $vgpr8
	s_branch .LBB216_1490
.LBB216_1418:
	s_mov_b64 s[16:17], -1
	s_mov_b64 s[10:11], 0
	s_mov_b64 s[0:1], 0
                                        ; implicit-def: $vgpr8
	s_branch .LBB216_1453
.LBB216_1419:
	s_mov_b64 s[16:17], -1
	s_mov_b64 s[10:11], 0
	s_mov_b64 s[0:1], 0
                                        ; implicit-def: $vgpr8
	s_branch .LBB216_1434
.LBB216_1420:
	s_mov_b64 s[16:17], -1
	s_mov_b64 s[10:11], 0
	s_mov_b64 s[0:1], 0
                                        ; implicit-def: $vgpr8
	s_branch .LBB216_1429
.LBB216_1421:
	s_trap 2
	s_or_b64 s[14:15], s[14:15], exec
	s_cbranch_execz .LBB216_1360
	s_branch .LBB216_1361
.LBB216_1422:
	s_mov_b64 s[16:17], -1
	s_mov_b64 s[10:11], 0
	s_mov_b64 s[0:1], 0
                                        ; implicit-def: $vgpr8
	s_branch .LBB216_1424
.LBB216_1423:
	s_mov_b64 s[0:1], -1
                                        ; implicit-def: $vgpr8
	s_mov_b64 s[10:11], 0
.LBB216_1424:
	s_and_b64 vcc, exec, s[16:17]
	s_cbranch_vccz .LBB216_1428
; %bb.1425:
	s_cmp_eq_u32 s22, 44
	s_cbranch_scc0 .LBB216_1427
; %bb.1426:
	global_load_ubyte v2, v[0:1], off
	s_movk_i32 s9, 0xff
	v_mov_b32_e32 v8, 0x7e00
	s_mov_b64 s[0:1], 0
	s_mov_b64 s[10:11], -1
	s_waitcnt vmcnt(0)
	v_lshlrev_b32_e32 v3, 23, v2
	v_cvt_f16_f32_e32 v3, v3
	v_cmp_ne_u32_e32 vcc, s9, v2
	s_nop 1
	v_cndmask_b32_e32 v3, v8, v3, vcc
	v_cmp_ne_u32_e32 vcc, 0, v2
	s_nop 1
	v_cndmask_b32_e32 v8, 0, v3, vcc
	s_branch .LBB216_1428
.LBB216_1427:
	s_mov_b64 s[0:1], -1
                                        ; implicit-def: $vgpr8
.LBB216_1428:
	s_mov_b64 s[16:17], 0
.LBB216_1429:
	s_and_b64 vcc, exec, s[16:17]
	s_cbranch_vccz .LBB216_1433
; %bb.1430:
	s_cmp_eq_u32 s22, 29
	s_cbranch_scc0 .LBB216_1432
; %bb.1431:
	global_load_dwordx2 v[2:3], v[0:1], off
	s_mov_b64 s[0:1], 0
	s_mov_b64 s[10:11], -1
	s_mov_b64 s[16:17], 0
	s_waitcnt vmcnt(0)
	v_ffbh_u32_e32 v8, v3
	v_min_u32_e32 v8, 32, v8
	v_lshlrev_b64 v[2:3], v8, v[2:3]
	v_min_u32_e32 v2, 1, v2
	v_or_b32_e32 v2, v3, v2
	v_cvt_f32_u32_e32 v2, v2
	v_sub_u32_e32 v3, 32, v8
	v_ldexp_f32 v2, v2, v3
	v_cvt_f16_f32_e32 v8, v2
	s_branch .LBB216_1434
.LBB216_1432:
	s_mov_b64 s[0:1], -1
                                        ; implicit-def: $vgpr8
.LBB216_1433:
	s_mov_b64 s[16:17], 0
.LBB216_1434:
	s_and_b64 vcc, exec, s[16:17]
	s_cbranch_vccz .LBB216_1452
; %bb.1435:
	s_cmp_lt_i32 s22, 27
	s_cbranch_scc1 .LBB216_1438
; %bb.1436:
	s_cmp_gt_i32 s22, 27
	s_cbranch_scc0 .LBB216_1439
; %bb.1437:
	global_load_dword v2, v[0:1], off
	s_mov_b64 s[10:11], 0
	s_waitcnt vmcnt(0)
	v_cvt_f32_u32_e32 v2, v2
	v_cvt_f16_f32_e32 v8, v2
	s_branch .LBB216_1440
.LBB216_1438:
	s_mov_b64 s[10:11], -1
                                        ; implicit-def: $vgpr8
	s_branch .LBB216_1443
.LBB216_1439:
	s_mov_b64 s[10:11], -1
                                        ; implicit-def: $vgpr8
.LBB216_1440:
	s_andn2_b64 vcc, exec, s[10:11]
	s_cbranch_vccnz .LBB216_1442
; %bb.1441:
	global_load_ushort v2, v[0:1], off
	s_waitcnt vmcnt(0)
	v_cvt_f16_u16_e32 v8, v2
.LBB216_1442:
	s_mov_b64 s[10:11], 0
.LBB216_1443:
	s_andn2_b64 vcc, exec, s[10:11]
	s_cbranch_vccnz .LBB216_1451
; %bb.1444:
	global_load_ubyte v2, v[0:1], off
	s_movk_i32 s9, 0x7f
	s_mov_b64 s[10:11], 0
	s_waitcnt vmcnt(0)
	v_cmp_lt_i16_e32 vcc, s9, v2
	s_and_saveexec_b64 s[16:17], vcc
	s_xor_b64 s[16:17], exec, s[16:17]
	s_cbranch_execz .LBB216_1465
; %bb.1445:
	s_movk_i32 s9, 0x80
	v_cmp_eq_u16_e32 vcc, s9, v2
	s_mov_b64 s[10:11], -1
	s_and_saveexec_b64 s[18:19], vcc
; %bb.1446:
	s_xor_b64 s[10:11], exec, -1
; %bb.1447:
	s_or_b64 exec, exec, s[18:19]
	s_and_b64 s[10:11], s[10:11], exec
	s_or_saveexec_b64 s[16:17], s[16:17]
	v_mov_b32_e32 v8, 0x7e00
	s_xor_b64 exec, exec, s[16:17]
	s_cbranch_execnz .LBB216_1466
.LBB216_1448:
	s_or_b64 exec, exec, s[16:17]
	s_and_saveexec_b64 s[16:17], s[10:11]
	s_cbranch_execz .LBB216_1450
.LBB216_1449:
	v_lshlrev_b32_e32 v3, 24, v2
	v_and_b32_e32 v2, 0xffff, v2
	v_and_b32_e32 v8, 7, v2
	v_ffbh_u32_e32 v10, v8
	v_min_u32_e32 v10, 32, v10
	v_subrev_u32_e32 v11, 28, v10
	v_bfe_u32 v9, v2, 3, 4
	v_lshlrev_b32_e32 v2, v11, v2
	v_sub_u32_e32 v10, 29, v10
	v_and_b32_e32 v2, 7, v2
	v_cmp_eq_u32_e32 vcc, 0, v9
	v_and_b32_e32 v3, 0x80000000, v3
	s_nop 0
	v_cndmask_b32_e32 v9, v9, v10, vcc
	v_cndmask_b32_e32 v2, v8, v2, vcc
	v_mov_b32_e32 v8, 0x3b800000
	v_lshlrev_b32_e32 v2, 20, v2
	v_lshl_add_u32 v8, v9, 23, v8
	v_or3_b32 v2, v3, v8, v2
	v_cvt_f16_f32_e32 v8, v2
.LBB216_1450:
	s_or_b64 exec, exec, s[16:17]
.LBB216_1451:
	s_mov_b64 s[10:11], -1
.LBB216_1452:
	s_mov_b64 s[16:17], 0
.LBB216_1453:
	s_and_b64 vcc, exec, s[16:17]
	s_cbranch_vccz .LBB216_1486
; %bb.1454:
	s_cmp_gt_i32 s22, 22
	s_cbranch_scc0 .LBB216_1464
; %bb.1455:
	s_cmp_lt_i32 s22, 24
	s_cbranch_scc1 .LBB216_1467
; %bb.1456:
	s_cmp_gt_i32 s22, 24
	s_cbranch_scc0 .LBB216_1468
; %bb.1457:
	global_load_ubyte v2, v[0:1], off
	s_movk_i32 s6, 0x7f
	s_waitcnt vmcnt(0)
	v_cmp_lt_i16_e32 vcc, s6, v2
	s_mov_b64 s[6:7], 0
	s_and_saveexec_b64 s[10:11], vcc
	s_xor_b64 s[10:11], exec, s[10:11]
	s_cbranch_execz .LBB216_1480
; %bb.1458:
	s_movk_i32 s6, 0x80
	v_cmp_eq_u16_e32 vcc, s6, v2
	s_mov_b64 s[6:7], -1
	s_and_saveexec_b64 s[16:17], vcc
; %bb.1459:
	s_xor_b64 s[6:7], exec, -1
; %bb.1460:
	s_or_b64 exec, exec, s[16:17]
	s_and_b64 s[6:7], s[6:7], exec
	s_or_saveexec_b64 s[10:11], s[10:11]
	v_mov_b32_e32 v8, 0x7e00
	s_xor_b64 exec, exec, s[10:11]
	s_cbranch_execnz .LBB216_1481
.LBB216_1461:
	s_or_b64 exec, exec, s[10:11]
	s_and_saveexec_b64 s[10:11], s[6:7]
	s_cbranch_execz .LBB216_1463
.LBB216_1462:
	v_lshlrev_b32_e32 v3, 24, v2
	v_and_b32_e32 v2, 0xffff, v2
	v_and_b32_e32 v8, 3, v2
	v_ffbh_u32_e32 v10, v8
	v_min_u32_e32 v10, 32, v10
	v_subrev_u32_e32 v11, 29, v10
	v_bfe_u32 v9, v2, 2, 5
	v_lshlrev_b32_e32 v2, v11, v2
	v_sub_u32_e32 v10, 30, v10
	v_and_b32_e32 v2, 3, v2
	v_cmp_eq_u32_e32 vcc, 0, v9
	v_and_b32_e32 v3, 0x80000000, v3
	s_nop 0
	v_cndmask_b32_e32 v9, v9, v10, vcc
	v_cndmask_b32_e32 v2, v8, v2, vcc
	v_mov_b32_e32 v8, 0x37800000
	v_lshlrev_b32_e32 v2, 21, v2
	v_lshl_add_u32 v8, v9, 23, v8
	v_or3_b32 v2, v3, v8, v2
	v_cvt_f16_f32_e32 v8, v2
.LBB216_1463:
	s_or_b64 exec, exec, s[10:11]
	s_mov_b64 s[6:7], 0
	s_branch .LBB216_1469
.LBB216_1464:
	s_mov_b64 s[6:7], -1
                                        ; implicit-def: $vgpr8
	s_branch .LBB216_1475
.LBB216_1465:
	s_or_saveexec_b64 s[16:17], s[16:17]
	v_mov_b32_e32 v8, 0x7e00
	s_xor_b64 exec, exec, s[16:17]
	s_cbranch_execz .LBB216_1448
.LBB216_1466:
	v_cmp_ne_u16_e32 vcc, 0, v2
	s_andn2_b64 s[10:11], s[10:11], exec
	s_and_b64 s[18:19], vcc, exec
	s_or_b64 s[10:11], s[10:11], s[18:19]
	v_mov_b32_e32 v8, v2
	s_or_b64 exec, exec, s[16:17]
	s_and_saveexec_b64 s[16:17], s[10:11]
	s_cbranch_execnz .LBB216_1449
	s_branch .LBB216_1450
.LBB216_1467:
	s_mov_b64 s[6:7], -1
                                        ; implicit-def: $vgpr8
	s_branch .LBB216_1472
.LBB216_1468:
	s_mov_b64 s[6:7], -1
                                        ; implicit-def: $vgpr8
.LBB216_1469:
	s_and_b64 vcc, exec, s[6:7]
	s_cbranch_vccz .LBB216_1471
; %bb.1470:
	global_load_ubyte v2, v[0:1], off
	s_mov_b32 s6, 0x7f800000
	s_waitcnt vmcnt(0)
	v_lshlrev_b32_e32 v2, 24, v2
	v_and_b32_e32 v3, 0x7f000000, v2
	v_ffbh_u32_e32 v8, v3
	v_min_u32_e32 v8, 32, v8
	v_sub_u32_e64 v8, v8, 4 clamp
	v_lshlrev_b32_e32 v10, v8, v3
	v_lshlrev_b32_e32 v8, 23, v8
	v_lshrrev_b32_e32 v10, 4, v10
	v_add_u32_e32 v9, 0x1000000, v3
	v_sub_u32_e32 v8, v10, v8
	v_ashrrev_i32_e32 v9, 8, v9
	v_add_u32_e32 v8, 0x3c000000, v8
	v_and_or_b32 v8, v9, s6, v8
	v_cmp_ne_u32_e32 vcc, 0, v3
	s_brev_b32 s6, 1
	s_nop 0
	v_cndmask_b32_e32 v3, 0, v8, vcc
	v_and_or_b32 v2, v2, s6, v3
	v_cvt_f16_f32_e32 v8, v2
.LBB216_1471:
	s_mov_b64 s[6:7], 0
.LBB216_1472:
	s_andn2_b64 vcc, exec, s[6:7]
	s_cbranch_vccnz .LBB216_1474
; %bb.1473:
	global_load_ubyte v2, v[0:1], off
	s_movk_i32 s6, 0x7f00
	s_brev_b32 s7, 16
	s_waitcnt vmcnt(0)
	v_lshlrev_b16_e32 v3, 8, v2
	v_lshlrev_b32_e32 v2, 25, v2
	v_lshrrev_b32_e32 v8, 4, v2
	v_and_or_b32 v9, v3, s6, 0.5
	v_or_b32_e32 v8, 0x70000000, v8
	v_add_f32_e32 v9, -0.5, v9
	v_mul_f32_e32 v8, 0x7800000, v8
	v_cmp_gt_u32_e32 vcc, s7, v2
	v_bfe_i32 v3, v3, 0, 16
	s_brev_b32 s6, 1
	v_cndmask_b32_e32 v2, v8, v9, vcc
	v_and_or_b32 v2, v3, s6, v2
	v_cvt_f16_f32_e32 v8, v2
.LBB216_1474:
	s_mov_b64 s[6:7], 0
	s_mov_b64 s[10:11], -1
.LBB216_1475:
	s_andn2_b64 vcc, exec, s[6:7]
	s_mov_b64 s[6:7], 0
	s_cbranch_vccnz .LBB216_1486
; %bb.1476:
	s_cmp_gt_i32 s22, 14
	s_cbranch_scc0 .LBB216_1479
; %bb.1477:
	s_cmp_eq_u32 s22, 15
	s_cbranch_scc0 .LBB216_1482
; %bb.1478:
	global_load_ushort v2, v[0:1], off
	s_mov_b64 s[0:1], 0
	s_mov_b64 s[10:11], -1
	s_waitcnt vmcnt(0)
	v_lshlrev_b32_e32 v2, 16, v2
	v_cvt_f16_f32_e32 v8, v2
	s_branch .LBB216_1483
.LBB216_1479:
	s_mov_b64 s[16:17], -1
                                        ; implicit-def: $vgpr8
	s_branch .LBB216_1484
.LBB216_1480:
	s_or_saveexec_b64 s[10:11], s[10:11]
	v_mov_b32_e32 v8, 0x7e00
	s_xor_b64 exec, exec, s[10:11]
	s_cbranch_execz .LBB216_1461
.LBB216_1481:
	v_cmp_ne_u16_e32 vcc, 0, v2
	s_andn2_b64 s[6:7], s[6:7], exec
	s_and_b64 s[16:17], vcc, exec
	s_or_b64 s[6:7], s[6:7], s[16:17]
	v_mov_b32_e32 v8, v2
	s_or_b64 exec, exec, s[10:11]
	s_and_saveexec_b64 s[10:11], s[6:7]
	s_cbranch_execnz .LBB216_1462
	s_branch .LBB216_1463
.LBB216_1482:
	s_mov_b64 s[0:1], -1
                                        ; implicit-def: $vgpr8
.LBB216_1483:
	s_mov_b64 s[16:17], 0
.LBB216_1484:
	s_and_b64 vcc, exec, s[16:17]
	s_cbranch_vccz .LBB216_1486
; %bb.1485:
	s_cmp_lg_u32 s22, 11
	s_mov_b64 s[6:7], -1
	s_cselect_b64 s[0:1], -1, 0
.LBB216_1486:
	s_and_b64 vcc, exec, s[0:1]
	s_cbranch_vccnz .LBB216_2019
; %bb.1487:
	s_andn2_b64 vcc, exec, s[6:7]
	s_cbranch_vccnz .LBB216_1489
.LBB216_1488:
	global_load_ubyte v2, v[0:1], off
	v_mov_b32_e32 v3, 0x3c00
	s_mov_b64 s[10:11], -1
	s_waitcnt vmcnt(0)
	v_cmp_ne_u16_e32 vcc, 0, v2
	s_nop 1
	v_cndmask_b32_e32 v8, 0, v3, vcc
.LBB216_1489:
	s_mov_b64 s[0:1], 0
.LBB216_1490:
	s_and_b64 vcc, exec, s[0:1]
	s_cbranch_vccz .LBB216_1539
; %bb.1491:
	s_cmp_lt_i32 s22, 5
	s_cbranch_scc1 .LBB216_1496
; %bb.1492:
	s_cmp_lt_i32 s22, 8
	s_cbranch_scc1 .LBB216_1497
	;; [unrolled: 3-line block ×3, first 2 shown]
; %bb.1494:
	s_cmp_gt_i32 s22, 9
	s_cbranch_scc0 .LBB216_1499
; %bb.1495:
	global_load_dwordx2 v[2:3], v[0:1], off
	s_movk_i32 s0, 0x1ff
	s_movk_i32 s1, 0xffe
	v_mov_b32_e32 v8, 0x7c00
	v_mov_b32_e32 v9, 0x7e00
	s_movk_i32 s6, 0x40f
	s_mov_b32 s7, 0x8000
	s_waitcnt vmcnt(0)
	v_and_or_b32 v2, v3, s0, v2
	v_cmp_ne_u32_e32 vcc, 0, v2
	v_lshrrev_b32_e32 v10, 8, v3
	v_bfe_u32 v11, v3, 20, 11
	v_cndmask_b32_e64 v2, 0, 1, vcc
	v_sub_u32_e32 v12, 0x3f1, v11
	v_and_or_b32 v2, v10, s1, v2
	v_add_u32_e32 v11, 0xfffffc10, v11
	v_med3_i32 v10, v12, 0, 13
	v_or_b32_e32 v12, 0x1000, v2
	v_cmp_ne_u32_e32 vcc, 0, v2
	v_lshl_or_b32 v13, v11, 12, v2
	v_lshrrev_b32_e32 v3, 16, v3
	v_cndmask_b32_e32 v2, v8, v9, vcc
	v_lshrrev_b32_e32 v9, v10, v12
	v_lshlrev_b32_e32 v10, v10, v9
	v_cmp_ne_u32_e32 vcc, v10, v12
	s_mov_b64 s[0:1], 0
	s_nop 0
	v_cndmask_b32_e64 v10, 0, 1, vcc
	v_or_b32_e32 v9, v9, v10
	v_cmp_gt_i32_e32 vcc, 1, v11
	s_nop 1
	v_cndmask_b32_e32 v9, v13, v9, vcc
	v_and_b32_e32 v10, 7, v9
	v_cmp_lt_i32_e32 vcc, 5, v10
	v_lshrrev_b32_e32 v9, 2, v9
	s_nop 0
	v_cndmask_b32_e64 v12, 0, 1, vcc
	v_cmp_eq_u32_e32 vcc, 3, v10
	s_nop 1
	v_cndmask_b32_e64 v10, 0, 1, vcc
	v_or_b32_e32 v10, v10, v12
	v_add_u32_e32 v9, v9, v10
	v_cmp_gt_i32_e32 vcc, 31, v11
	s_nop 1
	v_cndmask_b32_e32 v8, v8, v9, vcc
	v_cmp_eq_u32_e32 vcc, s6, v11
	s_nop 1
	v_cndmask_b32_e32 v2, v8, v2, vcc
	v_and_or_b32 v8, v3, s7, v2
	s_branch .LBB216_1500
.LBB216_1496:
	s_mov_b64 s[0:1], -1
                                        ; implicit-def: $vgpr8
	s_branch .LBB216_1518
.LBB216_1497:
	s_mov_b64 s[0:1], -1
                                        ; implicit-def: $vgpr8
	s_branch .LBB216_1506
.LBB216_1498:
	s_mov_b64 s[0:1], -1
                                        ; implicit-def: $vgpr8
	s_branch .LBB216_1503
.LBB216_1499:
	s_mov_b64 s[0:1], -1
                                        ; implicit-def: $vgpr8
.LBB216_1500:
	s_andn2_b64 vcc, exec, s[0:1]
	s_cbranch_vccnz .LBB216_1502
; %bb.1501:
	global_load_dword v2, v[0:1], off
	s_waitcnt vmcnt(0)
	v_cvt_f16_f32_e32 v8, v2
.LBB216_1502:
	s_mov_b64 s[0:1], 0
.LBB216_1503:
	s_andn2_b64 vcc, exec, s[0:1]
	s_cbranch_vccnz .LBB216_1505
; %bb.1504:
	global_load_dword v8, v[0:1], off
.LBB216_1505:
	s_mov_b64 s[0:1], 0
.LBB216_1506:
	s_andn2_b64 vcc, exec, s[0:1]
	s_cbranch_vccnz .LBB216_1517
; %bb.1507:
	s_cmp_lt_i32 s22, 6
	s_cbranch_scc1 .LBB216_1510
; %bb.1508:
	s_cmp_gt_i32 s22, 6
	s_cbranch_scc0 .LBB216_1511
; %bb.1509:
	global_load_dwordx2 v[2:3], v[0:1], off
	s_movk_i32 s0, 0x1ff
	s_movk_i32 s1, 0xffe
	s_waitcnt vmcnt(1)
	v_mov_b32_e32 v8, 0x7c00
	v_mov_b32_e32 v9, 0x7e00
	s_movk_i32 s6, 0x40f
	s_mov_b32 s7, 0x8000
	s_waitcnt vmcnt(0)
	v_and_or_b32 v2, v3, s0, v2
	v_cmp_ne_u32_e32 vcc, 0, v2
	v_lshrrev_b32_e32 v10, 8, v3
	v_bfe_u32 v11, v3, 20, 11
	v_cndmask_b32_e64 v2, 0, 1, vcc
	v_sub_u32_e32 v12, 0x3f1, v11
	v_and_or_b32 v2, v10, s1, v2
	v_add_u32_e32 v11, 0xfffffc10, v11
	v_med3_i32 v10, v12, 0, 13
	v_or_b32_e32 v12, 0x1000, v2
	v_cmp_ne_u32_e32 vcc, 0, v2
	v_lshl_or_b32 v13, v11, 12, v2
	v_lshrrev_b32_e32 v3, 16, v3
	v_cndmask_b32_e32 v2, v8, v9, vcc
	v_lshrrev_b32_e32 v9, v10, v12
	v_lshlrev_b32_e32 v10, v10, v9
	v_cmp_ne_u32_e32 vcc, v10, v12
	s_mov_b64 s[0:1], 0
	s_nop 0
	v_cndmask_b32_e64 v10, 0, 1, vcc
	v_or_b32_e32 v9, v9, v10
	v_cmp_gt_i32_e32 vcc, 1, v11
	s_nop 1
	v_cndmask_b32_e32 v9, v13, v9, vcc
	v_and_b32_e32 v10, 7, v9
	v_cmp_lt_i32_e32 vcc, 5, v10
	v_lshrrev_b32_e32 v9, 2, v9
	s_nop 0
	v_cndmask_b32_e64 v12, 0, 1, vcc
	v_cmp_eq_u32_e32 vcc, 3, v10
	s_nop 1
	v_cndmask_b32_e64 v10, 0, 1, vcc
	v_or_b32_e32 v10, v10, v12
	v_add_u32_e32 v9, v9, v10
	v_cmp_gt_i32_e32 vcc, 31, v11
	s_nop 1
	v_cndmask_b32_e32 v8, v8, v9, vcc
	v_cmp_eq_u32_e32 vcc, s6, v11
	s_nop 1
	v_cndmask_b32_e32 v2, v8, v2, vcc
	v_and_or_b32 v8, v3, s7, v2
	s_branch .LBB216_1512
.LBB216_1510:
	s_mov_b64 s[0:1], -1
                                        ; implicit-def: $vgpr8
	s_branch .LBB216_1515
.LBB216_1511:
	s_mov_b64 s[0:1], -1
                                        ; implicit-def: $vgpr8
.LBB216_1512:
	s_andn2_b64 vcc, exec, s[0:1]
	s_cbranch_vccnz .LBB216_1514
; %bb.1513:
	global_load_dword v2, v[0:1], off
	s_waitcnt vmcnt(0)
	v_cvt_f16_f32_e32 v8, v2
.LBB216_1514:
	s_mov_b64 s[0:1], 0
.LBB216_1515:
	s_andn2_b64 vcc, exec, s[0:1]
	s_cbranch_vccnz .LBB216_1517
; %bb.1516:
	global_load_ushort v8, v[0:1], off
.LBB216_1517:
	s_mov_b64 s[0:1], 0
.LBB216_1518:
	s_andn2_b64 vcc, exec, s[0:1]
	s_cbranch_vccnz .LBB216_1538
; %bb.1519:
	s_cmp_lt_i32 s22, 2
	s_cbranch_scc1 .LBB216_1523
; %bb.1520:
	s_cmp_lt_i32 s22, 3
	s_cbranch_scc1 .LBB216_1524
; %bb.1521:
	s_cmp_gt_i32 s22, 3
	s_cbranch_scc0 .LBB216_1525
; %bb.1522:
	global_load_dwordx2 v[2:3], v[0:1], off
	s_mov_b64 s[0:1], 0
	s_waitcnt vmcnt(0)
	v_xor_b32_e32 v9, v2, v3
	v_ffbh_i32_e32 v8, v3
	v_ashrrev_i32_e32 v9, 31, v9
	v_add_u32_e32 v8, -1, v8
	v_add_u32_e32 v9, 32, v9
	v_min_u32_e32 v8, v8, v9
	v_lshlrev_b64 v[2:3], v8, v[2:3]
	v_min_u32_e32 v2, 1, v2
	v_or_b32_e32 v2, v3, v2
	v_cvt_f32_i32_e32 v2, v2
	v_sub_u32_e32 v3, 32, v8
	v_ldexp_f32 v2, v2, v3
	v_cvt_f16_f32_e32 v8, v2
	s_branch .LBB216_1526
.LBB216_1523:
	s_mov_b64 s[0:1], -1
                                        ; implicit-def: $vgpr8
	s_branch .LBB216_1532
.LBB216_1524:
	s_mov_b64 s[0:1], -1
                                        ; implicit-def: $vgpr8
	s_branch .LBB216_1529
.LBB216_1525:
	s_mov_b64 s[0:1], -1
                                        ; implicit-def: $vgpr8
.LBB216_1526:
	s_andn2_b64 vcc, exec, s[0:1]
	s_cbranch_vccnz .LBB216_1528
; %bb.1527:
	global_load_dword v2, v[0:1], off
	s_waitcnt vmcnt(0)
	v_cvt_f32_i32_e32 v2, v2
	v_cvt_f16_f32_e32 v8, v2
.LBB216_1528:
	s_mov_b64 s[0:1], 0
.LBB216_1529:
	s_andn2_b64 vcc, exec, s[0:1]
	s_cbranch_vccnz .LBB216_1531
; %bb.1530:
	global_load_ushort v2, v[0:1], off
	s_waitcnt vmcnt(0)
	v_cvt_f16_i16_e32 v8, v2
.LBB216_1531:
	s_mov_b64 s[0:1], 0
.LBB216_1532:
	s_andn2_b64 vcc, exec, s[0:1]
	s_cbranch_vccnz .LBB216_1538
; %bb.1533:
	s_cmp_gt_i32 s22, 0
	s_cbranch_scc0 .LBB216_1535
; %bb.1534:
	global_load_sbyte v2, v[0:1], off
	s_mov_b64 s[0:1], 0
	s_waitcnt vmcnt(0)
	v_cvt_f16_i16_e32 v8, v2
	s_branch .LBB216_1536
.LBB216_1535:
	s_mov_b64 s[0:1], -1
                                        ; implicit-def: $vgpr8
.LBB216_1536:
	s_andn2_b64 vcc, exec, s[0:1]
	s_cbranch_vccnz .LBB216_1538
; %bb.1537:
	global_load_ubyte v0, v[0:1], off
	s_waitcnt vmcnt(0)
	v_cvt_f16_u16_e32 v8, v0
.LBB216_1538:
	s_mov_b64 s[10:11], -1
.LBB216_1539:
	s_andn2_b64 vcc, exec, s[10:11]
	s_cbranch_vccnz .LBB216_1973
; %bb.1540:
	s_waitcnt vmcnt(0)
	v_cvt_f32_f16_e32 v0, v5
	s_mov_b32 s0, 0
	s_mov_b32 s1, 0x3fd80000
	v_mov_b32_e32 v5, 0x180
	v_cvt_f64_f32_e32 v[0:1], v0
	v_rsq_f64_e32 v[2:3], v[0:1]
	s_and_b32 s20, s33, 0xff
	s_cmp_lt_i32 s20, 11
	v_mul_f64 v[0:1], v[2:3], -v[0:1]
	v_fma_f64 v[0:1], v[0:1], v[2:3], 1.0
	v_mul_f64 v[10:11], v[2:3], v[0:1]
	v_fma_f64 v[0:1], v[0:1], s[0:1], 0.5
	v_fma_f64 v[0:1], v[10:11], v[0:1], v[2:3]
	v_cmp_class_f64_e32 vcc, v[2:3], v5
	s_movk_i32 s0, 0x1ff
	s_nop 0
	v_cndmask_b32_e32 v0, v2, v0, vcc
	v_cndmask_b32_e32 v1, v3, v1, vcc
	v_and_or_b32 v0, v1, s0, v0
	v_cmp_ne_u32_e32 vcc, 0, v0
	v_lshrrev_b32_e32 v2, 8, v1
	s_movk_i32 s0, 0xffe
	v_cndmask_b32_e64 v0, 0, 1, vcc
	v_bfe_u32 v3, v1, 20, 11
	v_and_or_b32 v0, v2, s0, v0
	v_sub_u32_e32 v5, 0x3f1, v3
	v_or_b32_e32 v2, 0x1000, v0
	v_med3_i32 v5, v5, 0, 13
	v_lshrrev_b32_e32 v9, v5, v2
	v_lshlrev_b32_e32 v5, v5, v9
	v_cmp_ne_u32_e32 vcc, v5, v2
	v_add_u32_e32 v3, 0xfffffc10, v3
	v_lshl_or_b32 v5, v3, 12, v0
	v_cndmask_b32_e64 v2, 0, 1, vcc
	v_or_b32_e32 v2, v9, v2
	v_cmp_gt_i32_e32 vcc, 1, v3
	s_movk_i32 s0, 0x40f
	v_lshrrev_b32_e32 v1, 16, v1
	v_cndmask_b32_e32 v2, v5, v2, vcc
	v_and_b32_e32 v5, 7, v2
	v_cmp_lt_i32_e32 vcc, 5, v5
	v_lshrrev_b32_e32 v2, 2, v2
	s_nop 0
	v_cndmask_b32_e64 v9, 0, 1, vcc
	v_cmp_eq_u32_e32 vcc, 3, v5
	s_nop 1
	v_cndmask_b32_e64 v5, 0, 1, vcc
	v_or_b32_e32 v5, v5, v9
	v_add_u32_e32 v2, v2, v5
	v_mov_b32_e32 v5, 0x7c00
	v_cmp_gt_i32_e32 vcc, 31, v3
	v_mov_b32_e32 v9, 0x7e00
	s_nop 0
	v_cndmask_b32_e32 v2, v5, v2, vcc
	v_cmp_ne_u32_e32 vcc, 0, v0
	s_nop 1
	v_cndmask_b32_e32 v0, v5, v9, vcc
	v_cmp_eq_u32_e32 vcc, s0, v3
	s_mov_b32 s0, 0x8000
	s_nop 0
	v_cndmask_b32_e32 v0, v2, v0, vcc
	v_and_or_b32 v5, v1, s0, v0
	v_mul_lo_u32 v0, s8, v4
	v_ashrrev_i32_e32 v1, 31, v0
	v_lshl_add_u64 v[2:3], s[4:5], 0, v[0:1]
	s_cbranch_scc1 .LBB216_1618
; %bb.1541:
	s_and_b32 s9, 0xffff, s20
	s_mov_b64 s[16:17], -1
	s_mov_b64 s[6:7], 0
	s_cmp_gt_i32 s9, 25
	s_mov_b64 s[10:11], 0
	s_mov_b64 s[0:1], 0
	s_cbranch_scc0 .LBB216_1574
; %bb.1542:
	s_cmp_gt_i32 s9, 28
	s_cbranch_scc0 .LBB216_1557
; %bb.1543:
	s_cmp_gt_i32 s9, 43
	;; [unrolled: 3-line block ×3, first 2 shown]
	s_cbranch_scc0 .LBB216_1547
; %bb.1545:
	s_mov_b64 s[0:1], -1
	s_mov_b64 s[16:17], 0
	s_cmp_eq_u32 s9, 46
	s_cbranch_scc0 .LBB216_1547
; %bb.1546:
	v_cvt_f32_f16_e32 v1, v5
	s_movk_i32 s0, 0x7fff
	v_cmp_o_f16_e32 vcc, v5, v5
	v_mov_b32_e32 v4, 0x7fc0
	v_bfe_u32 v9, v1, 16, 1
	v_add3_u32 v1, v1, v9, s0
	v_cndmask_b32_sdwa v1, v4, v1, vcc dst_sel:DWORD dst_unused:UNUSED_PAD src0_sel:DWORD src1_sel:WORD_1
	global_store_dword v[2:3], v1, off
	s_mov_b64 s[0:1], 0
	s_mov_b64 s[10:11], -1
.LBB216_1547:
	s_and_b64 vcc, exec, s[16:17]
	s_cbranch_vccz .LBB216_1552
; %bb.1548:
	s_cmp_eq_u32 s9, 44
	s_mov_b64 s[0:1], -1
	s_cbranch_scc0 .LBB216_1552
; %bb.1549:
	v_cvt_f32_f16_e32 v1, v5
	s_movk_i32 s0, 0xff
	v_mov_b32_e32 v9, 0xff
	v_bfe_u32 v4, v1, 23, 8
	v_cmp_ne_u32_e32 vcc, s0, v4
	s_and_saveexec_b64 s[10:11], vcc
; %bb.1550:
	s_mov_b32 s0, 0x3fffff
	v_lshrrev_b32_e32 v9, 23, v1
	v_and_b32_e32 v10, 0x400000, v1
	v_and_or_b32 v1, v1, s0, v4
	v_cmp_ne_u32_e32 vcc, 0, v10
	v_cmp_ne_u32_e64 s[0:1], 0, v1
	s_and_b64 s[0:1], vcc, s[0:1]
	s_nop 0
	v_cndmask_b32_e64 v1, 0, 1, s[0:1]
	v_add_u32_e32 v9, v9, v1
; %bb.1551:
	s_or_b64 exec, exec, s[10:11]
	s_mov_b64 s[0:1], 0
	s_mov_b64 s[10:11], -1
	global_store_byte v[2:3], v9, off
.LBB216_1552:
	s_mov_b64 s[16:17], 0
.LBB216_1553:
	s_and_b64 vcc, exec, s[16:17]
	s_cbranch_vccz .LBB216_1556
; %bb.1554:
	s_cmp_eq_u32 s9, 29
	s_mov_b64 s[0:1], -1
	s_cbranch_scc0 .LBB216_1556
; %bb.1555:
	v_cvt_f32_f16_e32 v1, v5
	v_mov_b32_e32 v11, 0
	s_mov_b64 s[0:1], 0
	s_mov_b64 s[10:11], -1
	v_cvt_u32_f32_e32 v10, v1
	global_store_dwordx2 v[2:3], v[10:11], off
.LBB216_1556:
	s_mov_b64 s[16:17], 0
.LBB216_1557:
	s_and_b64 vcc, exec, s[16:17]
	s_cbranch_vccz .LBB216_1573
; %bb.1558:
	s_cmp_lt_i32 s9, 27
	s_mov_b64 s[10:11], -1
	s_cbranch_scc1 .LBB216_1564
; %bb.1559:
	s_cmp_gt_i32 s9, 27
	s_cbranch_scc0 .LBB216_1561
; %bb.1560:
	v_cvt_f32_f16_e32 v1, v5
	s_mov_b64 s[10:11], 0
	v_cvt_u32_f32_e32 v1, v1
	global_store_dword v[2:3], v1, off
.LBB216_1561:
	s_andn2_b64 vcc, exec, s[10:11]
	s_cbranch_vccnz .LBB216_1563
; %bb.1562:
	v_cvt_u16_f16_e32 v1, v5
	global_store_short v[2:3], v1, off
.LBB216_1563:
	s_mov_b64 s[10:11], 0
.LBB216_1564:
	s_andn2_b64 vcc, exec, s[10:11]
	s_cbranch_vccnz .LBB216_1572
; %bb.1565:
	v_cvt_f32_f16_e32 v1, v5
	s_mov_b32 s10, 0x43800000
	v_mov_b32_e32 v9, 0x80
	v_and_b32_e32 v4, 0x7fffffff, v1
	v_cmp_gt_u32_e32 vcc, s10, v4
	s_and_saveexec_b64 s[10:11], vcc
	s_cbranch_execz .LBB216_1571
; %bb.1566:
	s_mov_b32 s16, 0x3bffffff
	v_cmp_lt_u32_e32 vcc, s16, v4
	s_mov_b64 s[16:17], 0
                                        ; implicit-def: $vgpr4
	s_and_saveexec_b64 s[18:19], vcc
	s_xor_b64 s[18:19], exec, s[18:19]
	s_cbranch_execz .LBB216_2020
; %bb.1567:
	v_bfe_u32 v4, v1, 20, 1
	s_mov_b32 s21, 0x487ffff
	v_add3_u32 v4, v1, v4, s21
	s_mov_b64 s[16:17], exec
	v_lshrrev_b32_e32 v4, 20, v4
	s_andn2_saveexec_b64 s[18:19], s[18:19]
	s_cbranch_execnz .LBB216_2021
.LBB216_1568:
	s_or_b64 exec, exec, s[18:19]
	v_mov_b32_e32 v9, 0
	s_and_saveexec_b64 s[18:19], s[16:17]
.LBB216_1569:
	v_lshrrev_b32_e32 v1, 24, v1
	s_movk_i32 s16, 0x80
	v_and_or_b32 v9, v1, s16, v4
.LBB216_1570:
	s_or_b64 exec, exec, s[18:19]
.LBB216_1571:
	s_or_b64 exec, exec, s[10:11]
	global_store_byte v[2:3], v9, off
.LBB216_1572:
	s_mov_b64 s[10:11], -1
.LBB216_1573:
	s_mov_b64 s[16:17], 0
.LBB216_1574:
	s_and_b64 vcc, exec, s[16:17]
	s_cbranch_vccz .LBB216_1614
; %bb.1575:
	s_cmp_gt_i32 s9, 22
	s_mov_b64 s[6:7], -1
	s_cbranch_scc0 .LBB216_1607
; %bb.1576:
	s_cmp_lt_i32 s9, 24
	s_cbranch_scc1 .LBB216_1596
; %bb.1577:
	s_cmp_gt_i32 s9, 24
	s_cbranch_scc0 .LBB216_1585
; %bb.1578:
	v_cvt_f32_f16_e32 v1, v5
	s_mov_b32 s6, 0x47800000
	v_mov_b32_e32 v9, 0x80
	v_and_b32_e32 v4, 0x7fffffff, v1
	v_cmp_gt_u32_e32 vcc, s6, v4
	s_and_saveexec_b64 s[6:7], vcc
	s_cbranch_execz .LBB216_1584
; %bb.1579:
	s_mov_b32 s10, 0x37ffffff
	v_cmp_lt_u32_e32 vcc, s10, v4
	s_mov_b64 s[10:11], 0
                                        ; implicit-def: $vgpr4
	s_and_saveexec_b64 s[16:17], vcc
	s_xor_b64 s[16:17], exec, s[16:17]
	s_cbranch_execz .LBB216_2023
; %bb.1580:
	v_bfe_u32 v4, v1, 21, 1
	s_mov_b32 s18, 0x88fffff
	v_add3_u32 v4, v1, v4, s18
	s_mov_b64 s[10:11], exec
	v_lshrrev_b32_e32 v4, 21, v4
	s_andn2_saveexec_b64 s[16:17], s[16:17]
	s_cbranch_execnz .LBB216_2024
.LBB216_1581:
	s_or_b64 exec, exec, s[16:17]
	v_mov_b32_e32 v9, 0
	s_and_saveexec_b64 s[16:17], s[10:11]
.LBB216_1582:
	v_lshrrev_b32_e32 v1, 24, v1
	s_movk_i32 s10, 0x80
	v_and_or_b32 v9, v1, s10, v4
.LBB216_1583:
	s_or_b64 exec, exec, s[16:17]
.LBB216_1584:
	s_or_b64 exec, exec, s[6:7]
	s_mov_b64 s[6:7], 0
	global_store_byte v[2:3], v9, off
.LBB216_1585:
	s_and_b64 vcc, exec, s[6:7]
	s_cbranch_vccz .LBB216_1595
; %bb.1586:
	v_cvt_f32_f16_e32 v1, v5
	s_mov_b32 s6, 0x43f00000
                                        ; implicit-def: $vgpr4
	v_and_b32_e32 v9, 0x7fffffff, v1
	v_cmp_gt_u32_e32 vcc, s6, v9
	s_and_saveexec_b64 s[6:7], vcc
	s_xor_b64 s[6:7], exec, s[6:7]
	s_cbranch_execz .LBB216_1592
; %bb.1587:
	s_mov_b32 s10, 0x3c7fffff
	v_cmp_lt_u32_e32 vcc, s10, v9
                                        ; implicit-def: $vgpr4
	s_and_saveexec_b64 s[10:11], vcc
	s_xor_b64 s[10:11], exec, s[10:11]
; %bb.1588:
	v_bfe_u32 v4, v1, 20, 1
	s_mov_b32 s16, 0x407ffff
	v_add3_u32 v4, v1, v4, s16
	v_lshrrev_b32_e32 v9, 20, v4
	v_and_b32_e32 v4, 0xff00000, v4
	s_mov_b32 s16, 0x7f00000
	v_mov_b32_e32 v10, 0x7e
	v_cmp_ne_u32_e32 vcc, s16, v4
	s_nop 1
	v_cndmask_b32_e32 v4, v10, v9, vcc
; %bb.1589:
	s_andn2_saveexec_b64 s[10:11], s[10:11]
; %bb.1590:
	s_mov_b32 s16, 0x46800000
	v_add_f32_e64 v4, |v1|, s16
; %bb.1591:
	s_or_b64 exec, exec, s[10:11]
                                        ; implicit-def: $vgpr9
.LBB216_1592:
	s_andn2_saveexec_b64 s[6:7], s[6:7]
; %bb.1593:
	s_mov_b32 s10, 0x7f800000
	v_mov_b32_e32 v4, 0x7e
	v_mov_b32_e32 v10, 0x7f
	v_cmp_lt_u32_e32 vcc, s10, v9
	s_nop 1
	v_cndmask_b32_e32 v4, v4, v10, vcc
; %bb.1594:
	s_or_b64 exec, exec, s[6:7]
	v_lshrrev_b32_e32 v1, 24, v1
	s_movk_i32 s6, 0x80
	v_and_or_b32 v1, v1, s6, v4
	global_store_byte v[2:3], v1, off
.LBB216_1595:
	s_mov_b64 s[6:7], 0
.LBB216_1596:
	s_andn2_b64 vcc, exec, s[6:7]
	s_cbranch_vccnz .LBB216_1606
; %bb.1597:
	v_cvt_f32_f16_e32 v1, v5
	s_mov_b32 s6, 0x47800000
                                        ; implicit-def: $vgpr4
	v_and_b32_e32 v9, 0x7fffffff, v1
	v_cmp_gt_u32_e32 vcc, s6, v9
	s_and_saveexec_b64 s[6:7], vcc
	s_xor_b64 s[6:7], exec, s[6:7]
	s_cbranch_execz .LBB216_1603
; %bb.1598:
	s_mov_b32 s10, 0x387fffff
	v_cmp_lt_u32_e32 vcc, s10, v9
                                        ; implicit-def: $vgpr4
	s_and_saveexec_b64 s[10:11], vcc
	s_xor_b64 s[10:11], exec, s[10:11]
; %bb.1599:
	v_bfe_u32 v4, v1, 21, 1
	s_mov_b32 s16, 0x80fffff
	v_add3_u32 v4, v1, v4, s16
	v_lshrrev_b32_e32 v4, 21, v4
; %bb.1600:
	s_andn2_saveexec_b64 s[10:11], s[10:11]
; %bb.1601:
	s_mov_b32 s16, 0x43000000
	v_add_f32_e64 v4, |v1|, s16
; %bb.1602:
	s_or_b64 exec, exec, s[10:11]
                                        ; implicit-def: $vgpr9
.LBB216_1603:
	s_andn2_saveexec_b64 s[6:7], s[6:7]
; %bb.1604:
	s_mov_b32 s10, 0x7f800000
	v_mov_b32_e32 v4, 0x7c
	v_mov_b32_e32 v10, 0x7f
	v_cmp_lt_u32_e32 vcc, s10, v9
	s_nop 1
	v_cndmask_b32_e32 v4, v4, v10, vcc
; %bb.1605:
	s_or_b64 exec, exec, s[6:7]
	v_lshrrev_b32_e32 v1, 24, v1
	s_movk_i32 s6, 0x80
	v_and_or_b32 v1, v1, s6, v4
	global_store_byte v[2:3], v1, off
.LBB216_1606:
	s_mov_b64 s[6:7], 0
	s_mov_b64 s[10:11], -1
.LBB216_1607:
	s_andn2_b64 vcc, exec, s[6:7]
	s_mov_b64 s[6:7], 0
	s_cbranch_vccnz .LBB216_1614
; %bb.1608:
	s_cmp_gt_i32 s9, 14
	s_mov_b64 s[16:17], -1
	s_cbranch_scc0 .LBB216_1612
; %bb.1609:
	s_cmp_eq_u32 s9, 15
	s_mov_b64 s[0:1], -1
	s_cbranch_scc0 .LBB216_1611
; %bb.1610:
	v_cvt_f32_f16_e32 v1, v5
	s_movk_i32 s0, 0x7fff
	v_cmp_o_f16_e32 vcc, v5, v5
	v_mov_b32_e32 v4, 0x7fc0
	v_bfe_u32 v9, v1, 16, 1
	v_add3_u32 v1, v1, v9, s0
	v_cndmask_b32_sdwa v1, v4, v1, vcc dst_sel:DWORD dst_unused:UNUSED_PAD src0_sel:DWORD src1_sel:WORD_1
	global_store_short v[2:3], v1, off
	s_mov_b64 s[0:1], 0
	s_mov_b64 s[10:11], -1
.LBB216_1611:
	s_mov_b64 s[16:17], 0
.LBB216_1612:
	s_and_b64 vcc, exec, s[16:17]
	s_cbranch_vccz .LBB216_1614
; %bb.1613:
	s_cmp_lg_u32 s9, 11
	s_mov_b64 s[6:7], -1
	s_cselect_b64 s[0:1], -1, 0
.LBB216_1614:
	s_and_b64 vcc, exec, s[0:1]
	s_cbranch_vccnz .LBB216_2022
; %bb.1615:
	s_andn2_b64 vcc, exec, s[6:7]
	s_cbranch_vccnz .LBB216_1617
.LBB216_1616:
	v_cmp_neq_f16_e32 vcc, 0, v5
	s_mov_b64 s[10:11], -1
	s_nop 0
	v_cndmask_b32_e64 v1, 0, 1, vcc
	global_store_byte v[2:3], v1, off
.LBB216_1617:
	s_mov_b64 s[0:1], 0
	s_branch .LBB216_1619
.LBB216_1618:
	s_mov_b64 s[0:1], -1
	s_mov_b64 s[10:11], 0
.LBB216_1619:
	s_and_b64 vcc, exec, s[0:1]
	s_cbranch_vccz .LBB216_1658
; %bb.1620:
	s_and_b32 s6, 0xffff, s20
	s_cmp_lt_i32 s6, 5
	s_mov_b64 s[0:1], -1
	s_cbranch_scc1 .LBB216_1641
; %bb.1621:
	s_cmp_lt_i32 s6, 8
	s_cbranch_scc1 .LBB216_1631
; %bb.1622:
	s_cmp_lt_i32 s6, 9
	s_cbranch_scc1 .LBB216_1628
; %bb.1623:
	s_cmp_gt_i32 s6, 9
	s_cbranch_scc0 .LBB216_1625
; %bb.1624:
	v_cvt_f32_f16_e32 v1, v5
	v_mov_b32_e32 v12, 0
	v_mov_b32_e32 v13, v12
	s_mov_b64 s[0:1], 0
	v_cvt_f64_f32_e32 v[10:11], v1
	global_store_dwordx4 v[2:3], v[10:13], off
.LBB216_1625:
	s_andn2_b64 vcc, exec, s[0:1]
	s_cbranch_vccnz .LBB216_1627
; %bb.1626:
	v_cvt_f32_f16_e32 v10, v5
	v_mov_b32_e32 v11, 0
	global_store_dwordx2 v[2:3], v[10:11], off
.LBB216_1627:
	s_mov_b64 s[0:1], 0
.LBB216_1628:
	s_andn2_b64 vcc, exec, s[0:1]
	s_cbranch_vccnz .LBB216_1630
; %bb.1629:
	v_and_b32_e32 v1, 0xffff, v5
	global_store_dword v[2:3], v1, off
.LBB216_1630:
	s_mov_b64 s[0:1], 0
.LBB216_1631:
	s_andn2_b64 vcc, exec, s[0:1]
	s_cbranch_vccnz .LBB216_1640
; %bb.1632:
	s_cmp_lt_i32 s6, 6
	s_mov_b64 s[0:1], -1
	s_cbranch_scc1 .LBB216_1638
; %bb.1633:
	s_cmp_gt_i32 s6, 6
	s_cbranch_scc0 .LBB216_1635
; %bb.1634:
	v_cvt_f32_f16_e32 v1, v5
	s_mov_b64 s[0:1], 0
	v_cvt_f64_f32_e32 v[10:11], v1
	global_store_dwordx2 v[2:3], v[10:11], off
.LBB216_1635:
	s_andn2_b64 vcc, exec, s[0:1]
	s_cbranch_vccnz .LBB216_1637
; %bb.1636:
	v_cvt_f32_f16_e32 v1, v5
	global_store_dword v[2:3], v1, off
.LBB216_1637:
	s_mov_b64 s[0:1], 0
.LBB216_1638:
	s_andn2_b64 vcc, exec, s[0:1]
	s_cbranch_vccnz .LBB216_1640
; %bb.1639:
	global_store_short v[2:3], v5, off
.LBB216_1640:
	s_mov_b64 s[0:1], 0
.LBB216_1641:
	s_andn2_b64 vcc, exec, s[0:1]
	s_cbranch_vccnz .LBB216_1657
; %bb.1642:
	s_cmp_lt_i32 s6, 2
	s_mov_b64 s[0:1], -1
	s_cbranch_scc1 .LBB216_1652
; %bb.1643:
	s_cmp_lt_i32 s6, 3
	s_cbranch_scc1 .LBB216_1649
; %bb.1644:
	s_cmp_gt_i32 s6, 3
	s_cbranch_scc0 .LBB216_1646
; %bb.1645:
	v_cvt_f32_f16_e32 v1, v5
	s_mov_b64 s[0:1], 0
	v_cvt_i32_f32_e32 v10, v1
	v_ashrrev_i32_e32 v11, 31, v10
	global_store_dwordx2 v[2:3], v[10:11], off
.LBB216_1646:
	s_andn2_b64 vcc, exec, s[0:1]
	s_cbranch_vccnz .LBB216_1648
; %bb.1647:
	v_cvt_f32_f16_e32 v1, v5
	v_cvt_i32_f32_e32 v1, v1
	global_store_dword v[2:3], v1, off
.LBB216_1648:
	s_mov_b64 s[0:1], 0
.LBB216_1649:
	s_andn2_b64 vcc, exec, s[0:1]
	s_cbranch_vccnz .LBB216_1651
; %bb.1650:
	v_cvt_i16_f16_e32 v1, v5
	global_store_short v[2:3], v1, off
.LBB216_1651:
	s_mov_b64 s[0:1], 0
.LBB216_1652:
	s_andn2_b64 vcc, exec, s[0:1]
	s_cbranch_vccnz .LBB216_1657
; %bb.1653:
	s_cmp_gt_i32 s6, 0
	s_mov_b64 s[0:1], -1
	s_cbranch_scc0 .LBB216_1655
; %bb.1654:
	v_cvt_i16_f16_e32 v1, v5
	global_store_byte v[2:3], v1, off
	s_mov_b64 s[0:1], 0
.LBB216_1655:
	s_andn2_b64 vcc, exec, s[0:1]
	s_cbranch_vccnz .LBB216_1657
; %bb.1656:
	v_cvt_f32_f16_e32 v1, v5
	v_cvt_i32_f32_e32 v1, v1
	global_store_byte v[2:3], v1, off
.LBB216_1657:
	s_mov_b64 s[10:11], -1
.LBB216_1658:
	s_andn2_b64 vcc, exec, s[10:11]
	s_cbranch_vccnz .LBB216_1973
; %bb.1659:
	v_cvt_f32_f16_e32 v1, v6
	s_mov_b32 s0, 0
	s_mov_b32 s1, 0x3fd80000
	s_lshl_b32 s18, s8, 7
	v_cvt_f64_f32_e32 v[2:3], v1
	v_rsq_f64_e32 v[4:5], v[2:3]
	v_mov_b32_e32 v1, 0x180
	v_add_u32_e32 v0, s18, v0
	s_cmp_lt_i32 s20, 11
	v_mul_f64 v[2:3], v[4:5], -v[2:3]
	v_fma_f64 v[2:3], v[2:3], v[4:5], 1.0
	v_mul_f64 v[10:11], v[4:5], v[2:3]
	v_fma_f64 v[2:3], v[2:3], s[0:1], 0.5
	v_fma_f64 v[2:3], v[10:11], v[2:3], v[4:5]
	v_cmp_class_f64_e32 vcc, v[4:5], v1
	s_movk_i32 s0, 0x1ff
	s_nop 0
	v_cndmask_b32_e32 v1, v4, v2, vcc
	v_cndmask_b32_e32 v2, v5, v3, vcc
	v_and_or_b32 v1, v2, s0, v1
	v_cmp_ne_u32_e32 vcc, 0, v1
	v_lshrrev_b32_e32 v3, 8, v2
	s_movk_i32 s0, 0xffe
	v_cndmask_b32_e64 v1, 0, 1, vcc
	v_bfe_u32 v4, v2, 20, 11
	v_and_or_b32 v1, v3, s0, v1
	v_sub_u32_e32 v5, 0x3f1, v4
	v_or_b32_e32 v3, 0x1000, v1
	v_med3_i32 v5, v5, 0, 13
	v_lshrrev_b32_e32 v6, v5, v3
	v_lshlrev_b32_e32 v5, v5, v6
	v_cmp_ne_u32_e32 vcc, v5, v3
	v_add_u32_e32 v4, 0xfffffc10, v4
	v_lshl_or_b32 v5, v4, 12, v1
	v_cndmask_b32_e64 v3, 0, 1, vcc
	v_or_b32_e32 v3, v6, v3
	v_cmp_gt_i32_e32 vcc, 1, v4
	s_movk_i32 s0, 0x40f
	v_lshrrev_b32_e32 v2, 16, v2
	v_cndmask_b32_e32 v3, v5, v3, vcc
	v_and_b32_e32 v5, 7, v3
	v_cmp_lt_i32_e32 vcc, 5, v5
	v_lshrrev_b32_e32 v3, 2, v3
	s_nop 0
	v_cndmask_b32_e64 v6, 0, 1, vcc
	v_cmp_eq_u32_e32 vcc, 3, v5
	s_nop 1
	v_cndmask_b32_e64 v5, 0, 1, vcc
	v_or_b32_e32 v5, v5, v6
	v_add_u32_e32 v3, v3, v5
	v_mov_b32_e32 v5, 0x7c00
	v_cmp_gt_i32_e32 vcc, 31, v4
	v_mov_b32_e32 v6, 0x7e00
	s_nop 0
	v_cndmask_b32_e32 v3, v5, v3, vcc
	v_cmp_ne_u32_e32 vcc, 0, v1
	s_nop 1
	v_cndmask_b32_e32 v1, v5, v6, vcc
	v_cmp_eq_u32_e32 vcc, s0, v4
	s_mov_b32 s0, 0x8000
	s_nop 0
	v_cndmask_b32_e32 v1, v3, v1, vcc
	v_and_or_b32 v4, v2, s0, v1
	v_ashrrev_i32_e32 v1, 31, v0
	v_lshl_add_u64 v[2:3], s[4:5], 0, v[0:1]
	s_cbranch_scc1 .LBB216_1737
; %bb.1660:
	s_and_b32 s19, 0xffff, s20
	s_mov_b64 s[10:11], -1
	s_mov_b64 s[6:7], 0
	s_cmp_gt_i32 s19, 25
	s_mov_b64 s[8:9], 0
	s_mov_b64 s[0:1], 0
	s_cbranch_scc0 .LBB216_1693
; %bb.1661:
	s_cmp_gt_i32 s19, 28
	s_cbranch_scc0 .LBB216_1676
; %bb.1662:
	s_cmp_gt_i32 s19, 43
	;; [unrolled: 3-line block ×3, first 2 shown]
	s_cbranch_scc0 .LBB216_1666
; %bb.1664:
	s_mov_b64 s[0:1], -1
	s_mov_b64 s[10:11], 0
	s_cmp_eq_u32 s19, 46
	s_cbranch_scc0 .LBB216_1666
; %bb.1665:
	v_cvt_f32_f16_e32 v1, v4
	s_movk_i32 s0, 0x7fff
	v_cmp_o_f16_e32 vcc, v4, v4
	v_mov_b32_e32 v5, 0x7fc0
	v_bfe_u32 v6, v1, 16, 1
	v_add3_u32 v1, v1, v6, s0
	v_cndmask_b32_sdwa v1, v5, v1, vcc dst_sel:DWORD dst_unused:UNUSED_PAD src0_sel:DWORD src1_sel:WORD_1
	global_store_dword v[2:3], v1, off
	s_mov_b64 s[0:1], 0
	s_mov_b64 s[8:9], -1
.LBB216_1666:
	s_and_b64 vcc, exec, s[10:11]
	s_cbranch_vccz .LBB216_1671
; %bb.1667:
	s_cmp_eq_u32 s19, 44
	s_mov_b64 s[0:1], -1
	s_cbranch_scc0 .LBB216_1671
; %bb.1668:
	v_cvt_f32_f16_e32 v1, v4
	s_movk_i32 s0, 0xff
	v_mov_b32_e32 v6, 0xff
	v_bfe_u32 v5, v1, 23, 8
	v_cmp_ne_u32_e32 vcc, s0, v5
	s_and_saveexec_b64 s[8:9], vcc
; %bb.1669:
	s_mov_b32 s0, 0x3fffff
	v_lshrrev_b32_e32 v6, 23, v1
	v_and_b32_e32 v9, 0x400000, v1
	v_and_or_b32 v1, v1, s0, v5
	v_cmp_ne_u32_e32 vcc, 0, v9
	v_cmp_ne_u32_e64 s[0:1], 0, v1
	s_and_b64 s[0:1], vcc, s[0:1]
	s_nop 0
	v_cndmask_b32_e64 v1, 0, 1, s[0:1]
	v_add_u32_e32 v6, v6, v1
; %bb.1670:
	s_or_b64 exec, exec, s[8:9]
	s_mov_b64 s[0:1], 0
	s_mov_b64 s[8:9], -1
	global_store_byte v[2:3], v6, off
.LBB216_1671:
	s_mov_b64 s[10:11], 0
.LBB216_1672:
	s_and_b64 vcc, exec, s[10:11]
	s_cbranch_vccz .LBB216_1675
; %bb.1673:
	s_cmp_eq_u32 s19, 29
	s_mov_b64 s[0:1], -1
	s_cbranch_scc0 .LBB216_1675
; %bb.1674:
	v_cvt_f32_f16_e32 v1, v4
	v_mov_b32_e32 v11, 0
	s_mov_b64 s[0:1], 0
	s_mov_b64 s[8:9], -1
	v_cvt_u32_f32_e32 v10, v1
	global_store_dwordx2 v[2:3], v[10:11], off
.LBB216_1675:
	s_mov_b64 s[10:11], 0
.LBB216_1676:
	s_and_b64 vcc, exec, s[10:11]
	s_cbranch_vccz .LBB216_1692
; %bb.1677:
	s_cmp_lt_i32 s19, 27
	s_mov_b64 s[8:9], -1
	s_cbranch_scc1 .LBB216_1683
; %bb.1678:
	s_cmp_gt_i32 s19, 27
	s_cbranch_scc0 .LBB216_1680
; %bb.1679:
	v_cvt_f32_f16_e32 v1, v4
	s_mov_b64 s[8:9], 0
	v_cvt_u32_f32_e32 v1, v1
	global_store_dword v[2:3], v1, off
.LBB216_1680:
	s_andn2_b64 vcc, exec, s[8:9]
	s_cbranch_vccnz .LBB216_1682
; %bb.1681:
	v_cvt_u16_f16_e32 v1, v4
	global_store_short v[2:3], v1, off
.LBB216_1682:
	s_mov_b64 s[8:9], 0
.LBB216_1683:
	s_andn2_b64 vcc, exec, s[8:9]
	s_cbranch_vccnz .LBB216_1691
; %bb.1684:
	v_cvt_f32_f16_e32 v1, v4
	s_mov_b32 s8, 0x43800000
	v_mov_b32_e32 v6, 0x80
	v_and_b32_e32 v5, 0x7fffffff, v1
	v_cmp_gt_u32_e32 vcc, s8, v5
	s_and_saveexec_b64 s[8:9], vcc
	s_cbranch_execz .LBB216_1690
; %bb.1685:
	s_mov_b32 s10, 0x3bffffff
	v_cmp_lt_u32_e32 vcc, s10, v5
	s_mov_b64 s[10:11], 0
                                        ; implicit-def: $vgpr5
	s_and_saveexec_b64 s[16:17], vcc
	s_xor_b64 s[16:17], exec, s[16:17]
	s_cbranch_execz .LBB216_2025
; %bb.1686:
	v_bfe_u32 v5, v1, 20, 1
	s_mov_b32 s21, 0x487ffff
	v_add3_u32 v5, v1, v5, s21
	s_mov_b64 s[10:11], exec
	v_lshrrev_b32_e32 v5, 20, v5
	s_andn2_saveexec_b64 s[16:17], s[16:17]
	s_cbranch_execnz .LBB216_2026
.LBB216_1687:
	s_or_b64 exec, exec, s[16:17]
	v_mov_b32_e32 v6, 0
	s_and_saveexec_b64 s[16:17], s[10:11]
.LBB216_1688:
	v_lshrrev_b32_e32 v1, 24, v1
	s_movk_i32 s10, 0x80
	v_and_or_b32 v6, v1, s10, v5
.LBB216_1689:
	s_or_b64 exec, exec, s[16:17]
.LBB216_1690:
	s_or_b64 exec, exec, s[8:9]
	global_store_byte v[2:3], v6, off
.LBB216_1691:
	s_mov_b64 s[8:9], -1
.LBB216_1692:
	s_mov_b64 s[10:11], 0
.LBB216_1693:
	s_and_b64 vcc, exec, s[10:11]
	s_cbranch_vccz .LBB216_1733
; %bb.1694:
	s_cmp_gt_i32 s19, 22
	s_mov_b64 s[6:7], -1
	s_cbranch_scc0 .LBB216_1726
; %bb.1695:
	s_cmp_lt_i32 s19, 24
	s_cbranch_scc1 .LBB216_1715
; %bb.1696:
	s_cmp_gt_i32 s19, 24
	s_cbranch_scc0 .LBB216_1704
; %bb.1697:
	v_cvt_f32_f16_e32 v1, v4
	s_mov_b32 s6, 0x47800000
	v_mov_b32_e32 v6, 0x80
	v_and_b32_e32 v5, 0x7fffffff, v1
	v_cmp_gt_u32_e32 vcc, s6, v5
	s_and_saveexec_b64 s[6:7], vcc
	s_cbranch_execz .LBB216_1703
; %bb.1698:
	s_mov_b32 s8, 0x37ffffff
	v_cmp_lt_u32_e32 vcc, s8, v5
	s_mov_b64 s[8:9], 0
                                        ; implicit-def: $vgpr5
	s_and_saveexec_b64 s[10:11], vcc
	s_xor_b64 s[10:11], exec, s[10:11]
	s_cbranch_execz .LBB216_2028
; %bb.1699:
	v_bfe_u32 v5, v1, 21, 1
	s_mov_b32 s16, 0x88fffff
	v_add3_u32 v5, v1, v5, s16
	s_mov_b64 s[8:9], exec
	v_lshrrev_b32_e32 v5, 21, v5
	s_andn2_saveexec_b64 s[10:11], s[10:11]
	s_cbranch_execnz .LBB216_2029
.LBB216_1700:
	s_or_b64 exec, exec, s[10:11]
	v_mov_b32_e32 v6, 0
	s_and_saveexec_b64 s[10:11], s[8:9]
.LBB216_1701:
	v_lshrrev_b32_e32 v1, 24, v1
	s_movk_i32 s8, 0x80
	v_and_or_b32 v6, v1, s8, v5
.LBB216_1702:
	s_or_b64 exec, exec, s[10:11]
.LBB216_1703:
	s_or_b64 exec, exec, s[6:7]
	s_mov_b64 s[6:7], 0
	global_store_byte v[2:3], v6, off
.LBB216_1704:
	s_and_b64 vcc, exec, s[6:7]
	s_cbranch_vccz .LBB216_1714
; %bb.1705:
	v_cvt_f32_f16_e32 v1, v4
	s_mov_b32 s6, 0x43f00000
                                        ; implicit-def: $vgpr5
	v_and_b32_e32 v6, 0x7fffffff, v1
	v_cmp_gt_u32_e32 vcc, s6, v6
	s_and_saveexec_b64 s[6:7], vcc
	s_xor_b64 s[6:7], exec, s[6:7]
	s_cbranch_execz .LBB216_1711
; %bb.1706:
	s_mov_b32 s8, 0x3c7fffff
	v_cmp_lt_u32_e32 vcc, s8, v6
                                        ; implicit-def: $vgpr5
	s_and_saveexec_b64 s[8:9], vcc
	s_xor_b64 s[8:9], exec, s[8:9]
; %bb.1707:
	v_bfe_u32 v5, v1, 20, 1
	s_mov_b32 s10, 0x407ffff
	v_add3_u32 v5, v1, v5, s10
	v_lshrrev_b32_e32 v6, 20, v5
	v_and_b32_e32 v5, 0xff00000, v5
	s_mov_b32 s10, 0x7f00000
	v_mov_b32_e32 v9, 0x7e
	v_cmp_ne_u32_e32 vcc, s10, v5
	s_nop 1
	v_cndmask_b32_e32 v5, v9, v6, vcc
; %bb.1708:
	s_andn2_saveexec_b64 s[8:9], s[8:9]
; %bb.1709:
	s_mov_b32 s10, 0x46800000
	v_add_f32_e64 v5, |v1|, s10
; %bb.1710:
	s_or_b64 exec, exec, s[8:9]
                                        ; implicit-def: $vgpr6
.LBB216_1711:
	s_andn2_saveexec_b64 s[6:7], s[6:7]
; %bb.1712:
	s_mov_b32 s8, 0x7f800000
	v_mov_b32_e32 v5, 0x7e
	v_mov_b32_e32 v9, 0x7f
	v_cmp_lt_u32_e32 vcc, s8, v6
	s_nop 1
	v_cndmask_b32_e32 v5, v5, v9, vcc
; %bb.1713:
	s_or_b64 exec, exec, s[6:7]
	v_lshrrev_b32_e32 v1, 24, v1
	s_movk_i32 s6, 0x80
	v_and_or_b32 v1, v1, s6, v5
	global_store_byte v[2:3], v1, off
.LBB216_1714:
	s_mov_b64 s[6:7], 0
.LBB216_1715:
	s_andn2_b64 vcc, exec, s[6:7]
	s_cbranch_vccnz .LBB216_1725
; %bb.1716:
	v_cvt_f32_f16_e32 v1, v4
	s_mov_b32 s6, 0x47800000
                                        ; implicit-def: $vgpr5
	v_and_b32_e32 v6, 0x7fffffff, v1
	v_cmp_gt_u32_e32 vcc, s6, v6
	s_and_saveexec_b64 s[6:7], vcc
	s_xor_b64 s[6:7], exec, s[6:7]
	s_cbranch_execz .LBB216_1722
; %bb.1717:
	s_mov_b32 s8, 0x387fffff
	v_cmp_lt_u32_e32 vcc, s8, v6
                                        ; implicit-def: $vgpr5
	s_and_saveexec_b64 s[8:9], vcc
	s_xor_b64 s[8:9], exec, s[8:9]
; %bb.1718:
	v_bfe_u32 v5, v1, 21, 1
	s_mov_b32 s10, 0x80fffff
	v_add3_u32 v5, v1, v5, s10
	v_lshrrev_b32_e32 v5, 21, v5
; %bb.1719:
	s_andn2_saveexec_b64 s[8:9], s[8:9]
; %bb.1720:
	s_mov_b32 s10, 0x43000000
	v_add_f32_e64 v5, |v1|, s10
; %bb.1721:
	s_or_b64 exec, exec, s[8:9]
                                        ; implicit-def: $vgpr6
.LBB216_1722:
	s_andn2_saveexec_b64 s[6:7], s[6:7]
; %bb.1723:
	s_mov_b32 s8, 0x7f800000
	v_mov_b32_e32 v5, 0x7c
	v_mov_b32_e32 v9, 0x7f
	v_cmp_lt_u32_e32 vcc, s8, v6
	s_nop 1
	v_cndmask_b32_e32 v5, v5, v9, vcc
; %bb.1724:
	s_or_b64 exec, exec, s[6:7]
	v_lshrrev_b32_e32 v1, 24, v1
	s_movk_i32 s6, 0x80
	v_and_or_b32 v1, v1, s6, v5
	global_store_byte v[2:3], v1, off
.LBB216_1725:
	s_mov_b64 s[6:7], 0
	s_mov_b64 s[8:9], -1
.LBB216_1726:
	s_andn2_b64 vcc, exec, s[6:7]
	s_mov_b64 s[6:7], 0
	s_cbranch_vccnz .LBB216_1733
; %bb.1727:
	s_cmp_gt_i32 s19, 14
	s_mov_b64 s[10:11], -1
	s_cbranch_scc0 .LBB216_1731
; %bb.1728:
	s_cmp_eq_u32 s19, 15
	s_mov_b64 s[0:1], -1
	s_cbranch_scc0 .LBB216_1730
; %bb.1729:
	v_cvt_f32_f16_e32 v1, v4
	s_movk_i32 s0, 0x7fff
	v_cmp_o_f16_e32 vcc, v4, v4
	v_mov_b32_e32 v5, 0x7fc0
	v_bfe_u32 v6, v1, 16, 1
	v_add3_u32 v1, v1, v6, s0
	v_cndmask_b32_sdwa v1, v5, v1, vcc dst_sel:DWORD dst_unused:UNUSED_PAD src0_sel:DWORD src1_sel:WORD_1
	global_store_short v[2:3], v1, off
	s_mov_b64 s[0:1], 0
	s_mov_b64 s[8:9], -1
.LBB216_1730:
	s_mov_b64 s[10:11], 0
.LBB216_1731:
	s_and_b64 vcc, exec, s[10:11]
	s_cbranch_vccz .LBB216_1733
; %bb.1732:
	s_cmp_lg_u32 s19, 11
	s_mov_b64 s[6:7], -1
	s_cselect_b64 s[0:1], -1, 0
.LBB216_1733:
	s_and_b64 vcc, exec, s[0:1]
	s_cbranch_vccnz .LBB216_2027
; %bb.1734:
	s_andn2_b64 vcc, exec, s[6:7]
	s_cbranch_vccnz .LBB216_1736
.LBB216_1735:
	v_cmp_neq_f16_e32 vcc, 0, v4
	s_mov_b64 s[8:9], -1
	s_nop 0
	v_cndmask_b32_e64 v1, 0, 1, vcc
	global_store_byte v[2:3], v1, off
.LBB216_1736:
	s_mov_b64 s[0:1], 0
	s_branch .LBB216_1738
.LBB216_1737:
	s_mov_b64 s[0:1], -1
	s_mov_b64 s[8:9], 0
.LBB216_1738:
	s_and_b64 vcc, exec, s[0:1]
	s_cbranch_vccz .LBB216_1777
; %bb.1739:
	s_and_b32 s6, 0xffff, s20
	s_cmp_lt_i32 s6, 5
	s_mov_b64 s[0:1], -1
	s_cbranch_scc1 .LBB216_1760
; %bb.1740:
	s_cmp_lt_i32 s6, 8
	s_cbranch_scc1 .LBB216_1750
; %bb.1741:
	s_cmp_lt_i32 s6, 9
	s_cbranch_scc1 .LBB216_1747
; %bb.1742:
	s_cmp_gt_i32 s6, 9
	s_cbranch_scc0 .LBB216_1744
; %bb.1743:
	v_cvt_f32_f16_e32 v1, v4
	v_mov_b32_e32 v12, 0
	v_mov_b32_e32 v13, v12
	s_mov_b64 s[0:1], 0
	v_cvt_f64_f32_e32 v[10:11], v1
	global_store_dwordx4 v[2:3], v[10:13], off
.LBB216_1744:
	s_andn2_b64 vcc, exec, s[0:1]
	s_cbranch_vccnz .LBB216_1746
; %bb.1745:
	v_cvt_f32_f16_e32 v10, v4
	v_mov_b32_e32 v11, 0
	global_store_dwordx2 v[2:3], v[10:11], off
.LBB216_1746:
	s_mov_b64 s[0:1], 0
.LBB216_1747:
	s_andn2_b64 vcc, exec, s[0:1]
	s_cbranch_vccnz .LBB216_1749
; %bb.1748:
	v_and_b32_e32 v1, 0xffff, v4
	global_store_dword v[2:3], v1, off
.LBB216_1749:
	s_mov_b64 s[0:1], 0
.LBB216_1750:
	s_andn2_b64 vcc, exec, s[0:1]
	s_cbranch_vccnz .LBB216_1759
; %bb.1751:
	s_cmp_lt_i32 s6, 6
	s_mov_b64 s[0:1], -1
	s_cbranch_scc1 .LBB216_1757
; %bb.1752:
	s_cmp_gt_i32 s6, 6
	s_cbranch_scc0 .LBB216_1754
; %bb.1753:
	v_cvt_f32_f16_e32 v1, v4
	s_mov_b64 s[0:1], 0
	v_cvt_f64_f32_e32 v[10:11], v1
	global_store_dwordx2 v[2:3], v[10:11], off
.LBB216_1754:
	s_andn2_b64 vcc, exec, s[0:1]
	s_cbranch_vccnz .LBB216_1756
; %bb.1755:
	v_cvt_f32_f16_e32 v1, v4
	global_store_dword v[2:3], v1, off
.LBB216_1756:
	s_mov_b64 s[0:1], 0
.LBB216_1757:
	s_andn2_b64 vcc, exec, s[0:1]
	s_cbranch_vccnz .LBB216_1759
; %bb.1758:
	global_store_short v[2:3], v4, off
.LBB216_1759:
	s_mov_b64 s[0:1], 0
.LBB216_1760:
	s_andn2_b64 vcc, exec, s[0:1]
	s_cbranch_vccnz .LBB216_1776
; %bb.1761:
	s_cmp_lt_i32 s6, 2
	s_mov_b64 s[0:1], -1
	s_cbranch_scc1 .LBB216_1771
; %bb.1762:
	s_cmp_lt_i32 s6, 3
	s_cbranch_scc1 .LBB216_1768
; %bb.1763:
	s_cmp_gt_i32 s6, 3
	s_cbranch_scc0 .LBB216_1765
; %bb.1764:
	v_cvt_f32_f16_e32 v1, v4
	s_mov_b64 s[0:1], 0
	v_cvt_i32_f32_e32 v10, v1
	v_ashrrev_i32_e32 v11, 31, v10
	global_store_dwordx2 v[2:3], v[10:11], off
.LBB216_1765:
	s_andn2_b64 vcc, exec, s[0:1]
	s_cbranch_vccnz .LBB216_1767
; %bb.1766:
	v_cvt_f32_f16_e32 v1, v4
	v_cvt_i32_f32_e32 v1, v1
	global_store_dword v[2:3], v1, off
.LBB216_1767:
	s_mov_b64 s[0:1], 0
.LBB216_1768:
	s_andn2_b64 vcc, exec, s[0:1]
	s_cbranch_vccnz .LBB216_1770
; %bb.1769:
	v_cvt_i16_f16_e32 v1, v4
	global_store_short v[2:3], v1, off
.LBB216_1770:
	s_mov_b64 s[0:1], 0
.LBB216_1771:
	s_andn2_b64 vcc, exec, s[0:1]
	s_cbranch_vccnz .LBB216_1776
; %bb.1772:
	s_cmp_gt_i32 s6, 0
	s_mov_b64 s[0:1], -1
	s_cbranch_scc0 .LBB216_1774
; %bb.1773:
	v_cvt_i16_f16_e32 v1, v4
	global_store_byte v[2:3], v1, off
	s_mov_b64 s[0:1], 0
.LBB216_1774:
	s_andn2_b64 vcc, exec, s[0:1]
	s_cbranch_vccnz .LBB216_1776
; %bb.1775:
	v_cvt_f32_f16_e32 v1, v4
	v_cvt_i32_f32_e32 v1, v1
	global_store_byte v[2:3], v1, off
.LBB216_1776:
	s_mov_b64 s[8:9], -1
.LBB216_1777:
	s_andn2_b64 vcc, exec, s[8:9]
	s_cbranch_vccnz .LBB216_1973
; %bb.1778:
	v_cvt_f32_f16_e32 v1, v7
	s_mov_b32 s0, 0
	s_mov_b32 s1, 0x3fd80000
	v_add_u32_e32 v0, s18, v0
	v_cvt_f64_f32_e32 v[2:3], v1
	v_rsq_f64_e32 v[4:5], v[2:3]
	v_mov_b32_e32 v1, 0x180
	s_cmp_lt_i32 s20, 11
	v_mul_f64 v[2:3], v[4:5], -v[2:3]
	v_fma_f64 v[2:3], v[2:3], v[4:5], 1.0
	v_mul_f64 v[6:7], v[4:5], v[2:3]
	v_fma_f64 v[2:3], v[2:3], s[0:1], 0.5
	v_fma_f64 v[2:3], v[6:7], v[2:3], v[4:5]
	v_cmp_class_f64_e32 vcc, v[4:5], v1
	s_movk_i32 s0, 0x1ff
	s_nop 0
	v_cndmask_b32_e32 v1, v4, v2, vcc
	v_cndmask_b32_e32 v2, v5, v3, vcc
	v_and_or_b32 v1, v2, s0, v1
	v_cmp_ne_u32_e32 vcc, 0, v1
	v_lshrrev_b32_e32 v3, 8, v2
	s_movk_i32 s0, 0xffe
	v_cndmask_b32_e64 v1, 0, 1, vcc
	v_bfe_u32 v4, v2, 20, 11
	v_and_or_b32 v1, v3, s0, v1
	v_sub_u32_e32 v5, 0x3f1, v4
	v_or_b32_e32 v3, 0x1000, v1
	v_med3_i32 v5, v5, 0, 13
	v_lshrrev_b32_e32 v6, v5, v3
	v_lshlrev_b32_e32 v5, v5, v6
	v_cmp_ne_u32_e32 vcc, v5, v3
	v_add_u32_e32 v4, 0xfffffc10, v4
	v_lshl_or_b32 v5, v4, 12, v1
	v_cndmask_b32_e64 v3, 0, 1, vcc
	v_or_b32_e32 v3, v6, v3
	v_cmp_gt_i32_e32 vcc, 1, v4
	s_movk_i32 s0, 0x40f
	v_lshrrev_b32_e32 v2, 16, v2
	v_cndmask_b32_e32 v3, v5, v3, vcc
	v_and_b32_e32 v5, 7, v3
	v_cmp_lt_i32_e32 vcc, 5, v5
	v_lshrrev_b32_e32 v3, 2, v3
	s_nop 0
	v_cndmask_b32_e64 v6, 0, 1, vcc
	v_cmp_eq_u32_e32 vcc, 3, v5
	s_nop 1
	v_cndmask_b32_e64 v5, 0, 1, vcc
	v_or_b32_e32 v5, v5, v6
	v_add_u32_e32 v3, v3, v5
	v_mov_b32_e32 v5, 0x7c00
	v_cmp_gt_i32_e32 vcc, 31, v4
	v_mov_b32_e32 v6, 0x7e00
	s_nop 0
	v_cndmask_b32_e32 v3, v5, v3, vcc
	v_cmp_ne_u32_e32 vcc, 0, v1
	s_nop 1
	v_cndmask_b32_e32 v1, v5, v6, vcc
	v_cmp_eq_u32_e32 vcc, s0, v4
	s_mov_b32 s0, 0x8000
	s_nop 0
	v_cndmask_b32_e32 v1, v3, v1, vcc
	v_and_or_b32 v4, v2, s0, v1
	v_ashrrev_i32_e32 v1, 31, v0
	v_lshl_add_u64 v[2:3], s[4:5], 0, v[0:1]
	s_cbranch_scc1 .LBB216_1856
; %bb.1779:
	s_and_b32 s19, 0xffff, s20
	s_mov_b64 s[10:11], -1
	s_mov_b64 s[6:7], 0
	s_cmp_gt_i32 s19, 25
	s_mov_b64 s[8:9], 0
	s_mov_b64 s[0:1], 0
	s_cbranch_scc0 .LBB216_1812
; %bb.1780:
	s_cmp_gt_i32 s19, 28
	s_cbranch_scc0 .LBB216_1795
; %bb.1781:
	s_cmp_gt_i32 s19, 43
	;; [unrolled: 3-line block ×3, first 2 shown]
	s_cbranch_scc0 .LBB216_1785
; %bb.1783:
	s_mov_b64 s[0:1], -1
	s_mov_b64 s[10:11], 0
	s_cmp_eq_u32 s19, 46
	s_cbranch_scc0 .LBB216_1785
; %bb.1784:
	v_cvt_f32_f16_e32 v1, v4
	s_movk_i32 s0, 0x7fff
	v_cmp_o_f16_e32 vcc, v4, v4
	v_mov_b32_e32 v5, 0x7fc0
	v_bfe_u32 v6, v1, 16, 1
	v_add3_u32 v1, v1, v6, s0
	v_cndmask_b32_sdwa v1, v5, v1, vcc dst_sel:DWORD dst_unused:UNUSED_PAD src0_sel:DWORD src1_sel:WORD_1
	global_store_dword v[2:3], v1, off
	s_mov_b64 s[0:1], 0
	s_mov_b64 s[8:9], -1
.LBB216_1785:
	s_and_b64 vcc, exec, s[10:11]
	s_cbranch_vccz .LBB216_1790
; %bb.1786:
	s_cmp_eq_u32 s19, 44
	s_mov_b64 s[0:1], -1
	s_cbranch_scc0 .LBB216_1790
; %bb.1787:
	v_cvt_f32_f16_e32 v1, v4
	s_movk_i32 s0, 0xff
	v_mov_b32_e32 v6, 0xff
	v_bfe_u32 v5, v1, 23, 8
	v_cmp_ne_u32_e32 vcc, s0, v5
	s_and_saveexec_b64 s[8:9], vcc
; %bb.1788:
	s_mov_b32 s0, 0x3fffff
	v_lshrrev_b32_e32 v6, 23, v1
	v_and_b32_e32 v7, 0x400000, v1
	v_and_or_b32 v1, v1, s0, v5
	v_cmp_ne_u32_e32 vcc, 0, v7
	v_cmp_ne_u32_e64 s[0:1], 0, v1
	s_and_b64 s[0:1], vcc, s[0:1]
	s_nop 0
	v_cndmask_b32_e64 v1, 0, 1, s[0:1]
	v_add_u32_e32 v6, v6, v1
; %bb.1789:
	s_or_b64 exec, exec, s[8:9]
	s_mov_b64 s[0:1], 0
	s_mov_b64 s[8:9], -1
	global_store_byte v[2:3], v6, off
.LBB216_1790:
	s_mov_b64 s[10:11], 0
.LBB216_1791:
	s_and_b64 vcc, exec, s[10:11]
	s_cbranch_vccz .LBB216_1794
; %bb.1792:
	s_cmp_eq_u32 s19, 29
	s_mov_b64 s[0:1], -1
	s_cbranch_scc0 .LBB216_1794
; %bb.1793:
	v_cvt_f32_f16_e32 v1, v4
	v_mov_b32_e32 v7, 0
	s_mov_b64 s[0:1], 0
	s_mov_b64 s[8:9], -1
	v_cvt_u32_f32_e32 v6, v1
	global_store_dwordx2 v[2:3], v[6:7], off
.LBB216_1794:
	s_mov_b64 s[10:11], 0
.LBB216_1795:
	s_and_b64 vcc, exec, s[10:11]
	s_cbranch_vccz .LBB216_1811
; %bb.1796:
	s_cmp_lt_i32 s19, 27
	s_mov_b64 s[8:9], -1
	s_cbranch_scc1 .LBB216_1802
; %bb.1797:
	s_cmp_gt_i32 s19, 27
	s_cbranch_scc0 .LBB216_1799
; %bb.1798:
	v_cvt_f32_f16_e32 v1, v4
	s_mov_b64 s[8:9], 0
	v_cvt_u32_f32_e32 v1, v1
	global_store_dword v[2:3], v1, off
.LBB216_1799:
	s_andn2_b64 vcc, exec, s[8:9]
	s_cbranch_vccnz .LBB216_1801
; %bb.1800:
	v_cvt_u16_f16_e32 v1, v4
	global_store_short v[2:3], v1, off
.LBB216_1801:
	s_mov_b64 s[8:9], 0
.LBB216_1802:
	s_andn2_b64 vcc, exec, s[8:9]
	s_cbranch_vccnz .LBB216_1810
; %bb.1803:
	v_cvt_f32_f16_e32 v1, v4
	s_mov_b32 s8, 0x43800000
	v_mov_b32_e32 v6, 0x80
	v_and_b32_e32 v5, 0x7fffffff, v1
	v_cmp_gt_u32_e32 vcc, s8, v5
	s_and_saveexec_b64 s[8:9], vcc
	s_cbranch_execz .LBB216_1809
; %bb.1804:
	s_mov_b32 s10, 0x3bffffff
	v_cmp_lt_u32_e32 vcc, s10, v5
	s_mov_b64 s[10:11], 0
                                        ; implicit-def: $vgpr5
	s_and_saveexec_b64 s[16:17], vcc
	s_xor_b64 s[16:17], exec, s[16:17]
	s_cbranch_execz .LBB216_2030
; %bb.1805:
	v_bfe_u32 v5, v1, 20, 1
	s_mov_b32 s21, 0x487ffff
	v_add3_u32 v5, v1, v5, s21
	s_mov_b64 s[10:11], exec
	v_lshrrev_b32_e32 v5, 20, v5
	s_andn2_saveexec_b64 s[16:17], s[16:17]
	s_cbranch_execnz .LBB216_2031
.LBB216_1806:
	s_or_b64 exec, exec, s[16:17]
	v_mov_b32_e32 v6, 0
	s_and_saveexec_b64 s[16:17], s[10:11]
.LBB216_1807:
	v_lshrrev_b32_e32 v1, 24, v1
	s_movk_i32 s10, 0x80
	v_and_or_b32 v6, v1, s10, v5
.LBB216_1808:
	s_or_b64 exec, exec, s[16:17]
.LBB216_1809:
	s_or_b64 exec, exec, s[8:9]
	global_store_byte v[2:3], v6, off
.LBB216_1810:
	s_mov_b64 s[8:9], -1
.LBB216_1811:
	s_mov_b64 s[10:11], 0
.LBB216_1812:
	s_and_b64 vcc, exec, s[10:11]
	s_cbranch_vccz .LBB216_1852
; %bb.1813:
	s_cmp_gt_i32 s19, 22
	s_mov_b64 s[6:7], -1
	s_cbranch_scc0 .LBB216_1845
; %bb.1814:
	s_cmp_lt_i32 s19, 24
	s_cbranch_scc1 .LBB216_1834
; %bb.1815:
	s_cmp_gt_i32 s19, 24
	s_cbranch_scc0 .LBB216_1823
; %bb.1816:
	v_cvt_f32_f16_e32 v1, v4
	s_mov_b32 s6, 0x47800000
	v_mov_b32_e32 v6, 0x80
	v_and_b32_e32 v5, 0x7fffffff, v1
	v_cmp_gt_u32_e32 vcc, s6, v5
	s_and_saveexec_b64 s[6:7], vcc
	s_cbranch_execz .LBB216_1822
; %bb.1817:
	s_mov_b32 s8, 0x37ffffff
	v_cmp_lt_u32_e32 vcc, s8, v5
	s_mov_b64 s[8:9], 0
                                        ; implicit-def: $vgpr5
	s_and_saveexec_b64 s[10:11], vcc
	s_xor_b64 s[10:11], exec, s[10:11]
	s_cbranch_execz .LBB216_2033
; %bb.1818:
	v_bfe_u32 v5, v1, 21, 1
	s_mov_b32 s16, 0x88fffff
	v_add3_u32 v5, v1, v5, s16
	s_mov_b64 s[8:9], exec
	v_lshrrev_b32_e32 v5, 21, v5
	s_andn2_saveexec_b64 s[10:11], s[10:11]
	s_cbranch_execnz .LBB216_2034
.LBB216_1819:
	s_or_b64 exec, exec, s[10:11]
	v_mov_b32_e32 v6, 0
	s_and_saveexec_b64 s[10:11], s[8:9]
.LBB216_1820:
	v_lshrrev_b32_e32 v1, 24, v1
	s_movk_i32 s8, 0x80
	v_and_or_b32 v6, v1, s8, v5
.LBB216_1821:
	s_or_b64 exec, exec, s[10:11]
.LBB216_1822:
	s_or_b64 exec, exec, s[6:7]
	s_mov_b64 s[6:7], 0
	global_store_byte v[2:3], v6, off
.LBB216_1823:
	s_and_b64 vcc, exec, s[6:7]
	s_cbranch_vccz .LBB216_1833
; %bb.1824:
	v_cvt_f32_f16_e32 v1, v4
	s_mov_b32 s6, 0x43f00000
                                        ; implicit-def: $vgpr5
	v_and_b32_e32 v6, 0x7fffffff, v1
	v_cmp_gt_u32_e32 vcc, s6, v6
	s_and_saveexec_b64 s[6:7], vcc
	s_xor_b64 s[6:7], exec, s[6:7]
	s_cbranch_execz .LBB216_1830
; %bb.1825:
	s_mov_b32 s8, 0x3c7fffff
	v_cmp_lt_u32_e32 vcc, s8, v6
                                        ; implicit-def: $vgpr5
	s_and_saveexec_b64 s[8:9], vcc
	s_xor_b64 s[8:9], exec, s[8:9]
; %bb.1826:
	v_bfe_u32 v5, v1, 20, 1
	s_mov_b32 s10, 0x407ffff
	v_add3_u32 v5, v1, v5, s10
	v_lshrrev_b32_e32 v6, 20, v5
	v_and_b32_e32 v5, 0xff00000, v5
	s_mov_b32 s10, 0x7f00000
	v_mov_b32_e32 v7, 0x7e
	v_cmp_ne_u32_e32 vcc, s10, v5
	s_nop 1
	v_cndmask_b32_e32 v5, v7, v6, vcc
; %bb.1827:
	s_andn2_saveexec_b64 s[8:9], s[8:9]
; %bb.1828:
	s_mov_b32 s10, 0x46800000
	v_add_f32_e64 v5, |v1|, s10
; %bb.1829:
	s_or_b64 exec, exec, s[8:9]
                                        ; implicit-def: $vgpr6
.LBB216_1830:
	s_andn2_saveexec_b64 s[6:7], s[6:7]
; %bb.1831:
	s_mov_b32 s8, 0x7f800000
	v_mov_b32_e32 v5, 0x7e
	v_mov_b32_e32 v7, 0x7f
	v_cmp_lt_u32_e32 vcc, s8, v6
	s_nop 1
	v_cndmask_b32_e32 v5, v5, v7, vcc
; %bb.1832:
	s_or_b64 exec, exec, s[6:7]
	v_lshrrev_b32_e32 v1, 24, v1
	s_movk_i32 s6, 0x80
	v_and_or_b32 v1, v1, s6, v5
	global_store_byte v[2:3], v1, off
.LBB216_1833:
	s_mov_b64 s[6:7], 0
.LBB216_1834:
	s_andn2_b64 vcc, exec, s[6:7]
	s_cbranch_vccnz .LBB216_1844
; %bb.1835:
	v_cvt_f32_f16_e32 v1, v4
	s_mov_b32 s6, 0x47800000
                                        ; implicit-def: $vgpr5
	v_and_b32_e32 v6, 0x7fffffff, v1
	v_cmp_gt_u32_e32 vcc, s6, v6
	s_and_saveexec_b64 s[6:7], vcc
	s_xor_b64 s[6:7], exec, s[6:7]
	s_cbranch_execz .LBB216_1841
; %bb.1836:
	s_mov_b32 s8, 0x387fffff
	v_cmp_lt_u32_e32 vcc, s8, v6
                                        ; implicit-def: $vgpr5
	s_and_saveexec_b64 s[8:9], vcc
	s_xor_b64 s[8:9], exec, s[8:9]
; %bb.1837:
	v_bfe_u32 v5, v1, 21, 1
	s_mov_b32 s10, 0x80fffff
	v_add3_u32 v5, v1, v5, s10
	v_lshrrev_b32_e32 v5, 21, v5
; %bb.1838:
	s_andn2_saveexec_b64 s[8:9], s[8:9]
; %bb.1839:
	s_mov_b32 s10, 0x43000000
	v_add_f32_e64 v5, |v1|, s10
; %bb.1840:
	s_or_b64 exec, exec, s[8:9]
                                        ; implicit-def: $vgpr6
.LBB216_1841:
	s_andn2_saveexec_b64 s[6:7], s[6:7]
; %bb.1842:
	s_mov_b32 s8, 0x7f800000
	v_mov_b32_e32 v5, 0x7c
	v_mov_b32_e32 v7, 0x7f
	v_cmp_lt_u32_e32 vcc, s8, v6
	s_nop 1
	v_cndmask_b32_e32 v5, v5, v7, vcc
; %bb.1843:
	s_or_b64 exec, exec, s[6:7]
	v_lshrrev_b32_e32 v1, 24, v1
	s_movk_i32 s6, 0x80
	v_and_or_b32 v1, v1, s6, v5
	global_store_byte v[2:3], v1, off
.LBB216_1844:
	s_mov_b64 s[6:7], 0
	s_mov_b64 s[8:9], -1
.LBB216_1845:
	s_andn2_b64 vcc, exec, s[6:7]
	s_mov_b64 s[6:7], 0
	s_cbranch_vccnz .LBB216_1852
; %bb.1846:
	s_cmp_gt_i32 s19, 14
	s_mov_b64 s[10:11], -1
	s_cbranch_scc0 .LBB216_1850
; %bb.1847:
	s_cmp_eq_u32 s19, 15
	s_mov_b64 s[0:1], -1
	s_cbranch_scc0 .LBB216_1849
; %bb.1848:
	v_cvt_f32_f16_e32 v1, v4
	s_movk_i32 s0, 0x7fff
	v_cmp_o_f16_e32 vcc, v4, v4
	v_mov_b32_e32 v5, 0x7fc0
	v_bfe_u32 v6, v1, 16, 1
	v_add3_u32 v1, v1, v6, s0
	v_cndmask_b32_sdwa v1, v5, v1, vcc dst_sel:DWORD dst_unused:UNUSED_PAD src0_sel:DWORD src1_sel:WORD_1
	global_store_short v[2:3], v1, off
	s_mov_b64 s[0:1], 0
	s_mov_b64 s[8:9], -1
.LBB216_1849:
	s_mov_b64 s[10:11], 0
.LBB216_1850:
	s_and_b64 vcc, exec, s[10:11]
	s_cbranch_vccz .LBB216_1852
; %bb.1851:
	s_cmp_lg_u32 s19, 11
	s_mov_b64 s[6:7], -1
	s_cselect_b64 s[0:1], -1, 0
.LBB216_1852:
	s_and_b64 vcc, exec, s[0:1]
	s_cbranch_vccnz .LBB216_2032
; %bb.1853:
	s_andn2_b64 vcc, exec, s[6:7]
	s_cbranch_vccnz .LBB216_1855
.LBB216_1854:
	v_cmp_neq_f16_e32 vcc, 0, v4
	s_mov_b64 s[8:9], -1
	s_nop 0
	v_cndmask_b32_e64 v1, 0, 1, vcc
	global_store_byte v[2:3], v1, off
.LBB216_1855:
	s_mov_b64 s[0:1], 0
	s_branch .LBB216_1857
.LBB216_1856:
	s_mov_b64 s[0:1], -1
	s_mov_b64 s[8:9], 0
.LBB216_1857:
	s_and_b64 vcc, exec, s[0:1]
	s_cbranch_vccz .LBB216_1896
; %bb.1858:
	s_and_b32 s6, 0xffff, s20
	s_cmp_lt_i32 s6, 5
	s_mov_b64 s[0:1], -1
	s_cbranch_scc1 .LBB216_1879
; %bb.1859:
	s_cmp_lt_i32 s6, 8
	s_cbranch_scc1 .LBB216_1869
; %bb.1860:
	s_cmp_lt_i32 s6, 9
	s_cbranch_scc1 .LBB216_1866
; %bb.1861:
	s_cmp_gt_i32 s6, 9
	s_cbranch_scc0 .LBB216_1863
; %bb.1862:
	v_cvt_f32_f16_e32 v1, v4
	v_mov_b32_e32 v12, 0
	v_mov_b32_e32 v13, v12
	s_mov_b64 s[0:1], 0
	v_cvt_f64_f32_e32 v[10:11], v1
	global_store_dwordx4 v[2:3], v[10:13], off
.LBB216_1863:
	s_andn2_b64 vcc, exec, s[0:1]
	s_cbranch_vccnz .LBB216_1865
; %bb.1864:
	v_cvt_f32_f16_e32 v6, v4
	v_mov_b32_e32 v7, 0
	global_store_dwordx2 v[2:3], v[6:7], off
.LBB216_1865:
	s_mov_b64 s[0:1], 0
.LBB216_1866:
	s_andn2_b64 vcc, exec, s[0:1]
	s_cbranch_vccnz .LBB216_1868
; %bb.1867:
	v_and_b32_e32 v1, 0xffff, v4
	global_store_dword v[2:3], v1, off
.LBB216_1868:
	s_mov_b64 s[0:1], 0
.LBB216_1869:
	s_andn2_b64 vcc, exec, s[0:1]
	s_cbranch_vccnz .LBB216_1878
; %bb.1870:
	s_cmp_lt_i32 s6, 6
	s_mov_b64 s[0:1], -1
	s_cbranch_scc1 .LBB216_1876
; %bb.1871:
	s_cmp_gt_i32 s6, 6
	s_cbranch_scc0 .LBB216_1873
; %bb.1872:
	v_cvt_f32_f16_e32 v1, v4
	s_mov_b64 s[0:1], 0
	v_cvt_f64_f32_e32 v[6:7], v1
	global_store_dwordx2 v[2:3], v[6:7], off
.LBB216_1873:
	s_andn2_b64 vcc, exec, s[0:1]
	s_cbranch_vccnz .LBB216_1875
; %bb.1874:
	v_cvt_f32_f16_e32 v1, v4
	global_store_dword v[2:3], v1, off
.LBB216_1875:
	s_mov_b64 s[0:1], 0
.LBB216_1876:
	s_andn2_b64 vcc, exec, s[0:1]
	s_cbranch_vccnz .LBB216_1878
; %bb.1877:
	global_store_short v[2:3], v4, off
.LBB216_1878:
	s_mov_b64 s[0:1], 0
.LBB216_1879:
	s_andn2_b64 vcc, exec, s[0:1]
	s_cbranch_vccnz .LBB216_1895
; %bb.1880:
	s_cmp_lt_i32 s6, 2
	s_mov_b64 s[0:1], -1
	s_cbranch_scc1 .LBB216_1890
; %bb.1881:
	s_cmp_lt_i32 s6, 3
	s_cbranch_scc1 .LBB216_1887
; %bb.1882:
	s_cmp_gt_i32 s6, 3
	s_cbranch_scc0 .LBB216_1884
; %bb.1883:
	v_cvt_f32_f16_e32 v1, v4
	s_mov_b64 s[0:1], 0
	v_cvt_i32_f32_e32 v6, v1
	v_ashrrev_i32_e32 v7, 31, v6
	global_store_dwordx2 v[2:3], v[6:7], off
.LBB216_1884:
	s_andn2_b64 vcc, exec, s[0:1]
	s_cbranch_vccnz .LBB216_1886
; %bb.1885:
	v_cvt_f32_f16_e32 v1, v4
	v_cvt_i32_f32_e32 v1, v1
	global_store_dword v[2:3], v1, off
.LBB216_1886:
	s_mov_b64 s[0:1], 0
.LBB216_1887:
	s_andn2_b64 vcc, exec, s[0:1]
	s_cbranch_vccnz .LBB216_1889
; %bb.1888:
	v_cvt_i16_f16_e32 v1, v4
	global_store_short v[2:3], v1, off
.LBB216_1889:
	s_mov_b64 s[0:1], 0
.LBB216_1890:
	s_andn2_b64 vcc, exec, s[0:1]
	s_cbranch_vccnz .LBB216_1895
; %bb.1891:
	s_cmp_gt_i32 s6, 0
	s_mov_b64 s[0:1], -1
	s_cbranch_scc0 .LBB216_1893
; %bb.1892:
	v_cvt_i16_f16_e32 v1, v4
	global_store_byte v[2:3], v1, off
	s_mov_b64 s[0:1], 0
.LBB216_1893:
	s_andn2_b64 vcc, exec, s[0:1]
	s_cbranch_vccnz .LBB216_1895
; %bb.1894:
	v_cvt_f32_f16_e32 v1, v4
	v_cvt_i32_f32_e32 v1, v1
	global_store_byte v[2:3], v1, off
.LBB216_1895:
	s_mov_b64 s[8:9], -1
.LBB216_1896:
	s_andn2_b64 vcc, exec, s[8:9]
	s_cbranch_vccnz .LBB216_1973
; %bb.1897:
	v_cvt_f32_f16_e32 v1, v8
	s_mov_b32 s0, 0
	s_mov_b32 s1, 0x3fd80000
	v_add_u32_e32 v0, s18, v0
	v_cvt_f64_f32_e32 v[2:3], v1
	v_rsq_f64_e32 v[4:5], v[2:3]
	v_mov_b32_e32 v1, 0x180
	s_cmp_lt_i32 s20, 11
	v_mul_f64 v[2:3], v[4:5], -v[2:3]
	v_fma_f64 v[2:3], v[2:3], v[4:5], 1.0
	v_mul_f64 v[6:7], v[4:5], v[2:3]
	v_fma_f64 v[2:3], v[2:3], s[0:1], 0.5
	v_fma_f64 v[2:3], v[6:7], v[2:3], v[4:5]
	v_cmp_class_f64_e32 vcc, v[4:5], v1
	s_movk_i32 s0, 0x1ff
	s_nop 0
	v_cndmask_b32_e32 v1, v4, v2, vcc
	v_cndmask_b32_e32 v2, v5, v3, vcc
	v_and_or_b32 v1, v2, s0, v1
	v_cmp_ne_u32_e32 vcc, 0, v1
	v_lshrrev_b32_e32 v3, 8, v2
	s_movk_i32 s0, 0xffe
	v_cndmask_b32_e64 v1, 0, 1, vcc
	v_bfe_u32 v4, v2, 20, 11
	v_and_or_b32 v1, v3, s0, v1
	v_sub_u32_e32 v5, 0x3f1, v4
	v_or_b32_e32 v3, 0x1000, v1
	v_med3_i32 v5, v5, 0, 13
	v_lshrrev_b32_e32 v6, v5, v3
	v_lshlrev_b32_e32 v5, v5, v6
	v_cmp_ne_u32_e32 vcc, v5, v3
	v_add_u32_e32 v4, 0xfffffc10, v4
	v_lshl_or_b32 v5, v4, 12, v1
	v_cndmask_b32_e64 v3, 0, 1, vcc
	v_or_b32_e32 v3, v6, v3
	v_cmp_gt_i32_e32 vcc, 1, v4
	s_movk_i32 s0, 0x40f
	v_lshrrev_b32_e32 v2, 16, v2
	v_cndmask_b32_e32 v3, v5, v3, vcc
	v_and_b32_e32 v5, 7, v3
	v_cmp_lt_i32_e32 vcc, 5, v5
	v_lshrrev_b32_e32 v3, 2, v3
	s_nop 0
	v_cndmask_b32_e64 v6, 0, 1, vcc
	v_cmp_eq_u32_e32 vcc, 3, v5
	s_nop 1
	v_cndmask_b32_e64 v5, 0, 1, vcc
	v_or_b32_e32 v5, v5, v6
	v_add_u32_e32 v3, v3, v5
	v_mov_b32_e32 v5, 0x7c00
	v_cmp_gt_i32_e32 vcc, 31, v4
	v_mov_b32_e32 v6, 0x7e00
	s_nop 0
	v_cndmask_b32_e32 v3, v5, v3, vcc
	v_cmp_ne_u32_e32 vcc, 0, v1
	s_nop 1
	v_cndmask_b32_e32 v1, v5, v6, vcc
	v_cmp_eq_u32_e32 vcc, s0, v4
	s_mov_b32 s0, 0x8000
	s_nop 0
	v_cndmask_b32_e32 v1, v3, v1, vcc
	v_and_or_b32 v2, v2, s0, v1
	v_ashrrev_i32_e32 v1, 31, v0
	v_lshl_add_u64 v[0:1], s[4:5], 0, v[0:1]
	s_cbranch_scc1 .LBB216_2018
; %bb.1898:
	s_and_b32 s16, 0xffff, s20
	s_mov_b64 s[6:7], -1
	s_mov_b64 s[4:5], 0
	s_cmp_gt_i32 s16, 25
	s_mov_b64 s[0:1], 0
	s_cbranch_scc0 .LBB216_1931
; %bb.1899:
	s_cmp_gt_i32 s16, 28
	s_cbranch_scc0 .LBB216_1915
; %bb.1900:
	s_cmp_gt_i32 s16, 43
	;; [unrolled: 3-line block ×3, first 2 shown]
	s_cbranch_scc0 .LBB216_1905
; %bb.1902:
	s_cmp_eq_u32 s16, 46
	s_mov_b64 s[0:1], -1
	s_cbranch_scc0 .LBB216_1904
; %bb.1903:
	v_cvt_f32_f16_e32 v3, v2
	s_movk_i32 s0, 0x7fff
	v_cmp_o_f16_e32 vcc, v2, v2
	v_mov_b32_e32 v4, 0x7fc0
	v_bfe_u32 v5, v3, 16, 1
	v_add3_u32 v3, v3, v5, s0
	v_cndmask_b32_sdwa v3, v4, v3, vcc dst_sel:DWORD dst_unused:UNUSED_PAD src0_sel:DWORD src1_sel:WORD_1
	global_store_dword v[0:1], v3, off
	s_mov_b64 s[0:1], 0
.LBB216_1904:
	s_mov_b64 s[6:7], 0
.LBB216_1905:
	s_and_b64 vcc, exec, s[6:7]
	s_cbranch_vccz .LBB216_1910
; %bb.1906:
	s_cmp_eq_u32 s16, 44
	s_mov_b64 s[0:1], -1
	s_cbranch_scc0 .LBB216_1910
; %bb.1907:
	v_cvt_f32_f16_e32 v3, v2
	s_movk_i32 s0, 0xff
	v_mov_b32_e32 v5, 0xff
	v_bfe_u32 v4, v3, 23, 8
	v_cmp_ne_u32_e32 vcc, s0, v4
	s_and_saveexec_b64 s[6:7], vcc
; %bb.1908:
	s_mov_b32 s0, 0x3fffff
	v_lshrrev_b32_e32 v5, 23, v3
	v_and_b32_e32 v6, 0x400000, v3
	v_and_or_b32 v3, v3, s0, v4
	v_cmp_ne_u32_e32 vcc, 0, v6
	v_cmp_ne_u32_e64 s[0:1], 0, v3
	s_and_b64 s[0:1], vcc, s[0:1]
	s_nop 0
	v_cndmask_b32_e64 v3, 0, 1, s[0:1]
	v_add_u32_e32 v5, v5, v3
; %bb.1909:
	s_or_b64 exec, exec, s[6:7]
	s_mov_b64 s[0:1], 0
	global_store_byte v[0:1], v5, off
.LBB216_1910:
	s_mov_b64 s[6:7], 0
.LBB216_1911:
	s_and_b64 vcc, exec, s[6:7]
	s_cbranch_vccz .LBB216_1914
; %bb.1912:
	s_cmp_eq_u32 s16, 29
	s_mov_b64 s[0:1], -1
	s_cbranch_scc0 .LBB216_1914
; %bb.1913:
	v_cvt_f32_f16_e32 v3, v2
	v_mov_b32_e32 v5, 0
	s_mov_b64 s[0:1], 0
	v_cvt_u32_f32_e32 v4, v3
	global_store_dwordx2 v[0:1], v[4:5], off
.LBB216_1914:
	s_mov_b64 s[6:7], 0
.LBB216_1915:
	s_and_b64 vcc, exec, s[6:7]
	s_cbranch_vccz .LBB216_1930
; %bb.1916:
	s_cmp_lt_i32 s16, 27
	s_mov_b64 s[6:7], -1
	s_cbranch_scc1 .LBB216_1922
; %bb.1917:
	s_cmp_gt_i32 s16, 27
	s_cbranch_scc0 .LBB216_1919
; %bb.1918:
	v_cvt_f32_f16_e32 v3, v2
	s_mov_b64 s[6:7], 0
	v_cvt_u32_f32_e32 v3, v3
	global_store_dword v[0:1], v3, off
.LBB216_1919:
	s_andn2_b64 vcc, exec, s[6:7]
	s_cbranch_vccnz .LBB216_1921
; %bb.1920:
	v_cvt_u16_f16_e32 v3, v2
	global_store_short v[0:1], v3, off
.LBB216_1921:
	s_mov_b64 s[6:7], 0
.LBB216_1922:
	s_andn2_b64 vcc, exec, s[6:7]
	s_cbranch_vccnz .LBB216_1930
; %bb.1923:
	v_cvt_f32_f16_e32 v3, v2
	s_mov_b32 s6, 0x43800000
	v_mov_b32_e32 v5, 0x80
	v_and_b32_e32 v4, 0x7fffffff, v3
	v_cmp_gt_u32_e32 vcc, s6, v4
	s_and_saveexec_b64 s[6:7], vcc
	s_cbranch_execz .LBB216_1929
; %bb.1924:
	s_mov_b32 s8, 0x3bffffff
	v_cmp_lt_u32_e32 vcc, s8, v4
	s_mov_b64 s[8:9], 0
                                        ; implicit-def: $vgpr4
	s_and_saveexec_b64 s[10:11], vcc
	s_xor_b64 s[10:11], exec, s[10:11]
	s_cbranch_execz .LBB216_2035
; %bb.1925:
	v_bfe_u32 v4, v3, 20, 1
	s_mov_b32 s17, 0x487ffff
	v_add3_u32 v4, v3, v4, s17
	s_mov_b64 s[8:9], exec
	v_lshrrev_b32_e32 v4, 20, v4
	s_andn2_saveexec_b64 s[10:11], s[10:11]
	s_cbranch_execnz .LBB216_2036
.LBB216_1926:
	s_or_b64 exec, exec, s[10:11]
	v_mov_b32_e32 v5, 0
	s_and_saveexec_b64 s[10:11], s[8:9]
.LBB216_1927:
	v_lshrrev_b32_e32 v3, 24, v3
	s_movk_i32 s8, 0x80
	v_and_or_b32 v5, v3, s8, v4
.LBB216_1928:
	s_or_b64 exec, exec, s[10:11]
.LBB216_1929:
	s_or_b64 exec, exec, s[6:7]
	global_store_byte v[0:1], v5, off
.LBB216_1930:
	s_mov_b64 s[6:7], 0
.LBB216_1931:
	s_and_b64 vcc, exec, s[6:7]
	s_cbranch_vccz .LBB216_1971
; %bb.1932:
	s_cmp_gt_i32 s16, 22
	s_mov_b64 s[4:5], -1
	s_cbranch_scc0 .LBB216_1964
; %bb.1933:
	s_cmp_lt_i32 s16, 24
	s_cbranch_scc1 .LBB216_1953
; %bb.1934:
	s_cmp_gt_i32 s16, 24
	s_cbranch_scc0 .LBB216_1942
; %bb.1935:
	v_cvt_f32_f16_e32 v3, v2
	s_mov_b32 s4, 0x47800000
	v_mov_b32_e32 v5, 0x80
	v_and_b32_e32 v4, 0x7fffffff, v3
	v_cmp_gt_u32_e32 vcc, s4, v4
	s_and_saveexec_b64 s[4:5], vcc
	s_cbranch_execz .LBB216_1941
; %bb.1936:
	s_mov_b32 s6, 0x37ffffff
	v_cmp_lt_u32_e32 vcc, s6, v4
	s_mov_b64 s[6:7], 0
                                        ; implicit-def: $vgpr4
	s_and_saveexec_b64 s[8:9], vcc
	s_xor_b64 s[8:9], exec, s[8:9]
	s_cbranch_execz .LBB216_2038
; %bb.1937:
	v_bfe_u32 v4, v3, 21, 1
	s_mov_b32 s10, 0x88fffff
	v_add3_u32 v4, v3, v4, s10
	s_mov_b64 s[6:7], exec
	v_lshrrev_b32_e32 v4, 21, v4
	s_andn2_saveexec_b64 s[8:9], s[8:9]
	s_cbranch_execnz .LBB216_2039
.LBB216_1938:
	s_or_b64 exec, exec, s[8:9]
	v_mov_b32_e32 v5, 0
	s_and_saveexec_b64 s[8:9], s[6:7]
.LBB216_1939:
	v_lshrrev_b32_e32 v3, 24, v3
	s_movk_i32 s6, 0x80
	v_and_or_b32 v5, v3, s6, v4
.LBB216_1940:
	s_or_b64 exec, exec, s[8:9]
.LBB216_1941:
	s_or_b64 exec, exec, s[4:5]
	s_mov_b64 s[4:5], 0
	global_store_byte v[0:1], v5, off
.LBB216_1942:
	s_and_b64 vcc, exec, s[4:5]
	s_cbranch_vccz .LBB216_1952
; %bb.1943:
	v_cvt_f32_f16_e32 v3, v2
	s_mov_b32 s4, 0x43f00000
                                        ; implicit-def: $vgpr4
	v_and_b32_e32 v5, 0x7fffffff, v3
	v_cmp_gt_u32_e32 vcc, s4, v5
	s_and_saveexec_b64 s[4:5], vcc
	s_xor_b64 s[4:5], exec, s[4:5]
	s_cbranch_execz .LBB216_1949
; %bb.1944:
	s_mov_b32 s6, 0x3c7fffff
	v_cmp_lt_u32_e32 vcc, s6, v5
                                        ; implicit-def: $vgpr4
	s_and_saveexec_b64 s[6:7], vcc
	s_xor_b64 s[6:7], exec, s[6:7]
; %bb.1945:
	v_bfe_u32 v4, v3, 20, 1
	s_mov_b32 s8, 0x407ffff
	v_add3_u32 v4, v3, v4, s8
	v_lshrrev_b32_e32 v5, 20, v4
	v_and_b32_e32 v4, 0xff00000, v4
	s_mov_b32 s8, 0x7f00000
	v_mov_b32_e32 v6, 0x7e
	v_cmp_ne_u32_e32 vcc, s8, v4
	s_nop 1
	v_cndmask_b32_e32 v4, v6, v5, vcc
; %bb.1946:
	s_andn2_saveexec_b64 s[6:7], s[6:7]
; %bb.1947:
	s_mov_b32 s8, 0x46800000
	v_add_f32_e64 v4, |v3|, s8
; %bb.1948:
	s_or_b64 exec, exec, s[6:7]
                                        ; implicit-def: $vgpr5
.LBB216_1949:
	s_andn2_saveexec_b64 s[4:5], s[4:5]
; %bb.1950:
	s_mov_b32 s6, 0x7f800000
	v_mov_b32_e32 v4, 0x7e
	v_mov_b32_e32 v6, 0x7f
	v_cmp_lt_u32_e32 vcc, s6, v5
	s_nop 1
	v_cndmask_b32_e32 v4, v4, v6, vcc
; %bb.1951:
	s_or_b64 exec, exec, s[4:5]
	v_lshrrev_b32_e32 v3, 24, v3
	s_movk_i32 s4, 0x80
	v_and_or_b32 v3, v3, s4, v4
	global_store_byte v[0:1], v3, off
.LBB216_1952:
	s_mov_b64 s[4:5], 0
.LBB216_1953:
	s_andn2_b64 vcc, exec, s[4:5]
	s_cbranch_vccnz .LBB216_1963
; %bb.1954:
	v_cvt_f32_f16_e32 v3, v2
	s_mov_b32 s4, 0x47800000
                                        ; implicit-def: $vgpr4
	v_and_b32_e32 v5, 0x7fffffff, v3
	v_cmp_gt_u32_e32 vcc, s4, v5
	s_and_saveexec_b64 s[4:5], vcc
	s_xor_b64 s[4:5], exec, s[4:5]
	s_cbranch_execz .LBB216_1960
; %bb.1955:
	s_mov_b32 s6, 0x387fffff
	v_cmp_lt_u32_e32 vcc, s6, v5
                                        ; implicit-def: $vgpr4
	s_and_saveexec_b64 s[6:7], vcc
	s_xor_b64 s[6:7], exec, s[6:7]
; %bb.1956:
	v_bfe_u32 v4, v3, 21, 1
	s_mov_b32 s8, 0x80fffff
	v_add3_u32 v4, v3, v4, s8
	v_lshrrev_b32_e32 v4, 21, v4
; %bb.1957:
	s_andn2_saveexec_b64 s[6:7], s[6:7]
; %bb.1958:
	s_mov_b32 s8, 0x43000000
	v_add_f32_e64 v4, |v3|, s8
; %bb.1959:
	s_or_b64 exec, exec, s[6:7]
                                        ; implicit-def: $vgpr5
.LBB216_1960:
	s_andn2_saveexec_b64 s[4:5], s[4:5]
; %bb.1961:
	s_mov_b32 s6, 0x7f800000
	v_mov_b32_e32 v4, 0x7c
	v_mov_b32_e32 v6, 0x7f
	v_cmp_lt_u32_e32 vcc, s6, v5
	s_nop 1
	v_cndmask_b32_e32 v4, v4, v6, vcc
; %bb.1962:
	s_or_b64 exec, exec, s[4:5]
	v_lshrrev_b32_e32 v3, 24, v3
	s_movk_i32 s4, 0x80
	v_and_or_b32 v3, v3, s4, v4
	global_store_byte v[0:1], v3, off
.LBB216_1963:
	s_mov_b64 s[4:5], 0
.LBB216_1964:
	s_andn2_b64 vcc, exec, s[4:5]
	s_mov_b64 s[4:5], 0
	s_cbranch_vccnz .LBB216_1971
; %bb.1965:
	s_cmp_gt_i32 s16, 14
	s_mov_b64 s[6:7], -1
	s_cbranch_scc0 .LBB216_1969
; %bb.1966:
	s_cmp_eq_u32 s16, 15
	s_mov_b64 s[0:1], -1
	s_cbranch_scc0 .LBB216_1968
; %bb.1967:
	v_cvt_f32_f16_e32 v3, v2
	s_movk_i32 s0, 0x7fff
	v_cmp_o_f16_e32 vcc, v2, v2
	v_mov_b32_e32 v4, 0x7fc0
	v_bfe_u32 v5, v3, 16, 1
	v_add3_u32 v3, v3, v5, s0
	v_cndmask_b32_sdwa v3, v4, v3, vcc dst_sel:DWORD dst_unused:UNUSED_PAD src0_sel:DWORD src1_sel:WORD_1
	global_store_short v[0:1], v3, off
	s_mov_b64 s[0:1], 0
.LBB216_1968:
	s_mov_b64 s[6:7], 0
.LBB216_1969:
	s_and_b64 vcc, exec, s[6:7]
	s_cbranch_vccz .LBB216_1971
; %bb.1970:
	s_cmp_lg_u32 s16, 11
	s_mov_b64 s[4:5], -1
	s_cselect_b64 s[0:1], -1, 0
.LBB216_1971:
	s_and_b64 vcc, exec, s[0:1]
	s_cbranch_vccnz .LBB216_2037
.LBB216_1972:
	s_mov_b64 s[0:1], 0
	s_branch .LBB216_1974
.LBB216_1973:
	s_mov_b64 s[0:1], 0
	s_mov_b64 s[4:5], 0
                                        ; implicit-def: $sgpr20
                                        ; implicit-def: $vgpr0_vgpr1
                                        ; implicit-def: $vgpr2
.LBB216_1974:
	s_and_b64 s[10:11], s[4:5], exec
	s_andn2_b64 s[4:5], s[12:13], exec
	s_and_b64 s[6:7], s[14:15], exec
	s_and_b64 s[0:1], s[0:1], exec
	s_or_b64 s[12:13], s[4:5], s[6:7]
.LBB216_1975:
	s_or_b64 exec, exec, s[2:3]
	s_and_saveexec_b64 s[2:3], s[12:13]
	s_cbranch_execz .LBB216_1978
; %bb.1976:
	; divergent unreachable
	s_or_b64 exec, exec, s[2:3]
	s_and_saveexec_b64 s[2:3], s[10:11]
	s_xor_b64 s[2:3], exec, s[2:3]
	s_cbranch_execnz .LBB216_1979
.LBB216_1977:
	s_or_b64 exec, exec, s[2:3]
	s_and_saveexec_b64 s[2:3], s[0:1]
	s_cbranch_execnz .LBB216_1980
	s_branch .LBB216_2017
.LBB216_1978:
	s_or_b64 exec, exec, s[2:3]
	s_and_saveexec_b64 s[2:3], s[10:11]
	s_xor_b64 s[2:3], exec, s[2:3]
	s_cbranch_execz .LBB216_1977
.LBB216_1979:
	s_waitcnt vmcnt(0)
	v_cmp_neq_f16_e32 vcc, 0, v2
	s_nop 1
	v_cndmask_b32_e64 v3, 0, 1, vcc
	global_store_byte v[0:1], v3, off
	s_or_b64 exec, exec, s[2:3]
	s_and_saveexec_b64 s[2:3], s[0:1]
	s_cbranch_execz .LBB216_2017
.LBB216_1980:
	s_sext_i32_i16 s2, s20
	s_cmp_lt_i32 s2, 5
	s_mov_b64 s[0:1], -1
	s_cbranch_scc1 .LBB216_2001
; %bb.1981:
	s_cmp_lt_i32 s2, 8
	s_cbranch_scc1 .LBB216_1991
; %bb.1982:
	s_cmp_lt_i32 s2, 9
	s_cbranch_scc1 .LBB216_1988
; %bb.1983:
	s_cmp_gt_i32 s2, 9
	s_cbranch_scc0 .LBB216_1985
; %bb.1984:
	s_waitcnt vmcnt(0)
	v_cvt_f32_f16_e32 v3, v2
	v_mov_b32_e32 v6, 0
	v_mov_b32_e32 v7, v6
	s_mov_b64 s[0:1], 0
	v_cvt_f64_f32_e32 v[4:5], v3
	global_store_dwordx4 v[0:1], v[4:7], off
.LBB216_1985:
	s_andn2_b64 vcc, exec, s[0:1]
	s_cbranch_vccnz .LBB216_1987
; %bb.1986:
	s_waitcnt vmcnt(0)
	v_cvt_f32_f16_e32 v4, v2
	v_mov_b32_e32 v5, 0
	global_store_dwordx2 v[0:1], v[4:5], off
.LBB216_1987:
	s_mov_b64 s[0:1], 0
.LBB216_1988:
	s_andn2_b64 vcc, exec, s[0:1]
	s_cbranch_vccnz .LBB216_1990
; %bb.1989:
	s_waitcnt vmcnt(0)
	v_and_b32_e32 v3, 0xffff, v2
	global_store_dword v[0:1], v3, off
.LBB216_1990:
	s_mov_b64 s[0:1], 0
.LBB216_1991:
	s_andn2_b64 vcc, exec, s[0:1]
	s_cbranch_vccnz .LBB216_2000
; %bb.1992:
	s_sext_i32_i16 s2, s20
	s_cmp_lt_i32 s2, 6
	s_mov_b64 s[0:1], -1
	s_cbranch_scc1 .LBB216_1998
; %bb.1993:
	s_cmp_gt_i32 s2, 6
	s_cbranch_scc0 .LBB216_1995
; %bb.1994:
	s_waitcnt vmcnt(0)
	v_cvt_f32_f16_e32 v3, v2
	s_mov_b64 s[0:1], 0
	v_cvt_f64_f32_e32 v[4:5], v3
	global_store_dwordx2 v[0:1], v[4:5], off
.LBB216_1995:
	s_andn2_b64 vcc, exec, s[0:1]
	s_cbranch_vccnz .LBB216_1997
; %bb.1996:
	s_waitcnt vmcnt(0)
	v_cvt_f32_f16_e32 v3, v2
	global_store_dword v[0:1], v3, off
.LBB216_1997:
	s_mov_b64 s[0:1], 0
.LBB216_1998:
	s_andn2_b64 vcc, exec, s[0:1]
	s_cbranch_vccnz .LBB216_2000
; %bb.1999:
	s_waitcnt vmcnt(0)
	global_store_short v[0:1], v2, off
.LBB216_2000:
	s_mov_b64 s[0:1], 0
.LBB216_2001:
	s_andn2_b64 vcc, exec, s[0:1]
	s_cbranch_vccnz .LBB216_2017
; %bb.2002:
	s_sext_i32_i16 s2, s20
	s_cmp_lt_i32 s2, 2
	s_mov_b64 s[0:1], -1
	s_cbranch_scc1 .LBB216_2012
; %bb.2003:
	s_cmp_lt_i32 s2, 3
	s_cbranch_scc1 .LBB216_2009
; %bb.2004:
	s_cmp_gt_i32 s2, 3
	s_cbranch_scc0 .LBB216_2006
; %bb.2005:
	s_waitcnt vmcnt(0)
	v_cvt_f32_f16_e32 v3, v2
	s_mov_b64 s[0:1], 0
	v_cvt_i32_f32_e32 v4, v3
	v_ashrrev_i32_e32 v5, 31, v4
	global_store_dwordx2 v[0:1], v[4:5], off
.LBB216_2006:
	s_andn2_b64 vcc, exec, s[0:1]
	s_cbranch_vccnz .LBB216_2008
; %bb.2007:
	s_waitcnt vmcnt(0)
	v_cvt_f32_f16_e32 v3, v2
	v_cvt_i32_f32_e32 v3, v3
	global_store_dword v[0:1], v3, off
.LBB216_2008:
	s_mov_b64 s[0:1], 0
.LBB216_2009:
	s_andn2_b64 vcc, exec, s[0:1]
	s_cbranch_vccnz .LBB216_2011
; %bb.2010:
	s_waitcnt vmcnt(0)
	v_cvt_i16_f16_e32 v3, v2
	global_store_short v[0:1], v3, off
.LBB216_2011:
	s_mov_b64 s[0:1], 0
.LBB216_2012:
	s_andn2_b64 vcc, exec, s[0:1]
	s_cbranch_vccnz .LBB216_2017
; %bb.2013:
	s_sext_i32_i16 s0, s20
	s_cmp_gt_i32 s0, 0
	s_mov_b64 s[0:1], -1
	s_cbranch_scc0 .LBB216_2015
; %bb.2014:
	s_waitcnt vmcnt(0)
	v_cvt_i16_f16_e32 v3, v2
	global_store_byte v[0:1], v3, off
	s_mov_b64 s[0:1], 0
.LBB216_2015:
	s_andn2_b64 vcc, exec, s[0:1]
	s_cbranch_vccnz .LBB216_2017
; %bb.2016:
	s_waitcnt vmcnt(0)
	v_cvt_f32_f16_e32 v2, v2
	v_cvt_i32_f32_e32 v2, v2
	global_store_byte v[0:1], v2, off
	s_endpgm
.LBB216_2017:
	s_endpgm
.LBB216_2018:
	s_mov_b64 s[4:5], 0
	s_mov_b64 s[0:1], -1
	s_branch .LBB216_1974
.LBB216_2019:
	s_trap 2
	s_or_b64 s[14:15], s[14:15], exec
	s_cbranch_execz .LBB216_1488
	s_branch .LBB216_1489
.LBB216_2020:
	s_andn2_saveexec_b64 s[18:19], s[18:19]
	s_cbranch_execz .LBB216_1568
.LBB216_2021:
	s_mov_b32 s21, 0x46000000
	v_add_f32_e64 v4, |v1|, s21
	v_and_b32_e32 v4, 0xff, v4
	v_cmp_ne_u32_e32 vcc, 0, v4
	s_andn2_b64 s[16:17], s[16:17], exec
	s_and_b64 s[22:23], vcc, exec
	s_or_b64 s[16:17], s[16:17], s[22:23]
	s_or_b64 exec, exec, s[18:19]
	v_mov_b32_e32 v9, 0
	s_and_saveexec_b64 s[18:19], s[16:17]
	s_cbranch_execnz .LBB216_1569
	s_branch .LBB216_1570
.LBB216_2022:
	s_trap 2
	s_or_b64 s[14:15], s[14:15], exec
	s_cbranch_execz .LBB216_1616
	s_branch .LBB216_1617
.LBB216_2023:
	s_andn2_saveexec_b64 s[16:17], s[16:17]
	s_cbranch_execz .LBB216_1581
.LBB216_2024:
	s_mov_b32 s18, 0x42800000
	v_add_f32_e64 v4, |v1|, s18
	v_and_b32_e32 v4, 0xff, v4
	v_cmp_ne_u32_e32 vcc, 0, v4
	s_andn2_b64 s[10:11], s[10:11], exec
	s_and_b64 s[18:19], vcc, exec
	s_or_b64 s[10:11], s[10:11], s[18:19]
	s_or_b64 exec, exec, s[16:17]
	v_mov_b32_e32 v9, 0
	s_and_saveexec_b64 s[16:17], s[10:11]
	s_cbranch_execnz .LBB216_1582
	s_branch .LBB216_1583
.LBB216_2025:
	s_andn2_saveexec_b64 s[16:17], s[16:17]
	s_cbranch_execz .LBB216_1687
.LBB216_2026:
	s_mov_b32 s21, 0x46000000
	v_add_f32_e64 v5, |v1|, s21
	v_and_b32_e32 v5, 0xff, v5
	v_cmp_ne_u32_e32 vcc, 0, v5
	s_andn2_b64 s[10:11], s[10:11], exec
	s_and_b64 s[22:23], vcc, exec
	s_or_b64 s[10:11], s[10:11], s[22:23]
	s_or_b64 exec, exec, s[16:17]
	v_mov_b32_e32 v6, 0
	s_and_saveexec_b64 s[16:17], s[10:11]
	s_cbranch_execnz .LBB216_1688
	s_branch .LBB216_1689
.LBB216_2027:
	s_trap 2
	s_or_b64 s[14:15], s[14:15], exec
	s_cbranch_execz .LBB216_1735
	s_branch .LBB216_1736
.LBB216_2028:
	s_andn2_saveexec_b64 s[10:11], s[10:11]
	s_cbranch_execz .LBB216_1700
.LBB216_2029:
	s_mov_b32 s16, 0x42800000
	v_add_f32_e64 v5, |v1|, s16
	v_and_b32_e32 v5, 0xff, v5
	v_cmp_ne_u32_e32 vcc, 0, v5
	s_andn2_b64 s[8:9], s[8:9], exec
	s_and_b64 s[16:17], vcc, exec
	s_or_b64 s[8:9], s[8:9], s[16:17]
	s_or_b64 exec, exec, s[10:11]
	v_mov_b32_e32 v6, 0
	s_and_saveexec_b64 s[10:11], s[8:9]
	s_cbranch_execnz .LBB216_1701
	s_branch .LBB216_1702
.LBB216_2030:
	s_andn2_saveexec_b64 s[16:17], s[16:17]
	s_cbranch_execz .LBB216_1806
.LBB216_2031:
	s_mov_b32 s21, 0x46000000
	v_add_f32_e64 v5, |v1|, s21
	v_and_b32_e32 v5, 0xff, v5
	v_cmp_ne_u32_e32 vcc, 0, v5
	s_andn2_b64 s[10:11], s[10:11], exec
	s_and_b64 s[22:23], vcc, exec
	s_or_b64 s[10:11], s[10:11], s[22:23]
	s_or_b64 exec, exec, s[16:17]
	v_mov_b32_e32 v6, 0
	s_and_saveexec_b64 s[16:17], s[10:11]
	s_cbranch_execnz .LBB216_1807
	s_branch .LBB216_1808
.LBB216_2032:
	s_trap 2
	s_or_b64 s[14:15], s[14:15], exec
	s_cbranch_execz .LBB216_1854
	s_branch .LBB216_1855
.LBB216_2033:
	s_andn2_saveexec_b64 s[10:11], s[10:11]
	s_cbranch_execz .LBB216_1819
.LBB216_2034:
	s_mov_b32 s16, 0x42800000
	v_add_f32_e64 v5, |v1|, s16
	v_and_b32_e32 v5, 0xff, v5
	v_cmp_ne_u32_e32 vcc, 0, v5
	s_andn2_b64 s[8:9], s[8:9], exec
	s_and_b64 s[16:17], vcc, exec
	s_or_b64 s[8:9], s[8:9], s[16:17]
	s_or_b64 exec, exec, s[10:11]
	v_mov_b32_e32 v6, 0
	s_and_saveexec_b64 s[10:11], s[8:9]
	s_cbranch_execnz .LBB216_1820
	s_branch .LBB216_1821
.LBB216_2035:
	s_andn2_saveexec_b64 s[10:11], s[10:11]
	s_cbranch_execz .LBB216_1926
.LBB216_2036:
	s_mov_b32 s17, 0x46000000
	v_add_f32_e64 v4, |v3|, s17
	v_and_b32_e32 v4, 0xff, v4
	v_cmp_ne_u32_e32 vcc, 0, v4
	s_andn2_b64 s[8:9], s[8:9], exec
	s_and_b64 s[18:19], vcc, exec
	s_or_b64 s[8:9], s[8:9], s[18:19]
	s_or_b64 exec, exec, s[10:11]
	v_mov_b32_e32 v5, 0
	s_and_saveexec_b64 s[10:11], s[8:9]
	s_cbranch_execnz .LBB216_1927
	s_branch .LBB216_1928
.LBB216_2037:
	s_mov_b64 s[4:5], 0
	s_or_b64 s[14:15], s[14:15], exec
	s_trap 2
	s_branch .LBB216_1972
.LBB216_2038:
	s_andn2_saveexec_b64 s[8:9], s[8:9]
	s_cbranch_execz .LBB216_1938
.LBB216_2039:
	s_mov_b32 s10, 0x42800000
	v_add_f32_e64 v4, |v3|, s10
	v_and_b32_e32 v4, 0xff, v4
	v_cmp_ne_u32_e32 vcc, 0, v4
	s_andn2_b64 s[6:7], s[6:7], exec
	s_and_b64 s[10:11], vcc, exec
	s_or_b64 s[6:7], s[6:7], s[10:11]
	s_or_b64 exec, exec, s[8:9]
	v_mov_b32_e32 v5, 0
	s_and_saveexec_b64 s[8:9], s[6:7]
	s_cbranch_execnz .LBB216_1939
	s_branch .LBB216_1940
	.section	.rodata,"a",@progbits
	.p2align	6, 0x0
	.amdhsa_kernel _ZN2at6native32elementwise_kernel_manual_unrollILi128ELi4EZNS0_15gpu_kernel_implIZZZNS0_17rsqrt_kernel_cudaERNS_18TensorIteratorBaseEENKUlvE0_clEvENKUlvE2_clEvEUlN3c104HalfEE_EEvS4_RKT_EUlibE_EEviT1_
		.amdhsa_group_segment_fixed_size 0
		.amdhsa_private_segment_fixed_size 0
		.amdhsa_kernarg_size 40
		.amdhsa_user_sgpr_count 2
		.amdhsa_user_sgpr_dispatch_ptr 0
		.amdhsa_user_sgpr_queue_ptr 0
		.amdhsa_user_sgpr_kernarg_segment_ptr 1
		.amdhsa_user_sgpr_dispatch_id 0
		.amdhsa_user_sgpr_kernarg_preload_length 0
		.amdhsa_user_sgpr_kernarg_preload_offset 0
		.amdhsa_user_sgpr_private_segment_size 0
		.amdhsa_uses_dynamic_stack 0
		.amdhsa_enable_private_segment 0
		.amdhsa_system_sgpr_workgroup_id_x 1
		.amdhsa_system_sgpr_workgroup_id_y 0
		.amdhsa_system_sgpr_workgroup_id_z 0
		.amdhsa_system_sgpr_workgroup_info 0
		.amdhsa_system_vgpr_workitem_id 0
		.amdhsa_next_free_vgpr 14
		.amdhsa_next_free_sgpr 44
		.amdhsa_accum_offset 16
		.amdhsa_reserve_vcc 1
		.amdhsa_float_round_mode_32 0
		.amdhsa_float_round_mode_16_64 0
		.amdhsa_float_denorm_mode_32 3
		.amdhsa_float_denorm_mode_16_64 3
		.amdhsa_dx10_clamp 1
		.amdhsa_ieee_mode 1
		.amdhsa_fp16_overflow 0
		.amdhsa_tg_split 0
		.amdhsa_exception_fp_ieee_invalid_op 0
		.amdhsa_exception_fp_denorm_src 0
		.amdhsa_exception_fp_ieee_div_zero 0
		.amdhsa_exception_fp_ieee_overflow 0
		.amdhsa_exception_fp_ieee_underflow 0
		.amdhsa_exception_fp_ieee_inexact 0
		.amdhsa_exception_int_div_zero 0
	.end_amdhsa_kernel
	.section	.text._ZN2at6native32elementwise_kernel_manual_unrollILi128ELi4EZNS0_15gpu_kernel_implIZZZNS0_17rsqrt_kernel_cudaERNS_18TensorIteratorBaseEENKUlvE0_clEvENKUlvE2_clEvEUlN3c104HalfEE_EEvS4_RKT_EUlibE_EEviT1_,"axG",@progbits,_ZN2at6native32elementwise_kernel_manual_unrollILi128ELi4EZNS0_15gpu_kernel_implIZZZNS0_17rsqrt_kernel_cudaERNS_18TensorIteratorBaseEENKUlvE0_clEvENKUlvE2_clEvEUlN3c104HalfEE_EEvS4_RKT_EUlibE_EEviT1_,comdat
.Lfunc_end216:
	.size	_ZN2at6native32elementwise_kernel_manual_unrollILi128ELi4EZNS0_15gpu_kernel_implIZZZNS0_17rsqrt_kernel_cudaERNS_18TensorIteratorBaseEENKUlvE0_clEvENKUlvE2_clEvEUlN3c104HalfEE_EEvS4_RKT_EUlibE_EEviT1_, .Lfunc_end216-_ZN2at6native32elementwise_kernel_manual_unrollILi128ELi4EZNS0_15gpu_kernel_implIZZZNS0_17rsqrt_kernel_cudaERNS_18TensorIteratorBaseEENKUlvE0_clEvENKUlvE2_clEvEUlN3c104HalfEE_EEvS4_RKT_EUlibE_EEviT1_
                                        ; -- End function
	.set _ZN2at6native32elementwise_kernel_manual_unrollILi128ELi4EZNS0_15gpu_kernel_implIZZZNS0_17rsqrt_kernel_cudaERNS_18TensorIteratorBaseEENKUlvE0_clEvENKUlvE2_clEvEUlN3c104HalfEE_EEvS4_RKT_EUlibE_EEviT1_.num_vgpr, 14
	.set _ZN2at6native32elementwise_kernel_manual_unrollILi128ELi4EZNS0_15gpu_kernel_implIZZZNS0_17rsqrt_kernel_cudaERNS_18TensorIteratorBaseEENKUlvE0_clEvENKUlvE2_clEvEUlN3c104HalfEE_EEvS4_RKT_EUlibE_EEviT1_.num_agpr, 0
	.set _ZN2at6native32elementwise_kernel_manual_unrollILi128ELi4EZNS0_15gpu_kernel_implIZZZNS0_17rsqrt_kernel_cudaERNS_18TensorIteratorBaseEENKUlvE0_clEvENKUlvE2_clEvEUlN3c104HalfEE_EEvS4_RKT_EUlibE_EEviT1_.numbered_sgpr, 44
	.set _ZN2at6native32elementwise_kernel_manual_unrollILi128ELi4EZNS0_15gpu_kernel_implIZZZNS0_17rsqrt_kernel_cudaERNS_18TensorIteratorBaseEENKUlvE0_clEvENKUlvE2_clEvEUlN3c104HalfEE_EEvS4_RKT_EUlibE_EEviT1_.num_named_barrier, 0
	.set _ZN2at6native32elementwise_kernel_manual_unrollILi128ELi4EZNS0_15gpu_kernel_implIZZZNS0_17rsqrt_kernel_cudaERNS_18TensorIteratorBaseEENKUlvE0_clEvENKUlvE2_clEvEUlN3c104HalfEE_EEvS4_RKT_EUlibE_EEviT1_.private_seg_size, 0
	.set _ZN2at6native32elementwise_kernel_manual_unrollILi128ELi4EZNS0_15gpu_kernel_implIZZZNS0_17rsqrt_kernel_cudaERNS_18TensorIteratorBaseEENKUlvE0_clEvENKUlvE2_clEvEUlN3c104HalfEE_EEvS4_RKT_EUlibE_EEviT1_.uses_vcc, 1
	.set _ZN2at6native32elementwise_kernel_manual_unrollILi128ELi4EZNS0_15gpu_kernel_implIZZZNS0_17rsqrt_kernel_cudaERNS_18TensorIteratorBaseEENKUlvE0_clEvENKUlvE2_clEvEUlN3c104HalfEE_EEvS4_RKT_EUlibE_EEviT1_.uses_flat_scratch, 0
	.set _ZN2at6native32elementwise_kernel_manual_unrollILi128ELi4EZNS0_15gpu_kernel_implIZZZNS0_17rsqrt_kernel_cudaERNS_18TensorIteratorBaseEENKUlvE0_clEvENKUlvE2_clEvEUlN3c104HalfEE_EEvS4_RKT_EUlibE_EEviT1_.has_dyn_sized_stack, 0
	.set _ZN2at6native32elementwise_kernel_manual_unrollILi128ELi4EZNS0_15gpu_kernel_implIZZZNS0_17rsqrt_kernel_cudaERNS_18TensorIteratorBaseEENKUlvE0_clEvENKUlvE2_clEvEUlN3c104HalfEE_EEvS4_RKT_EUlibE_EEviT1_.has_recursion, 0
	.set _ZN2at6native32elementwise_kernel_manual_unrollILi128ELi4EZNS0_15gpu_kernel_implIZZZNS0_17rsqrt_kernel_cudaERNS_18TensorIteratorBaseEENKUlvE0_clEvENKUlvE2_clEvEUlN3c104HalfEE_EEvS4_RKT_EUlibE_EEviT1_.has_indirect_call, 0
	.section	.AMDGPU.csdata,"",@progbits
; Kernel info:
; codeLenInByte = 38784
; TotalNumSgprs: 50
; NumVgprs: 14
; NumAgprs: 0
; TotalNumVgprs: 14
; ScratchSize: 0
; MemoryBound: 0
; FloatMode: 240
; IeeeMode: 1
; LDSByteSize: 0 bytes/workgroup (compile time only)
; SGPRBlocks: 6
; VGPRBlocks: 1
; NumSGPRsForWavesPerEU: 50
; NumVGPRsForWavesPerEU: 14
; AccumOffset: 16
; Occupancy: 8
; WaveLimiterHint : 0
; COMPUTE_PGM_RSRC2:SCRATCH_EN: 0
; COMPUTE_PGM_RSRC2:USER_SGPR: 2
; COMPUTE_PGM_RSRC2:TRAP_HANDLER: 0
; COMPUTE_PGM_RSRC2:TGID_X_EN: 1
; COMPUTE_PGM_RSRC2:TGID_Y_EN: 0
; COMPUTE_PGM_RSRC2:TGID_Z_EN: 0
; COMPUTE_PGM_RSRC2:TIDIG_COMP_CNT: 0
; COMPUTE_PGM_RSRC3_GFX90A:ACCUM_OFFSET: 3
; COMPUTE_PGM_RSRC3_GFX90A:TG_SPLIT: 0
	.section	.text._ZN2at6native32elementwise_kernel_manual_unrollILi128ELi4EZNS0_15gpu_kernel_implIZZZNS0_17rsqrt_kernel_cudaERNS_18TensorIteratorBaseEENKUlvE0_clEvENKUlvE2_clEvEUlN3c104HalfEE_EEvS4_RKT_EUlibE0_EEviT1_,"axG",@progbits,_ZN2at6native32elementwise_kernel_manual_unrollILi128ELi4EZNS0_15gpu_kernel_implIZZZNS0_17rsqrt_kernel_cudaERNS_18TensorIteratorBaseEENKUlvE0_clEvENKUlvE2_clEvEUlN3c104HalfEE_EEvS4_RKT_EUlibE0_EEviT1_,comdat
	.globl	_ZN2at6native32elementwise_kernel_manual_unrollILi128ELi4EZNS0_15gpu_kernel_implIZZZNS0_17rsqrt_kernel_cudaERNS_18TensorIteratorBaseEENKUlvE0_clEvENKUlvE2_clEvEUlN3c104HalfEE_EEvS4_RKT_EUlibE0_EEviT1_ ; -- Begin function _ZN2at6native32elementwise_kernel_manual_unrollILi128ELi4EZNS0_15gpu_kernel_implIZZZNS0_17rsqrt_kernel_cudaERNS_18TensorIteratorBaseEENKUlvE0_clEvENKUlvE2_clEvEUlN3c104HalfEE_EEvS4_RKT_EUlibE0_EEviT1_
	.p2align	8
	.type	_ZN2at6native32elementwise_kernel_manual_unrollILi128ELi4EZNS0_15gpu_kernel_implIZZZNS0_17rsqrt_kernel_cudaERNS_18TensorIteratorBaseEENKUlvE0_clEvENKUlvE2_clEvEUlN3c104HalfEE_EEvS4_RKT_EUlibE0_EEviT1_,@function
_ZN2at6native32elementwise_kernel_manual_unrollILi128ELi4EZNS0_15gpu_kernel_implIZZZNS0_17rsqrt_kernel_cudaERNS_18TensorIteratorBaseEENKUlvE0_clEvENKUlvE2_clEvEUlN3c104HalfEE_EEvS4_RKT_EUlibE0_EEviT1_: ; @_ZN2at6native32elementwise_kernel_manual_unrollILi128ELi4EZNS0_15gpu_kernel_implIZZZNS0_17rsqrt_kernel_cudaERNS_18TensorIteratorBaseEENKUlvE0_clEvENKUlvE2_clEvEUlN3c104HalfEE_EEvS4_RKT_EUlibE0_EEviT1_
; %bb.0:
	s_load_dword s70, s[0:1], 0x0
	s_load_dword s33, s[0:1], 0x8
	s_add_u32 s34, s0, 8
	s_addc_u32 s35, s1, 0
	v_lshl_or_b32 v8, s2, 9, v0
	v_or_b32_e32 v16, 0x180, v8
	s_waitcnt lgkmcnt(0)
	s_add_i32 s72, s33, -1
	s_cmp_gt_u32 s72, 1
	v_cmp_le_i32_e32 vcc, s70, v16
	s_cselect_b64 s[42:43], -1, 0
	s_mov_b64 s[40:41], 0
	s_mov_b64 s[24:25], 0
	s_and_saveexec_b64 s[2:3], vcc
	s_xor_b64 s[44:45], exec, s[2:3]
	s_cbranch_execz .LBB217_1090
; %bb.1:
	v_mov_b32_e32 v0, 0
	global_load_ushort v0, v0, s[34:35] offset:345
	s_load_dwordx4 s[28:31], s[34:35], 0x4
	s_load_dwordx2 s[46:47], s[34:35], 0x14
	s_load_dwordx4 s[24:27], s[34:35], 0xc4
	s_load_dwordx4 s[20:23], s[34:35], 0x148
	s_cmp_lg_u32 s33, 0
	s_cselect_b64 s[52:53], -1, 0
	s_add_u32 s50, s34, 0xc4
	s_addc_u32 s51, s35, 0
	s_min_u32 s75, s72, 15
	s_cmp_gt_u32 s33, 1
	s_cselect_b64 s[48:49], -1, 0
	v_cmp_gt_i32_e32 vcc, s70, v8
	s_mov_b64 s[4:5], -1
	s_mov_b64 s[62:63], 0
	s_mov_b64 s[56:57], 0
	;; [unrolled: 1-line block ×3, first 2 shown]
	s_waitcnt vmcnt(0)
	v_readfirstlane_b32 s73, v0
	s_and_b32 s2, 0xffff, s73
	s_lshr_b32 s74, s2, 8
	s_and_saveexec_b64 s[58:59], vcc
	s_cbranch_execz .LBB217_267
; %bb.2:
	s_andn2_b64 vcc, exec, s[42:43]
	s_cbranch_vccnz .LBB217_8
; %bb.3:
	s_andn2_b64 vcc, exec, s[52:53]
	s_cbranch_vccnz .LBB217_9
; %bb.4:
	s_add_i32 s57, s75, 1
	s_cmp_eq_u32 s72, 2
	s_cbranch_scc1 .LBB217_10
; %bb.5:
	s_and_b32 s56, s57, 28
	s_mov_b32 s60, 0
	v_mov_b32_e32 v0, 0
	v_mov_b32_e32 v2, 0
	s_mov_b64 s[2:3], s[34:35]
	s_mov_b64 s[54:55], s[50:51]
	v_mov_b32_e32 v4, v8
.LBB217_6:                              ; =>This Inner Loop Header: Depth=1
	s_load_dwordx8 s[12:19], s[2:3], 0x4
	s_load_dwordx4 s[36:39], s[2:3], 0x24
	s_load_dwordx8 s[4:11], s[54:55], 0x0
	s_add_u32 s2, s2, 48
	s_addc_u32 s3, s3, 0
	s_waitcnt lgkmcnt(0)
	v_mul_hi_u32 v1, s13, v4
	v_add_u32_e32 v1, v4, v1
	v_lshrrev_b32_e32 v1, s14, v1
	v_mul_lo_u32 v3, v1, s12
	v_mul_hi_u32 v5, s16, v1
	v_sub_u32_e32 v3, v4, v3
	v_add_u32_e32 v4, v1, v5
	v_lshrrev_b32_e32 v4, s17, v4
	v_mul_lo_u32 v6, v4, s15
	v_mul_hi_u32 v7, s19, v4
	v_sub_u32_e32 v1, v1, v6
	v_add_u32_e32 v6, v4, v7
	v_mul_lo_u32 v5, v3, s5
	v_mul_lo_u32 v3, v3, s4
	;; [unrolled: 1-line block ×4, first 2 shown]
	v_lshrrev_b32_e32 v6, s36, v6
	v_add3_u32 v0, v3, v0, v1
	v_mul_hi_u32 v3, s38, v6
	v_add3_u32 v1, v5, v2, v7
	v_mul_lo_u32 v2, v6, s18
	v_add_u32_e32 v3, v6, v3
	v_sub_u32_e32 v2, v4, v2
	v_lshrrev_b32_e32 v4, s39, v3
	s_add_i32 s60, s60, 4
	v_mul_lo_u32 v3, v4, s37
	s_add_u32 s54, s54, 32
	v_sub_u32_e32 v3, v6, v3
	s_addc_u32 s55, s55, 0
	v_mul_lo_u32 v5, v2, s8
	v_mul_lo_u32 v2, v2, s9
	;; [unrolled: 1-line block ×4, first 2 shown]
	s_cmp_lg_u32 s56, s60
	v_add3_u32 v2, v2, v1, v3
	v_add3_u32 v0, v5, v0, v6
	s_cbranch_scc1 .LBB217_6
; %bb.7:
	v_mov_b32_e32 v1, v2
	s_branch .LBB217_11
.LBB217_8:
                                        ; implicit-def: $vgpr2
                                        ; implicit-def: $vgpr0
	s_branch .LBB217_15
.LBB217_9:
	v_mov_b32_e32 v2, 0
	v_mov_b32_e32 v0, 0
	s_branch .LBB217_14
.LBB217_10:
	v_mov_b32_e32 v0, 0
	s_mov_b32 s56, 0
	v_mov_b32_e32 v1, v0
                                        ; implicit-def: $vgpr2
	v_mov_b32_e32 v4, v8
.LBB217_11:
	s_and_b32 s6, s57, 3
	s_cmp_eq_u32 s6, 0
	s_cbranch_scc1 .LBB217_14
; %bb.12:
	s_lshl_b32 s2, s56, 3
	s_add_u32 s2, s34, s2
	s_addc_u32 s3, s35, 0
	s_add_u32 s2, s2, 0xc4
	s_addc_u32 s3, s3, 0
	s_mul_i32 s4, s56, 12
	s_add_u32 s4, s34, s4
	s_addc_u32 s5, s35, 0
.LBB217_13:                             ; =>This Inner Loop Header: Depth=1
	s_load_dwordx2 s[8:9], s[4:5], 0x4
	s_load_dword s7, s[4:5], 0xc
	s_load_dwordx2 s[10:11], s[2:3], 0x0
	v_mov_b32_e32 v2, v1
	s_add_u32 s4, s4, 12
	s_waitcnt lgkmcnt(0)
	v_mul_hi_u32 v1, s9, v4
	v_add_u32_e32 v1, v4, v1
	v_lshrrev_b32_e32 v1, s7, v1
	s_addc_u32 s5, s5, 0
	v_mul_lo_u32 v3, v1, s8
	s_add_u32 s2, s2, 8
	v_sub_u32_e32 v5, v4, v3
	s_addc_u32 s3, s3, 0
	s_add_i32 s6, s6, -1
	v_mov_b32_e32 v4, v1
	v_mad_u64_u32 v[2:3], s[8:9], v5, s11, v[2:3]
	v_mad_u64_u32 v[0:1], s[8:9], v5, s10, v[0:1]
	s_cmp_lg_u32 s6, 0
	v_mov_b32_e32 v1, v2
	s_cbranch_scc1 .LBB217_13
.LBB217_14:
	s_cbranch_execnz .LBB217_17
.LBB217_15:
	s_waitcnt lgkmcnt(0)
	v_mul_hi_u32 v0, s29, v8
	v_add_u32_e32 v0, v8, v0
	v_lshrrev_b32_e32 v1, s30, v0
	v_mul_lo_u32 v0, v1, s28
	v_sub_u32_e32 v0, v8, v0
	v_mul_lo_u32 v2, v0, s25
	s_andn2_b64 vcc, exec, s[48:49]
	v_mul_lo_u32 v0, v0, s24
	s_cbranch_vccnz .LBB217_17
; %bb.16:
	v_mul_hi_u32 v3, s46, v1
	v_add_u32_e32 v3, v1, v3
	v_lshrrev_b32_e32 v3, s47, v3
	v_mul_lo_u32 v3, v3, s31
	v_sub_u32_e32 v3, v1, v3
	v_mad_u64_u32 v[0:1], s[2:3], v3, s26, v[0:1]
	v_mad_u64_u32 v[2:3], s[2:3], v3, s27, v[2:3]
.LBB217_17:
	v_mov_b32_e32 v3, 0
	s_and_b32 s10, 0xffff, s74
	s_cmp_lt_i32 s10, 11
	s_waitcnt lgkmcnt(0)
	v_lshl_add_u64 v[2:3], s[22:23], 0, v[2:3]
	s_cbranch_scc1 .LBB217_24
; %bb.18:
	s_cmp_gt_i32 s10, 25
	s_cbranch_scc0 .LBB217_33
; %bb.19:
	s_cmp_gt_i32 s10, 28
	s_cbranch_scc0 .LBB217_36
; %bb.20:
	s_cmp_gt_i32 s10, 43
	s_cbranch_scc0 .LBB217_38
; %bb.21:
	s_cmp_gt_i32 s10, 45
	s_cbranch_scc0 .LBB217_40
; %bb.22:
	s_cmp_eq_u32 s10, 46
	s_mov_b64 s[6:7], 0
	s_cbranch_scc0 .LBB217_42
; %bb.23:
	global_load_dword v1, v[2:3], off
	s_mov_b64 s[2:3], -1
	s_mov_b64 s[4:5], 0
	s_waitcnt vmcnt(0)
	v_lshlrev_b32_e32 v1, 16, v1
	v_cvt_f16_f32_e32 v1, v1
	s_branch .LBB217_44
.LBB217_24:
	s_mov_b64 s[4:5], 0
                                        ; implicit-def: $vgpr1
	s_mov_b64 s[2:3], 0
	s_cbranch_execnz .LBB217_217
.LBB217_25:
	s_andn2_b64 vcc, exec, s[2:3]
	s_cbranch_vccnz .LBB217_264
.LBB217_26:
	s_waitcnt vmcnt(0)
	v_cvt_f32_f16_e32 v1, v1
	s_mov_b32 s2, 0
	s_mov_b32 s3, 0x3fd80000
	s_and_b32 s12, s73, 0xff
	v_cvt_f64_f32_e32 v[2:3], v1
	v_rsq_f64_e32 v[4:5], v[2:3]
	v_mov_b32_e32 v1, 0x180
	s_cmp_lt_i32 s12, 11
	v_mul_f64 v[2:3], v[4:5], -v[2:3]
	v_fma_f64 v[2:3], v[2:3], v[4:5], 1.0
	v_mul_f64 v[6:7], v[4:5], v[2:3]
	v_fma_f64 v[2:3], v[2:3], s[2:3], 0.5
	v_fma_f64 v[2:3], v[6:7], v[2:3], v[4:5]
	v_cmp_class_f64_e32 vcc, v[4:5], v1
	s_movk_i32 s2, 0x1ff
	s_nop 0
	v_cndmask_b32_e32 v1, v4, v2, vcc
	v_cndmask_b32_e32 v2, v5, v3, vcc
	v_and_or_b32 v1, v2, s2, v1
	v_cmp_ne_u32_e32 vcc, 0, v1
	v_lshrrev_b32_e32 v3, 8, v2
	s_movk_i32 s2, 0xffe
	v_cndmask_b32_e64 v1, 0, 1, vcc
	v_bfe_u32 v4, v2, 20, 11
	v_and_or_b32 v1, v3, s2, v1
	v_sub_u32_e32 v5, 0x3f1, v4
	v_or_b32_e32 v3, 0x1000, v1
	v_med3_i32 v5, v5, 0, 13
	v_lshrrev_b32_e32 v6, v5, v3
	v_lshlrev_b32_e32 v5, v5, v6
	v_cmp_ne_u32_e32 vcc, v5, v3
	v_add_u32_e32 v4, 0xfffffc10, v4
	v_lshl_or_b32 v5, v4, 12, v1
	v_cndmask_b32_e64 v3, 0, 1, vcc
	v_or_b32_e32 v3, v6, v3
	v_cmp_gt_i32_e32 vcc, 1, v4
	s_movk_i32 s2, 0x40f
	v_lshrrev_b32_e32 v2, 16, v2
	v_cndmask_b32_e32 v3, v5, v3, vcc
	v_and_b32_e32 v5, 7, v3
	v_cmp_lt_i32_e32 vcc, 5, v5
	v_lshrrev_b32_e32 v3, 2, v3
	s_nop 0
	v_cndmask_b32_e64 v6, 0, 1, vcc
	v_cmp_eq_u32_e32 vcc, 3, v5
	s_nop 1
	v_cndmask_b32_e64 v5, 0, 1, vcc
	v_or_b32_e32 v5, v5, v6
	v_add_u32_e32 v3, v3, v5
	v_mov_b32_e32 v5, 0x7c00
	v_cmp_gt_i32_e32 vcc, 31, v4
	v_mov_b32_e32 v6, 0x7e00
	s_nop 0
	v_cndmask_b32_e32 v3, v5, v3, vcc
	v_cmp_ne_u32_e32 vcc, 0, v1
	s_nop 1
	v_cndmask_b32_e32 v1, v5, v6, vcc
	v_cmp_eq_u32_e32 vcc, s2, v4
	s_mov_b32 s2, 0x8000
	s_nop 0
	v_cndmask_b32_e32 v1, v3, v1, vcc
	v_and_or_b32 v2, v2, s2, v1
	v_mov_b32_e32 v1, 0
	v_lshl_add_u64 v[0:1], s[20:21], 0, v[0:1]
	s_cbranch_scc1 .LBB217_34
; %bb.27:
	s_and_b32 s13, 0xffff, s12
	s_cmp_gt_i32 s13, 25
	s_cbranch_scc0 .LBB217_37
; %bb.28:
	s_cmp_gt_i32 s13, 28
	s_cbranch_scc0 .LBB217_39
; %bb.29:
	s_cmp_gt_i32 s13, 43
	s_cbranch_scc0 .LBB217_41
; %bb.30:
	s_cmp_gt_i32 s13, 45
	s_cbranch_scc0 .LBB217_47
; %bb.31:
	s_mov_b64 s[8:9], 0
	s_mov_b64 s[2:3], -1
	s_cmp_eq_u32 s13, 46
	s_mov_b64 s[6:7], 0
	s_cbranch_scc0 .LBB217_48
; %bb.32:
	v_cvt_f32_f16_e32 v3, v2
	s_movk_i32 s2, 0x7fff
	v_cmp_o_f16_e32 vcc, v2, v2
	v_mov_b32_e32 v4, 0x7fc0
	v_bfe_u32 v5, v3, 16, 1
	v_add3_u32 v3, v3, v5, s2
	v_cndmask_b32_sdwa v3, v4, v3, vcc dst_sel:DWORD dst_unused:UNUSED_PAD src0_sel:DWORD src1_sel:WORD_1
	global_store_dword v[0:1], v3, off
	s_mov_b64 s[6:7], -1
	s_mov_b64 s[2:3], 0
	s_branch .LBB217_48
.LBB217_33:
	s_mov_b64 s[4:5], 0
	s_mov_b64 s[2:3], 0
                                        ; implicit-def: $vgpr1
	s_cbranch_execnz .LBB217_182
	s_branch .LBB217_216
.LBB217_34:
	s_mov_b64 s[2:3], 0
	s_mov_b64 s[6:7], 0
	s_cbranch_execnz .LBB217_117
.LBB217_35:
	s_andn2_b64 vcc, exec, s[6:7]
	s_cbranch_vccnz .LBB217_265
	s_branch .LBB217_155
.LBB217_36:
	s_mov_b64 s[6:7], -1
	s_mov_b64 s[4:5], 0
	s_mov_b64 s[2:3], 0
                                        ; implicit-def: $vgpr1
	s_branch .LBB217_163
.LBB217_37:
	s_mov_b64 s[8:9], -1
	s_mov_b64 s[2:3], 0
	s_mov_b64 s[6:7], 0
	s_branch .LBB217_75
.LBB217_38:
	s_mov_b64 s[6:7], -1
	s_mov_b64 s[4:5], 0
	s_mov_b64 s[2:3], 0
                                        ; implicit-def: $vgpr1
	s_branch .LBB217_158
.LBB217_39:
	s_mov_b64 s[8:9], -1
	s_mov_b64 s[2:3], 0
	s_mov_b64 s[6:7], 0
	s_branch .LBB217_58
.LBB217_40:
	s_mov_b64 s[6:7], -1
	s_mov_b64 s[4:5], 0
	s_branch .LBB217_43
.LBB217_41:
	s_mov_b64 s[8:9], -1
	s_mov_b64 s[2:3], 0
	s_mov_b64 s[6:7], 0
	s_branch .LBB217_54
.LBB217_42:
	s_mov_b64 s[4:5], -1
.LBB217_43:
	s_mov_b64 s[2:3], 0
                                        ; implicit-def: $vgpr1
.LBB217_44:
	s_and_b64 vcc, exec, s[6:7]
	s_cbranch_vccz .LBB217_157
; %bb.45:
	s_cmp_eq_u32 s10, 44
	s_cbranch_scc0 .LBB217_156
; %bb.46:
	global_load_ubyte v1, v[2:3], off
	s_movk_i32 s4, 0xff
	v_mov_b32_e32 v5, 0x7e00
	s_mov_b64 s[2:3], -1
	s_waitcnt vmcnt(0)
	v_lshlrev_b32_e32 v4, 23, v1
	v_cvt_f16_f32_e32 v4, v4
	v_cmp_ne_u32_e32 vcc, s4, v1
	s_mov_b64 s[4:5], 0
	s_nop 0
	v_cndmask_b32_e32 v4, v5, v4, vcc
	v_cmp_ne_u32_e32 vcc, 0, v1
	s_nop 1
	v_cndmask_b32_e32 v1, 0, v4, vcc
	s_branch .LBB217_157
.LBB217_47:
	s_mov_b64 s[8:9], -1
	s_mov_b64 s[2:3], 0
	s_mov_b64 s[6:7], 0
.LBB217_48:
	s_and_b64 vcc, exec, s[8:9]
	s_cbranch_vccz .LBB217_53
; %bb.49:
	s_cmp_eq_u32 s13, 44
	s_mov_b64 s[2:3], -1
	s_cbranch_scc0 .LBB217_53
; %bb.50:
	v_cvt_f32_f16_e32 v3, v2
	s_movk_i32 s2, 0xff
	v_mov_b32_e32 v5, 0xff
	v_bfe_u32 v4, v3, 23, 8
	v_cmp_ne_u32_e32 vcc, s2, v4
	s_and_saveexec_b64 s[6:7], vcc
; %bb.51:
	s_mov_b32 s2, 0x3fffff
	v_lshrrev_b32_e32 v5, 23, v3
	v_and_b32_e32 v6, 0x400000, v3
	v_and_or_b32 v3, v3, s2, v4
	v_cmp_ne_u32_e32 vcc, 0, v6
	v_cmp_ne_u32_e64 s[2:3], 0, v3
	s_and_b64 s[2:3], vcc, s[2:3]
	s_nop 0
	v_cndmask_b32_e64 v3, 0, 1, s[2:3]
	v_add_u32_e32 v5, v5, v3
; %bb.52:
	s_or_b64 exec, exec, s[6:7]
	s_mov_b64 s[6:7], -1
	s_mov_b64 s[2:3], 0
	global_store_byte v[0:1], v5, off
.LBB217_53:
	s_mov_b64 s[8:9], 0
.LBB217_54:
	s_and_b64 vcc, exec, s[8:9]
	s_cbranch_vccz .LBB217_57
; %bb.55:
	s_cmp_eq_u32 s13, 29
	s_mov_b64 s[2:3], -1
	s_cbranch_scc0 .LBB217_57
; %bb.56:
	v_cvt_f32_f16_e32 v3, v2
	v_mov_b32_e32 v5, 0
	s_mov_b64 s[6:7], -1
	s_mov_b64 s[2:3], 0
	v_cvt_u32_f32_e32 v4, v3
	s_mov_b64 s[8:9], 0
	global_store_dwordx2 v[0:1], v[4:5], off
	s_branch .LBB217_58
.LBB217_57:
	s_mov_b64 s[8:9], 0
.LBB217_58:
	s_and_b64 vcc, exec, s[8:9]
	s_cbranch_vccz .LBB217_74
; %bb.59:
	s_cmp_lt_i32 s13, 27
	s_mov_b64 s[6:7], -1
	s_cbranch_scc1 .LBB217_65
; %bb.60:
	s_cmp_gt_i32 s13, 27
	s_cbranch_scc0 .LBB217_62
; %bb.61:
	v_cvt_f32_f16_e32 v3, v2
	s_mov_b64 s[6:7], 0
	v_cvt_u32_f32_e32 v3, v3
	global_store_dword v[0:1], v3, off
.LBB217_62:
	s_andn2_b64 vcc, exec, s[6:7]
	s_cbranch_vccnz .LBB217_64
; %bb.63:
	v_cvt_u16_f16_e32 v3, v2
	global_store_short v[0:1], v3, off
.LBB217_64:
	s_mov_b64 s[6:7], 0
.LBB217_65:
	s_andn2_b64 vcc, exec, s[6:7]
	s_cbranch_vccnz .LBB217_73
; %bb.66:
	v_cvt_f32_f16_e32 v3, v2
	s_mov_b32 s6, 0x43800000
	v_mov_b32_e32 v5, 0x80
	v_and_b32_e32 v4, 0x7fffffff, v3
	v_cmp_gt_u32_e32 vcc, s6, v4
	s_and_saveexec_b64 s[6:7], vcc
	s_cbranch_execz .LBB217_72
; %bb.67:
	s_mov_b32 s8, 0x3bffffff
	v_cmp_lt_u32_e32 vcc, s8, v4
	s_mov_b64 s[8:9], 0
                                        ; implicit-def: $vgpr4
	s_and_saveexec_b64 s[10:11], vcc
	s_xor_b64 s[10:11], exec, s[10:11]
	s_cbranch_execz .LBB217_309
; %bb.68:
	v_bfe_u32 v4, v3, 20, 1
	s_mov_b32 s14, 0x487ffff
	v_add3_u32 v4, v3, v4, s14
	s_mov_b64 s[8:9], exec
	v_lshrrev_b32_e32 v4, 20, v4
	s_andn2_saveexec_b64 s[10:11], s[10:11]
	s_cbranch_execnz .LBB217_310
.LBB217_69:
	s_or_b64 exec, exec, s[10:11]
	v_mov_b32_e32 v5, 0
	s_and_saveexec_b64 s[10:11], s[8:9]
.LBB217_70:
	v_lshrrev_b32_e32 v3, 24, v3
	s_movk_i32 s8, 0x80
	v_and_or_b32 v5, v3, s8, v4
.LBB217_71:
	s_or_b64 exec, exec, s[10:11]
.LBB217_72:
	s_or_b64 exec, exec, s[6:7]
	global_store_byte v[0:1], v5, off
.LBB217_73:
	s_mov_b64 s[6:7], -1
.LBB217_74:
	s_mov_b64 s[8:9], 0
.LBB217_75:
	s_and_b64 vcc, exec, s[8:9]
	s_cbranch_vccz .LBB217_116
; %bb.76:
	s_cmp_gt_i32 s13, 22
	s_mov_b64 s[8:9], -1
	s_cbranch_scc0 .LBB217_108
; %bb.77:
	s_cmp_lt_i32 s13, 24
	s_mov_b64 s[6:7], -1
	s_cbranch_scc1 .LBB217_97
; %bb.78:
	s_cmp_gt_i32 s13, 24
	s_cbranch_scc0 .LBB217_86
; %bb.79:
	v_cvt_f32_f16_e32 v3, v2
	s_mov_b32 s6, 0x47800000
	v_mov_b32_e32 v5, 0x80
	v_and_b32_e32 v4, 0x7fffffff, v3
	v_cmp_gt_u32_e32 vcc, s6, v4
	s_and_saveexec_b64 s[6:7], vcc
	s_cbranch_execz .LBB217_85
; %bb.80:
	s_mov_b32 s8, 0x37ffffff
	v_cmp_lt_u32_e32 vcc, s8, v4
	s_mov_b64 s[8:9], 0
                                        ; implicit-def: $vgpr4
	s_and_saveexec_b64 s[10:11], vcc
	s_xor_b64 s[10:11], exec, s[10:11]
	s_cbranch_execz .LBB217_313
; %bb.81:
	v_bfe_u32 v4, v3, 21, 1
	s_mov_b32 s14, 0x88fffff
	v_add3_u32 v4, v3, v4, s14
	s_mov_b64 s[8:9], exec
	v_lshrrev_b32_e32 v4, 21, v4
	s_andn2_saveexec_b64 s[10:11], s[10:11]
	s_cbranch_execnz .LBB217_314
.LBB217_82:
	s_or_b64 exec, exec, s[10:11]
	v_mov_b32_e32 v5, 0
	s_and_saveexec_b64 s[10:11], s[8:9]
.LBB217_83:
	v_lshrrev_b32_e32 v3, 24, v3
	s_movk_i32 s8, 0x80
	v_and_or_b32 v5, v3, s8, v4
.LBB217_84:
	s_or_b64 exec, exec, s[10:11]
.LBB217_85:
	s_or_b64 exec, exec, s[6:7]
	s_mov_b64 s[6:7], 0
	global_store_byte v[0:1], v5, off
.LBB217_86:
	s_and_b64 vcc, exec, s[6:7]
	s_cbranch_vccz .LBB217_96
; %bb.87:
	v_cvt_f32_f16_e32 v3, v2
	s_mov_b32 s6, 0x43f00000
                                        ; implicit-def: $vgpr4
	v_and_b32_e32 v5, 0x7fffffff, v3
	v_cmp_gt_u32_e32 vcc, s6, v5
	s_and_saveexec_b64 s[6:7], vcc
	s_xor_b64 s[6:7], exec, s[6:7]
	s_cbranch_execz .LBB217_93
; %bb.88:
	s_mov_b32 s8, 0x3c7fffff
	v_cmp_lt_u32_e32 vcc, s8, v5
                                        ; implicit-def: $vgpr4
	s_and_saveexec_b64 s[8:9], vcc
	s_xor_b64 s[8:9], exec, s[8:9]
; %bb.89:
	v_bfe_u32 v4, v3, 20, 1
	s_mov_b32 s10, 0x407ffff
	v_add3_u32 v4, v3, v4, s10
	v_lshrrev_b32_e32 v5, 20, v4
	v_and_b32_e32 v4, 0xff00000, v4
	s_mov_b32 s10, 0x7f00000
	v_mov_b32_e32 v6, 0x7e
	v_cmp_ne_u32_e32 vcc, s10, v4
	s_nop 1
	v_cndmask_b32_e32 v4, v6, v5, vcc
; %bb.90:
	s_andn2_saveexec_b64 s[8:9], s[8:9]
; %bb.91:
	s_mov_b32 s10, 0x46800000
	v_add_f32_e64 v4, |v3|, s10
; %bb.92:
	s_or_b64 exec, exec, s[8:9]
                                        ; implicit-def: $vgpr5
.LBB217_93:
	s_andn2_saveexec_b64 s[6:7], s[6:7]
; %bb.94:
	s_mov_b32 s8, 0x7f800000
	v_mov_b32_e32 v4, 0x7e
	v_mov_b32_e32 v6, 0x7f
	v_cmp_lt_u32_e32 vcc, s8, v5
	s_nop 1
	v_cndmask_b32_e32 v4, v4, v6, vcc
; %bb.95:
	s_or_b64 exec, exec, s[6:7]
	v_lshrrev_b32_e32 v3, 24, v3
	s_movk_i32 s6, 0x80
	v_and_or_b32 v3, v3, s6, v4
	global_store_byte v[0:1], v3, off
.LBB217_96:
	s_mov_b64 s[6:7], 0
.LBB217_97:
	s_andn2_b64 vcc, exec, s[6:7]
	s_cbranch_vccnz .LBB217_107
; %bb.98:
	v_cvt_f32_f16_e32 v3, v2
	s_mov_b32 s6, 0x47800000
                                        ; implicit-def: $vgpr4
	v_and_b32_e32 v5, 0x7fffffff, v3
	v_cmp_gt_u32_e32 vcc, s6, v5
	s_and_saveexec_b64 s[6:7], vcc
	s_xor_b64 s[6:7], exec, s[6:7]
	s_cbranch_execz .LBB217_104
; %bb.99:
	s_mov_b32 s8, 0x387fffff
	v_cmp_lt_u32_e32 vcc, s8, v5
                                        ; implicit-def: $vgpr4
	s_and_saveexec_b64 s[8:9], vcc
	s_xor_b64 s[8:9], exec, s[8:9]
; %bb.100:
	v_bfe_u32 v4, v3, 21, 1
	s_mov_b32 s10, 0x80fffff
	v_add3_u32 v4, v3, v4, s10
	v_lshrrev_b32_e32 v4, 21, v4
; %bb.101:
	s_andn2_saveexec_b64 s[8:9], s[8:9]
; %bb.102:
	s_mov_b32 s10, 0x43000000
	v_add_f32_e64 v4, |v3|, s10
; %bb.103:
	s_or_b64 exec, exec, s[8:9]
                                        ; implicit-def: $vgpr5
.LBB217_104:
	s_andn2_saveexec_b64 s[6:7], s[6:7]
; %bb.105:
	s_mov_b32 s8, 0x7f800000
	v_mov_b32_e32 v4, 0x7c
	v_mov_b32_e32 v6, 0x7f
	v_cmp_lt_u32_e32 vcc, s8, v5
	s_nop 1
	v_cndmask_b32_e32 v4, v4, v6, vcc
; %bb.106:
	s_or_b64 exec, exec, s[6:7]
	v_lshrrev_b32_e32 v3, 24, v3
	s_movk_i32 s6, 0x80
	v_and_or_b32 v3, v3, s6, v4
	global_store_byte v[0:1], v3, off
.LBB217_107:
	s_mov_b64 s[8:9], 0
	s_mov_b64 s[6:7], -1
.LBB217_108:
	s_andn2_b64 vcc, exec, s[8:9]
	s_cbranch_vccnz .LBB217_116
; %bb.109:
	s_cmp_gt_i32 s13, 14
	s_mov_b64 s[8:9], -1
	s_cbranch_scc0 .LBB217_113
; %bb.110:
	s_cmp_eq_u32 s13, 15
	s_mov_b64 s[2:3], -1
	s_cbranch_scc0 .LBB217_112
; %bb.111:
	v_cvt_f32_f16_e32 v3, v2
	s_movk_i32 s2, 0x7fff
	v_cmp_o_f16_e32 vcc, v2, v2
	v_mov_b32_e32 v4, 0x7fc0
	v_bfe_u32 v5, v3, 16, 1
	v_add3_u32 v3, v3, v5, s2
	v_cndmask_b32_sdwa v3, v4, v3, vcc dst_sel:DWORD dst_unused:UNUSED_PAD src0_sel:DWORD src1_sel:WORD_1
	global_store_short v[0:1], v3, off
	s_mov_b64 s[6:7], -1
	s_mov_b64 s[2:3], 0
.LBB217_112:
	s_mov_b64 s[8:9], 0
.LBB217_113:
	s_and_b64 vcc, exec, s[8:9]
	s_cbranch_vccz .LBB217_116
; %bb.114:
	s_cmp_eq_u32 s13, 11
	s_mov_b64 s[2:3], -1
	s_cbranch_scc0 .LBB217_116
; %bb.115:
	v_cmp_neq_f16_e32 vcc, 0, v2
	s_mov_b64 s[6:7], -1
	s_mov_b64 s[2:3], 0
	v_cndmask_b32_e64 v3, 0, 1, vcc
	global_store_byte v[0:1], v3, off
.LBB217_116:
	s_branch .LBB217_35
.LBB217_117:
	s_and_b32 s8, 0xffff, s12
	s_cmp_lt_i32 s8, 5
	s_mov_b64 s[6:7], -1
	s_cbranch_scc1 .LBB217_138
; %bb.118:
	s_cmp_lt_i32 s8, 8
	s_cbranch_scc1 .LBB217_128
; %bb.119:
	s_cmp_lt_i32 s8, 9
	s_cbranch_scc1 .LBB217_125
; %bb.120:
	s_cmp_gt_i32 s8, 9
	s_cbranch_scc0 .LBB217_122
; %bb.121:
	v_cvt_f32_f16_e32 v3, v2
	v_mov_b32_e32 v6, 0
	v_mov_b32_e32 v7, v6
	s_mov_b64 s[6:7], 0
	v_cvt_f64_f32_e32 v[4:5], v3
	global_store_dwordx4 v[0:1], v[4:7], off
.LBB217_122:
	s_andn2_b64 vcc, exec, s[6:7]
	s_cbranch_vccnz .LBB217_124
; %bb.123:
	v_cvt_f32_f16_e32 v4, v2
	v_mov_b32_e32 v5, 0
	global_store_dwordx2 v[0:1], v[4:5], off
.LBB217_124:
	s_mov_b64 s[6:7], 0
.LBB217_125:
	s_andn2_b64 vcc, exec, s[6:7]
	s_cbranch_vccnz .LBB217_127
; %bb.126:
	v_and_b32_e32 v3, 0xffff, v2
	global_store_dword v[0:1], v3, off
.LBB217_127:
	s_mov_b64 s[6:7], 0
.LBB217_128:
	s_andn2_b64 vcc, exec, s[6:7]
	s_cbranch_vccnz .LBB217_137
; %bb.129:
	s_cmp_lt_i32 s8, 6
	s_mov_b64 s[6:7], -1
	s_cbranch_scc1 .LBB217_135
; %bb.130:
	s_cmp_gt_i32 s8, 6
	s_cbranch_scc0 .LBB217_132
; %bb.131:
	v_cvt_f32_f16_e32 v3, v2
	s_mov_b64 s[6:7], 0
	v_cvt_f64_f32_e32 v[4:5], v3
	global_store_dwordx2 v[0:1], v[4:5], off
.LBB217_132:
	s_andn2_b64 vcc, exec, s[6:7]
	s_cbranch_vccnz .LBB217_134
; %bb.133:
	v_cvt_f32_f16_e32 v3, v2
	global_store_dword v[0:1], v3, off
.LBB217_134:
	s_mov_b64 s[6:7], 0
.LBB217_135:
	s_andn2_b64 vcc, exec, s[6:7]
	s_cbranch_vccnz .LBB217_137
; %bb.136:
	global_store_short v[0:1], v2, off
.LBB217_137:
	s_mov_b64 s[6:7], 0
.LBB217_138:
	s_andn2_b64 vcc, exec, s[6:7]
	s_cbranch_vccnz .LBB217_154
; %bb.139:
	s_cmp_lt_i32 s8, 2
	s_mov_b64 s[6:7], -1
	s_cbranch_scc1 .LBB217_149
; %bb.140:
	s_cmp_lt_i32 s8, 3
	s_cbranch_scc1 .LBB217_146
; %bb.141:
	s_cmp_gt_i32 s8, 3
	s_cbranch_scc0 .LBB217_143
; %bb.142:
	v_cvt_f32_f16_e32 v3, v2
	s_mov_b64 s[6:7], 0
	v_cvt_i32_f32_e32 v4, v3
	v_ashrrev_i32_e32 v5, 31, v4
	global_store_dwordx2 v[0:1], v[4:5], off
.LBB217_143:
	s_andn2_b64 vcc, exec, s[6:7]
	s_cbranch_vccnz .LBB217_145
; %bb.144:
	v_cvt_f32_f16_e32 v3, v2
	v_cvt_i32_f32_e32 v3, v3
	global_store_dword v[0:1], v3, off
.LBB217_145:
	s_mov_b64 s[6:7], 0
.LBB217_146:
	s_andn2_b64 vcc, exec, s[6:7]
	s_cbranch_vccnz .LBB217_148
; %bb.147:
	v_cvt_i16_f16_e32 v3, v2
	global_store_short v[0:1], v3, off
.LBB217_148:
	s_mov_b64 s[6:7], 0
.LBB217_149:
	s_andn2_b64 vcc, exec, s[6:7]
	s_cbranch_vccnz .LBB217_154
; %bb.150:
	s_cmp_gt_i32 s8, 0
	s_mov_b64 s[6:7], -1
	s_cbranch_scc0 .LBB217_152
; %bb.151:
	v_cvt_i16_f16_e32 v3, v2
	global_store_byte v[0:1], v3, off
	s_mov_b64 s[6:7], 0
.LBB217_152:
	s_andn2_b64 vcc, exec, s[6:7]
	s_cbranch_vccnz .LBB217_154
; %bb.153:
	v_cvt_f32_f16_e32 v2, v2
	v_cvt_i32_f32_e32 v2, v2
	global_store_byte v[0:1], v2, off
.LBB217_154:
.LBB217_155:
	v_add_u32_e32 v8, 0x80, v8
	s_mov_b64 s[6:7], -1
	s_branch .LBB217_266
.LBB217_156:
	s_mov_b64 s[4:5], -1
                                        ; implicit-def: $vgpr1
.LBB217_157:
	s_mov_b64 s[6:7], 0
.LBB217_158:
	s_and_b64 vcc, exec, s[6:7]
	s_cbranch_vccz .LBB217_162
; %bb.159:
	s_cmp_eq_u32 s10, 29
	s_cbranch_scc0 .LBB217_161
; %bb.160:
	global_load_dwordx2 v[4:5], v[2:3], off
	s_mov_b64 s[2:3], -1
	s_mov_b64 s[4:5], 0
	s_mov_b64 s[6:7], 0
	s_waitcnt vmcnt(0)
	v_ffbh_u32_e32 v1, v5
	v_min_u32_e32 v1, 32, v1
	v_lshlrev_b64 v[4:5], v1, v[4:5]
	v_min_u32_e32 v4, 1, v4
	v_or_b32_e32 v4, v5, v4
	v_cvt_f32_u32_e32 v4, v4
	v_sub_u32_e32 v1, 32, v1
	v_ldexp_f32 v1, v4, v1
	v_cvt_f16_f32_e32 v1, v1
	s_branch .LBB217_163
.LBB217_161:
	s_mov_b64 s[4:5], -1
                                        ; implicit-def: $vgpr1
.LBB217_162:
	s_mov_b64 s[6:7], 0
.LBB217_163:
	s_and_b64 vcc, exec, s[6:7]
	s_cbranch_vccz .LBB217_181
; %bb.164:
	s_cmp_lt_i32 s10, 27
	s_cbranch_scc1 .LBB217_167
; %bb.165:
	s_cmp_gt_i32 s10, 27
	s_cbranch_scc0 .LBB217_168
; %bb.166:
	global_load_dword v1, v[2:3], off
	s_mov_b64 s[2:3], 0
	s_waitcnt vmcnt(0)
	v_cvt_f32_u32_e32 v1, v1
	v_cvt_f16_f32_e32 v1, v1
	s_branch .LBB217_169
.LBB217_167:
	s_mov_b64 s[2:3], -1
                                        ; implicit-def: $vgpr1
	s_branch .LBB217_172
.LBB217_168:
	s_mov_b64 s[2:3], -1
                                        ; implicit-def: $vgpr1
.LBB217_169:
	s_andn2_b64 vcc, exec, s[2:3]
	s_cbranch_vccnz .LBB217_171
; %bb.170:
	global_load_ushort v1, v[2:3], off
	s_waitcnt vmcnt(0)
	v_cvt_f16_u16_e32 v1, v1
.LBB217_171:
	s_mov_b64 s[2:3], 0
.LBB217_172:
	s_andn2_b64 vcc, exec, s[2:3]
	s_cbranch_vccnz .LBB217_180
; %bb.173:
	global_load_ubyte v4, v[2:3], off
	s_movk_i32 s2, 0x7f
	s_waitcnt vmcnt(0)
	v_cmp_lt_i16_e32 vcc, s2, v4
	s_mov_b64 s[2:3], 0
	s_and_saveexec_b64 s[6:7], vcc
	s_xor_b64 s[6:7], exec, s[6:7]
	s_cbranch_execz .LBB217_193
; %bb.174:
	s_movk_i32 s2, 0x80
	v_cmp_eq_u16_e32 vcc, s2, v4
	s_mov_b64 s[2:3], -1
	s_and_saveexec_b64 s[8:9], vcc
; %bb.175:
	s_xor_b64 s[2:3], exec, -1
; %bb.176:
	s_or_b64 exec, exec, s[8:9]
	s_and_b64 s[2:3], s[2:3], exec
	s_or_saveexec_b64 s[6:7], s[6:7]
	v_mov_b32_e32 v1, 0x7e00
	s_xor_b64 exec, exec, s[6:7]
	s_cbranch_execnz .LBB217_194
.LBB217_177:
	s_or_b64 exec, exec, s[6:7]
	s_and_saveexec_b64 s[6:7], s[2:3]
	s_cbranch_execz .LBB217_179
.LBB217_178:
	v_lshlrev_b32_e32 v1, 24, v4
	v_and_b32_e32 v4, 0xffff, v4
	v_and_b32_e32 v5, 7, v4
	v_ffbh_u32_e32 v7, v5
	v_min_u32_e32 v7, 32, v7
	v_subrev_u32_e32 v9, 28, v7
	v_bfe_u32 v6, v4, 3, 4
	v_lshlrev_b32_e32 v4, v9, v4
	v_sub_u32_e32 v7, 29, v7
	v_and_b32_e32 v4, 7, v4
	v_cmp_eq_u32_e32 vcc, 0, v6
	v_and_b32_e32 v1, 0x80000000, v1
	s_nop 0
	v_cndmask_b32_e32 v6, v6, v7, vcc
	v_cndmask_b32_e32 v4, v5, v4, vcc
	v_mov_b32_e32 v5, 0x3b800000
	v_lshlrev_b32_e32 v4, 20, v4
	v_lshl_add_u32 v5, v6, 23, v5
	v_or3_b32 v1, v1, v5, v4
	v_cvt_f16_f32_e32 v1, v1
.LBB217_179:
	s_or_b64 exec, exec, s[6:7]
.LBB217_180:
	s_mov_b64 s[2:3], -1
.LBB217_181:
	s_branch .LBB217_216
.LBB217_182:
	s_cmp_gt_i32 s10, 22
	s_cbranch_scc0 .LBB217_192
; %bb.183:
	s_cmp_lt_i32 s10, 24
	s_cbranch_scc1 .LBB217_195
; %bb.184:
	s_cmp_gt_i32 s10, 24
	s_cbranch_scc0 .LBB217_196
; %bb.185:
	global_load_ubyte v4, v[2:3], off
	s_movk_i32 s2, 0x7f
	s_waitcnt vmcnt(0)
	v_cmp_lt_i16_e32 vcc, s2, v4
	s_mov_b64 s[2:3], 0
	s_and_saveexec_b64 s[6:7], vcc
	s_xor_b64 s[6:7], exec, s[6:7]
	s_cbranch_execz .LBB217_208
; %bb.186:
	s_movk_i32 s2, 0x80
	v_cmp_eq_u16_e32 vcc, s2, v4
	s_mov_b64 s[2:3], -1
	s_and_saveexec_b64 s[8:9], vcc
; %bb.187:
	s_xor_b64 s[2:3], exec, -1
; %bb.188:
	s_or_b64 exec, exec, s[8:9]
	s_and_b64 s[2:3], s[2:3], exec
	s_or_saveexec_b64 s[6:7], s[6:7]
	v_mov_b32_e32 v1, 0x7e00
	s_xor_b64 exec, exec, s[6:7]
	s_cbranch_execnz .LBB217_209
.LBB217_189:
	s_or_b64 exec, exec, s[6:7]
	s_and_saveexec_b64 s[6:7], s[2:3]
	s_cbranch_execz .LBB217_191
.LBB217_190:
	v_lshlrev_b32_e32 v1, 24, v4
	v_and_b32_e32 v4, 0xffff, v4
	v_and_b32_e32 v5, 3, v4
	v_ffbh_u32_e32 v7, v5
	v_min_u32_e32 v7, 32, v7
	v_subrev_u32_e32 v9, 29, v7
	v_bfe_u32 v6, v4, 2, 5
	v_lshlrev_b32_e32 v4, v9, v4
	v_sub_u32_e32 v7, 30, v7
	v_and_b32_e32 v4, 3, v4
	v_cmp_eq_u32_e32 vcc, 0, v6
	v_and_b32_e32 v1, 0x80000000, v1
	s_nop 0
	v_cndmask_b32_e32 v6, v6, v7, vcc
	v_cndmask_b32_e32 v4, v5, v4, vcc
	v_mov_b32_e32 v5, 0x37800000
	v_lshlrev_b32_e32 v4, 21, v4
	v_lshl_add_u32 v5, v6, 23, v5
	v_or3_b32 v1, v1, v5, v4
	v_cvt_f16_f32_e32 v1, v1
.LBB217_191:
	s_or_b64 exec, exec, s[6:7]
	s_mov_b64 s[2:3], 0
	s_branch .LBB217_197
.LBB217_192:
	s_mov_b64 s[6:7], -1
                                        ; implicit-def: $vgpr1
	s_branch .LBB217_203
.LBB217_193:
	s_or_saveexec_b64 s[6:7], s[6:7]
	v_mov_b32_e32 v1, 0x7e00
	s_xor_b64 exec, exec, s[6:7]
	s_cbranch_execz .LBB217_177
.LBB217_194:
	v_cmp_ne_u16_e32 vcc, 0, v4
	s_andn2_b64 s[2:3], s[2:3], exec
	s_and_b64 s[8:9], vcc, exec
	s_or_b64 s[2:3], s[2:3], s[8:9]
	v_mov_b32_e32 v1, v4
	s_or_b64 exec, exec, s[6:7]
	s_and_saveexec_b64 s[6:7], s[2:3]
	s_cbranch_execnz .LBB217_178
	s_branch .LBB217_179
.LBB217_195:
	s_mov_b64 s[2:3], -1
                                        ; implicit-def: $vgpr1
	s_branch .LBB217_200
.LBB217_196:
	s_mov_b64 s[2:3], -1
                                        ; implicit-def: $vgpr1
.LBB217_197:
	s_and_b64 vcc, exec, s[2:3]
	s_cbranch_vccz .LBB217_199
; %bb.198:
	global_load_ubyte v1, v[2:3], off
	s_mov_b32 s2, 0x7f800000
	s_waitcnt vmcnt(0)
	v_lshlrev_b32_e32 v1, 24, v1
	v_and_b32_e32 v4, 0x7f000000, v1
	v_ffbh_u32_e32 v5, v4
	v_min_u32_e32 v5, 32, v5
	v_sub_u32_e64 v5, v5, 4 clamp
	v_lshlrev_b32_e32 v7, v5, v4
	v_lshlrev_b32_e32 v5, 23, v5
	v_lshrrev_b32_e32 v7, 4, v7
	v_add_u32_e32 v6, 0x1000000, v4
	v_sub_u32_e32 v5, v7, v5
	v_ashrrev_i32_e32 v6, 8, v6
	v_add_u32_e32 v5, 0x3c000000, v5
	v_and_or_b32 v5, v6, s2, v5
	v_cmp_ne_u32_e32 vcc, 0, v4
	s_brev_b32 s2, 1
	s_nop 0
	v_cndmask_b32_e32 v4, 0, v5, vcc
	v_and_or_b32 v1, v1, s2, v4
	v_cvt_f16_f32_e32 v1, v1
.LBB217_199:
	s_mov_b64 s[2:3], 0
.LBB217_200:
	s_andn2_b64 vcc, exec, s[2:3]
	s_cbranch_vccnz .LBB217_202
; %bb.201:
	global_load_ubyte v1, v[2:3], off
	s_movk_i32 s2, 0x7f00
	s_brev_b32 s3, 16
	s_waitcnt vmcnt(0)
	v_lshlrev_b16_e32 v4, 8, v1
	v_lshlrev_b32_e32 v1, 25, v1
	v_lshrrev_b32_e32 v5, 4, v1
	v_and_or_b32 v6, v4, s2, 0.5
	v_or_b32_e32 v5, 0x70000000, v5
	v_add_f32_e32 v6, -0.5, v6
	v_mul_f32_e32 v5, 0x7800000, v5
	v_cmp_gt_u32_e32 vcc, s3, v1
	v_bfe_i32 v4, v4, 0, 16
	s_brev_b32 s2, 1
	v_cndmask_b32_e32 v1, v5, v6, vcc
	v_and_or_b32 v1, v4, s2, v1
	v_cvt_f16_f32_e32 v1, v1
.LBB217_202:
	s_mov_b64 s[6:7], 0
	s_mov_b64 s[2:3], -1
.LBB217_203:
	s_andn2_b64 vcc, exec, s[6:7]
	s_cbranch_vccnz .LBB217_216
; %bb.204:
	s_cmp_gt_i32 s10, 14
	s_cbranch_scc0 .LBB217_207
; %bb.205:
	s_cmp_eq_u32 s10, 15
	s_cbranch_scc0 .LBB217_210
; %bb.206:
	global_load_ushort v1, v[2:3], off
	s_mov_b64 s[2:3], -1
	s_mov_b64 s[4:5], 0
	s_waitcnt vmcnt(0)
	v_lshlrev_b32_e32 v1, 16, v1
	v_cvt_f16_f32_e32 v1, v1
	s_branch .LBB217_211
.LBB217_207:
	s_mov_b64 s[6:7], -1
                                        ; implicit-def: $vgpr1
	s_branch .LBB217_212
.LBB217_208:
	s_or_saveexec_b64 s[6:7], s[6:7]
	v_mov_b32_e32 v1, 0x7e00
	s_xor_b64 exec, exec, s[6:7]
	s_cbranch_execz .LBB217_189
.LBB217_209:
	v_cmp_ne_u16_e32 vcc, 0, v4
	s_andn2_b64 s[2:3], s[2:3], exec
	s_and_b64 s[8:9], vcc, exec
	s_or_b64 s[2:3], s[2:3], s[8:9]
	v_mov_b32_e32 v1, v4
	s_or_b64 exec, exec, s[6:7]
	s_and_saveexec_b64 s[6:7], s[2:3]
	s_cbranch_execnz .LBB217_190
	s_branch .LBB217_191
.LBB217_210:
	s_mov_b64 s[4:5], -1
                                        ; implicit-def: $vgpr1
.LBB217_211:
	s_mov_b64 s[6:7], 0
.LBB217_212:
	s_and_b64 vcc, exec, s[6:7]
	s_cbranch_vccz .LBB217_216
; %bb.213:
	s_cmp_eq_u32 s10, 11
	s_cbranch_scc0 .LBB217_215
; %bb.214:
	global_load_ubyte v1, v[2:3], off
	v_mov_b32_e32 v4, 0x3c00
	s_mov_b64 s[2:3], -1
	s_mov_b64 s[4:5], 0
	s_waitcnt vmcnt(0)
	v_cmp_ne_u16_e32 vcc, 0, v1
	s_nop 1
	v_cndmask_b32_e32 v1, 0, v4, vcc
	s_branch .LBB217_216
.LBB217_215:
	s_mov_b64 s[4:5], -1
                                        ; implicit-def: $vgpr1
.LBB217_216:
	s_branch .LBB217_25
.LBB217_217:
	s_cmp_lt_i32 s10, 5
	s_cbranch_scc1 .LBB217_222
; %bb.218:
	s_cmp_lt_i32 s10, 8
	s_cbranch_scc1 .LBB217_223
; %bb.219:
	;; [unrolled: 3-line block ×3, first 2 shown]
	s_cmp_gt_i32 s10, 9
	s_cbranch_scc0 .LBB217_225
; %bb.221:
	global_load_dwordx2 v[4:5], v[2:3], off
	s_movk_i32 s2, 0x1ff
	s_movk_i32 s3, 0xffe
	v_mov_b32_e32 v1, 0x7c00
	v_mov_b32_e32 v6, 0x7e00
	s_movk_i32 s6, 0x40f
	s_mov_b32 s7, 0x8000
	s_waitcnt vmcnt(0)
	v_and_or_b32 v4, v5, s2, v4
	v_cmp_ne_u32_e32 vcc, 0, v4
	v_lshrrev_b32_e32 v7, 8, v5
	v_bfe_u32 v9, v5, 20, 11
	v_cndmask_b32_e64 v4, 0, 1, vcc
	v_sub_u32_e32 v10, 0x3f1, v9
	v_and_or_b32 v4, v7, s3, v4
	v_add_u32_e32 v9, 0xfffffc10, v9
	v_med3_i32 v7, v10, 0, 13
	v_or_b32_e32 v10, 0x1000, v4
	v_cmp_ne_u32_e32 vcc, 0, v4
	v_lshl_or_b32 v11, v9, 12, v4
	v_lshrrev_b32_e32 v5, 16, v5
	v_cndmask_b32_e32 v4, v1, v6, vcc
	v_lshrrev_b32_e32 v6, v7, v10
	v_lshlrev_b32_e32 v7, v7, v6
	v_cmp_ne_u32_e32 vcc, v7, v10
	s_mov_b64 s[2:3], 0
	s_nop 0
	v_cndmask_b32_e64 v7, 0, 1, vcc
	v_or_b32_e32 v6, v6, v7
	v_cmp_gt_i32_e32 vcc, 1, v9
	s_nop 1
	v_cndmask_b32_e32 v6, v11, v6, vcc
	v_and_b32_e32 v7, 7, v6
	v_cmp_lt_i32_e32 vcc, 5, v7
	v_lshrrev_b32_e32 v6, 2, v6
	s_nop 0
	v_cndmask_b32_e64 v10, 0, 1, vcc
	v_cmp_eq_u32_e32 vcc, 3, v7
	s_nop 1
	v_cndmask_b32_e64 v7, 0, 1, vcc
	v_or_b32_e32 v7, v7, v10
	v_add_u32_e32 v6, v6, v7
	v_cmp_gt_i32_e32 vcc, 31, v9
	s_nop 1
	v_cndmask_b32_e32 v1, v1, v6, vcc
	v_cmp_eq_u32_e32 vcc, s6, v9
	s_nop 1
	v_cndmask_b32_e32 v1, v1, v4, vcc
	v_and_or_b32 v1, v5, s7, v1
	s_branch .LBB217_226
.LBB217_222:
                                        ; implicit-def: $vgpr1
	s_branch .LBB217_244
.LBB217_223:
	s_mov_b64 s[2:3], -1
                                        ; implicit-def: $vgpr1
	s_branch .LBB217_232
.LBB217_224:
	s_mov_b64 s[2:3], -1
                                        ; implicit-def: $vgpr1
	s_branch .LBB217_229
.LBB217_225:
	s_mov_b64 s[2:3], -1
                                        ; implicit-def: $vgpr1
.LBB217_226:
	s_andn2_b64 vcc, exec, s[2:3]
	s_cbranch_vccnz .LBB217_228
; %bb.227:
	global_load_dword v1, v[2:3], off
	s_waitcnt vmcnt(0)
	v_cvt_f16_f32_e32 v1, v1
.LBB217_228:
	s_mov_b64 s[2:3], 0
.LBB217_229:
	s_andn2_b64 vcc, exec, s[2:3]
	s_cbranch_vccnz .LBB217_231
; %bb.230:
	global_load_dword v1, v[2:3], off
.LBB217_231:
	s_mov_b64 s[2:3], 0
.LBB217_232:
	s_andn2_b64 vcc, exec, s[2:3]
	s_cbranch_vccnz .LBB217_243
; %bb.233:
	s_cmp_lt_i32 s10, 6
	s_cbranch_scc1 .LBB217_236
; %bb.234:
	s_cmp_gt_i32 s10, 6
	s_cbranch_scc0 .LBB217_237
; %bb.235:
	global_load_dwordx2 v[4:5], v[2:3], off
	s_movk_i32 s2, 0x1ff
	s_movk_i32 s3, 0xffe
	s_waitcnt vmcnt(1)
	v_mov_b32_e32 v1, 0x7c00
	v_mov_b32_e32 v6, 0x7e00
	s_movk_i32 s6, 0x40f
	s_mov_b32 s7, 0x8000
	s_waitcnt vmcnt(0)
	v_and_or_b32 v4, v5, s2, v4
	v_cmp_ne_u32_e32 vcc, 0, v4
	v_lshrrev_b32_e32 v7, 8, v5
	v_bfe_u32 v9, v5, 20, 11
	v_cndmask_b32_e64 v4, 0, 1, vcc
	v_sub_u32_e32 v10, 0x3f1, v9
	v_and_or_b32 v4, v7, s3, v4
	v_add_u32_e32 v9, 0xfffffc10, v9
	v_med3_i32 v7, v10, 0, 13
	v_or_b32_e32 v10, 0x1000, v4
	v_cmp_ne_u32_e32 vcc, 0, v4
	v_lshl_or_b32 v11, v9, 12, v4
	v_lshrrev_b32_e32 v5, 16, v5
	v_cndmask_b32_e32 v4, v1, v6, vcc
	v_lshrrev_b32_e32 v6, v7, v10
	v_lshlrev_b32_e32 v7, v7, v6
	v_cmp_ne_u32_e32 vcc, v7, v10
	s_mov_b64 s[2:3], 0
	s_nop 0
	v_cndmask_b32_e64 v7, 0, 1, vcc
	v_or_b32_e32 v6, v6, v7
	v_cmp_gt_i32_e32 vcc, 1, v9
	s_nop 1
	v_cndmask_b32_e32 v6, v11, v6, vcc
	v_and_b32_e32 v7, 7, v6
	v_cmp_lt_i32_e32 vcc, 5, v7
	v_lshrrev_b32_e32 v6, 2, v6
	s_nop 0
	v_cndmask_b32_e64 v10, 0, 1, vcc
	v_cmp_eq_u32_e32 vcc, 3, v7
	s_nop 1
	v_cndmask_b32_e64 v7, 0, 1, vcc
	v_or_b32_e32 v7, v7, v10
	v_add_u32_e32 v6, v6, v7
	v_cmp_gt_i32_e32 vcc, 31, v9
	s_nop 1
	v_cndmask_b32_e32 v1, v1, v6, vcc
	v_cmp_eq_u32_e32 vcc, s6, v9
	s_nop 1
	v_cndmask_b32_e32 v1, v1, v4, vcc
	v_and_or_b32 v1, v5, s7, v1
	s_branch .LBB217_238
.LBB217_236:
	s_mov_b64 s[2:3], -1
                                        ; implicit-def: $vgpr1
	s_branch .LBB217_241
.LBB217_237:
	s_mov_b64 s[2:3], -1
                                        ; implicit-def: $vgpr1
.LBB217_238:
	s_andn2_b64 vcc, exec, s[2:3]
	s_cbranch_vccnz .LBB217_240
; %bb.239:
	global_load_dword v1, v[2:3], off
	s_waitcnt vmcnt(0)
	v_cvt_f16_f32_e32 v1, v1
.LBB217_240:
	s_mov_b64 s[2:3], 0
.LBB217_241:
	s_andn2_b64 vcc, exec, s[2:3]
	s_cbranch_vccnz .LBB217_243
; %bb.242:
	global_load_ushort v1, v[2:3], off
.LBB217_243:
	s_cbranch_execnz .LBB217_263
.LBB217_244:
	s_cmp_lt_i32 s10, 2
	s_cbranch_scc1 .LBB217_248
; %bb.245:
	s_cmp_lt_i32 s10, 3
	s_cbranch_scc1 .LBB217_249
; %bb.246:
	s_cmp_gt_i32 s10, 3
	s_cbranch_scc0 .LBB217_250
; %bb.247:
	global_load_dwordx2 v[4:5], v[2:3], off
	s_mov_b64 s[2:3], 0
	s_waitcnt vmcnt(0)
	v_xor_b32_e32 v6, v4, v5
	v_ffbh_i32_e32 v1, v5
	v_ashrrev_i32_e32 v6, 31, v6
	v_add_u32_e32 v1, -1, v1
	v_add_u32_e32 v6, 32, v6
	v_min_u32_e32 v1, v1, v6
	v_lshlrev_b64 v[4:5], v1, v[4:5]
	v_min_u32_e32 v4, 1, v4
	v_or_b32_e32 v4, v5, v4
	v_cvt_f32_i32_e32 v4, v4
	v_sub_u32_e32 v1, 32, v1
	v_ldexp_f32 v1, v4, v1
	v_cvt_f16_f32_e32 v1, v1
	s_branch .LBB217_251
.LBB217_248:
	s_mov_b64 s[2:3], -1
                                        ; implicit-def: $vgpr1
	s_branch .LBB217_257
.LBB217_249:
	s_mov_b64 s[2:3], -1
                                        ; implicit-def: $vgpr1
	s_branch .LBB217_254
.LBB217_250:
	s_mov_b64 s[2:3], -1
                                        ; implicit-def: $vgpr1
.LBB217_251:
	s_andn2_b64 vcc, exec, s[2:3]
	s_cbranch_vccnz .LBB217_253
; %bb.252:
	global_load_dword v1, v[2:3], off
	s_waitcnt vmcnt(0)
	v_cvt_f32_i32_e32 v1, v1
	v_cvt_f16_f32_e32 v1, v1
.LBB217_253:
	s_mov_b64 s[2:3], 0
.LBB217_254:
	s_andn2_b64 vcc, exec, s[2:3]
	s_cbranch_vccnz .LBB217_256
; %bb.255:
	global_load_ushort v1, v[2:3], off
	s_waitcnt vmcnt(0)
	v_cvt_f16_i16_e32 v1, v1
.LBB217_256:
	s_mov_b64 s[2:3], 0
.LBB217_257:
	s_andn2_b64 vcc, exec, s[2:3]
	s_cbranch_vccnz .LBB217_263
; %bb.258:
	s_cmp_gt_i32 s10, 0
	s_cbranch_scc0 .LBB217_260
; %bb.259:
	global_load_sbyte v1, v[2:3], off
	s_mov_b64 s[2:3], 0
	s_waitcnt vmcnt(0)
	v_cvt_f16_i16_e32 v1, v1
	s_branch .LBB217_261
.LBB217_260:
	s_mov_b64 s[2:3], -1
                                        ; implicit-def: $vgpr1
.LBB217_261:
	s_andn2_b64 vcc, exec, s[2:3]
	s_cbranch_vccnz .LBB217_263
; %bb.262:
	global_load_ubyte v1, v[2:3], off
	s_waitcnt vmcnt(0)
	v_cvt_f16_u16_e32 v1, v1
.LBB217_263:
	s_branch .LBB217_26
.LBB217_264:
	s_mov_b64 s[2:3], 0
.LBB217_265:
	s_mov_b64 s[6:7], 0
                                        ; implicit-def: $vgpr8
.LBB217_266:
	s_and_b64 s[54:55], s[2:3], exec
	s_and_b64 s[56:57], s[4:5], exec
	s_orn2_b64 s[4:5], s[6:7], exec
.LBB217_267:
	s_or_b64 exec, exec, s[58:59]
	s_mov_b64 s[8:9], 0
	s_mov_b64 s[2:3], 0
                                        ; implicit-def: $vgpr2_vgpr3
                                        ; implicit-def: $vgpr0
                                        ; implicit-def: $vgpr1
	s_and_saveexec_b64 s[58:59], s[4:5]
	s_cbranch_execz .LBB217_275
; %bb.268:
	v_cmp_gt_i32_e32 vcc, s70, v8
	s_mov_b64 s[2:3], -1
	s_mov_b64 s[60:61], s[56:57]
	s_mov_b64 s[62:63], s[54:55]
	s_and_saveexec_b64 s[64:65], vcc
	s_cbranch_execz .LBB217_544
; %bb.269:
	s_andn2_b64 vcc, exec, s[42:43]
	s_cbranch_vccnz .LBB217_278
; %bb.270:
	s_andn2_b64 vcc, exec, s[52:53]
	s_cbranch_vccnz .LBB217_279
; %bb.271:
	s_add_i32 s63, s75, 1
	s_cmp_eq_u32 s72, 2
	s_cbranch_scc1 .LBB217_280
; %bb.272:
	s_and_b32 s62, s63, 28
	s_mov_b32 s66, 0
	v_mov_b32_e32 v0, 0
	v_mov_b32_e32 v2, 0
	s_mov_b64 s[2:3], s[34:35]
	s_mov_b64 s[60:61], s[50:51]
	v_mov_b32_e32 v4, v8
.LBB217_273:                            ; =>This Inner Loop Header: Depth=1
	s_load_dwordx8 s[12:19], s[2:3], 0x4
	s_load_dwordx4 s[36:39], s[2:3], 0x24
	s_load_dwordx8 s[4:11], s[60:61], 0x0
	s_add_u32 s2, s2, 48
	s_addc_u32 s3, s3, 0
	s_waitcnt vmcnt(0) lgkmcnt(0)
	v_mul_hi_u32 v1, s13, v4
	v_add_u32_e32 v1, v4, v1
	v_lshrrev_b32_e32 v1, s14, v1
	v_mul_lo_u32 v3, v1, s12
	v_mul_hi_u32 v5, s16, v1
	v_sub_u32_e32 v3, v4, v3
	v_add_u32_e32 v4, v1, v5
	v_lshrrev_b32_e32 v4, s17, v4
	v_mul_lo_u32 v6, v4, s15
	v_mul_hi_u32 v7, s19, v4
	v_sub_u32_e32 v1, v1, v6
	v_add_u32_e32 v6, v4, v7
	v_mul_lo_u32 v5, v3, s5
	v_mul_lo_u32 v3, v3, s4
	;; [unrolled: 1-line block ×4, first 2 shown]
	v_lshrrev_b32_e32 v6, s36, v6
	v_add3_u32 v0, v3, v0, v1
	v_mul_hi_u32 v3, s38, v6
	v_add3_u32 v1, v5, v2, v7
	v_mul_lo_u32 v2, v6, s18
	v_add_u32_e32 v3, v6, v3
	v_sub_u32_e32 v2, v4, v2
	v_lshrrev_b32_e32 v4, s39, v3
	s_add_i32 s66, s66, 4
	v_mul_lo_u32 v3, v4, s37
	s_add_u32 s60, s60, 32
	v_sub_u32_e32 v3, v6, v3
	s_addc_u32 s61, s61, 0
	v_mul_lo_u32 v5, v2, s8
	v_mul_lo_u32 v2, v2, s9
	;; [unrolled: 1-line block ×4, first 2 shown]
	s_cmp_eq_u32 s62, s66
	v_add3_u32 v2, v2, v1, v3
	v_add3_u32 v0, v5, v0, v6
	s_cbranch_scc0 .LBB217_273
; %bb.274:
	v_mov_b32_e32 v1, v2
	s_branch .LBB217_281
.LBB217_275:
	s_or_b64 exec, exec, s[58:59]
	s_mov_b64 s[4:5], 0
	s_and_saveexec_b64 s[6:7], s[56:57]
	s_cbranch_execnz .LBB217_922
.LBB217_276:
	s_or_b64 exec, exec, s[6:7]
	s_and_saveexec_b64 s[6:7], s[62:63]
	s_xor_b64 s[6:7], exec, s[6:7]
	s_cbranch_execz .LBB217_923
.LBB217_277:
	global_load_ubyte v1, v[2:3], off
	v_mov_b32_e32 v4, 0x3c00
	s_or_b64 s[2:3], s[2:3], exec
	s_waitcnt vmcnt(0)
	v_cmp_ne_u16_e32 vcc, 0, v1
	s_nop 1
	v_cndmask_b32_e32 v1, 0, v4, vcc
	s_or_b64 exec, exec, s[6:7]
	s_and_saveexec_b64 s[6:7], s[8:9]
	s_cbranch_execz .LBB217_969
	s_branch .LBB217_924
.LBB217_278:
                                        ; implicit-def: $vgpr2
                                        ; implicit-def: $vgpr0
	s_andn2_b64 vcc, exec, s[2:3]
	s_cbranch_vccz .LBB217_285
	s_branch .LBB217_287
.LBB217_279:
	v_mov_b32_e32 v2, 0
	v_mov_b32_e32 v0, 0
	s_branch .LBB217_284
.LBB217_280:
	v_mov_b32_e32 v0, 0
	s_mov_b32 s62, 0
	s_waitcnt vmcnt(0)
	v_mov_b32_e32 v1, v0
                                        ; implicit-def: $vgpr2
	v_mov_b32_e32 v4, v8
.LBB217_281:
	s_and_b32 s6, s63, 3
	s_cmp_eq_u32 s6, 0
	s_cbranch_scc1 .LBB217_284
; %bb.282:
	s_lshl_b32 s2, s62, 3
	s_add_u32 s2, s34, s2
	s_addc_u32 s3, s35, 0
	s_add_u32 s2, s2, 0xc4
	s_addc_u32 s3, s3, 0
	s_mul_i32 s4, s62, 12
	s_add_u32 s4, s34, s4
	s_addc_u32 s5, s35, 0
.LBB217_283:                            ; =>This Inner Loop Header: Depth=1
	s_load_dwordx2 s[8:9], s[4:5], 0x4
	s_load_dword s7, s[4:5], 0xc
	s_load_dwordx2 s[10:11], s[2:3], 0x0
	v_mov_b32_e32 v2, v1
	s_add_u32 s4, s4, 12
	s_waitcnt lgkmcnt(0)
	v_mul_hi_u32 v1, s9, v4
	v_add_u32_e32 v1, v4, v1
	v_lshrrev_b32_e32 v1, s7, v1
	s_addc_u32 s5, s5, 0
	v_mul_lo_u32 v3, v1, s8
	s_add_u32 s2, s2, 8
	v_sub_u32_e32 v5, v4, v3
	s_addc_u32 s3, s3, 0
	s_add_i32 s6, s6, -1
	v_mov_b32_e32 v4, v1
	v_mad_u64_u32 v[2:3], s[8:9], v5, s11, v[2:3]
	v_mad_u64_u32 v[0:1], s[8:9], v5, s10, v[0:1]
	s_cmp_lg_u32 s6, 0
	v_mov_b32_e32 v1, v2
	s_cbranch_scc1 .LBB217_283
.LBB217_284:
	s_cbranch_execnz .LBB217_287
.LBB217_285:
	s_waitcnt lgkmcnt(0)
	v_mul_hi_u32 v0, s29, v8
	v_add_u32_e32 v0, v8, v0
	s_waitcnt vmcnt(0)
	v_lshrrev_b32_e32 v1, s30, v0
	v_mul_lo_u32 v0, v1, s28
	v_sub_u32_e32 v0, v8, v0
	v_mul_lo_u32 v2, v0, s25
	s_andn2_b64 vcc, exec, s[48:49]
	v_mul_lo_u32 v0, v0, s24
	s_cbranch_vccnz .LBB217_287
; %bb.286:
	v_mul_hi_u32 v3, s46, v1
	v_add_u32_e32 v3, v1, v3
	v_lshrrev_b32_e32 v3, s47, v3
	v_mul_lo_u32 v3, v3, s31
	v_sub_u32_e32 v3, v1, v3
	v_mad_u64_u32 v[0:1], s[2:3], v3, s26, v[0:1]
	v_mad_u64_u32 v[2:3], s[2:3], v3, s27, v[2:3]
.LBB217_287:
	v_mov_b32_e32 v3, 0
	s_and_b32 s10, 0xffff, s74
	s_cmp_lt_i32 s10, 11
	s_waitcnt lgkmcnt(0)
	v_lshl_add_u64 v[2:3], s[22:23], 0, v[2:3]
	s_cbranch_scc1 .LBB217_294
; %bb.288:
	s_cmp_gt_i32 s10, 25
	s_cbranch_scc0 .LBB217_303
; %bb.289:
	s_cmp_gt_i32 s10, 28
	s_cbranch_scc0 .LBB217_305
	;; [unrolled: 3-line block ×4, first 2 shown]
; %bb.292:
	s_cmp_eq_u32 s10, 46
	s_mov_b64 s[6:7], 0
	s_cbranch_scc0 .LBB217_315
; %bb.293:
	global_load_dword v1, v[2:3], off
	s_mov_b64 s[2:3], -1
	s_mov_b64 s[4:5], 0
	s_waitcnt vmcnt(0)
	v_lshlrev_b32_e32 v1, 16, v1
	v_cvt_f16_f32_e32 v1, v1
	s_branch .LBB217_316
.LBB217_294:
	s_mov_b64 s[2:3], 0
                                        ; implicit-def: $vgpr1
	s_mov_b64 s[4:5], s[56:57]
	s_cbranch_execnz .LBB217_493
.LBB217_295:
	s_andn2_b64 vcc, exec, s[2:3]
	s_cbranch_vccnz .LBB217_541
.LBB217_296:
	s_waitcnt vmcnt(0)
	v_cvt_f32_f16_e32 v1, v1
	s_mov_b32 s2, 0
	s_mov_b32 s3, 0x3fd80000
	s_and_b32 s12, s73, 0xff
	v_cvt_f64_f32_e32 v[2:3], v1
	v_rsq_f64_e32 v[4:5], v[2:3]
	v_mov_b32_e32 v1, 0x180
	s_cmp_lt_i32 s12, 11
	v_mul_f64 v[2:3], v[4:5], -v[2:3]
	v_fma_f64 v[2:3], v[2:3], v[4:5], 1.0
	v_mul_f64 v[6:7], v[4:5], v[2:3]
	v_fma_f64 v[2:3], v[2:3], s[2:3], 0.5
	v_fma_f64 v[2:3], v[6:7], v[2:3], v[4:5]
	v_cmp_class_f64_e32 vcc, v[4:5], v1
	s_movk_i32 s2, 0x1ff
	s_nop 0
	v_cndmask_b32_e32 v1, v4, v2, vcc
	v_cndmask_b32_e32 v2, v5, v3, vcc
	v_and_or_b32 v1, v2, s2, v1
	v_cmp_ne_u32_e32 vcc, 0, v1
	v_lshrrev_b32_e32 v3, 8, v2
	s_movk_i32 s2, 0xffe
	v_cndmask_b32_e64 v1, 0, 1, vcc
	v_bfe_u32 v4, v2, 20, 11
	v_and_or_b32 v1, v3, s2, v1
	v_sub_u32_e32 v5, 0x3f1, v4
	v_or_b32_e32 v3, 0x1000, v1
	v_med3_i32 v5, v5, 0, 13
	v_lshrrev_b32_e32 v6, v5, v3
	v_lshlrev_b32_e32 v5, v5, v6
	v_cmp_ne_u32_e32 vcc, v5, v3
	v_add_u32_e32 v4, 0xfffffc10, v4
	v_lshl_or_b32 v5, v4, 12, v1
	v_cndmask_b32_e64 v3, 0, 1, vcc
	v_or_b32_e32 v3, v6, v3
	v_cmp_gt_i32_e32 vcc, 1, v4
	s_movk_i32 s2, 0x40f
	v_lshrrev_b32_e32 v2, 16, v2
	v_cndmask_b32_e32 v3, v5, v3, vcc
	v_and_b32_e32 v5, 7, v3
	v_cmp_lt_i32_e32 vcc, 5, v5
	v_lshrrev_b32_e32 v3, 2, v3
	s_nop 0
	v_cndmask_b32_e64 v6, 0, 1, vcc
	v_cmp_eq_u32_e32 vcc, 3, v5
	s_nop 1
	v_cndmask_b32_e64 v5, 0, 1, vcc
	v_or_b32_e32 v5, v5, v6
	v_add_u32_e32 v3, v3, v5
	v_mov_b32_e32 v5, 0x7c00
	v_cmp_gt_i32_e32 vcc, 31, v4
	v_mov_b32_e32 v6, 0x7e00
	s_nop 0
	v_cndmask_b32_e32 v3, v5, v3, vcc
	v_cmp_ne_u32_e32 vcc, 0, v1
	s_nop 1
	v_cndmask_b32_e32 v1, v5, v6, vcc
	v_cmp_eq_u32_e32 vcc, s2, v4
	s_mov_b32 s2, 0x8000
	s_nop 0
	v_cndmask_b32_e32 v1, v3, v1, vcc
	v_and_or_b32 v2, v2, s2, v1
	v_mov_b32_e32 v1, 0
	v_lshl_add_u64 v[0:1], s[20:21], 0, v[0:1]
	s_cbranch_scc1 .LBB217_304
; %bb.297:
	s_and_b32 s13, 0xffff, s12
	s_cmp_gt_i32 s13, 25
	s_cbranch_scc0 .LBB217_306
; %bb.298:
	s_cmp_gt_i32 s13, 28
	s_cbranch_scc0 .LBB217_308
; %bb.299:
	;; [unrolled: 3-line block ×4, first 2 shown]
	s_mov_b64 s[8:9], 0
	s_mov_b64 s[2:3], -1
	s_cmp_eq_u32 s13, 46
	s_mov_b64 s[6:7], 0
	s_cbranch_scc0 .LBB217_320
; %bb.302:
	v_cvt_f32_f16_e32 v3, v2
	s_movk_i32 s2, 0x7fff
	v_cmp_o_f16_e32 vcc, v2, v2
	v_mov_b32_e32 v4, 0x7fc0
	v_bfe_u32 v5, v3, 16, 1
	v_add3_u32 v3, v3, v5, s2
	v_cndmask_b32_sdwa v3, v4, v3, vcc dst_sel:DWORD dst_unused:UNUSED_PAD src0_sel:DWORD src1_sel:WORD_1
	global_store_dword v[0:1], v3, off
	s_mov_b64 s[6:7], -1
	s_mov_b64 s[2:3], 0
	s_branch .LBB217_320
.LBB217_303:
	s_mov_b64 s[6:7], -1
	s_mov_b64 s[2:3], 0
	s_mov_b64 s[4:5], s[56:57]
                                        ; implicit-def: $vgpr1
	s_branch .LBB217_457
.LBB217_304:
	s_mov_b64 s[8:9], -1
	s_mov_b64 s[6:7], 0
	s_mov_b64 s[2:3], s[54:55]
	s_branch .LBB217_389
.LBB217_305:
	s_mov_b64 s[6:7], -1
	s_mov_b64 s[2:3], 0
	s_mov_b64 s[4:5], s[56:57]
                                        ; implicit-def: $vgpr1
	s_branch .LBB217_438
.LBB217_306:
	s_mov_b64 s[8:9], -1
	s_mov_b64 s[6:7], 0
	s_mov_b64 s[2:3], s[54:55]
	s_branch .LBB217_347
.LBB217_307:
	s_mov_b64 s[6:7], -1
	s_mov_b64 s[2:3], 0
	s_mov_b64 s[4:5], s[56:57]
                                        ; implicit-def: $vgpr1
	s_branch .LBB217_433
.LBB217_308:
	s_mov_b64 s[8:9], -1
	s_mov_b64 s[6:7], 0
	s_mov_b64 s[2:3], s[54:55]
	s_branch .LBB217_330
.LBB217_309:
	s_andn2_saveexec_b64 s[10:11], s[10:11]
	s_cbranch_execz .LBB217_69
.LBB217_310:
	s_mov_b32 s14, 0x46000000
	v_add_f32_e64 v4, |v3|, s14
	v_and_b32_e32 v4, 0xff, v4
	v_cmp_ne_u32_e32 vcc, 0, v4
	s_andn2_b64 s[8:9], s[8:9], exec
	s_and_b64 s[14:15], vcc, exec
	s_or_b64 s[8:9], s[8:9], s[14:15]
	s_or_b64 exec, exec, s[10:11]
	v_mov_b32_e32 v5, 0
	s_and_saveexec_b64 s[10:11], s[8:9]
	s_cbranch_execnz .LBB217_70
	s_branch .LBB217_71
.LBB217_311:
	s_mov_b64 s[6:7], -1
	s_mov_b64 s[2:3], 0
	s_mov_b64 s[4:5], s[56:57]
                                        ; implicit-def: $vgpr1
	s_branch .LBB217_316
.LBB217_312:
	s_mov_b64 s[8:9], -1
	s_mov_b64 s[6:7], 0
	s_mov_b64 s[2:3], s[54:55]
	s_branch .LBB217_326
.LBB217_313:
	s_andn2_saveexec_b64 s[10:11], s[10:11]
	s_cbranch_execz .LBB217_82
.LBB217_314:
	s_mov_b32 s14, 0x42800000
	v_add_f32_e64 v4, |v3|, s14
	v_and_b32_e32 v4, 0xff, v4
	v_cmp_ne_u32_e32 vcc, 0, v4
	s_andn2_b64 s[8:9], s[8:9], exec
	s_and_b64 s[14:15], vcc, exec
	s_or_b64 s[8:9], s[8:9], s[14:15]
	s_or_b64 exec, exec, s[10:11]
	v_mov_b32_e32 v5, 0
	s_and_saveexec_b64 s[10:11], s[8:9]
	s_cbranch_execnz .LBB217_83
	s_branch .LBB217_84
.LBB217_315:
	s_mov_b64 s[4:5], -1
                                        ; implicit-def: $vgpr1
	s_mov_b64 s[2:3], 0
.LBB217_316:
	s_and_b64 vcc, exec, s[6:7]
	s_cbranch_vccz .LBB217_432
; %bb.317:
	s_cmp_eq_u32 s10, 44
	s_cbranch_scc0 .LBB217_431
; %bb.318:
	global_load_ubyte v1, v[2:3], off
	s_movk_i32 s4, 0xff
	v_mov_b32_e32 v5, 0x7e00
	s_mov_b64 s[2:3], -1
	s_waitcnt vmcnt(0)
	v_lshlrev_b32_e32 v4, 23, v1
	v_cvt_f16_f32_e32 v4, v4
	v_cmp_ne_u32_e32 vcc, s4, v1
	s_mov_b64 s[4:5], 0
	s_nop 0
	v_cndmask_b32_e32 v4, v5, v4, vcc
	v_cmp_ne_u32_e32 vcc, 0, v1
	s_nop 1
	v_cndmask_b32_e32 v1, 0, v4, vcc
	s_branch .LBB217_432
.LBB217_319:
	s_mov_b64 s[8:9], -1
	s_mov_b64 s[6:7], 0
	s_mov_b64 s[2:3], s[54:55]
.LBB217_320:
	s_and_b64 vcc, exec, s[8:9]
	s_cbranch_vccz .LBB217_325
; %bb.321:
	s_cmp_eq_u32 s13, 44
	s_mov_b64 s[2:3], -1
	s_cbranch_scc0 .LBB217_325
; %bb.322:
	v_cvt_f32_f16_e32 v3, v2
	s_movk_i32 s2, 0xff
	v_mov_b32_e32 v5, 0xff
	v_bfe_u32 v4, v3, 23, 8
	v_cmp_ne_u32_e32 vcc, s2, v4
	s_and_saveexec_b64 s[6:7], vcc
; %bb.323:
	s_mov_b32 s2, 0x3fffff
	v_lshrrev_b32_e32 v5, 23, v3
	v_and_b32_e32 v6, 0x400000, v3
	v_and_or_b32 v3, v3, s2, v4
	v_cmp_ne_u32_e32 vcc, 0, v6
	v_cmp_ne_u32_e64 s[2:3], 0, v3
	s_and_b64 s[2:3], vcc, s[2:3]
	s_nop 0
	v_cndmask_b32_e64 v3, 0, 1, s[2:3]
	v_add_u32_e32 v5, v5, v3
; %bb.324:
	s_or_b64 exec, exec, s[6:7]
	s_mov_b64 s[6:7], -1
	s_mov_b64 s[2:3], 0
	global_store_byte v[0:1], v5, off
.LBB217_325:
	s_mov_b64 s[8:9], 0
.LBB217_326:
	s_and_b64 vcc, exec, s[8:9]
	s_cbranch_vccz .LBB217_329
; %bb.327:
	s_cmp_eq_u32 s13, 29
	s_mov_b64 s[2:3], -1
	s_cbranch_scc0 .LBB217_329
; %bb.328:
	v_cvt_f32_f16_e32 v3, v2
	v_mov_b32_e32 v5, 0
	s_mov_b64 s[6:7], -1
	s_mov_b64 s[2:3], 0
	v_cvt_u32_f32_e32 v4, v3
	s_mov_b64 s[8:9], 0
	global_store_dwordx2 v[0:1], v[4:5], off
	s_branch .LBB217_330
.LBB217_329:
	s_mov_b64 s[8:9], 0
.LBB217_330:
	s_and_b64 vcc, exec, s[8:9]
	s_cbranch_vccz .LBB217_346
; %bb.331:
	s_cmp_lt_i32 s13, 27
	s_mov_b64 s[6:7], -1
	s_cbranch_scc1 .LBB217_337
; %bb.332:
	s_cmp_gt_i32 s13, 27
	s_cbranch_scc0 .LBB217_334
; %bb.333:
	v_cvt_f32_f16_e32 v3, v2
	s_mov_b64 s[6:7], 0
	v_cvt_u32_f32_e32 v3, v3
	global_store_dword v[0:1], v3, off
.LBB217_334:
	s_andn2_b64 vcc, exec, s[6:7]
	s_cbranch_vccnz .LBB217_336
; %bb.335:
	v_cvt_u16_f16_e32 v3, v2
	global_store_short v[0:1], v3, off
.LBB217_336:
	s_mov_b64 s[6:7], 0
.LBB217_337:
	s_andn2_b64 vcc, exec, s[6:7]
	s_cbranch_vccnz .LBB217_345
; %bb.338:
	v_cvt_f32_f16_e32 v3, v2
	s_mov_b32 s6, 0x43800000
	v_mov_b32_e32 v5, 0x80
	v_and_b32_e32 v4, 0x7fffffff, v3
	v_cmp_gt_u32_e32 vcc, s6, v4
	s_and_saveexec_b64 s[6:7], vcc
	s_cbranch_execz .LBB217_344
; %bb.339:
	s_mov_b32 s8, 0x3bffffff
	v_cmp_lt_u32_e32 vcc, s8, v4
	s_mov_b64 s[8:9], 0
                                        ; implicit-def: $vgpr4
	s_and_saveexec_b64 s[10:11], vcc
	s_xor_b64 s[10:11], exec, s[10:11]
	s_cbranch_execz .LBB217_573
; %bb.340:
	v_bfe_u32 v4, v3, 20, 1
	s_mov_b32 s14, 0x487ffff
	v_add3_u32 v4, v3, v4, s14
	s_mov_b64 s[8:9], exec
	v_lshrrev_b32_e32 v4, 20, v4
	s_andn2_saveexec_b64 s[10:11], s[10:11]
	s_cbranch_execnz .LBB217_574
.LBB217_341:
	s_or_b64 exec, exec, s[10:11]
	v_mov_b32_e32 v5, 0
	s_and_saveexec_b64 s[10:11], s[8:9]
.LBB217_342:
	v_lshrrev_b32_e32 v3, 24, v3
	s_movk_i32 s8, 0x80
	v_and_or_b32 v5, v3, s8, v4
.LBB217_343:
	s_or_b64 exec, exec, s[10:11]
.LBB217_344:
	s_or_b64 exec, exec, s[6:7]
	global_store_byte v[0:1], v5, off
.LBB217_345:
	s_mov_b64 s[6:7], -1
.LBB217_346:
	s_mov_b64 s[8:9], 0
.LBB217_347:
	s_and_b64 vcc, exec, s[8:9]
	s_cbranch_vccz .LBB217_388
; %bb.348:
	s_cmp_gt_i32 s13, 22
	s_mov_b64 s[8:9], -1
	s_cbranch_scc0 .LBB217_380
; %bb.349:
	s_cmp_lt_i32 s13, 24
	s_mov_b64 s[6:7], -1
	s_cbranch_scc1 .LBB217_369
; %bb.350:
	s_cmp_gt_i32 s13, 24
	s_cbranch_scc0 .LBB217_358
; %bb.351:
	v_cvt_f32_f16_e32 v3, v2
	s_mov_b32 s6, 0x47800000
	v_mov_b32_e32 v5, 0x80
	v_and_b32_e32 v4, 0x7fffffff, v3
	v_cmp_gt_u32_e32 vcc, s6, v4
	s_and_saveexec_b64 s[6:7], vcc
	s_cbranch_execz .LBB217_357
; %bb.352:
	s_mov_b32 s8, 0x37ffffff
	v_cmp_lt_u32_e32 vcc, s8, v4
	s_mov_b64 s[8:9], 0
                                        ; implicit-def: $vgpr4
	s_and_saveexec_b64 s[10:11], vcc
	s_xor_b64 s[10:11], exec, s[10:11]
	s_cbranch_execz .LBB217_576
; %bb.353:
	v_bfe_u32 v4, v3, 21, 1
	s_mov_b32 s14, 0x88fffff
	v_add3_u32 v4, v3, v4, s14
	s_mov_b64 s[8:9], exec
	v_lshrrev_b32_e32 v4, 21, v4
	s_andn2_saveexec_b64 s[10:11], s[10:11]
	s_cbranch_execnz .LBB217_577
.LBB217_354:
	s_or_b64 exec, exec, s[10:11]
	v_mov_b32_e32 v5, 0
	s_and_saveexec_b64 s[10:11], s[8:9]
.LBB217_355:
	v_lshrrev_b32_e32 v3, 24, v3
	s_movk_i32 s8, 0x80
	v_and_or_b32 v5, v3, s8, v4
.LBB217_356:
	s_or_b64 exec, exec, s[10:11]
.LBB217_357:
	s_or_b64 exec, exec, s[6:7]
	s_mov_b64 s[6:7], 0
	global_store_byte v[0:1], v5, off
.LBB217_358:
	s_and_b64 vcc, exec, s[6:7]
	s_cbranch_vccz .LBB217_368
; %bb.359:
	v_cvt_f32_f16_e32 v3, v2
	s_mov_b32 s6, 0x43f00000
                                        ; implicit-def: $vgpr4
	v_and_b32_e32 v5, 0x7fffffff, v3
	v_cmp_gt_u32_e32 vcc, s6, v5
	s_and_saveexec_b64 s[6:7], vcc
	s_xor_b64 s[6:7], exec, s[6:7]
	s_cbranch_execz .LBB217_365
; %bb.360:
	s_mov_b32 s8, 0x3c7fffff
	v_cmp_lt_u32_e32 vcc, s8, v5
                                        ; implicit-def: $vgpr4
	s_and_saveexec_b64 s[8:9], vcc
	s_xor_b64 s[8:9], exec, s[8:9]
; %bb.361:
	v_bfe_u32 v4, v3, 20, 1
	s_mov_b32 s10, 0x407ffff
	v_add3_u32 v4, v3, v4, s10
	v_lshrrev_b32_e32 v5, 20, v4
	v_and_b32_e32 v4, 0xff00000, v4
	s_mov_b32 s10, 0x7f00000
	v_mov_b32_e32 v6, 0x7e
	v_cmp_ne_u32_e32 vcc, s10, v4
	s_nop 1
	v_cndmask_b32_e32 v4, v6, v5, vcc
; %bb.362:
	s_andn2_saveexec_b64 s[8:9], s[8:9]
; %bb.363:
	s_mov_b32 s10, 0x46800000
	v_add_f32_e64 v4, |v3|, s10
; %bb.364:
	s_or_b64 exec, exec, s[8:9]
                                        ; implicit-def: $vgpr5
.LBB217_365:
	s_andn2_saveexec_b64 s[6:7], s[6:7]
; %bb.366:
	s_mov_b32 s8, 0x7f800000
	v_mov_b32_e32 v4, 0x7e
	v_mov_b32_e32 v6, 0x7f
	v_cmp_lt_u32_e32 vcc, s8, v5
	s_nop 1
	v_cndmask_b32_e32 v4, v4, v6, vcc
; %bb.367:
	s_or_b64 exec, exec, s[6:7]
	v_lshrrev_b32_e32 v3, 24, v3
	s_movk_i32 s6, 0x80
	v_and_or_b32 v3, v3, s6, v4
	global_store_byte v[0:1], v3, off
.LBB217_368:
	s_mov_b64 s[6:7], 0
.LBB217_369:
	s_andn2_b64 vcc, exec, s[6:7]
	s_cbranch_vccnz .LBB217_379
; %bb.370:
	v_cvt_f32_f16_e32 v3, v2
	s_mov_b32 s6, 0x47800000
                                        ; implicit-def: $vgpr4
	v_and_b32_e32 v5, 0x7fffffff, v3
	v_cmp_gt_u32_e32 vcc, s6, v5
	s_and_saveexec_b64 s[6:7], vcc
	s_xor_b64 s[6:7], exec, s[6:7]
	s_cbranch_execz .LBB217_376
; %bb.371:
	s_mov_b32 s8, 0x387fffff
	v_cmp_lt_u32_e32 vcc, s8, v5
                                        ; implicit-def: $vgpr4
	s_and_saveexec_b64 s[8:9], vcc
	s_xor_b64 s[8:9], exec, s[8:9]
; %bb.372:
	v_bfe_u32 v4, v3, 21, 1
	s_mov_b32 s10, 0x80fffff
	v_add3_u32 v4, v3, v4, s10
	v_lshrrev_b32_e32 v4, 21, v4
; %bb.373:
	s_andn2_saveexec_b64 s[8:9], s[8:9]
; %bb.374:
	s_mov_b32 s10, 0x43000000
	v_add_f32_e64 v4, |v3|, s10
; %bb.375:
	s_or_b64 exec, exec, s[8:9]
                                        ; implicit-def: $vgpr5
.LBB217_376:
	s_andn2_saveexec_b64 s[6:7], s[6:7]
; %bb.377:
	s_mov_b32 s8, 0x7f800000
	v_mov_b32_e32 v4, 0x7c
	v_mov_b32_e32 v6, 0x7f
	v_cmp_lt_u32_e32 vcc, s8, v5
	s_nop 1
	v_cndmask_b32_e32 v4, v4, v6, vcc
; %bb.378:
	s_or_b64 exec, exec, s[6:7]
	v_lshrrev_b32_e32 v3, 24, v3
	s_movk_i32 s6, 0x80
	v_and_or_b32 v3, v3, s6, v4
	global_store_byte v[0:1], v3, off
.LBB217_379:
	s_mov_b64 s[8:9], 0
	s_mov_b64 s[6:7], -1
.LBB217_380:
	s_andn2_b64 vcc, exec, s[8:9]
	s_cbranch_vccnz .LBB217_388
; %bb.381:
	s_cmp_gt_i32 s13, 14
	s_mov_b64 s[8:9], -1
	s_cbranch_scc0 .LBB217_385
; %bb.382:
	s_cmp_eq_u32 s13, 15
	s_mov_b64 s[2:3], -1
	s_cbranch_scc0 .LBB217_384
; %bb.383:
	v_cvt_f32_f16_e32 v3, v2
	s_movk_i32 s2, 0x7fff
	v_cmp_o_f16_e32 vcc, v2, v2
	v_mov_b32_e32 v4, 0x7fc0
	v_bfe_u32 v5, v3, 16, 1
	v_add3_u32 v3, v3, v5, s2
	v_cndmask_b32_sdwa v3, v4, v3, vcc dst_sel:DWORD dst_unused:UNUSED_PAD src0_sel:DWORD src1_sel:WORD_1
	global_store_short v[0:1], v3, off
	s_mov_b64 s[6:7], -1
	s_mov_b64 s[2:3], 0
.LBB217_384:
	s_mov_b64 s[8:9], 0
.LBB217_385:
	s_and_b64 vcc, exec, s[8:9]
	s_cbranch_vccz .LBB217_388
; %bb.386:
	s_cmp_eq_u32 s13, 11
	s_mov_b64 s[2:3], -1
	s_cbranch_scc0 .LBB217_388
; %bb.387:
	v_cmp_neq_f16_e32 vcc, 0, v2
	s_mov_b64 s[6:7], -1
	s_mov_b64 s[2:3], 0
	v_cndmask_b32_e64 v3, 0, 1, vcc
	global_store_byte v[0:1], v3, off
.LBB217_388:
	s_mov_b64 s[8:9], 0
.LBB217_389:
	s_and_b64 vcc, exec, s[8:9]
	s_cbranch_vccz .LBB217_428
; %bb.390:
	s_and_b32 s8, 0xffff, s12
	s_cmp_lt_i32 s8, 5
	s_mov_b64 s[6:7], -1
	s_cbranch_scc1 .LBB217_411
; %bb.391:
	s_cmp_lt_i32 s8, 8
	s_cbranch_scc1 .LBB217_401
; %bb.392:
	s_cmp_lt_i32 s8, 9
	s_cbranch_scc1 .LBB217_398
; %bb.393:
	s_cmp_gt_i32 s8, 9
	s_cbranch_scc0 .LBB217_395
; %bb.394:
	v_cvt_f32_f16_e32 v3, v2
	v_mov_b32_e32 v6, 0
	v_mov_b32_e32 v7, v6
	s_mov_b64 s[6:7], 0
	v_cvt_f64_f32_e32 v[4:5], v3
	global_store_dwordx4 v[0:1], v[4:7], off
.LBB217_395:
	s_andn2_b64 vcc, exec, s[6:7]
	s_cbranch_vccnz .LBB217_397
; %bb.396:
	v_cvt_f32_f16_e32 v4, v2
	v_mov_b32_e32 v5, 0
	global_store_dwordx2 v[0:1], v[4:5], off
.LBB217_397:
	s_mov_b64 s[6:7], 0
.LBB217_398:
	s_andn2_b64 vcc, exec, s[6:7]
	s_cbranch_vccnz .LBB217_400
; %bb.399:
	v_and_b32_e32 v3, 0xffff, v2
	global_store_dword v[0:1], v3, off
.LBB217_400:
	s_mov_b64 s[6:7], 0
.LBB217_401:
	s_andn2_b64 vcc, exec, s[6:7]
	s_cbranch_vccnz .LBB217_410
; %bb.402:
	s_cmp_lt_i32 s8, 6
	s_mov_b64 s[6:7], -1
	s_cbranch_scc1 .LBB217_408
; %bb.403:
	s_cmp_gt_i32 s8, 6
	s_cbranch_scc0 .LBB217_405
; %bb.404:
	v_cvt_f32_f16_e32 v3, v2
	s_mov_b64 s[6:7], 0
	v_cvt_f64_f32_e32 v[4:5], v3
	global_store_dwordx2 v[0:1], v[4:5], off
.LBB217_405:
	s_andn2_b64 vcc, exec, s[6:7]
	s_cbranch_vccnz .LBB217_407
; %bb.406:
	v_cvt_f32_f16_e32 v3, v2
	global_store_dword v[0:1], v3, off
.LBB217_407:
	s_mov_b64 s[6:7], 0
.LBB217_408:
	s_andn2_b64 vcc, exec, s[6:7]
	s_cbranch_vccnz .LBB217_410
; %bb.409:
	global_store_short v[0:1], v2, off
.LBB217_410:
	s_mov_b64 s[6:7], 0
.LBB217_411:
	s_andn2_b64 vcc, exec, s[6:7]
	s_cbranch_vccnz .LBB217_427
; %bb.412:
	s_cmp_lt_i32 s8, 2
	s_mov_b64 s[6:7], -1
	s_cbranch_scc1 .LBB217_422
; %bb.413:
	s_cmp_lt_i32 s8, 3
	s_cbranch_scc1 .LBB217_419
; %bb.414:
	s_cmp_gt_i32 s8, 3
	s_cbranch_scc0 .LBB217_416
; %bb.415:
	v_cvt_f32_f16_e32 v3, v2
	s_mov_b64 s[6:7], 0
	v_cvt_i32_f32_e32 v4, v3
	v_ashrrev_i32_e32 v5, 31, v4
	global_store_dwordx2 v[0:1], v[4:5], off
.LBB217_416:
	s_andn2_b64 vcc, exec, s[6:7]
	s_cbranch_vccnz .LBB217_418
; %bb.417:
	v_cvt_f32_f16_e32 v3, v2
	v_cvt_i32_f32_e32 v3, v3
	global_store_dword v[0:1], v3, off
.LBB217_418:
	s_mov_b64 s[6:7], 0
.LBB217_419:
	s_andn2_b64 vcc, exec, s[6:7]
	s_cbranch_vccnz .LBB217_421
; %bb.420:
	v_cvt_i16_f16_e32 v3, v2
	global_store_short v[0:1], v3, off
.LBB217_421:
	s_mov_b64 s[6:7], 0
.LBB217_422:
	s_andn2_b64 vcc, exec, s[6:7]
	s_cbranch_vccnz .LBB217_427
; %bb.423:
	s_cmp_gt_i32 s8, 0
	s_mov_b64 s[6:7], -1
	s_cbranch_scc0 .LBB217_425
; %bb.424:
	v_cvt_i16_f16_e32 v3, v2
	s_mov_b64 s[6:7], 0
	global_store_byte v[0:1], v3, off
.LBB217_425:
	s_andn2_b64 vcc, exec, s[6:7]
	s_cbranch_vccnz .LBB217_427
; %bb.426:
	v_cvt_f32_f16_e32 v2, v2
	v_cvt_i32_f32_e32 v2, v2
	global_store_byte v[0:1], v2, off
.LBB217_427:
	s_mov_b64 s[6:7], -1
.LBB217_428:
	s_andn2_b64 vcc, exec, s[6:7]
	s_cbranch_vccnz .LBB217_430
; %bb.429:
	v_add_u32_e32 v8, 0x80, v8
	s_mov_b64 s[6:7], -1
	s_branch .LBB217_543
.LBB217_430:
	s_mov_b64 s[6:7], 0
	s_branch .LBB217_542
.LBB217_431:
	s_mov_b64 s[4:5], -1
                                        ; implicit-def: $vgpr1
.LBB217_432:
	s_mov_b64 s[6:7], 0
.LBB217_433:
	s_and_b64 vcc, exec, s[6:7]
	s_cbranch_vccz .LBB217_437
; %bb.434:
	s_cmp_eq_u32 s10, 29
	s_cbranch_scc0 .LBB217_436
; %bb.435:
	global_load_dwordx2 v[4:5], v[2:3], off
	s_mov_b64 s[2:3], -1
	s_mov_b64 s[4:5], 0
	s_mov_b64 s[6:7], 0
	s_waitcnt vmcnt(0)
	v_ffbh_u32_e32 v1, v5
	v_min_u32_e32 v1, 32, v1
	v_lshlrev_b64 v[4:5], v1, v[4:5]
	v_min_u32_e32 v4, 1, v4
	v_or_b32_e32 v4, v5, v4
	v_cvt_f32_u32_e32 v4, v4
	v_sub_u32_e32 v1, 32, v1
	v_ldexp_f32 v1, v4, v1
	v_cvt_f16_f32_e32 v1, v1
	s_branch .LBB217_438
.LBB217_436:
	s_mov_b64 s[4:5], -1
                                        ; implicit-def: $vgpr1
.LBB217_437:
	s_mov_b64 s[6:7], 0
.LBB217_438:
	s_and_b64 vcc, exec, s[6:7]
	s_cbranch_vccz .LBB217_456
; %bb.439:
	s_cmp_lt_i32 s10, 27
	s_cbranch_scc1 .LBB217_442
; %bb.440:
	s_cmp_gt_i32 s10, 27
	s_cbranch_scc0 .LBB217_443
; %bb.441:
	global_load_dword v1, v[2:3], off
	s_mov_b64 s[2:3], 0
	s_waitcnt vmcnt(0)
	v_cvt_f32_u32_e32 v1, v1
	v_cvt_f16_f32_e32 v1, v1
	s_branch .LBB217_444
.LBB217_442:
	s_mov_b64 s[2:3], -1
                                        ; implicit-def: $vgpr1
	s_branch .LBB217_447
.LBB217_443:
	s_mov_b64 s[2:3], -1
                                        ; implicit-def: $vgpr1
.LBB217_444:
	s_andn2_b64 vcc, exec, s[2:3]
	s_cbranch_vccnz .LBB217_446
; %bb.445:
	global_load_ushort v1, v[2:3], off
	s_waitcnt vmcnt(0)
	v_cvt_f16_u16_e32 v1, v1
.LBB217_446:
	s_mov_b64 s[2:3], 0
.LBB217_447:
	s_andn2_b64 vcc, exec, s[2:3]
	s_cbranch_vccnz .LBB217_455
; %bb.448:
	global_load_ubyte v4, v[2:3], off
	s_movk_i32 s2, 0x7f
	s_waitcnt vmcnt(0)
	v_cmp_lt_i16_e32 vcc, s2, v4
	s_mov_b64 s[2:3], 0
	s_and_saveexec_b64 s[6:7], vcc
	s_xor_b64 s[6:7], exec, s[6:7]
	s_cbranch_execz .LBB217_469
; %bb.449:
	s_movk_i32 s2, 0x80
	v_cmp_eq_u16_e32 vcc, s2, v4
	s_mov_b64 s[2:3], -1
	s_and_saveexec_b64 s[8:9], vcc
; %bb.450:
	s_xor_b64 s[2:3], exec, -1
; %bb.451:
	s_or_b64 exec, exec, s[8:9]
	s_and_b64 s[2:3], s[2:3], exec
	s_or_saveexec_b64 s[6:7], s[6:7]
	v_mov_b32_e32 v1, 0x7e00
	s_xor_b64 exec, exec, s[6:7]
	s_cbranch_execnz .LBB217_470
.LBB217_452:
	s_or_b64 exec, exec, s[6:7]
	s_and_saveexec_b64 s[6:7], s[2:3]
	s_cbranch_execz .LBB217_454
.LBB217_453:
	v_lshlrev_b32_e32 v1, 24, v4
	v_and_b32_e32 v4, 0xffff, v4
	v_and_b32_e32 v5, 7, v4
	v_ffbh_u32_e32 v7, v5
	v_min_u32_e32 v7, 32, v7
	v_subrev_u32_e32 v9, 28, v7
	v_bfe_u32 v6, v4, 3, 4
	v_lshlrev_b32_e32 v4, v9, v4
	v_sub_u32_e32 v7, 29, v7
	v_and_b32_e32 v4, 7, v4
	v_cmp_eq_u32_e32 vcc, 0, v6
	v_and_b32_e32 v1, 0x80000000, v1
	s_nop 0
	v_cndmask_b32_e32 v6, v6, v7, vcc
	v_cndmask_b32_e32 v4, v5, v4, vcc
	v_mov_b32_e32 v5, 0x3b800000
	v_lshlrev_b32_e32 v4, 20, v4
	v_lshl_add_u32 v5, v6, 23, v5
	v_or3_b32 v1, v1, v5, v4
	v_cvt_f16_f32_e32 v1, v1
.LBB217_454:
	s_or_b64 exec, exec, s[6:7]
.LBB217_455:
	s_mov_b64 s[2:3], -1
.LBB217_456:
	s_mov_b64 s[6:7], 0
.LBB217_457:
	s_and_b64 vcc, exec, s[6:7]
	s_cbranch_vccz .LBB217_492
; %bb.458:
	s_cmp_gt_i32 s10, 22
	s_cbranch_scc0 .LBB217_468
; %bb.459:
	s_cmp_lt_i32 s10, 24
	s_cbranch_scc1 .LBB217_471
; %bb.460:
	s_cmp_gt_i32 s10, 24
	s_cbranch_scc0 .LBB217_472
; %bb.461:
	global_load_ubyte v4, v[2:3], off
	s_movk_i32 s2, 0x7f
	s_waitcnt vmcnt(0)
	v_cmp_lt_i16_e32 vcc, s2, v4
	s_mov_b64 s[2:3], 0
	s_and_saveexec_b64 s[6:7], vcc
	s_xor_b64 s[6:7], exec, s[6:7]
	s_cbranch_execz .LBB217_484
; %bb.462:
	s_movk_i32 s2, 0x80
	v_cmp_eq_u16_e32 vcc, s2, v4
	s_mov_b64 s[2:3], -1
	s_and_saveexec_b64 s[8:9], vcc
; %bb.463:
	s_xor_b64 s[2:3], exec, -1
; %bb.464:
	s_or_b64 exec, exec, s[8:9]
	s_and_b64 s[2:3], s[2:3], exec
	s_or_saveexec_b64 s[6:7], s[6:7]
	v_mov_b32_e32 v1, 0x7e00
	s_xor_b64 exec, exec, s[6:7]
	s_cbranch_execnz .LBB217_485
.LBB217_465:
	s_or_b64 exec, exec, s[6:7]
	s_and_saveexec_b64 s[6:7], s[2:3]
	s_cbranch_execz .LBB217_467
.LBB217_466:
	v_lshlrev_b32_e32 v1, 24, v4
	v_and_b32_e32 v4, 0xffff, v4
	v_and_b32_e32 v5, 3, v4
	v_ffbh_u32_e32 v7, v5
	v_min_u32_e32 v7, 32, v7
	v_subrev_u32_e32 v9, 29, v7
	v_bfe_u32 v6, v4, 2, 5
	v_lshlrev_b32_e32 v4, v9, v4
	v_sub_u32_e32 v7, 30, v7
	v_and_b32_e32 v4, 3, v4
	v_cmp_eq_u32_e32 vcc, 0, v6
	v_and_b32_e32 v1, 0x80000000, v1
	s_nop 0
	v_cndmask_b32_e32 v6, v6, v7, vcc
	v_cndmask_b32_e32 v4, v5, v4, vcc
	v_mov_b32_e32 v5, 0x37800000
	v_lshlrev_b32_e32 v4, 21, v4
	v_lshl_add_u32 v5, v6, 23, v5
	v_or3_b32 v1, v1, v5, v4
	v_cvt_f16_f32_e32 v1, v1
.LBB217_467:
	s_or_b64 exec, exec, s[6:7]
	s_mov_b64 s[2:3], 0
	s_branch .LBB217_473
.LBB217_468:
	s_mov_b64 s[6:7], -1
                                        ; implicit-def: $vgpr1
	s_branch .LBB217_479
.LBB217_469:
	s_or_saveexec_b64 s[6:7], s[6:7]
	v_mov_b32_e32 v1, 0x7e00
	s_xor_b64 exec, exec, s[6:7]
	s_cbranch_execz .LBB217_452
.LBB217_470:
	v_cmp_ne_u16_e32 vcc, 0, v4
	s_andn2_b64 s[2:3], s[2:3], exec
	s_and_b64 s[8:9], vcc, exec
	s_or_b64 s[2:3], s[2:3], s[8:9]
	v_mov_b32_e32 v1, v4
	s_or_b64 exec, exec, s[6:7]
	s_and_saveexec_b64 s[6:7], s[2:3]
	s_cbranch_execnz .LBB217_453
	s_branch .LBB217_454
.LBB217_471:
	s_mov_b64 s[2:3], -1
                                        ; implicit-def: $vgpr1
	s_branch .LBB217_476
.LBB217_472:
	s_mov_b64 s[2:3], -1
                                        ; implicit-def: $vgpr1
.LBB217_473:
	s_and_b64 vcc, exec, s[2:3]
	s_cbranch_vccz .LBB217_475
; %bb.474:
	global_load_ubyte v1, v[2:3], off
	s_mov_b32 s2, 0x7f800000
	s_waitcnt vmcnt(0)
	v_lshlrev_b32_e32 v1, 24, v1
	v_and_b32_e32 v4, 0x7f000000, v1
	v_ffbh_u32_e32 v5, v4
	v_min_u32_e32 v5, 32, v5
	v_sub_u32_e64 v5, v5, 4 clamp
	v_lshlrev_b32_e32 v7, v5, v4
	v_lshlrev_b32_e32 v5, 23, v5
	v_lshrrev_b32_e32 v7, 4, v7
	v_add_u32_e32 v6, 0x1000000, v4
	v_sub_u32_e32 v5, v7, v5
	v_ashrrev_i32_e32 v6, 8, v6
	v_add_u32_e32 v5, 0x3c000000, v5
	v_and_or_b32 v5, v6, s2, v5
	v_cmp_ne_u32_e32 vcc, 0, v4
	s_brev_b32 s2, 1
	s_nop 0
	v_cndmask_b32_e32 v4, 0, v5, vcc
	v_and_or_b32 v1, v1, s2, v4
	v_cvt_f16_f32_e32 v1, v1
.LBB217_475:
	s_mov_b64 s[2:3], 0
.LBB217_476:
	s_andn2_b64 vcc, exec, s[2:3]
	s_cbranch_vccnz .LBB217_478
; %bb.477:
	global_load_ubyte v1, v[2:3], off
	s_movk_i32 s2, 0x7f00
	s_brev_b32 s3, 16
	s_waitcnt vmcnt(0)
	v_lshlrev_b16_e32 v4, 8, v1
	v_lshlrev_b32_e32 v1, 25, v1
	v_lshrrev_b32_e32 v5, 4, v1
	v_and_or_b32 v6, v4, s2, 0.5
	v_or_b32_e32 v5, 0x70000000, v5
	v_add_f32_e32 v6, -0.5, v6
	v_mul_f32_e32 v5, 0x7800000, v5
	v_cmp_gt_u32_e32 vcc, s3, v1
	v_bfe_i32 v4, v4, 0, 16
	s_brev_b32 s2, 1
	v_cndmask_b32_e32 v1, v5, v6, vcc
	v_and_or_b32 v1, v4, s2, v1
	v_cvt_f16_f32_e32 v1, v1
.LBB217_478:
	s_mov_b64 s[6:7], 0
	s_mov_b64 s[2:3], -1
.LBB217_479:
	s_andn2_b64 vcc, exec, s[6:7]
	s_cbranch_vccnz .LBB217_492
; %bb.480:
	s_cmp_gt_i32 s10, 14
	s_cbranch_scc0 .LBB217_483
; %bb.481:
	s_cmp_eq_u32 s10, 15
	s_cbranch_scc0 .LBB217_486
; %bb.482:
	global_load_ushort v1, v[2:3], off
	s_mov_b64 s[2:3], -1
	s_mov_b64 s[4:5], 0
	s_waitcnt vmcnt(0)
	v_lshlrev_b32_e32 v1, 16, v1
	v_cvt_f16_f32_e32 v1, v1
	s_branch .LBB217_487
.LBB217_483:
	s_mov_b64 s[6:7], -1
                                        ; implicit-def: $vgpr1
	s_branch .LBB217_488
.LBB217_484:
	s_or_saveexec_b64 s[6:7], s[6:7]
	v_mov_b32_e32 v1, 0x7e00
	s_xor_b64 exec, exec, s[6:7]
	s_cbranch_execz .LBB217_465
.LBB217_485:
	v_cmp_ne_u16_e32 vcc, 0, v4
	s_andn2_b64 s[2:3], s[2:3], exec
	s_and_b64 s[8:9], vcc, exec
	s_or_b64 s[2:3], s[2:3], s[8:9]
	v_mov_b32_e32 v1, v4
	s_or_b64 exec, exec, s[6:7]
	s_and_saveexec_b64 s[6:7], s[2:3]
	s_cbranch_execnz .LBB217_466
	s_branch .LBB217_467
.LBB217_486:
	s_mov_b64 s[4:5], -1
                                        ; implicit-def: $vgpr1
.LBB217_487:
	s_mov_b64 s[6:7], 0
.LBB217_488:
	s_and_b64 vcc, exec, s[6:7]
	s_cbranch_vccz .LBB217_492
; %bb.489:
	s_cmp_eq_u32 s10, 11
	s_cbranch_scc0 .LBB217_491
; %bb.490:
	global_load_ubyte v1, v[2:3], off
	v_mov_b32_e32 v4, 0x3c00
	s_mov_b64 s[2:3], -1
	s_mov_b64 s[4:5], 0
	s_waitcnt vmcnt(0)
	v_cmp_ne_u16_e32 vcc, 0, v1
	s_nop 1
	v_cndmask_b32_e32 v1, 0, v4, vcc
	s_branch .LBB217_492
.LBB217_491:
	s_mov_b64 s[4:5], -1
                                        ; implicit-def: $vgpr1
.LBB217_492:
	s_branch .LBB217_295
.LBB217_493:
	s_cmp_lt_i32 s10, 5
	s_cbranch_scc1 .LBB217_498
; %bb.494:
	s_cmp_lt_i32 s10, 8
	s_cbranch_scc1 .LBB217_499
; %bb.495:
	;; [unrolled: 3-line block ×3, first 2 shown]
	s_cmp_gt_i32 s10, 9
	s_cbranch_scc0 .LBB217_501
; %bb.497:
	global_load_dwordx2 v[4:5], v[2:3], off
	s_movk_i32 s2, 0x1ff
	s_movk_i32 s3, 0xffe
	s_waitcnt vmcnt(1)
	v_mov_b32_e32 v1, 0x7c00
	v_mov_b32_e32 v6, 0x7e00
	s_movk_i32 s6, 0x40f
	s_mov_b32 s7, 0x8000
	s_waitcnt vmcnt(0)
	v_and_or_b32 v4, v5, s2, v4
	v_cmp_ne_u32_e32 vcc, 0, v4
	v_lshrrev_b32_e32 v7, 8, v5
	v_bfe_u32 v9, v5, 20, 11
	v_cndmask_b32_e64 v4, 0, 1, vcc
	v_sub_u32_e32 v10, 0x3f1, v9
	v_and_or_b32 v4, v7, s3, v4
	v_add_u32_e32 v9, 0xfffffc10, v9
	v_med3_i32 v7, v10, 0, 13
	v_or_b32_e32 v10, 0x1000, v4
	v_cmp_ne_u32_e32 vcc, 0, v4
	v_lshl_or_b32 v11, v9, 12, v4
	v_lshrrev_b32_e32 v5, 16, v5
	v_cndmask_b32_e32 v4, v1, v6, vcc
	v_lshrrev_b32_e32 v6, v7, v10
	v_lshlrev_b32_e32 v7, v7, v6
	v_cmp_ne_u32_e32 vcc, v7, v10
	s_mov_b64 s[2:3], 0
	s_nop 0
	v_cndmask_b32_e64 v7, 0, 1, vcc
	v_or_b32_e32 v6, v6, v7
	v_cmp_gt_i32_e32 vcc, 1, v9
	s_nop 1
	v_cndmask_b32_e32 v6, v11, v6, vcc
	v_and_b32_e32 v7, 7, v6
	v_cmp_lt_i32_e32 vcc, 5, v7
	v_lshrrev_b32_e32 v6, 2, v6
	s_nop 0
	v_cndmask_b32_e64 v10, 0, 1, vcc
	v_cmp_eq_u32_e32 vcc, 3, v7
	s_nop 1
	v_cndmask_b32_e64 v7, 0, 1, vcc
	v_or_b32_e32 v7, v7, v10
	v_add_u32_e32 v6, v6, v7
	v_cmp_gt_i32_e32 vcc, 31, v9
	s_nop 1
	v_cndmask_b32_e32 v1, v1, v6, vcc
	v_cmp_eq_u32_e32 vcc, s6, v9
	s_nop 1
	v_cndmask_b32_e32 v1, v1, v4, vcc
	v_and_or_b32 v1, v5, s7, v1
	s_branch .LBB217_502
.LBB217_498:
	s_mov_b64 s[2:3], -1
                                        ; implicit-def: $vgpr1
	s_branch .LBB217_520
.LBB217_499:
	s_mov_b64 s[2:3], -1
                                        ; implicit-def: $vgpr1
	s_branch .LBB217_508
.LBB217_500:
	s_mov_b64 s[2:3], -1
                                        ; implicit-def: $vgpr1
	s_branch .LBB217_505
.LBB217_501:
	s_mov_b64 s[2:3], -1
                                        ; implicit-def: $vgpr1
.LBB217_502:
	s_andn2_b64 vcc, exec, s[2:3]
	s_cbranch_vccnz .LBB217_504
; %bb.503:
	global_load_dword v1, v[2:3], off
	s_waitcnt vmcnt(0)
	v_cvt_f16_f32_e32 v1, v1
.LBB217_504:
	s_mov_b64 s[2:3], 0
.LBB217_505:
	s_andn2_b64 vcc, exec, s[2:3]
	s_cbranch_vccnz .LBB217_507
; %bb.506:
	global_load_dword v1, v[2:3], off
.LBB217_507:
	s_mov_b64 s[2:3], 0
.LBB217_508:
	s_andn2_b64 vcc, exec, s[2:3]
	s_cbranch_vccnz .LBB217_519
; %bb.509:
	s_cmp_lt_i32 s10, 6
	s_cbranch_scc1 .LBB217_512
; %bb.510:
	s_cmp_gt_i32 s10, 6
	s_cbranch_scc0 .LBB217_513
; %bb.511:
	global_load_dwordx2 v[4:5], v[2:3], off
	s_movk_i32 s2, 0x1ff
	s_movk_i32 s3, 0xffe
	s_waitcnt vmcnt(1)
	v_mov_b32_e32 v1, 0x7c00
	v_mov_b32_e32 v6, 0x7e00
	s_movk_i32 s6, 0x40f
	s_mov_b32 s7, 0x8000
	s_waitcnt vmcnt(0)
	v_and_or_b32 v4, v5, s2, v4
	v_cmp_ne_u32_e32 vcc, 0, v4
	v_lshrrev_b32_e32 v7, 8, v5
	v_bfe_u32 v9, v5, 20, 11
	v_cndmask_b32_e64 v4, 0, 1, vcc
	v_sub_u32_e32 v10, 0x3f1, v9
	v_and_or_b32 v4, v7, s3, v4
	v_add_u32_e32 v9, 0xfffffc10, v9
	v_med3_i32 v7, v10, 0, 13
	v_or_b32_e32 v10, 0x1000, v4
	v_cmp_ne_u32_e32 vcc, 0, v4
	v_lshl_or_b32 v11, v9, 12, v4
	v_lshrrev_b32_e32 v5, 16, v5
	v_cndmask_b32_e32 v4, v1, v6, vcc
	v_lshrrev_b32_e32 v6, v7, v10
	v_lshlrev_b32_e32 v7, v7, v6
	v_cmp_ne_u32_e32 vcc, v7, v10
	s_mov_b64 s[2:3], 0
	s_nop 0
	v_cndmask_b32_e64 v7, 0, 1, vcc
	v_or_b32_e32 v6, v6, v7
	v_cmp_gt_i32_e32 vcc, 1, v9
	s_nop 1
	v_cndmask_b32_e32 v6, v11, v6, vcc
	v_and_b32_e32 v7, 7, v6
	v_cmp_lt_i32_e32 vcc, 5, v7
	v_lshrrev_b32_e32 v6, 2, v6
	s_nop 0
	v_cndmask_b32_e64 v10, 0, 1, vcc
	v_cmp_eq_u32_e32 vcc, 3, v7
	s_nop 1
	v_cndmask_b32_e64 v7, 0, 1, vcc
	v_or_b32_e32 v7, v7, v10
	v_add_u32_e32 v6, v6, v7
	v_cmp_gt_i32_e32 vcc, 31, v9
	s_nop 1
	v_cndmask_b32_e32 v1, v1, v6, vcc
	v_cmp_eq_u32_e32 vcc, s6, v9
	s_nop 1
	v_cndmask_b32_e32 v1, v1, v4, vcc
	v_and_or_b32 v1, v5, s7, v1
	s_branch .LBB217_514
.LBB217_512:
	s_mov_b64 s[2:3], -1
                                        ; implicit-def: $vgpr1
	s_branch .LBB217_517
.LBB217_513:
	s_mov_b64 s[2:3], -1
                                        ; implicit-def: $vgpr1
.LBB217_514:
	s_andn2_b64 vcc, exec, s[2:3]
	s_cbranch_vccnz .LBB217_516
; %bb.515:
	global_load_dword v1, v[2:3], off
	s_waitcnt vmcnt(0)
	v_cvt_f16_f32_e32 v1, v1
.LBB217_516:
	s_mov_b64 s[2:3], 0
.LBB217_517:
	s_andn2_b64 vcc, exec, s[2:3]
	s_cbranch_vccnz .LBB217_519
; %bb.518:
	global_load_ushort v1, v[2:3], off
.LBB217_519:
	s_mov_b64 s[2:3], 0
.LBB217_520:
	s_andn2_b64 vcc, exec, s[2:3]
	s_cbranch_vccnz .LBB217_540
; %bb.521:
	s_cmp_lt_i32 s10, 2
	s_cbranch_scc1 .LBB217_525
; %bb.522:
	s_cmp_lt_i32 s10, 3
	s_cbranch_scc1 .LBB217_526
; %bb.523:
	s_cmp_gt_i32 s10, 3
	s_cbranch_scc0 .LBB217_527
; %bb.524:
	global_load_dwordx2 v[4:5], v[2:3], off
	s_mov_b64 s[2:3], 0
	s_waitcnt vmcnt(0)
	v_xor_b32_e32 v6, v4, v5
	v_ffbh_i32_e32 v1, v5
	v_ashrrev_i32_e32 v6, 31, v6
	v_add_u32_e32 v1, -1, v1
	v_add_u32_e32 v6, 32, v6
	v_min_u32_e32 v1, v1, v6
	v_lshlrev_b64 v[4:5], v1, v[4:5]
	v_min_u32_e32 v4, 1, v4
	v_or_b32_e32 v4, v5, v4
	v_cvt_f32_i32_e32 v4, v4
	v_sub_u32_e32 v1, 32, v1
	v_ldexp_f32 v1, v4, v1
	v_cvt_f16_f32_e32 v1, v1
	s_branch .LBB217_528
.LBB217_525:
	s_mov_b64 s[2:3], -1
                                        ; implicit-def: $vgpr1
	s_branch .LBB217_534
.LBB217_526:
	s_mov_b64 s[2:3], -1
                                        ; implicit-def: $vgpr1
	s_branch .LBB217_531
.LBB217_527:
	s_mov_b64 s[2:3], -1
                                        ; implicit-def: $vgpr1
.LBB217_528:
	s_andn2_b64 vcc, exec, s[2:3]
	s_cbranch_vccnz .LBB217_530
; %bb.529:
	global_load_dword v1, v[2:3], off
	s_waitcnt vmcnt(0)
	v_cvt_f32_i32_e32 v1, v1
	v_cvt_f16_f32_e32 v1, v1
.LBB217_530:
	s_mov_b64 s[2:3], 0
.LBB217_531:
	s_andn2_b64 vcc, exec, s[2:3]
	s_cbranch_vccnz .LBB217_533
; %bb.532:
	global_load_ushort v1, v[2:3], off
	s_waitcnt vmcnt(0)
	v_cvt_f16_i16_e32 v1, v1
.LBB217_533:
	s_mov_b64 s[2:3], 0
.LBB217_534:
	s_andn2_b64 vcc, exec, s[2:3]
	s_cbranch_vccnz .LBB217_540
; %bb.535:
	s_cmp_gt_i32 s10, 0
	s_cbranch_scc0 .LBB217_537
; %bb.536:
	global_load_sbyte v1, v[2:3], off
	s_mov_b64 s[2:3], 0
	s_waitcnt vmcnt(0)
	v_cvt_f16_i16_e32 v1, v1
	s_branch .LBB217_538
.LBB217_537:
	s_mov_b64 s[2:3], -1
                                        ; implicit-def: $vgpr1
.LBB217_538:
	s_andn2_b64 vcc, exec, s[2:3]
	s_cbranch_vccnz .LBB217_540
; %bb.539:
	global_load_ubyte v1, v[2:3], off
	s_waitcnt vmcnt(0)
	v_cvt_f16_u16_e32 v1, v1
.LBB217_540:
	s_branch .LBB217_296
.LBB217_541:
	s_mov_b64 s[6:7], 0
	s_mov_b64 s[2:3], s[54:55]
.LBB217_542:
                                        ; implicit-def: $vgpr8
.LBB217_543:
	s_andn2_b64 s[8:9], s[54:55], exec
	s_and_b64 s[2:3], s[2:3], exec
	s_or_b64 s[62:63], s[8:9], s[2:3]
	s_andn2_b64 s[2:3], s[56:57], exec
	s_and_b64 s[4:5], s[4:5], exec
	s_or_b64 s[60:61], s[2:3], s[4:5]
	s_orn2_b64 s[2:3], s[6:7], exec
.LBB217_544:
	s_or_b64 exec, exec, s[64:65]
	s_mov_b64 s[4:5], 0
	s_mov_b64 s[6:7], 0
	;; [unrolled: 1-line block ×3, first 2 shown]
                                        ; implicit-def: $vgpr2_vgpr3
                                        ; implicit-def: $vgpr0
                                        ; implicit-def: $vgpr1
	s_and_saveexec_b64 s[64:65], s[2:3]
	s_cbranch_execz .LBB217_921
; %bb.545:
	v_cmp_gt_i32_e32 vcc, s70, v8
	s_mov_b64 s[6:7], -1
	s_mov_b64 s[2:3], s[60:61]
	s_mov_b64 s[68:69], s[62:63]
	s_and_saveexec_b64 s[66:67], vcc
	s_cbranch_execz .LBB217_820
; %bb.546:
	s_andn2_b64 vcc, exec, s[42:43]
	s_cbranch_vccnz .LBB217_552
; %bb.547:
	s_andn2_b64 vcc, exec, s[52:53]
	s_cbranch_vccnz .LBB217_553
; %bb.548:
	s_add_i32 s76, s75, 1
	s_cmp_eq_u32 s72, 2
	s_cbranch_scc1 .LBB217_554
; %bb.549:
	s_and_b32 s71, s76, 28
	s_mov_b32 s77, 0
	v_mov_b32_e32 v0, 0
	v_mov_b32_e32 v2, 0
	s_mov_b64 s[2:3], s[34:35]
	s_mov_b64 s[68:69], s[50:51]
	v_mov_b32_e32 v4, v8
.LBB217_550:                            ; =>This Inner Loop Header: Depth=1
	s_load_dwordx8 s[12:19], s[2:3], 0x4
	s_load_dwordx4 s[36:39], s[2:3], 0x24
	s_load_dwordx8 s[4:11], s[68:69], 0x0
	s_add_u32 s2, s2, 48
	s_addc_u32 s3, s3, 0
	s_waitcnt vmcnt(0) lgkmcnt(0)
	v_mul_hi_u32 v1, s13, v4
	v_add_u32_e32 v1, v4, v1
	v_lshrrev_b32_e32 v1, s14, v1
	v_mul_lo_u32 v3, v1, s12
	v_mul_hi_u32 v5, s16, v1
	v_sub_u32_e32 v3, v4, v3
	v_add_u32_e32 v4, v1, v5
	v_lshrrev_b32_e32 v4, s17, v4
	v_mul_lo_u32 v6, v4, s15
	v_mul_hi_u32 v7, s19, v4
	v_sub_u32_e32 v1, v1, v6
	v_add_u32_e32 v6, v4, v7
	v_mul_lo_u32 v5, v3, s5
	v_mul_lo_u32 v3, v3, s4
	;; [unrolled: 1-line block ×4, first 2 shown]
	v_lshrrev_b32_e32 v6, s36, v6
	v_add3_u32 v0, v3, v0, v1
	v_mul_hi_u32 v3, s38, v6
	v_add3_u32 v1, v5, v2, v7
	v_mul_lo_u32 v2, v6, s18
	v_add_u32_e32 v3, v6, v3
	v_sub_u32_e32 v2, v4, v2
	v_lshrrev_b32_e32 v4, s39, v3
	s_add_i32 s77, s77, 4
	v_mul_lo_u32 v3, v4, s37
	s_add_u32 s68, s68, 32
	v_sub_u32_e32 v3, v6, v3
	s_addc_u32 s69, s69, 0
	v_mul_lo_u32 v5, v2, s8
	v_mul_lo_u32 v2, v2, s9
	;; [unrolled: 1-line block ×4, first 2 shown]
	s_cmp_eq_u32 s71, s77
	v_add3_u32 v2, v2, v1, v3
	v_add3_u32 v0, v5, v0, v6
	s_cbranch_scc0 .LBB217_550
; %bb.551:
	v_mov_b32_e32 v1, v2
	s_branch .LBB217_555
.LBB217_552:
	s_mov_b64 s[2:3], -1
                                        ; implicit-def: $vgpr2
                                        ; implicit-def: $vgpr0
	s_branch .LBB217_559
.LBB217_553:
	v_mov_b32_e32 v2, 0
	v_mov_b32_e32 v0, 0
	s_branch .LBB217_558
.LBB217_554:
	v_mov_b32_e32 v0, 0
	s_mov_b32 s71, 0
	s_waitcnt vmcnt(0)
	v_mov_b32_e32 v1, v0
                                        ; implicit-def: $vgpr2
	v_mov_b32_e32 v4, v8
.LBB217_555:
	s_and_b32 s6, s76, 3
	s_cmp_eq_u32 s6, 0
	s_cbranch_scc1 .LBB217_558
; %bb.556:
	s_lshl_b32 s2, s71, 3
	s_add_u32 s2, s34, s2
	s_addc_u32 s3, s35, 0
	s_add_u32 s2, s2, 0xc4
	s_addc_u32 s3, s3, 0
	s_mul_i32 s4, s71, 12
	s_add_u32 s4, s34, s4
	s_addc_u32 s5, s35, 0
.LBB217_557:                            ; =>This Inner Loop Header: Depth=1
	s_load_dwordx2 s[8:9], s[4:5], 0x4
	s_load_dword s7, s[4:5], 0xc
	s_load_dwordx2 s[10:11], s[2:3], 0x0
	v_mov_b32_e32 v2, v1
	s_add_u32 s4, s4, 12
	s_waitcnt lgkmcnt(0)
	v_mul_hi_u32 v1, s9, v4
	v_add_u32_e32 v1, v4, v1
	v_lshrrev_b32_e32 v1, s7, v1
	s_addc_u32 s5, s5, 0
	v_mul_lo_u32 v3, v1, s8
	s_add_u32 s2, s2, 8
	v_sub_u32_e32 v5, v4, v3
	s_addc_u32 s3, s3, 0
	s_add_i32 s6, s6, -1
	v_mov_b32_e32 v4, v1
	v_mad_u64_u32 v[2:3], s[8:9], v5, s11, v[2:3]
	v_mad_u64_u32 v[0:1], s[8:9], v5, s10, v[0:1]
	s_cmp_lg_u32 s6, 0
	v_mov_b32_e32 v1, v2
	s_cbranch_scc1 .LBB217_557
.LBB217_558:
	s_mov_b64 s[2:3], 0
.LBB217_559:
	s_andn2_b64 vcc, exec, s[2:3]
	s_cbranch_vccnz .LBB217_562
; %bb.560:
	s_waitcnt lgkmcnt(0)
	v_mul_hi_u32 v0, s29, v8
	v_add_u32_e32 v0, v8, v0
	s_waitcnt vmcnt(0)
	v_lshrrev_b32_e32 v1, s30, v0
	v_mul_lo_u32 v0, v1, s28
	v_sub_u32_e32 v0, v8, v0
	v_mul_lo_u32 v2, v0, s25
	s_andn2_b64 vcc, exec, s[48:49]
	v_mul_lo_u32 v0, v0, s24
	s_cbranch_vccnz .LBB217_562
; %bb.561:
	v_mul_hi_u32 v3, s46, v1
	v_add_u32_e32 v3, v1, v3
	v_lshrrev_b32_e32 v3, s47, v3
	v_mul_lo_u32 v3, v3, s31
	v_sub_u32_e32 v3, v1, v3
	v_mad_u64_u32 v[0:1], s[2:3], v3, s26, v[0:1]
	v_mad_u64_u32 v[2:3], s[2:3], v3, s27, v[2:3]
.LBB217_562:
	v_mov_b32_e32 v3, 0
	s_and_b32 s10, 0xffff, s74
	s_cmp_lt_i32 s10, 11
	s_waitcnt lgkmcnt(0)
	v_lshl_add_u64 v[2:3], s[22:23], 0, v[2:3]
	s_cbranch_scc1 .LBB217_569
; %bb.563:
	s_cmp_gt_i32 s10, 25
	s_cbranch_scc0 .LBB217_570
; %bb.564:
	s_cmp_gt_i32 s10, 28
	s_cbranch_scc0 .LBB217_571
	;; [unrolled: 3-line block ×4, first 2 shown]
; %bb.567:
	s_cmp_eq_u32 s10, 46
	s_mov_b64 s[6:7], 0
	s_cbranch_scc0 .LBB217_578
; %bb.568:
	global_load_dword v1, v[2:3], off
	s_mov_b64 s[2:3], -1
	s_mov_b64 s[4:5], 0
	s_waitcnt vmcnt(0)
	v_lshlrev_b32_e32 v1, 16, v1
	v_cvt_f16_f32_e32 v1, v1
	s_branch .LBB217_579
.LBB217_569:
	s_mov_b64 s[6:7], -1
	s_mov_b64 s[2:3], 0
                                        ; implicit-def: $vgpr1
	s_mov_b64 s[4:5], s[60:61]
	s_branch .LBB217_644
.LBB217_570:
	s_mov_b64 s[6:7], -1
	s_mov_b64 s[2:3], 0
	s_mov_b64 s[4:5], s[60:61]
                                        ; implicit-def: $vgpr1
	s_branch .LBB217_608
.LBB217_571:
	s_mov_b64 s[6:7], -1
	s_mov_b64 s[2:3], 0
	s_mov_b64 s[4:5], s[60:61]
                                        ; implicit-def: $vgpr1
	s_branch .LBB217_589
.LBB217_572:
	s_mov_b64 s[6:7], -1
	s_mov_b64 s[2:3], 0
	s_mov_b64 s[4:5], s[60:61]
                                        ; implicit-def: $vgpr1
	s_branch .LBB217_584
.LBB217_573:
	s_andn2_saveexec_b64 s[10:11], s[10:11]
	s_cbranch_execz .LBB217_341
.LBB217_574:
	s_mov_b32 s14, 0x46000000
	v_add_f32_e64 v4, |v3|, s14
	v_and_b32_e32 v4, 0xff, v4
	v_cmp_ne_u32_e32 vcc, 0, v4
	s_andn2_b64 s[8:9], s[8:9], exec
	s_and_b64 s[14:15], vcc, exec
	s_or_b64 s[8:9], s[8:9], s[14:15]
	s_or_b64 exec, exec, s[10:11]
	v_mov_b32_e32 v5, 0
	s_and_saveexec_b64 s[10:11], s[8:9]
	s_cbranch_execnz .LBB217_342
	s_branch .LBB217_343
.LBB217_575:
	s_mov_b64 s[6:7], -1
	s_mov_b64 s[2:3], 0
	s_mov_b64 s[4:5], s[60:61]
                                        ; implicit-def: $vgpr1
	s_branch .LBB217_579
.LBB217_576:
	s_andn2_saveexec_b64 s[10:11], s[10:11]
	s_cbranch_execz .LBB217_354
.LBB217_577:
	s_mov_b32 s14, 0x42800000
	v_add_f32_e64 v4, |v3|, s14
	v_and_b32_e32 v4, 0xff, v4
	v_cmp_ne_u32_e32 vcc, 0, v4
	s_andn2_b64 s[8:9], s[8:9], exec
	s_and_b64 s[14:15], vcc, exec
	s_or_b64 s[8:9], s[8:9], s[14:15]
	s_or_b64 exec, exec, s[10:11]
	v_mov_b32_e32 v5, 0
	s_and_saveexec_b64 s[10:11], s[8:9]
	s_cbranch_execnz .LBB217_355
	s_branch .LBB217_356
.LBB217_578:
	s_mov_b64 s[4:5], -1
                                        ; implicit-def: $vgpr1
	s_mov_b64 s[2:3], 0
.LBB217_579:
	s_and_b64 vcc, exec, s[6:7]
	s_cbranch_vccz .LBB217_583
; %bb.580:
	s_cmp_eq_u32 s10, 44
	s_cbranch_scc0 .LBB217_582
; %bb.581:
	global_load_ubyte v1, v[2:3], off
	s_movk_i32 s4, 0xff
	v_mov_b32_e32 v5, 0x7e00
	s_mov_b64 s[2:3], -1
	s_waitcnt vmcnt(0)
	v_lshlrev_b32_e32 v4, 23, v1
	v_cvt_f16_f32_e32 v4, v4
	v_cmp_ne_u32_e32 vcc, s4, v1
	s_mov_b64 s[4:5], 0
	s_nop 0
	v_cndmask_b32_e32 v4, v5, v4, vcc
	v_cmp_ne_u32_e32 vcc, 0, v1
	s_nop 1
	v_cndmask_b32_e32 v1, 0, v4, vcc
	s_branch .LBB217_583
.LBB217_582:
	s_mov_b64 s[4:5], -1
                                        ; implicit-def: $vgpr1
.LBB217_583:
	s_mov_b64 s[6:7], 0
.LBB217_584:
	s_and_b64 vcc, exec, s[6:7]
	s_cbranch_vccz .LBB217_588
; %bb.585:
	s_cmp_eq_u32 s10, 29
	s_cbranch_scc0 .LBB217_587
; %bb.586:
	global_load_dwordx2 v[4:5], v[2:3], off
	s_mov_b64 s[2:3], -1
	s_mov_b64 s[4:5], 0
	s_mov_b64 s[6:7], 0
	s_waitcnt vmcnt(0)
	v_ffbh_u32_e32 v1, v5
	v_min_u32_e32 v1, 32, v1
	v_lshlrev_b64 v[4:5], v1, v[4:5]
	v_min_u32_e32 v4, 1, v4
	v_or_b32_e32 v4, v5, v4
	v_cvt_f32_u32_e32 v4, v4
	v_sub_u32_e32 v1, 32, v1
	v_ldexp_f32 v1, v4, v1
	v_cvt_f16_f32_e32 v1, v1
	s_branch .LBB217_589
.LBB217_587:
	s_mov_b64 s[4:5], -1
                                        ; implicit-def: $vgpr1
.LBB217_588:
	s_mov_b64 s[6:7], 0
.LBB217_589:
	s_and_b64 vcc, exec, s[6:7]
	s_cbranch_vccz .LBB217_607
; %bb.590:
	s_cmp_lt_i32 s10, 27
	s_cbranch_scc1 .LBB217_593
; %bb.591:
	s_cmp_gt_i32 s10, 27
	s_cbranch_scc0 .LBB217_594
; %bb.592:
	global_load_dword v1, v[2:3], off
	s_mov_b64 s[2:3], 0
	s_waitcnt vmcnt(0)
	v_cvt_f32_u32_e32 v1, v1
	v_cvt_f16_f32_e32 v1, v1
	s_branch .LBB217_595
.LBB217_593:
	s_mov_b64 s[2:3], -1
                                        ; implicit-def: $vgpr1
	s_branch .LBB217_598
.LBB217_594:
	s_mov_b64 s[2:3], -1
                                        ; implicit-def: $vgpr1
.LBB217_595:
	s_andn2_b64 vcc, exec, s[2:3]
	s_cbranch_vccnz .LBB217_597
; %bb.596:
	global_load_ushort v1, v[2:3], off
	s_waitcnt vmcnt(0)
	v_cvt_f16_u16_e32 v1, v1
.LBB217_597:
	s_mov_b64 s[2:3], 0
.LBB217_598:
	s_andn2_b64 vcc, exec, s[2:3]
	s_cbranch_vccnz .LBB217_606
; %bb.599:
	global_load_ubyte v4, v[2:3], off
	s_movk_i32 s2, 0x7f
	s_waitcnt vmcnt(0)
	v_cmp_lt_i16_e32 vcc, s2, v4
	s_mov_b64 s[2:3], 0
	s_and_saveexec_b64 s[6:7], vcc
	s_xor_b64 s[6:7], exec, s[6:7]
	s_cbranch_execz .LBB217_620
; %bb.600:
	s_movk_i32 s2, 0x80
	v_cmp_eq_u16_e32 vcc, s2, v4
	s_mov_b64 s[2:3], -1
	s_and_saveexec_b64 s[8:9], vcc
; %bb.601:
	s_xor_b64 s[2:3], exec, -1
; %bb.602:
	s_or_b64 exec, exec, s[8:9]
	s_and_b64 s[2:3], s[2:3], exec
	s_or_saveexec_b64 s[6:7], s[6:7]
	v_mov_b32_e32 v1, 0x7e00
	s_xor_b64 exec, exec, s[6:7]
	s_cbranch_execnz .LBB217_621
.LBB217_603:
	s_or_b64 exec, exec, s[6:7]
	s_and_saveexec_b64 s[6:7], s[2:3]
	s_cbranch_execz .LBB217_605
.LBB217_604:
	v_lshlrev_b32_e32 v1, 24, v4
	v_and_b32_e32 v4, 0xffff, v4
	v_and_b32_e32 v5, 7, v4
	v_ffbh_u32_e32 v7, v5
	v_min_u32_e32 v7, 32, v7
	v_subrev_u32_e32 v9, 28, v7
	v_bfe_u32 v6, v4, 3, 4
	v_lshlrev_b32_e32 v4, v9, v4
	v_sub_u32_e32 v7, 29, v7
	v_and_b32_e32 v4, 7, v4
	v_cmp_eq_u32_e32 vcc, 0, v6
	v_and_b32_e32 v1, 0x80000000, v1
	s_nop 0
	v_cndmask_b32_e32 v6, v6, v7, vcc
	v_cndmask_b32_e32 v4, v5, v4, vcc
	v_mov_b32_e32 v5, 0x3b800000
	v_lshlrev_b32_e32 v4, 20, v4
	v_lshl_add_u32 v5, v6, 23, v5
	v_or3_b32 v1, v1, v5, v4
	v_cvt_f16_f32_e32 v1, v1
.LBB217_605:
	s_or_b64 exec, exec, s[6:7]
.LBB217_606:
	s_mov_b64 s[2:3], -1
.LBB217_607:
	s_mov_b64 s[6:7], 0
.LBB217_608:
	s_and_b64 vcc, exec, s[6:7]
	s_cbranch_vccz .LBB217_643
; %bb.609:
	s_cmp_gt_i32 s10, 22
	s_cbranch_scc0 .LBB217_619
; %bb.610:
	s_cmp_lt_i32 s10, 24
	s_cbranch_scc1 .LBB217_622
; %bb.611:
	s_cmp_gt_i32 s10, 24
	s_cbranch_scc0 .LBB217_623
; %bb.612:
	global_load_ubyte v4, v[2:3], off
	s_movk_i32 s2, 0x7f
	s_waitcnt vmcnt(0)
	v_cmp_lt_i16_e32 vcc, s2, v4
	s_mov_b64 s[2:3], 0
	s_and_saveexec_b64 s[6:7], vcc
	s_xor_b64 s[6:7], exec, s[6:7]
	s_cbranch_execz .LBB217_635
; %bb.613:
	s_movk_i32 s2, 0x80
	v_cmp_eq_u16_e32 vcc, s2, v4
	s_mov_b64 s[2:3], -1
	s_and_saveexec_b64 s[8:9], vcc
; %bb.614:
	s_xor_b64 s[2:3], exec, -1
; %bb.615:
	s_or_b64 exec, exec, s[8:9]
	s_and_b64 s[2:3], s[2:3], exec
	s_or_saveexec_b64 s[6:7], s[6:7]
	v_mov_b32_e32 v1, 0x7e00
	s_xor_b64 exec, exec, s[6:7]
	s_cbranch_execnz .LBB217_636
.LBB217_616:
	s_or_b64 exec, exec, s[6:7]
	s_and_saveexec_b64 s[6:7], s[2:3]
	s_cbranch_execz .LBB217_618
.LBB217_617:
	v_lshlrev_b32_e32 v1, 24, v4
	v_and_b32_e32 v4, 0xffff, v4
	v_and_b32_e32 v5, 3, v4
	v_ffbh_u32_e32 v7, v5
	v_min_u32_e32 v7, 32, v7
	v_subrev_u32_e32 v9, 29, v7
	v_bfe_u32 v6, v4, 2, 5
	v_lshlrev_b32_e32 v4, v9, v4
	v_sub_u32_e32 v7, 30, v7
	v_and_b32_e32 v4, 3, v4
	v_cmp_eq_u32_e32 vcc, 0, v6
	v_and_b32_e32 v1, 0x80000000, v1
	s_nop 0
	v_cndmask_b32_e32 v6, v6, v7, vcc
	v_cndmask_b32_e32 v4, v5, v4, vcc
	v_mov_b32_e32 v5, 0x37800000
	v_lshlrev_b32_e32 v4, 21, v4
	v_lshl_add_u32 v5, v6, 23, v5
	v_or3_b32 v1, v1, v5, v4
	v_cvt_f16_f32_e32 v1, v1
.LBB217_618:
	s_or_b64 exec, exec, s[6:7]
	s_mov_b64 s[2:3], 0
	s_branch .LBB217_624
.LBB217_619:
	s_mov_b64 s[6:7], -1
                                        ; implicit-def: $vgpr1
	s_branch .LBB217_630
.LBB217_620:
	s_or_saveexec_b64 s[6:7], s[6:7]
	v_mov_b32_e32 v1, 0x7e00
	s_xor_b64 exec, exec, s[6:7]
	s_cbranch_execz .LBB217_603
.LBB217_621:
	v_cmp_ne_u16_e32 vcc, 0, v4
	s_andn2_b64 s[2:3], s[2:3], exec
	s_and_b64 s[8:9], vcc, exec
	s_or_b64 s[2:3], s[2:3], s[8:9]
	v_mov_b32_e32 v1, v4
	s_or_b64 exec, exec, s[6:7]
	s_and_saveexec_b64 s[6:7], s[2:3]
	s_cbranch_execnz .LBB217_604
	s_branch .LBB217_605
.LBB217_622:
	s_mov_b64 s[2:3], -1
                                        ; implicit-def: $vgpr1
	s_branch .LBB217_627
.LBB217_623:
	s_mov_b64 s[2:3], -1
                                        ; implicit-def: $vgpr1
.LBB217_624:
	s_and_b64 vcc, exec, s[2:3]
	s_cbranch_vccz .LBB217_626
; %bb.625:
	global_load_ubyte v1, v[2:3], off
	s_mov_b32 s2, 0x7f800000
	s_waitcnt vmcnt(0)
	v_lshlrev_b32_e32 v1, 24, v1
	v_and_b32_e32 v4, 0x7f000000, v1
	v_ffbh_u32_e32 v5, v4
	v_min_u32_e32 v5, 32, v5
	v_sub_u32_e64 v5, v5, 4 clamp
	v_lshlrev_b32_e32 v7, v5, v4
	v_lshlrev_b32_e32 v5, 23, v5
	v_lshrrev_b32_e32 v7, 4, v7
	v_add_u32_e32 v6, 0x1000000, v4
	v_sub_u32_e32 v5, v7, v5
	v_ashrrev_i32_e32 v6, 8, v6
	v_add_u32_e32 v5, 0x3c000000, v5
	v_and_or_b32 v5, v6, s2, v5
	v_cmp_ne_u32_e32 vcc, 0, v4
	s_brev_b32 s2, 1
	s_nop 0
	v_cndmask_b32_e32 v4, 0, v5, vcc
	v_and_or_b32 v1, v1, s2, v4
	v_cvt_f16_f32_e32 v1, v1
.LBB217_626:
	s_mov_b64 s[2:3], 0
.LBB217_627:
	s_andn2_b64 vcc, exec, s[2:3]
	s_cbranch_vccnz .LBB217_629
; %bb.628:
	global_load_ubyte v1, v[2:3], off
	s_movk_i32 s2, 0x7f00
	s_brev_b32 s3, 16
	s_waitcnt vmcnt(0)
	v_lshlrev_b16_e32 v4, 8, v1
	v_lshlrev_b32_e32 v1, 25, v1
	v_lshrrev_b32_e32 v5, 4, v1
	v_and_or_b32 v6, v4, s2, 0.5
	v_or_b32_e32 v5, 0x70000000, v5
	v_add_f32_e32 v6, -0.5, v6
	v_mul_f32_e32 v5, 0x7800000, v5
	v_cmp_gt_u32_e32 vcc, s3, v1
	v_bfe_i32 v4, v4, 0, 16
	s_brev_b32 s2, 1
	v_cndmask_b32_e32 v1, v5, v6, vcc
	v_and_or_b32 v1, v4, s2, v1
	v_cvt_f16_f32_e32 v1, v1
.LBB217_629:
	s_mov_b64 s[6:7], 0
	s_mov_b64 s[2:3], -1
.LBB217_630:
	s_andn2_b64 vcc, exec, s[6:7]
	s_cbranch_vccnz .LBB217_643
; %bb.631:
	s_cmp_gt_i32 s10, 14
	s_cbranch_scc0 .LBB217_634
; %bb.632:
	s_cmp_eq_u32 s10, 15
	s_cbranch_scc0 .LBB217_637
; %bb.633:
	global_load_ushort v1, v[2:3], off
	s_mov_b64 s[2:3], -1
	s_mov_b64 s[4:5], 0
	s_waitcnt vmcnt(0)
	v_lshlrev_b32_e32 v1, 16, v1
	v_cvt_f16_f32_e32 v1, v1
	s_branch .LBB217_638
.LBB217_634:
	s_mov_b64 s[6:7], -1
                                        ; implicit-def: $vgpr1
	s_branch .LBB217_639
.LBB217_635:
	s_or_saveexec_b64 s[6:7], s[6:7]
	v_mov_b32_e32 v1, 0x7e00
	s_xor_b64 exec, exec, s[6:7]
	s_cbranch_execz .LBB217_616
.LBB217_636:
	v_cmp_ne_u16_e32 vcc, 0, v4
	s_andn2_b64 s[2:3], s[2:3], exec
	s_and_b64 s[8:9], vcc, exec
	s_or_b64 s[2:3], s[2:3], s[8:9]
	v_mov_b32_e32 v1, v4
	s_or_b64 exec, exec, s[6:7]
	s_and_saveexec_b64 s[6:7], s[2:3]
	s_cbranch_execnz .LBB217_617
	s_branch .LBB217_618
.LBB217_637:
	s_mov_b64 s[4:5], -1
                                        ; implicit-def: $vgpr1
.LBB217_638:
	s_mov_b64 s[6:7], 0
.LBB217_639:
	s_and_b64 vcc, exec, s[6:7]
	s_cbranch_vccz .LBB217_643
; %bb.640:
	s_cmp_eq_u32 s10, 11
	s_cbranch_scc0 .LBB217_642
; %bb.641:
	global_load_ubyte v1, v[2:3], off
	v_mov_b32_e32 v4, 0x3c00
	s_mov_b64 s[2:3], -1
	s_mov_b64 s[4:5], 0
	s_waitcnt vmcnt(0)
	v_cmp_ne_u16_e32 vcc, 0, v1
	s_nop 1
	v_cndmask_b32_e32 v1, 0, v4, vcc
	s_branch .LBB217_643
.LBB217_642:
	s_mov_b64 s[4:5], -1
                                        ; implicit-def: $vgpr1
.LBB217_643:
	s_mov_b64 s[6:7], 0
.LBB217_644:
	s_and_b64 vcc, exec, s[6:7]
	s_cbranch_vccz .LBB217_693
; %bb.645:
	s_cmp_lt_i32 s10, 5
	s_cbranch_scc1 .LBB217_650
; %bb.646:
	s_cmp_lt_i32 s10, 8
	s_cbranch_scc1 .LBB217_651
	;; [unrolled: 3-line block ×3, first 2 shown]
; %bb.648:
	s_cmp_gt_i32 s10, 9
	s_cbranch_scc0 .LBB217_653
; %bb.649:
	global_load_dwordx2 v[4:5], v[2:3], off
	s_movk_i32 s2, 0x1ff
	s_movk_i32 s3, 0xffe
	s_waitcnt vmcnt(1)
	v_mov_b32_e32 v1, 0x7c00
	v_mov_b32_e32 v6, 0x7e00
	s_movk_i32 s6, 0x40f
	s_mov_b32 s7, 0x8000
	s_waitcnt vmcnt(0)
	v_and_or_b32 v4, v5, s2, v4
	v_cmp_ne_u32_e32 vcc, 0, v4
	v_lshrrev_b32_e32 v7, 8, v5
	v_bfe_u32 v9, v5, 20, 11
	v_cndmask_b32_e64 v4, 0, 1, vcc
	v_sub_u32_e32 v10, 0x3f1, v9
	v_and_or_b32 v4, v7, s3, v4
	v_add_u32_e32 v9, 0xfffffc10, v9
	v_med3_i32 v7, v10, 0, 13
	v_or_b32_e32 v10, 0x1000, v4
	v_cmp_ne_u32_e32 vcc, 0, v4
	v_lshl_or_b32 v11, v9, 12, v4
	v_lshrrev_b32_e32 v5, 16, v5
	v_cndmask_b32_e32 v4, v1, v6, vcc
	v_lshrrev_b32_e32 v6, v7, v10
	v_lshlrev_b32_e32 v7, v7, v6
	v_cmp_ne_u32_e32 vcc, v7, v10
	s_mov_b64 s[2:3], 0
	s_nop 0
	v_cndmask_b32_e64 v7, 0, 1, vcc
	v_or_b32_e32 v6, v6, v7
	v_cmp_gt_i32_e32 vcc, 1, v9
	s_nop 1
	v_cndmask_b32_e32 v6, v11, v6, vcc
	v_and_b32_e32 v7, 7, v6
	v_cmp_lt_i32_e32 vcc, 5, v7
	v_lshrrev_b32_e32 v6, 2, v6
	s_nop 0
	v_cndmask_b32_e64 v10, 0, 1, vcc
	v_cmp_eq_u32_e32 vcc, 3, v7
	s_nop 1
	v_cndmask_b32_e64 v7, 0, 1, vcc
	v_or_b32_e32 v7, v7, v10
	v_add_u32_e32 v6, v6, v7
	v_cmp_gt_i32_e32 vcc, 31, v9
	s_nop 1
	v_cndmask_b32_e32 v1, v1, v6, vcc
	v_cmp_eq_u32_e32 vcc, s6, v9
	s_nop 1
	v_cndmask_b32_e32 v1, v1, v4, vcc
	v_and_or_b32 v1, v5, s7, v1
	s_branch .LBB217_654
.LBB217_650:
	s_mov_b64 s[2:3], -1
                                        ; implicit-def: $vgpr1
	s_branch .LBB217_672
.LBB217_651:
	s_mov_b64 s[2:3], -1
                                        ; implicit-def: $vgpr1
	s_branch .LBB217_660
.LBB217_652:
	s_mov_b64 s[2:3], -1
                                        ; implicit-def: $vgpr1
	s_branch .LBB217_657
.LBB217_653:
	s_mov_b64 s[2:3], -1
                                        ; implicit-def: $vgpr1
.LBB217_654:
	s_andn2_b64 vcc, exec, s[2:3]
	s_cbranch_vccnz .LBB217_656
; %bb.655:
	global_load_dword v1, v[2:3], off
	s_waitcnt vmcnt(0)
	v_cvt_f16_f32_e32 v1, v1
.LBB217_656:
	s_mov_b64 s[2:3], 0
.LBB217_657:
	s_andn2_b64 vcc, exec, s[2:3]
	s_cbranch_vccnz .LBB217_659
; %bb.658:
	global_load_dword v1, v[2:3], off
.LBB217_659:
	s_mov_b64 s[2:3], 0
.LBB217_660:
	s_andn2_b64 vcc, exec, s[2:3]
	s_cbranch_vccnz .LBB217_671
; %bb.661:
	s_cmp_lt_i32 s10, 6
	s_cbranch_scc1 .LBB217_664
; %bb.662:
	s_cmp_gt_i32 s10, 6
	s_cbranch_scc0 .LBB217_665
; %bb.663:
	global_load_dwordx2 v[4:5], v[2:3], off
	s_movk_i32 s2, 0x1ff
	s_movk_i32 s3, 0xffe
	s_waitcnt vmcnt(1)
	v_mov_b32_e32 v1, 0x7c00
	v_mov_b32_e32 v6, 0x7e00
	s_movk_i32 s6, 0x40f
	s_mov_b32 s7, 0x8000
	s_waitcnt vmcnt(0)
	v_and_or_b32 v4, v5, s2, v4
	v_cmp_ne_u32_e32 vcc, 0, v4
	v_lshrrev_b32_e32 v7, 8, v5
	v_bfe_u32 v9, v5, 20, 11
	v_cndmask_b32_e64 v4, 0, 1, vcc
	v_sub_u32_e32 v10, 0x3f1, v9
	v_and_or_b32 v4, v7, s3, v4
	v_add_u32_e32 v9, 0xfffffc10, v9
	v_med3_i32 v7, v10, 0, 13
	v_or_b32_e32 v10, 0x1000, v4
	v_cmp_ne_u32_e32 vcc, 0, v4
	v_lshl_or_b32 v11, v9, 12, v4
	v_lshrrev_b32_e32 v5, 16, v5
	v_cndmask_b32_e32 v4, v1, v6, vcc
	v_lshrrev_b32_e32 v6, v7, v10
	v_lshlrev_b32_e32 v7, v7, v6
	v_cmp_ne_u32_e32 vcc, v7, v10
	s_mov_b64 s[2:3], 0
	s_nop 0
	v_cndmask_b32_e64 v7, 0, 1, vcc
	v_or_b32_e32 v6, v6, v7
	v_cmp_gt_i32_e32 vcc, 1, v9
	s_nop 1
	v_cndmask_b32_e32 v6, v11, v6, vcc
	v_and_b32_e32 v7, 7, v6
	v_cmp_lt_i32_e32 vcc, 5, v7
	v_lshrrev_b32_e32 v6, 2, v6
	s_nop 0
	v_cndmask_b32_e64 v10, 0, 1, vcc
	v_cmp_eq_u32_e32 vcc, 3, v7
	s_nop 1
	v_cndmask_b32_e64 v7, 0, 1, vcc
	v_or_b32_e32 v7, v7, v10
	v_add_u32_e32 v6, v6, v7
	v_cmp_gt_i32_e32 vcc, 31, v9
	s_nop 1
	v_cndmask_b32_e32 v1, v1, v6, vcc
	v_cmp_eq_u32_e32 vcc, s6, v9
	s_nop 1
	v_cndmask_b32_e32 v1, v1, v4, vcc
	v_and_or_b32 v1, v5, s7, v1
	s_branch .LBB217_666
.LBB217_664:
	s_mov_b64 s[2:3], -1
                                        ; implicit-def: $vgpr1
	s_branch .LBB217_669
.LBB217_665:
	s_mov_b64 s[2:3], -1
                                        ; implicit-def: $vgpr1
.LBB217_666:
	s_andn2_b64 vcc, exec, s[2:3]
	s_cbranch_vccnz .LBB217_668
; %bb.667:
	global_load_dword v1, v[2:3], off
	s_waitcnt vmcnt(0)
	v_cvt_f16_f32_e32 v1, v1
.LBB217_668:
	s_mov_b64 s[2:3], 0
.LBB217_669:
	s_andn2_b64 vcc, exec, s[2:3]
	s_cbranch_vccnz .LBB217_671
; %bb.670:
	global_load_ushort v1, v[2:3], off
.LBB217_671:
	s_mov_b64 s[2:3], 0
.LBB217_672:
	s_andn2_b64 vcc, exec, s[2:3]
	s_cbranch_vccnz .LBB217_692
; %bb.673:
	s_cmp_lt_i32 s10, 2
	s_cbranch_scc1 .LBB217_677
; %bb.674:
	s_cmp_lt_i32 s10, 3
	s_cbranch_scc1 .LBB217_678
; %bb.675:
	s_cmp_gt_i32 s10, 3
	s_cbranch_scc0 .LBB217_679
; %bb.676:
	global_load_dwordx2 v[4:5], v[2:3], off
	s_mov_b64 s[2:3], 0
	s_waitcnt vmcnt(0)
	v_xor_b32_e32 v6, v4, v5
	v_ffbh_i32_e32 v1, v5
	v_ashrrev_i32_e32 v6, 31, v6
	v_add_u32_e32 v1, -1, v1
	v_add_u32_e32 v6, 32, v6
	v_min_u32_e32 v1, v1, v6
	v_lshlrev_b64 v[4:5], v1, v[4:5]
	v_min_u32_e32 v4, 1, v4
	v_or_b32_e32 v4, v5, v4
	v_cvt_f32_i32_e32 v4, v4
	v_sub_u32_e32 v1, 32, v1
	v_ldexp_f32 v1, v4, v1
	v_cvt_f16_f32_e32 v1, v1
	s_branch .LBB217_680
.LBB217_677:
	s_mov_b64 s[2:3], -1
                                        ; implicit-def: $vgpr1
	s_branch .LBB217_686
.LBB217_678:
	s_mov_b64 s[2:3], -1
                                        ; implicit-def: $vgpr1
	s_branch .LBB217_683
.LBB217_679:
	s_mov_b64 s[2:3], -1
                                        ; implicit-def: $vgpr1
.LBB217_680:
	s_andn2_b64 vcc, exec, s[2:3]
	s_cbranch_vccnz .LBB217_682
; %bb.681:
	global_load_dword v1, v[2:3], off
	s_waitcnt vmcnt(0)
	v_cvt_f32_i32_e32 v1, v1
	v_cvt_f16_f32_e32 v1, v1
.LBB217_682:
	s_mov_b64 s[2:3], 0
.LBB217_683:
	s_andn2_b64 vcc, exec, s[2:3]
	s_cbranch_vccnz .LBB217_685
; %bb.684:
	global_load_ushort v1, v[2:3], off
	s_waitcnt vmcnt(0)
	v_cvt_f16_i16_e32 v1, v1
.LBB217_685:
	s_mov_b64 s[2:3], 0
.LBB217_686:
	s_andn2_b64 vcc, exec, s[2:3]
	s_cbranch_vccnz .LBB217_692
; %bb.687:
	s_cmp_gt_i32 s10, 0
	s_cbranch_scc0 .LBB217_689
; %bb.688:
	global_load_sbyte v1, v[2:3], off
	s_mov_b64 s[2:3], 0
	s_waitcnt vmcnt(0)
	v_cvt_f16_i16_e32 v1, v1
	s_branch .LBB217_690
.LBB217_689:
	s_mov_b64 s[2:3], -1
                                        ; implicit-def: $vgpr1
.LBB217_690:
	s_andn2_b64 vcc, exec, s[2:3]
	s_cbranch_vccnz .LBB217_692
; %bb.691:
	global_load_ubyte v1, v[2:3], off
	s_waitcnt vmcnt(0)
	v_cvt_f16_u16_e32 v1, v1
.LBB217_692:
	s_mov_b64 s[2:3], -1
.LBB217_693:
	s_andn2_b64 vcc, exec, s[2:3]
	s_cbranch_vccnz .LBB217_701
; %bb.694:
	s_waitcnt vmcnt(0)
	v_cvt_f32_f16_e32 v1, v1
	s_mov_b32 s2, 0
	s_mov_b32 s3, 0x3fd80000
	s_and_b32 s12, s73, 0xff
	v_cvt_f64_f32_e32 v[2:3], v1
	v_rsq_f64_e32 v[4:5], v[2:3]
	v_mov_b32_e32 v1, 0x180
	s_cmp_lt_i32 s12, 11
	v_mul_f64 v[2:3], v[4:5], -v[2:3]
	v_fma_f64 v[2:3], v[2:3], v[4:5], 1.0
	v_mul_f64 v[6:7], v[4:5], v[2:3]
	v_fma_f64 v[2:3], v[2:3], s[2:3], 0.5
	v_fma_f64 v[2:3], v[6:7], v[2:3], v[4:5]
	v_cmp_class_f64_e32 vcc, v[4:5], v1
	s_movk_i32 s2, 0x1ff
	s_nop 0
	v_cndmask_b32_e32 v1, v4, v2, vcc
	v_cndmask_b32_e32 v2, v5, v3, vcc
	v_and_or_b32 v1, v2, s2, v1
	v_cmp_ne_u32_e32 vcc, 0, v1
	v_lshrrev_b32_e32 v3, 8, v2
	s_movk_i32 s2, 0xffe
	v_cndmask_b32_e64 v1, 0, 1, vcc
	v_bfe_u32 v4, v2, 20, 11
	v_and_or_b32 v1, v3, s2, v1
	v_sub_u32_e32 v5, 0x3f1, v4
	v_or_b32_e32 v3, 0x1000, v1
	v_med3_i32 v5, v5, 0, 13
	v_lshrrev_b32_e32 v6, v5, v3
	v_lshlrev_b32_e32 v5, v5, v6
	v_cmp_ne_u32_e32 vcc, v5, v3
	v_add_u32_e32 v4, 0xfffffc10, v4
	v_lshl_or_b32 v5, v4, 12, v1
	v_cndmask_b32_e64 v3, 0, 1, vcc
	v_or_b32_e32 v3, v6, v3
	v_cmp_gt_i32_e32 vcc, 1, v4
	s_movk_i32 s2, 0x40f
	v_lshrrev_b32_e32 v2, 16, v2
	v_cndmask_b32_e32 v3, v5, v3, vcc
	v_and_b32_e32 v5, 7, v3
	v_cmp_lt_i32_e32 vcc, 5, v5
	v_lshrrev_b32_e32 v3, 2, v3
	s_nop 0
	v_cndmask_b32_e64 v6, 0, 1, vcc
	v_cmp_eq_u32_e32 vcc, 3, v5
	s_nop 1
	v_cndmask_b32_e64 v5, 0, 1, vcc
	v_or_b32_e32 v5, v5, v6
	v_add_u32_e32 v3, v3, v5
	v_mov_b32_e32 v5, 0x7c00
	v_cmp_gt_i32_e32 vcc, 31, v4
	v_mov_b32_e32 v6, 0x7e00
	s_nop 0
	v_cndmask_b32_e32 v3, v5, v3, vcc
	v_cmp_ne_u32_e32 vcc, 0, v1
	s_nop 1
	v_cndmask_b32_e32 v1, v5, v6, vcc
	v_cmp_eq_u32_e32 vcc, s2, v4
	s_mov_b32 s2, 0x8000
	s_nop 0
	v_cndmask_b32_e32 v1, v3, v1, vcc
	v_and_or_b32 v2, v2, s2, v1
	v_mov_b32_e32 v1, 0
	v_lshl_add_u64 v[0:1], s[20:21], 0, v[0:1]
	s_cbranch_scc1 .LBB217_702
; %bb.695:
	s_and_b32 s13, 0xffff, s12
	s_cmp_gt_i32 s13, 25
	s_cbranch_scc0 .LBB217_703
; %bb.696:
	s_cmp_gt_i32 s13, 28
	s_cbranch_scc0 .LBB217_704
; %bb.697:
	;; [unrolled: 3-line block ×4, first 2 shown]
	s_mov_b64 s[8:9], 0
	s_mov_b64 s[2:3], -1
	s_cmp_eq_u32 s13, 46
	s_mov_b64 s[6:7], 0
	s_cbranch_scc0 .LBB217_707
; %bb.700:
	v_cvt_f32_f16_e32 v3, v2
	s_movk_i32 s2, 0x7fff
	v_cmp_o_f16_e32 vcc, v2, v2
	v_mov_b32_e32 v4, 0x7fc0
	v_bfe_u32 v5, v3, 16, 1
	v_add3_u32 v3, v3, v5, s2
	v_cndmask_b32_sdwa v3, v4, v3, vcc dst_sel:DWORD dst_unused:UNUSED_PAD src0_sel:DWORD src1_sel:WORD_1
	global_store_dword v[0:1], v3, off
	s_mov_b64 s[6:7], -1
	s_mov_b64 s[2:3], 0
	s_branch .LBB217_707
.LBB217_701:
	s_mov_b64 s[6:7], 0
	s_mov_b64 s[2:3], s[62:63]
	s_branch .LBB217_818
.LBB217_702:
	s_mov_b64 s[8:9], -1
	s_mov_b64 s[6:7], 0
	s_mov_b64 s[2:3], s[62:63]
	s_branch .LBB217_776
.LBB217_703:
	s_mov_b64 s[8:9], -1
	s_mov_b64 s[6:7], 0
	s_mov_b64 s[2:3], s[62:63]
	s_branch .LBB217_734
.LBB217_704:
	s_mov_b64 s[8:9], -1
	s_mov_b64 s[6:7], 0
	s_mov_b64 s[2:3], s[62:63]
	s_branch .LBB217_717
.LBB217_705:
	s_mov_b64 s[8:9], -1
	s_mov_b64 s[6:7], 0
	s_mov_b64 s[2:3], s[62:63]
	s_branch .LBB217_713
.LBB217_706:
	s_mov_b64 s[8:9], -1
	s_mov_b64 s[6:7], 0
	s_mov_b64 s[2:3], s[62:63]
.LBB217_707:
	s_and_b64 vcc, exec, s[8:9]
	s_cbranch_vccz .LBB217_712
; %bb.708:
	s_cmp_eq_u32 s13, 44
	s_mov_b64 s[2:3], -1
	s_cbranch_scc0 .LBB217_712
; %bb.709:
	v_cvt_f32_f16_e32 v3, v2
	s_movk_i32 s2, 0xff
	v_mov_b32_e32 v5, 0xff
	v_bfe_u32 v4, v3, 23, 8
	v_cmp_ne_u32_e32 vcc, s2, v4
	s_and_saveexec_b64 s[6:7], vcc
; %bb.710:
	s_mov_b32 s2, 0x3fffff
	v_lshrrev_b32_e32 v5, 23, v3
	v_and_b32_e32 v6, 0x400000, v3
	v_and_or_b32 v3, v3, s2, v4
	v_cmp_ne_u32_e32 vcc, 0, v6
	v_cmp_ne_u32_e64 s[2:3], 0, v3
	s_and_b64 s[2:3], vcc, s[2:3]
	s_nop 0
	v_cndmask_b32_e64 v3, 0, 1, s[2:3]
	v_add_u32_e32 v5, v5, v3
; %bb.711:
	s_or_b64 exec, exec, s[6:7]
	s_mov_b64 s[6:7], -1
	s_mov_b64 s[2:3], 0
	global_store_byte v[0:1], v5, off
.LBB217_712:
	s_mov_b64 s[8:9], 0
.LBB217_713:
	s_and_b64 vcc, exec, s[8:9]
	s_cbranch_vccz .LBB217_716
; %bb.714:
	s_cmp_eq_u32 s13, 29
	s_mov_b64 s[2:3], -1
	s_cbranch_scc0 .LBB217_716
; %bb.715:
	v_cvt_f32_f16_e32 v3, v2
	v_mov_b32_e32 v5, 0
	s_mov_b64 s[6:7], -1
	s_mov_b64 s[2:3], 0
	v_cvt_u32_f32_e32 v4, v3
	s_mov_b64 s[8:9], 0
	global_store_dwordx2 v[0:1], v[4:5], off
	s_branch .LBB217_717
.LBB217_716:
	s_mov_b64 s[8:9], 0
.LBB217_717:
	s_and_b64 vcc, exec, s[8:9]
	s_cbranch_vccz .LBB217_733
; %bb.718:
	s_cmp_lt_i32 s13, 27
	s_mov_b64 s[6:7], -1
	s_cbranch_scc1 .LBB217_724
; %bb.719:
	s_cmp_gt_i32 s13, 27
	s_cbranch_scc0 .LBB217_721
; %bb.720:
	v_cvt_f32_f16_e32 v3, v2
	s_mov_b64 s[6:7], 0
	v_cvt_u32_f32_e32 v3, v3
	global_store_dword v[0:1], v3, off
.LBB217_721:
	s_andn2_b64 vcc, exec, s[6:7]
	s_cbranch_vccnz .LBB217_723
; %bb.722:
	v_cvt_u16_f16_e32 v3, v2
	global_store_short v[0:1], v3, off
.LBB217_723:
	s_mov_b64 s[6:7], 0
.LBB217_724:
	s_andn2_b64 vcc, exec, s[6:7]
	s_cbranch_vccnz .LBB217_732
; %bb.725:
	v_cvt_f32_f16_e32 v3, v2
	s_mov_b32 s6, 0x43800000
	v_mov_b32_e32 v5, 0x80
	v_and_b32_e32 v4, 0x7fffffff, v3
	v_cmp_gt_u32_e32 vcc, s6, v4
	s_and_saveexec_b64 s[6:7], vcc
	s_cbranch_execz .LBB217_731
; %bb.726:
	s_mov_b32 s8, 0x3bffffff
	v_cmp_lt_u32_e32 vcc, s8, v4
	s_mov_b64 s[8:9], 0
                                        ; implicit-def: $vgpr4
	s_and_saveexec_b64 s[10:11], vcc
	s_xor_b64 s[10:11], exec, s[10:11]
	s_cbranch_execz .LBB217_849
; %bb.727:
	v_bfe_u32 v4, v3, 20, 1
	s_mov_b32 s14, 0x487ffff
	v_add3_u32 v4, v3, v4, s14
	s_mov_b64 s[8:9], exec
	v_lshrrev_b32_e32 v4, 20, v4
	s_andn2_saveexec_b64 s[10:11], s[10:11]
	s_cbranch_execnz .LBB217_850
.LBB217_728:
	s_or_b64 exec, exec, s[10:11]
	v_mov_b32_e32 v5, 0
	s_and_saveexec_b64 s[10:11], s[8:9]
.LBB217_729:
	v_lshrrev_b32_e32 v3, 24, v3
	s_movk_i32 s8, 0x80
	v_and_or_b32 v5, v3, s8, v4
.LBB217_730:
	s_or_b64 exec, exec, s[10:11]
.LBB217_731:
	s_or_b64 exec, exec, s[6:7]
	global_store_byte v[0:1], v5, off
.LBB217_732:
	s_mov_b64 s[6:7], -1
.LBB217_733:
	s_mov_b64 s[8:9], 0
.LBB217_734:
	s_and_b64 vcc, exec, s[8:9]
	s_cbranch_vccz .LBB217_775
; %bb.735:
	s_cmp_gt_i32 s13, 22
	s_mov_b64 s[8:9], -1
	s_cbranch_scc0 .LBB217_767
; %bb.736:
	s_cmp_lt_i32 s13, 24
	s_mov_b64 s[6:7], -1
	s_cbranch_scc1 .LBB217_756
; %bb.737:
	s_cmp_gt_i32 s13, 24
	s_cbranch_scc0 .LBB217_745
; %bb.738:
	v_cvt_f32_f16_e32 v3, v2
	s_mov_b32 s6, 0x47800000
	v_mov_b32_e32 v5, 0x80
	v_and_b32_e32 v4, 0x7fffffff, v3
	v_cmp_gt_u32_e32 vcc, s6, v4
	s_and_saveexec_b64 s[6:7], vcc
	s_cbranch_execz .LBB217_744
; %bb.739:
	s_mov_b32 s8, 0x37ffffff
	v_cmp_lt_u32_e32 vcc, s8, v4
	s_mov_b64 s[8:9], 0
                                        ; implicit-def: $vgpr4
	s_and_saveexec_b64 s[10:11], vcc
	s_xor_b64 s[10:11], exec, s[10:11]
	s_cbranch_execz .LBB217_852
; %bb.740:
	v_bfe_u32 v4, v3, 21, 1
	s_mov_b32 s14, 0x88fffff
	v_add3_u32 v4, v3, v4, s14
	s_mov_b64 s[8:9], exec
	v_lshrrev_b32_e32 v4, 21, v4
	s_andn2_saveexec_b64 s[10:11], s[10:11]
	s_cbranch_execnz .LBB217_853
.LBB217_741:
	s_or_b64 exec, exec, s[10:11]
	v_mov_b32_e32 v5, 0
	s_and_saveexec_b64 s[10:11], s[8:9]
.LBB217_742:
	v_lshrrev_b32_e32 v3, 24, v3
	s_movk_i32 s8, 0x80
	v_and_or_b32 v5, v3, s8, v4
.LBB217_743:
	s_or_b64 exec, exec, s[10:11]
.LBB217_744:
	s_or_b64 exec, exec, s[6:7]
	s_mov_b64 s[6:7], 0
	global_store_byte v[0:1], v5, off
.LBB217_745:
	s_and_b64 vcc, exec, s[6:7]
	s_cbranch_vccz .LBB217_755
; %bb.746:
	v_cvt_f32_f16_e32 v3, v2
	s_mov_b32 s6, 0x43f00000
                                        ; implicit-def: $vgpr4
	v_and_b32_e32 v5, 0x7fffffff, v3
	v_cmp_gt_u32_e32 vcc, s6, v5
	s_and_saveexec_b64 s[6:7], vcc
	s_xor_b64 s[6:7], exec, s[6:7]
	s_cbranch_execz .LBB217_752
; %bb.747:
	s_mov_b32 s8, 0x3c7fffff
	v_cmp_lt_u32_e32 vcc, s8, v5
                                        ; implicit-def: $vgpr4
	s_and_saveexec_b64 s[8:9], vcc
	s_xor_b64 s[8:9], exec, s[8:9]
; %bb.748:
	v_bfe_u32 v4, v3, 20, 1
	s_mov_b32 s10, 0x407ffff
	v_add3_u32 v4, v3, v4, s10
	v_lshrrev_b32_e32 v5, 20, v4
	v_and_b32_e32 v4, 0xff00000, v4
	s_mov_b32 s10, 0x7f00000
	v_mov_b32_e32 v6, 0x7e
	v_cmp_ne_u32_e32 vcc, s10, v4
	s_nop 1
	v_cndmask_b32_e32 v4, v6, v5, vcc
; %bb.749:
	s_andn2_saveexec_b64 s[8:9], s[8:9]
; %bb.750:
	s_mov_b32 s10, 0x46800000
	v_add_f32_e64 v4, |v3|, s10
; %bb.751:
	s_or_b64 exec, exec, s[8:9]
                                        ; implicit-def: $vgpr5
.LBB217_752:
	s_andn2_saveexec_b64 s[6:7], s[6:7]
; %bb.753:
	s_mov_b32 s8, 0x7f800000
	v_mov_b32_e32 v4, 0x7e
	v_mov_b32_e32 v6, 0x7f
	v_cmp_lt_u32_e32 vcc, s8, v5
	s_nop 1
	v_cndmask_b32_e32 v4, v4, v6, vcc
; %bb.754:
	s_or_b64 exec, exec, s[6:7]
	v_lshrrev_b32_e32 v3, 24, v3
	s_movk_i32 s6, 0x80
	v_and_or_b32 v3, v3, s6, v4
	global_store_byte v[0:1], v3, off
.LBB217_755:
	s_mov_b64 s[6:7], 0
.LBB217_756:
	s_andn2_b64 vcc, exec, s[6:7]
	s_cbranch_vccnz .LBB217_766
; %bb.757:
	v_cvt_f32_f16_e32 v3, v2
	s_mov_b32 s6, 0x47800000
                                        ; implicit-def: $vgpr4
	v_and_b32_e32 v5, 0x7fffffff, v3
	v_cmp_gt_u32_e32 vcc, s6, v5
	s_and_saveexec_b64 s[6:7], vcc
	s_xor_b64 s[6:7], exec, s[6:7]
	s_cbranch_execz .LBB217_763
; %bb.758:
	s_mov_b32 s8, 0x387fffff
	v_cmp_lt_u32_e32 vcc, s8, v5
                                        ; implicit-def: $vgpr4
	s_and_saveexec_b64 s[8:9], vcc
	s_xor_b64 s[8:9], exec, s[8:9]
; %bb.759:
	v_bfe_u32 v4, v3, 21, 1
	s_mov_b32 s10, 0x80fffff
	v_add3_u32 v4, v3, v4, s10
	v_lshrrev_b32_e32 v4, 21, v4
; %bb.760:
	s_andn2_saveexec_b64 s[8:9], s[8:9]
; %bb.761:
	s_mov_b32 s10, 0x43000000
	v_add_f32_e64 v4, |v3|, s10
; %bb.762:
	s_or_b64 exec, exec, s[8:9]
                                        ; implicit-def: $vgpr5
.LBB217_763:
	s_andn2_saveexec_b64 s[6:7], s[6:7]
; %bb.764:
	s_mov_b32 s8, 0x7f800000
	v_mov_b32_e32 v4, 0x7c
	v_mov_b32_e32 v6, 0x7f
	v_cmp_lt_u32_e32 vcc, s8, v5
	s_nop 1
	v_cndmask_b32_e32 v4, v4, v6, vcc
; %bb.765:
	s_or_b64 exec, exec, s[6:7]
	v_lshrrev_b32_e32 v3, 24, v3
	s_movk_i32 s6, 0x80
	v_and_or_b32 v3, v3, s6, v4
	global_store_byte v[0:1], v3, off
.LBB217_766:
	s_mov_b64 s[8:9], 0
	s_mov_b64 s[6:7], -1
.LBB217_767:
	s_andn2_b64 vcc, exec, s[8:9]
	s_cbranch_vccnz .LBB217_775
; %bb.768:
	s_cmp_gt_i32 s13, 14
	s_mov_b64 s[8:9], -1
	s_cbranch_scc0 .LBB217_772
; %bb.769:
	s_cmp_eq_u32 s13, 15
	s_mov_b64 s[2:3], -1
	s_cbranch_scc0 .LBB217_771
; %bb.770:
	v_cvt_f32_f16_e32 v3, v2
	s_movk_i32 s2, 0x7fff
	v_cmp_o_f16_e32 vcc, v2, v2
	v_mov_b32_e32 v4, 0x7fc0
	v_bfe_u32 v5, v3, 16, 1
	v_add3_u32 v3, v3, v5, s2
	v_cndmask_b32_sdwa v3, v4, v3, vcc dst_sel:DWORD dst_unused:UNUSED_PAD src0_sel:DWORD src1_sel:WORD_1
	global_store_short v[0:1], v3, off
	s_mov_b64 s[6:7], -1
	s_mov_b64 s[2:3], 0
.LBB217_771:
	s_mov_b64 s[8:9], 0
.LBB217_772:
	s_and_b64 vcc, exec, s[8:9]
	s_cbranch_vccz .LBB217_775
; %bb.773:
	s_cmp_eq_u32 s13, 11
	s_mov_b64 s[2:3], -1
	s_cbranch_scc0 .LBB217_775
; %bb.774:
	v_cmp_neq_f16_e32 vcc, 0, v2
	s_mov_b64 s[6:7], -1
	s_mov_b64 s[2:3], 0
	v_cndmask_b32_e64 v3, 0, 1, vcc
	global_store_byte v[0:1], v3, off
.LBB217_775:
	s_mov_b64 s[8:9], 0
.LBB217_776:
	s_and_b64 vcc, exec, s[8:9]
	s_cbranch_vccz .LBB217_815
; %bb.777:
	s_and_b32 s8, 0xffff, s12
	s_cmp_lt_i32 s8, 5
	s_mov_b64 s[6:7], -1
	s_cbranch_scc1 .LBB217_798
; %bb.778:
	s_cmp_lt_i32 s8, 8
	s_cbranch_scc1 .LBB217_788
; %bb.779:
	s_cmp_lt_i32 s8, 9
	s_cbranch_scc1 .LBB217_785
; %bb.780:
	s_cmp_gt_i32 s8, 9
	s_cbranch_scc0 .LBB217_782
; %bb.781:
	v_cvt_f32_f16_e32 v3, v2
	v_mov_b32_e32 v6, 0
	v_mov_b32_e32 v7, v6
	s_mov_b64 s[6:7], 0
	v_cvt_f64_f32_e32 v[4:5], v3
	global_store_dwordx4 v[0:1], v[4:7], off
.LBB217_782:
	s_andn2_b64 vcc, exec, s[6:7]
	s_cbranch_vccnz .LBB217_784
; %bb.783:
	v_cvt_f32_f16_e32 v4, v2
	v_mov_b32_e32 v5, 0
	global_store_dwordx2 v[0:1], v[4:5], off
.LBB217_784:
	s_mov_b64 s[6:7], 0
.LBB217_785:
	s_andn2_b64 vcc, exec, s[6:7]
	s_cbranch_vccnz .LBB217_787
; %bb.786:
	v_and_b32_e32 v3, 0xffff, v2
	global_store_dword v[0:1], v3, off
.LBB217_787:
	s_mov_b64 s[6:7], 0
.LBB217_788:
	s_andn2_b64 vcc, exec, s[6:7]
	s_cbranch_vccnz .LBB217_797
; %bb.789:
	s_cmp_lt_i32 s8, 6
	s_mov_b64 s[6:7], -1
	s_cbranch_scc1 .LBB217_795
; %bb.790:
	s_cmp_gt_i32 s8, 6
	s_cbranch_scc0 .LBB217_792
; %bb.791:
	v_cvt_f32_f16_e32 v3, v2
	s_mov_b64 s[6:7], 0
	v_cvt_f64_f32_e32 v[4:5], v3
	global_store_dwordx2 v[0:1], v[4:5], off
.LBB217_792:
	s_andn2_b64 vcc, exec, s[6:7]
	s_cbranch_vccnz .LBB217_794
; %bb.793:
	v_cvt_f32_f16_e32 v3, v2
	global_store_dword v[0:1], v3, off
.LBB217_794:
	s_mov_b64 s[6:7], 0
.LBB217_795:
	s_andn2_b64 vcc, exec, s[6:7]
	s_cbranch_vccnz .LBB217_797
; %bb.796:
	global_store_short v[0:1], v2, off
.LBB217_797:
	s_mov_b64 s[6:7], 0
.LBB217_798:
	s_andn2_b64 vcc, exec, s[6:7]
	s_cbranch_vccnz .LBB217_814
; %bb.799:
	s_cmp_lt_i32 s8, 2
	s_mov_b64 s[6:7], -1
	s_cbranch_scc1 .LBB217_809
; %bb.800:
	s_cmp_lt_i32 s8, 3
	s_cbranch_scc1 .LBB217_806
; %bb.801:
	s_cmp_gt_i32 s8, 3
	s_cbranch_scc0 .LBB217_803
; %bb.802:
	v_cvt_f32_f16_e32 v3, v2
	s_mov_b64 s[6:7], 0
	v_cvt_i32_f32_e32 v4, v3
	v_ashrrev_i32_e32 v5, 31, v4
	global_store_dwordx2 v[0:1], v[4:5], off
.LBB217_803:
	s_andn2_b64 vcc, exec, s[6:7]
	s_cbranch_vccnz .LBB217_805
; %bb.804:
	v_cvt_f32_f16_e32 v3, v2
	v_cvt_i32_f32_e32 v3, v3
	global_store_dword v[0:1], v3, off
.LBB217_805:
	s_mov_b64 s[6:7], 0
.LBB217_806:
	s_andn2_b64 vcc, exec, s[6:7]
	s_cbranch_vccnz .LBB217_808
; %bb.807:
	v_cvt_i16_f16_e32 v3, v2
	global_store_short v[0:1], v3, off
.LBB217_808:
	s_mov_b64 s[6:7], 0
.LBB217_809:
	s_andn2_b64 vcc, exec, s[6:7]
	s_cbranch_vccnz .LBB217_814
; %bb.810:
	s_cmp_gt_i32 s8, 0
	s_mov_b64 s[6:7], -1
	s_cbranch_scc0 .LBB217_812
; %bb.811:
	v_cvt_i16_f16_e32 v3, v2
	s_mov_b64 s[6:7], 0
	global_store_byte v[0:1], v3, off
.LBB217_812:
	s_andn2_b64 vcc, exec, s[6:7]
	s_cbranch_vccnz .LBB217_814
; %bb.813:
	v_cvt_f32_f16_e32 v2, v2
	v_cvt_i32_f32_e32 v2, v2
	global_store_byte v[0:1], v2, off
.LBB217_814:
	s_mov_b64 s[6:7], -1
.LBB217_815:
	s_andn2_b64 vcc, exec, s[6:7]
	s_cbranch_vccnz .LBB217_817
; %bb.816:
	v_add_u32_e32 v8, 0x80, v8
	s_mov_b64 s[6:7], -1
	s_branch .LBB217_819
.LBB217_817:
	s_mov_b64 s[6:7], 0
.LBB217_818:
                                        ; implicit-def: $vgpr8
.LBB217_819:
	s_andn2_b64 s[8:9], s[62:63], exec
	s_and_b64 s[2:3], s[2:3], exec
	s_or_b64 s[68:69], s[8:9], s[2:3]
	s_andn2_b64 s[2:3], s[60:61], exec
	s_and_b64 s[4:5], s[4:5], exec
	s_or_b64 s[2:3], s[2:3], s[4:5]
	s_orn2_b64 s[6:7], s[6:7], exec
.LBB217_820:
	s_or_b64 exec, exec, s[66:67]
	s_mov_b64 s[4:5], 0
	s_mov_b64 s[10:11], 0
	;; [unrolled: 1-line block ×3, first 2 shown]
                                        ; implicit-def: $vgpr2_vgpr3
                                        ; implicit-def: $vgpr0
                                        ; implicit-def: $vgpr1
	s_and_saveexec_b64 s[66:67], s[6:7]
	s_cbranch_execz .LBB217_920
; %bb.821:
	v_cmp_gt_i32_e32 vcc, s70, v8
	s_mov_b64 s[6:7], 0
	s_mov_b64 s[12:13], s[2:3]
                                        ; implicit-def: $vgpr2_vgpr3
                                        ; implicit-def: $vgpr0
                                        ; implicit-def: $vgpr1
	s_and_saveexec_b64 s[70:71], vcc
	s_cbranch_execz .LBB217_919
; %bb.822:
	s_andn2_b64 vcc, exec, s[42:43]
	s_cbranch_vccnz .LBB217_828
; %bb.823:
	s_andn2_b64 vcc, exec, s[52:53]
	s_cbranch_vccnz .LBB217_829
; %bb.824:
	s_add_i32 s76, s75, 1
	s_cmp_eq_u32 s72, 2
	s_cbranch_scc1 .LBB217_830
; %bb.825:
	s_and_b32 s75, s76, 28
	s_mov_b32 s77, 0
	v_mov_b32_e32 v0, 0
	v_mov_b32_e32 v2, 0
	s_mov_b64 s[52:53], s[34:35]
	v_mov_b32_e32 v4, v8
.LBB217_826:                            ; =>This Inner Loop Header: Depth=1
	s_load_dwordx8 s[12:19], s[52:53], 0x4
	s_load_dwordx4 s[36:39], s[52:53], 0x24
	s_load_dwordx8 s[4:11], s[50:51], 0x0
	s_add_u32 s52, s52, 48
	s_addc_u32 s53, s53, 0
	s_waitcnt vmcnt(0) lgkmcnt(0)
	v_mul_hi_u32 v1, s13, v4
	v_add_u32_e32 v1, v4, v1
	v_lshrrev_b32_e32 v1, s14, v1
	v_mul_lo_u32 v3, v1, s12
	v_mul_hi_u32 v5, s16, v1
	v_sub_u32_e32 v3, v4, v3
	v_add_u32_e32 v4, v1, v5
	v_lshrrev_b32_e32 v4, s17, v4
	v_mul_lo_u32 v6, v4, s15
	v_mul_hi_u32 v7, s19, v4
	v_sub_u32_e32 v1, v1, v6
	v_add_u32_e32 v6, v4, v7
	v_mul_lo_u32 v5, v3, s5
	v_mul_lo_u32 v3, v3, s4
	;; [unrolled: 1-line block ×4, first 2 shown]
	v_lshrrev_b32_e32 v6, s36, v6
	v_add3_u32 v0, v3, v0, v1
	v_mul_hi_u32 v3, s38, v6
	v_add3_u32 v1, v5, v2, v7
	v_mul_lo_u32 v2, v6, s18
	v_add_u32_e32 v3, v6, v3
	v_sub_u32_e32 v2, v4, v2
	v_lshrrev_b32_e32 v4, s39, v3
	s_add_i32 s77, s77, 4
	v_mul_lo_u32 v3, v4, s37
	s_add_u32 s50, s50, 32
	v_sub_u32_e32 v3, v6, v3
	s_addc_u32 s51, s51, 0
	v_mul_lo_u32 v5, v2, s8
	v_mul_lo_u32 v2, v2, s9
	;; [unrolled: 1-line block ×4, first 2 shown]
	s_cmp_eq_u32 s75, s77
	v_add3_u32 v2, v2, v1, v3
	v_add3_u32 v0, v5, v0, v6
	s_cbranch_scc0 .LBB217_826
; %bb.827:
	v_mov_b32_e32 v1, v2
	s_branch .LBB217_831
.LBB217_828:
	s_mov_b64 s[4:5], -1
                                        ; implicit-def: $vgpr2
                                        ; implicit-def: $vgpr0
	s_branch .LBB217_835
.LBB217_829:
	v_mov_b32_e32 v2, 0
	v_mov_b32_e32 v0, 0
	s_branch .LBB217_834
.LBB217_830:
	v_mov_b32_e32 v0, 0
	s_mov_b32 s75, 0
	s_waitcnt vmcnt(0)
	v_mov_b32_e32 v1, v0
                                        ; implicit-def: $vgpr2
	v_mov_b32_e32 v4, v8
.LBB217_831:
	s_and_b32 s8, s76, 3
	s_cmp_eq_u32 s8, 0
	s_cbranch_scc1 .LBB217_834
; %bb.832:
	s_lshl_b32 s4, s75, 3
	s_add_u32 s4, s34, s4
	s_addc_u32 s5, s35, 0
	s_add_u32 s4, s4, 0xc4
	s_addc_u32 s5, s5, 0
	s_mul_i32 s6, s75, 12
	s_add_u32 s6, s34, s6
	s_addc_u32 s7, s35, 0
.LBB217_833:                            ; =>This Inner Loop Header: Depth=1
	s_load_dwordx2 s[10:11], s[6:7], 0x4
	s_load_dword s9, s[6:7], 0xc
	s_load_dwordx2 s[12:13], s[4:5], 0x0
	v_mov_b32_e32 v2, v1
	s_add_u32 s6, s6, 12
	s_waitcnt lgkmcnt(0)
	v_mul_hi_u32 v1, s11, v4
	v_add_u32_e32 v1, v4, v1
	v_lshrrev_b32_e32 v1, s9, v1
	s_addc_u32 s7, s7, 0
	v_mul_lo_u32 v3, v1, s10
	s_add_u32 s4, s4, 8
	v_sub_u32_e32 v5, v4, v3
	s_addc_u32 s5, s5, 0
	s_add_i32 s8, s8, -1
	v_mov_b32_e32 v4, v1
	v_mad_u64_u32 v[2:3], s[10:11], v5, s13, v[2:3]
	v_mad_u64_u32 v[0:1], s[10:11], v5, s12, v[0:1]
	s_cmp_lg_u32 s8, 0
	v_mov_b32_e32 v1, v2
	s_cbranch_scc1 .LBB217_833
.LBB217_834:
	s_mov_b64 s[4:5], 0
.LBB217_835:
	s_andn2_b64 vcc, exec, s[4:5]
	s_cbranch_vccnz .LBB217_838
; %bb.836:
	s_waitcnt lgkmcnt(0)
	v_mul_hi_u32 v0, s29, v8
	v_add_u32_e32 v0, v8, v0
	s_waitcnt vmcnt(0)
	v_lshrrev_b32_e32 v1, s30, v0
	v_mul_lo_u32 v0, v1, s28
	v_sub_u32_e32 v0, v8, v0
	v_mul_lo_u32 v2, v0, s25
	s_andn2_b64 vcc, exec, s[48:49]
	v_mul_lo_u32 v0, v0, s24
	s_cbranch_vccnz .LBB217_838
; %bb.837:
	v_mul_hi_u32 v3, s46, v1
	v_add_u32_e32 v3, v1, v3
	v_lshrrev_b32_e32 v3, s47, v3
	v_mul_lo_u32 v3, v3, s31
	v_sub_u32_e32 v3, v1, v3
	v_mad_u64_u32 v[0:1], s[4:5], v3, s26, v[0:1]
	v_mad_u64_u32 v[2:3], s[4:5], v3, s27, v[2:3]
.LBB217_838:
	v_mov_b32_e32 v3, 0
	s_and_b32 s14, 0xffff, s74
	s_cmp_lt_i32 s14, 11
	s_waitcnt lgkmcnt(0)
	v_lshl_add_u64 v[2:3], s[22:23], 0, v[2:3]
	s_cbranch_scc1 .LBB217_845
; %bb.839:
	s_cmp_gt_i32 s14, 25
	s_mov_b64 s[6:7], 0
	s_cbranch_scc0 .LBB217_846
; %bb.840:
	s_cmp_gt_i32 s14, 28
	s_cbranch_scc0 .LBB217_847
; %bb.841:
	s_cmp_gt_i32 s14, 43
	;; [unrolled: 3-line block ×3, first 2 shown]
	s_cbranch_scc0 .LBB217_851
; %bb.843:
	s_cmp_eq_u32 s14, 46
	s_mov_b64 s[10:11], 0
	s_cbranch_scc0 .LBB217_854
; %bb.844:
	global_load_dword v1, v[2:3], off
	s_mov_b64 s[4:5], 0
	s_mov_b64 s[8:9], -1
	s_waitcnt vmcnt(0)
	v_lshlrev_b32_e32 v1, 16, v1
	v_cvt_f16_f32_e32 v1, v1
	s_branch .LBB217_855
.LBB217_845:
	s_mov_b64 s[10:11], -1
	s_mov_b64 s[8:9], 0
	s_mov_b64 s[6:7], 0
	;; [unrolled: 1-line block ×3, first 2 shown]
                                        ; implicit-def: $vgpr1
	s_branch .LBB217_918
.LBB217_846:
	s_mov_b64 s[10:11], -1
	s_mov_b64 s[8:9], 0
	s_mov_b64 s[4:5], s[2:3]
                                        ; implicit-def: $vgpr1
	s_branch .LBB217_884
.LBB217_847:
	s_mov_b64 s[10:11], -1
	s_mov_b64 s[8:9], 0
	s_mov_b64 s[4:5], s[2:3]
                                        ; implicit-def: $vgpr1
	s_branch .LBB217_865
.LBB217_848:
	s_mov_b64 s[10:11], -1
	s_mov_b64 s[8:9], 0
	s_mov_b64 s[4:5], s[2:3]
                                        ; implicit-def: $vgpr1
	s_branch .LBB217_860
.LBB217_849:
	s_andn2_saveexec_b64 s[10:11], s[10:11]
	s_cbranch_execz .LBB217_728
.LBB217_850:
	s_mov_b32 s14, 0x46000000
	v_add_f32_e64 v4, |v3|, s14
	v_and_b32_e32 v4, 0xff, v4
	v_cmp_ne_u32_e32 vcc, 0, v4
	s_andn2_b64 s[8:9], s[8:9], exec
	s_and_b64 s[14:15], vcc, exec
	s_or_b64 s[8:9], s[8:9], s[14:15]
	s_or_b64 exec, exec, s[10:11]
	v_mov_b32_e32 v5, 0
	s_and_saveexec_b64 s[10:11], s[8:9]
	s_cbranch_execnz .LBB217_729
	s_branch .LBB217_730
.LBB217_851:
	s_mov_b64 s[10:11], -1
	s_mov_b64 s[8:9], 0
	s_mov_b64 s[4:5], s[2:3]
                                        ; implicit-def: $vgpr1
	s_branch .LBB217_855
.LBB217_852:
	s_andn2_saveexec_b64 s[10:11], s[10:11]
	s_cbranch_execz .LBB217_741
.LBB217_853:
	s_mov_b32 s14, 0x42800000
	v_add_f32_e64 v4, |v3|, s14
	v_and_b32_e32 v4, 0xff, v4
	v_cmp_ne_u32_e32 vcc, 0, v4
	s_andn2_b64 s[8:9], s[8:9], exec
	s_and_b64 s[14:15], vcc, exec
	s_or_b64 s[8:9], s[8:9], s[14:15]
	s_or_b64 exec, exec, s[10:11]
	v_mov_b32_e32 v5, 0
	s_and_saveexec_b64 s[10:11], s[8:9]
	s_cbranch_execnz .LBB217_742
	s_branch .LBB217_743
.LBB217_854:
	s_mov_b64 s[4:5], -1
                                        ; implicit-def: $vgpr1
	s_mov_b64 s[8:9], 0
.LBB217_855:
	s_and_b64 vcc, exec, s[10:11]
	s_cbranch_vccz .LBB217_859
; %bb.856:
	s_cmp_eq_u32 s14, 44
	s_cbranch_scc0 .LBB217_858
; %bb.857:
	global_load_ubyte v1, v[2:3], off
	s_movk_i32 s8, 0xff
	v_mov_b32_e32 v5, 0x7e00
	s_mov_b64 s[4:5], 0
	s_waitcnt vmcnt(0)
	v_lshlrev_b32_e32 v4, 23, v1
	v_cvt_f16_f32_e32 v4, v4
	v_cmp_ne_u32_e32 vcc, s8, v1
	s_mov_b64 s[8:9], -1
	s_nop 0
	v_cndmask_b32_e32 v4, v5, v4, vcc
	v_cmp_ne_u32_e32 vcc, 0, v1
	s_nop 1
	v_cndmask_b32_e32 v1, 0, v4, vcc
	s_branch .LBB217_859
.LBB217_858:
	s_mov_b64 s[4:5], -1
                                        ; implicit-def: $vgpr1
.LBB217_859:
	s_mov_b64 s[10:11], 0
.LBB217_860:
	s_and_b64 vcc, exec, s[10:11]
	s_cbranch_vccz .LBB217_864
; %bb.861:
	s_cmp_eq_u32 s14, 29
	s_cbranch_scc0 .LBB217_863
; %bb.862:
	global_load_dwordx2 v[4:5], v[2:3], off
	s_mov_b64 s[4:5], 0
	s_mov_b64 s[8:9], -1
	s_mov_b64 s[10:11], 0
	s_waitcnt vmcnt(0)
	v_ffbh_u32_e32 v1, v5
	v_min_u32_e32 v1, 32, v1
	v_lshlrev_b64 v[4:5], v1, v[4:5]
	v_min_u32_e32 v4, 1, v4
	v_or_b32_e32 v4, v5, v4
	v_cvt_f32_u32_e32 v4, v4
	v_sub_u32_e32 v1, 32, v1
	v_ldexp_f32 v1, v4, v1
	v_cvt_f16_f32_e32 v1, v1
	s_branch .LBB217_865
.LBB217_863:
	s_mov_b64 s[4:5], -1
                                        ; implicit-def: $vgpr1
.LBB217_864:
	s_mov_b64 s[10:11], 0
.LBB217_865:
	s_and_b64 vcc, exec, s[10:11]
	s_cbranch_vccz .LBB217_883
; %bb.866:
	s_cmp_lt_i32 s14, 27
	s_cbranch_scc1 .LBB217_869
; %bb.867:
	s_cmp_gt_i32 s14, 27
	s_cbranch_scc0 .LBB217_870
; %bb.868:
	global_load_dword v1, v[2:3], off
	s_mov_b64 s[8:9], 0
	s_waitcnt vmcnt(0)
	v_cvt_f32_u32_e32 v1, v1
	v_cvt_f16_f32_e32 v1, v1
	s_branch .LBB217_871
.LBB217_869:
	s_mov_b64 s[8:9], -1
                                        ; implicit-def: $vgpr1
	s_branch .LBB217_874
.LBB217_870:
	s_mov_b64 s[8:9], -1
                                        ; implicit-def: $vgpr1
.LBB217_871:
	s_andn2_b64 vcc, exec, s[8:9]
	s_cbranch_vccnz .LBB217_873
; %bb.872:
	global_load_ushort v1, v[2:3], off
	s_waitcnt vmcnt(0)
	v_cvt_f16_u16_e32 v1, v1
.LBB217_873:
	s_mov_b64 s[8:9], 0
.LBB217_874:
	s_andn2_b64 vcc, exec, s[8:9]
	s_cbranch_vccnz .LBB217_882
; %bb.875:
	global_load_ubyte v4, v[2:3], off
	s_movk_i32 s8, 0x7f
	s_waitcnt vmcnt(0)
	v_cmp_lt_i16_e32 vcc, s8, v4
	s_mov_b64 s[8:9], 0
	s_and_saveexec_b64 s[10:11], vcc
	s_xor_b64 s[10:11], exec, s[10:11]
	s_cbranch_execz .LBB217_896
; %bb.876:
	s_movk_i32 s8, 0x80
	v_cmp_eq_u16_e32 vcc, s8, v4
	s_mov_b64 s[8:9], -1
	s_and_saveexec_b64 s[12:13], vcc
; %bb.877:
	s_xor_b64 s[8:9], exec, -1
; %bb.878:
	s_or_b64 exec, exec, s[12:13]
	s_and_b64 s[8:9], s[8:9], exec
	s_or_saveexec_b64 s[10:11], s[10:11]
	v_mov_b32_e32 v1, 0x7e00
	s_xor_b64 exec, exec, s[10:11]
	s_cbranch_execnz .LBB217_897
.LBB217_879:
	s_or_b64 exec, exec, s[10:11]
	s_and_saveexec_b64 s[10:11], s[8:9]
	s_cbranch_execz .LBB217_881
.LBB217_880:
	v_lshlrev_b32_e32 v1, 24, v4
	v_and_b32_e32 v4, 0xffff, v4
	v_and_b32_e32 v5, 7, v4
	v_ffbh_u32_e32 v7, v5
	v_min_u32_e32 v7, 32, v7
	v_subrev_u32_e32 v8, 28, v7
	v_bfe_u32 v6, v4, 3, 4
	v_lshlrev_b32_e32 v4, v8, v4
	v_sub_u32_e32 v7, 29, v7
	v_and_b32_e32 v4, 7, v4
	v_cmp_eq_u32_e32 vcc, 0, v6
	v_and_b32_e32 v1, 0x80000000, v1
	s_nop 0
	v_cndmask_b32_e32 v6, v6, v7, vcc
	v_cndmask_b32_e32 v4, v5, v4, vcc
	v_mov_b32_e32 v5, 0x3b800000
	v_lshlrev_b32_e32 v4, 20, v4
	v_lshl_add_u32 v5, v6, 23, v5
	v_or3_b32 v1, v1, v5, v4
	v_cvt_f16_f32_e32 v1, v1
.LBB217_881:
	s_or_b64 exec, exec, s[10:11]
.LBB217_882:
	s_mov_b64 s[8:9], -1
.LBB217_883:
	s_mov_b64 s[10:11], 0
.LBB217_884:
	s_and_b64 vcc, exec, s[10:11]
	s_cbranch_vccz .LBB217_917
; %bb.885:
	s_cmp_gt_i32 s14, 22
	s_cbranch_scc0 .LBB217_895
; %bb.886:
	s_cmp_lt_i32 s14, 24
	s_cbranch_scc1 .LBB217_898
; %bb.887:
	s_cmp_gt_i32 s14, 24
	s_cbranch_scc0 .LBB217_899
; %bb.888:
	global_load_ubyte v4, v[2:3], off
	s_movk_i32 s6, 0x7f
	s_waitcnt vmcnt(0)
	v_cmp_lt_i16_e32 vcc, s6, v4
	s_mov_b64 s[6:7], 0
	s_and_saveexec_b64 s[8:9], vcc
	s_xor_b64 s[8:9], exec, s[8:9]
	s_cbranch_execz .LBB217_911
; %bb.889:
	s_movk_i32 s6, 0x80
	v_cmp_eq_u16_e32 vcc, s6, v4
	s_mov_b64 s[6:7], -1
	s_and_saveexec_b64 s[10:11], vcc
; %bb.890:
	s_xor_b64 s[6:7], exec, -1
; %bb.891:
	s_or_b64 exec, exec, s[10:11]
	s_and_b64 s[6:7], s[6:7], exec
	s_or_saveexec_b64 s[8:9], s[8:9]
	v_mov_b32_e32 v1, 0x7e00
	s_xor_b64 exec, exec, s[8:9]
	s_cbranch_execnz .LBB217_912
.LBB217_892:
	s_or_b64 exec, exec, s[8:9]
	s_and_saveexec_b64 s[8:9], s[6:7]
	s_cbranch_execz .LBB217_894
.LBB217_893:
	v_lshlrev_b32_e32 v1, 24, v4
	v_and_b32_e32 v4, 0xffff, v4
	v_and_b32_e32 v5, 3, v4
	v_ffbh_u32_e32 v7, v5
	v_min_u32_e32 v7, 32, v7
	v_subrev_u32_e32 v8, 29, v7
	v_bfe_u32 v6, v4, 2, 5
	v_lshlrev_b32_e32 v4, v8, v4
	v_sub_u32_e32 v7, 30, v7
	v_and_b32_e32 v4, 3, v4
	v_cmp_eq_u32_e32 vcc, 0, v6
	v_and_b32_e32 v1, 0x80000000, v1
	s_nop 0
	v_cndmask_b32_e32 v6, v6, v7, vcc
	v_cndmask_b32_e32 v4, v5, v4, vcc
	v_mov_b32_e32 v5, 0x37800000
	v_lshlrev_b32_e32 v4, 21, v4
	v_lshl_add_u32 v5, v6, 23, v5
	v_or3_b32 v1, v1, v5, v4
	v_cvt_f16_f32_e32 v1, v1
.LBB217_894:
	s_or_b64 exec, exec, s[8:9]
	s_mov_b64 s[6:7], 0
	s_branch .LBB217_900
.LBB217_895:
	s_mov_b64 s[6:7], -1
                                        ; implicit-def: $vgpr1
	s_branch .LBB217_906
.LBB217_896:
	s_or_saveexec_b64 s[10:11], s[10:11]
	v_mov_b32_e32 v1, 0x7e00
	s_xor_b64 exec, exec, s[10:11]
	s_cbranch_execz .LBB217_879
.LBB217_897:
	v_cmp_ne_u16_e32 vcc, 0, v4
	s_andn2_b64 s[8:9], s[8:9], exec
	s_and_b64 s[12:13], vcc, exec
	s_or_b64 s[8:9], s[8:9], s[12:13]
	v_mov_b32_e32 v1, v4
	s_or_b64 exec, exec, s[10:11]
	s_and_saveexec_b64 s[10:11], s[8:9]
	s_cbranch_execnz .LBB217_880
	s_branch .LBB217_881
.LBB217_898:
	s_mov_b64 s[6:7], -1
                                        ; implicit-def: $vgpr1
	s_branch .LBB217_903
.LBB217_899:
	s_mov_b64 s[6:7], -1
                                        ; implicit-def: $vgpr1
.LBB217_900:
	s_and_b64 vcc, exec, s[6:7]
	s_cbranch_vccz .LBB217_902
; %bb.901:
	global_load_ubyte v1, v[2:3], off
	s_mov_b32 s6, 0x7f800000
	s_waitcnt vmcnt(0)
	v_lshlrev_b32_e32 v1, 24, v1
	v_and_b32_e32 v4, 0x7f000000, v1
	v_ffbh_u32_e32 v5, v4
	v_min_u32_e32 v5, 32, v5
	v_sub_u32_e64 v5, v5, 4 clamp
	v_lshlrev_b32_e32 v7, v5, v4
	v_lshlrev_b32_e32 v5, 23, v5
	v_lshrrev_b32_e32 v7, 4, v7
	v_add_u32_e32 v6, 0x1000000, v4
	v_sub_u32_e32 v5, v7, v5
	v_ashrrev_i32_e32 v6, 8, v6
	v_add_u32_e32 v5, 0x3c000000, v5
	v_and_or_b32 v5, v6, s6, v5
	v_cmp_ne_u32_e32 vcc, 0, v4
	s_brev_b32 s6, 1
	s_nop 0
	v_cndmask_b32_e32 v4, 0, v5, vcc
	v_and_or_b32 v1, v1, s6, v4
	v_cvt_f16_f32_e32 v1, v1
.LBB217_902:
	s_mov_b64 s[6:7], 0
.LBB217_903:
	s_andn2_b64 vcc, exec, s[6:7]
	s_cbranch_vccnz .LBB217_905
; %bb.904:
	global_load_ubyte v1, v[2:3], off
	s_movk_i32 s6, 0x7f00
	s_brev_b32 s7, 16
	s_waitcnt vmcnt(0)
	v_lshlrev_b16_e32 v4, 8, v1
	v_lshlrev_b32_e32 v1, 25, v1
	v_lshrrev_b32_e32 v5, 4, v1
	v_and_or_b32 v6, v4, s6, 0.5
	v_or_b32_e32 v5, 0x70000000, v5
	v_add_f32_e32 v6, -0.5, v6
	v_mul_f32_e32 v5, 0x7800000, v5
	v_cmp_gt_u32_e32 vcc, s7, v1
	v_bfe_i32 v4, v4, 0, 16
	s_brev_b32 s6, 1
	v_cndmask_b32_e32 v1, v5, v6, vcc
	v_and_or_b32 v1, v4, s6, v1
	v_cvt_f16_f32_e32 v1, v1
.LBB217_905:
	s_mov_b64 s[6:7], 0
	s_mov_b64 s[8:9], -1
.LBB217_906:
	s_andn2_b64 vcc, exec, s[6:7]
	s_mov_b64 s[6:7], 0
	s_cbranch_vccnz .LBB217_917
; %bb.907:
	s_cmp_gt_i32 s14, 14
	s_cbranch_scc0 .LBB217_910
; %bb.908:
	s_cmp_eq_u32 s14, 15
	s_cbranch_scc0 .LBB217_913
; %bb.909:
	global_load_ushort v1, v[2:3], off
	s_mov_b64 s[4:5], 0
	s_mov_b64 s[8:9], -1
	s_waitcnt vmcnt(0)
	v_lshlrev_b32_e32 v1, 16, v1
	v_cvt_f16_f32_e32 v1, v1
	s_branch .LBB217_914
.LBB217_910:
	s_mov_b64 s[10:11], -1
                                        ; implicit-def: $vgpr1
	s_branch .LBB217_915
.LBB217_911:
	s_or_saveexec_b64 s[8:9], s[8:9]
	v_mov_b32_e32 v1, 0x7e00
	s_xor_b64 exec, exec, s[8:9]
	s_cbranch_execz .LBB217_892
.LBB217_912:
	v_cmp_ne_u16_e32 vcc, 0, v4
	s_andn2_b64 s[6:7], s[6:7], exec
	s_and_b64 s[10:11], vcc, exec
	s_or_b64 s[6:7], s[6:7], s[10:11]
	v_mov_b32_e32 v1, v4
	s_or_b64 exec, exec, s[8:9]
	s_and_saveexec_b64 s[8:9], s[6:7]
	s_cbranch_execnz .LBB217_893
	s_branch .LBB217_894
.LBB217_913:
	s_mov_b64 s[4:5], -1
                                        ; implicit-def: $vgpr1
.LBB217_914:
	s_mov_b64 s[10:11], 0
.LBB217_915:
	s_and_b64 vcc, exec, s[10:11]
	s_cbranch_vccz .LBB217_917
; %bb.916:
	s_cmp_lg_u32 s14, 11
	s_cselect_b64 s[10:11], -1, 0
	s_andn2_b64 s[4:5], s[4:5], exec
	s_and_b64 s[10:11], s[10:11], exec
	s_mov_b64 s[6:7], -1
	s_or_b64 s[4:5], s[4:5], s[10:11]
.LBB217_917:
	s_mov_b64 s[10:11], 0
.LBB217_918:
	s_andn2_b64 s[12:13], s[2:3], exec
	s_and_b64 s[4:5], s[4:5], exec
	s_and_b64 s[8:9], s[8:9], exec
	;; [unrolled: 1-line block ×4, first 2 shown]
	s_or_b64 s[12:13], s[12:13], s[4:5]
.LBB217_919:
	s_or_b64 exec, exec, s[70:71]
	s_and_b64 s[4:5], s[6:7], exec
	s_andn2_b64 s[2:3], s[2:3], exec
	s_and_b64 s[6:7], s[12:13], exec
	s_and_b64 s[8:9], s[8:9], exec
	;; [unrolled: 1-line block ×3, first 2 shown]
	s_or_b64 s[2:3], s[2:3], s[6:7]
.LBB217_920:
	s_or_b64 exec, exec, s[66:67]
	s_andn2_b64 s[6:7], s[62:63], exec
	s_and_b64 s[12:13], s[68:69], exec
	s_or_b64 s[62:63], s[6:7], s[12:13]
	s_and_b64 s[6:7], s[10:11], exec
	s_andn2_b64 s[10:11], s[60:61], exec
	s_and_b64 s[2:3], s[2:3], exec
	s_and_b64 s[8:9], s[8:9], exec
	;; [unrolled: 1-line block ×3, first 2 shown]
	s_or_b64 s[60:61], s[10:11], s[2:3]
.LBB217_921:
	s_or_b64 exec, exec, s[64:65]
	s_andn2_b64 s[2:3], s[54:55], exec
	s_and_b64 s[10:11], s[62:63], exec
	s_or_b64 s[54:55], s[2:3], s[10:11]
	s_and_b64 s[2:3], s[8:9], exec
	s_and_b64 s[8:9], s[6:7], exec
	;; [unrolled: 1-line block ×3, first 2 shown]
	s_andn2_b64 s[4:5], s[56:57], exec
	s_and_b64 s[6:7], s[60:61], exec
	s_or_b64 s[56:57], s[4:5], s[6:7]
	s_or_b64 exec, exec, s[58:59]
	s_mov_b64 s[4:5], 0
	s_and_saveexec_b64 s[6:7], s[56:57]
	s_cbranch_execz .LBB217_276
.LBB217_922:
	s_mov_b64 s[4:5], exec
	s_andn2_b64 s[62:63], s[62:63], exec
	s_trap 2
	s_or_b64 exec, exec, s[6:7]
	s_and_saveexec_b64 s[6:7], s[62:63]
	s_xor_b64 s[6:7], exec, s[6:7]
	s_cbranch_execnz .LBB217_277
.LBB217_923:
	s_or_b64 exec, exec, s[6:7]
	s_and_saveexec_b64 s[6:7], s[8:9]
	s_cbranch_execz .LBB217_969
.LBB217_924:
	s_sext_i32_i16 s8, s74
	s_cmp_lt_i32 s8, 5
	s_cbranch_scc1 .LBB217_929
; %bb.925:
	s_cmp_lt_i32 s8, 8
	s_cbranch_scc1 .LBB217_930
; %bb.926:
	;; [unrolled: 3-line block ×3, first 2 shown]
	s_cmp_gt_i32 s8, 9
	s_cbranch_scc0 .LBB217_932
; %bb.928:
	global_load_dwordx2 v[4:5], v[2:3], off
	s_movk_i32 s8, 0x1ff
	s_movk_i32 s9, 0xffe
	s_waitcnt vmcnt(1)
	v_mov_b32_e32 v1, 0x7c00
	v_mov_b32_e32 v6, 0x7e00
	s_movk_i32 s10, 0x40f
	s_mov_b32 s11, 0x8000
	s_waitcnt vmcnt(0)
	v_and_or_b32 v4, v5, s8, v4
	v_cmp_ne_u32_e32 vcc, 0, v4
	v_lshrrev_b32_e32 v7, 8, v5
	v_bfe_u32 v8, v5, 20, 11
	v_cndmask_b32_e64 v4, 0, 1, vcc
	v_sub_u32_e32 v9, 0x3f1, v8
	v_and_or_b32 v4, v7, s9, v4
	v_add_u32_e32 v8, 0xfffffc10, v8
	v_med3_i32 v7, v9, 0, 13
	v_or_b32_e32 v9, 0x1000, v4
	v_cmp_ne_u32_e32 vcc, 0, v4
	v_lshl_or_b32 v10, v8, 12, v4
	v_lshrrev_b32_e32 v5, 16, v5
	v_cndmask_b32_e32 v4, v1, v6, vcc
	v_lshrrev_b32_e32 v6, v7, v9
	v_lshlrev_b32_e32 v7, v7, v6
	v_cmp_ne_u32_e32 vcc, v7, v9
	s_mov_b64 s[8:9], 0
	s_nop 0
	v_cndmask_b32_e64 v7, 0, 1, vcc
	v_or_b32_e32 v6, v6, v7
	v_cmp_gt_i32_e32 vcc, 1, v8
	s_nop 1
	v_cndmask_b32_e32 v6, v10, v6, vcc
	v_and_b32_e32 v7, 7, v6
	v_cmp_lt_i32_e32 vcc, 5, v7
	v_lshrrev_b32_e32 v6, 2, v6
	s_nop 0
	v_cndmask_b32_e64 v9, 0, 1, vcc
	v_cmp_eq_u32_e32 vcc, 3, v7
	s_nop 1
	v_cndmask_b32_e64 v7, 0, 1, vcc
	v_or_b32_e32 v7, v7, v9
	v_add_u32_e32 v6, v6, v7
	v_cmp_gt_i32_e32 vcc, 31, v8
	s_nop 1
	v_cndmask_b32_e32 v1, v1, v6, vcc
	v_cmp_eq_u32_e32 vcc, s10, v8
	s_nop 1
	v_cndmask_b32_e32 v1, v1, v4, vcc
	v_and_or_b32 v1, v5, s11, v1
	s_branch .LBB217_933
.LBB217_929:
                                        ; implicit-def: $vgpr1
	s_branch .LBB217_950
.LBB217_930:
                                        ; implicit-def: $vgpr1
	s_branch .LBB217_939
.LBB217_931:
	s_mov_b64 s[8:9], -1
                                        ; implicit-def: $vgpr1
	s_branch .LBB217_936
.LBB217_932:
	s_mov_b64 s[8:9], -1
                                        ; implicit-def: $vgpr1
.LBB217_933:
	s_andn2_b64 vcc, exec, s[8:9]
	s_cbranch_vccnz .LBB217_935
; %bb.934:
	global_load_dword v1, v[2:3], off
	s_waitcnt vmcnt(0)
	v_cvt_f16_f32_e32 v1, v1
.LBB217_935:
	s_mov_b64 s[8:9], 0
.LBB217_936:
	s_andn2_b64 vcc, exec, s[8:9]
	s_cbranch_vccnz .LBB217_938
; %bb.937:
	global_load_dword v1, v[2:3], off
.LBB217_938:
	s_cbranch_execnz .LBB217_949
.LBB217_939:
	s_sext_i32_i16 s8, s74
	s_cmp_lt_i32 s8, 6
	s_cbranch_scc1 .LBB217_942
; %bb.940:
	s_cmp_gt_i32 s8, 6
	s_cbranch_scc0 .LBB217_943
; %bb.941:
	global_load_dwordx2 v[4:5], v[2:3], off
	s_movk_i32 s8, 0x1ff
	s_movk_i32 s9, 0xffe
	s_waitcnt vmcnt(1)
	v_mov_b32_e32 v1, 0x7c00
	v_mov_b32_e32 v6, 0x7e00
	s_movk_i32 s10, 0x40f
	s_mov_b32 s11, 0x8000
	s_waitcnt vmcnt(0)
	v_and_or_b32 v4, v5, s8, v4
	v_cmp_ne_u32_e32 vcc, 0, v4
	v_lshrrev_b32_e32 v7, 8, v5
	v_bfe_u32 v8, v5, 20, 11
	v_cndmask_b32_e64 v4, 0, 1, vcc
	v_sub_u32_e32 v9, 0x3f1, v8
	v_and_or_b32 v4, v7, s9, v4
	v_add_u32_e32 v8, 0xfffffc10, v8
	v_med3_i32 v7, v9, 0, 13
	v_or_b32_e32 v9, 0x1000, v4
	v_cmp_ne_u32_e32 vcc, 0, v4
	v_lshl_or_b32 v10, v8, 12, v4
	v_lshrrev_b32_e32 v5, 16, v5
	v_cndmask_b32_e32 v4, v1, v6, vcc
	v_lshrrev_b32_e32 v6, v7, v9
	v_lshlrev_b32_e32 v7, v7, v6
	v_cmp_ne_u32_e32 vcc, v7, v9
	s_mov_b64 s[8:9], 0
	s_nop 0
	v_cndmask_b32_e64 v7, 0, 1, vcc
	v_or_b32_e32 v6, v6, v7
	v_cmp_gt_i32_e32 vcc, 1, v8
	s_nop 1
	v_cndmask_b32_e32 v6, v10, v6, vcc
	v_and_b32_e32 v7, 7, v6
	v_cmp_lt_i32_e32 vcc, 5, v7
	v_lshrrev_b32_e32 v6, 2, v6
	s_nop 0
	v_cndmask_b32_e64 v9, 0, 1, vcc
	v_cmp_eq_u32_e32 vcc, 3, v7
	s_nop 1
	v_cndmask_b32_e64 v7, 0, 1, vcc
	v_or_b32_e32 v7, v7, v9
	v_add_u32_e32 v6, v6, v7
	v_cmp_gt_i32_e32 vcc, 31, v8
	s_nop 1
	v_cndmask_b32_e32 v1, v1, v6, vcc
	v_cmp_eq_u32_e32 vcc, s10, v8
	s_nop 1
	v_cndmask_b32_e32 v1, v1, v4, vcc
	v_and_or_b32 v1, v5, s11, v1
	s_branch .LBB217_944
.LBB217_942:
	s_mov_b64 s[8:9], -1
                                        ; implicit-def: $vgpr1
	s_branch .LBB217_947
.LBB217_943:
	s_mov_b64 s[8:9], -1
                                        ; implicit-def: $vgpr1
.LBB217_944:
	s_andn2_b64 vcc, exec, s[8:9]
	s_cbranch_vccnz .LBB217_946
; %bb.945:
	global_load_dword v1, v[2:3], off
	s_waitcnt vmcnt(0)
	v_cvt_f16_f32_e32 v1, v1
.LBB217_946:
	s_mov_b64 s[8:9], 0
.LBB217_947:
	s_andn2_b64 vcc, exec, s[8:9]
	s_cbranch_vccnz .LBB217_949
; %bb.948:
	global_load_ushort v1, v[2:3], off
.LBB217_949:
	s_cbranch_execnz .LBB217_968
.LBB217_950:
	s_sext_i32_i16 s8, s74
	s_cmp_lt_i32 s8, 2
	s_cbranch_scc1 .LBB217_954
; %bb.951:
	s_cmp_lt_i32 s8, 3
	s_cbranch_scc1 .LBB217_955
; %bb.952:
	s_cmp_gt_i32 s8, 3
	s_cbranch_scc0 .LBB217_956
; %bb.953:
	global_load_dwordx2 v[4:5], v[2:3], off
	s_mov_b64 s[8:9], 0
	s_waitcnt vmcnt(0)
	v_xor_b32_e32 v6, v4, v5
	v_ffbh_i32_e32 v1, v5
	v_ashrrev_i32_e32 v6, 31, v6
	v_add_u32_e32 v1, -1, v1
	v_add_u32_e32 v6, 32, v6
	v_min_u32_e32 v1, v1, v6
	v_lshlrev_b64 v[4:5], v1, v[4:5]
	v_min_u32_e32 v4, 1, v4
	v_or_b32_e32 v4, v5, v4
	v_cvt_f32_i32_e32 v4, v4
	v_sub_u32_e32 v1, 32, v1
	v_ldexp_f32 v1, v4, v1
	v_cvt_f16_f32_e32 v1, v1
	s_branch .LBB217_957
.LBB217_954:
                                        ; implicit-def: $vgpr1
	s_branch .LBB217_963
.LBB217_955:
	s_mov_b64 s[8:9], -1
                                        ; implicit-def: $vgpr1
	s_branch .LBB217_960
.LBB217_956:
	s_mov_b64 s[8:9], -1
                                        ; implicit-def: $vgpr1
.LBB217_957:
	s_andn2_b64 vcc, exec, s[8:9]
	s_cbranch_vccnz .LBB217_959
; %bb.958:
	global_load_dword v1, v[2:3], off
	s_waitcnt vmcnt(0)
	v_cvt_f32_i32_e32 v1, v1
	v_cvt_f16_f32_e32 v1, v1
.LBB217_959:
	s_mov_b64 s[8:9], 0
.LBB217_960:
	s_andn2_b64 vcc, exec, s[8:9]
	s_cbranch_vccnz .LBB217_962
; %bb.961:
	global_load_ushort v1, v[2:3], off
	s_waitcnt vmcnt(0)
	v_cvt_f16_i16_e32 v1, v1
.LBB217_962:
	s_cbranch_execnz .LBB217_968
.LBB217_963:
	s_sext_i32_i16 s8, s74
	s_cmp_gt_i32 s8, 0
	s_cbranch_scc0 .LBB217_965
; %bb.964:
	global_load_sbyte v1, v[2:3], off
	s_mov_b64 s[8:9], 0
	s_waitcnt vmcnt(0)
	v_cvt_f16_i16_e32 v1, v1
	s_branch .LBB217_966
.LBB217_965:
	s_mov_b64 s[8:9], -1
                                        ; implicit-def: $vgpr1
.LBB217_966:
	s_andn2_b64 vcc, exec, s[8:9]
	s_cbranch_vccnz .LBB217_968
; %bb.967:
	global_load_ubyte v1, v[2:3], off
	s_waitcnt vmcnt(0)
	v_cvt_f16_u16_e32 v1, v1
.LBB217_968:
	s_or_b64 s[2:3], s[2:3], exec
.LBB217_969:
	s_or_b64 exec, exec, s[6:7]
	s_mov_b64 s[10:11], 0
	s_mov_b64 s[8:9], 0
                                        ; implicit-def: $sgpr16
                                        ; implicit-def: $vgpr2_vgpr3
                                        ; implicit-def: $vgpr4
	s_and_saveexec_b64 s[6:7], s[2:3]
	s_cbranch_execz .LBB217_987
; %bb.970:
	s_waitcnt vmcnt(0)
	v_cvt_f32_f16_e32 v1, v1
	s_mov_b32 s2, 0
	s_mov_b32 s3, 0x3fd80000
	s_and_b32 s16, s73, 0xff
	v_cvt_f64_f32_e32 v[2:3], v1
	v_rsq_f64_e32 v[4:5], v[2:3]
	v_mov_b32_e32 v1, 0x180
	s_cmp_lt_i32 s16, 11
	v_mul_f64 v[2:3], v[4:5], -v[2:3]
	v_fma_f64 v[2:3], v[2:3], v[4:5], 1.0
	v_mul_f64 v[6:7], v[4:5], v[2:3]
	v_fma_f64 v[2:3], v[2:3], s[2:3], 0.5
	v_fma_f64 v[2:3], v[6:7], v[2:3], v[4:5]
	v_cmp_class_f64_e32 vcc, v[4:5], v1
	s_movk_i32 s2, 0x1ff
	s_nop 0
	v_cndmask_b32_e32 v1, v4, v2, vcc
	v_cndmask_b32_e32 v2, v5, v3, vcc
	v_and_or_b32 v1, v2, s2, v1
	v_cmp_ne_u32_e32 vcc, 0, v1
	v_lshrrev_b32_e32 v3, 8, v2
	s_movk_i32 s2, 0xffe
	v_cndmask_b32_e64 v1, 0, 1, vcc
	v_bfe_u32 v4, v2, 20, 11
	v_and_or_b32 v1, v3, s2, v1
	v_sub_u32_e32 v5, 0x3f1, v4
	v_or_b32_e32 v3, 0x1000, v1
	v_med3_i32 v5, v5, 0, 13
	v_lshrrev_b32_e32 v6, v5, v3
	v_lshlrev_b32_e32 v5, v5, v6
	v_cmp_ne_u32_e32 vcc, v5, v3
	v_add_u32_e32 v4, 0xfffffc10, v4
	v_lshl_or_b32 v5, v4, 12, v1
	v_cndmask_b32_e64 v3, 0, 1, vcc
	v_or_b32_e32 v3, v6, v3
	v_cmp_gt_i32_e32 vcc, 1, v4
	s_movk_i32 s2, 0x40f
	v_lshrrev_b32_e32 v2, 16, v2
	v_cndmask_b32_e32 v3, v5, v3, vcc
	v_and_b32_e32 v5, 7, v3
	v_cmp_lt_i32_e32 vcc, 5, v5
	v_lshrrev_b32_e32 v3, 2, v3
	s_nop 0
	v_cndmask_b32_e64 v6, 0, 1, vcc
	v_cmp_eq_u32_e32 vcc, 3, v5
	s_nop 1
	v_cndmask_b32_e64 v5, 0, 1, vcc
	v_or_b32_e32 v5, v5, v6
	v_add_u32_e32 v3, v3, v5
	v_mov_b32_e32 v5, 0x7c00
	v_cmp_gt_i32_e32 vcc, 31, v4
	v_mov_b32_e32 v6, 0x7e00
	s_nop 0
	v_cndmask_b32_e32 v3, v5, v3, vcc
	v_cmp_ne_u32_e32 vcc, 0, v1
	s_nop 1
	v_cndmask_b32_e32 v1, v5, v6, vcc
	v_cmp_eq_u32_e32 vcc, s2, v4
	s_mov_b32 s2, 0x8000
	s_nop 0
	v_cndmask_b32_e32 v1, v3, v1, vcc
	v_and_or_b32 v4, v2, s2, v1
	v_mov_b32_e32 v1, 0
	s_waitcnt lgkmcnt(0)
	v_lshl_add_u64 v[2:3], s[20:21], 0, v[0:1]
	s_cbranch_scc1 .LBB217_990
; %bb.971:
	s_and_b32 s17, 0xffff, s16
	s_mov_b64 s[10:11], -1
	s_cmp_gt_i32 s17, 25
	s_mov_b64 s[2:3], s[54:55]
	s_cbranch_scc0 .LBB217_1008
; %bb.972:
	s_mov_b64 s[8:9], -1
	s_cmp_gt_i32 s17, 28
	s_mov_b64 s[2:3], s[54:55]
	s_cbranch_scc0 .LBB217_992
; %bb.973:
	s_cmp_gt_i32 s17, 43
	s_mov_b64 s[2:3], s[54:55]
	s_cbranch_scc0 .LBB217_984
; %bb.974:
	;; [unrolled: 4-line block ×3, first 2 shown]
	s_cmp_eq_u32 s17, 46
	s_mov_b64 s[2:3], -1
	s_cbranch_scc0 .LBB217_977
; %bb.976:
	v_cvt_f32_f16_e32 v0, v4
	s_movk_i32 s2, 0x7fff
	v_cmp_o_f16_e32 vcc, v4, v4
	v_mov_b32_e32 v1, 0x7fc0
	v_bfe_u32 v5, v0, 16, 1
	v_add3_u32 v0, v0, v5, s2
	v_cndmask_b32_sdwa v0, v1, v0, vcc dst_sel:DWORD dst_unused:UNUSED_PAD src0_sel:DWORD src1_sel:WORD_1
	global_store_dword v[2:3], v0, off
	s_mov_b64 s[2:3], 0
.LBB217_977:
	s_mov_b64 s[8:9], 0
.LBB217_978:
	s_and_b64 vcc, exec, s[8:9]
	s_cbranch_vccz .LBB217_983
; %bb.979:
	s_cmp_eq_u32 s17, 44
	s_mov_b64 s[2:3], -1
	s_cbranch_scc0 .LBB217_983
; %bb.980:
	v_cvt_f32_f16_e32 v0, v4
	s_movk_i32 s2, 0xff
	v_mov_b32_e32 v5, 0xff
	v_bfe_u32 v1, v0, 23, 8
	v_cmp_ne_u32_e32 vcc, s2, v1
	s_and_saveexec_b64 s[8:9], vcc
; %bb.981:
	s_mov_b32 s2, 0x3fffff
	v_lshrrev_b32_e32 v5, 23, v0
	v_and_b32_e32 v6, 0x400000, v0
	v_and_or_b32 v0, v0, s2, v1
	v_cmp_ne_u32_e32 vcc, 0, v6
	v_cmp_ne_u32_e64 s[2:3], 0, v0
	s_and_b64 s[2:3], vcc, s[2:3]
	s_nop 0
	v_cndmask_b32_e64 v0, 0, 1, s[2:3]
	v_add_u32_e32 v5, v5, v0
; %bb.982:
	s_or_b64 exec, exec, s[8:9]
	s_mov_b64 s[2:3], 0
	global_store_byte v[2:3], v5, off
.LBB217_983:
	s_mov_b64 s[8:9], 0
.LBB217_984:
	s_and_b64 vcc, exec, s[8:9]
	s_cbranch_vccz .LBB217_991
; %bb.985:
	s_cmp_eq_u32 s17, 29
	s_mov_b64 s[2:3], -1
	s_cbranch_scc0 .LBB217_991
; %bb.986:
	v_cvt_f32_f16_e32 v0, v4
	v_mov_b32_e32 v1, 0
	s_mov_b64 s[2:3], 0
	s_mov_b64 s[8:9], 0
	v_cvt_u32_f32_e32 v0, v0
	global_store_dwordx2 v[2:3], v[0:1], off
	s_branch .LBB217_992
.LBB217_987:
	s_or_b64 exec, exec, s[6:7]
	s_and_saveexec_b64 s[2:3], s[54:55]
	s_cbranch_execnz .LBB217_1050
.LBB217_988:
	s_or_b64 exec, exec, s[2:3]
	s_and_saveexec_b64 s[2:3], s[10:11]
	s_xor_b64 s[2:3], exec, s[2:3]
	s_cbranch_execz .LBB217_1051
.LBB217_989:
	v_cmp_neq_f16_e32 vcc, 0, v4
	s_nop 1
	v_cndmask_b32_e64 v0, 0, 1, vcc
	global_store_byte v[2:3], v0, off
	s_or_b64 exec, exec, s[2:3]
	s_and_saveexec_b64 s[2:3], s[8:9]
	s_xor_b64 s[2:3], exec, s[2:3]
	s_cbranch_execz .LBB217_1089
	s_branch .LBB217_1052
.LBB217_990:
	s_mov_b64 s[8:9], -1
	s_mov_b64 s[2:3], s[54:55]
	s_branch .LBB217_1049
.LBB217_991:
	s_mov_b64 s[8:9], 0
.LBB217_992:
	s_and_b64 vcc, exec, s[8:9]
	s_cbranch_vccz .LBB217_1007
; %bb.993:
	s_cmp_lt_i32 s17, 27
	s_mov_b64 s[8:9], -1
	s_cbranch_scc1 .LBB217_999
; %bb.994:
	s_cmp_gt_i32 s17, 27
	s_cbranch_scc0 .LBB217_996
; %bb.995:
	v_cvt_f32_f16_e32 v0, v4
	s_mov_b64 s[8:9], 0
	v_cvt_u32_f32_e32 v0, v0
	global_store_dword v[2:3], v0, off
.LBB217_996:
	s_andn2_b64 vcc, exec, s[8:9]
	s_cbranch_vccnz .LBB217_998
; %bb.997:
	v_cvt_u16_f16_e32 v0, v4
	global_store_short v[2:3], v0, off
.LBB217_998:
	s_mov_b64 s[8:9], 0
.LBB217_999:
	s_andn2_b64 vcc, exec, s[8:9]
	s_cbranch_vccnz .LBB217_1007
; %bb.1000:
	v_cvt_f32_f16_e32 v0, v4
	s_mov_b32 s8, 0x43800000
	v_mov_b32_e32 v5, 0x80
	v_and_b32_e32 v1, 0x7fffffff, v0
	v_cmp_gt_u32_e32 vcc, s8, v1
	s_and_saveexec_b64 s[8:9], vcc
	s_cbranch_execz .LBB217_1006
; %bb.1001:
	s_mov_b32 s10, 0x3bffffff
	v_cmp_lt_u32_e32 vcc, s10, v1
	s_mov_b64 s[10:11], 0
                                        ; implicit-def: $vgpr1
	s_and_saveexec_b64 s[12:13], vcc
	s_xor_b64 s[12:13], exec, s[12:13]
	s_cbranch_execz .LBB217_1160
; %bb.1002:
	v_bfe_u32 v1, v0, 20, 1
	s_mov_b32 s14, 0x487ffff
	v_add3_u32 v1, v0, v1, s14
	s_mov_b64 s[10:11], exec
	v_lshrrev_b32_e32 v1, 20, v1
	s_andn2_saveexec_b64 s[12:13], s[12:13]
	s_cbranch_execnz .LBB217_1161
.LBB217_1003:
	s_or_b64 exec, exec, s[12:13]
	v_mov_b32_e32 v5, 0
	s_and_saveexec_b64 s[12:13], s[10:11]
.LBB217_1004:
	v_lshrrev_b32_e32 v0, 24, v0
	s_movk_i32 s10, 0x80
	v_and_or_b32 v5, v0, s10, v1
.LBB217_1005:
	s_or_b64 exec, exec, s[12:13]
.LBB217_1006:
	s_or_b64 exec, exec, s[8:9]
	global_store_byte v[2:3], v5, off
.LBB217_1007:
	s_mov_b64 s[10:11], 0
.LBB217_1008:
	s_mov_b64 s[8:9], 0
	s_and_b64 vcc, exec, s[10:11]
	s_cbranch_vccz .LBB217_1048
; %bb.1009:
	s_cmp_gt_i32 s17, 22
	s_mov_b64 s[10:11], -1
	s_cbranch_scc0 .LBB217_1041
; %bb.1010:
	s_cmp_lt_i32 s17, 24
	s_cbranch_scc1 .LBB217_1030
; %bb.1011:
	s_cmp_gt_i32 s17, 24
	s_cbranch_scc0 .LBB217_1019
; %bb.1012:
	v_cvt_f32_f16_e32 v0, v4
	s_mov_b32 s10, 0x47800000
	v_mov_b32_e32 v5, 0x80
	v_and_b32_e32 v1, 0x7fffffff, v0
	v_cmp_gt_u32_e32 vcc, s10, v1
	s_and_saveexec_b64 s[10:11], vcc
	s_cbranch_execz .LBB217_1018
; %bb.1013:
	s_mov_b32 s12, 0x37ffffff
	v_cmp_lt_u32_e32 vcc, s12, v1
	s_mov_b64 s[12:13], 0
                                        ; implicit-def: $vgpr1
	s_and_saveexec_b64 s[14:15], vcc
	s_xor_b64 s[14:15], exec, s[14:15]
	s_cbranch_execz .LBB217_1285
; %bb.1014:
	v_bfe_u32 v1, v0, 21, 1
	s_mov_b32 s18, 0x88fffff
	v_add3_u32 v1, v0, v1, s18
	s_mov_b64 s[12:13], exec
	v_lshrrev_b32_e32 v1, 21, v1
	s_andn2_saveexec_b64 s[14:15], s[14:15]
	s_cbranch_execnz .LBB217_1286
.LBB217_1015:
	s_or_b64 exec, exec, s[14:15]
	v_mov_b32_e32 v5, 0
	s_and_saveexec_b64 s[14:15], s[12:13]
.LBB217_1016:
	v_lshrrev_b32_e32 v0, 24, v0
	s_movk_i32 s12, 0x80
	v_and_or_b32 v5, v0, s12, v1
.LBB217_1017:
	s_or_b64 exec, exec, s[14:15]
.LBB217_1018:
	s_or_b64 exec, exec, s[10:11]
	s_mov_b64 s[10:11], 0
	global_store_byte v[2:3], v5, off
.LBB217_1019:
	s_and_b64 vcc, exec, s[10:11]
	s_cbranch_vccz .LBB217_1029
; %bb.1020:
	v_cvt_f32_f16_e32 v0, v4
	s_mov_b32 s10, 0x43f00000
                                        ; implicit-def: $vgpr1
	v_and_b32_e32 v5, 0x7fffffff, v0
	v_cmp_gt_u32_e32 vcc, s10, v5
	s_and_saveexec_b64 s[10:11], vcc
	s_xor_b64 s[10:11], exec, s[10:11]
	s_cbranch_execz .LBB217_1026
; %bb.1021:
	s_mov_b32 s12, 0x3c7fffff
	v_cmp_lt_u32_e32 vcc, s12, v5
                                        ; implicit-def: $vgpr1
	s_and_saveexec_b64 s[12:13], vcc
	s_xor_b64 s[12:13], exec, s[12:13]
; %bb.1022:
	v_bfe_u32 v1, v0, 20, 1
	s_mov_b32 s14, 0x407ffff
	v_add3_u32 v1, v0, v1, s14
	v_lshrrev_b32_e32 v5, 20, v1
	v_and_b32_e32 v1, 0xff00000, v1
	s_mov_b32 s14, 0x7f00000
	v_mov_b32_e32 v6, 0x7e
	v_cmp_ne_u32_e32 vcc, s14, v1
	s_nop 1
	v_cndmask_b32_e32 v1, v6, v5, vcc
; %bb.1023:
	s_andn2_saveexec_b64 s[12:13], s[12:13]
; %bb.1024:
	s_mov_b32 s14, 0x46800000
	v_add_f32_e64 v1, |v0|, s14
; %bb.1025:
	s_or_b64 exec, exec, s[12:13]
                                        ; implicit-def: $vgpr5
.LBB217_1026:
	s_andn2_saveexec_b64 s[10:11], s[10:11]
; %bb.1027:
	s_mov_b32 s12, 0x7f800000
	v_mov_b32_e32 v1, 0x7e
	v_mov_b32_e32 v6, 0x7f
	v_cmp_lt_u32_e32 vcc, s12, v5
	s_nop 1
	v_cndmask_b32_e32 v1, v1, v6, vcc
; %bb.1028:
	s_or_b64 exec, exec, s[10:11]
	v_lshrrev_b32_e32 v0, 24, v0
	s_movk_i32 s10, 0x80
	v_and_or_b32 v0, v0, s10, v1
	global_store_byte v[2:3], v0, off
.LBB217_1029:
	s_mov_b64 s[10:11], 0
.LBB217_1030:
	s_andn2_b64 vcc, exec, s[10:11]
	s_cbranch_vccnz .LBB217_1040
; %bb.1031:
	v_cvt_f32_f16_e32 v0, v4
	s_mov_b32 s10, 0x47800000
                                        ; implicit-def: $vgpr1
	v_and_b32_e32 v5, 0x7fffffff, v0
	v_cmp_gt_u32_e32 vcc, s10, v5
	s_and_saveexec_b64 s[10:11], vcc
	s_xor_b64 s[10:11], exec, s[10:11]
	s_cbranch_execz .LBB217_1037
; %bb.1032:
	s_mov_b32 s12, 0x387fffff
	v_cmp_lt_u32_e32 vcc, s12, v5
                                        ; implicit-def: $vgpr1
	s_and_saveexec_b64 s[12:13], vcc
	s_xor_b64 s[12:13], exec, s[12:13]
; %bb.1033:
	v_bfe_u32 v1, v0, 21, 1
	s_mov_b32 s14, 0x80fffff
	v_add3_u32 v1, v0, v1, s14
	v_lshrrev_b32_e32 v1, 21, v1
; %bb.1034:
	s_andn2_saveexec_b64 s[12:13], s[12:13]
; %bb.1035:
	s_mov_b32 s14, 0x43000000
	v_add_f32_e64 v1, |v0|, s14
; %bb.1036:
	s_or_b64 exec, exec, s[12:13]
                                        ; implicit-def: $vgpr5
.LBB217_1037:
	s_andn2_saveexec_b64 s[10:11], s[10:11]
; %bb.1038:
	s_mov_b32 s12, 0x7f800000
	v_mov_b32_e32 v1, 0x7c
	v_mov_b32_e32 v6, 0x7f
	v_cmp_lt_u32_e32 vcc, s12, v5
	s_nop 1
	v_cndmask_b32_e32 v1, v1, v6, vcc
; %bb.1039:
	s_or_b64 exec, exec, s[10:11]
	v_lshrrev_b32_e32 v0, 24, v0
	s_movk_i32 s10, 0x80
	v_and_or_b32 v0, v0, s10, v1
	global_store_byte v[2:3], v0, off
.LBB217_1040:
	s_mov_b64 s[10:11], 0
.LBB217_1041:
	s_andn2_b64 vcc, exec, s[10:11]
	s_mov_b64 s[10:11], 0
	s_cbranch_vccnz .LBB217_1049
; %bb.1042:
	s_cmp_gt_i32 s17, 14
	s_mov_b64 s[12:13], -1
	s_cbranch_scc0 .LBB217_1046
; %bb.1043:
	s_cmp_eq_u32 s17, 15
	s_mov_b64 s[2:3], -1
	s_cbranch_scc0 .LBB217_1045
; %bb.1044:
	v_cvt_f32_f16_e32 v0, v4
	s_movk_i32 s2, 0x7fff
	v_cmp_o_f16_e32 vcc, v4, v4
	v_mov_b32_e32 v1, 0x7fc0
	v_bfe_u32 v5, v0, 16, 1
	v_add3_u32 v0, v0, v5, s2
	v_cndmask_b32_sdwa v0, v1, v0, vcc dst_sel:DWORD dst_unused:UNUSED_PAD src0_sel:DWORD src1_sel:WORD_1
	global_store_short v[2:3], v0, off
	s_mov_b64 s[2:3], 0
.LBB217_1045:
	s_mov_b64 s[12:13], 0
.LBB217_1046:
	s_and_b64 vcc, exec, s[12:13]
	s_cbranch_vccz .LBB217_1049
; %bb.1047:
	s_cmp_lg_u32 s17, 11
	s_cselect_b64 s[12:13], -1, 0
	s_andn2_b64 s[2:3], s[2:3], exec
	s_and_b64 s[12:13], s[12:13], exec
	s_mov_b64 s[10:11], -1
	s_or_b64 s[2:3], s[2:3], s[12:13]
	s_branch .LBB217_1049
.LBB217_1048:
	s_mov_b64 s[10:11], 0
.LBB217_1049:
	s_andn2_b64 s[12:13], s[54:55], exec
	s_and_b64 s[2:3], s[2:3], exec
	s_and_b64 s[8:9], s[8:9], exec
	;; [unrolled: 1-line block ×3, first 2 shown]
	s_or_b64 s[54:55], s[12:13], s[2:3]
	s_or_b64 exec, exec, s[6:7]
	s_and_saveexec_b64 s[2:3], s[54:55]
	s_cbranch_execz .LBB217_988
.LBB217_1050:
	s_or_b64 s[4:5], s[4:5], exec
	s_andn2_b64 s[10:11], s[10:11], exec
	s_trap 2
	s_or_b64 exec, exec, s[2:3]
	s_and_saveexec_b64 s[2:3], s[10:11]
	s_xor_b64 s[2:3], exec, s[2:3]
	s_cbranch_execnz .LBB217_989
.LBB217_1051:
	s_or_b64 exec, exec, s[2:3]
	s_and_saveexec_b64 s[2:3], s[8:9]
	s_xor_b64 s[2:3], exec, s[2:3]
	s_cbranch_execz .LBB217_1089
.LBB217_1052:
	s_sext_i32_i16 s8, s16
	s_cmp_lt_i32 s8, 5
	s_mov_b64 s[6:7], -1
	s_cbranch_scc1 .LBB217_1073
; %bb.1053:
	s_cmp_lt_i32 s8, 8
	s_cbranch_scc1 .LBB217_1063
; %bb.1054:
	s_cmp_lt_i32 s8, 9
	s_cbranch_scc1 .LBB217_1060
; %bb.1055:
	s_cmp_gt_i32 s8, 9
	s_cbranch_scc0 .LBB217_1057
; %bb.1056:
	v_cvt_f32_f16_e32 v0, v4
	v_mov_b32_e32 v8, 0
	v_mov_b32_e32 v9, v8
	s_mov_b64 s[6:7], 0
	v_cvt_f64_f32_e32 v[6:7], v0
	global_store_dwordx4 v[2:3], v[6:9], off
.LBB217_1057:
	s_andn2_b64 vcc, exec, s[6:7]
	s_cbranch_vccnz .LBB217_1059
; %bb.1058:
	v_cvt_f32_f16_e32 v0, v4
	s_waitcnt vmcnt(0)
	v_mov_b32_e32 v1, 0
	global_store_dwordx2 v[2:3], v[0:1], off
.LBB217_1059:
	s_mov_b64 s[6:7], 0
.LBB217_1060:
	s_andn2_b64 vcc, exec, s[6:7]
	s_cbranch_vccnz .LBB217_1062
; %bb.1061:
	v_and_b32_e32 v0, 0xffff, v4
	global_store_dword v[2:3], v0, off
.LBB217_1062:
	s_mov_b64 s[6:7], 0
.LBB217_1063:
	s_andn2_b64 vcc, exec, s[6:7]
	s_cbranch_vccnz .LBB217_1072
; %bb.1064:
	s_sext_i32_i16 s8, s16
	s_cmp_lt_i32 s8, 6
	s_mov_b64 s[6:7], -1
	s_cbranch_scc1 .LBB217_1070
; %bb.1065:
	s_cmp_gt_i32 s8, 6
	s_cbranch_scc0 .LBB217_1067
; %bb.1066:
	v_cvt_f32_f16_e32 v0, v4
	s_mov_b64 s[6:7], 0
	s_waitcnt vmcnt(0)
	v_cvt_f64_f32_e32 v[0:1], v0
	global_store_dwordx2 v[2:3], v[0:1], off
.LBB217_1067:
	s_andn2_b64 vcc, exec, s[6:7]
	s_cbranch_vccnz .LBB217_1069
; %bb.1068:
	v_cvt_f32_f16_e32 v0, v4
	global_store_dword v[2:3], v0, off
.LBB217_1069:
	s_mov_b64 s[6:7], 0
.LBB217_1070:
	s_andn2_b64 vcc, exec, s[6:7]
	s_cbranch_vccnz .LBB217_1072
; %bb.1071:
	global_store_short v[2:3], v4, off
.LBB217_1072:
	s_mov_b64 s[6:7], 0
.LBB217_1073:
	s_andn2_b64 vcc, exec, s[6:7]
	s_cbranch_vccnz .LBB217_1089
; %bb.1074:
	s_sext_i32_i16 s8, s16
	s_cmp_lt_i32 s8, 2
	s_mov_b64 s[6:7], -1
	s_cbranch_scc1 .LBB217_1084
; %bb.1075:
	s_cmp_lt_i32 s8, 3
	s_cbranch_scc1 .LBB217_1081
; %bb.1076:
	s_cmp_gt_i32 s8, 3
	s_cbranch_scc0 .LBB217_1078
; %bb.1077:
	v_cvt_f32_f16_e32 v0, v4
	s_mov_b64 s[6:7], 0
	v_cvt_i32_f32_e32 v0, v0
	s_waitcnt vmcnt(0)
	v_ashrrev_i32_e32 v1, 31, v0
	global_store_dwordx2 v[2:3], v[0:1], off
.LBB217_1078:
	s_andn2_b64 vcc, exec, s[6:7]
	s_cbranch_vccnz .LBB217_1080
; %bb.1079:
	v_cvt_f32_f16_e32 v0, v4
	v_cvt_i32_f32_e32 v0, v0
	global_store_dword v[2:3], v0, off
.LBB217_1080:
	s_mov_b64 s[6:7], 0
.LBB217_1081:
	s_andn2_b64 vcc, exec, s[6:7]
	s_cbranch_vccnz .LBB217_1083
; %bb.1082:
	v_cvt_i16_f16_e32 v0, v4
	global_store_short v[2:3], v0, off
.LBB217_1083:
	s_mov_b64 s[6:7], 0
.LBB217_1084:
	s_andn2_b64 vcc, exec, s[6:7]
	s_cbranch_vccnz .LBB217_1089
; %bb.1085:
	s_sext_i32_i16 s6, s16
	s_cmp_gt_i32 s6, 0
	s_mov_b64 s[6:7], -1
	s_cbranch_scc0 .LBB217_1087
; %bb.1086:
	v_cvt_i16_f16_e32 v0, v4
	s_mov_b64 s[6:7], 0
	global_store_byte v[2:3], v0, off
.LBB217_1087:
	s_andn2_b64 vcc, exec, s[6:7]
	s_cbranch_vccnz .LBB217_1089
; %bb.1088:
	v_cvt_f32_f16_e32 v0, v4
	v_cvt_i32_f32_e32 v0, v0
	global_store_byte v[2:3], v0, off
.LBB217_1089:
	s_or_b64 exec, exec, s[2:3]
	s_waitcnt lgkmcnt(0)
	s_and_b64 s[24:25], s[4:5], exec
                                        ; implicit-def: $vgpr16
                                        ; implicit-def: $vgpr8
.LBB217_1090:
	s_or_saveexec_b64 s[26:27], s[44:45]
	s_mov_b64 s[6:7], 0
                                        ; implicit-def: $vgpr0_vgpr1
                                        ; implicit-def: $sgpr14
                                        ; implicit-def: $vgpr2
	s_xor_b64 exec, exec, s[26:27]
	s_cbranch_execz .LBB217_2094
; %bb.1091:
	v_cndmask_b32_e64 v0, 0, 1, s[42:43]
	v_cmp_ne_u32_e64 s[2:3], 1, v0
	s_andn2_b64 vcc, exec, s[42:43]
	s_cbranch_vccnz .LBB217_1097
; %bb.1092:
	s_cmp_lg_u32 s33, 0
	s_mov_b32 s36, 0
	s_cbranch_scc0 .LBB217_1098
; %bb.1093:
	s_min_u32 s37, s72, 15
	s_add_i32 s37, s37, 1
	s_cmp_eq_u32 s72, 2
	s_cbranch_scc1 .LBB217_1099
; %bb.1094:
	s_and_b32 s36, s37, 28
	s_add_u32 s28, s34, 0xc4
	s_addc_u32 s29, s35, 0
	s_mov_b32 s38, 0
	v_mov_b32_e32 v6, 0
	v_mov_b32_e32 v14, 0
	s_mov_b64 s[30:31], s[34:35]
	v_mov_b32_e32 v0, v8
.LBB217_1095:                           ; =>This Inner Loop Header: Depth=1
	s_load_dwordx8 s[12:19], s[30:31], 0x4
	s_load_dwordx4 s[20:23], s[30:31], 0x24
	s_load_dwordx8 s[4:11], s[28:29], 0x0
	s_add_u32 s30, s30, 48
	s_addc_u32 s31, s31, 0
	s_waitcnt vmcnt(0) lgkmcnt(0)
	v_mul_hi_u32 v1, s13, v0
	v_add_u32_e32 v1, v0, v1
	v_lshrrev_b32_e32 v1, s14, v1
	v_mul_lo_u32 v2, v1, s12
	v_mul_hi_u32 v3, s16, v1
	v_sub_u32_e32 v0, v0, v2
	v_add_u32_e32 v2, v1, v3
	v_lshrrev_b32_e32 v2, s17, v2
	v_mul_lo_u32 v4, v2, s15
	v_mul_hi_u32 v5, s19, v2
	v_sub_u32_e32 v1, v1, v4
	v_add_u32_e32 v4, v2, v5
	v_mul_lo_u32 v3, v0, s5
	v_mul_lo_u32 v0, v0, s4
	;; [unrolled: 1-line block ×4, first 2 shown]
	v_lshrrev_b32_e32 v4, s20, v4
	v_add3_u32 v1, v0, v6, v1
	v_add3_u32 v3, v3, v14, v5
	v_mul_lo_u32 v0, v4, s18
	v_mul_hi_u32 v5, s22, v4
	v_sub_u32_e32 v0, v2, v0
	v_add_u32_e32 v2, v4, v5
	v_mul_lo_u32 v5, v0, s8
	v_mul_lo_u32 v6, v0, s9
	v_lshrrev_b32_e32 v0, s23, v2
	s_add_i32 s38, s38, 4
	v_mul_lo_u32 v2, v0, s21
	s_add_u32 s28, s28, 32
	v_sub_u32_e32 v2, v4, v2
	s_addc_u32 s29, s29, 0
	v_mul_lo_u32 v4, v2, s10
	v_mul_lo_u32 v2, v2, s11
	s_cmp_lg_u32 s36, s38
	v_add3_u32 v14, v6, v3, v2
	v_add3_u32 v6, v5, v1, v4
	s_cbranch_scc1 .LBB217_1095
; %bb.1096:
	v_mov_b32_e32 v1, v14
	s_and_b32 s8, s37, 3
	s_cmp_eq_u32 s8, 0
	s_cbranch_scc0 .LBB217_1100
	s_branch .LBB217_1102
.LBB217_1097:
                                        ; implicit-def: $vgpr14
                                        ; implicit-def: $vgpr6
	s_branch .LBB217_1103
.LBB217_1098:
	v_mov_b32_e32 v14, 0
	v_mov_b32_e32 v6, 0
	s_branch .LBB217_1102
.LBB217_1099:
	v_mov_b32_e32 v6, 0
                                        ; implicit-def: $vgpr14
	s_waitcnt vmcnt(0)
	v_mov_b32_e32 v1, v6
	v_mov_b32_e32 v0, v8
	s_and_b32 s8, s37, 3
	s_cmp_eq_u32 s8, 0
	s_cbranch_scc1 .LBB217_1102
.LBB217_1100:
	s_lshl_b32 s4, s36, 3
	s_add_u32 s4, s34, s4
	s_addc_u32 s5, s35, 0
	s_add_u32 s4, s4, 0xc4
	s_addc_u32 s5, s5, 0
	s_mul_i32 s6, s36, 12
	s_add_u32 s6, s34, s6
	s_addc_u32 s7, s35, 0
.LBB217_1101:                           ; =>This Inner Loop Header: Depth=1
	s_load_dwordx2 s[10:11], s[6:7], 0x4
	s_load_dword s9, s[6:7], 0xc
	s_load_dwordx2 s[12:13], s[4:5], 0x0
	v_mov_b32_e32 v2, v1
	s_add_u32 s6, s6, 12
	s_waitcnt lgkmcnt(0)
	v_mul_hi_u32 v1, s11, v0
	v_add_u32_e32 v1, v0, v1
	v_lshrrev_b32_e32 v1, s9, v1
	s_addc_u32 s7, s7, 0
	v_mul_lo_u32 v3, v1, s10
	s_add_u32 s4, s4, 8
	v_sub_u32_e32 v3, v0, v3
	s_addc_u32 s5, s5, 0
	s_add_i32 s8, s8, -1
	v_mad_u64_u32 v[14:15], s[10:11], v3, s13, v[2:3]
	s_cmp_lg_u32 s8, 0
	v_mov_b32_e32 v0, v1
	v_mad_u64_u32 v[6:7], s[10:11], v3, s12, v[6:7]
	v_mov_b32_e32 v1, v14
	s_cbranch_scc1 .LBB217_1101
.LBB217_1102:
	s_cbranch_execnz .LBB217_1105
.LBB217_1103:
	s_load_dwordx4 s[4:7], s[34:35], 0x4
	s_load_dwordx2 s[8:9], s[34:35], 0xc4
	s_cmp_lt_u32 s33, 2
	s_waitcnt lgkmcnt(0)
	v_mul_hi_u32 v0, s5, v8
	v_add_u32_e32 v0, v8, v0
	v_lshrrev_b32_e32 v0, s6, v0
	s_waitcnt vmcnt(0)
	v_mul_lo_u32 v1, v0, s4
	v_sub_u32_e32 v1, v8, v1
	v_mul_lo_u32 v14, v1, s9
	v_mul_lo_u32 v6, v1, s8
	s_cbranch_scc1 .LBB217_1105
; %bb.1104:
	s_load_dwordx4 s[4:7], s[34:35], 0x10
	s_load_dwordx2 s[8:9], s[34:35], 0xcc
	s_waitcnt lgkmcnt(0)
	v_mul_hi_u32 v1, s5, v0
	v_add_u32_e32 v1, v0, v1
	v_lshrrev_b32_e32 v1, s6, v1
	v_mul_lo_u32 v1, v1, s4
	v_sub_u32_e32 v0, v0, v1
	v_mad_u64_u32 v[6:7], s[4:5], v0, s8, v[6:7]
	v_mad_u64_u32 v[14:15], s[4:5], v0, s9, v[14:15]
.LBB217_1105:
	s_and_b64 vcc, exec, s[2:3]
	v_add_u32_e32 v0, 0x80, v8
	s_cbranch_vccnz .LBB217_1111
; %bb.1106:
	s_cmp_lg_u32 s33, 0
	s_mov_b32 s36, 0
	s_cbranch_scc0 .LBB217_1112
; %bb.1107:
	s_min_u32 s37, s72, 15
	s_add_i32 s37, s37, 1
	s_cmp_eq_u32 s72, 2
	s_cbranch_scc1 .LBB217_1113
; %bb.1108:
	s_and_b32 s36, s37, 28
	s_add_u32 s28, s34, 0xc4
	s_addc_u32 s29, s35, 0
	s_mov_b32 s38, 0
	v_mov_b32_e32 v4, 0
	v_mov_b32_e32 v12, 0
	s_mov_b64 s[30:31], s[34:35]
	v_mov_b32_e32 v2, v0
.LBB217_1109:                           ; =>This Inner Loop Header: Depth=1
	s_load_dwordx8 s[12:19], s[30:31], 0x4
	s_load_dwordx4 s[20:23], s[30:31], 0x24
	s_load_dwordx8 s[4:11], s[28:29], 0x0
	s_add_u32 s30, s30, 48
	s_addc_u32 s31, s31, 0
	s_waitcnt vmcnt(0) lgkmcnt(0)
	v_mul_hi_u32 v1, s13, v2
	v_add_u32_e32 v1, v2, v1
	v_lshrrev_b32_e32 v1, s14, v1
	v_mul_lo_u32 v3, v1, s12
	v_mul_hi_u32 v5, s16, v1
	v_sub_u32_e32 v2, v2, v3
	v_add_u32_e32 v3, v1, v5
	v_lshrrev_b32_e32 v3, s17, v3
	v_mul_lo_u32 v7, v3, s15
	v_mul_hi_u32 v9, s19, v3
	v_sub_u32_e32 v1, v1, v7
	v_add_u32_e32 v7, v3, v9
	v_mul_lo_u32 v5, v2, s5
	v_mul_lo_u32 v2, v2, s4
	;; [unrolled: 1-line block ×4, first 2 shown]
	v_lshrrev_b32_e32 v7, s20, v7
	v_add3_u32 v1, v2, v4, v1
	v_add3_u32 v4, v5, v12, v9
	v_mul_lo_u32 v2, v7, s18
	v_mul_hi_u32 v5, s22, v7
	v_sub_u32_e32 v2, v3, v2
	v_add_u32_e32 v3, v7, v5
	v_mul_lo_u32 v5, v2, s8
	v_mul_lo_u32 v9, v2, s9
	v_lshrrev_b32_e32 v2, s23, v3
	s_add_i32 s38, s38, 4
	v_mul_lo_u32 v3, v2, s21
	s_add_u32 s28, s28, 32
	v_sub_u32_e32 v3, v7, v3
	s_addc_u32 s29, s29, 0
	v_mul_lo_u32 v7, v3, s10
	v_mul_lo_u32 v3, v3, s11
	s_cmp_lg_u32 s36, s38
	v_add3_u32 v12, v9, v4, v3
	v_add3_u32 v4, v5, v1, v7
	s_cbranch_scc1 .LBB217_1109
; %bb.1110:
	v_mov_b32_e32 v1, v12
	s_and_b32 s8, s37, 3
	s_cmp_eq_u32 s8, 0
	s_cbranch_scc0 .LBB217_1114
	s_branch .LBB217_1116
.LBB217_1111:
                                        ; implicit-def: $vgpr12
                                        ; implicit-def: $vgpr4
	s_branch .LBB217_1117
.LBB217_1112:
	v_mov_b32_e32 v12, 0
	v_mov_b32_e32 v4, 0
	s_branch .LBB217_1116
.LBB217_1113:
	v_mov_b32_e32 v4, 0
                                        ; implicit-def: $vgpr12
	s_waitcnt vmcnt(0)
	v_mov_b32_e32 v1, v4
	v_mov_b32_e32 v2, v0
	s_and_b32 s8, s37, 3
	s_cmp_eq_u32 s8, 0
	s_cbranch_scc1 .LBB217_1116
.LBB217_1114:
	s_lshl_b32 s4, s36, 3
	s_add_u32 s4, s34, s4
	s_addc_u32 s5, s35, 0
	s_add_u32 s4, s4, 0xc4
	s_addc_u32 s5, s5, 0
	s_mul_i32 s6, s36, 12
	s_add_u32 s6, s34, s6
	s_addc_u32 s7, s35, 0
.LBB217_1115:                           ; =>This Inner Loop Header: Depth=1
	s_load_dwordx2 s[10:11], s[6:7], 0x4
	s_load_dword s9, s[6:7], 0xc
	s_load_dwordx2 s[12:13], s[4:5], 0x0
	v_mov_b32_e32 v10, v1
	s_add_u32 s6, s6, 12
	s_waitcnt lgkmcnt(0)
	v_mul_hi_u32 v1, s11, v2
	v_add_u32_e32 v1, v2, v1
	v_lshrrev_b32_e32 v1, s9, v1
	s_addc_u32 s7, s7, 0
	v_mul_lo_u32 v3, v1, s10
	s_add_u32 s4, s4, 8
	v_sub_u32_e32 v3, v2, v3
	s_addc_u32 s5, s5, 0
	s_add_i32 s8, s8, -1
	v_mad_u64_u32 v[12:13], s[10:11], v3, s13, v[10:11]
	s_cmp_lg_u32 s8, 0
	v_mov_b32_e32 v2, v1
	v_mad_u64_u32 v[4:5], s[10:11], v3, s12, v[4:5]
	v_mov_b32_e32 v1, v12
	s_cbranch_scc1 .LBB217_1115
.LBB217_1116:
	s_cbranch_execnz .LBB217_1119
.LBB217_1117:
	s_load_dwordx4 s[4:7], s[34:35], 0x4
	s_load_dwordx2 s[8:9], s[34:35], 0xc4
	s_cmp_lt_u32 s33, 2
	s_waitcnt vmcnt(0) lgkmcnt(0)
	v_mul_hi_u32 v1, s5, v0
	v_add_u32_e32 v1, v0, v1
	v_lshrrev_b32_e32 v1, s6, v1
	v_mul_lo_u32 v2, v1, s4
	v_sub_u32_e32 v0, v0, v2
	v_mul_lo_u32 v12, v0, s9
	v_mul_lo_u32 v4, v0, s8
	s_cbranch_scc1 .LBB217_1119
; %bb.1118:
	s_load_dwordx4 s[4:7], s[34:35], 0x10
	s_load_dwordx2 s[8:9], s[34:35], 0xcc
	s_waitcnt lgkmcnt(0)
	v_mul_hi_u32 v0, s5, v1
	v_add_u32_e32 v0, v1, v0
	v_lshrrev_b32_e32 v0, s6, v0
	v_mul_lo_u32 v0, v0, s4
	v_sub_u32_e32 v0, v1, v0
	v_mad_u64_u32 v[4:5], s[4:5], v0, s8, v[4:5]
	v_mad_u64_u32 v[12:13], s[4:5], v0, s9, v[12:13]
.LBB217_1119:
	s_and_b64 vcc, exec, s[2:3]
	v_add_u32_e32 v0, 0x100, v8
	s_cbranch_vccnz .LBB217_1125
; %bb.1120:
	s_cmp_lg_u32 s33, 0
	s_mov_b32 s36, 0
	s_cbranch_scc0 .LBB217_1126
; %bb.1121:
	s_min_u32 s37, s72, 15
	s_add_i32 s37, s37, 1
	s_cmp_eq_u32 s72, 2
	s_cbranch_scc1 .LBB217_1127
; %bb.1122:
	s_and_b32 s36, s37, 28
	s_add_u32 s28, s34, 0xc4
	s_addc_u32 s29, s35, 0
	s_mov_b32 s38, 0
	v_mov_b32_e32 v2, 0
	v_mov_b32_e32 v10, 0
	s_mov_b64 s[30:31], s[34:35]
	v_mov_b32_e32 v5, v0
.LBB217_1123:                           ; =>This Inner Loop Header: Depth=1
	s_load_dwordx8 s[12:19], s[30:31], 0x4
	s_load_dwordx4 s[20:23], s[30:31], 0x24
	s_load_dwordx8 s[4:11], s[28:29], 0x0
	s_add_u32 s30, s30, 48
	s_addc_u32 s31, s31, 0
	s_waitcnt vmcnt(0) lgkmcnt(0)
	v_mul_hi_u32 v1, s13, v5
	v_add_u32_e32 v1, v5, v1
	v_lshrrev_b32_e32 v1, s14, v1
	v_mul_lo_u32 v3, v1, s12
	v_mul_hi_u32 v7, s16, v1
	v_sub_u32_e32 v3, v5, v3
	v_add_u32_e32 v5, v1, v7
	v_lshrrev_b32_e32 v5, s17, v5
	v_mul_lo_u32 v8, v5, s15
	v_mul_hi_u32 v9, s19, v5
	v_sub_u32_e32 v1, v1, v8
	v_add_u32_e32 v8, v5, v9
	v_mul_lo_u32 v7, v3, s5
	v_mul_lo_u32 v3, v3, s4
	;; [unrolled: 1-line block ×4, first 2 shown]
	v_lshrrev_b32_e32 v8, s20, v8
	v_add3_u32 v1, v3, v2, v1
	v_add3_u32 v2, v7, v10, v9
	v_mul_lo_u32 v3, v8, s18
	v_mul_hi_u32 v7, s22, v8
	v_sub_u32_e32 v3, v5, v3
	v_add_u32_e32 v5, v8, v7
	v_lshrrev_b32_e32 v5, s23, v5
	s_add_i32 s38, s38, 4
	v_mul_lo_u32 v9, v5, s21
	s_add_u32 s28, s28, 32
	v_sub_u32_e32 v8, v8, v9
	s_addc_u32 s29, s29, 0
	v_mul_lo_u32 v7, v3, s8
	v_mul_lo_u32 v3, v3, s9
	;; [unrolled: 1-line block ×4, first 2 shown]
	s_cmp_lg_u32 s36, s38
	v_add3_u32 v10, v3, v2, v8
	v_add3_u32 v2, v7, v1, v9
	s_cbranch_scc1 .LBB217_1123
; %bb.1124:
	v_mov_b32_e32 v1, v10
	s_and_b32 s8, s37, 3
	s_cmp_eq_u32 s8, 0
	s_cbranch_scc0 .LBB217_1128
	s_branch .LBB217_1130
.LBB217_1125:
                                        ; implicit-def: $vgpr10
                                        ; implicit-def: $vgpr2
	s_branch .LBB217_1131
.LBB217_1126:
	v_mov_b32_e32 v10, 0
	v_mov_b32_e32 v2, 0
	s_branch .LBB217_1130
.LBB217_1127:
	v_mov_b32_e32 v2, 0
                                        ; implicit-def: $vgpr10
	s_waitcnt vmcnt(0)
	v_mov_b32_e32 v1, v2
	v_mov_b32_e32 v5, v0
	s_and_b32 s8, s37, 3
	s_cmp_eq_u32 s8, 0
	s_cbranch_scc1 .LBB217_1130
.LBB217_1128:
	s_lshl_b32 s4, s36, 3
	s_add_u32 s4, s34, s4
	s_addc_u32 s5, s35, 0
	s_add_u32 s4, s4, 0xc4
	s_addc_u32 s5, s5, 0
	s_mul_i32 s6, s36, 12
	s_add_u32 s6, s34, s6
	s_addc_u32 s7, s35, 0
.LBB217_1129:                           ; =>This Inner Loop Header: Depth=1
	s_load_dwordx2 s[10:11], s[6:7], 0x4
	s_load_dword s9, s[6:7], 0xc
	s_load_dwordx2 s[12:13], s[4:5], 0x0
	v_mov_b32_e32 v8, v1
	s_add_u32 s6, s6, 12
	s_waitcnt lgkmcnt(0)
	v_mul_hi_u32 v1, s11, v5
	v_add_u32_e32 v1, v5, v1
	v_lshrrev_b32_e32 v1, s9, v1
	s_addc_u32 s7, s7, 0
	v_mul_lo_u32 v3, v1, s10
	s_add_u32 s4, s4, 8
	v_sub_u32_e32 v3, v5, v3
	s_addc_u32 s5, s5, 0
	s_add_i32 s8, s8, -1
	v_mad_u64_u32 v[10:11], s[10:11], v3, s13, v[8:9]
	s_cmp_lg_u32 s8, 0
	v_mov_b32_e32 v5, v1
	v_mad_u64_u32 v[2:3], s[10:11], v3, s12, v[2:3]
	v_mov_b32_e32 v1, v10
	s_cbranch_scc1 .LBB217_1129
.LBB217_1130:
	s_cbranch_execnz .LBB217_1133
.LBB217_1131:
	s_load_dwordx4 s[4:7], s[34:35], 0x4
	s_load_dwordx2 s[8:9], s[34:35], 0xc4
	s_cmp_lt_u32 s33, 2
	s_waitcnt vmcnt(0) lgkmcnt(0)
	v_mul_hi_u32 v1, s5, v0
	v_add_u32_e32 v1, v0, v1
	v_lshrrev_b32_e32 v1, s6, v1
	v_mul_lo_u32 v2, v1, s4
	v_sub_u32_e32 v0, v0, v2
	v_mul_lo_u32 v10, v0, s9
	v_mul_lo_u32 v2, v0, s8
	s_cbranch_scc1 .LBB217_1133
; %bb.1132:
	s_load_dwordx4 s[4:7], s[34:35], 0x10
	s_load_dwordx2 s[8:9], s[34:35], 0xcc
	s_waitcnt lgkmcnt(0)
	v_mul_hi_u32 v0, s5, v1
	v_add_u32_e32 v0, v1, v0
	v_lshrrev_b32_e32 v0, s6, v0
	v_mul_lo_u32 v0, v0, s4
	v_sub_u32_e32 v0, v1, v0
	v_mad_u64_u32 v[2:3], s[4:5], v0, s8, v[2:3]
	v_mad_u64_u32 v[10:11], s[4:5], v0, s9, v[10:11]
.LBB217_1133:
	s_and_b64 vcc, exec, s[2:3]
	s_cbranch_vccnz .LBB217_1139
; %bb.1134:
	s_cmp_lg_u32 s33, 0
	s_mov_b32 s30, 0
	s_cbranch_scc0 .LBB217_1140
; %bb.1135:
	s_min_u32 s31, s72, 15
	s_add_i32 s31, s31, 1
	s_cmp_eq_u32 s72, 2
	s_cbranch_scc1 .LBB217_1141
; %bb.1136:
	s_and_b32 s30, s31, 28
	s_add_u32 s2, s34, 0xc4
	s_addc_u32 s3, s35, 0
	s_mov_b32 s36, 0
	v_mov_b32_e32 v0, 0
	v_mov_b32_e32 v8, 0
	s_mov_b64 s[28:29], s[34:35]
	v_mov_b32_e32 v3, v16
.LBB217_1137:                           ; =>This Inner Loop Header: Depth=1
	s_load_dwordx8 s[12:19], s[28:29], 0x4
	s_load_dwordx4 s[20:23], s[28:29], 0x24
	s_load_dwordx8 s[4:11], s[2:3], 0x0
	s_add_u32 s28, s28, 48
	s_addc_u32 s29, s29, 0
	s_waitcnt vmcnt(0) lgkmcnt(0)
	v_mul_hi_u32 v1, s13, v3
	v_add_u32_e32 v1, v3, v1
	v_lshrrev_b32_e32 v1, s14, v1
	v_mul_lo_u32 v5, v1, s12
	v_mul_hi_u32 v7, s16, v1
	v_sub_u32_e32 v3, v3, v5
	v_add_u32_e32 v5, v1, v7
	v_lshrrev_b32_e32 v5, s17, v5
	v_mul_lo_u32 v9, v5, s15
	v_mul_hi_u32 v11, s19, v5
	v_sub_u32_e32 v1, v1, v9
	v_add_u32_e32 v9, v5, v11
	v_mul_lo_u32 v7, v3, s5
	v_mul_lo_u32 v3, v3, s4
	v_mul_lo_u32 v11, v1, s7
	v_mul_lo_u32 v1, v1, s6
	v_lshrrev_b32_e32 v9, s20, v9
	v_add3_u32 v0, v3, v0, v1
	v_add3_u32 v1, v7, v8, v11
	v_mul_lo_u32 v3, v9, s18
	v_mul_hi_u32 v7, s22, v9
	v_sub_u32_e32 v3, v5, v3
	v_add_u32_e32 v5, v9, v7
	v_mul_lo_u32 v7, v3, s8
	v_mul_lo_u32 v8, v3, s9
	v_lshrrev_b32_e32 v3, s23, v5
	s_add_i32 s36, s36, 4
	v_mul_lo_u32 v5, v3, s21
	s_add_u32 s2, s2, 32
	v_sub_u32_e32 v5, v9, v5
	s_addc_u32 s3, s3, 0
	v_mul_lo_u32 v9, v5, s10
	v_mul_lo_u32 v5, v5, s11
	s_cmp_lg_u32 s30, s36
	v_add3_u32 v8, v8, v1, v5
	v_add3_u32 v0, v7, v0, v9
	s_cbranch_scc1 .LBB217_1137
; %bb.1138:
	v_mov_b32_e32 v1, v8
	s_and_b32 s6, s31, 3
	s_cmp_eq_u32 s6, 0
	s_cbranch_scc0 .LBB217_1142
	s_branch .LBB217_1144
.LBB217_1139:
                                        ; implicit-def: $vgpr8
                                        ; implicit-def: $vgpr0
	s_branch .LBB217_1145
.LBB217_1140:
	v_mov_b32_e32 v8, 0
	v_mov_b32_e32 v0, 0
	s_branch .LBB217_1144
.LBB217_1141:
	v_mov_b32_e32 v0, 0
                                        ; implicit-def: $vgpr8
	s_waitcnt vmcnt(0)
	v_mov_b32_e32 v1, v0
	v_mov_b32_e32 v3, v16
	s_and_b32 s6, s31, 3
	s_cmp_eq_u32 s6, 0
	s_cbranch_scc1 .LBB217_1144
.LBB217_1142:
	s_lshl_b32 s2, s30, 3
	s_add_u32 s2, s34, s2
	s_addc_u32 s3, s35, 0
	s_add_u32 s2, s2, 0xc4
	s_addc_u32 s3, s3, 0
	s_mul_i32 s4, s30, 12
	s_add_u32 s4, s34, s4
	s_addc_u32 s5, s35, 0
.LBB217_1143:                           ; =>This Inner Loop Header: Depth=1
	s_load_dwordx2 s[8:9], s[4:5], 0x4
	s_load_dword s7, s[4:5], 0xc
	s_load_dwordx2 s[10:11], s[2:3], 0x0
	v_mov_b32_e32 v8, v1
	s_add_u32 s4, s4, 12
	s_waitcnt lgkmcnt(0)
	v_mul_hi_u32 v1, s9, v3
	v_add_u32_e32 v1, v3, v1
	v_lshrrev_b32_e32 v1, s7, v1
	s_addc_u32 s5, s5, 0
	v_mul_lo_u32 v5, v1, s8
	s_add_u32 s2, s2, 8
	v_sub_u32_e32 v5, v3, v5
	s_addc_u32 s3, s3, 0
	s_add_i32 s6, s6, -1
	v_mov_b32_e32 v3, v1
	v_mad_u64_u32 v[8:9], s[8:9], v5, s11, v[8:9]
	v_mad_u64_u32 v[0:1], s[8:9], v5, s10, v[0:1]
	s_cmp_lg_u32 s6, 0
	v_mov_b32_e32 v1, v8
	s_cbranch_scc1 .LBB217_1143
.LBB217_1144:
	s_cbranch_execnz .LBB217_1147
.LBB217_1145:
	s_load_dwordx4 s[4:7], s[34:35], 0x4
	s_load_dwordx2 s[2:3], s[34:35], 0xc4
	s_cmp_lt_u32 s33, 2
	s_waitcnt lgkmcnt(0)
	v_mul_hi_u32 v0, s5, v16
	v_add_u32_e32 v0, v16, v0
	s_waitcnt vmcnt(0)
	v_lshrrev_b32_e32 v1, s6, v0
	v_mul_lo_u32 v0, v1, s4
	v_sub_u32_e32 v0, v16, v0
	v_mul_lo_u32 v8, v0, s3
	v_mul_lo_u32 v0, v0, s2
	s_cbranch_scc1 .LBB217_1147
; %bb.1146:
	s_load_dwordx4 s[4:7], s[34:35], 0x10
	s_load_dwordx2 s[2:3], s[34:35], 0xcc
	s_waitcnt lgkmcnt(0)
	v_mul_hi_u32 v3, s5, v1
	v_add_u32_e32 v3, v1, v3
	v_lshrrev_b32_e32 v3, s6, v3
	v_mul_lo_u32 v3, v3, s4
	v_sub_u32_e32 v3, v1, v3
	v_mad_u64_u32 v[0:1], s[4:5], v3, s2, v[0:1]
	v_mad_u64_u32 v[8:9], s[2:3], v3, s3, v[8:9]
.LBB217_1147:
	s_load_dword s16, s[0:1], 0x160
	s_load_dwordx4 s[4:7], s[34:35], 0x148
	v_mov_b32_e32 v15, 0
	s_waitcnt lgkmcnt(0)
	s_bfe_u32 s14, s16, 0x80010
	s_cmp_lt_i32 s14, 11
	v_lshl_add_u64 v[14:15], s[6:7], 0, v[14:15]
	s_cbranch_scc1 .LBB217_1154
; %bb.1148:
	s_and_b32 s15, 0xffff, s14
	s_cmp_gt_i32 s15, 25
	s_mov_b64 s[8:9], 0
	s_cbranch_scc0 .LBB217_1156
; %bb.1149:
	s_cmp_gt_i32 s15, 28
	s_cbranch_scc0 .LBB217_1157
; %bb.1150:
	s_cmp_gt_i32 s15, 43
	;; [unrolled: 3-line block ×3, first 2 shown]
	s_cbranch_scc0 .LBB217_1159
; %bb.1152:
	s_cmp_eq_u32 s15, 46
	s_mov_b64 s[2:3], 0
	s_cbranch_scc0 .LBB217_1162
; %bb.1153:
	global_load_dword v1, v[14:15], off
	s_mov_b64 s[0:1], 0
	s_mov_b64 s[10:11], -1
	s_waitcnt vmcnt(0)
	v_lshlrev_b32_e32 v1, 16, v1
	v_cvt_f16_f32_e32 v1, v1
	s_branch .LBB217_1163
.LBB217_1154:
	s_mov_b64 s[10:11], 0
                                        ; implicit-def: $vgpr1
	s_mov_b64 s[2:3], s[24:25]
	s_cbranch_execnz .LBB217_1226
.LBB217_1155:
	s_andn2_b64 vcc, exec, s[10:11]
	s_cbranch_vccz .LBB217_1271
	s_branch .LBB217_2092
.LBB217_1156:
	s_mov_b64 s[10:11], 0
	s_mov_b64 s[0:1], 0
                                        ; implicit-def: $vgpr1
	s_cbranch_execnz .LBB217_1191
	s_branch .LBB217_1222
.LBB217_1157:
	s_mov_b64 s[2:3], -1
	s_mov_b64 s[10:11], 0
	s_mov_b64 s[0:1], 0
                                        ; implicit-def: $vgpr1
	s_branch .LBB217_1172
.LBB217_1158:
	s_mov_b64 s[10:11], 0
	s_mov_b64 s[0:1], 0
                                        ; implicit-def: $vgpr1
	s_cbranch_execnz .LBB217_1168
	s_branch .LBB217_1171
.LBB217_1159:
	s_mov_b64 s[2:3], -1
	s_mov_b64 s[10:11], 0
	s_mov_b64 s[0:1], 0
                                        ; implicit-def: $vgpr1
	s_branch .LBB217_1163
.LBB217_1160:
	s_andn2_saveexec_b64 s[12:13], s[12:13]
	s_cbranch_execz .LBB217_1003
.LBB217_1161:
	s_mov_b32 s14, 0x46000000
	v_add_f32_e64 v1, |v0|, s14
	v_and_b32_e32 v1, 0xff, v1
	v_cmp_ne_u32_e32 vcc, 0, v1
	s_andn2_b64 s[10:11], s[10:11], exec
	s_and_b64 s[14:15], vcc, exec
	s_or_b64 s[10:11], s[10:11], s[14:15]
	s_or_b64 exec, exec, s[12:13]
	v_mov_b32_e32 v5, 0
	s_and_saveexec_b64 s[12:13], s[10:11]
	s_cbranch_execnz .LBB217_1004
	s_branch .LBB217_1005
.LBB217_1162:
	s_mov_b64 s[0:1], -1
                                        ; implicit-def: $vgpr1
	s_mov_b64 s[10:11], 0
.LBB217_1163:
	s_and_b64 vcc, exec, s[2:3]
	s_cbranch_vccz .LBB217_1166
; %bb.1164:
	s_cmp_eq_u32 s15, 44
	s_cbranch_scc0 .LBB217_1167
; %bb.1165:
	global_load_ubyte v1, v[14:15], off
	s_movk_i32 s2, 0xff
	v_mov_b32_e32 v5, 0x7e00
	s_mov_b64 s[0:1], 0
	s_mov_b64 s[10:11], -1
	s_waitcnt vmcnt(0)
	v_lshlrev_b32_e32 v3, 23, v1
	v_cvt_f16_f32_e32 v3, v3
	v_cmp_ne_u32_e32 vcc, s2, v1
	s_nop 1
	v_cndmask_b32_e32 v3, v5, v3, vcc
	v_cmp_ne_u32_e32 vcc, 0, v1
	s_nop 1
	v_cndmask_b32_e32 v1, 0, v3, vcc
.LBB217_1166:
	s_branch .LBB217_1171
.LBB217_1167:
	s_mov_b64 s[0:1], -1
                                        ; implicit-def: $vgpr1
	s_branch .LBB217_1171
.LBB217_1168:
	s_cmp_eq_u32 s15, 29
	s_cbranch_scc0 .LBB217_1170
; %bb.1169:
	global_load_dwordx2 v[16:17], v[14:15], off
	s_mov_b64 s[0:1], 0
	s_mov_b64 s[10:11], -1
	s_mov_b64 s[2:3], 0
	s_waitcnt vmcnt(0)
	v_ffbh_u32_e32 v1, v17
	v_min_u32_e32 v1, 32, v1
	v_lshlrev_b64 v[16:17], v1, v[16:17]
	v_min_u32_e32 v3, 1, v16
	v_or_b32_e32 v3, v17, v3
	v_cvt_f32_u32_e32 v3, v3
	v_sub_u32_e32 v1, 32, v1
	v_ldexp_f32 v1, v3, v1
	v_cvt_f16_f32_e32 v1, v1
	s_branch .LBB217_1172
.LBB217_1170:
	s_mov_b64 s[0:1], -1
                                        ; implicit-def: $vgpr1
.LBB217_1171:
	s_mov_b64 s[2:3], 0
.LBB217_1172:
	s_and_b64 vcc, exec, s[2:3]
	s_cbranch_vccz .LBB217_1190
; %bb.1173:
	s_cmp_lt_i32 s15, 27
	s_cbranch_scc1 .LBB217_1176
; %bb.1174:
	s_cmp_gt_i32 s15, 27
	s_cbranch_scc0 .LBB217_1177
; %bb.1175:
	global_load_dword v1, v[14:15], off
	s_mov_b64 s[2:3], 0
	s_waitcnt vmcnt(0)
	v_cvt_f32_u32_e32 v1, v1
	v_cvt_f16_f32_e32 v1, v1
	s_branch .LBB217_1178
.LBB217_1176:
	s_mov_b64 s[2:3], -1
                                        ; implicit-def: $vgpr1
	s_branch .LBB217_1181
.LBB217_1177:
	s_mov_b64 s[2:3], -1
                                        ; implicit-def: $vgpr1
.LBB217_1178:
	s_andn2_b64 vcc, exec, s[2:3]
	s_cbranch_vccnz .LBB217_1180
; %bb.1179:
	global_load_ushort v1, v[14:15], off
	s_waitcnt vmcnt(0)
	v_cvt_f16_u16_e32 v1, v1
.LBB217_1180:
	s_mov_b64 s[2:3], 0
.LBB217_1181:
	s_andn2_b64 vcc, exec, s[2:3]
	s_cbranch_vccnz .LBB217_1189
; %bb.1182:
	global_load_ubyte v3, v[14:15], off
	s_movk_i32 s2, 0x7f
	s_waitcnt vmcnt(0)
	v_cmp_lt_i16_e32 vcc, s2, v3
	s_mov_b64 s[2:3], 0
	s_and_saveexec_b64 s[10:11], vcc
	s_xor_b64 s[10:11], exec, s[10:11]
	s_cbranch_execz .LBB217_1202
; %bb.1183:
	s_movk_i32 s2, 0x80
	v_cmp_eq_u16_e32 vcc, s2, v3
	s_mov_b64 s[2:3], -1
	s_and_saveexec_b64 s[12:13], vcc
; %bb.1184:
	s_xor_b64 s[2:3], exec, -1
; %bb.1185:
	s_or_b64 exec, exec, s[12:13]
	s_and_b64 s[2:3], s[2:3], exec
	s_or_saveexec_b64 s[10:11], s[10:11]
	v_mov_b32_e32 v1, 0x7e00
	s_xor_b64 exec, exec, s[10:11]
	s_cbranch_execnz .LBB217_1203
.LBB217_1186:
	s_or_b64 exec, exec, s[10:11]
	s_and_saveexec_b64 s[10:11], s[2:3]
	s_cbranch_execz .LBB217_1188
.LBB217_1187:
	v_lshlrev_b32_e32 v1, 24, v3
	v_and_b32_e32 v3, 0xffff, v3
	v_and_b32_e32 v5, 7, v3
	v_ffbh_u32_e32 v9, v5
	v_min_u32_e32 v9, 32, v9
	v_subrev_u32_e32 v11, 28, v9
	v_bfe_u32 v7, v3, 3, 4
	v_lshlrev_b32_e32 v3, v11, v3
	v_sub_u32_e32 v9, 29, v9
	v_and_b32_e32 v3, 7, v3
	v_cmp_eq_u32_e32 vcc, 0, v7
	v_and_b32_e32 v1, 0x80000000, v1
	s_nop 0
	v_cndmask_b32_e32 v7, v7, v9, vcc
	v_cndmask_b32_e32 v3, v5, v3, vcc
	v_mov_b32_e32 v5, 0x3b800000
	v_lshlrev_b32_e32 v3, 20, v3
	v_lshl_add_u32 v5, v7, 23, v5
	v_or3_b32 v1, v1, v5, v3
	v_cvt_f16_f32_e32 v1, v1
.LBB217_1188:
	s_or_b64 exec, exec, s[10:11]
.LBB217_1189:
	s_mov_b64 s[10:11], -1
.LBB217_1190:
	s_branch .LBB217_1222
.LBB217_1191:
	s_cmp_gt_i32 s15, 22
	s_cbranch_scc0 .LBB217_1201
; %bb.1192:
	s_cmp_lt_i32 s15, 24
	s_cbranch_scc1 .LBB217_1204
; %bb.1193:
	s_cmp_gt_i32 s15, 24
	s_cbranch_scc0 .LBB217_1205
; %bb.1194:
	global_load_ubyte v3, v[14:15], off
	s_movk_i32 s2, 0x7f
	s_waitcnt vmcnt(0)
	v_cmp_lt_i16_e32 vcc, s2, v3
	s_mov_b64 s[2:3], 0
	s_and_saveexec_b64 s[8:9], vcc
	s_xor_b64 s[8:9], exec, s[8:9]
	s_cbranch_execz .LBB217_1216
; %bb.1195:
	s_movk_i32 s2, 0x80
	v_cmp_eq_u16_e32 vcc, s2, v3
	s_mov_b64 s[2:3], -1
	s_and_saveexec_b64 s[10:11], vcc
; %bb.1196:
	s_xor_b64 s[2:3], exec, -1
; %bb.1197:
	s_or_b64 exec, exec, s[10:11]
	s_and_b64 s[2:3], s[2:3], exec
	s_or_saveexec_b64 s[8:9], s[8:9]
	v_mov_b32_e32 v1, 0x7e00
	s_xor_b64 exec, exec, s[8:9]
	s_cbranch_execnz .LBB217_1217
.LBB217_1198:
	s_or_b64 exec, exec, s[8:9]
	s_and_saveexec_b64 s[8:9], s[2:3]
	s_cbranch_execz .LBB217_1200
.LBB217_1199:
	v_lshlrev_b32_e32 v1, 24, v3
	v_and_b32_e32 v3, 0xffff, v3
	v_and_b32_e32 v5, 3, v3
	v_ffbh_u32_e32 v9, v5
	v_min_u32_e32 v9, 32, v9
	v_subrev_u32_e32 v11, 29, v9
	v_bfe_u32 v7, v3, 2, 5
	v_lshlrev_b32_e32 v3, v11, v3
	v_sub_u32_e32 v9, 30, v9
	v_and_b32_e32 v3, 3, v3
	v_cmp_eq_u32_e32 vcc, 0, v7
	v_and_b32_e32 v1, 0x80000000, v1
	s_nop 0
	v_cndmask_b32_e32 v7, v7, v9, vcc
	v_cndmask_b32_e32 v3, v5, v3, vcc
	v_mov_b32_e32 v5, 0x37800000
	v_lshlrev_b32_e32 v3, 21, v3
	v_lshl_add_u32 v5, v7, 23, v5
	v_or3_b32 v1, v1, v5, v3
	v_cvt_f16_f32_e32 v1, v1
.LBB217_1200:
	s_or_b64 exec, exec, s[8:9]
	s_mov_b64 s[2:3], 0
	s_branch .LBB217_1206
.LBB217_1201:
                                        ; implicit-def: $vgpr1
	s_mov_b64 s[8:9], 0
	s_branch .LBB217_1212
.LBB217_1202:
	s_or_saveexec_b64 s[10:11], s[10:11]
	v_mov_b32_e32 v1, 0x7e00
	s_xor_b64 exec, exec, s[10:11]
	s_cbranch_execz .LBB217_1186
.LBB217_1203:
	v_cmp_ne_u16_e32 vcc, 0, v3
	s_andn2_b64 s[2:3], s[2:3], exec
	s_and_b64 s[12:13], vcc, exec
	s_or_b64 s[2:3], s[2:3], s[12:13]
	v_mov_b32_e32 v1, v3
	s_or_b64 exec, exec, s[10:11]
	s_and_saveexec_b64 s[10:11], s[2:3]
	s_cbranch_execnz .LBB217_1187
	s_branch .LBB217_1188
.LBB217_1204:
	s_mov_b64 s[2:3], -1
                                        ; implicit-def: $vgpr1
	s_branch .LBB217_1209
.LBB217_1205:
	s_mov_b64 s[2:3], -1
                                        ; implicit-def: $vgpr1
.LBB217_1206:
	s_and_b64 vcc, exec, s[2:3]
	s_cbranch_vccz .LBB217_1208
; %bb.1207:
	global_load_ubyte v1, v[14:15], off
	s_mov_b32 s2, 0x7f800000
	s_waitcnt vmcnt(0)
	v_lshlrev_b32_e32 v1, 24, v1
	v_and_b32_e32 v3, 0x7f000000, v1
	v_ffbh_u32_e32 v5, v3
	v_min_u32_e32 v5, 32, v5
	v_sub_u32_e64 v5, v5, 4 clamp
	v_lshlrev_b32_e32 v9, v5, v3
	v_lshlrev_b32_e32 v5, 23, v5
	v_lshrrev_b32_e32 v9, 4, v9
	v_add_u32_e32 v7, 0x1000000, v3
	v_sub_u32_e32 v5, v9, v5
	v_ashrrev_i32_e32 v7, 8, v7
	v_add_u32_e32 v5, 0x3c000000, v5
	v_and_or_b32 v5, v7, s2, v5
	v_cmp_ne_u32_e32 vcc, 0, v3
	s_brev_b32 s2, 1
	s_nop 0
	v_cndmask_b32_e32 v3, 0, v5, vcc
	v_and_or_b32 v1, v1, s2, v3
	v_cvt_f16_f32_e32 v1, v1
.LBB217_1208:
	s_mov_b64 s[2:3], 0
.LBB217_1209:
	s_andn2_b64 vcc, exec, s[2:3]
	s_cbranch_vccnz .LBB217_1211
; %bb.1210:
	global_load_ubyte v1, v[14:15], off
	s_movk_i32 s2, 0x7f00
	s_brev_b32 s3, 16
	s_waitcnt vmcnt(0)
	v_lshlrev_b16_e32 v3, 8, v1
	v_lshlrev_b32_e32 v1, 25, v1
	v_lshrrev_b32_e32 v5, 4, v1
	v_and_or_b32 v7, v3, s2, 0.5
	v_or_b32_e32 v5, 0x70000000, v5
	v_add_f32_e32 v7, -0.5, v7
	v_mul_f32_e32 v5, 0x7800000, v5
	v_cmp_gt_u32_e32 vcc, s3, v1
	v_bfe_i32 v3, v3, 0, 16
	s_brev_b32 s2, 1
	v_cndmask_b32_e32 v1, v5, v7, vcc
	v_and_or_b32 v1, v3, s2, v1
	v_cvt_f16_f32_e32 v1, v1
.LBB217_1211:
	s_mov_b64 s[10:11], -1
	s_mov_b64 s[8:9], 0
	s_cbranch_execnz .LBB217_1222
.LBB217_1212:
	s_cmp_gt_i32 s15, 14
	s_cbranch_scc0 .LBB217_1215
; %bb.1213:
	s_cmp_eq_u32 s15, 15
	s_cbranch_scc0 .LBB217_1218
; %bb.1214:
	global_load_ushort v1, v[14:15], off
	s_mov_b64 s[0:1], 0
	s_mov_b64 s[10:11], -1
	s_waitcnt vmcnt(0)
	v_lshlrev_b32_e32 v1, 16, v1
	v_cvt_f16_f32_e32 v1, v1
	s_branch .LBB217_1219
.LBB217_1215:
	s_mov_b64 s[2:3], -1
                                        ; implicit-def: $vgpr1
	s_branch .LBB217_1220
.LBB217_1216:
	s_or_saveexec_b64 s[8:9], s[8:9]
	v_mov_b32_e32 v1, 0x7e00
	s_xor_b64 exec, exec, s[8:9]
	s_cbranch_execz .LBB217_1198
.LBB217_1217:
	v_cmp_ne_u16_e32 vcc, 0, v3
	s_andn2_b64 s[2:3], s[2:3], exec
	s_and_b64 s[10:11], vcc, exec
	s_or_b64 s[2:3], s[2:3], s[10:11]
	v_mov_b32_e32 v1, v3
	s_or_b64 exec, exec, s[8:9]
	s_and_saveexec_b64 s[8:9], s[2:3]
	s_cbranch_execnz .LBB217_1199
	s_branch .LBB217_1200
.LBB217_1218:
	s_mov_b64 s[0:1], -1
                                        ; implicit-def: $vgpr1
.LBB217_1219:
	s_mov_b64 s[2:3], 0
.LBB217_1220:
	s_and_b64 vcc, exec, s[2:3]
	s_cbranch_vccz .LBB217_1222
; %bb.1221:
	s_cmp_lg_u32 s15, 11
	s_mov_b64 s[8:9], -1
	s_cselect_b64 s[0:1], -1, 0
.LBB217_1222:
	s_and_b64 vcc, exec, s[0:1]
	s_mov_b64 s[2:3], s[24:25]
	s_cbranch_vccnz .LBB217_1283
; %bb.1223:
	s_andn2_b64 vcc, exec, s[8:9]
	s_cbranch_vccnz .LBB217_1225
.LBB217_1224:
	global_load_ubyte v1, v[14:15], off
	v_mov_b32_e32 v3, 0x3c00
	s_mov_b64 s[10:11], -1
	s_waitcnt vmcnt(0)
	v_cmp_ne_u16_e32 vcc, 0, v1
	s_nop 1
	v_cndmask_b32_e32 v1, 0, v3, vcc
.LBB217_1225:
	s_branch .LBB217_1155
.LBB217_1226:
	s_and_b32 s8, 0xffff, s14
	s_cmp_lt_i32 s8, 5
	s_cbranch_scc1 .LBB217_1231
; %bb.1227:
	s_cmp_lt_i32 s8, 8
	s_cbranch_scc1 .LBB217_1232
; %bb.1228:
	;; [unrolled: 3-line block ×3, first 2 shown]
	s_cmp_gt_i32 s8, 9
	s_cbranch_scc0 .LBB217_1234
; %bb.1230:
	global_load_dwordx2 v[16:17], v[14:15], off
	s_movk_i32 s0, 0x1ff
	s_movk_i32 s1, 0xffe
	s_waitcnt vmcnt(1)
	v_mov_b32_e32 v1, 0x7c00
	v_mov_b32_e32 v3, 0x7e00
	s_movk_i32 s9, 0x40f
	s_mov_b32 s10, 0x8000
	s_waitcnt vmcnt(0)
	v_and_or_b32 v5, v17, s0, v16
	v_cmp_ne_u32_e32 vcc, 0, v5
	v_lshrrev_b32_e32 v7, 8, v17
	v_bfe_u32 v9, v17, 20, 11
	v_cndmask_b32_e64 v5, 0, 1, vcc
	v_sub_u32_e32 v13, 0x3f1, v9
	v_and_or_b32 v5, v7, s1, v5
	v_add_u32_e32 v9, 0xfffffc10, v9
	v_med3_i32 v7, v13, 0, 13
	v_or_b32_e32 v13, 0x1000, v5
	v_lshl_or_b32 v16, v9, 12, v5
	v_cmp_ne_u32_e32 vcc, 0, v5
	v_lshrrev_b32_e32 v5, v7, v13
	v_lshlrev_b32_e32 v7, v7, v5
	v_cndmask_b32_e32 v3, v1, v3, vcc
	v_cmp_ne_u32_e32 vcc, v7, v13
	v_lshrrev_b32_e32 v11, 16, v17
	s_mov_b64 s[0:1], 0
	v_cndmask_b32_e64 v7, 0, 1, vcc
	v_or_b32_e32 v5, v5, v7
	v_cmp_gt_i32_e32 vcc, 1, v9
	s_nop 1
	v_cndmask_b32_e32 v5, v16, v5, vcc
	v_and_b32_e32 v7, 7, v5
	v_cmp_lt_i32_e32 vcc, 5, v7
	v_lshrrev_b32_e32 v5, 2, v5
	s_nop 0
	v_cndmask_b32_e64 v13, 0, 1, vcc
	v_cmp_eq_u32_e32 vcc, 3, v7
	s_nop 1
	v_cndmask_b32_e64 v7, 0, 1, vcc
	v_or_b32_e32 v7, v7, v13
	v_add_u32_e32 v5, v5, v7
	v_cmp_gt_i32_e32 vcc, 31, v9
	s_nop 1
	v_cndmask_b32_e32 v1, v1, v5, vcc
	v_cmp_eq_u32_e32 vcc, s9, v9
	s_nop 1
	v_cndmask_b32_e32 v1, v1, v3, vcc
	v_and_or_b32 v1, v11, s10, v1
	s_branch .LBB217_1235
.LBB217_1231:
                                        ; implicit-def: $vgpr1
	s_branch .LBB217_1252
.LBB217_1232:
                                        ; implicit-def: $vgpr1
	s_branch .LBB217_1241
.LBB217_1233:
	s_mov_b64 s[0:1], -1
                                        ; implicit-def: $vgpr1
	s_branch .LBB217_1238
.LBB217_1234:
	s_mov_b64 s[0:1], -1
                                        ; implicit-def: $vgpr1
.LBB217_1235:
	s_andn2_b64 vcc, exec, s[0:1]
	s_cbranch_vccnz .LBB217_1237
; %bb.1236:
	global_load_dword v1, v[14:15], off
	s_waitcnt vmcnt(0)
	v_cvt_f16_f32_e32 v1, v1
.LBB217_1237:
	s_mov_b64 s[0:1], 0
.LBB217_1238:
	s_andn2_b64 vcc, exec, s[0:1]
	s_cbranch_vccnz .LBB217_1240
; %bb.1239:
	global_load_dword v1, v[14:15], off
.LBB217_1240:
	s_cbranch_execnz .LBB217_1251
.LBB217_1241:
	s_cmp_lt_i32 s8, 6
	s_cbranch_scc1 .LBB217_1244
; %bb.1242:
	s_cmp_gt_i32 s8, 6
	s_cbranch_scc0 .LBB217_1245
; %bb.1243:
	global_load_dwordx2 v[16:17], v[14:15], off
	s_movk_i32 s0, 0x1ff
	s_movk_i32 s1, 0xffe
	s_waitcnt vmcnt(1)
	v_mov_b32_e32 v1, 0x7c00
	v_mov_b32_e32 v3, 0x7e00
	s_movk_i32 s9, 0x40f
	s_mov_b32 s10, 0x8000
	s_waitcnt vmcnt(0)
	v_and_or_b32 v5, v17, s0, v16
	v_cmp_ne_u32_e32 vcc, 0, v5
	v_lshrrev_b32_e32 v7, 8, v17
	v_bfe_u32 v9, v17, 20, 11
	v_cndmask_b32_e64 v5, 0, 1, vcc
	v_sub_u32_e32 v13, 0x3f1, v9
	v_and_or_b32 v5, v7, s1, v5
	v_add_u32_e32 v9, 0xfffffc10, v9
	v_med3_i32 v7, v13, 0, 13
	v_or_b32_e32 v13, 0x1000, v5
	v_lshl_or_b32 v16, v9, 12, v5
	v_cmp_ne_u32_e32 vcc, 0, v5
	v_lshrrev_b32_e32 v5, v7, v13
	v_lshlrev_b32_e32 v7, v7, v5
	v_cndmask_b32_e32 v3, v1, v3, vcc
	v_cmp_ne_u32_e32 vcc, v7, v13
	v_lshrrev_b32_e32 v11, 16, v17
	s_mov_b64 s[0:1], 0
	v_cndmask_b32_e64 v7, 0, 1, vcc
	v_or_b32_e32 v5, v5, v7
	v_cmp_gt_i32_e32 vcc, 1, v9
	s_nop 1
	v_cndmask_b32_e32 v5, v16, v5, vcc
	v_and_b32_e32 v7, 7, v5
	v_cmp_lt_i32_e32 vcc, 5, v7
	v_lshrrev_b32_e32 v5, 2, v5
	s_nop 0
	v_cndmask_b32_e64 v13, 0, 1, vcc
	v_cmp_eq_u32_e32 vcc, 3, v7
	s_nop 1
	v_cndmask_b32_e64 v7, 0, 1, vcc
	v_or_b32_e32 v7, v7, v13
	v_add_u32_e32 v5, v5, v7
	v_cmp_gt_i32_e32 vcc, 31, v9
	s_nop 1
	v_cndmask_b32_e32 v1, v1, v5, vcc
	v_cmp_eq_u32_e32 vcc, s9, v9
	s_nop 1
	v_cndmask_b32_e32 v1, v1, v3, vcc
	v_and_or_b32 v1, v11, s10, v1
	s_branch .LBB217_1246
.LBB217_1244:
	s_mov_b64 s[0:1], -1
                                        ; implicit-def: $vgpr1
	s_branch .LBB217_1249
.LBB217_1245:
	s_mov_b64 s[0:1], -1
                                        ; implicit-def: $vgpr1
.LBB217_1246:
	s_andn2_b64 vcc, exec, s[0:1]
	s_cbranch_vccnz .LBB217_1248
; %bb.1247:
	global_load_dword v1, v[14:15], off
	s_waitcnt vmcnt(0)
	v_cvt_f16_f32_e32 v1, v1
.LBB217_1248:
	s_mov_b64 s[0:1], 0
.LBB217_1249:
	s_andn2_b64 vcc, exec, s[0:1]
	s_cbranch_vccnz .LBB217_1251
; %bb.1250:
	global_load_ushort v1, v[14:15], off
.LBB217_1251:
	s_cbranch_execnz .LBB217_1270
.LBB217_1252:
	s_cmp_lt_i32 s8, 2
	s_cbranch_scc1 .LBB217_1256
; %bb.1253:
	s_cmp_lt_i32 s8, 3
	s_cbranch_scc1 .LBB217_1257
; %bb.1254:
	s_cmp_gt_i32 s8, 3
	s_cbranch_scc0 .LBB217_1258
; %bb.1255:
	global_load_dwordx2 v[16:17], v[14:15], off
	s_mov_b64 s[0:1], 0
	s_waitcnt vmcnt(0)
	v_xor_b32_e32 v3, v16, v17
	v_ffbh_i32_e32 v1, v17
	v_ashrrev_i32_e32 v3, 31, v3
	v_add_u32_e32 v1, -1, v1
	v_add_u32_e32 v3, 32, v3
	v_min_u32_e32 v1, v1, v3
	v_lshlrev_b64 v[16:17], v1, v[16:17]
	v_min_u32_e32 v3, 1, v16
	v_or_b32_e32 v3, v17, v3
	v_cvt_f32_i32_e32 v3, v3
	v_sub_u32_e32 v1, 32, v1
	v_ldexp_f32 v1, v3, v1
	v_cvt_f16_f32_e32 v1, v1
	s_branch .LBB217_1259
.LBB217_1256:
                                        ; implicit-def: $vgpr1
	s_branch .LBB217_1265
.LBB217_1257:
	s_mov_b64 s[0:1], -1
                                        ; implicit-def: $vgpr1
	s_branch .LBB217_1262
.LBB217_1258:
	s_mov_b64 s[0:1], -1
                                        ; implicit-def: $vgpr1
.LBB217_1259:
	s_andn2_b64 vcc, exec, s[0:1]
	s_cbranch_vccnz .LBB217_1261
; %bb.1260:
	global_load_dword v1, v[14:15], off
	s_waitcnt vmcnt(0)
	v_cvt_f32_i32_e32 v1, v1
	v_cvt_f16_f32_e32 v1, v1
.LBB217_1261:
	s_mov_b64 s[0:1], 0
.LBB217_1262:
	s_andn2_b64 vcc, exec, s[0:1]
	s_cbranch_vccnz .LBB217_1264
; %bb.1263:
	global_load_ushort v1, v[14:15], off
	s_waitcnt vmcnt(0)
	v_cvt_f16_i16_e32 v1, v1
.LBB217_1264:
	s_cbranch_execnz .LBB217_1270
.LBB217_1265:
	s_cmp_gt_i32 s8, 0
	s_cbranch_scc0 .LBB217_1267
; %bb.1266:
	global_load_sbyte v1, v[14:15], off
	s_mov_b64 s[0:1], 0
	s_waitcnt vmcnt(0)
	v_cvt_f16_i16_e32 v1, v1
	s_branch .LBB217_1268
.LBB217_1267:
	s_mov_b64 s[0:1], -1
                                        ; implicit-def: $vgpr1
.LBB217_1268:
	s_andn2_b64 vcc, exec, s[0:1]
	s_cbranch_vccnz .LBB217_1270
; %bb.1269:
	global_load_ubyte v1, v[14:15], off
	s_waitcnt vmcnt(0)
	v_cvt_f16_u16_e32 v1, v1
.LBB217_1270:
.LBB217_1271:
	s_lshr_b32 s0, s16, 16
	v_mov_b32_e32 v13, 0
	s_and_b32 s17, s0, 0xff
	s_cmp_lt_i32 s17, 11
	v_lshl_add_u64 v[12:13], s[6:7], 0, v[12:13]
	s_cbranch_scc1 .LBB217_1278
; %bb.1272:
	s_and_b32 s18, 0xffff, s17
	s_cmp_gt_i32 s18, 25
	s_mov_b64 s[8:9], 0
	s_cbranch_scc0 .LBB217_1280
; %bb.1273:
	s_cmp_gt_i32 s18, 28
	s_cbranch_scc0 .LBB217_1281
; %bb.1274:
	s_cmp_gt_i32 s18, 43
	;; [unrolled: 3-line block ×3, first 2 shown]
	s_cbranch_scc0 .LBB217_1284
; %bb.1276:
	s_cmp_eq_u32 s18, 46
	s_mov_b64 s[12:13], 0
	s_cbranch_scc0 .LBB217_1287
; %bb.1277:
	global_load_dword v3, v[12:13], off
	s_mov_b64 s[0:1], 0
	s_mov_b64 s[10:11], -1
	s_waitcnt vmcnt(0)
	v_lshlrev_b32_e32 v3, 16, v3
	v_cvt_f16_f32_e32 v3, v3
	s_branch .LBB217_1288
.LBB217_1278:
	s_mov_b64 s[10:11], 0
                                        ; implicit-def: $vgpr3
	s_cbranch_execnz .LBB217_1353
.LBB217_1279:
	s_andn2_b64 vcc, exec, s[10:11]
	s_cbranch_vccnz .LBB217_2092
	s_branch .LBB217_1400
.LBB217_1280:
	s_mov_b64 s[10:11], 0
	s_mov_b64 s[0:1], 0
                                        ; implicit-def: $vgpr3
	s_cbranch_execnz .LBB217_1317
	s_branch .LBB217_1349
.LBB217_1281:
	s_mov_b64 s[12:13], -1
	s_mov_b64 s[10:11], 0
	s_mov_b64 s[0:1], 0
                                        ; implicit-def: $vgpr3
	s_branch .LBB217_1298
.LBB217_1282:
	s_mov_b64 s[12:13], -1
	s_mov_b64 s[10:11], 0
	s_mov_b64 s[0:1], 0
                                        ; implicit-def: $vgpr3
	s_branch .LBB217_1293
.LBB217_1283:
	s_or_b64 s[2:3], s[24:25], exec
	s_trap 2
	s_cbranch_execz .LBB217_1224
	s_branch .LBB217_1225
.LBB217_1284:
	s_mov_b64 s[12:13], -1
	s_mov_b64 s[10:11], 0
	s_mov_b64 s[0:1], 0
                                        ; implicit-def: $vgpr3
	s_branch .LBB217_1288
.LBB217_1285:
	s_andn2_saveexec_b64 s[14:15], s[14:15]
	s_cbranch_execz .LBB217_1015
.LBB217_1286:
	s_mov_b32 s18, 0x42800000
	v_add_f32_e64 v1, |v0|, s18
	v_and_b32_e32 v1, 0xff, v1
	v_cmp_ne_u32_e32 vcc, 0, v1
	s_andn2_b64 s[12:13], s[12:13], exec
	s_and_b64 s[18:19], vcc, exec
	s_or_b64 s[12:13], s[12:13], s[18:19]
	s_or_b64 exec, exec, s[14:15]
	v_mov_b32_e32 v5, 0
	s_and_saveexec_b64 s[14:15], s[12:13]
	s_cbranch_execnz .LBB217_1016
	s_branch .LBB217_1017
.LBB217_1287:
	s_mov_b64 s[0:1], -1
                                        ; implicit-def: $vgpr3
	s_mov_b64 s[10:11], 0
.LBB217_1288:
	s_and_b64 vcc, exec, s[12:13]
	s_cbranch_vccz .LBB217_1292
; %bb.1289:
	s_cmp_eq_u32 s18, 44
	s_cbranch_scc0 .LBB217_1291
; %bb.1290:
	global_load_ubyte v3, v[12:13], off
	s_movk_i32 s10, 0xff
	v_mov_b32_e32 v7, 0x7e00
	s_mov_b64 s[0:1], 0
	s_waitcnt vmcnt(0)
	v_lshlrev_b32_e32 v5, 23, v3
	v_cvt_f16_f32_e32 v5, v5
	v_cmp_ne_u32_e32 vcc, s10, v3
	s_mov_b64 s[10:11], -1
	s_nop 0
	v_cndmask_b32_e32 v5, v7, v5, vcc
	v_cmp_ne_u32_e32 vcc, 0, v3
	s_nop 1
	v_cndmask_b32_e32 v3, 0, v5, vcc
	s_branch .LBB217_1292
.LBB217_1291:
	s_mov_b64 s[0:1], -1
                                        ; implicit-def: $vgpr3
.LBB217_1292:
	s_mov_b64 s[12:13], 0
.LBB217_1293:
	s_and_b64 vcc, exec, s[12:13]
	s_cbranch_vccz .LBB217_1297
; %bb.1294:
	s_cmp_eq_u32 s18, 29
	s_cbranch_scc0 .LBB217_1296
; %bb.1295:
	global_load_dwordx2 v[14:15], v[12:13], off
	s_mov_b64 s[0:1], 0
	s_mov_b64 s[10:11], -1
	s_mov_b64 s[12:13], 0
	s_waitcnt vmcnt(0)
	v_ffbh_u32_e32 v3, v15
	v_min_u32_e32 v3, 32, v3
	v_lshlrev_b64 v[14:15], v3, v[14:15]
	v_min_u32_e32 v5, 1, v14
	v_or_b32_e32 v5, v15, v5
	v_cvt_f32_u32_e32 v5, v5
	v_sub_u32_e32 v3, 32, v3
	v_ldexp_f32 v3, v5, v3
	v_cvt_f16_f32_e32 v3, v3
	s_branch .LBB217_1298
.LBB217_1296:
	s_mov_b64 s[0:1], -1
                                        ; implicit-def: $vgpr3
.LBB217_1297:
	s_mov_b64 s[12:13], 0
.LBB217_1298:
	s_and_b64 vcc, exec, s[12:13]
	s_cbranch_vccz .LBB217_1316
; %bb.1299:
	s_cmp_lt_i32 s18, 27
	s_cbranch_scc1 .LBB217_1302
; %bb.1300:
	s_cmp_gt_i32 s18, 27
	s_cbranch_scc0 .LBB217_1303
; %bb.1301:
	global_load_dword v3, v[12:13], off
	s_mov_b64 s[10:11], 0
	s_waitcnt vmcnt(0)
	v_cvt_f32_u32_e32 v3, v3
	v_cvt_f16_f32_e32 v3, v3
	s_branch .LBB217_1304
.LBB217_1302:
	s_mov_b64 s[10:11], -1
                                        ; implicit-def: $vgpr3
	s_branch .LBB217_1307
.LBB217_1303:
	s_mov_b64 s[10:11], -1
                                        ; implicit-def: $vgpr3
.LBB217_1304:
	s_andn2_b64 vcc, exec, s[10:11]
	s_cbranch_vccnz .LBB217_1306
; %bb.1305:
	global_load_ushort v3, v[12:13], off
	s_waitcnt vmcnt(0)
	v_cvt_f16_u16_e32 v3, v3
.LBB217_1306:
	s_mov_b64 s[10:11], 0
.LBB217_1307:
	s_andn2_b64 vcc, exec, s[10:11]
	s_cbranch_vccnz .LBB217_1315
; %bb.1308:
	global_load_ubyte v5, v[12:13], off
	s_movk_i32 s10, 0x7f
	s_waitcnt vmcnt(0)
	v_cmp_lt_i16_e32 vcc, s10, v5
	s_mov_b64 s[10:11], 0
	s_and_saveexec_b64 s[12:13], vcc
	s_xor_b64 s[12:13], exec, s[12:13]
	s_cbranch_execz .LBB217_1328
; %bb.1309:
	s_movk_i32 s10, 0x80
	v_cmp_eq_u16_e32 vcc, s10, v5
	s_mov_b64 s[10:11], -1
	s_and_saveexec_b64 s[14:15], vcc
; %bb.1310:
	s_xor_b64 s[10:11], exec, -1
; %bb.1311:
	s_or_b64 exec, exec, s[14:15]
	s_and_b64 s[10:11], s[10:11], exec
	s_or_saveexec_b64 s[12:13], s[12:13]
	v_mov_b32_e32 v3, 0x7e00
	s_xor_b64 exec, exec, s[12:13]
	s_cbranch_execnz .LBB217_1329
.LBB217_1312:
	s_or_b64 exec, exec, s[12:13]
	s_and_saveexec_b64 s[12:13], s[10:11]
	s_cbranch_execz .LBB217_1314
.LBB217_1313:
	v_lshlrev_b32_e32 v3, 24, v5
	v_and_b32_e32 v5, 0xffff, v5
	v_and_b32_e32 v7, 7, v5
	v_ffbh_u32_e32 v11, v7
	v_min_u32_e32 v11, 32, v11
	v_subrev_u32_e32 v14, 28, v11
	v_bfe_u32 v9, v5, 3, 4
	v_lshlrev_b32_e32 v5, v14, v5
	v_sub_u32_e32 v11, 29, v11
	v_and_b32_e32 v5, 7, v5
	v_cmp_eq_u32_e32 vcc, 0, v9
	v_and_b32_e32 v3, 0x80000000, v3
	s_nop 0
	v_cndmask_b32_e32 v9, v9, v11, vcc
	v_cndmask_b32_e32 v5, v7, v5, vcc
	v_mov_b32_e32 v7, 0x3b800000
	v_lshlrev_b32_e32 v5, 20, v5
	v_lshl_add_u32 v7, v9, 23, v7
	v_or3_b32 v3, v3, v7, v5
	v_cvt_f16_f32_e32 v3, v3
.LBB217_1314:
	s_or_b64 exec, exec, s[12:13]
.LBB217_1315:
	s_mov_b64 s[10:11], -1
.LBB217_1316:
	s_branch .LBB217_1349
.LBB217_1317:
	s_cmp_gt_i32 s18, 22
	s_cbranch_scc0 .LBB217_1327
; %bb.1318:
	s_cmp_lt_i32 s18, 24
	s_cbranch_scc1 .LBB217_1330
; %bb.1319:
	s_cmp_gt_i32 s18, 24
	s_cbranch_scc0 .LBB217_1331
; %bb.1320:
	global_load_ubyte v5, v[12:13], off
	s_movk_i32 s8, 0x7f
	s_waitcnt vmcnt(0)
	v_cmp_lt_i16_e32 vcc, s8, v5
	s_mov_b64 s[8:9], 0
	s_and_saveexec_b64 s[10:11], vcc
	s_xor_b64 s[10:11], exec, s[10:11]
	s_cbranch_execz .LBB217_1343
; %bb.1321:
	s_movk_i32 s8, 0x80
	v_cmp_eq_u16_e32 vcc, s8, v5
	s_mov_b64 s[8:9], -1
	s_and_saveexec_b64 s[12:13], vcc
; %bb.1322:
	s_xor_b64 s[8:9], exec, -1
; %bb.1323:
	s_or_b64 exec, exec, s[12:13]
	s_and_b64 s[8:9], s[8:9], exec
	s_or_saveexec_b64 s[10:11], s[10:11]
	v_mov_b32_e32 v3, 0x7e00
	s_xor_b64 exec, exec, s[10:11]
	s_cbranch_execnz .LBB217_1344
.LBB217_1324:
	s_or_b64 exec, exec, s[10:11]
	s_and_saveexec_b64 s[10:11], s[8:9]
	s_cbranch_execz .LBB217_1326
.LBB217_1325:
	v_lshlrev_b32_e32 v3, 24, v5
	v_and_b32_e32 v5, 0xffff, v5
	v_and_b32_e32 v7, 3, v5
	v_ffbh_u32_e32 v11, v7
	v_min_u32_e32 v11, 32, v11
	v_subrev_u32_e32 v14, 29, v11
	v_bfe_u32 v9, v5, 2, 5
	v_lshlrev_b32_e32 v5, v14, v5
	v_sub_u32_e32 v11, 30, v11
	v_and_b32_e32 v5, 3, v5
	v_cmp_eq_u32_e32 vcc, 0, v9
	v_and_b32_e32 v3, 0x80000000, v3
	s_nop 0
	v_cndmask_b32_e32 v9, v9, v11, vcc
	v_cndmask_b32_e32 v5, v7, v5, vcc
	v_mov_b32_e32 v7, 0x37800000
	v_lshlrev_b32_e32 v5, 21, v5
	v_lshl_add_u32 v7, v9, 23, v7
	v_or3_b32 v3, v3, v7, v5
	v_cvt_f16_f32_e32 v3, v3
.LBB217_1326:
	s_or_b64 exec, exec, s[10:11]
	s_mov_b64 s[8:9], 0
	s_branch .LBB217_1332
.LBB217_1327:
	s_mov_b64 s[8:9], -1
                                        ; implicit-def: $vgpr3
	s_branch .LBB217_1338
.LBB217_1328:
	s_or_saveexec_b64 s[12:13], s[12:13]
	v_mov_b32_e32 v3, 0x7e00
	s_xor_b64 exec, exec, s[12:13]
	s_cbranch_execz .LBB217_1312
.LBB217_1329:
	v_cmp_ne_u16_e32 vcc, 0, v5
	s_andn2_b64 s[10:11], s[10:11], exec
	s_and_b64 s[14:15], vcc, exec
	s_or_b64 s[10:11], s[10:11], s[14:15]
	v_mov_b32_e32 v3, v5
	s_or_b64 exec, exec, s[12:13]
	s_and_saveexec_b64 s[12:13], s[10:11]
	s_cbranch_execnz .LBB217_1313
	s_branch .LBB217_1314
.LBB217_1330:
	s_mov_b64 s[8:9], -1
                                        ; implicit-def: $vgpr3
	s_branch .LBB217_1335
.LBB217_1331:
	s_mov_b64 s[8:9], -1
                                        ; implicit-def: $vgpr3
.LBB217_1332:
	s_and_b64 vcc, exec, s[8:9]
	s_cbranch_vccz .LBB217_1334
; %bb.1333:
	global_load_ubyte v3, v[12:13], off
	s_mov_b32 s8, 0x7f800000
	s_waitcnt vmcnt(0)
	v_lshlrev_b32_e32 v3, 24, v3
	v_and_b32_e32 v5, 0x7f000000, v3
	v_ffbh_u32_e32 v7, v5
	v_min_u32_e32 v7, 32, v7
	v_sub_u32_e64 v7, v7, 4 clamp
	v_lshlrev_b32_e32 v11, v7, v5
	v_lshlrev_b32_e32 v7, 23, v7
	v_lshrrev_b32_e32 v11, 4, v11
	v_add_u32_e32 v9, 0x1000000, v5
	v_sub_u32_e32 v7, v11, v7
	v_ashrrev_i32_e32 v9, 8, v9
	v_add_u32_e32 v7, 0x3c000000, v7
	v_and_or_b32 v7, v9, s8, v7
	v_cmp_ne_u32_e32 vcc, 0, v5
	s_brev_b32 s8, 1
	s_nop 0
	v_cndmask_b32_e32 v5, 0, v7, vcc
	v_and_or_b32 v3, v3, s8, v5
	v_cvt_f16_f32_e32 v3, v3
.LBB217_1334:
	s_mov_b64 s[8:9], 0
.LBB217_1335:
	s_andn2_b64 vcc, exec, s[8:9]
	s_cbranch_vccnz .LBB217_1337
; %bb.1336:
	global_load_ubyte v3, v[12:13], off
	s_movk_i32 s8, 0x7f00
	s_brev_b32 s9, 16
	s_waitcnt vmcnt(0)
	v_lshlrev_b16_e32 v5, 8, v3
	v_lshlrev_b32_e32 v3, 25, v3
	v_lshrrev_b32_e32 v7, 4, v3
	v_and_or_b32 v9, v5, s8, 0.5
	v_or_b32_e32 v7, 0x70000000, v7
	v_add_f32_e32 v9, -0.5, v9
	v_mul_f32_e32 v7, 0x7800000, v7
	v_cmp_gt_u32_e32 vcc, s9, v3
	v_bfe_i32 v5, v5, 0, 16
	s_brev_b32 s8, 1
	v_cndmask_b32_e32 v3, v7, v9, vcc
	v_and_or_b32 v3, v5, s8, v3
	v_cvt_f16_f32_e32 v3, v3
.LBB217_1337:
	s_mov_b64 s[8:9], 0
	s_mov_b64 s[10:11], -1
.LBB217_1338:
	s_andn2_b64 vcc, exec, s[8:9]
	s_mov_b64 s[8:9], 0
	s_cbranch_vccnz .LBB217_1349
; %bb.1339:
	s_cmp_gt_i32 s18, 14
	s_cbranch_scc0 .LBB217_1342
; %bb.1340:
	s_cmp_eq_u32 s18, 15
	s_cbranch_scc0 .LBB217_1345
; %bb.1341:
	global_load_ushort v3, v[12:13], off
	s_mov_b64 s[0:1], 0
	s_mov_b64 s[10:11], -1
	s_waitcnt vmcnt(0)
	v_lshlrev_b32_e32 v3, 16, v3
	v_cvt_f16_f32_e32 v3, v3
	s_branch .LBB217_1346
.LBB217_1342:
	s_mov_b64 s[12:13], -1
                                        ; implicit-def: $vgpr3
	s_branch .LBB217_1347
.LBB217_1343:
	s_or_saveexec_b64 s[10:11], s[10:11]
	v_mov_b32_e32 v3, 0x7e00
	s_xor_b64 exec, exec, s[10:11]
	s_cbranch_execz .LBB217_1324
.LBB217_1344:
	v_cmp_ne_u16_e32 vcc, 0, v5
	s_andn2_b64 s[8:9], s[8:9], exec
	s_and_b64 s[12:13], vcc, exec
	s_or_b64 s[8:9], s[8:9], s[12:13]
	v_mov_b32_e32 v3, v5
	s_or_b64 exec, exec, s[10:11]
	s_and_saveexec_b64 s[10:11], s[8:9]
	s_cbranch_execnz .LBB217_1325
	s_branch .LBB217_1326
.LBB217_1345:
	s_mov_b64 s[0:1], -1
                                        ; implicit-def: $vgpr3
.LBB217_1346:
	s_mov_b64 s[12:13], 0
.LBB217_1347:
	s_and_b64 vcc, exec, s[12:13]
	s_cbranch_vccz .LBB217_1349
; %bb.1348:
	s_cmp_lg_u32 s18, 11
	s_mov_b64 s[8:9], -1
	s_cselect_b64 s[0:1], -1, 0
.LBB217_1349:
	s_and_b64 vcc, exec, s[0:1]
	s_cbranch_vccnz .LBB217_1412
; %bb.1350:
	s_andn2_b64 vcc, exec, s[8:9]
	s_cbranch_vccnz .LBB217_1352
.LBB217_1351:
	global_load_ubyte v3, v[12:13], off
	v_mov_b32_e32 v5, 0x3c00
	s_mov_b64 s[10:11], -1
	s_waitcnt vmcnt(0)
	v_cmp_ne_u16_e32 vcc, 0, v3
	s_nop 1
	v_cndmask_b32_e32 v3, 0, v5, vcc
.LBB217_1352:
	s_branch .LBB217_1279
.LBB217_1353:
	s_and_b32 s8, 0xffff, s17
	s_cmp_lt_i32 s8, 5
	s_cbranch_scc1 .LBB217_1358
; %bb.1354:
	s_cmp_lt_i32 s8, 8
	s_cbranch_scc1 .LBB217_1359
; %bb.1355:
	;; [unrolled: 3-line block ×3, first 2 shown]
	s_cmp_gt_i32 s8, 9
	s_cbranch_scc0 .LBB217_1361
; %bb.1357:
	global_load_dwordx2 v[14:15], v[12:13], off
	s_movk_i32 s0, 0x1ff
	s_movk_i32 s1, 0xffe
	v_mov_b32_e32 v3, 0x7c00
	v_mov_b32_e32 v5, 0x7e00
	s_movk_i32 s9, 0x40f
	s_mov_b32 s10, 0x8000
	s_waitcnt vmcnt(0)
	v_and_or_b32 v7, v15, s0, v14
	v_cmp_ne_u32_e32 vcc, 0, v7
	v_lshrrev_b32_e32 v9, 8, v15
	v_bfe_u32 v11, v15, 20, 11
	v_cndmask_b32_e64 v7, 0, 1, vcc
	v_lshrrev_b32_e32 v14, 16, v15
	v_sub_u32_e32 v15, 0x3f1, v11
	v_and_or_b32 v7, v9, s1, v7
	v_add_u32_e32 v11, 0xfffffc10, v11
	v_med3_i32 v9, v15, 0, 13
	v_or_b32_e32 v15, 0x1000, v7
	v_lshl_or_b32 v16, v11, 12, v7
	v_cmp_ne_u32_e32 vcc, 0, v7
	v_lshrrev_b32_e32 v7, v9, v15
	v_lshlrev_b32_e32 v9, v9, v7
	v_cndmask_b32_e32 v5, v3, v5, vcc
	v_cmp_ne_u32_e32 vcc, v9, v15
	s_mov_b64 s[0:1], 0
	s_nop 0
	v_cndmask_b32_e64 v9, 0, 1, vcc
	v_or_b32_e32 v7, v7, v9
	v_cmp_gt_i32_e32 vcc, 1, v11
	s_nop 1
	v_cndmask_b32_e32 v7, v16, v7, vcc
	v_and_b32_e32 v9, 7, v7
	v_cmp_lt_i32_e32 vcc, 5, v9
	v_lshrrev_b32_e32 v7, 2, v7
	s_nop 0
	v_cndmask_b32_e64 v15, 0, 1, vcc
	v_cmp_eq_u32_e32 vcc, 3, v9
	s_nop 1
	v_cndmask_b32_e64 v9, 0, 1, vcc
	v_or_b32_e32 v9, v9, v15
	v_add_u32_e32 v7, v7, v9
	v_cmp_gt_i32_e32 vcc, 31, v11
	s_nop 1
	v_cndmask_b32_e32 v3, v3, v7, vcc
	v_cmp_eq_u32_e32 vcc, s9, v11
	s_nop 1
	v_cndmask_b32_e32 v3, v3, v5, vcc
	v_and_or_b32 v3, v14, s10, v3
	s_branch .LBB217_1362
.LBB217_1358:
                                        ; implicit-def: $vgpr3
	s_branch .LBB217_1380
.LBB217_1359:
	s_mov_b64 s[0:1], -1
                                        ; implicit-def: $vgpr3
	s_branch .LBB217_1368
.LBB217_1360:
	s_mov_b64 s[0:1], -1
                                        ; implicit-def: $vgpr3
	s_branch .LBB217_1365
.LBB217_1361:
	s_mov_b64 s[0:1], -1
                                        ; implicit-def: $vgpr3
.LBB217_1362:
	s_andn2_b64 vcc, exec, s[0:1]
	s_cbranch_vccnz .LBB217_1364
; %bb.1363:
	global_load_dword v3, v[12:13], off
	s_waitcnt vmcnt(0)
	v_cvt_f16_f32_e32 v3, v3
.LBB217_1364:
	s_mov_b64 s[0:1], 0
.LBB217_1365:
	s_andn2_b64 vcc, exec, s[0:1]
	s_cbranch_vccnz .LBB217_1367
; %bb.1366:
	global_load_dword v3, v[12:13], off
.LBB217_1367:
	s_mov_b64 s[0:1], 0
.LBB217_1368:
	s_andn2_b64 vcc, exec, s[0:1]
	s_cbranch_vccnz .LBB217_1379
; %bb.1369:
	s_cmp_lt_i32 s8, 6
	s_cbranch_scc1 .LBB217_1372
; %bb.1370:
	s_cmp_gt_i32 s8, 6
	s_cbranch_scc0 .LBB217_1373
; %bb.1371:
	global_load_dwordx2 v[14:15], v[12:13], off
	s_movk_i32 s0, 0x1ff
	s_movk_i32 s1, 0xffe
	s_waitcnt vmcnt(1)
	v_mov_b32_e32 v3, 0x7c00
	v_mov_b32_e32 v5, 0x7e00
	s_movk_i32 s9, 0x40f
	s_mov_b32 s10, 0x8000
	s_waitcnt vmcnt(0)
	v_and_or_b32 v7, v15, s0, v14
	v_cmp_ne_u32_e32 vcc, 0, v7
	v_lshrrev_b32_e32 v9, 8, v15
	v_bfe_u32 v11, v15, 20, 11
	v_cndmask_b32_e64 v7, 0, 1, vcc
	v_lshrrev_b32_e32 v14, 16, v15
	v_sub_u32_e32 v15, 0x3f1, v11
	v_and_or_b32 v7, v9, s1, v7
	v_add_u32_e32 v11, 0xfffffc10, v11
	v_med3_i32 v9, v15, 0, 13
	v_or_b32_e32 v15, 0x1000, v7
	v_lshl_or_b32 v16, v11, 12, v7
	v_cmp_ne_u32_e32 vcc, 0, v7
	v_lshrrev_b32_e32 v7, v9, v15
	v_lshlrev_b32_e32 v9, v9, v7
	v_cndmask_b32_e32 v5, v3, v5, vcc
	v_cmp_ne_u32_e32 vcc, v9, v15
	s_mov_b64 s[0:1], 0
	s_nop 0
	v_cndmask_b32_e64 v9, 0, 1, vcc
	v_or_b32_e32 v7, v7, v9
	v_cmp_gt_i32_e32 vcc, 1, v11
	s_nop 1
	v_cndmask_b32_e32 v7, v16, v7, vcc
	v_and_b32_e32 v9, 7, v7
	v_cmp_lt_i32_e32 vcc, 5, v9
	v_lshrrev_b32_e32 v7, 2, v7
	s_nop 0
	v_cndmask_b32_e64 v15, 0, 1, vcc
	v_cmp_eq_u32_e32 vcc, 3, v9
	s_nop 1
	v_cndmask_b32_e64 v9, 0, 1, vcc
	v_or_b32_e32 v9, v9, v15
	v_add_u32_e32 v7, v7, v9
	v_cmp_gt_i32_e32 vcc, 31, v11
	s_nop 1
	v_cndmask_b32_e32 v3, v3, v7, vcc
	v_cmp_eq_u32_e32 vcc, s9, v11
	s_nop 1
	v_cndmask_b32_e32 v3, v3, v5, vcc
	v_and_or_b32 v3, v14, s10, v3
	s_branch .LBB217_1374
.LBB217_1372:
	s_mov_b64 s[0:1], -1
                                        ; implicit-def: $vgpr3
	s_branch .LBB217_1377
.LBB217_1373:
	s_mov_b64 s[0:1], -1
                                        ; implicit-def: $vgpr3
.LBB217_1374:
	s_andn2_b64 vcc, exec, s[0:1]
	s_cbranch_vccnz .LBB217_1376
; %bb.1375:
	global_load_dword v3, v[12:13], off
	s_waitcnt vmcnt(0)
	v_cvt_f16_f32_e32 v3, v3
.LBB217_1376:
	s_mov_b64 s[0:1], 0
.LBB217_1377:
	s_andn2_b64 vcc, exec, s[0:1]
	s_cbranch_vccnz .LBB217_1379
; %bb.1378:
	global_load_ushort v3, v[12:13], off
.LBB217_1379:
	s_cbranch_execnz .LBB217_1399
.LBB217_1380:
	s_cmp_lt_i32 s8, 2
	s_cbranch_scc1 .LBB217_1384
; %bb.1381:
	s_cmp_lt_i32 s8, 3
	s_cbranch_scc1 .LBB217_1385
; %bb.1382:
	s_cmp_gt_i32 s8, 3
	s_cbranch_scc0 .LBB217_1386
; %bb.1383:
	global_load_dwordx2 v[14:15], v[12:13], off
	s_mov_b64 s[0:1], 0
	s_waitcnt vmcnt(0)
	v_xor_b32_e32 v5, v14, v15
	v_ffbh_i32_e32 v3, v15
	v_ashrrev_i32_e32 v5, 31, v5
	v_add_u32_e32 v3, -1, v3
	v_add_u32_e32 v5, 32, v5
	v_min_u32_e32 v3, v3, v5
	v_lshlrev_b64 v[14:15], v3, v[14:15]
	v_min_u32_e32 v5, 1, v14
	v_or_b32_e32 v5, v15, v5
	v_cvt_f32_i32_e32 v5, v5
	v_sub_u32_e32 v3, 32, v3
	v_ldexp_f32 v3, v5, v3
	v_cvt_f16_f32_e32 v3, v3
	s_branch .LBB217_1387
.LBB217_1384:
	s_mov_b64 s[0:1], -1
                                        ; implicit-def: $vgpr3
	s_branch .LBB217_1393
.LBB217_1385:
	s_mov_b64 s[0:1], -1
                                        ; implicit-def: $vgpr3
	s_branch .LBB217_1390
.LBB217_1386:
	s_mov_b64 s[0:1], -1
                                        ; implicit-def: $vgpr3
.LBB217_1387:
	s_andn2_b64 vcc, exec, s[0:1]
	s_cbranch_vccnz .LBB217_1389
; %bb.1388:
	global_load_dword v3, v[12:13], off
	s_waitcnt vmcnt(0)
	v_cvt_f32_i32_e32 v3, v3
	v_cvt_f16_f32_e32 v3, v3
.LBB217_1389:
	s_mov_b64 s[0:1], 0
.LBB217_1390:
	s_andn2_b64 vcc, exec, s[0:1]
	s_cbranch_vccnz .LBB217_1392
; %bb.1391:
	global_load_ushort v3, v[12:13], off
	s_waitcnt vmcnt(0)
	v_cvt_f16_i16_e32 v3, v3
.LBB217_1392:
	s_mov_b64 s[0:1], 0
.LBB217_1393:
	s_andn2_b64 vcc, exec, s[0:1]
	s_cbranch_vccnz .LBB217_1399
; %bb.1394:
	s_cmp_gt_i32 s8, 0
	s_cbranch_scc0 .LBB217_1396
; %bb.1395:
	global_load_sbyte v3, v[12:13], off
	s_mov_b64 s[0:1], 0
	s_waitcnt vmcnt(0)
	v_cvt_f16_i16_e32 v3, v3
	s_branch .LBB217_1397
.LBB217_1396:
	s_mov_b64 s[0:1], -1
                                        ; implicit-def: $vgpr3
.LBB217_1397:
	s_andn2_b64 vcc, exec, s[0:1]
	s_cbranch_vccnz .LBB217_1399
; %bb.1398:
	global_load_ubyte v3, v[12:13], off
	s_waitcnt vmcnt(0)
	v_cvt_f16_u16_e32 v3, v3
.LBB217_1399:
.LBB217_1400:
	v_mov_b32_e32 v11, 0
	s_cmp_lt_i32 s17, 11
	v_lshl_add_u64 v[10:11], s[6:7], 0, v[10:11]
	s_cbranch_scc1 .LBB217_1407
; %bb.1401:
	s_and_b32 s18, 0xffff, s17
	s_cmp_gt_i32 s18, 25
	s_mov_b64 s[8:9], 0
	s_cbranch_scc0 .LBB217_1409
; %bb.1402:
	s_cmp_gt_i32 s18, 28
	s_cbranch_scc0 .LBB217_1410
; %bb.1403:
	s_cmp_gt_i32 s18, 43
	;; [unrolled: 3-line block ×3, first 2 shown]
	s_cbranch_scc0 .LBB217_1413
; %bb.1405:
	s_cmp_eq_u32 s18, 46
	s_mov_b64 s[12:13], 0
	s_cbranch_scc0 .LBB217_1414
; %bb.1406:
	global_load_dword v5, v[10:11], off
	s_mov_b64 s[0:1], 0
	s_mov_b64 s[10:11], -1
	s_waitcnt vmcnt(0)
	v_lshlrev_b32_e32 v5, 16, v5
	v_cvt_f16_f32_e32 v12, v5
	s_branch .LBB217_1415
.LBB217_1407:
	s_mov_b64 s[10:11], 0
                                        ; implicit-def: $vgpr12
	s_cbranch_execnz .LBB217_1481
.LBB217_1408:
	s_andn2_b64 vcc, exec, s[10:11]
	s_cbranch_vccnz .LBB217_2092
	s_branch .LBB217_1529
.LBB217_1409:
	s_mov_b64 s[12:13], -1
	s_mov_b64 s[10:11], 0
	s_mov_b64 s[0:1], 0
                                        ; implicit-def: $vgpr12
	s_branch .LBB217_1444
.LBB217_1410:
	s_mov_b64 s[12:13], -1
	s_mov_b64 s[10:11], 0
	s_mov_b64 s[0:1], 0
                                        ; implicit-def: $vgpr12
	s_branch .LBB217_1425
.LBB217_1411:
	s_mov_b64 s[12:13], -1
	s_mov_b64 s[10:11], 0
	s_mov_b64 s[0:1], 0
                                        ; implicit-def: $vgpr12
	s_branch .LBB217_1420
.LBB217_1412:
	s_trap 2
	s_or_b64 s[2:3], s[2:3], exec
	s_cbranch_execz .LBB217_1351
	s_branch .LBB217_1352
.LBB217_1413:
	s_mov_b64 s[12:13], -1
	s_mov_b64 s[10:11], 0
	s_mov_b64 s[0:1], 0
                                        ; implicit-def: $vgpr12
	s_branch .LBB217_1415
.LBB217_1414:
	s_mov_b64 s[0:1], -1
                                        ; implicit-def: $vgpr12
	s_mov_b64 s[10:11], 0
.LBB217_1415:
	s_and_b64 vcc, exec, s[12:13]
	s_cbranch_vccz .LBB217_1419
; %bb.1416:
	s_cmp_eq_u32 s18, 44
	s_cbranch_scc0 .LBB217_1418
; %bb.1417:
	global_load_ubyte v5, v[10:11], off
	s_movk_i32 s10, 0xff
	v_mov_b32_e32 v9, 0x7e00
	s_mov_b64 s[0:1], 0
	s_waitcnt vmcnt(0)
	v_lshlrev_b32_e32 v7, 23, v5
	v_cvt_f16_f32_e32 v7, v7
	v_cmp_ne_u32_e32 vcc, s10, v5
	s_mov_b64 s[10:11], -1
	s_nop 0
	v_cndmask_b32_e32 v7, v9, v7, vcc
	v_cmp_ne_u32_e32 vcc, 0, v5
	s_nop 1
	v_cndmask_b32_e32 v12, 0, v7, vcc
	s_branch .LBB217_1419
.LBB217_1418:
	s_mov_b64 s[0:1], -1
                                        ; implicit-def: $vgpr12
.LBB217_1419:
	s_mov_b64 s[12:13], 0
.LBB217_1420:
	s_and_b64 vcc, exec, s[12:13]
	s_cbranch_vccz .LBB217_1424
; %bb.1421:
	s_cmp_eq_u32 s18, 29
	s_cbranch_scc0 .LBB217_1423
; %bb.1422:
	global_load_dwordx2 v[12:13], v[10:11], off
	s_mov_b64 s[0:1], 0
	s_mov_b64 s[10:11], -1
	s_mov_b64 s[12:13], 0
	s_waitcnt vmcnt(0)
	v_ffbh_u32_e32 v5, v13
	v_min_u32_e32 v5, 32, v5
	v_lshlrev_b64 v[12:13], v5, v[12:13]
	v_min_u32_e32 v7, 1, v12
	v_or_b32_e32 v7, v13, v7
	v_cvt_f32_u32_e32 v7, v7
	v_sub_u32_e32 v5, 32, v5
	v_ldexp_f32 v5, v7, v5
	v_cvt_f16_f32_e32 v12, v5
	s_branch .LBB217_1425
.LBB217_1423:
	s_mov_b64 s[0:1], -1
                                        ; implicit-def: $vgpr12
.LBB217_1424:
	s_mov_b64 s[12:13], 0
.LBB217_1425:
	s_and_b64 vcc, exec, s[12:13]
	s_cbranch_vccz .LBB217_1443
; %bb.1426:
	s_cmp_lt_i32 s18, 27
	s_cbranch_scc1 .LBB217_1429
; %bb.1427:
	s_cmp_gt_i32 s18, 27
	s_cbranch_scc0 .LBB217_1430
; %bb.1428:
	global_load_dword v5, v[10:11], off
	s_mov_b64 s[10:11], 0
	s_waitcnt vmcnt(0)
	v_cvt_f32_u32_e32 v5, v5
	v_cvt_f16_f32_e32 v12, v5
	s_branch .LBB217_1431
.LBB217_1429:
	s_mov_b64 s[10:11], -1
                                        ; implicit-def: $vgpr12
	s_branch .LBB217_1434
.LBB217_1430:
	s_mov_b64 s[10:11], -1
                                        ; implicit-def: $vgpr12
.LBB217_1431:
	s_andn2_b64 vcc, exec, s[10:11]
	s_cbranch_vccnz .LBB217_1433
; %bb.1432:
	global_load_ushort v5, v[10:11], off
	s_waitcnt vmcnt(0)
	v_cvt_f16_u16_e32 v12, v5
.LBB217_1433:
	s_mov_b64 s[10:11], 0
.LBB217_1434:
	s_andn2_b64 vcc, exec, s[10:11]
	s_cbranch_vccnz .LBB217_1442
; %bb.1435:
	global_load_ubyte v5, v[10:11], off
	s_movk_i32 s10, 0x7f
	s_waitcnt vmcnt(0)
	v_cmp_lt_i16_e32 vcc, s10, v5
	s_mov_b64 s[10:11], 0
	s_and_saveexec_b64 s[12:13], vcc
	s_xor_b64 s[12:13], exec, s[12:13]
	s_cbranch_execz .LBB217_1456
; %bb.1436:
	s_movk_i32 s10, 0x80
	v_cmp_eq_u16_e32 vcc, s10, v5
	s_mov_b64 s[10:11], -1
	s_and_saveexec_b64 s[14:15], vcc
; %bb.1437:
	s_xor_b64 s[10:11], exec, -1
; %bb.1438:
	s_or_b64 exec, exec, s[14:15]
	s_and_b64 s[10:11], s[10:11], exec
	s_or_saveexec_b64 s[12:13], s[12:13]
	v_mov_b32_e32 v12, 0x7e00
	s_xor_b64 exec, exec, s[12:13]
	s_cbranch_execnz .LBB217_1457
.LBB217_1439:
	s_or_b64 exec, exec, s[12:13]
	s_and_saveexec_b64 s[12:13], s[10:11]
	s_cbranch_execz .LBB217_1441
.LBB217_1440:
	v_lshlrev_b32_e32 v7, 24, v5
	v_and_b32_e32 v5, 0xffff, v5
	v_and_b32_e32 v9, 7, v5
	v_ffbh_u32_e32 v13, v9
	v_min_u32_e32 v13, 32, v13
	v_subrev_u32_e32 v14, 28, v13
	v_bfe_u32 v12, v5, 3, 4
	v_lshlrev_b32_e32 v5, v14, v5
	v_sub_u32_e32 v13, 29, v13
	v_and_b32_e32 v5, 7, v5
	v_cmp_eq_u32_e32 vcc, 0, v12
	v_and_b32_e32 v7, 0x80000000, v7
	s_nop 0
	v_cndmask_b32_e32 v12, v12, v13, vcc
	v_cndmask_b32_e32 v5, v9, v5, vcc
	v_mov_b32_e32 v9, 0x3b800000
	v_lshlrev_b32_e32 v5, 20, v5
	v_lshl_add_u32 v9, v12, 23, v9
	v_or3_b32 v5, v7, v9, v5
	v_cvt_f16_f32_e32 v12, v5
.LBB217_1441:
	s_or_b64 exec, exec, s[12:13]
.LBB217_1442:
	s_mov_b64 s[10:11], -1
.LBB217_1443:
	s_mov_b64 s[12:13], 0
.LBB217_1444:
	s_and_b64 vcc, exec, s[12:13]
	s_cbranch_vccz .LBB217_1477
; %bb.1445:
	s_cmp_gt_i32 s18, 22
	s_cbranch_scc0 .LBB217_1455
; %bb.1446:
	s_cmp_lt_i32 s18, 24
	s_cbranch_scc1 .LBB217_1458
; %bb.1447:
	s_cmp_gt_i32 s18, 24
	s_cbranch_scc0 .LBB217_1459
; %bb.1448:
	global_load_ubyte v5, v[10:11], off
	s_movk_i32 s8, 0x7f
	s_waitcnt vmcnt(0)
	v_cmp_lt_i16_e32 vcc, s8, v5
	s_mov_b64 s[8:9], 0
	s_and_saveexec_b64 s[10:11], vcc
	s_xor_b64 s[10:11], exec, s[10:11]
	s_cbranch_execz .LBB217_1471
; %bb.1449:
	s_movk_i32 s8, 0x80
	v_cmp_eq_u16_e32 vcc, s8, v5
	s_mov_b64 s[8:9], -1
	s_and_saveexec_b64 s[12:13], vcc
; %bb.1450:
	s_xor_b64 s[8:9], exec, -1
; %bb.1451:
	s_or_b64 exec, exec, s[12:13]
	s_and_b64 s[8:9], s[8:9], exec
	s_or_saveexec_b64 s[10:11], s[10:11]
	v_mov_b32_e32 v12, 0x7e00
	s_xor_b64 exec, exec, s[10:11]
	s_cbranch_execnz .LBB217_1472
.LBB217_1452:
	s_or_b64 exec, exec, s[10:11]
	s_and_saveexec_b64 s[10:11], s[8:9]
	s_cbranch_execz .LBB217_1454
.LBB217_1453:
	v_lshlrev_b32_e32 v7, 24, v5
	v_and_b32_e32 v5, 0xffff, v5
	v_and_b32_e32 v9, 3, v5
	v_ffbh_u32_e32 v13, v9
	v_min_u32_e32 v13, 32, v13
	v_subrev_u32_e32 v14, 29, v13
	v_bfe_u32 v12, v5, 2, 5
	v_lshlrev_b32_e32 v5, v14, v5
	v_sub_u32_e32 v13, 30, v13
	v_and_b32_e32 v5, 3, v5
	v_cmp_eq_u32_e32 vcc, 0, v12
	v_and_b32_e32 v7, 0x80000000, v7
	s_nop 0
	v_cndmask_b32_e32 v12, v12, v13, vcc
	v_cndmask_b32_e32 v5, v9, v5, vcc
	v_mov_b32_e32 v9, 0x37800000
	v_lshlrev_b32_e32 v5, 21, v5
	v_lshl_add_u32 v9, v12, 23, v9
	v_or3_b32 v5, v7, v9, v5
	v_cvt_f16_f32_e32 v12, v5
.LBB217_1454:
	s_or_b64 exec, exec, s[10:11]
	s_mov_b64 s[8:9], 0
	s_branch .LBB217_1460
.LBB217_1455:
	s_mov_b64 s[8:9], -1
                                        ; implicit-def: $vgpr12
	s_branch .LBB217_1466
.LBB217_1456:
	s_or_saveexec_b64 s[12:13], s[12:13]
	v_mov_b32_e32 v12, 0x7e00
	s_xor_b64 exec, exec, s[12:13]
	s_cbranch_execz .LBB217_1439
.LBB217_1457:
	v_cmp_ne_u16_e32 vcc, 0, v5
	s_andn2_b64 s[10:11], s[10:11], exec
	s_and_b64 s[14:15], vcc, exec
	s_or_b64 s[10:11], s[10:11], s[14:15]
	v_mov_b32_e32 v12, v5
	s_or_b64 exec, exec, s[12:13]
	s_and_saveexec_b64 s[12:13], s[10:11]
	s_cbranch_execnz .LBB217_1440
	s_branch .LBB217_1441
.LBB217_1458:
	s_mov_b64 s[8:9], -1
                                        ; implicit-def: $vgpr12
	s_branch .LBB217_1463
.LBB217_1459:
	s_mov_b64 s[8:9], -1
                                        ; implicit-def: $vgpr12
.LBB217_1460:
	s_and_b64 vcc, exec, s[8:9]
	s_cbranch_vccz .LBB217_1462
; %bb.1461:
	global_load_ubyte v5, v[10:11], off
	s_mov_b32 s8, 0x7f800000
	s_waitcnt vmcnt(0)
	v_lshlrev_b32_e32 v5, 24, v5
	v_and_b32_e32 v7, 0x7f000000, v5
	v_ffbh_u32_e32 v9, v7
	v_min_u32_e32 v9, 32, v9
	v_sub_u32_e64 v9, v9, 4 clamp
	v_lshlrev_b32_e32 v13, v9, v7
	v_lshlrev_b32_e32 v9, 23, v9
	v_lshrrev_b32_e32 v13, 4, v13
	v_add_u32_e32 v12, 0x1000000, v7
	v_sub_u32_e32 v9, v13, v9
	v_ashrrev_i32_e32 v12, 8, v12
	v_add_u32_e32 v9, 0x3c000000, v9
	v_and_or_b32 v9, v12, s8, v9
	v_cmp_ne_u32_e32 vcc, 0, v7
	s_brev_b32 s8, 1
	s_nop 0
	v_cndmask_b32_e32 v7, 0, v9, vcc
	v_and_or_b32 v5, v5, s8, v7
	v_cvt_f16_f32_e32 v12, v5
.LBB217_1462:
	s_mov_b64 s[8:9], 0
.LBB217_1463:
	s_andn2_b64 vcc, exec, s[8:9]
	s_cbranch_vccnz .LBB217_1465
; %bb.1464:
	global_load_ubyte v5, v[10:11], off
	s_movk_i32 s8, 0x7f00
	s_brev_b32 s9, 16
	s_waitcnt vmcnt(0)
	v_lshlrev_b16_e32 v7, 8, v5
	v_lshlrev_b32_e32 v5, 25, v5
	v_lshrrev_b32_e32 v9, 4, v5
	v_and_or_b32 v12, v7, s8, 0.5
	v_or_b32_e32 v9, 0x70000000, v9
	v_add_f32_e32 v12, -0.5, v12
	v_mul_f32_e32 v9, 0x7800000, v9
	v_cmp_gt_u32_e32 vcc, s9, v5
	v_bfe_i32 v7, v7, 0, 16
	s_brev_b32 s8, 1
	v_cndmask_b32_e32 v5, v9, v12, vcc
	v_and_or_b32 v5, v7, s8, v5
	v_cvt_f16_f32_e32 v12, v5
.LBB217_1465:
	s_mov_b64 s[8:9], 0
	s_mov_b64 s[10:11], -1
.LBB217_1466:
	s_andn2_b64 vcc, exec, s[8:9]
	s_mov_b64 s[8:9], 0
	s_cbranch_vccnz .LBB217_1477
; %bb.1467:
	s_cmp_gt_i32 s18, 14
	s_cbranch_scc0 .LBB217_1470
; %bb.1468:
	s_cmp_eq_u32 s18, 15
	s_cbranch_scc0 .LBB217_1473
; %bb.1469:
	global_load_ushort v5, v[10:11], off
	s_mov_b64 s[0:1], 0
	s_mov_b64 s[10:11], -1
	s_waitcnt vmcnt(0)
	v_lshlrev_b32_e32 v5, 16, v5
	v_cvt_f16_f32_e32 v12, v5
	s_branch .LBB217_1474
.LBB217_1470:
	s_mov_b64 s[12:13], -1
                                        ; implicit-def: $vgpr12
	s_branch .LBB217_1475
.LBB217_1471:
	s_or_saveexec_b64 s[10:11], s[10:11]
	v_mov_b32_e32 v12, 0x7e00
	s_xor_b64 exec, exec, s[10:11]
	s_cbranch_execz .LBB217_1452
.LBB217_1472:
	v_cmp_ne_u16_e32 vcc, 0, v5
	s_andn2_b64 s[8:9], s[8:9], exec
	s_and_b64 s[12:13], vcc, exec
	s_or_b64 s[8:9], s[8:9], s[12:13]
	v_mov_b32_e32 v12, v5
	s_or_b64 exec, exec, s[10:11]
	s_and_saveexec_b64 s[10:11], s[8:9]
	s_cbranch_execnz .LBB217_1453
	s_branch .LBB217_1454
.LBB217_1473:
	s_mov_b64 s[0:1], -1
                                        ; implicit-def: $vgpr12
.LBB217_1474:
	s_mov_b64 s[12:13], 0
.LBB217_1475:
	s_and_b64 vcc, exec, s[12:13]
	s_cbranch_vccz .LBB217_1477
; %bb.1476:
	s_cmp_lg_u32 s18, 11
	s_mov_b64 s[8:9], -1
	s_cselect_b64 s[0:1], -1, 0
.LBB217_1477:
	s_and_b64 vcc, exec, s[0:1]
	s_cbranch_vccnz .LBB217_1540
; %bb.1478:
	s_andn2_b64 vcc, exec, s[8:9]
	s_cbranch_vccnz .LBB217_1480
.LBB217_1479:
	global_load_ubyte v5, v[10:11], off
	v_mov_b32_e32 v7, 0x3c00
	s_mov_b64 s[10:11], -1
	s_waitcnt vmcnt(0)
	v_cmp_ne_u16_e32 vcc, 0, v5
	s_nop 1
	v_cndmask_b32_e32 v12, 0, v7, vcc
.LBB217_1480:
	s_branch .LBB217_1408
.LBB217_1481:
	s_and_b32 s8, 0xffff, s17
	s_cmp_lt_i32 s8, 5
	s_cbranch_scc1 .LBB217_1486
; %bb.1482:
	s_cmp_lt_i32 s8, 8
	s_cbranch_scc1 .LBB217_1487
; %bb.1483:
	;; [unrolled: 3-line block ×3, first 2 shown]
	s_cmp_gt_i32 s8, 9
	s_cbranch_scc0 .LBB217_1489
; %bb.1485:
	global_load_dwordx2 v[12:13], v[10:11], off
	s_movk_i32 s0, 0x1ff
	s_movk_i32 s1, 0xffe
	v_mov_b32_e32 v5, 0x7c00
	v_mov_b32_e32 v7, 0x7e00
	s_movk_i32 s9, 0x40f
	s_mov_b32 s10, 0x8000
	s_waitcnt vmcnt(0)
	v_and_or_b32 v9, v13, s0, v12
	v_cmp_ne_u32_e32 vcc, 0, v9
	v_lshrrev_b32_e32 v12, 8, v13
	v_bfe_u32 v14, v13, 20, 11
	v_cndmask_b32_e64 v9, 0, 1, vcc
	v_sub_u32_e32 v15, 0x3f1, v14
	v_and_or_b32 v9, v12, s1, v9
	v_add_u32_e32 v14, 0xfffffc10, v14
	v_med3_i32 v12, v15, 0, 13
	v_or_b32_e32 v15, 0x1000, v9
	v_lshl_or_b32 v16, v14, 12, v9
	v_cmp_ne_u32_e32 vcc, 0, v9
	v_lshrrev_b32_e32 v9, v12, v15
	v_lshlrev_b32_e32 v12, v12, v9
	v_cndmask_b32_e32 v7, v5, v7, vcc
	v_cmp_ne_u32_e32 vcc, v12, v15
	v_lshrrev_b32_e32 v13, 16, v13
	s_mov_b64 s[0:1], 0
	v_cndmask_b32_e64 v12, 0, 1, vcc
	v_or_b32_e32 v9, v9, v12
	v_cmp_gt_i32_e32 vcc, 1, v14
	s_nop 1
	v_cndmask_b32_e32 v9, v16, v9, vcc
	v_and_b32_e32 v12, 7, v9
	v_cmp_lt_i32_e32 vcc, 5, v12
	v_lshrrev_b32_e32 v9, 2, v9
	s_nop 0
	v_cndmask_b32_e64 v15, 0, 1, vcc
	v_cmp_eq_u32_e32 vcc, 3, v12
	s_nop 1
	v_cndmask_b32_e64 v12, 0, 1, vcc
	v_or_b32_e32 v12, v12, v15
	v_add_u32_e32 v9, v9, v12
	v_cmp_gt_i32_e32 vcc, 31, v14
	s_nop 1
	v_cndmask_b32_e32 v5, v5, v9, vcc
	v_cmp_eq_u32_e32 vcc, s9, v14
	s_nop 1
	v_cndmask_b32_e32 v5, v5, v7, vcc
	v_and_or_b32 v12, v13, s10, v5
	s_branch .LBB217_1490
.LBB217_1486:
	s_mov_b64 s[0:1], -1
                                        ; implicit-def: $vgpr12
	s_branch .LBB217_1508
.LBB217_1487:
	s_mov_b64 s[0:1], -1
                                        ; implicit-def: $vgpr12
	s_branch .LBB217_1496
.LBB217_1488:
	s_mov_b64 s[0:1], -1
                                        ; implicit-def: $vgpr12
	s_branch .LBB217_1493
.LBB217_1489:
	s_mov_b64 s[0:1], -1
                                        ; implicit-def: $vgpr12
.LBB217_1490:
	s_andn2_b64 vcc, exec, s[0:1]
	s_cbranch_vccnz .LBB217_1492
; %bb.1491:
	global_load_dword v5, v[10:11], off
	s_waitcnt vmcnt(0)
	v_cvt_f16_f32_e32 v12, v5
.LBB217_1492:
	s_mov_b64 s[0:1], 0
.LBB217_1493:
	s_andn2_b64 vcc, exec, s[0:1]
	s_cbranch_vccnz .LBB217_1495
; %bb.1494:
	global_load_dword v12, v[10:11], off
.LBB217_1495:
	s_mov_b64 s[0:1], 0
.LBB217_1496:
	s_andn2_b64 vcc, exec, s[0:1]
	s_cbranch_vccnz .LBB217_1507
; %bb.1497:
	s_cmp_lt_i32 s8, 6
	s_cbranch_scc1 .LBB217_1500
; %bb.1498:
	s_cmp_gt_i32 s8, 6
	s_cbranch_scc0 .LBB217_1501
; %bb.1499:
	global_load_dwordx2 v[12:13], v[10:11], off
	s_movk_i32 s0, 0x1ff
	s_movk_i32 s1, 0xffe
	v_mov_b32_e32 v5, 0x7c00
	v_mov_b32_e32 v7, 0x7e00
	s_movk_i32 s9, 0x40f
	s_mov_b32 s10, 0x8000
	s_waitcnt vmcnt(0)
	v_and_or_b32 v9, v13, s0, v12
	v_cmp_ne_u32_e32 vcc, 0, v9
	v_lshrrev_b32_e32 v12, 8, v13
	v_bfe_u32 v14, v13, 20, 11
	v_cndmask_b32_e64 v9, 0, 1, vcc
	v_sub_u32_e32 v15, 0x3f1, v14
	v_and_or_b32 v9, v12, s1, v9
	v_add_u32_e32 v14, 0xfffffc10, v14
	v_med3_i32 v12, v15, 0, 13
	v_or_b32_e32 v15, 0x1000, v9
	v_lshl_or_b32 v16, v14, 12, v9
	v_cmp_ne_u32_e32 vcc, 0, v9
	v_lshrrev_b32_e32 v9, v12, v15
	v_lshlrev_b32_e32 v12, v12, v9
	v_cndmask_b32_e32 v7, v5, v7, vcc
	v_cmp_ne_u32_e32 vcc, v12, v15
	v_lshrrev_b32_e32 v13, 16, v13
	s_mov_b64 s[0:1], 0
	v_cndmask_b32_e64 v12, 0, 1, vcc
	v_or_b32_e32 v9, v9, v12
	v_cmp_gt_i32_e32 vcc, 1, v14
	s_nop 1
	v_cndmask_b32_e32 v9, v16, v9, vcc
	v_and_b32_e32 v12, 7, v9
	v_cmp_lt_i32_e32 vcc, 5, v12
	v_lshrrev_b32_e32 v9, 2, v9
	s_nop 0
	v_cndmask_b32_e64 v15, 0, 1, vcc
	v_cmp_eq_u32_e32 vcc, 3, v12
	s_nop 1
	v_cndmask_b32_e64 v12, 0, 1, vcc
	v_or_b32_e32 v12, v12, v15
	v_add_u32_e32 v9, v9, v12
	v_cmp_gt_i32_e32 vcc, 31, v14
	s_nop 1
	v_cndmask_b32_e32 v5, v5, v9, vcc
	v_cmp_eq_u32_e32 vcc, s9, v14
	s_nop 1
	v_cndmask_b32_e32 v5, v5, v7, vcc
	v_and_or_b32 v12, v13, s10, v5
	s_branch .LBB217_1502
.LBB217_1500:
	s_mov_b64 s[0:1], -1
                                        ; implicit-def: $vgpr12
	s_branch .LBB217_1505
.LBB217_1501:
	s_mov_b64 s[0:1], -1
                                        ; implicit-def: $vgpr12
.LBB217_1502:
	s_andn2_b64 vcc, exec, s[0:1]
	s_cbranch_vccnz .LBB217_1504
; %bb.1503:
	global_load_dword v5, v[10:11], off
	s_waitcnt vmcnt(0)
	v_cvt_f16_f32_e32 v12, v5
.LBB217_1504:
	s_mov_b64 s[0:1], 0
.LBB217_1505:
	s_andn2_b64 vcc, exec, s[0:1]
	s_cbranch_vccnz .LBB217_1507
; %bb.1506:
	global_load_ushort v12, v[10:11], off
.LBB217_1507:
	s_mov_b64 s[0:1], 0
.LBB217_1508:
	s_andn2_b64 vcc, exec, s[0:1]
	s_cbranch_vccnz .LBB217_1528
; %bb.1509:
	s_cmp_lt_i32 s8, 2
	s_cbranch_scc1 .LBB217_1513
; %bb.1510:
	s_cmp_lt_i32 s8, 3
	s_cbranch_scc1 .LBB217_1514
; %bb.1511:
	s_cmp_gt_i32 s8, 3
	s_cbranch_scc0 .LBB217_1515
; %bb.1512:
	global_load_dwordx2 v[12:13], v[10:11], off
	s_mov_b64 s[0:1], 0
	s_waitcnt vmcnt(0)
	v_xor_b32_e32 v7, v12, v13
	v_ffbh_i32_e32 v5, v13
	v_ashrrev_i32_e32 v7, 31, v7
	v_add_u32_e32 v5, -1, v5
	v_add_u32_e32 v7, 32, v7
	v_min_u32_e32 v5, v5, v7
	v_lshlrev_b64 v[12:13], v5, v[12:13]
	v_min_u32_e32 v7, 1, v12
	v_or_b32_e32 v7, v13, v7
	v_cvt_f32_i32_e32 v7, v7
	v_sub_u32_e32 v5, 32, v5
	v_ldexp_f32 v5, v7, v5
	v_cvt_f16_f32_e32 v12, v5
	s_branch .LBB217_1516
.LBB217_1513:
	s_mov_b64 s[0:1], -1
                                        ; implicit-def: $vgpr12
	s_branch .LBB217_1522
.LBB217_1514:
	s_mov_b64 s[0:1], -1
                                        ; implicit-def: $vgpr12
	s_branch .LBB217_1519
.LBB217_1515:
	s_mov_b64 s[0:1], -1
                                        ; implicit-def: $vgpr12
.LBB217_1516:
	s_andn2_b64 vcc, exec, s[0:1]
	s_cbranch_vccnz .LBB217_1518
; %bb.1517:
	global_load_dword v5, v[10:11], off
	s_waitcnt vmcnt(0)
	v_cvt_f32_i32_e32 v5, v5
	v_cvt_f16_f32_e32 v12, v5
.LBB217_1518:
	s_mov_b64 s[0:1], 0
.LBB217_1519:
	s_andn2_b64 vcc, exec, s[0:1]
	s_cbranch_vccnz .LBB217_1521
; %bb.1520:
	global_load_ushort v5, v[10:11], off
	s_waitcnt vmcnt(0)
	v_cvt_f16_i16_e32 v12, v5
.LBB217_1521:
	s_mov_b64 s[0:1], 0
.LBB217_1522:
	s_andn2_b64 vcc, exec, s[0:1]
	s_cbranch_vccnz .LBB217_1528
; %bb.1523:
	s_cmp_gt_i32 s8, 0
	s_cbranch_scc0 .LBB217_1525
; %bb.1524:
	global_load_sbyte v5, v[10:11], off
	s_mov_b64 s[0:1], 0
	s_waitcnt vmcnt(0)
	v_cvt_f16_i16_e32 v12, v5
	s_branch .LBB217_1526
.LBB217_1525:
	s_mov_b64 s[0:1], -1
                                        ; implicit-def: $vgpr12
.LBB217_1526:
	s_andn2_b64 vcc, exec, s[0:1]
	s_cbranch_vccnz .LBB217_1528
; %bb.1527:
	global_load_ubyte v5, v[10:11], off
	s_waitcnt vmcnt(0)
	v_cvt_f16_u16_e32 v12, v5
.LBB217_1528:
.LBB217_1529:
	v_mov_b32_e32 v9, 0
	s_cmp_lt_i32 s17, 11
	v_lshl_add_u64 v[8:9], s[6:7], 0, v[8:9]
	s_cbranch_scc1 .LBB217_1536
; %bb.1530:
	s_and_b32 s14, 0xffff, s17
	s_cmp_gt_i32 s14, 25
	s_mov_b64 s[6:7], 0
	s_cbranch_scc0 .LBB217_1537
; %bb.1531:
	s_cmp_gt_i32 s14, 28
	s_cbranch_scc0 .LBB217_1538
; %bb.1532:
	s_cmp_gt_i32 s14, 43
	;; [unrolled: 3-line block ×3, first 2 shown]
	s_cbranch_scc0 .LBB217_1541
; %bb.1534:
	s_cmp_eq_u32 s14, 46
	s_mov_b64 s[10:11], 0
	s_cbranch_scc0 .LBB217_1542
; %bb.1535:
	global_load_dword v5, v[8:9], off
	s_mov_b64 s[0:1], 0
	s_mov_b64 s[8:9], -1
	s_waitcnt vmcnt(0)
	v_lshlrev_b32_e32 v5, 16, v5
	v_cvt_f16_f32_e32 v10, v5
	s_branch .LBB217_1543
.LBB217_1536:
	s_mov_b64 s[0:1], -1
	s_mov_b64 s[8:9], 0
                                        ; implicit-def: $vgpr10
	s_branch .LBB217_1609
.LBB217_1537:
	s_mov_b64 s[10:11], -1
	s_mov_b64 s[8:9], 0
	s_mov_b64 s[0:1], 0
                                        ; implicit-def: $vgpr10
	s_branch .LBB217_1572
.LBB217_1538:
	s_mov_b64 s[10:11], -1
	s_mov_b64 s[8:9], 0
	s_mov_b64 s[0:1], 0
                                        ; implicit-def: $vgpr10
	s_branch .LBB217_1553
.LBB217_1539:
	s_mov_b64 s[10:11], -1
	s_mov_b64 s[8:9], 0
	s_mov_b64 s[0:1], 0
                                        ; implicit-def: $vgpr10
	s_branch .LBB217_1548
.LBB217_1540:
	s_trap 2
	s_or_b64 s[2:3], s[2:3], exec
	s_cbranch_execz .LBB217_1479
	s_branch .LBB217_1480
.LBB217_1541:
	s_mov_b64 s[10:11], -1
	s_mov_b64 s[8:9], 0
	s_mov_b64 s[0:1], 0
                                        ; implicit-def: $vgpr10
	s_branch .LBB217_1543
.LBB217_1542:
	s_mov_b64 s[0:1], -1
                                        ; implicit-def: $vgpr10
	s_mov_b64 s[8:9], 0
.LBB217_1543:
	s_and_b64 vcc, exec, s[10:11]
	s_cbranch_vccz .LBB217_1547
; %bb.1544:
	s_cmp_eq_u32 s14, 44
	s_cbranch_scc0 .LBB217_1546
; %bb.1545:
	global_load_ubyte v5, v[8:9], off
	s_movk_i32 s8, 0xff
	v_mov_b32_e32 v10, 0x7e00
	s_mov_b64 s[0:1], 0
	s_waitcnt vmcnt(0)
	v_lshlrev_b32_e32 v7, 23, v5
	v_cvt_f16_f32_e32 v7, v7
	v_cmp_ne_u32_e32 vcc, s8, v5
	s_mov_b64 s[8:9], -1
	s_nop 0
	v_cndmask_b32_e32 v7, v10, v7, vcc
	v_cmp_ne_u32_e32 vcc, 0, v5
	s_nop 1
	v_cndmask_b32_e32 v10, 0, v7, vcc
	s_branch .LBB217_1547
.LBB217_1546:
	s_mov_b64 s[0:1], -1
                                        ; implicit-def: $vgpr10
.LBB217_1547:
	s_mov_b64 s[10:11], 0
.LBB217_1548:
	s_and_b64 vcc, exec, s[10:11]
	s_cbranch_vccz .LBB217_1552
; %bb.1549:
	s_cmp_eq_u32 s14, 29
	s_cbranch_scc0 .LBB217_1551
; %bb.1550:
	global_load_dwordx2 v[10:11], v[8:9], off
	s_mov_b64 s[0:1], 0
	s_mov_b64 s[8:9], -1
	s_mov_b64 s[10:11], 0
	s_waitcnt vmcnt(0)
	v_ffbh_u32_e32 v5, v11
	v_min_u32_e32 v5, 32, v5
	v_lshlrev_b64 v[10:11], v5, v[10:11]
	v_min_u32_e32 v7, 1, v10
	v_or_b32_e32 v7, v11, v7
	v_cvt_f32_u32_e32 v7, v7
	v_sub_u32_e32 v5, 32, v5
	v_ldexp_f32 v5, v7, v5
	v_cvt_f16_f32_e32 v10, v5
	s_branch .LBB217_1553
.LBB217_1551:
	s_mov_b64 s[0:1], -1
                                        ; implicit-def: $vgpr10
.LBB217_1552:
	s_mov_b64 s[10:11], 0
.LBB217_1553:
	s_and_b64 vcc, exec, s[10:11]
	s_cbranch_vccz .LBB217_1571
; %bb.1554:
	s_cmp_lt_i32 s14, 27
	s_cbranch_scc1 .LBB217_1557
; %bb.1555:
	s_cmp_gt_i32 s14, 27
	s_cbranch_scc0 .LBB217_1558
; %bb.1556:
	global_load_dword v5, v[8:9], off
	s_mov_b64 s[8:9], 0
	s_waitcnt vmcnt(0)
	v_cvt_f32_u32_e32 v5, v5
	v_cvt_f16_f32_e32 v10, v5
	s_branch .LBB217_1559
.LBB217_1557:
	s_mov_b64 s[8:9], -1
                                        ; implicit-def: $vgpr10
	s_branch .LBB217_1562
.LBB217_1558:
	s_mov_b64 s[8:9], -1
                                        ; implicit-def: $vgpr10
.LBB217_1559:
	s_andn2_b64 vcc, exec, s[8:9]
	s_cbranch_vccnz .LBB217_1561
; %bb.1560:
	global_load_ushort v5, v[8:9], off
	s_waitcnt vmcnt(0)
	v_cvt_f16_u16_e32 v10, v5
.LBB217_1561:
	s_mov_b64 s[8:9], 0
.LBB217_1562:
	s_andn2_b64 vcc, exec, s[8:9]
	s_cbranch_vccnz .LBB217_1570
; %bb.1563:
	global_load_ubyte v5, v[8:9], off
	s_movk_i32 s8, 0x7f
	s_waitcnt vmcnt(0)
	v_cmp_lt_i16_e32 vcc, s8, v5
	s_mov_b64 s[8:9], 0
	s_and_saveexec_b64 s[10:11], vcc
	s_xor_b64 s[10:11], exec, s[10:11]
	s_cbranch_execz .LBB217_1584
; %bb.1564:
	s_movk_i32 s8, 0x80
	v_cmp_eq_u16_e32 vcc, s8, v5
	s_mov_b64 s[8:9], -1
	s_and_saveexec_b64 s[12:13], vcc
; %bb.1565:
	s_xor_b64 s[8:9], exec, -1
; %bb.1566:
	s_or_b64 exec, exec, s[12:13]
	s_and_b64 s[8:9], s[8:9], exec
	s_or_saveexec_b64 s[10:11], s[10:11]
	v_mov_b32_e32 v10, 0x7e00
	s_xor_b64 exec, exec, s[10:11]
	s_cbranch_execnz .LBB217_1585
.LBB217_1567:
	s_or_b64 exec, exec, s[10:11]
	s_and_saveexec_b64 s[10:11], s[8:9]
	s_cbranch_execz .LBB217_1569
.LBB217_1568:
	v_lshlrev_b32_e32 v7, 24, v5
	v_and_b32_e32 v5, 0xffff, v5
	v_and_b32_e32 v10, 7, v5
	v_ffbh_u32_e32 v13, v10
	v_min_u32_e32 v13, 32, v13
	v_subrev_u32_e32 v14, 28, v13
	v_bfe_u32 v11, v5, 3, 4
	v_lshlrev_b32_e32 v5, v14, v5
	v_sub_u32_e32 v13, 29, v13
	v_and_b32_e32 v5, 7, v5
	v_cmp_eq_u32_e32 vcc, 0, v11
	v_and_b32_e32 v7, 0x80000000, v7
	s_nop 0
	v_cndmask_b32_e32 v11, v11, v13, vcc
	v_cndmask_b32_e32 v5, v10, v5, vcc
	v_mov_b32_e32 v10, 0x3b800000
	v_lshlrev_b32_e32 v5, 20, v5
	v_lshl_add_u32 v10, v11, 23, v10
	v_or3_b32 v5, v7, v10, v5
	v_cvt_f16_f32_e32 v10, v5
.LBB217_1569:
	s_or_b64 exec, exec, s[10:11]
.LBB217_1570:
	s_mov_b64 s[8:9], -1
.LBB217_1571:
	s_mov_b64 s[10:11], 0
.LBB217_1572:
	s_and_b64 vcc, exec, s[10:11]
	s_cbranch_vccz .LBB217_1605
; %bb.1573:
	s_cmp_gt_i32 s14, 22
	s_cbranch_scc0 .LBB217_1583
; %bb.1574:
	s_cmp_lt_i32 s14, 24
	s_cbranch_scc1 .LBB217_1586
; %bb.1575:
	s_cmp_gt_i32 s14, 24
	s_cbranch_scc0 .LBB217_1587
; %bb.1576:
	global_load_ubyte v5, v[8:9], off
	s_movk_i32 s6, 0x7f
	s_waitcnt vmcnt(0)
	v_cmp_lt_i16_e32 vcc, s6, v5
	s_mov_b64 s[6:7], 0
	s_and_saveexec_b64 s[8:9], vcc
	s_xor_b64 s[8:9], exec, s[8:9]
	s_cbranch_execz .LBB217_1599
; %bb.1577:
	s_movk_i32 s6, 0x80
	v_cmp_eq_u16_e32 vcc, s6, v5
	s_mov_b64 s[6:7], -1
	s_and_saveexec_b64 s[10:11], vcc
; %bb.1578:
	s_xor_b64 s[6:7], exec, -1
; %bb.1579:
	s_or_b64 exec, exec, s[10:11]
	s_and_b64 s[6:7], s[6:7], exec
	s_or_saveexec_b64 s[8:9], s[8:9]
	v_mov_b32_e32 v10, 0x7e00
	s_xor_b64 exec, exec, s[8:9]
	s_cbranch_execnz .LBB217_1600
.LBB217_1580:
	s_or_b64 exec, exec, s[8:9]
	s_and_saveexec_b64 s[8:9], s[6:7]
	s_cbranch_execz .LBB217_1582
.LBB217_1581:
	v_lshlrev_b32_e32 v7, 24, v5
	v_and_b32_e32 v5, 0xffff, v5
	v_and_b32_e32 v10, 3, v5
	v_ffbh_u32_e32 v13, v10
	v_min_u32_e32 v13, 32, v13
	v_subrev_u32_e32 v14, 29, v13
	v_bfe_u32 v11, v5, 2, 5
	v_lshlrev_b32_e32 v5, v14, v5
	v_sub_u32_e32 v13, 30, v13
	v_and_b32_e32 v5, 3, v5
	v_cmp_eq_u32_e32 vcc, 0, v11
	v_and_b32_e32 v7, 0x80000000, v7
	s_nop 0
	v_cndmask_b32_e32 v11, v11, v13, vcc
	v_cndmask_b32_e32 v5, v10, v5, vcc
	v_mov_b32_e32 v10, 0x37800000
	v_lshlrev_b32_e32 v5, 21, v5
	v_lshl_add_u32 v10, v11, 23, v10
	v_or3_b32 v5, v7, v10, v5
	v_cvt_f16_f32_e32 v10, v5
.LBB217_1582:
	s_or_b64 exec, exec, s[8:9]
	s_mov_b64 s[6:7], 0
	s_branch .LBB217_1588
.LBB217_1583:
	s_mov_b64 s[6:7], -1
                                        ; implicit-def: $vgpr10
	s_branch .LBB217_1594
.LBB217_1584:
	s_or_saveexec_b64 s[10:11], s[10:11]
	v_mov_b32_e32 v10, 0x7e00
	s_xor_b64 exec, exec, s[10:11]
	s_cbranch_execz .LBB217_1567
.LBB217_1585:
	v_cmp_ne_u16_e32 vcc, 0, v5
	s_andn2_b64 s[8:9], s[8:9], exec
	s_and_b64 s[12:13], vcc, exec
	s_or_b64 s[8:9], s[8:9], s[12:13]
	v_mov_b32_e32 v10, v5
	s_or_b64 exec, exec, s[10:11]
	s_and_saveexec_b64 s[10:11], s[8:9]
	s_cbranch_execnz .LBB217_1568
	s_branch .LBB217_1569
.LBB217_1586:
	s_mov_b64 s[6:7], -1
                                        ; implicit-def: $vgpr10
	s_branch .LBB217_1591
.LBB217_1587:
	s_mov_b64 s[6:7], -1
                                        ; implicit-def: $vgpr10
.LBB217_1588:
	s_and_b64 vcc, exec, s[6:7]
	s_cbranch_vccz .LBB217_1590
; %bb.1589:
	global_load_ubyte v5, v[8:9], off
	s_mov_b32 s6, 0x7f800000
	s_waitcnt vmcnt(0)
	v_lshlrev_b32_e32 v5, 24, v5
	v_and_b32_e32 v7, 0x7f000000, v5
	v_ffbh_u32_e32 v10, v7
	v_min_u32_e32 v10, 32, v10
	v_sub_u32_e64 v10, v10, 4 clamp
	v_lshlrev_b32_e32 v13, v10, v7
	v_lshlrev_b32_e32 v10, 23, v10
	v_lshrrev_b32_e32 v13, 4, v13
	v_add_u32_e32 v11, 0x1000000, v7
	v_sub_u32_e32 v10, v13, v10
	v_ashrrev_i32_e32 v11, 8, v11
	v_add_u32_e32 v10, 0x3c000000, v10
	v_and_or_b32 v10, v11, s6, v10
	v_cmp_ne_u32_e32 vcc, 0, v7
	s_brev_b32 s6, 1
	s_nop 0
	v_cndmask_b32_e32 v7, 0, v10, vcc
	v_and_or_b32 v5, v5, s6, v7
	v_cvt_f16_f32_e32 v10, v5
.LBB217_1590:
	s_mov_b64 s[6:7], 0
.LBB217_1591:
	s_andn2_b64 vcc, exec, s[6:7]
	s_cbranch_vccnz .LBB217_1593
; %bb.1592:
	global_load_ubyte v5, v[8:9], off
	s_movk_i32 s6, 0x7f00
	s_brev_b32 s7, 16
	s_waitcnt vmcnt(0)
	v_lshlrev_b16_e32 v7, 8, v5
	v_lshlrev_b32_e32 v5, 25, v5
	v_lshrrev_b32_e32 v10, 4, v5
	v_and_or_b32 v11, v7, s6, 0.5
	v_or_b32_e32 v10, 0x70000000, v10
	v_add_f32_e32 v11, -0.5, v11
	v_mul_f32_e32 v10, 0x7800000, v10
	v_cmp_gt_u32_e32 vcc, s7, v5
	v_bfe_i32 v7, v7, 0, 16
	s_brev_b32 s6, 1
	v_cndmask_b32_e32 v5, v10, v11, vcc
	v_and_or_b32 v5, v7, s6, v5
	v_cvt_f16_f32_e32 v10, v5
.LBB217_1593:
	s_mov_b64 s[6:7], 0
	s_mov_b64 s[8:9], -1
.LBB217_1594:
	s_andn2_b64 vcc, exec, s[6:7]
	s_mov_b64 s[6:7], 0
	s_cbranch_vccnz .LBB217_1605
; %bb.1595:
	s_cmp_gt_i32 s14, 14
	s_cbranch_scc0 .LBB217_1598
; %bb.1596:
	s_cmp_eq_u32 s14, 15
	s_cbranch_scc0 .LBB217_1601
; %bb.1597:
	global_load_ushort v5, v[8:9], off
	s_mov_b64 s[0:1], 0
	s_mov_b64 s[8:9], -1
	s_waitcnt vmcnt(0)
	v_lshlrev_b32_e32 v5, 16, v5
	v_cvt_f16_f32_e32 v10, v5
	s_branch .LBB217_1602
.LBB217_1598:
	s_mov_b64 s[10:11], -1
                                        ; implicit-def: $vgpr10
	s_branch .LBB217_1603
.LBB217_1599:
	s_or_saveexec_b64 s[8:9], s[8:9]
	v_mov_b32_e32 v10, 0x7e00
	s_xor_b64 exec, exec, s[8:9]
	s_cbranch_execz .LBB217_1580
.LBB217_1600:
	v_cmp_ne_u16_e32 vcc, 0, v5
	s_andn2_b64 s[6:7], s[6:7], exec
	s_and_b64 s[10:11], vcc, exec
	s_or_b64 s[6:7], s[6:7], s[10:11]
	v_mov_b32_e32 v10, v5
	s_or_b64 exec, exec, s[8:9]
	s_and_saveexec_b64 s[8:9], s[6:7]
	s_cbranch_execnz .LBB217_1581
	s_branch .LBB217_1582
.LBB217_1601:
	s_mov_b64 s[0:1], -1
                                        ; implicit-def: $vgpr10
.LBB217_1602:
	s_mov_b64 s[10:11], 0
.LBB217_1603:
	s_and_b64 vcc, exec, s[10:11]
	s_cbranch_vccz .LBB217_1605
; %bb.1604:
	s_cmp_lg_u32 s14, 11
	s_mov_b64 s[6:7], -1
	s_cselect_b64 s[0:1], -1, 0
.LBB217_1605:
	s_and_b64 vcc, exec, s[0:1]
	s_cbranch_vccnz .LBB217_2138
; %bb.1606:
	s_andn2_b64 vcc, exec, s[6:7]
	s_cbranch_vccnz .LBB217_1608
.LBB217_1607:
	global_load_ubyte v5, v[8:9], off
	v_mov_b32_e32 v7, 0x3c00
	s_mov_b64 s[8:9], -1
	s_waitcnt vmcnt(0)
	v_cmp_ne_u16_e32 vcc, 0, v5
	s_nop 1
	v_cndmask_b32_e32 v10, 0, v7, vcc
.LBB217_1608:
	s_mov_b64 s[0:1], 0
.LBB217_1609:
	s_and_b64 vcc, exec, s[0:1]
	s_cbranch_vccz .LBB217_1658
; %bb.1610:
	s_and_b32 s6, 0xffff, s17
	s_cmp_lt_i32 s6, 5
	s_cbranch_scc1 .LBB217_1615
; %bb.1611:
	s_cmp_lt_i32 s6, 8
	s_cbranch_scc1 .LBB217_1616
; %bb.1612:
	;; [unrolled: 3-line block ×3, first 2 shown]
	s_cmp_gt_i32 s6, 9
	s_cbranch_scc0 .LBB217_1618
; %bb.1614:
	global_load_dwordx2 v[10:11], v[8:9], off
	s_movk_i32 s0, 0x1ff
	s_movk_i32 s1, 0xffe
	v_mov_b32_e32 v5, 0x7c00
	v_mov_b32_e32 v7, 0x7e00
	s_movk_i32 s7, 0x40f
	s_mov_b32 s8, 0x8000
	s_waitcnt vmcnt(0)
	v_and_or_b32 v10, v11, s0, v10
	v_cmp_ne_u32_e32 vcc, 0, v10
	v_lshrrev_b32_e32 v13, 8, v11
	v_bfe_u32 v14, v11, 20, 11
	v_cndmask_b32_e64 v10, 0, 1, vcc
	v_sub_u32_e32 v15, 0x3f1, v14
	v_and_or_b32 v10, v13, s1, v10
	v_add_u32_e32 v14, 0xfffffc10, v14
	v_med3_i32 v13, v15, 0, 13
	v_or_b32_e32 v15, 0x1000, v10
	v_lshl_or_b32 v16, v14, 12, v10
	v_cmp_ne_u32_e32 vcc, 0, v10
	v_lshrrev_b32_e32 v10, v13, v15
	v_lshlrev_b32_e32 v13, v13, v10
	v_cndmask_b32_e32 v7, v5, v7, vcc
	v_cmp_ne_u32_e32 vcc, v13, v15
	v_lshrrev_b32_e32 v11, 16, v11
	s_mov_b64 s[0:1], 0
	v_cndmask_b32_e64 v13, 0, 1, vcc
	v_or_b32_e32 v10, v10, v13
	v_cmp_gt_i32_e32 vcc, 1, v14
	s_nop 1
	v_cndmask_b32_e32 v10, v16, v10, vcc
	v_and_b32_e32 v13, 7, v10
	v_cmp_lt_i32_e32 vcc, 5, v13
	v_lshrrev_b32_e32 v10, 2, v10
	s_nop 0
	v_cndmask_b32_e64 v15, 0, 1, vcc
	v_cmp_eq_u32_e32 vcc, 3, v13
	s_nop 1
	v_cndmask_b32_e64 v13, 0, 1, vcc
	v_or_b32_e32 v13, v13, v15
	v_add_u32_e32 v10, v10, v13
	v_cmp_gt_i32_e32 vcc, 31, v14
	s_nop 1
	v_cndmask_b32_e32 v5, v5, v10, vcc
	v_cmp_eq_u32_e32 vcc, s7, v14
	s_nop 1
	v_cndmask_b32_e32 v5, v5, v7, vcc
	v_and_or_b32 v10, v11, s8, v5
	s_branch .LBB217_1619
.LBB217_1615:
	s_mov_b64 s[0:1], -1
                                        ; implicit-def: $vgpr10
	s_branch .LBB217_1637
.LBB217_1616:
	s_mov_b64 s[0:1], -1
                                        ; implicit-def: $vgpr10
	s_branch .LBB217_1625
.LBB217_1617:
	s_mov_b64 s[0:1], -1
                                        ; implicit-def: $vgpr10
	s_branch .LBB217_1622
.LBB217_1618:
	s_mov_b64 s[0:1], -1
                                        ; implicit-def: $vgpr10
.LBB217_1619:
	s_andn2_b64 vcc, exec, s[0:1]
	s_cbranch_vccnz .LBB217_1621
; %bb.1620:
	global_load_dword v5, v[8:9], off
	s_waitcnt vmcnt(0)
	v_cvt_f16_f32_e32 v10, v5
.LBB217_1621:
	s_mov_b64 s[0:1], 0
.LBB217_1622:
	s_andn2_b64 vcc, exec, s[0:1]
	s_cbranch_vccnz .LBB217_1624
; %bb.1623:
	global_load_dword v10, v[8:9], off
.LBB217_1624:
	s_mov_b64 s[0:1], 0
.LBB217_1625:
	s_andn2_b64 vcc, exec, s[0:1]
	s_cbranch_vccnz .LBB217_1636
; %bb.1626:
	s_cmp_lt_i32 s6, 6
	s_cbranch_scc1 .LBB217_1629
; %bb.1627:
	s_cmp_gt_i32 s6, 6
	s_cbranch_scc0 .LBB217_1630
; %bb.1628:
	global_load_dwordx2 v[10:11], v[8:9], off
	s_movk_i32 s0, 0x1ff
	s_movk_i32 s1, 0xffe
	v_mov_b32_e32 v5, 0x7c00
	v_mov_b32_e32 v7, 0x7e00
	s_movk_i32 s7, 0x40f
	s_mov_b32 s8, 0x8000
	s_waitcnt vmcnt(0)
	v_and_or_b32 v10, v11, s0, v10
	v_cmp_ne_u32_e32 vcc, 0, v10
	v_lshrrev_b32_e32 v13, 8, v11
	v_bfe_u32 v14, v11, 20, 11
	v_cndmask_b32_e64 v10, 0, 1, vcc
	v_sub_u32_e32 v15, 0x3f1, v14
	v_and_or_b32 v10, v13, s1, v10
	v_add_u32_e32 v14, 0xfffffc10, v14
	v_med3_i32 v13, v15, 0, 13
	v_or_b32_e32 v15, 0x1000, v10
	v_lshl_or_b32 v16, v14, 12, v10
	v_cmp_ne_u32_e32 vcc, 0, v10
	v_lshrrev_b32_e32 v10, v13, v15
	v_lshlrev_b32_e32 v13, v13, v10
	v_cndmask_b32_e32 v7, v5, v7, vcc
	v_cmp_ne_u32_e32 vcc, v13, v15
	v_lshrrev_b32_e32 v11, 16, v11
	s_mov_b64 s[0:1], 0
	v_cndmask_b32_e64 v13, 0, 1, vcc
	v_or_b32_e32 v10, v10, v13
	v_cmp_gt_i32_e32 vcc, 1, v14
	s_nop 1
	v_cndmask_b32_e32 v10, v16, v10, vcc
	v_and_b32_e32 v13, 7, v10
	v_cmp_lt_i32_e32 vcc, 5, v13
	v_lshrrev_b32_e32 v10, 2, v10
	s_nop 0
	v_cndmask_b32_e64 v15, 0, 1, vcc
	v_cmp_eq_u32_e32 vcc, 3, v13
	s_nop 1
	v_cndmask_b32_e64 v13, 0, 1, vcc
	v_or_b32_e32 v13, v13, v15
	v_add_u32_e32 v10, v10, v13
	v_cmp_gt_i32_e32 vcc, 31, v14
	s_nop 1
	v_cndmask_b32_e32 v5, v5, v10, vcc
	v_cmp_eq_u32_e32 vcc, s7, v14
	s_nop 1
	v_cndmask_b32_e32 v5, v5, v7, vcc
	v_and_or_b32 v10, v11, s8, v5
	s_branch .LBB217_1631
.LBB217_1629:
	s_mov_b64 s[0:1], -1
                                        ; implicit-def: $vgpr10
	s_branch .LBB217_1634
.LBB217_1630:
	s_mov_b64 s[0:1], -1
                                        ; implicit-def: $vgpr10
.LBB217_1631:
	s_andn2_b64 vcc, exec, s[0:1]
	s_cbranch_vccnz .LBB217_1633
; %bb.1632:
	global_load_dword v5, v[8:9], off
	s_waitcnt vmcnt(0)
	v_cvt_f16_f32_e32 v10, v5
.LBB217_1633:
	s_mov_b64 s[0:1], 0
.LBB217_1634:
	s_andn2_b64 vcc, exec, s[0:1]
	s_cbranch_vccnz .LBB217_1636
; %bb.1635:
	global_load_ushort v10, v[8:9], off
.LBB217_1636:
	s_mov_b64 s[0:1], 0
.LBB217_1637:
	s_andn2_b64 vcc, exec, s[0:1]
	s_cbranch_vccnz .LBB217_1657
; %bb.1638:
	s_cmp_lt_i32 s6, 2
	s_cbranch_scc1 .LBB217_1642
; %bb.1639:
	s_cmp_lt_i32 s6, 3
	s_cbranch_scc1 .LBB217_1643
; %bb.1640:
	s_cmp_gt_i32 s6, 3
	s_cbranch_scc0 .LBB217_1644
; %bb.1641:
	global_load_dwordx2 v[10:11], v[8:9], off
	s_mov_b64 s[0:1], 0
	s_waitcnt vmcnt(0)
	v_xor_b32_e32 v7, v10, v11
	v_ffbh_i32_e32 v5, v11
	v_ashrrev_i32_e32 v7, 31, v7
	v_add_u32_e32 v5, -1, v5
	v_add_u32_e32 v7, 32, v7
	v_min_u32_e32 v5, v5, v7
	v_lshlrev_b64 v[10:11], v5, v[10:11]
	v_min_u32_e32 v7, 1, v10
	v_or_b32_e32 v7, v11, v7
	v_cvt_f32_i32_e32 v7, v7
	v_sub_u32_e32 v5, 32, v5
	v_ldexp_f32 v5, v7, v5
	v_cvt_f16_f32_e32 v10, v5
	s_branch .LBB217_1645
.LBB217_1642:
	s_mov_b64 s[0:1], -1
                                        ; implicit-def: $vgpr10
	s_branch .LBB217_1651
.LBB217_1643:
	s_mov_b64 s[0:1], -1
                                        ; implicit-def: $vgpr10
	s_branch .LBB217_1648
.LBB217_1644:
	s_mov_b64 s[0:1], -1
                                        ; implicit-def: $vgpr10
.LBB217_1645:
	s_andn2_b64 vcc, exec, s[0:1]
	s_cbranch_vccnz .LBB217_1647
; %bb.1646:
	global_load_dword v5, v[8:9], off
	s_waitcnt vmcnt(0)
	v_cvt_f32_i32_e32 v5, v5
	v_cvt_f16_f32_e32 v10, v5
.LBB217_1647:
	s_mov_b64 s[0:1], 0
.LBB217_1648:
	s_andn2_b64 vcc, exec, s[0:1]
	s_cbranch_vccnz .LBB217_1650
; %bb.1649:
	global_load_ushort v5, v[8:9], off
	s_waitcnt vmcnt(0)
	v_cvt_f16_i16_e32 v10, v5
.LBB217_1650:
	s_mov_b64 s[0:1], 0
.LBB217_1651:
	s_andn2_b64 vcc, exec, s[0:1]
	s_cbranch_vccnz .LBB217_1657
; %bb.1652:
	s_cmp_gt_i32 s6, 0
	s_cbranch_scc0 .LBB217_1654
; %bb.1653:
	global_load_sbyte v5, v[8:9], off
	s_mov_b64 s[0:1], 0
	s_waitcnt vmcnt(0)
	v_cvt_f16_i16_e32 v10, v5
	s_branch .LBB217_1655
.LBB217_1654:
	s_mov_b64 s[0:1], -1
                                        ; implicit-def: $vgpr10
.LBB217_1655:
	s_andn2_b64 vcc, exec, s[0:1]
	s_cbranch_vccnz .LBB217_1657
; %bb.1656:
	global_load_ubyte v5, v[8:9], off
	s_waitcnt vmcnt(0)
	v_cvt_f16_u16_e32 v10, v5
.LBB217_1657:
	s_mov_b64 s[8:9], -1
.LBB217_1658:
	s_andn2_b64 vcc, exec, s[8:9]
	s_cbranch_vccnz .LBB217_2092
; %bb.1659:
	s_waitcnt vmcnt(0)
	v_cvt_f32_f16_e32 v1, v1
	s_mov_b32 s0, 0
	s_mov_b32 s1, 0x3fd80000
	s_bfe_u32 s14, s16, 0x80008
	v_cvt_f64_f32_e32 v[8:9], v1
	v_rsq_f64_e32 v[14:15], v[8:9]
	v_mov_b32_e32 v1, 0x180
	s_cmp_lt_i32 s14, 11
	v_mul_f64 v[8:9], v[14:15], -v[8:9]
	v_fma_f64 v[8:9], v[8:9], v[14:15], 1.0
	v_mul_f64 v[16:17], v[14:15], v[8:9]
	v_fma_f64 v[8:9], v[8:9], s[0:1], 0.5
	v_fma_f64 v[8:9], v[16:17], v[8:9], v[14:15]
	v_cmp_class_f64_e32 vcc, v[14:15], v1
	s_movk_i32 s0, 0x1ff
	s_nop 0
	v_cndmask_b32_e32 v1, v14, v8, vcc
	v_cndmask_b32_e32 v5, v15, v9, vcc
	v_and_or_b32 v1, v5, s0, v1
	v_cmp_ne_u32_e32 vcc, 0, v1
	v_lshrrev_b32_e32 v7, 8, v5
	s_movk_i32 s0, 0xffe
	v_cndmask_b32_e64 v1, 0, 1, vcc
	v_bfe_u32 v8, v5, 20, 11
	v_and_or_b32 v1, v7, s0, v1
	v_sub_u32_e32 v9, 0x3f1, v8
	v_or_b32_e32 v7, 0x1000, v1
	v_med3_i32 v9, v9, 0, 13
	v_lshrrev_b32_e32 v11, v9, v7
	v_lshlrev_b32_e32 v9, v9, v11
	v_cmp_ne_u32_e32 vcc, v9, v7
	v_add_u32_e32 v8, 0xfffffc10, v8
	v_lshl_or_b32 v9, v8, 12, v1
	v_cndmask_b32_e64 v7, 0, 1, vcc
	v_or_b32_e32 v7, v11, v7
	v_cmp_gt_i32_e32 vcc, 1, v8
	s_movk_i32 s0, 0x40f
	v_lshrrev_b32_e32 v5, 16, v5
	v_cndmask_b32_e32 v7, v9, v7, vcc
	v_and_b32_e32 v9, 7, v7
	v_cmp_lt_i32_e32 vcc, 5, v9
	v_lshrrev_b32_e32 v7, 2, v7
	s_nop 0
	v_cndmask_b32_e64 v11, 0, 1, vcc
	v_cmp_eq_u32_e32 vcc, 3, v9
	s_nop 1
	v_cndmask_b32_e64 v9, 0, 1, vcc
	v_or_b32_e32 v9, v9, v11
	v_add_u32_e32 v7, v7, v9
	v_mov_b32_e32 v9, 0x7c00
	v_cmp_gt_i32_e32 vcc, 31, v8
	v_mov_b32_e32 v11, 0x7e00
	s_nop 0
	v_cndmask_b32_e32 v7, v9, v7, vcc
	v_cmp_ne_u32_e32 vcc, 0, v1
	s_nop 1
	v_cndmask_b32_e32 v1, v9, v11, vcc
	v_cmp_eq_u32_e32 vcc, s0, v8
	s_mov_b32 s0, 0x8000
	s_nop 0
	v_cndmask_b32_e32 v1, v7, v1, vcc
	v_mov_b32_e32 v7, 0
	v_and_or_b32 v1, v5, s0, v1
	v_lshl_add_u64 v[6:7], s[4:5], 0, v[6:7]
	s_cbranch_scc1 .LBB217_1737
; %bb.1660:
	s_and_b32 s15, 0xffff, s14
	s_mov_b64 s[10:11], -1
	s_mov_b64 s[6:7], 0
	s_cmp_gt_i32 s15, 25
	s_mov_b64 s[8:9], 0
	s_mov_b64 s[0:1], 0
	s_cbranch_scc0 .LBB217_1693
; %bb.1661:
	s_cmp_gt_i32 s15, 28
	s_cbranch_scc0 .LBB217_1676
; %bb.1662:
	s_cmp_gt_i32 s15, 43
	;; [unrolled: 3-line block ×3, first 2 shown]
	s_cbranch_scc0 .LBB217_1666
; %bb.1664:
	s_mov_b64 s[0:1], -1
	s_mov_b64 s[10:11], 0
	s_cmp_eq_u32 s15, 46
	s_cbranch_scc0 .LBB217_1666
; %bb.1665:
	v_cvt_f32_f16_e32 v5, v1
	s_movk_i32 s0, 0x7fff
	v_cmp_o_f16_e32 vcc, v1, v1
	v_mov_b32_e32 v8, 0x7fc0
	v_bfe_u32 v9, v5, 16, 1
	v_add3_u32 v5, v5, v9, s0
	v_cndmask_b32_sdwa v5, v8, v5, vcc dst_sel:DWORD dst_unused:UNUSED_PAD src0_sel:DWORD src1_sel:WORD_1
	global_store_dword v[6:7], v5, off
	s_mov_b64 s[0:1], 0
	s_mov_b64 s[8:9], -1
.LBB217_1666:
	s_and_b64 vcc, exec, s[10:11]
	s_cbranch_vccz .LBB217_1671
; %bb.1667:
	s_cmp_eq_u32 s15, 44
	s_mov_b64 s[0:1], -1
	s_cbranch_scc0 .LBB217_1671
; %bb.1668:
	v_cvt_f32_f16_e32 v5, v1
	s_movk_i32 s0, 0xff
	v_mov_b32_e32 v9, 0xff
	v_bfe_u32 v8, v5, 23, 8
	v_cmp_ne_u32_e32 vcc, s0, v8
	s_and_saveexec_b64 s[8:9], vcc
; %bb.1669:
	s_mov_b32 s0, 0x3fffff
	v_lshrrev_b32_e32 v9, 23, v5
	v_and_b32_e32 v11, 0x400000, v5
	v_and_or_b32 v5, v5, s0, v8
	v_cmp_ne_u32_e32 vcc, 0, v11
	v_cmp_ne_u32_e64 s[0:1], 0, v5
	s_and_b64 s[0:1], vcc, s[0:1]
	s_nop 0
	v_cndmask_b32_e64 v5, 0, 1, s[0:1]
	v_add_u32_e32 v9, v9, v5
; %bb.1670:
	s_or_b64 exec, exec, s[8:9]
	s_mov_b64 s[0:1], 0
	s_mov_b64 s[8:9], -1
	global_store_byte v[6:7], v9, off
.LBB217_1671:
	s_mov_b64 s[10:11], 0
.LBB217_1672:
	s_and_b64 vcc, exec, s[10:11]
	s_cbranch_vccz .LBB217_1675
; %bb.1673:
	s_cmp_eq_u32 s15, 29
	s_mov_b64 s[0:1], -1
	s_cbranch_scc0 .LBB217_1675
; %bb.1674:
	v_cvt_f32_f16_e32 v5, v1
	v_mov_b32_e32 v9, 0
	s_mov_b64 s[0:1], 0
	s_mov_b64 s[8:9], -1
	v_cvt_u32_f32_e32 v8, v5
	global_store_dwordx2 v[6:7], v[8:9], off
.LBB217_1675:
	s_mov_b64 s[10:11], 0
.LBB217_1676:
	s_and_b64 vcc, exec, s[10:11]
	s_cbranch_vccz .LBB217_1692
; %bb.1677:
	s_cmp_lt_i32 s15, 27
	s_mov_b64 s[8:9], -1
	s_cbranch_scc1 .LBB217_1683
; %bb.1678:
	s_cmp_gt_i32 s15, 27
	s_cbranch_scc0 .LBB217_1680
; %bb.1679:
	v_cvt_f32_f16_e32 v5, v1
	s_mov_b64 s[8:9], 0
	v_cvt_u32_f32_e32 v5, v5
	global_store_dword v[6:7], v5, off
.LBB217_1680:
	s_andn2_b64 vcc, exec, s[8:9]
	s_cbranch_vccnz .LBB217_1682
; %bb.1681:
	v_cvt_u16_f16_e32 v5, v1
	global_store_short v[6:7], v5, off
.LBB217_1682:
	s_mov_b64 s[8:9], 0
.LBB217_1683:
	s_andn2_b64 vcc, exec, s[8:9]
	s_cbranch_vccnz .LBB217_1691
; %bb.1684:
	v_cvt_f32_f16_e32 v5, v1
	s_mov_b32 s8, 0x43800000
	v_mov_b32_e32 v9, 0x80
	v_and_b32_e32 v8, 0x7fffffff, v5
	v_cmp_gt_u32_e32 vcc, s8, v8
	s_and_saveexec_b64 s[8:9], vcc
	s_cbranch_execz .LBB217_1690
; %bb.1685:
	s_mov_b32 s10, 0x3bffffff
	v_cmp_lt_u32_e32 vcc, s10, v8
	s_mov_b64 s[10:11], 0
                                        ; implicit-def: $vgpr8
	s_and_saveexec_b64 s[12:13], vcc
	s_xor_b64 s[12:13], exec, s[12:13]
	s_cbranch_execz .LBB217_2139
; %bb.1686:
	v_bfe_u32 v8, v5, 20, 1
	s_mov_b32 s17, 0x487ffff
	v_add3_u32 v8, v5, v8, s17
	s_mov_b64 s[10:11], exec
	v_lshrrev_b32_e32 v8, 20, v8
	s_andn2_saveexec_b64 s[12:13], s[12:13]
	s_cbranch_execnz .LBB217_2140
.LBB217_1687:
	s_or_b64 exec, exec, s[12:13]
	v_mov_b32_e32 v9, 0
	s_and_saveexec_b64 s[12:13], s[10:11]
.LBB217_1688:
	v_lshrrev_b32_e32 v5, 24, v5
	s_movk_i32 s10, 0x80
	v_and_or_b32 v9, v5, s10, v8
.LBB217_1689:
	s_or_b64 exec, exec, s[12:13]
.LBB217_1690:
	s_or_b64 exec, exec, s[8:9]
	global_store_byte v[6:7], v9, off
.LBB217_1691:
	s_mov_b64 s[8:9], -1
.LBB217_1692:
	s_mov_b64 s[10:11], 0
.LBB217_1693:
	s_and_b64 vcc, exec, s[10:11]
	s_cbranch_vccz .LBB217_1733
; %bb.1694:
	s_cmp_gt_i32 s15, 22
	s_mov_b64 s[6:7], -1
	s_cbranch_scc0 .LBB217_1726
; %bb.1695:
	s_cmp_lt_i32 s15, 24
	s_cbranch_scc1 .LBB217_1715
; %bb.1696:
	s_cmp_gt_i32 s15, 24
	s_cbranch_scc0 .LBB217_1704
; %bb.1697:
	v_cvt_f32_f16_e32 v5, v1
	s_mov_b32 s6, 0x47800000
	v_mov_b32_e32 v9, 0x80
	v_and_b32_e32 v8, 0x7fffffff, v5
	v_cmp_gt_u32_e32 vcc, s6, v8
	s_and_saveexec_b64 s[6:7], vcc
	s_cbranch_execz .LBB217_1703
; %bb.1698:
	s_mov_b32 s8, 0x37ffffff
	v_cmp_lt_u32_e32 vcc, s8, v8
	s_mov_b64 s[8:9], 0
                                        ; implicit-def: $vgpr8
	s_and_saveexec_b64 s[10:11], vcc
	s_xor_b64 s[10:11], exec, s[10:11]
	s_cbranch_execz .LBB217_2142
; %bb.1699:
	v_bfe_u32 v8, v5, 21, 1
	s_mov_b32 s12, 0x88fffff
	v_add3_u32 v8, v5, v8, s12
	s_mov_b64 s[8:9], exec
	v_lshrrev_b32_e32 v8, 21, v8
	s_andn2_saveexec_b64 s[10:11], s[10:11]
	s_cbranch_execnz .LBB217_2143
.LBB217_1700:
	s_or_b64 exec, exec, s[10:11]
	v_mov_b32_e32 v9, 0
	s_and_saveexec_b64 s[10:11], s[8:9]
.LBB217_1701:
	v_lshrrev_b32_e32 v5, 24, v5
	s_movk_i32 s8, 0x80
	v_and_or_b32 v9, v5, s8, v8
.LBB217_1702:
	s_or_b64 exec, exec, s[10:11]
.LBB217_1703:
	s_or_b64 exec, exec, s[6:7]
	s_mov_b64 s[6:7], 0
	global_store_byte v[6:7], v9, off
.LBB217_1704:
	s_and_b64 vcc, exec, s[6:7]
	s_cbranch_vccz .LBB217_1714
; %bb.1705:
	v_cvt_f32_f16_e32 v5, v1
	s_mov_b32 s6, 0x43f00000
                                        ; implicit-def: $vgpr8
	v_and_b32_e32 v9, 0x7fffffff, v5
	v_cmp_gt_u32_e32 vcc, s6, v9
	s_and_saveexec_b64 s[6:7], vcc
	s_xor_b64 s[6:7], exec, s[6:7]
	s_cbranch_execz .LBB217_1711
; %bb.1706:
	s_mov_b32 s8, 0x3c7fffff
	v_cmp_lt_u32_e32 vcc, s8, v9
                                        ; implicit-def: $vgpr8
	s_and_saveexec_b64 s[8:9], vcc
	s_xor_b64 s[8:9], exec, s[8:9]
; %bb.1707:
	v_bfe_u32 v8, v5, 20, 1
	s_mov_b32 s10, 0x407ffff
	v_add3_u32 v8, v5, v8, s10
	v_lshrrev_b32_e32 v9, 20, v8
	v_and_b32_e32 v8, 0xff00000, v8
	s_mov_b32 s10, 0x7f00000
	v_mov_b32_e32 v11, 0x7e
	v_cmp_ne_u32_e32 vcc, s10, v8
	s_nop 1
	v_cndmask_b32_e32 v8, v11, v9, vcc
; %bb.1708:
	s_andn2_saveexec_b64 s[8:9], s[8:9]
; %bb.1709:
	s_mov_b32 s10, 0x46800000
	v_add_f32_e64 v8, |v5|, s10
; %bb.1710:
	s_or_b64 exec, exec, s[8:9]
                                        ; implicit-def: $vgpr9
.LBB217_1711:
	s_andn2_saveexec_b64 s[6:7], s[6:7]
; %bb.1712:
	s_mov_b32 s8, 0x7f800000
	v_mov_b32_e32 v8, 0x7e
	v_mov_b32_e32 v11, 0x7f
	v_cmp_lt_u32_e32 vcc, s8, v9
	s_nop 1
	v_cndmask_b32_e32 v8, v8, v11, vcc
; %bb.1713:
	s_or_b64 exec, exec, s[6:7]
	v_lshrrev_b32_e32 v5, 24, v5
	s_movk_i32 s6, 0x80
	v_and_or_b32 v5, v5, s6, v8
	global_store_byte v[6:7], v5, off
.LBB217_1714:
	s_mov_b64 s[6:7], 0
.LBB217_1715:
	s_andn2_b64 vcc, exec, s[6:7]
	s_cbranch_vccnz .LBB217_1725
; %bb.1716:
	v_cvt_f32_f16_e32 v5, v1
	s_mov_b32 s6, 0x47800000
                                        ; implicit-def: $vgpr8
	v_and_b32_e32 v9, 0x7fffffff, v5
	v_cmp_gt_u32_e32 vcc, s6, v9
	s_and_saveexec_b64 s[6:7], vcc
	s_xor_b64 s[6:7], exec, s[6:7]
	s_cbranch_execz .LBB217_1722
; %bb.1717:
	s_mov_b32 s8, 0x387fffff
	v_cmp_lt_u32_e32 vcc, s8, v9
                                        ; implicit-def: $vgpr8
	s_and_saveexec_b64 s[8:9], vcc
	s_xor_b64 s[8:9], exec, s[8:9]
; %bb.1718:
	v_bfe_u32 v8, v5, 21, 1
	s_mov_b32 s10, 0x80fffff
	v_add3_u32 v8, v5, v8, s10
	v_lshrrev_b32_e32 v8, 21, v8
; %bb.1719:
	s_andn2_saveexec_b64 s[8:9], s[8:9]
; %bb.1720:
	s_mov_b32 s10, 0x43000000
	v_add_f32_e64 v8, |v5|, s10
; %bb.1721:
	s_or_b64 exec, exec, s[8:9]
                                        ; implicit-def: $vgpr9
.LBB217_1722:
	s_andn2_saveexec_b64 s[6:7], s[6:7]
; %bb.1723:
	s_mov_b32 s8, 0x7f800000
	v_mov_b32_e32 v8, 0x7c
	v_mov_b32_e32 v11, 0x7f
	v_cmp_lt_u32_e32 vcc, s8, v9
	s_nop 1
	v_cndmask_b32_e32 v8, v8, v11, vcc
; %bb.1724:
	s_or_b64 exec, exec, s[6:7]
	v_lshrrev_b32_e32 v5, 24, v5
	s_movk_i32 s6, 0x80
	v_and_or_b32 v5, v5, s6, v8
	global_store_byte v[6:7], v5, off
.LBB217_1725:
	s_mov_b64 s[6:7], 0
	s_mov_b64 s[8:9], -1
.LBB217_1726:
	s_andn2_b64 vcc, exec, s[6:7]
	s_mov_b64 s[6:7], 0
	s_cbranch_vccnz .LBB217_1733
; %bb.1727:
	s_cmp_gt_i32 s15, 14
	s_mov_b64 s[10:11], -1
	s_cbranch_scc0 .LBB217_1731
; %bb.1728:
	s_cmp_eq_u32 s15, 15
	s_mov_b64 s[0:1], -1
	s_cbranch_scc0 .LBB217_1730
; %bb.1729:
	v_cvt_f32_f16_e32 v5, v1
	s_movk_i32 s0, 0x7fff
	v_cmp_o_f16_e32 vcc, v1, v1
	v_mov_b32_e32 v8, 0x7fc0
	v_bfe_u32 v9, v5, 16, 1
	v_add3_u32 v5, v5, v9, s0
	v_cndmask_b32_sdwa v5, v8, v5, vcc dst_sel:DWORD dst_unused:UNUSED_PAD src0_sel:DWORD src1_sel:WORD_1
	global_store_short v[6:7], v5, off
	s_mov_b64 s[0:1], 0
	s_mov_b64 s[8:9], -1
.LBB217_1730:
	s_mov_b64 s[10:11], 0
.LBB217_1731:
	s_and_b64 vcc, exec, s[10:11]
	s_cbranch_vccz .LBB217_1733
; %bb.1732:
	s_cmp_lg_u32 s15, 11
	s_mov_b64 s[6:7], -1
	s_cselect_b64 s[0:1], -1, 0
.LBB217_1733:
	s_and_b64 vcc, exec, s[0:1]
	s_cbranch_vccnz .LBB217_2141
; %bb.1734:
	s_andn2_b64 vcc, exec, s[6:7]
	s_cbranch_vccnz .LBB217_1736
.LBB217_1735:
	v_cmp_neq_f16_e32 vcc, 0, v1
	s_mov_b64 s[8:9], -1
	s_nop 0
	v_cndmask_b32_e64 v5, 0, 1, vcc
	global_store_byte v[6:7], v5, off
.LBB217_1736:
	s_mov_b64 s[0:1], 0
	s_branch .LBB217_1738
.LBB217_1737:
	s_mov_b64 s[0:1], -1
	s_mov_b64 s[8:9], 0
.LBB217_1738:
	s_and_b64 vcc, exec, s[0:1]
	s_cbranch_vccz .LBB217_1777
; %bb.1739:
	s_and_b32 s6, 0xffff, s14
	s_cmp_lt_i32 s6, 5
	s_mov_b64 s[0:1], -1
	s_cbranch_scc1 .LBB217_1760
; %bb.1740:
	s_cmp_lt_i32 s6, 8
	s_cbranch_scc1 .LBB217_1750
; %bb.1741:
	s_cmp_lt_i32 s6, 9
	s_cbranch_scc1 .LBB217_1747
; %bb.1742:
	s_cmp_gt_i32 s6, 9
	s_cbranch_scc0 .LBB217_1744
; %bb.1743:
	v_cvt_f32_f16_e32 v5, v1
	v_mov_b32_e32 v16, 0
	v_mov_b32_e32 v17, v16
	s_mov_b64 s[0:1], 0
	v_cvt_f64_f32_e32 v[14:15], v5
	global_store_dwordx4 v[6:7], v[14:17], off
.LBB217_1744:
	s_andn2_b64 vcc, exec, s[0:1]
	s_cbranch_vccnz .LBB217_1746
; %bb.1745:
	v_cvt_f32_f16_e32 v8, v1
	v_mov_b32_e32 v9, 0
	global_store_dwordx2 v[6:7], v[8:9], off
.LBB217_1746:
	s_mov_b64 s[0:1], 0
.LBB217_1747:
	s_andn2_b64 vcc, exec, s[0:1]
	s_cbranch_vccnz .LBB217_1749
; %bb.1748:
	v_and_b32_e32 v5, 0xffff, v1
	global_store_dword v[6:7], v5, off
.LBB217_1749:
	s_mov_b64 s[0:1], 0
.LBB217_1750:
	s_andn2_b64 vcc, exec, s[0:1]
	s_cbranch_vccnz .LBB217_1759
; %bb.1751:
	s_cmp_lt_i32 s6, 6
	s_mov_b64 s[0:1], -1
	s_cbranch_scc1 .LBB217_1757
; %bb.1752:
	s_cmp_gt_i32 s6, 6
	s_cbranch_scc0 .LBB217_1754
; %bb.1753:
	v_cvt_f32_f16_e32 v5, v1
	s_mov_b64 s[0:1], 0
	v_cvt_f64_f32_e32 v[8:9], v5
	global_store_dwordx2 v[6:7], v[8:9], off
.LBB217_1754:
	s_andn2_b64 vcc, exec, s[0:1]
	s_cbranch_vccnz .LBB217_1756
; %bb.1755:
	v_cvt_f32_f16_e32 v5, v1
	global_store_dword v[6:7], v5, off
.LBB217_1756:
	s_mov_b64 s[0:1], 0
.LBB217_1757:
	s_andn2_b64 vcc, exec, s[0:1]
	s_cbranch_vccnz .LBB217_1759
; %bb.1758:
	global_store_short v[6:7], v1, off
.LBB217_1759:
	s_mov_b64 s[0:1], 0
.LBB217_1760:
	s_andn2_b64 vcc, exec, s[0:1]
	s_cbranch_vccnz .LBB217_1776
; %bb.1761:
	s_cmp_lt_i32 s6, 2
	s_mov_b64 s[0:1], -1
	s_cbranch_scc1 .LBB217_1771
; %bb.1762:
	s_cmp_lt_i32 s6, 3
	s_cbranch_scc1 .LBB217_1768
; %bb.1763:
	s_cmp_gt_i32 s6, 3
	s_cbranch_scc0 .LBB217_1765
; %bb.1764:
	v_cvt_f32_f16_e32 v5, v1
	s_mov_b64 s[0:1], 0
	v_cvt_i32_f32_e32 v8, v5
	v_ashrrev_i32_e32 v9, 31, v8
	global_store_dwordx2 v[6:7], v[8:9], off
.LBB217_1765:
	s_andn2_b64 vcc, exec, s[0:1]
	s_cbranch_vccnz .LBB217_1767
; %bb.1766:
	v_cvt_f32_f16_e32 v5, v1
	v_cvt_i32_f32_e32 v5, v5
	global_store_dword v[6:7], v5, off
.LBB217_1767:
	s_mov_b64 s[0:1], 0
.LBB217_1768:
	s_andn2_b64 vcc, exec, s[0:1]
	s_cbranch_vccnz .LBB217_1770
; %bb.1769:
	v_cvt_i16_f16_e32 v5, v1
	global_store_short v[6:7], v5, off
.LBB217_1770:
	s_mov_b64 s[0:1], 0
.LBB217_1771:
	s_andn2_b64 vcc, exec, s[0:1]
	s_cbranch_vccnz .LBB217_1776
; %bb.1772:
	s_cmp_gt_i32 s6, 0
	s_mov_b64 s[0:1], -1
	s_cbranch_scc0 .LBB217_1774
; %bb.1773:
	v_cvt_i16_f16_e32 v5, v1
	global_store_byte v[6:7], v5, off
	s_mov_b64 s[0:1], 0
.LBB217_1774:
	s_andn2_b64 vcc, exec, s[0:1]
	s_cbranch_vccnz .LBB217_1776
; %bb.1775:
	v_cvt_f32_f16_e32 v1, v1
	v_cvt_i32_f32_e32 v1, v1
	global_store_byte v[6:7], v1, off
.LBB217_1776:
	s_mov_b64 s[8:9], -1
.LBB217_1777:
	s_andn2_b64 vcc, exec, s[8:9]
	s_cbranch_vccnz .LBB217_2092
; %bb.1778:
	v_cvt_f32_f16_e32 v1, v3
	s_mov_b32 s0, 0
	s_mov_b32 s1, 0x3fd80000
	s_lshr_b32 s6, s16, 8
	v_cvt_f64_f32_e32 v[6:7], v1
	v_rsq_f64_e32 v[8:9], v[6:7]
	v_mov_b32_e32 v1, 0x180
	s_and_b32 s14, s6, 0xff
	s_cmp_lt_i32 s14, 11
	v_mul_f64 v[6:7], v[8:9], -v[6:7]
	v_fma_f64 v[6:7], v[6:7], v[8:9], 1.0
	v_mul_f64 v[14:15], v[8:9], v[6:7]
	v_fma_f64 v[6:7], v[6:7], s[0:1], 0.5
	v_fma_f64 v[6:7], v[14:15], v[6:7], v[8:9]
	v_cmp_class_f64_e32 vcc, v[8:9], v1
	s_movk_i32 s0, 0x1ff
	s_nop 0
	v_cndmask_b32_e32 v1, v8, v6, vcc
	v_cndmask_b32_e32 v3, v9, v7, vcc
	v_and_or_b32 v1, v3, s0, v1
	v_cmp_ne_u32_e32 vcc, 0, v1
	v_lshrrev_b32_e32 v5, 8, v3
	s_movk_i32 s0, 0xffe
	v_cndmask_b32_e64 v1, 0, 1, vcc
	v_bfe_u32 v6, v3, 20, 11
	v_and_or_b32 v1, v5, s0, v1
	v_sub_u32_e32 v7, 0x3f1, v6
	v_or_b32_e32 v5, 0x1000, v1
	v_med3_i32 v7, v7, 0, 13
	v_lshrrev_b32_e32 v8, v7, v5
	v_lshlrev_b32_e32 v7, v7, v8
	v_cmp_ne_u32_e32 vcc, v7, v5
	v_add_u32_e32 v6, 0xfffffc10, v6
	v_lshl_or_b32 v7, v6, 12, v1
	v_cndmask_b32_e64 v5, 0, 1, vcc
	v_or_b32_e32 v5, v8, v5
	v_cmp_gt_i32_e32 vcc, 1, v6
	s_movk_i32 s0, 0x40f
	v_lshrrev_b32_e32 v3, 16, v3
	v_cndmask_b32_e32 v5, v7, v5, vcc
	v_and_b32_e32 v7, 7, v5
	v_cmp_lt_i32_e32 vcc, 5, v7
	v_lshrrev_b32_e32 v5, 2, v5
	s_nop 0
	v_cndmask_b32_e64 v8, 0, 1, vcc
	v_cmp_eq_u32_e32 vcc, 3, v7
	s_nop 1
	v_cndmask_b32_e64 v7, 0, 1, vcc
	v_or_b32_e32 v7, v7, v8
	v_add_u32_e32 v5, v5, v7
	v_mov_b32_e32 v7, 0x7c00
	v_cmp_gt_i32_e32 vcc, 31, v6
	v_mov_b32_e32 v8, 0x7e00
	s_nop 0
	v_cndmask_b32_e32 v5, v7, v5, vcc
	v_cmp_ne_u32_e32 vcc, 0, v1
	s_nop 1
	v_cndmask_b32_e32 v1, v7, v8, vcc
	v_cmp_eq_u32_e32 vcc, s0, v6
	s_mov_b32 s0, 0x8000
	s_nop 0
	v_cndmask_b32_e32 v1, v5, v1, vcc
	v_mov_b32_e32 v5, 0
	v_and_or_b32 v1, v3, s0, v1
	v_lshl_add_u64 v[4:5], s[4:5], 0, v[4:5]
	s_cbranch_scc1 .LBB217_1856
; %bb.1779:
	s_and_b32 s15, 0xffff, s14
	s_mov_b64 s[10:11], -1
	s_mov_b64 s[6:7], 0
	s_cmp_gt_i32 s15, 25
	s_mov_b64 s[8:9], 0
	s_mov_b64 s[0:1], 0
	s_cbranch_scc0 .LBB217_1812
; %bb.1780:
	s_cmp_gt_i32 s15, 28
	s_cbranch_scc0 .LBB217_1795
; %bb.1781:
	s_cmp_gt_i32 s15, 43
	;; [unrolled: 3-line block ×3, first 2 shown]
	s_cbranch_scc0 .LBB217_1785
; %bb.1783:
	s_mov_b64 s[0:1], -1
	s_mov_b64 s[10:11], 0
	s_cmp_eq_u32 s15, 46
	s_cbranch_scc0 .LBB217_1785
; %bb.1784:
	v_cvt_f32_f16_e32 v3, v1
	s_movk_i32 s0, 0x7fff
	v_cmp_o_f16_e32 vcc, v1, v1
	v_mov_b32_e32 v6, 0x7fc0
	v_bfe_u32 v7, v3, 16, 1
	v_add3_u32 v3, v3, v7, s0
	v_cndmask_b32_sdwa v3, v6, v3, vcc dst_sel:DWORD dst_unused:UNUSED_PAD src0_sel:DWORD src1_sel:WORD_1
	global_store_dword v[4:5], v3, off
	s_mov_b64 s[0:1], 0
	s_mov_b64 s[8:9], -1
.LBB217_1785:
	s_and_b64 vcc, exec, s[10:11]
	s_cbranch_vccz .LBB217_1790
; %bb.1786:
	s_cmp_eq_u32 s15, 44
	s_mov_b64 s[0:1], -1
	s_cbranch_scc0 .LBB217_1790
; %bb.1787:
	v_cvt_f32_f16_e32 v3, v1
	s_movk_i32 s0, 0xff
	v_mov_b32_e32 v7, 0xff
	v_bfe_u32 v6, v3, 23, 8
	v_cmp_ne_u32_e32 vcc, s0, v6
	s_and_saveexec_b64 s[8:9], vcc
; %bb.1788:
	s_mov_b32 s0, 0x3fffff
	v_lshrrev_b32_e32 v7, 23, v3
	v_and_b32_e32 v8, 0x400000, v3
	v_and_or_b32 v3, v3, s0, v6
	v_cmp_ne_u32_e32 vcc, 0, v8
	v_cmp_ne_u32_e64 s[0:1], 0, v3
	s_and_b64 s[0:1], vcc, s[0:1]
	s_nop 0
	v_cndmask_b32_e64 v3, 0, 1, s[0:1]
	v_add_u32_e32 v7, v7, v3
; %bb.1789:
	s_or_b64 exec, exec, s[8:9]
	s_mov_b64 s[0:1], 0
	s_mov_b64 s[8:9], -1
	global_store_byte v[4:5], v7, off
.LBB217_1790:
	s_mov_b64 s[10:11], 0
.LBB217_1791:
	s_and_b64 vcc, exec, s[10:11]
	s_cbranch_vccz .LBB217_1794
; %bb.1792:
	s_cmp_eq_u32 s15, 29
	s_mov_b64 s[0:1], -1
	s_cbranch_scc0 .LBB217_1794
; %bb.1793:
	v_cvt_f32_f16_e32 v3, v1
	v_mov_b32_e32 v7, 0
	s_mov_b64 s[0:1], 0
	s_mov_b64 s[8:9], -1
	v_cvt_u32_f32_e32 v6, v3
	global_store_dwordx2 v[4:5], v[6:7], off
.LBB217_1794:
	s_mov_b64 s[10:11], 0
.LBB217_1795:
	s_and_b64 vcc, exec, s[10:11]
	s_cbranch_vccz .LBB217_1811
; %bb.1796:
	s_cmp_lt_i32 s15, 27
	s_mov_b64 s[8:9], -1
	s_cbranch_scc1 .LBB217_1802
; %bb.1797:
	s_cmp_gt_i32 s15, 27
	s_cbranch_scc0 .LBB217_1799
; %bb.1798:
	v_cvt_f32_f16_e32 v3, v1
	s_mov_b64 s[8:9], 0
	v_cvt_u32_f32_e32 v3, v3
	global_store_dword v[4:5], v3, off
.LBB217_1799:
	s_andn2_b64 vcc, exec, s[8:9]
	s_cbranch_vccnz .LBB217_1801
; %bb.1800:
	v_cvt_u16_f16_e32 v3, v1
	global_store_short v[4:5], v3, off
.LBB217_1801:
	s_mov_b64 s[8:9], 0
.LBB217_1802:
	s_andn2_b64 vcc, exec, s[8:9]
	s_cbranch_vccnz .LBB217_1810
; %bb.1803:
	v_cvt_f32_f16_e32 v3, v1
	s_mov_b32 s8, 0x43800000
	v_mov_b32_e32 v7, 0x80
	v_and_b32_e32 v6, 0x7fffffff, v3
	v_cmp_gt_u32_e32 vcc, s8, v6
	s_and_saveexec_b64 s[8:9], vcc
	s_cbranch_execz .LBB217_1809
; %bb.1804:
	s_mov_b32 s10, 0x3bffffff
	v_cmp_lt_u32_e32 vcc, s10, v6
	s_mov_b64 s[10:11], 0
                                        ; implicit-def: $vgpr6
	s_and_saveexec_b64 s[12:13], vcc
	s_xor_b64 s[12:13], exec, s[12:13]
	s_cbranch_execz .LBB217_2144
; %bb.1805:
	v_bfe_u32 v6, v3, 20, 1
	s_mov_b32 s16, 0x487ffff
	v_add3_u32 v6, v3, v6, s16
	s_mov_b64 s[10:11], exec
	v_lshrrev_b32_e32 v6, 20, v6
	s_andn2_saveexec_b64 s[12:13], s[12:13]
	s_cbranch_execnz .LBB217_2145
.LBB217_1806:
	s_or_b64 exec, exec, s[12:13]
	v_mov_b32_e32 v7, 0
	s_and_saveexec_b64 s[12:13], s[10:11]
.LBB217_1807:
	v_lshrrev_b32_e32 v3, 24, v3
	s_movk_i32 s10, 0x80
	v_and_or_b32 v7, v3, s10, v6
.LBB217_1808:
	s_or_b64 exec, exec, s[12:13]
.LBB217_1809:
	s_or_b64 exec, exec, s[8:9]
	global_store_byte v[4:5], v7, off
.LBB217_1810:
	s_mov_b64 s[8:9], -1
.LBB217_1811:
	s_mov_b64 s[10:11], 0
.LBB217_1812:
	s_and_b64 vcc, exec, s[10:11]
	s_cbranch_vccz .LBB217_1852
; %bb.1813:
	s_cmp_gt_i32 s15, 22
	s_mov_b64 s[6:7], -1
	s_cbranch_scc0 .LBB217_1845
; %bb.1814:
	s_cmp_lt_i32 s15, 24
	s_cbranch_scc1 .LBB217_1834
; %bb.1815:
	s_cmp_gt_i32 s15, 24
	s_cbranch_scc0 .LBB217_1823
; %bb.1816:
	v_cvt_f32_f16_e32 v3, v1
	s_mov_b32 s6, 0x47800000
	v_mov_b32_e32 v7, 0x80
	v_and_b32_e32 v6, 0x7fffffff, v3
	v_cmp_gt_u32_e32 vcc, s6, v6
	s_and_saveexec_b64 s[6:7], vcc
	s_cbranch_execz .LBB217_1822
; %bb.1817:
	s_mov_b32 s8, 0x37ffffff
	v_cmp_lt_u32_e32 vcc, s8, v6
	s_mov_b64 s[8:9], 0
                                        ; implicit-def: $vgpr6
	s_and_saveexec_b64 s[10:11], vcc
	s_xor_b64 s[10:11], exec, s[10:11]
	s_cbranch_execz .LBB217_2147
; %bb.1818:
	v_bfe_u32 v6, v3, 21, 1
	s_mov_b32 s12, 0x88fffff
	v_add3_u32 v6, v3, v6, s12
	s_mov_b64 s[8:9], exec
	v_lshrrev_b32_e32 v6, 21, v6
	s_andn2_saveexec_b64 s[10:11], s[10:11]
	s_cbranch_execnz .LBB217_2148
.LBB217_1819:
	s_or_b64 exec, exec, s[10:11]
	v_mov_b32_e32 v7, 0
	s_and_saveexec_b64 s[10:11], s[8:9]
.LBB217_1820:
	v_lshrrev_b32_e32 v3, 24, v3
	s_movk_i32 s8, 0x80
	v_and_or_b32 v7, v3, s8, v6
.LBB217_1821:
	s_or_b64 exec, exec, s[10:11]
.LBB217_1822:
	s_or_b64 exec, exec, s[6:7]
	s_mov_b64 s[6:7], 0
	global_store_byte v[4:5], v7, off
.LBB217_1823:
	s_and_b64 vcc, exec, s[6:7]
	s_cbranch_vccz .LBB217_1833
; %bb.1824:
	v_cvt_f32_f16_e32 v3, v1
	s_mov_b32 s6, 0x43f00000
                                        ; implicit-def: $vgpr6
	v_and_b32_e32 v7, 0x7fffffff, v3
	v_cmp_gt_u32_e32 vcc, s6, v7
	s_and_saveexec_b64 s[6:7], vcc
	s_xor_b64 s[6:7], exec, s[6:7]
	s_cbranch_execz .LBB217_1830
; %bb.1825:
	s_mov_b32 s8, 0x3c7fffff
	v_cmp_lt_u32_e32 vcc, s8, v7
                                        ; implicit-def: $vgpr6
	s_and_saveexec_b64 s[8:9], vcc
	s_xor_b64 s[8:9], exec, s[8:9]
; %bb.1826:
	v_bfe_u32 v6, v3, 20, 1
	s_mov_b32 s10, 0x407ffff
	v_add3_u32 v6, v3, v6, s10
	v_lshrrev_b32_e32 v7, 20, v6
	v_and_b32_e32 v6, 0xff00000, v6
	s_mov_b32 s10, 0x7f00000
	v_mov_b32_e32 v8, 0x7e
	v_cmp_ne_u32_e32 vcc, s10, v6
	s_nop 1
	v_cndmask_b32_e32 v6, v8, v7, vcc
; %bb.1827:
	s_andn2_saveexec_b64 s[8:9], s[8:9]
; %bb.1828:
	s_mov_b32 s10, 0x46800000
	v_add_f32_e64 v6, |v3|, s10
; %bb.1829:
	s_or_b64 exec, exec, s[8:9]
                                        ; implicit-def: $vgpr7
.LBB217_1830:
	s_andn2_saveexec_b64 s[6:7], s[6:7]
; %bb.1831:
	s_mov_b32 s8, 0x7f800000
	v_mov_b32_e32 v6, 0x7e
	v_mov_b32_e32 v8, 0x7f
	v_cmp_lt_u32_e32 vcc, s8, v7
	s_nop 1
	v_cndmask_b32_e32 v6, v6, v8, vcc
; %bb.1832:
	s_or_b64 exec, exec, s[6:7]
	v_lshrrev_b32_e32 v3, 24, v3
	s_movk_i32 s6, 0x80
	v_and_or_b32 v3, v3, s6, v6
	global_store_byte v[4:5], v3, off
.LBB217_1833:
	s_mov_b64 s[6:7], 0
.LBB217_1834:
	s_andn2_b64 vcc, exec, s[6:7]
	s_cbranch_vccnz .LBB217_1844
; %bb.1835:
	v_cvt_f32_f16_e32 v3, v1
	s_mov_b32 s6, 0x47800000
                                        ; implicit-def: $vgpr6
	v_and_b32_e32 v7, 0x7fffffff, v3
	v_cmp_gt_u32_e32 vcc, s6, v7
	s_and_saveexec_b64 s[6:7], vcc
	s_xor_b64 s[6:7], exec, s[6:7]
	s_cbranch_execz .LBB217_1841
; %bb.1836:
	s_mov_b32 s8, 0x387fffff
	v_cmp_lt_u32_e32 vcc, s8, v7
                                        ; implicit-def: $vgpr6
	s_and_saveexec_b64 s[8:9], vcc
	s_xor_b64 s[8:9], exec, s[8:9]
; %bb.1837:
	v_bfe_u32 v6, v3, 21, 1
	s_mov_b32 s10, 0x80fffff
	v_add3_u32 v6, v3, v6, s10
	v_lshrrev_b32_e32 v6, 21, v6
; %bb.1838:
	s_andn2_saveexec_b64 s[8:9], s[8:9]
; %bb.1839:
	s_mov_b32 s10, 0x43000000
	v_add_f32_e64 v6, |v3|, s10
; %bb.1840:
	s_or_b64 exec, exec, s[8:9]
                                        ; implicit-def: $vgpr7
.LBB217_1841:
	s_andn2_saveexec_b64 s[6:7], s[6:7]
; %bb.1842:
	s_mov_b32 s8, 0x7f800000
	v_mov_b32_e32 v6, 0x7c
	v_mov_b32_e32 v8, 0x7f
	v_cmp_lt_u32_e32 vcc, s8, v7
	s_nop 1
	v_cndmask_b32_e32 v6, v6, v8, vcc
; %bb.1843:
	s_or_b64 exec, exec, s[6:7]
	v_lshrrev_b32_e32 v3, 24, v3
	s_movk_i32 s6, 0x80
	v_and_or_b32 v3, v3, s6, v6
	global_store_byte v[4:5], v3, off
.LBB217_1844:
	s_mov_b64 s[6:7], 0
	s_mov_b64 s[8:9], -1
.LBB217_1845:
	s_andn2_b64 vcc, exec, s[6:7]
	s_mov_b64 s[6:7], 0
	s_cbranch_vccnz .LBB217_1852
; %bb.1846:
	s_cmp_gt_i32 s15, 14
	s_mov_b64 s[10:11], -1
	s_cbranch_scc0 .LBB217_1850
; %bb.1847:
	s_cmp_eq_u32 s15, 15
	s_mov_b64 s[0:1], -1
	s_cbranch_scc0 .LBB217_1849
; %bb.1848:
	v_cvt_f32_f16_e32 v3, v1
	s_movk_i32 s0, 0x7fff
	v_cmp_o_f16_e32 vcc, v1, v1
	v_mov_b32_e32 v6, 0x7fc0
	v_bfe_u32 v7, v3, 16, 1
	v_add3_u32 v3, v3, v7, s0
	v_cndmask_b32_sdwa v3, v6, v3, vcc dst_sel:DWORD dst_unused:UNUSED_PAD src0_sel:DWORD src1_sel:WORD_1
	global_store_short v[4:5], v3, off
	s_mov_b64 s[0:1], 0
	s_mov_b64 s[8:9], -1
.LBB217_1849:
	s_mov_b64 s[10:11], 0
.LBB217_1850:
	s_and_b64 vcc, exec, s[10:11]
	s_cbranch_vccz .LBB217_1852
; %bb.1851:
	s_cmp_lg_u32 s15, 11
	s_mov_b64 s[6:7], -1
	s_cselect_b64 s[0:1], -1, 0
.LBB217_1852:
	s_and_b64 vcc, exec, s[0:1]
	s_cbranch_vccnz .LBB217_2146
; %bb.1853:
	s_andn2_b64 vcc, exec, s[6:7]
	s_cbranch_vccnz .LBB217_1855
.LBB217_1854:
	v_cmp_neq_f16_e32 vcc, 0, v1
	s_mov_b64 s[8:9], -1
	s_nop 0
	v_cndmask_b32_e64 v3, 0, 1, vcc
	global_store_byte v[4:5], v3, off
.LBB217_1855:
	s_mov_b64 s[0:1], 0
	s_branch .LBB217_1857
.LBB217_1856:
	s_mov_b64 s[0:1], -1
	s_mov_b64 s[8:9], 0
.LBB217_1857:
	s_and_b64 vcc, exec, s[0:1]
	s_cbranch_vccz .LBB217_1896
; %bb.1858:
	s_and_b32 s6, 0xffff, s14
	s_cmp_lt_i32 s6, 5
	s_mov_b64 s[0:1], -1
	s_cbranch_scc1 .LBB217_1879
; %bb.1859:
	s_cmp_lt_i32 s6, 8
	s_cbranch_scc1 .LBB217_1869
; %bb.1860:
	s_cmp_lt_i32 s6, 9
	s_cbranch_scc1 .LBB217_1866
; %bb.1861:
	s_cmp_gt_i32 s6, 9
	s_cbranch_scc0 .LBB217_1863
; %bb.1862:
	v_cvt_f32_f16_e32 v3, v1
	v_mov_b32_e32 v8, 0
	v_mov_b32_e32 v9, v8
	s_mov_b64 s[0:1], 0
	v_cvt_f64_f32_e32 v[6:7], v3
	global_store_dwordx4 v[4:5], v[6:9], off
.LBB217_1863:
	s_andn2_b64 vcc, exec, s[0:1]
	s_cbranch_vccnz .LBB217_1865
; %bb.1864:
	v_cvt_f32_f16_e32 v6, v1
	v_mov_b32_e32 v7, 0
	global_store_dwordx2 v[4:5], v[6:7], off
.LBB217_1865:
	s_mov_b64 s[0:1], 0
.LBB217_1866:
	s_andn2_b64 vcc, exec, s[0:1]
	s_cbranch_vccnz .LBB217_1868
; %bb.1867:
	v_and_b32_e32 v3, 0xffff, v1
	global_store_dword v[4:5], v3, off
.LBB217_1868:
	s_mov_b64 s[0:1], 0
.LBB217_1869:
	s_andn2_b64 vcc, exec, s[0:1]
	s_cbranch_vccnz .LBB217_1878
; %bb.1870:
	s_cmp_lt_i32 s6, 6
	s_mov_b64 s[0:1], -1
	s_cbranch_scc1 .LBB217_1876
; %bb.1871:
	s_cmp_gt_i32 s6, 6
	s_cbranch_scc0 .LBB217_1873
; %bb.1872:
	v_cvt_f32_f16_e32 v3, v1
	s_mov_b64 s[0:1], 0
	v_cvt_f64_f32_e32 v[6:7], v3
	global_store_dwordx2 v[4:5], v[6:7], off
.LBB217_1873:
	s_andn2_b64 vcc, exec, s[0:1]
	s_cbranch_vccnz .LBB217_1875
; %bb.1874:
	v_cvt_f32_f16_e32 v3, v1
	global_store_dword v[4:5], v3, off
.LBB217_1875:
	s_mov_b64 s[0:1], 0
.LBB217_1876:
	s_andn2_b64 vcc, exec, s[0:1]
	s_cbranch_vccnz .LBB217_1878
; %bb.1877:
	global_store_short v[4:5], v1, off
.LBB217_1878:
	s_mov_b64 s[0:1], 0
.LBB217_1879:
	s_andn2_b64 vcc, exec, s[0:1]
	s_cbranch_vccnz .LBB217_1895
; %bb.1880:
	s_cmp_lt_i32 s6, 2
	s_mov_b64 s[0:1], -1
	s_cbranch_scc1 .LBB217_1890
; %bb.1881:
	s_cmp_lt_i32 s6, 3
	s_cbranch_scc1 .LBB217_1887
; %bb.1882:
	s_cmp_gt_i32 s6, 3
	s_cbranch_scc0 .LBB217_1884
; %bb.1883:
	v_cvt_f32_f16_e32 v3, v1
	s_mov_b64 s[0:1], 0
	v_cvt_i32_f32_e32 v6, v3
	v_ashrrev_i32_e32 v7, 31, v6
	global_store_dwordx2 v[4:5], v[6:7], off
.LBB217_1884:
	s_andn2_b64 vcc, exec, s[0:1]
	s_cbranch_vccnz .LBB217_1886
; %bb.1885:
	v_cvt_f32_f16_e32 v3, v1
	v_cvt_i32_f32_e32 v3, v3
	global_store_dword v[4:5], v3, off
.LBB217_1886:
	s_mov_b64 s[0:1], 0
.LBB217_1887:
	s_andn2_b64 vcc, exec, s[0:1]
	s_cbranch_vccnz .LBB217_1889
; %bb.1888:
	v_cvt_i16_f16_e32 v3, v1
	global_store_short v[4:5], v3, off
.LBB217_1889:
	s_mov_b64 s[0:1], 0
.LBB217_1890:
	s_andn2_b64 vcc, exec, s[0:1]
	s_cbranch_vccnz .LBB217_1895
; %bb.1891:
	s_cmp_gt_i32 s6, 0
	s_mov_b64 s[0:1], -1
	s_cbranch_scc0 .LBB217_1893
; %bb.1892:
	v_cvt_i16_f16_e32 v3, v1
	global_store_byte v[4:5], v3, off
	s_mov_b64 s[0:1], 0
.LBB217_1893:
	s_andn2_b64 vcc, exec, s[0:1]
	s_cbranch_vccnz .LBB217_1895
; %bb.1894:
	v_cvt_f32_f16_e32 v1, v1
	v_cvt_i32_f32_e32 v1, v1
	global_store_byte v[4:5], v1, off
.LBB217_1895:
	s_mov_b64 s[8:9], -1
.LBB217_1896:
	s_andn2_b64 vcc, exec, s[8:9]
	s_cbranch_vccnz .LBB217_2092
; %bb.1897:
	v_cvt_f32_f16_e32 v1, v12
	s_mov_b32 s0, 0
	s_mov_b32 s1, 0x3fd80000
	s_cmp_lt_i32 s14, 11
	v_cvt_f64_f32_e32 v[4:5], v1
	v_rsq_f64_e32 v[6:7], v[4:5]
	v_mov_b32_e32 v1, 0x180
	v_mul_f64 v[4:5], v[6:7], -v[4:5]
	v_fma_f64 v[4:5], v[4:5], v[6:7], 1.0
	v_mul_f64 v[8:9], v[6:7], v[4:5]
	v_fma_f64 v[4:5], v[4:5], s[0:1], 0.5
	v_fma_f64 v[4:5], v[8:9], v[4:5], v[6:7]
	v_cmp_class_f64_e32 vcc, v[6:7], v1
	s_movk_i32 s0, 0x1ff
	s_nop 0
	v_cndmask_b32_e32 v1, v6, v4, vcc
	v_cndmask_b32_e32 v3, v7, v5, vcc
	v_and_or_b32 v1, v3, s0, v1
	v_cmp_ne_u32_e32 vcc, 0, v1
	v_lshrrev_b32_e32 v4, 8, v3
	s_movk_i32 s0, 0xffe
	v_cndmask_b32_e64 v1, 0, 1, vcc
	v_bfe_u32 v5, v3, 20, 11
	v_and_or_b32 v1, v4, s0, v1
	v_sub_u32_e32 v6, 0x3f1, v5
	v_or_b32_e32 v4, 0x1000, v1
	v_med3_i32 v6, v6, 0, 13
	v_lshrrev_b32_e32 v7, v6, v4
	v_lshlrev_b32_e32 v6, v6, v7
	v_cmp_ne_u32_e32 vcc, v6, v4
	v_add_u32_e32 v5, 0xfffffc10, v5
	v_lshl_or_b32 v6, v5, 12, v1
	v_cndmask_b32_e64 v4, 0, 1, vcc
	v_or_b32_e32 v4, v7, v4
	v_cmp_gt_i32_e32 vcc, 1, v5
	s_movk_i32 s0, 0x40f
	v_lshrrev_b32_e32 v3, 16, v3
	v_cndmask_b32_e32 v4, v6, v4, vcc
	v_and_b32_e32 v6, 7, v4
	v_cmp_lt_i32_e32 vcc, 5, v6
	v_lshrrev_b32_e32 v4, 2, v4
	s_nop 0
	v_cndmask_b32_e64 v7, 0, 1, vcc
	v_cmp_eq_u32_e32 vcc, 3, v6
	s_nop 1
	v_cndmask_b32_e64 v6, 0, 1, vcc
	v_or_b32_e32 v6, v6, v7
	v_add_u32_e32 v4, v4, v6
	v_mov_b32_e32 v6, 0x7c00
	v_cmp_gt_i32_e32 vcc, 31, v5
	v_mov_b32_e32 v7, 0x7e00
	s_nop 0
	v_cndmask_b32_e32 v4, v6, v4, vcc
	v_cmp_ne_u32_e32 vcc, 0, v1
	s_nop 1
	v_cndmask_b32_e32 v1, v6, v7, vcc
	v_cmp_eq_u32_e32 vcc, s0, v5
	s_mov_b32 s0, 0x8000
	s_nop 0
	v_cndmask_b32_e32 v1, v4, v1, vcc
	v_and_or_b32 v1, v3, s0, v1
	v_mov_b32_e32 v3, 0
	v_lshl_add_u64 v[2:3], s[4:5], 0, v[2:3]
	s_cbranch_scc1 .LBB217_1975
; %bb.1898:
	s_and_b32 s15, 0xffff, s14
	s_mov_b64 s[10:11], -1
	s_mov_b64 s[6:7], 0
	s_cmp_gt_i32 s15, 25
	s_mov_b64 s[8:9], 0
	s_mov_b64 s[0:1], 0
	s_cbranch_scc0 .LBB217_1931
; %bb.1899:
	s_cmp_gt_i32 s15, 28
	s_cbranch_scc0 .LBB217_1914
; %bb.1900:
	s_cmp_gt_i32 s15, 43
	;; [unrolled: 3-line block ×3, first 2 shown]
	s_cbranch_scc0 .LBB217_1904
; %bb.1902:
	s_mov_b64 s[0:1], -1
	s_mov_b64 s[10:11], 0
	s_cmp_eq_u32 s15, 46
	s_cbranch_scc0 .LBB217_1904
; %bb.1903:
	v_cvt_f32_f16_e32 v4, v1
	s_movk_i32 s0, 0x7fff
	v_cmp_o_f16_e32 vcc, v1, v1
	v_mov_b32_e32 v5, 0x7fc0
	v_bfe_u32 v6, v4, 16, 1
	v_add3_u32 v4, v4, v6, s0
	v_cndmask_b32_sdwa v4, v5, v4, vcc dst_sel:DWORD dst_unused:UNUSED_PAD src0_sel:DWORD src1_sel:WORD_1
	global_store_dword v[2:3], v4, off
	s_mov_b64 s[0:1], 0
	s_mov_b64 s[8:9], -1
.LBB217_1904:
	s_and_b64 vcc, exec, s[10:11]
	s_cbranch_vccz .LBB217_1909
; %bb.1905:
	s_cmp_eq_u32 s15, 44
	s_mov_b64 s[0:1], -1
	s_cbranch_scc0 .LBB217_1909
; %bb.1906:
	v_cvt_f32_f16_e32 v4, v1
	s_movk_i32 s0, 0xff
	v_mov_b32_e32 v6, 0xff
	v_bfe_u32 v5, v4, 23, 8
	v_cmp_ne_u32_e32 vcc, s0, v5
	s_and_saveexec_b64 s[8:9], vcc
; %bb.1907:
	s_mov_b32 s0, 0x3fffff
	v_lshrrev_b32_e32 v6, 23, v4
	v_and_b32_e32 v7, 0x400000, v4
	v_and_or_b32 v4, v4, s0, v5
	v_cmp_ne_u32_e32 vcc, 0, v7
	v_cmp_ne_u32_e64 s[0:1], 0, v4
	s_and_b64 s[0:1], vcc, s[0:1]
	s_nop 0
	v_cndmask_b32_e64 v4, 0, 1, s[0:1]
	v_add_u32_e32 v6, v6, v4
; %bb.1908:
	s_or_b64 exec, exec, s[8:9]
	s_mov_b64 s[0:1], 0
	s_mov_b64 s[8:9], -1
	global_store_byte v[2:3], v6, off
.LBB217_1909:
	s_mov_b64 s[10:11], 0
.LBB217_1910:
	s_and_b64 vcc, exec, s[10:11]
	s_cbranch_vccz .LBB217_1913
; %bb.1911:
	s_cmp_eq_u32 s15, 29
	s_mov_b64 s[0:1], -1
	s_cbranch_scc0 .LBB217_1913
; %bb.1912:
	v_cvt_f32_f16_e32 v4, v1
	v_mov_b32_e32 v5, 0
	s_mov_b64 s[0:1], 0
	s_mov_b64 s[8:9], -1
	v_cvt_u32_f32_e32 v4, v4
	global_store_dwordx2 v[2:3], v[4:5], off
.LBB217_1913:
	s_mov_b64 s[10:11], 0
.LBB217_1914:
	s_and_b64 vcc, exec, s[10:11]
	s_cbranch_vccz .LBB217_1930
; %bb.1915:
	s_cmp_lt_i32 s15, 27
	s_mov_b64 s[8:9], -1
	s_cbranch_scc1 .LBB217_1921
; %bb.1916:
	s_cmp_gt_i32 s15, 27
	s_cbranch_scc0 .LBB217_1918
; %bb.1917:
	v_cvt_f32_f16_e32 v4, v1
	s_mov_b64 s[8:9], 0
	v_cvt_u32_f32_e32 v4, v4
	global_store_dword v[2:3], v4, off
.LBB217_1918:
	s_andn2_b64 vcc, exec, s[8:9]
	s_cbranch_vccnz .LBB217_1920
; %bb.1919:
	v_cvt_u16_f16_e32 v4, v1
	global_store_short v[2:3], v4, off
.LBB217_1920:
	s_mov_b64 s[8:9], 0
.LBB217_1921:
	s_andn2_b64 vcc, exec, s[8:9]
	s_cbranch_vccnz .LBB217_1929
; %bb.1922:
	v_cvt_f32_f16_e32 v4, v1
	s_mov_b32 s8, 0x43800000
	v_mov_b32_e32 v6, 0x80
	v_and_b32_e32 v5, 0x7fffffff, v4
	v_cmp_gt_u32_e32 vcc, s8, v5
	s_and_saveexec_b64 s[8:9], vcc
	s_cbranch_execz .LBB217_1928
; %bb.1923:
	s_mov_b32 s10, 0x3bffffff
	v_cmp_lt_u32_e32 vcc, s10, v5
	s_mov_b64 s[10:11], 0
                                        ; implicit-def: $vgpr5
	s_and_saveexec_b64 s[12:13], vcc
	s_xor_b64 s[12:13], exec, s[12:13]
	s_cbranch_execz .LBB217_2149
; %bb.1924:
	v_bfe_u32 v5, v4, 20, 1
	s_mov_b32 s16, 0x487ffff
	v_add3_u32 v5, v4, v5, s16
	s_mov_b64 s[10:11], exec
	v_lshrrev_b32_e32 v5, 20, v5
	s_andn2_saveexec_b64 s[12:13], s[12:13]
	s_cbranch_execnz .LBB217_2150
.LBB217_1925:
	s_or_b64 exec, exec, s[12:13]
	v_mov_b32_e32 v6, 0
	s_and_saveexec_b64 s[12:13], s[10:11]
.LBB217_1926:
	v_lshrrev_b32_e32 v4, 24, v4
	s_movk_i32 s10, 0x80
	v_and_or_b32 v6, v4, s10, v5
.LBB217_1927:
	s_or_b64 exec, exec, s[12:13]
.LBB217_1928:
	s_or_b64 exec, exec, s[8:9]
	global_store_byte v[2:3], v6, off
.LBB217_1929:
	s_mov_b64 s[8:9], -1
.LBB217_1930:
	s_mov_b64 s[10:11], 0
.LBB217_1931:
	s_and_b64 vcc, exec, s[10:11]
	s_cbranch_vccz .LBB217_1971
; %bb.1932:
	s_cmp_gt_i32 s15, 22
	s_mov_b64 s[6:7], -1
	s_cbranch_scc0 .LBB217_1964
; %bb.1933:
	s_cmp_lt_i32 s15, 24
	s_cbranch_scc1 .LBB217_1953
; %bb.1934:
	s_cmp_gt_i32 s15, 24
	s_cbranch_scc0 .LBB217_1942
; %bb.1935:
	v_cvt_f32_f16_e32 v4, v1
	s_mov_b32 s6, 0x47800000
	v_mov_b32_e32 v6, 0x80
	v_and_b32_e32 v5, 0x7fffffff, v4
	v_cmp_gt_u32_e32 vcc, s6, v5
	s_and_saveexec_b64 s[6:7], vcc
	s_cbranch_execz .LBB217_1941
; %bb.1936:
	s_mov_b32 s8, 0x37ffffff
	v_cmp_lt_u32_e32 vcc, s8, v5
	s_mov_b64 s[8:9], 0
                                        ; implicit-def: $vgpr5
	s_and_saveexec_b64 s[10:11], vcc
	s_xor_b64 s[10:11], exec, s[10:11]
	s_cbranch_execz .LBB217_2152
; %bb.1937:
	v_bfe_u32 v5, v4, 21, 1
	s_mov_b32 s12, 0x88fffff
	v_add3_u32 v5, v4, v5, s12
	s_mov_b64 s[8:9], exec
	v_lshrrev_b32_e32 v5, 21, v5
	s_andn2_saveexec_b64 s[10:11], s[10:11]
	s_cbranch_execnz .LBB217_2153
.LBB217_1938:
	s_or_b64 exec, exec, s[10:11]
	v_mov_b32_e32 v6, 0
	s_and_saveexec_b64 s[10:11], s[8:9]
.LBB217_1939:
	v_lshrrev_b32_e32 v4, 24, v4
	s_movk_i32 s8, 0x80
	v_and_or_b32 v6, v4, s8, v5
.LBB217_1940:
	s_or_b64 exec, exec, s[10:11]
.LBB217_1941:
	s_or_b64 exec, exec, s[6:7]
	s_mov_b64 s[6:7], 0
	global_store_byte v[2:3], v6, off
.LBB217_1942:
	s_and_b64 vcc, exec, s[6:7]
	s_cbranch_vccz .LBB217_1952
; %bb.1943:
	v_cvt_f32_f16_e32 v4, v1
	s_mov_b32 s6, 0x43f00000
                                        ; implicit-def: $vgpr5
	v_and_b32_e32 v6, 0x7fffffff, v4
	v_cmp_gt_u32_e32 vcc, s6, v6
	s_and_saveexec_b64 s[6:7], vcc
	s_xor_b64 s[6:7], exec, s[6:7]
	s_cbranch_execz .LBB217_1949
; %bb.1944:
	s_mov_b32 s8, 0x3c7fffff
	v_cmp_lt_u32_e32 vcc, s8, v6
                                        ; implicit-def: $vgpr5
	s_and_saveexec_b64 s[8:9], vcc
	s_xor_b64 s[8:9], exec, s[8:9]
; %bb.1945:
	v_bfe_u32 v5, v4, 20, 1
	s_mov_b32 s10, 0x407ffff
	v_add3_u32 v5, v4, v5, s10
	v_lshrrev_b32_e32 v6, 20, v5
	v_and_b32_e32 v5, 0xff00000, v5
	s_mov_b32 s10, 0x7f00000
	v_mov_b32_e32 v7, 0x7e
	v_cmp_ne_u32_e32 vcc, s10, v5
	s_nop 1
	v_cndmask_b32_e32 v5, v7, v6, vcc
; %bb.1946:
	s_andn2_saveexec_b64 s[8:9], s[8:9]
; %bb.1947:
	s_mov_b32 s10, 0x46800000
	v_add_f32_e64 v5, |v4|, s10
; %bb.1948:
	s_or_b64 exec, exec, s[8:9]
                                        ; implicit-def: $vgpr6
.LBB217_1949:
	s_andn2_saveexec_b64 s[6:7], s[6:7]
; %bb.1950:
	s_mov_b32 s8, 0x7f800000
	v_mov_b32_e32 v5, 0x7e
	v_mov_b32_e32 v7, 0x7f
	v_cmp_lt_u32_e32 vcc, s8, v6
	s_nop 1
	v_cndmask_b32_e32 v5, v5, v7, vcc
; %bb.1951:
	s_or_b64 exec, exec, s[6:7]
	v_lshrrev_b32_e32 v4, 24, v4
	s_movk_i32 s6, 0x80
	v_and_or_b32 v4, v4, s6, v5
	global_store_byte v[2:3], v4, off
.LBB217_1952:
	s_mov_b64 s[6:7], 0
.LBB217_1953:
	s_andn2_b64 vcc, exec, s[6:7]
	s_cbranch_vccnz .LBB217_1963
; %bb.1954:
	v_cvt_f32_f16_e32 v4, v1
	s_mov_b32 s6, 0x47800000
                                        ; implicit-def: $vgpr5
	v_and_b32_e32 v6, 0x7fffffff, v4
	v_cmp_gt_u32_e32 vcc, s6, v6
	s_and_saveexec_b64 s[6:7], vcc
	s_xor_b64 s[6:7], exec, s[6:7]
	s_cbranch_execz .LBB217_1960
; %bb.1955:
	s_mov_b32 s8, 0x387fffff
	v_cmp_lt_u32_e32 vcc, s8, v6
                                        ; implicit-def: $vgpr5
	s_and_saveexec_b64 s[8:9], vcc
	s_xor_b64 s[8:9], exec, s[8:9]
; %bb.1956:
	v_bfe_u32 v5, v4, 21, 1
	s_mov_b32 s10, 0x80fffff
	v_add3_u32 v5, v4, v5, s10
	v_lshrrev_b32_e32 v5, 21, v5
; %bb.1957:
	s_andn2_saveexec_b64 s[8:9], s[8:9]
; %bb.1958:
	s_mov_b32 s10, 0x43000000
	v_add_f32_e64 v5, |v4|, s10
; %bb.1959:
	s_or_b64 exec, exec, s[8:9]
                                        ; implicit-def: $vgpr6
.LBB217_1960:
	s_andn2_saveexec_b64 s[6:7], s[6:7]
; %bb.1961:
	s_mov_b32 s8, 0x7f800000
	v_mov_b32_e32 v5, 0x7c
	v_mov_b32_e32 v7, 0x7f
	v_cmp_lt_u32_e32 vcc, s8, v6
	s_nop 1
	v_cndmask_b32_e32 v5, v5, v7, vcc
; %bb.1962:
	s_or_b64 exec, exec, s[6:7]
	v_lshrrev_b32_e32 v4, 24, v4
	s_movk_i32 s6, 0x80
	v_and_or_b32 v4, v4, s6, v5
	global_store_byte v[2:3], v4, off
.LBB217_1963:
	s_mov_b64 s[6:7], 0
	s_mov_b64 s[8:9], -1
.LBB217_1964:
	s_andn2_b64 vcc, exec, s[6:7]
	s_mov_b64 s[6:7], 0
	s_cbranch_vccnz .LBB217_1971
; %bb.1965:
	s_cmp_gt_i32 s15, 14
	s_mov_b64 s[10:11], -1
	s_cbranch_scc0 .LBB217_1969
; %bb.1966:
	s_cmp_eq_u32 s15, 15
	s_mov_b64 s[0:1], -1
	s_cbranch_scc0 .LBB217_1968
; %bb.1967:
	v_cvt_f32_f16_e32 v4, v1
	s_movk_i32 s0, 0x7fff
	v_cmp_o_f16_e32 vcc, v1, v1
	v_mov_b32_e32 v5, 0x7fc0
	v_bfe_u32 v6, v4, 16, 1
	v_add3_u32 v4, v4, v6, s0
	v_cndmask_b32_sdwa v4, v5, v4, vcc dst_sel:DWORD dst_unused:UNUSED_PAD src0_sel:DWORD src1_sel:WORD_1
	global_store_short v[2:3], v4, off
	s_mov_b64 s[0:1], 0
	s_mov_b64 s[8:9], -1
.LBB217_1968:
	s_mov_b64 s[10:11], 0
.LBB217_1969:
	s_and_b64 vcc, exec, s[10:11]
	s_cbranch_vccz .LBB217_1971
; %bb.1970:
	s_cmp_lg_u32 s15, 11
	s_mov_b64 s[6:7], -1
	s_cselect_b64 s[0:1], -1, 0
.LBB217_1971:
	s_and_b64 vcc, exec, s[0:1]
	s_cbranch_vccnz .LBB217_2151
; %bb.1972:
	s_andn2_b64 vcc, exec, s[6:7]
	s_cbranch_vccnz .LBB217_1974
.LBB217_1973:
	v_cmp_neq_f16_e32 vcc, 0, v1
	s_mov_b64 s[8:9], -1
	s_nop 0
	v_cndmask_b32_e64 v4, 0, 1, vcc
	global_store_byte v[2:3], v4, off
.LBB217_1974:
	s_mov_b64 s[0:1], 0
	s_branch .LBB217_1976
.LBB217_1975:
	s_mov_b64 s[0:1], -1
	s_mov_b64 s[8:9], 0
.LBB217_1976:
	s_and_b64 vcc, exec, s[0:1]
	s_cbranch_vccz .LBB217_2015
; %bb.1977:
	s_and_b32 s6, 0xffff, s14
	s_cmp_lt_i32 s6, 5
	s_mov_b64 s[0:1], -1
	s_cbranch_scc1 .LBB217_1998
; %bb.1978:
	s_cmp_lt_i32 s6, 8
	s_cbranch_scc1 .LBB217_1988
; %bb.1979:
	s_cmp_lt_i32 s6, 9
	s_cbranch_scc1 .LBB217_1985
; %bb.1980:
	s_cmp_gt_i32 s6, 9
	s_cbranch_scc0 .LBB217_1982
; %bb.1981:
	v_cvt_f32_f16_e32 v4, v1
	v_mov_b32_e32 v6, 0
	v_mov_b32_e32 v7, v6
	s_mov_b64 s[0:1], 0
	v_cvt_f64_f32_e32 v[4:5], v4
	global_store_dwordx4 v[2:3], v[4:7], off
.LBB217_1982:
	s_andn2_b64 vcc, exec, s[0:1]
	s_cbranch_vccnz .LBB217_1984
; %bb.1983:
	v_cvt_f32_f16_e32 v4, v1
	v_mov_b32_e32 v5, 0
	global_store_dwordx2 v[2:3], v[4:5], off
.LBB217_1984:
	s_mov_b64 s[0:1], 0
.LBB217_1985:
	s_andn2_b64 vcc, exec, s[0:1]
	s_cbranch_vccnz .LBB217_1987
; %bb.1986:
	v_and_b32_e32 v4, 0xffff, v1
	global_store_dword v[2:3], v4, off
.LBB217_1987:
	s_mov_b64 s[0:1], 0
.LBB217_1988:
	s_andn2_b64 vcc, exec, s[0:1]
	s_cbranch_vccnz .LBB217_1997
; %bb.1989:
	s_cmp_lt_i32 s6, 6
	s_mov_b64 s[0:1], -1
	s_cbranch_scc1 .LBB217_1995
; %bb.1990:
	s_cmp_gt_i32 s6, 6
	s_cbranch_scc0 .LBB217_1992
; %bb.1991:
	v_cvt_f32_f16_e32 v4, v1
	s_mov_b64 s[0:1], 0
	v_cvt_f64_f32_e32 v[4:5], v4
	global_store_dwordx2 v[2:3], v[4:5], off
.LBB217_1992:
	s_andn2_b64 vcc, exec, s[0:1]
	s_cbranch_vccnz .LBB217_1994
; %bb.1993:
	v_cvt_f32_f16_e32 v4, v1
	global_store_dword v[2:3], v4, off
.LBB217_1994:
	s_mov_b64 s[0:1], 0
.LBB217_1995:
	s_andn2_b64 vcc, exec, s[0:1]
	s_cbranch_vccnz .LBB217_1997
; %bb.1996:
	global_store_short v[2:3], v1, off
.LBB217_1997:
	s_mov_b64 s[0:1], 0
.LBB217_1998:
	s_andn2_b64 vcc, exec, s[0:1]
	s_cbranch_vccnz .LBB217_2014
; %bb.1999:
	s_cmp_lt_i32 s6, 2
	s_mov_b64 s[0:1], -1
	s_cbranch_scc1 .LBB217_2009
; %bb.2000:
	s_cmp_lt_i32 s6, 3
	s_cbranch_scc1 .LBB217_2006
; %bb.2001:
	s_cmp_gt_i32 s6, 3
	s_cbranch_scc0 .LBB217_2003
; %bb.2002:
	v_cvt_f32_f16_e32 v4, v1
	s_mov_b64 s[0:1], 0
	v_cvt_i32_f32_e32 v4, v4
	v_ashrrev_i32_e32 v5, 31, v4
	global_store_dwordx2 v[2:3], v[4:5], off
.LBB217_2003:
	s_andn2_b64 vcc, exec, s[0:1]
	s_cbranch_vccnz .LBB217_2005
; %bb.2004:
	v_cvt_f32_f16_e32 v4, v1
	v_cvt_i32_f32_e32 v4, v4
	global_store_dword v[2:3], v4, off
.LBB217_2005:
	s_mov_b64 s[0:1], 0
.LBB217_2006:
	s_andn2_b64 vcc, exec, s[0:1]
	s_cbranch_vccnz .LBB217_2008
; %bb.2007:
	v_cvt_i16_f16_e32 v4, v1
	global_store_short v[2:3], v4, off
.LBB217_2008:
	s_mov_b64 s[0:1], 0
.LBB217_2009:
	s_andn2_b64 vcc, exec, s[0:1]
	s_cbranch_vccnz .LBB217_2014
; %bb.2010:
	s_cmp_gt_i32 s6, 0
	s_mov_b64 s[0:1], -1
	s_cbranch_scc0 .LBB217_2012
; %bb.2011:
	v_cvt_i16_f16_e32 v4, v1
	global_store_byte v[2:3], v4, off
	s_mov_b64 s[0:1], 0
.LBB217_2012:
	s_andn2_b64 vcc, exec, s[0:1]
	s_cbranch_vccnz .LBB217_2014
; %bb.2013:
	v_cvt_f32_f16_e32 v1, v1
	v_cvt_i32_f32_e32 v1, v1
	global_store_byte v[2:3], v1, off
.LBB217_2014:
	s_mov_b64 s[8:9], -1
.LBB217_2015:
	s_andn2_b64 vcc, exec, s[8:9]
	s_cbranch_vccnz .LBB217_2092
; %bb.2016:
	v_cvt_f32_f16_e32 v1, v10
	s_mov_b32 s0, 0
	s_mov_b32 s1, 0x3fd80000
	s_cmp_lt_i32 s14, 11
	v_cvt_f64_f32_e32 v[2:3], v1
	v_rsq_f64_e32 v[4:5], v[2:3]
	v_mov_b32_e32 v1, 0x180
	v_mul_f64 v[2:3], v[4:5], -v[2:3]
	v_fma_f64 v[2:3], v[2:3], v[4:5], 1.0
	v_mul_f64 v[6:7], v[4:5], v[2:3]
	v_fma_f64 v[2:3], v[2:3], s[0:1], 0.5
	v_fma_f64 v[2:3], v[6:7], v[2:3], v[4:5]
	v_cmp_class_f64_e32 vcc, v[4:5], v1
	s_movk_i32 s0, 0x1ff
	s_nop 0
	v_cndmask_b32_e32 v1, v4, v2, vcc
	v_cndmask_b32_e32 v2, v5, v3, vcc
	v_and_or_b32 v1, v2, s0, v1
	v_cmp_ne_u32_e32 vcc, 0, v1
	v_lshrrev_b32_e32 v3, 8, v2
	s_movk_i32 s0, 0xffe
	v_cndmask_b32_e64 v1, 0, 1, vcc
	v_bfe_u32 v4, v2, 20, 11
	v_and_or_b32 v1, v3, s0, v1
	v_sub_u32_e32 v5, 0x3f1, v4
	v_or_b32_e32 v3, 0x1000, v1
	v_med3_i32 v5, v5, 0, 13
	v_lshrrev_b32_e32 v6, v5, v3
	v_lshlrev_b32_e32 v5, v5, v6
	v_cmp_ne_u32_e32 vcc, v5, v3
	v_add_u32_e32 v4, 0xfffffc10, v4
	v_lshl_or_b32 v5, v4, 12, v1
	v_cndmask_b32_e64 v3, 0, 1, vcc
	v_or_b32_e32 v3, v6, v3
	v_cmp_gt_i32_e32 vcc, 1, v4
	s_movk_i32 s0, 0x40f
	v_lshrrev_b32_e32 v2, 16, v2
	v_cndmask_b32_e32 v3, v5, v3, vcc
	v_and_b32_e32 v5, 7, v3
	v_cmp_lt_i32_e32 vcc, 5, v5
	v_lshrrev_b32_e32 v3, 2, v3
	s_nop 0
	v_cndmask_b32_e64 v6, 0, 1, vcc
	v_cmp_eq_u32_e32 vcc, 3, v5
	s_nop 1
	v_cndmask_b32_e64 v5, 0, 1, vcc
	v_or_b32_e32 v5, v5, v6
	v_add_u32_e32 v3, v3, v5
	v_mov_b32_e32 v5, 0x7c00
	v_cmp_gt_i32_e32 vcc, 31, v4
	v_mov_b32_e32 v6, 0x7e00
	s_nop 0
	v_cndmask_b32_e32 v3, v5, v3, vcc
	v_cmp_ne_u32_e32 vcc, 0, v1
	s_nop 1
	v_cndmask_b32_e32 v1, v5, v6, vcc
	v_cmp_eq_u32_e32 vcc, s0, v4
	s_mov_b32 s0, 0x8000
	s_nop 0
	v_cndmask_b32_e32 v1, v3, v1, vcc
	v_and_or_b32 v2, v2, s0, v1
	v_mov_b32_e32 v1, 0
	v_lshl_add_u64 v[0:1], s[4:5], 0, v[0:1]
	s_cbranch_scc1 .LBB217_2137
; %bb.2017:
	s_and_b32 s12, 0xffff, s14
	s_mov_b64 s[6:7], -1
	s_mov_b64 s[4:5], 0
	s_cmp_gt_i32 s12, 25
	s_mov_b64 s[0:1], 0
	s_cbranch_scc0 .LBB217_2050
; %bb.2018:
	s_cmp_gt_i32 s12, 28
	s_cbranch_scc0 .LBB217_2034
; %bb.2019:
	s_cmp_gt_i32 s12, 43
	s_cbranch_scc0 .LBB217_2030
; %bb.2020:
	s_cmp_gt_i32 s12, 45
	s_cbranch_scc0 .LBB217_2024
; %bb.2021:
	s_cmp_eq_u32 s12, 46
	s_mov_b64 s[0:1], -1
	s_cbranch_scc0 .LBB217_2023
; %bb.2022:
	v_cvt_f32_f16_e32 v3, v2
	s_movk_i32 s0, 0x7fff
	v_cmp_o_f16_e32 vcc, v2, v2
	v_mov_b32_e32 v4, 0x7fc0
	v_bfe_u32 v5, v3, 16, 1
	v_add3_u32 v3, v3, v5, s0
	v_cndmask_b32_sdwa v3, v4, v3, vcc dst_sel:DWORD dst_unused:UNUSED_PAD src0_sel:DWORD src1_sel:WORD_1
	global_store_dword v[0:1], v3, off
	s_mov_b64 s[0:1], 0
.LBB217_2023:
	s_mov_b64 s[6:7], 0
.LBB217_2024:
	s_and_b64 vcc, exec, s[6:7]
	s_cbranch_vccz .LBB217_2029
; %bb.2025:
	s_cmp_eq_u32 s12, 44
	s_mov_b64 s[0:1], -1
	s_cbranch_scc0 .LBB217_2029
; %bb.2026:
	v_cvt_f32_f16_e32 v3, v2
	s_movk_i32 s0, 0xff
	v_mov_b32_e32 v5, 0xff
	v_bfe_u32 v4, v3, 23, 8
	v_cmp_ne_u32_e32 vcc, s0, v4
	s_and_saveexec_b64 s[6:7], vcc
; %bb.2027:
	s_mov_b32 s0, 0x3fffff
	v_lshrrev_b32_e32 v5, 23, v3
	v_and_b32_e32 v6, 0x400000, v3
	v_and_or_b32 v3, v3, s0, v4
	v_cmp_ne_u32_e32 vcc, 0, v6
	v_cmp_ne_u32_e64 s[0:1], 0, v3
	s_and_b64 s[0:1], vcc, s[0:1]
	s_nop 0
	v_cndmask_b32_e64 v3, 0, 1, s[0:1]
	v_add_u32_e32 v5, v5, v3
; %bb.2028:
	s_or_b64 exec, exec, s[6:7]
	s_mov_b64 s[0:1], 0
	global_store_byte v[0:1], v5, off
.LBB217_2029:
	s_mov_b64 s[6:7], 0
.LBB217_2030:
	s_and_b64 vcc, exec, s[6:7]
	s_cbranch_vccz .LBB217_2033
; %bb.2031:
	s_cmp_eq_u32 s12, 29
	s_mov_b64 s[0:1], -1
	s_cbranch_scc0 .LBB217_2033
; %bb.2032:
	v_cvt_f32_f16_e32 v3, v2
	v_mov_b32_e32 v5, 0
	s_mov_b64 s[0:1], 0
	v_cvt_u32_f32_e32 v4, v3
	global_store_dwordx2 v[0:1], v[4:5], off
.LBB217_2033:
	s_mov_b64 s[6:7], 0
.LBB217_2034:
	s_and_b64 vcc, exec, s[6:7]
	s_cbranch_vccz .LBB217_2049
; %bb.2035:
	s_cmp_lt_i32 s12, 27
	s_mov_b64 s[6:7], -1
	s_cbranch_scc1 .LBB217_2041
; %bb.2036:
	s_cmp_gt_i32 s12, 27
	s_cbranch_scc0 .LBB217_2038
; %bb.2037:
	v_cvt_f32_f16_e32 v3, v2
	s_mov_b64 s[6:7], 0
	v_cvt_u32_f32_e32 v3, v3
	global_store_dword v[0:1], v3, off
.LBB217_2038:
	s_andn2_b64 vcc, exec, s[6:7]
	s_cbranch_vccnz .LBB217_2040
; %bb.2039:
	v_cvt_u16_f16_e32 v3, v2
	global_store_short v[0:1], v3, off
.LBB217_2040:
	s_mov_b64 s[6:7], 0
.LBB217_2041:
	s_andn2_b64 vcc, exec, s[6:7]
	s_cbranch_vccnz .LBB217_2049
; %bb.2042:
	v_cvt_f32_f16_e32 v3, v2
	s_mov_b32 s6, 0x43800000
	v_mov_b32_e32 v5, 0x80
	v_and_b32_e32 v4, 0x7fffffff, v3
	v_cmp_gt_u32_e32 vcc, s6, v4
	s_and_saveexec_b64 s[6:7], vcc
	s_cbranch_execz .LBB217_2048
; %bb.2043:
	s_mov_b32 s8, 0x3bffffff
	v_cmp_lt_u32_e32 vcc, s8, v4
	s_mov_b64 s[8:9], 0
                                        ; implicit-def: $vgpr4
	s_and_saveexec_b64 s[10:11], vcc
	s_xor_b64 s[10:11], exec, s[10:11]
	s_cbranch_execz .LBB217_2154
; %bb.2044:
	v_bfe_u32 v4, v3, 20, 1
	s_mov_b32 s13, 0x487ffff
	v_add3_u32 v4, v3, v4, s13
	s_mov_b64 s[8:9], exec
	v_lshrrev_b32_e32 v4, 20, v4
	s_andn2_saveexec_b64 s[10:11], s[10:11]
	s_cbranch_execnz .LBB217_2155
.LBB217_2045:
	s_or_b64 exec, exec, s[10:11]
	v_mov_b32_e32 v5, 0
	s_and_saveexec_b64 s[10:11], s[8:9]
.LBB217_2046:
	v_lshrrev_b32_e32 v3, 24, v3
	s_movk_i32 s8, 0x80
	v_and_or_b32 v5, v3, s8, v4
.LBB217_2047:
	s_or_b64 exec, exec, s[10:11]
.LBB217_2048:
	s_or_b64 exec, exec, s[6:7]
	global_store_byte v[0:1], v5, off
.LBB217_2049:
	s_mov_b64 s[6:7], 0
.LBB217_2050:
	s_and_b64 vcc, exec, s[6:7]
	s_cbranch_vccz .LBB217_2090
; %bb.2051:
	s_cmp_gt_i32 s12, 22
	s_mov_b64 s[4:5], -1
	s_cbranch_scc0 .LBB217_2083
; %bb.2052:
	s_cmp_lt_i32 s12, 24
	s_cbranch_scc1 .LBB217_2072
; %bb.2053:
	s_cmp_gt_i32 s12, 24
	s_cbranch_scc0 .LBB217_2061
; %bb.2054:
	v_cvt_f32_f16_e32 v3, v2
	s_mov_b32 s4, 0x47800000
	v_mov_b32_e32 v5, 0x80
	v_and_b32_e32 v4, 0x7fffffff, v3
	v_cmp_gt_u32_e32 vcc, s4, v4
	s_and_saveexec_b64 s[4:5], vcc
	s_cbranch_execz .LBB217_2060
; %bb.2055:
	s_mov_b32 s6, 0x37ffffff
	v_cmp_lt_u32_e32 vcc, s6, v4
	s_mov_b64 s[6:7], 0
                                        ; implicit-def: $vgpr4
	s_and_saveexec_b64 s[8:9], vcc
	s_xor_b64 s[8:9], exec, s[8:9]
	s_cbranch_execz .LBB217_2157
; %bb.2056:
	v_bfe_u32 v4, v3, 21, 1
	s_mov_b32 s10, 0x88fffff
	v_add3_u32 v4, v3, v4, s10
	s_mov_b64 s[6:7], exec
	v_lshrrev_b32_e32 v4, 21, v4
	s_andn2_saveexec_b64 s[8:9], s[8:9]
	s_cbranch_execnz .LBB217_2158
.LBB217_2057:
	s_or_b64 exec, exec, s[8:9]
	v_mov_b32_e32 v5, 0
	s_and_saveexec_b64 s[8:9], s[6:7]
.LBB217_2058:
	v_lshrrev_b32_e32 v3, 24, v3
	s_movk_i32 s6, 0x80
	v_and_or_b32 v5, v3, s6, v4
.LBB217_2059:
	s_or_b64 exec, exec, s[8:9]
.LBB217_2060:
	s_or_b64 exec, exec, s[4:5]
	s_mov_b64 s[4:5], 0
	global_store_byte v[0:1], v5, off
.LBB217_2061:
	s_and_b64 vcc, exec, s[4:5]
	s_cbranch_vccz .LBB217_2071
; %bb.2062:
	v_cvt_f32_f16_e32 v3, v2
	s_mov_b32 s4, 0x43f00000
                                        ; implicit-def: $vgpr4
	v_and_b32_e32 v5, 0x7fffffff, v3
	v_cmp_gt_u32_e32 vcc, s4, v5
	s_and_saveexec_b64 s[4:5], vcc
	s_xor_b64 s[4:5], exec, s[4:5]
	s_cbranch_execz .LBB217_2068
; %bb.2063:
	s_mov_b32 s6, 0x3c7fffff
	v_cmp_lt_u32_e32 vcc, s6, v5
                                        ; implicit-def: $vgpr4
	s_and_saveexec_b64 s[6:7], vcc
	s_xor_b64 s[6:7], exec, s[6:7]
; %bb.2064:
	v_bfe_u32 v4, v3, 20, 1
	s_mov_b32 s8, 0x407ffff
	v_add3_u32 v4, v3, v4, s8
	v_lshrrev_b32_e32 v5, 20, v4
	v_and_b32_e32 v4, 0xff00000, v4
	s_mov_b32 s8, 0x7f00000
	v_mov_b32_e32 v6, 0x7e
	v_cmp_ne_u32_e32 vcc, s8, v4
	s_nop 1
	v_cndmask_b32_e32 v4, v6, v5, vcc
; %bb.2065:
	s_andn2_saveexec_b64 s[6:7], s[6:7]
; %bb.2066:
	s_mov_b32 s8, 0x46800000
	v_add_f32_e64 v4, |v3|, s8
; %bb.2067:
	s_or_b64 exec, exec, s[6:7]
                                        ; implicit-def: $vgpr5
.LBB217_2068:
	s_andn2_saveexec_b64 s[4:5], s[4:5]
; %bb.2069:
	s_mov_b32 s6, 0x7f800000
	v_mov_b32_e32 v4, 0x7e
	v_mov_b32_e32 v6, 0x7f
	v_cmp_lt_u32_e32 vcc, s6, v5
	s_nop 1
	v_cndmask_b32_e32 v4, v4, v6, vcc
; %bb.2070:
	s_or_b64 exec, exec, s[4:5]
	v_lshrrev_b32_e32 v3, 24, v3
	s_movk_i32 s4, 0x80
	v_and_or_b32 v3, v3, s4, v4
	global_store_byte v[0:1], v3, off
.LBB217_2071:
	s_mov_b64 s[4:5], 0
.LBB217_2072:
	s_andn2_b64 vcc, exec, s[4:5]
	s_cbranch_vccnz .LBB217_2082
; %bb.2073:
	v_cvt_f32_f16_e32 v3, v2
	s_mov_b32 s4, 0x47800000
                                        ; implicit-def: $vgpr4
	v_and_b32_e32 v5, 0x7fffffff, v3
	v_cmp_gt_u32_e32 vcc, s4, v5
	s_and_saveexec_b64 s[4:5], vcc
	s_xor_b64 s[4:5], exec, s[4:5]
	s_cbranch_execz .LBB217_2079
; %bb.2074:
	s_mov_b32 s6, 0x387fffff
	v_cmp_lt_u32_e32 vcc, s6, v5
                                        ; implicit-def: $vgpr4
	s_and_saveexec_b64 s[6:7], vcc
	s_xor_b64 s[6:7], exec, s[6:7]
; %bb.2075:
	v_bfe_u32 v4, v3, 21, 1
	s_mov_b32 s8, 0x80fffff
	v_add3_u32 v4, v3, v4, s8
	v_lshrrev_b32_e32 v4, 21, v4
; %bb.2076:
	s_andn2_saveexec_b64 s[6:7], s[6:7]
; %bb.2077:
	s_mov_b32 s8, 0x43000000
	v_add_f32_e64 v4, |v3|, s8
; %bb.2078:
	s_or_b64 exec, exec, s[6:7]
                                        ; implicit-def: $vgpr5
.LBB217_2079:
	s_andn2_saveexec_b64 s[4:5], s[4:5]
; %bb.2080:
	s_mov_b32 s6, 0x7f800000
	v_mov_b32_e32 v4, 0x7c
	v_mov_b32_e32 v6, 0x7f
	v_cmp_lt_u32_e32 vcc, s6, v5
	s_nop 1
	v_cndmask_b32_e32 v4, v4, v6, vcc
; %bb.2081:
	s_or_b64 exec, exec, s[4:5]
	v_lshrrev_b32_e32 v3, 24, v3
	s_movk_i32 s4, 0x80
	v_and_or_b32 v3, v3, s4, v4
	global_store_byte v[0:1], v3, off
.LBB217_2082:
	s_mov_b64 s[4:5], 0
.LBB217_2083:
	s_andn2_b64 vcc, exec, s[4:5]
	s_mov_b64 s[4:5], 0
	s_cbranch_vccnz .LBB217_2090
; %bb.2084:
	s_cmp_gt_i32 s12, 14
	s_mov_b64 s[6:7], -1
	s_cbranch_scc0 .LBB217_2088
; %bb.2085:
	s_cmp_eq_u32 s12, 15
	s_mov_b64 s[0:1], -1
	s_cbranch_scc0 .LBB217_2087
; %bb.2086:
	v_cvt_f32_f16_e32 v3, v2
	s_movk_i32 s0, 0x7fff
	v_cmp_o_f16_e32 vcc, v2, v2
	v_mov_b32_e32 v4, 0x7fc0
	v_bfe_u32 v5, v3, 16, 1
	v_add3_u32 v3, v3, v5, s0
	v_cndmask_b32_sdwa v3, v4, v3, vcc dst_sel:DWORD dst_unused:UNUSED_PAD src0_sel:DWORD src1_sel:WORD_1
	global_store_short v[0:1], v3, off
	s_mov_b64 s[0:1], 0
.LBB217_2087:
	s_mov_b64 s[6:7], 0
.LBB217_2088:
	s_and_b64 vcc, exec, s[6:7]
	s_cbranch_vccz .LBB217_2090
; %bb.2089:
	s_cmp_lg_u32 s12, 11
	s_mov_b64 s[4:5], -1
	s_cselect_b64 s[0:1], -1, 0
.LBB217_2090:
	s_and_b64 vcc, exec, s[0:1]
	s_cbranch_vccnz .LBB217_2156
.LBB217_2091:
	s_mov_b64 s[0:1], 0
	s_branch .LBB217_2093
.LBB217_2092:
	s_mov_b64 s[0:1], 0
	s_mov_b64 s[4:5], 0
                                        ; implicit-def: $vgpr0_vgpr1
                                        ; implicit-def: $sgpr14
                                        ; implicit-def: $vgpr2
.LBB217_2093:
	s_and_b64 s[6:7], s[0:1], exec
	s_andn2_b64 s[0:1], s[24:25], exec
	s_and_b64 s[2:3], s[2:3], exec
	s_and_b64 s[40:41], s[4:5], exec
	s_or_b64 s[24:25], s[0:1], s[2:3]
.LBB217_2094:
	s_or_b64 exec, exec, s[26:27]
	s_and_saveexec_b64 s[0:1], s[24:25]
	s_cbranch_execz .LBB217_2097
; %bb.2095:
	; divergent unreachable
	s_or_b64 exec, exec, s[0:1]
	s_and_saveexec_b64 s[0:1], s[40:41]
	s_xor_b64 s[0:1], exec, s[0:1]
	s_cbranch_execnz .LBB217_2098
.LBB217_2096:
	s_or_b64 exec, exec, s[0:1]
	s_and_saveexec_b64 s[0:1], s[6:7]
	s_cbranch_execnz .LBB217_2099
	s_branch .LBB217_2136
.LBB217_2097:
	s_or_b64 exec, exec, s[0:1]
	s_and_saveexec_b64 s[0:1], s[40:41]
	s_xor_b64 s[0:1], exec, s[0:1]
	s_cbranch_execz .LBB217_2096
.LBB217_2098:
	v_cmp_neq_f16_e32 vcc, 0, v2
	s_waitcnt vmcnt(0)
	s_nop 0
	v_cndmask_b32_e64 v3, 0, 1, vcc
	global_store_byte v[0:1], v3, off
	s_or_b64 exec, exec, s[0:1]
	s_and_saveexec_b64 s[0:1], s[6:7]
	s_cbranch_execz .LBB217_2136
.LBB217_2099:
	s_sext_i32_i16 s2, s14
	s_cmp_lt_i32 s2, 5
	s_mov_b64 s[0:1], -1
	s_cbranch_scc1 .LBB217_2120
; %bb.2100:
	s_cmp_lt_i32 s2, 8
	s_cbranch_scc1 .LBB217_2110
; %bb.2101:
	s_cmp_lt_i32 s2, 9
	s_cbranch_scc1 .LBB217_2107
; %bb.2102:
	s_cmp_gt_i32 s2, 9
	s_cbranch_scc0 .LBB217_2104
; %bb.2103:
	s_waitcnt vmcnt(0)
	v_cvt_f32_f16_e32 v3, v2
	v_mov_b32_e32 v6, 0
	v_mov_b32_e32 v7, v6
	s_mov_b64 s[0:1], 0
	v_cvt_f64_f32_e32 v[4:5], v3
	global_store_dwordx4 v[0:1], v[4:7], off
.LBB217_2104:
	s_andn2_b64 vcc, exec, s[0:1]
	s_cbranch_vccnz .LBB217_2106
; %bb.2105:
	v_cvt_f32_f16_e32 v4, v2
	v_mov_b32_e32 v5, 0
	s_waitcnt vmcnt(0)
	global_store_dwordx2 v[0:1], v[4:5], off
.LBB217_2106:
	s_mov_b64 s[0:1], 0
.LBB217_2107:
	s_andn2_b64 vcc, exec, s[0:1]
	s_cbranch_vccnz .LBB217_2109
; %bb.2108:
	s_waitcnt vmcnt(0)
	v_and_b32_e32 v3, 0xffff, v2
	global_store_dword v[0:1], v3, off
.LBB217_2109:
	s_mov_b64 s[0:1], 0
.LBB217_2110:
	s_andn2_b64 vcc, exec, s[0:1]
	s_cbranch_vccnz .LBB217_2119
; %bb.2111:
	s_sext_i32_i16 s2, s14
	s_cmp_lt_i32 s2, 6
	s_mov_b64 s[0:1], -1
	s_cbranch_scc1 .LBB217_2117
; %bb.2112:
	s_cmp_gt_i32 s2, 6
	s_cbranch_scc0 .LBB217_2114
; %bb.2113:
	s_waitcnt vmcnt(0)
	v_cvt_f32_f16_e32 v3, v2
	s_mov_b64 s[0:1], 0
	v_cvt_f64_f32_e32 v[4:5], v3
	global_store_dwordx2 v[0:1], v[4:5], off
.LBB217_2114:
	s_andn2_b64 vcc, exec, s[0:1]
	s_cbranch_vccnz .LBB217_2116
; %bb.2115:
	s_waitcnt vmcnt(0)
	v_cvt_f32_f16_e32 v3, v2
	global_store_dword v[0:1], v3, off
.LBB217_2116:
	s_mov_b64 s[0:1], 0
.LBB217_2117:
	s_andn2_b64 vcc, exec, s[0:1]
	s_cbranch_vccnz .LBB217_2119
; %bb.2118:
	s_waitcnt vmcnt(0)
	global_store_short v[0:1], v2, off
.LBB217_2119:
	s_mov_b64 s[0:1], 0
.LBB217_2120:
	s_andn2_b64 vcc, exec, s[0:1]
	s_cbranch_vccnz .LBB217_2136
; %bb.2121:
	s_sext_i32_i16 s2, s14
	s_cmp_lt_i32 s2, 2
	s_mov_b64 s[0:1], -1
	s_cbranch_scc1 .LBB217_2131
; %bb.2122:
	s_cmp_lt_i32 s2, 3
	s_cbranch_scc1 .LBB217_2128
; %bb.2123:
	s_cmp_gt_i32 s2, 3
	s_cbranch_scc0 .LBB217_2125
; %bb.2124:
	s_waitcnt vmcnt(0)
	v_cvt_f32_f16_e32 v3, v2
	s_mov_b64 s[0:1], 0
	v_cvt_i32_f32_e32 v4, v3
	v_ashrrev_i32_e32 v5, 31, v4
	global_store_dwordx2 v[0:1], v[4:5], off
.LBB217_2125:
	s_andn2_b64 vcc, exec, s[0:1]
	s_cbranch_vccnz .LBB217_2127
; %bb.2126:
	s_waitcnt vmcnt(0)
	v_cvt_f32_f16_e32 v3, v2
	v_cvt_i32_f32_e32 v3, v3
	global_store_dword v[0:1], v3, off
.LBB217_2127:
	s_mov_b64 s[0:1], 0
.LBB217_2128:
	s_andn2_b64 vcc, exec, s[0:1]
	s_cbranch_vccnz .LBB217_2130
; %bb.2129:
	s_waitcnt vmcnt(0)
	v_cvt_i16_f16_e32 v3, v2
	global_store_short v[0:1], v3, off
.LBB217_2130:
	s_mov_b64 s[0:1], 0
.LBB217_2131:
	s_andn2_b64 vcc, exec, s[0:1]
	s_cbranch_vccnz .LBB217_2136
; %bb.2132:
	s_sext_i32_i16 s0, s14
	s_cmp_gt_i32 s0, 0
	s_mov_b64 s[0:1], -1
	s_cbranch_scc0 .LBB217_2134
; %bb.2133:
	s_waitcnt vmcnt(0)
	v_cvt_i16_f16_e32 v3, v2
	global_store_byte v[0:1], v3, off
	s_mov_b64 s[0:1], 0
.LBB217_2134:
	s_andn2_b64 vcc, exec, s[0:1]
	s_cbranch_vccnz .LBB217_2136
; %bb.2135:
	v_cvt_f32_f16_e32 v2, v2
	v_cvt_i32_f32_e32 v2, v2
	s_waitcnt vmcnt(0)
	global_store_byte v[0:1], v2, off
	s_endpgm
.LBB217_2136:
	s_endpgm
.LBB217_2137:
	s_mov_b64 s[4:5], 0
	s_mov_b64 s[0:1], -1
	s_branch .LBB217_2093
.LBB217_2138:
	s_trap 2
	s_or_b64 s[2:3], s[2:3], exec
	s_cbranch_execz .LBB217_1607
	s_branch .LBB217_1608
.LBB217_2139:
	s_andn2_saveexec_b64 s[12:13], s[12:13]
	s_cbranch_execz .LBB217_1687
.LBB217_2140:
	s_mov_b32 s17, 0x46000000
	v_add_f32_e64 v8, |v5|, s17
	v_and_b32_e32 v8, 0xff, v8
	v_cmp_ne_u32_e32 vcc, 0, v8
	s_andn2_b64 s[10:11], s[10:11], exec
	s_and_b64 s[18:19], vcc, exec
	s_or_b64 s[10:11], s[10:11], s[18:19]
	s_or_b64 exec, exec, s[12:13]
	v_mov_b32_e32 v9, 0
	s_and_saveexec_b64 s[12:13], s[10:11]
	s_cbranch_execnz .LBB217_1688
	s_branch .LBB217_1689
.LBB217_2141:
	s_trap 2
	s_or_b64 s[2:3], s[2:3], exec
	s_cbranch_execz .LBB217_1735
	s_branch .LBB217_1736
.LBB217_2142:
	s_andn2_saveexec_b64 s[10:11], s[10:11]
	s_cbranch_execz .LBB217_1700
.LBB217_2143:
	s_mov_b32 s12, 0x42800000
	v_add_f32_e64 v8, |v5|, s12
	v_and_b32_e32 v8, 0xff, v8
	v_cmp_ne_u32_e32 vcc, 0, v8
	s_andn2_b64 s[8:9], s[8:9], exec
	s_and_b64 s[12:13], vcc, exec
	s_or_b64 s[8:9], s[8:9], s[12:13]
	s_or_b64 exec, exec, s[10:11]
	v_mov_b32_e32 v9, 0
	s_and_saveexec_b64 s[10:11], s[8:9]
	s_cbranch_execnz .LBB217_1701
	s_branch .LBB217_1702
.LBB217_2144:
	s_andn2_saveexec_b64 s[12:13], s[12:13]
	s_cbranch_execz .LBB217_1806
.LBB217_2145:
	s_mov_b32 s16, 0x46000000
	v_add_f32_e64 v6, |v3|, s16
	v_and_b32_e32 v6, 0xff, v6
	v_cmp_ne_u32_e32 vcc, 0, v6
	s_andn2_b64 s[10:11], s[10:11], exec
	s_and_b64 s[16:17], vcc, exec
	s_or_b64 s[10:11], s[10:11], s[16:17]
	s_or_b64 exec, exec, s[12:13]
	v_mov_b32_e32 v7, 0
	s_and_saveexec_b64 s[12:13], s[10:11]
	s_cbranch_execnz .LBB217_1807
	s_branch .LBB217_1808
.LBB217_2146:
	s_trap 2
	s_or_b64 s[2:3], s[2:3], exec
	s_cbranch_execz .LBB217_1854
	s_branch .LBB217_1855
.LBB217_2147:
	s_andn2_saveexec_b64 s[10:11], s[10:11]
	s_cbranch_execz .LBB217_1819
.LBB217_2148:
	s_mov_b32 s12, 0x42800000
	v_add_f32_e64 v6, |v3|, s12
	v_and_b32_e32 v6, 0xff, v6
	v_cmp_ne_u32_e32 vcc, 0, v6
	s_andn2_b64 s[8:9], s[8:9], exec
	s_and_b64 s[12:13], vcc, exec
	s_or_b64 s[8:9], s[8:9], s[12:13]
	s_or_b64 exec, exec, s[10:11]
	v_mov_b32_e32 v7, 0
	s_and_saveexec_b64 s[10:11], s[8:9]
	s_cbranch_execnz .LBB217_1820
	s_branch .LBB217_1821
.LBB217_2149:
	s_andn2_saveexec_b64 s[12:13], s[12:13]
	s_cbranch_execz .LBB217_1925
.LBB217_2150:
	s_mov_b32 s16, 0x46000000
	v_add_f32_e64 v5, |v4|, s16
	v_and_b32_e32 v5, 0xff, v5
	v_cmp_ne_u32_e32 vcc, 0, v5
	s_andn2_b64 s[10:11], s[10:11], exec
	s_and_b64 s[16:17], vcc, exec
	s_or_b64 s[10:11], s[10:11], s[16:17]
	s_or_b64 exec, exec, s[12:13]
	v_mov_b32_e32 v6, 0
	s_and_saveexec_b64 s[12:13], s[10:11]
	s_cbranch_execnz .LBB217_1926
	s_branch .LBB217_1927
.LBB217_2151:
	s_trap 2
	s_or_b64 s[2:3], s[2:3], exec
	s_cbranch_execz .LBB217_1973
	s_branch .LBB217_1974
.LBB217_2152:
	s_andn2_saveexec_b64 s[10:11], s[10:11]
	s_cbranch_execz .LBB217_1938
.LBB217_2153:
	s_mov_b32 s12, 0x42800000
	v_add_f32_e64 v5, |v4|, s12
	v_and_b32_e32 v5, 0xff, v5
	v_cmp_ne_u32_e32 vcc, 0, v5
	s_andn2_b64 s[8:9], s[8:9], exec
	s_and_b64 s[12:13], vcc, exec
	s_or_b64 s[8:9], s[8:9], s[12:13]
	s_or_b64 exec, exec, s[10:11]
	v_mov_b32_e32 v6, 0
	s_and_saveexec_b64 s[10:11], s[8:9]
	s_cbranch_execnz .LBB217_1939
	s_branch .LBB217_1940
.LBB217_2154:
	s_andn2_saveexec_b64 s[10:11], s[10:11]
	s_cbranch_execz .LBB217_2045
.LBB217_2155:
	s_mov_b32 s13, 0x46000000
	v_add_f32_e64 v4, |v3|, s13
	v_and_b32_e32 v4, 0xff, v4
	v_cmp_ne_u32_e32 vcc, 0, v4
	s_andn2_b64 s[8:9], s[8:9], exec
	s_and_b64 s[16:17], vcc, exec
	s_or_b64 s[8:9], s[8:9], s[16:17]
	s_or_b64 exec, exec, s[10:11]
	v_mov_b32_e32 v5, 0
	s_and_saveexec_b64 s[10:11], s[8:9]
	s_cbranch_execnz .LBB217_2046
	s_branch .LBB217_2047
.LBB217_2156:
	s_mov_b64 s[4:5], 0
	s_or_b64 s[2:3], s[2:3], exec
	s_trap 2
	s_branch .LBB217_2091
.LBB217_2157:
	s_andn2_saveexec_b64 s[8:9], s[8:9]
	s_cbranch_execz .LBB217_2057
.LBB217_2158:
	s_mov_b32 s10, 0x42800000
	v_add_f32_e64 v4, |v3|, s10
	v_and_b32_e32 v4, 0xff, v4
	v_cmp_ne_u32_e32 vcc, 0, v4
	s_andn2_b64 s[6:7], s[6:7], exec
	s_and_b64 s[10:11], vcc, exec
	s_or_b64 s[6:7], s[6:7], s[10:11]
	s_or_b64 exec, exec, s[8:9]
	v_mov_b32_e32 v5, 0
	s_and_saveexec_b64 s[8:9], s[6:7]
	s_cbranch_execnz .LBB217_2058
	s_branch .LBB217_2059
	.section	.rodata,"a",@progbits
	.p2align	6, 0x0
	.amdhsa_kernel _ZN2at6native32elementwise_kernel_manual_unrollILi128ELi4EZNS0_15gpu_kernel_implIZZZNS0_17rsqrt_kernel_cudaERNS_18TensorIteratorBaseEENKUlvE0_clEvENKUlvE2_clEvEUlN3c104HalfEE_EEvS4_RKT_EUlibE0_EEviT1_
		.amdhsa_group_segment_fixed_size 0
		.amdhsa_private_segment_fixed_size 0
		.amdhsa_kernarg_size 360
		.amdhsa_user_sgpr_count 2
		.amdhsa_user_sgpr_dispatch_ptr 0
		.amdhsa_user_sgpr_queue_ptr 0
		.amdhsa_user_sgpr_kernarg_segment_ptr 1
		.amdhsa_user_sgpr_dispatch_id 0
		.amdhsa_user_sgpr_kernarg_preload_length 0
		.amdhsa_user_sgpr_kernarg_preload_offset 0
		.amdhsa_user_sgpr_private_segment_size 0
		.amdhsa_uses_dynamic_stack 0
		.amdhsa_enable_private_segment 0
		.amdhsa_system_sgpr_workgroup_id_x 1
		.amdhsa_system_sgpr_workgroup_id_y 0
		.amdhsa_system_sgpr_workgroup_id_z 0
		.amdhsa_system_sgpr_workgroup_info 0
		.amdhsa_system_vgpr_workitem_id 0
		.amdhsa_next_free_vgpr 18
		.amdhsa_next_free_sgpr 78
		.amdhsa_accum_offset 20
		.amdhsa_reserve_vcc 1
		.amdhsa_float_round_mode_32 0
		.amdhsa_float_round_mode_16_64 0
		.amdhsa_float_denorm_mode_32 3
		.amdhsa_float_denorm_mode_16_64 3
		.amdhsa_dx10_clamp 1
		.amdhsa_ieee_mode 1
		.amdhsa_fp16_overflow 0
		.amdhsa_tg_split 0
		.amdhsa_exception_fp_ieee_invalid_op 0
		.amdhsa_exception_fp_denorm_src 0
		.amdhsa_exception_fp_ieee_div_zero 0
		.amdhsa_exception_fp_ieee_overflow 0
		.amdhsa_exception_fp_ieee_underflow 0
		.amdhsa_exception_fp_ieee_inexact 0
		.amdhsa_exception_int_div_zero 0
	.end_amdhsa_kernel
	.section	.text._ZN2at6native32elementwise_kernel_manual_unrollILi128ELi4EZNS0_15gpu_kernel_implIZZZNS0_17rsqrt_kernel_cudaERNS_18TensorIteratorBaseEENKUlvE0_clEvENKUlvE2_clEvEUlN3c104HalfEE_EEvS4_RKT_EUlibE0_EEviT1_,"axG",@progbits,_ZN2at6native32elementwise_kernel_manual_unrollILi128ELi4EZNS0_15gpu_kernel_implIZZZNS0_17rsqrt_kernel_cudaERNS_18TensorIteratorBaseEENKUlvE0_clEvENKUlvE2_clEvEUlN3c104HalfEE_EEvS4_RKT_EUlibE0_EEviT1_,comdat
.Lfunc_end217:
	.size	_ZN2at6native32elementwise_kernel_manual_unrollILi128ELi4EZNS0_15gpu_kernel_implIZZZNS0_17rsqrt_kernel_cudaERNS_18TensorIteratorBaseEENKUlvE0_clEvENKUlvE2_clEvEUlN3c104HalfEE_EEvS4_RKT_EUlibE0_EEviT1_, .Lfunc_end217-_ZN2at6native32elementwise_kernel_manual_unrollILi128ELi4EZNS0_15gpu_kernel_implIZZZNS0_17rsqrt_kernel_cudaERNS_18TensorIteratorBaseEENKUlvE0_clEvENKUlvE2_clEvEUlN3c104HalfEE_EEvS4_RKT_EUlibE0_EEviT1_
                                        ; -- End function
	.set _ZN2at6native32elementwise_kernel_manual_unrollILi128ELi4EZNS0_15gpu_kernel_implIZZZNS0_17rsqrt_kernel_cudaERNS_18TensorIteratorBaseEENKUlvE0_clEvENKUlvE2_clEvEUlN3c104HalfEE_EEvS4_RKT_EUlibE0_EEviT1_.num_vgpr, 18
	.set _ZN2at6native32elementwise_kernel_manual_unrollILi128ELi4EZNS0_15gpu_kernel_implIZZZNS0_17rsqrt_kernel_cudaERNS_18TensorIteratorBaseEENKUlvE0_clEvENKUlvE2_clEvEUlN3c104HalfEE_EEvS4_RKT_EUlibE0_EEviT1_.num_agpr, 0
	.set _ZN2at6native32elementwise_kernel_manual_unrollILi128ELi4EZNS0_15gpu_kernel_implIZZZNS0_17rsqrt_kernel_cudaERNS_18TensorIteratorBaseEENKUlvE0_clEvENKUlvE2_clEvEUlN3c104HalfEE_EEvS4_RKT_EUlibE0_EEviT1_.numbered_sgpr, 78
	.set _ZN2at6native32elementwise_kernel_manual_unrollILi128ELi4EZNS0_15gpu_kernel_implIZZZNS0_17rsqrt_kernel_cudaERNS_18TensorIteratorBaseEENKUlvE0_clEvENKUlvE2_clEvEUlN3c104HalfEE_EEvS4_RKT_EUlibE0_EEviT1_.num_named_barrier, 0
	.set _ZN2at6native32elementwise_kernel_manual_unrollILi128ELi4EZNS0_15gpu_kernel_implIZZZNS0_17rsqrt_kernel_cudaERNS_18TensorIteratorBaseEENKUlvE0_clEvENKUlvE2_clEvEUlN3c104HalfEE_EEvS4_RKT_EUlibE0_EEviT1_.private_seg_size, 0
	.set _ZN2at6native32elementwise_kernel_manual_unrollILi128ELi4EZNS0_15gpu_kernel_implIZZZNS0_17rsqrt_kernel_cudaERNS_18TensorIteratorBaseEENKUlvE0_clEvENKUlvE2_clEvEUlN3c104HalfEE_EEvS4_RKT_EUlibE0_EEviT1_.uses_vcc, 1
	.set _ZN2at6native32elementwise_kernel_manual_unrollILi128ELi4EZNS0_15gpu_kernel_implIZZZNS0_17rsqrt_kernel_cudaERNS_18TensorIteratorBaseEENKUlvE0_clEvENKUlvE2_clEvEUlN3c104HalfEE_EEvS4_RKT_EUlibE0_EEviT1_.uses_flat_scratch, 0
	.set _ZN2at6native32elementwise_kernel_manual_unrollILi128ELi4EZNS0_15gpu_kernel_implIZZZNS0_17rsqrt_kernel_cudaERNS_18TensorIteratorBaseEENKUlvE0_clEvENKUlvE2_clEvEUlN3c104HalfEE_EEvS4_RKT_EUlibE0_EEviT1_.has_dyn_sized_stack, 0
	.set _ZN2at6native32elementwise_kernel_manual_unrollILi128ELi4EZNS0_15gpu_kernel_implIZZZNS0_17rsqrt_kernel_cudaERNS_18TensorIteratorBaseEENKUlvE0_clEvENKUlvE2_clEvEUlN3c104HalfEE_EEvS4_RKT_EUlibE0_EEviT1_.has_recursion, 0
	.set _ZN2at6native32elementwise_kernel_manual_unrollILi128ELi4EZNS0_15gpu_kernel_implIZZZNS0_17rsqrt_kernel_cudaERNS_18TensorIteratorBaseEENKUlvE0_clEvENKUlvE2_clEvEUlN3c104HalfEE_EEvS4_RKT_EUlibE0_EEviT1_.has_indirect_call, 0
	.section	.AMDGPU.csdata,"",@progbits
; Kernel info:
; codeLenInByte = 44288
; TotalNumSgprs: 84
; NumVgprs: 18
; NumAgprs: 0
; TotalNumVgprs: 18
; ScratchSize: 0
; MemoryBound: 0
; FloatMode: 240
; IeeeMode: 1
; LDSByteSize: 0 bytes/workgroup (compile time only)
; SGPRBlocks: 10
; VGPRBlocks: 2
; NumSGPRsForWavesPerEU: 84
; NumVGPRsForWavesPerEU: 18
; AccumOffset: 20
; Occupancy: 8
; WaveLimiterHint : 1
; COMPUTE_PGM_RSRC2:SCRATCH_EN: 0
; COMPUTE_PGM_RSRC2:USER_SGPR: 2
; COMPUTE_PGM_RSRC2:TRAP_HANDLER: 0
; COMPUTE_PGM_RSRC2:TGID_X_EN: 1
; COMPUTE_PGM_RSRC2:TGID_Y_EN: 0
; COMPUTE_PGM_RSRC2:TGID_Z_EN: 0
; COMPUTE_PGM_RSRC2:TIDIG_COMP_CNT: 0
; COMPUTE_PGM_RSRC3_GFX90A:ACCUM_OFFSET: 4
; COMPUTE_PGM_RSRC3_GFX90A:TG_SPLIT: 0
	.section	.text._ZN2at6native29vectorized_elementwise_kernelILi16EZZZNS0_16sqrt_kernel_cudaERNS_18TensorIteratorBaseEENKUlvE_clEvENKUlvE_clEvEUlN3c107complexIdEEE_St5arrayIPcLm2EEEEviT0_T1_,"axG",@progbits,_ZN2at6native29vectorized_elementwise_kernelILi16EZZZNS0_16sqrt_kernel_cudaERNS_18TensorIteratorBaseEENKUlvE_clEvENKUlvE_clEvEUlN3c107complexIdEEE_St5arrayIPcLm2EEEEviT0_T1_,comdat
	.globl	_ZN2at6native29vectorized_elementwise_kernelILi16EZZZNS0_16sqrt_kernel_cudaERNS_18TensorIteratorBaseEENKUlvE_clEvENKUlvE_clEvEUlN3c107complexIdEEE_St5arrayIPcLm2EEEEviT0_T1_ ; -- Begin function _ZN2at6native29vectorized_elementwise_kernelILi16EZZZNS0_16sqrt_kernel_cudaERNS_18TensorIteratorBaseEENKUlvE_clEvENKUlvE_clEvEUlN3c107complexIdEEE_St5arrayIPcLm2EEEEviT0_T1_
	.p2align	8
	.type	_ZN2at6native29vectorized_elementwise_kernelILi16EZZZNS0_16sqrt_kernel_cudaERNS_18TensorIteratorBaseEENKUlvE_clEvENKUlvE_clEvEUlN3c107complexIdEEE_St5arrayIPcLm2EEEEviT0_T1_,@function
_ZN2at6native29vectorized_elementwise_kernelILi16EZZZNS0_16sqrt_kernel_cudaERNS_18TensorIteratorBaseEENKUlvE_clEvENKUlvE_clEvEUlN3c107complexIdEEE_St5arrayIPcLm2EEEEviT0_T1_: ; @_ZN2at6native29vectorized_elementwise_kernelILi16EZZZNS0_16sqrt_kernel_cudaERNS_18TensorIteratorBaseEENKUlvE_clEvENKUlvE_clEvEUlN3c107complexIdEEE_St5arrayIPcLm2EEEEviT0_T1_
; %bb.0:
	s_load_dword s3, s[0:1], 0x0
	s_load_dwordx4 s[8:11], s[0:1], 0x8
	s_lshl_b32 s6, s2, 10
	s_mov_b64 s[0:1], -1
	s_waitcnt lgkmcnt(0)
	s_sub_i32 s24, s3, s6
	s_cmpk_gt_i32 s24, 0x3ff
	s_cbranch_scc0 .LBB218_122
; %bb.1:
	s_ashr_i32 s7, s6, 31
	s_lshl_b64 s[4:5], s[6:7], 4
	s_add_u32 s0, s10, s4
	s_addc_u32 s1, s11, s5
	v_lshlrev_b32_e32 v1, 6, v0
	global_load_dwordx4 v[14:17], v1, s[0:1]
	global_load_dwordx4 v[10:13], v1, s[0:1] offset:16
	global_load_dwordx4 v[2:5], v1, s[0:1] offset:48
	;; [unrolled: 1-line block ×3, first 2 shown]
	v_mov_b64_e32 v[18:19], 0
	v_mov_b64_e32 v[20:21], 0
	s_waitcnt vmcnt(3)
	v_cmp_neq_f64_e32 vcc, 0, v[14:15]
	v_cmp_neq_f64_e64 s[0:1], 0, v[16:17]
	s_or_b64 s[0:1], vcc, s[0:1]
	s_and_saveexec_b64 s[12:13], s[0:1]
	s_cbranch_execz .LBB218_31
; %bb.2:
	v_mov_b32_e32 v20, 0
	v_mov_b32_e32 v21, 0x7ff00000
	v_cmp_neq_f64_e64 s[0:1], |v[16:17]|, v[20:21]
	s_and_saveexec_b64 s[14:15], s[0:1]
	s_cbranch_execz .LBB218_30
; %bb.3:
	v_cmp_o_f64_e32 vcc, v[14:15], v[14:15]
                                        ; implicit-def: $vgpr20_vgpr21
	s_and_saveexec_b64 s[0:1], vcc
	s_xor_b64 s[16:17], exec, s[0:1]
	s_cbranch_execz .LBB218_27
; %bb.4:
	s_mov_b32 s0, 0
	s_mov_b32 s1, 0x7ff00000
	v_cmp_neq_f64_e64 s[0:1], |v[14:15]|, s[0:1]
                                        ; implicit-def: $vgpr20_vgpr21
	s_and_saveexec_b64 s[2:3], s[0:1]
	s_xor_b64 s[18:19], exec, s[2:3]
	s_cbranch_execz .LBB218_20
; %bb.5:
	v_max_f64 v[20:21], |v[16:17]|, |v[16:17]|
	v_max_f64 v[22:23], |v[14:15]|, |v[14:15]|
	s_mov_b32 s0, 0x99fcef32
	v_max_f64 v[20:21], v[22:23], v[20:21]
	s_mov_b32 s1, 0x7fda8279
	v_cmp_nle_f64_e64 s[0:1], s[0:1], v[20:21]
                                        ; implicit-def: $sgpr20_sgpr21
	s_and_saveexec_b64 s[2:3], s[0:1]
	s_xor_b64 s[2:3], exec, s[2:3]
	s_cbranch_execz .LBB218_9
; %bb.6:
	s_mov_b32 s20, 0
	s_mov_b32 s21, 0x200000
	v_cmp_le_f64_e64 s[22:23], |v[14:15]|, s[20:21]
	v_cmp_le_f64_e64 s[20:21], |v[16:17]|, s[20:21]
	s_and_b64 s[26:27], s[22:23], s[20:21]
	s_mov_b64 s[20:21], 0
	s_and_saveexec_b64 s[22:23], s[26:27]
; %bb.7:
	s_mov_b64 s[20:21], exec
	v_mul_f64 v[16:17], v[16:17], 4.0
	v_mul_f64 v[14:15], v[14:15], 4.0
; %bb.8:
	s_or_b64 exec, exec, s[22:23]
.LBB218_9:
	s_andn2_saveexec_b64 s[2:3], s[2:3]
; %bb.10:
	v_ldexp_f64 v[14:15], v[14:15], -2
	v_ldexp_f64 v[16:17], v[16:17], -2
	s_andn2_b64 s[20:21], s[20:21], exec
; %bb.11:
	s_or_b64 exec, exec, s[2:3]
	v_max_f64 v[20:21], |v[16:17]|, |v[16:17]|
	v_max_f64 v[22:23], |v[14:15]|, |v[14:15]|
	v_max_f64 v[20:21], v[22:23], v[20:21]
	v_frexp_exp_i32_f64_e32 v28, v[20:21]
	v_sub_u32_e32 v22, 0, v28
	v_ldexp_f64 v[20:21], |v[14:15]|, v22
	v_ldexp_f64 v[22:23], |v[16:17]|, v22
	v_mul_f64 v[22:23], v[22:23], v[22:23]
	v_fmac_f64_e32 v[22:23], v[20:21], v[20:21]
	v_rsq_f64_e32 v[20:21], v[22:23]
	v_cmp_eq_f64_e64 s[2:3], 0, v[22:23]
	s_movk_i32 s7, 0x204
	v_cmp_class_f64_e64 s[22:23], v[16:17], s7
	v_mul_f64 v[24:25], v[22:23], v[20:21]
	v_mul_f64 v[20:21], v[20:21], 0.5
	v_fma_f64 v[26:27], -v[20:21], v[24:25], 0.5
	v_fmac_f64_e32 v[24:25], v[24:25], v[26:27]
	v_fmac_f64_e32 v[20:21], v[20:21], v[26:27]
	v_fma_f64 v[26:27], -v[24:25], v[24:25], v[22:23]
	v_fmac_f64_e32 v[24:25], v[26:27], v[20:21]
	v_cndmask_b32_e64 v21, v25, v23, s[2:3]
	v_cndmask_b32_e64 v20, v24, v22, s[2:3]
	v_ldexp_f64 v[20:21], v[20:21], v28
	v_cmp_o_f64_e64 s[2:3], v[16:17], v[16:17]
	v_mov_b32_e32 v22, 0x7ff80000
	v_cmp_le_f64_e32 vcc, 0, v[14:15]
	v_cndmask_b32_e64 v20, 0, v20, s[2:3]
	v_cndmask_b32_e64 v21, v22, v21, s[2:3]
	v_cmp_class_f64_e64 s[2:3], v[14:15], s7
	v_mov_b32_e32 v22, 0x7ff00000
	s_or_b64 s[2:3], s[22:23], s[2:3]
	v_cndmask_b32_e64 v21, v21, v22, s[2:3]
	v_cndmask_b32_e64 v20, v20, 0, s[2:3]
                                        ; implicit-def: $vgpr22_vgpr23
                                        ; implicit-def: $vgpr24_vgpr25
	s_and_saveexec_b64 s[2:3], vcc
	s_xor_b64 s[2:3], exec, s[2:3]
	s_cbranch_execz .LBB218_13
; %bb.12:
	v_add_f64 v[14:15], v[14:15], v[20:21]
	s_mov_b32 s22, 0
	v_mul_f64 v[14:15], v[14:15], 0.5
	s_brev_b32 s23, 8
	v_mov_b32_e32 v20, 0x100
	v_cmp_gt_f64_e32 vcc, s[22:23], v[14:15]
	s_nop 1
	v_cndmask_b32_e32 v20, 0, v20, vcc
	v_ldexp_f64 v[14:15], v[14:15], v20
	v_rsq_f64_e32 v[20:21], v[14:15]
	s_nop 0
	v_mul_f64 v[22:23], v[14:15], v[20:21]
	v_mul_f64 v[20:21], v[20:21], 0.5
	v_fma_f64 v[24:25], -v[20:21], v[22:23], 0.5
	v_fmac_f64_e32 v[22:23], v[22:23], v[24:25]
	v_fma_f64 v[26:27], -v[22:23], v[22:23], v[14:15]
	v_fmac_f64_e32 v[20:21], v[20:21], v[24:25]
	v_fmac_f64_e32 v[22:23], v[26:27], v[20:21]
	v_fma_f64 v[24:25], -v[22:23], v[22:23], v[14:15]
	v_fmac_f64_e32 v[22:23], v[24:25], v[20:21]
	v_mov_b32_e32 v20, 0xffffff80
	v_cndmask_b32_e32 v20, 0, v20, vcc
	v_ldexp_f64 v[20:21], v[22:23], v20
	v_mov_b32_e32 v22, 0x260
	v_cmp_class_f64_e32 vcc, v[14:15], v22
	s_nop 1
	v_cndmask_b32_e32 v25, v21, v15, vcc
	v_cndmask_b32_e32 v24, v20, v14, vcc
	v_add_f64 v[14:15], v[24:25], v[24:25]
	v_div_scale_f64 v[20:21], s[22:23], v[14:15], v[14:15], v[16:17]
	v_rcp_f64_e32 v[22:23], v[20:21]
	s_nop 0
	v_fma_f64 v[26:27], -v[20:21], v[22:23], 1.0
	v_fmac_f64_e32 v[22:23], v[22:23], v[26:27]
	v_fma_f64 v[26:27], -v[20:21], v[22:23], 1.0
	v_fmac_f64_e32 v[22:23], v[22:23], v[26:27]
	v_div_scale_f64 v[26:27], vcc, v[16:17], v[14:15], v[16:17]
	v_mul_f64 v[28:29], v[26:27], v[22:23]
	v_fma_f64 v[20:21], -v[20:21], v[28:29], v[26:27]
	s_nop 1
	v_div_fmas_f64 v[20:21], v[20:21], v[22:23], v[28:29]
	v_div_fixup_f64 v[22:23], v[20:21], v[14:15], v[16:17]
                                        ; implicit-def: $vgpr20_vgpr21
                                        ; implicit-def: $vgpr14_vgpr15
	s_andn2_saveexec_b64 s[2:3], s[2:3]
	s_cbranch_execz .LBB218_15
	s_branch .LBB218_14
.LBB218_13:
	s_andn2_saveexec_b64 s[2:3], s[2:3]
	s_cbranch_execz .LBB218_15
.LBB218_14:
	v_add_f64 v[14:15], v[20:21], -v[14:15]
	s_mov_b32 s22, 0
	v_mul_f64 v[14:15], v[14:15], 0.5
	s_brev_b32 s23, 8
	v_mov_b32_e32 v20, 0x100
	v_cmp_gt_f64_e32 vcc, s[22:23], v[14:15]
	s_brev_b32 s7, -2
	s_nop 0
	v_cndmask_b32_e32 v20, 0, v20, vcc
	v_ldexp_f64 v[14:15], v[14:15], v20
	v_rsq_f64_e32 v[20:21], v[14:15]
	s_nop 0
	v_mul_f64 v[22:23], v[14:15], v[20:21]
	v_mul_f64 v[20:21], v[20:21], 0.5
	v_fma_f64 v[24:25], -v[20:21], v[22:23], 0.5
	v_fmac_f64_e32 v[22:23], v[22:23], v[24:25]
	v_fma_f64 v[26:27], -v[22:23], v[22:23], v[14:15]
	v_fmac_f64_e32 v[20:21], v[20:21], v[24:25]
	v_fmac_f64_e32 v[22:23], v[26:27], v[20:21]
	v_fma_f64 v[24:25], -v[22:23], v[22:23], v[14:15]
	v_fmac_f64_e32 v[22:23], v[24:25], v[20:21]
	v_mov_b32_e32 v20, 0xffffff80
	v_cndmask_b32_e32 v20, 0, v20, vcc
	v_ldexp_f64 v[20:21], v[22:23], v20
	v_mov_b32_e32 v22, 0x260
	v_cmp_class_f64_e32 vcc, v[14:15], v22
	s_nop 1
	v_cndmask_b32_e32 v23, v21, v15, vcc
	v_cndmask_b32_e32 v22, v20, v14, vcc
	v_add_f64 v[14:15], v[22:23], v[22:23]
	v_and_b32_e32 v21, 0x7fffffff, v17
	v_mov_b32_e32 v20, v16
	v_div_scale_f64 v[24:25], s[22:23], v[14:15], v[14:15], v[20:21]
	v_rcp_f64_e32 v[26:27], v[24:25]
	v_div_scale_f64 v[20:21], vcc, v[20:21], v[14:15], v[20:21]
	v_bfi_b32 v23, s7, v23, v17
	v_fma_f64 v[28:29], -v[24:25], v[26:27], 1.0
	v_fmac_f64_e32 v[26:27], v[26:27], v[28:29]
	v_fma_f64 v[28:29], -v[24:25], v[26:27], 1.0
	v_fmac_f64_e32 v[26:27], v[26:27], v[28:29]
	v_mul_f64 v[28:29], v[20:21], v[26:27]
	v_fma_f64 v[20:21], -v[24:25], v[28:29], v[20:21]
	v_div_fmas_f64 v[20:21], v[20:21], v[26:27], v[28:29]
	v_div_fixup_f64 v[24:25], v[20:21], v[14:15], |v[16:17]|
.LBB218_15:
	s_or_b64 exec, exec, s[2:3]
                                        ; implicit-def: $vgpr16_vgpr17
                                        ; implicit-def: $vgpr20_vgpr21
	s_and_saveexec_b64 s[2:3], s[0:1]
	s_xor_b64 s[0:1], exec, s[2:3]
	s_cbranch_execz .LBB218_17
; %bb.16:
	v_mul_f64 v[14:15], v[24:25], 0.5
	v_mul_f64 v[16:17], v[22:23], 0.5
	v_cndmask_b32_e64 v21, v25, v15, s[20:21]
	v_cndmask_b32_e64 v20, v24, v14, s[20:21]
	;; [unrolled: 1-line block ×4, first 2 shown]
                                        ; implicit-def: $vgpr24_vgpr25
                                        ; implicit-def: $vgpr22_vgpr23
	s_andn2_saveexec_b64 s[0:1], s[0:1]
	s_cbranch_execnz .LBB218_18
	s_branch .LBB218_19
.LBB218_17:
	s_andn2_saveexec_b64 s[0:1], s[0:1]
.LBB218_18:
	v_add_f64 v[20:21], v[24:25], v[24:25]
	v_add_f64 v[16:17], v[22:23], v[22:23]
.LBB218_19:
	s_or_b64 exec, exec, s[0:1]
.LBB218_20:
	s_andn2_saveexec_b64 s[0:1], s[18:19]
	s_cbranch_execz .LBB218_26
; %bb.21:
	v_add_f64 v[22:23], v[16:17], -v[16:17]
	v_cmp_lt_i64_e32 vcc, -1, v[14:15]
	s_brev_b32 s7, -2
	v_and_b32_e32 v21, 0x7fffffff, v23
	v_mov_b32_e32 v20, v22
	s_and_saveexec_b64 s[2:3], vcc
	s_xor_b64 s[2:3], exec, s[2:3]
; %bb.22:
	v_bfi_b32 v23, s7, v23, v17
	v_mov_b64_e32 v[16:17], v[22:23]
	v_mov_b64_e32 v[20:21], v[14:15]
; %bb.23:
	s_andn2_saveexec_b64 s[2:3], s[2:3]
; %bb.24:
	v_bfi_b32 v15, s7, v15, v17
	v_mov_b64_e32 v[16:17], v[14:15]
; %bb.25:
	s_or_b64 exec, exec, s[2:3]
.LBB218_26:
	s_or_b64 exec, exec, s[0:1]
.LBB218_27:
	s_andn2_saveexec_b64 s[0:1], s[16:17]
	s_cbranch_execz .LBB218_29
; %bb.28:
	v_add_f64 v[16:17], v[16:17], -v[16:17]
	v_div_scale_f64 v[20:21], vcc, v[16:17], v[16:17], v[16:17]
	v_rcp_f64_e32 v[22:23], v[20:21]
	s_nop 0
	v_fma_f64 v[24:25], -v[20:21], v[22:23], 1.0
	v_fmac_f64_e32 v[22:23], v[22:23], v[24:25]
	v_fma_f64 v[24:25], -v[20:21], v[22:23], 1.0
	v_fmac_f64_e32 v[22:23], v[22:23], v[24:25]
	v_mul_f64 v[24:25], v[20:21], v[22:23]
	v_fma_f64 v[20:21], -v[20:21], v[24:25], v[20:21]
	v_div_fmas_f64 v[20:21], v[20:21], v[22:23], v[24:25]
	v_div_fixup_f64 v[16:17], v[20:21], v[16:17], v[16:17]
	v_mov_b64_e32 v[20:21], v[14:15]
.LBB218_29:
	s_or_b64 exec, exec, s[0:1]
.LBB218_30:
	s_or_b64 exec, exec, s[14:15]
.LBB218_31:
	s_or_b64 exec, exec, s[12:13]
	s_waitcnt vmcnt(2)
	v_cmp_neq_f64_e32 vcc, 0, v[10:11]
	v_cmp_neq_f64_e64 s[0:1], 0, v[12:13]
	s_or_b64 s[0:1], vcc, s[0:1]
	s_and_saveexec_b64 s[12:13], s[0:1]
	s_cbranch_execz .LBB218_61
; %bb.32:
	v_mov_b32_e32 v18, 0
	v_mov_b32_e32 v19, 0x7ff00000
	v_cmp_neq_f64_e64 s[0:1], |v[12:13]|, v[18:19]
	s_and_saveexec_b64 s[14:15], s[0:1]
	s_cbranch_execz .LBB218_60
; %bb.33:
	v_cmp_o_f64_e32 vcc, v[10:11], v[10:11]
                                        ; implicit-def: $vgpr18_vgpr19
	s_and_saveexec_b64 s[0:1], vcc
	s_xor_b64 s[16:17], exec, s[0:1]
	s_cbranch_execz .LBB218_57
; %bb.34:
	s_mov_b32 s0, 0
	s_mov_b32 s1, 0x7ff00000
	v_cmp_neq_f64_e64 s[0:1], |v[10:11]|, s[0:1]
                                        ; implicit-def: $vgpr18_vgpr19
	s_and_saveexec_b64 s[2:3], s[0:1]
	s_xor_b64 s[18:19], exec, s[2:3]
	s_cbranch_execz .LBB218_50
; %bb.35:
	v_max_f64 v[14:15], |v[12:13]|, |v[12:13]|
	v_max_f64 v[18:19], |v[10:11]|, |v[10:11]|
	s_mov_b32 s0, 0x99fcef32
	v_max_f64 v[14:15], v[18:19], v[14:15]
	s_mov_b32 s1, 0x7fda8279
	v_cmp_nle_f64_e64 s[0:1], s[0:1], v[14:15]
                                        ; implicit-def: $sgpr20_sgpr21
	s_and_saveexec_b64 s[2:3], s[0:1]
	s_xor_b64 s[2:3], exec, s[2:3]
	s_cbranch_execz .LBB218_39
; %bb.36:
	s_mov_b32 s20, 0
	s_mov_b32 s21, 0x200000
	v_cmp_le_f64_e64 s[22:23], |v[10:11]|, s[20:21]
	v_cmp_le_f64_e64 s[20:21], |v[12:13]|, s[20:21]
	s_and_b64 s[26:27], s[22:23], s[20:21]
	s_mov_b64 s[20:21], 0
	s_and_saveexec_b64 s[22:23], s[26:27]
; %bb.37:
	s_mov_b64 s[20:21], exec
	v_mul_f64 v[12:13], v[12:13], 4.0
	v_mul_f64 v[10:11], v[10:11], 4.0
; %bb.38:
	s_or_b64 exec, exec, s[22:23]
.LBB218_39:
	s_andn2_saveexec_b64 s[2:3], s[2:3]
; %bb.40:
	v_ldexp_f64 v[10:11], v[10:11], -2
	v_ldexp_f64 v[12:13], v[12:13], -2
	s_andn2_b64 s[20:21], s[20:21], exec
; %bb.41:
	s_or_b64 exec, exec, s[2:3]
	v_max_f64 v[14:15], |v[12:13]|, |v[12:13]|
	v_max_f64 v[18:19], |v[10:11]|, |v[10:11]|
	v_max_f64 v[14:15], v[18:19], v[14:15]
	v_frexp_exp_i32_f64_e32 v26, v[14:15]
	v_sub_u32_e32 v18, 0, v26
	v_ldexp_f64 v[14:15], |v[10:11]|, v18
	v_ldexp_f64 v[18:19], |v[12:13]|, v18
	v_mul_f64 v[18:19], v[18:19], v[18:19]
	v_fmac_f64_e32 v[18:19], v[14:15], v[14:15]
	v_rsq_f64_e32 v[14:15], v[18:19]
	v_cmp_eq_f64_e64 s[2:3], 0, v[18:19]
	s_movk_i32 s7, 0x204
	v_cmp_class_f64_e64 s[22:23], v[12:13], s7
	v_mul_f64 v[22:23], v[18:19], v[14:15]
	v_mul_f64 v[14:15], v[14:15], 0.5
	v_fma_f64 v[24:25], -v[14:15], v[22:23], 0.5
	v_fmac_f64_e32 v[22:23], v[22:23], v[24:25]
	v_fmac_f64_e32 v[14:15], v[14:15], v[24:25]
	v_fma_f64 v[24:25], -v[22:23], v[22:23], v[18:19]
	v_fmac_f64_e32 v[22:23], v[24:25], v[14:15]
	v_cndmask_b32_e64 v15, v23, v19, s[2:3]
	v_cndmask_b32_e64 v14, v22, v18, s[2:3]
	v_ldexp_f64 v[14:15], v[14:15], v26
	v_cmp_o_f64_e64 s[2:3], v[12:13], v[12:13]
	v_mov_b32_e32 v18, 0x7ff80000
	v_cmp_le_f64_e32 vcc, 0, v[10:11]
	v_cndmask_b32_e64 v14, 0, v14, s[2:3]
	v_cndmask_b32_e64 v15, v18, v15, s[2:3]
	v_cmp_class_f64_e64 s[2:3], v[10:11], s7
	v_mov_b32_e32 v18, 0x7ff00000
	s_or_b64 s[2:3], s[22:23], s[2:3]
	v_cndmask_b32_e64 v19, v15, v18, s[2:3]
	v_cndmask_b32_e64 v18, v14, 0, s[2:3]
                                        ; implicit-def: $vgpr14_vgpr15
                                        ; implicit-def: $vgpr22_vgpr23
	s_and_saveexec_b64 s[2:3], vcc
	s_xor_b64 s[2:3], exec, s[2:3]
	s_cbranch_execz .LBB218_43
; %bb.42:
	v_add_f64 v[10:11], v[10:11], v[18:19]
	s_mov_b32 s22, 0
	v_mul_f64 v[10:11], v[10:11], 0.5
	s_brev_b32 s23, 8
	v_mov_b32_e32 v14, 0x100
	v_cmp_gt_f64_e32 vcc, s[22:23], v[10:11]
	s_nop 1
	v_cndmask_b32_e32 v14, 0, v14, vcc
	v_ldexp_f64 v[10:11], v[10:11], v14
	v_rsq_f64_e32 v[14:15], v[10:11]
	s_nop 0
	v_mul_f64 v[18:19], v[10:11], v[14:15]
	v_mul_f64 v[14:15], v[14:15], 0.5
	v_fma_f64 v[22:23], -v[14:15], v[18:19], 0.5
	v_fmac_f64_e32 v[18:19], v[18:19], v[22:23]
	v_fma_f64 v[24:25], -v[18:19], v[18:19], v[10:11]
	v_fmac_f64_e32 v[14:15], v[14:15], v[22:23]
	v_fmac_f64_e32 v[18:19], v[24:25], v[14:15]
	v_fma_f64 v[22:23], -v[18:19], v[18:19], v[10:11]
	v_fmac_f64_e32 v[18:19], v[22:23], v[14:15]
	v_mov_b32_e32 v14, 0xffffff80
	v_cndmask_b32_e32 v14, 0, v14, vcc
	v_ldexp_f64 v[14:15], v[18:19], v14
	v_mov_b32_e32 v18, 0x260
	v_cmp_class_f64_e32 vcc, v[10:11], v18
	s_nop 1
	v_cndmask_b32_e32 v23, v15, v11, vcc
	v_cndmask_b32_e32 v22, v14, v10, vcc
	v_add_f64 v[10:11], v[22:23], v[22:23]
	v_div_scale_f64 v[14:15], s[22:23], v[10:11], v[10:11], v[12:13]
	v_rcp_f64_e32 v[18:19], v[14:15]
	s_nop 0
	v_fma_f64 v[24:25], -v[14:15], v[18:19], 1.0
	v_fmac_f64_e32 v[18:19], v[18:19], v[24:25]
	v_fma_f64 v[24:25], -v[14:15], v[18:19], 1.0
	v_fmac_f64_e32 v[18:19], v[18:19], v[24:25]
	v_div_scale_f64 v[24:25], vcc, v[12:13], v[10:11], v[12:13]
	v_mul_f64 v[26:27], v[24:25], v[18:19]
	v_fma_f64 v[14:15], -v[14:15], v[26:27], v[24:25]
	s_nop 1
	v_div_fmas_f64 v[14:15], v[14:15], v[18:19], v[26:27]
	v_div_fixup_f64 v[14:15], v[14:15], v[10:11], v[12:13]
                                        ; implicit-def: $vgpr18_vgpr19
                                        ; implicit-def: $vgpr10_vgpr11
	s_andn2_saveexec_b64 s[2:3], s[2:3]
	s_cbranch_execz .LBB218_45
	s_branch .LBB218_44
.LBB218_43:
	s_andn2_saveexec_b64 s[2:3], s[2:3]
	s_cbranch_execz .LBB218_45
.LBB218_44:
	v_add_f64 v[10:11], v[18:19], -v[10:11]
	s_mov_b32 s22, 0
	v_mul_f64 v[10:11], v[10:11], 0.5
	s_brev_b32 s23, 8
	v_mov_b32_e32 v14, 0x100
	v_cmp_gt_f64_e32 vcc, s[22:23], v[10:11]
	s_brev_b32 s7, -2
	s_nop 0
	v_cndmask_b32_e32 v14, 0, v14, vcc
	v_ldexp_f64 v[10:11], v[10:11], v14
	v_rsq_f64_e32 v[14:15], v[10:11]
	s_nop 0
	v_mul_f64 v[18:19], v[10:11], v[14:15]
	v_mul_f64 v[14:15], v[14:15], 0.5
	v_fma_f64 v[22:23], -v[14:15], v[18:19], 0.5
	v_fmac_f64_e32 v[18:19], v[18:19], v[22:23]
	v_fma_f64 v[24:25], -v[18:19], v[18:19], v[10:11]
	v_fmac_f64_e32 v[14:15], v[14:15], v[22:23]
	v_fmac_f64_e32 v[18:19], v[24:25], v[14:15]
	v_fma_f64 v[22:23], -v[18:19], v[18:19], v[10:11]
	v_fmac_f64_e32 v[18:19], v[22:23], v[14:15]
	v_mov_b32_e32 v14, 0xffffff80
	v_cndmask_b32_e32 v14, 0, v14, vcc
	v_ldexp_f64 v[14:15], v[18:19], v14
	v_mov_b32_e32 v18, 0x260
	v_cmp_class_f64_e32 vcc, v[10:11], v18
	v_and_b32_e32 v19, 0x7fffffff, v13
	v_mov_b32_e32 v18, v12
	v_cndmask_b32_e32 v15, v15, v11, vcc
	v_cndmask_b32_e32 v14, v14, v10, vcc
	v_add_f64 v[10:11], v[14:15], v[14:15]
	v_div_scale_f64 v[22:23], s[22:23], v[10:11], v[10:11], v[18:19]
	v_rcp_f64_e32 v[24:25], v[22:23]
	v_div_scale_f64 v[18:19], vcc, v[18:19], v[10:11], v[18:19]
	v_bfi_b32 v15, s7, v15, v13
	v_fma_f64 v[26:27], -v[22:23], v[24:25], 1.0
	v_fmac_f64_e32 v[24:25], v[24:25], v[26:27]
	v_fma_f64 v[26:27], -v[22:23], v[24:25], 1.0
	v_fmac_f64_e32 v[24:25], v[24:25], v[26:27]
	v_mul_f64 v[26:27], v[18:19], v[24:25]
	v_fma_f64 v[18:19], -v[22:23], v[26:27], v[18:19]
	v_div_fmas_f64 v[18:19], v[18:19], v[24:25], v[26:27]
	v_div_fixup_f64 v[22:23], v[18:19], v[10:11], |v[12:13]|
.LBB218_45:
	s_or_b64 exec, exec, s[2:3]
                                        ; implicit-def: $vgpr12_vgpr13
                                        ; implicit-def: $vgpr18_vgpr19
	s_and_saveexec_b64 s[2:3], s[0:1]
	s_xor_b64 s[0:1], exec, s[2:3]
	s_cbranch_execz .LBB218_47
; %bb.46:
	v_mul_f64 v[10:11], v[22:23], 0.5
	v_mul_f64 v[12:13], v[14:15], 0.5
	v_cndmask_b32_e64 v19, v23, v11, s[20:21]
	v_cndmask_b32_e64 v18, v22, v10, s[20:21]
	;; [unrolled: 1-line block ×4, first 2 shown]
                                        ; implicit-def: $vgpr22_vgpr23
                                        ; implicit-def: $vgpr14_vgpr15
	s_andn2_saveexec_b64 s[0:1], s[0:1]
	s_cbranch_execnz .LBB218_48
	s_branch .LBB218_49
.LBB218_47:
	s_andn2_saveexec_b64 s[0:1], s[0:1]
.LBB218_48:
	v_add_f64 v[18:19], v[22:23], v[22:23]
	v_add_f64 v[12:13], v[14:15], v[14:15]
.LBB218_49:
	s_or_b64 exec, exec, s[0:1]
.LBB218_50:
	s_andn2_saveexec_b64 s[0:1], s[18:19]
	s_cbranch_execz .LBB218_56
; %bb.51:
	v_add_f64 v[14:15], v[12:13], -v[12:13]
	v_cmp_lt_i64_e32 vcc, -1, v[10:11]
	s_brev_b32 s7, -2
	v_and_b32_e32 v19, 0x7fffffff, v15
	v_mov_b32_e32 v18, v14
	s_and_saveexec_b64 s[2:3], vcc
	s_xor_b64 s[2:3], exec, s[2:3]
; %bb.52:
	v_bfi_b32 v15, s7, v15, v13
	v_mov_b64_e32 v[12:13], v[14:15]
	v_mov_b64_e32 v[18:19], v[10:11]
; %bb.53:
	s_andn2_saveexec_b64 s[2:3], s[2:3]
; %bb.54:
	v_bfi_b32 v11, s7, v11, v13
	v_mov_b64_e32 v[12:13], v[10:11]
; %bb.55:
	s_or_b64 exec, exec, s[2:3]
.LBB218_56:
	s_or_b64 exec, exec, s[0:1]
.LBB218_57:
	s_andn2_saveexec_b64 s[0:1], s[16:17]
	s_cbranch_execz .LBB218_59
; %bb.58:
	v_add_f64 v[12:13], v[12:13], -v[12:13]
	v_div_scale_f64 v[14:15], vcc, v[12:13], v[12:13], v[12:13]
	v_rcp_f64_e32 v[18:19], v[14:15]
	s_nop 0
	v_fma_f64 v[22:23], -v[14:15], v[18:19], 1.0
	v_fmac_f64_e32 v[18:19], v[18:19], v[22:23]
	v_fma_f64 v[22:23], -v[14:15], v[18:19], 1.0
	v_fmac_f64_e32 v[18:19], v[18:19], v[22:23]
	v_mul_f64 v[22:23], v[14:15], v[18:19]
	v_fma_f64 v[14:15], -v[14:15], v[22:23], v[14:15]
	v_div_fmas_f64 v[14:15], v[14:15], v[18:19], v[22:23]
	v_div_fixup_f64 v[12:13], v[14:15], v[12:13], v[12:13]
	v_mov_b64_e32 v[18:19], v[10:11]
.LBB218_59:
	s_or_b64 exec, exec, s[0:1]
.LBB218_60:
	s_or_b64 exec, exec, s[14:15]
.LBB218_61:
	s_or_b64 exec, exec, s[12:13]
	s_waitcnt vmcnt(0)
	v_cmp_neq_f64_e32 vcc, 0, v[6:7]
	v_cmp_neq_f64_e64 s[0:1], 0, v[8:9]
	v_mov_b64_e32 v[10:11], 0
	s_or_b64 s[0:1], vcc, s[0:1]
	v_mov_b64_e32 v[14:15], 0
	s_and_saveexec_b64 s[12:13], s[0:1]
	s_cbranch_execz .LBB218_91
; %bb.62:
	v_mov_b32_e32 v14, 0
	v_mov_b32_e32 v15, 0x7ff00000
	v_cmp_neq_f64_e64 s[0:1], |v[8:9]|, v[14:15]
	s_and_saveexec_b64 s[14:15], s[0:1]
	s_cbranch_execz .LBB218_90
; %bb.63:
	v_cmp_o_f64_e32 vcc, v[6:7], v[6:7]
                                        ; implicit-def: $vgpr14_vgpr15
	s_and_saveexec_b64 s[0:1], vcc
	s_xor_b64 s[16:17], exec, s[0:1]
	s_cbranch_execz .LBB218_87
; %bb.64:
	s_mov_b32 s0, 0
	s_mov_b32 s1, 0x7ff00000
	v_cmp_neq_f64_e64 s[0:1], |v[6:7]|, s[0:1]
                                        ; implicit-def: $vgpr14_vgpr15
	s_and_saveexec_b64 s[2:3], s[0:1]
	s_xor_b64 s[18:19], exec, s[2:3]
	s_cbranch_execz .LBB218_80
; %bb.65:
	v_max_f64 v[14:15], |v[8:9]|, |v[8:9]|
	v_max_f64 v[22:23], |v[6:7]|, |v[6:7]|
	s_mov_b32 s0, 0x99fcef32
	v_max_f64 v[14:15], v[22:23], v[14:15]
	s_mov_b32 s1, 0x7fda8279
	v_cmp_nle_f64_e64 s[0:1], s[0:1], v[14:15]
                                        ; implicit-def: $sgpr20_sgpr21
	s_and_saveexec_b64 s[2:3], s[0:1]
	s_xor_b64 s[2:3], exec, s[2:3]
	s_cbranch_execz .LBB218_69
; %bb.66:
	s_mov_b32 s20, 0
	s_mov_b32 s21, 0x200000
	v_cmp_le_f64_e64 s[22:23], |v[6:7]|, s[20:21]
	v_cmp_le_f64_e64 s[20:21], |v[8:9]|, s[20:21]
	s_and_b64 s[26:27], s[22:23], s[20:21]
	s_mov_b64 s[20:21], 0
	s_and_saveexec_b64 s[22:23], s[26:27]
; %bb.67:
	s_mov_b64 s[20:21], exec
	v_mul_f64 v[8:9], v[8:9], 4.0
	v_mul_f64 v[6:7], v[6:7], 4.0
; %bb.68:
	s_or_b64 exec, exec, s[22:23]
.LBB218_69:
	s_andn2_saveexec_b64 s[2:3], s[2:3]
; %bb.70:
	v_ldexp_f64 v[6:7], v[6:7], -2
	v_ldexp_f64 v[8:9], v[8:9], -2
	s_andn2_b64 s[20:21], s[20:21], exec
; %bb.71:
	s_or_b64 exec, exec, s[2:3]
	v_max_f64 v[14:15], |v[8:9]|, |v[8:9]|
	v_max_f64 v[22:23], |v[6:7]|, |v[6:7]|
	v_max_f64 v[14:15], v[22:23], v[14:15]
	v_frexp_exp_i32_f64_e32 v28, v[14:15]
	v_sub_u32_e32 v22, 0, v28
	v_ldexp_f64 v[14:15], |v[6:7]|, v22
	v_ldexp_f64 v[22:23], |v[8:9]|, v22
	v_mul_f64 v[22:23], v[22:23], v[22:23]
	v_fmac_f64_e32 v[22:23], v[14:15], v[14:15]
	v_rsq_f64_e32 v[14:15], v[22:23]
	v_cmp_eq_f64_e64 s[2:3], 0, v[22:23]
	s_movk_i32 s7, 0x204
	v_cmp_class_f64_e64 s[22:23], v[8:9], s7
	v_mul_f64 v[24:25], v[22:23], v[14:15]
	v_mul_f64 v[14:15], v[14:15], 0.5
	v_fma_f64 v[26:27], -v[14:15], v[24:25], 0.5
	v_fmac_f64_e32 v[24:25], v[24:25], v[26:27]
	v_fmac_f64_e32 v[14:15], v[14:15], v[26:27]
	v_fma_f64 v[26:27], -v[24:25], v[24:25], v[22:23]
	v_fmac_f64_e32 v[24:25], v[26:27], v[14:15]
	v_cndmask_b32_e64 v15, v25, v23, s[2:3]
	v_cndmask_b32_e64 v14, v24, v22, s[2:3]
	v_ldexp_f64 v[14:15], v[14:15], v28
	v_cmp_o_f64_e64 s[2:3], v[8:9], v[8:9]
	v_mov_b32_e32 v22, 0x7ff80000
	v_cmp_le_f64_e32 vcc, 0, v[6:7]
	v_cndmask_b32_e64 v14, 0, v14, s[2:3]
	v_cndmask_b32_e64 v15, v22, v15, s[2:3]
	v_cmp_class_f64_e64 s[2:3], v[6:7], s7
	v_mov_b32_e32 v22, 0x7ff00000
	s_or_b64 s[2:3], s[22:23], s[2:3]
	v_cndmask_b32_e64 v15, v15, v22, s[2:3]
	v_cndmask_b32_e64 v14, v14, 0, s[2:3]
                                        ; implicit-def: $vgpr22_vgpr23
                                        ; implicit-def: $vgpr24_vgpr25
	s_and_saveexec_b64 s[2:3], vcc
	s_xor_b64 s[2:3], exec, s[2:3]
	s_cbranch_execz .LBB218_73
; %bb.72:
	v_add_f64 v[6:7], v[6:7], v[14:15]
	s_mov_b32 s22, 0
	v_mul_f64 v[6:7], v[6:7], 0.5
	s_brev_b32 s23, 8
	v_mov_b32_e32 v14, 0x100
	v_cmp_gt_f64_e32 vcc, s[22:23], v[6:7]
	s_nop 1
	v_cndmask_b32_e32 v14, 0, v14, vcc
	v_ldexp_f64 v[6:7], v[6:7], v14
	v_rsq_f64_e32 v[14:15], v[6:7]
	s_nop 0
	v_mul_f64 v[22:23], v[6:7], v[14:15]
	v_mul_f64 v[14:15], v[14:15], 0.5
	v_fma_f64 v[24:25], -v[14:15], v[22:23], 0.5
	v_fmac_f64_e32 v[22:23], v[22:23], v[24:25]
	v_fma_f64 v[26:27], -v[22:23], v[22:23], v[6:7]
	v_fmac_f64_e32 v[14:15], v[14:15], v[24:25]
	v_fmac_f64_e32 v[22:23], v[26:27], v[14:15]
	v_fma_f64 v[24:25], -v[22:23], v[22:23], v[6:7]
	v_fmac_f64_e32 v[22:23], v[24:25], v[14:15]
	v_mov_b32_e32 v14, 0xffffff80
	v_cndmask_b32_e32 v14, 0, v14, vcc
	v_ldexp_f64 v[14:15], v[22:23], v14
	v_mov_b32_e32 v22, 0x260
	v_cmp_class_f64_e32 vcc, v[6:7], v22
	s_nop 1
	v_cndmask_b32_e32 v25, v15, v7, vcc
	v_cndmask_b32_e32 v24, v14, v6, vcc
	v_add_f64 v[6:7], v[24:25], v[24:25]
	v_div_scale_f64 v[14:15], s[22:23], v[6:7], v[6:7], v[8:9]
	v_rcp_f64_e32 v[22:23], v[14:15]
	s_nop 0
	v_fma_f64 v[26:27], -v[14:15], v[22:23], 1.0
	v_fmac_f64_e32 v[22:23], v[22:23], v[26:27]
	v_fma_f64 v[26:27], -v[14:15], v[22:23], 1.0
	v_fmac_f64_e32 v[22:23], v[22:23], v[26:27]
	v_div_scale_f64 v[26:27], vcc, v[8:9], v[6:7], v[8:9]
	v_mul_f64 v[28:29], v[26:27], v[22:23]
	v_fma_f64 v[14:15], -v[14:15], v[28:29], v[26:27]
	s_nop 1
	v_div_fmas_f64 v[14:15], v[14:15], v[22:23], v[28:29]
	v_div_fixup_f64 v[22:23], v[14:15], v[6:7], v[8:9]
                                        ; implicit-def: $vgpr14_vgpr15
                                        ; implicit-def: $vgpr6_vgpr7
	s_andn2_saveexec_b64 s[2:3], s[2:3]
	s_cbranch_execz .LBB218_75
	s_branch .LBB218_74
.LBB218_73:
	s_andn2_saveexec_b64 s[2:3], s[2:3]
	s_cbranch_execz .LBB218_75
.LBB218_74:
	v_add_f64 v[6:7], v[14:15], -v[6:7]
	s_mov_b32 s22, 0
	v_mul_f64 v[6:7], v[6:7], 0.5
	s_brev_b32 s23, 8
	v_mov_b32_e32 v14, 0x100
	v_cmp_gt_f64_e32 vcc, s[22:23], v[6:7]
	s_brev_b32 s7, -2
	s_nop 0
	v_cndmask_b32_e32 v14, 0, v14, vcc
	v_ldexp_f64 v[6:7], v[6:7], v14
	v_rsq_f64_e32 v[14:15], v[6:7]
	s_nop 0
	v_mul_f64 v[22:23], v[6:7], v[14:15]
	v_mul_f64 v[14:15], v[14:15], 0.5
	v_fma_f64 v[24:25], -v[14:15], v[22:23], 0.5
	v_fmac_f64_e32 v[22:23], v[22:23], v[24:25]
	v_fma_f64 v[26:27], -v[22:23], v[22:23], v[6:7]
	v_fmac_f64_e32 v[14:15], v[14:15], v[24:25]
	v_fmac_f64_e32 v[22:23], v[26:27], v[14:15]
	v_fma_f64 v[24:25], -v[22:23], v[22:23], v[6:7]
	v_fmac_f64_e32 v[22:23], v[24:25], v[14:15]
	v_mov_b32_e32 v14, 0xffffff80
	v_cndmask_b32_e32 v14, 0, v14, vcc
	v_ldexp_f64 v[14:15], v[22:23], v14
	v_mov_b32_e32 v22, 0x260
	v_cmp_class_f64_e32 vcc, v[6:7], v22
	s_nop 1
	v_cndmask_b32_e32 v23, v15, v7, vcc
	v_cndmask_b32_e32 v22, v14, v6, vcc
	v_add_f64 v[6:7], v[22:23], v[22:23]
	v_and_b32_e32 v15, 0x7fffffff, v9
	v_mov_b32_e32 v14, v8
	v_div_scale_f64 v[24:25], s[22:23], v[6:7], v[6:7], v[14:15]
	v_rcp_f64_e32 v[26:27], v[24:25]
	v_div_scale_f64 v[14:15], vcc, v[14:15], v[6:7], v[14:15]
	v_bfi_b32 v23, s7, v23, v9
	v_fma_f64 v[28:29], -v[24:25], v[26:27], 1.0
	v_fmac_f64_e32 v[26:27], v[26:27], v[28:29]
	v_fma_f64 v[28:29], -v[24:25], v[26:27], 1.0
	v_fmac_f64_e32 v[26:27], v[26:27], v[28:29]
	v_mul_f64 v[28:29], v[14:15], v[26:27]
	v_fma_f64 v[14:15], -v[24:25], v[28:29], v[14:15]
	v_div_fmas_f64 v[14:15], v[14:15], v[26:27], v[28:29]
	v_div_fixup_f64 v[24:25], v[14:15], v[6:7], |v[8:9]|
.LBB218_75:
	s_or_b64 exec, exec, s[2:3]
                                        ; implicit-def: $vgpr8_vgpr9
                                        ; implicit-def: $vgpr14_vgpr15
	s_and_saveexec_b64 s[2:3], s[0:1]
	s_xor_b64 s[0:1], exec, s[2:3]
	s_cbranch_execz .LBB218_77
; %bb.76:
	v_mul_f64 v[6:7], v[24:25], 0.5
	v_mul_f64 v[8:9], v[22:23], 0.5
	v_cndmask_b32_e64 v15, v25, v7, s[20:21]
	v_cndmask_b32_e64 v14, v24, v6, s[20:21]
	;; [unrolled: 1-line block ×4, first 2 shown]
                                        ; implicit-def: $vgpr24_vgpr25
                                        ; implicit-def: $vgpr22_vgpr23
	s_andn2_saveexec_b64 s[0:1], s[0:1]
	s_cbranch_execnz .LBB218_78
	s_branch .LBB218_79
.LBB218_77:
	s_andn2_saveexec_b64 s[0:1], s[0:1]
.LBB218_78:
	v_add_f64 v[14:15], v[24:25], v[24:25]
	v_add_f64 v[8:9], v[22:23], v[22:23]
.LBB218_79:
	s_or_b64 exec, exec, s[0:1]
.LBB218_80:
	s_andn2_saveexec_b64 s[0:1], s[18:19]
	s_cbranch_execz .LBB218_86
; %bb.81:
	v_add_f64 v[22:23], v[8:9], -v[8:9]
	v_cmp_lt_i64_e32 vcc, -1, v[6:7]
	s_brev_b32 s7, -2
	v_and_b32_e32 v15, 0x7fffffff, v23
	v_mov_b32_e32 v14, v22
	s_and_saveexec_b64 s[2:3], vcc
	s_xor_b64 s[2:3], exec, s[2:3]
; %bb.82:
	v_bfi_b32 v23, s7, v23, v9
	v_mov_b64_e32 v[8:9], v[22:23]
	v_mov_b64_e32 v[14:15], v[6:7]
; %bb.83:
	s_andn2_saveexec_b64 s[2:3], s[2:3]
; %bb.84:
	v_bfi_b32 v7, s7, v7, v9
	v_mov_b64_e32 v[8:9], v[6:7]
; %bb.85:
	s_or_b64 exec, exec, s[2:3]
.LBB218_86:
	s_or_b64 exec, exec, s[0:1]
.LBB218_87:
	s_andn2_saveexec_b64 s[0:1], s[16:17]
	s_cbranch_execz .LBB218_89
; %bb.88:
	v_add_f64 v[8:9], v[8:9], -v[8:9]
	v_div_scale_f64 v[14:15], vcc, v[8:9], v[8:9], v[8:9]
	v_rcp_f64_e32 v[22:23], v[14:15]
	s_nop 0
	v_fma_f64 v[24:25], -v[14:15], v[22:23], 1.0
	v_fmac_f64_e32 v[22:23], v[22:23], v[24:25]
	v_fma_f64 v[24:25], -v[14:15], v[22:23], 1.0
	v_fmac_f64_e32 v[22:23], v[22:23], v[24:25]
	v_mul_f64 v[24:25], v[14:15], v[22:23]
	v_fma_f64 v[14:15], -v[14:15], v[24:25], v[14:15]
	v_div_fmas_f64 v[14:15], v[14:15], v[22:23], v[24:25]
	v_div_fixup_f64 v[8:9], v[14:15], v[8:9], v[8:9]
	v_mov_b64_e32 v[14:15], v[6:7]
.LBB218_89:
	s_or_b64 exec, exec, s[0:1]
.LBB218_90:
	s_or_b64 exec, exec, s[14:15]
.LBB218_91:
	s_or_b64 exec, exec, s[12:13]
	v_cmp_neq_f64_e32 vcc, 0, v[2:3]
	v_cmp_neq_f64_e64 s[0:1], 0, v[4:5]
	s_or_b64 s[0:1], vcc, s[0:1]
	s_and_saveexec_b64 s[12:13], s[0:1]
	s_cbranch_execz .LBB218_121
; %bb.92:
	v_mov_b32_e32 v10, 0
	v_mov_b32_e32 v11, 0x7ff00000
	v_cmp_neq_f64_e64 s[0:1], |v[4:5]|, v[10:11]
	s_and_saveexec_b64 s[14:15], s[0:1]
	s_cbranch_execz .LBB218_120
; %bb.93:
	v_cmp_o_f64_e32 vcc, v[2:3], v[2:3]
                                        ; implicit-def: $vgpr10_vgpr11
	s_and_saveexec_b64 s[0:1], vcc
	s_xor_b64 s[16:17], exec, s[0:1]
	s_cbranch_execz .LBB218_117
; %bb.94:
	s_mov_b32 s0, 0
	s_mov_b32 s1, 0x7ff00000
	v_cmp_neq_f64_e64 s[0:1], |v[2:3]|, s[0:1]
                                        ; implicit-def: $vgpr10_vgpr11
	s_and_saveexec_b64 s[2:3], s[0:1]
	s_xor_b64 s[18:19], exec, s[2:3]
	s_cbranch_execz .LBB218_110
; %bb.95:
	v_max_f64 v[6:7], |v[4:5]|, |v[4:5]|
	v_max_f64 v[10:11], |v[2:3]|, |v[2:3]|
	s_mov_b32 s0, 0x99fcef32
	v_max_f64 v[6:7], v[10:11], v[6:7]
	s_mov_b32 s1, 0x7fda8279
	v_cmp_nle_f64_e64 s[0:1], s[0:1], v[6:7]
                                        ; implicit-def: $sgpr20_sgpr21
	s_and_saveexec_b64 s[2:3], s[0:1]
	s_xor_b64 s[2:3], exec, s[2:3]
	s_cbranch_execz .LBB218_99
; %bb.96:
	s_mov_b32 s20, 0
	s_mov_b32 s21, 0x200000
	v_cmp_le_f64_e64 s[22:23], |v[2:3]|, s[20:21]
	v_cmp_le_f64_e64 s[20:21], |v[4:5]|, s[20:21]
	s_and_b64 s[26:27], s[22:23], s[20:21]
	s_mov_b64 s[20:21], 0
	s_and_saveexec_b64 s[22:23], s[26:27]
; %bb.97:
	s_mov_b64 s[20:21], exec
	v_mul_f64 v[4:5], v[4:5], 4.0
	v_mul_f64 v[2:3], v[2:3], 4.0
; %bb.98:
	s_or_b64 exec, exec, s[22:23]
.LBB218_99:
	s_andn2_saveexec_b64 s[2:3], s[2:3]
; %bb.100:
	v_ldexp_f64 v[2:3], v[2:3], -2
	v_ldexp_f64 v[4:5], v[4:5], -2
	s_andn2_b64 s[20:21], s[20:21], exec
; %bb.101:
	s_or_b64 exec, exec, s[2:3]
	v_max_f64 v[6:7], |v[4:5]|, |v[4:5]|
	v_max_f64 v[10:11], |v[2:3]|, |v[2:3]|
	v_max_f64 v[6:7], v[10:11], v[6:7]
	v_frexp_exp_i32_f64_e32 v26, v[6:7]
	v_sub_u32_e32 v10, 0, v26
	v_ldexp_f64 v[6:7], |v[2:3]|, v10
	v_ldexp_f64 v[10:11], |v[4:5]|, v10
	v_mul_f64 v[10:11], v[10:11], v[10:11]
	v_fmac_f64_e32 v[10:11], v[6:7], v[6:7]
	v_rsq_f64_e32 v[6:7], v[10:11]
	v_cmp_eq_f64_e64 s[2:3], 0, v[10:11]
	s_movk_i32 s7, 0x204
	v_cmp_class_f64_e64 s[22:23], v[4:5], s7
	v_mul_f64 v[22:23], v[10:11], v[6:7]
	v_mul_f64 v[6:7], v[6:7], 0.5
	v_fma_f64 v[24:25], -v[6:7], v[22:23], 0.5
	v_fmac_f64_e32 v[22:23], v[22:23], v[24:25]
	v_fmac_f64_e32 v[6:7], v[6:7], v[24:25]
	v_fma_f64 v[24:25], -v[22:23], v[22:23], v[10:11]
	v_fmac_f64_e32 v[22:23], v[24:25], v[6:7]
	v_cndmask_b32_e64 v7, v23, v11, s[2:3]
	v_cndmask_b32_e64 v6, v22, v10, s[2:3]
	v_ldexp_f64 v[6:7], v[6:7], v26
	v_cmp_o_f64_e64 s[2:3], v[4:5], v[4:5]
	v_mov_b32_e32 v10, 0x7ff80000
	v_cmp_le_f64_e32 vcc, 0, v[2:3]
	v_cndmask_b32_e64 v6, 0, v6, s[2:3]
	v_cndmask_b32_e64 v7, v10, v7, s[2:3]
	v_cmp_class_f64_e64 s[2:3], v[2:3], s7
	v_mov_b32_e32 v10, 0x7ff00000
	s_or_b64 s[2:3], s[22:23], s[2:3]
	v_cndmask_b32_e64 v11, v7, v10, s[2:3]
	v_cndmask_b32_e64 v10, v6, 0, s[2:3]
                                        ; implicit-def: $vgpr6_vgpr7
                                        ; implicit-def: $vgpr22_vgpr23
	s_and_saveexec_b64 s[2:3], vcc
	s_xor_b64 s[2:3], exec, s[2:3]
	s_cbranch_execz .LBB218_103
; %bb.102:
	v_add_f64 v[2:3], v[2:3], v[10:11]
	s_mov_b32 s22, 0
	v_mul_f64 v[2:3], v[2:3], 0.5
	s_brev_b32 s23, 8
	v_mov_b32_e32 v6, 0x100
	v_cmp_gt_f64_e32 vcc, s[22:23], v[2:3]
	s_nop 1
	v_cndmask_b32_e32 v6, 0, v6, vcc
	v_ldexp_f64 v[2:3], v[2:3], v6
	v_rsq_f64_e32 v[6:7], v[2:3]
	s_nop 0
	v_mul_f64 v[10:11], v[2:3], v[6:7]
	v_mul_f64 v[6:7], v[6:7], 0.5
	v_fma_f64 v[22:23], -v[6:7], v[10:11], 0.5
	v_fmac_f64_e32 v[10:11], v[10:11], v[22:23]
	v_fma_f64 v[24:25], -v[10:11], v[10:11], v[2:3]
	v_fmac_f64_e32 v[6:7], v[6:7], v[22:23]
	v_fmac_f64_e32 v[10:11], v[24:25], v[6:7]
	v_fma_f64 v[22:23], -v[10:11], v[10:11], v[2:3]
	v_fmac_f64_e32 v[10:11], v[22:23], v[6:7]
	v_mov_b32_e32 v6, 0xffffff80
	v_cndmask_b32_e32 v6, 0, v6, vcc
	v_ldexp_f64 v[6:7], v[10:11], v6
	v_mov_b32_e32 v10, 0x260
	v_cmp_class_f64_e32 vcc, v[2:3], v10
	s_nop 1
	v_cndmask_b32_e32 v23, v7, v3, vcc
	v_cndmask_b32_e32 v22, v6, v2, vcc
	v_add_f64 v[2:3], v[22:23], v[22:23]
	v_div_scale_f64 v[6:7], s[22:23], v[2:3], v[2:3], v[4:5]
	v_rcp_f64_e32 v[10:11], v[6:7]
	s_nop 0
	v_fma_f64 v[24:25], -v[6:7], v[10:11], 1.0
	v_fmac_f64_e32 v[10:11], v[10:11], v[24:25]
	v_fma_f64 v[24:25], -v[6:7], v[10:11], 1.0
	v_fmac_f64_e32 v[10:11], v[10:11], v[24:25]
	v_div_scale_f64 v[24:25], vcc, v[4:5], v[2:3], v[4:5]
	v_mul_f64 v[26:27], v[24:25], v[10:11]
	v_fma_f64 v[6:7], -v[6:7], v[26:27], v[24:25]
	s_nop 1
	v_div_fmas_f64 v[6:7], v[6:7], v[10:11], v[26:27]
	v_div_fixup_f64 v[6:7], v[6:7], v[2:3], v[4:5]
                                        ; implicit-def: $vgpr10_vgpr11
                                        ; implicit-def: $vgpr2_vgpr3
	s_andn2_saveexec_b64 s[2:3], s[2:3]
	s_cbranch_execz .LBB218_105
	s_branch .LBB218_104
.LBB218_103:
	s_andn2_saveexec_b64 s[2:3], s[2:3]
	s_cbranch_execz .LBB218_105
.LBB218_104:
	v_add_f64 v[2:3], v[10:11], -v[2:3]
	s_mov_b32 s22, 0
	v_mul_f64 v[2:3], v[2:3], 0.5
	s_brev_b32 s23, 8
	v_mov_b32_e32 v6, 0x100
	v_cmp_gt_f64_e32 vcc, s[22:23], v[2:3]
	s_brev_b32 s7, -2
	s_nop 0
	v_cndmask_b32_e32 v6, 0, v6, vcc
	v_ldexp_f64 v[2:3], v[2:3], v6
	v_rsq_f64_e32 v[6:7], v[2:3]
	s_nop 0
	v_mul_f64 v[10:11], v[2:3], v[6:7]
	v_mul_f64 v[6:7], v[6:7], 0.5
	v_fma_f64 v[22:23], -v[6:7], v[10:11], 0.5
	v_fmac_f64_e32 v[10:11], v[10:11], v[22:23]
	v_fma_f64 v[24:25], -v[10:11], v[10:11], v[2:3]
	v_fmac_f64_e32 v[6:7], v[6:7], v[22:23]
	v_fmac_f64_e32 v[10:11], v[24:25], v[6:7]
	v_fma_f64 v[22:23], -v[10:11], v[10:11], v[2:3]
	v_fmac_f64_e32 v[10:11], v[22:23], v[6:7]
	v_mov_b32_e32 v6, 0xffffff80
	v_cndmask_b32_e32 v6, 0, v6, vcc
	v_ldexp_f64 v[6:7], v[10:11], v6
	v_mov_b32_e32 v10, 0x260
	v_cmp_class_f64_e32 vcc, v[2:3], v10
	v_and_b32_e32 v11, 0x7fffffff, v5
	v_mov_b32_e32 v10, v4
	v_cndmask_b32_e32 v7, v7, v3, vcc
	v_cndmask_b32_e32 v6, v6, v2, vcc
	v_add_f64 v[2:3], v[6:7], v[6:7]
	v_div_scale_f64 v[22:23], s[22:23], v[2:3], v[2:3], v[10:11]
	v_rcp_f64_e32 v[24:25], v[22:23]
	v_div_scale_f64 v[10:11], vcc, v[10:11], v[2:3], v[10:11]
	v_bfi_b32 v7, s7, v7, v5
	v_fma_f64 v[26:27], -v[22:23], v[24:25], 1.0
	v_fmac_f64_e32 v[24:25], v[24:25], v[26:27]
	v_fma_f64 v[26:27], -v[22:23], v[24:25], 1.0
	v_fmac_f64_e32 v[24:25], v[24:25], v[26:27]
	v_mul_f64 v[26:27], v[10:11], v[24:25]
	v_fma_f64 v[10:11], -v[22:23], v[26:27], v[10:11]
	v_div_fmas_f64 v[10:11], v[10:11], v[24:25], v[26:27]
	v_div_fixup_f64 v[22:23], v[10:11], v[2:3], |v[4:5]|
.LBB218_105:
	s_or_b64 exec, exec, s[2:3]
                                        ; implicit-def: $vgpr4_vgpr5
                                        ; implicit-def: $vgpr10_vgpr11
	s_and_saveexec_b64 s[2:3], s[0:1]
	s_xor_b64 s[0:1], exec, s[2:3]
	s_cbranch_execz .LBB218_107
; %bb.106:
	v_mul_f64 v[2:3], v[22:23], 0.5
	v_mul_f64 v[4:5], v[6:7], 0.5
	v_cndmask_b32_e64 v11, v23, v3, s[20:21]
	v_cndmask_b32_e64 v10, v22, v2, s[20:21]
	;; [unrolled: 1-line block ×4, first 2 shown]
                                        ; implicit-def: $vgpr22_vgpr23
                                        ; implicit-def: $vgpr6_vgpr7
	s_andn2_saveexec_b64 s[0:1], s[0:1]
	s_cbranch_execnz .LBB218_108
	s_branch .LBB218_109
.LBB218_107:
	s_andn2_saveexec_b64 s[0:1], s[0:1]
.LBB218_108:
	v_add_f64 v[10:11], v[22:23], v[22:23]
	v_add_f64 v[4:5], v[6:7], v[6:7]
.LBB218_109:
	s_or_b64 exec, exec, s[0:1]
.LBB218_110:
	s_andn2_saveexec_b64 s[0:1], s[18:19]
	s_cbranch_execz .LBB218_116
; %bb.111:
	v_add_f64 v[6:7], v[4:5], -v[4:5]
	v_cmp_lt_i64_e32 vcc, -1, v[2:3]
	s_brev_b32 s7, -2
	v_and_b32_e32 v11, 0x7fffffff, v7
	v_mov_b32_e32 v10, v6
	s_and_saveexec_b64 s[2:3], vcc
	s_xor_b64 s[2:3], exec, s[2:3]
; %bb.112:
	v_bfi_b32 v7, s7, v7, v5
	v_mov_b64_e32 v[4:5], v[6:7]
	v_mov_b64_e32 v[10:11], v[2:3]
; %bb.113:
	s_andn2_saveexec_b64 s[2:3], s[2:3]
; %bb.114:
	v_bfi_b32 v3, s7, v3, v5
	v_mov_b64_e32 v[4:5], v[2:3]
; %bb.115:
	s_or_b64 exec, exec, s[2:3]
.LBB218_116:
	s_or_b64 exec, exec, s[0:1]
.LBB218_117:
	s_andn2_saveexec_b64 s[0:1], s[16:17]
	s_cbranch_execz .LBB218_119
; %bb.118:
	v_add_f64 v[4:5], v[4:5], -v[4:5]
	v_div_scale_f64 v[6:7], vcc, v[4:5], v[4:5], v[4:5]
	v_rcp_f64_e32 v[10:11], v[6:7]
	s_nop 0
	v_fma_f64 v[22:23], -v[6:7], v[10:11], 1.0
	v_fmac_f64_e32 v[10:11], v[10:11], v[22:23]
	v_fma_f64 v[22:23], -v[6:7], v[10:11], 1.0
	v_fmac_f64_e32 v[10:11], v[10:11], v[22:23]
	v_mul_f64 v[22:23], v[6:7], v[10:11]
	v_fma_f64 v[6:7], -v[6:7], v[22:23], v[6:7]
	v_div_fmas_f64 v[6:7], v[6:7], v[10:11], v[22:23]
	v_div_fixup_f64 v[4:5], v[6:7], v[4:5], v[4:5]
	v_mov_b64_e32 v[10:11], v[2:3]
.LBB218_119:
	s_or_b64 exec, exec, s[0:1]
.LBB218_120:
	s_or_b64 exec, exec, s[14:15]
.LBB218_121:
	s_or_b64 exec, exec, s[12:13]
	s_add_u32 s0, s8, s4
	s_addc_u32 s1, s9, s5
	v_mov_b32_e32 v22, v16
	v_mov_b32_e32 v23, v17
	global_store_dwordx4 v1, v[20:23], s[0:1]
	v_mov_b32_e32 v16, v8
	v_mov_b32_e32 v17, v9
	;; [unrolled: 1-line block ×6, first 2 shown]
	global_store_dwordx4 v1, v[18:21], s[0:1] offset:16
	global_store_dwordx4 v1, v[14:17], s[0:1] offset:32
	;; [unrolled: 1-line block ×3, first 2 shown]
	s_mov_b64 s[0:1], 0
.LBB218_122:
	s_and_b64 vcc, exec, s[0:1]
	s_cbranch_vccz .LBB218_267
; %bb.123:
	v_cmp_gt_i32_e64 s[0:1], s24, v0
	v_mov_b64_e32 v[18:19], 0
	v_or_b32_e32 v26, s6, v0
	v_mov_b64_e32 v[22:23], 0
	v_mov_b64_e32 v[24:25], 0
	v_mov_b32_e32 v1, v0
	s_and_saveexec_b64 s[2:3], s[0:1]
	s_cbranch_execz .LBB218_125
; %bb.124:
	v_mov_b32_e32 v27, 0
	v_lshl_add_u64 v[2:3], v[26:27], 4, s[10:11]
	global_load_dwordx4 v[22:25], v[2:3], off
	v_or_b32_e32 v1, 0x100, v0
.LBB218_125:
	s_or_b64 exec, exec, s[2:3]
	v_cmp_gt_i32_e32 vcc, s24, v1
	v_mov_b64_e32 v[20:21], 0
	s_and_saveexec_b64 s[2:3], vcc
	s_cbranch_execz .LBB218_127
; %bb.126:
	v_add_u32_e32 v2, s6, v1
	v_mov_b32_e32 v3, 0
	v_lshl_add_u64 v[2:3], v[2:3], 4, s[10:11]
	global_load_dwordx4 v[18:21], v[2:3], off
	v_add_u32_e32 v1, 0x100, v1
.LBB218_127:
	s_or_b64 exec, exec, s[2:3]
	v_cmp_gt_i32_e32 vcc, s24, v1
	v_mov_b64_e32 v[2:3], 0
	v_mov_b64_e32 v[14:15], 0
	v_mov_b64_e32 v[16:17], 0
	s_and_saveexec_b64 s[2:3], vcc
	s_cbranch_execz .LBB218_129
; %bb.128:
	v_add_u32_e32 v4, s6, v1
	v_mov_b32_e32 v5, 0
	v_lshl_add_u64 v[4:5], v[4:5], 4, s[10:11]
	global_load_dwordx4 v[14:17], v[4:5], off
	v_add_u32_e32 v1, 0x100, v1
.LBB218_129:
	s_or_b64 exec, exec, s[2:3]
	v_cmp_gt_i32_e32 vcc, s24, v1
	v_mov_b64_e32 v[4:5], 0
	s_and_saveexec_b64 s[2:3], vcc
	s_cbranch_execz .LBB218_131
; %bb.130:
	v_add_u32_e32 v2, s6, v1
	v_mov_b32_e32 v3, 0
	v_lshl_add_u64 v[2:3], v[2:3], 4, s[10:11]
	global_load_dwordx4 v[2:5], v[2:3], off
.LBB218_131:
	s_or_b64 exec, exec, s[2:3]
	v_mov_b64_e32 v[8:9], 0
	v_mov_b64_e32 v[12:13], 0
	v_mov_b64_e32 v[10:11], 0
	s_and_saveexec_b64 s[10:11], s[0:1]
	s_cbranch_execz .LBB218_163
; %bb.132:
	s_waitcnt vmcnt(0)
	v_cmp_neq_f64_e32 vcc, 0, v[22:23]
	v_cmp_neq_f64_e64 s[2:3], 0, v[24:25]
	v_mov_b64_e32 v[10:11], 0
	s_or_b64 s[2:3], vcc, s[2:3]
	s_and_saveexec_b64 s[12:13], s[2:3]
	s_cbranch_execz .LBB218_162
; %bb.133:
	v_mov_b32_e32 v10, 0
	v_mov_b32_e32 v11, 0x7ff00000
	v_cmp_neq_f64_e64 s[2:3], |v[24:25]|, v[10:11]
	s_and_saveexec_b64 s[14:15], s[2:3]
	s_cbranch_execz .LBB218_161
; %bb.134:
	v_cmp_o_f64_e32 vcc, v[22:23], v[22:23]
                                        ; implicit-def: $vgpr10_vgpr11
	s_and_saveexec_b64 s[2:3], vcc
	s_xor_b64 s[16:17], exec, s[2:3]
	s_cbranch_execz .LBB218_158
; %bb.135:
	s_mov_b32 s2, 0
	s_mov_b32 s3, 0x7ff00000
	v_cmp_neq_f64_e64 s[2:3], |v[22:23]|, s[2:3]
                                        ; implicit-def: $vgpr10_vgpr11
	s_and_saveexec_b64 s[4:5], s[2:3]
	s_xor_b64 s[18:19], exec, s[4:5]
	s_cbranch_execz .LBB218_151
; %bb.136:
	v_max_f64 v[6:7], |v[24:25]|, |v[24:25]|
	v_max_f64 v[10:11], |v[22:23]|, |v[22:23]|
	s_mov_b32 s2, 0x99fcef32
	v_max_f64 v[6:7], v[10:11], v[6:7]
	s_mov_b32 s3, 0x7fda8279
	v_cmp_nle_f64_e64 s[2:3], s[2:3], v[6:7]
                                        ; implicit-def: $sgpr20_sgpr21
	s_and_saveexec_b64 s[4:5], s[2:3]
	s_xor_b64 s[4:5], exec, s[4:5]
	s_cbranch_execz .LBB218_140
; %bb.137:
	s_mov_b32 s20, 0
	s_mov_b32 s21, 0x200000
	v_cmp_le_f64_e64 s[22:23], |v[22:23]|, s[20:21]
	v_cmp_le_f64_e64 s[20:21], |v[24:25]|, s[20:21]
	s_and_b64 s[26:27], s[22:23], s[20:21]
	s_mov_b64 s[20:21], 0
	s_and_saveexec_b64 s[22:23], s[26:27]
; %bb.138:
	s_mov_b64 s[20:21], exec
	v_mul_f64 v[24:25], v[24:25], 4.0
	v_mul_f64 v[22:23], v[22:23], 4.0
; %bb.139:
	s_or_b64 exec, exec, s[22:23]
.LBB218_140:
	s_andn2_saveexec_b64 s[4:5], s[4:5]
; %bb.141:
	v_ldexp_f64 v[22:23], v[22:23], -2
	v_ldexp_f64 v[24:25], v[24:25], -2
	s_andn2_b64 s[20:21], s[20:21], exec
; %bb.142:
	s_or_b64 exec, exec, s[4:5]
	v_max_f64 v[6:7], |v[24:25]|, |v[24:25]|
	v_max_f64 v[10:11], |v[22:23]|, |v[22:23]|
	v_max_f64 v[6:7], v[10:11], v[6:7]
	v_frexp_exp_i32_f64_e32 v1, v[6:7]
	v_sub_u32_e32 v10, 0, v1
	v_ldexp_f64 v[6:7], |v[22:23]|, v10
	v_ldexp_f64 v[10:11], |v[24:25]|, v10
	v_mul_f64 v[10:11], v[10:11], v[10:11]
	v_fmac_f64_e32 v[10:11], v[6:7], v[6:7]
	v_rsq_f64_e32 v[6:7], v[10:11]
	v_cmp_eq_f64_e64 s[4:5], 0, v[10:11]
	s_movk_i32 s7, 0x204
	v_cmp_class_f64_e64 s[22:23], v[24:25], s7
	v_mul_f64 v[12:13], v[10:11], v[6:7]
	v_mul_f64 v[6:7], v[6:7], 0.5
	v_fma_f64 v[28:29], -v[6:7], v[12:13], 0.5
	v_fmac_f64_e32 v[12:13], v[12:13], v[28:29]
	v_fmac_f64_e32 v[6:7], v[6:7], v[28:29]
	v_fma_f64 v[28:29], -v[12:13], v[12:13], v[10:11]
	v_fmac_f64_e32 v[12:13], v[28:29], v[6:7]
	v_cndmask_b32_e64 v7, v13, v11, s[4:5]
	v_cndmask_b32_e64 v6, v12, v10, s[4:5]
	v_ldexp_f64 v[6:7], v[6:7], v1
	v_cmp_o_f64_e64 s[4:5], v[24:25], v[24:25]
	v_cmp_le_f64_e32 vcc, 0, v[22:23]
                                        ; implicit-def: $vgpr12_vgpr13
	s_nop 0
	v_cndmask_b32_e64 v1, 0, v6, s[4:5]
	v_mov_b32_e32 v6, 0x7ff80000
	v_cndmask_b32_e64 v6, v6, v7, s[4:5]
	v_cmp_class_f64_e64 s[4:5], v[22:23], s7
	v_mov_b32_e32 v7, 0x7ff00000
	s_or_b64 s[4:5], s[22:23], s[4:5]
	v_cndmask_b32_e64 v11, v6, v7, s[4:5]
	v_cndmask_b32_e64 v10, v1, 0, s[4:5]
                                        ; implicit-def: $vgpr6_vgpr7
	s_and_saveexec_b64 s[4:5], vcc
	s_xor_b64 s[4:5], exec, s[4:5]
	s_cbranch_execz .LBB218_144
; %bb.143:
	v_add_f64 v[6:7], v[22:23], v[10:11]
	s_mov_b32 s22, 0
	v_mul_f64 v[6:7], v[6:7], 0.5
	s_brev_b32 s23, 8
	v_mov_b32_e32 v1, 0x100
	v_cmp_gt_f64_e32 vcc, s[22:23], v[6:7]
	s_nop 1
	v_cndmask_b32_e32 v1, 0, v1, vcc
	v_ldexp_f64 v[6:7], v[6:7], v1
	v_rsq_f64_e32 v[10:11], v[6:7]
	v_mov_b32_e32 v1, 0xffffff80
	v_cndmask_b32_e32 v1, 0, v1, vcc
	v_mul_f64 v[12:13], v[6:7], v[10:11]
	v_mul_f64 v[10:11], v[10:11], 0.5
	v_fma_f64 v[22:23], -v[10:11], v[12:13], 0.5
	v_fmac_f64_e32 v[12:13], v[12:13], v[22:23]
	v_fma_f64 v[28:29], -v[12:13], v[12:13], v[6:7]
	v_fmac_f64_e32 v[10:11], v[10:11], v[22:23]
	v_fmac_f64_e32 v[12:13], v[28:29], v[10:11]
	v_fma_f64 v[22:23], -v[12:13], v[12:13], v[6:7]
	v_fmac_f64_e32 v[12:13], v[22:23], v[10:11]
	v_ldexp_f64 v[10:11], v[12:13], v1
	v_mov_b32_e32 v1, 0x260
	v_cmp_class_f64_e32 vcc, v[6:7], v1
	s_nop 1
	v_cndmask_b32_e32 v13, v11, v7, vcc
	v_cndmask_b32_e32 v12, v10, v6, vcc
	v_add_f64 v[6:7], v[12:13], v[12:13]
	v_div_scale_f64 v[10:11], s[22:23], v[6:7], v[6:7], v[24:25]
	v_rcp_f64_e32 v[22:23], v[10:11]
	s_nop 0
	v_fma_f64 v[28:29], -v[10:11], v[22:23], 1.0
	v_fmac_f64_e32 v[22:23], v[22:23], v[28:29]
	v_fma_f64 v[28:29], -v[10:11], v[22:23], 1.0
	v_fmac_f64_e32 v[22:23], v[22:23], v[28:29]
	v_div_scale_f64 v[28:29], vcc, v[24:25], v[6:7], v[24:25]
	v_mul_f64 v[30:31], v[28:29], v[22:23]
	v_fma_f64 v[10:11], -v[10:11], v[30:31], v[28:29]
	s_nop 1
	v_div_fmas_f64 v[10:11], v[10:11], v[22:23], v[30:31]
	v_div_fixup_f64 v[6:7], v[10:11], v[6:7], v[24:25]
                                        ; implicit-def: $vgpr10_vgpr11
                                        ; implicit-def: $vgpr22_vgpr23
	s_andn2_saveexec_b64 s[4:5], s[4:5]
	s_cbranch_execz .LBB218_146
	s_branch .LBB218_145
.LBB218_144:
	s_andn2_saveexec_b64 s[4:5], s[4:5]
	s_cbranch_execz .LBB218_146
.LBB218_145:
	v_add_f64 v[6:7], v[10:11], -v[22:23]
	s_mov_b32 s22, 0
	v_mul_f64 v[6:7], v[6:7], 0.5
	s_brev_b32 s23, 8
	v_mov_b32_e32 v1, 0x100
	v_cmp_gt_f64_e32 vcc, s[22:23], v[6:7]
	s_brev_b32 s7, -2
	s_nop 0
	v_cndmask_b32_e32 v1, 0, v1, vcc
	v_ldexp_f64 v[6:7], v[6:7], v1
	v_rsq_f64_e32 v[10:11], v[6:7]
	v_mov_b32_e32 v1, 0xffffff80
	v_cndmask_b32_e32 v1, 0, v1, vcc
	v_mul_f64 v[12:13], v[6:7], v[10:11]
	v_mul_f64 v[10:11], v[10:11], 0.5
	v_fma_f64 v[22:23], -v[10:11], v[12:13], 0.5
	v_fmac_f64_e32 v[12:13], v[12:13], v[22:23]
	v_fma_f64 v[28:29], -v[12:13], v[12:13], v[6:7]
	v_fmac_f64_e32 v[10:11], v[10:11], v[22:23]
	v_fmac_f64_e32 v[12:13], v[28:29], v[10:11]
	v_fma_f64 v[22:23], -v[12:13], v[12:13], v[6:7]
	v_fmac_f64_e32 v[12:13], v[22:23], v[10:11]
	v_ldexp_f64 v[10:11], v[12:13], v1
	v_mov_b32_e32 v1, 0x260
	v_cmp_class_f64_e32 vcc, v[6:7], v1
	v_and_b32_e32 v13, 0x7fffffff, v25
	v_mov_b32_e32 v12, v24
	v_cndmask_b32_e32 v7, v11, v7, vcc
	v_cndmask_b32_e32 v6, v10, v6, vcc
	v_add_f64 v[10:11], v[6:7], v[6:7]
	v_div_scale_f64 v[22:23], s[22:23], v[10:11], v[10:11], v[12:13]
	v_rcp_f64_e32 v[28:29], v[22:23]
	v_div_scale_f64 v[12:13], vcc, v[12:13], v[10:11], v[12:13]
	v_bfi_b32 v7, s7, v7, v25
	v_fma_f64 v[30:31], -v[22:23], v[28:29], 1.0
	v_fmac_f64_e32 v[28:29], v[28:29], v[30:31]
	v_fma_f64 v[30:31], -v[22:23], v[28:29], 1.0
	v_fmac_f64_e32 v[28:29], v[28:29], v[30:31]
	v_mul_f64 v[30:31], v[12:13], v[28:29]
	v_fma_f64 v[12:13], -v[22:23], v[30:31], v[12:13]
	v_div_fmas_f64 v[12:13], v[12:13], v[28:29], v[30:31]
	v_div_fixup_f64 v[12:13], v[12:13], v[10:11], |v[24:25]|
.LBB218_146:
	s_or_b64 exec, exec, s[4:5]
                                        ; implicit-def: $vgpr10_vgpr11
                                        ; implicit-def: $vgpr24_vgpr25
	s_and_saveexec_b64 s[4:5], s[2:3]
	s_xor_b64 s[2:3], exec, s[4:5]
	s_cbranch_execz .LBB218_148
; %bb.147:
	v_mul_f64 v[10:11], v[12:13], 0.5
	v_mul_f64 v[22:23], v[6:7], 0.5
	v_cndmask_b32_e64 v11, v13, v11, s[20:21]
	v_cndmask_b32_e64 v10, v12, v10, s[20:21]
	;; [unrolled: 1-line block ×4, first 2 shown]
                                        ; implicit-def: $vgpr12_vgpr13
                                        ; implicit-def: $vgpr6_vgpr7
	s_andn2_saveexec_b64 s[2:3], s[2:3]
	s_cbranch_execnz .LBB218_149
	s_branch .LBB218_150
.LBB218_148:
	s_andn2_saveexec_b64 s[2:3], s[2:3]
.LBB218_149:
	v_add_f64 v[10:11], v[12:13], v[12:13]
	v_add_f64 v[24:25], v[6:7], v[6:7]
.LBB218_150:
	s_or_b64 exec, exec, s[2:3]
.LBB218_151:
	s_andn2_saveexec_b64 s[2:3], s[18:19]
	s_cbranch_execz .LBB218_157
; %bb.152:
	v_add_f64 v[6:7], v[24:25], -v[24:25]
	v_cmp_lt_i64_e32 vcc, -1, v[22:23]
	s_brev_b32 s7, -2
	v_and_b32_e32 v11, 0x7fffffff, v7
	v_mov_b32_e32 v10, v6
	s_and_saveexec_b64 s[4:5], vcc
	s_xor_b64 s[4:5], exec, s[4:5]
; %bb.153:
	v_bfi_b32 v7, s7, v7, v25
	v_mov_b64_e32 v[10:11], v[22:23]
	v_mov_b64_e32 v[24:25], v[6:7]
; %bb.154:
	s_andn2_saveexec_b64 s[4:5], s[4:5]
; %bb.155:
	v_bfi_b32 v23, s7, v23, v25
	v_mov_b64_e32 v[24:25], v[22:23]
; %bb.156:
	s_or_b64 exec, exec, s[4:5]
.LBB218_157:
	s_or_b64 exec, exec, s[2:3]
.LBB218_158:
	s_andn2_saveexec_b64 s[2:3], s[16:17]
	s_cbranch_execz .LBB218_160
; %bb.159:
	v_add_f64 v[6:7], v[24:25], -v[24:25]
	v_div_scale_f64 v[10:11], vcc, v[6:7], v[6:7], v[6:7]
	v_rcp_f64_e32 v[12:13], v[10:11]
	s_nop 0
	v_fma_f64 v[24:25], -v[10:11], v[12:13], 1.0
	v_fmac_f64_e32 v[12:13], v[12:13], v[24:25]
	v_fma_f64 v[24:25], -v[10:11], v[12:13], 1.0
	v_fmac_f64_e32 v[12:13], v[12:13], v[24:25]
	v_mul_f64 v[24:25], v[10:11], v[12:13]
	v_fma_f64 v[10:11], -v[10:11], v[24:25], v[10:11]
	v_div_fmas_f64 v[10:11], v[10:11], v[12:13], v[24:25]
	v_div_fixup_f64 v[24:25], v[10:11], v[6:7], v[6:7]
	v_mov_b64_e32 v[10:11], v[22:23]
.LBB218_160:
	s_or_b64 exec, exec, s[2:3]
.LBB218_161:
	s_or_b64 exec, exec, s[14:15]
.LBB218_162:
	s_or_b64 exec, exec, s[12:13]
	v_mov_b64_e32 v[12:13], v[24:25]
.LBB218_163:
	s_or_b64 exec, exec, s[10:11]
	v_or_b32_e32 v1, 0x100, v0
	v_cmp_gt_i32_e32 vcc, s24, v1
	v_mov_b64_e32 v[6:7], 0
	s_and_saveexec_b64 s[10:11], vcc
	s_cbranch_execz .LBB218_195
; %bb.164:
	s_waitcnt vmcnt(0)
	v_cmp_neq_f64_e32 vcc, 0, v[18:19]
	v_cmp_neq_f64_e64 s[2:3], 0, v[20:21]
	v_mov_b64_e32 v[6:7], 0
	s_or_b64 s[2:3], vcc, s[2:3]
	s_and_saveexec_b64 s[12:13], s[2:3]
	s_cbranch_execz .LBB218_194
; %bb.165:
	v_mov_b32_e32 v6, 0
	v_mov_b32_e32 v7, 0x7ff00000
	v_cmp_neq_f64_e64 s[2:3], |v[20:21]|, v[6:7]
	s_and_saveexec_b64 s[14:15], s[2:3]
	s_cbranch_execz .LBB218_193
; %bb.166:
	v_cmp_o_f64_e32 vcc, v[18:19], v[18:19]
                                        ; implicit-def: $vgpr6_vgpr7
	s_and_saveexec_b64 s[2:3], vcc
	s_xor_b64 s[16:17], exec, s[2:3]
	s_cbranch_execz .LBB218_190
; %bb.167:
	s_mov_b32 s2, 0
	s_mov_b32 s3, 0x7ff00000
	v_cmp_neq_f64_e64 s[2:3], |v[18:19]|, s[2:3]
                                        ; implicit-def: $vgpr6_vgpr7
	s_and_saveexec_b64 s[4:5], s[2:3]
	s_xor_b64 s[18:19], exec, s[4:5]
	s_cbranch_execz .LBB218_183
; %bb.168:
	v_max_f64 v[6:7], |v[20:21]|, |v[20:21]|
	v_max_f64 v[8:9], |v[18:19]|, |v[18:19]|
	s_mov_b32 s2, 0x99fcef32
	v_max_f64 v[6:7], v[8:9], v[6:7]
	s_mov_b32 s3, 0x7fda8279
	v_cmp_nle_f64_e64 s[2:3], s[2:3], v[6:7]
                                        ; implicit-def: $sgpr20_sgpr21
	s_and_saveexec_b64 s[4:5], s[2:3]
	s_xor_b64 s[4:5], exec, s[4:5]
	s_cbranch_execz .LBB218_172
; %bb.169:
	s_mov_b32 s20, 0
	s_mov_b32 s21, 0x200000
	v_cmp_le_f64_e64 s[22:23], |v[18:19]|, s[20:21]
	v_cmp_le_f64_e64 s[20:21], |v[20:21]|, s[20:21]
	s_and_b64 s[26:27], s[22:23], s[20:21]
	s_mov_b64 s[20:21], 0
	s_and_saveexec_b64 s[22:23], s[26:27]
; %bb.170:
	s_mov_b64 s[20:21], exec
	v_mul_f64 v[20:21], v[20:21], 4.0
	v_mul_f64 v[18:19], v[18:19], 4.0
; %bb.171:
	s_or_b64 exec, exec, s[22:23]
.LBB218_172:
	s_andn2_saveexec_b64 s[4:5], s[4:5]
; %bb.173:
	v_ldexp_f64 v[18:19], v[18:19], -2
	v_ldexp_f64 v[20:21], v[20:21], -2
	s_andn2_b64 s[20:21], s[20:21], exec
; %bb.174:
	s_or_b64 exec, exec, s[4:5]
	v_max_f64 v[6:7], |v[20:21]|, |v[20:21]|
	v_max_f64 v[8:9], |v[18:19]|, |v[18:19]|
	v_max_f64 v[6:7], v[8:9], v[6:7]
	v_frexp_exp_i32_f64_e32 v27, v[6:7]
	v_sub_u32_e32 v8, 0, v27
	v_ldexp_f64 v[6:7], |v[18:19]|, v8
	v_ldexp_f64 v[8:9], |v[20:21]|, v8
	v_mul_f64 v[8:9], v[8:9], v[8:9]
	v_fmac_f64_e32 v[8:9], v[6:7], v[6:7]
	v_rsq_f64_e32 v[6:7], v[8:9]
	v_cmp_eq_f64_e64 s[4:5], 0, v[8:9]
	s_movk_i32 s7, 0x204
	v_cmp_class_f64_e64 s[22:23], v[20:21], s7
	v_mul_f64 v[22:23], v[8:9], v[6:7]
	v_mul_f64 v[6:7], v[6:7], 0.5
	v_fma_f64 v[24:25], -v[6:7], v[22:23], 0.5
	v_fmac_f64_e32 v[22:23], v[22:23], v[24:25]
	v_fmac_f64_e32 v[6:7], v[6:7], v[24:25]
	v_fma_f64 v[24:25], -v[22:23], v[22:23], v[8:9]
	v_fmac_f64_e32 v[22:23], v[24:25], v[6:7]
	v_cndmask_b32_e64 v7, v23, v9, s[4:5]
	v_cndmask_b32_e64 v6, v22, v8, s[4:5]
	v_ldexp_f64 v[6:7], v[6:7], v27
	v_cmp_o_f64_e64 s[4:5], v[20:21], v[20:21]
	v_mov_b32_e32 v8, 0x7ff80000
	v_cmp_le_f64_e32 vcc, 0, v[18:19]
	v_cndmask_b32_e64 v6, 0, v6, s[4:5]
	v_cndmask_b32_e64 v7, v8, v7, s[4:5]
	v_cmp_class_f64_e64 s[4:5], v[18:19], s7
	v_mov_b32_e32 v8, 0x7ff00000
	s_or_b64 s[4:5], s[22:23], s[4:5]
	v_cndmask_b32_e64 v7, v7, v8, s[4:5]
	v_cndmask_b32_e64 v6, v6, 0, s[4:5]
                                        ; implicit-def: $vgpr8_vgpr9
                                        ; implicit-def: $vgpr22_vgpr23
	s_and_saveexec_b64 s[4:5], vcc
	s_xor_b64 s[4:5], exec, s[4:5]
	s_cbranch_execz .LBB218_176
; %bb.175:
	v_add_f64 v[6:7], v[18:19], v[6:7]
	s_mov_b32 s22, 0
	v_mul_f64 v[6:7], v[6:7], 0.5
	s_brev_b32 s23, 8
	v_mov_b32_e32 v8, 0x100
	v_cmp_gt_f64_e32 vcc, s[22:23], v[6:7]
	s_nop 1
	v_cndmask_b32_e32 v8, 0, v8, vcc
	v_ldexp_f64 v[6:7], v[6:7], v8
	v_rsq_f64_e32 v[8:9], v[6:7]
	s_nop 0
	v_mul_f64 v[18:19], v[6:7], v[8:9]
	v_mul_f64 v[8:9], v[8:9], 0.5
	v_fma_f64 v[22:23], -v[8:9], v[18:19], 0.5
	v_fmac_f64_e32 v[18:19], v[18:19], v[22:23]
	v_fma_f64 v[24:25], -v[18:19], v[18:19], v[6:7]
	v_fmac_f64_e32 v[8:9], v[8:9], v[22:23]
	v_fmac_f64_e32 v[18:19], v[24:25], v[8:9]
	v_fma_f64 v[22:23], -v[18:19], v[18:19], v[6:7]
	v_fmac_f64_e32 v[18:19], v[22:23], v[8:9]
	v_mov_b32_e32 v8, 0xffffff80
	v_cndmask_b32_e32 v8, 0, v8, vcc
	v_ldexp_f64 v[8:9], v[18:19], v8
	v_mov_b32_e32 v18, 0x260
	v_cmp_class_f64_e32 vcc, v[6:7], v18
	s_nop 1
	v_cndmask_b32_e32 v23, v9, v7, vcc
	v_cndmask_b32_e32 v22, v8, v6, vcc
	v_add_f64 v[6:7], v[22:23], v[22:23]
	v_div_scale_f64 v[8:9], s[22:23], v[6:7], v[6:7], v[20:21]
	v_rcp_f64_e32 v[18:19], v[8:9]
	s_nop 0
	v_fma_f64 v[24:25], -v[8:9], v[18:19], 1.0
	v_fmac_f64_e32 v[18:19], v[18:19], v[24:25]
	v_fma_f64 v[24:25], -v[8:9], v[18:19], 1.0
	v_fmac_f64_e32 v[18:19], v[18:19], v[24:25]
	v_div_scale_f64 v[24:25], vcc, v[20:21], v[6:7], v[20:21]
	v_mul_f64 v[28:29], v[24:25], v[18:19]
	v_fma_f64 v[8:9], -v[8:9], v[28:29], v[24:25]
	s_nop 1
	v_div_fmas_f64 v[8:9], v[8:9], v[18:19], v[28:29]
	v_div_fixup_f64 v[8:9], v[8:9], v[6:7], v[20:21]
                                        ; implicit-def: $vgpr6_vgpr7
                                        ; implicit-def: $vgpr18_vgpr19
	s_andn2_saveexec_b64 s[4:5], s[4:5]
	s_cbranch_execz .LBB218_178
	s_branch .LBB218_177
.LBB218_176:
	s_andn2_saveexec_b64 s[4:5], s[4:5]
	s_cbranch_execz .LBB218_178
.LBB218_177:
	v_add_f64 v[6:7], v[6:7], -v[18:19]
	s_mov_b32 s22, 0
	v_mul_f64 v[6:7], v[6:7], 0.5
	s_brev_b32 s23, 8
	v_mov_b32_e32 v8, 0x100
	v_cmp_gt_f64_e32 vcc, s[22:23], v[6:7]
	s_brev_b32 s7, -2
	s_nop 0
	v_cndmask_b32_e32 v8, 0, v8, vcc
	v_ldexp_f64 v[6:7], v[6:7], v8
	v_rsq_f64_e32 v[8:9], v[6:7]
	s_nop 0
	v_mul_f64 v[18:19], v[6:7], v[8:9]
	v_mul_f64 v[8:9], v[8:9], 0.5
	v_fma_f64 v[22:23], -v[8:9], v[18:19], 0.5
	v_fmac_f64_e32 v[18:19], v[18:19], v[22:23]
	v_fma_f64 v[24:25], -v[18:19], v[18:19], v[6:7]
	v_fmac_f64_e32 v[8:9], v[8:9], v[22:23]
	v_fmac_f64_e32 v[18:19], v[24:25], v[8:9]
	v_fma_f64 v[22:23], -v[18:19], v[18:19], v[6:7]
	v_fmac_f64_e32 v[18:19], v[22:23], v[8:9]
	v_mov_b32_e32 v8, 0xffffff80
	v_cndmask_b32_e32 v8, 0, v8, vcc
	v_ldexp_f64 v[8:9], v[18:19], v8
	v_mov_b32_e32 v18, 0x260
	v_cmp_class_f64_e32 vcc, v[6:7], v18
	v_and_b32_e32 v19, 0x7fffffff, v21
	v_mov_b32_e32 v18, v20
	v_cndmask_b32_e32 v9, v9, v7, vcc
	v_cndmask_b32_e32 v8, v8, v6, vcc
	v_add_f64 v[6:7], v[8:9], v[8:9]
	v_div_scale_f64 v[22:23], s[22:23], v[6:7], v[6:7], v[18:19]
	v_rcp_f64_e32 v[24:25], v[22:23]
	v_div_scale_f64 v[18:19], vcc, v[18:19], v[6:7], v[18:19]
	v_bfi_b32 v9, s7, v9, v21
	v_fma_f64 v[28:29], -v[22:23], v[24:25], 1.0
	v_fmac_f64_e32 v[24:25], v[24:25], v[28:29]
	v_fma_f64 v[28:29], -v[22:23], v[24:25], 1.0
	v_fmac_f64_e32 v[24:25], v[24:25], v[28:29]
	v_mul_f64 v[28:29], v[18:19], v[24:25]
	v_fma_f64 v[18:19], -v[22:23], v[28:29], v[18:19]
	v_div_fmas_f64 v[18:19], v[18:19], v[24:25], v[28:29]
	v_div_fixup_f64 v[22:23], v[18:19], v[6:7], |v[20:21]|
.LBB218_178:
	s_or_b64 exec, exec, s[4:5]
                                        ; implicit-def: $vgpr6_vgpr7
                                        ; implicit-def: $vgpr20_vgpr21
	s_and_saveexec_b64 s[4:5], s[2:3]
	s_xor_b64 s[2:3], exec, s[4:5]
	s_cbranch_execz .LBB218_180
; %bb.179:
	v_mul_f64 v[6:7], v[22:23], 0.5
	v_mul_f64 v[18:19], v[8:9], 0.5
	v_cndmask_b32_e64 v7, v23, v7, s[20:21]
	v_cndmask_b32_e64 v6, v22, v6, s[20:21]
	;; [unrolled: 1-line block ×4, first 2 shown]
                                        ; implicit-def: $vgpr22_vgpr23
                                        ; implicit-def: $vgpr8_vgpr9
	s_andn2_saveexec_b64 s[2:3], s[2:3]
	s_cbranch_execnz .LBB218_181
	s_branch .LBB218_182
.LBB218_180:
	s_andn2_saveexec_b64 s[2:3], s[2:3]
.LBB218_181:
	v_add_f64 v[6:7], v[22:23], v[22:23]
	v_add_f64 v[20:21], v[8:9], v[8:9]
.LBB218_182:
	s_or_b64 exec, exec, s[2:3]
.LBB218_183:
	s_andn2_saveexec_b64 s[2:3], s[18:19]
	s_cbranch_execz .LBB218_189
; %bb.184:
	v_add_f64 v[8:9], v[20:21], -v[20:21]
	v_cmp_lt_i64_e32 vcc, -1, v[18:19]
	s_brev_b32 s7, -2
	v_and_b32_e32 v7, 0x7fffffff, v9
	v_mov_b32_e32 v6, v8
	s_and_saveexec_b64 s[4:5], vcc
	s_xor_b64 s[4:5], exec, s[4:5]
; %bb.185:
	v_bfi_b32 v9, s7, v9, v21
	v_mov_b64_e32 v[6:7], v[18:19]
	v_mov_b64_e32 v[20:21], v[8:9]
; %bb.186:
	s_andn2_saveexec_b64 s[4:5], s[4:5]
; %bb.187:
	v_bfi_b32 v19, s7, v19, v21
	v_mov_b64_e32 v[20:21], v[18:19]
; %bb.188:
	s_or_b64 exec, exec, s[4:5]
.LBB218_189:
	s_or_b64 exec, exec, s[2:3]
.LBB218_190:
	s_andn2_saveexec_b64 s[2:3], s[16:17]
	s_cbranch_execz .LBB218_192
; %bb.191:
	v_add_f64 v[6:7], v[20:21], -v[20:21]
	v_div_scale_f64 v[8:9], vcc, v[6:7], v[6:7], v[6:7]
	v_rcp_f64_e32 v[20:21], v[8:9]
	s_nop 0
	v_fma_f64 v[22:23], -v[8:9], v[20:21], 1.0
	v_fmac_f64_e32 v[20:21], v[20:21], v[22:23]
	v_fma_f64 v[22:23], -v[8:9], v[20:21], 1.0
	v_fmac_f64_e32 v[20:21], v[20:21], v[22:23]
	v_mul_f64 v[22:23], v[8:9], v[20:21]
	v_fma_f64 v[8:9], -v[8:9], v[22:23], v[8:9]
	v_div_fmas_f64 v[8:9], v[8:9], v[20:21], v[22:23]
	v_div_fixup_f64 v[20:21], v[8:9], v[6:7], v[6:7]
	v_mov_b64_e32 v[6:7], v[18:19]
.LBB218_192:
	s_or_b64 exec, exec, s[2:3]
.LBB218_193:
	s_or_b64 exec, exec, s[14:15]
.LBB218_194:
	s_or_b64 exec, exec, s[12:13]
	v_mov_b64_e32 v[8:9], v[20:21]
.LBB218_195:
	s_or_b64 exec, exec, s[10:11]
	s_waitcnt vmcnt(0)
	v_or_b32_e32 v18, 0x200, v0
	v_cmp_gt_i32_e32 vcc, s24, v18
	v_mov_b64_e32 v[18:19], 0
	v_mov_b64_e32 v[22:23], 0
	;; [unrolled: 1-line block ×3, first 2 shown]
	s_and_saveexec_b64 s[10:11], vcc
	s_cbranch_execz .LBB218_227
; %bb.196:
	v_cmp_neq_f64_e32 vcc, 0, v[14:15]
	v_cmp_neq_f64_e64 s[2:3], 0, v[16:17]
	v_mov_b64_e32 v[20:21], 0
	s_or_b64 s[2:3], vcc, s[2:3]
	s_and_saveexec_b64 s[12:13], s[2:3]
	s_cbranch_execz .LBB218_226
; %bb.197:
	v_mov_b32_e32 v20, 0
	v_mov_b32_e32 v21, 0x7ff00000
	v_cmp_neq_f64_e64 s[2:3], |v[16:17]|, v[20:21]
	s_and_saveexec_b64 s[14:15], s[2:3]
	s_cbranch_execz .LBB218_225
; %bb.198:
	v_cmp_o_f64_e32 vcc, v[14:15], v[14:15]
                                        ; implicit-def: $vgpr20_vgpr21
	s_and_saveexec_b64 s[2:3], vcc
	s_xor_b64 s[16:17], exec, s[2:3]
	s_cbranch_execz .LBB218_222
; %bb.199:
	s_mov_b32 s2, 0
	s_mov_b32 s3, 0x7ff00000
	v_cmp_neq_f64_e64 s[2:3], |v[14:15]|, s[2:3]
                                        ; implicit-def: $vgpr20_vgpr21
	s_and_saveexec_b64 s[4:5], s[2:3]
	s_xor_b64 s[18:19], exec, s[4:5]
	s_cbranch_execz .LBB218_215
; %bb.200:
	v_max_f64 v[20:21], |v[16:17]|, |v[16:17]|
	v_max_f64 v[22:23], |v[14:15]|, |v[14:15]|
	s_mov_b32 s2, 0x99fcef32
	v_max_f64 v[20:21], v[22:23], v[20:21]
	s_mov_b32 s3, 0x7fda8279
	v_cmp_nle_f64_e64 s[2:3], s[2:3], v[20:21]
                                        ; implicit-def: $sgpr20_sgpr21
	s_and_saveexec_b64 s[4:5], s[2:3]
	s_xor_b64 s[4:5], exec, s[4:5]
	s_cbranch_execz .LBB218_204
; %bb.201:
	s_mov_b32 s20, 0
	s_mov_b32 s21, 0x200000
	v_cmp_le_f64_e64 s[22:23], |v[14:15]|, s[20:21]
	v_cmp_le_f64_e64 s[20:21], |v[16:17]|, s[20:21]
	s_and_b64 s[26:27], s[22:23], s[20:21]
	s_mov_b64 s[20:21], 0
	s_and_saveexec_b64 s[22:23], s[26:27]
; %bb.202:
	s_mov_b64 s[20:21], exec
	v_mul_f64 v[16:17], v[16:17], 4.0
	v_mul_f64 v[14:15], v[14:15], 4.0
; %bb.203:
	s_or_b64 exec, exec, s[22:23]
.LBB218_204:
	s_andn2_saveexec_b64 s[4:5], s[4:5]
; %bb.205:
	v_ldexp_f64 v[14:15], v[14:15], -2
	v_ldexp_f64 v[16:17], v[16:17], -2
	s_andn2_b64 s[20:21], s[20:21], exec
; %bb.206:
	s_or_b64 exec, exec, s[4:5]
	v_max_f64 v[20:21], |v[16:17]|, |v[16:17]|
	v_max_f64 v[22:23], |v[14:15]|, |v[14:15]|
	v_max_f64 v[20:21], v[22:23], v[20:21]
	v_frexp_exp_i32_f64_e32 v27, v[20:21]
	v_sub_u32_e32 v22, 0, v27
	v_ldexp_f64 v[20:21], |v[14:15]|, v22
	v_ldexp_f64 v[22:23], |v[16:17]|, v22
	v_mul_f64 v[22:23], v[22:23], v[22:23]
	v_fmac_f64_e32 v[22:23], v[20:21], v[20:21]
	v_rsq_f64_e32 v[20:21], v[22:23]
	v_cmp_eq_f64_e64 s[4:5], 0, v[22:23]
	s_movk_i32 s7, 0x204
	v_cmp_class_f64_e64 s[22:23], v[16:17], s7
	v_mul_f64 v[24:25], v[22:23], v[20:21]
	v_mul_f64 v[20:21], v[20:21], 0.5
	v_fma_f64 v[28:29], -v[20:21], v[24:25], 0.5
	v_fmac_f64_e32 v[24:25], v[24:25], v[28:29]
	v_fmac_f64_e32 v[20:21], v[20:21], v[28:29]
	v_fma_f64 v[28:29], -v[24:25], v[24:25], v[22:23]
	v_fmac_f64_e32 v[24:25], v[28:29], v[20:21]
	v_cndmask_b32_e64 v21, v25, v23, s[4:5]
	v_cndmask_b32_e64 v20, v24, v22, s[4:5]
	v_ldexp_f64 v[20:21], v[20:21], v27
	v_cmp_o_f64_e64 s[4:5], v[16:17], v[16:17]
	v_mov_b32_e32 v22, 0x7ff80000
	v_cmp_le_f64_e32 vcc, 0, v[14:15]
	v_cndmask_b32_e64 v20, 0, v20, s[4:5]
	v_cndmask_b32_e64 v21, v22, v21, s[4:5]
	v_cmp_class_f64_e64 s[4:5], v[14:15], s7
	v_mov_b32_e32 v22, 0x7ff00000
	s_or_b64 s[4:5], s[22:23], s[4:5]
	v_cndmask_b32_e64 v21, v21, v22, s[4:5]
	v_cndmask_b32_e64 v20, v20, 0, s[4:5]
                                        ; implicit-def: $vgpr22_vgpr23
                                        ; implicit-def: $vgpr24_vgpr25
	s_and_saveexec_b64 s[4:5], vcc
	s_xor_b64 s[4:5], exec, s[4:5]
	s_cbranch_execz .LBB218_208
; %bb.207:
	v_add_f64 v[14:15], v[14:15], v[20:21]
	s_mov_b32 s22, 0
	v_mul_f64 v[14:15], v[14:15], 0.5
	s_brev_b32 s23, 8
	v_mov_b32_e32 v20, 0x100
	v_cmp_gt_f64_e32 vcc, s[22:23], v[14:15]
	s_nop 1
	v_cndmask_b32_e32 v20, 0, v20, vcc
	v_ldexp_f64 v[14:15], v[14:15], v20
	v_rsq_f64_e32 v[20:21], v[14:15]
	s_nop 0
	v_mul_f64 v[22:23], v[14:15], v[20:21]
	v_mul_f64 v[20:21], v[20:21], 0.5
	v_fma_f64 v[24:25], -v[20:21], v[22:23], 0.5
	v_fmac_f64_e32 v[22:23], v[22:23], v[24:25]
	v_fma_f64 v[28:29], -v[22:23], v[22:23], v[14:15]
	v_fmac_f64_e32 v[20:21], v[20:21], v[24:25]
	v_fmac_f64_e32 v[22:23], v[28:29], v[20:21]
	v_fma_f64 v[24:25], -v[22:23], v[22:23], v[14:15]
	v_fmac_f64_e32 v[22:23], v[24:25], v[20:21]
	v_mov_b32_e32 v20, 0xffffff80
	v_cndmask_b32_e32 v20, 0, v20, vcc
	v_ldexp_f64 v[20:21], v[22:23], v20
	v_mov_b32_e32 v22, 0x260
	v_cmp_class_f64_e32 vcc, v[14:15], v22
	s_nop 1
	v_cndmask_b32_e32 v25, v21, v15, vcc
	v_cndmask_b32_e32 v24, v20, v14, vcc
	v_add_f64 v[14:15], v[24:25], v[24:25]
	v_div_scale_f64 v[20:21], s[22:23], v[14:15], v[14:15], v[16:17]
	v_rcp_f64_e32 v[22:23], v[20:21]
	s_nop 0
	v_fma_f64 v[28:29], -v[20:21], v[22:23], 1.0
	v_fmac_f64_e32 v[22:23], v[22:23], v[28:29]
	v_fma_f64 v[28:29], -v[20:21], v[22:23], 1.0
	v_fmac_f64_e32 v[22:23], v[22:23], v[28:29]
	v_div_scale_f64 v[28:29], vcc, v[16:17], v[14:15], v[16:17]
	v_mul_f64 v[30:31], v[28:29], v[22:23]
	v_fma_f64 v[20:21], -v[20:21], v[30:31], v[28:29]
	s_nop 1
	v_div_fmas_f64 v[20:21], v[20:21], v[22:23], v[30:31]
	v_div_fixup_f64 v[22:23], v[20:21], v[14:15], v[16:17]
                                        ; implicit-def: $vgpr20_vgpr21
                                        ; implicit-def: $vgpr14_vgpr15
	s_andn2_saveexec_b64 s[4:5], s[4:5]
	s_cbranch_execz .LBB218_210
	s_branch .LBB218_209
.LBB218_208:
	s_andn2_saveexec_b64 s[4:5], s[4:5]
	s_cbranch_execz .LBB218_210
.LBB218_209:
	v_add_f64 v[14:15], v[20:21], -v[14:15]
	s_mov_b32 s22, 0
	v_mul_f64 v[14:15], v[14:15], 0.5
	s_brev_b32 s23, 8
	v_mov_b32_e32 v20, 0x100
	v_cmp_gt_f64_e32 vcc, s[22:23], v[14:15]
	s_brev_b32 s7, -2
	s_nop 0
	v_cndmask_b32_e32 v20, 0, v20, vcc
	v_ldexp_f64 v[14:15], v[14:15], v20
	v_rsq_f64_e32 v[20:21], v[14:15]
	s_nop 0
	v_mul_f64 v[22:23], v[14:15], v[20:21]
	v_mul_f64 v[20:21], v[20:21], 0.5
	v_fma_f64 v[24:25], -v[20:21], v[22:23], 0.5
	v_fmac_f64_e32 v[22:23], v[22:23], v[24:25]
	v_fma_f64 v[28:29], -v[22:23], v[22:23], v[14:15]
	v_fmac_f64_e32 v[20:21], v[20:21], v[24:25]
	v_fmac_f64_e32 v[22:23], v[28:29], v[20:21]
	v_fma_f64 v[24:25], -v[22:23], v[22:23], v[14:15]
	v_fmac_f64_e32 v[22:23], v[24:25], v[20:21]
	v_mov_b32_e32 v20, 0xffffff80
	v_cndmask_b32_e32 v20, 0, v20, vcc
	v_ldexp_f64 v[20:21], v[22:23], v20
	v_mov_b32_e32 v22, 0x260
	v_cmp_class_f64_e32 vcc, v[14:15], v22
	s_nop 1
	v_cndmask_b32_e32 v23, v21, v15, vcc
	v_cndmask_b32_e32 v22, v20, v14, vcc
	v_add_f64 v[14:15], v[22:23], v[22:23]
	v_and_b32_e32 v21, 0x7fffffff, v17
	v_mov_b32_e32 v20, v16
	v_div_scale_f64 v[24:25], s[22:23], v[14:15], v[14:15], v[20:21]
	v_rcp_f64_e32 v[28:29], v[24:25]
	v_div_scale_f64 v[20:21], vcc, v[20:21], v[14:15], v[20:21]
	v_bfi_b32 v23, s7, v23, v17
	v_fma_f64 v[30:31], -v[24:25], v[28:29], 1.0
	v_fmac_f64_e32 v[28:29], v[28:29], v[30:31]
	v_fma_f64 v[30:31], -v[24:25], v[28:29], 1.0
	v_fmac_f64_e32 v[28:29], v[28:29], v[30:31]
	v_mul_f64 v[30:31], v[20:21], v[28:29]
	v_fma_f64 v[20:21], -v[24:25], v[30:31], v[20:21]
	v_div_fmas_f64 v[20:21], v[20:21], v[28:29], v[30:31]
	v_div_fixup_f64 v[24:25], v[20:21], v[14:15], |v[16:17]|
.LBB218_210:
	s_or_b64 exec, exec, s[4:5]
                                        ; implicit-def: $vgpr20_vgpr21
                                        ; implicit-def: $vgpr16_vgpr17
	s_and_saveexec_b64 s[4:5], s[2:3]
	s_xor_b64 s[2:3], exec, s[4:5]
	s_cbranch_execz .LBB218_212
; %bb.211:
	v_mul_f64 v[14:15], v[24:25], 0.5
	v_mul_f64 v[16:17], v[22:23], 0.5
	v_cndmask_b32_e64 v21, v25, v15, s[20:21]
	v_cndmask_b32_e64 v20, v24, v14, s[20:21]
	;; [unrolled: 1-line block ×4, first 2 shown]
                                        ; implicit-def: $vgpr24_vgpr25
                                        ; implicit-def: $vgpr22_vgpr23
	s_andn2_saveexec_b64 s[2:3], s[2:3]
	s_cbranch_execnz .LBB218_213
	s_branch .LBB218_214
.LBB218_212:
	s_andn2_saveexec_b64 s[2:3], s[2:3]
.LBB218_213:
	v_add_f64 v[20:21], v[24:25], v[24:25]
	v_add_f64 v[16:17], v[22:23], v[22:23]
.LBB218_214:
	s_or_b64 exec, exec, s[2:3]
.LBB218_215:
	s_andn2_saveexec_b64 s[2:3], s[18:19]
	s_cbranch_execz .LBB218_221
; %bb.216:
	v_add_f64 v[22:23], v[16:17], -v[16:17]
	v_cmp_lt_i64_e32 vcc, -1, v[14:15]
	s_brev_b32 s7, -2
	v_and_b32_e32 v21, 0x7fffffff, v23
	v_mov_b32_e32 v20, v22
	s_and_saveexec_b64 s[4:5], vcc
	s_xor_b64 s[4:5], exec, s[4:5]
; %bb.217:
	v_bfi_b32 v23, s7, v23, v17
	v_mov_b64_e32 v[20:21], v[14:15]
	v_mov_b64_e32 v[16:17], v[22:23]
; %bb.218:
	s_andn2_saveexec_b64 s[4:5], s[4:5]
; %bb.219:
	v_bfi_b32 v15, s7, v15, v17
	v_mov_b64_e32 v[16:17], v[14:15]
; %bb.220:
	s_or_b64 exec, exec, s[4:5]
.LBB218_221:
	s_or_b64 exec, exec, s[2:3]
.LBB218_222:
	s_andn2_saveexec_b64 s[2:3], s[16:17]
	s_cbranch_execz .LBB218_224
; %bb.223:
	v_add_f64 v[16:17], v[16:17], -v[16:17]
	v_div_scale_f64 v[20:21], vcc, v[16:17], v[16:17], v[16:17]
	v_rcp_f64_e32 v[22:23], v[20:21]
	s_nop 0
	v_fma_f64 v[24:25], -v[20:21], v[22:23], 1.0
	v_fmac_f64_e32 v[22:23], v[22:23], v[24:25]
	v_fma_f64 v[24:25], -v[20:21], v[22:23], 1.0
	v_fmac_f64_e32 v[22:23], v[22:23], v[24:25]
	v_mul_f64 v[24:25], v[20:21], v[22:23]
	v_fma_f64 v[20:21], -v[20:21], v[24:25], v[20:21]
	v_div_fmas_f64 v[20:21], v[20:21], v[22:23], v[24:25]
	v_div_fixup_f64 v[16:17], v[20:21], v[16:17], v[16:17]
	v_mov_b64_e32 v[20:21], v[14:15]
.LBB218_224:
	s_or_b64 exec, exec, s[2:3]
.LBB218_225:
	s_or_b64 exec, exec, s[14:15]
.LBB218_226:
	s_or_b64 exec, exec, s[12:13]
	v_mov_b64_e32 v[22:23], v[16:17]
.LBB218_227:
	s_or_b64 exec, exec, s[10:11]
	v_or_b32_e32 v14, 0x300, v0
	v_cmp_gt_i32_e32 vcc, s24, v14
	v_mov_b64_e32 v[16:17], 0
	s_and_saveexec_b64 s[10:11], vcc
	s_cbranch_execz .LBB218_240
; %bb.228:
	v_cmp_neq_f64_e32 vcc, 0, v[2:3]
	v_cmp_neq_f64_e64 s[2:3], 0, v[4:5]
	v_mov_b64_e32 v[16:17], 0
	s_or_b64 s[2:3], vcc, s[2:3]
	s_and_saveexec_b64 s[12:13], s[2:3]
	s_cbranch_execz .LBB218_262
; %bb.229:
	v_mov_b32_e32 v16, 0
	v_mov_b32_e32 v17, 0x7ff00000
	v_cmp_neq_f64_e64 s[2:3], |v[4:5]|, v[16:17]
	s_and_saveexec_b64 s[14:15], s[2:3]
	s_cbranch_execz .LBB218_261
; %bb.230:
	v_cmp_o_f64_e32 vcc, v[2:3], v[2:3]
                                        ; implicit-def: $vgpr16_vgpr17
	s_and_saveexec_b64 s[2:3], vcc
	s_xor_b64 s[16:17], exec, s[2:3]
	s_cbranch_execz .LBB218_258
; %bb.231:
	s_mov_b32 s2, 0
	s_mov_b32 s3, 0x7ff00000
	v_cmp_neq_f64_e64 s[2:3], |v[2:3]|, s[2:3]
                                        ; implicit-def: $vgpr16_vgpr17
	s_and_saveexec_b64 s[4:5], s[2:3]
	s_xor_b64 s[18:19], exec, s[4:5]
	s_cbranch_execz .LBB218_251
; %bb.232:
	v_max_f64 v[14:15], |v[4:5]|, |v[4:5]|
	v_max_f64 v[16:17], |v[2:3]|, |v[2:3]|
	s_mov_b32 s2, 0x99fcef32
	v_max_f64 v[14:15], v[16:17], v[14:15]
	s_mov_b32 s3, 0x7fda8279
	v_cmp_nle_f64_e64 s[2:3], s[2:3], v[14:15]
                                        ; implicit-def: $sgpr20_sgpr21
	s_and_saveexec_b64 s[4:5], s[2:3]
	s_xor_b64 s[4:5], exec, s[4:5]
	s_cbranch_execz .LBB218_236
; %bb.233:
	s_mov_b32 s20, 0
	s_mov_b32 s21, 0x200000
	v_cmp_le_f64_e64 s[22:23], |v[2:3]|, s[20:21]
	v_cmp_le_f64_e64 s[20:21], |v[4:5]|, s[20:21]
	s_and_b64 s[26:27], s[22:23], s[20:21]
	s_mov_b64 s[20:21], 0
	s_and_saveexec_b64 s[22:23], s[26:27]
; %bb.234:
	s_mov_b64 s[20:21], exec
	v_mul_f64 v[4:5], v[4:5], 4.0
	v_mul_f64 v[2:3], v[2:3], 4.0
; %bb.235:
	s_or_b64 exec, exec, s[22:23]
.LBB218_236:
	s_andn2_saveexec_b64 s[4:5], s[4:5]
; %bb.237:
	v_ldexp_f64 v[2:3], v[2:3], -2
	v_ldexp_f64 v[4:5], v[4:5], -2
	s_andn2_b64 s[20:21], s[20:21], exec
; %bb.238:
	s_or_b64 exec, exec, s[4:5]
	v_max_f64 v[14:15], |v[4:5]|, |v[4:5]|
	v_max_f64 v[16:17], |v[2:3]|, |v[2:3]|
	v_max_f64 v[14:15], v[16:17], v[14:15]
	v_frexp_exp_i32_f64_e32 v27, v[14:15]
	v_sub_u32_e32 v16, 0, v27
	v_ldexp_f64 v[14:15], |v[2:3]|, v16
	v_ldexp_f64 v[16:17], |v[4:5]|, v16
	v_mul_f64 v[16:17], v[16:17], v[16:17]
	v_fmac_f64_e32 v[16:17], v[14:15], v[14:15]
	v_rsq_f64_e32 v[14:15], v[16:17]
	v_cmp_eq_f64_e64 s[4:5], 0, v[16:17]
	s_movk_i32 s7, 0x204
	v_cmp_class_f64_e64 s[22:23], v[4:5], s7
	v_mul_f64 v[18:19], v[16:17], v[14:15]
	v_mul_f64 v[14:15], v[14:15], 0.5
	v_fma_f64 v[24:25], -v[14:15], v[18:19], 0.5
	v_fmac_f64_e32 v[18:19], v[18:19], v[24:25]
	v_fmac_f64_e32 v[14:15], v[14:15], v[24:25]
	v_fma_f64 v[24:25], -v[18:19], v[18:19], v[16:17]
	v_fmac_f64_e32 v[18:19], v[24:25], v[14:15]
	v_cndmask_b32_e64 v15, v19, v17, s[4:5]
	v_cndmask_b32_e64 v14, v18, v16, s[4:5]
	v_ldexp_f64 v[14:15], v[14:15], v27
	v_cmp_o_f64_e64 s[4:5], v[4:5], v[4:5]
	v_mov_b32_e32 v16, 0x7ff80000
	v_cmp_le_f64_e32 vcc, 0, v[2:3]
	v_cndmask_b32_e64 v14, 0, v14, s[4:5]
	v_cndmask_b32_e64 v15, v16, v15, s[4:5]
	v_cmp_class_f64_e64 s[4:5], v[2:3], s7
	v_mov_b32_e32 v16, 0x7ff00000
	s_or_b64 s[4:5], s[22:23], s[4:5]
	v_cndmask_b32_e64 v17, v15, v16, s[4:5]
	v_cndmask_b32_e64 v16, v14, 0, s[4:5]
                                        ; implicit-def: $vgpr14_vgpr15
                                        ; implicit-def: $vgpr18_vgpr19
	s_and_saveexec_b64 s[4:5], vcc
	s_xor_b64 s[4:5], exec, s[4:5]
	s_cbranch_execz .LBB218_244
; %bb.239:
	v_add_f64 v[2:3], v[2:3], v[16:17]
	s_mov_b32 s22, 0
	v_mul_f64 v[2:3], v[2:3], 0.5
	s_brev_b32 s23, 8
	v_mov_b32_e32 v14, 0x100
	v_cmp_gt_f64_e32 vcc, s[22:23], v[2:3]
	s_nop 1
	v_cndmask_b32_e32 v14, 0, v14, vcc
	v_ldexp_f64 v[2:3], v[2:3], v14
	v_rsq_f64_e32 v[14:15], v[2:3]
	s_nop 0
	v_mul_f64 v[16:17], v[2:3], v[14:15]
	v_mul_f64 v[14:15], v[14:15], 0.5
	v_fma_f64 v[18:19], -v[14:15], v[16:17], 0.5
	v_fmac_f64_e32 v[16:17], v[16:17], v[18:19]
	v_fma_f64 v[24:25], -v[16:17], v[16:17], v[2:3]
	v_fmac_f64_e32 v[14:15], v[14:15], v[18:19]
	v_fmac_f64_e32 v[16:17], v[24:25], v[14:15]
	v_fma_f64 v[18:19], -v[16:17], v[16:17], v[2:3]
	v_fmac_f64_e32 v[16:17], v[18:19], v[14:15]
	v_mov_b32_e32 v14, 0xffffff80
	v_cndmask_b32_e32 v14, 0, v14, vcc
	v_ldexp_f64 v[14:15], v[16:17], v14
	v_mov_b32_e32 v16, 0x260
	v_cmp_class_f64_e32 vcc, v[2:3], v16
	s_nop 1
	v_cndmask_b32_e32 v19, v15, v3, vcc
	v_cndmask_b32_e32 v18, v14, v2, vcc
	v_add_f64 v[2:3], v[18:19], v[18:19]
	v_div_scale_f64 v[14:15], s[22:23], v[2:3], v[2:3], v[4:5]
	v_rcp_f64_e32 v[16:17], v[14:15]
	s_nop 0
	v_fma_f64 v[24:25], -v[14:15], v[16:17], 1.0
	v_fmac_f64_e32 v[16:17], v[16:17], v[24:25]
	v_fma_f64 v[24:25], -v[14:15], v[16:17], 1.0
	v_fmac_f64_e32 v[16:17], v[16:17], v[24:25]
	v_div_scale_f64 v[24:25], vcc, v[4:5], v[2:3], v[4:5]
	v_mul_f64 v[28:29], v[24:25], v[16:17]
	v_fma_f64 v[14:15], -v[14:15], v[28:29], v[24:25]
	s_nop 1
	v_div_fmas_f64 v[14:15], v[14:15], v[16:17], v[28:29]
	v_div_fixup_f64 v[14:15], v[14:15], v[2:3], v[4:5]
                                        ; implicit-def: $vgpr16_vgpr17
                                        ; implicit-def: $vgpr2_vgpr3
	s_andn2_saveexec_b64 s[4:5], s[4:5]
	s_cbranch_execz .LBB218_246
	s_branch .LBB218_245
.LBB218_240:
	s_or_b64 exec, exec, s[10:11]
	s_and_saveexec_b64 s[2:3], s[0:1]
	s_xor_b64 s[0:1], exec, s[2:3]
	s_cbranch_execz .LBB218_263
.LBB218_241:
	v_mov_b32_e32 v27, 0
	v_lshl_add_u64 v[2:3], v[26:27], 4, s[8:9]
	v_mov_b32_e32 v0, v1
	global_store_dwordx4 v[2:3], v[10:13], off
	s_or_b64 exec, exec, s[0:1]
	v_cmp_gt_i32_e32 vcc, s24, v0
	s_and_saveexec_b64 s[0:1], vcc
	s_cbranch_execnz .LBB218_264
.LBB218_242:
	s_or_b64 exec, exec, s[0:1]
	v_cmp_gt_i32_e32 vcc, s24, v0
	s_and_saveexec_b64 s[0:1], vcc
	s_cbranch_execz .LBB218_265
.LBB218_243:
	v_add_u32_e32 v2, s6, v0
	v_mov_b32_e32 v3, 0
	v_lshl_add_u64 v[2:3], v[2:3], 4, s[8:9]
	v_add_u32_e32 v0, 0x100, v0
	global_store_dwordx4 v[2:3], v[20:23], off
	s_or_b64 exec, exec, s[0:1]
	v_cmp_gt_i32_e32 vcc, s24, v0
	s_and_saveexec_b64 s[0:1], vcc
	s_cbranch_execnz .LBB218_266
	s_branch .LBB218_267
.LBB218_244:
	s_andn2_saveexec_b64 s[4:5], s[4:5]
	s_cbranch_execz .LBB218_246
.LBB218_245:
	v_add_f64 v[2:3], v[16:17], -v[2:3]
	s_mov_b32 s22, 0
	v_mul_f64 v[2:3], v[2:3], 0.5
	s_brev_b32 s23, 8
	v_mov_b32_e32 v14, 0x100
	v_cmp_gt_f64_e32 vcc, s[22:23], v[2:3]
	s_brev_b32 s7, -2
	s_nop 0
	v_cndmask_b32_e32 v14, 0, v14, vcc
	v_ldexp_f64 v[2:3], v[2:3], v14
	v_rsq_f64_e32 v[14:15], v[2:3]
	s_nop 0
	v_mul_f64 v[16:17], v[2:3], v[14:15]
	v_mul_f64 v[14:15], v[14:15], 0.5
	v_fma_f64 v[18:19], -v[14:15], v[16:17], 0.5
	v_fmac_f64_e32 v[16:17], v[16:17], v[18:19]
	v_fma_f64 v[24:25], -v[16:17], v[16:17], v[2:3]
	v_fmac_f64_e32 v[14:15], v[14:15], v[18:19]
	v_fmac_f64_e32 v[16:17], v[24:25], v[14:15]
	v_fma_f64 v[18:19], -v[16:17], v[16:17], v[2:3]
	v_fmac_f64_e32 v[16:17], v[18:19], v[14:15]
	v_mov_b32_e32 v14, 0xffffff80
	v_cndmask_b32_e32 v14, 0, v14, vcc
	v_ldexp_f64 v[14:15], v[16:17], v14
	v_mov_b32_e32 v16, 0x260
	v_cmp_class_f64_e32 vcc, v[2:3], v16
	v_and_b32_e32 v17, 0x7fffffff, v5
	v_mov_b32_e32 v16, v4
	v_cndmask_b32_e32 v15, v15, v3, vcc
	v_cndmask_b32_e32 v14, v14, v2, vcc
	v_add_f64 v[2:3], v[14:15], v[14:15]
	v_div_scale_f64 v[18:19], s[22:23], v[2:3], v[2:3], v[16:17]
	v_rcp_f64_e32 v[24:25], v[18:19]
	v_div_scale_f64 v[16:17], vcc, v[16:17], v[2:3], v[16:17]
	v_bfi_b32 v15, s7, v15, v5
	v_fma_f64 v[28:29], -v[18:19], v[24:25], 1.0
	v_fmac_f64_e32 v[24:25], v[24:25], v[28:29]
	v_fma_f64 v[28:29], -v[18:19], v[24:25], 1.0
	v_fmac_f64_e32 v[24:25], v[24:25], v[28:29]
	v_mul_f64 v[28:29], v[16:17], v[24:25]
	v_fma_f64 v[16:17], -v[18:19], v[28:29], v[16:17]
	v_div_fmas_f64 v[16:17], v[16:17], v[24:25], v[28:29]
	v_div_fixup_f64 v[18:19], v[16:17], v[2:3], |v[4:5]|
.LBB218_246:
	s_or_b64 exec, exec, s[4:5]
                                        ; implicit-def: $vgpr16_vgpr17
                                        ; implicit-def: $vgpr4_vgpr5
	s_and_saveexec_b64 s[4:5], s[2:3]
	s_xor_b64 s[2:3], exec, s[4:5]
	s_cbranch_execz .LBB218_248
; %bb.247:
	v_mul_f64 v[2:3], v[18:19], 0.5
	v_mul_f64 v[4:5], v[14:15], 0.5
	v_cndmask_b32_e64 v17, v19, v3, s[20:21]
	v_cndmask_b32_e64 v16, v18, v2, s[20:21]
	;; [unrolled: 1-line block ×4, first 2 shown]
                                        ; implicit-def: $vgpr18_vgpr19
                                        ; implicit-def: $vgpr14_vgpr15
	s_andn2_saveexec_b64 s[2:3], s[2:3]
	s_cbranch_execnz .LBB218_249
	s_branch .LBB218_250
.LBB218_248:
	s_andn2_saveexec_b64 s[2:3], s[2:3]
.LBB218_249:
	v_add_f64 v[16:17], v[18:19], v[18:19]
	v_add_f64 v[4:5], v[14:15], v[14:15]
.LBB218_250:
	s_or_b64 exec, exec, s[2:3]
.LBB218_251:
	s_andn2_saveexec_b64 s[2:3], s[18:19]
	s_cbranch_execz .LBB218_257
; %bb.252:
	v_add_f64 v[14:15], v[4:5], -v[4:5]
	v_cmp_lt_i64_e32 vcc, -1, v[2:3]
	s_brev_b32 s7, -2
	v_and_b32_e32 v17, 0x7fffffff, v15
	v_mov_b32_e32 v16, v14
	s_and_saveexec_b64 s[4:5], vcc
	s_xor_b64 s[4:5], exec, s[4:5]
; %bb.253:
	v_bfi_b32 v15, s7, v15, v5
	v_mov_b64_e32 v[16:17], v[2:3]
	v_mov_b64_e32 v[4:5], v[14:15]
; %bb.254:
	s_andn2_saveexec_b64 s[4:5], s[4:5]
; %bb.255:
	v_bfi_b32 v3, s7, v3, v5
	v_mov_b64_e32 v[4:5], v[2:3]
; %bb.256:
	s_or_b64 exec, exec, s[4:5]
.LBB218_257:
	s_or_b64 exec, exec, s[2:3]
.LBB218_258:
	s_andn2_saveexec_b64 s[2:3], s[16:17]
	s_cbranch_execz .LBB218_260
; %bb.259:
	v_add_f64 v[4:5], v[4:5], -v[4:5]
	v_div_scale_f64 v[14:15], vcc, v[4:5], v[4:5], v[4:5]
	v_rcp_f64_e32 v[16:17], v[14:15]
	s_nop 0
	v_fma_f64 v[18:19], -v[14:15], v[16:17], 1.0
	v_fmac_f64_e32 v[16:17], v[16:17], v[18:19]
	v_fma_f64 v[18:19], -v[14:15], v[16:17], 1.0
	v_fmac_f64_e32 v[16:17], v[16:17], v[18:19]
	v_mul_f64 v[18:19], v[14:15], v[16:17]
	v_fma_f64 v[14:15], -v[14:15], v[18:19], v[14:15]
	v_div_fmas_f64 v[14:15], v[14:15], v[16:17], v[18:19]
	v_div_fixup_f64 v[4:5], v[14:15], v[4:5], v[4:5]
	v_mov_b64_e32 v[16:17], v[2:3]
.LBB218_260:
	s_or_b64 exec, exec, s[2:3]
.LBB218_261:
	s_or_b64 exec, exec, s[14:15]
.LBB218_262:
	s_or_b64 exec, exec, s[12:13]
	v_mov_b64_e32 v[18:19], v[4:5]
	s_or_b64 exec, exec, s[10:11]
	s_and_saveexec_b64 s[2:3], s[0:1]
	s_xor_b64 s[0:1], exec, s[2:3]
	s_cbranch_execnz .LBB218_241
.LBB218_263:
	s_or_b64 exec, exec, s[0:1]
	v_cmp_gt_i32_e32 vcc, s24, v0
	s_and_saveexec_b64 s[0:1], vcc
	s_cbranch_execz .LBB218_242
.LBB218_264:
	v_add_u32_e32 v2, s6, v0
	v_mov_b32_e32 v3, 0
	v_lshl_add_u64 v[2:3], v[2:3], 4, s[8:9]
	v_add_u32_e32 v0, 0x100, v0
	global_store_dwordx4 v[2:3], v[6:9], off
	s_or_b64 exec, exec, s[0:1]
	v_cmp_gt_i32_e32 vcc, s24, v0
	s_and_saveexec_b64 s[0:1], vcc
	s_cbranch_execnz .LBB218_243
.LBB218_265:
	s_or_b64 exec, exec, s[0:1]
	v_cmp_gt_i32_e32 vcc, s24, v0
	s_and_saveexec_b64 s[0:1], vcc
	s_cbranch_execz .LBB218_267
.LBB218_266:
	v_add_u32_e32 v0, s6, v0
	v_mov_b32_e32 v1, 0
	v_lshl_add_u64 v[0:1], v[0:1], 4, s[8:9]
	global_store_dwordx4 v[0:1], v[16:19], off
.LBB218_267:
	s_endpgm
	.section	.rodata,"a",@progbits
	.p2align	6, 0x0
	.amdhsa_kernel _ZN2at6native29vectorized_elementwise_kernelILi16EZZZNS0_16sqrt_kernel_cudaERNS_18TensorIteratorBaseEENKUlvE_clEvENKUlvE_clEvEUlN3c107complexIdEEE_St5arrayIPcLm2EEEEviT0_T1_
		.amdhsa_group_segment_fixed_size 0
		.amdhsa_private_segment_fixed_size 0
		.amdhsa_kernarg_size 24
		.amdhsa_user_sgpr_count 2
		.amdhsa_user_sgpr_dispatch_ptr 0
		.amdhsa_user_sgpr_queue_ptr 0
		.amdhsa_user_sgpr_kernarg_segment_ptr 1
		.amdhsa_user_sgpr_dispatch_id 0
		.amdhsa_user_sgpr_kernarg_preload_length 0
		.amdhsa_user_sgpr_kernarg_preload_offset 0
		.amdhsa_user_sgpr_private_segment_size 0
		.amdhsa_uses_dynamic_stack 0
		.amdhsa_enable_private_segment 0
		.amdhsa_system_sgpr_workgroup_id_x 1
		.amdhsa_system_sgpr_workgroup_id_y 0
		.amdhsa_system_sgpr_workgroup_id_z 0
		.amdhsa_system_sgpr_workgroup_info 0
		.amdhsa_system_vgpr_workitem_id 0
		.amdhsa_next_free_vgpr 32
		.amdhsa_next_free_sgpr 28
		.amdhsa_accum_offset 32
		.amdhsa_reserve_vcc 1
		.amdhsa_float_round_mode_32 0
		.amdhsa_float_round_mode_16_64 0
		.amdhsa_float_denorm_mode_32 3
		.amdhsa_float_denorm_mode_16_64 3
		.amdhsa_dx10_clamp 1
		.amdhsa_ieee_mode 1
		.amdhsa_fp16_overflow 0
		.amdhsa_tg_split 0
		.amdhsa_exception_fp_ieee_invalid_op 0
		.amdhsa_exception_fp_denorm_src 0
		.amdhsa_exception_fp_ieee_div_zero 0
		.amdhsa_exception_fp_ieee_overflow 0
		.amdhsa_exception_fp_ieee_underflow 0
		.amdhsa_exception_fp_ieee_inexact 0
		.amdhsa_exception_int_div_zero 0
	.end_amdhsa_kernel
	.section	.text._ZN2at6native29vectorized_elementwise_kernelILi16EZZZNS0_16sqrt_kernel_cudaERNS_18TensorIteratorBaseEENKUlvE_clEvENKUlvE_clEvEUlN3c107complexIdEEE_St5arrayIPcLm2EEEEviT0_T1_,"axG",@progbits,_ZN2at6native29vectorized_elementwise_kernelILi16EZZZNS0_16sqrt_kernel_cudaERNS_18TensorIteratorBaseEENKUlvE_clEvENKUlvE_clEvEUlN3c107complexIdEEE_St5arrayIPcLm2EEEEviT0_T1_,comdat
.Lfunc_end218:
	.size	_ZN2at6native29vectorized_elementwise_kernelILi16EZZZNS0_16sqrt_kernel_cudaERNS_18TensorIteratorBaseEENKUlvE_clEvENKUlvE_clEvEUlN3c107complexIdEEE_St5arrayIPcLm2EEEEviT0_T1_, .Lfunc_end218-_ZN2at6native29vectorized_elementwise_kernelILi16EZZZNS0_16sqrt_kernel_cudaERNS_18TensorIteratorBaseEENKUlvE_clEvENKUlvE_clEvEUlN3c107complexIdEEE_St5arrayIPcLm2EEEEviT0_T1_
                                        ; -- End function
	.set _ZN2at6native29vectorized_elementwise_kernelILi16EZZZNS0_16sqrt_kernel_cudaERNS_18TensorIteratorBaseEENKUlvE_clEvENKUlvE_clEvEUlN3c107complexIdEEE_St5arrayIPcLm2EEEEviT0_T1_.num_vgpr, 32
	.set _ZN2at6native29vectorized_elementwise_kernelILi16EZZZNS0_16sqrt_kernel_cudaERNS_18TensorIteratorBaseEENKUlvE_clEvENKUlvE_clEvEUlN3c107complexIdEEE_St5arrayIPcLm2EEEEviT0_T1_.num_agpr, 0
	.set _ZN2at6native29vectorized_elementwise_kernelILi16EZZZNS0_16sqrt_kernel_cudaERNS_18TensorIteratorBaseEENKUlvE_clEvENKUlvE_clEvEUlN3c107complexIdEEE_St5arrayIPcLm2EEEEviT0_T1_.numbered_sgpr, 28
	.set _ZN2at6native29vectorized_elementwise_kernelILi16EZZZNS0_16sqrt_kernel_cudaERNS_18TensorIteratorBaseEENKUlvE_clEvENKUlvE_clEvEUlN3c107complexIdEEE_St5arrayIPcLm2EEEEviT0_T1_.num_named_barrier, 0
	.set _ZN2at6native29vectorized_elementwise_kernelILi16EZZZNS0_16sqrt_kernel_cudaERNS_18TensorIteratorBaseEENKUlvE_clEvENKUlvE_clEvEUlN3c107complexIdEEE_St5arrayIPcLm2EEEEviT0_T1_.private_seg_size, 0
	.set _ZN2at6native29vectorized_elementwise_kernelILi16EZZZNS0_16sqrt_kernel_cudaERNS_18TensorIteratorBaseEENKUlvE_clEvENKUlvE_clEvEUlN3c107complexIdEEE_St5arrayIPcLm2EEEEviT0_T1_.uses_vcc, 1
	.set _ZN2at6native29vectorized_elementwise_kernelILi16EZZZNS0_16sqrt_kernel_cudaERNS_18TensorIteratorBaseEENKUlvE_clEvENKUlvE_clEvEUlN3c107complexIdEEE_St5arrayIPcLm2EEEEviT0_T1_.uses_flat_scratch, 0
	.set _ZN2at6native29vectorized_elementwise_kernelILi16EZZZNS0_16sqrt_kernel_cudaERNS_18TensorIteratorBaseEENKUlvE_clEvENKUlvE_clEvEUlN3c107complexIdEEE_St5arrayIPcLm2EEEEviT0_T1_.has_dyn_sized_stack, 0
	.set _ZN2at6native29vectorized_elementwise_kernelILi16EZZZNS0_16sqrt_kernel_cudaERNS_18TensorIteratorBaseEENKUlvE_clEvENKUlvE_clEvEUlN3c107complexIdEEE_St5arrayIPcLm2EEEEviT0_T1_.has_recursion, 0
	.set _ZN2at6native29vectorized_elementwise_kernelILi16EZZZNS0_16sqrt_kernel_cudaERNS_18TensorIteratorBaseEENKUlvE_clEvENKUlvE_clEvEUlN3c107complexIdEEE_St5arrayIPcLm2EEEEviT0_T1_.has_indirect_call, 0
	.section	.AMDGPU.csdata,"",@progbits
; Kernel info:
; codeLenInByte = 11336
; TotalNumSgprs: 34
; NumVgprs: 32
; NumAgprs: 0
; TotalNumVgprs: 32
; ScratchSize: 0
; MemoryBound: 1
; FloatMode: 240
; IeeeMode: 1
; LDSByteSize: 0 bytes/workgroup (compile time only)
; SGPRBlocks: 4
; VGPRBlocks: 3
; NumSGPRsForWavesPerEU: 34
; NumVGPRsForWavesPerEU: 32
; AccumOffset: 32
; Occupancy: 8
; WaveLimiterHint : 0
; COMPUTE_PGM_RSRC2:SCRATCH_EN: 0
; COMPUTE_PGM_RSRC2:USER_SGPR: 2
; COMPUTE_PGM_RSRC2:TRAP_HANDLER: 0
; COMPUTE_PGM_RSRC2:TGID_X_EN: 1
; COMPUTE_PGM_RSRC2:TGID_Y_EN: 0
; COMPUTE_PGM_RSRC2:TGID_Z_EN: 0
; COMPUTE_PGM_RSRC2:TIDIG_COMP_CNT: 0
; COMPUTE_PGM_RSRC3_GFX90A:ACCUM_OFFSET: 7
; COMPUTE_PGM_RSRC3_GFX90A:TG_SPLIT: 0
	.section	.text._ZN2at6native29vectorized_elementwise_kernelILi8EZZZNS0_16sqrt_kernel_cudaERNS_18TensorIteratorBaseEENKUlvE_clEvENKUlvE_clEvEUlN3c107complexIdEEE_St5arrayIPcLm2EEEEviT0_T1_,"axG",@progbits,_ZN2at6native29vectorized_elementwise_kernelILi8EZZZNS0_16sqrt_kernel_cudaERNS_18TensorIteratorBaseEENKUlvE_clEvENKUlvE_clEvEUlN3c107complexIdEEE_St5arrayIPcLm2EEEEviT0_T1_,comdat
	.globl	_ZN2at6native29vectorized_elementwise_kernelILi8EZZZNS0_16sqrt_kernel_cudaERNS_18TensorIteratorBaseEENKUlvE_clEvENKUlvE_clEvEUlN3c107complexIdEEE_St5arrayIPcLm2EEEEviT0_T1_ ; -- Begin function _ZN2at6native29vectorized_elementwise_kernelILi8EZZZNS0_16sqrt_kernel_cudaERNS_18TensorIteratorBaseEENKUlvE_clEvENKUlvE_clEvEUlN3c107complexIdEEE_St5arrayIPcLm2EEEEviT0_T1_
	.p2align	8
	.type	_ZN2at6native29vectorized_elementwise_kernelILi8EZZZNS0_16sqrt_kernel_cudaERNS_18TensorIteratorBaseEENKUlvE_clEvENKUlvE_clEvEUlN3c107complexIdEEE_St5arrayIPcLm2EEEEviT0_T1_,@function
_ZN2at6native29vectorized_elementwise_kernelILi8EZZZNS0_16sqrt_kernel_cudaERNS_18TensorIteratorBaseEENKUlvE_clEvENKUlvE_clEvEUlN3c107complexIdEEE_St5arrayIPcLm2EEEEviT0_T1_: ; @_ZN2at6native29vectorized_elementwise_kernelILi8EZZZNS0_16sqrt_kernel_cudaERNS_18TensorIteratorBaseEENKUlvE_clEvENKUlvE_clEvEUlN3c107complexIdEEE_St5arrayIPcLm2EEEEviT0_T1_
; %bb.0:
	s_load_dword s3, s[0:1], 0x0
	s_load_dwordx4 s[8:11], s[0:1], 0x8
	s_lshl_b32 s6, s2, 10
	s_mov_b64 s[0:1], -1
	s_waitcnt lgkmcnt(0)
	s_sub_i32 s24, s3, s6
	s_cmpk_gt_i32 s24, 0x3ff
	s_cbranch_scc0 .LBB219_122
; %bb.1:
	s_ashr_i32 s7, s6, 31
	s_lshl_b64 s[4:5], s[6:7], 4
	s_add_u32 s0, s10, s4
	s_addc_u32 s1, s11, s5
	v_lshlrev_b32_e32 v1, 6, v0
	global_load_dwordx4 v[14:17], v1, s[0:1]
	global_load_dwordx4 v[10:13], v1, s[0:1] offset:16
	global_load_dwordx4 v[2:5], v1, s[0:1] offset:48
	;; [unrolled: 1-line block ×3, first 2 shown]
	v_mov_b64_e32 v[18:19], 0
	v_mov_b64_e32 v[20:21], 0
	s_waitcnt vmcnt(3)
	v_cmp_neq_f64_e32 vcc, 0, v[14:15]
	v_cmp_neq_f64_e64 s[0:1], 0, v[16:17]
	s_or_b64 s[0:1], vcc, s[0:1]
	s_and_saveexec_b64 s[12:13], s[0:1]
	s_cbranch_execz .LBB219_31
; %bb.2:
	v_mov_b32_e32 v20, 0
	v_mov_b32_e32 v21, 0x7ff00000
	v_cmp_neq_f64_e64 s[0:1], |v[16:17]|, v[20:21]
	s_and_saveexec_b64 s[14:15], s[0:1]
	s_cbranch_execz .LBB219_30
; %bb.3:
	v_cmp_o_f64_e32 vcc, v[14:15], v[14:15]
                                        ; implicit-def: $vgpr20_vgpr21
	s_and_saveexec_b64 s[0:1], vcc
	s_xor_b64 s[16:17], exec, s[0:1]
	s_cbranch_execz .LBB219_27
; %bb.4:
	s_mov_b32 s0, 0
	s_mov_b32 s1, 0x7ff00000
	v_cmp_neq_f64_e64 s[0:1], |v[14:15]|, s[0:1]
                                        ; implicit-def: $vgpr20_vgpr21
	s_and_saveexec_b64 s[2:3], s[0:1]
	s_xor_b64 s[18:19], exec, s[2:3]
	s_cbranch_execz .LBB219_20
; %bb.5:
	v_max_f64 v[20:21], |v[16:17]|, |v[16:17]|
	v_max_f64 v[22:23], |v[14:15]|, |v[14:15]|
	s_mov_b32 s0, 0x99fcef32
	v_max_f64 v[20:21], v[22:23], v[20:21]
	s_mov_b32 s1, 0x7fda8279
	v_cmp_nle_f64_e64 s[0:1], s[0:1], v[20:21]
                                        ; implicit-def: $sgpr20_sgpr21
	s_and_saveexec_b64 s[2:3], s[0:1]
	s_xor_b64 s[2:3], exec, s[2:3]
	s_cbranch_execz .LBB219_9
; %bb.6:
	s_mov_b32 s20, 0
	s_mov_b32 s21, 0x200000
	v_cmp_le_f64_e64 s[22:23], |v[14:15]|, s[20:21]
	v_cmp_le_f64_e64 s[20:21], |v[16:17]|, s[20:21]
	s_and_b64 s[26:27], s[22:23], s[20:21]
	s_mov_b64 s[20:21], 0
	s_and_saveexec_b64 s[22:23], s[26:27]
; %bb.7:
	s_mov_b64 s[20:21], exec
	v_mul_f64 v[16:17], v[16:17], 4.0
	v_mul_f64 v[14:15], v[14:15], 4.0
; %bb.8:
	s_or_b64 exec, exec, s[22:23]
.LBB219_9:
	s_andn2_saveexec_b64 s[2:3], s[2:3]
; %bb.10:
	v_ldexp_f64 v[14:15], v[14:15], -2
	v_ldexp_f64 v[16:17], v[16:17], -2
	s_andn2_b64 s[20:21], s[20:21], exec
; %bb.11:
	s_or_b64 exec, exec, s[2:3]
	v_max_f64 v[20:21], |v[16:17]|, |v[16:17]|
	v_max_f64 v[22:23], |v[14:15]|, |v[14:15]|
	v_max_f64 v[20:21], v[22:23], v[20:21]
	v_frexp_exp_i32_f64_e32 v28, v[20:21]
	v_sub_u32_e32 v22, 0, v28
	v_ldexp_f64 v[20:21], |v[14:15]|, v22
	v_ldexp_f64 v[22:23], |v[16:17]|, v22
	v_mul_f64 v[22:23], v[22:23], v[22:23]
	v_fmac_f64_e32 v[22:23], v[20:21], v[20:21]
	v_rsq_f64_e32 v[20:21], v[22:23]
	v_cmp_eq_f64_e64 s[2:3], 0, v[22:23]
	s_movk_i32 s7, 0x204
	v_cmp_class_f64_e64 s[22:23], v[16:17], s7
	v_mul_f64 v[24:25], v[22:23], v[20:21]
	v_mul_f64 v[20:21], v[20:21], 0.5
	v_fma_f64 v[26:27], -v[20:21], v[24:25], 0.5
	v_fmac_f64_e32 v[24:25], v[24:25], v[26:27]
	v_fmac_f64_e32 v[20:21], v[20:21], v[26:27]
	v_fma_f64 v[26:27], -v[24:25], v[24:25], v[22:23]
	v_fmac_f64_e32 v[24:25], v[26:27], v[20:21]
	v_cndmask_b32_e64 v21, v25, v23, s[2:3]
	v_cndmask_b32_e64 v20, v24, v22, s[2:3]
	v_ldexp_f64 v[20:21], v[20:21], v28
	v_cmp_o_f64_e64 s[2:3], v[16:17], v[16:17]
	v_mov_b32_e32 v22, 0x7ff80000
	v_cmp_le_f64_e32 vcc, 0, v[14:15]
	v_cndmask_b32_e64 v20, 0, v20, s[2:3]
	v_cndmask_b32_e64 v21, v22, v21, s[2:3]
	v_cmp_class_f64_e64 s[2:3], v[14:15], s7
	v_mov_b32_e32 v22, 0x7ff00000
	s_or_b64 s[2:3], s[22:23], s[2:3]
	v_cndmask_b32_e64 v21, v21, v22, s[2:3]
	v_cndmask_b32_e64 v20, v20, 0, s[2:3]
                                        ; implicit-def: $vgpr22_vgpr23
                                        ; implicit-def: $vgpr24_vgpr25
	s_and_saveexec_b64 s[2:3], vcc
	s_xor_b64 s[2:3], exec, s[2:3]
	s_cbranch_execz .LBB219_13
; %bb.12:
	v_add_f64 v[14:15], v[14:15], v[20:21]
	s_mov_b32 s22, 0
	v_mul_f64 v[14:15], v[14:15], 0.5
	s_brev_b32 s23, 8
	v_mov_b32_e32 v20, 0x100
	v_cmp_gt_f64_e32 vcc, s[22:23], v[14:15]
	s_nop 1
	v_cndmask_b32_e32 v20, 0, v20, vcc
	v_ldexp_f64 v[14:15], v[14:15], v20
	v_rsq_f64_e32 v[20:21], v[14:15]
	s_nop 0
	v_mul_f64 v[22:23], v[14:15], v[20:21]
	v_mul_f64 v[20:21], v[20:21], 0.5
	v_fma_f64 v[24:25], -v[20:21], v[22:23], 0.5
	v_fmac_f64_e32 v[22:23], v[22:23], v[24:25]
	v_fma_f64 v[26:27], -v[22:23], v[22:23], v[14:15]
	v_fmac_f64_e32 v[20:21], v[20:21], v[24:25]
	v_fmac_f64_e32 v[22:23], v[26:27], v[20:21]
	v_fma_f64 v[24:25], -v[22:23], v[22:23], v[14:15]
	v_fmac_f64_e32 v[22:23], v[24:25], v[20:21]
	v_mov_b32_e32 v20, 0xffffff80
	v_cndmask_b32_e32 v20, 0, v20, vcc
	v_ldexp_f64 v[20:21], v[22:23], v20
	v_mov_b32_e32 v22, 0x260
	v_cmp_class_f64_e32 vcc, v[14:15], v22
	s_nop 1
	v_cndmask_b32_e32 v25, v21, v15, vcc
	v_cndmask_b32_e32 v24, v20, v14, vcc
	v_add_f64 v[14:15], v[24:25], v[24:25]
	v_div_scale_f64 v[20:21], s[22:23], v[14:15], v[14:15], v[16:17]
	v_rcp_f64_e32 v[22:23], v[20:21]
	s_nop 0
	v_fma_f64 v[26:27], -v[20:21], v[22:23], 1.0
	v_fmac_f64_e32 v[22:23], v[22:23], v[26:27]
	v_fma_f64 v[26:27], -v[20:21], v[22:23], 1.0
	v_fmac_f64_e32 v[22:23], v[22:23], v[26:27]
	v_div_scale_f64 v[26:27], vcc, v[16:17], v[14:15], v[16:17]
	v_mul_f64 v[28:29], v[26:27], v[22:23]
	v_fma_f64 v[20:21], -v[20:21], v[28:29], v[26:27]
	s_nop 1
	v_div_fmas_f64 v[20:21], v[20:21], v[22:23], v[28:29]
	v_div_fixup_f64 v[22:23], v[20:21], v[14:15], v[16:17]
                                        ; implicit-def: $vgpr20_vgpr21
                                        ; implicit-def: $vgpr14_vgpr15
	s_andn2_saveexec_b64 s[2:3], s[2:3]
	s_cbranch_execz .LBB219_15
	s_branch .LBB219_14
.LBB219_13:
	s_andn2_saveexec_b64 s[2:3], s[2:3]
	s_cbranch_execz .LBB219_15
.LBB219_14:
	v_add_f64 v[14:15], v[20:21], -v[14:15]
	s_mov_b32 s22, 0
	v_mul_f64 v[14:15], v[14:15], 0.5
	s_brev_b32 s23, 8
	v_mov_b32_e32 v20, 0x100
	v_cmp_gt_f64_e32 vcc, s[22:23], v[14:15]
	s_brev_b32 s7, -2
	s_nop 0
	v_cndmask_b32_e32 v20, 0, v20, vcc
	v_ldexp_f64 v[14:15], v[14:15], v20
	v_rsq_f64_e32 v[20:21], v[14:15]
	s_nop 0
	v_mul_f64 v[22:23], v[14:15], v[20:21]
	v_mul_f64 v[20:21], v[20:21], 0.5
	v_fma_f64 v[24:25], -v[20:21], v[22:23], 0.5
	v_fmac_f64_e32 v[22:23], v[22:23], v[24:25]
	v_fma_f64 v[26:27], -v[22:23], v[22:23], v[14:15]
	v_fmac_f64_e32 v[20:21], v[20:21], v[24:25]
	v_fmac_f64_e32 v[22:23], v[26:27], v[20:21]
	v_fma_f64 v[24:25], -v[22:23], v[22:23], v[14:15]
	v_fmac_f64_e32 v[22:23], v[24:25], v[20:21]
	v_mov_b32_e32 v20, 0xffffff80
	v_cndmask_b32_e32 v20, 0, v20, vcc
	v_ldexp_f64 v[20:21], v[22:23], v20
	v_mov_b32_e32 v22, 0x260
	v_cmp_class_f64_e32 vcc, v[14:15], v22
	s_nop 1
	v_cndmask_b32_e32 v23, v21, v15, vcc
	v_cndmask_b32_e32 v22, v20, v14, vcc
	v_add_f64 v[14:15], v[22:23], v[22:23]
	v_and_b32_e32 v21, 0x7fffffff, v17
	v_mov_b32_e32 v20, v16
	v_div_scale_f64 v[24:25], s[22:23], v[14:15], v[14:15], v[20:21]
	v_rcp_f64_e32 v[26:27], v[24:25]
	v_div_scale_f64 v[20:21], vcc, v[20:21], v[14:15], v[20:21]
	v_bfi_b32 v23, s7, v23, v17
	v_fma_f64 v[28:29], -v[24:25], v[26:27], 1.0
	v_fmac_f64_e32 v[26:27], v[26:27], v[28:29]
	v_fma_f64 v[28:29], -v[24:25], v[26:27], 1.0
	v_fmac_f64_e32 v[26:27], v[26:27], v[28:29]
	v_mul_f64 v[28:29], v[20:21], v[26:27]
	v_fma_f64 v[20:21], -v[24:25], v[28:29], v[20:21]
	v_div_fmas_f64 v[20:21], v[20:21], v[26:27], v[28:29]
	v_div_fixup_f64 v[24:25], v[20:21], v[14:15], |v[16:17]|
.LBB219_15:
	s_or_b64 exec, exec, s[2:3]
                                        ; implicit-def: $vgpr16_vgpr17
                                        ; implicit-def: $vgpr20_vgpr21
	s_and_saveexec_b64 s[2:3], s[0:1]
	s_xor_b64 s[0:1], exec, s[2:3]
	s_cbranch_execz .LBB219_17
; %bb.16:
	v_mul_f64 v[14:15], v[24:25], 0.5
	v_mul_f64 v[16:17], v[22:23], 0.5
	v_cndmask_b32_e64 v21, v25, v15, s[20:21]
	v_cndmask_b32_e64 v20, v24, v14, s[20:21]
	v_cndmask_b32_e64 v17, v23, v17, s[20:21]
	v_cndmask_b32_e64 v16, v22, v16, s[20:21]
                                        ; implicit-def: $vgpr24_vgpr25
                                        ; implicit-def: $vgpr22_vgpr23
	s_andn2_saveexec_b64 s[0:1], s[0:1]
	s_cbranch_execnz .LBB219_18
	s_branch .LBB219_19
.LBB219_17:
	s_andn2_saveexec_b64 s[0:1], s[0:1]
.LBB219_18:
	v_add_f64 v[20:21], v[24:25], v[24:25]
	v_add_f64 v[16:17], v[22:23], v[22:23]
.LBB219_19:
	s_or_b64 exec, exec, s[0:1]
.LBB219_20:
	s_andn2_saveexec_b64 s[0:1], s[18:19]
	s_cbranch_execz .LBB219_26
; %bb.21:
	v_add_f64 v[22:23], v[16:17], -v[16:17]
	v_cmp_lt_i64_e32 vcc, -1, v[14:15]
	s_brev_b32 s7, -2
	v_and_b32_e32 v21, 0x7fffffff, v23
	v_mov_b32_e32 v20, v22
	s_and_saveexec_b64 s[2:3], vcc
	s_xor_b64 s[2:3], exec, s[2:3]
; %bb.22:
	v_bfi_b32 v23, s7, v23, v17
	v_mov_b64_e32 v[16:17], v[22:23]
	v_mov_b64_e32 v[20:21], v[14:15]
; %bb.23:
	s_andn2_saveexec_b64 s[2:3], s[2:3]
; %bb.24:
	v_bfi_b32 v15, s7, v15, v17
	v_mov_b64_e32 v[16:17], v[14:15]
; %bb.25:
	s_or_b64 exec, exec, s[2:3]
.LBB219_26:
	s_or_b64 exec, exec, s[0:1]
.LBB219_27:
	s_andn2_saveexec_b64 s[0:1], s[16:17]
	s_cbranch_execz .LBB219_29
; %bb.28:
	v_add_f64 v[16:17], v[16:17], -v[16:17]
	v_div_scale_f64 v[20:21], vcc, v[16:17], v[16:17], v[16:17]
	v_rcp_f64_e32 v[22:23], v[20:21]
	s_nop 0
	v_fma_f64 v[24:25], -v[20:21], v[22:23], 1.0
	v_fmac_f64_e32 v[22:23], v[22:23], v[24:25]
	v_fma_f64 v[24:25], -v[20:21], v[22:23], 1.0
	v_fmac_f64_e32 v[22:23], v[22:23], v[24:25]
	v_mul_f64 v[24:25], v[20:21], v[22:23]
	v_fma_f64 v[20:21], -v[20:21], v[24:25], v[20:21]
	v_div_fmas_f64 v[20:21], v[20:21], v[22:23], v[24:25]
	v_div_fixup_f64 v[16:17], v[20:21], v[16:17], v[16:17]
	v_mov_b64_e32 v[20:21], v[14:15]
.LBB219_29:
	s_or_b64 exec, exec, s[0:1]
.LBB219_30:
	s_or_b64 exec, exec, s[14:15]
.LBB219_31:
	s_or_b64 exec, exec, s[12:13]
	s_waitcnt vmcnt(2)
	v_cmp_neq_f64_e32 vcc, 0, v[10:11]
	v_cmp_neq_f64_e64 s[0:1], 0, v[12:13]
	s_or_b64 s[0:1], vcc, s[0:1]
	s_and_saveexec_b64 s[12:13], s[0:1]
	s_cbranch_execz .LBB219_61
; %bb.32:
	v_mov_b32_e32 v18, 0
	v_mov_b32_e32 v19, 0x7ff00000
	v_cmp_neq_f64_e64 s[0:1], |v[12:13]|, v[18:19]
	s_and_saveexec_b64 s[14:15], s[0:1]
	s_cbranch_execz .LBB219_60
; %bb.33:
	v_cmp_o_f64_e32 vcc, v[10:11], v[10:11]
                                        ; implicit-def: $vgpr18_vgpr19
	s_and_saveexec_b64 s[0:1], vcc
	s_xor_b64 s[16:17], exec, s[0:1]
	s_cbranch_execz .LBB219_57
; %bb.34:
	s_mov_b32 s0, 0
	s_mov_b32 s1, 0x7ff00000
	v_cmp_neq_f64_e64 s[0:1], |v[10:11]|, s[0:1]
                                        ; implicit-def: $vgpr18_vgpr19
	s_and_saveexec_b64 s[2:3], s[0:1]
	s_xor_b64 s[18:19], exec, s[2:3]
	s_cbranch_execz .LBB219_50
; %bb.35:
	v_max_f64 v[14:15], |v[12:13]|, |v[12:13]|
	v_max_f64 v[18:19], |v[10:11]|, |v[10:11]|
	s_mov_b32 s0, 0x99fcef32
	v_max_f64 v[14:15], v[18:19], v[14:15]
	s_mov_b32 s1, 0x7fda8279
	v_cmp_nle_f64_e64 s[0:1], s[0:1], v[14:15]
                                        ; implicit-def: $sgpr20_sgpr21
	s_and_saveexec_b64 s[2:3], s[0:1]
	s_xor_b64 s[2:3], exec, s[2:3]
	s_cbranch_execz .LBB219_39
; %bb.36:
	s_mov_b32 s20, 0
	s_mov_b32 s21, 0x200000
	v_cmp_le_f64_e64 s[22:23], |v[10:11]|, s[20:21]
	v_cmp_le_f64_e64 s[20:21], |v[12:13]|, s[20:21]
	s_and_b64 s[26:27], s[22:23], s[20:21]
	s_mov_b64 s[20:21], 0
	s_and_saveexec_b64 s[22:23], s[26:27]
; %bb.37:
	s_mov_b64 s[20:21], exec
	v_mul_f64 v[12:13], v[12:13], 4.0
	v_mul_f64 v[10:11], v[10:11], 4.0
; %bb.38:
	s_or_b64 exec, exec, s[22:23]
.LBB219_39:
	s_andn2_saveexec_b64 s[2:3], s[2:3]
; %bb.40:
	v_ldexp_f64 v[10:11], v[10:11], -2
	v_ldexp_f64 v[12:13], v[12:13], -2
	s_andn2_b64 s[20:21], s[20:21], exec
; %bb.41:
	s_or_b64 exec, exec, s[2:3]
	v_max_f64 v[14:15], |v[12:13]|, |v[12:13]|
	v_max_f64 v[18:19], |v[10:11]|, |v[10:11]|
	v_max_f64 v[14:15], v[18:19], v[14:15]
	v_frexp_exp_i32_f64_e32 v26, v[14:15]
	v_sub_u32_e32 v18, 0, v26
	v_ldexp_f64 v[14:15], |v[10:11]|, v18
	v_ldexp_f64 v[18:19], |v[12:13]|, v18
	v_mul_f64 v[18:19], v[18:19], v[18:19]
	v_fmac_f64_e32 v[18:19], v[14:15], v[14:15]
	v_rsq_f64_e32 v[14:15], v[18:19]
	v_cmp_eq_f64_e64 s[2:3], 0, v[18:19]
	s_movk_i32 s7, 0x204
	v_cmp_class_f64_e64 s[22:23], v[12:13], s7
	v_mul_f64 v[22:23], v[18:19], v[14:15]
	v_mul_f64 v[14:15], v[14:15], 0.5
	v_fma_f64 v[24:25], -v[14:15], v[22:23], 0.5
	v_fmac_f64_e32 v[22:23], v[22:23], v[24:25]
	v_fmac_f64_e32 v[14:15], v[14:15], v[24:25]
	v_fma_f64 v[24:25], -v[22:23], v[22:23], v[18:19]
	v_fmac_f64_e32 v[22:23], v[24:25], v[14:15]
	v_cndmask_b32_e64 v15, v23, v19, s[2:3]
	v_cndmask_b32_e64 v14, v22, v18, s[2:3]
	v_ldexp_f64 v[14:15], v[14:15], v26
	v_cmp_o_f64_e64 s[2:3], v[12:13], v[12:13]
	v_mov_b32_e32 v18, 0x7ff80000
	v_cmp_le_f64_e32 vcc, 0, v[10:11]
	v_cndmask_b32_e64 v14, 0, v14, s[2:3]
	v_cndmask_b32_e64 v15, v18, v15, s[2:3]
	v_cmp_class_f64_e64 s[2:3], v[10:11], s7
	v_mov_b32_e32 v18, 0x7ff00000
	s_or_b64 s[2:3], s[22:23], s[2:3]
	v_cndmask_b32_e64 v19, v15, v18, s[2:3]
	v_cndmask_b32_e64 v18, v14, 0, s[2:3]
                                        ; implicit-def: $vgpr14_vgpr15
                                        ; implicit-def: $vgpr22_vgpr23
	s_and_saveexec_b64 s[2:3], vcc
	s_xor_b64 s[2:3], exec, s[2:3]
	s_cbranch_execz .LBB219_43
; %bb.42:
	v_add_f64 v[10:11], v[10:11], v[18:19]
	s_mov_b32 s22, 0
	v_mul_f64 v[10:11], v[10:11], 0.5
	s_brev_b32 s23, 8
	v_mov_b32_e32 v14, 0x100
	v_cmp_gt_f64_e32 vcc, s[22:23], v[10:11]
	s_nop 1
	v_cndmask_b32_e32 v14, 0, v14, vcc
	v_ldexp_f64 v[10:11], v[10:11], v14
	v_rsq_f64_e32 v[14:15], v[10:11]
	s_nop 0
	v_mul_f64 v[18:19], v[10:11], v[14:15]
	v_mul_f64 v[14:15], v[14:15], 0.5
	v_fma_f64 v[22:23], -v[14:15], v[18:19], 0.5
	v_fmac_f64_e32 v[18:19], v[18:19], v[22:23]
	v_fma_f64 v[24:25], -v[18:19], v[18:19], v[10:11]
	v_fmac_f64_e32 v[14:15], v[14:15], v[22:23]
	v_fmac_f64_e32 v[18:19], v[24:25], v[14:15]
	v_fma_f64 v[22:23], -v[18:19], v[18:19], v[10:11]
	v_fmac_f64_e32 v[18:19], v[22:23], v[14:15]
	v_mov_b32_e32 v14, 0xffffff80
	v_cndmask_b32_e32 v14, 0, v14, vcc
	v_ldexp_f64 v[14:15], v[18:19], v14
	v_mov_b32_e32 v18, 0x260
	v_cmp_class_f64_e32 vcc, v[10:11], v18
	s_nop 1
	v_cndmask_b32_e32 v23, v15, v11, vcc
	v_cndmask_b32_e32 v22, v14, v10, vcc
	v_add_f64 v[10:11], v[22:23], v[22:23]
	v_div_scale_f64 v[14:15], s[22:23], v[10:11], v[10:11], v[12:13]
	v_rcp_f64_e32 v[18:19], v[14:15]
	s_nop 0
	v_fma_f64 v[24:25], -v[14:15], v[18:19], 1.0
	v_fmac_f64_e32 v[18:19], v[18:19], v[24:25]
	v_fma_f64 v[24:25], -v[14:15], v[18:19], 1.0
	v_fmac_f64_e32 v[18:19], v[18:19], v[24:25]
	v_div_scale_f64 v[24:25], vcc, v[12:13], v[10:11], v[12:13]
	v_mul_f64 v[26:27], v[24:25], v[18:19]
	v_fma_f64 v[14:15], -v[14:15], v[26:27], v[24:25]
	s_nop 1
	v_div_fmas_f64 v[14:15], v[14:15], v[18:19], v[26:27]
	v_div_fixup_f64 v[14:15], v[14:15], v[10:11], v[12:13]
                                        ; implicit-def: $vgpr18_vgpr19
                                        ; implicit-def: $vgpr10_vgpr11
	s_andn2_saveexec_b64 s[2:3], s[2:3]
	s_cbranch_execz .LBB219_45
	s_branch .LBB219_44
.LBB219_43:
	s_andn2_saveexec_b64 s[2:3], s[2:3]
	s_cbranch_execz .LBB219_45
.LBB219_44:
	v_add_f64 v[10:11], v[18:19], -v[10:11]
	s_mov_b32 s22, 0
	v_mul_f64 v[10:11], v[10:11], 0.5
	s_brev_b32 s23, 8
	v_mov_b32_e32 v14, 0x100
	v_cmp_gt_f64_e32 vcc, s[22:23], v[10:11]
	s_brev_b32 s7, -2
	s_nop 0
	v_cndmask_b32_e32 v14, 0, v14, vcc
	v_ldexp_f64 v[10:11], v[10:11], v14
	v_rsq_f64_e32 v[14:15], v[10:11]
	s_nop 0
	v_mul_f64 v[18:19], v[10:11], v[14:15]
	v_mul_f64 v[14:15], v[14:15], 0.5
	v_fma_f64 v[22:23], -v[14:15], v[18:19], 0.5
	v_fmac_f64_e32 v[18:19], v[18:19], v[22:23]
	v_fma_f64 v[24:25], -v[18:19], v[18:19], v[10:11]
	v_fmac_f64_e32 v[14:15], v[14:15], v[22:23]
	v_fmac_f64_e32 v[18:19], v[24:25], v[14:15]
	v_fma_f64 v[22:23], -v[18:19], v[18:19], v[10:11]
	v_fmac_f64_e32 v[18:19], v[22:23], v[14:15]
	v_mov_b32_e32 v14, 0xffffff80
	v_cndmask_b32_e32 v14, 0, v14, vcc
	v_ldexp_f64 v[14:15], v[18:19], v14
	v_mov_b32_e32 v18, 0x260
	v_cmp_class_f64_e32 vcc, v[10:11], v18
	v_and_b32_e32 v19, 0x7fffffff, v13
	v_mov_b32_e32 v18, v12
	v_cndmask_b32_e32 v15, v15, v11, vcc
	v_cndmask_b32_e32 v14, v14, v10, vcc
	v_add_f64 v[10:11], v[14:15], v[14:15]
	v_div_scale_f64 v[22:23], s[22:23], v[10:11], v[10:11], v[18:19]
	v_rcp_f64_e32 v[24:25], v[22:23]
	v_div_scale_f64 v[18:19], vcc, v[18:19], v[10:11], v[18:19]
	v_bfi_b32 v15, s7, v15, v13
	v_fma_f64 v[26:27], -v[22:23], v[24:25], 1.0
	v_fmac_f64_e32 v[24:25], v[24:25], v[26:27]
	v_fma_f64 v[26:27], -v[22:23], v[24:25], 1.0
	v_fmac_f64_e32 v[24:25], v[24:25], v[26:27]
	v_mul_f64 v[26:27], v[18:19], v[24:25]
	v_fma_f64 v[18:19], -v[22:23], v[26:27], v[18:19]
	v_div_fmas_f64 v[18:19], v[18:19], v[24:25], v[26:27]
	v_div_fixup_f64 v[22:23], v[18:19], v[10:11], |v[12:13]|
.LBB219_45:
	s_or_b64 exec, exec, s[2:3]
                                        ; implicit-def: $vgpr12_vgpr13
                                        ; implicit-def: $vgpr18_vgpr19
	s_and_saveexec_b64 s[2:3], s[0:1]
	s_xor_b64 s[0:1], exec, s[2:3]
	s_cbranch_execz .LBB219_47
; %bb.46:
	v_mul_f64 v[10:11], v[22:23], 0.5
	v_mul_f64 v[12:13], v[14:15], 0.5
	v_cndmask_b32_e64 v19, v23, v11, s[20:21]
	v_cndmask_b32_e64 v18, v22, v10, s[20:21]
	;; [unrolled: 1-line block ×4, first 2 shown]
                                        ; implicit-def: $vgpr22_vgpr23
                                        ; implicit-def: $vgpr14_vgpr15
	s_andn2_saveexec_b64 s[0:1], s[0:1]
	s_cbranch_execnz .LBB219_48
	s_branch .LBB219_49
.LBB219_47:
	s_andn2_saveexec_b64 s[0:1], s[0:1]
.LBB219_48:
	v_add_f64 v[18:19], v[22:23], v[22:23]
	v_add_f64 v[12:13], v[14:15], v[14:15]
.LBB219_49:
	s_or_b64 exec, exec, s[0:1]
.LBB219_50:
	s_andn2_saveexec_b64 s[0:1], s[18:19]
	s_cbranch_execz .LBB219_56
; %bb.51:
	v_add_f64 v[14:15], v[12:13], -v[12:13]
	v_cmp_lt_i64_e32 vcc, -1, v[10:11]
	s_brev_b32 s7, -2
	v_and_b32_e32 v19, 0x7fffffff, v15
	v_mov_b32_e32 v18, v14
	s_and_saveexec_b64 s[2:3], vcc
	s_xor_b64 s[2:3], exec, s[2:3]
; %bb.52:
	v_bfi_b32 v15, s7, v15, v13
	v_mov_b64_e32 v[12:13], v[14:15]
	v_mov_b64_e32 v[18:19], v[10:11]
; %bb.53:
	s_andn2_saveexec_b64 s[2:3], s[2:3]
; %bb.54:
	v_bfi_b32 v11, s7, v11, v13
	v_mov_b64_e32 v[12:13], v[10:11]
; %bb.55:
	s_or_b64 exec, exec, s[2:3]
.LBB219_56:
	s_or_b64 exec, exec, s[0:1]
.LBB219_57:
	s_andn2_saveexec_b64 s[0:1], s[16:17]
	s_cbranch_execz .LBB219_59
; %bb.58:
	v_add_f64 v[12:13], v[12:13], -v[12:13]
	v_div_scale_f64 v[14:15], vcc, v[12:13], v[12:13], v[12:13]
	v_rcp_f64_e32 v[18:19], v[14:15]
	s_nop 0
	v_fma_f64 v[22:23], -v[14:15], v[18:19], 1.0
	v_fmac_f64_e32 v[18:19], v[18:19], v[22:23]
	v_fma_f64 v[22:23], -v[14:15], v[18:19], 1.0
	v_fmac_f64_e32 v[18:19], v[18:19], v[22:23]
	v_mul_f64 v[22:23], v[14:15], v[18:19]
	v_fma_f64 v[14:15], -v[14:15], v[22:23], v[14:15]
	v_div_fmas_f64 v[14:15], v[14:15], v[18:19], v[22:23]
	v_div_fixup_f64 v[12:13], v[14:15], v[12:13], v[12:13]
	v_mov_b64_e32 v[18:19], v[10:11]
.LBB219_59:
	s_or_b64 exec, exec, s[0:1]
.LBB219_60:
	s_or_b64 exec, exec, s[14:15]
.LBB219_61:
	s_or_b64 exec, exec, s[12:13]
	s_waitcnt vmcnt(0)
	v_cmp_neq_f64_e32 vcc, 0, v[6:7]
	v_cmp_neq_f64_e64 s[0:1], 0, v[8:9]
	v_mov_b64_e32 v[10:11], 0
	s_or_b64 s[0:1], vcc, s[0:1]
	v_mov_b64_e32 v[14:15], 0
	s_and_saveexec_b64 s[12:13], s[0:1]
	s_cbranch_execz .LBB219_91
; %bb.62:
	v_mov_b32_e32 v14, 0
	v_mov_b32_e32 v15, 0x7ff00000
	v_cmp_neq_f64_e64 s[0:1], |v[8:9]|, v[14:15]
	s_and_saveexec_b64 s[14:15], s[0:1]
	s_cbranch_execz .LBB219_90
; %bb.63:
	v_cmp_o_f64_e32 vcc, v[6:7], v[6:7]
                                        ; implicit-def: $vgpr14_vgpr15
	s_and_saveexec_b64 s[0:1], vcc
	s_xor_b64 s[16:17], exec, s[0:1]
	s_cbranch_execz .LBB219_87
; %bb.64:
	s_mov_b32 s0, 0
	s_mov_b32 s1, 0x7ff00000
	v_cmp_neq_f64_e64 s[0:1], |v[6:7]|, s[0:1]
                                        ; implicit-def: $vgpr14_vgpr15
	s_and_saveexec_b64 s[2:3], s[0:1]
	s_xor_b64 s[18:19], exec, s[2:3]
	s_cbranch_execz .LBB219_80
; %bb.65:
	v_max_f64 v[14:15], |v[8:9]|, |v[8:9]|
	v_max_f64 v[22:23], |v[6:7]|, |v[6:7]|
	s_mov_b32 s0, 0x99fcef32
	v_max_f64 v[14:15], v[22:23], v[14:15]
	s_mov_b32 s1, 0x7fda8279
	v_cmp_nle_f64_e64 s[0:1], s[0:1], v[14:15]
                                        ; implicit-def: $sgpr20_sgpr21
	s_and_saveexec_b64 s[2:3], s[0:1]
	s_xor_b64 s[2:3], exec, s[2:3]
	s_cbranch_execz .LBB219_69
; %bb.66:
	s_mov_b32 s20, 0
	s_mov_b32 s21, 0x200000
	v_cmp_le_f64_e64 s[22:23], |v[6:7]|, s[20:21]
	v_cmp_le_f64_e64 s[20:21], |v[8:9]|, s[20:21]
	s_and_b64 s[26:27], s[22:23], s[20:21]
	s_mov_b64 s[20:21], 0
	s_and_saveexec_b64 s[22:23], s[26:27]
; %bb.67:
	s_mov_b64 s[20:21], exec
	v_mul_f64 v[8:9], v[8:9], 4.0
	v_mul_f64 v[6:7], v[6:7], 4.0
; %bb.68:
	s_or_b64 exec, exec, s[22:23]
.LBB219_69:
	s_andn2_saveexec_b64 s[2:3], s[2:3]
; %bb.70:
	v_ldexp_f64 v[6:7], v[6:7], -2
	v_ldexp_f64 v[8:9], v[8:9], -2
	s_andn2_b64 s[20:21], s[20:21], exec
; %bb.71:
	s_or_b64 exec, exec, s[2:3]
	v_max_f64 v[14:15], |v[8:9]|, |v[8:9]|
	v_max_f64 v[22:23], |v[6:7]|, |v[6:7]|
	v_max_f64 v[14:15], v[22:23], v[14:15]
	v_frexp_exp_i32_f64_e32 v28, v[14:15]
	v_sub_u32_e32 v22, 0, v28
	v_ldexp_f64 v[14:15], |v[6:7]|, v22
	v_ldexp_f64 v[22:23], |v[8:9]|, v22
	v_mul_f64 v[22:23], v[22:23], v[22:23]
	v_fmac_f64_e32 v[22:23], v[14:15], v[14:15]
	v_rsq_f64_e32 v[14:15], v[22:23]
	v_cmp_eq_f64_e64 s[2:3], 0, v[22:23]
	s_movk_i32 s7, 0x204
	v_cmp_class_f64_e64 s[22:23], v[8:9], s7
	v_mul_f64 v[24:25], v[22:23], v[14:15]
	v_mul_f64 v[14:15], v[14:15], 0.5
	v_fma_f64 v[26:27], -v[14:15], v[24:25], 0.5
	v_fmac_f64_e32 v[24:25], v[24:25], v[26:27]
	v_fmac_f64_e32 v[14:15], v[14:15], v[26:27]
	v_fma_f64 v[26:27], -v[24:25], v[24:25], v[22:23]
	v_fmac_f64_e32 v[24:25], v[26:27], v[14:15]
	v_cndmask_b32_e64 v15, v25, v23, s[2:3]
	v_cndmask_b32_e64 v14, v24, v22, s[2:3]
	v_ldexp_f64 v[14:15], v[14:15], v28
	v_cmp_o_f64_e64 s[2:3], v[8:9], v[8:9]
	v_mov_b32_e32 v22, 0x7ff80000
	v_cmp_le_f64_e32 vcc, 0, v[6:7]
	v_cndmask_b32_e64 v14, 0, v14, s[2:3]
	v_cndmask_b32_e64 v15, v22, v15, s[2:3]
	v_cmp_class_f64_e64 s[2:3], v[6:7], s7
	v_mov_b32_e32 v22, 0x7ff00000
	s_or_b64 s[2:3], s[22:23], s[2:3]
	v_cndmask_b32_e64 v15, v15, v22, s[2:3]
	v_cndmask_b32_e64 v14, v14, 0, s[2:3]
                                        ; implicit-def: $vgpr22_vgpr23
                                        ; implicit-def: $vgpr24_vgpr25
	s_and_saveexec_b64 s[2:3], vcc
	s_xor_b64 s[2:3], exec, s[2:3]
	s_cbranch_execz .LBB219_73
; %bb.72:
	v_add_f64 v[6:7], v[6:7], v[14:15]
	s_mov_b32 s22, 0
	v_mul_f64 v[6:7], v[6:7], 0.5
	s_brev_b32 s23, 8
	v_mov_b32_e32 v14, 0x100
	v_cmp_gt_f64_e32 vcc, s[22:23], v[6:7]
	s_nop 1
	v_cndmask_b32_e32 v14, 0, v14, vcc
	v_ldexp_f64 v[6:7], v[6:7], v14
	v_rsq_f64_e32 v[14:15], v[6:7]
	s_nop 0
	v_mul_f64 v[22:23], v[6:7], v[14:15]
	v_mul_f64 v[14:15], v[14:15], 0.5
	v_fma_f64 v[24:25], -v[14:15], v[22:23], 0.5
	v_fmac_f64_e32 v[22:23], v[22:23], v[24:25]
	v_fma_f64 v[26:27], -v[22:23], v[22:23], v[6:7]
	v_fmac_f64_e32 v[14:15], v[14:15], v[24:25]
	v_fmac_f64_e32 v[22:23], v[26:27], v[14:15]
	v_fma_f64 v[24:25], -v[22:23], v[22:23], v[6:7]
	v_fmac_f64_e32 v[22:23], v[24:25], v[14:15]
	v_mov_b32_e32 v14, 0xffffff80
	v_cndmask_b32_e32 v14, 0, v14, vcc
	v_ldexp_f64 v[14:15], v[22:23], v14
	v_mov_b32_e32 v22, 0x260
	v_cmp_class_f64_e32 vcc, v[6:7], v22
	s_nop 1
	v_cndmask_b32_e32 v25, v15, v7, vcc
	v_cndmask_b32_e32 v24, v14, v6, vcc
	v_add_f64 v[6:7], v[24:25], v[24:25]
	v_div_scale_f64 v[14:15], s[22:23], v[6:7], v[6:7], v[8:9]
	v_rcp_f64_e32 v[22:23], v[14:15]
	s_nop 0
	v_fma_f64 v[26:27], -v[14:15], v[22:23], 1.0
	v_fmac_f64_e32 v[22:23], v[22:23], v[26:27]
	v_fma_f64 v[26:27], -v[14:15], v[22:23], 1.0
	v_fmac_f64_e32 v[22:23], v[22:23], v[26:27]
	v_div_scale_f64 v[26:27], vcc, v[8:9], v[6:7], v[8:9]
	v_mul_f64 v[28:29], v[26:27], v[22:23]
	v_fma_f64 v[14:15], -v[14:15], v[28:29], v[26:27]
	s_nop 1
	v_div_fmas_f64 v[14:15], v[14:15], v[22:23], v[28:29]
	v_div_fixup_f64 v[22:23], v[14:15], v[6:7], v[8:9]
                                        ; implicit-def: $vgpr14_vgpr15
                                        ; implicit-def: $vgpr6_vgpr7
	s_andn2_saveexec_b64 s[2:3], s[2:3]
	s_cbranch_execz .LBB219_75
	s_branch .LBB219_74
.LBB219_73:
	s_andn2_saveexec_b64 s[2:3], s[2:3]
	s_cbranch_execz .LBB219_75
.LBB219_74:
	v_add_f64 v[6:7], v[14:15], -v[6:7]
	s_mov_b32 s22, 0
	v_mul_f64 v[6:7], v[6:7], 0.5
	s_brev_b32 s23, 8
	v_mov_b32_e32 v14, 0x100
	v_cmp_gt_f64_e32 vcc, s[22:23], v[6:7]
	s_brev_b32 s7, -2
	s_nop 0
	v_cndmask_b32_e32 v14, 0, v14, vcc
	v_ldexp_f64 v[6:7], v[6:7], v14
	v_rsq_f64_e32 v[14:15], v[6:7]
	s_nop 0
	v_mul_f64 v[22:23], v[6:7], v[14:15]
	v_mul_f64 v[14:15], v[14:15], 0.5
	v_fma_f64 v[24:25], -v[14:15], v[22:23], 0.5
	v_fmac_f64_e32 v[22:23], v[22:23], v[24:25]
	v_fma_f64 v[26:27], -v[22:23], v[22:23], v[6:7]
	v_fmac_f64_e32 v[14:15], v[14:15], v[24:25]
	v_fmac_f64_e32 v[22:23], v[26:27], v[14:15]
	v_fma_f64 v[24:25], -v[22:23], v[22:23], v[6:7]
	v_fmac_f64_e32 v[22:23], v[24:25], v[14:15]
	v_mov_b32_e32 v14, 0xffffff80
	v_cndmask_b32_e32 v14, 0, v14, vcc
	v_ldexp_f64 v[14:15], v[22:23], v14
	v_mov_b32_e32 v22, 0x260
	v_cmp_class_f64_e32 vcc, v[6:7], v22
	s_nop 1
	v_cndmask_b32_e32 v23, v15, v7, vcc
	v_cndmask_b32_e32 v22, v14, v6, vcc
	v_add_f64 v[6:7], v[22:23], v[22:23]
	v_and_b32_e32 v15, 0x7fffffff, v9
	v_mov_b32_e32 v14, v8
	v_div_scale_f64 v[24:25], s[22:23], v[6:7], v[6:7], v[14:15]
	v_rcp_f64_e32 v[26:27], v[24:25]
	v_div_scale_f64 v[14:15], vcc, v[14:15], v[6:7], v[14:15]
	v_bfi_b32 v23, s7, v23, v9
	v_fma_f64 v[28:29], -v[24:25], v[26:27], 1.0
	v_fmac_f64_e32 v[26:27], v[26:27], v[28:29]
	v_fma_f64 v[28:29], -v[24:25], v[26:27], 1.0
	v_fmac_f64_e32 v[26:27], v[26:27], v[28:29]
	v_mul_f64 v[28:29], v[14:15], v[26:27]
	v_fma_f64 v[14:15], -v[24:25], v[28:29], v[14:15]
	v_div_fmas_f64 v[14:15], v[14:15], v[26:27], v[28:29]
	v_div_fixup_f64 v[24:25], v[14:15], v[6:7], |v[8:9]|
.LBB219_75:
	s_or_b64 exec, exec, s[2:3]
                                        ; implicit-def: $vgpr8_vgpr9
                                        ; implicit-def: $vgpr14_vgpr15
	s_and_saveexec_b64 s[2:3], s[0:1]
	s_xor_b64 s[0:1], exec, s[2:3]
	s_cbranch_execz .LBB219_77
; %bb.76:
	v_mul_f64 v[6:7], v[24:25], 0.5
	v_mul_f64 v[8:9], v[22:23], 0.5
	v_cndmask_b32_e64 v15, v25, v7, s[20:21]
	v_cndmask_b32_e64 v14, v24, v6, s[20:21]
	;; [unrolled: 1-line block ×4, first 2 shown]
                                        ; implicit-def: $vgpr24_vgpr25
                                        ; implicit-def: $vgpr22_vgpr23
	s_andn2_saveexec_b64 s[0:1], s[0:1]
	s_cbranch_execnz .LBB219_78
	s_branch .LBB219_79
.LBB219_77:
	s_andn2_saveexec_b64 s[0:1], s[0:1]
.LBB219_78:
	v_add_f64 v[14:15], v[24:25], v[24:25]
	v_add_f64 v[8:9], v[22:23], v[22:23]
.LBB219_79:
	s_or_b64 exec, exec, s[0:1]
.LBB219_80:
	s_andn2_saveexec_b64 s[0:1], s[18:19]
	s_cbranch_execz .LBB219_86
; %bb.81:
	v_add_f64 v[22:23], v[8:9], -v[8:9]
	v_cmp_lt_i64_e32 vcc, -1, v[6:7]
	s_brev_b32 s7, -2
	v_and_b32_e32 v15, 0x7fffffff, v23
	v_mov_b32_e32 v14, v22
	s_and_saveexec_b64 s[2:3], vcc
	s_xor_b64 s[2:3], exec, s[2:3]
; %bb.82:
	v_bfi_b32 v23, s7, v23, v9
	v_mov_b64_e32 v[8:9], v[22:23]
	v_mov_b64_e32 v[14:15], v[6:7]
; %bb.83:
	s_andn2_saveexec_b64 s[2:3], s[2:3]
; %bb.84:
	v_bfi_b32 v7, s7, v7, v9
	v_mov_b64_e32 v[8:9], v[6:7]
; %bb.85:
	s_or_b64 exec, exec, s[2:3]
.LBB219_86:
	s_or_b64 exec, exec, s[0:1]
.LBB219_87:
	s_andn2_saveexec_b64 s[0:1], s[16:17]
	s_cbranch_execz .LBB219_89
; %bb.88:
	v_add_f64 v[8:9], v[8:9], -v[8:9]
	v_div_scale_f64 v[14:15], vcc, v[8:9], v[8:9], v[8:9]
	v_rcp_f64_e32 v[22:23], v[14:15]
	s_nop 0
	v_fma_f64 v[24:25], -v[14:15], v[22:23], 1.0
	v_fmac_f64_e32 v[22:23], v[22:23], v[24:25]
	v_fma_f64 v[24:25], -v[14:15], v[22:23], 1.0
	v_fmac_f64_e32 v[22:23], v[22:23], v[24:25]
	v_mul_f64 v[24:25], v[14:15], v[22:23]
	v_fma_f64 v[14:15], -v[14:15], v[24:25], v[14:15]
	v_div_fmas_f64 v[14:15], v[14:15], v[22:23], v[24:25]
	v_div_fixup_f64 v[8:9], v[14:15], v[8:9], v[8:9]
	v_mov_b64_e32 v[14:15], v[6:7]
.LBB219_89:
	s_or_b64 exec, exec, s[0:1]
.LBB219_90:
	s_or_b64 exec, exec, s[14:15]
.LBB219_91:
	s_or_b64 exec, exec, s[12:13]
	v_cmp_neq_f64_e32 vcc, 0, v[2:3]
	v_cmp_neq_f64_e64 s[0:1], 0, v[4:5]
	s_or_b64 s[0:1], vcc, s[0:1]
	s_and_saveexec_b64 s[12:13], s[0:1]
	s_cbranch_execz .LBB219_121
; %bb.92:
	v_mov_b32_e32 v10, 0
	v_mov_b32_e32 v11, 0x7ff00000
	v_cmp_neq_f64_e64 s[0:1], |v[4:5]|, v[10:11]
	s_and_saveexec_b64 s[14:15], s[0:1]
	s_cbranch_execz .LBB219_120
; %bb.93:
	v_cmp_o_f64_e32 vcc, v[2:3], v[2:3]
                                        ; implicit-def: $vgpr10_vgpr11
	s_and_saveexec_b64 s[0:1], vcc
	s_xor_b64 s[16:17], exec, s[0:1]
	s_cbranch_execz .LBB219_117
; %bb.94:
	s_mov_b32 s0, 0
	s_mov_b32 s1, 0x7ff00000
	v_cmp_neq_f64_e64 s[0:1], |v[2:3]|, s[0:1]
                                        ; implicit-def: $vgpr10_vgpr11
	s_and_saveexec_b64 s[2:3], s[0:1]
	s_xor_b64 s[18:19], exec, s[2:3]
	s_cbranch_execz .LBB219_110
; %bb.95:
	v_max_f64 v[6:7], |v[4:5]|, |v[4:5]|
	v_max_f64 v[10:11], |v[2:3]|, |v[2:3]|
	s_mov_b32 s0, 0x99fcef32
	v_max_f64 v[6:7], v[10:11], v[6:7]
	s_mov_b32 s1, 0x7fda8279
	v_cmp_nle_f64_e64 s[0:1], s[0:1], v[6:7]
                                        ; implicit-def: $sgpr20_sgpr21
	s_and_saveexec_b64 s[2:3], s[0:1]
	s_xor_b64 s[2:3], exec, s[2:3]
	s_cbranch_execz .LBB219_99
; %bb.96:
	s_mov_b32 s20, 0
	s_mov_b32 s21, 0x200000
	v_cmp_le_f64_e64 s[22:23], |v[2:3]|, s[20:21]
	v_cmp_le_f64_e64 s[20:21], |v[4:5]|, s[20:21]
	s_and_b64 s[26:27], s[22:23], s[20:21]
	s_mov_b64 s[20:21], 0
	s_and_saveexec_b64 s[22:23], s[26:27]
; %bb.97:
	s_mov_b64 s[20:21], exec
	v_mul_f64 v[4:5], v[4:5], 4.0
	v_mul_f64 v[2:3], v[2:3], 4.0
; %bb.98:
	s_or_b64 exec, exec, s[22:23]
.LBB219_99:
	s_andn2_saveexec_b64 s[2:3], s[2:3]
; %bb.100:
	v_ldexp_f64 v[2:3], v[2:3], -2
	v_ldexp_f64 v[4:5], v[4:5], -2
	s_andn2_b64 s[20:21], s[20:21], exec
; %bb.101:
	s_or_b64 exec, exec, s[2:3]
	v_max_f64 v[6:7], |v[4:5]|, |v[4:5]|
	v_max_f64 v[10:11], |v[2:3]|, |v[2:3]|
	v_max_f64 v[6:7], v[10:11], v[6:7]
	v_frexp_exp_i32_f64_e32 v26, v[6:7]
	v_sub_u32_e32 v10, 0, v26
	v_ldexp_f64 v[6:7], |v[2:3]|, v10
	v_ldexp_f64 v[10:11], |v[4:5]|, v10
	v_mul_f64 v[10:11], v[10:11], v[10:11]
	v_fmac_f64_e32 v[10:11], v[6:7], v[6:7]
	v_rsq_f64_e32 v[6:7], v[10:11]
	v_cmp_eq_f64_e64 s[2:3], 0, v[10:11]
	s_movk_i32 s7, 0x204
	v_cmp_class_f64_e64 s[22:23], v[4:5], s7
	v_mul_f64 v[22:23], v[10:11], v[6:7]
	v_mul_f64 v[6:7], v[6:7], 0.5
	v_fma_f64 v[24:25], -v[6:7], v[22:23], 0.5
	v_fmac_f64_e32 v[22:23], v[22:23], v[24:25]
	v_fmac_f64_e32 v[6:7], v[6:7], v[24:25]
	v_fma_f64 v[24:25], -v[22:23], v[22:23], v[10:11]
	v_fmac_f64_e32 v[22:23], v[24:25], v[6:7]
	v_cndmask_b32_e64 v7, v23, v11, s[2:3]
	v_cndmask_b32_e64 v6, v22, v10, s[2:3]
	v_ldexp_f64 v[6:7], v[6:7], v26
	v_cmp_o_f64_e64 s[2:3], v[4:5], v[4:5]
	v_mov_b32_e32 v10, 0x7ff80000
	v_cmp_le_f64_e32 vcc, 0, v[2:3]
	v_cndmask_b32_e64 v6, 0, v6, s[2:3]
	v_cndmask_b32_e64 v7, v10, v7, s[2:3]
	v_cmp_class_f64_e64 s[2:3], v[2:3], s7
	v_mov_b32_e32 v10, 0x7ff00000
	s_or_b64 s[2:3], s[22:23], s[2:3]
	v_cndmask_b32_e64 v11, v7, v10, s[2:3]
	v_cndmask_b32_e64 v10, v6, 0, s[2:3]
                                        ; implicit-def: $vgpr6_vgpr7
                                        ; implicit-def: $vgpr22_vgpr23
	s_and_saveexec_b64 s[2:3], vcc
	s_xor_b64 s[2:3], exec, s[2:3]
	s_cbranch_execz .LBB219_103
; %bb.102:
	v_add_f64 v[2:3], v[2:3], v[10:11]
	s_mov_b32 s22, 0
	v_mul_f64 v[2:3], v[2:3], 0.5
	s_brev_b32 s23, 8
	v_mov_b32_e32 v6, 0x100
	v_cmp_gt_f64_e32 vcc, s[22:23], v[2:3]
	s_nop 1
	v_cndmask_b32_e32 v6, 0, v6, vcc
	v_ldexp_f64 v[2:3], v[2:3], v6
	v_rsq_f64_e32 v[6:7], v[2:3]
	s_nop 0
	v_mul_f64 v[10:11], v[2:3], v[6:7]
	v_mul_f64 v[6:7], v[6:7], 0.5
	v_fma_f64 v[22:23], -v[6:7], v[10:11], 0.5
	v_fmac_f64_e32 v[10:11], v[10:11], v[22:23]
	v_fma_f64 v[24:25], -v[10:11], v[10:11], v[2:3]
	v_fmac_f64_e32 v[6:7], v[6:7], v[22:23]
	v_fmac_f64_e32 v[10:11], v[24:25], v[6:7]
	v_fma_f64 v[22:23], -v[10:11], v[10:11], v[2:3]
	v_fmac_f64_e32 v[10:11], v[22:23], v[6:7]
	v_mov_b32_e32 v6, 0xffffff80
	v_cndmask_b32_e32 v6, 0, v6, vcc
	v_ldexp_f64 v[6:7], v[10:11], v6
	v_mov_b32_e32 v10, 0x260
	v_cmp_class_f64_e32 vcc, v[2:3], v10
	s_nop 1
	v_cndmask_b32_e32 v23, v7, v3, vcc
	v_cndmask_b32_e32 v22, v6, v2, vcc
	v_add_f64 v[2:3], v[22:23], v[22:23]
	v_div_scale_f64 v[6:7], s[22:23], v[2:3], v[2:3], v[4:5]
	v_rcp_f64_e32 v[10:11], v[6:7]
	s_nop 0
	v_fma_f64 v[24:25], -v[6:7], v[10:11], 1.0
	v_fmac_f64_e32 v[10:11], v[10:11], v[24:25]
	v_fma_f64 v[24:25], -v[6:7], v[10:11], 1.0
	v_fmac_f64_e32 v[10:11], v[10:11], v[24:25]
	v_div_scale_f64 v[24:25], vcc, v[4:5], v[2:3], v[4:5]
	v_mul_f64 v[26:27], v[24:25], v[10:11]
	v_fma_f64 v[6:7], -v[6:7], v[26:27], v[24:25]
	s_nop 1
	v_div_fmas_f64 v[6:7], v[6:7], v[10:11], v[26:27]
	v_div_fixup_f64 v[6:7], v[6:7], v[2:3], v[4:5]
                                        ; implicit-def: $vgpr10_vgpr11
                                        ; implicit-def: $vgpr2_vgpr3
	s_andn2_saveexec_b64 s[2:3], s[2:3]
	s_cbranch_execz .LBB219_105
	s_branch .LBB219_104
.LBB219_103:
	s_andn2_saveexec_b64 s[2:3], s[2:3]
	s_cbranch_execz .LBB219_105
.LBB219_104:
	v_add_f64 v[2:3], v[10:11], -v[2:3]
	s_mov_b32 s22, 0
	v_mul_f64 v[2:3], v[2:3], 0.5
	s_brev_b32 s23, 8
	v_mov_b32_e32 v6, 0x100
	v_cmp_gt_f64_e32 vcc, s[22:23], v[2:3]
	s_brev_b32 s7, -2
	s_nop 0
	v_cndmask_b32_e32 v6, 0, v6, vcc
	v_ldexp_f64 v[2:3], v[2:3], v6
	v_rsq_f64_e32 v[6:7], v[2:3]
	s_nop 0
	v_mul_f64 v[10:11], v[2:3], v[6:7]
	v_mul_f64 v[6:7], v[6:7], 0.5
	v_fma_f64 v[22:23], -v[6:7], v[10:11], 0.5
	v_fmac_f64_e32 v[10:11], v[10:11], v[22:23]
	v_fma_f64 v[24:25], -v[10:11], v[10:11], v[2:3]
	v_fmac_f64_e32 v[6:7], v[6:7], v[22:23]
	v_fmac_f64_e32 v[10:11], v[24:25], v[6:7]
	v_fma_f64 v[22:23], -v[10:11], v[10:11], v[2:3]
	v_fmac_f64_e32 v[10:11], v[22:23], v[6:7]
	v_mov_b32_e32 v6, 0xffffff80
	v_cndmask_b32_e32 v6, 0, v6, vcc
	v_ldexp_f64 v[6:7], v[10:11], v6
	v_mov_b32_e32 v10, 0x260
	v_cmp_class_f64_e32 vcc, v[2:3], v10
	v_and_b32_e32 v11, 0x7fffffff, v5
	v_mov_b32_e32 v10, v4
	v_cndmask_b32_e32 v7, v7, v3, vcc
	v_cndmask_b32_e32 v6, v6, v2, vcc
	v_add_f64 v[2:3], v[6:7], v[6:7]
	v_div_scale_f64 v[22:23], s[22:23], v[2:3], v[2:3], v[10:11]
	v_rcp_f64_e32 v[24:25], v[22:23]
	v_div_scale_f64 v[10:11], vcc, v[10:11], v[2:3], v[10:11]
	v_bfi_b32 v7, s7, v7, v5
	v_fma_f64 v[26:27], -v[22:23], v[24:25], 1.0
	v_fmac_f64_e32 v[24:25], v[24:25], v[26:27]
	v_fma_f64 v[26:27], -v[22:23], v[24:25], 1.0
	v_fmac_f64_e32 v[24:25], v[24:25], v[26:27]
	v_mul_f64 v[26:27], v[10:11], v[24:25]
	v_fma_f64 v[10:11], -v[22:23], v[26:27], v[10:11]
	v_div_fmas_f64 v[10:11], v[10:11], v[24:25], v[26:27]
	v_div_fixup_f64 v[22:23], v[10:11], v[2:3], |v[4:5]|
.LBB219_105:
	s_or_b64 exec, exec, s[2:3]
                                        ; implicit-def: $vgpr4_vgpr5
                                        ; implicit-def: $vgpr10_vgpr11
	s_and_saveexec_b64 s[2:3], s[0:1]
	s_xor_b64 s[0:1], exec, s[2:3]
	s_cbranch_execz .LBB219_107
; %bb.106:
	v_mul_f64 v[2:3], v[22:23], 0.5
	v_mul_f64 v[4:5], v[6:7], 0.5
	v_cndmask_b32_e64 v11, v23, v3, s[20:21]
	v_cndmask_b32_e64 v10, v22, v2, s[20:21]
	;; [unrolled: 1-line block ×4, first 2 shown]
                                        ; implicit-def: $vgpr22_vgpr23
                                        ; implicit-def: $vgpr6_vgpr7
	s_andn2_saveexec_b64 s[0:1], s[0:1]
	s_cbranch_execnz .LBB219_108
	s_branch .LBB219_109
.LBB219_107:
	s_andn2_saveexec_b64 s[0:1], s[0:1]
.LBB219_108:
	v_add_f64 v[10:11], v[22:23], v[22:23]
	v_add_f64 v[4:5], v[6:7], v[6:7]
.LBB219_109:
	s_or_b64 exec, exec, s[0:1]
.LBB219_110:
	s_andn2_saveexec_b64 s[0:1], s[18:19]
	s_cbranch_execz .LBB219_116
; %bb.111:
	v_add_f64 v[6:7], v[4:5], -v[4:5]
	v_cmp_lt_i64_e32 vcc, -1, v[2:3]
	s_brev_b32 s7, -2
	v_and_b32_e32 v11, 0x7fffffff, v7
	v_mov_b32_e32 v10, v6
	s_and_saveexec_b64 s[2:3], vcc
	s_xor_b64 s[2:3], exec, s[2:3]
; %bb.112:
	v_bfi_b32 v7, s7, v7, v5
	v_mov_b64_e32 v[4:5], v[6:7]
	v_mov_b64_e32 v[10:11], v[2:3]
; %bb.113:
	s_andn2_saveexec_b64 s[2:3], s[2:3]
; %bb.114:
	v_bfi_b32 v3, s7, v3, v5
	v_mov_b64_e32 v[4:5], v[2:3]
; %bb.115:
	s_or_b64 exec, exec, s[2:3]
.LBB219_116:
	s_or_b64 exec, exec, s[0:1]
.LBB219_117:
	s_andn2_saveexec_b64 s[0:1], s[16:17]
	s_cbranch_execz .LBB219_119
; %bb.118:
	v_add_f64 v[4:5], v[4:5], -v[4:5]
	v_div_scale_f64 v[6:7], vcc, v[4:5], v[4:5], v[4:5]
	v_rcp_f64_e32 v[10:11], v[6:7]
	s_nop 0
	v_fma_f64 v[22:23], -v[6:7], v[10:11], 1.0
	v_fmac_f64_e32 v[10:11], v[10:11], v[22:23]
	v_fma_f64 v[22:23], -v[6:7], v[10:11], 1.0
	v_fmac_f64_e32 v[10:11], v[10:11], v[22:23]
	v_mul_f64 v[22:23], v[6:7], v[10:11]
	v_fma_f64 v[6:7], -v[6:7], v[22:23], v[6:7]
	v_div_fmas_f64 v[6:7], v[6:7], v[10:11], v[22:23]
	v_div_fixup_f64 v[4:5], v[6:7], v[4:5], v[4:5]
	v_mov_b64_e32 v[10:11], v[2:3]
.LBB219_119:
	s_or_b64 exec, exec, s[0:1]
.LBB219_120:
	s_or_b64 exec, exec, s[14:15]
.LBB219_121:
	s_or_b64 exec, exec, s[12:13]
	s_add_u32 s0, s8, s4
	s_addc_u32 s1, s9, s5
	v_mov_b32_e32 v22, v16
	v_mov_b32_e32 v23, v17
	global_store_dwordx4 v1, v[20:23], s[0:1]
	v_mov_b32_e32 v16, v8
	v_mov_b32_e32 v17, v9
	v_mov_b32_e32 v20, v12
	v_mov_b32_e32 v21, v13
	v_mov_b32_e32 v12, v4
	v_mov_b32_e32 v13, v5
	global_store_dwordx4 v1, v[18:21], s[0:1] offset:16
	global_store_dwordx4 v1, v[14:17], s[0:1] offset:32
	;; [unrolled: 1-line block ×3, first 2 shown]
	s_mov_b64 s[0:1], 0
.LBB219_122:
	s_and_b64 vcc, exec, s[0:1]
	s_cbranch_vccz .LBB219_267
; %bb.123:
	v_cmp_gt_i32_e64 s[0:1], s24, v0
	v_mov_b64_e32 v[18:19], 0
	v_or_b32_e32 v26, s6, v0
	v_mov_b64_e32 v[22:23], 0
	v_mov_b64_e32 v[24:25], 0
	v_mov_b32_e32 v1, v0
	s_and_saveexec_b64 s[2:3], s[0:1]
	s_cbranch_execz .LBB219_125
; %bb.124:
	v_mov_b32_e32 v27, 0
	v_lshl_add_u64 v[2:3], v[26:27], 4, s[10:11]
	global_load_dwordx4 v[22:25], v[2:3], off
	v_or_b32_e32 v1, 0x100, v0
.LBB219_125:
	s_or_b64 exec, exec, s[2:3]
	v_cmp_gt_i32_e32 vcc, s24, v1
	v_mov_b64_e32 v[20:21], 0
	s_and_saveexec_b64 s[2:3], vcc
	s_cbranch_execz .LBB219_127
; %bb.126:
	v_add_u32_e32 v2, s6, v1
	v_mov_b32_e32 v3, 0
	v_lshl_add_u64 v[2:3], v[2:3], 4, s[10:11]
	global_load_dwordx4 v[18:21], v[2:3], off
	v_add_u32_e32 v1, 0x100, v1
.LBB219_127:
	s_or_b64 exec, exec, s[2:3]
	v_cmp_gt_i32_e32 vcc, s24, v1
	v_mov_b64_e32 v[2:3], 0
	v_mov_b64_e32 v[14:15], 0
	;; [unrolled: 1-line block ×3, first 2 shown]
	s_and_saveexec_b64 s[2:3], vcc
	s_cbranch_execz .LBB219_129
; %bb.128:
	v_add_u32_e32 v4, s6, v1
	v_mov_b32_e32 v5, 0
	v_lshl_add_u64 v[4:5], v[4:5], 4, s[10:11]
	global_load_dwordx4 v[14:17], v[4:5], off
	v_add_u32_e32 v1, 0x100, v1
.LBB219_129:
	s_or_b64 exec, exec, s[2:3]
	v_cmp_gt_i32_e32 vcc, s24, v1
	v_mov_b64_e32 v[4:5], 0
	s_and_saveexec_b64 s[2:3], vcc
	s_cbranch_execz .LBB219_131
; %bb.130:
	v_add_u32_e32 v2, s6, v1
	v_mov_b32_e32 v3, 0
	v_lshl_add_u64 v[2:3], v[2:3], 4, s[10:11]
	global_load_dwordx4 v[2:5], v[2:3], off
.LBB219_131:
	s_or_b64 exec, exec, s[2:3]
	v_mov_b64_e32 v[8:9], 0
	v_mov_b64_e32 v[12:13], 0
	;; [unrolled: 1-line block ×3, first 2 shown]
	s_and_saveexec_b64 s[10:11], s[0:1]
	s_cbranch_execz .LBB219_163
; %bb.132:
	s_waitcnt vmcnt(0)
	v_cmp_neq_f64_e32 vcc, 0, v[22:23]
	v_cmp_neq_f64_e64 s[2:3], 0, v[24:25]
	v_mov_b64_e32 v[10:11], 0
	s_or_b64 s[2:3], vcc, s[2:3]
	s_and_saveexec_b64 s[12:13], s[2:3]
	s_cbranch_execz .LBB219_162
; %bb.133:
	v_mov_b32_e32 v10, 0
	v_mov_b32_e32 v11, 0x7ff00000
	v_cmp_neq_f64_e64 s[2:3], |v[24:25]|, v[10:11]
	s_and_saveexec_b64 s[14:15], s[2:3]
	s_cbranch_execz .LBB219_161
; %bb.134:
	v_cmp_o_f64_e32 vcc, v[22:23], v[22:23]
                                        ; implicit-def: $vgpr10_vgpr11
	s_and_saveexec_b64 s[2:3], vcc
	s_xor_b64 s[16:17], exec, s[2:3]
	s_cbranch_execz .LBB219_158
; %bb.135:
	s_mov_b32 s2, 0
	s_mov_b32 s3, 0x7ff00000
	v_cmp_neq_f64_e64 s[2:3], |v[22:23]|, s[2:3]
                                        ; implicit-def: $vgpr10_vgpr11
	s_and_saveexec_b64 s[4:5], s[2:3]
	s_xor_b64 s[18:19], exec, s[4:5]
	s_cbranch_execz .LBB219_151
; %bb.136:
	v_max_f64 v[6:7], |v[24:25]|, |v[24:25]|
	v_max_f64 v[10:11], |v[22:23]|, |v[22:23]|
	s_mov_b32 s2, 0x99fcef32
	v_max_f64 v[6:7], v[10:11], v[6:7]
	s_mov_b32 s3, 0x7fda8279
	v_cmp_nle_f64_e64 s[2:3], s[2:3], v[6:7]
                                        ; implicit-def: $sgpr20_sgpr21
	s_and_saveexec_b64 s[4:5], s[2:3]
	s_xor_b64 s[4:5], exec, s[4:5]
	s_cbranch_execz .LBB219_140
; %bb.137:
	s_mov_b32 s20, 0
	s_mov_b32 s21, 0x200000
	v_cmp_le_f64_e64 s[22:23], |v[22:23]|, s[20:21]
	v_cmp_le_f64_e64 s[20:21], |v[24:25]|, s[20:21]
	s_and_b64 s[26:27], s[22:23], s[20:21]
	s_mov_b64 s[20:21], 0
	s_and_saveexec_b64 s[22:23], s[26:27]
; %bb.138:
	s_mov_b64 s[20:21], exec
	v_mul_f64 v[24:25], v[24:25], 4.0
	v_mul_f64 v[22:23], v[22:23], 4.0
; %bb.139:
	s_or_b64 exec, exec, s[22:23]
.LBB219_140:
	s_andn2_saveexec_b64 s[4:5], s[4:5]
; %bb.141:
	v_ldexp_f64 v[22:23], v[22:23], -2
	v_ldexp_f64 v[24:25], v[24:25], -2
	s_andn2_b64 s[20:21], s[20:21], exec
; %bb.142:
	s_or_b64 exec, exec, s[4:5]
	v_max_f64 v[6:7], |v[24:25]|, |v[24:25]|
	v_max_f64 v[10:11], |v[22:23]|, |v[22:23]|
	v_max_f64 v[6:7], v[10:11], v[6:7]
	v_frexp_exp_i32_f64_e32 v1, v[6:7]
	v_sub_u32_e32 v10, 0, v1
	v_ldexp_f64 v[6:7], |v[22:23]|, v10
	v_ldexp_f64 v[10:11], |v[24:25]|, v10
	v_mul_f64 v[10:11], v[10:11], v[10:11]
	v_fmac_f64_e32 v[10:11], v[6:7], v[6:7]
	v_rsq_f64_e32 v[6:7], v[10:11]
	v_cmp_eq_f64_e64 s[4:5], 0, v[10:11]
	s_movk_i32 s7, 0x204
	v_cmp_class_f64_e64 s[22:23], v[24:25], s7
	v_mul_f64 v[12:13], v[10:11], v[6:7]
	v_mul_f64 v[6:7], v[6:7], 0.5
	v_fma_f64 v[28:29], -v[6:7], v[12:13], 0.5
	v_fmac_f64_e32 v[12:13], v[12:13], v[28:29]
	v_fmac_f64_e32 v[6:7], v[6:7], v[28:29]
	v_fma_f64 v[28:29], -v[12:13], v[12:13], v[10:11]
	v_fmac_f64_e32 v[12:13], v[28:29], v[6:7]
	v_cndmask_b32_e64 v7, v13, v11, s[4:5]
	v_cndmask_b32_e64 v6, v12, v10, s[4:5]
	v_ldexp_f64 v[6:7], v[6:7], v1
	v_cmp_o_f64_e64 s[4:5], v[24:25], v[24:25]
	v_cmp_le_f64_e32 vcc, 0, v[22:23]
                                        ; implicit-def: $vgpr12_vgpr13
	s_nop 0
	v_cndmask_b32_e64 v1, 0, v6, s[4:5]
	v_mov_b32_e32 v6, 0x7ff80000
	v_cndmask_b32_e64 v6, v6, v7, s[4:5]
	v_cmp_class_f64_e64 s[4:5], v[22:23], s7
	v_mov_b32_e32 v7, 0x7ff00000
	s_or_b64 s[4:5], s[22:23], s[4:5]
	v_cndmask_b32_e64 v11, v6, v7, s[4:5]
	v_cndmask_b32_e64 v10, v1, 0, s[4:5]
                                        ; implicit-def: $vgpr6_vgpr7
	s_and_saveexec_b64 s[4:5], vcc
	s_xor_b64 s[4:5], exec, s[4:5]
	s_cbranch_execz .LBB219_144
; %bb.143:
	v_add_f64 v[6:7], v[22:23], v[10:11]
	s_mov_b32 s22, 0
	v_mul_f64 v[6:7], v[6:7], 0.5
	s_brev_b32 s23, 8
	v_mov_b32_e32 v1, 0x100
	v_cmp_gt_f64_e32 vcc, s[22:23], v[6:7]
	s_nop 1
	v_cndmask_b32_e32 v1, 0, v1, vcc
	v_ldexp_f64 v[6:7], v[6:7], v1
	v_rsq_f64_e32 v[10:11], v[6:7]
	v_mov_b32_e32 v1, 0xffffff80
	v_cndmask_b32_e32 v1, 0, v1, vcc
	v_mul_f64 v[12:13], v[6:7], v[10:11]
	v_mul_f64 v[10:11], v[10:11], 0.5
	v_fma_f64 v[22:23], -v[10:11], v[12:13], 0.5
	v_fmac_f64_e32 v[12:13], v[12:13], v[22:23]
	v_fma_f64 v[28:29], -v[12:13], v[12:13], v[6:7]
	v_fmac_f64_e32 v[10:11], v[10:11], v[22:23]
	v_fmac_f64_e32 v[12:13], v[28:29], v[10:11]
	v_fma_f64 v[22:23], -v[12:13], v[12:13], v[6:7]
	v_fmac_f64_e32 v[12:13], v[22:23], v[10:11]
	v_ldexp_f64 v[10:11], v[12:13], v1
	v_mov_b32_e32 v1, 0x260
	v_cmp_class_f64_e32 vcc, v[6:7], v1
	s_nop 1
	v_cndmask_b32_e32 v13, v11, v7, vcc
	v_cndmask_b32_e32 v12, v10, v6, vcc
	v_add_f64 v[6:7], v[12:13], v[12:13]
	v_div_scale_f64 v[10:11], s[22:23], v[6:7], v[6:7], v[24:25]
	v_rcp_f64_e32 v[22:23], v[10:11]
	s_nop 0
	v_fma_f64 v[28:29], -v[10:11], v[22:23], 1.0
	v_fmac_f64_e32 v[22:23], v[22:23], v[28:29]
	v_fma_f64 v[28:29], -v[10:11], v[22:23], 1.0
	v_fmac_f64_e32 v[22:23], v[22:23], v[28:29]
	v_div_scale_f64 v[28:29], vcc, v[24:25], v[6:7], v[24:25]
	v_mul_f64 v[30:31], v[28:29], v[22:23]
	v_fma_f64 v[10:11], -v[10:11], v[30:31], v[28:29]
	s_nop 1
	v_div_fmas_f64 v[10:11], v[10:11], v[22:23], v[30:31]
	v_div_fixup_f64 v[6:7], v[10:11], v[6:7], v[24:25]
                                        ; implicit-def: $vgpr10_vgpr11
                                        ; implicit-def: $vgpr22_vgpr23
	s_andn2_saveexec_b64 s[4:5], s[4:5]
	s_cbranch_execz .LBB219_146
	s_branch .LBB219_145
.LBB219_144:
	s_andn2_saveexec_b64 s[4:5], s[4:5]
	s_cbranch_execz .LBB219_146
.LBB219_145:
	v_add_f64 v[6:7], v[10:11], -v[22:23]
	s_mov_b32 s22, 0
	v_mul_f64 v[6:7], v[6:7], 0.5
	s_brev_b32 s23, 8
	v_mov_b32_e32 v1, 0x100
	v_cmp_gt_f64_e32 vcc, s[22:23], v[6:7]
	s_brev_b32 s7, -2
	s_nop 0
	v_cndmask_b32_e32 v1, 0, v1, vcc
	v_ldexp_f64 v[6:7], v[6:7], v1
	v_rsq_f64_e32 v[10:11], v[6:7]
	v_mov_b32_e32 v1, 0xffffff80
	v_cndmask_b32_e32 v1, 0, v1, vcc
	v_mul_f64 v[12:13], v[6:7], v[10:11]
	v_mul_f64 v[10:11], v[10:11], 0.5
	v_fma_f64 v[22:23], -v[10:11], v[12:13], 0.5
	v_fmac_f64_e32 v[12:13], v[12:13], v[22:23]
	v_fma_f64 v[28:29], -v[12:13], v[12:13], v[6:7]
	v_fmac_f64_e32 v[10:11], v[10:11], v[22:23]
	v_fmac_f64_e32 v[12:13], v[28:29], v[10:11]
	v_fma_f64 v[22:23], -v[12:13], v[12:13], v[6:7]
	v_fmac_f64_e32 v[12:13], v[22:23], v[10:11]
	v_ldexp_f64 v[10:11], v[12:13], v1
	v_mov_b32_e32 v1, 0x260
	v_cmp_class_f64_e32 vcc, v[6:7], v1
	v_and_b32_e32 v13, 0x7fffffff, v25
	v_mov_b32_e32 v12, v24
	v_cndmask_b32_e32 v7, v11, v7, vcc
	v_cndmask_b32_e32 v6, v10, v6, vcc
	v_add_f64 v[10:11], v[6:7], v[6:7]
	v_div_scale_f64 v[22:23], s[22:23], v[10:11], v[10:11], v[12:13]
	v_rcp_f64_e32 v[28:29], v[22:23]
	v_div_scale_f64 v[12:13], vcc, v[12:13], v[10:11], v[12:13]
	v_bfi_b32 v7, s7, v7, v25
	v_fma_f64 v[30:31], -v[22:23], v[28:29], 1.0
	v_fmac_f64_e32 v[28:29], v[28:29], v[30:31]
	v_fma_f64 v[30:31], -v[22:23], v[28:29], 1.0
	v_fmac_f64_e32 v[28:29], v[28:29], v[30:31]
	v_mul_f64 v[30:31], v[12:13], v[28:29]
	v_fma_f64 v[12:13], -v[22:23], v[30:31], v[12:13]
	v_div_fmas_f64 v[12:13], v[12:13], v[28:29], v[30:31]
	v_div_fixup_f64 v[12:13], v[12:13], v[10:11], |v[24:25]|
.LBB219_146:
	s_or_b64 exec, exec, s[4:5]
                                        ; implicit-def: $vgpr10_vgpr11
                                        ; implicit-def: $vgpr24_vgpr25
	s_and_saveexec_b64 s[4:5], s[2:3]
	s_xor_b64 s[2:3], exec, s[4:5]
	s_cbranch_execz .LBB219_148
; %bb.147:
	v_mul_f64 v[10:11], v[12:13], 0.5
	v_mul_f64 v[22:23], v[6:7], 0.5
	v_cndmask_b32_e64 v11, v13, v11, s[20:21]
	v_cndmask_b32_e64 v10, v12, v10, s[20:21]
	;; [unrolled: 1-line block ×4, first 2 shown]
                                        ; implicit-def: $vgpr12_vgpr13
                                        ; implicit-def: $vgpr6_vgpr7
	s_andn2_saveexec_b64 s[2:3], s[2:3]
	s_cbranch_execnz .LBB219_149
	s_branch .LBB219_150
.LBB219_148:
	s_andn2_saveexec_b64 s[2:3], s[2:3]
.LBB219_149:
	v_add_f64 v[10:11], v[12:13], v[12:13]
	v_add_f64 v[24:25], v[6:7], v[6:7]
.LBB219_150:
	s_or_b64 exec, exec, s[2:3]
.LBB219_151:
	s_andn2_saveexec_b64 s[2:3], s[18:19]
	s_cbranch_execz .LBB219_157
; %bb.152:
	v_add_f64 v[6:7], v[24:25], -v[24:25]
	v_cmp_lt_i64_e32 vcc, -1, v[22:23]
	s_brev_b32 s7, -2
	v_and_b32_e32 v11, 0x7fffffff, v7
	v_mov_b32_e32 v10, v6
	s_and_saveexec_b64 s[4:5], vcc
	s_xor_b64 s[4:5], exec, s[4:5]
; %bb.153:
	v_bfi_b32 v7, s7, v7, v25
	v_mov_b64_e32 v[10:11], v[22:23]
	v_mov_b64_e32 v[24:25], v[6:7]
; %bb.154:
	s_andn2_saveexec_b64 s[4:5], s[4:5]
; %bb.155:
	v_bfi_b32 v23, s7, v23, v25
	v_mov_b64_e32 v[24:25], v[22:23]
; %bb.156:
	s_or_b64 exec, exec, s[4:5]
.LBB219_157:
	s_or_b64 exec, exec, s[2:3]
.LBB219_158:
	s_andn2_saveexec_b64 s[2:3], s[16:17]
	s_cbranch_execz .LBB219_160
; %bb.159:
	v_add_f64 v[6:7], v[24:25], -v[24:25]
	v_div_scale_f64 v[10:11], vcc, v[6:7], v[6:7], v[6:7]
	v_rcp_f64_e32 v[12:13], v[10:11]
	s_nop 0
	v_fma_f64 v[24:25], -v[10:11], v[12:13], 1.0
	v_fmac_f64_e32 v[12:13], v[12:13], v[24:25]
	v_fma_f64 v[24:25], -v[10:11], v[12:13], 1.0
	v_fmac_f64_e32 v[12:13], v[12:13], v[24:25]
	v_mul_f64 v[24:25], v[10:11], v[12:13]
	v_fma_f64 v[10:11], -v[10:11], v[24:25], v[10:11]
	v_div_fmas_f64 v[10:11], v[10:11], v[12:13], v[24:25]
	v_div_fixup_f64 v[24:25], v[10:11], v[6:7], v[6:7]
	v_mov_b64_e32 v[10:11], v[22:23]
.LBB219_160:
	s_or_b64 exec, exec, s[2:3]
.LBB219_161:
	s_or_b64 exec, exec, s[14:15]
.LBB219_162:
	s_or_b64 exec, exec, s[12:13]
	v_mov_b64_e32 v[12:13], v[24:25]
.LBB219_163:
	s_or_b64 exec, exec, s[10:11]
	v_or_b32_e32 v1, 0x100, v0
	v_cmp_gt_i32_e32 vcc, s24, v1
	v_mov_b64_e32 v[6:7], 0
	s_and_saveexec_b64 s[10:11], vcc
	s_cbranch_execz .LBB219_195
; %bb.164:
	s_waitcnt vmcnt(0)
	v_cmp_neq_f64_e32 vcc, 0, v[18:19]
	v_cmp_neq_f64_e64 s[2:3], 0, v[20:21]
	v_mov_b64_e32 v[6:7], 0
	s_or_b64 s[2:3], vcc, s[2:3]
	s_and_saveexec_b64 s[12:13], s[2:3]
	s_cbranch_execz .LBB219_194
; %bb.165:
	v_mov_b32_e32 v6, 0
	v_mov_b32_e32 v7, 0x7ff00000
	v_cmp_neq_f64_e64 s[2:3], |v[20:21]|, v[6:7]
	s_and_saveexec_b64 s[14:15], s[2:3]
	s_cbranch_execz .LBB219_193
; %bb.166:
	v_cmp_o_f64_e32 vcc, v[18:19], v[18:19]
                                        ; implicit-def: $vgpr6_vgpr7
	s_and_saveexec_b64 s[2:3], vcc
	s_xor_b64 s[16:17], exec, s[2:3]
	s_cbranch_execz .LBB219_190
; %bb.167:
	s_mov_b32 s2, 0
	s_mov_b32 s3, 0x7ff00000
	v_cmp_neq_f64_e64 s[2:3], |v[18:19]|, s[2:3]
                                        ; implicit-def: $vgpr6_vgpr7
	s_and_saveexec_b64 s[4:5], s[2:3]
	s_xor_b64 s[18:19], exec, s[4:5]
	s_cbranch_execz .LBB219_183
; %bb.168:
	v_max_f64 v[6:7], |v[20:21]|, |v[20:21]|
	v_max_f64 v[8:9], |v[18:19]|, |v[18:19]|
	s_mov_b32 s2, 0x99fcef32
	v_max_f64 v[6:7], v[8:9], v[6:7]
	s_mov_b32 s3, 0x7fda8279
	v_cmp_nle_f64_e64 s[2:3], s[2:3], v[6:7]
                                        ; implicit-def: $sgpr20_sgpr21
	s_and_saveexec_b64 s[4:5], s[2:3]
	s_xor_b64 s[4:5], exec, s[4:5]
	s_cbranch_execz .LBB219_172
; %bb.169:
	s_mov_b32 s20, 0
	s_mov_b32 s21, 0x200000
	v_cmp_le_f64_e64 s[22:23], |v[18:19]|, s[20:21]
	v_cmp_le_f64_e64 s[20:21], |v[20:21]|, s[20:21]
	s_and_b64 s[26:27], s[22:23], s[20:21]
	s_mov_b64 s[20:21], 0
	s_and_saveexec_b64 s[22:23], s[26:27]
; %bb.170:
	s_mov_b64 s[20:21], exec
	v_mul_f64 v[20:21], v[20:21], 4.0
	v_mul_f64 v[18:19], v[18:19], 4.0
; %bb.171:
	s_or_b64 exec, exec, s[22:23]
.LBB219_172:
	s_andn2_saveexec_b64 s[4:5], s[4:5]
; %bb.173:
	v_ldexp_f64 v[18:19], v[18:19], -2
	v_ldexp_f64 v[20:21], v[20:21], -2
	s_andn2_b64 s[20:21], s[20:21], exec
; %bb.174:
	s_or_b64 exec, exec, s[4:5]
	v_max_f64 v[6:7], |v[20:21]|, |v[20:21]|
	v_max_f64 v[8:9], |v[18:19]|, |v[18:19]|
	v_max_f64 v[6:7], v[8:9], v[6:7]
	v_frexp_exp_i32_f64_e32 v27, v[6:7]
	v_sub_u32_e32 v8, 0, v27
	v_ldexp_f64 v[6:7], |v[18:19]|, v8
	v_ldexp_f64 v[8:9], |v[20:21]|, v8
	v_mul_f64 v[8:9], v[8:9], v[8:9]
	v_fmac_f64_e32 v[8:9], v[6:7], v[6:7]
	v_rsq_f64_e32 v[6:7], v[8:9]
	v_cmp_eq_f64_e64 s[4:5], 0, v[8:9]
	s_movk_i32 s7, 0x204
	v_cmp_class_f64_e64 s[22:23], v[20:21], s7
	v_mul_f64 v[22:23], v[8:9], v[6:7]
	v_mul_f64 v[6:7], v[6:7], 0.5
	v_fma_f64 v[24:25], -v[6:7], v[22:23], 0.5
	v_fmac_f64_e32 v[22:23], v[22:23], v[24:25]
	v_fmac_f64_e32 v[6:7], v[6:7], v[24:25]
	v_fma_f64 v[24:25], -v[22:23], v[22:23], v[8:9]
	v_fmac_f64_e32 v[22:23], v[24:25], v[6:7]
	v_cndmask_b32_e64 v7, v23, v9, s[4:5]
	v_cndmask_b32_e64 v6, v22, v8, s[4:5]
	v_ldexp_f64 v[6:7], v[6:7], v27
	v_cmp_o_f64_e64 s[4:5], v[20:21], v[20:21]
	v_mov_b32_e32 v8, 0x7ff80000
	v_cmp_le_f64_e32 vcc, 0, v[18:19]
	v_cndmask_b32_e64 v6, 0, v6, s[4:5]
	v_cndmask_b32_e64 v7, v8, v7, s[4:5]
	v_cmp_class_f64_e64 s[4:5], v[18:19], s7
	v_mov_b32_e32 v8, 0x7ff00000
	s_or_b64 s[4:5], s[22:23], s[4:5]
	v_cndmask_b32_e64 v7, v7, v8, s[4:5]
	v_cndmask_b32_e64 v6, v6, 0, s[4:5]
                                        ; implicit-def: $vgpr8_vgpr9
                                        ; implicit-def: $vgpr22_vgpr23
	s_and_saveexec_b64 s[4:5], vcc
	s_xor_b64 s[4:5], exec, s[4:5]
	s_cbranch_execz .LBB219_176
; %bb.175:
	v_add_f64 v[6:7], v[18:19], v[6:7]
	s_mov_b32 s22, 0
	v_mul_f64 v[6:7], v[6:7], 0.5
	s_brev_b32 s23, 8
	v_mov_b32_e32 v8, 0x100
	v_cmp_gt_f64_e32 vcc, s[22:23], v[6:7]
	s_nop 1
	v_cndmask_b32_e32 v8, 0, v8, vcc
	v_ldexp_f64 v[6:7], v[6:7], v8
	v_rsq_f64_e32 v[8:9], v[6:7]
	s_nop 0
	v_mul_f64 v[18:19], v[6:7], v[8:9]
	v_mul_f64 v[8:9], v[8:9], 0.5
	v_fma_f64 v[22:23], -v[8:9], v[18:19], 0.5
	v_fmac_f64_e32 v[18:19], v[18:19], v[22:23]
	v_fma_f64 v[24:25], -v[18:19], v[18:19], v[6:7]
	v_fmac_f64_e32 v[8:9], v[8:9], v[22:23]
	v_fmac_f64_e32 v[18:19], v[24:25], v[8:9]
	v_fma_f64 v[22:23], -v[18:19], v[18:19], v[6:7]
	v_fmac_f64_e32 v[18:19], v[22:23], v[8:9]
	v_mov_b32_e32 v8, 0xffffff80
	v_cndmask_b32_e32 v8, 0, v8, vcc
	v_ldexp_f64 v[8:9], v[18:19], v8
	v_mov_b32_e32 v18, 0x260
	v_cmp_class_f64_e32 vcc, v[6:7], v18
	s_nop 1
	v_cndmask_b32_e32 v23, v9, v7, vcc
	v_cndmask_b32_e32 v22, v8, v6, vcc
	v_add_f64 v[6:7], v[22:23], v[22:23]
	v_div_scale_f64 v[8:9], s[22:23], v[6:7], v[6:7], v[20:21]
	v_rcp_f64_e32 v[18:19], v[8:9]
	s_nop 0
	v_fma_f64 v[24:25], -v[8:9], v[18:19], 1.0
	v_fmac_f64_e32 v[18:19], v[18:19], v[24:25]
	v_fma_f64 v[24:25], -v[8:9], v[18:19], 1.0
	v_fmac_f64_e32 v[18:19], v[18:19], v[24:25]
	v_div_scale_f64 v[24:25], vcc, v[20:21], v[6:7], v[20:21]
	v_mul_f64 v[28:29], v[24:25], v[18:19]
	v_fma_f64 v[8:9], -v[8:9], v[28:29], v[24:25]
	s_nop 1
	v_div_fmas_f64 v[8:9], v[8:9], v[18:19], v[28:29]
	v_div_fixup_f64 v[8:9], v[8:9], v[6:7], v[20:21]
                                        ; implicit-def: $vgpr6_vgpr7
                                        ; implicit-def: $vgpr18_vgpr19
	s_andn2_saveexec_b64 s[4:5], s[4:5]
	s_cbranch_execz .LBB219_178
	s_branch .LBB219_177
.LBB219_176:
	s_andn2_saveexec_b64 s[4:5], s[4:5]
	s_cbranch_execz .LBB219_178
.LBB219_177:
	v_add_f64 v[6:7], v[6:7], -v[18:19]
	s_mov_b32 s22, 0
	v_mul_f64 v[6:7], v[6:7], 0.5
	s_brev_b32 s23, 8
	v_mov_b32_e32 v8, 0x100
	v_cmp_gt_f64_e32 vcc, s[22:23], v[6:7]
	s_brev_b32 s7, -2
	s_nop 0
	v_cndmask_b32_e32 v8, 0, v8, vcc
	v_ldexp_f64 v[6:7], v[6:7], v8
	v_rsq_f64_e32 v[8:9], v[6:7]
	s_nop 0
	v_mul_f64 v[18:19], v[6:7], v[8:9]
	v_mul_f64 v[8:9], v[8:9], 0.5
	v_fma_f64 v[22:23], -v[8:9], v[18:19], 0.5
	v_fmac_f64_e32 v[18:19], v[18:19], v[22:23]
	v_fma_f64 v[24:25], -v[18:19], v[18:19], v[6:7]
	v_fmac_f64_e32 v[8:9], v[8:9], v[22:23]
	v_fmac_f64_e32 v[18:19], v[24:25], v[8:9]
	v_fma_f64 v[22:23], -v[18:19], v[18:19], v[6:7]
	v_fmac_f64_e32 v[18:19], v[22:23], v[8:9]
	v_mov_b32_e32 v8, 0xffffff80
	v_cndmask_b32_e32 v8, 0, v8, vcc
	v_ldexp_f64 v[8:9], v[18:19], v8
	v_mov_b32_e32 v18, 0x260
	v_cmp_class_f64_e32 vcc, v[6:7], v18
	v_and_b32_e32 v19, 0x7fffffff, v21
	v_mov_b32_e32 v18, v20
	v_cndmask_b32_e32 v9, v9, v7, vcc
	v_cndmask_b32_e32 v8, v8, v6, vcc
	v_add_f64 v[6:7], v[8:9], v[8:9]
	v_div_scale_f64 v[22:23], s[22:23], v[6:7], v[6:7], v[18:19]
	v_rcp_f64_e32 v[24:25], v[22:23]
	v_div_scale_f64 v[18:19], vcc, v[18:19], v[6:7], v[18:19]
	v_bfi_b32 v9, s7, v9, v21
	v_fma_f64 v[28:29], -v[22:23], v[24:25], 1.0
	v_fmac_f64_e32 v[24:25], v[24:25], v[28:29]
	v_fma_f64 v[28:29], -v[22:23], v[24:25], 1.0
	v_fmac_f64_e32 v[24:25], v[24:25], v[28:29]
	v_mul_f64 v[28:29], v[18:19], v[24:25]
	v_fma_f64 v[18:19], -v[22:23], v[28:29], v[18:19]
	v_div_fmas_f64 v[18:19], v[18:19], v[24:25], v[28:29]
	v_div_fixup_f64 v[22:23], v[18:19], v[6:7], |v[20:21]|
.LBB219_178:
	s_or_b64 exec, exec, s[4:5]
                                        ; implicit-def: $vgpr6_vgpr7
                                        ; implicit-def: $vgpr20_vgpr21
	s_and_saveexec_b64 s[4:5], s[2:3]
	s_xor_b64 s[2:3], exec, s[4:5]
	s_cbranch_execz .LBB219_180
; %bb.179:
	v_mul_f64 v[6:7], v[22:23], 0.5
	v_mul_f64 v[18:19], v[8:9], 0.5
	v_cndmask_b32_e64 v7, v23, v7, s[20:21]
	v_cndmask_b32_e64 v6, v22, v6, s[20:21]
	;; [unrolled: 1-line block ×4, first 2 shown]
                                        ; implicit-def: $vgpr22_vgpr23
                                        ; implicit-def: $vgpr8_vgpr9
	s_andn2_saveexec_b64 s[2:3], s[2:3]
	s_cbranch_execnz .LBB219_181
	s_branch .LBB219_182
.LBB219_180:
	s_andn2_saveexec_b64 s[2:3], s[2:3]
.LBB219_181:
	v_add_f64 v[6:7], v[22:23], v[22:23]
	v_add_f64 v[20:21], v[8:9], v[8:9]
.LBB219_182:
	s_or_b64 exec, exec, s[2:3]
.LBB219_183:
	s_andn2_saveexec_b64 s[2:3], s[18:19]
	s_cbranch_execz .LBB219_189
; %bb.184:
	v_add_f64 v[8:9], v[20:21], -v[20:21]
	v_cmp_lt_i64_e32 vcc, -1, v[18:19]
	s_brev_b32 s7, -2
	v_and_b32_e32 v7, 0x7fffffff, v9
	v_mov_b32_e32 v6, v8
	s_and_saveexec_b64 s[4:5], vcc
	s_xor_b64 s[4:5], exec, s[4:5]
; %bb.185:
	v_bfi_b32 v9, s7, v9, v21
	v_mov_b64_e32 v[6:7], v[18:19]
	v_mov_b64_e32 v[20:21], v[8:9]
; %bb.186:
	s_andn2_saveexec_b64 s[4:5], s[4:5]
; %bb.187:
	v_bfi_b32 v19, s7, v19, v21
	v_mov_b64_e32 v[20:21], v[18:19]
; %bb.188:
	s_or_b64 exec, exec, s[4:5]
.LBB219_189:
	s_or_b64 exec, exec, s[2:3]
.LBB219_190:
	s_andn2_saveexec_b64 s[2:3], s[16:17]
	s_cbranch_execz .LBB219_192
; %bb.191:
	v_add_f64 v[6:7], v[20:21], -v[20:21]
	v_div_scale_f64 v[8:9], vcc, v[6:7], v[6:7], v[6:7]
	v_rcp_f64_e32 v[20:21], v[8:9]
	s_nop 0
	v_fma_f64 v[22:23], -v[8:9], v[20:21], 1.0
	v_fmac_f64_e32 v[20:21], v[20:21], v[22:23]
	v_fma_f64 v[22:23], -v[8:9], v[20:21], 1.0
	v_fmac_f64_e32 v[20:21], v[20:21], v[22:23]
	v_mul_f64 v[22:23], v[8:9], v[20:21]
	v_fma_f64 v[8:9], -v[8:9], v[22:23], v[8:9]
	v_div_fmas_f64 v[8:9], v[8:9], v[20:21], v[22:23]
	v_div_fixup_f64 v[20:21], v[8:9], v[6:7], v[6:7]
	v_mov_b64_e32 v[6:7], v[18:19]
.LBB219_192:
	s_or_b64 exec, exec, s[2:3]
.LBB219_193:
	s_or_b64 exec, exec, s[14:15]
.LBB219_194:
	s_or_b64 exec, exec, s[12:13]
	v_mov_b64_e32 v[8:9], v[20:21]
.LBB219_195:
	s_or_b64 exec, exec, s[10:11]
	s_waitcnt vmcnt(0)
	v_or_b32_e32 v18, 0x200, v0
	v_cmp_gt_i32_e32 vcc, s24, v18
	v_mov_b64_e32 v[18:19], 0
	v_mov_b64_e32 v[22:23], 0
	;; [unrolled: 1-line block ×3, first 2 shown]
	s_and_saveexec_b64 s[10:11], vcc
	s_cbranch_execz .LBB219_227
; %bb.196:
	v_cmp_neq_f64_e32 vcc, 0, v[14:15]
	v_cmp_neq_f64_e64 s[2:3], 0, v[16:17]
	v_mov_b64_e32 v[20:21], 0
	s_or_b64 s[2:3], vcc, s[2:3]
	s_and_saveexec_b64 s[12:13], s[2:3]
	s_cbranch_execz .LBB219_226
; %bb.197:
	v_mov_b32_e32 v20, 0
	v_mov_b32_e32 v21, 0x7ff00000
	v_cmp_neq_f64_e64 s[2:3], |v[16:17]|, v[20:21]
	s_and_saveexec_b64 s[14:15], s[2:3]
	s_cbranch_execz .LBB219_225
; %bb.198:
	v_cmp_o_f64_e32 vcc, v[14:15], v[14:15]
                                        ; implicit-def: $vgpr20_vgpr21
	s_and_saveexec_b64 s[2:3], vcc
	s_xor_b64 s[16:17], exec, s[2:3]
	s_cbranch_execz .LBB219_222
; %bb.199:
	s_mov_b32 s2, 0
	s_mov_b32 s3, 0x7ff00000
	v_cmp_neq_f64_e64 s[2:3], |v[14:15]|, s[2:3]
                                        ; implicit-def: $vgpr20_vgpr21
	s_and_saveexec_b64 s[4:5], s[2:3]
	s_xor_b64 s[18:19], exec, s[4:5]
	s_cbranch_execz .LBB219_215
; %bb.200:
	v_max_f64 v[20:21], |v[16:17]|, |v[16:17]|
	v_max_f64 v[22:23], |v[14:15]|, |v[14:15]|
	s_mov_b32 s2, 0x99fcef32
	v_max_f64 v[20:21], v[22:23], v[20:21]
	s_mov_b32 s3, 0x7fda8279
	v_cmp_nle_f64_e64 s[2:3], s[2:3], v[20:21]
                                        ; implicit-def: $sgpr20_sgpr21
	s_and_saveexec_b64 s[4:5], s[2:3]
	s_xor_b64 s[4:5], exec, s[4:5]
	s_cbranch_execz .LBB219_204
; %bb.201:
	s_mov_b32 s20, 0
	s_mov_b32 s21, 0x200000
	v_cmp_le_f64_e64 s[22:23], |v[14:15]|, s[20:21]
	v_cmp_le_f64_e64 s[20:21], |v[16:17]|, s[20:21]
	s_and_b64 s[26:27], s[22:23], s[20:21]
	s_mov_b64 s[20:21], 0
	s_and_saveexec_b64 s[22:23], s[26:27]
; %bb.202:
	s_mov_b64 s[20:21], exec
	v_mul_f64 v[16:17], v[16:17], 4.0
	v_mul_f64 v[14:15], v[14:15], 4.0
; %bb.203:
	s_or_b64 exec, exec, s[22:23]
.LBB219_204:
	s_andn2_saveexec_b64 s[4:5], s[4:5]
; %bb.205:
	v_ldexp_f64 v[14:15], v[14:15], -2
	v_ldexp_f64 v[16:17], v[16:17], -2
	s_andn2_b64 s[20:21], s[20:21], exec
; %bb.206:
	s_or_b64 exec, exec, s[4:5]
	v_max_f64 v[20:21], |v[16:17]|, |v[16:17]|
	v_max_f64 v[22:23], |v[14:15]|, |v[14:15]|
	v_max_f64 v[20:21], v[22:23], v[20:21]
	v_frexp_exp_i32_f64_e32 v27, v[20:21]
	v_sub_u32_e32 v22, 0, v27
	v_ldexp_f64 v[20:21], |v[14:15]|, v22
	v_ldexp_f64 v[22:23], |v[16:17]|, v22
	v_mul_f64 v[22:23], v[22:23], v[22:23]
	v_fmac_f64_e32 v[22:23], v[20:21], v[20:21]
	v_rsq_f64_e32 v[20:21], v[22:23]
	v_cmp_eq_f64_e64 s[4:5], 0, v[22:23]
	s_movk_i32 s7, 0x204
	v_cmp_class_f64_e64 s[22:23], v[16:17], s7
	v_mul_f64 v[24:25], v[22:23], v[20:21]
	v_mul_f64 v[20:21], v[20:21], 0.5
	v_fma_f64 v[28:29], -v[20:21], v[24:25], 0.5
	v_fmac_f64_e32 v[24:25], v[24:25], v[28:29]
	v_fmac_f64_e32 v[20:21], v[20:21], v[28:29]
	v_fma_f64 v[28:29], -v[24:25], v[24:25], v[22:23]
	v_fmac_f64_e32 v[24:25], v[28:29], v[20:21]
	v_cndmask_b32_e64 v21, v25, v23, s[4:5]
	v_cndmask_b32_e64 v20, v24, v22, s[4:5]
	v_ldexp_f64 v[20:21], v[20:21], v27
	v_cmp_o_f64_e64 s[4:5], v[16:17], v[16:17]
	v_mov_b32_e32 v22, 0x7ff80000
	v_cmp_le_f64_e32 vcc, 0, v[14:15]
	v_cndmask_b32_e64 v20, 0, v20, s[4:5]
	v_cndmask_b32_e64 v21, v22, v21, s[4:5]
	v_cmp_class_f64_e64 s[4:5], v[14:15], s7
	v_mov_b32_e32 v22, 0x7ff00000
	s_or_b64 s[4:5], s[22:23], s[4:5]
	v_cndmask_b32_e64 v21, v21, v22, s[4:5]
	v_cndmask_b32_e64 v20, v20, 0, s[4:5]
                                        ; implicit-def: $vgpr22_vgpr23
                                        ; implicit-def: $vgpr24_vgpr25
	s_and_saveexec_b64 s[4:5], vcc
	s_xor_b64 s[4:5], exec, s[4:5]
	s_cbranch_execz .LBB219_208
; %bb.207:
	v_add_f64 v[14:15], v[14:15], v[20:21]
	s_mov_b32 s22, 0
	v_mul_f64 v[14:15], v[14:15], 0.5
	s_brev_b32 s23, 8
	v_mov_b32_e32 v20, 0x100
	v_cmp_gt_f64_e32 vcc, s[22:23], v[14:15]
	s_nop 1
	v_cndmask_b32_e32 v20, 0, v20, vcc
	v_ldexp_f64 v[14:15], v[14:15], v20
	v_rsq_f64_e32 v[20:21], v[14:15]
	s_nop 0
	v_mul_f64 v[22:23], v[14:15], v[20:21]
	v_mul_f64 v[20:21], v[20:21], 0.5
	v_fma_f64 v[24:25], -v[20:21], v[22:23], 0.5
	v_fmac_f64_e32 v[22:23], v[22:23], v[24:25]
	v_fma_f64 v[28:29], -v[22:23], v[22:23], v[14:15]
	v_fmac_f64_e32 v[20:21], v[20:21], v[24:25]
	v_fmac_f64_e32 v[22:23], v[28:29], v[20:21]
	v_fma_f64 v[24:25], -v[22:23], v[22:23], v[14:15]
	v_fmac_f64_e32 v[22:23], v[24:25], v[20:21]
	v_mov_b32_e32 v20, 0xffffff80
	v_cndmask_b32_e32 v20, 0, v20, vcc
	v_ldexp_f64 v[20:21], v[22:23], v20
	v_mov_b32_e32 v22, 0x260
	v_cmp_class_f64_e32 vcc, v[14:15], v22
	s_nop 1
	v_cndmask_b32_e32 v25, v21, v15, vcc
	v_cndmask_b32_e32 v24, v20, v14, vcc
	v_add_f64 v[14:15], v[24:25], v[24:25]
	v_div_scale_f64 v[20:21], s[22:23], v[14:15], v[14:15], v[16:17]
	v_rcp_f64_e32 v[22:23], v[20:21]
	s_nop 0
	v_fma_f64 v[28:29], -v[20:21], v[22:23], 1.0
	v_fmac_f64_e32 v[22:23], v[22:23], v[28:29]
	v_fma_f64 v[28:29], -v[20:21], v[22:23], 1.0
	v_fmac_f64_e32 v[22:23], v[22:23], v[28:29]
	v_div_scale_f64 v[28:29], vcc, v[16:17], v[14:15], v[16:17]
	v_mul_f64 v[30:31], v[28:29], v[22:23]
	v_fma_f64 v[20:21], -v[20:21], v[30:31], v[28:29]
	s_nop 1
	v_div_fmas_f64 v[20:21], v[20:21], v[22:23], v[30:31]
	v_div_fixup_f64 v[22:23], v[20:21], v[14:15], v[16:17]
                                        ; implicit-def: $vgpr20_vgpr21
                                        ; implicit-def: $vgpr14_vgpr15
	s_andn2_saveexec_b64 s[4:5], s[4:5]
	s_cbranch_execz .LBB219_210
	s_branch .LBB219_209
.LBB219_208:
	s_andn2_saveexec_b64 s[4:5], s[4:5]
	s_cbranch_execz .LBB219_210
.LBB219_209:
	v_add_f64 v[14:15], v[20:21], -v[14:15]
	s_mov_b32 s22, 0
	v_mul_f64 v[14:15], v[14:15], 0.5
	s_brev_b32 s23, 8
	v_mov_b32_e32 v20, 0x100
	v_cmp_gt_f64_e32 vcc, s[22:23], v[14:15]
	s_brev_b32 s7, -2
	s_nop 0
	v_cndmask_b32_e32 v20, 0, v20, vcc
	v_ldexp_f64 v[14:15], v[14:15], v20
	v_rsq_f64_e32 v[20:21], v[14:15]
	s_nop 0
	v_mul_f64 v[22:23], v[14:15], v[20:21]
	v_mul_f64 v[20:21], v[20:21], 0.5
	v_fma_f64 v[24:25], -v[20:21], v[22:23], 0.5
	v_fmac_f64_e32 v[22:23], v[22:23], v[24:25]
	v_fma_f64 v[28:29], -v[22:23], v[22:23], v[14:15]
	v_fmac_f64_e32 v[20:21], v[20:21], v[24:25]
	v_fmac_f64_e32 v[22:23], v[28:29], v[20:21]
	v_fma_f64 v[24:25], -v[22:23], v[22:23], v[14:15]
	v_fmac_f64_e32 v[22:23], v[24:25], v[20:21]
	v_mov_b32_e32 v20, 0xffffff80
	v_cndmask_b32_e32 v20, 0, v20, vcc
	v_ldexp_f64 v[20:21], v[22:23], v20
	v_mov_b32_e32 v22, 0x260
	v_cmp_class_f64_e32 vcc, v[14:15], v22
	s_nop 1
	v_cndmask_b32_e32 v23, v21, v15, vcc
	v_cndmask_b32_e32 v22, v20, v14, vcc
	v_add_f64 v[14:15], v[22:23], v[22:23]
	v_and_b32_e32 v21, 0x7fffffff, v17
	v_mov_b32_e32 v20, v16
	v_div_scale_f64 v[24:25], s[22:23], v[14:15], v[14:15], v[20:21]
	v_rcp_f64_e32 v[28:29], v[24:25]
	v_div_scale_f64 v[20:21], vcc, v[20:21], v[14:15], v[20:21]
	v_bfi_b32 v23, s7, v23, v17
	v_fma_f64 v[30:31], -v[24:25], v[28:29], 1.0
	v_fmac_f64_e32 v[28:29], v[28:29], v[30:31]
	v_fma_f64 v[30:31], -v[24:25], v[28:29], 1.0
	v_fmac_f64_e32 v[28:29], v[28:29], v[30:31]
	v_mul_f64 v[30:31], v[20:21], v[28:29]
	v_fma_f64 v[20:21], -v[24:25], v[30:31], v[20:21]
	v_div_fmas_f64 v[20:21], v[20:21], v[28:29], v[30:31]
	v_div_fixup_f64 v[24:25], v[20:21], v[14:15], |v[16:17]|
.LBB219_210:
	s_or_b64 exec, exec, s[4:5]
                                        ; implicit-def: $vgpr20_vgpr21
                                        ; implicit-def: $vgpr16_vgpr17
	s_and_saveexec_b64 s[4:5], s[2:3]
	s_xor_b64 s[2:3], exec, s[4:5]
	s_cbranch_execz .LBB219_212
; %bb.211:
	v_mul_f64 v[14:15], v[24:25], 0.5
	v_mul_f64 v[16:17], v[22:23], 0.5
	v_cndmask_b32_e64 v21, v25, v15, s[20:21]
	v_cndmask_b32_e64 v20, v24, v14, s[20:21]
	;; [unrolled: 1-line block ×4, first 2 shown]
                                        ; implicit-def: $vgpr24_vgpr25
                                        ; implicit-def: $vgpr22_vgpr23
	s_andn2_saveexec_b64 s[2:3], s[2:3]
	s_cbranch_execnz .LBB219_213
	s_branch .LBB219_214
.LBB219_212:
	s_andn2_saveexec_b64 s[2:3], s[2:3]
.LBB219_213:
	v_add_f64 v[20:21], v[24:25], v[24:25]
	v_add_f64 v[16:17], v[22:23], v[22:23]
.LBB219_214:
	s_or_b64 exec, exec, s[2:3]
.LBB219_215:
	s_andn2_saveexec_b64 s[2:3], s[18:19]
	s_cbranch_execz .LBB219_221
; %bb.216:
	v_add_f64 v[22:23], v[16:17], -v[16:17]
	v_cmp_lt_i64_e32 vcc, -1, v[14:15]
	s_brev_b32 s7, -2
	v_and_b32_e32 v21, 0x7fffffff, v23
	v_mov_b32_e32 v20, v22
	s_and_saveexec_b64 s[4:5], vcc
	s_xor_b64 s[4:5], exec, s[4:5]
; %bb.217:
	v_bfi_b32 v23, s7, v23, v17
	v_mov_b64_e32 v[20:21], v[14:15]
	v_mov_b64_e32 v[16:17], v[22:23]
; %bb.218:
	s_andn2_saveexec_b64 s[4:5], s[4:5]
; %bb.219:
	v_bfi_b32 v15, s7, v15, v17
	v_mov_b64_e32 v[16:17], v[14:15]
; %bb.220:
	s_or_b64 exec, exec, s[4:5]
.LBB219_221:
	s_or_b64 exec, exec, s[2:3]
.LBB219_222:
	s_andn2_saveexec_b64 s[2:3], s[16:17]
	s_cbranch_execz .LBB219_224
; %bb.223:
	v_add_f64 v[16:17], v[16:17], -v[16:17]
	v_div_scale_f64 v[20:21], vcc, v[16:17], v[16:17], v[16:17]
	v_rcp_f64_e32 v[22:23], v[20:21]
	s_nop 0
	v_fma_f64 v[24:25], -v[20:21], v[22:23], 1.0
	v_fmac_f64_e32 v[22:23], v[22:23], v[24:25]
	v_fma_f64 v[24:25], -v[20:21], v[22:23], 1.0
	v_fmac_f64_e32 v[22:23], v[22:23], v[24:25]
	v_mul_f64 v[24:25], v[20:21], v[22:23]
	v_fma_f64 v[20:21], -v[20:21], v[24:25], v[20:21]
	v_div_fmas_f64 v[20:21], v[20:21], v[22:23], v[24:25]
	v_div_fixup_f64 v[16:17], v[20:21], v[16:17], v[16:17]
	v_mov_b64_e32 v[20:21], v[14:15]
.LBB219_224:
	s_or_b64 exec, exec, s[2:3]
.LBB219_225:
	s_or_b64 exec, exec, s[14:15]
.LBB219_226:
	s_or_b64 exec, exec, s[12:13]
	v_mov_b64_e32 v[22:23], v[16:17]
.LBB219_227:
	s_or_b64 exec, exec, s[10:11]
	v_or_b32_e32 v14, 0x300, v0
	v_cmp_gt_i32_e32 vcc, s24, v14
	v_mov_b64_e32 v[16:17], 0
	s_and_saveexec_b64 s[10:11], vcc
	s_cbranch_execz .LBB219_240
; %bb.228:
	v_cmp_neq_f64_e32 vcc, 0, v[2:3]
	v_cmp_neq_f64_e64 s[2:3], 0, v[4:5]
	v_mov_b64_e32 v[16:17], 0
	s_or_b64 s[2:3], vcc, s[2:3]
	s_and_saveexec_b64 s[12:13], s[2:3]
	s_cbranch_execz .LBB219_262
; %bb.229:
	v_mov_b32_e32 v16, 0
	v_mov_b32_e32 v17, 0x7ff00000
	v_cmp_neq_f64_e64 s[2:3], |v[4:5]|, v[16:17]
	s_and_saveexec_b64 s[14:15], s[2:3]
	s_cbranch_execz .LBB219_261
; %bb.230:
	v_cmp_o_f64_e32 vcc, v[2:3], v[2:3]
                                        ; implicit-def: $vgpr16_vgpr17
	s_and_saveexec_b64 s[2:3], vcc
	s_xor_b64 s[16:17], exec, s[2:3]
	s_cbranch_execz .LBB219_258
; %bb.231:
	s_mov_b32 s2, 0
	s_mov_b32 s3, 0x7ff00000
	v_cmp_neq_f64_e64 s[2:3], |v[2:3]|, s[2:3]
                                        ; implicit-def: $vgpr16_vgpr17
	s_and_saveexec_b64 s[4:5], s[2:3]
	s_xor_b64 s[18:19], exec, s[4:5]
	s_cbranch_execz .LBB219_251
; %bb.232:
	v_max_f64 v[14:15], |v[4:5]|, |v[4:5]|
	v_max_f64 v[16:17], |v[2:3]|, |v[2:3]|
	s_mov_b32 s2, 0x99fcef32
	v_max_f64 v[14:15], v[16:17], v[14:15]
	s_mov_b32 s3, 0x7fda8279
	v_cmp_nle_f64_e64 s[2:3], s[2:3], v[14:15]
                                        ; implicit-def: $sgpr20_sgpr21
	s_and_saveexec_b64 s[4:5], s[2:3]
	s_xor_b64 s[4:5], exec, s[4:5]
	s_cbranch_execz .LBB219_236
; %bb.233:
	s_mov_b32 s20, 0
	s_mov_b32 s21, 0x200000
	v_cmp_le_f64_e64 s[22:23], |v[2:3]|, s[20:21]
	v_cmp_le_f64_e64 s[20:21], |v[4:5]|, s[20:21]
	s_and_b64 s[26:27], s[22:23], s[20:21]
	s_mov_b64 s[20:21], 0
	s_and_saveexec_b64 s[22:23], s[26:27]
; %bb.234:
	s_mov_b64 s[20:21], exec
	v_mul_f64 v[4:5], v[4:5], 4.0
	v_mul_f64 v[2:3], v[2:3], 4.0
; %bb.235:
	s_or_b64 exec, exec, s[22:23]
.LBB219_236:
	s_andn2_saveexec_b64 s[4:5], s[4:5]
; %bb.237:
	v_ldexp_f64 v[2:3], v[2:3], -2
	v_ldexp_f64 v[4:5], v[4:5], -2
	s_andn2_b64 s[20:21], s[20:21], exec
; %bb.238:
	s_or_b64 exec, exec, s[4:5]
	v_max_f64 v[14:15], |v[4:5]|, |v[4:5]|
	v_max_f64 v[16:17], |v[2:3]|, |v[2:3]|
	v_max_f64 v[14:15], v[16:17], v[14:15]
	v_frexp_exp_i32_f64_e32 v27, v[14:15]
	v_sub_u32_e32 v16, 0, v27
	v_ldexp_f64 v[14:15], |v[2:3]|, v16
	v_ldexp_f64 v[16:17], |v[4:5]|, v16
	v_mul_f64 v[16:17], v[16:17], v[16:17]
	v_fmac_f64_e32 v[16:17], v[14:15], v[14:15]
	v_rsq_f64_e32 v[14:15], v[16:17]
	v_cmp_eq_f64_e64 s[4:5], 0, v[16:17]
	s_movk_i32 s7, 0x204
	v_cmp_class_f64_e64 s[22:23], v[4:5], s7
	v_mul_f64 v[18:19], v[16:17], v[14:15]
	v_mul_f64 v[14:15], v[14:15], 0.5
	v_fma_f64 v[24:25], -v[14:15], v[18:19], 0.5
	v_fmac_f64_e32 v[18:19], v[18:19], v[24:25]
	v_fmac_f64_e32 v[14:15], v[14:15], v[24:25]
	v_fma_f64 v[24:25], -v[18:19], v[18:19], v[16:17]
	v_fmac_f64_e32 v[18:19], v[24:25], v[14:15]
	v_cndmask_b32_e64 v15, v19, v17, s[4:5]
	v_cndmask_b32_e64 v14, v18, v16, s[4:5]
	v_ldexp_f64 v[14:15], v[14:15], v27
	v_cmp_o_f64_e64 s[4:5], v[4:5], v[4:5]
	v_mov_b32_e32 v16, 0x7ff80000
	v_cmp_le_f64_e32 vcc, 0, v[2:3]
	v_cndmask_b32_e64 v14, 0, v14, s[4:5]
	v_cndmask_b32_e64 v15, v16, v15, s[4:5]
	v_cmp_class_f64_e64 s[4:5], v[2:3], s7
	v_mov_b32_e32 v16, 0x7ff00000
	s_or_b64 s[4:5], s[22:23], s[4:5]
	v_cndmask_b32_e64 v17, v15, v16, s[4:5]
	v_cndmask_b32_e64 v16, v14, 0, s[4:5]
                                        ; implicit-def: $vgpr14_vgpr15
                                        ; implicit-def: $vgpr18_vgpr19
	s_and_saveexec_b64 s[4:5], vcc
	s_xor_b64 s[4:5], exec, s[4:5]
	s_cbranch_execz .LBB219_244
; %bb.239:
	v_add_f64 v[2:3], v[2:3], v[16:17]
	s_mov_b32 s22, 0
	v_mul_f64 v[2:3], v[2:3], 0.5
	s_brev_b32 s23, 8
	v_mov_b32_e32 v14, 0x100
	v_cmp_gt_f64_e32 vcc, s[22:23], v[2:3]
	s_nop 1
	v_cndmask_b32_e32 v14, 0, v14, vcc
	v_ldexp_f64 v[2:3], v[2:3], v14
	v_rsq_f64_e32 v[14:15], v[2:3]
	s_nop 0
	v_mul_f64 v[16:17], v[2:3], v[14:15]
	v_mul_f64 v[14:15], v[14:15], 0.5
	v_fma_f64 v[18:19], -v[14:15], v[16:17], 0.5
	v_fmac_f64_e32 v[16:17], v[16:17], v[18:19]
	v_fma_f64 v[24:25], -v[16:17], v[16:17], v[2:3]
	v_fmac_f64_e32 v[14:15], v[14:15], v[18:19]
	v_fmac_f64_e32 v[16:17], v[24:25], v[14:15]
	v_fma_f64 v[18:19], -v[16:17], v[16:17], v[2:3]
	v_fmac_f64_e32 v[16:17], v[18:19], v[14:15]
	v_mov_b32_e32 v14, 0xffffff80
	v_cndmask_b32_e32 v14, 0, v14, vcc
	v_ldexp_f64 v[14:15], v[16:17], v14
	v_mov_b32_e32 v16, 0x260
	v_cmp_class_f64_e32 vcc, v[2:3], v16
	s_nop 1
	v_cndmask_b32_e32 v19, v15, v3, vcc
	v_cndmask_b32_e32 v18, v14, v2, vcc
	v_add_f64 v[2:3], v[18:19], v[18:19]
	v_div_scale_f64 v[14:15], s[22:23], v[2:3], v[2:3], v[4:5]
	v_rcp_f64_e32 v[16:17], v[14:15]
	s_nop 0
	v_fma_f64 v[24:25], -v[14:15], v[16:17], 1.0
	v_fmac_f64_e32 v[16:17], v[16:17], v[24:25]
	v_fma_f64 v[24:25], -v[14:15], v[16:17], 1.0
	v_fmac_f64_e32 v[16:17], v[16:17], v[24:25]
	v_div_scale_f64 v[24:25], vcc, v[4:5], v[2:3], v[4:5]
	v_mul_f64 v[28:29], v[24:25], v[16:17]
	v_fma_f64 v[14:15], -v[14:15], v[28:29], v[24:25]
	s_nop 1
	v_div_fmas_f64 v[14:15], v[14:15], v[16:17], v[28:29]
	v_div_fixup_f64 v[14:15], v[14:15], v[2:3], v[4:5]
                                        ; implicit-def: $vgpr16_vgpr17
                                        ; implicit-def: $vgpr2_vgpr3
	s_andn2_saveexec_b64 s[4:5], s[4:5]
	s_cbranch_execz .LBB219_246
	s_branch .LBB219_245
.LBB219_240:
	s_or_b64 exec, exec, s[10:11]
	s_and_saveexec_b64 s[2:3], s[0:1]
	s_xor_b64 s[0:1], exec, s[2:3]
	s_cbranch_execz .LBB219_263
.LBB219_241:
	v_mov_b32_e32 v27, 0
	v_lshl_add_u64 v[2:3], v[26:27], 4, s[8:9]
	v_mov_b32_e32 v0, v1
	global_store_dwordx4 v[2:3], v[10:13], off
	s_or_b64 exec, exec, s[0:1]
	v_cmp_gt_i32_e32 vcc, s24, v0
	s_and_saveexec_b64 s[0:1], vcc
	s_cbranch_execnz .LBB219_264
.LBB219_242:
	s_or_b64 exec, exec, s[0:1]
	v_cmp_gt_i32_e32 vcc, s24, v0
	s_and_saveexec_b64 s[0:1], vcc
	s_cbranch_execz .LBB219_265
.LBB219_243:
	v_add_u32_e32 v2, s6, v0
	v_mov_b32_e32 v3, 0
	v_lshl_add_u64 v[2:3], v[2:3], 4, s[8:9]
	v_add_u32_e32 v0, 0x100, v0
	global_store_dwordx4 v[2:3], v[20:23], off
	s_or_b64 exec, exec, s[0:1]
	v_cmp_gt_i32_e32 vcc, s24, v0
	s_and_saveexec_b64 s[0:1], vcc
	s_cbranch_execnz .LBB219_266
	s_branch .LBB219_267
.LBB219_244:
	s_andn2_saveexec_b64 s[4:5], s[4:5]
	s_cbranch_execz .LBB219_246
.LBB219_245:
	v_add_f64 v[2:3], v[16:17], -v[2:3]
	s_mov_b32 s22, 0
	v_mul_f64 v[2:3], v[2:3], 0.5
	s_brev_b32 s23, 8
	v_mov_b32_e32 v14, 0x100
	v_cmp_gt_f64_e32 vcc, s[22:23], v[2:3]
	s_brev_b32 s7, -2
	s_nop 0
	v_cndmask_b32_e32 v14, 0, v14, vcc
	v_ldexp_f64 v[2:3], v[2:3], v14
	v_rsq_f64_e32 v[14:15], v[2:3]
	s_nop 0
	v_mul_f64 v[16:17], v[2:3], v[14:15]
	v_mul_f64 v[14:15], v[14:15], 0.5
	v_fma_f64 v[18:19], -v[14:15], v[16:17], 0.5
	v_fmac_f64_e32 v[16:17], v[16:17], v[18:19]
	v_fma_f64 v[24:25], -v[16:17], v[16:17], v[2:3]
	v_fmac_f64_e32 v[14:15], v[14:15], v[18:19]
	v_fmac_f64_e32 v[16:17], v[24:25], v[14:15]
	v_fma_f64 v[18:19], -v[16:17], v[16:17], v[2:3]
	v_fmac_f64_e32 v[16:17], v[18:19], v[14:15]
	v_mov_b32_e32 v14, 0xffffff80
	v_cndmask_b32_e32 v14, 0, v14, vcc
	v_ldexp_f64 v[14:15], v[16:17], v14
	v_mov_b32_e32 v16, 0x260
	v_cmp_class_f64_e32 vcc, v[2:3], v16
	v_and_b32_e32 v17, 0x7fffffff, v5
	v_mov_b32_e32 v16, v4
	v_cndmask_b32_e32 v15, v15, v3, vcc
	v_cndmask_b32_e32 v14, v14, v2, vcc
	v_add_f64 v[2:3], v[14:15], v[14:15]
	v_div_scale_f64 v[18:19], s[22:23], v[2:3], v[2:3], v[16:17]
	v_rcp_f64_e32 v[24:25], v[18:19]
	v_div_scale_f64 v[16:17], vcc, v[16:17], v[2:3], v[16:17]
	v_bfi_b32 v15, s7, v15, v5
	v_fma_f64 v[28:29], -v[18:19], v[24:25], 1.0
	v_fmac_f64_e32 v[24:25], v[24:25], v[28:29]
	v_fma_f64 v[28:29], -v[18:19], v[24:25], 1.0
	v_fmac_f64_e32 v[24:25], v[24:25], v[28:29]
	v_mul_f64 v[28:29], v[16:17], v[24:25]
	v_fma_f64 v[16:17], -v[18:19], v[28:29], v[16:17]
	v_div_fmas_f64 v[16:17], v[16:17], v[24:25], v[28:29]
	v_div_fixup_f64 v[18:19], v[16:17], v[2:3], |v[4:5]|
.LBB219_246:
	s_or_b64 exec, exec, s[4:5]
                                        ; implicit-def: $vgpr16_vgpr17
                                        ; implicit-def: $vgpr4_vgpr5
	s_and_saveexec_b64 s[4:5], s[2:3]
	s_xor_b64 s[2:3], exec, s[4:5]
	s_cbranch_execz .LBB219_248
; %bb.247:
	v_mul_f64 v[2:3], v[18:19], 0.5
	v_mul_f64 v[4:5], v[14:15], 0.5
	v_cndmask_b32_e64 v17, v19, v3, s[20:21]
	v_cndmask_b32_e64 v16, v18, v2, s[20:21]
	;; [unrolled: 1-line block ×4, first 2 shown]
                                        ; implicit-def: $vgpr18_vgpr19
                                        ; implicit-def: $vgpr14_vgpr15
	s_andn2_saveexec_b64 s[2:3], s[2:3]
	s_cbranch_execnz .LBB219_249
	s_branch .LBB219_250
.LBB219_248:
	s_andn2_saveexec_b64 s[2:3], s[2:3]
.LBB219_249:
	v_add_f64 v[16:17], v[18:19], v[18:19]
	v_add_f64 v[4:5], v[14:15], v[14:15]
.LBB219_250:
	s_or_b64 exec, exec, s[2:3]
.LBB219_251:
	s_andn2_saveexec_b64 s[2:3], s[18:19]
	s_cbranch_execz .LBB219_257
; %bb.252:
	v_add_f64 v[14:15], v[4:5], -v[4:5]
	v_cmp_lt_i64_e32 vcc, -1, v[2:3]
	s_brev_b32 s7, -2
	v_and_b32_e32 v17, 0x7fffffff, v15
	v_mov_b32_e32 v16, v14
	s_and_saveexec_b64 s[4:5], vcc
	s_xor_b64 s[4:5], exec, s[4:5]
; %bb.253:
	v_bfi_b32 v15, s7, v15, v5
	v_mov_b64_e32 v[16:17], v[2:3]
	v_mov_b64_e32 v[4:5], v[14:15]
; %bb.254:
	s_andn2_saveexec_b64 s[4:5], s[4:5]
; %bb.255:
	v_bfi_b32 v3, s7, v3, v5
	v_mov_b64_e32 v[4:5], v[2:3]
; %bb.256:
	s_or_b64 exec, exec, s[4:5]
.LBB219_257:
	s_or_b64 exec, exec, s[2:3]
.LBB219_258:
	s_andn2_saveexec_b64 s[2:3], s[16:17]
	s_cbranch_execz .LBB219_260
; %bb.259:
	v_add_f64 v[4:5], v[4:5], -v[4:5]
	v_div_scale_f64 v[14:15], vcc, v[4:5], v[4:5], v[4:5]
	v_rcp_f64_e32 v[16:17], v[14:15]
	s_nop 0
	v_fma_f64 v[18:19], -v[14:15], v[16:17], 1.0
	v_fmac_f64_e32 v[16:17], v[16:17], v[18:19]
	v_fma_f64 v[18:19], -v[14:15], v[16:17], 1.0
	v_fmac_f64_e32 v[16:17], v[16:17], v[18:19]
	v_mul_f64 v[18:19], v[14:15], v[16:17]
	v_fma_f64 v[14:15], -v[14:15], v[18:19], v[14:15]
	v_div_fmas_f64 v[14:15], v[14:15], v[16:17], v[18:19]
	v_div_fixup_f64 v[4:5], v[14:15], v[4:5], v[4:5]
	v_mov_b64_e32 v[16:17], v[2:3]
.LBB219_260:
	s_or_b64 exec, exec, s[2:3]
.LBB219_261:
	s_or_b64 exec, exec, s[14:15]
.LBB219_262:
	s_or_b64 exec, exec, s[12:13]
	v_mov_b64_e32 v[18:19], v[4:5]
	s_or_b64 exec, exec, s[10:11]
	s_and_saveexec_b64 s[2:3], s[0:1]
	s_xor_b64 s[0:1], exec, s[2:3]
	s_cbranch_execnz .LBB219_241
.LBB219_263:
	s_or_b64 exec, exec, s[0:1]
	v_cmp_gt_i32_e32 vcc, s24, v0
	s_and_saveexec_b64 s[0:1], vcc
	s_cbranch_execz .LBB219_242
.LBB219_264:
	v_add_u32_e32 v2, s6, v0
	v_mov_b32_e32 v3, 0
	v_lshl_add_u64 v[2:3], v[2:3], 4, s[8:9]
	v_add_u32_e32 v0, 0x100, v0
	global_store_dwordx4 v[2:3], v[6:9], off
	s_or_b64 exec, exec, s[0:1]
	v_cmp_gt_i32_e32 vcc, s24, v0
	s_and_saveexec_b64 s[0:1], vcc
	s_cbranch_execnz .LBB219_243
.LBB219_265:
	s_or_b64 exec, exec, s[0:1]
	v_cmp_gt_i32_e32 vcc, s24, v0
	s_and_saveexec_b64 s[0:1], vcc
	s_cbranch_execz .LBB219_267
.LBB219_266:
	v_add_u32_e32 v0, s6, v0
	v_mov_b32_e32 v1, 0
	v_lshl_add_u64 v[0:1], v[0:1], 4, s[8:9]
	global_store_dwordx4 v[0:1], v[16:19], off
.LBB219_267:
	s_endpgm
	.section	.rodata,"a",@progbits
	.p2align	6, 0x0
	.amdhsa_kernel _ZN2at6native29vectorized_elementwise_kernelILi8EZZZNS0_16sqrt_kernel_cudaERNS_18TensorIteratorBaseEENKUlvE_clEvENKUlvE_clEvEUlN3c107complexIdEEE_St5arrayIPcLm2EEEEviT0_T1_
		.amdhsa_group_segment_fixed_size 0
		.amdhsa_private_segment_fixed_size 0
		.amdhsa_kernarg_size 24
		.amdhsa_user_sgpr_count 2
		.amdhsa_user_sgpr_dispatch_ptr 0
		.amdhsa_user_sgpr_queue_ptr 0
		.amdhsa_user_sgpr_kernarg_segment_ptr 1
		.amdhsa_user_sgpr_dispatch_id 0
		.amdhsa_user_sgpr_kernarg_preload_length 0
		.amdhsa_user_sgpr_kernarg_preload_offset 0
		.amdhsa_user_sgpr_private_segment_size 0
		.amdhsa_uses_dynamic_stack 0
		.amdhsa_enable_private_segment 0
		.amdhsa_system_sgpr_workgroup_id_x 1
		.amdhsa_system_sgpr_workgroup_id_y 0
		.amdhsa_system_sgpr_workgroup_id_z 0
		.amdhsa_system_sgpr_workgroup_info 0
		.amdhsa_system_vgpr_workitem_id 0
		.amdhsa_next_free_vgpr 32
		.amdhsa_next_free_sgpr 28
		.amdhsa_accum_offset 32
		.amdhsa_reserve_vcc 1
		.amdhsa_float_round_mode_32 0
		.amdhsa_float_round_mode_16_64 0
		.amdhsa_float_denorm_mode_32 3
		.amdhsa_float_denorm_mode_16_64 3
		.amdhsa_dx10_clamp 1
		.amdhsa_ieee_mode 1
		.amdhsa_fp16_overflow 0
		.amdhsa_tg_split 0
		.amdhsa_exception_fp_ieee_invalid_op 0
		.amdhsa_exception_fp_denorm_src 0
		.amdhsa_exception_fp_ieee_div_zero 0
		.amdhsa_exception_fp_ieee_overflow 0
		.amdhsa_exception_fp_ieee_underflow 0
		.amdhsa_exception_fp_ieee_inexact 0
		.amdhsa_exception_int_div_zero 0
	.end_amdhsa_kernel
	.section	.text._ZN2at6native29vectorized_elementwise_kernelILi8EZZZNS0_16sqrt_kernel_cudaERNS_18TensorIteratorBaseEENKUlvE_clEvENKUlvE_clEvEUlN3c107complexIdEEE_St5arrayIPcLm2EEEEviT0_T1_,"axG",@progbits,_ZN2at6native29vectorized_elementwise_kernelILi8EZZZNS0_16sqrt_kernel_cudaERNS_18TensorIteratorBaseEENKUlvE_clEvENKUlvE_clEvEUlN3c107complexIdEEE_St5arrayIPcLm2EEEEviT0_T1_,comdat
.Lfunc_end219:
	.size	_ZN2at6native29vectorized_elementwise_kernelILi8EZZZNS0_16sqrt_kernel_cudaERNS_18TensorIteratorBaseEENKUlvE_clEvENKUlvE_clEvEUlN3c107complexIdEEE_St5arrayIPcLm2EEEEviT0_T1_, .Lfunc_end219-_ZN2at6native29vectorized_elementwise_kernelILi8EZZZNS0_16sqrt_kernel_cudaERNS_18TensorIteratorBaseEENKUlvE_clEvENKUlvE_clEvEUlN3c107complexIdEEE_St5arrayIPcLm2EEEEviT0_T1_
                                        ; -- End function
	.set _ZN2at6native29vectorized_elementwise_kernelILi8EZZZNS0_16sqrt_kernel_cudaERNS_18TensorIteratorBaseEENKUlvE_clEvENKUlvE_clEvEUlN3c107complexIdEEE_St5arrayIPcLm2EEEEviT0_T1_.num_vgpr, 32
	.set _ZN2at6native29vectorized_elementwise_kernelILi8EZZZNS0_16sqrt_kernel_cudaERNS_18TensorIteratorBaseEENKUlvE_clEvENKUlvE_clEvEUlN3c107complexIdEEE_St5arrayIPcLm2EEEEviT0_T1_.num_agpr, 0
	.set _ZN2at6native29vectorized_elementwise_kernelILi8EZZZNS0_16sqrt_kernel_cudaERNS_18TensorIteratorBaseEENKUlvE_clEvENKUlvE_clEvEUlN3c107complexIdEEE_St5arrayIPcLm2EEEEviT0_T1_.numbered_sgpr, 28
	.set _ZN2at6native29vectorized_elementwise_kernelILi8EZZZNS0_16sqrt_kernel_cudaERNS_18TensorIteratorBaseEENKUlvE_clEvENKUlvE_clEvEUlN3c107complexIdEEE_St5arrayIPcLm2EEEEviT0_T1_.num_named_barrier, 0
	.set _ZN2at6native29vectorized_elementwise_kernelILi8EZZZNS0_16sqrt_kernel_cudaERNS_18TensorIteratorBaseEENKUlvE_clEvENKUlvE_clEvEUlN3c107complexIdEEE_St5arrayIPcLm2EEEEviT0_T1_.private_seg_size, 0
	.set _ZN2at6native29vectorized_elementwise_kernelILi8EZZZNS0_16sqrt_kernel_cudaERNS_18TensorIteratorBaseEENKUlvE_clEvENKUlvE_clEvEUlN3c107complexIdEEE_St5arrayIPcLm2EEEEviT0_T1_.uses_vcc, 1
	.set _ZN2at6native29vectorized_elementwise_kernelILi8EZZZNS0_16sqrt_kernel_cudaERNS_18TensorIteratorBaseEENKUlvE_clEvENKUlvE_clEvEUlN3c107complexIdEEE_St5arrayIPcLm2EEEEviT0_T1_.uses_flat_scratch, 0
	.set _ZN2at6native29vectorized_elementwise_kernelILi8EZZZNS0_16sqrt_kernel_cudaERNS_18TensorIteratorBaseEENKUlvE_clEvENKUlvE_clEvEUlN3c107complexIdEEE_St5arrayIPcLm2EEEEviT0_T1_.has_dyn_sized_stack, 0
	.set _ZN2at6native29vectorized_elementwise_kernelILi8EZZZNS0_16sqrt_kernel_cudaERNS_18TensorIteratorBaseEENKUlvE_clEvENKUlvE_clEvEUlN3c107complexIdEEE_St5arrayIPcLm2EEEEviT0_T1_.has_recursion, 0
	.set _ZN2at6native29vectorized_elementwise_kernelILi8EZZZNS0_16sqrt_kernel_cudaERNS_18TensorIteratorBaseEENKUlvE_clEvENKUlvE_clEvEUlN3c107complexIdEEE_St5arrayIPcLm2EEEEviT0_T1_.has_indirect_call, 0
	.section	.AMDGPU.csdata,"",@progbits
; Kernel info:
; codeLenInByte = 11336
; TotalNumSgprs: 34
; NumVgprs: 32
; NumAgprs: 0
; TotalNumVgprs: 32
; ScratchSize: 0
; MemoryBound: 1
; FloatMode: 240
; IeeeMode: 1
; LDSByteSize: 0 bytes/workgroup (compile time only)
; SGPRBlocks: 4
; VGPRBlocks: 3
; NumSGPRsForWavesPerEU: 34
; NumVGPRsForWavesPerEU: 32
; AccumOffset: 32
; Occupancy: 8
; WaveLimiterHint : 0
; COMPUTE_PGM_RSRC2:SCRATCH_EN: 0
; COMPUTE_PGM_RSRC2:USER_SGPR: 2
; COMPUTE_PGM_RSRC2:TRAP_HANDLER: 0
; COMPUTE_PGM_RSRC2:TGID_X_EN: 1
; COMPUTE_PGM_RSRC2:TGID_Y_EN: 0
; COMPUTE_PGM_RSRC2:TGID_Z_EN: 0
; COMPUTE_PGM_RSRC2:TIDIG_COMP_CNT: 0
; COMPUTE_PGM_RSRC3_GFX90A:ACCUM_OFFSET: 7
; COMPUTE_PGM_RSRC3_GFX90A:TG_SPLIT: 0
	.section	.text._ZN2at6native29vectorized_elementwise_kernelILi4EZZZNS0_16sqrt_kernel_cudaERNS_18TensorIteratorBaseEENKUlvE_clEvENKUlvE_clEvEUlN3c107complexIdEEE_St5arrayIPcLm2EEEEviT0_T1_,"axG",@progbits,_ZN2at6native29vectorized_elementwise_kernelILi4EZZZNS0_16sqrt_kernel_cudaERNS_18TensorIteratorBaseEENKUlvE_clEvENKUlvE_clEvEUlN3c107complexIdEEE_St5arrayIPcLm2EEEEviT0_T1_,comdat
	.globl	_ZN2at6native29vectorized_elementwise_kernelILi4EZZZNS0_16sqrt_kernel_cudaERNS_18TensorIteratorBaseEENKUlvE_clEvENKUlvE_clEvEUlN3c107complexIdEEE_St5arrayIPcLm2EEEEviT0_T1_ ; -- Begin function _ZN2at6native29vectorized_elementwise_kernelILi4EZZZNS0_16sqrt_kernel_cudaERNS_18TensorIteratorBaseEENKUlvE_clEvENKUlvE_clEvEUlN3c107complexIdEEE_St5arrayIPcLm2EEEEviT0_T1_
	.p2align	8
	.type	_ZN2at6native29vectorized_elementwise_kernelILi4EZZZNS0_16sqrt_kernel_cudaERNS_18TensorIteratorBaseEENKUlvE_clEvENKUlvE_clEvEUlN3c107complexIdEEE_St5arrayIPcLm2EEEEviT0_T1_,@function
_ZN2at6native29vectorized_elementwise_kernelILi4EZZZNS0_16sqrt_kernel_cudaERNS_18TensorIteratorBaseEENKUlvE_clEvENKUlvE_clEvEUlN3c107complexIdEEE_St5arrayIPcLm2EEEEviT0_T1_: ; @_ZN2at6native29vectorized_elementwise_kernelILi4EZZZNS0_16sqrt_kernel_cudaERNS_18TensorIteratorBaseEENKUlvE_clEvENKUlvE_clEvEUlN3c107complexIdEEE_St5arrayIPcLm2EEEEviT0_T1_
; %bb.0:
	s_load_dword s3, s[0:1], 0x0
	s_load_dwordx4 s[8:11], s[0:1], 0x8
	s_lshl_b32 s6, s2, 10
	s_mov_b64 s[0:1], -1
	s_waitcnt lgkmcnt(0)
	s_sub_i32 s24, s3, s6
	s_cmpk_gt_i32 s24, 0x3ff
	s_cbranch_scc0 .LBB220_122
; %bb.1:
	s_ashr_i32 s7, s6, 31
	s_lshl_b64 s[4:5], s[6:7], 4
	s_add_u32 s0, s10, s4
	s_addc_u32 s1, s11, s5
	v_lshlrev_b32_e32 v1, 6, v0
	global_load_dwordx4 v[14:17], v1, s[0:1]
	global_load_dwordx4 v[10:13], v1, s[0:1] offset:16
	global_load_dwordx4 v[2:5], v1, s[0:1] offset:48
	;; [unrolled: 1-line block ×3, first 2 shown]
	v_mov_b64_e32 v[18:19], 0
	v_mov_b64_e32 v[20:21], 0
	s_waitcnt vmcnt(3)
	v_cmp_neq_f64_e32 vcc, 0, v[14:15]
	v_cmp_neq_f64_e64 s[0:1], 0, v[16:17]
	s_or_b64 s[0:1], vcc, s[0:1]
	s_and_saveexec_b64 s[12:13], s[0:1]
	s_cbranch_execz .LBB220_31
; %bb.2:
	v_mov_b32_e32 v20, 0
	v_mov_b32_e32 v21, 0x7ff00000
	v_cmp_neq_f64_e64 s[0:1], |v[16:17]|, v[20:21]
	s_and_saveexec_b64 s[14:15], s[0:1]
	s_cbranch_execz .LBB220_30
; %bb.3:
	v_cmp_o_f64_e32 vcc, v[14:15], v[14:15]
                                        ; implicit-def: $vgpr20_vgpr21
	s_and_saveexec_b64 s[0:1], vcc
	s_xor_b64 s[16:17], exec, s[0:1]
	s_cbranch_execz .LBB220_27
; %bb.4:
	s_mov_b32 s0, 0
	s_mov_b32 s1, 0x7ff00000
	v_cmp_neq_f64_e64 s[0:1], |v[14:15]|, s[0:1]
                                        ; implicit-def: $vgpr20_vgpr21
	s_and_saveexec_b64 s[2:3], s[0:1]
	s_xor_b64 s[18:19], exec, s[2:3]
	s_cbranch_execz .LBB220_20
; %bb.5:
	v_max_f64 v[20:21], |v[16:17]|, |v[16:17]|
	v_max_f64 v[22:23], |v[14:15]|, |v[14:15]|
	s_mov_b32 s0, 0x99fcef32
	v_max_f64 v[20:21], v[22:23], v[20:21]
	s_mov_b32 s1, 0x7fda8279
	v_cmp_nle_f64_e64 s[0:1], s[0:1], v[20:21]
                                        ; implicit-def: $sgpr20_sgpr21
	s_and_saveexec_b64 s[2:3], s[0:1]
	s_xor_b64 s[2:3], exec, s[2:3]
	s_cbranch_execz .LBB220_9
; %bb.6:
	s_mov_b32 s20, 0
	s_mov_b32 s21, 0x200000
	v_cmp_le_f64_e64 s[22:23], |v[14:15]|, s[20:21]
	v_cmp_le_f64_e64 s[20:21], |v[16:17]|, s[20:21]
	s_and_b64 s[26:27], s[22:23], s[20:21]
	s_mov_b64 s[20:21], 0
	s_and_saveexec_b64 s[22:23], s[26:27]
; %bb.7:
	s_mov_b64 s[20:21], exec
	v_mul_f64 v[16:17], v[16:17], 4.0
	v_mul_f64 v[14:15], v[14:15], 4.0
; %bb.8:
	s_or_b64 exec, exec, s[22:23]
.LBB220_9:
	s_andn2_saveexec_b64 s[2:3], s[2:3]
; %bb.10:
	v_ldexp_f64 v[14:15], v[14:15], -2
	v_ldexp_f64 v[16:17], v[16:17], -2
	s_andn2_b64 s[20:21], s[20:21], exec
; %bb.11:
	s_or_b64 exec, exec, s[2:3]
	v_max_f64 v[20:21], |v[16:17]|, |v[16:17]|
	v_max_f64 v[22:23], |v[14:15]|, |v[14:15]|
	v_max_f64 v[20:21], v[22:23], v[20:21]
	v_frexp_exp_i32_f64_e32 v28, v[20:21]
	v_sub_u32_e32 v22, 0, v28
	v_ldexp_f64 v[20:21], |v[14:15]|, v22
	v_ldexp_f64 v[22:23], |v[16:17]|, v22
	v_mul_f64 v[22:23], v[22:23], v[22:23]
	v_fmac_f64_e32 v[22:23], v[20:21], v[20:21]
	v_rsq_f64_e32 v[20:21], v[22:23]
	v_cmp_eq_f64_e64 s[2:3], 0, v[22:23]
	s_movk_i32 s7, 0x204
	v_cmp_class_f64_e64 s[22:23], v[16:17], s7
	v_mul_f64 v[24:25], v[22:23], v[20:21]
	v_mul_f64 v[20:21], v[20:21], 0.5
	v_fma_f64 v[26:27], -v[20:21], v[24:25], 0.5
	v_fmac_f64_e32 v[24:25], v[24:25], v[26:27]
	v_fmac_f64_e32 v[20:21], v[20:21], v[26:27]
	v_fma_f64 v[26:27], -v[24:25], v[24:25], v[22:23]
	v_fmac_f64_e32 v[24:25], v[26:27], v[20:21]
	v_cndmask_b32_e64 v21, v25, v23, s[2:3]
	v_cndmask_b32_e64 v20, v24, v22, s[2:3]
	v_ldexp_f64 v[20:21], v[20:21], v28
	v_cmp_o_f64_e64 s[2:3], v[16:17], v[16:17]
	v_mov_b32_e32 v22, 0x7ff80000
	v_cmp_le_f64_e32 vcc, 0, v[14:15]
	v_cndmask_b32_e64 v20, 0, v20, s[2:3]
	v_cndmask_b32_e64 v21, v22, v21, s[2:3]
	v_cmp_class_f64_e64 s[2:3], v[14:15], s7
	v_mov_b32_e32 v22, 0x7ff00000
	s_or_b64 s[2:3], s[22:23], s[2:3]
	v_cndmask_b32_e64 v21, v21, v22, s[2:3]
	v_cndmask_b32_e64 v20, v20, 0, s[2:3]
                                        ; implicit-def: $vgpr22_vgpr23
                                        ; implicit-def: $vgpr24_vgpr25
	s_and_saveexec_b64 s[2:3], vcc
	s_xor_b64 s[2:3], exec, s[2:3]
	s_cbranch_execz .LBB220_13
; %bb.12:
	v_add_f64 v[14:15], v[14:15], v[20:21]
	s_mov_b32 s22, 0
	v_mul_f64 v[14:15], v[14:15], 0.5
	s_brev_b32 s23, 8
	v_mov_b32_e32 v20, 0x100
	v_cmp_gt_f64_e32 vcc, s[22:23], v[14:15]
	s_nop 1
	v_cndmask_b32_e32 v20, 0, v20, vcc
	v_ldexp_f64 v[14:15], v[14:15], v20
	v_rsq_f64_e32 v[20:21], v[14:15]
	s_nop 0
	v_mul_f64 v[22:23], v[14:15], v[20:21]
	v_mul_f64 v[20:21], v[20:21], 0.5
	v_fma_f64 v[24:25], -v[20:21], v[22:23], 0.5
	v_fmac_f64_e32 v[22:23], v[22:23], v[24:25]
	v_fma_f64 v[26:27], -v[22:23], v[22:23], v[14:15]
	v_fmac_f64_e32 v[20:21], v[20:21], v[24:25]
	v_fmac_f64_e32 v[22:23], v[26:27], v[20:21]
	v_fma_f64 v[24:25], -v[22:23], v[22:23], v[14:15]
	v_fmac_f64_e32 v[22:23], v[24:25], v[20:21]
	v_mov_b32_e32 v20, 0xffffff80
	v_cndmask_b32_e32 v20, 0, v20, vcc
	v_ldexp_f64 v[20:21], v[22:23], v20
	v_mov_b32_e32 v22, 0x260
	v_cmp_class_f64_e32 vcc, v[14:15], v22
	s_nop 1
	v_cndmask_b32_e32 v25, v21, v15, vcc
	v_cndmask_b32_e32 v24, v20, v14, vcc
	v_add_f64 v[14:15], v[24:25], v[24:25]
	v_div_scale_f64 v[20:21], s[22:23], v[14:15], v[14:15], v[16:17]
	v_rcp_f64_e32 v[22:23], v[20:21]
	s_nop 0
	v_fma_f64 v[26:27], -v[20:21], v[22:23], 1.0
	v_fmac_f64_e32 v[22:23], v[22:23], v[26:27]
	v_fma_f64 v[26:27], -v[20:21], v[22:23], 1.0
	v_fmac_f64_e32 v[22:23], v[22:23], v[26:27]
	v_div_scale_f64 v[26:27], vcc, v[16:17], v[14:15], v[16:17]
	v_mul_f64 v[28:29], v[26:27], v[22:23]
	v_fma_f64 v[20:21], -v[20:21], v[28:29], v[26:27]
	s_nop 1
	v_div_fmas_f64 v[20:21], v[20:21], v[22:23], v[28:29]
	v_div_fixup_f64 v[22:23], v[20:21], v[14:15], v[16:17]
                                        ; implicit-def: $vgpr20_vgpr21
                                        ; implicit-def: $vgpr14_vgpr15
	s_andn2_saveexec_b64 s[2:3], s[2:3]
	s_cbranch_execz .LBB220_15
	s_branch .LBB220_14
.LBB220_13:
	s_andn2_saveexec_b64 s[2:3], s[2:3]
	s_cbranch_execz .LBB220_15
.LBB220_14:
	v_add_f64 v[14:15], v[20:21], -v[14:15]
	s_mov_b32 s22, 0
	v_mul_f64 v[14:15], v[14:15], 0.5
	s_brev_b32 s23, 8
	v_mov_b32_e32 v20, 0x100
	v_cmp_gt_f64_e32 vcc, s[22:23], v[14:15]
	s_brev_b32 s7, -2
	s_nop 0
	v_cndmask_b32_e32 v20, 0, v20, vcc
	v_ldexp_f64 v[14:15], v[14:15], v20
	v_rsq_f64_e32 v[20:21], v[14:15]
	s_nop 0
	v_mul_f64 v[22:23], v[14:15], v[20:21]
	v_mul_f64 v[20:21], v[20:21], 0.5
	v_fma_f64 v[24:25], -v[20:21], v[22:23], 0.5
	v_fmac_f64_e32 v[22:23], v[22:23], v[24:25]
	v_fma_f64 v[26:27], -v[22:23], v[22:23], v[14:15]
	v_fmac_f64_e32 v[20:21], v[20:21], v[24:25]
	v_fmac_f64_e32 v[22:23], v[26:27], v[20:21]
	v_fma_f64 v[24:25], -v[22:23], v[22:23], v[14:15]
	v_fmac_f64_e32 v[22:23], v[24:25], v[20:21]
	v_mov_b32_e32 v20, 0xffffff80
	v_cndmask_b32_e32 v20, 0, v20, vcc
	v_ldexp_f64 v[20:21], v[22:23], v20
	v_mov_b32_e32 v22, 0x260
	v_cmp_class_f64_e32 vcc, v[14:15], v22
	s_nop 1
	v_cndmask_b32_e32 v23, v21, v15, vcc
	v_cndmask_b32_e32 v22, v20, v14, vcc
	v_add_f64 v[14:15], v[22:23], v[22:23]
	v_and_b32_e32 v21, 0x7fffffff, v17
	v_mov_b32_e32 v20, v16
	v_div_scale_f64 v[24:25], s[22:23], v[14:15], v[14:15], v[20:21]
	v_rcp_f64_e32 v[26:27], v[24:25]
	v_div_scale_f64 v[20:21], vcc, v[20:21], v[14:15], v[20:21]
	v_bfi_b32 v23, s7, v23, v17
	v_fma_f64 v[28:29], -v[24:25], v[26:27], 1.0
	v_fmac_f64_e32 v[26:27], v[26:27], v[28:29]
	v_fma_f64 v[28:29], -v[24:25], v[26:27], 1.0
	v_fmac_f64_e32 v[26:27], v[26:27], v[28:29]
	v_mul_f64 v[28:29], v[20:21], v[26:27]
	v_fma_f64 v[20:21], -v[24:25], v[28:29], v[20:21]
	v_div_fmas_f64 v[20:21], v[20:21], v[26:27], v[28:29]
	v_div_fixup_f64 v[24:25], v[20:21], v[14:15], |v[16:17]|
.LBB220_15:
	s_or_b64 exec, exec, s[2:3]
                                        ; implicit-def: $vgpr16_vgpr17
                                        ; implicit-def: $vgpr20_vgpr21
	s_and_saveexec_b64 s[2:3], s[0:1]
	s_xor_b64 s[0:1], exec, s[2:3]
	s_cbranch_execz .LBB220_17
; %bb.16:
	v_mul_f64 v[14:15], v[24:25], 0.5
	v_mul_f64 v[16:17], v[22:23], 0.5
	v_cndmask_b32_e64 v21, v25, v15, s[20:21]
	v_cndmask_b32_e64 v20, v24, v14, s[20:21]
	;; [unrolled: 1-line block ×4, first 2 shown]
                                        ; implicit-def: $vgpr24_vgpr25
                                        ; implicit-def: $vgpr22_vgpr23
	s_andn2_saveexec_b64 s[0:1], s[0:1]
	s_cbranch_execnz .LBB220_18
	s_branch .LBB220_19
.LBB220_17:
	s_andn2_saveexec_b64 s[0:1], s[0:1]
.LBB220_18:
	v_add_f64 v[20:21], v[24:25], v[24:25]
	v_add_f64 v[16:17], v[22:23], v[22:23]
.LBB220_19:
	s_or_b64 exec, exec, s[0:1]
.LBB220_20:
	s_andn2_saveexec_b64 s[0:1], s[18:19]
	s_cbranch_execz .LBB220_26
; %bb.21:
	v_add_f64 v[22:23], v[16:17], -v[16:17]
	v_cmp_lt_i64_e32 vcc, -1, v[14:15]
	s_brev_b32 s7, -2
	v_and_b32_e32 v21, 0x7fffffff, v23
	v_mov_b32_e32 v20, v22
	s_and_saveexec_b64 s[2:3], vcc
	s_xor_b64 s[2:3], exec, s[2:3]
; %bb.22:
	v_bfi_b32 v23, s7, v23, v17
	v_mov_b64_e32 v[16:17], v[22:23]
	v_mov_b64_e32 v[20:21], v[14:15]
; %bb.23:
	s_andn2_saveexec_b64 s[2:3], s[2:3]
; %bb.24:
	v_bfi_b32 v15, s7, v15, v17
	v_mov_b64_e32 v[16:17], v[14:15]
; %bb.25:
	s_or_b64 exec, exec, s[2:3]
.LBB220_26:
	s_or_b64 exec, exec, s[0:1]
.LBB220_27:
	s_andn2_saveexec_b64 s[0:1], s[16:17]
	s_cbranch_execz .LBB220_29
; %bb.28:
	v_add_f64 v[16:17], v[16:17], -v[16:17]
	v_div_scale_f64 v[20:21], vcc, v[16:17], v[16:17], v[16:17]
	v_rcp_f64_e32 v[22:23], v[20:21]
	s_nop 0
	v_fma_f64 v[24:25], -v[20:21], v[22:23], 1.0
	v_fmac_f64_e32 v[22:23], v[22:23], v[24:25]
	v_fma_f64 v[24:25], -v[20:21], v[22:23], 1.0
	v_fmac_f64_e32 v[22:23], v[22:23], v[24:25]
	v_mul_f64 v[24:25], v[20:21], v[22:23]
	v_fma_f64 v[20:21], -v[20:21], v[24:25], v[20:21]
	v_div_fmas_f64 v[20:21], v[20:21], v[22:23], v[24:25]
	v_div_fixup_f64 v[16:17], v[20:21], v[16:17], v[16:17]
	v_mov_b64_e32 v[20:21], v[14:15]
.LBB220_29:
	s_or_b64 exec, exec, s[0:1]
.LBB220_30:
	s_or_b64 exec, exec, s[14:15]
.LBB220_31:
	s_or_b64 exec, exec, s[12:13]
	s_waitcnt vmcnt(2)
	v_cmp_neq_f64_e32 vcc, 0, v[10:11]
	v_cmp_neq_f64_e64 s[0:1], 0, v[12:13]
	s_or_b64 s[0:1], vcc, s[0:1]
	s_and_saveexec_b64 s[12:13], s[0:1]
	s_cbranch_execz .LBB220_61
; %bb.32:
	v_mov_b32_e32 v18, 0
	v_mov_b32_e32 v19, 0x7ff00000
	v_cmp_neq_f64_e64 s[0:1], |v[12:13]|, v[18:19]
	s_and_saveexec_b64 s[14:15], s[0:1]
	s_cbranch_execz .LBB220_60
; %bb.33:
	v_cmp_o_f64_e32 vcc, v[10:11], v[10:11]
                                        ; implicit-def: $vgpr18_vgpr19
	s_and_saveexec_b64 s[0:1], vcc
	s_xor_b64 s[16:17], exec, s[0:1]
	s_cbranch_execz .LBB220_57
; %bb.34:
	s_mov_b32 s0, 0
	s_mov_b32 s1, 0x7ff00000
	v_cmp_neq_f64_e64 s[0:1], |v[10:11]|, s[0:1]
                                        ; implicit-def: $vgpr18_vgpr19
	s_and_saveexec_b64 s[2:3], s[0:1]
	s_xor_b64 s[18:19], exec, s[2:3]
	s_cbranch_execz .LBB220_50
; %bb.35:
	v_max_f64 v[14:15], |v[12:13]|, |v[12:13]|
	v_max_f64 v[18:19], |v[10:11]|, |v[10:11]|
	s_mov_b32 s0, 0x99fcef32
	v_max_f64 v[14:15], v[18:19], v[14:15]
	s_mov_b32 s1, 0x7fda8279
	v_cmp_nle_f64_e64 s[0:1], s[0:1], v[14:15]
                                        ; implicit-def: $sgpr20_sgpr21
	s_and_saveexec_b64 s[2:3], s[0:1]
	s_xor_b64 s[2:3], exec, s[2:3]
	s_cbranch_execz .LBB220_39
; %bb.36:
	s_mov_b32 s20, 0
	s_mov_b32 s21, 0x200000
	v_cmp_le_f64_e64 s[22:23], |v[10:11]|, s[20:21]
	v_cmp_le_f64_e64 s[20:21], |v[12:13]|, s[20:21]
	s_and_b64 s[26:27], s[22:23], s[20:21]
	s_mov_b64 s[20:21], 0
	s_and_saveexec_b64 s[22:23], s[26:27]
; %bb.37:
	s_mov_b64 s[20:21], exec
	v_mul_f64 v[12:13], v[12:13], 4.0
	v_mul_f64 v[10:11], v[10:11], 4.0
; %bb.38:
	s_or_b64 exec, exec, s[22:23]
.LBB220_39:
	s_andn2_saveexec_b64 s[2:3], s[2:3]
; %bb.40:
	v_ldexp_f64 v[10:11], v[10:11], -2
	v_ldexp_f64 v[12:13], v[12:13], -2
	s_andn2_b64 s[20:21], s[20:21], exec
; %bb.41:
	s_or_b64 exec, exec, s[2:3]
	v_max_f64 v[14:15], |v[12:13]|, |v[12:13]|
	v_max_f64 v[18:19], |v[10:11]|, |v[10:11]|
	v_max_f64 v[14:15], v[18:19], v[14:15]
	v_frexp_exp_i32_f64_e32 v26, v[14:15]
	v_sub_u32_e32 v18, 0, v26
	v_ldexp_f64 v[14:15], |v[10:11]|, v18
	v_ldexp_f64 v[18:19], |v[12:13]|, v18
	v_mul_f64 v[18:19], v[18:19], v[18:19]
	v_fmac_f64_e32 v[18:19], v[14:15], v[14:15]
	v_rsq_f64_e32 v[14:15], v[18:19]
	v_cmp_eq_f64_e64 s[2:3], 0, v[18:19]
	s_movk_i32 s7, 0x204
	v_cmp_class_f64_e64 s[22:23], v[12:13], s7
	v_mul_f64 v[22:23], v[18:19], v[14:15]
	v_mul_f64 v[14:15], v[14:15], 0.5
	v_fma_f64 v[24:25], -v[14:15], v[22:23], 0.5
	v_fmac_f64_e32 v[22:23], v[22:23], v[24:25]
	v_fmac_f64_e32 v[14:15], v[14:15], v[24:25]
	v_fma_f64 v[24:25], -v[22:23], v[22:23], v[18:19]
	v_fmac_f64_e32 v[22:23], v[24:25], v[14:15]
	v_cndmask_b32_e64 v15, v23, v19, s[2:3]
	v_cndmask_b32_e64 v14, v22, v18, s[2:3]
	v_ldexp_f64 v[14:15], v[14:15], v26
	v_cmp_o_f64_e64 s[2:3], v[12:13], v[12:13]
	v_mov_b32_e32 v18, 0x7ff80000
	v_cmp_le_f64_e32 vcc, 0, v[10:11]
	v_cndmask_b32_e64 v14, 0, v14, s[2:3]
	v_cndmask_b32_e64 v15, v18, v15, s[2:3]
	v_cmp_class_f64_e64 s[2:3], v[10:11], s7
	v_mov_b32_e32 v18, 0x7ff00000
	s_or_b64 s[2:3], s[22:23], s[2:3]
	v_cndmask_b32_e64 v19, v15, v18, s[2:3]
	v_cndmask_b32_e64 v18, v14, 0, s[2:3]
                                        ; implicit-def: $vgpr14_vgpr15
                                        ; implicit-def: $vgpr22_vgpr23
	s_and_saveexec_b64 s[2:3], vcc
	s_xor_b64 s[2:3], exec, s[2:3]
	s_cbranch_execz .LBB220_43
; %bb.42:
	v_add_f64 v[10:11], v[10:11], v[18:19]
	s_mov_b32 s22, 0
	v_mul_f64 v[10:11], v[10:11], 0.5
	s_brev_b32 s23, 8
	v_mov_b32_e32 v14, 0x100
	v_cmp_gt_f64_e32 vcc, s[22:23], v[10:11]
	s_nop 1
	v_cndmask_b32_e32 v14, 0, v14, vcc
	v_ldexp_f64 v[10:11], v[10:11], v14
	v_rsq_f64_e32 v[14:15], v[10:11]
	s_nop 0
	v_mul_f64 v[18:19], v[10:11], v[14:15]
	v_mul_f64 v[14:15], v[14:15], 0.5
	v_fma_f64 v[22:23], -v[14:15], v[18:19], 0.5
	v_fmac_f64_e32 v[18:19], v[18:19], v[22:23]
	v_fma_f64 v[24:25], -v[18:19], v[18:19], v[10:11]
	v_fmac_f64_e32 v[14:15], v[14:15], v[22:23]
	v_fmac_f64_e32 v[18:19], v[24:25], v[14:15]
	v_fma_f64 v[22:23], -v[18:19], v[18:19], v[10:11]
	v_fmac_f64_e32 v[18:19], v[22:23], v[14:15]
	v_mov_b32_e32 v14, 0xffffff80
	v_cndmask_b32_e32 v14, 0, v14, vcc
	v_ldexp_f64 v[14:15], v[18:19], v14
	v_mov_b32_e32 v18, 0x260
	v_cmp_class_f64_e32 vcc, v[10:11], v18
	s_nop 1
	v_cndmask_b32_e32 v23, v15, v11, vcc
	v_cndmask_b32_e32 v22, v14, v10, vcc
	v_add_f64 v[10:11], v[22:23], v[22:23]
	v_div_scale_f64 v[14:15], s[22:23], v[10:11], v[10:11], v[12:13]
	v_rcp_f64_e32 v[18:19], v[14:15]
	s_nop 0
	v_fma_f64 v[24:25], -v[14:15], v[18:19], 1.0
	v_fmac_f64_e32 v[18:19], v[18:19], v[24:25]
	v_fma_f64 v[24:25], -v[14:15], v[18:19], 1.0
	v_fmac_f64_e32 v[18:19], v[18:19], v[24:25]
	v_div_scale_f64 v[24:25], vcc, v[12:13], v[10:11], v[12:13]
	v_mul_f64 v[26:27], v[24:25], v[18:19]
	v_fma_f64 v[14:15], -v[14:15], v[26:27], v[24:25]
	s_nop 1
	v_div_fmas_f64 v[14:15], v[14:15], v[18:19], v[26:27]
	v_div_fixup_f64 v[14:15], v[14:15], v[10:11], v[12:13]
                                        ; implicit-def: $vgpr18_vgpr19
                                        ; implicit-def: $vgpr10_vgpr11
	s_andn2_saveexec_b64 s[2:3], s[2:3]
	s_cbranch_execz .LBB220_45
	s_branch .LBB220_44
.LBB220_43:
	s_andn2_saveexec_b64 s[2:3], s[2:3]
	s_cbranch_execz .LBB220_45
.LBB220_44:
	v_add_f64 v[10:11], v[18:19], -v[10:11]
	s_mov_b32 s22, 0
	v_mul_f64 v[10:11], v[10:11], 0.5
	s_brev_b32 s23, 8
	v_mov_b32_e32 v14, 0x100
	v_cmp_gt_f64_e32 vcc, s[22:23], v[10:11]
	s_brev_b32 s7, -2
	s_nop 0
	v_cndmask_b32_e32 v14, 0, v14, vcc
	v_ldexp_f64 v[10:11], v[10:11], v14
	v_rsq_f64_e32 v[14:15], v[10:11]
	s_nop 0
	v_mul_f64 v[18:19], v[10:11], v[14:15]
	v_mul_f64 v[14:15], v[14:15], 0.5
	v_fma_f64 v[22:23], -v[14:15], v[18:19], 0.5
	v_fmac_f64_e32 v[18:19], v[18:19], v[22:23]
	v_fma_f64 v[24:25], -v[18:19], v[18:19], v[10:11]
	v_fmac_f64_e32 v[14:15], v[14:15], v[22:23]
	v_fmac_f64_e32 v[18:19], v[24:25], v[14:15]
	v_fma_f64 v[22:23], -v[18:19], v[18:19], v[10:11]
	v_fmac_f64_e32 v[18:19], v[22:23], v[14:15]
	v_mov_b32_e32 v14, 0xffffff80
	v_cndmask_b32_e32 v14, 0, v14, vcc
	v_ldexp_f64 v[14:15], v[18:19], v14
	v_mov_b32_e32 v18, 0x260
	v_cmp_class_f64_e32 vcc, v[10:11], v18
	v_and_b32_e32 v19, 0x7fffffff, v13
	v_mov_b32_e32 v18, v12
	v_cndmask_b32_e32 v15, v15, v11, vcc
	v_cndmask_b32_e32 v14, v14, v10, vcc
	v_add_f64 v[10:11], v[14:15], v[14:15]
	v_div_scale_f64 v[22:23], s[22:23], v[10:11], v[10:11], v[18:19]
	v_rcp_f64_e32 v[24:25], v[22:23]
	v_div_scale_f64 v[18:19], vcc, v[18:19], v[10:11], v[18:19]
	v_bfi_b32 v15, s7, v15, v13
	v_fma_f64 v[26:27], -v[22:23], v[24:25], 1.0
	v_fmac_f64_e32 v[24:25], v[24:25], v[26:27]
	v_fma_f64 v[26:27], -v[22:23], v[24:25], 1.0
	v_fmac_f64_e32 v[24:25], v[24:25], v[26:27]
	v_mul_f64 v[26:27], v[18:19], v[24:25]
	v_fma_f64 v[18:19], -v[22:23], v[26:27], v[18:19]
	v_div_fmas_f64 v[18:19], v[18:19], v[24:25], v[26:27]
	v_div_fixup_f64 v[22:23], v[18:19], v[10:11], |v[12:13]|
.LBB220_45:
	s_or_b64 exec, exec, s[2:3]
                                        ; implicit-def: $vgpr12_vgpr13
                                        ; implicit-def: $vgpr18_vgpr19
	s_and_saveexec_b64 s[2:3], s[0:1]
	s_xor_b64 s[0:1], exec, s[2:3]
	s_cbranch_execz .LBB220_47
; %bb.46:
	v_mul_f64 v[10:11], v[22:23], 0.5
	v_mul_f64 v[12:13], v[14:15], 0.5
	v_cndmask_b32_e64 v19, v23, v11, s[20:21]
	v_cndmask_b32_e64 v18, v22, v10, s[20:21]
	;; [unrolled: 1-line block ×4, first 2 shown]
                                        ; implicit-def: $vgpr22_vgpr23
                                        ; implicit-def: $vgpr14_vgpr15
	s_andn2_saveexec_b64 s[0:1], s[0:1]
	s_cbranch_execnz .LBB220_48
	s_branch .LBB220_49
.LBB220_47:
	s_andn2_saveexec_b64 s[0:1], s[0:1]
.LBB220_48:
	v_add_f64 v[18:19], v[22:23], v[22:23]
	v_add_f64 v[12:13], v[14:15], v[14:15]
.LBB220_49:
	s_or_b64 exec, exec, s[0:1]
.LBB220_50:
	s_andn2_saveexec_b64 s[0:1], s[18:19]
	s_cbranch_execz .LBB220_56
; %bb.51:
	v_add_f64 v[14:15], v[12:13], -v[12:13]
	v_cmp_lt_i64_e32 vcc, -1, v[10:11]
	s_brev_b32 s7, -2
	v_and_b32_e32 v19, 0x7fffffff, v15
	v_mov_b32_e32 v18, v14
	s_and_saveexec_b64 s[2:3], vcc
	s_xor_b64 s[2:3], exec, s[2:3]
; %bb.52:
	v_bfi_b32 v15, s7, v15, v13
	v_mov_b64_e32 v[12:13], v[14:15]
	v_mov_b64_e32 v[18:19], v[10:11]
; %bb.53:
	s_andn2_saveexec_b64 s[2:3], s[2:3]
; %bb.54:
	v_bfi_b32 v11, s7, v11, v13
	v_mov_b64_e32 v[12:13], v[10:11]
; %bb.55:
	s_or_b64 exec, exec, s[2:3]
.LBB220_56:
	s_or_b64 exec, exec, s[0:1]
.LBB220_57:
	s_andn2_saveexec_b64 s[0:1], s[16:17]
	s_cbranch_execz .LBB220_59
; %bb.58:
	v_add_f64 v[12:13], v[12:13], -v[12:13]
	v_div_scale_f64 v[14:15], vcc, v[12:13], v[12:13], v[12:13]
	v_rcp_f64_e32 v[18:19], v[14:15]
	s_nop 0
	v_fma_f64 v[22:23], -v[14:15], v[18:19], 1.0
	v_fmac_f64_e32 v[18:19], v[18:19], v[22:23]
	v_fma_f64 v[22:23], -v[14:15], v[18:19], 1.0
	v_fmac_f64_e32 v[18:19], v[18:19], v[22:23]
	v_mul_f64 v[22:23], v[14:15], v[18:19]
	v_fma_f64 v[14:15], -v[14:15], v[22:23], v[14:15]
	v_div_fmas_f64 v[14:15], v[14:15], v[18:19], v[22:23]
	v_div_fixup_f64 v[12:13], v[14:15], v[12:13], v[12:13]
	v_mov_b64_e32 v[18:19], v[10:11]
.LBB220_59:
	s_or_b64 exec, exec, s[0:1]
.LBB220_60:
	s_or_b64 exec, exec, s[14:15]
.LBB220_61:
	s_or_b64 exec, exec, s[12:13]
	s_waitcnt vmcnt(0)
	v_cmp_neq_f64_e32 vcc, 0, v[6:7]
	v_cmp_neq_f64_e64 s[0:1], 0, v[8:9]
	v_mov_b64_e32 v[10:11], 0
	s_or_b64 s[0:1], vcc, s[0:1]
	v_mov_b64_e32 v[14:15], 0
	s_and_saveexec_b64 s[12:13], s[0:1]
	s_cbranch_execz .LBB220_91
; %bb.62:
	v_mov_b32_e32 v14, 0
	v_mov_b32_e32 v15, 0x7ff00000
	v_cmp_neq_f64_e64 s[0:1], |v[8:9]|, v[14:15]
	s_and_saveexec_b64 s[14:15], s[0:1]
	s_cbranch_execz .LBB220_90
; %bb.63:
	v_cmp_o_f64_e32 vcc, v[6:7], v[6:7]
                                        ; implicit-def: $vgpr14_vgpr15
	s_and_saveexec_b64 s[0:1], vcc
	s_xor_b64 s[16:17], exec, s[0:1]
	s_cbranch_execz .LBB220_87
; %bb.64:
	s_mov_b32 s0, 0
	s_mov_b32 s1, 0x7ff00000
	v_cmp_neq_f64_e64 s[0:1], |v[6:7]|, s[0:1]
                                        ; implicit-def: $vgpr14_vgpr15
	s_and_saveexec_b64 s[2:3], s[0:1]
	s_xor_b64 s[18:19], exec, s[2:3]
	s_cbranch_execz .LBB220_80
; %bb.65:
	v_max_f64 v[14:15], |v[8:9]|, |v[8:9]|
	v_max_f64 v[22:23], |v[6:7]|, |v[6:7]|
	s_mov_b32 s0, 0x99fcef32
	v_max_f64 v[14:15], v[22:23], v[14:15]
	s_mov_b32 s1, 0x7fda8279
	v_cmp_nle_f64_e64 s[0:1], s[0:1], v[14:15]
                                        ; implicit-def: $sgpr20_sgpr21
	s_and_saveexec_b64 s[2:3], s[0:1]
	s_xor_b64 s[2:3], exec, s[2:3]
	s_cbranch_execz .LBB220_69
; %bb.66:
	s_mov_b32 s20, 0
	s_mov_b32 s21, 0x200000
	v_cmp_le_f64_e64 s[22:23], |v[6:7]|, s[20:21]
	v_cmp_le_f64_e64 s[20:21], |v[8:9]|, s[20:21]
	s_and_b64 s[26:27], s[22:23], s[20:21]
	s_mov_b64 s[20:21], 0
	s_and_saveexec_b64 s[22:23], s[26:27]
; %bb.67:
	s_mov_b64 s[20:21], exec
	v_mul_f64 v[8:9], v[8:9], 4.0
	v_mul_f64 v[6:7], v[6:7], 4.0
; %bb.68:
	s_or_b64 exec, exec, s[22:23]
.LBB220_69:
	s_andn2_saveexec_b64 s[2:3], s[2:3]
; %bb.70:
	v_ldexp_f64 v[6:7], v[6:7], -2
	v_ldexp_f64 v[8:9], v[8:9], -2
	s_andn2_b64 s[20:21], s[20:21], exec
; %bb.71:
	s_or_b64 exec, exec, s[2:3]
	v_max_f64 v[14:15], |v[8:9]|, |v[8:9]|
	v_max_f64 v[22:23], |v[6:7]|, |v[6:7]|
	v_max_f64 v[14:15], v[22:23], v[14:15]
	v_frexp_exp_i32_f64_e32 v28, v[14:15]
	v_sub_u32_e32 v22, 0, v28
	v_ldexp_f64 v[14:15], |v[6:7]|, v22
	v_ldexp_f64 v[22:23], |v[8:9]|, v22
	v_mul_f64 v[22:23], v[22:23], v[22:23]
	v_fmac_f64_e32 v[22:23], v[14:15], v[14:15]
	v_rsq_f64_e32 v[14:15], v[22:23]
	v_cmp_eq_f64_e64 s[2:3], 0, v[22:23]
	s_movk_i32 s7, 0x204
	v_cmp_class_f64_e64 s[22:23], v[8:9], s7
	v_mul_f64 v[24:25], v[22:23], v[14:15]
	v_mul_f64 v[14:15], v[14:15], 0.5
	v_fma_f64 v[26:27], -v[14:15], v[24:25], 0.5
	v_fmac_f64_e32 v[24:25], v[24:25], v[26:27]
	v_fmac_f64_e32 v[14:15], v[14:15], v[26:27]
	v_fma_f64 v[26:27], -v[24:25], v[24:25], v[22:23]
	v_fmac_f64_e32 v[24:25], v[26:27], v[14:15]
	v_cndmask_b32_e64 v15, v25, v23, s[2:3]
	v_cndmask_b32_e64 v14, v24, v22, s[2:3]
	v_ldexp_f64 v[14:15], v[14:15], v28
	v_cmp_o_f64_e64 s[2:3], v[8:9], v[8:9]
	v_mov_b32_e32 v22, 0x7ff80000
	v_cmp_le_f64_e32 vcc, 0, v[6:7]
	v_cndmask_b32_e64 v14, 0, v14, s[2:3]
	v_cndmask_b32_e64 v15, v22, v15, s[2:3]
	v_cmp_class_f64_e64 s[2:3], v[6:7], s7
	v_mov_b32_e32 v22, 0x7ff00000
	s_or_b64 s[2:3], s[22:23], s[2:3]
	v_cndmask_b32_e64 v15, v15, v22, s[2:3]
	v_cndmask_b32_e64 v14, v14, 0, s[2:3]
                                        ; implicit-def: $vgpr22_vgpr23
                                        ; implicit-def: $vgpr24_vgpr25
	s_and_saveexec_b64 s[2:3], vcc
	s_xor_b64 s[2:3], exec, s[2:3]
	s_cbranch_execz .LBB220_73
; %bb.72:
	v_add_f64 v[6:7], v[6:7], v[14:15]
	s_mov_b32 s22, 0
	v_mul_f64 v[6:7], v[6:7], 0.5
	s_brev_b32 s23, 8
	v_mov_b32_e32 v14, 0x100
	v_cmp_gt_f64_e32 vcc, s[22:23], v[6:7]
	s_nop 1
	v_cndmask_b32_e32 v14, 0, v14, vcc
	v_ldexp_f64 v[6:7], v[6:7], v14
	v_rsq_f64_e32 v[14:15], v[6:7]
	s_nop 0
	v_mul_f64 v[22:23], v[6:7], v[14:15]
	v_mul_f64 v[14:15], v[14:15], 0.5
	v_fma_f64 v[24:25], -v[14:15], v[22:23], 0.5
	v_fmac_f64_e32 v[22:23], v[22:23], v[24:25]
	v_fma_f64 v[26:27], -v[22:23], v[22:23], v[6:7]
	v_fmac_f64_e32 v[14:15], v[14:15], v[24:25]
	v_fmac_f64_e32 v[22:23], v[26:27], v[14:15]
	v_fma_f64 v[24:25], -v[22:23], v[22:23], v[6:7]
	v_fmac_f64_e32 v[22:23], v[24:25], v[14:15]
	v_mov_b32_e32 v14, 0xffffff80
	v_cndmask_b32_e32 v14, 0, v14, vcc
	v_ldexp_f64 v[14:15], v[22:23], v14
	v_mov_b32_e32 v22, 0x260
	v_cmp_class_f64_e32 vcc, v[6:7], v22
	s_nop 1
	v_cndmask_b32_e32 v25, v15, v7, vcc
	v_cndmask_b32_e32 v24, v14, v6, vcc
	v_add_f64 v[6:7], v[24:25], v[24:25]
	v_div_scale_f64 v[14:15], s[22:23], v[6:7], v[6:7], v[8:9]
	v_rcp_f64_e32 v[22:23], v[14:15]
	s_nop 0
	v_fma_f64 v[26:27], -v[14:15], v[22:23], 1.0
	v_fmac_f64_e32 v[22:23], v[22:23], v[26:27]
	v_fma_f64 v[26:27], -v[14:15], v[22:23], 1.0
	v_fmac_f64_e32 v[22:23], v[22:23], v[26:27]
	v_div_scale_f64 v[26:27], vcc, v[8:9], v[6:7], v[8:9]
	v_mul_f64 v[28:29], v[26:27], v[22:23]
	v_fma_f64 v[14:15], -v[14:15], v[28:29], v[26:27]
	s_nop 1
	v_div_fmas_f64 v[14:15], v[14:15], v[22:23], v[28:29]
	v_div_fixup_f64 v[22:23], v[14:15], v[6:7], v[8:9]
                                        ; implicit-def: $vgpr14_vgpr15
                                        ; implicit-def: $vgpr6_vgpr7
	s_andn2_saveexec_b64 s[2:3], s[2:3]
	s_cbranch_execz .LBB220_75
	s_branch .LBB220_74
.LBB220_73:
	s_andn2_saveexec_b64 s[2:3], s[2:3]
	s_cbranch_execz .LBB220_75
.LBB220_74:
	v_add_f64 v[6:7], v[14:15], -v[6:7]
	s_mov_b32 s22, 0
	v_mul_f64 v[6:7], v[6:7], 0.5
	s_brev_b32 s23, 8
	v_mov_b32_e32 v14, 0x100
	v_cmp_gt_f64_e32 vcc, s[22:23], v[6:7]
	s_brev_b32 s7, -2
	s_nop 0
	v_cndmask_b32_e32 v14, 0, v14, vcc
	v_ldexp_f64 v[6:7], v[6:7], v14
	v_rsq_f64_e32 v[14:15], v[6:7]
	s_nop 0
	v_mul_f64 v[22:23], v[6:7], v[14:15]
	v_mul_f64 v[14:15], v[14:15], 0.5
	v_fma_f64 v[24:25], -v[14:15], v[22:23], 0.5
	v_fmac_f64_e32 v[22:23], v[22:23], v[24:25]
	v_fma_f64 v[26:27], -v[22:23], v[22:23], v[6:7]
	v_fmac_f64_e32 v[14:15], v[14:15], v[24:25]
	v_fmac_f64_e32 v[22:23], v[26:27], v[14:15]
	v_fma_f64 v[24:25], -v[22:23], v[22:23], v[6:7]
	v_fmac_f64_e32 v[22:23], v[24:25], v[14:15]
	v_mov_b32_e32 v14, 0xffffff80
	v_cndmask_b32_e32 v14, 0, v14, vcc
	v_ldexp_f64 v[14:15], v[22:23], v14
	v_mov_b32_e32 v22, 0x260
	v_cmp_class_f64_e32 vcc, v[6:7], v22
	s_nop 1
	v_cndmask_b32_e32 v23, v15, v7, vcc
	v_cndmask_b32_e32 v22, v14, v6, vcc
	v_add_f64 v[6:7], v[22:23], v[22:23]
	v_and_b32_e32 v15, 0x7fffffff, v9
	v_mov_b32_e32 v14, v8
	v_div_scale_f64 v[24:25], s[22:23], v[6:7], v[6:7], v[14:15]
	v_rcp_f64_e32 v[26:27], v[24:25]
	v_div_scale_f64 v[14:15], vcc, v[14:15], v[6:7], v[14:15]
	v_bfi_b32 v23, s7, v23, v9
	v_fma_f64 v[28:29], -v[24:25], v[26:27], 1.0
	v_fmac_f64_e32 v[26:27], v[26:27], v[28:29]
	v_fma_f64 v[28:29], -v[24:25], v[26:27], 1.0
	v_fmac_f64_e32 v[26:27], v[26:27], v[28:29]
	v_mul_f64 v[28:29], v[14:15], v[26:27]
	v_fma_f64 v[14:15], -v[24:25], v[28:29], v[14:15]
	v_div_fmas_f64 v[14:15], v[14:15], v[26:27], v[28:29]
	v_div_fixup_f64 v[24:25], v[14:15], v[6:7], |v[8:9]|
.LBB220_75:
	s_or_b64 exec, exec, s[2:3]
                                        ; implicit-def: $vgpr8_vgpr9
                                        ; implicit-def: $vgpr14_vgpr15
	s_and_saveexec_b64 s[2:3], s[0:1]
	s_xor_b64 s[0:1], exec, s[2:3]
	s_cbranch_execz .LBB220_77
; %bb.76:
	v_mul_f64 v[6:7], v[24:25], 0.5
	v_mul_f64 v[8:9], v[22:23], 0.5
	v_cndmask_b32_e64 v15, v25, v7, s[20:21]
	v_cndmask_b32_e64 v14, v24, v6, s[20:21]
	v_cndmask_b32_e64 v9, v23, v9, s[20:21]
	v_cndmask_b32_e64 v8, v22, v8, s[20:21]
                                        ; implicit-def: $vgpr24_vgpr25
                                        ; implicit-def: $vgpr22_vgpr23
	s_andn2_saveexec_b64 s[0:1], s[0:1]
	s_cbranch_execnz .LBB220_78
	s_branch .LBB220_79
.LBB220_77:
	s_andn2_saveexec_b64 s[0:1], s[0:1]
.LBB220_78:
	v_add_f64 v[14:15], v[24:25], v[24:25]
	v_add_f64 v[8:9], v[22:23], v[22:23]
.LBB220_79:
	s_or_b64 exec, exec, s[0:1]
.LBB220_80:
	s_andn2_saveexec_b64 s[0:1], s[18:19]
	s_cbranch_execz .LBB220_86
; %bb.81:
	v_add_f64 v[22:23], v[8:9], -v[8:9]
	v_cmp_lt_i64_e32 vcc, -1, v[6:7]
	s_brev_b32 s7, -2
	v_and_b32_e32 v15, 0x7fffffff, v23
	v_mov_b32_e32 v14, v22
	s_and_saveexec_b64 s[2:3], vcc
	s_xor_b64 s[2:3], exec, s[2:3]
; %bb.82:
	v_bfi_b32 v23, s7, v23, v9
	v_mov_b64_e32 v[8:9], v[22:23]
	v_mov_b64_e32 v[14:15], v[6:7]
; %bb.83:
	s_andn2_saveexec_b64 s[2:3], s[2:3]
; %bb.84:
	v_bfi_b32 v7, s7, v7, v9
	v_mov_b64_e32 v[8:9], v[6:7]
; %bb.85:
	s_or_b64 exec, exec, s[2:3]
.LBB220_86:
	s_or_b64 exec, exec, s[0:1]
.LBB220_87:
	s_andn2_saveexec_b64 s[0:1], s[16:17]
	s_cbranch_execz .LBB220_89
; %bb.88:
	v_add_f64 v[8:9], v[8:9], -v[8:9]
	v_div_scale_f64 v[14:15], vcc, v[8:9], v[8:9], v[8:9]
	v_rcp_f64_e32 v[22:23], v[14:15]
	s_nop 0
	v_fma_f64 v[24:25], -v[14:15], v[22:23], 1.0
	v_fmac_f64_e32 v[22:23], v[22:23], v[24:25]
	v_fma_f64 v[24:25], -v[14:15], v[22:23], 1.0
	v_fmac_f64_e32 v[22:23], v[22:23], v[24:25]
	v_mul_f64 v[24:25], v[14:15], v[22:23]
	v_fma_f64 v[14:15], -v[14:15], v[24:25], v[14:15]
	v_div_fmas_f64 v[14:15], v[14:15], v[22:23], v[24:25]
	v_div_fixup_f64 v[8:9], v[14:15], v[8:9], v[8:9]
	v_mov_b64_e32 v[14:15], v[6:7]
.LBB220_89:
	s_or_b64 exec, exec, s[0:1]
.LBB220_90:
	s_or_b64 exec, exec, s[14:15]
.LBB220_91:
	s_or_b64 exec, exec, s[12:13]
	v_cmp_neq_f64_e32 vcc, 0, v[2:3]
	v_cmp_neq_f64_e64 s[0:1], 0, v[4:5]
	s_or_b64 s[0:1], vcc, s[0:1]
	s_and_saveexec_b64 s[12:13], s[0:1]
	s_cbranch_execz .LBB220_121
; %bb.92:
	v_mov_b32_e32 v10, 0
	v_mov_b32_e32 v11, 0x7ff00000
	v_cmp_neq_f64_e64 s[0:1], |v[4:5]|, v[10:11]
	s_and_saveexec_b64 s[14:15], s[0:1]
	s_cbranch_execz .LBB220_120
; %bb.93:
	v_cmp_o_f64_e32 vcc, v[2:3], v[2:3]
                                        ; implicit-def: $vgpr10_vgpr11
	s_and_saveexec_b64 s[0:1], vcc
	s_xor_b64 s[16:17], exec, s[0:1]
	s_cbranch_execz .LBB220_117
; %bb.94:
	s_mov_b32 s0, 0
	s_mov_b32 s1, 0x7ff00000
	v_cmp_neq_f64_e64 s[0:1], |v[2:3]|, s[0:1]
                                        ; implicit-def: $vgpr10_vgpr11
	s_and_saveexec_b64 s[2:3], s[0:1]
	s_xor_b64 s[18:19], exec, s[2:3]
	s_cbranch_execz .LBB220_110
; %bb.95:
	v_max_f64 v[6:7], |v[4:5]|, |v[4:5]|
	v_max_f64 v[10:11], |v[2:3]|, |v[2:3]|
	s_mov_b32 s0, 0x99fcef32
	v_max_f64 v[6:7], v[10:11], v[6:7]
	s_mov_b32 s1, 0x7fda8279
	v_cmp_nle_f64_e64 s[0:1], s[0:1], v[6:7]
                                        ; implicit-def: $sgpr20_sgpr21
	s_and_saveexec_b64 s[2:3], s[0:1]
	s_xor_b64 s[2:3], exec, s[2:3]
	s_cbranch_execz .LBB220_99
; %bb.96:
	s_mov_b32 s20, 0
	s_mov_b32 s21, 0x200000
	v_cmp_le_f64_e64 s[22:23], |v[2:3]|, s[20:21]
	v_cmp_le_f64_e64 s[20:21], |v[4:5]|, s[20:21]
	s_and_b64 s[26:27], s[22:23], s[20:21]
	s_mov_b64 s[20:21], 0
	s_and_saveexec_b64 s[22:23], s[26:27]
; %bb.97:
	s_mov_b64 s[20:21], exec
	v_mul_f64 v[4:5], v[4:5], 4.0
	v_mul_f64 v[2:3], v[2:3], 4.0
; %bb.98:
	s_or_b64 exec, exec, s[22:23]
.LBB220_99:
	s_andn2_saveexec_b64 s[2:3], s[2:3]
; %bb.100:
	v_ldexp_f64 v[2:3], v[2:3], -2
	v_ldexp_f64 v[4:5], v[4:5], -2
	s_andn2_b64 s[20:21], s[20:21], exec
; %bb.101:
	s_or_b64 exec, exec, s[2:3]
	v_max_f64 v[6:7], |v[4:5]|, |v[4:5]|
	v_max_f64 v[10:11], |v[2:3]|, |v[2:3]|
	v_max_f64 v[6:7], v[10:11], v[6:7]
	v_frexp_exp_i32_f64_e32 v26, v[6:7]
	v_sub_u32_e32 v10, 0, v26
	v_ldexp_f64 v[6:7], |v[2:3]|, v10
	v_ldexp_f64 v[10:11], |v[4:5]|, v10
	v_mul_f64 v[10:11], v[10:11], v[10:11]
	v_fmac_f64_e32 v[10:11], v[6:7], v[6:7]
	v_rsq_f64_e32 v[6:7], v[10:11]
	v_cmp_eq_f64_e64 s[2:3], 0, v[10:11]
	s_movk_i32 s7, 0x204
	v_cmp_class_f64_e64 s[22:23], v[4:5], s7
	v_mul_f64 v[22:23], v[10:11], v[6:7]
	v_mul_f64 v[6:7], v[6:7], 0.5
	v_fma_f64 v[24:25], -v[6:7], v[22:23], 0.5
	v_fmac_f64_e32 v[22:23], v[22:23], v[24:25]
	v_fmac_f64_e32 v[6:7], v[6:7], v[24:25]
	v_fma_f64 v[24:25], -v[22:23], v[22:23], v[10:11]
	v_fmac_f64_e32 v[22:23], v[24:25], v[6:7]
	v_cndmask_b32_e64 v7, v23, v11, s[2:3]
	v_cndmask_b32_e64 v6, v22, v10, s[2:3]
	v_ldexp_f64 v[6:7], v[6:7], v26
	v_cmp_o_f64_e64 s[2:3], v[4:5], v[4:5]
	v_mov_b32_e32 v10, 0x7ff80000
	v_cmp_le_f64_e32 vcc, 0, v[2:3]
	v_cndmask_b32_e64 v6, 0, v6, s[2:3]
	v_cndmask_b32_e64 v7, v10, v7, s[2:3]
	v_cmp_class_f64_e64 s[2:3], v[2:3], s7
	v_mov_b32_e32 v10, 0x7ff00000
	s_or_b64 s[2:3], s[22:23], s[2:3]
	v_cndmask_b32_e64 v11, v7, v10, s[2:3]
	v_cndmask_b32_e64 v10, v6, 0, s[2:3]
                                        ; implicit-def: $vgpr6_vgpr7
                                        ; implicit-def: $vgpr22_vgpr23
	s_and_saveexec_b64 s[2:3], vcc
	s_xor_b64 s[2:3], exec, s[2:3]
	s_cbranch_execz .LBB220_103
; %bb.102:
	v_add_f64 v[2:3], v[2:3], v[10:11]
	s_mov_b32 s22, 0
	v_mul_f64 v[2:3], v[2:3], 0.5
	s_brev_b32 s23, 8
	v_mov_b32_e32 v6, 0x100
	v_cmp_gt_f64_e32 vcc, s[22:23], v[2:3]
	s_nop 1
	v_cndmask_b32_e32 v6, 0, v6, vcc
	v_ldexp_f64 v[2:3], v[2:3], v6
	v_rsq_f64_e32 v[6:7], v[2:3]
	s_nop 0
	v_mul_f64 v[10:11], v[2:3], v[6:7]
	v_mul_f64 v[6:7], v[6:7], 0.5
	v_fma_f64 v[22:23], -v[6:7], v[10:11], 0.5
	v_fmac_f64_e32 v[10:11], v[10:11], v[22:23]
	v_fma_f64 v[24:25], -v[10:11], v[10:11], v[2:3]
	v_fmac_f64_e32 v[6:7], v[6:7], v[22:23]
	v_fmac_f64_e32 v[10:11], v[24:25], v[6:7]
	v_fma_f64 v[22:23], -v[10:11], v[10:11], v[2:3]
	v_fmac_f64_e32 v[10:11], v[22:23], v[6:7]
	v_mov_b32_e32 v6, 0xffffff80
	v_cndmask_b32_e32 v6, 0, v6, vcc
	v_ldexp_f64 v[6:7], v[10:11], v6
	v_mov_b32_e32 v10, 0x260
	v_cmp_class_f64_e32 vcc, v[2:3], v10
	s_nop 1
	v_cndmask_b32_e32 v23, v7, v3, vcc
	v_cndmask_b32_e32 v22, v6, v2, vcc
	v_add_f64 v[2:3], v[22:23], v[22:23]
	v_div_scale_f64 v[6:7], s[22:23], v[2:3], v[2:3], v[4:5]
	v_rcp_f64_e32 v[10:11], v[6:7]
	s_nop 0
	v_fma_f64 v[24:25], -v[6:7], v[10:11], 1.0
	v_fmac_f64_e32 v[10:11], v[10:11], v[24:25]
	v_fma_f64 v[24:25], -v[6:7], v[10:11], 1.0
	v_fmac_f64_e32 v[10:11], v[10:11], v[24:25]
	v_div_scale_f64 v[24:25], vcc, v[4:5], v[2:3], v[4:5]
	v_mul_f64 v[26:27], v[24:25], v[10:11]
	v_fma_f64 v[6:7], -v[6:7], v[26:27], v[24:25]
	s_nop 1
	v_div_fmas_f64 v[6:7], v[6:7], v[10:11], v[26:27]
	v_div_fixup_f64 v[6:7], v[6:7], v[2:3], v[4:5]
                                        ; implicit-def: $vgpr10_vgpr11
                                        ; implicit-def: $vgpr2_vgpr3
	s_andn2_saveexec_b64 s[2:3], s[2:3]
	s_cbranch_execz .LBB220_105
	s_branch .LBB220_104
.LBB220_103:
	s_andn2_saveexec_b64 s[2:3], s[2:3]
	s_cbranch_execz .LBB220_105
.LBB220_104:
	v_add_f64 v[2:3], v[10:11], -v[2:3]
	s_mov_b32 s22, 0
	v_mul_f64 v[2:3], v[2:3], 0.5
	s_brev_b32 s23, 8
	v_mov_b32_e32 v6, 0x100
	v_cmp_gt_f64_e32 vcc, s[22:23], v[2:3]
	s_brev_b32 s7, -2
	s_nop 0
	v_cndmask_b32_e32 v6, 0, v6, vcc
	v_ldexp_f64 v[2:3], v[2:3], v6
	v_rsq_f64_e32 v[6:7], v[2:3]
	s_nop 0
	v_mul_f64 v[10:11], v[2:3], v[6:7]
	v_mul_f64 v[6:7], v[6:7], 0.5
	v_fma_f64 v[22:23], -v[6:7], v[10:11], 0.5
	v_fmac_f64_e32 v[10:11], v[10:11], v[22:23]
	v_fma_f64 v[24:25], -v[10:11], v[10:11], v[2:3]
	v_fmac_f64_e32 v[6:7], v[6:7], v[22:23]
	v_fmac_f64_e32 v[10:11], v[24:25], v[6:7]
	v_fma_f64 v[22:23], -v[10:11], v[10:11], v[2:3]
	v_fmac_f64_e32 v[10:11], v[22:23], v[6:7]
	v_mov_b32_e32 v6, 0xffffff80
	v_cndmask_b32_e32 v6, 0, v6, vcc
	v_ldexp_f64 v[6:7], v[10:11], v6
	v_mov_b32_e32 v10, 0x260
	v_cmp_class_f64_e32 vcc, v[2:3], v10
	v_and_b32_e32 v11, 0x7fffffff, v5
	v_mov_b32_e32 v10, v4
	v_cndmask_b32_e32 v7, v7, v3, vcc
	v_cndmask_b32_e32 v6, v6, v2, vcc
	v_add_f64 v[2:3], v[6:7], v[6:7]
	v_div_scale_f64 v[22:23], s[22:23], v[2:3], v[2:3], v[10:11]
	v_rcp_f64_e32 v[24:25], v[22:23]
	v_div_scale_f64 v[10:11], vcc, v[10:11], v[2:3], v[10:11]
	v_bfi_b32 v7, s7, v7, v5
	v_fma_f64 v[26:27], -v[22:23], v[24:25], 1.0
	v_fmac_f64_e32 v[24:25], v[24:25], v[26:27]
	v_fma_f64 v[26:27], -v[22:23], v[24:25], 1.0
	v_fmac_f64_e32 v[24:25], v[24:25], v[26:27]
	v_mul_f64 v[26:27], v[10:11], v[24:25]
	v_fma_f64 v[10:11], -v[22:23], v[26:27], v[10:11]
	v_div_fmas_f64 v[10:11], v[10:11], v[24:25], v[26:27]
	v_div_fixup_f64 v[22:23], v[10:11], v[2:3], |v[4:5]|
.LBB220_105:
	s_or_b64 exec, exec, s[2:3]
                                        ; implicit-def: $vgpr4_vgpr5
                                        ; implicit-def: $vgpr10_vgpr11
	s_and_saveexec_b64 s[2:3], s[0:1]
	s_xor_b64 s[0:1], exec, s[2:3]
	s_cbranch_execz .LBB220_107
; %bb.106:
	v_mul_f64 v[2:3], v[22:23], 0.5
	v_mul_f64 v[4:5], v[6:7], 0.5
	v_cndmask_b32_e64 v11, v23, v3, s[20:21]
	v_cndmask_b32_e64 v10, v22, v2, s[20:21]
	;; [unrolled: 1-line block ×4, first 2 shown]
                                        ; implicit-def: $vgpr22_vgpr23
                                        ; implicit-def: $vgpr6_vgpr7
	s_andn2_saveexec_b64 s[0:1], s[0:1]
	s_cbranch_execnz .LBB220_108
	s_branch .LBB220_109
.LBB220_107:
	s_andn2_saveexec_b64 s[0:1], s[0:1]
.LBB220_108:
	v_add_f64 v[10:11], v[22:23], v[22:23]
	v_add_f64 v[4:5], v[6:7], v[6:7]
.LBB220_109:
	s_or_b64 exec, exec, s[0:1]
.LBB220_110:
	s_andn2_saveexec_b64 s[0:1], s[18:19]
	s_cbranch_execz .LBB220_116
; %bb.111:
	v_add_f64 v[6:7], v[4:5], -v[4:5]
	v_cmp_lt_i64_e32 vcc, -1, v[2:3]
	s_brev_b32 s7, -2
	v_and_b32_e32 v11, 0x7fffffff, v7
	v_mov_b32_e32 v10, v6
	s_and_saveexec_b64 s[2:3], vcc
	s_xor_b64 s[2:3], exec, s[2:3]
; %bb.112:
	v_bfi_b32 v7, s7, v7, v5
	v_mov_b64_e32 v[4:5], v[6:7]
	v_mov_b64_e32 v[10:11], v[2:3]
; %bb.113:
	s_andn2_saveexec_b64 s[2:3], s[2:3]
; %bb.114:
	v_bfi_b32 v3, s7, v3, v5
	v_mov_b64_e32 v[4:5], v[2:3]
; %bb.115:
	s_or_b64 exec, exec, s[2:3]
.LBB220_116:
	s_or_b64 exec, exec, s[0:1]
.LBB220_117:
	s_andn2_saveexec_b64 s[0:1], s[16:17]
	s_cbranch_execz .LBB220_119
; %bb.118:
	v_add_f64 v[4:5], v[4:5], -v[4:5]
	v_div_scale_f64 v[6:7], vcc, v[4:5], v[4:5], v[4:5]
	v_rcp_f64_e32 v[10:11], v[6:7]
	s_nop 0
	v_fma_f64 v[22:23], -v[6:7], v[10:11], 1.0
	v_fmac_f64_e32 v[10:11], v[10:11], v[22:23]
	v_fma_f64 v[22:23], -v[6:7], v[10:11], 1.0
	v_fmac_f64_e32 v[10:11], v[10:11], v[22:23]
	v_mul_f64 v[22:23], v[6:7], v[10:11]
	v_fma_f64 v[6:7], -v[6:7], v[22:23], v[6:7]
	v_div_fmas_f64 v[6:7], v[6:7], v[10:11], v[22:23]
	v_div_fixup_f64 v[4:5], v[6:7], v[4:5], v[4:5]
	v_mov_b64_e32 v[10:11], v[2:3]
.LBB220_119:
	s_or_b64 exec, exec, s[0:1]
.LBB220_120:
	s_or_b64 exec, exec, s[14:15]
.LBB220_121:
	s_or_b64 exec, exec, s[12:13]
	s_add_u32 s0, s8, s4
	s_addc_u32 s1, s9, s5
	v_mov_b32_e32 v22, v16
	v_mov_b32_e32 v23, v17
	global_store_dwordx4 v1, v[20:23], s[0:1]
	v_mov_b32_e32 v16, v8
	v_mov_b32_e32 v17, v9
	;; [unrolled: 1-line block ×6, first 2 shown]
	global_store_dwordx4 v1, v[18:21], s[0:1] offset:16
	global_store_dwordx4 v1, v[14:17], s[0:1] offset:32
	global_store_dwordx4 v1, v[10:13], s[0:1] offset:48
	s_mov_b64 s[0:1], 0
.LBB220_122:
	s_and_b64 vcc, exec, s[0:1]
	s_cbranch_vccz .LBB220_267
; %bb.123:
	v_cmp_gt_i32_e64 s[0:1], s24, v0
	v_mov_b64_e32 v[18:19], 0
	v_or_b32_e32 v26, s6, v0
	v_mov_b64_e32 v[22:23], 0
	v_mov_b64_e32 v[24:25], 0
	v_mov_b32_e32 v1, v0
	s_and_saveexec_b64 s[2:3], s[0:1]
	s_cbranch_execz .LBB220_125
; %bb.124:
	v_mov_b32_e32 v27, 0
	v_lshl_add_u64 v[2:3], v[26:27], 4, s[10:11]
	global_load_dwordx4 v[22:25], v[2:3], off
	v_or_b32_e32 v1, 0x100, v0
.LBB220_125:
	s_or_b64 exec, exec, s[2:3]
	v_cmp_gt_i32_e32 vcc, s24, v1
	v_mov_b64_e32 v[20:21], 0
	s_and_saveexec_b64 s[2:3], vcc
	s_cbranch_execz .LBB220_127
; %bb.126:
	v_add_u32_e32 v2, s6, v1
	v_mov_b32_e32 v3, 0
	v_lshl_add_u64 v[2:3], v[2:3], 4, s[10:11]
	global_load_dwordx4 v[18:21], v[2:3], off
	v_add_u32_e32 v1, 0x100, v1
.LBB220_127:
	s_or_b64 exec, exec, s[2:3]
	v_cmp_gt_i32_e32 vcc, s24, v1
	v_mov_b64_e32 v[2:3], 0
	v_mov_b64_e32 v[14:15], 0
	v_mov_b64_e32 v[16:17], 0
	s_and_saveexec_b64 s[2:3], vcc
	s_cbranch_execz .LBB220_129
; %bb.128:
	v_add_u32_e32 v4, s6, v1
	v_mov_b32_e32 v5, 0
	v_lshl_add_u64 v[4:5], v[4:5], 4, s[10:11]
	global_load_dwordx4 v[14:17], v[4:5], off
	v_add_u32_e32 v1, 0x100, v1
.LBB220_129:
	s_or_b64 exec, exec, s[2:3]
	v_cmp_gt_i32_e32 vcc, s24, v1
	v_mov_b64_e32 v[4:5], 0
	s_and_saveexec_b64 s[2:3], vcc
	s_cbranch_execz .LBB220_131
; %bb.130:
	v_add_u32_e32 v2, s6, v1
	v_mov_b32_e32 v3, 0
	v_lshl_add_u64 v[2:3], v[2:3], 4, s[10:11]
	global_load_dwordx4 v[2:5], v[2:3], off
.LBB220_131:
	s_or_b64 exec, exec, s[2:3]
	v_mov_b64_e32 v[8:9], 0
	v_mov_b64_e32 v[12:13], 0
	;; [unrolled: 1-line block ×3, first 2 shown]
	s_and_saveexec_b64 s[10:11], s[0:1]
	s_cbranch_execz .LBB220_163
; %bb.132:
	s_waitcnt vmcnt(0)
	v_cmp_neq_f64_e32 vcc, 0, v[22:23]
	v_cmp_neq_f64_e64 s[2:3], 0, v[24:25]
	v_mov_b64_e32 v[10:11], 0
	s_or_b64 s[2:3], vcc, s[2:3]
	s_and_saveexec_b64 s[12:13], s[2:3]
	s_cbranch_execz .LBB220_162
; %bb.133:
	v_mov_b32_e32 v10, 0
	v_mov_b32_e32 v11, 0x7ff00000
	v_cmp_neq_f64_e64 s[2:3], |v[24:25]|, v[10:11]
	s_and_saveexec_b64 s[14:15], s[2:3]
	s_cbranch_execz .LBB220_161
; %bb.134:
	v_cmp_o_f64_e32 vcc, v[22:23], v[22:23]
                                        ; implicit-def: $vgpr10_vgpr11
	s_and_saveexec_b64 s[2:3], vcc
	s_xor_b64 s[16:17], exec, s[2:3]
	s_cbranch_execz .LBB220_158
; %bb.135:
	s_mov_b32 s2, 0
	s_mov_b32 s3, 0x7ff00000
	v_cmp_neq_f64_e64 s[2:3], |v[22:23]|, s[2:3]
                                        ; implicit-def: $vgpr10_vgpr11
	s_and_saveexec_b64 s[4:5], s[2:3]
	s_xor_b64 s[18:19], exec, s[4:5]
	s_cbranch_execz .LBB220_151
; %bb.136:
	v_max_f64 v[6:7], |v[24:25]|, |v[24:25]|
	v_max_f64 v[10:11], |v[22:23]|, |v[22:23]|
	s_mov_b32 s2, 0x99fcef32
	v_max_f64 v[6:7], v[10:11], v[6:7]
	s_mov_b32 s3, 0x7fda8279
	v_cmp_nle_f64_e64 s[2:3], s[2:3], v[6:7]
                                        ; implicit-def: $sgpr20_sgpr21
	s_and_saveexec_b64 s[4:5], s[2:3]
	s_xor_b64 s[4:5], exec, s[4:5]
	s_cbranch_execz .LBB220_140
; %bb.137:
	s_mov_b32 s20, 0
	s_mov_b32 s21, 0x200000
	v_cmp_le_f64_e64 s[22:23], |v[22:23]|, s[20:21]
	v_cmp_le_f64_e64 s[20:21], |v[24:25]|, s[20:21]
	s_and_b64 s[26:27], s[22:23], s[20:21]
	s_mov_b64 s[20:21], 0
	s_and_saveexec_b64 s[22:23], s[26:27]
; %bb.138:
	s_mov_b64 s[20:21], exec
	v_mul_f64 v[24:25], v[24:25], 4.0
	v_mul_f64 v[22:23], v[22:23], 4.0
; %bb.139:
	s_or_b64 exec, exec, s[22:23]
.LBB220_140:
	s_andn2_saveexec_b64 s[4:5], s[4:5]
; %bb.141:
	v_ldexp_f64 v[22:23], v[22:23], -2
	v_ldexp_f64 v[24:25], v[24:25], -2
	s_andn2_b64 s[20:21], s[20:21], exec
; %bb.142:
	s_or_b64 exec, exec, s[4:5]
	v_max_f64 v[6:7], |v[24:25]|, |v[24:25]|
	v_max_f64 v[10:11], |v[22:23]|, |v[22:23]|
	v_max_f64 v[6:7], v[10:11], v[6:7]
	v_frexp_exp_i32_f64_e32 v1, v[6:7]
	v_sub_u32_e32 v10, 0, v1
	v_ldexp_f64 v[6:7], |v[22:23]|, v10
	v_ldexp_f64 v[10:11], |v[24:25]|, v10
	v_mul_f64 v[10:11], v[10:11], v[10:11]
	v_fmac_f64_e32 v[10:11], v[6:7], v[6:7]
	v_rsq_f64_e32 v[6:7], v[10:11]
	v_cmp_eq_f64_e64 s[4:5], 0, v[10:11]
	s_movk_i32 s7, 0x204
	v_cmp_class_f64_e64 s[22:23], v[24:25], s7
	v_mul_f64 v[12:13], v[10:11], v[6:7]
	v_mul_f64 v[6:7], v[6:7], 0.5
	v_fma_f64 v[28:29], -v[6:7], v[12:13], 0.5
	v_fmac_f64_e32 v[12:13], v[12:13], v[28:29]
	v_fmac_f64_e32 v[6:7], v[6:7], v[28:29]
	v_fma_f64 v[28:29], -v[12:13], v[12:13], v[10:11]
	v_fmac_f64_e32 v[12:13], v[28:29], v[6:7]
	v_cndmask_b32_e64 v7, v13, v11, s[4:5]
	v_cndmask_b32_e64 v6, v12, v10, s[4:5]
	v_ldexp_f64 v[6:7], v[6:7], v1
	v_cmp_o_f64_e64 s[4:5], v[24:25], v[24:25]
	v_cmp_le_f64_e32 vcc, 0, v[22:23]
                                        ; implicit-def: $vgpr12_vgpr13
	s_nop 0
	v_cndmask_b32_e64 v1, 0, v6, s[4:5]
	v_mov_b32_e32 v6, 0x7ff80000
	v_cndmask_b32_e64 v6, v6, v7, s[4:5]
	v_cmp_class_f64_e64 s[4:5], v[22:23], s7
	v_mov_b32_e32 v7, 0x7ff00000
	s_or_b64 s[4:5], s[22:23], s[4:5]
	v_cndmask_b32_e64 v11, v6, v7, s[4:5]
	v_cndmask_b32_e64 v10, v1, 0, s[4:5]
                                        ; implicit-def: $vgpr6_vgpr7
	s_and_saveexec_b64 s[4:5], vcc
	s_xor_b64 s[4:5], exec, s[4:5]
	s_cbranch_execz .LBB220_144
; %bb.143:
	v_add_f64 v[6:7], v[22:23], v[10:11]
	s_mov_b32 s22, 0
	v_mul_f64 v[6:7], v[6:7], 0.5
	s_brev_b32 s23, 8
	v_mov_b32_e32 v1, 0x100
	v_cmp_gt_f64_e32 vcc, s[22:23], v[6:7]
	s_nop 1
	v_cndmask_b32_e32 v1, 0, v1, vcc
	v_ldexp_f64 v[6:7], v[6:7], v1
	v_rsq_f64_e32 v[10:11], v[6:7]
	v_mov_b32_e32 v1, 0xffffff80
	v_cndmask_b32_e32 v1, 0, v1, vcc
	v_mul_f64 v[12:13], v[6:7], v[10:11]
	v_mul_f64 v[10:11], v[10:11], 0.5
	v_fma_f64 v[22:23], -v[10:11], v[12:13], 0.5
	v_fmac_f64_e32 v[12:13], v[12:13], v[22:23]
	v_fma_f64 v[28:29], -v[12:13], v[12:13], v[6:7]
	v_fmac_f64_e32 v[10:11], v[10:11], v[22:23]
	v_fmac_f64_e32 v[12:13], v[28:29], v[10:11]
	v_fma_f64 v[22:23], -v[12:13], v[12:13], v[6:7]
	v_fmac_f64_e32 v[12:13], v[22:23], v[10:11]
	v_ldexp_f64 v[10:11], v[12:13], v1
	v_mov_b32_e32 v1, 0x260
	v_cmp_class_f64_e32 vcc, v[6:7], v1
	s_nop 1
	v_cndmask_b32_e32 v13, v11, v7, vcc
	v_cndmask_b32_e32 v12, v10, v6, vcc
	v_add_f64 v[6:7], v[12:13], v[12:13]
	v_div_scale_f64 v[10:11], s[22:23], v[6:7], v[6:7], v[24:25]
	v_rcp_f64_e32 v[22:23], v[10:11]
	s_nop 0
	v_fma_f64 v[28:29], -v[10:11], v[22:23], 1.0
	v_fmac_f64_e32 v[22:23], v[22:23], v[28:29]
	v_fma_f64 v[28:29], -v[10:11], v[22:23], 1.0
	v_fmac_f64_e32 v[22:23], v[22:23], v[28:29]
	v_div_scale_f64 v[28:29], vcc, v[24:25], v[6:7], v[24:25]
	v_mul_f64 v[30:31], v[28:29], v[22:23]
	v_fma_f64 v[10:11], -v[10:11], v[30:31], v[28:29]
	s_nop 1
	v_div_fmas_f64 v[10:11], v[10:11], v[22:23], v[30:31]
	v_div_fixup_f64 v[6:7], v[10:11], v[6:7], v[24:25]
                                        ; implicit-def: $vgpr10_vgpr11
                                        ; implicit-def: $vgpr22_vgpr23
	s_andn2_saveexec_b64 s[4:5], s[4:5]
	s_cbranch_execz .LBB220_146
	s_branch .LBB220_145
.LBB220_144:
	s_andn2_saveexec_b64 s[4:5], s[4:5]
	s_cbranch_execz .LBB220_146
.LBB220_145:
	v_add_f64 v[6:7], v[10:11], -v[22:23]
	s_mov_b32 s22, 0
	v_mul_f64 v[6:7], v[6:7], 0.5
	s_brev_b32 s23, 8
	v_mov_b32_e32 v1, 0x100
	v_cmp_gt_f64_e32 vcc, s[22:23], v[6:7]
	s_brev_b32 s7, -2
	s_nop 0
	v_cndmask_b32_e32 v1, 0, v1, vcc
	v_ldexp_f64 v[6:7], v[6:7], v1
	v_rsq_f64_e32 v[10:11], v[6:7]
	v_mov_b32_e32 v1, 0xffffff80
	v_cndmask_b32_e32 v1, 0, v1, vcc
	v_mul_f64 v[12:13], v[6:7], v[10:11]
	v_mul_f64 v[10:11], v[10:11], 0.5
	v_fma_f64 v[22:23], -v[10:11], v[12:13], 0.5
	v_fmac_f64_e32 v[12:13], v[12:13], v[22:23]
	v_fma_f64 v[28:29], -v[12:13], v[12:13], v[6:7]
	v_fmac_f64_e32 v[10:11], v[10:11], v[22:23]
	v_fmac_f64_e32 v[12:13], v[28:29], v[10:11]
	v_fma_f64 v[22:23], -v[12:13], v[12:13], v[6:7]
	v_fmac_f64_e32 v[12:13], v[22:23], v[10:11]
	v_ldexp_f64 v[10:11], v[12:13], v1
	v_mov_b32_e32 v1, 0x260
	v_cmp_class_f64_e32 vcc, v[6:7], v1
	v_and_b32_e32 v13, 0x7fffffff, v25
	v_mov_b32_e32 v12, v24
	v_cndmask_b32_e32 v7, v11, v7, vcc
	v_cndmask_b32_e32 v6, v10, v6, vcc
	v_add_f64 v[10:11], v[6:7], v[6:7]
	v_div_scale_f64 v[22:23], s[22:23], v[10:11], v[10:11], v[12:13]
	v_rcp_f64_e32 v[28:29], v[22:23]
	v_div_scale_f64 v[12:13], vcc, v[12:13], v[10:11], v[12:13]
	v_bfi_b32 v7, s7, v7, v25
	v_fma_f64 v[30:31], -v[22:23], v[28:29], 1.0
	v_fmac_f64_e32 v[28:29], v[28:29], v[30:31]
	v_fma_f64 v[30:31], -v[22:23], v[28:29], 1.0
	v_fmac_f64_e32 v[28:29], v[28:29], v[30:31]
	v_mul_f64 v[30:31], v[12:13], v[28:29]
	v_fma_f64 v[12:13], -v[22:23], v[30:31], v[12:13]
	v_div_fmas_f64 v[12:13], v[12:13], v[28:29], v[30:31]
	v_div_fixup_f64 v[12:13], v[12:13], v[10:11], |v[24:25]|
.LBB220_146:
	s_or_b64 exec, exec, s[4:5]
                                        ; implicit-def: $vgpr10_vgpr11
                                        ; implicit-def: $vgpr24_vgpr25
	s_and_saveexec_b64 s[4:5], s[2:3]
	s_xor_b64 s[2:3], exec, s[4:5]
	s_cbranch_execz .LBB220_148
; %bb.147:
	v_mul_f64 v[10:11], v[12:13], 0.5
	v_mul_f64 v[22:23], v[6:7], 0.5
	v_cndmask_b32_e64 v11, v13, v11, s[20:21]
	v_cndmask_b32_e64 v10, v12, v10, s[20:21]
	;; [unrolled: 1-line block ×4, first 2 shown]
                                        ; implicit-def: $vgpr12_vgpr13
                                        ; implicit-def: $vgpr6_vgpr7
	s_andn2_saveexec_b64 s[2:3], s[2:3]
	s_cbranch_execnz .LBB220_149
	s_branch .LBB220_150
.LBB220_148:
	s_andn2_saveexec_b64 s[2:3], s[2:3]
.LBB220_149:
	v_add_f64 v[10:11], v[12:13], v[12:13]
	v_add_f64 v[24:25], v[6:7], v[6:7]
.LBB220_150:
	s_or_b64 exec, exec, s[2:3]
.LBB220_151:
	s_andn2_saveexec_b64 s[2:3], s[18:19]
	s_cbranch_execz .LBB220_157
; %bb.152:
	v_add_f64 v[6:7], v[24:25], -v[24:25]
	v_cmp_lt_i64_e32 vcc, -1, v[22:23]
	s_brev_b32 s7, -2
	v_and_b32_e32 v11, 0x7fffffff, v7
	v_mov_b32_e32 v10, v6
	s_and_saveexec_b64 s[4:5], vcc
	s_xor_b64 s[4:5], exec, s[4:5]
; %bb.153:
	v_bfi_b32 v7, s7, v7, v25
	v_mov_b64_e32 v[10:11], v[22:23]
	v_mov_b64_e32 v[24:25], v[6:7]
; %bb.154:
	s_andn2_saveexec_b64 s[4:5], s[4:5]
; %bb.155:
	v_bfi_b32 v23, s7, v23, v25
	v_mov_b64_e32 v[24:25], v[22:23]
; %bb.156:
	s_or_b64 exec, exec, s[4:5]
.LBB220_157:
	s_or_b64 exec, exec, s[2:3]
.LBB220_158:
	s_andn2_saveexec_b64 s[2:3], s[16:17]
	s_cbranch_execz .LBB220_160
; %bb.159:
	v_add_f64 v[6:7], v[24:25], -v[24:25]
	v_div_scale_f64 v[10:11], vcc, v[6:7], v[6:7], v[6:7]
	v_rcp_f64_e32 v[12:13], v[10:11]
	s_nop 0
	v_fma_f64 v[24:25], -v[10:11], v[12:13], 1.0
	v_fmac_f64_e32 v[12:13], v[12:13], v[24:25]
	v_fma_f64 v[24:25], -v[10:11], v[12:13], 1.0
	v_fmac_f64_e32 v[12:13], v[12:13], v[24:25]
	v_mul_f64 v[24:25], v[10:11], v[12:13]
	v_fma_f64 v[10:11], -v[10:11], v[24:25], v[10:11]
	v_div_fmas_f64 v[10:11], v[10:11], v[12:13], v[24:25]
	v_div_fixup_f64 v[24:25], v[10:11], v[6:7], v[6:7]
	v_mov_b64_e32 v[10:11], v[22:23]
.LBB220_160:
	s_or_b64 exec, exec, s[2:3]
.LBB220_161:
	s_or_b64 exec, exec, s[14:15]
.LBB220_162:
	s_or_b64 exec, exec, s[12:13]
	v_mov_b64_e32 v[12:13], v[24:25]
.LBB220_163:
	s_or_b64 exec, exec, s[10:11]
	v_or_b32_e32 v1, 0x100, v0
	v_cmp_gt_i32_e32 vcc, s24, v1
	v_mov_b64_e32 v[6:7], 0
	s_and_saveexec_b64 s[10:11], vcc
	s_cbranch_execz .LBB220_195
; %bb.164:
	s_waitcnt vmcnt(0)
	v_cmp_neq_f64_e32 vcc, 0, v[18:19]
	v_cmp_neq_f64_e64 s[2:3], 0, v[20:21]
	v_mov_b64_e32 v[6:7], 0
	s_or_b64 s[2:3], vcc, s[2:3]
	s_and_saveexec_b64 s[12:13], s[2:3]
	s_cbranch_execz .LBB220_194
; %bb.165:
	v_mov_b32_e32 v6, 0
	v_mov_b32_e32 v7, 0x7ff00000
	v_cmp_neq_f64_e64 s[2:3], |v[20:21]|, v[6:7]
	s_and_saveexec_b64 s[14:15], s[2:3]
	s_cbranch_execz .LBB220_193
; %bb.166:
	v_cmp_o_f64_e32 vcc, v[18:19], v[18:19]
                                        ; implicit-def: $vgpr6_vgpr7
	s_and_saveexec_b64 s[2:3], vcc
	s_xor_b64 s[16:17], exec, s[2:3]
	s_cbranch_execz .LBB220_190
; %bb.167:
	s_mov_b32 s2, 0
	s_mov_b32 s3, 0x7ff00000
	v_cmp_neq_f64_e64 s[2:3], |v[18:19]|, s[2:3]
                                        ; implicit-def: $vgpr6_vgpr7
	s_and_saveexec_b64 s[4:5], s[2:3]
	s_xor_b64 s[18:19], exec, s[4:5]
	s_cbranch_execz .LBB220_183
; %bb.168:
	v_max_f64 v[6:7], |v[20:21]|, |v[20:21]|
	v_max_f64 v[8:9], |v[18:19]|, |v[18:19]|
	s_mov_b32 s2, 0x99fcef32
	v_max_f64 v[6:7], v[8:9], v[6:7]
	s_mov_b32 s3, 0x7fda8279
	v_cmp_nle_f64_e64 s[2:3], s[2:3], v[6:7]
                                        ; implicit-def: $sgpr20_sgpr21
	s_and_saveexec_b64 s[4:5], s[2:3]
	s_xor_b64 s[4:5], exec, s[4:5]
	s_cbranch_execz .LBB220_172
; %bb.169:
	s_mov_b32 s20, 0
	s_mov_b32 s21, 0x200000
	v_cmp_le_f64_e64 s[22:23], |v[18:19]|, s[20:21]
	v_cmp_le_f64_e64 s[20:21], |v[20:21]|, s[20:21]
	s_and_b64 s[26:27], s[22:23], s[20:21]
	s_mov_b64 s[20:21], 0
	s_and_saveexec_b64 s[22:23], s[26:27]
; %bb.170:
	s_mov_b64 s[20:21], exec
	v_mul_f64 v[20:21], v[20:21], 4.0
	v_mul_f64 v[18:19], v[18:19], 4.0
; %bb.171:
	s_or_b64 exec, exec, s[22:23]
.LBB220_172:
	s_andn2_saveexec_b64 s[4:5], s[4:5]
; %bb.173:
	v_ldexp_f64 v[18:19], v[18:19], -2
	v_ldexp_f64 v[20:21], v[20:21], -2
	s_andn2_b64 s[20:21], s[20:21], exec
; %bb.174:
	s_or_b64 exec, exec, s[4:5]
	v_max_f64 v[6:7], |v[20:21]|, |v[20:21]|
	v_max_f64 v[8:9], |v[18:19]|, |v[18:19]|
	v_max_f64 v[6:7], v[8:9], v[6:7]
	v_frexp_exp_i32_f64_e32 v27, v[6:7]
	v_sub_u32_e32 v8, 0, v27
	v_ldexp_f64 v[6:7], |v[18:19]|, v8
	v_ldexp_f64 v[8:9], |v[20:21]|, v8
	v_mul_f64 v[8:9], v[8:9], v[8:9]
	v_fmac_f64_e32 v[8:9], v[6:7], v[6:7]
	v_rsq_f64_e32 v[6:7], v[8:9]
	v_cmp_eq_f64_e64 s[4:5], 0, v[8:9]
	s_movk_i32 s7, 0x204
	v_cmp_class_f64_e64 s[22:23], v[20:21], s7
	v_mul_f64 v[22:23], v[8:9], v[6:7]
	v_mul_f64 v[6:7], v[6:7], 0.5
	v_fma_f64 v[24:25], -v[6:7], v[22:23], 0.5
	v_fmac_f64_e32 v[22:23], v[22:23], v[24:25]
	v_fmac_f64_e32 v[6:7], v[6:7], v[24:25]
	v_fma_f64 v[24:25], -v[22:23], v[22:23], v[8:9]
	v_fmac_f64_e32 v[22:23], v[24:25], v[6:7]
	v_cndmask_b32_e64 v7, v23, v9, s[4:5]
	v_cndmask_b32_e64 v6, v22, v8, s[4:5]
	v_ldexp_f64 v[6:7], v[6:7], v27
	v_cmp_o_f64_e64 s[4:5], v[20:21], v[20:21]
	v_mov_b32_e32 v8, 0x7ff80000
	v_cmp_le_f64_e32 vcc, 0, v[18:19]
	v_cndmask_b32_e64 v6, 0, v6, s[4:5]
	v_cndmask_b32_e64 v7, v8, v7, s[4:5]
	v_cmp_class_f64_e64 s[4:5], v[18:19], s7
	v_mov_b32_e32 v8, 0x7ff00000
	s_or_b64 s[4:5], s[22:23], s[4:5]
	v_cndmask_b32_e64 v7, v7, v8, s[4:5]
	v_cndmask_b32_e64 v6, v6, 0, s[4:5]
                                        ; implicit-def: $vgpr8_vgpr9
                                        ; implicit-def: $vgpr22_vgpr23
	s_and_saveexec_b64 s[4:5], vcc
	s_xor_b64 s[4:5], exec, s[4:5]
	s_cbranch_execz .LBB220_176
; %bb.175:
	v_add_f64 v[6:7], v[18:19], v[6:7]
	s_mov_b32 s22, 0
	v_mul_f64 v[6:7], v[6:7], 0.5
	s_brev_b32 s23, 8
	v_mov_b32_e32 v8, 0x100
	v_cmp_gt_f64_e32 vcc, s[22:23], v[6:7]
	s_nop 1
	v_cndmask_b32_e32 v8, 0, v8, vcc
	v_ldexp_f64 v[6:7], v[6:7], v8
	v_rsq_f64_e32 v[8:9], v[6:7]
	s_nop 0
	v_mul_f64 v[18:19], v[6:7], v[8:9]
	v_mul_f64 v[8:9], v[8:9], 0.5
	v_fma_f64 v[22:23], -v[8:9], v[18:19], 0.5
	v_fmac_f64_e32 v[18:19], v[18:19], v[22:23]
	v_fma_f64 v[24:25], -v[18:19], v[18:19], v[6:7]
	v_fmac_f64_e32 v[8:9], v[8:9], v[22:23]
	v_fmac_f64_e32 v[18:19], v[24:25], v[8:9]
	v_fma_f64 v[22:23], -v[18:19], v[18:19], v[6:7]
	v_fmac_f64_e32 v[18:19], v[22:23], v[8:9]
	v_mov_b32_e32 v8, 0xffffff80
	v_cndmask_b32_e32 v8, 0, v8, vcc
	v_ldexp_f64 v[8:9], v[18:19], v8
	v_mov_b32_e32 v18, 0x260
	v_cmp_class_f64_e32 vcc, v[6:7], v18
	s_nop 1
	v_cndmask_b32_e32 v23, v9, v7, vcc
	v_cndmask_b32_e32 v22, v8, v6, vcc
	v_add_f64 v[6:7], v[22:23], v[22:23]
	v_div_scale_f64 v[8:9], s[22:23], v[6:7], v[6:7], v[20:21]
	v_rcp_f64_e32 v[18:19], v[8:9]
	s_nop 0
	v_fma_f64 v[24:25], -v[8:9], v[18:19], 1.0
	v_fmac_f64_e32 v[18:19], v[18:19], v[24:25]
	v_fma_f64 v[24:25], -v[8:9], v[18:19], 1.0
	v_fmac_f64_e32 v[18:19], v[18:19], v[24:25]
	v_div_scale_f64 v[24:25], vcc, v[20:21], v[6:7], v[20:21]
	v_mul_f64 v[28:29], v[24:25], v[18:19]
	v_fma_f64 v[8:9], -v[8:9], v[28:29], v[24:25]
	s_nop 1
	v_div_fmas_f64 v[8:9], v[8:9], v[18:19], v[28:29]
	v_div_fixup_f64 v[8:9], v[8:9], v[6:7], v[20:21]
                                        ; implicit-def: $vgpr6_vgpr7
                                        ; implicit-def: $vgpr18_vgpr19
	s_andn2_saveexec_b64 s[4:5], s[4:5]
	s_cbranch_execz .LBB220_178
	s_branch .LBB220_177
.LBB220_176:
	s_andn2_saveexec_b64 s[4:5], s[4:5]
	s_cbranch_execz .LBB220_178
.LBB220_177:
	v_add_f64 v[6:7], v[6:7], -v[18:19]
	s_mov_b32 s22, 0
	v_mul_f64 v[6:7], v[6:7], 0.5
	s_brev_b32 s23, 8
	v_mov_b32_e32 v8, 0x100
	v_cmp_gt_f64_e32 vcc, s[22:23], v[6:7]
	s_brev_b32 s7, -2
	s_nop 0
	v_cndmask_b32_e32 v8, 0, v8, vcc
	v_ldexp_f64 v[6:7], v[6:7], v8
	v_rsq_f64_e32 v[8:9], v[6:7]
	s_nop 0
	v_mul_f64 v[18:19], v[6:7], v[8:9]
	v_mul_f64 v[8:9], v[8:9], 0.5
	v_fma_f64 v[22:23], -v[8:9], v[18:19], 0.5
	v_fmac_f64_e32 v[18:19], v[18:19], v[22:23]
	v_fma_f64 v[24:25], -v[18:19], v[18:19], v[6:7]
	v_fmac_f64_e32 v[8:9], v[8:9], v[22:23]
	v_fmac_f64_e32 v[18:19], v[24:25], v[8:9]
	v_fma_f64 v[22:23], -v[18:19], v[18:19], v[6:7]
	v_fmac_f64_e32 v[18:19], v[22:23], v[8:9]
	v_mov_b32_e32 v8, 0xffffff80
	v_cndmask_b32_e32 v8, 0, v8, vcc
	v_ldexp_f64 v[8:9], v[18:19], v8
	v_mov_b32_e32 v18, 0x260
	v_cmp_class_f64_e32 vcc, v[6:7], v18
	v_and_b32_e32 v19, 0x7fffffff, v21
	v_mov_b32_e32 v18, v20
	v_cndmask_b32_e32 v9, v9, v7, vcc
	v_cndmask_b32_e32 v8, v8, v6, vcc
	v_add_f64 v[6:7], v[8:9], v[8:9]
	v_div_scale_f64 v[22:23], s[22:23], v[6:7], v[6:7], v[18:19]
	v_rcp_f64_e32 v[24:25], v[22:23]
	v_div_scale_f64 v[18:19], vcc, v[18:19], v[6:7], v[18:19]
	v_bfi_b32 v9, s7, v9, v21
	v_fma_f64 v[28:29], -v[22:23], v[24:25], 1.0
	v_fmac_f64_e32 v[24:25], v[24:25], v[28:29]
	v_fma_f64 v[28:29], -v[22:23], v[24:25], 1.0
	v_fmac_f64_e32 v[24:25], v[24:25], v[28:29]
	v_mul_f64 v[28:29], v[18:19], v[24:25]
	v_fma_f64 v[18:19], -v[22:23], v[28:29], v[18:19]
	v_div_fmas_f64 v[18:19], v[18:19], v[24:25], v[28:29]
	v_div_fixup_f64 v[22:23], v[18:19], v[6:7], |v[20:21]|
.LBB220_178:
	s_or_b64 exec, exec, s[4:5]
                                        ; implicit-def: $vgpr6_vgpr7
                                        ; implicit-def: $vgpr20_vgpr21
	s_and_saveexec_b64 s[4:5], s[2:3]
	s_xor_b64 s[2:3], exec, s[4:5]
	s_cbranch_execz .LBB220_180
; %bb.179:
	v_mul_f64 v[6:7], v[22:23], 0.5
	v_mul_f64 v[18:19], v[8:9], 0.5
	v_cndmask_b32_e64 v7, v23, v7, s[20:21]
	v_cndmask_b32_e64 v6, v22, v6, s[20:21]
	;; [unrolled: 1-line block ×4, first 2 shown]
                                        ; implicit-def: $vgpr22_vgpr23
                                        ; implicit-def: $vgpr8_vgpr9
	s_andn2_saveexec_b64 s[2:3], s[2:3]
	s_cbranch_execnz .LBB220_181
	s_branch .LBB220_182
.LBB220_180:
	s_andn2_saveexec_b64 s[2:3], s[2:3]
.LBB220_181:
	v_add_f64 v[6:7], v[22:23], v[22:23]
	v_add_f64 v[20:21], v[8:9], v[8:9]
.LBB220_182:
	s_or_b64 exec, exec, s[2:3]
.LBB220_183:
	s_andn2_saveexec_b64 s[2:3], s[18:19]
	s_cbranch_execz .LBB220_189
; %bb.184:
	v_add_f64 v[8:9], v[20:21], -v[20:21]
	v_cmp_lt_i64_e32 vcc, -1, v[18:19]
	s_brev_b32 s7, -2
	v_and_b32_e32 v7, 0x7fffffff, v9
	v_mov_b32_e32 v6, v8
	s_and_saveexec_b64 s[4:5], vcc
	s_xor_b64 s[4:5], exec, s[4:5]
; %bb.185:
	v_bfi_b32 v9, s7, v9, v21
	v_mov_b64_e32 v[6:7], v[18:19]
	v_mov_b64_e32 v[20:21], v[8:9]
; %bb.186:
	s_andn2_saveexec_b64 s[4:5], s[4:5]
; %bb.187:
	v_bfi_b32 v19, s7, v19, v21
	v_mov_b64_e32 v[20:21], v[18:19]
; %bb.188:
	s_or_b64 exec, exec, s[4:5]
.LBB220_189:
	s_or_b64 exec, exec, s[2:3]
.LBB220_190:
	s_andn2_saveexec_b64 s[2:3], s[16:17]
	s_cbranch_execz .LBB220_192
; %bb.191:
	v_add_f64 v[6:7], v[20:21], -v[20:21]
	v_div_scale_f64 v[8:9], vcc, v[6:7], v[6:7], v[6:7]
	v_rcp_f64_e32 v[20:21], v[8:9]
	s_nop 0
	v_fma_f64 v[22:23], -v[8:9], v[20:21], 1.0
	v_fmac_f64_e32 v[20:21], v[20:21], v[22:23]
	v_fma_f64 v[22:23], -v[8:9], v[20:21], 1.0
	v_fmac_f64_e32 v[20:21], v[20:21], v[22:23]
	v_mul_f64 v[22:23], v[8:9], v[20:21]
	v_fma_f64 v[8:9], -v[8:9], v[22:23], v[8:9]
	v_div_fmas_f64 v[8:9], v[8:9], v[20:21], v[22:23]
	v_div_fixup_f64 v[20:21], v[8:9], v[6:7], v[6:7]
	v_mov_b64_e32 v[6:7], v[18:19]
.LBB220_192:
	s_or_b64 exec, exec, s[2:3]
.LBB220_193:
	s_or_b64 exec, exec, s[14:15]
.LBB220_194:
	s_or_b64 exec, exec, s[12:13]
	v_mov_b64_e32 v[8:9], v[20:21]
.LBB220_195:
	s_or_b64 exec, exec, s[10:11]
	s_waitcnt vmcnt(0)
	v_or_b32_e32 v18, 0x200, v0
	v_cmp_gt_i32_e32 vcc, s24, v18
	v_mov_b64_e32 v[18:19], 0
	v_mov_b64_e32 v[22:23], 0
	;; [unrolled: 1-line block ×3, first 2 shown]
	s_and_saveexec_b64 s[10:11], vcc
	s_cbranch_execz .LBB220_227
; %bb.196:
	v_cmp_neq_f64_e32 vcc, 0, v[14:15]
	v_cmp_neq_f64_e64 s[2:3], 0, v[16:17]
	v_mov_b64_e32 v[20:21], 0
	s_or_b64 s[2:3], vcc, s[2:3]
	s_and_saveexec_b64 s[12:13], s[2:3]
	s_cbranch_execz .LBB220_226
; %bb.197:
	v_mov_b32_e32 v20, 0
	v_mov_b32_e32 v21, 0x7ff00000
	v_cmp_neq_f64_e64 s[2:3], |v[16:17]|, v[20:21]
	s_and_saveexec_b64 s[14:15], s[2:3]
	s_cbranch_execz .LBB220_225
; %bb.198:
	v_cmp_o_f64_e32 vcc, v[14:15], v[14:15]
                                        ; implicit-def: $vgpr20_vgpr21
	s_and_saveexec_b64 s[2:3], vcc
	s_xor_b64 s[16:17], exec, s[2:3]
	s_cbranch_execz .LBB220_222
; %bb.199:
	s_mov_b32 s2, 0
	s_mov_b32 s3, 0x7ff00000
	v_cmp_neq_f64_e64 s[2:3], |v[14:15]|, s[2:3]
                                        ; implicit-def: $vgpr20_vgpr21
	s_and_saveexec_b64 s[4:5], s[2:3]
	s_xor_b64 s[18:19], exec, s[4:5]
	s_cbranch_execz .LBB220_215
; %bb.200:
	v_max_f64 v[20:21], |v[16:17]|, |v[16:17]|
	v_max_f64 v[22:23], |v[14:15]|, |v[14:15]|
	s_mov_b32 s2, 0x99fcef32
	v_max_f64 v[20:21], v[22:23], v[20:21]
	s_mov_b32 s3, 0x7fda8279
	v_cmp_nle_f64_e64 s[2:3], s[2:3], v[20:21]
                                        ; implicit-def: $sgpr20_sgpr21
	s_and_saveexec_b64 s[4:5], s[2:3]
	s_xor_b64 s[4:5], exec, s[4:5]
	s_cbranch_execz .LBB220_204
; %bb.201:
	s_mov_b32 s20, 0
	s_mov_b32 s21, 0x200000
	v_cmp_le_f64_e64 s[22:23], |v[14:15]|, s[20:21]
	v_cmp_le_f64_e64 s[20:21], |v[16:17]|, s[20:21]
	s_and_b64 s[26:27], s[22:23], s[20:21]
	s_mov_b64 s[20:21], 0
	s_and_saveexec_b64 s[22:23], s[26:27]
; %bb.202:
	s_mov_b64 s[20:21], exec
	v_mul_f64 v[16:17], v[16:17], 4.0
	v_mul_f64 v[14:15], v[14:15], 4.0
; %bb.203:
	s_or_b64 exec, exec, s[22:23]
.LBB220_204:
	s_andn2_saveexec_b64 s[4:5], s[4:5]
; %bb.205:
	v_ldexp_f64 v[14:15], v[14:15], -2
	v_ldexp_f64 v[16:17], v[16:17], -2
	s_andn2_b64 s[20:21], s[20:21], exec
; %bb.206:
	s_or_b64 exec, exec, s[4:5]
	v_max_f64 v[20:21], |v[16:17]|, |v[16:17]|
	v_max_f64 v[22:23], |v[14:15]|, |v[14:15]|
	v_max_f64 v[20:21], v[22:23], v[20:21]
	v_frexp_exp_i32_f64_e32 v27, v[20:21]
	v_sub_u32_e32 v22, 0, v27
	v_ldexp_f64 v[20:21], |v[14:15]|, v22
	v_ldexp_f64 v[22:23], |v[16:17]|, v22
	v_mul_f64 v[22:23], v[22:23], v[22:23]
	v_fmac_f64_e32 v[22:23], v[20:21], v[20:21]
	v_rsq_f64_e32 v[20:21], v[22:23]
	v_cmp_eq_f64_e64 s[4:5], 0, v[22:23]
	s_movk_i32 s7, 0x204
	v_cmp_class_f64_e64 s[22:23], v[16:17], s7
	v_mul_f64 v[24:25], v[22:23], v[20:21]
	v_mul_f64 v[20:21], v[20:21], 0.5
	v_fma_f64 v[28:29], -v[20:21], v[24:25], 0.5
	v_fmac_f64_e32 v[24:25], v[24:25], v[28:29]
	v_fmac_f64_e32 v[20:21], v[20:21], v[28:29]
	v_fma_f64 v[28:29], -v[24:25], v[24:25], v[22:23]
	v_fmac_f64_e32 v[24:25], v[28:29], v[20:21]
	v_cndmask_b32_e64 v21, v25, v23, s[4:5]
	v_cndmask_b32_e64 v20, v24, v22, s[4:5]
	v_ldexp_f64 v[20:21], v[20:21], v27
	v_cmp_o_f64_e64 s[4:5], v[16:17], v[16:17]
	v_mov_b32_e32 v22, 0x7ff80000
	v_cmp_le_f64_e32 vcc, 0, v[14:15]
	v_cndmask_b32_e64 v20, 0, v20, s[4:5]
	v_cndmask_b32_e64 v21, v22, v21, s[4:5]
	v_cmp_class_f64_e64 s[4:5], v[14:15], s7
	v_mov_b32_e32 v22, 0x7ff00000
	s_or_b64 s[4:5], s[22:23], s[4:5]
	v_cndmask_b32_e64 v21, v21, v22, s[4:5]
	v_cndmask_b32_e64 v20, v20, 0, s[4:5]
                                        ; implicit-def: $vgpr22_vgpr23
                                        ; implicit-def: $vgpr24_vgpr25
	s_and_saveexec_b64 s[4:5], vcc
	s_xor_b64 s[4:5], exec, s[4:5]
	s_cbranch_execz .LBB220_208
; %bb.207:
	v_add_f64 v[14:15], v[14:15], v[20:21]
	s_mov_b32 s22, 0
	v_mul_f64 v[14:15], v[14:15], 0.5
	s_brev_b32 s23, 8
	v_mov_b32_e32 v20, 0x100
	v_cmp_gt_f64_e32 vcc, s[22:23], v[14:15]
	s_nop 1
	v_cndmask_b32_e32 v20, 0, v20, vcc
	v_ldexp_f64 v[14:15], v[14:15], v20
	v_rsq_f64_e32 v[20:21], v[14:15]
	s_nop 0
	v_mul_f64 v[22:23], v[14:15], v[20:21]
	v_mul_f64 v[20:21], v[20:21], 0.5
	v_fma_f64 v[24:25], -v[20:21], v[22:23], 0.5
	v_fmac_f64_e32 v[22:23], v[22:23], v[24:25]
	v_fma_f64 v[28:29], -v[22:23], v[22:23], v[14:15]
	v_fmac_f64_e32 v[20:21], v[20:21], v[24:25]
	v_fmac_f64_e32 v[22:23], v[28:29], v[20:21]
	v_fma_f64 v[24:25], -v[22:23], v[22:23], v[14:15]
	v_fmac_f64_e32 v[22:23], v[24:25], v[20:21]
	v_mov_b32_e32 v20, 0xffffff80
	v_cndmask_b32_e32 v20, 0, v20, vcc
	v_ldexp_f64 v[20:21], v[22:23], v20
	v_mov_b32_e32 v22, 0x260
	v_cmp_class_f64_e32 vcc, v[14:15], v22
	s_nop 1
	v_cndmask_b32_e32 v25, v21, v15, vcc
	v_cndmask_b32_e32 v24, v20, v14, vcc
	v_add_f64 v[14:15], v[24:25], v[24:25]
	v_div_scale_f64 v[20:21], s[22:23], v[14:15], v[14:15], v[16:17]
	v_rcp_f64_e32 v[22:23], v[20:21]
	s_nop 0
	v_fma_f64 v[28:29], -v[20:21], v[22:23], 1.0
	v_fmac_f64_e32 v[22:23], v[22:23], v[28:29]
	v_fma_f64 v[28:29], -v[20:21], v[22:23], 1.0
	v_fmac_f64_e32 v[22:23], v[22:23], v[28:29]
	v_div_scale_f64 v[28:29], vcc, v[16:17], v[14:15], v[16:17]
	v_mul_f64 v[30:31], v[28:29], v[22:23]
	v_fma_f64 v[20:21], -v[20:21], v[30:31], v[28:29]
	s_nop 1
	v_div_fmas_f64 v[20:21], v[20:21], v[22:23], v[30:31]
	v_div_fixup_f64 v[22:23], v[20:21], v[14:15], v[16:17]
                                        ; implicit-def: $vgpr20_vgpr21
                                        ; implicit-def: $vgpr14_vgpr15
	s_andn2_saveexec_b64 s[4:5], s[4:5]
	s_cbranch_execz .LBB220_210
	s_branch .LBB220_209
.LBB220_208:
	s_andn2_saveexec_b64 s[4:5], s[4:5]
	s_cbranch_execz .LBB220_210
.LBB220_209:
	v_add_f64 v[14:15], v[20:21], -v[14:15]
	s_mov_b32 s22, 0
	v_mul_f64 v[14:15], v[14:15], 0.5
	s_brev_b32 s23, 8
	v_mov_b32_e32 v20, 0x100
	v_cmp_gt_f64_e32 vcc, s[22:23], v[14:15]
	s_brev_b32 s7, -2
	s_nop 0
	v_cndmask_b32_e32 v20, 0, v20, vcc
	v_ldexp_f64 v[14:15], v[14:15], v20
	v_rsq_f64_e32 v[20:21], v[14:15]
	s_nop 0
	v_mul_f64 v[22:23], v[14:15], v[20:21]
	v_mul_f64 v[20:21], v[20:21], 0.5
	v_fma_f64 v[24:25], -v[20:21], v[22:23], 0.5
	v_fmac_f64_e32 v[22:23], v[22:23], v[24:25]
	v_fma_f64 v[28:29], -v[22:23], v[22:23], v[14:15]
	v_fmac_f64_e32 v[20:21], v[20:21], v[24:25]
	v_fmac_f64_e32 v[22:23], v[28:29], v[20:21]
	v_fma_f64 v[24:25], -v[22:23], v[22:23], v[14:15]
	v_fmac_f64_e32 v[22:23], v[24:25], v[20:21]
	v_mov_b32_e32 v20, 0xffffff80
	v_cndmask_b32_e32 v20, 0, v20, vcc
	v_ldexp_f64 v[20:21], v[22:23], v20
	v_mov_b32_e32 v22, 0x260
	v_cmp_class_f64_e32 vcc, v[14:15], v22
	s_nop 1
	v_cndmask_b32_e32 v23, v21, v15, vcc
	v_cndmask_b32_e32 v22, v20, v14, vcc
	v_add_f64 v[14:15], v[22:23], v[22:23]
	v_and_b32_e32 v21, 0x7fffffff, v17
	v_mov_b32_e32 v20, v16
	v_div_scale_f64 v[24:25], s[22:23], v[14:15], v[14:15], v[20:21]
	v_rcp_f64_e32 v[28:29], v[24:25]
	v_div_scale_f64 v[20:21], vcc, v[20:21], v[14:15], v[20:21]
	v_bfi_b32 v23, s7, v23, v17
	v_fma_f64 v[30:31], -v[24:25], v[28:29], 1.0
	v_fmac_f64_e32 v[28:29], v[28:29], v[30:31]
	v_fma_f64 v[30:31], -v[24:25], v[28:29], 1.0
	v_fmac_f64_e32 v[28:29], v[28:29], v[30:31]
	v_mul_f64 v[30:31], v[20:21], v[28:29]
	v_fma_f64 v[20:21], -v[24:25], v[30:31], v[20:21]
	v_div_fmas_f64 v[20:21], v[20:21], v[28:29], v[30:31]
	v_div_fixup_f64 v[24:25], v[20:21], v[14:15], |v[16:17]|
.LBB220_210:
	s_or_b64 exec, exec, s[4:5]
                                        ; implicit-def: $vgpr20_vgpr21
                                        ; implicit-def: $vgpr16_vgpr17
	s_and_saveexec_b64 s[4:5], s[2:3]
	s_xor_b64 s[2:3], exec, s[4:5]
	s_cbranch_execz .LBB220_212
; %bb.211:
	v_mul_f64 v[14:15], v[24:25], 0.5
	v_mul_f64 v[16:17], v[22:23], 0.5
	v_cndmask_b32_e64 v21, v25, v15, s[20:21]
	v_cndmask_b32_e64 v20, v24, v14, s[20:21]
	;; [unrolled: 1-line block ×4, first 2 shown]
                                        ; implicit-def: $vgpr24_vgpr25
                                        ; implicit-def: $vgpr22_vgpr23
	s_andn2_saveexec_b64 s[2:3], s[2:3]
	s_cbranch_execnz .LBB220_213
	s_branch .LBB220_214
.LBB220_212:
	s_andn2_saveexec_b64 s[2:3], s[2:3]
.LBB220_213:
	v_add_f64 v[20:21], v[24:25], v[24:25]
	v_add_f64 v[16:17], v[22:23], v[22:23]
.LBB220_214:
	s_or_b64 exec, exec, s[2:3]
.LBB220_215:
	s_andn2_saveexec_b64 s[2:3], s[18:19]
	s_cbranch_execz .LBB220_221
; %bb.216:
	v_add_f64 v[22:23], v[16:17], -v[16:17]
	v_cmp_lt_i64_e32 vcc, -1, v[14:15]
	s_brev_b32 s7, -2
	v_and_b32_e32 v21, 0x7fffffff, v23
	v_mov_b32_e32 v20, v22
	s_and_saveexec_b64 s[4:5], vcc
	s_xor_b64 s[4:5], exec, s[4:5]
; %bb.217:
	v_bfi_b32 v23, s7, v23, v17
	v_mov_b64_e32 v[20:21], v[14:15]
	v_mov_b64_e32 v[16:17], v[22:23]
; %bb.218:
	s_andn2_saveexec_b64 s[4:5], s[4:5]
; %bb.219:
	v_bfi_b32 v15, s7, v15, v17
	v_mov_b64_e32 v[16:17], v[14:15]
; %bb.220:
	s_or_b64 exec, exec, s[4:5]
.LBB220_221:
	s_or_b64 exec, exec, s[2:3]
.LBB220_222:
	s_andn2_saveexec_b64 s[2:3], s[16:17]
	s_cbranch_execz .LBB220_224
; %bb.223:
	v_add_f64 v[16:17], v[16:17], -v[16:17]
	v_div_scale_f64 v[20:21], vcc, v[16:17], v[16:17], v[16:17]
	v_rcp_f64_e32 v[22:23], v[20:21]
	s_nop 0
	v_fma_f64 v[24:25], -v[20:21], v[22:23], 1.0
	v_fmac_f64_e32 v[22:23], v[22:23], v[24:25]
	v_fma_f64 v[24:25], -v[20:21], v[22:23], 1.0
	v_fmac_f64_e32 v[22:23], v[22:23], v[24:25]
	v_mul_f64 v[24:25], v[20:21], v[22:23]
	v_fma_f64 v[20:21], -v[20:21], v[24:25], v[20:21]
	v_div_fmas_f64 v[20:21], v[20:21], v[22:23], v[24:25]
	v_div_fixup_f64 v[16:17], v[20:21], v[16:17], v[16:17]
	v_mov_b64_e32 v[20:21], v[14:15]
.LBB220_224:
	s_or_b64 exec, exec, s[2:3]
.LBB220_225:
	s_or_b64 exec, exec, s[14:15]
.LBB220_226:
	s_or_b64 exec, exec, s[12:13]
	v_mov_b64_e32 v[22:23], v[16:17]
.LBB220_227:
	s_or_b64 exec, exec, s[10:11]
	v_or_b32_e32 v14, 0x300, v0
	v_cmp_gt_i32_e32 vcc, s24, v14
	v_mov_b64_e32 v[16:17], 0
	s_and_saveexec_b64 s[10:11], vcc
	s_cbranch_execz .LBB220_240
; %bb.228:
	v_cmp_neq_f64_e32 vcc, 0, v[2:3]
	v_cmp_neq_f64_e64 s[2:3], 0, v[4:5]
	v_mov_b64_e32 v[16:17], 0
	s_or_b64 s[2:3], vcc, s[2:3]
	s_and_saveexec_b64 s[12:13], s[2:3]
	s_cbranch_execz .LBB220_262
; %bb.229:
	v_mov_b32_e32 v16, 0
	v_mov_b32_e32 v17, 0x7ff00000
	v_cmp_neq_f64_e64 s[2:3], |v[4:5]|, v[16:17]
	s_and_saveexec_b64 s[14:15], s[2:3]
	s_cbranch_execz .LBB220_261
; %bb.230:
	v_cmp_o_f64_e32 vcc, v[2:3], v[2:3]
                                        ; implicit-def: $vgpr16_vgpr17
	s_and_saveexec_b64 s[2:3], vcc
	s_xor_b64 s[16:17], exec, s[2:3]
	s_cbranch_execz .LBB220_258
; %bb.231:
	s_mov_b32 s2, 0
	s_mov_b32 s3, 0x7ff00000
	v_cmp_neq_f64_e64 s[2:3], |v[2:3]|, s[2:3]
                                        ; implicit-def: $vgpr16_vgpr17
	s_and_saveexec_b64 s[4:5], s[2:3]
	s_xor_b64 s[18:19], exec, s[4:5]
	s_cbranch_execz .LBB220_251
; %bb.232:
	v_max_f64 v[14:15], |v[4:5]|, |v[4:5]|
	v_max_f64 v[16:17], |v[2:3]|, |v[2:3]|
	s_mov_b32 s2, 0x99fcef32
	v_max_f64 v[14:15], v[16:17], v[14:15]
	s_mov_b32 s3, 0x7fda8279
	v_cmp_nle_f64_e64 s[2:3], s[2:3], v[14:15]
                                        ; implicit-def: $sgpr20_sgpr21
	s_and_saveexec_b64 s[4:5], s[2:3]
	s_xor_b64 s[4:5], exec, s[4:5]
	s_cbranch_execz .LBB220_236
; %bb.233:
	s_mov_b32 s20, 0
	s_mov_b32 s21, 0x200000
	v_cmp_le_f64_e64 s[22:23], |v[2:3]|, s[20:21]
	v_cmp_le_f64_e64 s[20:21], |v[4:5]|, s[20:21]
	s_and_b64 s[26:27], s[22:23], s[20:21]
	s_mov_b64 s[20:21], 0
	s_and_saveexec_b64 s[22:23], s[26:27]
; %bb.234:
	s_mov_b64 s[20:21], exec
	v_mul_f64 v[4:5], v[4:5], 4.0
	v_mul_f64 v[2:3], v[2:3], 4.0
; %bb.235:
	s_or_b64 exec, exec, s[22:23]
.LBB220_236:
	s_andn2_saveexec_b64 s[4:5], s[4:5]
; %bb.237:
	v_ldexp_f64 v[2:3], v[2:3], -2
	v_ldexp_f64 v[4:5], v[4:5], -2
	s_andn2_b64 s[20:21], s[20:21], exec
; %bb.238:
	s_or_b64 exec, exec, s[4:5]
	v_max_f64 v[14:15], |v[4:5]|, |v[4:5]|
	v_max_f64 v[16:17], |v[2:3]|, |v[2:3]|
	v_max_f64 v[14:15], v[16:17], v[14:15]
	v_frexp_exp_i32_f64_e32 v27, v[14:15]
	v_sub_u32_e32 v16, 0, v27
	v_ldexp_f64 v[14:15], |v[2:3]|, v16
	v_ldexp_f64 v[16:17], |v[4:5]|, v16
	v_mul_f64 v[16:17], v[16:17], v[16:17]
	v_fmac_f64_e32 v[16:17], v[14:15], v[14:15]
	v_rsq_f64_e32 v[14:15], v[16:17]
	v_cmp_eq_f64_e64 s[4:5], 0, v[16:17]
	s_movk_i32 s7, 0x204
	v_cmp_class_f64_e64 s[22:23], v[4:5], s7
	v_mul_f64 v[18:19], v[16:17], v[14:15]
	v_mul_f64 v[14:15], v[14:15], 0.5
	v_fma_f64 v[24:25], -v[14:15], v[18:19], 0.5
	v_fmac_f64_e32 v[18:19], v[18:19], v[24:25]
	v_fmac_f64_e32 v[14:15], v[14:15], v[24:25]
	v_fma_f64 v[24:25], -v[18:19], v[18:19], v[16:17]
	v_fmac_f64_e32 v[18:19], v[24:25], v[14:15]
	v_cndmask_b32_e64 v15, v19, v17, s[4:5]
	v_cndmask_b32_e64 v14, v18, v16, s[4:5]
	v_ldexp_f64 v[14:15], v[14:15], v27
	v_cmp_o_f64_e64 s[4:5], v[4:5], v[4:5]
	v_mov_b32_e32 v16, 0x7ff80000
	v_cmp_le_f64_e32 vcc, 0, v[2:3]
	v_cndmask_b32_e64 v14, 0, v14, s[4:5]
	v_cndmask_b32_e64 v15, v16, v15, s[4:5]
	v_cmp_class_f64_e64 s[4:5], v[2:3], s7
	v_mov_b32_e32 v16, 0x7ff00000
	s_or_b64 s[4:5], s[22:23], s[4:5]
	v_cndmask_b32_e64 v17, v15, v16, s[4:5]
	v_cndmask_b32_e64 v16, v14, 0, s[4:5]
                                        ; implicit-def: $vgpr14_vgpr15
                                        ; implicit-def: $vgpr18_vgpr19
	s_and_saveexec_b64 s[4:5], vcc
	s_xor_b64 s[4:5], exec, s[4:5]
	s_cbranch_execz .LBB220_244
; %bb.239:
	v_add_f64 v[2:3], v[2:3], v[16:17]
	s_mov_b32 s22, 0
	v_mul_f64 v[2:3], v[2:3], 0.5
	s_brev_b32 s23, 8
	v_mov_b32_e32 v14, 0x100
	v_cmp_gt_f64_e32 vcc, s[22:23], v[2:3]
	s_nop 1
	v_cndmask_b32_e32 v14, 0, v14, vcc
	v_ldexp_f64 v[2:3], v[2:3], v14
	v_rsq_f64_e32 v[14:15], v[2:3]
	s_nop 0
	v_mul_f64 v[16:17], v[2:3], v[14:15]
	v_mul_f64 v[14:15], v[14:15], 0.5
	v_fma_f64 v[18:19], -v[14:15], v[16:17], 0.5
	v_fmac_f64_e32 v[16:17], v[16:17], v[18:19]
	v_fma_f64 v[24:25], -v[16:17], v[16:17], v[2:3]
	v_fmac_f64_e32 v[14:15], v[14:15], v[18:19]
	v_fmac_f64_e32 v[16:17], v[24:25], v[14:15]
	v_fma_f64 v[18:19], -v[16:17], v[16:17], v[2:3]
	v_fmac_f64_e32 v[16:17], v[18:19], v[14:15]
	v_mov_b32_e32 v14, 0xffffff80
	v_cndmask_b32_e32 v14, 0, v14, vcc
	v_ldexp_f64 v[14:15], v[16:17], v14
	v_mov_b32_e32 v16, 0x260
	v_cmp_class_f64_e32 vcc, v[2:3], v16
	s_nop 1
	v_cndmask_b32_e32 v19, v15, v3, vcc
	v_cndmask_b32_e32 v18, v14, v2, vcc
	v_add_f64 v[2:3], v[18:19], v[18:19]
	v_div_scale_f64 v[14:15], s[22:23], v[2:3], v[2:3], v[4:5]
	v_rcp_f64_e32 v[16:17], v[14:15]
	s_nop 0
	v_fma_f64 v[24:25], -v[14:15], v[16:17], 1.0
	v_fmac_f64_e32 v[16:17], v[16:17], v[24:25]
	v_fma_f64 v[24:25], -v[14:15], v[16:17], 1.0
	v_fmac_f64_e32 v[16:17], v[16:17], v[24:25]
	v_div_scale_f64 v[24:25], vcc, v[4:5], v[2:3], v[4:5]
	v_mul_f64 v[28:29], v[24:25], v[16:17]
	v_fma_f64 v[14:15], -v[14:15], v[28:29], v[24:25]
	s_nop 1
	v_div_fmas_f64 v[14:15], v[14:15], v[16:17], v[28:29]
	v_div_fixup_f64 v[14:15], v[14:15], v[2:3], v[4:5]
                                        ; implicit-def: $vgpr16_vgpr17
                                        ; implicit-def: $vgpr2_vgpr3
	s_andn2_saveexec_b64 s[4:5], s[4:5]
	s_cbranch_execz .LBB220_246
	s_branch .LBB220_245
.LBB220_240:
	s_or_b64 exec, exec, s[10:11]
	s_and_saveexec_b64 s[2:3], s[0:1]
	s_xor_b64 s[0:1], exec, s[2:3]
	s_cbranch_execz .LBB220_263
.LBB220_241:
	v_mov_b32_e32 v27, 0
	v_lshl_add_u64 v[2:3], v[26:27], 4, s[8:9]
	v_mov_b32_e32 v0, v1
	global_store_dwordx4 v[2:3], v[10:13], off
	s_or_b64 exec, exec, s[0:1]
	v_cmp_gt_i32_e32 vcc, s24, v0
	s_and_saveexec_b64 s[0:1], vcc
	s_cbranch_execnz .LBB220_264
.LBB220_242:
	s_or_b64 exec, exec, s[0:1]
	v_cmp_gt_i32_e32 vcc, s24, v0
	s_and_saveexec_b64 s[0:1], vcc
	s_cbranch_execz .LBB220_265
.LBB220_243:
	v_add_u32_e32 v2, s6, v0
	v_mov_b32_e32 v3, 0
	v_lshl_add_u64 v[2:3], v[2:3], 4, s[8:9]
	v_add_u32_e32 v0, 0x100, v0
	global_store_dwordx4 v[2:3], v[20:23], off
	s_or_b64 exec, exec, s[0:1]
	v_cmp_gt_i32_e32 vcc, s24, v0
	s_and_saveexec_b64 s[0:1], vcc
	s_cbranch_execnz .LBB220_266
	s_branch .LBB220_267
.LBB220_244:
	s_andn2_saveexec_b64 s[4:5], s[4:5]
	s_cbranch_execz .LBB220_246
.LBB220_245:
	v_add_f64 v[2:3], v[16:17], -v[2:3]
	s_mov_b32 s22, 0
	v_mul_f64 v[2:3], v[2:3], 0.5
	s_brev_b32 s23, 8
	v_mov_b32_e32 v14, 0x100
	v_cmp_gt_f64_e32 vcc, s[22:23], v[2:3]
	s_brev_b32 s7, -2
	s_nop 0
	v_cndmask_b32_e32 v14, 0, v14, vcc
	v_ldexp_f64 v[2:3], v[2:3], v14
	v_rsq_f64_e32 v[14:15], v[2:3]
	s_nop 0
	v_mul_f64 v[16:17], v[2:3], v[14:15]
	v_mul_f64 v[14:15], v[14:15], 0.5
	v_fma_f64 v[18:19], -v[14:15], v[16:17], 0.5
	v_fmac_f64_e32 v[16:17], v[16:17], v[18:19]
	v_fma_f64 v[24:25], -v[16:17], v[16:17], v[2:3]
	v_fmac_f64_e32 v[14:15], v[14:15], v[18:19]
	v_fmac_f64_e32 v[16:17], v[24:25], v[14:15]
	v_fma_f64 v[18:19], -v[16:17], v[16:17], v[2:3]
	v_fmac_f64_e32 v[16:17], v[18:19], v[14:15]
	v_mov_b32_e32 v14, 0xffffff80
	v_cndmask_b32_e32 v14, 0, v14, vcc
	v_ldexp_f64 v[14:15], v[16:17], v14
	v_mov_b32_e32 v16, 0x260
	v_cmp_class_f64_e32 vcc, v[2:3], v16
	v_and_b32_e32 v17, 0x7fffffff, v5
	v_mov_b32_e32 v16, v4
	v_cndmask_b32_e32 v15, v15, v3, vcc
	v_cndmask_b32_e32 v14, v14, v2, vcc
	v_add_f64 v[2:3], v[14:15], v[14:15]
	v_div_scale_f64 v[18:19], s[22:23], v[2:3], v[2:3], v[16:17]
	v_rcp_f64_e32 v[24:25], v[18:19]
	v_div_scale_f64 v[16:17], vcc, v[16:17], v[2:3], v[16:17]
	v_bfi_b32 v15, s7, v15, v5
	v_fma_f64 v[28:29], -v[18:19], v[24:25], 1.0
	v_fmac_f64_e32 v[24:25], v[24:25], v[28:29]
	v_fma_f64 v[28:29], -v[18:19], v[24:25], 1.0
	v_fmac_f64_e32 v[24:25], v[24:25], v[28:29]
	v_mul_f64 v[28:29], v[16:17], v[24:25]
	v_fma_f64 v[16:17], -v[18:19], v[28:29], v[16:17]
	v_div_fmas_f64 v[16:17], v[16:17], v[24:25], v[28:29]
	v_div_fixup_f64 v[18:19], v[16:17], v[2:3], |v[4:5]|
.LBB220_246:
	s_or_b64 exec, exec, s[4:5]
                                        ; implicit-def: $vgpr16_vgpr17
                                        ; implicit-def: $vgpr4_vgpr5
	s_and_saveexec_b64 s[4:5], s[2:3]
	s_xor_b64 s[2:3], exec, s[4:5]
	s_cbranch_execz .LBB220_248
; %bb.247:
	v_mul_f64 v[2:3], v[18:19], 0.5
	v_mul_f64 v[4:5], v[14:15], 0.5
	v_cndmask_b32_e64 v17, v19, v3, s[20:21]
	v_cndmask_b32_e64 v16, v18, v2, s[20:21]
	;; [unrolled: 1-line block ×4, first 2 shown]
                                        ; implicit-def: $vgpr18_vgpr19
                                        ; implicit-def: $vgpr14_vgpr15
	s_andn2_saveexec_b64 s[2:3], s[2:3]
	s_cbranch_execnz .LBB220_249
	s_branch .LBB220_250
.LBB220_248:
	s_andn2_saveexec_b64 s[2:3], s[2:3]
.LBB220_249:
	v_add_f64 v[16:17], v[18:19], v[18:19]
	v_add_f64 v[4:5], v[14:15], v[14:15]
.LBB220_250:
	s_or_b64 exec, exec, s[2:3]
.LBB220_251:
	s_andn2_saveexec_b64 s[2:3], s[18:19]
	s_cbranch_execz .LBB220_257
; %bb.252:
	v_add_f64 v[14:15], v[4:5], -v[4:5]
	v_cmp_lt_i64_e32 vcc, -1, v[2:3]
	s_brev_b32 s7, -2
	v_and_b32_e32 v17, 0x7fffffff, v15
	v_mov_b32_e32 v16, v14
	s_and_saveexec_b64 s[4:5], vcc
	s_xor_b64 s[4:5], exec, s[4:5]
; %bb.253:
	v_bfi_b32 v15, s7, v15, v5
	v_mov_b64_e32 v[16:17], v[2:3]
	v_mov_b64_e32 v[4:5], v[14:15]
; %bb.254:
	s_andn2_saveexec_b64 s[4:5], s[4:5]
; %bb.255:
	v_bfi_b32 v3, s7, v3, v5
	v_mov_b64_e32 v[4:5], v[2:3]
; %bb.256:
	s_or_b64 exec, exec, s[4:5]
.LBB220_257:
	s_or_b64 exec, exec, s[2:3]
.LBB220_258:
	s_andn2_saveexec_b64 s[2:3], s[16:17]
	s_cbranch_execz .LBB220_260
; %bb.259:
	v_add_f64 v[4:5], v[4:5], -v[4:5]
	v_div_scale_f64 v[14:15], vcc, v[4:5], v[4:5], v[4:5]
	v_rcp_f64_e32 v[16:17], v[14:15]
	s_nop 0
	v_fma_f64 v[18:19], -v[14:15], v[16:17], 1.0
	v_fmac_f64_e32 v[16:17], v[16:17], v[18:19]
	v_fma_f64 v[18:19], -v[14:15], v[16:17], 1.0
	v_fmac_f64_e32 v[16:17], v[16:17], v[18:19]
	v_mul_f64 v[18:19], v[14:15], v[16:17]
	v_fma_f64 v[14:15], -v[14:15], v[18:19], v[14:15]
	v_div_fmas_f64 v[14:15], v[14:15], v[16:17], v[18:19]
	v_div_fixup_f64 v[4:5], v[14:15], v[4:5], v[4:5]
	v_mov_b64_e32 v[16:17], v[2:3]
.LBB220_260:
	s_or_b64 exec, exec, s[2:3]
.LBB220_261:
	s_or_b64 exec, exec, s[14:15]
.LBB220_262:
	s_or_b64 exec, exec, s[12:13]
	v_mov_b64_e32 v[18:19], v[4:5]
	s_or_b64 exec, exec, s[10:11]
	s_and_saveexec_b64 s[2:3], s[0:1]
	s_xor_b64 s[0:1], exec, s[2:3]
	s_cbranch_execnz .LBB220_241
.LBB220_263:
	s_or_b64 exec, exec, s[0:1]
	v_cmp_gt_i32_e32 vcc, s24, v0
	s_and_saveexec_b64 s[0:1], vcc
	s_cbranch_execz .LBB220_242
.LBB220_264:
	v_add_u32_e32 v2, s6, v0
	v_mov_b32_e32 v3, 0
	v_lshl_add_u64 v[2:3], v[2:3], 4, s[8:9]
	v_add_u32_e32 v0, 0x100, v0
	global_store_dwordx4 v[2:3], v[6:9], off
	s_or_b64 exec, exec, s[0:1]
	v_cmp_gt_i32_e32 vcc, s24, v0
	s_and_saveexec_b64 s[0:1], vcc
	s_cbranch_execnz .LBB220_243
.LBB220_265:
	s_or_b64 exec, exec, s[0:1]
	v_cmp_gt_i32_e32 vcc, s24, v0
	s_and_saveexec_b64 s[0:1], vcc
	s_cbranch_execz .LBB220_267
.LBB220_266:
	v_add_u32_e32 v0, s6, v0
	v_mov_b32_e32 v1, 0
	v_lshl_add_u64 v[0:1], v[0:1], 4, s[8:9]
	global_store_dwordx4 v[0:1], v[16:19], off
.LBB220_267:
	s_endpgm
	.section	.rodata,"a",@progbits
	.p2align	6, 0x0
	.amdhsa_kernel _ZN2at6native29vectorized_elementwise_kernelILi4EZZZNS0_16sqrt_kernel_cudaERNS_18TensorIteratorBaseEENKUlvE_clEvENKUlvE_clEvEUlN3c107complexIdEEE_St5arrayIPcLm2EEEEviT0_T1_
		.amdhsa_group_segment_fixed_size 0
		.amdhsa_private_segment_fixed_size 0
		.amdhsa_kernarg_size 24
		.amdhsa_user_sgpr_count 2
		.amdhsa_user_sgpr_dispatch_ptr 0
		.amdhsa_user_sgpr_queue_ptr 0
		.amdhsa_user_sgpr_kernarg_segment_ptr 1
		.amdhsa_user_sgpr_dispatch_id 0
		.amdhsa_user_sgpr_kernarg_preload_length 0
		.amdhsa_user_sgpr_kernarg_preload_offset 0
		.amdhsa_user_sgpr_private_segment_size 0
		.amdhsa_uses_dynamic_stack 0
		.amdhsa_enable_private_segment 0
		.amdhsa_system_sgpr_workgroup_id_x 1
		.amdhsa_system_sgpr_workgroup_id_y 0
		.amdhsa_system_sgpr_workgroup_id_z 0
		.amdhsa_system_sgpr_workgroup_info 0
		.amdhsa_system_vgpr_workitem_id 0
		.amdhsa_next_free_vgpr 32
		.amdhsa_next_free_sgpr 28
		.amdhsa_accum_offset 32
		.amdhsa_reserve_vcc 1
		.amdhsa_float_round_mode_32 0
		.amdhsa_float_round_mode_16_64 0
		.amdhsa_float_denorm_mode_32 3
		.amdhsa_float_denorm_mode_16_64 3
		.amdhsa_dx10_clamp 1
		.amdhsa_ieee_mode 1
		.amdhsa_fp16_overflow 0
		.amdhsa_tg_split 0
		.amdhsa_exception_fp_ieee_invalid_op 0
		.amdhsa_exception_fp_denorm_src 0
		.amdhsa_exception_fp_ieee_div_zero 0
		.amdhsa_exception_fp_ieee_overflow 0
		.amdhsa_exception_fp_ieee_underflow 0
		.amdhsa_exception_fp_ieee_inexact 0
		.amdhsa_exception_int_div_zero 0
	.end_amdhsa_kernel
	.section	.text._ZN2at6native29vectorized_elementwise_kernelILi4EZZZNS0_16sqrt_kernel_cudaERNS_18TensorIteratorBaseEENKUlvE_clEvENKUlvE_clEvEUlN3c107complexIdEEE_St5arrayIPcLm2EEEEviT0_T1_,"axG",@progbits,_ZN2at6native29vectorized_elementwise_kernelILi4EZZZNS0_16sqrt_kernel_cudaERNS_18TensorIteratorBaseEENKUlvE_clEvENKUlvE_clEvEUlN3c107complexIdEEE_St5arrayIPcLm2EEEEviT0_T1_,comdat
.Lfunc_end220:
	.size	_ZN2at6native29vectorized_elementwise_kernelILi4EZZZNS0_16sqrt_kernel_cudaERNS_18TensorIteratorBaseEENKUlvE_clEvENKUlvE_clEvEUlN3c107complexIdEEE_St5arrayIPcLm2EEEEviT0_T1_, .Lfunc_end220-_ZN2at6native29vectorized_elementwise_kernelILi4EZZZNS0_16sqrt_kernel_cudaERNS_18TensorIteratorBaseEENKUlvE_clEvENKUlvE_clEvEUlN3c107complexIdEEE_St5arrayIPcLm2EEEEviT0_T1_
                                        ; -- End function
	.set _ZN2at6native29vectorized_elementwise_kernelILi4EZZZNS0_16sqrt_kernel_cudaERNS_18TensorIteratorBaseEENKUlvE_clEvENKUlvE_clEvEUlN3c107complexIdEEE_St5arrayIPcLm2EEEEviT0_T1_.num_vgpr, 32
	.set _ZN2at6native29vectorized_elementwise_kernelILi4EZZZNS0_16sqrt_kernel_cudaERNS_18TensorIteratorBaseEENKUlvE_clEvENKUlvE_clEvEUlN3c107complexIdEEE_St5arrayIPcLm2EEEEviT0_T1_.num_agpr, 0
	.set _ZN2at6native29vectorized_elementwise_kernelILi4EZZZNS0_16sqrt_kernel_cudaERNS_18TensorIteratorBaseEENKUlvE_clEvENKUlvE_clEvEUlN3c107complexIdEEE_St5arrayIPcLm2EEEEviT0_T1_.numbered_sgpr, 28
	.set _ZN2at6native29vectorized_elementwise_kernelILi4EZZZNS0_16sqrt_kernel_cudaERNS_18TensorIteratorBaseEENKUlvE_clEvENKUlvE_clEvEUlN3c107complexIdEEE_St5arrayIPcLm2EEEEviT0_T1_.num_named_barrier, 0
	.set _ZN2at6native29vectorized_elementwise_kernelILi4EZZZNS0_16sqrt_kernel_cudaERNS_18TensorIteratorBaseEENKUlvE_clEvENKUlvE_clEvEUlN3c107complexIdEEE_St5arrayIPcLm2EEEEviT0_T1_.private_seg_size, 0
	.set _ZN2at6native29vectorized_elementwise_kernelILi4EZZZNS0_16sqrt_kernel_cudaERNS_18TensorIteratorBaseEENKUlvE_clEvENKUlvE_clEvEUlN3c107complexIdEEE_St5arrayIPcLm2EEEEviT0_T1_.uses_vcc, 1
	.set _ZN2at6native29vectorized_elementwise_kernelILi4EZZZNS0_16sqrt_kernel_cudaERNS_18TensorIteratorBaseEENKUlvE_clEvENKUlvE_clEvEUlN3c107complexIdEEE_St5arrayIPcLm2EEEEviT0_T1_.uses_flat_scratch, 0
	.set _ZN2at6native29vectorized_elementwise_kernelILi4EZZZNS0_16sqrt_kernel_cudaERNS_18TensorIteratorBaseEENKUlvE_clEvENKUlvE_clEvEUlN3c107complexIdEEE_St5arrayIPcLm2EEEEviT0_T1_.has_dyn_sized_stack, 0
	.set _ZN2at6native29vectorized_elementwise_kernelILi4EZZZNS0_16sqrt_kernel_cudaERNS_18TensorIteratorBaseEENKUlvE_clEvENKUlvE_clEvEUlN3c107complexIdEEE_St5arrayIPcLm2EEEEviT0_T1_.has_recursion, 0
	.set _ZN2at6native29vectorized_elementwise_kernelILi4EZZZNS0_16sqrt_kernel_cudaERNS_18TensorIteratorBaseEENKUlvE_clEvENKUlvE_clEvEUlN3c107complexIdEEE_St5arrayIPcLm2EEEEviT0_T1_.has_indirect_call, 0
	.section	.AMDGPU.csdata,"",@progbits
; Kernel info:
; codeLenInByte = 11336
; TotalNumSgprs: 34
; NumVgprs: 32
; NumAgprs: 0
; TotalNumVgprs: 32
; ScratchSize: 0
; MemoryBound: 1
; FloatMode: 240
; IeeeMode: 1
; LDSByteSize: 0 bytes/workgroup (compile time only)
; SGPRBlocks: 4
; VGPRBlocks: 3
; NumSGPRsForWavesPerEU: 34
; NumVGPRsForWavesPerEU: 32
; AccumOffset: 32
; Occupancy: 8
; WaveLimiterHint : 0
; COMPUTE_PGM_RSRC2:SCRATCH_EN: 0
; COMPUTE_PGM_RSRC2:USER_SGPR: 2
; COMPUTE_PGM_RSRC2:TRAP_HANDLER: 0
; COMPUTE_PGM_RSRC2:TGID_X_EN: 1
; COMPUTE_PGM_RSRC2:TGID_Y_EN: 0
; COMPUTE_PGM_RSRC2:TGID_Z_EN: 0
; COMPUTE_PGM_RSRC2:TIDIG_COMP_CNT: 0
; COMPUTE_PGM_RSRC3_GFX90A:ACCUM_OFFSET: 7
; COMPUTE_PGM_RSRC3_GFX90A:TG_SPLIT: 0
	.section	.text._ZN2at6native29vectorized_elementwise_kernelILi2EZZZNS0_16sqrt_kernel_cudaERNS_18TensorIteratorBaseEENKUlvE_clEvENKUlvE_clEvEUlN3c107complexIdEEE_St5arrayIPcLm2EEEEviT0_T1_,"axG",@progbits,_ZN2at6native29vectorized_elementwise_kernelILi2EZZZNS0_16sqrt_kernel_cudaERNS_18TensorIteratorBaseEENKUlvE_clEvENKUlvE_clEvEUlN3c107complexIdEEE_St5arrayIPcLm2EEEEviT0_T1_,comdat
	.globl	_ZN2at6native29vectorized_elementwise_kernelILi2EZZZNS0_16sqrt_kernel_cudaERNS_18TensorIteratorBaseEENKUlvE_clEvENKUlvE_clEvEUlN3c107complexIdEEE_St5arrayIPcLm2EEEEviT0_T1_ ; -- Begin function _ZN2at6native29vectorized_elementwise_kernelILi2EZZZNS0_16sqrt_kernel_cudaERNS_18TensorIteratorBaseEENKUlvE_clEvENKUlvE_clEvEUlN3c107complexIdEEE_St5arrayIPcLm2EEEEviT0_T1_
	.p2align	8
	.type	_ZN2at6native29vectorized_elementwise_kernelILi2EZZZNS0_16sqrt_kernel_cudaERNS_18TensorIteratorBaseEENKUlvE_clEvENKUlvE_clEvEUlN3c107complexIdEEE_St5arrayIPcLm2EEEEviT0_T1_,@function
_ZN2at6native29vectorized_elementwise_kernelILi2EZZZNS0_16sqrt_kernel_cudaERNS_18TensorIteratorBaseEENKUlvE_clEvENKUlvE_clEvEUlN3c107complexIdEEE_St5arrayIPcLm2EEEEviT0_T1_: ; @_ZN2at6native29vectorized_elementwise_kernelILi2EZZZNS0_16sqrt_kernel_cudaERNS_18TensorIteratorBaseEENKUlvE_clEvENKUlvE_clEvEUlN3c107complexIdEEE_St5arrayIPcLm2EEEEviT0_T1_
; %bb.0:
	s_load_dword s3, s[0:1], 0x0
	s_load_dwordx4 s[8:11], s[0:1], 0x8
	s_lshl_b32 s6, s2, 10
	s_mov_b64 s[0:1], -1
	s_waitcnt lgkmcnt(0)
	s_sub_i32 s24, s3, s6
	s_cmpk_gt_i32 s24, 0x3ff
	s_cbranch_scc0 .LBB221_122
; %bb.1:
	s_ashr_i32 s7, s6, 31
	s_lshl_b64 s[4:5], s[6:7], 4
	s_add_u32 s0, s10, s4
	s_addc_u32 s1, s11, s5
	v_mov_b32_e32 v25, 0
	v_lshlrev_b32_e32 v24, 5, v0
	v_lshl_add_u64 v[6:7], s[0:1], 0, v[24:25]
	global_load_dwordx4 v[2:5], v24, s[0:1] offset:16
	global_load_dwordx4 v[10:13], v24, s[0:1]
	v_add_co_u32_e32 v20, vcc, 0x2000, v6
	s_mov_b64 s[0:1], 0x2000
	s_nop 0
	v_addc_co_u32_e32 v21, vcc, 0, v7, vcc
	v_lshl_add_u64 v[18:19], v[6:7], 0, s[0:1]
	global_load_dwordx4 v[14:17], v[20:21], off
	global_load_dwordx4 v[6:9], v[18:19], off offset:16
	v_mov_b64_e32 v[18:19], 0
	v_mov_b64_e32 v[20:21], 0
	s_waitcnt vmcnt(2)
	v_cmp_neq_f64_e32 vcc, 0, v[10:11]
	v_cmp_neq_f64_e64 s[0:1], 0, v[12:13]
	s_or_b64 s[0:1], vcc, s[0:1]
	s_and_saveexec_b64 s[12:13], s[0:1]
	s_cbranch_execz .LBB221_31
; %bb.2:
	v_mov_b32_e32 v20, 0
	v_mov_b32_e32 v21, 0x7ff00000
	v_cmp_neq_f64_e64 s[0:1], |v[12:13]|, v[20:21]
	s_and_saveexec_b64 s[14:15], s[0:1]
	s_cbranch_execz .LBB221_30
; %bb.3:
	v_cmp_o_f64_e32 vcc, v[10:11], v[10:11]
                                        ; implicit-def: $vgpr20_vgpr21
	s_and_saveexec_b64 s[0:1], vcc
	s_xor_b64 s[16:17], exec, s[0:1]
	s_cbranch_execz .LBB221_27
; %bb.4:
	s_mov_b32 s0, 0
	s_mov_b32 s1, 0x7ff00000
	v_cmp_neq_f64_e64 s[0:1], |v[10:11]|, s[0:1]
                                        ; implicit-def: $vgpr20_vgpr21
	s_and_saveexec_b64 s[2:3], s[0:1]
	s_xor_b64 s[18:19], exec, s[2:3]
	s_cbranch_execz .LBB221_20
; %bb.5:
	v_max_f64 v[20:21], |v[12:13]|, |v[12:13]|
	v_max_f64 v[22:23], |v[10:11]|, |v[10:11]|
	s_mov_b32 s0, 0x99fcef32
	v_max_f64 v[20:21], v[22:23], v[20:21]
	s_mov_b32 s1, 0x7fda8279
	v_cmp_nle_f64_e64 s[0:1], s[0:1], v[20:21]
                                        ; implicit-def: $sgpr20_sgpr21
	s_and_saveexec_b64 s[2:3], s[0:1]
	s_xor_b64 s[2:3], exec, s[2:3]
	s_cbranch_execz .LBB221_9
; %bb.6:
	s_mov_b32 s20, 0
	s_mov_b32 s21, 0x200000
	v_cmp_le_f64_e64 s[22:23], |v[10:11]|, s[20:21]
	v_cmp_le_f64_e64 s[20:21], |v[12:13]|, s[20:21]
	s_and_b64 s[26:27], s[22:23], s[20:21]
	s_mov_b64 s[20:21], 0
	s_and_saveexec_b64 s[22:23], s[26:27]
; %bb.7:
	s_mov_b64 s[20:21], exec
	v_mul_f64 v[12:13], v[12:13], 4.0
	v_mul_f64 v[10:11], v[10:11], 4.0
; %bb.8:
	s_or_b64 exec, exec, s[22:23]
.LBB221_9:
	s_andn2_saveexec_b64 s[2:3], s[2:3]
; %bb.10:
	v_ldexp_f64 v[10:11], v[10:11], -2
	v_ldexp_f64 v[12:13], v[12:13], -2
	s_andn2_b64 s[20:21], s[20:21], exec
; %bb.11:
	s_or_b64 exec, exec, s[2:3]
	v_max_f64 v[20:21], |v[12:13]|, |v[12:13]|
	v_max_f64 v[22:23], |v[10:11]|, |v[10:11]|
	v_max_f64 v[20:21], v[22:23], v[20:21]
	v_frexp_exp_i32_f64_e32 v1, v[20:21]
	v_sub_u32_e32 v22, 0, v1
	v_ldexp_f64 v[20:21], |v[10:11]|, v22
	v_ldexp_f64 v[22:23], |v[12:13]|, v22
	v_mul_f64 v[22:23], v[22:23], v[22:23]
	v_fmac_f64_e32 v[22:23], v[20:21], v[20:21]
	v_rsq_f64_e32 v[20:21], v[22:23]
	v_cmp_eq_f64_e64 s[2:3], 0, v[22:23]
	s_movk_i32 s7, 0x204
	v_cmp_class_f64_e64 s[22:23], v[12:13], s7
	v_mul_f64 v[26:27], v[22:23], v[20:21]
	v_mul_f64 v[20:21], v[20:21], 0.5
	v_fma_f64 v[28:29], -v[20:21], v[26:27], 0.5
	v_fmac_f64_e32 v[26:27], v[26:27], v[28:29]
	v_fmac_f64_e32 v[20:21], v[20:21], v[28:29]
	v_fma_f64 v[28:29], -v[26:27], v[26:27], v[22:23]
	v_fmac_f64_e32 v[26:27], v[28:29], v[20:21]
	v_cndmask_b32_e64 v21, v27, v23, s[2:3]
	v_cndmask_b32_e64 v20, v26, v22, s[2:3]
	v_ldexp_f64 v[20:21], v[20:21], v1
	v_cmp_o_f64_e64 s[2:3], v[12:13], v[12:13]
	v_cmp_le_f64_e32 vcc, 0, v[10:11]
                                        ; implicit-def: $vgpr22_vgpr23
                                        ; implicit-def: $vgpr26_vgpr27
	s_nop 0
	v_cndmask_b32_e64 v1, 0, v20, s[2:3]
	v_mov_b32_e32 v20, 0x7ff80000
	v_cndmask_b32_e64 v20, v20, v21, s[2:3]
	v_cmp_class_f64_e64 s[2:3], v[10:11], s7
	v_mov_b32_e32 v21, 0x7ff00000
	s_or_b64 s[2:3], s[22:23], s[2:3]
	v_cndmask_b32_e64 v21, v20, v21, s[2:3]
	v_cndmask_b32_e64 v20, v1, 0, s[2:3]
	s_and_saveexec_b64 s[2:3], vcc
	s_xor_b64 s[2:3], exec, s[2:3]
	s_cbranch_execz .LBB221_13
; %bb.12:
	v_add_f64 v[10:11], v[10:11], v[20:21]
	s_mov_b32 s22, 0
	v_mul_f64 v[10:11], v[10:11], 0.5
	s_brev_b32 s23, 8
	v_mov_b32_e32 v1, 0x100
	v_cmp_gt_f64_e32 vcc, s[22:23], v[10:11]
	s_nop 1
	v_cndmask_b32_e32 v1, 0, v1, vcc
	v_ldexp_f64 v[10:11], v[10:11], v1
	v_rsq_f64_e32 v[20:21], v[10:11]
	v_mov_b32_e32 v1, 0xffffff80
	v_cndmask_b32_e32 v1, 0, v1, vcc
	v_mul_f64 v[22:23], v[10:11], v[20:21]
	v_mul_f64 v[20:21], v[20:21], 0.5
	v_fma_f64 v[26:27], -v[20:21], v[22:23], 0.5
	v_fmac_f64_e32 v[22:23], v[22:23], v[26:27]
	v_fma_f64 v[28:29], -v[22:23], v[22:23], v[10:11]
	v_fmac_f64_e32 v[20:21], v[20:21], v[26:27]
	v_fmac_f64_e32 v[22:23], v[28:29], v[20:21]
	v_fma_f64 v[26:27], -v[22:23], v[22:23], v[10:11]
	v_fmac_f64_e32 v[22:23], v[26:27], v[20:21]
	v_ldexp_f64 v[20:21], v[22:23], v1
	v_mov_b32_e32 v1, 0x260
	v_cmp_class_f64_e32 vcc, v[10:11], v1
	s_nop 1
	v_cndmask_b32_e32 v27, v21, v11, vcc
	v_cndmask_b32_e32 v26, v20, v10, vcc
	v_add_f64 v[10:11], v[26:27], v[26:27]
	v_div_scale_f64 v[20:21], s[22:23], v[10:11], v[10:11], v[12:13]
	v_rcp_f64_e32 v[22:23], v[20:21]
	s_nop 0
	v_fma_f64 v[28:29], -v[20:21], v[22:23], 1.0
	v_fmac_f64_e32 v[22:23], v[22:23], v[28:29]
	v_fma_f64 v[28:29], -v[20:21], v[22:23], 1.0
	v_fmac_f64_e32 v[22:23], v[22:23], v[28:29]
	v_div_scale_f64 v[28:29], vcc, v[12:13], v[10:11], v[12:13]
	v_mul_f64 v[30:31], v[28:29], v[22:23]
	v_fma_f64 v[20:21], -v[20:21], v[30:31], v[28:29]
	s_nop 1
	v_div_fmas_f64 v[20:21], v[20:21], v[22:23], v[30:31]
	v_div_fixup_f64 v[22:23], v[20:21], v[10:11], v[12:13]
                                        ; implicit-def: $vgpr20_vgpr21
                                        ; implicit-def: $vgpr10_vgpr11
	s_andn2_saveexec_b64 s[2:3], s[2:3]
	s_cbranch_execz .LBB221_15
	s_branch .LBB221_14
.LBB221_13:
	s_andn2_saveexec_b64 s[2:3], s[2:3]
	s_cbranch_execz .LBB221_15
.LBB221_14:
	v_add_f64 v[10:11], v[20:21], -v[10:11]
	s_mov_b32 s22, 0
	v_mul_f64 v[10:11], v[10:11], 0.5
	s_brev_b32 s23, 8
	v_mov_b32_e32 v1, 0x100
	v_cmp_gt_f64_e32 vcc, s[22:23], v[10:11]
	s_brev_b32 s7, -2
	s_nop 0
	v_cndmask_b32_e32 v1, 0, v1, vcc
	v_ldexp_f64 v[10:11], v[10:11], v1
	v_rsq_f64_e32 v[20:21], v[10:11]
	v_mov_b32_e32 v1, 0xffffff80
	v_cndmask_b32_e32 v1, 0, v1, vcc
	v_mul_f64 v[22:23], v[10:11], v[20:21]
	v_mul_f64 v[20:21], v[20:21], 0.5
	v_fma_f64 v[26:27], -v[20:21], v[22:23], 0.5
	v_fmac_f64_e32 v[22:23], v[22:23], v[26:27]
	v_fma_f64 v[28:29], -v[22:23], v[22:23], v[10:11]
	v_fmac_f64_e32 v[20:21], v[20:21], v[26:27]
	v_fmac_f64_e32 v[22:23], v[28:29], v[20:21]
	v_fma_f64 v[26:27], -v[22:23], v[22:23], v[10:11]
	v_fmac_f64_e32 v[22:23], v[26:27], v[20:21]
	v_ldexp_f64 v[20:21], v[22:23], v1
	v_mov_b32_e32 v1, 0x260
	v_cmp_class_f64_e32 vcc, v[10:11], v1
	s_nop 1
	v_cndmask_b32_e32 v23, v21, v11, vcc
	v_cndmask_b32_e32 v22, v20, v10, vcc
	v_add_f64 v[10:11], v[22:23], v[22:23]
	v_and_b32_e32 v21, 0x7fffffff, v13
	v_mov_b32_e32 v20, v12
	v_div_scale_f64 v[26:27], s[22:23], v[10:11], v[10:11], v[20:21]
	v_rcp_f64_e32 v[28:29], v[26:27]
	v_div_scale_f64 v[20:21], vcc, v[20:21], v[10:11], v[20:21]
	v_bfi_b32 v23, s7, v23, v13
	v_fma_f64 v[30:31], -v[26:27], v[28:29], 1.0
	v_fmac_f64_e32 v[28:29], v[28:29], v[30:31]
	v_fma_f64 v[30:31], -v[26:27], v[28:29], 1.0
	v_fmac_f64_e32 v[28:29], v[28:29], v[30:31]
	v_mul_f64 v[30:31], v[20:21], v[28:29]
	v_fma_f64 v[20:21], -v[26:27], v[30:31], v[20:21]
	v_div_fmas_f64 v[20:21], v[20:21], v[28:29], v[30:31]
	v_div_fixup_f64 v[26:27], v[20:21], v[10:11], |v[12:13]|
.LBB221_15:
	s_or_b64 exec, exec, s[2:3]
                                        ; implicit-def: $vgpr12_vgpr13
                                        ; implicit-def: $vgpr20_vgpr21
	s_and_saveexec_b64 s[2:3], s[0:1]
	s_xor_b64 s[0:1], exec, s[2:3]
	s_cbranch_execz .LBB221_17
; %bb.16:
	v_mul_f64 v[10:11], v[26:27], 0.5
	v_mul_f64 v[12:13], v[22:23], 0.5
	v_cndmask_b32_e64 v21, v27, v11, s[20:21]
	v_cndmask_b32_e64 v20, v26, v10, s[20:21]
	;; [unrolled: 1-line block ×4, first 2 shown]
                                        ; implicit-def: $vgpr26_vgpr27
                                        ; implicit-def: $vgpr22_vgpr23
	s_andn2_saveexec_b64 s[0:1], s[0:1]
	s_cbranch_execnz .LBB221_18
	s_branch .LBB221_19
.LBB221_17:
	s_andn2_saveexec_b64 s[0:1], s[0:1]
.LBB221_18:
	v_add_f64 v[20:21], v[26:27], v[26:27]
	v_add_f64 v[12:13], v[22:23], v[22:23]
.LBB221_19:
	s_or_b64 exec, exec, s[0:1]
.LBB221_20:
	s_andn2_saveexec_b64 s[0:1], s[18:19]
	s_cbranch_execz .LBB221_26
; %bb.21:
	v_add_f64 v[22:23], v[12:13], -v[12:13]
	v_cmp_lt_i64_e32 vcc, -1, v[10:11]
	s_brev_b32 s7, -2
	v_and_b32_e32 v21, 0x7fffffff, v23
	v_mov_b32_e32 v20, v22
	s_and_saveexec_b64 s[2:3], vcc
	s_xor_b64 s[2:3], exec, s[2:3]
; %bb.22:
	v_bfi_b32 v23, s7, v23, v13
	v_mov_b64_e32 v[12:13], v[22:23]
	v_mov_b64_e32 v[20:21], v[10:11]
; %bb.23:
	s_andn2_saveexec_b64 s[2:3], s[2:3]
; %bb.24:
	v_bfi_b32 v11, s7, v11, v13
	v_mov_b64_e32 v[12:13], v[10:11]
; %bb.25:
	s_or_b64 exec, exec, s[2:3]
.LBB221_26:
	s_or_b64 exec, exec, s[0:1]
.LBB221_27:
	s_andn2_saveexec_b64 s[0:1], s[16:17]
	s_cbranch_execz .LBB221_29
; %bb.28:
	v_add_f64 v[12:13], v[12:13], -v[12:13]
	v_div_scale_f64 v[20:21], vcc, v[12:13], v[12:13], v[12:13]
	v_rcp_f64_e32 v[22:23], v[20:21]
	s_nop 0
	v_fma_f64 v[26:27], -v[20:21], v[22:23], 1.0
	v_fmac_f64_e32 v[22:23], v[22:23], v[26:27]
	v_fma_f64 v[26:27], -v[20:21], v[22:23], 1.0
	v_fmac_f64_e32 v[22:23], v[22:23], v[26:27]
	v_mul_f64 v[26:27], v[20:21], v[22:23]
	v_fma_f64 v[20:21], -v[20:21], v[26:27], v[20:21]
	v_div_fmas_f64 v[20:21], v[20:21], v[22:23], v[26:27]
	v_div_fixup_f64 v[12:13], v[20:21], v[12:13], v[12:13]
	v_mov_b64_e32 v[20:21], v[10:11]
.LBB221_29:
	s_or_b64 exec, exec, s[0:1]
.LBB221_30:
	s_or_b64 exec, exec, s[14:15]
.LBB221_31:
	s_or_b64 exec, exec, s[12:13]
	v_cmp_neq_f64_e32 vcc, 0, v[2:3]
	v_cmp_neq_f64_e64 s[0:1], 0, v[4:5]
	s_or_b64 s[0:1], vcc, s[0:1]
	s_and_saveexec_b64 s[12:13], s[0:1]
	s_cbranch_execz .LBB221_61
; %bb.32:
	v_mov_b32_e32 v18, 0
	v_mov_b32_e32 v19, 0x7ff00000
	v_cmp_neq_f64_e64 s[0:1], |v[4:5]|, v[18:19]
	s_and_saveexec_b64 s[14:15], s[0:1]
	s_cbranch_execz .LBB221_60
; %bb.33:
	v_cmp_o_f64_e32 vcc, v[2:3], v[2:3]
                                        ; implicit-def: $vgpr18_vgpr19
	s_and_saveexec_b64 s[0:1], vcc
	s_xor_b64 s[16:17], exec, s[0:1]
	s_cbranch_execz .LBB221_57
; %bb.34:
	s_mov_b32 s0, 0
	s_mov_b32 s1, 0x7ff00000
	v_cmp_neq_f64_e64 s[0:1], |v[2:3]|, s[0:1]
                                        ; implicit-def: $vgpr18_vgpr19
	s_and_saveexec_b64 s[2:3], s[0:1]
	s_xor_b64 s[18:19], exec, s[2:3]
	s_cbranch_execz .LBB221_50
; %bb.35:
	v_max_f64 v[10:11], |v[4:5]|, |v[4:5]|
	v_max_f64 v[18:19], |v[2:3]|, |v[2:3]|
	s_mov_b32 s0, 0x99fcef32
	v_max_f64 v[10:11], v[18:19], v[10:11]
	s_mov_b32 s1, 0x7fda8279
	v_cmp_nle_f64_e64 s[0:1], s[0:1], v[10:11]
                                        ; implicit-def: $sgpr20_sgpr21
	s_and_saveexec_b64 s[2:3], s[0:1]
	s_xor_b64 s[2:3], exec, s[2:3]
	s_cbranch_execz .LBB221_39
; %bb.36:
	s_mov_b32 s20, 0
	s_mov_b32 s21, 0x200000
	v_cmp_le_f64_e64 s[22:23], |v[2:3]|, s[20:21]
	v_cmp_le_f64_e64 s[20:21], |v[4:5]|, s[20:21]
	s_and_b64 s[26:27], s[22:23], s[20:21]
	s_mov_b64 s[20:21], 0
	s_and_saveexec_b64 s[22:23], s[26:27]
; %bb.37:
	s_mov_b64 s[20:21], exec
	v_mul_f64 v[4:5], v[4:5], 4.0
	v_mul_f64 v[2:3], v[2:3], 4.0
; %bb.38:
	s_or_b64 exec, exec, s[22:23]
.LBB221_39:
	s_andn2_saveexec_b64 s[2:3], s[2:3]
; %bb.40:
	v_ldexp_f64 v[2:3], v[2:3], -2
	v_ldexp_f64 v[4:5], v[4:5], -2
	s_andn2_b64 s[20:21], s[20:21], exec
; %bb.41:
	s_or_b64 exec, exec, s[2:3]
	v_max_f64 v[10:11], |v[4:5]|, |v[4:5]|
	v_max_f64 v[18:19], |v[2:3]|, |v[2:3]|
	v_max_f64 v[10:11], v[18:19], v[10:11]
	v_frexp_exp_i32_f64_e32 v1, v[10:11]
	v_sub_u32_e32 v18, 0, v1
	v_ldexp_f64 v[10:11], |v[2:3]|, v18
	v_ldexp_f64 v[18:19], |v[4:5]|, v18
	v_mul_f64 v[18:19], v[18:19], v[18:19]
	v_fmac_f64_e32 v[18:19], v[10:11], v[10:11]
	v_rsq_f64_e32 v[10:11], v[18:19]
	v_cmp_eq_f64_e64 s[2:3], 0, v[18:19]
	s_movk_i32 s7, 0x204
	v_cmp_class_f64_e64 s[22:23], v[4:5], s7
	v_mul_f64 v[22:23], v[18:19], v[10:11]
	v_mul_f64 v[10:11], v[10:11], 0.5
	v_fma_f64 v[26:27], -v[10:11], v[22:23], 0.5
	v_fmac_f64_e32 v[22:23], v[22:23], v[26:27]
	v_fmac_f64_e32 v[10:11], v[10:11], v[26:27]
	v_fma_f64 v[26:27], -v[22:23], v[22:23], v[18:19]
	v_fmac_f64_e32 v[22:23], v[26:27], v[10:11]
	v_cndmask_b32_e64 v11, v23, v19, s[2:3]
	v_cndmask_b32_e64 v10, v22, v18, s[2:3]
	v_ldexp_f64 v[10:11], v[10:11], v1
	v_cmp_o_f64_e64 s[2:3], v[4:5], v[4:5]
	v_cmp_le_f64_e32 vcc, 0, v[2:3]
                                        ; implicit-def: $vgpr22_vgpr23
	s_nop 0
	v_cndmask_b32_e64 v1, 0, v10, s[2:3]
	v_mov_b32_e32 v10, 0x7ff80000
	v_cndmask_b32_e64 v10, v10, v11, s[2:3]
	v_cmp_class_f64_e64 s[2:3], v[2:3], s7
	v_mov_b32_e32 v11, 0x7ff00000
	s_or_b64 s[2:3], s[22:23], s[2:3]
	v_cndmask_b32_e64 v19, v10, v11, s[2:3]
	v_cndmask_b32_e64 v18, v1, 0, s[2:3]
                                        ; implicit-def: $vgpr10_vgpr11
	s_and_saveexec_b64 s[2:3], vcc
	s_xor_b64 s[2:3], exec, s[2:3]
	s_cbranch_execz .LBB221_43
; %bb.42:
	v_add_f64 v[2:3], v[2:3], v[18:19]
	s_mov_b32 s22, 0
	v_mul_f64 v[2:3], v[2:3], 0.5
	s_brev_b32 s23, 8
	v_mov_b32_e32 v1, 0x100
	v_cmp_gt_f64_e32 vcc, s[22:23], v[2:3]
	s_nop 1
	v_cndmask_b32_e32 v1, 0, v1, vcc
	v_ldexp_f64 v[2:3], v[2:3], v1
	v_rsq_f64_e32 v[10:11], v[2:3]
	v_mov_b32_e32 v1, 0xffffff80
	v_cndmask_b32_e32 v1, 0, v1, vcc
	v_mul_f64 v[18:19], v[2:3], v[10:11]
	v_mul_f64 v[10:11], v[10:11], 0.5
	v_fma_f64 v[22:23], -v[10:11], v[18:19], 0.5
	v_fmac_f64_e32 v[18:19], v[18:19], v[22:23]
	v_fma_f64 v[26:27], -v[18:19], v[18:19], v[2:3]
	v_fmac_f64_e32 v[10:11], v[10:11], v[22:23]
	v_fmac_f64_e32 v[18:19], v[26:27], v[10:11]
	v_fma_f64 v[22:23], -v[18:19], v[18:19], v[2:3]
	v_fmac_f64_e32 v[18:19], v[22:23], v[10:11]
	v_ldexp_f64 v[10:11], v[18:19], v1
	v_mov_b32_e32 v1, 0x260
	v_cmp_class_f64_e32 vcc, v[2:3], v1
	s_nop 1
	v_cndmask_b32_e32 v23, v11, v3, vcc
	v_cndmask_b32_e32 v22, v10, v2, vcc
	v_add_f64 v[2:3], v[22:23], v[22:23]
	v_div_scale_f64 v[10:11], s[22:23], v[2:3], v[2:3], v[4:5]
	v_rcp_f64_e32 v[18:19], v[10:11]
	s_nop 0
	v_fma_f64 v[26:27], -v[10:11], v[18:19], 1.0
	v_fmac_f64_e32 v[18:19], v[18:19], v[26:27]
	v_fma_f64 v[26:27], -v[10:11], v[18:19], 1.0
	v_fmac_f64_e32 v[18:19], v[18:19], v[26:27]
	v_div_scale_f64 v[26:27], vcc, v[4:5], v[2:3], v[4:5]
	v_mul_f64 v[28:29], v[26:27], v[18:19]
	v_fma_f64 v[10:11], -v[10:11], v[28:29], v[26:27]
	s_nop 1
	v_div_fmas_f64 v[10:11], v[10:11], v[18:19], v[28:29]
	v_div_fixup_f64 v[10:11], v[10:11], v[2:3], v[4:5]
                                        ; implicit-def: $vgpr18_vgpr19
                                        ; implicit-def: $vgpr2_vgpr3
	s_andn2_saveexec_b64 s[2:3], s[2:3]
	s_cbranch_execz .LBB221_45
	s_branch .LBB221_44
.LBB221_43:
	s_andn2_saveexec_b64 s[2:3], s[2:3]
	s_cbranch_execz .LBB221_45
.LBB221_44:
	v_add_f64 v[2:3], v[18:19], -v[2:3]
	s_mov_b32 s22, 0
	v_mul_f64 v[2:3], v[2:3], 0.5
	s_brev_b32 s23, 8
	v_mov_b32_e32 v1, 0x100
	v_cmp_gt_f64_e32 vcc, s[22:23], v[2:3]
	s_brev_b32 s7, -2
	s_nop 0
	v_cndmask_b32_e32 v1, 0, v1, vcc
	v_ldexp_f64 v[2:3], v[2:3], v1
	v_rsq_f64_e32 v[10:11], v[2:3]
	v_mov_b32_e32 v1, 0xffffff80
	v_cndmask_b32_e32 v1, 0, v1, vcc
	v_mul_f64 v[18:19], v[2:3], v[10:11]
	v_mul_f64 v[10:11], v[10:11], 0.5
	v_fma_f64 v[22:23], -v[10:11], v[18:19], 0.5
	v_fmac_f64_e32 v[18:19], v[18:19], v[22:23]
	v_fma_f64 v[26:27], -v[18:19], v[18:19], v[2:3]
	v_fmac_f64_e32 v[10:11], v[10:11], v[22:23]
	v_fmac_f64_e32 v[18:19], v[26:27], v[10:11]
	v_fma_f64 v[22:23], -v[18:19], v[18:19], v[2:3]
	v_fmac_f64_e32 v[18:19], v[22:23], v[10:11]
	v_ldexp_f64 v[10:11], v[18:19], v1
	v_mov_b32_e32 v1, 0x260
	v_cmp_class_f64_e32 vcc, v[2:3], v1
	v_and_b32_e32 v19, 0x7fffffff, v5
	v_mov_b32_e32 v18, v4
	v_cndmask_b32_e32 v11, v11, v3, vcc
	v_cndmask_b32_e32 v10, v10, v2, vcc
	v_add_f64 v[2:3], v[10:11], v[10:11]
	v_div_scale_f64 v[22:23], s[22:23], v[2:3], v[2:3], v[18:19]
	v_rcp_f64_e32 v[26:27], v[22:23]
	v_div_scale_f64 v[18:19], vcc, v[18:19], v[2:3], v[18:19]
	v_bfi_b32 v11, s7, v11, v5
	v_fma_f64 v[28:29], -v[22:23], v[26:27], 1.0
	v_fmac_f64_e32 v[26:27], v[26:27], v[28:29]
	v_fma_f64 v[28:29], -v[22:23], v[26:27], 1.0
	v_fmac_f64_e32 v[26:27], v[26:27], v[28:29]
	v_mul_f64 v[28:29], v[18:19], v[26:27]
	v_fma_f64 v[18:19], -v[22:23], v[28:29], v[18:19]
	v_div_fmas_f64 v[18:19], v[18:19], v[26:27], v[28:29]
	v_div_fixup_f64 v[22:23], v[18:19], v[2:3], |v[4:5]|
.LBB221_45:
	s_or_b64 exec, exec, s[2:3]
                                        ; implicit-def: $vgpr4_vgpr5
                                        ; implicit-def: $vgpr18_vgpr19
	s_and_saveexec_b64 s[2:3], s[0:1]
	s_xor_b64 s[0:1], exec, s[2:3]
	s_cbranch_execz .LBB221_47
; %bb.46:
	v_mul_f64 v[2:3], v[22:23], 0.5
	v_mul_f64 v[4:5], v[10:11], 0.5
	v_cndmask_b32_e64 v19, v23, v3, s[20:21]
	v_cndmask_b32_e64 v18, v22, v2, s[20:21]
	;; [unrolled: 1-line block ×4, first 2 shown]
                                        ; implicit-def: $vgpr22_vgpr23
                                        ; implicit-def: $vgpr10_vgpr11
	s_andn2_saveexec_b64 s[0:1], s[0:1]
	s_cbranch_execnz .LBB221_48
	s_branch .LBB221_49
.LBB221_47:
	s_andn2_saveexec_b64 s[0:1], s[0:1]
.LBB221_48:
	v_add_f64 v[18:19], v[22:23], v[22:23]
	v_add_f64 v[4:5], v[10:11], v[10:11]
.LBB221_49:
	s_or_b64 exec, exec, s[0:1]
.LBB221_50:
	s_andn2_saveexec_b64 s[0:1], s[18:19]
	s_cbranch_execz .LBB221_56
; %bb.51:
	v_add_f64 v[10:11], v[4:5], -v[4:5]
	v_cmp_lt_i64_e32 vcc, -1, v[2:3]
	s_brev_b32 s7, -2
	v_and_b32_e32 v19, 0x7fffffff, v11
	v_mov_b32_e32 v18, v10
	s_and_saveexec_b64 s[2:3], vcc
	s_xor_b64 s[2:3], exec, s[2:3]
; %bb.52:
	v_bfi_b32 v11, s7, v11, v5
	v_mov_b64_e32 v[4:5], v[10:11]
	v_mov_b64_e32 v[18:19], v[2:3]
; %bb.53:
	s_andn2_saveexec_b64 s[2:3], s[2:3]
; %bb.54:
	v_bfi_b32 v3, s7, v3, v5
	v_mov_b64_e32 v[4:5], v[2:3]
; %bb.55:
	s_or_b64 exec, exec, s[2:3]
.LBB221_56:
	s_or_b64 exec, exec, s[0:1]
.LBB221_57:
	s_andn2_saveexec_b64 s[0:1], s[16:17]
	s_cbranch_execz .LBB221_59
; %bb.58:
	v_add_f64 v[4:5], v[4:5], -v[4:5]
	v_div_scale_f64 v[10:11], vcc, v[4:5], v[4:5], v[4:5]
	v_rcp_f64_e32 v[18:19], v[10:11]
	s_nop 0
	v_fma_f64 v[22:23], -v[10:11], v[18:19], 1.0
	v_fmac_f64_e32 v[18:19], v[18:19], v[22:23]
	v_fma_f64 v[22:23], -v[10:11], v[18:19], 1.0
	v_fmac_f64_e32 v[18:19], v[18:19], v[22:23]
	v_mul_f64 v[22:23], v[10:11], v[18:19]
	v_fma_f64 v[10:11], -v[10:11], v[22:23], v[10:11]
	v_div_fmas_f64 v[10:11], v[10:11], v[18:19], v[22:23]
	v_div_fixup_f64 v[4:5], v[10:11], v[4:5], v[4:5]
	v_mov_b64_e32 v[18:19], v[2:3]
.LBB221_59:
	s_or_b64 exec, exec, s[0:1]
.LBB221_60:
	s_or_b64 exec, exec, s[14:15]
.LBB221_61:
	s_or_b64 exec, exec, s[12:13]
	s_waitcnt vmcnt(1)
	v_cmp_neq_f64_e32 vcc, 0, v[14:15]
	v_cmp_neq_f64_e64 s[0:1], 0, v[16:17]
	v_mov_b64_e32 v[2:3], 0
	s_or_b64 s[0:1], vcc, s[0:1]
	v_mov_b64_e32 v[10:11], 0
	s_and_saveexec_b64 s[12:13], s[0:1]
	s_cbranch_execz .LBB221_91
; %bb.62:
	v_mov_b32_e32 v10, 0
	v_mov_b32_e32 v11, 0x7ff00000
	v_cmp_neq_f64_e64 s[0:1], |v[16:17]|, v[10:11]
	s_and_saveexec_b64 s[14:15], s[0:1]
	s_cbranch_execz .LBB221_90
; %bb.63:
	v_cmp_o_f64_e32 vcc, v[14:15], v[14:15]
                                        ; implicit-def: $vgpr10_vgpr11
	s_and_saveexec_b64 s[0:1], vcc
	s_xor_b64 s[16:17], exec, s[0:1]
	s_cbranch_execz .LBB221_87
; %bb.64:
	s_mov_b32 s0, 0
	s_mov_b32 s1, 0x7ff00000
	v_cmp_neq_f64_e64 s[0:1], |v[14:15]|, s[0:1]
                                        ; implicit-def: $vgpr10_vgpr11
	s_and_saveexec_b64 s[2:3], s[0:1]
	s_xor_b64 s[18:19], exec, s[2:3]
	s_cbranch_execz .LBB221_80
; %bb.65:
	v_max_f64 v[10:11], |v[16:17]|, |v[16:17]|
	v_max_f64 v[22:23], |v[14:15]|, |v[14:15]|
	s_mov_b32 s0, 0x99fcef32
	v_max_f64 v[10:11], v[22:23], v[10:11]
	s_mov_b32 s1, 0x7fda8279
	v_cmp_nle_f64_e64 s[0:1], s[0:1], v[10:11]
                                        ; implicit-def: $sgpr20_sgpr21
	s_and_saveexec_b64 s[2:3], s[0:1]
	s_xor_b64 s[2:3], exec, s[2:3]
	s_cbranch_execz .LBB221_69
; %bb.66:
	s_mov_b32 s20, 0
	s_mov_b32 s21, 0x200000
	v_cmp_le_f64_e64 s[22:23], |v[14:15]|, s[20:21]
	v_cmp_le_f64_e64 s[20:21], |v[16:17]|, s[20:21]
	s_and_b64 s[26:27], s[22:23], s[20:21]
	s_mov_b64 s[20:21], 0
	s_and_saveexec_b64 s[22:23], s[26:27]
; %bb.67:
	s_mov_b64 s[20:21], exec
	v_mul_f64 v[16:17], v[16:17], 4.0
	v_mul_f64 v[14:15], v[14:15], 4.0
; %bb.68:
	s_or_b64 exec, exec, s[22:23]
.LBB221_69:
	s_andn2_saveexec_b64 s[2:3], s[2:3]
; %bb.70:
	v_ldexp_f64 v[14:15], v[14:15], -2
	v_ldexp_f64 v[16:17], v[16:17], -2
	s_andn2_b64 s[20:21], s[20:21], exec
; %bb.71:
	s_or_b64 exec, exec, s[2:3]
	v_max_f64 v[10:11], |v[16:17]|, |v[16:17]|
	v_max_f64 v[22:23], |v[14:15]|, |v[14:15]|
	v_max_f64 v[10:11], v[22:23], v[10:11]
	v_frexp_exp_i32_f64_e32 v1, v[10:11]
	v_sub_u32_e32 v22, 0, v1
	v_ldexp_f64 v[10:11], |v[14:15]|, v22
	v_ldexp_f64 v[22:23], |v[16:17]|, v22
	v_mul_f64 v[22:23], v[22:23], v[22:23]
	v_fmac_f64_e32 v[22:23], v[10:11], v[10:11]
	v_rsq_f64_e32 v[10:11], v[22:23]
	v_cmp_eq_f64_e64 s[2:3], 0, v[22:23]
	s_movk_i32 s7, 0x204
	v_cmp_class_f64_e64 s[22:23], v[16:17], s7
	v_mul_f64 v[26:27], v[22:23], v[10:11]
	v_mul_f64 v[10:11], v[10:11], 0.5
	v_fma_f64 v[28:29], -v[10:11], v[26:27], 0.5
	v_fmac_f64_e32 v[26:27], v[26:27], v[28:29]
	v_fmac_f64_e32 v[10:11], v[10:11], v[28:29]
	v_fma_f64 v[28:29], -v[26:27], v[26:27], v[22:23]
	v_fmac_f64_e32 v[26:27], v[28:29], v[10:11]
	v_cndmask_b32_e64 v11, v27, v23, s[2:3]
	v_cndmask_b32_e64 v10, v26, v22, s[2:3]
	v_ldexp_f64 v[10:11], v[10:11], v1
	v_cmp_o_f64_e64 s[2:3], v[16:17], v[16:17]
	v_cmp_le_f64_e32 vcc, 0, v[14:15]
                                        ; implicit-def: $vgpr22_vgpr23
                                        ; implicit-def: $vgpr26_vgpr27
	s_nop 0
	v_cndmask_b32_e64 v1, 0, v10, s[2:3]
	v_mov_b32_e32 v10, 0x7ff80000
	v_cndmask_b32_e64 v10, v10, v11, s[2:3]
	v_cmp_class_f64_e64 s[2:3], v[14:15], s7
	v_mov_b32_e32 v11, 0x7ff00000
	s_or_b64 s[2:3], s[22:23], s[2:3]
	v_cndmask_b32_e64 v11, v10, v11, s[2:3]
	v_cndmask_b32_e64 v10, v1, 0, s[2:3]
	s_and_saveexec_b64 s[2:3], vcc
	s_xor_b64 s[2:3], exec, s[2:3]
	s_cbranch_execz .LBB221_73
; %bb.72:
	v_add_f64 v[10:11], v[14:15], v[10:11]
	s_mov_b32 s22, 0
	v_mul_f64 v[10:11], v[10:11], 0.5
	s_brev_b32 s23, 8
	v_mov_b32_e32 v1, 0x100
	v_cmp_gt_f64_e32 vcc, s[22:23], v[10:11]
	s_nop 1
	v_cndmask_b32_e32 v1, 0, v1, vcc
	v_ldexp_f64 v[10:11], v[10:11], v1
	v_rsq_f64_e32 v[14:15], v[10:11]
	v_mov_b32_e32 v1, 0xffffff80
	v_cndmask_b32_e32 v1, 0, v1, vcc
	v_mul_f64 v[22:23], v[10:11], v[14:15]
	v_mul_f64 v[14:15], v[14:15], 0.5
	v_fma_f64 v[26:27], -v[14:15], v[22:23], 0.5
	v_fmac_f64_e32 v[22:23], v[22:23], v[26:27]
	v_fma_f64 v[28:29], -v[22:23], v[22:23], v[10:11]
	v_fmac_f64_e32 v[14:15], v[14:15], v[26:27]
	v_fmac_f64_e32 v[22:23], v[28:29], v[14:15]
	v_fma_f64 v[26:27], -v[22:23], v[22:23], v[10:11]
	v_fmac_f64_e32 v[22:23], v[26:27], v[14:15]
	v_ldexp_f64 v[14:15], v[22:23], v1
	v_mov_b32_e32 v1, 0x260
	v_cmp_class_f64_e32 vcc, v[10:11], v1
	s_nop 1
	v_cndmask_b32_e32 v27, v15, v11, vcc
	v_cndmask_b32_e32 v26, v14, v10, vcc
	v_add_f64 v[10:11], v[26:27], v[26:27]
	v_div_scale_f64 v[14:15], s[22:23], v[10:11], v[10:11], v[16:17]
	v_rcp_f64_e32 v[22:23], v[14:15]
	s_nop 0
	v_fma_f64 v[28:29], -v[14:15], v[22:23], 1.0
	v_fmac_f64_e32 v[22:23], v[22:23], v[28:29]
	v_fma_f64 v[28:29], -v[14:15], v[22:23], 1.0
	v_fmac_f64_e32 v[22:23], v[22:23], v[28:29]
	v_div_scale_f64 v[28:29], vcc, v[16:17], v[10:11], v[16:17]
	v_mul_f64 v[30:31], v[28:29], v[22:23]
	v_fma_f64 v[14:15], -v[14:15], v[30:31], v[28:29]
	s_nop 1
	v_div_fmas_f64 v[14:15], v[14:15], v[22:23], v[30:31]
	v_div_fixup_f64 v[22:23], v[14:15], v[10:11], v[16:17]
                                        ; implicit-def: $vgpr10_vgpr11
                                        ; implicit-def: $vgpr14_vgpr15
	s_andn2_saveexec_b64 s[2:3], s[2:3]
	s_cbranch_execz .LBB221_75
	s_branch .LBB221_74
.LBB221_73:
	s_andn2_saveexec_b64 s[2:3], s[2:3]
	s_cbranch_execz .LBB221_75
.LBB221_74:
	v_add_f64 v[10:11], v[10:11], -v[14:15]
	s_mov_b32 s22, 0
	v_mul_f64 v[10:11], v[10:11], 0.5
	s_brev_b32 s23, 8
	v_mov_b32_e32 v1, 0x100
	v_cmp_gt_f64_e32 vcc, s[22:23], v[10:11]
	s_brev_b32 s7, -2
	s_nop 0
	v_cndmask_b32_e32 v1, 0, v1, vcc
	v_ldexp_f64 v[10:11], v[10:11], v1
	v_rsq_f64_e32 v[14:15], v[10:11]
	v_mov_b32_e32 v1, 0xffffff80
	v_cndmask_b32_e32 v1, 0, v1, vcc
	v_mul_f64 v[22:23], v[10:11], v[14:15]
	v_mul_f64 v[14:15], v[14:15], 0.5
	v_fma_f64 v[26:27], -v[14:15], v[22:23], 0.5
	v_fmac_f64_e32 v[22:23], v[22:23], v[26:27]
	v_fma_f64 v[28:29], -v[22:23], v[22:23], v[10:11]
	v_fmac_f64_e32 v[14:15], v[14:15], v[26:27]
	v_fmac_f64_e32 v[22:23], v[28:29], v[14:15]
	v_fma_f64 v[26:27], -v[22:23], v[22:23], v[10:11]
	v_fmac_f64_e32 v[22:23], v[26:27], v[14:15]
	v_ldexp_f64 v[14:15], v[22:23], v1
	v_mov_b32_e32 v1, 0x260
	v_cmp_class_f64_e32 vcc, v[10:11], v1
	s_nop 1
	v_cndmask_b32_e32 v23, v15, v11, vcc
	v_cndmask_b32_e32 v22, v14, v10, vcc
	v_add_f64 v[10:11], v[22:23], v[22:23]
	v_and_b32_e32 v15, 0x7fffffff, v17
	v_mov_b32_e32 v14, v16
	v_div_scale_f64 v[26:27], s[22:23], v[10:11], v[10:11], v[14:15]
	v_rcp_f64_e32 v[28:29], v[26:27]
	v_div_scale_f64 v[14:15], vcc, v[14:15], v[10:11], v[14:15]
	v_bfi_b32 v23, s7, v23, v17
	v_fma_f64 v[30:31], -v[26:27], v[28:29], 1.0
	v_fmac_f64_e32 v[28:29], v[28:29], v[30:31]
	v_fma_f64 v[30:31], -v[26:27], v[28:29], 1.0
	v_fmac_f64_e32 v[28:29], v[28:29], v[30:31]
	v_mul_f64 v[30:31], v[14:15], v[28:29]
	v_fma_f64 v[14:15], -v[26:27], v[30:31], v[14:15]
	v_div_fmas_f64 v[14:15], v[14:15], v[28:29], v[30:31]
	v_div_fixup_f64 v[26:27], v[14:15], v[10:11], |v[16:17]|
.LBB221_75:
	s_or_b64 exec, exec, s[2:3]
                                        ; implicit-def: $vgpr16_vgpr17
                                        ; implicit-def: $vgpr10_vgpr11
	s_and_saveexec_b64 s[2:3], s[0:1]
	s_xor_b64 s[0:1], exec, s[2:3]
	s_cbranch_execz .LBB221_77
; %bb.76:
	v_mul_f64 v[10:11], v[26:27], 0.5
	v_mul_f64 v[14:15], v[22:23], 0.5
	v_cndmask_b32_e64 v11, v27, v11, s[20:21]
	v_cndmask_b32_e64 v10, v26, v10, s[20:21]
	;; [unrolled: 1-line block ×4, first 2 shown]
                                        ; implicit-def: $vgpr26_vgpr27
                                        ; implicit-def: $vgpr22_vgpr23
	s_andn2_saveexec_b64 s[0:1], s[0:1]
	s_cbranch_execnz .LBB221_78
	s_branch .LBB221_79
.LBB221_77:
	s_andn2_saveexec_b64 s[0:1], s[0:1]
.LBB221_78:
	v_add_f64 v[10:11], v[26:27], v[26:27]
	v_add_f64 v[16:17], v[22:23], v[22:23]
.LBB221_79:
	s_or_b64 exec, exec, s[0:1]
.LBB221_80:
	s_andn2_saveexec_b64 s[0:1], s[18:19]
	s_cbranch_execz .LBB221_86
; %bb.81:
	v_add_f64 v[22:23], v[16:17], -v[16:17]
	v_cmp_lt_i64_e32 vcc, -1, v[14:15]
	s_brev_b32 s7, -2
	v_and_b32_e32 v11, 0x7fffffff, v23
	v_mov_b32_e32 v10, v22
	s_and_saveexec_b64 s[2:3], vcc
	s_xor_b64 s[2:3], exec, s[2:3]
; %bb.82:
	v_bfi_b32 v23, s7, v23, v17
	v_mov_b64_e32 v[16:17], v[22:23]
	v_mov_b64_e32 v[10:11], v[14:15]
; %bb.83:
	s_andn2_saveexec_b64 s[2:3], s[2:3]
; %bb.84:
	v_bfi_b32 v15, s7, v15, v17
	v_mov_b64_e32 v[16:17], v[14:15]
; %bb.85:
	s_or_b64 exec, exec, s[2:3]
.LBB221_86:
	s_or_b64 exec, exec, s[0:1]
.LBB221_87:
	s_andn2_saveexec_b64 s[0:1], s[16:17]
	s_cbranch_execz .LBB221_89
; %bb.88:
	v_add_f64 v[10:11], v[16:17], -v[16:17]
	v_div_scale_f64 v[16:17], vcc, v[10:11], v[10:11], v[10:11]
	v_rcp_f64_e32 v[22:23], v[16:17]
	s_nop 0
	v_fma_f64 v[26:27], -v[16:17], v[22:23], 1.0
	v_fmac_f64_e32 v[22:23], v[22:23], v[26:27]
	v_fma_f64 v[26:27], -v[16:17], v[22:23], 1.0
	v_fmac_f64_e32 v[22:23], v[22:23], v[26:27]
	v_mul_f64 v[26:27], v[16:17], v[22:23]
	v_fma_f64 v[16:17], -v[16:17], v[26:27], v[16:17]
	v_div_fmas_f64 v[16:17], v[16:17], v[22:23], v[26:27]
	v_div_fixup_f64 v[16:17], v[16:17], v[10:11], v[10:11]
	v_mov_b64_e32 v[10:11], v[14:15]
.LBB221_89:
	s_or_b64 exec, exec, s[0:1]
.LBB221_90:
	s_or_b64 exec, exec, s[14:15]
.LBB221_91:
	s_or_b64 exec, exec, s[12:13]
	s_waitcnt vmcnt(0)
	v_cmp_neq_f64_e32 vcc, 0, v[6:7]
	v_cmp_neq_f64_e64 s[0:1], 0, v[8:9]
	s_or_b64 s[0:1], vcc, s[0:1]
	s_and_saveexec_b64 s[12:13], s[0:1]
	s_cbranch_execz .LBB221_121
; %bb.92:
	v_mov_b32_e32 v2, 0
	v_mov_b32_e32 v3, 0x7ff00000
	v_cmp_neq_f64_e64 s[0:1], |v[8:9]|, v[2:3]
	s_and_saveexec_b64 s[14:15], s[0:1]
	s_cbranch_execz .LBB221_120
; %bb.93:
	v_cmp_o_f64_e32 vcc, v[6:7], v[6:7]
                                        ; implicit-def: $vgpr2_vgpr3
	s_and_saveexec_b64 s[0:1], vcc
	s_xor_b64 s[16:17], exec, s[0:1]
	s_cbranch_execz .LBB221_117
; %bb.94:
	s_mov_b32 s0, 0
	s_mov_b32 s1, 0x7ff00000
	v_cmp_neq_f64_e64 s[0:1], |v[6:7]|, s[0:1]
                                        ; implicit-def: $vgpr2_vgpr3
	s_and_saveexec_b64 s[2:3], s[0:1]
	s_xor_b64 s[18:19], exec, s[2:3]
	s_cbranch_execz .LBB221_110
; %bb.95:
	v_max_f64 v[2:3], |v[8:9]|, |v[8:9]|
	v_max_f64 v[14:15], |v[6:7]|, |v[6:7]|
	s_mov_b32 s0, 0x99fcef32
	v_max_f64 v[2:3], v[14:15], v[2:3]
	s_mov_b32 s1, 0x7fda8279
	v_cmp_nle_f64_e64 s[0:1], s[0:1], v[2:3]
                                        ; implicit-def: $sgpr20_sgpr21
	s_and_saveexec_b64 s[2:3], s[0:1]
	s_xor_b64 s[2:3], exec, s[2:3]
	s_cbranch_execz .LBB221_99
; %bb.96:
	s_mov_b32 s20, 0
	s_mov_b32 s21, 0x200000
	v_cmp_le_f64_e64 s[22:23], |v[6:7]|, s[20:21]
	v_cmp_le_f64_e64 s[20:21], |v[8:9]|, s[20:21]
	s_and_b64 s[26:27], s[22:23], s[20:21]
	s_mov_b64 s[20:21], 0
	s_and_saveexec_b64 s[22:23], s[26:27]
; %bb.97:
	s_mov_b64 s[20:21], exec
	v_mul_f64 v[8:9], v[8:9], 4.0
	v_mul_f64 v[6:7], v[6:7], 4.0
; %bb.98:
	s_or_b64 exec, exec, s[22:23]
.LBB221_99:
	s_andn2_saveexec_b64 s[2:3], s[2:3]
; %bb.100:
	v_ldexp_f64 v[6:7], v[6:7], -2
	v_ldexp_f64 v[8:9], v[8:9], -2
	s_andn2_b64 s[20:21], s[20:21], exec
; %bb.101:
	s_or_b64 exec, exec, s[2:3]
	v_max_f64 v[2:3], |v[8:9]|, |v[8:9]|
	v_max_f64 v[14:15], |v[6:7]|, |v[6:7]|
	v_max_f64 v[2:3], v[14:15], v[2:3]
	v_frexp_exp_i32_f64_e32 v1, v[2:3]
	v_sub_u32_e32 v14, 0, v1
	v_ldexp_f64 v[2:3], |v[6:7]|, v14
	v_ldexp_f64 v[14:15], |v[8:9]|, v14
	v_mul_f64 v[14:15], v[14:15], v[14:15]
	v_fmac_f64_e32 v[14:15], v[2:3], v[2:3]
	v_rsq_f64_e32 v[2:3], v[14:15]
	v_cmp_eq_f64_e64 s[2:3], 0, v[14:15]
	s_movk_i32 s7, 0x204
	v_cmp_class_f64_e64 s[22:23], v[8:9], s7
	v_mul_f64 v[22:23], v[14:15], v[2:3]
	v_mul_f64 v[2:3], v[2:3], 0.5
	v_fma_f64 v[26:27], -v[2:3], v[22:23], 0.5
	v_fmac_f64_e32 v[22:23], v[22:23], v[26:27]
	v_fmac_f64_e32 v[2:3], v[2:3], v[26:27]
	v_fma_f64 v[26:27], -v[22:23], v[22:23], v[14:15]
	v_fmac_f64_e32 v[22:23], v[26:27], v[2:3]
	v_cndmask_b32_e64 v3, v23, v15, s[2:3]
	v_cndmask_b32_e64 v2, v22, v14, s[2:3]
	v_ldexp_f64 v[2:3], v[2:3], v1
	v_cmp_o_f64_e64 s[2:3], v[8:9], v[8:9]
	v_cmp_le_f64_e32 vcc, 0, v[6:7]
                                        ; implicit-def: $vgpr14_vgpr15
                                        ; implicit-def: $vgpr22_vgpr23
	s_nop 0
	v_cndmask_b32_e64 v1, 0, v2, s[2:3]
	v_mov_b32_e32 v2, 0x7ff80000
	v_cndmask_b32_e64 v2, v2, v3, s[2:3]
	v_cmp_class_f64_e64 s[2:3], v[6:7], s7
	v_mov_b32_e32 v3, 0x7ff00000
	s_or_b64 s[2:3], s[22:23], s[2:3]
	v_cndmask_b32_e64 v3, v2, v3, s[2:3]
	v_cndmask_b32_e64 v2, v1, 0, s[2:3]
	s_and_saveexec_b64 s[2:3], vcc
	s_xor_b64 s[2:3], exec, s[2:3]
	s_cbranch_execz .LBB221_103
; %bb.102:
	v_add_f64 v[2:3], v[6:7], v[2:3]
	s_mov_b32 s22, 0
	v_mul_f64 v[2:3], v[2:3], 0.5
	s_brev_b32 s23, 8
	v_mov_b32_e32 v1, 0x100
	v_cmp_gt_f64_e32 vcc, s[22:23], v[2:3]
	s_nop 1
	v_cndmask_b32_e32 v1, 0, v1, vcc
	v_ldexp_f64 v[2:3], v[2:3], v1
	v_rsq_f64_e32 v[6:7], v[2:3]
	v_mov_b32_e32 v1, 0xffffff80
	v_cndmask_b32_e32 v1, 0, v1, vcc
	v_mul_f64 v[14:15], v[2:3], v[6:7]
	v_mul_f64 v[6:7], v[6:7], 0.5
	v_fma_f64 v[22:23], -v[6:7], v[14:15], 0.5
	v_fmac_f64_e32 v[14:15], v[14:15], v[22:23]
	v_fma_f64 v[26:27], -v[14:15], v[14:15], v[2:3]
	v_fmac_f64_e32 v[6:7], v[6:7], v[22:23]
	v_fmac_f64_e32 v[14:15], v[26:27], v[6:7]
	v_fma_f64 v[22:23], -v[14:15], v[14:15], v[2:3]
	v_fmac_f64_e32 v[14:15], v[22:23], v[6:7]
	v_ldexp_f64 v[6:7], v[14:15], v1
	v_mov_b32_e32 v1, 0x260
	v_cmp_class_f64_e32 vcc, v[2:3], v1
	s_nop 1
	v_cndmask_b32_e32 v23, v7, v3, vcc
	v_cndmask_b32_e32 v22, v6, v2, vcc
	v_add_f64 v[2:3], v[22:23], v[22:23]
	v_div_scale_f64 v[6:7], s[22:23], v[2:3], v[2:3], v[8:9]
	v_rcp_f64_e32 v[14:15], v[6:7]
	s_nop 0
	v_fma_f64 v[26:27], -v[6:7], v[14:15], 1.0
	v_fmac_f64_e32 v[14:15], v[14:15], v[26:27]
	v_fma_f64 v[26:27], -v[6:7], v[14:15], 1.0
	v_fmac_f64_e32 v[14:15], v[14:15], v[26:27]
	v_div_scale_f64 v[26:27], vcc, v[8:9], v[2:3], v[8:9]
	v_mul_f64 v[28:29], v[26:27], v[14:15]
	v_fma_f64 v[6:7], -v[6:7], v[28:29], v[26:27]
	s_nop 1
	v_div_fmas_f64 v[6:7], v[6:7], v[14:15], v[28:29]
	v_div_fixup_f64 v[14:15], v[6:7], v[2:3], v[8:9]
                                        ; implicit-def: $vgpr2_vgpr3
                                        ; implicit-def: $vgpr6_vgpr7
	s_andn2_saveexec_b64 s[2:3], s[2:3]
	s_cbranch_execz .LBB221_105
	s_branch .LBB221_104
.LBB221_103:
	s_andn2_saveexec_b64 s[2:3], s[2:3]
	s_cbranch_execz .LBB221_105
.LBB221_104:
	v_add_f64 v[2:3], v[2:3], -v[6:7]
	s_mov_b32 s22, 0
	v_mul_f64 v[2:3], v[2:3], 0.5
	s_brev_b32 s23, 8
	v_mov_b32_e32 v1, 0x100
	v_cmp_gt_f64_e32 vcc, s[22:23], v[2:3]
	s_brev_b32 s7, -2
	s_nop 0
	v_cndmask_b32_e32 v1, 0, v1, vcc
	v_ldexp_f64 v[2:3], v[2:3], v1
	v_rsq_f64_e32 v[6:7], v[2:3]
	v_mov_b32_e32 v1, 0xffffff80
	v_cndmask_b32_e32 v1, 0, v1, vcc
	v_mul_f64 v[14:15], v[2:3], v[6:7]
	v_mul_f64 v[6:7], v[6:7], 0.5
	v_fma_f64 v[22:23], -v[6:7], v[14:15], 0.5
	v_fmac_f64_e32 v[14:15], v[14:15], v[22:23]
	v_fma_f64 v[26:27], -v[14:15], v[14:15], v[2:3]
	v_fmac_f64_e32 v[6:7], v[6:7], v[22:23]
	v_fmac_f64_e32 v[14:15], v[26:27], v[6:7]
	v_fma_f64 v[22:23], -v[14:15], v[14:15], v[2:3]
	v_fmac_f64_e32 v[14:15], v[22:23], v[6:7]
	v_ldexp_f64 v[6:7], v[14:15], v1
	v_mov_b32_e32 v1, 0x260
	v_cmp_class_f64_e32 vcc, v[2:3], v1
	s_nop 1
	v_cndmask_b32_e32 v15, v7, v3, vcc
	v_cndmask_b32_e32 v14, v6, v2, vcc
	v_add_f64 v[2:3], v[14:15], v[14:15]
	v_and_b32_e32 v7, 0x7fffffff, v9
	v_mov_b32_e32 v6, v8
	v_div_scale_f64 v[22:23], s[22:23], v[2:3], v[2:3], v[6:7]
	v_rcp_f64_e32 v[26:27], v[22:23]
	v_div_scale_f64 v[6:7], vcc, v[6:7], v[2:3], v[6:7]
	v_bfi_b32 v15, s7, v15, v9
	v_fma_f64 v[28:29], -v[22:23], v[26:27], 1.0
	v_fmac_f64_e32 v[26:27], v[26:27], v[28:29]
	v_fma_f64 v[28:29], -v[22:23], v[26:27], 1.0
	v_fmac_f64_e32 v[26:27], v[26:27], v[28:29]
	v_mul_f64 v[28:29], v[6:7], v[26:27]
	v_fma_f64 v[6:7], -v[22:23], v[28:29], v[6:7]
	v_div_fmas_f64 v[6:7], v[6:7], v[26:27], v[28:29]
	v_div_fixup_f64 v[22:23], v[6:7], v[2:3], |v[8:9]|
.LBB221_105:
	s_or_b64 exec, exec, s[2:3]
                                        ; implicit-def: $vgpr8_vgpr9
                                        ; implicit-def: $vgpr2_vgpr3
	s_and_saveexec_b64 s[2:3], s[0:1]
	s_xor_b64 s[0:1], exec, s[2:3]
	s_cbranch_execz .LBB221_107
; %bb.106:
	v_mul_f64 v[2:3], v[22:23], 0.5
	v_mul_f64 v[6:7], v[14:15], 0.5
	v_cndmask_b32_e64 v3, v23, v3, s[20:21]
	v_cndmask_b32_e64 v2, v22, v2, s[20:21]
	;; [unrolled: 1-line block ×4, first 2 shown]
                                        ; implicit-def: $vgpr22_vgpr23
                                        ; implicit-def: $vgpr14_vgpr15
	s_andn2_saveexec_b64 s[0:1], s[0:1]
	s_cbranch_execnz .LBB221_108
	s_branch .LBB221_109
.LBB221_107:
	s_andn2_saveexec_b64 s[0:1], s[0:1]
.LBB221_108:
	v_add_f64 v[2:3], v[22:23], v[22:23]
	v_add_f64 v[8:9], v[14:15], v[14:15]
.LBB221_109:
	s_or_b64 exec, exec, s[0:1]
.LBB221_110:
	s_andn2_saveexec_b64 s[0:1], s[18:19]
	s_cbranch_execz .LBB221_116
; %bb.111:
	v_add_f64 v[14:15], v[8:9], -v[8:9]
	v_cmp_lt_i64_e32 vcc, -1, v[6:7]
	s_brev_b32 s7, -2
	v_and_b32_e32 v3, 0x7fffffff, v15
	v_mov_b32_e32 v2, v14
	s_and_saveexec_b64 s[2:3], vcc
	s_xor_b64 s[2:3], exec, s[2:3]
; %bb.112:
	v_bfi_b32 v15, s7, v15, v9
	v_mov_b64_e32 v[8:9], v[14:15]
	v_mov_b64_e32 v[2:3], v[6:7]
; %bb.113:
	s_andn2_saveexec_b64 s[2:3], s[2:3]
; %bb.114:
	v_bfi_b32 v7, s7, v7, v9
	v_mov_b64_e32 v[8:9], v[6:7]
; %bb.115:
	s_or_b64 exec, exec, s[2:3]
.LBB221_116:
	s_or_b64 exec, exec, s[0:1]
.LBB221_117:
	s_andn2_saveexec_b64 s[0:1], s[16:17]
	s_cbranch_execz .LBB221_119
; %bb.118:
	v_add_f64 v[2:3], v[8:9], -v[8:9]
	v_div_scale_f64 v[8:9], vcc, v[2:3], v[2:3], v[2:3]
	v_rcp_f64_e32 v[14:15], v[8:9]
	s_nop 0
	v_fma_f64 v[22:23], -v[8:9], v[14:15], 1.0
	v_fmac_f64_e32 v[14:15], v[14:15], v[22:23]
	v_fma_f64 v[22:23], -v[8:9], v[14:15], 1.0
	v_fmac_f64_e32 v[14:15], v[14:15], v[22:23]
	v_mul_f64 v[22:23], v[8:9], v[14:15]
	v_fma_f64 v[8:9], -v[8:9], v[22:23], v[8:9]
	v_div_fmas_f64 v[8:9], v[8:9], v[14:15], v[22:23]
	v_div_fixup_f64 v[8:9], v[8:9], v[2:3], v[2:3]
	v_mov_b64_e32 v[2:3], v[6:7]
.LBB221_119:
	s_or_b64 exec, exec, s[0:1]
.LBB221_120:
	s_or_b64 exec, exec, s[14:15]
.LBB221_121:
	s_or_b64 exec, exec, s[12:13]
	s_add_u32 s0, s8, s4
	s_addc_u32 s1, s9, s5
	v_mov_b32_e32 v25, 0
	v_lshl_add_u64 v[6:7], s[0:1], 0, v[24:25]
	v_mov_b32_e32 v22, v12
	v_mov_b32_e32 v23, v13
	global_store_dwordx4 v24, v[20:23], s[0:1]
	v_add_co_u32_e32 v6, vcc, 0x2000, v6
	s_nop 0
	v_mov_b32_e32 v20, v4
	v_mov_b32_e32 v21, v5
	global_store_dwordx4 v24, v[18:21], s[0:1] offset:16
	v_mov_b32_e32 v12, v16
	v_mov_b32_e32 v13, v17
	v_addc_co_u32_e32 v7, vcc, 0, v7, vcc
	v_mov_b32_e32 v4, v8
	v_mov_b32_e32 v5, v9
	s_mov_b64 s[0:1], 0
	global_store_dwordx4 v[6:7], v[10:13], off
	global_store_dwordx4 v[6:7], v[2:5], off offset:16
.LBB221_122:
	s_and_b64 vcc, exec, s[0:1]
	s_cbranch_vccz .LBB221_267
; %bb.123:
	v_cmp_gt_i32_e64 s[0:1], s24, v0
	v_mov_b64_e32 v[18:19], 0
	v_or_b32_e32 v26, s6, v0
	v_mov_b64_e32 v[22:23], 0
	v_mov_b64_e32 v[24:25], 0
	v_mov_b32_e32 v1, v0
	s_and_saveexec_b64 s[2:3], s[0:1]
	s_cbranch_execz .LBB221_125
; %bb.124:
	v_mov_b32_e32 v27, 0
	v_lshl_add_u64 v[2:3], v[26:27], 4, s[10:11]
	global_load_dwordx4 v[22:25], v[2:3], off
	v_or_b32_e32 v1, 0x100, v0
.LBB221_125:
	s_or_b64 exec, exec, s[2:3]
	v_cmp_gt_i32_e32 vcc, s24, v1
	v_mov_b64_e32 v[20:21], 0
	s_and_saveexec_b64 s[2:3], vcc
	s_cbranch_execz .LBB221_127
; %bb.126:
	v_add_u32_e32 v2, s6, v1
	v_mov_b32_e32 v3, 0
	v_lshl_add_u64 v[2:3], v[2:3], 4, s[10:11]
	global_load_dwordx4 v[18:21], v[2:3], off
	v_add_u32_e32 v1, 0x100, v1
.LBB221_127:
	s_or_b64 exec, exec, s[2:3]
	v_cmp_gt_i32_e32 vcc, s24, v1
	v_mov_b64_e32 v[2:3], 0
	v_mov_b64_e32 v[14:15], 0
	;; [unrolled: 1-line block ×3, first 2 shown]
	s_and_saveexec_b64 s[2:3], vcc
	s_cbranch_execz .LBB221_129
; %bb.128:
	v_add_u32_e32 v4, s6, v1
	v_mov_b32_e32 v5, 0
	v_lshl_add_u64 v[4:5], v[4:5], 4, s[10:11]
	global_load_dwordx4 v[14:17], v[4:5], off
	v_add_u32_e32 v1, 0x100, v1
.LBB221_129:
	s_or_b64 exec, exec, s[2:3]
	v_cmp_gt_i32_e32 vcc, s24, v1
	v_mov_b64_e32 v[4:5], 0
	s_and_saveexec_b64 s[2:3], vcc
	s_cbranch_execz .LBB221_131
; %bb.130:
	v_add_u32_e32 v2, s6, v1
	v_mov_b32_e32 v3, 0
	v_lshl_add_u64 v[2:3], v[2:3], 4, s[10:11]
	global_load_dwordx4 v[2:5], v[2:3], off
.LBB221_131:
	s_or_b64 exec, exec, s[2:3]
	v_mov_b64_e32 v[8:9], 0
	v_mov_b64_e32 v[12:13], 0
	;; [unrolled: 1-line block ×3, first 2 shown]
	s_and_saveexec_b64 s[10:11], s[0:1]
	s_cbranch_execz .LBB221_163
; %bb.132:
	s_waitcnt vmcnt(0)
	v_cmp_neq_f64_e32 vcc, 0, v[22:23]
	v_cmp_neq_f64_e64 s[2:3], 0, v[24:25]
	v_mov_b64_e32 v[10:11], 0
	s_or_b64 s[2:3], vcc, s[2:3]
	s_and_saveexec_b64 s[12:13], s[2:3]
	s_cbranch_execz .LBB221_162
; %bb.133:
	v_mov_b32_e32 v10, 0
	v_mov_b32_e32 v11, 0x7ff00000
	v_cmp_neq_f64_e64 s[2:3], |v[24:25]|, v[10:11]
	s_and_saveexec_b64 s[14:15], s[2:3]
	s_cbranch_execz .LBB221_161
; %bb.134:
	v_cmp_o_f64_e32 vcc, v[22:23], v[22:23]
                                        ; implicit-def: $vgpr10_vgpr11
	s_and_saveexec_b64 s[2:3], vcc
	s_xor_b64 s[16:17], exec, s[2:3]
	s_cbranch_execz .LBB221_158
; %bb.135:
	s_mov_b32 s2, 0
	s_mov_b32 s3, 0x7ff00000
	v_cmp_neq_f64_e64 s[2:3], |v[22:23]|, s[2:3]
                                        ; implicit-def: $vgpr10_vgpr11
	s_and_saveexec_b64 s[4:5], s[2:3]
	s_xor_b64 s[18:19], exec, s[4:5]
	s_cbranch_execz .LBB221_151
; %bb.136:
	v_max_f64 v[6:7], |v[24:25]|, |v[24:25]|
	v_max_f64 v[10:11], |v[22:23]|, |v[22:23]|
	s_mov_b32 s2, 0x99fcef32
	v_max_f64 v[6:7], v[10:11], v[6:7]
	s_mov_b32 s3, 0x7fda8279
	v_cmp_nle_f64_e64 s[2:3], s[2:3], v[6:7]
                                        ; implicit-def: $sgpr20_sgpr21
	s_and_saveexec_b64 s[4:5], s[2:3]
	s_xor_b64 s[4:5], exec, s[4:5]
	s_cbranch_execz .LBB221_140
; %bb.137:
	s_mov_b32 s20, 0
	s_mov_b32 s21, 0x200000
	v_cmp_le_f64_e64 s[22:23], |v[22:23]|, s[20:21]
	v_cmp_le_f64_e64 s[20:21], |v[24:25]|, s[20:21]
	s_and_b64 s[26:27], s[22:23], s[20:21]
	s_mov_b64 s[20:21], 0
	s_and_saveexec_b64 s[22:23], s[26:27]
; %bb.138:
	s_mov_b64 s[20:21], exec
	v_mul_f64 v[24:25], v[24:25], 4.0
	v_mul_f64 v[22:23], v[22:23], 4.0
; %bb.139:
	s_or_b64 exec, exec, s[22:23]
.LBB221_140:
	s_andn2_saveexec_b64 s[4:5], s[4:5]
; %bb.141:
	v_ldexp_f64 v[22:23], v[22:23], -2
	v_ldexp_f64 v[24:25], v[24:25], -2
	s_andn2_b64 s[20:21], s[20:21], exec
; %bb.142:
	s_or_b64 exec, exec, s[4:5]
	v_max_f64 v[6:7], |v[24:25]|, |v[24:25]|
	v_max_f64 v[10:11], |v[22:23]|, |v[22:23]|
	v_max_f64 v[6:7], v[10:11], v[6:7]
	v_frexp_exp_i32_f64_e32 v1, v[6:7]
	v_sub_u32_e32 v10, 0, v1
	v_ldexp_f64 v[6:7], |v[22:23]|, v10
	v_ldexp_f64 v[10:11], |v[24:25]|, v10
	v_mul_f64 v[10:11], v[10:11], v[10:11]
	v_fmac_f64_e32 v[10:11], v[6:7], v[6:7]
	v_rsq_f64_e32 v[6:7], v[10:11]
	v_cmp_eq_f64_e64 s[4:5], 0, v[10:11]
	s_movk_i32 s7, 0x204
	v_cmp_class_f64_e64 s[22:23], v[24:25], s7
	v_mul_f64 v[12:13], v[10:11], v[6:7]
	v_mul_f64 v[6:7], v[6:7], 0.5
	v_fma_f64 v[28:29], -v[6:7], v[12:13], 0.5
	v_fmac_f64_e32 v[12:13], v[12:13], v[28:29]
	v_fmac_f64_e32 v[6:7], v[6:7], v[28:29]
	v_fma_f64 v[28:29], -v[12:13], v[12:13], v[10:11]
	v_fmac_f64_e32 v[12:13], v[28:29], v[6:7]
	v_cndmask_b32_e64 v7, v13, v11, s[4:5]
	v_cndmask_b32_e64 v6, v12, v10, s[4:5]
	v_ldexp_f64 v[6:7], v[6:7], v1
	v_cmp_o_f64_e64 s[4:5], v[24:25], v[24:25]
	v_cmp_le_f64_e32 vcc, 0, v[22:23]
                                        ; implicit-def: $vgpr12_vgpr13
	s_nop 0
	v_cndmask_b32_e64 v1, 0, v6, s[4:5]
	v_mov_b32_e32 v6, 0x7ff80000
	v_cndmask_b32_e64 v6, v6, v7, s[4:5]
	v_cmp_class_f64_e64 s[4:5], v[22:23], s7
	v_mov_b32_e32 v7, 0x7ff00000
	s_or_b64 s[4:5], s[22:23], s[4:5]
	v_cndmask_b32_e64 v11, v6, v7, s[4:5]
	v_cndmask_b32_e64 v10, v1, 0, s[4:5]
                                        ; implicit-def: $vgpr6_vgpr7
	s_and_saveexec_b64 s[4:5], vcc
	s_xor_b64 s[4:5], exec, s[4:5]
	s_cbranch_execz .LBB221_144
; %bb.143:
	v_add_f64 v[6:7], v[22:23], v[10:11]
	s_mov_b32 s22, 0
	v_mul_f64 v[6:7], v[6:7], 0.5
	s_brev_b32 s23, 8
	v_mov_b32_e32 v1, 0x100
	v_cmp_gt_f64_e32 vcc, s[22:23], v[6:7]
	s_nop 1
	v_cndmask_b32_e32 v1, 0, v1, vcc
	v_ldexp_f64 v[6:7], v[6:7], v1
	v_rsq_f64_e32 v[10:11], v[6:7]
	v_mov_b32_e32 v1, 0xffffff80
	v_cndmask_b32_e32 v1, 0, v1, vcc
	v_mul_f64 v[12:13], v[6:7], v[10:11]
	v_mul_f64 v[10:11], v[10:11], 0.5
	v_fma_f64 v[22:23], -v[10:11], v[12:13], 0.5
	v_fmac_f64_e32 v[12:13], v[12:13], v[22:23]
	v_fma_f64 v[28:29], -v[12:13], v[12:13], v[6:7]
	v_fmac_f64_e32 v[10:11], v[10:11], v[22:23]
	v_fmac_f64_e32 v[12:13], v[28:29], v[10:11]
	v_fma_f64 v[22:23], -v[12:13], v[12:13], v[6:7]
	v_fmac_f64_e32 v[12:13], v[22:23], v[10:11]
	v_ldexp_f64 v[10:11], v[12:13], v1
	v_mov_b32_e32 v1, 0x260
	v_cmp_class_f64_e32 vcc, v[6:7], v1
	s_nop 1
	v_cndmask_b32_e32 v13, v11, v7, vcc
	v_cndmask_b32_e32 v12, v10, v6, vcc
	v_add_f64 v[6:7], v[12:13], v[12:13]
	v_div_scale_f64 v[10:11], s[22:23], v[6:7], v[6:7], v[24:25]
	v_rcp_f64_e32 v[22:23], v[10:11]
	s_nop 0
	v_fma_f64 v[28:29], -v[10:11], v[22:23], 1.0
	v_fmac_f64_e32 v[22:23], v[22:23], v[28:29]
	v_fma_f64 v[28:29], -v[10:11], v[22:23], 1.0
	v_fmac_f64_e32 v[22:23], v[22:23], v[28:29]
	v_div_scale_f64 v[28:29], vcc, v[24:25], v[6:7], v[24:25]
	v_mul_f64 v[30:31], v[28:29], v[22:23]
	v_fma_f64 v[10:11], -v[10:11], v[30:31], v[28:29]
	s_nop 1
	v_div_fmas_f64 v[10:11], v[10:11], v[22:23], v[30:31]
	v_div_fixup_f64 v[6:7], v[10:11], v[6:7], v[24:25]
                                        ; implicit-def: $vgpr10_vgpr11
                                        ; implicit-def: $vgpr22_vgpr23
	s_andn2_saveexec_b64 s[4:5], s[4:5]
	s_cbranch_execz .LBB221_146
	s_branch .LBB221_145
.LBB221_144:
	s_andn2_saveexec_b64 s[4:5], s[4:5]
	s_cbranch_execz .LBB221_146
.LBB221_145:
	v_add_f64 v[6:7], v[10:11], -v[22:23]
	s_mov_b32 s22, 0
	v_mul_f64 v[6:7], v[6:7], 0.5
	s_brev_b32 s23, 8
	v_mov_b32_e32 v1, 0x100
	v_cmp_gt_f64_e32 vcc, s[22:23], v[6:7]
	s_brev_b32 s7, -2
	s_nop 0
	v_cndmask_b32_e32 v1, 0, v1, vcc
	v_ldexp_f64 v[6:7], v[6:7], v1
	v_rsq_f64_e32 v[10:11], v[6:7]
	v_mov_b32_e32 v1, 0xffffff80
	v_cndmask_b32_e32 v1, 0, v1, vcc
	v_mul_f64 v[12:13], v[6:7], v[10:11]
	v_mul_f64 v[10:11], v[10:11], 0.5
	v_fma_f64 v[22:23], -v[10:11], v[12:13], 0.5
	v_fmac_f64_e32 v[12:13], v[12:13], v[22:23]
	v_fma_f64 v[28:29], -v[12:13], v[12:13], v[6:7]
	v_fmac_f64_e32 v[10:11], v[10:11], v[22:23]
	v_fmac_f64_e32 v[12:13], v[28:29], v[10:11]
	v_fma_f64 v[22:23], -v[12:13], v[12:13], v[6:7]
	v_fmac_f64_e32 v[12:13], v[22:23], v[10:11]
	v_ldexp_f64 v[10:11], v[12:13], v1
	v_mov_b32_e32 v1, 0x260
	v_cmp_class_f64_e32 vcc, v[6:7], v1
	v_and_b32_e32 v13, 0x7fffffff, v25
	v_mov_b32_e32 v12, v24
	v_cndmask_b32_e32 v7, v11, v7, vcc
	v_cndmask_b32_e32 v6, v10, v6, vcc
	v_add_f64 v[10:11], v[6:7], v[6:7]
	v_div_scale_f64 v[22:23], s[22:23], v[10:11], v[10:11], v[12:13]
	v_rcp_f64_e32 v[28:29], v[22:23]
	v_div_scale_f64 v[12:13], vcc, v[12:13], v[10:11], v[12:13]
	v_bfi_b32 v7, s7, v7, v25
	v_fma_f64 v[30:31], -v[22:23], v[28:29], 1.0
	v_fmac_f64_e32 v[28:29], v[28:29], v[30:31]
	v_fma_f64 v[30:31], -v[22:23], v[28:29], 1.0
	v_fmac_f64_e32 v[28:29], v[28:29], v[30:31]
	v_mul_f64 v[30:31], v[12:13], v[28:29]
	v_fma_f64 v[12:13], -v[22:23], v[30:31], v[12:13]
	v_div_fmas_f64 v[12:13], v[12:13], v[28:29], v[30:31]
	v_div_fixup_f64 v[12:13], v[12:13], v[10:11], |v[24:25]|
.LBB221_146:
	s_or_b64 exec, exec, s[4:5]
                                        ; implicit-def: $vgpr10_vgpr11
                                        ; implicit-def: $vgpr24_vgpr25
	s_and_saveexec_b64 s[4:5], s[2:3]
	s_xor_b64 s[2:3], exec, s[4:5]
	s_cbranch_execz .LBB221_148
; %bb.147:
	v_mul_f64 v[10:11], v[12:13], 0.5
	v_mul_f64 v[22:23], v[6:7], 0.5
	v_cndmask_b32_e64 v11, v13, v11, s[20:21]
	v_cndmask_b32_e64 v10, v12, v10, s[20:21]
	;; [unrolled: 1-line block ×4, first 2 shown]
                                        ; implicit-def: $vgpr12_vgpr13
                                        ; implicit-def: $vgpr6_vgpr7
	s_andn2_saveexec_b64 s[2:3], s[2:3]
	s_cbranch_execnz .LBB221_149
	s_branch .LBB221_150
.LBB221_148:
	s_andn2_saveexec_b64 s[2:3], s[2:3]
.LBB221_149:
	v_add_f64 v[10:11], v[12:13], v[12:13]
	v_add_f64 v[24:25], v[6:7], v[6:7]
.LBB221_150:
	s_or_b64 exec, exec, s[2:3]
.LBB221_151:
	s_andn2_saveexec_b64 s[2:3], s[18:19]
	s_cbranch_execz .LBB221_157
; %bb.152:
	v_add_f64 v[6:7], v[24:25], -v[24:25]
	v_cmp_lt_i64_e32 vcc, -1, v[22:23]
	s_brev_b32 s7, -2
	v_and_b32_e32 v11, 0x7fffffff, v7
	v_mov_b32_e32 v10, v6
	s_and_saveexec_b64 s[4:5], vcc
	s_xor_b64 s[4:5], exec, s[4:5]
; %bb.153:
	v_bfi_b32 v7, s7, v7, v25
	v_mov_b64_e32 v[10:11], v[22:23]
	v_mov_b64_e32 v[24:25], v[6:7]
; %bb.154:
	s_andn2_saveexec_b64 s[4:5], s[4:5]
; %bb.155:
	v_bfi_b32 v23, s7, v23, v25
	v_mov_b64_e32 v[24:25], v[22:23]
; %bb.156:
	s_or_b64 exec, exec, s[4:5]
.LBB221_157:
	s_or_b64 exec, exec, s[2:3]
.LBB221_158:
	s_andn2_saveexec_b64 s[2:3], s[16:17]
	s_cbranch_execz .LBB221_160
; %bb.159:
	v_add_f64 v[6:7], v[24:25], -v[24:25]
	v_div_scale_f64 v[10:11], vcc, v[6:7], v[6:7], v[6:7]
	v_rcp_f64_e32 v[12:13], v[10:11]
	s_nop 0
	v_fma_f64 v[24:25], -v[10:11], v[12:13], 1.0
	v_fmac_f64_e32 v[12:13], v[12:13], v[24:25]
	v_fma_f64 v[24:25], -v[10:11], v[12:13], 1.0
	v_fmac_f64_e32 v[12:13], v[12:13], v[24:25]
	v_mul_f64 v[24:25], v[10:11], v[12:13]
	v_fma_f64 v[10:11], -v[10:11], v[24:25], v[10:11]
	v_div_fmas_f64 v[10:11], v[10:11], v[12:13], v[24:25]
	v_div_fixup_f64 v[24:25], v[10:11], v[6:7], v[6:7]
	v_mov_b64_e32 v[10:11], v[22:23]
.LBB221_160:
	s_or_b64 exec, exec, s[2:3]
.LBB221_161:
	s_or_b64 exec, exec, s[14:15]
.LBB221_162:
	s_or_b64 exec, exec, s[12:13]
	v_mov_b64_e32 v[12:13], v[24:25]
.LBB221_163:
	s_or_b64 exec, exec, s[10:11]
	v_or_b32_e32 v1, 0x100, v0
	v_cmp_gt_i32_e32 vcc, s24, v1
	v_mov_b64_e32 v[6:7], 0
	s_and_saveexec_b64 s[10:11], vcc
	s_cbranch_execz .LBB221_195
; %bb.164:
	s_waitcnt vmcnt(0)
	v_cmp_neq_f64_e32 vcc, 0, v[18:19]
	v_cmp_neq_f64_e64 s[2:3], 0, v[20:21]
	v_mov_b64_e32 v[6:7], 0
	s_or_b64 s[2:3], vcc, s[2:3]
	s_and_saveexec_b64 s[12:13], s[2:3]
	s_cbranch_execz .LBB221_194
; %bb.165:
	v_mov_b32_e32 v6, 0
	v_mov_b32_e32 v7, 0x7ff00000
	v_cmp_neq_f64_e64 s[2:3], |v[20:21]|, v[6:7]
	s_and_saveexec_b64 s[14:15], s[2:3]
	s_cbranch_execz .LBB221_193
; %bb.166:
	v_cmp_o_f64_e32 vcc, v[18:19], v[18:19]
                                        ; implicit-def: $vgpr6_vgpr7
	s_and_saveexec_b64 s[2:3], vcc
	s_xor_b64 s[16:17], exec, s[2:3]
	s_cbranch_execz .LBB221_190
; %bb.167:
	s_mov_b32 s2, 0
	s_mov_b32 s3, 0x7ff00000
	v_cmp_neq_f64_e64 s[2:3], |v[18:19]|, s[2:3]
                                        ; implicit-def: $vgpr6_vgpr7
	s_and_saveexec_b64 s[4:5], s[2:3]
	s_xor_b64 s[18:19], exec, s[4:5]
	s_cbranch_execz .LBB221_183
; %bb.168:
	v_max_f64 v[6:7], |v[20:21]|, |v[20:21]|
	v_max_f64 v[8:9], |v[18:19]|, |v[18:19]|
	s_mov_b32 s2, 0x99fcef32
	v_max_f64 v[6:7], v[8:9], v[6:7]
	s_mov_b32 s3, 0x7fda8279
	v_cmp_nle_f64_e64 s[2:3], s[2:3], v[6:7]
                                        ; implicit-def: $sgpr20_sgpr21
	s_and_saveexec_b64 s[4:5], s[2:3]
	s_xor_b64 s[4:5], exec, s[4:5]
	s_cbranch_execz .LBB221_172
; %bb.169:
	s_mov_b32 s20, 0
	s_mov_b32 s21, 0x200000
	v_cmp_le_f64_e64 s[22:23], |v[18:19]|, s[20:21]
	v_cmp_le_f64_e64 s[20:21], |v[20:21]|, s[20:21]
	s_and_b64 s[26:27], s[22:23], s[20:21]
	s_mov_b64 s[20:21], 0
	s_and_saveexec_b64 s[22:23], s[26:27]
; %bb.170:
	s_mov_b64 s[20:21], exec
	v_mul_f64 v[20:21], v[20:21], 4.0
	v_mul_f64 v[18:19], v[18:19], 4.0
; %bb.171:
	s_or_b64 exec, exec, s[22:23]
.LBB221_172:
	s_andn2_saveexec_b64 s[4:5], s[4:5]
; %bb.173:
	v_ldexp_f64 v[18:19], v[18:19], -2
	v_ldexp_f64 v[20:21], v[20:21], -2
	s_andn2_b64 s[20:21], s[20:21], exec
; %bb.174:
	s_or_b64 exec, exec, s[4:5]
	v_max_f64 v[6:7], |v[20:21]|, |v[20:21]|
	v_max_f64 v[8:9], |v[18:19]|, |v[18:19]|
	v_max_f64 v[6:7], v[8:9], v[6:7]
	v_frexp_exp_i32_f64_e32 v27, v[6:7]
	v_sub_u32_e32 v8, 0, v27
	v_ldexp_f64 v[6:7], |v[18:19]|, v8
	v_ldexp_f64 v[8:9], |v[20:21]|, v8
	v_mul_f64 v[8:9], v[8:9], v[8:9]
	v_fmac_f64_e32 v[8:9], v[6:7], v[6:7]
	v_rsq_f64_e32 v[6:7], v[8:9]
	v_cmp_eq_f64_e64 s[4:5], 0, v[8:9]
	s_movk_i32 s7, 0x204
	v_cmp_class_f64_e64 s[22:23], v[20:21], s7
	v_mul_f64 v[22:23], v[8:9], v[6:7]
	v_mul_f64 v[6:7], v[6:7], 0.5
	v_fma_f64 v[24:25], -v[6:7], v[22:23], 0.5
	v_fmac_f64_e32 v[22:23], v[22:23], v[24:25]
	v_fmac_f64_e32 v[6:7], v[6:7], v[24:25]
	v_fma_f64 v[24:25], -v[22:23], v[22:23], v[8:9]
	v_fmac_f64_e32 v[22:23], v[24:25], v[6:7]
	v_cndmask_b32_e64 v7, v23, v9, s[4:5]
	v_cndmask_b32_e64 v6, v22, v8, s[4:5]
	v_ldexp_f64 v[6:7], v[6:7], v27
	v_cmp_o_f64_e64 s[4:5], v[20:21], v[20:21]
	v_mov_b32_e32 v8, 0x7ff80000
	v_cmp_le_f64_e32 vcc, 0, v[18:19]
	v_cndmask_b32_e64 v6, 0, v6, s[4:5]
	v_cndmask_b32_e64 v7, v8, v7, s[4:5]
	v_cmp_class_f64_e64 s[4:5], v[18:19], s7
	v_mov_b32_e32 v8, 0x7ff00000
	s_or_b64 s[4:5], s[22:23], s[4:5]
	v_cndmask_b32_e64 v7, v7, v8, s[4:5]
	v_cndmask_b32_e64 v6, v6, 0, s[4:5]
                                        ; implicit-def: $vgpr8_vgpr9
                                        ; implicit-def: $vgpr22_vgpr23
	s_and_saveexec_b64 s[4:5], vcc
	s_xor_b64 s[4:5], exec, s[4:5]
	s_cbranch_execz .LBB221_176
; %bb.175:
	v_add_f64 v[6:7], v[18:19], v[6:7]
	s_mov_b32 s22, 0
	v_mul_f64 v[6:7], v[6:7], 0.5
	s_brev_b32 s23, 8
	v_mov_b32_e32 v8, 0x100
	v_cmp_gt_f64_e32 vcc, s[22:23], v[6:7]
	s_nop 1
	v_cndmask_b32_e32 v8, 0, v8, vcc
	v_ldexp_f64 v[6:7], v[6:7], v8
	v_rsq_f64_e32 v[8:9], v[6:7]
	s_nop 0
	v_mul_f64 v[18:19], v[6:7], v[8:9]
	v_mul_f64 v[8:9], v[8:9], 0.5
	v_fma_f64 v[22:23], -v[8:9], v[18:19], 0.5
	v_fmac_f64_e32 v[18:19], v[18:19], v[22:23]
	v_fma_f64 v[24:25], -v[18:19], v[18:19], v[6:7]
	v_fmac_f64_e32 v[8:9], v[8:9], v[22:23]
	v_fmac_f64_e32 v[18:19], v[24:25], v[8:9]
	v_fma_f64 v[22:23], -v[18:19], v[18:19], v[6:7]
	v_fmac_f64_e32 v[18:19], v[22:23], v[8:9]
	v_mov_b32_e32 v8, 0xffffff80
	v_cndmask_b32_e32 v8, 0, v8, vcc
	v_ldexp_f64 v[8:9], v[18:19], v8
	v_mov_b32_e32 v18, 0x260
	v_cmp_class_f64_e32 vcc, v[6:7], v18
	s_nop 1
	v_cndmask_b32_e32 v23, v9, v7, vcc
	v_cndmask_b32_e32 v22, v8, v6, vcc
	v_add_f64 v[6:7], v[22:23], v[22:23]
	v_div_scale_f64 v[8:9], s[22:23], v[6:7], v[6:7], v[20:21]
	v_rcp_f64_e32 v[18:19], v[8:9]
	s_nop 0
	v_fma_f64 v[24:25], -v[8:9], v[18:19], 1.0
	v_fmac_f64_e32 v[18:19], v[18:19], v[24:25]
	v_fma_f64 v[24:25], -v[8:9], v[18:19], 1.0
	v_fmac_f64_e32 v[18:19], v[18:19], v[24:25]
	v_div_scale_f64 v[24:25], vcc, v[20:21], v[6:7], v[20:21]
	v_mul_f64 v[28:29], v[24:25], v[18:19]
	v_fma_f64 v[8:9], -v[8:9], v[28:29], v[24:25]
	s_nop 1
	v_div_fmas_f64 v[8:9], v[8:9], v[18:19], v[28:29]
	v_div_fixup_f64 v[8:9], v[8:9], v[6:7], v[20:21]
                                        ; implicit-def: $vgpr6_vgpr7
                                        ; implicit-def: $vgpr18_vgpr19
	s_andn2_saveexec_b64 s[4:5], s[4:5]
	s_cbranch_execz .LBB221_178
	s_branch .LBB221_177
.LBB221_176:
	s_andn2_saveexec_b64 s[4:5], s[4:5]
	s_cbranch_execz .LBB221_178
.LBB221_177:
	v_add_f64 v[6:7], v[6:7], -v[18:19]
	s_mov_b32 s22, 0
	v_mul_f64 v[6:7], v[6:7], 0.5
	s_brev_b32 s23, 8
	v_mov_b32_e32 v8, 0x100
	v_cmp_gt_f64_e32 vcc, s[22:23], v[6:7]
	s_brev_b32 s7, -2
	s_nop 0
	v_cndmask_b32_e32 v8, 0, v8, vcc
	v_ldexp_f64 v[6:7], v[6:7], v8
	v_rsq_f64_e32 v[8:9], v[6:7]
	s_nop 0
	v_mul_f64 v[18:19], v[6:7], v[8:9]
	v_mul_f64 v[8:9], v[8:9], 0.5
	v_fma_f64 v[22:23], -v[8:9], v[18:19], 0.5
	v_fmac_f64_e32 v[18:19], v[18:19], v[22:23]
	v_fma_f64 v[24:25], -v[18:19], v[18:19], v[6:7]
	v_fmac_f64_e32 v[8:9], v[8:9], v[22:23]
	v_fmac_f64_e32 v[18:19], v[24:25], v[8:9]
	v_fma_f64 v[22:23], -v[18:19], v[18:19], v[6:7]
	v_fmac_f64_e32 v[18:19], v[22:23], v[8:9]
	v_mov_b32_e32 v8, 0xffffff80
	v_cndmask_b32_e32 v8, 0, v8, vcc
	v_ldexp_f64 v[8:9], v[18:19], v8
	v_mov_b32_e32 v18, 0x260
	v_cmp_class_f64_e32 vcc, v[6:7], v18
	v_and_b32_e32 v19, 0x7fffffff, v21
	v_mov_b32_e32 v18, v20
	v_cndmask_b32_e32 v9, v9, v7, vcc
	v_cndmask_b32_e32 v8, v8, v6, vcc
	v_add_f64 v[6:7], v[8:9], v[8:9]
	v_div_scale_f64 v[22:23], s[22:23], v[6:7], v[6:7], v[18:19]
	v_rcp_f64_e32 v[24:25], v[22:23]
	v_div_scale_f64 v[18:19], vcc, v[18:19], v[6:7], v[18:19]
	v_bfi_b32 v9, s7, v9, v21
	v_fma_f64 v[28:29], -v[22:23], v[24:25], 1.0
	v_fmac_f64_e32 v[24:25], v[24:25], v[28:29]
	v_fma_f64 v[28:29], -v[22:23], v[24:25], 1.0
	v_fmac_f64_e32 v[24:25], v[24:25], v[28:29]
	v_mul_f64 v[28:29], v[18:19], v[24:25]
	v_fma_f64 v[18:19], -v[22:23], v[28:29], v[18:19]
	v_div_fmas_f64 v[18:19], v[18:19], v[24:25], v[28:29]
	v_div_fixup_f64 v[22:23], v[18:19], v[6:7], |v[20:21]|
.LBB221_178:
	s_or_b64 exec, exec, s[4:5]
                                        ; implicit-def: $vgpr6_vgpr7
                                        ; implicit-def: $vgpr20_vgpr21
	s_and_saveexec_b64 s[4:5], s[2:3]
	s_xor_b64 s[2:3], exec, s[4:5]
	s_cbranch_execz .LBB221_180
; %bb.179:
	v_mul_f64 v[6:7], v[22:23], 0.5
	v_mul_f64 v[18:19], v[8:9], 0.5
	v_cndmask_b32_e64 v7, v23, v7, s[20:21]
	v_cndmask_b32_e64 v6, v22, v6, s[20:21]
	;; [unrolled: 1-line block ×4, first 2 shown]
                                        ; implicit-def: $vgpr22_vgpr23
                                        ; implicit-def: $vgpr8_vgpr9
	s_andn2_saveexec_b64 s[2:3], s[2:3]
	s_cbranch_execnz .LBB221_181
	s_branch .LBB221_182
.LBB221_180:
	s_andn2_saveexec_b64 s[2:3], s[2:3]
.LBB221_181:
	v_add_f64 v[6:7], v[22:23], v[22:23]
	v_add_f64 v[20:21], v[8:9], v[8:9]
.LBB221_182:
	s_or_b64 exec, exec, s[2:3]
.LBB221_183:
	s_andn2_saveexec_b64 s[2:3], s[18:19]
	s_cbranch_execz .LBB221_189
; %bb.184:
	v_add_f64 v[8:9], v[20:21], -v[20:21]
	v_cmp_lt_i64_e32 vcc, -1, v[18:19]
	s_brev_b32 s7, -2
	v_and_b32_e32 v7, 0x7fffffff, v9
	v_mov_b32_e32 v6, v8
	s_and_saveexec_b64 s[4:5], vcc
	s_xor_b64 s[4:5], exec, s[4:5]
; %bb.185:
	v_bfi_b32 v9, s7, v9, v21
	v_mov_b64_e32 v[6:7], v[18:19]
	v_mov_b64_e32 v[20:21], v[8:9]
; %bb.186:
	s_andn2_saveexec_b64 s[4:5], s[4:5]
; %bb.187:
	v_bfi_b32 v19, s7, v19, v21
	v_mov_b64_e32 v[20:21], v[18:19]
; %bb.188:
	s_or_b64 exec, exec, s[4:5]
.LBB221_189:
	s_or_b64 exec, exec, s[2:3]
.LBB221_190:
	s_andn2_saveexec_b64 s[2:3], s[16:17]
	s_cbranch_execz .LBB221_192
; %bb.191:
	v_add_f64 v[6:7], v[20:21], -v[20:21]
	v_div_scale_f64 v[8:9], vcc, v[6:7], v[6:7], v[6:7]
	v_rcp_f64_e32 v[20:21], v[8:9]
	s_nop 0
	v_fma_f64 v[22:23], -v[8:9], v[20:21], 1.0
	v_fmac_f64_e32 v[20:21], v[20:21], v[22:23]
	v_fma_f64 v[22:23], -v[8:9], v[20:21], 1.0
	v_fmac_f64_e32 v[20:21], v[20:21], v[22:23]
	v_mul_f64 v[22:23], v[8:9], v[20:21]
	v_fma_f64 v[8:9], -v[8:9], v[22:23], v[8:9]
	v_div_fmas_f64 v[8:9], v[8:9], v[20:21], v[22:23]
	v_div_fixup_f64 v[20:21], v[8:9], v[6:7], v[6:7]
	v_mov_b64_e32 v[6:7], v[18:19]
.LBB221_192:
	s_or_b64 exec, exec, s[2:3]
.LBB221_193:
	s_or_b64 exec, exec, s[14:15]
.LBB221_194:
	s_or_b64 exec, exec, s[12:13]
	v_mov_b64_e32 v[8:9], v[20:21]
.LBB221_195:
	s_or_b64 exec, exec, s[10:11]
	s_waitcnt vmcnt(0)
	v_or_b32_e32 v18, 0x200, v0
	v_cmp_gt_i32_e32 vcc, s24, v18
	v_mov_b64_e32 v[18:19], 0
	v_mov_b64_e32 v[22:23], 0
	;; [unrolled: 1-line block ×3, first 2 shown]
	s_and_saveexec_b64 s[10:11], vcc
	s_cbranch_execz .LBB221_227
; %bb.196:
	v_cmp_neq_f64_e32 vcc, 0, v[14:15]
	v_cmp_neq_f64_e64 s[2:3], 0, v[16:17]
	v_mov_b64_e32 v[20:21], 0
	s_or_b64 s[2:3], vcc, s[2:3]
	s_and_saveexec_b64 s[12:13], s[2:3]
	s_cbranch_execz .LBB221_226
; %bb.197:
	v_mov_b32_e32 v20, 0
	v_mov_b32_e32 v21, 0x7ff00000
	v_cmp_neq_f64_e64 s[2:3], |v[16:17]|, v[20:21]
	s_and_saveexec_b64 s[14:15], s[2:3]
	s_cbranch_execz .LBB221_225
; %bb.198:
	v_cmp_o_f64_e32 vcc, v[14:15], v[14:15]
                                        ; implicit-def: $vgpr20_vgpr21
	s_and_saveexec_b64 s[2:3], vcc
	s_xor_b64 s[16:17], exec, s[2:3]
	s_cbranch_execz .LBB221_222
; %bb.199:
	s_mov_b32 s2, 0
	s_mov_b32 s3, 0x7ff00000
	v_cmp_neq_f64_e64 s[2:3], |v[14:15]|, s[2:3]
                                        ; implicit-def: $vgpr20_vgpr21
	s_and_saveexec_b64 s[4:5], s[2:3]
	s_xor_b64 s[18:19], exec, s[4:5]
	s_cbranch_execz .LBB221_215
; %bb.200:
	v_max_f64 v[20:21], |v[16:17]|, |v[16:17]|
	v_max_f64 v[22:23], |v[14:15]|, |v[14:15]|
	s_mov_b32 s2, 0x99fcef32
	v_max_f64 v[20:21], v[22:23], v[20:21]
	s_mov_b32 s3, 0x7fda8279
	v_cmp_nle_f64_e64 s[2:3], s[2:3], v[20:21]
                                        ; implicit-def: $sgpr20_sgpr21
	s_and_saveexec_b64 s[4:5], s[2:3]
	s_xor_b64 s[4:5], exec, s[4:5]
	s_cbranch_execz .LBB221_204
; %bb.201:
	s_mov_b32 s20, 0
	s_mov_b32 s21, 0x200000
	v_cmp_le_f64_e64 s[22:23], |v[14:15]|, s[20:21]
	v_cmp_le_f64_e64 s[20:21], |v[16:17]|, s[20:21]
	s_and_b64 s[26:27], s[22:23], s[20:21]
	s_mov_b64 s[20:21], 0
	s_and_saveexec_b64 s[22:23], s[26:27]
; %bb.202:
	s_mov_b64 s[20:21], exec
	v_mul_f64 v[16:17], v[16:17], 4.0
	v_mul_f64 v[14:15], v[14:15], 4.0
; %bb.203:
	s_or_b64 exec, exec, s[22:23]
.LBB221_204:
	s_andn2_saveexec_b64 s[4:5], s[4:5]
; %bb.205:
	v_ldexp_f64 v[14:15], v[14:15], -2
	v_ldexp_f64 v[16:17], v[16:17], -2
	s_andn2_b64 s[20:21], s[20:21], exec
; %bb.206:
	s_or_b64 exec, exec, s[4:5]
	v_max_f64 v[20:21], |v[16:17]|, |v[16:17]|
	v_max_f64 v[22:23], |v[14:15]|, |v[14:15]|
	v_max_f64 v[20:21], v[22:23], v[20:21]
	v_frexp_exp_i32_f64_e32 v27, v[20:21]
	v_sub_u32_e32 v22, 0, v27
	v_ldexp_f64 v[20:21], |v[14:15]|, v22
	v_ldexp_f64 v[22:23], |v[16:17]|, v22
	v_mul_f64 v[22:23], v[22:23], v[22:23]
	v_fmac_f64_e32 v[22:23], v[20:21], v[20:21]
	v_rsq_f64_e32 v[20:21], v[22:23]
	v_cmp_eq_f64_e64 s[4:5], 0, v[22:23]
	s_movk_i32 s7, 0x204
	v_cmp_class_f64_e64 s[22:23], v[16:17], s7
	v_mul_f64 v[24:25], v[22:23], v[20:21]
	v_mul_f64 v[20:21], v[20:21], 0.5
	v_fma_f64 v[28:29], -v[20:21], v[24:25], 0.5
	v_fmac_f64_e32 v[24:25], v[24:25], v[28:29]
	v_fmac_f64_e32 v[20:21], v[20:21], v[28:29]
	v_fma_f64 v[28:29], -v[24:25], v[24:25], v[22:23]
	v_fmac_f64_e32 v[24:25], v[28:29], v[20:21]
	v_cndmask_b32_e64 v21, v25, v23, s[4:5]
	v_cndmask_b32_e64 v20, v24, v22, s[4:5]
	v_ldexp_f64 v[20:21], v[20:21], v27
	v_cmp_o_f64_e64 s[4:5], v[16:17], v[16:17]
	v_mov_b32_e32 v22, 0x7ff80000
	v_cmp_le_f64_e32 vcc, 0, v[14:15]
	v_cndmask_b32_e64 v20, 0, v20, s[4:5]
	v_cndmask_b32_e64 v21, v22, v21, s[4:5]
	v_cmp_class_f64_e64 s[4:5], v[14:15], s7
	v_mov_b32_e32 v22, 0x7ff00000
	s_or_b64 s[4:5], s[22:23], s[4:5]
	v_cndmask_b32_e64 v21, v21, v22, s[4:5]
	v_cndmask_b32_e64 v20, v20, 0, s[4:5]
                                        ; implicit-def: $vgpr22_vgpr23
                                        ; implicit-def: $vgpr24_vgpr25
	s_and_saveexec_b64 s[4:5], vcc
	s_xor_b64 s[4:5], exec, s[4:5]
	s_cbranch_execz .LBB221_208
; %bb.207:
	v_add_f64 v[14:15], v[14:15], v[20:21]
	s_mov_b32 s22, 0
	v_mul_f64 v[14:15], v[14:15], 0.5
	s_brev_b32 s23, 8
	v_mov_b32_e32 v20, 0x100
	v_cmp_gt_f64_e32 vcc, s[22:23], v[14:15]
	s_nop 1
	v_cndmask_b32_e32 v20, 0, v20, vcc
	v_ldexp_f64 v[14:15], v[14:15], v20
	v_rsq_f64_e32 v[20:21], v[14:15]
	s_nop 0
	v_mul_f64 v[22:23], v[14:15], v[20:21]
	v_mul_f64 v[20:21], v[20:21], 0.5
	v_fma_f64 v[24:25], -v[20:21], v[22:23], 0.5
	v_fmac_f64_e32 v[22:23], v[22:23], v[24:25]
	v_fma_f64 v[28:29], -v[22:23], v[22:23], v[14:15]
	v_fmac_f64_e32 v[20:21], v[20:21], v[24:25]
	v_fmac_f64_e32 v[22:23], v[28:29], v[20:21]
	v_fma_f64 v[24:25], -v[22:23], v[22:23], v[14:15]
	v_fmac_f64_e32 v[22:23], v[24:25], v[20:21]
	v_mov_b32_e32 v20, 0xffffff80
	v_cndmask_b32_e32 v20, 0, v20, vcc
	v_ldexp_f64 v[20:21], v[22:23], v20
	v_mov_b32_e32 v22, 0x260
	v_cmp_class_f64_e32 vcc, v[14:15], v22
	s_nop 1
	v_cndmask_b32_e32 v25, v21, v15, vcc
	v_cndmask_b32_e32 v24, v20, v14, vcc
	v_add_f64 v[14:15], v[24:25], v[24:25]
	v_div_scale_f64 v[20:21], s[22:23], v[14:15], v[14:15], v[16:17]
	v_rcp_f64_e32 v[22:23], v[20:21]
	s_nop 0
	v_fma_f64 v[28:29], -v[20:21], v[22:23], 1.0
	v_fmac_f64_e32 v[22:23], v[22:23], v[28:29]
	v_fma_f64 v[28:29], -v[20:21], v[22:23], 1.0
	v_fmac_f64_e32 v[22:23], v[22:23], v[28:29]
	v_div_scale_f64 v[28:29], vcc, v[16:17], v[14:15], v[16:17]
	v_mul_f64 v[30:31], v[28:29], v[22:23]
	v_fma_f64 v[20:21], -v[20:21], v[30:31], v[28:29]
	s_nop 1
	v_div_fmas_f64 v[20:21], v[20:21], v[22:23], v[30:31]
	v_div_fixup_f64 v[22:23], v[20:21], v[14:15], v[16:17]
                                        ; implicit-def: $vgpr20_vgpr21
                                        ; implicit-def: $vgpr14_vgpr15
	s_andn2_saveexec_b64 s[4:5], s[4:5]
	s_cbranch_execz .LBB221_210
	s_branch .LBB221_209
.LBB221_208:
	s_andn2_saveexec_b64 s[4:5], s[4:5]
	s_cbranch_execz .LBB221_210
.LBB221_209:
	v_add_f64 v[14:15], v[20:21], -v[14:15]
	s_mov_b32 s22, 0
	v_mul_f64 v[14:15], v[14:15], 0.5
	s_brev_b32 s23, 8
	v_mov_b32_e32 v20, 0x100
	v_cmp_gt_f64_e32 vcc, s[22:23], v[14:15]
	s_brev_b32 s7, -2
	s_nop 0
	v_cndmask_b32_e32 v20, 0, v20, vcc
	v_ldexp_f64 v[14:15], v[14:15], v20
	v_rsq_f64_e32 v[20:21], v[14:15]
	s_nop 0
	v_mul_f64 v[22:23], v[14:15], v[20:21]
	v_mul_f64 v[20:21], v[20:21], 0.5
	v_fma_f64 v[24:25], -v[20:21], v[22:23], 0.5
	v_fmac_f64_e32 v[22:23], v[22:23], v[24:25]
	v_fma_f64 v[28:29], -v[22:23], v[22:23], v[14:15]
	v_fmac_f64_e32 v[20:21], v[20:21], v[24:25]
	v_fmac_f64_e32 v[22:23], v[28:29], v[20:21]
	v_fma_f64 v[24:25], -v[22:23], v[22:23], v[14:15]
	v_fmac_f64_e32 v[22:23], v[24:25], v[20:21]
	v_mov_b32_e32 v20, 0xffffff80
	v_cndmask_b32_e32 v20, 0, v20, vcc
	v_ldexp_f64 v[20:21], v[22:23], v20
	v_mov_b32_e32 v22, 0x260
	v_cmp_class_f64_e32 vcc, v[14:15], v22
	s_nop 1
	v_cndmask_b32_e32 v23, v21, v15, vcc
	v_cndmask_b32_e32 v22, v20, v14, vcc
	v_add_f64 v[14:15], v[22:23], v[22:23]
	v_and_b32_e32 v21, 0x7fffffff, v17
	v_mov_b32_e32 v20, v16
	v_div_scale_f64 v[24:25], s[22:23], v[14:15], v[14:15], v[20:21]
	v_rcp_f64_e32 v[28:29], v[24:25]
	v_div_scale_f64 v[20:21], vcc, v[20:21], v[14:15], v[20:21]
	v_bfi_b32 v23, s7, v23, v17
	v_fma_f64 v[30:31], -v[24:25], v[28:29], 1.0
	v_fmac_f64_e32 v[28:29], v[28:29], v[30:31]
	v_fma_f64 v[30:31], -v[24:25], v[28:29], 1.0
	v_fmac_f64_e32 v[28:29], v[28:29], v[30:31]
	v_mul_f64 v[30:31], v[20:21], v[28:29]
	v_fma_f64 v[20:21], -v[24:25], v[30:31], v[20:21]
	v_div_fmas_f64 v[20:21], v[20:21], v[28:29], v[30:31]
	v_div_fixup_f64 v[24:25], v[20:21], v[14:15], |v[16:17]|
.LBB221_210:
	s_or_b64 exec, exec, s[4:5]
                                        ; implicit-def: $vgpr20_vgpr21
                                        ; implicit-def: $vgpr16_vgpr17
	s_and_saveexec_b64 s[4:5], s[2:3]
	s_xor_b64 s[2:3], exec, s[4:5]
	s_cbranch_execz .LBB221_212
; %bb.211:
	v_mul_f64 v[14:15], v[24:25], 0.5
	v_mul_f64 v[16:17], v[22:23], 0.5
	v_cndmask_b32_e64 v21, v25, v15, s[20:21]
	v_cndmask_b32_e64 v20, v24, v14, s[20:21]
	;; [unrolled: 1-line block ×4, first 2 shown]
                                        ; implicit-def: $vgpr24_vgpr25
                                        ; implicit-def: $vgpr22_vgpr23
	s_andn2_saveexec_b64 s[2:3], s[2:3]
	s_cbranch_execnz .LBB221_213
	s_branch .LBB221_214
.LBB221_212:
	s_andn2_saveexec_b64 s[2:3], s[2:3]
.LBB221_213:
	v_add_f64 v[20:21], v[24:25], v[24:25]
	v_add_f64 v[16:17], v[22:23], v[22:23]
.LBB221_214:
	s_or_b64 exec, exec, s[2:3]
.LBB221_215:
	s_andn2_saveexec_b64 s[2:3], s[18:19]
	s_cbranch_execz .LBB221_221
; %bb.216:
	v_add_f64 v[22:23], v[16:17], -v[16:17]
	v_cmp_lt_i64_e32 vcc, -1, v[14:15]
	s_brev_b32 s7, -2
	v_and_b32_e32 v21, 0x7fffffff, v23
	v_mov_b32_e32 v20, v22
	s_and_saveexec_b64 s[4:5], vcc
	s_xor_b64 s[4:5], exec, s[4:5]
; %bb.217:
	v_bfi_b32 v23, s7, v23, v17
	v_mov_b64_e32 v[20:21], v[14:15]
	v_mov_b64_e32 v[16:17], v[22:23]
; %bb.218:
	s_andn2_saveexec_b64 s[4:5], s[4:5]
; %bb.219:
	v_bfi_b32 v15, s7, v15, v17
	v_mov_b64_e32 v[16:17], v[14:15]
; %bb.220:
	s_or_b64 exec, exec, s[4:5]
.LBB221_221:
	s_or_b64 exec, exec, s[2:3]
.LBB221_222:
	s_andn2_saveexec_b64 s[2:3], s[16:17]
	s_cbranch_execz .LBB221_224
; %bb.223:
	v_add_f64 v[16:17], v[16:17], -v[16:17]
	v_div_scale_f64 v[20:21], vcc, v[16:17], v[16:17], v[16:17]
	v_rcp_f64_e32 v[22:23], v[20:21]
	s_nop 0
	v_fma_f64 v[24:25], -v[20:21], v[22:23], 1.0
	v_fmac_f64_e32 v[22:23], v[22:23], v[24:25]
	v_fma_f64 v[24:25], -v[20:21], v[22:23], 1.0
	v_fmac_f64_e32 v[22:23], v[22:23], v[24:25]
	v_mul_f64 v[24:25], v[20:21], v[22:23]
	v_fma_f64 v[20:21], -v[20:21], v[24:25], v[20:21]
	v_div_fmas_f64 v[20:21], v[20:21], v[22:23], v[24:25]
	v_div_fixup_f64 v[16:17], v[20:21], v[16:17], v[16:17]
	v_mov_b64_e32 v[20:21], v[14:15]
.LBB221_224:
	s_or_b64 exec, exec, s[2:3]
.LBB221_225:
	s_or_b64 exec, exec, s[14:15]
.LBB221_226:
	s_or_b64 exec, exec, s[12:13]
	v_mov_b64_e32 v[22:23], v[16:17]
.LBB221_227:
	s_or_b64 exec, exec, s[10:11]
	v_or_b32_e32 v14, 0x300, v0
	v_cmp_gt_i32_e32 vcc, s24, v14
	v_mov_b64_e32 v[16:17], 0
	s_and_saveexec_b64 s[10:11], vcc
	s_cbranch_execz .LBB221_240
; %bb.228:
	v_cmp_neq_f64_e32 vcc, 0, v[2:3]
	v_cmp_neq_f64_e64 s[2:3], 0, v[4:5]
	v_mov_b64_e32 v[16:17], 0
	s_or_b64 s[2:3], vcc, s[2:3]
	s_and_saveexec_b64 s[12:13], s[2:3]
	s_cbranch_execz .LBB221_262
; %bb.229:
	v_mov_b32_e32 v16, 0
	v_mov_b32_e32 v17, 0x7ff00000
	v_cmp_neq_f64_e64 s[2:3], |v[4:5]|, v[16:17]
	s_and_saveexec_b64 s[14:15], s[2:3]
	s_cbranch_execz .LBB221_261
; %bb.230:
	v_cmp_o_f64_e32 vcc, v[2:3], v[2:3]
                                        ; implicit-def: $vgpr16_vgpr17
	s_and_saveexec_b64 s[2:3], vcc
	s_xor_b64 s[16:17], exec, s[2:3]
	s_cbranch_execz .LBB221_258
; %bb.231:
	s_mov_b32 s2, 0
	s_mov_b32 s3, 0x7ff00000
	v_cmp_neq_f64_e64 s[2:3], |v[2:3]|, s[2:3]
                                        ; implicit-def: $vgpr16_vgpr17
	s_and_saveexec_b64 s[4:5], s[2:3]
	s_xor_b64 s[18:19], exec, s[4:5]
	s_cbranch_execz .LBB221_251
; %bb.232:
	v_max_f64 v[14:15], |v[4:5]|, |v[4:5]|
	v_max_f64 v[16:17], |v[2:3]|, |v[2:3]|
	s_mov_b32 s2, 0x99fcef32
	v_max_f64 v[14:15], v[16:17], v[14:15]
	s_mov_b32 s3, 0x7fda8279
	v_cmp_nle_f64_e64 s[2:3], s[2:3], v[14:15]
                                        ; implicit-def: $sgpr20_sgpr21
	s_and_saveexec_b64 s[4:5], s[2:3]
	s_xor_b64 s[4:5], exec, s[4:5]
	s_cbranch_execz .LBB221_236
; %bb.233:
	s_mov_b32 s20, 0
	s_mov_b32 s21, 0x200000
	v_cmp_le_f64_e64 s[22:23], |v[2:3]|, s[20:21]
	v_cmp_le_f64_e64 s[20:21], |v[4:5]|, s[20:21]
	s_and_b64 s[26:27], s[22:23], s[20:21]
	s_mov_b64 s[20:21], 0
	s_and_saveexec_b64 s[22:23], s[26:27]
; %bb.234:
	s_mov_b64 s[20:21], exec
	v_mul_f64 v[4:5], v[4:5], 4.0
	v_mul_f64 v[2:3], v[2:3], 4.0
; %bb.235:
	s_or_b64 exec, exec, s[22:23]
.LBB221_236:
	s_andn2_saveexec_b64 s[4:5], s[4:5]
; %bb.237:
	v_ldexp_f64 v[2:3], v[2:3], -2
	v_ldexp_f64 v[4:5], v[4:5], -2
	s_andn2_b64 s[20:21], s[20:21], exec
; %bb.238:
	s_or_b64 exec, exec, s[4:5]
	v_max_f64 v[14:15], |v[4:5]|, |v[4:5]|
	v_max_f64 v[16:17], |v[2:3]|, |v[2:3]|
	v_max_f64 v[14:15], v[16:17], v[14:15]
	v_frexp_exp_i32_f64_e32 v27, v[14:15]
	v_sub_u32_e32 v16, 0, v27
	v_ldexp_f64 v[14:15], |v[2:3]|, v16
	v_ldexp_f64 v[16:17], |v[4:5]|, v16
	v_mul_f64 v[16:17], v[16:17], v[16:17]
	v_fmac_f64_e32 v[16:17], v[14:15], v[14:15]
	v_rsq_f64_e32 v[14:15], v[16:17]
	v_cmp_eq_f64_e64 s[4:5], 0, v[16:17]
	s_movk_i32 s7, 0x204
	v_cmp_class_f64_e64 s[22:23], v[4:5], s7
	v_mul_f64 v[18:19], v[16:17], v[14:15]
	v_mul_f64 v[14:15], v[14:15], 0.5
	v_fma_f64 v[24:25], -v[14:15], v[18:19], 0.5
	v_fmac_f64_e32 v[18:19], v[18:19], v[24:25]
	v_fmac_f64_e32 v[14:15], v[14:15], v[24:25]
	v_fma_f64 v[24:25], -v[18:19], v[18:19], v[16:17]
	v_fmac_f64_e32 v[18:19], v[24:25], v[14:15]
	v_cndmask_b32_e64 v15, v19, v17, s[4:5]
	v_cndmask_b32_e64 v14, v18, v16, s[4:5]
	v_ldexp_f64 v[14:15], v[14:15], v27
	v_cmp_o_f64_e64 s[4:5], v[4:5], v[4:5]
	v_mov_b32_e32 v16, 0x7ff80000
	v_cmp_le_f64_e32 vcc, 0, v[2:3]
	v_cndmask_b32_e64 v14, 0, v14, s[4:5]
	v_cndmask_b32_e64 v15, v16, v15, s[4:5]
	v_cmp_class_f64_e64 s[4:5], v[2:3], s7
	v_mov_b32_e32 v16, 0x7ff00000
	s_or_b64 s[4:5], s[22:23], s[4:5]
	v_cndmask_b32_e64 v17, v15, v16, s[4:5]
	v_cndmask_b32_e64 v16, v14, 0, s[4:5]
                                        ; implicit-def: $vgpr14_vgpr15
                                        ; implicit-def: $vgpr18_vgpr19
	s_and_saveexec_b64 s[4:5], vcc
	s_xor_b64 s[4:5], exec, s[4:5]
	s_cbranch_execz .LBB221_244
; %bb.239:
	v_add_f64 v[2:3], v[2:3], v[16:17]
	s_mov_b32 s22, 0
	v_mul_f64 v[2:3], v[2:3], 0.5
	s_brev_b32 s23, 8
	v_mov_b32_e32 v14, 0x100
	v_cmp_gt_f64_e32 vcc, s[22:23], v[2:3]
	s_nop 1
	v_cndmask_b32_e32 v14, 0, v14, vcc
	v_ldexp_f64 v[2:3], v[2:3], v14
	v_rsq_f64_e32 v[14:15], v[2:3]
	s_nop 0
	v_mul_f64 v[16:17], v[2:3], v[14:15]
	v_mul_f64 v[14:15], v[14:15], 0.5
	v_fma_f64 v[18:19], -v[14:15], v[16:17], 0.5
	v_fmac_f64_e32 v[16:17], v[16:17], v[18:19]
	v_fma_f64 v[24:25], -v[16:17], v[16:17], v[2:3]
	v_fmac_f64_e32 v[14:15], v[14:15], v[18:19]
	v_fmac_f64_e32 v[16:17], v[24:25], v[14:15]
	v_fma_f64 v[18:19], -v[16:17], v[16:17], v[2:3]
	v_fmac_f64_e32 v[16:17], v[18:19], v[14:15]
	v_mov_b32_e32 v14, 0xffffff80
	v_cndmask_b32_e32 v14, 0, v14, vcc
	v_ldexp_f64 v[14:15], v[16:17], v14
	v_mov_b32_e32 v16, 0x260
	v_cmp_class_f64_e32 vcc, v[2:3], v16
	s_nop 1
	v_cndmask_b32_e32 v19, v15, v3, vcc
	v_cndmask_b32_e32 v18, v14, v2, vcc
	v_add_f64 v[2:3], v[18:19], v[18:19]
	v_div_scale_f64 v[14:15], s[22:23], v[2:3], v[2:3], v[4:5]
	v_rcp_f64_e32 v[16:17], v[14:15]
	s_nop 0
	v_fma_f64 v[24:25], -v[14:15], v[16:17], 1.0
	v_fmac_f64_e32 v[16:17], v[16:17], v[24:25]
	v_fma_f64 v[24:25], -v[14:15], v[16:17], 1.0
	v_fmac_f64_e32 v[16:17], v[16:17], v[24:25]
	v_div_scale_f64 v[24:25], vcc, v[4:5], v[2:3], v[4:5]
	v_mul_f64 v[28:29], v[24:25], v[16:17]
	v_fma_f64 v[14:15], -v[14:15], v[28:29], v[24:25]
	s_nop 1
	v_div_fmas_f64 v[14:15], v[14:15], v[16:17], v[28:29]
	v_div_fixup_f64 v[14:15], v[14:15], v[2:3], v[4:5]
                                        ; implicit-def: $vgpr16_vgpr17
                                        ; implicit-def: $vgpr2_vgpr3
	s_andn2_saveexec_b64 s[4:5], s[4:5]
	s_cbranch_execz .LBB221_246
	s_branch .LBB221_245
.LBB221_240:
	s_or_b64 exec, exec, s[10:11]
	s_and_saveexec_b64 s[2:3], s[0:1]
	s_xor_b64 s[0:1], exec, s[2:3]
	s_cbranch_execz .LBB221_263
.LBB221_241:
	v_mov_b32_e32 v27, 0
	v_lshl_add_u64 v[2:3], v[26:27], 4, s[8:9]
	v_mov_b32_e32 v0, v1
	global_store_dwordx4 v[2:3], v[10:13], off
	s_or_b64 exec, exec, s[0:1]
	v_cmp_gt_i32_e32 vcc, s24, v0
	s_and_saveexec_b64 s[0:1], vcc
	s_cbranch_execnz .LBB221_264
.LBB221_242:
	s_or_b64 exec, exec, s[0:1]
	v_cmp_gt_i32_e32 vcc, s24, v0
	s_and_saveexec_b64 s[0:1], vcc
	s_cbranch_execz .LBB221_265
.LBB221_243:
	v_add_u32_e32 v2, s6, v0
	v_mov_b32_e32 v3, 0
	v_lshl_add_u64 v[2:3], v[2:3], 4, s[8:9]
	v_add_u32_e32 v0, 0x100, v0
	global_store_dwordx4 v[2:3], v[20:23], off
	s_or_b64 exec, exec, s[0:1]
	v_cmp_gt_i32_e32 vcc, s24, v0
	s_and_saveexec_b64 s[0:1], vcc
	s_cbranch_execnz .LBB221_266
	s_branch .LBB221_267
.LBB221_244:
	s_andn2_saveexec_b64 s[4:5], s[4:5]
	s_cbranch_execz .LBB221_246
.LBB221_245:
	v_add_f64 v[2:3], v[16:17], -v[2:3]
	s_mov_b32 s22, 0
	v_mul_f64 v[2:3], v[2:3], 0.5
	s_brev_b32 s23, 8
	v_mov_b32_e32 v14, 0x100
	v_cmp_gt_f64_e32 vcc, s[22:23], v[2:3]
	s_brev_b32 s7, -2
	s_nop 0
	v_cndmask_b32_e32 v14, 0, v14, vcc
	v_ldexp_f64 v[2:3], v[2:3], v14
	v_rsq_f64_e32 v[14:15], v[2:3]
	s_nop 0
	v_mul_f64 v[16:17], v[2:3], v[14:15]
	v_mul_f64 v[14:15], v[14:15], 0.5
	v_fma_f64 v[18:19], -v[14:15], v[16:17], 0.5
	v_fmac_f64_e32 v[16:17], v[16:17], v[18:19]
	v_fma_f64 v[24:25], -v[16:17], v[16:17], v[2:3]
	v_fmac_f64_e32 v[14:15], v[14:15], v[18:19]
	v_fmac_f64_e32 v[16:17], v[24:25], v[14:15]
	v_fma_f64 v[18:19], -v[16:17], v[16:17], v[2:3]
	v_fmac_f64_e32 v[16:17], v[18:19], v[14:15]
	v_mov_b32_e32 v14, 0xffffff80
	v_cndmask_b32_e32 v14, 0, v14, vcc
	v_ldexp_f64 v[14:15], v[16:17], v14
	v_mov_b32_e32 v16, 0x260
	v_cmp_class_f64_e32 vcc, v[2:3], v16
	v_and_b32_e32 v17, 0x7fffffff, v5
	v_mov_b32_e32 v16, v4
	v_cndmask_b32_e32 v15, v15, v3, vcc
	v_cndmask_b32_e32 v14, v14, v2, vcc
	v_add_f64 v[2:3], v[14:15], v[14:15]
	v_div_scale_f64 v[18:19], s[22:23], v[2:3], v[2:3], v[16:17]
	v_rcp_f64_e32 v[24:25], v[18:19]
	v_div_scale_f64 v[16:17], vcc, v[16:17], v[2:3], v[16:17]
	v_bfi_b32 v15, s7, v15, v5
	v_fma_f64 v[28:29], -v[18:19], v[24:25], 1.0
	v_fmac_f64_e32 v[24:25], v[24:25], v[28:29]
	v_fma_f64 v[28:29], -v[18:19], v[24:25], 1.0
	v_fmac_f64_e32 v[24:25], v[24:25], v[28:29]
	v_mul_f64 v[28:29], v[16:17], v[24:25]
	v_fma_f64 v[16:17], -v[18:19], v[28:29], v[16:17]
	v_div_fmas_f64 v[16:17], v[16:17], v[24:25], v[28:29]
	v_div_fixup_f64 v[18:19], v[16:17], v[2:3], |v[4:5]|
.LBB221_246:
	s_or_b64 exec, exec, s[4:5]
                                        ; implicit-def: $vgpr16_vgpr17
                                        ; implicit-def: $vgpr4_vgpr5
	s_and_saveexec_b64 s[4:5], s[2:3]
	s_xor_b64 s[2:3], exec, s[4:5]
	s_cbranch_execz .LBB221_248
; %bb.247:
	v_mul_f64 v[2:3], v[18:19], 0.5
	v_mul_f64 v[4:5], v[14:15], 0.5
	v_cndmask_b32_e64 v17, v19, v3, s[20:21]
	v_cndmask_b32_e64 v16, v18, v2, s[20:21]
	;; [unrolled: 1-line block ×4, first 2 shown]
                                        ; implicit-def: $vgpr18_vgpr19
                                        ; implicit-def: $vgpr14_vgpr15
	s_andn2_saveexec_b64 s[2:3], s[2:3]
	s_cbranch_execnz .LBB221_249
	s_branch .LBB221_250
.LBB221_248:
	s_andn2_saveexec_b64 s[2:3], s[2:3]
.LBB221_249:
	v_add_f64 v[16:17], v[18:19], v[18:19]
	v_add_f64 v[4:5], v[14:15], v[14:15]
.LBB221_250:
	s_or_b64 exec, exec, s[2:3]
.LBB221_251:
	s_andn2_saveexec_b64 s[2:3], s[18:19]
	s_cbranch_execz .LBB221_257
; %bb.252:
	v_add_f64 v[14:15], v[4:5], -v[4:5]
	v_cmp_lt_i64_e32 vcc, -1, v[2:3]
	s_brev_b32 s7, -2
	v_and_b32_e32 v17, 0x7fffffff, v15
	v_mov_b32_e32 v16, v14
	s_and_saveexec_b64 s[4:5], vcc
	s_xor_b64 s[4:5], exec, s[4:5]
; %bb.253:
	v_bfi_b32 v15, s7, v15, v5
	v_mov_b64_e32 v[16:17], v[2:3]
	v_mov_b64_e32 v[4:5], v[14:15]
; %bb.254:
	s_andn2_saveexec_b64 s[4:5], s[4:5]
; %bb.255:
	v_bfi_b32 v3, s7, v3, v5
	v_mov_b64_e32 v[4:5], v[2:3]
; %bb.256:
	s_or_b64 exec, exec, s[4:5]
.LBB221_257:
	s_or_b64 exec, exec, s[2:3]
.LBB221_258:
	s_andn2_saveexec_b64 s[2:3], s[16:17]
	s_cbranch_execz .LBB221_260
; %bb.259:
	v_add_f64 v[4:5], v[4:5], -v[4:5]
	v_div_scale_f64 v[14:15], vcc, v[4:5], v[4:5], v[4:5]
	v_rcp_f64_e32 v[16:17], v[14:15]
	s_nop 0
	v_fma_f64 v[18:19], -v[14:15], v[16:17], 1.0
	v_fmac_f64_e32 v[16:17], v[16:17], v[18:19]
	v_fma_f64 v[18:19], -v[14:15], v[16:17], 1.0
	v_fmac_f64_e32 v[16:17], v[16:17], v[18:19]
	v_mul_f64 v[18:19], v[14:15], v[16:17]
	v_fma_f64 v[14:15], -v[14:15], v[18:19], v[14:15]
	v_div_fmas_f64 v[14:15], v[14:15], v[16:17], v[18:19]
	v_div_fixup_f64 v[4:5], v[14:15], v[4:5], v[4:5]
	v_mov_b64_e32 v[16:17], v[2:3]
.LBB221_260:
	s_or_b64 exec, exec, s[2:3]
.LBB221_261:
	s_or_b64 exec, exec, s[14:15]
.LBB221_262:
	s_or_b64 exec, exec, s[12:13]
	v_mov_b64_e32 v[18:19], v[4:5]
	s_or_b64 exec, exec, s[10:11]
	s_and_saveexec_b64 s[2:3], s[0:1]
	s_xor_b64 s[0:1], exec, s[2:3]
	s_cbranch_execnz .LBB221_241
.LBB221_263:
	s_or_b64 exec, exec, s[0:1]
	v_cmp_gt_i32_e32 vcc, s24, v0
	s_and_saveexec_b64 s[0:1], vcc
	s_cbranch_execz .LBB221_242
.LBB221_264:
	v_add_u32_e32 v2, s6, v0
	v_mov_b32_e32 v3, 0
	v_lshl_add_u64 v[2:3], v[2:3], 4, s[8:9]
	v_add_u32_e32 v0, 0x100, v0
	global_store_dwordx4 v[2:3], v[6:9], off
	s_or_b64 exec, exec, s[0:1]
	v_cmp_gt_i32_e32 vcc, s24, v0
	s_and_saveexec_b64 s[0:1], vcc
	s_cbranch_execnz .LBB221_243
.LBB221_265:
	s_or_b64 exec, exec, s[0:1]
	v_cmp_gt_i32_e32 vcc, s24, v0
	s_and_saveexec_b64 s[0:1], vcc
	s_cbranch_execz .LBB221_267
.LBB221_266:
	v_add_u32_e32 v0, s6, v0
	v_mov_b32_e32 v1, 0
	v_lshl_add_u64 v[0:1], v[0:1], 4, s[8:9]
	global_store_dwordx4 v[0:1], v[16:19], off
.LBB221_267:
	s_endpgm
	.section	.rodata,"a",@progbits
	.p2align	6, 0x0
	.amdhsa_kernel _ZN2at6native29vectorized_elementwise_kernelILi2EZZZNS0_16sqrt_kernel_cudaERNS_18TensorIteratorBaseEENKUlvE_clEvENKUlvE_clEvEUlN3c107complexIdEEE_St5arrayIPcLm2EEEEviT0_T1_
		.amdhsa_group_segment_fixed_size 0
		.amdhsa_private_segment_fixed_size 0
		.amdhsa_kernarg_size 24
		.amdhsa_user_sgpr_count 2
		.amdhsa_user_sgpr_dispatch_ptr 0
		.amdhsa_user_sgpr_queue_ptr 0
		.amdhsa_user_sgpr_kernarg_segment_ptr 1
		.amdhsa_user_sgpr_dispatch_id 0
		.amdhsa_user_sgpr_kernarg_preload_length 0
		.amdhsa_user_sgpr_kernarg_preload_offset 0
		.amdhsa_user_sgpr_private_segment_size 0
		.amdhsa_uses_dynamic_stack 0
		.amdhsa_enable_private_segment 0
		.amdhsa_system_sgpr_workgroup_id_x 1
		.amdhsa_system_sgpr_workgroup_id_y 0
		.amdhsa_system_sgpr_workgroup_id_z 0
		.amdhsa_system_sgpr_workgroup_info 0
		.amdhsa_system_vgpr_workitem_id 0
		.amdhsa_next_free_vgpr 32
		.amdhsa_next_free_sgpr 28
		.amdhsa_accum_offset 32
		.amdhsa_reserve_vcc 1
		.amdhsa_float_round_mode_32 0
		.amdhsa_float_round_mode_16_64 0
		.amdhsa_float_denorm_mode_32 3
		.amdhsa_float_denorm_mode_16_64 3
		.amdhsa_dx10_clamp 1
		.amdhsa_ieee_mode 1
		.amdhsa_fp16_overflow 0
		.amdhsa_tg_split 0
		.amdhsa_exception_fp_ieee_invalid_op 0
		.amdhsa_exception_fp_denorm_src 0
		.amdhsa_exception_fp_ieee_div_zero 0
		.amdhsa_exception_fp_ieee_overflow 0
		.amdhsa_exception_fp_ieee_underflow 0
		.amdhsa_exception_fp_ieee_inexact 0
		.amdhsa_exception_int_div_zero 0
	.end_amdhsa_kernel
	.section	.text._ZN2at6native29vectorized_elementwise_kernelILi2EZZZNS0_16sqrt_kernel_cudaERNS_18TensorIteratorBaseEENKUlvE_clEvENKUlvE_clEvEUlN3c107complexIdEEE_St5arrayIPcLm2EEEEviT0_T1_,"axG",@progbits,_ZN2at6native29vectorized_elementwise_kernelILi2EZZZNS0_16sqrt_kernel_cudaERNS_18TensorIteratorBaseEENKUlvE_clEvENKUlvE_clEvEUlN3c107complexIdEEE_St5arrayIPcLm2EEEEviT0_T1_,comdat
.Lfunc_end221:
	.size	_ZN2at6native29vectorized_elementwise_kernelILi2EZZZNS0_16sqrt_kernel_cudaERNS_18TensorIteratorBaseEENKUlvE_clEvENKUlvE_clEvEUlN3c107complexIdEEE_St5arrayIPcLm2EEEEviT0_T1_, .Lfunc_end221-_ZN2at6native29vectorized_elementwise_kernelILi2EZZZNS0_16sqrt_kernel_cudaERNS_18TensorIteratorBaseEENKUlvE_clEvENKUlvE_clEvEUlN3c107complexIdEEE_St5arrayIPcLm2EEEEviT0_T1_
                                        ; -- End function
	.set _ZN2at6native29vectorized_elementwise_kernelILi2EZZZNS0_16sqrt_kernel_cudaERNS_18TensorIteratorBaseEENKUlvE_clEvENKUlvE_clEvEUlN3c107complexIdEEE_St5arrayIPcLm2EEEEviT0_T1_.num_vgpr, 32
	.set _ZN2at6native29vectorized_elementwise_kernelILi2EZZZNS0_16sqrt_kernel_cudaERNS_18TensorIteratorBaseEENKUlvE_clEvENKUlvE_clEvEUlN3c107complexIdEEE_St5arrayIPcLm2EEEEviT0_T1_.num_agpr, 0
	.set _ZN2at6native29vectorized_elementwise_kernelILi2EZZZNS0_16sqrt_kernel_cudaERNS_18TensorIteratorBaseEENKUlvE_clEvENKUlvE_clEvEUlN3c107complexIdEEE_St5arrayIPcLm2EEEEviT0_T1_.numbered_sgpr, 28
	.set _ZN2at6native29vectorized_elementwise_kernelILi2EZZZNS0_16sqrt_kernel_cudaERNS_18TensorIteratorBaseEENKUlvE_clEvENKUlvE_clEvEUlN3c107complexIdEEE_St5arrayIPcLm2EEEEviT0_T1_.num_named_barrier, 0
	.set _ZN2at6native29vectorized_elementwise_kernelILi2EZZZNS0_16sqrt_kernel_cudaERNS_18TensorIteratorBaseEENKUlvE_clEvENKUlvE_clEvEUlN3c107complexIdEEE_St5arrayIPcLm2EEEEviT0_T1_.private_seg_size, 0
	.set _ZN2at6native29vectorized_elementwise_kernelILi2EZZZNS0_16sqrt_kernel_cudaERNS_18TensorIteratorBaseEENKUlvE_clEvENKUlvE_clEvEUlN3c107complexIdEEE_St5arrayIPcLm2EEEEviT0_T1_.uses_vcc, 1
	.set _ZN2at6native29vectorized_elementwise_kernelILi2EZZZNS0_16sqrt_kernel_cudaERNS_18TensorIteratorBaseEENKUlvE_clEvENKUlvE_clEvEUlN3c107complexIdEEE_St5arrayIPcLm2EEEEviT0_T1_.uses_flat_scratch, 0
	.set _ZN2at6native29vectorized_elementwise_kernelILi2EZZZNS0_16sqrt_kernel_cudaERNS_18TensorIteratorBaseEENKUlvE_clEvENKUlvE_clEvEUlN3c107complexIdEEE_St5arrayIPcLm2EEEEviT0_T1_.has_dyn_sized_stack, 0
	.set _ZN2at6native29vectorized_elementwise_kernelILi2EZZZNS0_16sqrt_kernel_cudaERNS_18TensorIteratorBaseEENKUlvE_clEvENKUlvE_clEvEUlN3c107complexIdEEE_St5arrayIPcLm2EEEEviT0_T1_.has_recursion, 0
	.set _ZN2at6native29vectorized_elementwise_kernelILi2EZZZNS0_16sqrt_kernel_cudaERNS_18TensorIteratorBaseEENKUlvE_clEvENKUlvE_clEvEUlN3c107complexIdEEE_St5arrayIPcLm2EEEEviT0_T1_.has_indirect_call, 0
	.section	.AMDGPU.csdata,"",@progbits
; Kernel info:
; codeLenInByte = 11396
; TotalNumSgprs: 34
; NumVgprs: 32
; NumAgprs: 0
; TotalNumVgprs: 32
; ScratchSize: 0
; MemoryBound: 0
; FloatMode: 240
; IeeeMode: 1
; LDSByteSize: 0 bytes/workgroup (compile time only)
; SGPRBlocks: 4
; VGPRBlocks: 3
; NumSGPRsForWavesPerEU: 34
; NumVGPRsForWavesPerEU: 32
; AccumOffset: 32
; Occupancy: 8
; WaveLimiterHint : 1
; COMPUTE_PGM_RSRC2:SCRATCH_EN: 0
; COMPUTE_PGM_RSRC2:USER_SGPR: 2
; COMPUTE_PGM_RSRC2:TRAP_HANDLER: 0
; COMPUTE_PGM_RSRC2:TGID_X_EN: 1
; COMPUTE_PGM_RSRC2:TGID_Y_EN: 0
; COMPUTE_PGM_RSRC2:TGID_Z_EN: 0
; COMPUTE_PGM_RSRC2:TIDIG_COMP_CNT: 0
; COMPUTE_PGM_RSRC3_GFX90A:ACCUM_OFFSET: 7
; COMPUTE_PGM_RSRC3_GFX90A:TG_SPLIT: 0
	.section	.text._ZN2at6native27unrolled_elementwise_kernelIZZZNS0_16sqrt_kernel_cudaERNS_18TensorIteratorBaseEENKUlvE_clEvENKUlvE_clEvEUlN3c107complexIdEEE_St5arrayIPcLm2EELi4E23TrivialOffsetCalculatorILi1EjESE_NS0_6memory15LoadWithoutCastENSF_16StoreWithoutCastEEEviT_T0_T2_T3_T4_T5_,"axG",@progbits,_ZN2at6native27unrolled_elementwise_kernelIZZZNS0_16sqrt_kernel_cudaERNS_18TensorIteratorBaseEENKUlvE_clEvENKUlvE_clEvEUlN3c107complexIdEEE_St5arrayIPcLm2EELi4E23TrivialOffsetCalculatorILi1EjESE_NS0_6memory15LoadWithoutCastENSF_16StoreWithoutCastEEEviT_T0_T2_T3_T4_T5_,comdat
	.globl	_ZN2at6native27unrolled_elementwise_kernelIZZZNS0_16sqrt_kernel_cudaERNS_18TensorIteratorBaseEENKUlvE_clEvENKUlvE_clEvEUlN3c107complexIdEEE_St5arrayIPcLm2EELi4E23TrivialOffsetCalculatorILi1EjESE_NS0_6memory15LoadWithoutCastENSF_16StoreWithoutCastEEEviT_T0_T2_T3_T4_T5_ ; -- Begin function _ZN2at6native27unrolled_elementwise_kernelIZZZNS0_16sqrt_kernel_cudaERNS_18TensorIteratorBaseEENKUlvE_clEvENKUlvE_clEvEUlN3c107complexIdEEE_St5arrayIPcLm2EELi4E23TrivialOffsetCalculatorILi1EjESE_NS0_6memory15LoadWithoutCastENSF_16StoreWithoutCastEEEviT_T0_T2_T3_T4_T5_
	.p2align	8
	.type	_ZN2at6native27unrolled_elementwise_kernelIZZZNS0_16sqrt_kernel_cudaERNS_18TensorIteratorBaseEENKUlvE_clEvENKUlvE_clEvEUlN3c107complexIdEEE_St5arrayIPcLm2EELi4E23TrivialOffsetCalculatorILi1EjESE_NS0_6memory15LoadWithoutCastENSF_16StoreWithoutCastEEEviT_T0_T2_T3_T4_T5_,@function
_ZN2at6native27unrolled_elementwise_kernelIZZZNS0_16sqrt_kernel_cudaERNS_18TensorIteratorBaseEENKUlvE_clEvENKUlvE_clEvEUlN3c107complexIdEEE_St5arrayIPcLm2EELi4E23TrivialOffsetCalculatorILi1EjESE_NS0_6memory15LoadWithoutCastENSF_16StoreWithoutCastEEEviT_T0_T2_T3_T4_T5_: ; @_ZN2at6native27unrolled_elementwise_kernelIZZZNS0_16sqrt_kernel_cudaERNS_18TensorIteratorBaseEENKUlvE_clEvENKUlvE_clEvEUlN3c107complexIdEEE_St5arrayIPcLm2EELi4E23TrivialOffsetCalculatorILi1EjESE_NS0_6memory15LoadWithoutCastENSF_16StoreWithoutCastEEEviT_T0_T2_T3_T4_T5_
; %bb.0:
	s_load_dword s3, s[0:1], 0x0
	s_load_dwordx4 s[8:11], s[0:1], 0x8
	s_lshl_b32 s22, s2, 10
	v_mov_b64_e32 v[18:19], 0
	v_or_b32_e32 v26, s22, v0
	s_waitcnt lgkmcnt(0)
	s_sub_i32 s23, s3, s22
	v_cmp_gt_i32_e64 s[0:1], s23, v0
	v_mov_b64_e32 v[22:23], 0
	v_mov_b64_e32 v[24:25], 0
	v_mov_b32_e32 v1, v0
	s_and_saveexec_b64 s[2:3], s[0:1]
	s_cbranch_execz .LBB222_2
; %bb.1:
	v_mov_b32_e32 v27, 0
	v_lshl_add_u64 v[2:3], v[26:27], 4, s[10:11]
	global_load_dwordx4 v[22:25], v[2:3], off
	v_or_b32_e32 v1, 0x100, v0
.LBB222_2:
	s_or_b64 exec, exec, s[2:3]
	v_cmp_gt_i32_e32 vcc, s23, v1
	v_mov_b64_e32 v[20:21], 0
	s_and_saveexec_b64 s[2:3], vcc
	s_cbranch_execz .LBB222_4
; %bb.3:
	v_add_u32_e32 v2, s22, v1
	v_mov_b32_e32 v3, 0
	v_lshl_add_u64 v[2:3], v[2:3], 4, s[10:11]
	global_load_dwordx4 v[18:21], v[2:3], off
	v_add_u32_e32 v1, 0x100, v1
.LBB222_4:
	s_or_b64 exec, exec, s[2:3]
	v_cmp_gt_i32_e32 vcc, s23, v1
	v_mov_b64_e32 v[2:3], 0
	v_mov_b64_e32 v[14:15], 0
	;; [unrolled: 1-line block ×3, first 2 shown]
	s_and_saveexec_b64 s[2:3], vcc
	s_cbranch_execz .LBB222_6
; %bb.5:
	v_add_u32_e32 v4, s22, v1
	v_mov_b32_e32 v5, 0
	v_lshl_add_u64 v[4:5], v[4:5], 4, s[10:11]
	global_load_dwordx4 v[14:17], v[4:5], off
	v_add_u32_e32 v1, 0x100, v1
.LBB222_6:
	s_or_b64 exec, exec, s[2:3]
	v_cmp_gt_i32_e32 vcc, s23, v1
	v_mov_b64_e32 v[4:5], 0
	s_and_saveexec_b64 s[2:3], vcc
	s_cbranch_execz .LBB222_8
; %bb.7:
	v_add_u32_e32 v2, s22, v1
	v_mov_b32_e32 v3, 0
	v_lshl_add_u64 v[2:3], v[2:3], 4, s[10:11]
	global_load_dwordx4 v[2:5], v[2:3], off
.LBB222_8:
	s_or_b64 exec, exec, s[2:3]
	v_mov_b64_e32 v[8:9], 0
	v_mov_b64_e32 v[12:13], 0
	;; [unrolled: 1-line block ×3, first 2 shown]
	s_and_saveexec_b64 s[6:7], s[0:1]
	s_cbranch_execz .LBB222_40
; %bb.9:
	s_waitcnt vmcnt(0)
	v_cmp_neq_f64_e32 vcc, 0, v[22:23]
	v_cmp_neq_f64_e64 s[2:3], 0, v[24:25]
	v_mov_b64_e32 v[10:11], 0
	s_or_b64 s[2:3], vcc, s[2:3]
	s_and_saveexec_b64 s[10:11], s[2:3]
	s_cbranch_execz .LBB222_39
; %bb.10:
	v_mov_b32_e32 v10, 0
	v_mov_b32_e32 v11, 0x7ff00000
	v_cmp_neq_f64_e64 s[2:3], |v[24:25]|, v[10:11]
	s_and_saveexec_b64 s[12:13], s[2:3]
	s_cbranch_execz .LBB222_38
; %bb.11:
	v_cmp_o_f64_e32 vcc, v[22:23], v[22:23]
                                        ; implicit-def: $vgpr10_vgpr11
	s_and_saveexec_b64 s[2:3], vcc
	s_xor_b64 s[14:15], exec, s[2:3]
	s_cbranch_execz .LBB222_35
; %bb.12:
	s_mov_b32 s2, 0
	s_mov_b32 s3, 0x7ff00000
	v_cmp_neq_f64_e64 s[2:3], |v[22:23]|, s[2:3]
                                        ; implicit-def: $vgpr10_vgpr11
	s_and_saveexec_b64 s[4:5], s[2:3]
	s_xor_b64 s[16:17], exec, s[4:5]
	s_cbranch_execz .LBB222_28
; %bb.13:
	v_max_f64 v[6:7], |v[24:25]|, |v[24:25]|
	v_max_f64 v[10:11], |v[22:23]|, |v[22:23]|
	s_mov_b32 s2, 0x99fcef32
	v_max_f64 v[6:7], v[10:11], v[6:7]
	s_mov_b32 s3, 0x7fda8279
	v_cmp_nle_f64_e64 s[2:3], s[2:3], v[6:7]
                                        ; implicit-def: $sgpr18_sgpr19
	s_and_saveexec_b64 s[4:5], s[2:3]
	s_xor_b64 s[4:5], exec, s[4:5]
	s_cbranch_execz .LBB222_17
; %bb.14:
	s_mov_b32 s18, 0
	s_mov_b32 s19, 0x200000
	v_cmp_le_f64_e64 s[20:21], |v[22:23]|, s[18:19]
	v_cmp_le_f64_e64 s[18:19], |v[24:25]|, s[18:19]
	s_and_b64 s[24:25], s[20:21], s[18:19]
	s_mov_b64 s[18:19], 0
	s_and_saveexec_b64 s[20:21], s[24:25]
; %bb.15:
	s_mov_b64 s[18:19], exec
	v_mul_f64 v[22:23], v[22:23], 4.0
	v_mul_f64 v[24:25], v[24:25], 4.0
; %bb.16:
	s_or_b64 exec, exec, s[20:21]
.LBB222_17:
	s_andn2_saveexec_b64 s[4:5], s[4:5]
; %bb.18:
	v_ldexp_f64 v[22:23], v[22:23], -2
	v_ldexp_f64 v[24:25], v[24:25], -2
	s_andn2_b64 s[18:19], s[18:19], exec
; %bb.19:
	s_or_b64 exec, exec, s[4:5]
	v_max_f64 v[6:7], |v[24:25]|, |v[24:25]|
	v_max_f64 v[10:11], |v[22:23]|, |v[22:23]|
	v_max_f64 v[6:7], v[10:11], v[6:7]
	v_frexp_exp_i32_f64_e32 v1, v[6:7]
	v_sub_u32_e32 v10, 0, v1
	v_ldexp_f64 v[6:7], |v[22:23]|, v10
	v_ldexp_f64 v[10:11], |v[24:25]|, v10
	v_mul_f64 v[10:11], v[10:11], v[10:11]
	v_fmac_f64_e32 v[10:11], v[6:7], v[6:7]
	v_rsq_f64_e32 v[6:7], v[10:11]
	v_cmp_eq_f64_e64 s[4:5], 0, v[10:11]
	s_movk_i32 s20, 0x204
	v_cmp_le_f64_e32 vcc, 0, v[22:23]
	v_mul_f64 v[12:13], v[10:11], v[6:7]
	v_mul_f64 v[6:7], v[6:7], 0.5
	v_fma_f64 v[28:29], -v[6:7], v[12:13], 0.5
	v_fmac_f64_e32 v[12:13], v[12:13], v[28:29]
	v_fmac_f64_e32 v[6:7], v[6:7], v[28:29]
	v_fma_f64 v[28:29], -v[12:13], v[12:13], v[10:11]
	v_fmac_f64_e32 v[12:13], v[28:29], v[6:7]
	v_cndmask_b32_e64 v7, v13, v11, s[4:5]
	v_cndmask_b32_e64 v6, v12, v10, s[4:5]
	v_ldexp_f64 v[6:7], v[6:7], v1
	v_cmp_o_f64_e64 s[4:5], v[24:25], v[24:25]
                                        ; implicit-def: $vgpr12_vgpr13
	s_nop 1
	v_cndmask_b32_e64 v1, 0, v6, s[4:5]
	v_mov_b32_e32 v6, 0x7ff80000
	v_cndmask_b32_e64 v6, v6, v7, s[4:5]
	v_cmp_class_f64_e64 s[4:5], v[22:23], s20
	v_cmp_class_f64_e64 s[20:21], v[24:25], s20
	v_mov_b32_e32 v7, 0x7ff00000
	s_or_b64 s[4:5], s[20:21], s[4:5]
	v_cndmask_b32_e64 v11, v6, v7, s[4:5]
	v_cndmask_b32_e64 v10, v1, 0, s[4:5]
                                        ; implicit-def: $vgpr6_vgpr7
	s_and_saveexec_b64 s[4:5], vcc
	s_xor_b64 s[4:5], exec, s[4:5]
	s_cbranch_execz .LBB222_21
; %bb.20:
	v_add_f64 v[6:7], v[22:23], v[10:11]
	s_mov_b32 s20, 0
	v_mul_f64 v[6:7], v[6:7], 0.5
	s_brev_b32 s21, 8
	v_mov_b32_e32 v1, 0x100
	v_cmp_gt_f64_e32 vcc, s[20:21], v[6:7]
	s_nop 1
	v_cndmask_b32_e32 v1, 0, v1, vcc
	v_ldexp_f64 v[6:7], v[6:7], v1
	v_rsq_f64_e32 v[10:11], v[6:7]
	v_mov_b32_e32 v1, 0xffffff80
	v_cndmask_b32_e32 v1, 0, v1, vcc
	v_mul_f64 v[12:13], v[6:7], v[10:11]
	v_mul_f64 v[10:11], v[10:11], 0.5
	v_fma_f64 v[22:23], -v[10:11], v[12:13], 0.5
	v_fmac_f64_e32 v[12:13], v[12:13], v[22:23]
	v_fma_f64 v[28:29], -v[12:13], v[12:13], v[6:7]
	v_fmac_f64_e32 v[10:11], v[10:11], v[22:23]
	v_fmac_f64_e32 v[12:13], v[28:29], v[10:11]
	v_fma_f64 v[22:23], -v[12:13], v[12:13], v[6:7]
	v_fmac_f64_e32 v[12:13], v[22:23], v[10:11]
	v_ldexp_f64 v[10:11], v[12:13], v1
	v_mov_b32_e32 v1, 0x260
	v_cmp_class_f64_e32 vcc, v[6:7], v1
	s_nop 1
	v_cndmask_b32_e32 v13, v11, v7, vcc
	v_cndmask_b32_e32 v12, v10, v6, vcc
	v_add_f64 v[6:7], v[12:13], v[12:13]
	v_div_scale_f64 v[10:11], s[20:21], v[6:7], v[6:7], v[24:25]
	v_rcp_f64_e32 v[22:23], v[10:11]
	s_nop 0
	v_fma_f64 v[28:29], -v[10:11], v[22:23], 1.0
	v_fmac_f64_e32 v[22:23], v[22:23], v[28:29]
	v_fma_f64 v[28:29], -v[10:11], v[22:23], 1.0
	v_fmac_f64_e32 v[22:23], v[22:23], v[28:29]
	v_div_scale_f64 v[28:29], vcc, v[24:25], v[6:7], v[24:25]
	v_mul_f64 v[30:31], v[28:29], v[22:23]
	v_fma_f64 v[10:11], -v[10:11], v[30:31], v[28:29]
	s_nop 1
	v_div_fmas_f64 v[10:11], v[10:11], v[22:23], v[30:31]
	v_div_fixup_f64 v[6:7], v[10:11], v[6:7], v[24:25]
                                        ; implicit-def: $vgpr10_vgpr11
                                        ; implicit-def: $vgpr22_vgpr23
	s_andn2_saveexec_b64 s[4:5], s[4:5]
	s_cbranch_execz .LBB222_23
	s_branch .LBB222_22
.LBB222_21:
	s_andn2_saveexec_b64 s[4:5], s[4:5]
	s_cbranch_execz .LBB222_23
.LBB222_22:
	v_add_f64 v[6:7], v[10:11], -v[22:23]
	s_mov_b32 s20, 0
	v_mul_f64 v[6:7], v[6:7], 0.5
	s_brev_b32 s21, 8
	v_mov_b32_e32 v1, 0x100
	v_cmp_gt_f64_e32 vcc, s[20:21], v[6:7]
	s_nop 1
	v_cndmask_b32_e32 v1, 0, v1, vcc
	v_ldexp_f64 v[6:7], v[6:7], v1
	v_rsq_f64_e32 v[10:11], v[6:7]
	v_mov_b32_e32 v1, 0xffffff80
	v_cndmask_b32_e32 v1, 0, v1, vcc
	v_mul_f64 v[12:13], v[6:7], v[10:11]
	v_mul_f64 v[10:11], v[10:11], 0.5
	v_fma_f64 v[22:23], -v[10:11], v[12:13], 0.5
	v_fmac_f64_e32 v[12:13], v[12:13], v[22:23]
	v_fma_f64 v[28:29], -v[12:13], v[12:13], v[6:7]
	v_fmac_f64_e32 v[10:11], v[10:11], v[22:23]
	v_fmac_f64_e32 v[12:13], v[28:29], v[10:11]
	v_fma_f64 v[22:23], -v[12:13], v[12:13], v[6:7]
	v_fmac_f64_e32 v[12:13], v[22:23], v[10:11]
	v_ldexp_f64 v[10:11], v[12:13], v1
	v_mov_b32_e32 v1, 0x260
	v_cmp_class_f64_e32 vcc, v[6:7], v1
	v_and_b32_e32 v13, 0x7fffffff, v25
	v_mov_b32_e32 v12, v24
	v_cndmask_b32_e32 v7, v11, v7, vcc
	v_cndmask_b32_e32 v6, v10, v6, vcc
	v_add_f64 v[10:11], v[6:7], v[6:7]
	v_div_scale_f64 v[22:23], s[20:21], v[10:11], v[10:11], v[12:13]
	v_rcp_f64_e32 v[28:29], v[22:23]
	v_div_scale_f64 v[12:13], vcc, v[12:13], v[10:11], v[12:13]
	s_brev_b32 s20, -2
	v_fma_f64 v[30:31], -v[22:23], v[28:29], 1.0
	v_fmac_f64_e32 v[28:29], v[28:29], v[30:31]
	v_fma_f64 v[30:31], -v[22:23], v[28:29], 1.0
	v_fmac_f64_e32 v[28:29], v[28:29], v[30:31]
	v_mul_f64 v[30:31], v[12:13], v[28:29]
	v_fma_f64 v[12:13], -v[22:23], v[30:31], v[12:13]
	v_div_fmas_f64 v[12:13], v[12:13], v[28:29], v[30:31]
	v_div_fixup_f64 v[12:13], v[12:13], v[10:11], |v[24:25]|
	v_bfi_b32 v7, s20, v7, v25
.LBB222_23:
	s_or_b64 exec, exec, s[4:5]
                                        ; implicit-def: $vgpr10_vgpr11
                                        ; implicit-def: $vgpr24_vgpr25
	s_and_saveexec_b64 s[4:5], s[2:3]
	s_xor_b64 s[2:3], exec, s[4:5]
	s_cbranch_execz .LBB222_25
; %bb.24:
	v_mul_f64 v[10:11], v[12:13], 0.5
	v_mul_f64 v[22:23], v[6:7], 0.5
	v_cndmask_b32_e64 v11, v13, v11, s[18:19]
	v_cndmask_b32_e64 v10, v12, v10, s[18:19]
	;; [unrolled: 1-line block ×4, first 2 shown]
                                        ; implicit-def: $vgpr12_vgpr13
                                        ; implicit-def: $vgpr6_vgpr7
	s_andn2_saveexec_b64 s[2:3], s[2:3]
	s_cbranch_execnz .LBB222_26
	s_branch .LBB222_27
.LBB222_25:
	s_andn2_saveexec_b64 s[2:3], s[2:3]
.LBB222_26:
	v_add_f64 v[10:11], v[12:13], v[12:13]
	v_add_f64 v[24:25], v[6:7], v[6:7]
.LBB222_27:
	s_or_b64 exec, exec, s[2:3]
.LBB222_28:
	s_andn2_saveexec_b64 s[2:3], s[16:17]
	s_cbranch_execz .LBB222_34
; %bb.29:
	v_add_f64 v[6:7], v[24:25], -v[24:25]
	v_cmp_lt_i64_e32 vcc, -1, v[22:23]
	s_brev_b32 s16, -2
	v_and_b32_e32 v11, 0x7fffffff, v7
	v_mov_b32_e32 v10, v6
	s_and_saveexec_b64 s[4:5], vcc
	s_xor_b64 s[4:5], exec, s[4:5]
; %bb.30:
	v_bfi_b32 v7, s16, v7, v25
	v_mov_b64_e32 v[10:11], v[22:23]
	v_mov_b64_e32 v[24:25], v[6:7]
; %bb.31:
	s_andn2_saveexec_b64 s[4:5], s[4:5]
; %bb.32:
	v_bfi_b32 v23, s16, v23, v25
	v_mov_b64_e32 v[24:25], v[22:23]
; %bb.33:
	s_or_b64 exec, exec, s[4:5]
.LBB222_34:
	s_or_b64 exec, exec, s[2:3]
.LBB222_35:
	s_andn2_saveexec_b64 s[2:3], s[14:15]
	s_cbranch_execz .LBB222_37
; %bb.36:
	v_add_f64 v[6:7], v[24:25], -v[24:25]
	v_div_scale_f64 v[10:11], vcc, v[6:7], v[6:7], v[6:7]
	v_rcp_f64_e32 v[12:13], v[10:11]
	s_nop 0
	v_fma_f64 v[24:25], -v[10:11], v[12:13], 1.0
	v_fmac_f64_e32 v[12:13], v[12:13], v[24:25]
	v_fma_f64 v[24:25], -v[10:11], v[12:13], 1.0
	v_fmac_f64_e32 v[12:13], v[12:13], v[24:25]
	v_mul_f64 v[24:25], v[10:11], v[12:13]
	v_fma_f64 v[10:11], -v[10:11], v[24:25], v[10:11]
	v_div_fmas_f64 v[10:11], v[10:11], v[12:13], v[24:25]
	v_div_fixup_f64 v[24:25], v[10:11], v[6:7], v[6:7]
	v_mov_b64_e32 v[10:11], v[22:23]
.LBB222_37:
	s_or_b64 exec, exec, s[2:3]
.LBB222_38:
	s_or_b64 exec, exec, s[12:13]
.LBB222_39:
	s_or_b64 exec, exec, s[10:11]
	v_mov_b64_e32 v[12:13], v[24:25]
.LBB222_40:
	s_or_b64 exec, exec, s[6:7]
	v_or_b32_e32 v1, 0x100, v0
	v_cmp_gt_i32_e32 vcc, s23, v1
	v_mov_b64_e32 v[6:7], 0
	s_and_saveexec_b64 s[6:7], vcc
	s_cbranch_execz .LBB222_72
; %bb.41:
	s_waitcnt vmcnt(0)
	v_cmp_neq_f64_e32 vcc, 0, v[18:19]
	v_cmp_neq_f64_e64 s[2:3], 0, v[20:21]
	v_mov_b64_e32 v[6:7], 0
	s_or_b64 s[2:3], vcc, s[2:3]
	s_and_saveexec_b64 s[10:11], s[2:3]
	s_cbranch_execz .LBB222_71
; %bb.42:
	v_mov_b32_e32 v6, 0
	v_mov_b32_e32 v7, 0x7ff00000
	v_cmp_neq_f64_e64 s[2:3], |v[20:21]|, v[6:7]
	s_and_saveexec_b64 s[12:13], s[2:3]
	s_cbranch_execz .LBB222_70
; %bb.43:
	v_cmp_o_f64_e32 vcc, v[18:19], v[18:19]
                                        ; implicit-def: $vgpr6_vgpr7
	s_and_saveexec_b64 s[2:3], vcc
	s_xor_b64 s[14:15], exec, s[2:3]
	s_cbranch_execz .LBB222_67
; %bb.44:
	s_mov_b32 s2, 0
	s_mov_b32 s3, 0x7ff00000
	v_cmp_neq_f64_e64 s[2:3], |v[18:19]|, s[2:3]
                                        ; implicit-def: $vgpr6_vgpr7
	s_and_saveexec_b64 s[4:5], s[2:3]
	s_xor_b64 s[16:17], exec, s[4:5]
	s_cbranch_execz .LBB222_60
; %bb.45:
	v_max_f64 v[6:7], |v[20:21]|, |v[20:21]|
	v_max_f64 v[8:9], |v[18:19]|, |v[18:19]|
	s_mov_b32 s2, 0x99fcef32
	v_max_f64 v[6:7], v[8:9], v[6:7]
	s_mov_b32 s3, 0x7fda8279
	v_cmp_nle_f64_e64 s[2:3], s[2:3], v[6:7]
                                        ; implicit-def: $sgpr18_sgpr19
	s_and_saveexec_b64 s[4:5], s[2:3]
	s_xor_b64 s[4:5], exec, s[4:5]
	s_cbranch_execz .LBB222_49
; %bb.46:
	s_mov_b32 s18, 0
	s_mov_b32 s19, 0x200000
	v_cmp_le_f64_e64 s[20:21], |v[18:19]|, s[18:19]
	v_cmp_le_f64_e64 s[18:19], |v[20:21]|, s[18:19]
	s_and_b64 s[24:25], s[20:21], s[18:19]
	s_mov_b64 s[18:19], 0
	s_and_saveexec_b64 s[20:21], s[24:25]
; %bb.47:
	s_mov_b64 s[18:19], exec
	v_mul_f64 v[18:19], v[18:19], 4.0
	v_mul_f64 v[20:21], v[20:21], 4.0
; %bb.48:
	s_or_b64 exec, exec, s[20:21]
.LBB222_49:
	s_andn2_saveexec_b64 s[4:5], s[4:5]
; %bb.50:
	v_ldexp_f64 v[18:19], v[18:19], -2
	v_ldexp_f64 v[20:21], v[20:21], -2
	s_andn2_b64 s[18:19], s[18:19], exec
; %bb.51:
	s_or_b64 exec, exec, s[4:5]
	v_max_f64 v[6:7], |v[20:21]|, |v[20:21]|
	v_max_f64 v[8:9], |v[18:19]|, |v[18:19]|
	v_max_f64 v[6:7], v[8:9], v[6:7]
	v_frexp_exp_i32_f64_e32 v27, v[6:7]
	v_sub_u32_e32 v8, 0, v27
	v_ldexp_f64 v[6:7], |v[18:19]|, v8
	v_ldexp_f64 v[8:9], |v[20:21]|, v8
	v_mul_f64 v[8:9], v[8:9], v[8:9]
	v_fmac_f64_e32 v[8:9], v[6:7], v[6:7]
	v_rsq_f64_e32 v[6:7], v[8:9]
	v_cmp_eq_f64_e64 s[4:5], 0, v[8:9]
	s_movk_i32 s20, 0x204
	v_cmp_le_f64_e32 vcc, 0, v[18:19]
	v_mul_f64 v[22:23], v[8:9], v[6:7]
	v_mul_f64 v[6:7], v[6:7], 0.5
	v_fma_f64 v[24:25], -v[6:7], v[22:23], 0.5
	v_fmac_f64_e32 v[22:23], v[22:23], v[24:25]
	v_fmac_f64_e32 v[6:7], v[6:7], v[24:25]
	v_fma_f64 v[24:25], -v[22:23], v[22:23], v[8:9]
	v_fmac_f64_e32 v[22:23], v[24:25], v[6:7]
	v_cndmask_b32_e64 v7, v23, v9, s[4:5]
	v_cndmask_b32_e64 v6, v22, v8, s[4:5]
	v_ldexp_f64 v[6:7], v[6:7], v27
	v_cmp_o_f64_e64 s[4:5], v[20:21], v[20:21]
	v_mov_b32_e32 v8, 0x7ff80000
                                        ; implicit-def: $vgpr22_vgpr23
	s_nop 0
	v_cndmask_b32_e64 v6, 0, v6, s[4:5]
	v_cndmask_b32_e64 v7, v8, v7, s[4:5]
	v_cmp_class_f64_e64 s[4:5], v[18:19], s20
	v_cmp_class_f64_e64 s[20:21], v[20:21], s20
	v_mov_b32_e32 v8, 0x7ff00000
	s_or_b64 s[4:5], s[20:21], s[4:5]
	v_cndmask_b32_e64 v7, v7, v8, s[4:5]
	v_cndmask_b32_e64 v6, v6, 0, s[4:5]
                                        ; implicit-def: $vgpr8_vgpr9
	s_and_saveexec_b64 s[4:5], vcc
	s_xor_b64 s[4:5], exec, s[4:5]
	s_cbranch_execz .LBB222_53
; %bb.52:
	v_add_f64 v[6:7], v[18:19], v[6:7]
	s_mov_b32 s20, 0
	v_mul_f64 v[6:7], v[6:7], 0.5
	s_brev_b32 s21, 8
	v_mov_b32_e32 v8, 0x100
	v_cmp_gt_f64_e32 vcc, s[20:21], v[6:7]
	s_nop 1
	v_cndmask_b32_e32 v8, 0, v8, vcc
	v_ldexp_f64 v[6:7], v[6:7], v8
	v_rsq_f64_e32 v[8:9], v[6:7]
	s_nop 0
	v_mul_f64 v[18:19], v[6:7], v[8:9]
	v_mul_f64 v[8:9], v[8:9], 0.5
	v_fma_f64 v[22:23], -v[8:9], v[18:19], 0.5
	v_fmac_f64_e32 v[18:19], v[18:19], v[22:23]
	v_fma_f64 v[24:25], -v[18:19], v[18:19], v[6:7]
	v_fmac_f64_e32 v[8:9], v[8:9], v[22:23]
	v_fmac_f64_e32 v[18:19], v[24:25], v[8:9]
	v_fma_f64 v[22:23], -v[18:19], v[18:19], v[6:7]
	v_fmac_f64_e32 v[18:19], v[22:23], v[8:9]
	v_mov_b32_e32 v8, 0xffffff80
	v_cndmask_b32_e32 v8, 0, v8, vcc
	v_ldexp_f64 v[8:9], v[18:19], v8
	v_mov_b32_e32 v18, 0x260
	v_cmp_class_f64_e32 vcc, v[6:7], v18
	s_nop 1
	v_cndmask_b32_e32 v23, v9, v7, vcc
	v_cndmask_b32_e32 v22, v8, v6, vcc
	v_add_f64 v[6:7], v[22:23], v[22:23]
	v_div_scale_f64 v[8:9], s[20:21], v[6:7], v[6:7], v[20:21]
	v_rcp_f64_e32 v[18:19], v[8:9]
	s_nop 0
	v_fma_f64 v[24:25], -v[8:9], v[18:19], 1.0
	v_fmac_f64_e32 v[18:19], v[18:19], v[24:25]
	v_fma_f64 v[24:25], -v[8:9], v[18:19], 1.0
	v_fmac_f64_e32 v[18:19], v[18:19], v[24:25]
	v_div_scale_f64 v[24:25], vcc, v[20:21], v[6:7], v[20:21]
	v_mul_f64 v[28:29], v[24:25], v[18:19]
	v_fma_f64 v[8:9], -v[8:9], v[28:29], v[24:25]
	s_nop 1
	v_div_fmas_f64 v[8:9], v[8:9], v[18:19], v[28:29]
	v_div_fixup_f64 v[8:9], v[8:9], v[6:7], v[20:21]
                                        ; implicit-def: $vgpr6_vgpr7
                                        ; implicit-def: $vgpr18_vgpr19
	s_andn2_saveexec_b64 s[4:5], s[4:5]
	s_cbranch_execz .LBB222_55
	s_branch .LBB222_54
.LBB222_53:
	s_andn2_saveexec_b64 s[4:5], s[4:5]
	s_cbranch_execz .LBB222_55
.LBB222_54:
	v_add_f64 v[6:7], v[6:7], -v[18:19]
	s_mov_b32 s20, 0
	v_mul_f64 v[6:7], v[6:7], 0.5
	s_brev_b32 s21, 8
	v_mov_b32_e32 v8, 0x100
	v_cmp_gt_f64_e32 vcc, s[20:21], v[6:7]
	s_nop 1
	v_cndmask_b32_e32 v8, 0, v8, vcc
	v_ldexp_f64 v[6:7], v[6:7], v8
	v_rsq_f64_e32 v[8:9], v[6:7]
	s_nop 0
	v_mul_f64 v[18:19], v[6:7], v[8:9]
	v_mul_f64 v[8:9], v[8:9], 0.5
	v_fma_f64 v[22:23], -v[8:9], v[18:19], 0.5
	v_fmac_f64_e32 v[18:19], v[18:19], v[22:23]
	v_fma_f64 v[24:25], -v[18:19], v[18:19], v[6:7]
	v_fmac_f64_e32 v[8:9], v[8:9], v[22:23]
	v_fmac_f64_e32 v[18:19], v[24:25], v[8:9]
	v_fma_f64 v[22:23], -v[18:19], v[18:19], v[6:7]
	v_fmac_f64_e32 v[18:19], v[22:23], v[8:9]
	v_mov_b32_e32 v8, 0xffffff80
	v_cndmask_b32_e32 v8, 0, v8, vcc
	v_ldexp_f64 v[8:9], v[18:19], v8
	v_mov_b32_e32 v18, 0x260
	v_cmp_class_f64_e32 vcc, v[6:7], v18
	v_and_b32_e32 v19, 0x7fffffff, v21
	v_mov_b32_e32 v18, v20
	v_cndmask_b32_e32 v9, v9, v7, vcc
	v_cndmask_b32_e32 v8, v8, v6, vcc
	v_add_f64 v[6:7], v[8:9], v[8:9]
	v_div_scale_f64 v[22:23], s[20:21], v[6:7], v[6:7], v[18:19]
	v_rcp_f64_e32 v[24:25], v[22:23]
	v_div_scale_f64 v[18:19], vcc, v[18:19], v[6:7], v[18:19]
	s_brev_b32 s20, -2
	v_fma_f64 v[28:29], -v[22:23], v[24:25], 1.0
	v_fmac_f64_e32 v[24:25], v[24:25], v[28:29]
	v_fma_f64 v[28:29], -v[22:23], v[24:25], 1.0
	v_fmac_f64_e32 v[24:25], v[24:25], v[28:29]
	v_mul_f64 v[28:29], v[18:19], v[24:25]
	v_fma_f64 v[18:19], -v[22:23], v[28:29], v[18:19]
	v_div_fmas_f64 v[18:19], v[18:19], v[24:25], v[28:29]
	v_div_fixup_f64 v[22:23], v[18:19], v[6:7], |v[20:21]|
	v_bfi_b32 v9, s20, v9, v21
.LBB222_55:
	s_or_b64 exec, exec, s[4:5]
                                        ; implicit-def: $vgpr6_vgpr7
                                        ; implicit-def: $vgpr20_vgpr21
	s_and_saveexec_b64 s[4:5], s[2:3]
	s_xor_b64 s[2:3], exec, s[4:5]
	s_cbranch_execz .LBB222_57
; %bb.56:
	v_mul_f64 v[6:7], v[22:23], 0.5
	v_mul_f64 v[18:19], v[8:9], 0.5
	v_cndmask_b32_e64 v7, v23, v7, s[18:19]
	v_cndmask_b32_e64 v6, v22, v6, s[18:19]
	v_cndmask_b32_e64 v21, v9, v19, s[18:19]
	v_cndmask_b32_e64 v20, v8, v18, s[18:19]
                                        ; implicit-def: $vgpr22_vgpr23
                                        ; implicit-def: $vgpr8_vgpr9
	s_andn2_saveexec_b64 s[2:3], s[2:3]
	s_cbranch_execnz .LBB222_58
	s_branch .LBB222_59
.LBB222_57:
	s_andn2_saveexec_b64 s[2:3], s[2:3]
.LBB222_58:
	v_add_f64 v[6:7], v[22:23], v[22:23]
	v_add_f64 v[20:21], v[8:9], v[8:9]
.LBB222_59:
	s_or_b64 exec, exec, s[2:3]
.LBB222_60:
	s_andn2_saveexec_b64 s[2:3], s[16:17]
	s_cbranch_execz .LBB222_66
; %bb.61:
	v_add_f64 v[8:9], v[20:21], -v[20:21]
	v_cmp_lt_i64_e32 vcc, -1, v[18:19]
	s_brev_b32 s16, -2
	v_and_b32_e32 v7, 0x7fffffff, v9
	v_mov_b32_e32 v6, v8
	s_and_saveexec_b64 s[4:5], vcc
	s_xor_b64 s[4:5], exec, s[4:5]
; %bb.62:
	v_bfi_b32 v9, s16, v9, v21
	v_mov_b64_e32 v[6:7], v[18:19]
	v_mov_b64_e32 v[20:21], v[8:9]
; %bb.63:
	s_andn2_saveexec_b64 s[4:5], s[4:5]
; %bb.64:
	v_bfi_b32 v19, s16, v19, v21
	v_mov_b64_e32 v[20:21], v[18:19]
; %bb.65:
	s_or_b64 exec, exec, s[4:5]
.LBB222_66:
	s_or_b64 exec, exec, s[2:3]
.LBB222_67:
	s_andn2_saveexec_b64 s[2:3], s[14:15]
	s_cbranch_execz .LBB222_69
; %bb.68:
	v_add_f64 v[6:7], v[20:21], -v[20:21]
	v_div_scale_f64 v[8:9], vcc, v[6:7], v[6:7], v[6:7]
	v_rcp_f64_e32 v[20:21], v[8:9]
	s_nop 0
	v_fma_f64 v[22:23], -v[8:9], v[20:21], 1.0
	v_fmac_f64_e32 v[20:21], v[20:21], v[22:23]
	v_fma_f64 v[22:23], -v[8:9], v[20:21], 1.0
	v_fmac_f64_e32 v[20:21], v[20:21], v[22:23]
	v_mul_f64 v[22:23], v[8:9], v[20:21]
	v_fma_f64 v[8:9], -v[8:9], v[22:23], v[8:9]
	v_div_fmas_f64 v[8:9], v[8:9], v[20:21], v[22:23]
	v_div_fixup_f64 v[20:21], v[8:9], v[6:7], v[6:7]
	v_mov_b64_e32 v[6:7], v[18:19]
.LBB222_69:
	s_or_b64 exec, exec, s[2:3]
.LBB222_70:
	s_or_b64 exec, exec, s[12:13]
.LBB222_71:
	s_or_b64 exec, exec, s[10:11]
	v_mov_b64_e32 v[8:9], v[20:21]
.LBB222_72:
	s_or_b64 exec, exec, s[6:7]
	s_waitcnt vmcnt(0)
	v_or_b32_e32 v18, 0x200, v0
	v_cmp_gt_i32_e32 vcc, s23, v18
	v_mov_b64_e32 v[18:19], 0
	v_mov_b64_e32 v[22:23], 0
	;; [unrolled: 1-line block ×3, first 2 shown]
	s_and_saveexec_b64 s[6:7], vcc
	s_cbranch_execz .LBB222_104
; %bb.73:
	v_cmp_neq_f64_e32 vcc, 0, v[14:15]
	v_cmp_neq_f64_e64 s[2:3], 0, v[16:17]
	v_mov_b64_e32 v[20:21], 0
	s_or_b64 s[2:3], vcc, s[2:3]
	s_and_saveexec_b64 s[10:11], s[2:3]
	s_cbranch_execz .LBB222_103
; %bb.74:
	v_mov_b32_e32 v20, 0
	v_mov_b32_e32 v21, 0x7ff00000
	v_cmp_neq_f64_e64 s[2:3], |v[16:17]|, v[20:21]
	s_and_saveexec_b64 s[12:13], s[2:3]
	s_cbranch_execz .LBB222_102
; %bb.75:
	v_cmp_o_f64_e32 vcc, v[14:15], v[14:15]
                                        ; implicit-def: $vgpr20_vgpr21
	s_and_saveexec_b64 s[2:3], vcc
	s_xor_b64 s[14:15], exec, s[2:3]
	s_cbranch_execz .LBB222_99
; %bb.76:
	s_mov_b32 s2, 0
	s_mov_b32 s3, 0x7ff00000
	v_cmp_neq_f64_e64 s[2:3], |v[14:15]|, s[2:3]
                                        ; implicit-def: $vgpr20_vgpr21
	s_and_saveexec_b64 s[4:5], s[2:3]
	s_xor_b64 s[16:17], exec, s[4:5]
	s_cbranch_execz .LBB222_92
; %bb.77:
	v_max_f64 v[20:21], |v[16:17]|, |v[16:17]|
	v_max_f64 v[22:23], |v[14:15]|, |v[14:15]|
	s_mov_b32 s2, 0x99fcef32
	v_max_f64 v[20:21], v[22:23], v[20:21]
	s_mov_b32 s3, 0x7fda8279
	v_cmp_nle_f64_e64 s[2:3], s[2:3], v[20:21]
                                        ; implicit-def: $sgpr18_sgpr19
	s_and_saveexec_b64 s[4:5], s[2:3]
	s_xor_b64 s[4:5], exec, s[4:5]
	s_cbranch_execz .LBB222_81
; %bb.78:
	s_mov_b32 s18, 0
	s_mov_b32 s19, 0x200000
	v_cmp_le_f64_e64 s[20:21], |v[14:15]|, s[18:19]
	v_cmp_le_f64_e64 s[18:19], |v[16:17]|, s[18:19]
	s_and_b64 s[24:25], s[20:21], s[18:19]
	s_mov_b64 s[18:19], 0
	s_and_saveexec_b64 s[20:21], s[24:25]
; %bb.79:
	s_mov_b64 s[18:19], exec
	v_mul_f64 v[14:15], v[14:15], 4.0
	v_mul_f64 v[16:17], v[16:17], 4.0
; %bb.80:
	s_or_b64 exec, exec, s[20:21]
.LBB222_81:
	s_andn2_saveexec_b64 s[4:5], s[4:5]
; %bb.82:
	v_ldexp_f64 v[14:15], v[14:15], -2
	v_ldexp_f64 v[16:17], v[16:17], -2
	s_andn2_b64 s[18:19], s[18:19], exec
; %bb.83:
	s_or_b64 exec, exec, s[4:5]
	v_max_f64 v[20:21], |v[16:17]|, |v[16:17]|
	v_max_f64 v[22:23], |v[14:15]|, |v[14:15]|
	v_max_f64 v[20:21], v[22:23], v[20:21]
	v_frexp_exp_i32_f64_e32 v27, v[20:21]
	v_sub_u32_e32 v22, 0, v27
	v_ldexp_f64 v[20:21], |v[14:15]|, v22
	v_ldexp_f64 v[22:23], |v[16:17]|, v22
	v_mul_f64 v[22:23], v[22:23], v[22:23]
	v_fmac_f64_e32 v[22:23], v[20:21], v[20:21]
	v_rsq_f64_e32 v[20:21], v[22:23]
	v_cmp_eq_f64_e64 s[4:5], 0, v[22:23]
	s_movk_i32 s20, 0x204
	v_cmp_le_f64_e32 vcc, 0, v[14:15]
	v_mul_f64 v[24:25], v[22:23], v[20:21]
	v_mul_f64 v[20:21], v[20:21], 0.5
	v_fma_f64 v[28:29], -v[20:21], v[24:25], 0.5
	v_fmac_f64_e32 v[24:25], v[24:25], v[28:29]
	v_fmac_f64_e32 v[20:21], v[20:21], v[28:29]
	v_fma_f64 v[28:29], -v[24:25], v[24:25], v[22:23]
	v_fmac_f64_e32 v[24:25], v[28:29], v[20:21]
	v_cndmask_b32_e64 v21, v25, v23, s[4:5]
	v_cndmask_b32_e64 v20, v24, v22, s[4:5]
	v_ldexp_f64 v[20:21], v[20:21], v27
	v_cmp_o_f64_e64 s[4:5], v[16:17], v[16:17]
	v_mov_b32_e32 v22, 0x7ff80000
                                        ; implicit-def: $vgpr24_vgpr25
	s_nop 0
	v_cndmask_b32_e64 v20, 0, v20, s[4:5]
	v_cndmask_b32_e64 v21, v22, v21, s[4:5]
	v_cmp_class_f64_e64 s[4:5], v[14:15], s20
	v_cmp_class_f64_e64 s[20:21], v[16:17], s20
	v_mov_b32_e32 v22, 0x7ff00000
	s_or_b64 s[4:5], s[20:21], s[4:5]
	v_cndmask_b32_e64 v21, v21, v22, s[4:5]
	v_cndmask_b32_e64 v20, v20, 0, s[4:5]
                                        ; implicit-def: $vgpr22_vgpr23
	s_and_saveexec_b64 s[4:5], vcc
	s_xor_b64 s[4:5], exec, s[4:5]
	s_cbranch_execz .LBB222_85
; %bb.84:
	v_add_f64 v[14:15], v[14:15], v[20:21]
	s_mov_b32 s20, 0
	v_mul_f64 v[14:15], v[14:15], 0.5
	s_brev_b32 s21, 8
	v_mov_b32_e32 v20, 0x100
	v_cmp_gt_f64_e32 vcc, s[20:21], v[14:15]
	s_nop 1
	v_cndmask_b32_e32 v20, 0, v20, vcc
	v_ldexp_f64 v[14:15], v[14:15], v20
	v_rsq_f64_e32 v[20:21], v[14:15]
	s_nop 0
	v_mul_f64 v[22:23], v[14:15], v[20:21]
	v_mul_f64 v[20:21], v[20:21], 0.5
	v_fma_f64 v[24:25], -v[20:21], v[22:23], 0.5
	v_fmac_f64_e32 v[22:23], v[22:23], v[24:25]
	v_fma_f64 v[28:29], -v[22:23], v[22:23], v[14:15]
	v_fmac_f64_e32 v[20:21], v[20:21], v[24:25]
	v_fmac_f64_e32 v[22:23], v[28:29], v[20:21]
	v_fma_f64 v[24:25], -v[22:23], v[22:23], v[14:15]
	v_fmac_f64_e32 v[22:23], v[24:25], v[20:21]
	v_mov_b32_e32 v20, 0xffffff80
	v_cndmask_b32_e32 v20, 0, v20, vcc
	v_ldexp_f64 v[20:21], v[22:23], v20
	v_mov_b32_e32 v22, 0x260
	v_cmp_class_f64_e32 vcc, v[14:15], v22
	s_nop 1
	v_cndmask_b32_e32 v25, v21, v15, vcc
	v_cndmask_b32_e32 v24, v20, v14, vcc
	v_add_f64 v[14:15], v[24:25], v[24:25]
	v_div_scale_f64 v[20:21], s[20:21], v[14:15], v[14:15], v[16:17]
	v_rcp_f64_e32 v[22:23], v[20:21]
	s_nop 0
	v_fma_f64 v[28:29], -v[20:21], v[22:23], 1.0
	v_fmac_f64_e32 v[22:23], v[22:23], v[28:29]
	v_fma_f64 v[28:29], -v[20:21], v[22:23], 1.0
	v_fmac_f64_e32 v[22:23], v[22:23], v[28:29]
	v_div_scale_f64 v[28:29], vcc, v[16:17], v[14:15], v[16:17]
	v_mul_f64 v[30:31], v[28:29], v[22:23]
	v_fma_f64 v[20:21], -v[20:21], v[30:31], v[28:29]
	s_nop 1
	v_div_fmas_f64 v[20:21], v[20:21], v[22:23], v[30:31]
	v_div_fixup_f64 v[22:23], v[20:21], v[14:15], v[16:17]
                                        ; implicit-def: $vgpr20_vgpr21
                                        ; implicit-def: $vgpr14_vgpr15
	s_andn2_saveexec_b64 s[4:5], s[4:5]
	s_cbranch_execz .LBB222_87
	s_branch .LBB222_86
.LBB222_85:
	s_andn2_saveexec_b64 s[4:5], s[4:5]
	s_cbranch_execz .LBB222_87
.LBB222_86:
	v_add_f64 v[14:15], v[20:21], -v[14:15]
	s_mov_b32 s20, 0
	v_mul_f64 v[14:15], v[14:15], 0.5
	s_brev_b32 s21, 8
	v_mov_b32_e32 v20, 0x100
	v_cmp_gt_f64_e32 vcc, s[20:21], v[14:15]
	s_nop 1
	v_cndmask_b32_e32 v20, 0, v20, vcc
	v_ldexp_f64 v[14:15], v[14:15], v20
	v_rsq_f64_e32 v[20:21], v[14:15]
	s_nop 0
	v_mul_f64 v[22:23], v[14:15], v[20:21]
	v_mul_f64 v[20:21], v[20:21], 0.5
	v_fma_f64 v[24:25], -v[20:21], v[22:23], 0.5
	v_fmac_f64_e32 v[22:23], v[22:23], v[24:25]
	v_fma_f64 v[28:29], -v[22:23], v[22:23], v[14:15]
	v_fmac_f64_e32 v[20:21], v[20:21], v[24:25]
	v_fmac_f64_e32 v[22:23], v[28:29], v[20:21]
	v_fma_f64 v[24:25], -v[22:23], v[22:23], v[14:15]
	v_fmac_f64_e32 v[22:23], v[24:25], v[20:21]
	v_mov_b32_e32 v20, 0xffffff80
	v_cndmask_b32_e32 v20, 0, v20, vcc
	v_ldexp_f64 v[20:21], v[22:23], v20
	v_mov_b32_e32 v22, 0x260
	v_cmp_class_f64_e32 vcc, v[14:15], v22
	s_nop 1
	v_cndmask_b32_e32 v23, v21, v15, vcc
	v_cndmask_b32_e32 v22, v20, v14, vcc
	v_add_f64 v[14:15], v[22:23], v[22:23]
	v_and_b32_e32 v21, 0x7fffffff, v17
	v_mov_b32_e32 v20, v16
	v_div_scale_f64 v[24:25], s[20:21], v[14:15], v[14:15], v[20:21]
	v_rcp_f64_e32 v[28:29], v[24:25]
	v_div_scale_f64 v[20:21], vcc, v[20:21], v[14:15], v[20:21]
	s_brev_b32 s20, -2
	v_fma_f64 v[30:31], -v[24:25], v[28:29], 1.0
	v_fmac_f64_e32 v[28:29], v[28:29], v[30:31]
	v_fma_f64 v[30:31], -v[24:25], v[28:29], 1.0
	v_fmac_f64_e32 v[28:29], v[28:29], v[30:31]
	v_mul_f64 v[30:31], v[20:21], v[28:29]
	v_fma_f64 v[20:21], -v[24:25], v[30:31], v[20:21]
	v_div_fmas_f64 v[20:21], v[20:21], v[28:29], v[30:31]
	v_div_fixup_f64 v[24:25], v[20:21], v[14:15], |v[16:17]|
	v_bfi_b32 v23, s20, v23, v17
.LBB222_87:
	s_or_b64 exec, exec, s[4:5]
                                        ; implicit-def: $vgpr20_vgpr21
                                        ; implicit-def: $vgpr16_vgpr17
	s_and_saveexec_b64 s[4:5], s[2:3]
	s_xor_b64 s[2:3], exec, s[4:5]
	s_cbranch_execz .LBB222_89
; %bb.88:
	v_mul_f64 v[14:15], v[24:25], 0.5
	v_mul_f64 v[16:17], v[22:23], 0.5
	v_cndmask_b32_e64 v21, v25, v15, s[18:19]
	v_cndmask_b32_e64 v20, v24, v14, s[18:19]
	;; [unrolled: 1-line block ×4, first 2 shown]
                                        ; implicit-def: $vgpr24_vgpr25
                                        ; implicit-def: $vgpr22_vgpr23
	s_andn2_saveexec_b64 s[2:3], s[2:3]
	s_cbranch_execnz .LBB222_90
	s_branch .LBB222_91
.LBB222_89:
	s_andn2_saveexec_b64 s[2:3], s[2:3]
.LBB222_90:
	v_add_f64 v[20:21], v[24:25], v[24:25]
	v_add_f64 v[16:17], v[22:23], v[22:23]
.LBB222_91:
	s_or_b64 exec, exec, s[2:3]
.LBB222_92:
	s_andn2_saveexec_b64 s[2:3], s[16:17]
	s_cbranch_execz .LBB222_98
; %bb.93:
	v_add_f64 v[22:23], v[16:17], -v[16:17]
	v_cmp_lt_i64_e32 vcc, -1, v[14:15]
	s_brev_b32 s16, -2
	v_and_b32_e32 v21, 0x7fffffff, v23
	v_mov_b32_e32 v20, v22
	s_and_saveexec_b64 s[4:5], vcc
	s_xor_b64 s[4:5], exec, s[4:5]
; %bb.94:
	v_bfi_b32 v23, s16, v23, v17
	v_mov_b64_e32 v[20:21], v[14:15]
	v_mov_b64_e32 v[16:17], v[22:23]
; %bb.95:
	s_andn2_saveexec_b64 s[4:5], s[4:5]
; %bb.96:
	v_bfi_b32 v15, s16, v15, v17
	v_mov_b64_e32 v[16:17], v[14:15]
; %bb.97:
	s_or_b64 exec, exec, s[4:5]
.LBB222_98:
	s_or_b64 exec, exec, s[2:3]
.LBB222_99:
	s_andn2_saveexec_b64 s[2:3], s[14:15]
	s_cbranch_execz .LBB222_101
; %bb.100:
	v_add_f64 v[16:17], v[16:17], -v[16:17]
	v_div_scale_f64 v[20:21], vcc, v[16:17], v[16:17], v[16:17]
	v_rcp_f64_e32 v[22:23], v[20:21]
	s_nop 0
	v_fma_f64 v[24:25], -v[20:21], v[22:23], 1.0
	v_fmac_f64_e32 v[22:23], v[22:23], v[24:25]
	v_fma_f64 v[24:25], -v[20:21], v[22:23], 1.0
	v_fmac_f64_e32 v[22:23], v[22:23], v[24:25]
	v_mul_f64 v[24:25], v[20:21], v[22:23]
	v_fma_f64 v[20:21], -v[20:21], v[24:25], v[20:21]
	v_div_fmas_f64 v[20:21], v[20:21], v[22:23], v[24:25]
	v_div_fixup_f64 v[16:17], v[20:21], v[16:17], v[16:17]
	v_mov_b64_e32 v[20:21], v[14:15]
.LBB222_101:
	s_or_b64 exec, exec, s[2:3]
.LBB222_102:
	s_or_b64 exec, exec, s[12:13]
.LBB222_103:
	s_or_b64 exec, exec, s[10:11]
	v_mov_b64_e32 v[22:23], v[16:17]
.LBB222_104:
	s_or_b64 exec, exec, s[6:7]
	v_or_b32_e32 v14, 0x300, v0
	v_cmp_gt_i32_e32 vcc, s23, v14
	v_mov_b64_e32 v[16:17], 0
	s_and_saveexec_b64 s[6:7], vcc
	s_cbranch_execz .LBB222_117
; %bb.105:
	v_cmp_neq_f64_e32 vcc, 0, v[2:3]
	v_cmp_neq_f64_e64 s[2:3], 0, v[4:5]
	v_mov_b64_e32 v[16:17], 0
	s_or_b64 s[2:3], vcc, s[2:3]
	s_and_saveexec_b64 s[10:11], s[2:3]
	s_cbranch_execz .LBB222_140
; %bb.106:
	v_mov_b32_e32 v16, 0
	v_mov_b32_e32 v17, 0x7ff00000
	v_cmp_neq_f64_e64 s[2:3], |v[4:5]|, v[16:17]
	s_and_saveexec_b64 s[12:13], s[2:3]
	s_cbranch_execz .LBB222_139
; %bb.107:
	v_cmp_o_f64_e32 vcc, v[2:3], v[2:3]
                                        ; implicit-def: $vgpr16_vgpr17
	s_and_saveexec_b64 s[2:3], vcc
	s_xor_b64 s[14:15], exec, s[2:3]
	s_cbranch_execz .LBB222_136
; %bb.108:
	s_mov_b32 s2, 0
	s_mov_b32 s3, 0x7ff00000
	v_cmp_neq_f64_e64 s[2:3], |v[2:3]|, s[2:3]
                                        ; implicit-def: $vgpr16_vgpr17
	s_and_saveexec_b64 s[4:5], s[2:3]
	s_xor_b64 s[16:17], exec, s[4:5]
	s_cbranch_execz .LBB222_129
; %bb.109:
	v_max_f64 v[14:15], |v[4:5]|, |v[4:5]|
	v_max_f64 v[16:17], |v[2:3]|, |v[2:3]|
	s_mov_b32 s2, 0x99fcef32
	v_max_f64 v[14:15], v[16:17], v[14:15]
	s_mov_b32 s3, 0x7fda8279
	v_cmp_nle_f64_e64 s[2:3], s[2:3], v[14:15]
                                        ; implicit-def: $sgpr18_sgpr19
	s_and_saveexec_b64 s[4:5], s[2:3]
	s_xor_b64 s[4:5], exec, s[4:5]
	s_cbranch_execz .LBB222_113
; %bb.110:
	s_mov_b32 s18, 0
	s_mov_b32 s19, 0x200000
	v_cmp_le_f64_e64 s[20:21], |v[2:3]|, s[18:19]
	v_cmp_le_f64_e64 s[18:19], |v[4:5]|, s[18:19]
	s_and_b64 s[24:25], s[20:21], s[18:19]
	s_mov_b64 s[18:19], 0
	s_and_saveexec_b64 s[20:21], s[24:25]
; %bb.111:
	s_mov_b64 s[18:19], exec
	v_mul_f64 v[2:3], v[2:3], 4.0
	v_mul_f64 v[4:5], v[4:5], 4.0
; %bb.112:
	s_or_b64 exec, exec, s[20:21]
.LBB222_113:
	s_andn2_saveexec_b64 s[4:5], s[4:5]
; %bb.114:
	v_ldexp_f64 v[2:3], v[2:3], -2
	v_ldexp_f64 v[4:5], v[4:5], -2
	s_andn2_b64 s[18:19], s[18:19], exec
; %bb.115:
	s_or_b64 exec, exec, s[4:5]
	v_max_f64 v[14:15], |v[4:5]|, |v[4:5]|
	v_max_f64 v[16:17], |v[2:3]|, |v[2:3]|
	v_max_f64 v[14:15], v[16:17], v[14:15]
	v_frexp_exp_i32_f64_e32 v27, v[14:15]
	v_sub_u32_e32 v16, 0, v27
	v_ldexp_f64 v[14:15], |v[2:3]|, v16
	v_ldexp_f64 v[16:17], |v[4:5]|, v16
	v_mul_f64 v[16:17], v[16:17], v[16:17]
	v_fmac_f64_e32 v[16:17], v[14:15], v[14:15]
	v_rsq_f64_e32 v[14:15], v[16:17]
	v_cmp_eq_f64_e64 s[4:5], 0, v[16:17]
	s_movk_i32 s20, 0x204
	v_cmp_le_f64_e32 vcc, 0, v[2:3]
	v_mul_f64 v[18:19], v[16:17], v[14:15]
	v_mul_f64 v[14:15], v[14:15], 0.5
	v_fma_f64 v[24:25], -v[14:15], v[18:19], 0.5
	v_fmac_f64_e32 v[18:19], v[18:19], v[24:25]
	v_fmac_f64_e32 v[14:15], v[14:15], v[24:25]
	v_fma_f64 v[24:25], -v[18:19], v[18:19], v[16:17]
	v_fmac_f64_e32 v[18:19], v[24:25], v[14:15]
	v_cndmask_b32_e64 v15, v19, v17, s[4:5]
	v_cndmask_b32_e64 v14, v18, v16, s[4:5]
	v_ldexp_f64 v[14:15], v[14:15], v27
	v_cmp_o_f64_e64 s[4:5], v[4:5], v[4:5]
	v_mov_b32_e32 v16, 0x7ff80000
                                        ; implicit-def: $vgpr18_vgpr19
	s_nop 0
	v_cndmask_b32_e64 v14, 0, v14, s[4:5]
	v_cndmask_b32_e64 v15, v16, v15, s[4:5]
	v_cmp_class_f64_e64 s[4:5], v[2:3], s20
	v_cmp_class_f64_e64 s[20:21], v[4:5], s20
	v_mov_b32_e32 v16, 0x7ff00000
	s_or_b64 s[4:5], s[20:21], s[4:5]
	v_cndmask_b32_e64 v17, v15, v16, s[4:5]
	v_cndmask_b32_e64 v16, v14, 0, s[4:5]
                                        ; implicit-def: $vgpr14_vgpr15
	s_and_saveexec_b64 s[4:5], vcc
	s_xor_b64 s[4:5], exec, s[4:5]
	s_cbranch_execz .LBB222_122
; %bb.116:
	v_add_f64 v[2:3], v[2:3], v[16:17]
	s_mov_b32 s20, 0
	v_mul_f64 v[2:3], v[2:3], 0.5
	s_brev_b32 s21, 8
	v_mov_b32_e32 v14, 0x100
	v_cmp_gt_f64_e32 vcc, s[20:21], v[2:3]
	s_nop 1
	v_cndmask_b32_e32 v14, 0, v14, vcc
	v_ldexp_f64 v[2:3], v[2:3], v14
	v_rsq_f64_e32 v[14:15], v[2:3]
	s_nop 0
	v_mul_f64 v[16:17], v[2:3], v[14:15]
	v_mul_f64 v[14:15], v[14:15], 0.5
	v_fma_f64 v[18:19], -v[14:15], v[16:17], 0.5
	v_fmac_f64_e32 v[16:17], v[16:17], v[18:19]
	v_fma_f64 v[24:25], -v[16:17], v[16:17], v[2:3]
	v_fmac_f64_e32 v[14:15], v[14:15], v[18:19]
	v_fmac_f64_e32 v[16:17], v[24:25], v[14:15]
	v_fma_f64 v[18:19], -v[16:17], v[16:17], v[2:3]
	v_fmac_f64_e32 v[16:17], v[18:19], v[14:15]
	v_mov_b32_e32 v14, 0xffffff80
	v_cndmask_b32_e32 v14, 0, v14, vcc
	v_ldexp_f64 v[14:15], v[16:17], v14
	v_mov_b32_e32 v16, 0x260
	v_cmp_class_f64_e32 vcc, v[2:3], v16
	s_nop 1
	v_cndmask_b32_e32 v19, v15, v3, vcc
	v_cndmask_b32_e32 v18, v14, v2, vcc
	v_add_f64 v[2:3], v[18:19], v[18:19]
	v_div_scale_f64 v[14:15], s[20:21], v[2:3], v[2:3], v[4:5]
	v_rcp_f64_e32 v[16:17], v[14:15]
	s_nop 0
	v_fma_f64 v[24:25], -v[14:15], v[16:17], 1.0
	v_fmac_f64_e32 v[16:17], v[16:17], v[24:25]
	v_fma_f64 v[24:25], -v[14:15], v[16:17], 1.0
	v_fmac_f64_e32 v[16:17], v[16:17], v[24:25]
	v_div_scale_f64 v[24:25], vcc, v[4:5], v[2:3], v[4:5]
	v_mul_f64 v[28:29], v[24:25], v[16:17]
	v_fma_f64 v[14:15], -v[14:15], v[28:29], v[24:25]
	s_nop 1
	v_div_fmas_f64 v[14:15], v[14:15], v[16:17], v[28:29]
	v_div_fixup_f64 v[14:15], v[14:15], v[2:3], v[4:5]
                                        ; implicit-def: $vgpr16_vgpr17
                                        ; implicit-def: $vgpr2_vgpr3
	s_andn2_saveexec_b64 s[4:5], s[4:5]
	s_cbranch_execz .LBB222_124
	s_branch .LBB222_123
.LBB222_117:
	s_or_b64 exec, exec, s[6:7]
	s_and_saveexec_b64 s[2:3], s[0:1]
	s_xor_b64 s[0:1], exec, s[2:3]
	s_cbranch_execz .LBB222_141
.LBB222_118:
	v_mov_b32_e32 v27, 0
	v_lshl_add_u64 v[2:3], v[26:27], 4, s[8:9]
	v_mov_b32_e32 v0, v1
	global_store_dwordx4 v[2:3], v[10:13], off
	s_or_b64 exec, exec, s[0:1]
	v_cmp_gt_i32_e32 vcc, s23, v0
	s_and_saveexec_b64 s[0:1], vcc
	s_cbranch_execnz .LBB222_142
.LBB222_119:
	s_or_b64 exec, exec, s[0:1]
	v_cmp_gt_i32_e32 vcc, s23, v0
	s_and_saveexec_b64 s[0:1], vcc
	s_cbranch_execz .LBB222_143
.LBB222_120:
	v_add_u32_e32 v2, 0x100, v0
	v_add_u32_e32 v0, s22, v0
	v_mov_b32_e32 v1, 0
	v_lshl_add_u64 v[0:1], v[0:1], 4, s[8:9]
	global_store_dwordx4 v[0:1], v[20:23], off
	v_mov_b32_e32 v0, v2
	s_or_b64 exec, exec, s[0:1]
	v_cmp_gt_i32_e32 vcc, s23, v0
	s_and_saveexec_b64 s[0:1], vcc
	s_cbranch_execnz .LBB222_144
.LBB222_121:
	s_endpgm
.LBB222_122:
	s_andn2_saveexec_b64 s[4:5], s[4:5]
	s_cbranch_execz .LBB222_124
.LBB222_123:
	v_add_f64 v[2:3], v[16:17], -v[2:3]
	s_mov_b32 s20, 0
	v_mul_f64 v[2:3], v[2:3], 0.5
	s_brev_b32 s21, 8
	v_mov_b32_e32 v14, 0x100
	v_cmp_gt_f64_e32 vcc, s[20:21], v[2:3]
	s_nop 1
	v_cndmask_b32_e32 v14, 0, v14, vcc
	v_ldexp_f64 v[2:3], v[2:3], v14
	v_rsq_f64_e32 v[14:15], v[2:3]
	s_nop 0
	v_mul_f64 v[16:17], v[2:3], v[14:15]
	v_mul_f64 v[14:15], v[14:15], 0.5
	v_fma_f64 v[18:19], -v[14:15], v[16:17], 0.5
	v_fmac_f64_e32 v[16:17], v[16:17], v[18:19]
	v_fma_f64 v[24:25], -v[16:17], v[16:17], v[2:3]
	v_fmac_f64_e32 v[14:15], v[14:15], v[18:19]
	v_fmac_f64_e32 v[16:17], v[24:25], v[14:15]
	v_fma_f64 v[18:19], -v[16:17], v[16:17], v[2:3]
	v_fmac_f64_e32 v[16:17], v[18:19], v[14:15]
	v_mov_b32_e32 v14, 0xffffff80
	v_cndmask_b32_e32 v14, 0, v14, vcc
	v_ldexp_f64 v[14:15], v[16:17], v14
	v_mov_b32_e32 v16, 0x260
	v_cmp_class_f64_e32 vcc, v[2:3], v16
	v_and_b32_e32 v17, 0x7fffffff, v5
	v_mov_b32_e32 v16, v4
	v_cndmask_b32_e32 v15, v15, v3, vcc
	v_cndmask_b32_e32 v14, v14, v2, vcc
	v_add_f64 v[2:3], v[14:15], v[14:15]
	v_div_scale_f64 v[18:19], s[20:21], v[2:3], v[2:3], v[16:17]
	v_rcp_f64_e32 v[24:25], v[18:19]
	v_div_scale_f64 v[16:17], vcc, v[16:17], v[2:3], v[16:17]
	s_brev_b32 s20, -2
	v_fma_f64 v[28:29], -v[18:19], v[24:25], 1.0
	v_fmac_f64_e32 v[24:25], v[24:25], v[28:29]
	v_fma_f64 v[28:29], -v[18:19], v[24:25], 1.0
	v_fmac_f64_e32 v[24:25], v[24:25], v[28:29]
	v_mul_f64 v[28:29], v[16:17], v[24:25]
	v_fma_f64 v[16:17], -v[18:19], v[28:29], v[16:17]
	v_div_fmas_f64 v[16:17], v[16:17], v[24:25], v[28:29]
	v_div_fixup_f64 v[18:19], v[16:17], v[2:3], |v[4:5]|
	v_bfi_b32 v15, s20, v15, v5
.LBB222_124:
	s_or_b64 exec, exec, s[4:5]
                                        ; implicit-def: $vgpr16_vgpr17
                                        ; implicit-def: $vgpr4_vgpr5
	s_and_saveexec_b64 s[4:5], s[2:3]
	s_xor_b64 s[2:3], exec, s[4:5]
	s_cbranch_execz .LBB222_126
; %bb.125:
	v_mul_f64 v[2:3], v[18:19], 0.5
	v_mul_f64 v[4:5], v[14:15], 0.5
	v_cndmask_b32_e64 v17, v19, v3, s[18:19]
	v_cndmask_b32_e64 v16, v18, v2, s[18:19]
	;; [unrolled: 1-line block ×4, first 2 shown]
                                        ; implicit-def: $vgpr18_vgpr19
                                        ; implicit-def: $vgpr14_vgpr15
	s_andn2_saveexec_b64 s[2:3], s[2:3]
	s_cbranch_execnz .LBB222_127
	s_branch .LBB222_128
.LBB222_126:
	s_andn2_saveexec_b64 s[2:3], s[2:3]
.LBB222_127:
	v_add_f64 v[16:17], v[18:19], v[18:19]
	v_add_f64 v[4:5], v[14:15], v[14:15]
.LBB222_128:
	s_or_b64 exec, exec, s[2:3]
.LBB222_129:
	s_andn2_saveexec_b64 s[2:3], s[16:17]
	s_cbranch_execz .LBB222_135
; %bb.130:
	v_add_f64 v[14:15], v[4:5], -v[4:5]
	v_cmp_lt_i64_e32 vcc, -1, v[2:3]
	s_brev_b32 s16, -2
	v_and_b32_e32 v17, 0x7fffffff, v15
	v_mov_b32_e32 v16, v14
	s_and_saveexec_b64 s[4:5], vcc
	s_xor_b64 s[4:5], exec, s[4:5]
; %bb.131:
	v_bfi_b32 v15, s16, v15, v5
	v_mov_b64_e32 v[16:17], v[2:3]
	v_mov_b64_e32 v[4:5], v[14:15]
; %bb.132:
	s_andn2_saveexec_b64 s[4:5], s[4:5]
; %bb.133:
	v_bfi_b32 v3, s16, v3, v5
	v_mov_b64_e32 v[4:5], v[2:3]
; %bb.134:
	s_or_b64 exec, exec, s[4:5]
.LBB222_135:
	s_or_b64 exec, exec, s[2:3]
.LBB222_136:
	s_andn2_saveexec_b64 s[2:3], s[14:15]
	s_cbranch_execz .LBB222_138
; %bb.137:
	v_add_f64 v[4:5], v[4:5], -v[4:5]
	v_div_scale_f64 v[14:15], vcc, v[4:5], v[4:5], v[4:5]
	v_rcp_f64_e32 v[16:17], v[14:15]
	s_nop 0
	v_fma_f64 v[18:19], -v[14:15], v[16:17], 1.0
	v_fmac_f64_e32 v[16:17], v[16:17], v[18:19]
	v_fma_f64 v[18:19], -v[14:15], v[16:17], 1.0
	v_fmac_f64_e32 v[16:17], v[16:17], v[18:19]
	v_mul_f64 v[18:19], v[14:15], v[16:17]
	v_fma_f64 v[14:15], -v[14:15], v[18:19], v[14:15]
	v_div_fmas_f64 v[14:15], v[14:15], v[16:17], v[18:19]
	v_div_fixup_f64 v[4:5], v[14:15], v[4:5], v[4:5]
	v_mov_b64_e32 v[16:17], v[2:3]
.LBB222_138:
	s_or_b64 exec, exec, s[2:3]
.LBB222_139:
	s_or_b64 exec, exec, s[12:13]
.LBB222_140:
	s_or_b64 exec, exec, s[10:11]
	v_mov_b64_e32 v[18:19], v[4:5]
	s_or_b64 exec, exec, s[6:7]
	s_and_saveexec_b64 s[2:3], s[0:1]
	s_xor_b64 s[0:1], exec, s[2:3]
	s_cbranch_execnz .LBB222_118
.LBB222_141:
	s_or_b64 exec, exec, s[0:1]
	v_cmp_gt_i32_e32 vcc, s23, v0
	s_and_saveexec_b64 s[0:1], vcc
	s_cbranch_execz .LBB222_119
.LBB222_142:
	v_add_u32_e32 v2, 0x100, v0
	v_add_u32_e32 v0, s22, v0
	v_mov_b32_e32 v1, 0
	v_lshl_add_u64 v[0:1], v[0:1], 4, s[8:9]
	global_store_dwordx4 v[0:1], v[6:9], off
	v_mov_b32_e32 v0, v2
	s_or_b64 exec, exec, s[0:1]
	v_cmp_gt_i32_e32 vcc, s23, v0
	s_and_saveexec_b64 s[0:1], vcc
	s_cbranch_execnz .LBB222_120
.LBB222_143:
	s_or_b64 exec, exec, s[0:1]
	v_cmp_gt_i32_e32 vcc, s23, v0
	s_and_saveexec_b64 s[0:1], vcc
	s_cbranch_execz .LBB222_121
.LBB222_144:
	v_add_u32_e32 v0, s22, v0
	v_mov_b32_e32 v1, 0
	v_lshl_add_u64 v[0:1], v[0:1], 4, s[8:9]
	global_store_dwordx4 v[0:1], v[16:19], off
	s_endpgm
	.section	.rodata,"a",@progbits
	.p2align	6, 0x0
	.amdhsa_kernel _ZN2at6native27unrolled_elementwise_kernelIZZZNS0_16sqrt_kernel_cudaERNS_18TensorIteratorBaseEENKUlvE_clEvENKUlvE_clEvEUlN3c107complexIdEEE_St5arrayIPcLm2EELi4E23TrivialOffsetCalculatorILi1EjESE_NS0_6memory15LoadWithoutCastENSF_16StoreWithoutCastEEEviT_T0_T2_T3_T4_T5_
		.amdhsa_group_segment_fixed_size 0
		.amdhsa_private_segment_fixed_size 0
		.amdhsa_kernarg_size 28
		.amdhsa_user_sgpr_count 2
		.amdhsa_user_sgpr_dispatch_ptr 0
		.amdhsa_user_sgpr_queue_ptr 0
		.amdhsa_user_sgpr_kernarg_segment_ptr 1
		.amdhsa_user_sgpr_dispatch_id 0
		.amdhsa_user_sgpr_kernarg_preload_length 0
		.amdhsa_user_sgpr_kernarg_preload_offset 0
		.amdhsa_user_sgpr_private_segment_size 0
		.amdhsa_uses_dynamic_stack 0
		.amdhsa_enable_private_segment 0
		.amdhsa_system_sgpr_workgroup_id_x 1
		.amdhsa_system_sgpr_workgroup_id_y 0
		.amdhsa_system_sgpr_workgroup_id_z 0
		.amdhsa_system_sgpr_workgroup_info 0
		.amdhsa_system_vgpr_workitem_id 0
		.amdhsa_next_free_vgpr 32
		.amdhsa_next_free_sgpr 26
		.amdhsa_accum_offset 32
		.amdhsa_reserve_vcc 1
		.amdhsa_float_round_mode_32 0
		.amdhsa_float_round_mode_16_64 0
		.amdhsa_float_denorm_mode_32 3
		.amdhsa_float_denorm_mode_16_64 3
		.amdhsa_dx10_clamp 1
		.amdhsa_ieee_mode 1
		.amdhsa_fp16_overflow 0
		.amdhsa_tg_split 0
		.amdhsa_exception_fp_ieee_invalid_op 0
		.amdhsa_exception_fp_denorm_src 0
		.amdhsa_exception_fp_ieee_div_zero 0
		.amdhsa_exception_fp_ieee_overflow 0
		.amdhsa_exception_fp_ieee_underflow 0
		.amdhsa_exception_fp_ieee_inexact 0
		.amdhsa_exception_int_div_zero 0
	.end_amdhsa_kernel
	.section	.text._ZN2at6native27unrolled_elementwise_kernelIZZZNS0_16sqrt_kernel_cudaERNS_18TensorIteratorBaseEENKUlvE_clEvENKUlvE_clEvEUlN3c107complexIdEEE_St5arrayIPcLm2EELi4E23TrivialOffsetCalculatorILi1EjESE_NS0_6memory15LoadWithoutCastENSF_16StoreWithoutCastEEEviT_T0_T2_T3_T4_T5_,"axG",@progbits,_ZN2at6native27unrolled_elementwise_kernelIZZZNS0_16sqrt_kernel_cudaERNS_18TensorIteratorBaseEENKUlvE_clEvENKUlvE_clEvEUlN3c107complexIdEEE_St5arrayIPcLm2EELi4E23TrivialOffsetCalculatorILi1EjESE_NS0_6memory15LoadWithoutCastENSF_16StoreWithoutCastEEEviT_T0_T2_T3_T4_T5_,comdat
.Lfunc_end222:
	.size	_ZN2at6native27unrolled_elementwise_kernelIZZZNS0_16sqrt_kernel_cudaERNS_18TensorIteratorBaseEENKUlvE_clEvENKUlvE_clEvEUlN3c107complexIdEEE_St5arrayIPcLm2EELi4E23TrivialOffsetCalculatorILi1EjESE_NS0_6memory15LoadWithoutCastENSF_16StoreWithoutCastEEEviT_T0_T2_T3_T4_T5_, .Lfunc_end222-_ZN2at6native27unrolled_elementwise_kernelIZZZNS0_16sqrt_kernel_cudaERNS_18TensorIteratorBaseEENKUlvE_clEvENKUlvE_clEvEUlN3c107complexIdEEE_St5arrayIPcLm2EELi4E23TrivialOffsetCalculatorILi1EjESE_NS0_6memory15LoadWithoutCastENSF_16StoreWithoutCastEEEviT_T0_T2_T3_T4_T5_
                                        ; -- End function
	.set _ZN2at6native27unrolled_elementwise_kernelIZZZNS0_16sqrt_kernel_cudaERNS_18TensorIteratorBaseEENKUlvE_clEvENKUlvE_clEvEUlN3c107complexIdEEE_St5arrayIPcLm2EELi4E23TrivialOffsetCalculatorILi1EjESE_NS0_6memory15LoadWithoutCastENSF_16StoreWithoutCastEEEviT_T0_T2_T3_T4_T5_.num_vgpr, 32
	.set _ZN2at6native27unrolled_elementwise_kernelIZZZNS0_16sqrt_kernel_cudaERNS_18TensorIteratorBaseEENKUlvE_clEvENKUlvE_clEvEUlN3c107complexIdEEE_St5arrayIPcLm2EELi4E23TrivialOffsetCalculatorILi1EjESE_NS0_6memory15LoadWithoutCastENSF_16StoreWithoutCastEEEviT_T0_T2_T3_T4_T5_.num_agpr, 0
	.set _ZN2at6native27unrolled_elementwise_kernelIZZZNS0_16sqrt_kernel_cudaERNS_18TensorIteratorBaseEENKUlvE_clEvENKUlvE_clEvEUlN3c107complexIdEEE_St5arrayIPcLm2EELi4E23TrivialOffsetCalculatorILi1EjESE_NS0_6memory15LoadWithoutCastENSF_16StoreWithoutCastEEEviT_T0_T2_T3_T4_T5_.numbered_sgpr, 26
	.set _ZN2at6native27unrolled_elementwise_kernelIZZZNS0_16sqrt_kernel_cudaERNS_18TensorIteratorBaseEENKUlvE_clEvENKUlvE_clEvEUlN3c107complexIdEEE_St5arrayIPcLm2EELi4E23TrivialOffsetCalculatorILi1EjESE_NS0_6memory15LoadWithoutCastENSF_16StoreWithoutCastEEEviT_T0_T2_T3_T4_T5_.num_named_barrier, 0
	.set _ZN2at6native27unrolled_elementwise_kernelIZZZNS0_16sqrt_kernel_cudaERNS_18TensorIteratorBaseEENKUlvE_clEvENKUlvE_clEvEUlN3c107complexIdEEE_St5arrayIPcLm2EELi4E23TrivialOffsetCalculatorILi1EjESE_NS0_6memory15LoadWithoutCastENSF_16StoreWithoutCastEEEviT_T0_T2_T3_T4_T5_.private_seg_size, 0
	.set _ZN2at6native27unrolled_elementwise_kernelIZZZNS0_16sqrt_kernel_cudaERNS_18TensorIteratorBaseEENKUlvE_clEvENKUlvE_clEvEUlN3c107complexIdEEE_St5arrayIPcLm2EELi4E23TrivialOffsetCalculatorILi1EjESE_NS0_6memory15LoadWithoutCastENSF_16StoreWithoutCastEEEviT_T0_T2_T3_T4_T5_.uses_vcc, 1
	.set _ZN2at6native27unrolled_elementwise_kernelIZZZNS0_16sqrt_kernel_cudaERNS_18TensorIteratorBaseEENKUlvE_clEvENKUlvE_clEvEUlN3c107complexIdEEE_St5arrayIPcLm2EELi4E23TrivialOffsetCalculatorILi1EjESE_NS0_6memory15LoadWithoutCastENSF_16StoreWithoutCastEEEviT_T0_T2_T3_T4_T5_.uses_flat_scratch, 0
	.set _ZN2at6native27unrolled_elementwise_kernelIZZZNS0_16sqrt_kernel_cudaERNS_18TensorIteratorBaseEENKUlvE_clEvENKUlvE_clEvEUlN3c107complexIdEEE_St5arrayIPcLm2EELi4E23TrivialOffsetCalculatorILi1EjESE_NS0_6memory15LoadWithoutCastENSF_16StoreWithoutCastEEEviT_T0_T2_T3_T4_T5_.has_dyn_sized_stack, 0
	.set _ZN2at6native27unrolled_elementwise_kernelIZZZNS0_16sqrt_kernel_cudaERNS_18TensorIteratorBaseEENKUlvE_clEvENKUlvE_clEvEUlN3c107complexIdEEE_St5arrayIPcLm2EELi4E23TrivialOffsetCalculatorILi1EjESE_NS0_6memory15LoadWithoutCastENSF_16StoreWithoutCastEEEviT_T0_T2_T3_T4_T5_.has_recursion, 0
	.set _ZN2at6native27unrolled_elementwise_kernelIZZZNS0_16sqrt_kernel_cudaERNS_18TensorIteratorBaseEENKUlvE_clEvENKUlvE_clEvEUlN3c107complexIdEEE_St5arrayIPcLm2EELi4E23TrivialOffsetCalculatorILi1EjESE_NS0_6memory15LoadWithoutCastENSF_16StoreWithoutCastEEEviT_T0_T2_T3_T4_T5_.has_indirect_call, 0
	.section	.AMDGPU.csdata,"",@progbits
; Kernel info:
; codeLenInByte = 5924
; TotalNumSgprs: 32
; NumVgprs: 32
; NumAgprs: 0
; TotalNumVgprs: 32
; ScratchSize: 0
; MemoryBound: 0
; FloatMode: 240
; IeeeMode: 1
; LDSByteSize: 0 bytes/workgroup (compile time only)
; SGPRBlocks: 3
; VGPRBlocks: 3
; NumSGPRsForWavesPerEU: 32
; NumVGPRsForWavesPerEU: 32
; AccumOffset: 32
; Occupancy: 8
; WaveLimiterHint : 0
; COMPUTE_PGM_RSRC2:SCRATCH_EN: 0
; COMPUTE_PGM_RSRC2:USER_SGPR: 2
; COMPUTE_PGM_RSRC2:TRAP_HANDLER: 0
; COMPUTE_PGM_RSRC2:TGID_X_EN: 1
; COMPUTE_PGM_RSRC2:TGID_Y_EN: 0
; COMPUTE_PGM_RSRC2:TGID_Z_EN: 0
; COMPUTE_PGM_RSRC2:TIDIG_COMP_CNT: 0
; COMPUTE_PGM_RSRC3_GFX90A:ACCUM_OFFSET: 7
; COMPUTE_PGM_RSRC3_GFX90A:TG_SPLIT: 0
	.section	.text._ZN2at6native32elementwise_kernel_manual_unrollILi128ELi4EZNS0_22gpu_kernel_impl_nocastIZZZNS0_16sqrt_kernel_cudaERNS_18TensorIteratorBaseEENKUlvE_clEvENKUlvE_clEvEUlN3c107complexIdEEE_EEvS4_RKT_EUlibE_EEviT1_,"axG",@progbits,_ZN2at6native32elementwise_kernel_manual_unrollILi128ELi4EZNS0_22gpu_kernel_impl_nocastIZZZNS0_16sqrt_kernel_cudaERNS_18TensorIteratorBaseEENKUlvE_clEvENKUlvE_clEvEUlN3c107complexIdEEE_EEvS4_RKT_EUlibE_EEviT1_,comdat
	.globl	_ZN2at6native32elementwise_kernel_manual_unrollILi128ELi4EZNS0_22gpu_kernel_impl_nocastIZZZNS0_16sqrt_kernel_cudaERNS_18TensorIteratorBaseEENKUlvE_clEvENKUlvE_clEvEUlN3c107complexIdEEE_EEvS4_RKT_EUlibE_EEviT1_ ; -- Begin function _ZN2at6native32elementwise_kernel_manual_unrollILi128ELi4EZNS0_22gpu_kernel_impl_nocastIZZZNS0_16sqrt_kernel_cudaERNS_18TensorIteratorBaseEENKUlvE_clEvENKUlvE_clEvEUlN3c107complexIdEEE_EEvS4_RKT_EUlibE_EEviT1_
	.p2align	8
	.type	_ZN2at6native32elementwise_kernel_manual_unrollILi128ELi4EZNS0_22gpu_kernel_impl_nocastIZZZNS0_16sqrt_kernel_cudaERNS_18TensorIteratorBaseEENKUlvE_clEvENKUlvE_clEvEUlN3c107complexIdEEE_EEvS4_RKT_EUlibE_EEviT1_,@function
_ZN2at6native32elementwise_kernel_manual_unrollILi128ELi4EZNS0_22gpu_kernel_impl_nocastIZZZNS0_16sqrt_kernel_cudaERNS_18TensorIteratorBaseEENKUlvE_clEvENKUlvE_clEvEUlN3c107complexIdEEE_EEvS4_RKT_EUlibE_EEviT1_: ; @_ZN2at6native32elementwise_kernel_manual_unrollILi128ELi4EZNS0_22gpu_kernel_impl_nocastIZZZNS0_16sqrt_kernel_cudaERNS_18TensorIteratorBaseEENKUlvE_clEvENKUlvE_clEvEUlN3c107complexIdEEE_EEvS4_RKT_EUlibE_EEviT1_
; %bb.0:
	s_load_dword s55, s[0:1], 0x0
	s_load_dword s33, s[0:1], 0x8
	s_add_u32 s34, s0, 8
	s_addc_u32 s35, s1, 0
	v_lshl_or_b32 v16, s2, 9, v0
	v_or_b32_e32 v2, 0x180, v16
	s_waitcnt lgkmcnt(0)
	s_add_i32 s54, s33, -1
	s_cmp_gt_u32 s54, 1
	v_cmp_le_i32_e32 vcc, s55, v2
	s_cselect_b64 s[36:37], -1, 0
	s_mov_b64 s[24:25], 0
                                        ; implicit-def: $vgpr14_vgpr15
                                        ; implicit-def: $vgpr12_vgpr13
	s_and_saveexec_b64 s[0:1], vcc
	s_xor_b64 s[38:39], exec, s[0:1]
	s_cbranch_execz .LBB223_8
; %bb.1:
	s_load_dwordx4 s[24:27], s[34:35], 0x4
	s_load_dwordx2 s[40:41], s[34:35], 0x14
	s_load_dwordx4 s[20:23], s[34:35], 0xc4
	s_load_dwordx4 s[16:19], s[34:35], 0x148
	s_cmp_lg_u32 s33, 0
	s_cselect_b64 s[46:47], -1, 0
	s_add_u32 s44, s34, 0xc4
	s_addc_u32 s45, s35, 0
	s_min_u32 s56, s54, 15
	s_cmp_gt_u32 s33, 1
	s_cselect_b64 s[42:43], -1, 0
	v_cmp_gt_i32_e32 vcc, s55, v16
	s_and_saveexec_b64 s[48:49], vcc
	s_cbranch_execz .LBB223_15
; %bb.2:
	s_andn2_b64 vcc, exec, s[36:37]
	s_cbranch_vccnz .LBB223_23
; %bb.3:
	s_andn2_b64 vcc, exec, s[46:47]
	s_cbranch_vccnz .LBB223_86
; %bb.4:
	s_add_i32 s58, s56, 1
	s_cmp_eq_u32 s54, 2
	s_cbranch_scc1 .LBB223_88
; %bb.5:
	s_and_b32 s57, s58, 28
	s_mov_b32 s59, 0
	v_mov_b32_e32 v8, 0
	v_mov_b32_e32 v0, 0
	s_mov_b64 s[50:51], s[34:35]
	s_mov_b64 s[52:53], s[44:45]
	v_mov_b32_e32 v2, v16
.LBB223_6:                              ; =>This Inner Loop Header: Depth=1
	s_load_dwordx8 s[8:15], s[50:51], 0x4
	s_load_dwordx4 s[28:31], s[50:51], 0x24
	s_load_dwordx8 s[0:7], s[52:53], 0x0
	s_add_u32 s50, s50, 48
	s_addc_u32 s51, s51, 0
	s_waitcnt lgkmcnt(0)
	v_mul_hi_u32 v1, s9, v2
	v_add_u32_e32 v1, v2, v1
	v_lshrrev_b32_e32 v1, s10, v1
	v_mul_lo_u32 v3, v1, s8
	v_mul_hi_u32 v4, s12, v1
	v_sub_u32_e32 v2, v2, v3
	v_add_u32_e32 v3, v1, v4
	v_lshrrev_b32_e32 v3, s13, v3
	v_mul_lo_u32 v5, v3, s11
	v_mul_hi_u32 v6, s15, v3
	v_sub_u32_e32 v1, v1, v5
	v_add_u32_e32 v5, v3, v6
	v_mul_lo_u32 v4, v2, s1
	v_mul_lo_u32 v2, v2, s0
	;; [unrolled: 1-line block ×4, first 2 shown]
	v_lshrrev_b32_e32 v5, s28, v5
	v_add3_u32 v1, v2, v8, v1
	v_add3_u32 v0, v4, v0, v6
	v_mul_lo_u32 v2, v5, s14
	v_mul_hi_u32 v4, s30, v5
	v_sub_u32_e32 v2, v3, v2
	v_add_u32_e32 v3, v5, v4
	v_mul_lo_u32 v4, v2, s4
	v_mul_lo_u32 v6, v2, s5
	v_lshrrev_b32_e32 v2, s31, v3
	s_add_i32 s59, s59, 4
	v_mul_lo_u32 v3, v2, s29
	s_add_u32 s52, s52, 32
	v_sub_u32_e32 v3, v5, v3
	s_addc_u32 s53, s53, 0
	v_mul_lo_u32 v5, v3, s6
	v_mul_lo_u32 v3, v3, s7
	s_cmp_lg_u32 s57, s59
	v_add3_u32 v0, v6, v0, v3
	v_add3_u32 v8, v4, v1, v5
	s_cbranch_scc1 .LBB223_6
; %bb.7:
	v_mov_b32_e32 v1, v0
	s_branch .LBB223_89
.LBB223_8:
	s_andn2_saveexec_b64 s[26:27], s[38:39]
	s_cbranch_execz .LBB223_369
.LBB223_9:
	v_cndmask_b32_e64 v0, 0, 1, s[36:37]
	v_cmp_ne_u32_e64 s[0:1], 1, v0
	s_andn2_b64 vcc, exec, s[36:37]
	s_cbranch_vccnz .LBB223_22
; %bb.10:
	s_cmp_lg_u32 s33, 0
	s_mov_b32 s30, 0
	s_cbranch_scc0 .LBB223_25
; %bb.11:
	s_min_u32 s31, s54, 15
	s_add_i32 s31, s31, 1
	s_cmp_eq_u32 s54, 2
	s_cbranch_scc1 .LBB223_26
; %bb.12:
	s_and_b32 s30, s31, 28
	s_add_u32 s2, s34, 0xc4
	s_addc_u32 s3, s35, 0
	s_mov_b32 s36, 0
	v_mov_b32_e32 v18, 0
	v_mov_b32_e32 v0, 0
	s_mov_b64 s[28:29], s[34:35]
	v_mov_b32_e32 v3, v16
.LBB223_13:                             ; =>This Inner Loop Header: Depth=1
	s_load_dwordx8 s[12:19], s[28:29], 0x4
	s_load_dwordx4 s[20:23], s[28:29], 0x24
	s_load_dwordx8 s[4:11], s[2:3], 0x0
	s_add_u32 s28, s28, 48
	s_addc_u32 s29, s29, 0
	s_waitcnt lgkmcnt(0)
	v_mul_hi_u32 v1, s13, v3
	v_add_u32_e32 v1, v3, v1
	v_lshrrev_b32_e32 v1, s14, v1
	v_mul_lo_u32 v4, v1, s12
	v_mul_hi_u32 v5, s16, v1
	v_sub_u32_e32 v3, v3, v4
	v_add_u32_e32 v4, v1, v5
	v_lshrrev_b32_e32 v4, s17, v4
	v_mul_lo_u32 v6, v4, s15
	v_mul_hi_u32 v7, s19, v4
	v_sub_u32_e32 v1, v1, v6
	v_add_u32_e32 v6, v4, v7
	v_mul_lo_u32 v5, v3, s5
	v_mul_lo_u32 v3, v3, s4
	;; [unrolled: 1-line block ×4, first 2 shown]
	v_lshrrev_b32_e32 v6, s20, v6
	v_add3_u32 v1, v3, v18, v1
	v_add3_u32 v0, v5, v0, v7
	v_mul_lo_u32 v3, v6, s18
	v_mul_hi_u32 v5, s22, v6
	v_sub_u32_e32 v3, v4, v3
	v_add_u32_e32 v4, v6, v5
	v_mul_lo_u32 v5, v3, s8
	v_mul_lo_u32 v7, v3, s9
	v_lshrrev_b32_e32 v3, s23, v4
	s_add_i32 s36, s36, 4
	v_mul_lo_u32 v4, v3, s21
	s_add_u32 s2, s2, 32
	v_sub_u32_e32 v4, v6, v4
	s_addc_u32 s3, s3, 0
	v_mul_lo_u32 v6, v4, s10
	v_mul_lo_u32 v4, v4, s11
	s_cmp_lg_u32 s30, s36
	v_add3_u32 v0, v7, v0, v4
	v_add3_u32 v18, v5, v1, v6
	s_cbranch_scc1 .LBB223_13
; %bb.14:
	v_mov_b32_e32 v1, v0
	s_and_b32 s6, s31, 3
	s_cmp_eq_u32 s6, 0
	s_cbranch_scc0 .LBB223_27
	s_branch .LBB223_29
.LBB223_15:
	s_or_b64 exec, exec, s[48:49]
	v_cmp_gt_i32_e32 vcc, s55, v16
	s_and_saveexec_b64 s[48:49], vcc
	s_cbranch_execz .LBB223_259
.LBB223_16:
	s_andn2_b64 vcc, exec, s[36:37]
	s_cbranch_vccnz .LBB223_24
; %bb.17:
	s_andn2_b64 vcc, exec, s[46:47]
	s_cbranch_vccnz .LBB223_87
; %bb.18:
	s_add_i32 s58, s56, 1
	s_cmp_eq_u32 s54, 2
	s_cbranch_scc1 .LBB223_107
; %bb.19:
	s_and_b32 s57, s58, 28
	s_mov_b32 s59, 0
	v_mov_b32_e32 v8, 0
	v_mov_b32_e32 v0, 0
	s_mov_b64 s[50:51], s[34:35]
	s_mov_b64 s[52:53], s[44:45]
	v_mov_b32_e32 v2, v16
.LBB223_20:                             ; =>This Inner Loop Header: Depth=1
	s_load_dwordx8 s[8:15], s[50:51], 0x4
	s_load_dwordx4 s[28:31], s[50:51], 0x24
	s_load_dwordx8 s[0:7], s[52:53], 0x0
	s_add_u32 s50, s50, 48
	s_addc_u32 s51, s51, 0
	s_waitcnt lgkmcnt(0)
	v_mul_hi_u32 v1, s9, v2
	v_add_u32_e32 v1, v2, v1
	v_lshrrev_b32_e32 v1, s10, v1
	v_mul_lo_u32 v3, v1, s8
	v_mul_hi_u32 v4, s12, v1
	v_sub_u32_e32 v2, v2, v3
	v_add_u32_e32 v3, v1, v4
	v_lshrrev_b32_e32 v3, s13, v3
	v_mul_lo_u32 v5, v3, s11
	v_mul_hi_u32 v6, s15, v3
	v_sub_u32_e32 v1, v1, v5
	v_add_u32_e32 v5, v3, v6
	v_mul_lo_u32 v4, v2, s1
	v_mul_lo_u32 v2, v2, s0
	v_mul_lo_u32 v6, v1, s3
	v_mul_lo_u32 v1, v1, s2
	v_lshrrev_b32_e32 v5, s28, v5
	v_add3_u32 v1, v2, v8, v1
	v_add3_u32 v0, v4, v0, v6
	v_mul_lo_u32 v2, v5, s14
	v_mul_hi_u32 v4, s30, v5
	v_sub_u32_e32 v2, v3, v2
	v_add_u32_e32 v3, v5, v4
	v_mul_lo_u32 v4, v2, s4
	v_mul_lo_u32 v6, v2, s5
	v_lshrrev_b32_e32 v2, s31, v3
	s_add_i32 s59, s59, 4
	v_mul_lo_u32 v3, v2, s29
	s_add_u32 s52, s52, 32
	v_sub_u32_e32 v3, v5, v3
	s_addc_u32 s53, s53, 0
	v_mul_lo_u32 v5, v3, s6
	v_mul_lo_u32 v3, v3, s7
	s_cmp_eq_u32 s57, s59
	v_add3_u32 v0, v6, v0, v3
	v_add3_u32 v8, v4, v1, v5
	s_cbranch_scc0 .LBB223_20
; %bb.21:
	v_mov_b32_e32 v1, v0
	s_branch .LBB223_108
.LBB223_22:
                                        ; implicit-def: $vgpr0
                                        ; implicit-def: $vgpr18
	s_branch .LBB223_30
.LBB223_23:
                                        ; implicit-def: $vgpr0
                                        ; implicit-def: $vgpr8
	s_branch .LBB223_93
.LBB223_24:
                                        ; implicit-def: $vgpr0
                                        ; implicit-def: $vgpr8
	s_branch .LBB223_112
.LBB223_25:
	v_mov_b32_e32 v0, 0
	v_mov_b32_e32 v18, 0
	s_branch .LBB223_29
.LBB223_26:
	v_mov_b32_e32 v18, 0
                                        ; implicit-def: $vgpr0
	v_mov_b32_e32 v1, v18
	v_mov_b32_e32 v3, v16
	s_and_b32 s6, s31, 3
	s_cmp_eq_u32 s6, 0
	s_cbranch_scc1 .LBB223_29
.LBB223_27:
	s_lshl_b32 s2, s30, 3
	s_add_u32 s2, s34, s2
	s_addc_u32 s3, s35, 0
	s_add_u32 s2, s2, 0xc4
	s_addc_u32 s3, s3, 0
	s_mul_i32 s4, s30, 12
	s_add_u32 s4, s34, s4
	s_addc_u32 s5, s35, 0
.LBB223_28:                             ; =>This Inner Loop Header: Depth=1
	s_load_dwordx2 s[8:9], s[4:5], 0x4
	s_load_dword s7, s[4:5], 0xc
	s_load_dwordx2 s[10:11], s[2:3], 0x0
	v_mov_b32_e32 v0, v1
	s_add_u32 s4, s4, 12
	s_waitcnt lgkmcnt(0)
	v_mul_hi_u32 v1, s9, v3
	v_add_u32_e32 v1, v3, v1
	v_lshrrev_b32_e32 v1, s7, v1
	s_addc_u32 s5, s5, 0
	v_mul_lo_u32 v4, v1, s8
	s_add_u32 s2, s2, 8
	v_sub_u32_e32 v4, v3, v4
	s_addc_u32 s3, s3, 0
	s_add_i32 s6, s6, -1
	v_mov_b32_e32 v3, v1
	v_mad_u64_u32 v[0:1], s[8:9], v4, s11, v[0:1]
	s_cmp_lg_u32 s6, 0
	v_mad_u64_u32 v[18:19], s[8:9], v4, s10, v[18:19]
	v_mov_b32_e32 v1, v0
	s_cbranch_scc1 .LBB223_28
.LBB223_29:
	s_cbranch_execnz .LBB223_32
.LBB223_30:
	s_load_dwordx4 s[4:7], s[34:35], 0x4
	s_load_dwordx2 s[2:3], s[34:35], 0xc4
	s_cmp_lt_u32 s33, 2
	s_waitcnt lgkmcnt(0)
	v_mul_hi_u32 v0, s5, v16
	v_add_u32_e32 v0, v16, v0
	v_lshrrev_b32_e32 v1, s6, v0
	v_mul_lo_u32 v0, v1, s4
	v_sub_u32_e32 v3, v16, v0
	v_mul_lo_u32 v0, v3, s3
	v_mul_lo_u32 v18, v3, s2
	s_cbranch_scc1 .LBB223_32
; %bb.31:
	s_load_dwordx4 s[4:7], s[34:35], 0x10
	s_load_dwordx2 s[2:3], s[34:35], 0xcc
	s_waitcnt lgkmcnt(0)
	v_mul_hi_u32 v3, s5, v1
	v_add_u32_e32 v3, v1, v3
	v_lshrrev_b32_e32 v3, s6, v3
	v_mul_lo_u32 v3, v3, s4
	v_sub_u32_e32 v1, v1, v3
	v_mad_u64_u32 v[18:19], s[4:5], v1, s2, v[18:19]
	v_mad_u64_u32 v[0:1], s[2:3], v1, s3, v[0:1]
.LBB223_32:
	s_and_b64 vcc, exec, s[0:1]
	v_add_u32_e32 v3, 0x80, v16
	s_cbranch_vccnz .LBB223_38
; %bb.33:
	s_cmp_lg_u32 s33, 0
	s_mov_b32 s30, 0
	s_cbranch_scc0 .LBB223_39
; %bb.34:
	s_min_u32 s31, s54, 15
	s_add_i32 s31, s31, 1
	s_cmp_eq_u32 s54, 2
	s_cbranch_scc1 .LBB223_40
; %bb.35:
	s_and_b32 s30, s31, 28
	s_add_u32 s2, s34, 0xc4
	s_addc_u32 s3, s35, 0
	s_mov_b32 s36, 0
	v_mov_b32_e32 v20, 0
	v_mov_b32_e32 v8, 0
	s_mov_b64 s[28:29], s[34:35]
	v_mov_b32_e32 v4, v3
.LBB223_36:                             ; =>This Inner Loop Header: Depth=1
	s_load_dwordx8 s[12:19], s[28:29], 0x4
	s_load_dwordx4 s[20:23], s[28:29], 0x24
	s_load_dwordx8 s[4:11], s[2:3], 0x0
	s_add_u32 s28, s28, 48
	s_addc_u32 s29, s29, 0
	s_waitcnt lgkmcnt(0)
	v_mul_hi_u32 v1, s13, v4
	v_add_u32_e32 v1, v4, v1
	v_lshrrev_b32_e32 v1, s14, v1
	v_mul_lo_u32 v5, v1, s12
	v_mul_hi_u32 v6, s16, v1
	v_sub_u32_e32 v4, v4, v5
	v_add_u32_e32 v5, v1, v6
	v_lshrrev_b32_e32 v5, s17, v5
	v_mul_lo_u32 v7, v5, s15
	v_mul_hi_u32 v9, s19, v5
	v_sub_u32_e32 v1, v1, v7
	v_add_u32_e32 v7, v5, v9
	v_mul_lo_u32 v6, v4, s5
	v_mul_lo_u32 v4, v4, s4
	;; [unrolled: 1-line block ×4, first 2 shown]
	v_lshrrev_b32_e32 v7, s20, v7
	v_add3_u32 v1, v4, v20, v1
	v_add3_u32 v6, v6, v8, v9
	v_mul_lo_u32 v4, v7, s18
	v_mul_hi_u32 v8, s22, v7
	v_sub_u32_e32 v4, v5, v4
	v_add_u32_e32 v5, v7, v8
	v_mul_lo_u32 v9, v4, s8
	v_mul_lo_u32 v8, v4, s9
	v_lshrrev_b32_e32 v4, s23, v5
	s_add_i32 s36, s36, 4
	v_mul_lo_u32 v5, v4, s21
	s_add_u32 s2, s2, 32
	v_sub_u32_e32 v5, v7, v5
	s_addc_u32 s3, s3, 0
	v_mul_lo_u32 v7, v5, s10
	v_mul_lo_u32 v5, v5, s11
	s_cmp_lg_u32 s30, s36
	v_add3_u32 v8, v8, v6, v5
	v_add3_u32 v20, v9, v1, v7
	s_cbranch_scc1 .LBB223_36
; %bb.37:
	v_mov_b32_e32 v1, v8
	s_and_b32 s6, s31, 3
	s_cmp_eq_u32 s6, 0
	s_cbranch_scc0 .LBB223_41
	s_branch .LBB223_43
.LBB223_38:
                                        ; implicit-def: $vgpr8
                                        ; implicit-def: $vgpr20
	s_branch .LBB223_44
.LBB223_39:
	v_mov_b32_e32 v8, 0
	v_mov_b32_e32 v20, 0
	s_branch .LBB223_43
.LBB223_40:
	v_mov_b32_e32 v20, 0
                                        ; implicit-def: $vgpr8
	v_mov_b32_e32 v1, v20
	v_mov_b32_e32 v4, v3
	s_and_b32 s6, s31, 3
	s_cmp_eq_u32 s6, 0
	s_cbranch_scc1 .LBB223_43
.LBB223_41:
	s_lshl_b32 s2, s30, 3
	s_add_u32 s2, s34, s2
	s_addc_u32 s3, s35, 0
	s_add_u32 s2, s2, 0xc4
	s_addc_u32 s3, s3, 0
	s_mul_i32 s4, s30, 12
	s_add_u32 s4, s34, s4
	s_addc_u32 s5, s35, 0
.LBB223_42:                             ; =>This Inner Loop Header: Depth=1
	s_load_dwordx2 s[8:9], s[4:5], 0x4
	s_load_dword s7, s[4:5], 0xc
	s_load_dwordx2 s[10:11], s[2:3], 0x0
	v_mov_b32_e32 v6, v1
	s_add_u32 s4, s4, 12
	s_waitcnt lgkmcnt(0)
	v_mul_hi_u32 v1, s9, v4
	v_add_u32_e32 v1, v4, v1
	v_lshrrev_b32_e32 v1, s7, v1
	s_addc_u32 s5, s5, 0
	v_mul_lo_u32 v5, v1, s8
	s_add_u32 s2, s2, 8
	v_sub_u32_e32 v5, v4, v5
	s_addc_u32 s3, s3, 0
	s_add_i32 s6, s6, -1
	v_mad_u64_u32 v[8:9], s[8:9], v5, s11, v[6:7]
	s_cmp_lg_u32 s6, 0
	v_mov_b32_e32 v4, v1
	v_mad_u64_u32 v[20:21], s[8:9], v5, s10, v[20:21]
	v_mov_b32_e32 v1, v8
	s_cbranch_scc1 .LBB223_42
.LBB223_43:
	s_cbranch_execnz .LBB223_46
.LBB223_44:
	s_load_dwordx4 s[4:7], s[34:35], 0x4
	s_load_dwordx2 s[2:3], s[34:35], 0xc4
	s_cmp_lt_u32 s33, 2
	s_waitcnt lgkmcnt(0)
	v_mul_hi_u32 v1, s5, v3
	v_add_u32_e32 v1, v3, v1
	v_lshrrev_b32_e32 v1, s6, v1
	v_mul_lo_u32 v4, v1, s4
	v_sub_u32_e32 v3, v3, v4
	v_mul_lo_u32 v8, v3, s3
	v_mul_lo_u32 v20, v3, s2
	s_cbranch_scc1 .LBB223_46
; %bb.45:
	s_load_dwordx4 s[4:7], s[34:35], 0x10
	s_load_dwordx2 s[2:3], s[34:35], 0xcc
	s_waitcnt lgkmcnt(0)
	v_mul_hi_u32 v3, s5, v1
	v_add_u32_e32 v3, v1, v3
	v_lshrrev_b32_e32 v3, s6, v3
	v_mul_lo_u32 v3, v3, s4
	v_sub_u32_e32 v1, v1, v3
	v_mad_u64_u32 v[20:21], s[4:5], v1, s2, v[20:21]
	v_mad_u64_u32 v[8:9], s[2:3], v1, s3, v[8:9]
.LBB223_46:
	s_and_b64 vcc, exec, s[0:1]
	v_add_u32_e32 v3, 0x100, v16
	s_cbranch_vccnz .LBB223_52
; %bb.47:
	s_cmp_lg_u32 s33, 0
	s_mov_b32 s30, 0
	s_cbranch_scc0 .LBB223_53
; %bb.48:
	s_min_u32 s31, s54, 15
	s_add_i32 s31, s31, 1
	s_cmp_eq_u32 s54, 2
	s_cbranch_scc1 .LBB223_54
; %bb.49:
	s_and_b32 s30, s31, 28
	s_add_u32 s2, s34, 0xc4
	s_addc_u32 s3, s35, 0
	s_mov_b32 s36, 0
	v_mov_b32_e32 v22, 0
	v_mov_b32_e32 v14, 0
	s_mov_b64 s[28:29], s[34:35]
	v_mov_b32_e32 v4, v3
.LBB223_50:                             ; =>This Inner Loop Header: Depth=1
	s_load_dwordx8 s[12:19], s[28:29], 0x4
	s_load_dwordx4 s[20:23], s[28:29], 0x24
	s_load_dwordx8 s[4:11], s[2:3], 0x0
	s_add_u32 s28, s28, 48
	s_addc_u32 s29, s29, 0
	s_waitcnt lgkmcnt(0)
	v_mul_hi_u32 v1, s13, v4
	v_add_u32_e32 v1, v4, v1
	v_lshrrev_b32_e32 v1, s14, v1
	v_mul_lo_u32 v5, v1, s12
	v_mul_hi_u32 v6, s16, v1
	v_sub_u32_e32 v4, v4, v5
	v_add_u32_e32 v5, v1, v6
	v_lshrrev_b32_e32 v5, s17, v5
	v_mul_lo_u32 v7, v5, s15
	v_mul_hi_u32 v9, s19, v5
	v_sub_u32_e32 v1, v1, v7
	v_add_u32_e32 v7, v5, v9
	v_mul_lo_u32 v6, v4, s5
	v_mul_lo_u32 v4, v4, s4
	;; [unrolled: 1-line block ×4, first 2 shown]
	v_lshrrev_b32_e32 v7, s20, v7
	v_add3_u32 v1, v4, v22, v1
	v_add3_u32 v6, v6, v14, v9
	v_mul_lo_u32 v4, v7, s18
	v_mul_hi_u32 v9, s22, v7
	v_sub_u32_e32 v4, v5, v4
	v_add_u32_e32 v5, v7, v9
	v_mul_lo_u32 v9, v4, s8
	v_mul_lo_u32 v10, v4, s9
	v_lshrrev_b32_e32 v4, s23, v5
	s_add_i32 s36, s36, 4
	v_mul_lo_u32 v5, v4, s21
	s_add_u32 s2, s2, 32
	v_sub_u32_e32 v5, v7, v5
	s_addc_u32 s3, s3, 0
	v_mul_lo_u32 v7, v5, s10
	v_mul_lo_u32 v5, v5, s11
	s_cmp_lg_u32 s30, s36
	v_add3_u32 v14, v10, v6, v5
	v_add3_u32 v22, v9, v1, v7
	s_cbranch_scc1 .LBB223_50
; %bb.51:
	v_mov_b32_e32 v1, v14
	s_and_b32 s6, s31, 3
	s_cmp_eq_u32 s6, 0
	s_cbranch_scc0 .LBB223_55
	s_branch .LBB223_57
.LBB223_52:
                                        ; implicit-def: $vgpr14
                                        ; implicit-def: $vgpr22
	s_branch .LBB223_58
.LBB223_53:
	v_mov_b32_e32 v14, 0
	v_mov_b32_e32 v22, 0
	s_branch .LBB223_57
.LBB223_54:
	v_mov_b32_e32 v22, 0
                                        ; implicit-def: $vgpr14
	v_mov_b32_e32 v1, v22
	v_mov_b32_e32 v4, v3
	s_and_b32 s6, s31, 3
	s_cmp_eq_u32 s6, 0
	s_cbranch_scc1 .LBB223_57
.LBB223_55:
	s_lshl_b32 s2, s30, 3
	s_add_u32 s2, s34, s2
	s_addc_u32 s3, s35, 0
	s_add_u32 s2, s2, 0xc4
	s_addc_u32 s3, s3, 0
	s_mul_i32 s4, s30, 12
	s_add_u32 s4, s34, s4
	s_addc_u32 s5, s35, 0
.LBB223_56:                             ; =>This Inner Loop Header: Depth=1
	s_load_dwordx2 s[8:9], s[4:5], 0x4
	s_load_dword s7, s[4:5], 0xc
	s_load_dwordx2 s[10:11], s[2:3], 0x0
	v_mov_b32_e32 v6, v1
	s_add_u32 s4, s4, 12
	s_waitcnt lgkmcnt(0)
	v_mul_hi_u32 v1, s9, v4
	v_add_u32_e32 v1, v4, v1
	v_lshrrev_b32_e32 v1, s7, v1
	s_addc_u32 s5, s5, 0
	v_mul_lo_u32 v5, v1, s8
	s_add_u32 s2, s2, 8
	v_sub_u32_e32 v5, v4, v5
	s_addc_u32 s3, s3, 0
	s_add_i32 s6, s6, -1
	v_mad_u64_u32 v[14:15], s[8:9], v5, s11, v[6:7]
	s_cmp_lg_u32 s6, 0
	v_mov_b32_e32 v4, v1
	v_mad_u64_u32 v[22:23], s[8:9], v5, s10, v[22:23]
	v_mov_b32_e32 v1, v14
	s_cbranch_scc1 .LBB223_56
.LBB223_57:
	s_cbranch_execnz .LBB223_60
.LBB223_58:
	s_load_dwordx4 s[4:7], s[34:35], 0x4
	s_load_dwordx2 s[2:3], s[34:35], 0xc4
	s_cmp_lt_u32 s33, 2
	s_waitcnt lgkmcnt(0)
	v_mul_hi_u32 v1, s5, v3
	v_add_u32_e32 v1, v3, v1
	v_lshrrev_b32_e32 v1, s6, v1
	v_mul_lo_u32 v4, v1, s4
	v_sub_u32_e32 v3, v3, v4
	v_mul_lo_u32 v14, v3, s3
	v_mul_lo_u32 v22, v3, s2
	s_cbranch_scc1 .LBB223_60
; %bb.59:
	s_load_dwordx4 s[4:7], s[34:35], 0x10
	s_load_dwordx2 s[2:3], s[34:35], 0xcc
	s_waitcnt lgkmcnt(0)
	v_mul_hi_u32 v3, s5, v1
	v_add_u32_e32 v3, v1, v3
	v_lshrrev_b32_e32 v3, s6, v3
	v_mul_lo_u32 v3, v3, s4
	v_sub_u32_e32 v1, v1, v3
	v_mad_u64_u32 v[22:23], s[4:5], v1, s2, v[22:23]
	v_mad_u64_u32 v[14:15], s[2:3], v1, s3, v[14:15]
.LBB223_60:
	s_and_b64 vcc, exec, s[0:1]
	s_cbranch_vccnz .LBB223_66
; %bb.61:
	s_cmp_lg_u32 s33, 0
	s_mov_b32 s28, 0
	s_cbranch_scc0 .LBB223_67
; %bb.62:
	s_min_u32 s29, s54, 15
	s_add_i32 s29, s29, 1
	s_cmp_eq_u32 s54, 2
	s_cbranch_scc1 .LBB223_68
; %bb.63:
	s_and_b32 s28, s29, 28
	s_add_u32 s20, s34, 0xc4
	s_addc_u32 s21, s35, 0
	s_mov_b32 s30, 0
	v_mov_b32_e32 v24, 0
	v_mov_b32_e32 v12, 0
	s_mov_b64 s[22:23], s[34:35]
	v_mov_b32_e32 v3, v2
.LBB223_64:                             ; =>This Inner Loop Header: Depth=1
	s_load_dwordx8 s[8:15], s[22:23], 0x4
	s_load_dwordx4 s[16:19], s[22:23], 0x24
	s_load_dwordx8 s[0:7], s[20:21], 0x0
	s_add_u32 s22, s22, 48
	s_addc_u32 s23, s23, 0
	s_waitcnt lgkmcnt(0)
	v_mul_hi_u32 v1, s9, v3
	v_add_u32_e32 v1, v3, v1
	v_lshrrev_b32_e32 v1, s10, v1
	v_mul_lo_u32 v4, v1, s8
	v_mul_hi_u32 v5, s12, v1
	v_sub_u32_e32 v3, v3, v4
	v_add_u32_e32 v4, v1, v5
	v_lshrrev_b32_e32 v4, s13, v4
	v_mul_lo_u32 v6, v4, s11
	v_mul_hi_u32 v7, s15, v4
	v_sub_u32_e32 v1, v1, v6
	v_add_u32_e32 v6, v4, v7
	v_mul_lo_u32 v5, v3, s1
	v_mul_lo_u32 v3, v3, s0
	;; [unrolled: 1-line block ×4, first 2 shown]
	v_lshrrev_b32_e32 v6, s16, v6
	v_add3_u32 v1, v3, v24, v1
	v_add3_u32 v5, v5, v12, v7
	v_mul_lo_u32 v3, v6, s14
	v_mul_hi_u32 v7, s18, v6
	v_sub_u32_e32 v3, v4, v3
	v_add_u32_e32 v4, v6, v7
	v_mul_lo_u32 v7, v3, s4
	v_mul_lo_u32 v9, v3, s5
	v_lshrrev_b32_e32 v3, s19, v4
	s_add_i32 s30, s30, 4
	v_mul_lo_u32 v4, v3, s17
	s_add_u32 s20, s20, 32
	v_sub_u32_e32 v4, v6, v4
	s_addc_u32 s21, s21, 0
	v_mul_lo_u32 v6, v4, s6
	v_mul_lo_u32 v4, v4, s7
	s_cmp_lg_u32 s28, s30
	v_add3_u32 v12, v9, v5, v4
	v_add3_u32 v24, v7, v1, v6
	s_cbranch_scc1 .LBB223_64
; %bb.65:
	v_mov_b32_e32 v1, v12
	s_and_b32 s4, s29, 3
	s_cmp_eq_u32 s4, 0
	s_cbranch_scc0 .LBB223_69
	s_branch .LBB223_71
.LBB223_66:
                                        ; implicit-def: $vgpr12
                                        ; implicit-def: $vgpr24
	s_branch .LBB223_72
.LBB223_67:
	v_mov_b32_e32 v12, 0
	v_mov_b32_e32 v24, 0
	s_branch .LBB223_71
.LBB223_68:
	v_mov_b32_e32 v24, 0
                                        ; implicit-def: $vgpr12
	v_mov_b32_e32 v1, v24
	v_mov_b32_e32 v3, v2
	s_and_b32 s4, s29, 3
	s_cmp_eq_u32 s4, 0
	s_cbranch_scc1 .LBB223_71
.LBB223_69:
	s_lshl_b32 s0, s28, 3
	s_add_u32 s0, s34, s0
	s_addc_u32 s1, s35, 0
	s_add_u32 s0, s0, 0xc4
	s_addc_u32 s1, s1, 0
	s_mul_i32 s2, s28, 12
	s_add_u32 s2, s34, s2
	s_addc_u32 s3, s35, 0
.LBB223_70:                             ; =>This Inner Loop Header: Depth=1
	s_load_dwordx2 s[6:7], s[2:3], 0x4
	s_load_dword s5, s[2:3], 0xc
	s_load_dwordx2 s[8:9], s[0:1], 0x0
	v_mov_b32_e32 v4, v1
	s_add_u32 s2, s2, 12
	s_waitcnt lgkmcnt(0)
	v_mul_hi_u32 v1, s7, v3
	v_add_u32_e32 v1, v3, v1
	v_lshrrev_b32_e32 v1, s5, v1
	s_addc_u32 s3, s3, 0
	v_mul_lo_u32 v5, v1, s6
	s_add_u32 s0, s0, 8
	v_sub_u32_e32 v5, v3, v5
	s_addc_u32 s1, s1, 0
	s_add_i32 s4, s4, -1
	v_mad_u64_u32 v[12:13], s[6:7], v5, s9, v[4:5]
	s_cmp_lg_u32 s4, 0
	v_mov_b32_e32 v3, v1
	v_mad_u64_u32 v[24:25], s[6:7], v5, s8, v[24:25]
	v_mov_b32_e32 v1, v12
	s_cbranch_scc1 .LBB223_70
.LBB223_71:
	s_cbranch_execnz .LBB223_74
.LBB223_72:
	s_load_dwordx4 s[0:3], s[34:35], 0x4
	s_load_dwordx2 s[4:5], s[34:35], 0xc4
	s_cmp_lt_u32 s33, 2
	s_waitcnt lgkmcnt(0)
	v_mul_hi_u32 v1, s1, v2
	v_add_u32_e32 v1, v2, v1
	v_lshrrev_b32_e32 v1, s2, v1
	v_mul_lo_u32 v3, v1, s0
	v_sub_u32_e32 v2, v2, v3
	v_mul_lo_u32 v12, v2, s5
	v_mul_lo_u32 v24, v2, s4
	s_cbranch_scc1 .LBB223_74
; %bb.73:
	s_load_dwordx4 s[0:3], s[34:35], 0x10
	s_load_dwordx2 s[4:5], s[34:35], 0xcc
	s_waitcnt lgkmcnt(0)
	v_mul_hi_u32 v2, s1, v1
	v_add_u32_e32 v2, v1, v2
	v_lshrrev_b32_e32 v2, s2, v2
	v_mul_lo_u32 v2, v2, s0
	v_sub_u32_e32 v1, v1, v2
	v_mad_u64_u32 v[24:25], s[0:1], v1, s4, v[24:25]
	v_mad_u64_u32 v[12:13], s[0:1], v1, s5, v[12:13]
.LBB223_74:
	s_load_dwordx4 s[4:7], s[34:35], 0x148
	v_mov_b64_e32 v[4:5], 0
	v_mov_b64_e32 v[6:7], 0
	s_waitcnt lgkmcnt(0)
	global_load_dwordx4 v[0:3], v0, s[6:7]
	s_waitcnt vmcnt(0)
	v_cmp_neq_f64_e32 vcc, 0, v[0:1]
	v_cmp_neq_f64_e64 s[0:1], 0, v[2:3]
	s_or_b64 s[0:1], vcc, s[0:1]
	s_and_saveexec_b64 s[8:9], s[0:1]
	s_cbranch_execz .LBB223_144
; %bb.75:
	v_mov_b32_e32 v6, 0
	v_mov_b32_e32 v7, 0x7ff00000
	v_cmp_neq_f64_e64 s[0:1], |v[2:3]|, v[6:7]
	s_and_saveexec_b64 s[10:11], s[0:1]
	s_cbranch_execz .LBB223_143
; %bb.76:
	v_cmp_o_f64_e32 vcc, v[0:1], v[0:1]
                                        ; implicit-def: $vgpr6_vgpr7
	s_and_saveexec_b64 s[0:1], vcc
	s_xor_b64 s[12:13], exec, s[0:1]
	s_cbranch_execz .LBB223_140
; %bb.77:
	s_mov_b32 s0, 0
	s_mov_b32 s1, 0x7ff00000
	v_cmp_neq_f64_e64 s[0:1], |v[0:1]|, s[0:1]
                                        ; implicit-def: $vgpr6_vgpr7
	s_and_saveexec_b64 s[2:3], s[0:1]
	s_xor_b64 s[14:15], exec, s[2:3]
	s_cbranch_execz .LBB223_133
; %bb.78:
	v_max_f64 v[6:7], |v[2:3]|, |v[2:3]|
	v_max_f64 v[10:11], |v[0:1]|, |v[0:1]|
	s_mov_b32 s0, 0x99fcef32
	v_max_f64 v[6:7], v[10:11], v[6:7]
	s_mov_b32 s1, 0x7fda8279
	v_cmp_nle_f64_e64 s[0:1], s[0:1], v[6:7]
                                        ; implicit-def: $sgpr16_sgpr17
	s_and_saveexec_b64 s[2:3], s[0:1]
	s_xor_b64 s[2:3], exec, s[2:3]
	s_cbranch_execz .LBB223_82
; %bb.79:
	s_mov_b32 s16, 0
	s_mov_b32 s17, 0x200000
	v_cmp_le_f64_e64 s[18:19], |v[0:1]|, s[16:17]
	v_cmp_le_f64_e64 s[16:17], |v[2:3]|, s[16:17]
	s_and_b64 s[20:21], s[18:19], s[16:17]
	s_mov_b64 s[16:17], 0
	s_and_saveexec_b64 s[18:19], s[20:21]
; %bb.80:
	s_mov_b64 s[16:17], exec
	v_mul_f64 v[0:1], v[0:1], 4.0
	v_mul_f64 v[2:3], v[2:3], 4.0
; %bb.81:
	s_or_b64 exec, exec, s[18:19]
.LBB223_82:
	s_andn2_saveexec_b64 s[2:3], s[2:3]
; %bb.83:
	v_ldexp_f64 v[0:1], v[0:1], -2
	v_ldexp_f64 v[2:3], v[2:3], -2
	s_andn2_b64 s[16:17], s[16:17], exec
; %bb.84:
	s_or_b64 exec, exec, s[2:3]
	v_max_f64 v[6:7], |v[2:3]|, |v[2:3]|
	v_max_f64 v[10:11], |v[0:1]|, |v[0:1]|
	v_max_f64 v[6:7], v[10:11], v[6:7]
	v_frexp_exp_i32_f64_e32 v9, v[6:7]
	v_sub_u32_e32 v10, 0, v9
	v_ldexp_f64 v[6:7], |v[0:1]|, v10
	v_ldexp_f64 v[10:11], |v[2:3]|, v10
	v_mul_f64 v[10:11], v[10:11], v[10:11]
	v_fmac_f64_e32 v[10:11], v[6:7], v[6:7]
	v_rsq_f64_e32 v[6:7], v[10:11]
	v_cmp_eq_f64_e64 s[2:3], 0, v[10:11]
	s_movk_i32 s18, 0x204
	v_cmp_le_f64_e32 vcc, 0, v[0:1]
	v_mul_f64 v[16:17], v[10:11], v[6:7]
	v_mul_f64 v[6:7], v[6:7], 0.5
	v_fma_f64 v[26:27], -v[6:7], v[16:17], 0.5
	v_fmac_f64_e32 v[16:17], v[16:17], v[26:27]
	v_fmac_f64_e32 v[6:7], v[6:7], v[26:27]
	v_fma_f64 v[26:27], -v[16:17], v[16:17], v[10:11]
	v_fmac_f64_e32 v[16:17], v[26:27], v[6:7]
	v_cndmask_b32_e64 v7, v17, v11, s[2:3]
	v_cndmask_b32_e64 v6, v16, v10, s[2:3]
	v_ldexp_f64 v[6:7], v[6:7], v9
	v_cmp_o_f64_e64 s[2:3], v[2:3], v[2:3]
	v_mov_b32_e32 v9, 0x7ff80000
                                        ; implicit-def: $vgpr10_vgpr11
                                        ; implicit-def: $vgpr16_vgpr17
	s_nop 0
	v_cndmask_b32_e64 v6, 0, v6, s[2:3]
	v_cndmask_b32_e64 v7, v9, v7, s[2:3]
	v_cmp_class_f64_e64 s[2:3], v[0:1], s18
	v_cmp_class_f64_e64 s[18:19], v[2:3], s18
	v_mov_b32_e32 v9, 0x7ff00000
	s_or_b64 s[2:3], s[18:19], s[2:3]
	v_cndmask_b32_e64 v7, v7, v9, s[2:3]
	v_cndmask_b32_e64 v6, v6, 0, s[2:3]
	s_and_saveexec_b64 s[2:3], vcc
	s_xor_b64 s[2:3], exec, s[2:3]
	s_cbranch_execz .LBB223_126
; %bb.85:
	v_add_f64 v[0:1], v[0:1], v[6:7]
	s_mov_b32 s18, 0
	v_mul_f64 v[0:1], v[0:1], 0.5
	s_brev_b32 s19, 8
	v_mov_b32_e32 v6, 0x100
	v_cmp_gt_f64_e32 vcc, s[18:19], v[0:1]
	v_mov_b32_e32 v9, 0x260
	s_nop 0
	v_cndmask_b32_e32 v6, 0, v6, vcc
	v_ldexp_f64 v[0:1], v[0:1], v6
	v_rsq_f64_e32 v[6:7], v[0:1]
	s_nop 0
	v_mul_f64 v[10:11], v[0:1], v[6:7]
	v_mul_f64 v[6:7], v[6:7], 0.5
	v_fma_f64 v[16:17], -v[6:7], v[10:11], 0.5
	v_fmac_f64_e32 v[10:11], v[10:11], v[16:17]
	v_fma_f64 v[26:27], -v[10:11], v[10:11], v[0:1]
	v_fmac_f64_e32 v[6:7], v[6:7], v[16:17]
	v_fmac_f64_e32 v[10:11], v[26:27], v[6:7]
	v_fma_f64 v[16:17], -v[10:11], v[10:11], v[0:1]
	v_fmac_f64_e32 v[10:11], v[16:17], v[6:7]
	v_mov_b32_e32 v6, 0xffffff80
	v_cndmask_b32_e32 v6, 0, v6, vcc
	v_ldexp_f64 v[6:7], v[10:11], v6
	v_cmp_class_f64_e32 vcc, v[0:1], v9
	s_nop 1
	v_cndmask_b32_e32 v17, v7, v1, vcc
	v_cndmask_b32_e32 v16, v6, v0, vcc
	v_add_f64 v[0:1], v[16:17], v[16:17]
	v_div_scale_f64 v[6:7], s[18:19], v[0:1], v[0:1], v[2:3]
	v_rcp_f64_e32 v[10:11], v[6:7]
	s_nop 0
	v_fma_f64 v[26:27], -v[6:7], v[10:11], 1.0
	v_fmac_f64_e32 v[10:11], v[10:11], v[26:27]
	v_fma_f64 v[26:27], -v[6:7], v[10:11], 1.0
	v_fmac_f64_e32 v[10:11], v[10:11], v[26:27]
	v_div_scale_f64 v[26:27], vcc, v[2:3], v[0:1], v[2:3]
	v_mul_f64 v[28:29], v[26:27], v[10:11]
	v_fma_f64 v[6:7], -v[6:7], v[28:29], v[26:27]
	s_nop 1
	v_div_fmas_f64 v[6:7], v[6:7], v[10:11], v[28:29]
	v_div_fixup_f64 v[10:11], v[6:7], v[0:1], v[2:3]
                                        ; implicit-def: $vgpr6_vgpr7
                                        ; implicit-def: $vgpr0_vgpr1
	s_andn2_saveexec_b64 s[2:3], s[2:3]
	s_cbranch_execz .LBB223_128
	s_branch .LBB223_127
.LBB223_86:
	v_mov_b32_e32 v0, 0
	v_mov_b32_e32 v8, 0
	s_branch .LBB223_92
.LBB223_87:
	v_mov_b32_e32 v0, 0
	v_mov_b32_e32 v8, 0
	s_branch .LBB223_111
.LBB223_88:
	v_mov_b32_e32 v8, 0
	s_mov_b32 s57, 0
	v_mov_b32_e32 v1, v8
                                        ; implicit-def: $vgpr0
	v_mov_b32_e32 v2, v16
.LBB223_89:
	s_and_b32 s4, s58, 3
	s_cmp_eq_u32 s4, 0
	s_cbranch_scc1 .LBB223_92
; %bb.90:
	s_lshl_b32 s0, s57, 3
	s_add_u32 s0, s34, s0
	s_addc_u32 s1, s35, 0
	s_add_u32 s0, s0, 0xc4
	s_addc_u32 s1, s1, 0
	s_mul_i32 s2, s57, 12
	s_add_u32 s2, s34, s2
	s_addc_u32 s3, s35, 0
.LBB223_91:                             ; =>This Inner Loop Header: Depth=1
	s_load_dwordx2 s[6:7], s[2:3], 0x4
	s_load_dword s5, s[2:3], 0xc
	s_load_dwordx2 s[8:9], s[0:1], 0x0
	v_mov_b32_e32 v0, v1
	s_add_u32 s2, s2, 12
	s_waitcnt lgkmcnt(0)
	v_mul_hi_u32 v1, s7, v2
	v_add_u32_e32 v1, v2, v1
	v_lshrrev_b32_e32 v1, s5, v1
	s_addc_u32 s3, s3, 0
	v_mul_lo_u32 v3, v1, s6
	s_add_u32 s0, s0, 8
	v_sub_u32_e32 v3, v2, v3
	s_addc_u32 s1, s1, 0
	s_add_i32 s4, s4, -1
	v_mov_b32_e32 v2, v1
	v_mad_u64_u32 v[0:1], s[6:7], v3, s9, v[0:1]
	s_cmp_lg_u32 s4, 0
	v_mad_u64_u32 v[8:9], s[6:7], v3, s8, v[8:9]
	v_mov_b32_e32 v1, v0
	s_cbranch_scc1 .LBB223_91
.LBB223_92:
	s_cbranch_execnz .LBB223_95
.LBB223_93:
	s_waitcnt lgkmcnt(0)
	v_mul_hi_u32 v0, s25, v16
	v_add_u32_e32 v0, v16, v0
	v_lshrrev_b32_e32 v1, s26, v0
	v_mul_lo_u32 v0, v1, s24
	v_sub_u32_e32 v2, v16, v0
	v_mul_lo_u32 v0, v2, s21
	s_andn2_b64 vcc, exec, s[42:43]
	v_mul_lo_u32 v8, v2, s20
	s_cbranch_vccnz .LBB223_95
; %bb.94:
	v_mul_hi_u32 v2, s40, v1
	v_add_u32_e32 v2, v1, v2
	v_lshrrev_b32_e32 v2, s41, v2
	v_mul_lo_u32 v2, v2, s27
	v_sub_u32_e32 v1, v1, v2
	v_mad_u64_u32 v[8:9], s[0:1], v1, s22, v[8:9]
	v_mad_u64_u32 v[0:1], s[0:1], v1, s23, v[0:1]
.LBB223_95:
	s_waitcnt lgkmcnt(0)
	global_load_dwordx4 v[0:3], v0, s[18:19]
	v_mov_b64_e32 v[4:5], 0
	s_waitcnt vmcnt(0)
	v_cmp_neq_f64_e32 vcc, 0, v[0:1]
	v_cmp_neq_f64_e64 s[0:1], 0, v[2:3]
	s_or_b64 s[0:1], vcc, s[0:1]
	s_and_saveexec_b64 s[4:5], s[0:1]
	s_cbranch_execz .LBB223_258
; %bb.96:
	v_mov_b32_e32 v4, 0
	v_mov_b32_e32 v5, 0x7ff00000
	v_cmp_neq_f64_e64 s[0:1], |v[2:3]|, v[4:5]
	s_and_saveexec_b64 s[6:7], s[0:1]
	s_cbranch_execz .LBB223_257
; %bb.97:
	v_cmp_o_f64_e32 vcc, v[0:1], v[0:1]
                                        ; implicit-def: $vgpr4_vgpr5
	s_and_saveexec_b64 s[0:1], vcc
	s_xor_b64 s[8:9], exec, s[0:1]
	s_cbranch_execz .LBB223_254
; %bb.98:
	s_mov_b32 s0, 0
	s_mov_b32 s1, 0x7ff00000
	v_cmp_neq_f64_e64 s[0:1], |v[0:1]|, s[0:1]
                                        ; implicit-def: $vgpr4_vgpr5
	s_and_saveexec_b64 s[2:3], s[0:1]
	s_xor_b64 s[10:11], exec, s[2:3]
	s_cbranch_execz .LBB223_247
; %bb.99:
	v_max_f64 v[4:5], |v[2:3]|, |v[2:3]|
	v_max_f64 v[6:7], |v[0:1]|, |v[0:1]|
	s_mov_b32 s0, 0x99fcef32
	v_max_f64 v[4:5], v[6:7], v[4:5]
	s_mov_b32 s1, 0x7fda8279
	v_cmp_nle_f64_e64 s[0:1], s[0:1], v[4:5]
                                        ; implicit-def: $sgpr12_sgpr13
	s_and_saveexec_b64 s[2:3], s[0:1]
	s_xor_b64 s[2:3], exec, s[2:3]
	s_cbranch_execz .LBB223_103
; %bb.100:
	s_mov_b32 s12, 0
	s_mov_b32 s13, 0x200000
	v_cmp_le_f64_e64 s[14:15], |v[0:1]|, s[12:13]
	v_cmp_le_f64_e64 s[12:13], |v[2:3]|, s[12:13]
	s_and_b64 s[28:29], s[14:15], s[12:13]
	s_mov_b64 s[12:13], 0
	s_and_saveexec_b64 s[14:15], s[28:29]
; %bb.101:
	s_mov_b64 s[12:13], exec
	v_mul_f64 v[0:1], v[0:1], 4.0
	v_mul_f64 v[2:3], v[2:3], 4.0
; %bb.102:
	s_or_b64 exec, exec, s[14:15]
.LBB223_103:
	s_andn2_saveexec_b64 s[2:3], s[2:3]
; %bb.104:
	v_ldexp_f64 v[0:1], v[0:1], -2
	v_ldexp_f64 v[2:3], v[2:3], -2
	s_andn2_b64 s[12:13], s[12:13], exec
; %bb.105:
	s_or_b64 exec, exec, s[2:3]
	v_max_f64 v[4:5], |v[2:3]|, |v[2:3]|
	v_max_f64 v[6:7], |v[0:1]|, |v[0:1]|
	v_max_f64 v[4:5], v[6:7], v[4:5]
	v_frexp_exp_i32_f64_e32 v9, v[4:5]
	v_sub_u32_e32 v6, 0, v9
	v_ldexp_f64 v[4:5], |v[0:1]|, v6
	v_ldexp_f64 v[6:7], |v[2:3]|, v6
	v_mul_f64 v[6:7], v[6:7], v[6:7]
	v_fmac_f64_e32 v[6:7], v[4:5], v[4:5]
	v_rsq_f64_e32 v[4:5], v[6:7]
	v_cmp_eq_f64_e64 s[2:3], 0, v[6:7]
	s_movk_i32 s14, 0x204
	v_cmp_le_f64_e32 vcc, 0, v[0:1]
	v_mul_f64 v[10:11], v[6:7], v[4:5]
	v_mul_f64 v[4:5], v[4:5], 0.5
	v_fma_f64 v[12:13], -v[4:5], v[10:11], 0.5
	v_fmac_f64_e32 v[10:11], v[10:11], v[12:13]
	v_fmac_f64_e32 v[4:5], v[4:5], v[12:13]
	v_fma_f64 v[12:13], -v[10:11], v[10:11], v[6:7]
	v_fmac_f64_e32 v[10:11], v[12:13], v[4:5]
	v_cndmask_b32_e64 v5, v11, v7, s[2:3]
	v_cndmask_b32_e64 v4, v10, v6, s[2:3]
	v_ldexp_f64 v[4:5], v[4:5], v9
	v_cmp_o_f64_e64 s[2:3], v[2:3], v[2:3]
	v_mov_b32_e32 v6, 0x7ff80000
                                        ; implicit-def: $vgpr10_vgpr11
	s_nop 0
	v_cndmask_b32_e64 v4, 0, v4, s[2:3]
	v_cndmask_b32_e64 v5, v6, v5, s[2:3]
	v_cmp_class_f64_e64 s[2:3], v[0:1], s14
	v_cmp_class_f64_e64 s[14:15], v[2:3], s14
	v_mov_b32_e32 v6, 0x7ff00000
	s_or_b64 s[2:3], s[14:15], s[2:3]
	v_cndmask_b32_e64 v5, v5, v6, s[2:3]
	v_cndmask_b32_e64 v4, v4, 0, s[2:3]
                                        ; implicit-def: $vgpr6_vgpr7
	s_and_saveexec_b64 s[2:3], vcc
	s_xor_b64 s[2:3], exec, s[2:3]
	s_cbranch_execz .LBB223_236
; %bb.106:
	v_add_f64 v[0:1], v[0:1], v[4:5]
	s_mov_b32 s14, 0
	v_mul_f64 v[0:1], v[0:1], 0.5
	s_brev_b32 s15, 8
	v_mov_b32_e32 v4, 0x100
	v_cmp_gt_f64_e32 vcc, s[14:15], v[0:1]
	s_nop 1
	v_cndmask_b32_e32 v4, 0, v4, vcc
	v_ldexp_f64 v[0:1], v[0:1], v4
	v_rsq_f64_e32 v[4:5], v[0:1]
	s_nop 0
	v_mul_f64 v[6:7], v[0:1], v[4:5]
	v_mul_f64 v[4:5], v[4:5], 0.5
	v_fma_f64 v[10:11], -v[4:5], v[6:7], 0.5
	v_fmac_f64_e32 v[6:7], v[6:7], v[10:11]
	v_fma_f64 v[12:13], -v[6:7], v[6:7], v[0:1]
	v_fmac_f64_e32 v[4:5], v[4:5], v[10:11]
	v_fmac_f64_e32 v[6:7], v[12:13], v[4:5]
	v_fma_f64 v[10:11], -v[6:7], v[6:7], v[0:1]
	v_fmac_f64_e32 v[6:7], v[10:11], v[4:5]
	v_mov_b32_e32 v4, 0xffffff80
	v_cndmask_b32_e32 v4, 0, v4, vcc
	v_ldexp_f64 v[4:5], v[6:7], v4
	v_mov_b32_e32 v6, 0x260
	v_cmp_class_f64_e32 vcc, v[0:1], v6
	s_nop 1
	v_cndmask_b32_e32 v11, v5, v1, vcc
	v_cndmask_b32_e32 v10, v4, v0, vcc
	v_add_f64 v[0:1], v[10:11], v[10:11]
	v_div_scale_f64 v[4:5], s[14:15], v[0:1], v[0:1], v[2:3]
	v_rcp_f64_e32 v[6:7], v[4:5]
	s_nop 0
	v_fma_f64 v[12:13], -v[4:5], v[6:7], 1.0
	v_fmac_f64_e32 v[6:7], v[6:7], v[12:13]
	v_fma_f64 v[12:13], -v[4:5], v[6:7], 1.0
	v_fmac_f64_e32 v[6:7], v[6:7], v[12:13]
	v_div_scale_f64 v[12:13], vcc, v[2:3], v[0:1], v[2:3]
	v_mul_f64 v[14:15], v[12:13], v[6:7]
	v_fma_f64 v[4:5], -v[4:5], v[14:15], v[12:13]
	s_nop 1
	v_div_fmas_f64 v[4:5], v[4:5], v[6:7], v[14:15]
	v_div_fixup_f64 v[6:7], v[4:5], v[0:1], v[2:3]
                                        ; implicit-def: $vgpr4_vgpr5
                                        ; implicit-def: $vgpr0_vgpr1
	s_andn2_saveexec_b64 s[2:3], s[2:3]
	s_cbranch_execz .LBB223_238
	s_branch .LBB223_237
.LBB223_107:
	v_mov_b32_e32 v8, 0
	s_mov_b32 s57, 0
	v_mov_b32_e32 v1, v8
                                        ; implicit-def: $vgpr0
	v_mov_b32_e32 v2, v16
.LBB223_108:
	s_and_b32 s4, s58, 3
	s_cmp_eq_u32 s4, 0
	s_cbranch_scc1 .LBB223_111
; %bb.109:
	s_lshl_b32 s0, s57, 3
	s_add_u32 s0, s34, s0
	s_addc_u32 s1, s35, 0
	s_add_u32 s0, s0, 0xc4
	s_addc_u32 s1, s1, 0
	s_mul_i32 s2, s57, 12
	s_add_u32 s2, s34, s2
	s_addc_u32 s3, s35, 0
.LBB223_110:                            ; =>This Inner Loop Header: Depth=1
	s_load_dwordx2 s[6:7], s[2:3], 0x4
	s_load_dword s5, s[2:3], 0xc
	s_load_dwordx2 s[8:9], s[0:1], 0x0
	v_mov_b32_e32 v0, v1
	s_add_u32 s2, s2, 12
	s_waitcnt lgkmcnt(0)
	v_mul_hi_u32 v1, s7, v2
	v_add_u32_e32 v1, v2, v1
	v_lshrrev_b32_e32 v1, s5, v1
	s_addc_u32 s3, s3, 0
	v_mul_lo_u32 v3, v1, s6
	s_add_u32 s0, s0, 8
	v_sub_u32_e32 v3, v2, v3
	s_addc_u32 s1, s1, 0
	s_add_i32 s4, s4, -1
	v_mov_b32_e32 v2, v1
	v_mad_u64_u32 v[0:1], s[6:7], v3, s9, v[0:1]
	s_cmp_lg_u32 s4, 0
	v_mad_u64_u32 v[8:9], s[6:7], v3, s8, v[8:9]
	v_mov_b32_e32 v1, v0
	s_cbranch_scc1 .LBB223_110
.LBB223_111:
	s_cbranch_execnz .LBB223_114
.LBB223_112:
	s_waitcnt lgkmcnt(0)
	v_mul_hi_u32 v0, s25, v16
	v_add_u32_e32 v0, v16, v0
	v_lshrrev_b32_e32 v1, s26, v0
	v_mul_lo_u32 v0, v1, s24
	v_sub_u32_e32 v2, v16, v0
	v_mul_lo_u32 v0, v2, s21
	s_andn2_b64 vcc, exec, s[42:43]
	v_mul_lo_u32 v8, v2, s20
	s_cbranch_vccnz .LBB223_114
; %bb.113:
	v_mul_hi_u32 v2, s40, v1
	v_add_u32_e32 v2, v1, v2
	v_lshrrev_b32_e32 v2, s41, v2
	v_mul_lo_u32 v2, v2, s27
	v_sub_u32_e32 v1, v1, v2
	v_mad_u64_u32 v[8:9], s[0:1], v1, s22, v[8:9]
	v_mad_u64_u32 v[0:1], s[0:1], v1, s23, v[0:1]
.LBB223_114:
	s_waitcnt lgkmcnt(0)
	global_load_dwordx4 v[0:3], v0, s[18:19]
	v_mov_b64_e32 v[4:5], 0
	s_waitcnt vmcnt(0)
	v_cmp_neq_f64_e32 vcc, 0, v[0:1]
	v_cmp_neq_f64_e64 s[0:1], 0, v[2:3]
	s_or_b64 s[0:1], vcc, s[0:1]
	s_and_saveexec_b64 s[4:5], s[0:1]
	s_cbranch_execz .LBB223_274
; %bb.115:
	v_mov_b32_e32 v4, 0
	v_mov_b32_e32 v5, 0x7ff00000
	v_cmp_neq_f64_e64 s[0:1], |v[2:3]|, v[4:5]
	s_and_saveexec_b64 s[6:7], s[0:1]
	s_cbranch_execz .LBB223_273
; %bb.116:
	v_cmp_o_f64_e32 vcc, v[0:1], v[0:1]
                                        ; implicit-def: $vgpr4_vgpr5
	s_and_saveexec_b64 s[0:1], vcc
	s_xor_b64 s[8:9], exec, s[0:1]
	s_cbranch_execz .LBB223_270
; %bb.117:
	s_mov_b32 s0, 0
	s_mov_b32 s1, 0x7ff00000
	v_cmp_neq_f64_e64 s[0:1], |v[0:1]|, s[0:1]
                                        ; implicit-def: $vgpr4_vgpr5
	s_and_saveexec_b64 s[2:3], s[0:1]
	s_xor_b64 s[10:11], exec, s[2:3]
	s_cbranch_execz .LBB223_263
; %bb.118:
	v_max_f64 v[4:5], |v[2:3]|, |v[2:3]|
	v_max_f64 v[6:7], |v[0:1]|, |v[0:1]|
	s_mov_b32 s0, 0x99fcef32
	v_max_f64 v[4:5], v[6:7], v[4:5]
	s_mov_b32 s1, 0x7fda8279
	v_cmp_nle_f64_e64 s[0:1], s[0:1], v[4:5]
                                        ; implicit-def: $sgpr12_sgpr13
	s_and_saveexec_b64 s[2:3], s[0:1]
	s_xor_b64 s[2:3], exec, s[2:3]
	s_cbranch_execz .LBB223_122
; %bb.119:
	s_mov_b32 s12, 0
	s_mov_b32 s13, 0x200000
	v_cmp_le_f64_e64 s[14:15], |v[0:1]|, s[12:13]
	v_cmp_le_f64_e64 s[12:13], |v[2:3]|, s[12:13]
	s_and_b64 s[28:29], s[14:15], s[12:13]
	s_mov_b64 s[12:13], 0
	s_and_saveexec_b64 s[14:15], s[28:29]
; %bb.120:
	s_mov_b64 s[12:13], exec
	v_mul_f64 v[0:1], v[0:1], 4.0
	v_mul_f64 v[2:3], v[2:3], 4.0
; %bb.121:
	s_or_b64 exec, exec, s[14:15]
.LBB223_122:
	s_andn2_saveexec_b64 s[2:3], s[2:3]
; %bb.123:
	v_ldexp_f64 v[0:1], v[0:1], -2
	v_ldexp_f64 v[2:3], v[2:3], -2
	s_andn2_b64 s[12:13], s[12:13], exec
; %bb.124:
	s_or_b64 exec, exec, s[2:3]
	v_max_f64 v[4:5], |v[2:3]|, |v[2:3]|
	v_max_f64 v[6:7], |v[0:1]|, |v[0:1]|
	v_max_f64 v[4:5], v[6:7], v[4:5]
	v_frexp_exp_i32_f64_e32 v9, v[4:5]
	v_sub_u32_e32 v6, 0, v9
	v_ldexp_f64 v[4:5], |v[0:1]|, v6
	v_ldexp_f64 v[6:7], |v[2:3]|, v6
	v_mul_f64 v[6:7], v[6:7], v[6:7]
	v_fmac_f64_e32 v[6:7], v[4:5], v[4:5]
	v_rsq_f64_e32 v[4:5], v[6:7]
	v_cmp_eq_f64_e64 s[2:3], 0, v[6:7]
	s_movk_i32 s14, 0x204
	v_cmp_le_f64_e32 vcc, 0, v[0:1]
	v_mul_f64 v[10:11], v[6:7], v[4:5]
	v_mul_f64 v[4:5], v[4:5], 0.5
	v_fma_f64 v[12:13], -v[4:5], v[10:11], 0.5
	v_fmac_f64_e32 v[10:11], v[10:11], v[12:13]
	v_fmac_f64_e32 v[4:5], v[4:5], v[12:13]
	v_fma_f64 v[12:13], -v[10:11], v[10:11], v[6:7]
	v_fmac_f64_e32 v[10:11], v[12:13], v[4:5]
	v_cndmask_b32_e64 v5, v11, v7, s[2:3]
	v_cndmask_b32_e64 v4, v10, v6, s[2:3]
	v_ldexp_f64 v[4:5], v[4:5], v9
	v_cmp_o_f64_e64 s[2:3], v[2:3], v[2:3]
	v_mov_b32_e32 v6, 0x7ff80000
                                        ; implicit-def: $vgpr10_vgpr11
	s_nop 0
	v_cndmask_b32_e64 v4, 0, v4, s[2:3]
	v_cndmask_b32_e64 v5, v6, v5, s[2:3]
	v_cmp_class_f64_e64 s[2:3], v[0:1], s14
	v_cmp_class_f64_e64 s[14:15], v[2:3], s14
	v_mov_b32_e32 v6, 0x7ff00000
	s_or_b64 s[2:3], s[14:15], s[2:3]
	v_cndmask_b32_e64 v5, v5, v6, s[2:3]
	v_cndmask_b32_e64 v4, v4, 0, s[2:3]
                                        ; implicit-def: $vgpr6_vgpr7
	s_and_saveexec_b64 s[2:3], vcc
	s_xor_b64 s[2:3], exec, s[2:3]
	s_cbranch_execz .LBB223_240
; %bb.125:
	v_add_f64 v[0:1], v[0:1], v[4:5]
	s_mov_b32 s14, 0
	v_mul_f64 v[0:1], v[0:1], 0.5
	s_brev_b32 s15, 8
	v_mov_b32_e32 v4, 0x100
	v_cmp_gt_f64_e32 vcc, s[14:15], v[0:1]
	s_nop 1
	v_cndmask_b32_e32 v4, 0, v4, vcc
	v_ldexp_f64 v[0:1], v[0:1], v4
	v_rsq_f64_e32 v[4:5], v[0:1]
	s_nop 0
	v_mul_f64 v[6:7], v[0:1], v[4:5]
	v_mul_f64 v[4:5], v[4:5], 0.5
	v_fma_f64 v[10:11], -v[4:5], v[6:7], 0.5
	v_fmac_f64_e32 v[6:7], v[6:7], v[10:11]
	v_fma_f64 v[12:13], -v[6:7], v[6:7], v[0:1]
	v_fmac_f64_e32 v[4:5], v[4:5], v[10:11]
	v_fmac_f64_e32 v[6:7], v[12:13], v[4:5]
	v_fma_f64 v[10:11], -v[6:7], v[6:7], v[0:1]
	v_fmac_f64_e32 v[6:7], v[10:11], v[4:5]
	v_mov_b32_e32 v4, 0xffffff80
	v_cndmask_b32_e32 v4, 0, v4, vcc
	v_ldexp_f64 v[4:5], v[6:7], v4
	v_mov_b32_e32 v6, 0x260
	v_cmp_class_f64_e32 vcc, v[0:1], v6
	s_nop 1
	v_cndmask_b32_e32 v11, v5, v1, vcc
	v_cndmask_b32_e32 v10, v4, v0, vcc
	v_add_f64 v[0:1], v[10:11], v[10:11]
	v_div_scale_f64 v[4:5], s[14:15], v[0:1], v[0:1], v[2:3]
	v_rcp_f64_e32 v[6:7], v[4:5]
	s_nop 0
	v_fma_f64 v[12:13], -v[4:5], v[6:7], 1.0
	v_fmac_f64_e32 v[6:7], v[6:7], v[12:13]
	v_fma_f64 v[12:13], -v[4:5], v[6:7], 1.0
	v_fmac_f64_e32 v[6:7], v[6:7], v[12:13]
	v_div_scale_f64 v[12:13], vcc, v[2:3], v[0:1], v[2:3]
	v_mul_f64 v[14:15], v[12:13], v[6:7]
	v_fma_f64 v[4:5], -v[4:5], v[14:15], v[12:13]
	s_nop 1
	v_div_fmas_f64 v[4:5], v[4:5], v[6:7], v[14:15]
	v_div_fixup_f64 v[6:7], v[4:5], v[0:1], v[2:3]
                                        ; implicit-def: $vgpr4_vgpr5
                                        ; implicit-def: $vgpr0_vgpr1
	s_andn2_saveexec_b64 s[2:3], s[2:3]
	s_cbranch_execz .LBB223_242
	s_branch .LBB223_241
.LBB223_126:
	s_andn2_saveexec_b64 s[2:3], s[2:3]
	s_cbranch_execz .LBB223_128
.LBB223_127:
	v_add_f64 v[0:1], v[6:7], -v[0:1]
	s_mov_b32 s18, 0
	v_mul_f64 v[0:1], v[0:1], 0.5
	s_brev_b32 s19, 8
	v_mov_b32_e32 v6, 0x100
	v_cmp_gt_f64_e32 vcc, s[18:19], v[0:1]
	v_mov_b32_e32 v9, 0x260
	s_nop 0
	v_cndmask_b32_e32 v6, 0, v6, vcc
	v_ldexp_f64 v[0:1], v[0:1], v6
	v_rsq_f64_e32 v[6:7], v[0:1]
	s_nop 0
	v_mul_f64 v[10:11], v[0:1], v[6:7]
	v_mul_f64 v[6:7], v[6:7], 0.5
	v_fma_f64 v[16:17], -v[6:7], v[10:11], 0.5
	v_fmac_f64_e32 v[10:11], v[10:11], v[16:17]
	v_fma_f64 v[26:27], -v[10:11], v[10:11], v[0:1]
	v_fmac_f64_e32 v[6:7], v[6:7], v[16:17]
	v_fmac_f64_e32 v[10:11], v[26:27], v[6:7]
	v_fma_f64 v[16:17], -v[10:11], v[10:11], v[0:1]
	v_fmac_f64_e32 v[10:11], v[16:17], v[6:7]
	v_mov_b32_e32 v6, 0xffffff80
	v_cndmask_b32_e32 v6, 0, v6, vcc
	v_ldexp_f64 v[6:7], v[10:11], v6
	v_cmp_class_f64_e32 vcc, v[0:1], v9
	s_nop 1
	v_cndmask_b32_e32 v11, v7, v1, vcc
	v_cndmask_b32_e32 v10, v6, v0, vcc
	v_add_f64 v[0:1], v[10:11], v[10:11]
	v_and_b32_e32 v7, 0x7fffffff, v3
	v_mov_b32_e32 v6, v2
	v_div_scale_f64 v[16:17], s[18:19], v[0:1], v[0:1], v[6:7]
	v_rcp_f64_e32 v[26:27], v[16:17]
	v_div_scale_f64 v[6:7], vcc, v[6:7], v[0:1], v[6:7]
	s_brev_b32 s18, -2
	v_fma_f64 v[28:29], -v[16:17], v[26:27], 1.0
	v_fmac_f64_e32 v[26:27], v[26:27], v[28:29]
	v_fma_f64 v[28:29], -v[16:17], v[26:27], 1.0
	v_fmac_f64_e32 v[26:27], v[26:27], v[28:29]
	v_mul_f64 v[28:29], v[6:7], v[26:27]
	v_fma_f64 v[6:7], -v[16:17], v[28:29], v[6:7]
	v_div_fmas_f64 v[6:7], v[6:7], v[26:27], v[28:29]
	v_div_fixup_f64 v[16:17], v[6:7], v[0:1], |v[2:3]|
	v_bfi_b32 v11, s18, v11, v3
.LBB223_128:
	s_or_b64 exec, exec, s[2:3]
                                        ; implicit-def: $vgpr2_vgpr3
                                        ; implicit-def: $vgpr6_vgpr7
	s_and_saveexec_b64 s[2:3], s[0:1]
	s_xor_b64 s[0:1], exec, s[2:3]
	s_cbranch_execz .LBB223_130
; %bb.129:
	v_mul_f64 v[0:1], v[16:17], 0.5
	v_mul_f64 v[2:3], v[10:11], 0.5
	v_cndmask_b32_e64 v7, v17, v1, s[16:17]
	v_cndmask_b32_e64 v6, v16, v0, s[16:17]
	;; [unrolled: 1-line block ×4, first 2 shown]
                                        ; implicit-def: $vgpr16_vgpr17
                                        ; implicit-def: $vgpr10_vgpr11
	s_andn2_saveexec_b64 s[0:1], s[0:1]
	s_cbranch_execnz .LBB223_131
	s_branch .LBB223_132
.LBB223_130:
	s_andn2_saveexec_b64 s[0:1], s[0:1]
.LBB223_131:
	v_add_f64 v[6:7], v[16:17], v[16:17]
	v_add_f64 v[2:3], v[10:11], v[10:11]
.LBB223_132:
	s_or_b64 exec, exec, s[0:1]
.LBB223_133:
	s_andn2_saveexec_b64 s[0:1], s[14:15]
	s_cbranch_execz .LBB223_139
; %bb.134:
	v_add_f64 v[10:11], v[2:3], -v[2:3]
	v_cmp_lt_i64_e32 vcc, -1, v[0:1]
	s_brev_b32 s14, -2
	v_and_b32_e32 v7, 0x7fffffff, v11
	v_mov_b32_e32 v6, v10
	s_and_saveexec_b64 s[2:3], vcc
	s_xor_b64 s[2:3], exec, s[2:3]
; %bb.135:
	v_bfi_b32 v11, s14, v11, v3
	v_mov_b64_e32 v[2:3], v[10:11]
	v_mov_b64_e32 v[6:7], v[0:1]
; %bb.136:
	s_andn2_saveexec_b64 s[2:3], s[2:3]
; %bb.137:
	v_bfi_b32 v1, s14, v1, v3
	v_mov_b64_e32 v[2:3], v[0:1]
; %bb.138:
	s_or_b64 exec, exec, s[2:3]
.LBB223_139:
	s_or_b64 exec, exec, s[0:1]
.LBB223_140:
	s_andn2_saveexec_b64 s[0:1], s[12:13]
	s_cbranch_execz .LBB223_142
; %bb.141:
	v_add_f64 v[2:3], v[2:3], -v[2:3]
	v_div_scale_f64 v[6:7], vcc, v[2:3], v[2:3], v[2:3]
	v_rcp_f64_e32 v[10:11], v[6:7]
	s_nop 0
	v_fma_f64 v[16:17], -v[6:7], v[10:11], 1.0
	v_fmac_f64_e32 v[10:11], v[10:11], v[16:17]
	v_fma_f64 v[16:17], -v[6:7], v[10:11], 1.0
	v_fmac_f64_e32 v[10:11], v[10:11], v[16:17]
	v_mul_f64 v[16:17], v[6:7], v[10:11]
	v_fma_f64 v[6:7], -v[6:7], v[16:17], v[6:7]
	v_div_fmas_f64 v[6:7], v[6:7], v[10:11], v[16:17]
	v_div_fixup_f64 v[2:3], v[6:7], v[2:3], v[2:3]
	v_mov_b64_e32 v[6:7], v[0:1]
.LBB223_142:
	s_or_b64 exec, exec, s[0:1]
.LBB223_143:
	s_or_b64 exec, exec, s[10:11]
.LBB223_144:
	s_or_b64 exec, exec, s[8:9]
	global_load_dwordx4 v[8:11], v8, s[6:7]
	s_waitcnt vmcnt(0)
	v_cmp_neq_f64_e32 vcc, 0, v[8:9]
	v_cmp_neq_f64_e64 s[0:1], 0, v[10:11]
	s_or_b64 s[0:1], vcc, s[0:1]
	s_and_saveexec_b64 s[8:9], s[0:1]
	s_cbranch_execz .LBB223_174
; %bb.145:
	v_mov_b32_e32 v4, 0
	v_mov_b32_e32 v5, 0x7ff00000
	v_cmp_neq_f64_e64 s[0:1], |v[10:11]|, v[4:5]
	s_and_saveexec_b64 s[10:11], s[0:1]
	s_cbranch_execz .LBB223_173
; %bb.146:
	v_cmp_o_f64_e32 vcc, v[8:9], v[8:9]
                                        ; implicit-def: $vgpr4_vgpr5
	s_and_saveexec_b64 s[0:1], vcc
	s_xor_b64 s[12:13], exec, s[0:1]
	s_cbranch_execz .LBB223_170
; %bb.147:
	s_mov_b32 s0, 0
	s_mov_b32 s1, 0x7ff00000
	v_cmp_neq_f64_e64 s[0:1], |v[8:9]|, s[0:1]
                                        ; implicit-def: $vgpr4_vgpr5
	s_and_saveexec_b64 s[2:3], s[0:1]
	s_xor_b64 s[14:15], exec, s[2:3]
	s_cbranch_execz .LBB223_163
; %bb.148:
	v_max_f64 v[0:1], |v[10:11]|, |v[10:11]|
	v_max_f64 v[4:5], |v[8:9]|, |v[8:9]|
	s_mov_b32 s0, 0x99fcef32
	v_max_f64 v[0:1], v[4:5], v[0:1]
	s_mov_b32 s1, 0x7fda8279
	v_cmp_nle_f64_e64 s[0:1], s[0:1], v[0:1]
                                        ; implicit-def: $sgpr16_sgpr17
	s_and_saveexec_b64 s[2:3], s[0:1]
	s_xor_b64 s[2:3], exec, s[2:3]
	s_cbranch_execz .LBB223_152
; %bb.149:
	s_mov_b32 s16, 0
	s_mov_b32 s17, 0x200000
	v_cmp_le_f64_e64 s[18:19], |v[8:9]|, s[16:17]
	v_cmp_le_f64_e64 s[16:17], |v[10:11]|, s[16:17]
	s_and_b64 s[20:21], s[18:19], s[16:17]
	s_mov_b64 s[16:17], 0
	s_and_saveexec_b64 s[18:19], s[20:21]
; %bb.150:
	s_mov_b64 s[16:17], exec
	v_mul_f64 v[8:9], v[8:9], 4.0
	v_mul_f64 v[10:11], v[10:11], 4.0
; %bb.151:
	s_or_b64 exec, exec, s[18:19]
.LBB223_152:
	s_andn2_saveexec_b64 s[2:3], s[2:3]
; %bb.153:
	v_ldexp_f64 v[8:9], v[8:9], -2
	v_ldexp_f64 v[10:11], v[10:11], -2
	s_andn2_b64 s[16:17], s[16:17], exec
; %bb.154:
	s_or_b64 exec, exec, s[2:3]
	v_max_f64 v[0:1], |v[10:11]|, |v[10:11]|
	v_max_f64 v[4:5], |v[8:9]|, |v[8:9]|
	v_max_f64 v[0:1], v[4:5], v[0:1]
	v_frexp_exp_i32_f64_e32 v13, v[0:1]
	v_sub_u32_e32 v4, 0, v13
	v_ldexp_f64 v[0:1], |v[8:9]|, v4
	v_ldexp_f64 v[4:5], |v[10:11]|, v4
	v_mul_f64 v[4:5], v[4:5], v[4:5]
	v_fmac_f64_e32 v[4:5], v[0:1], v[0:1]
	v_rsq_f64_e32 v[0:1], v[4:5]
	v_cmp_eq_f64_e64 s[2:3], 0, v[4:5]
	s_movk_i32 s18, 0x204
	v_cmp_le_f64_e32 vcc, 0, v[8:9]
	v_mul_f64 v[16:17], v[4:5], v[0:1]
	v_mul_f64 v[0:1], v[0:1], 0.5
	v_fma_f64 v[26:27], -v[0:1], v[16:17], 0.5
	v_fmac_f64_e32 v[16:17], v[16:17], v[26:27]
	v_fmac_f64_e32 v[0:1], v[0:1], v[26:27]
	v_fma_f64 v[26:27], -v[16:17], v[16:17], v[4:5]
	v_fmac_f64_e32 v[16:17], v[26:27], v[0:1]
	v_cndmask_b32_e64 v1, v17, v5, s[2:3]
	v_cndmask_b32_e64 v0, v16, v4, s[2:3]
	v_ldexp_f64 v[0:1], v[0:1], v13
	v_cmp_o_f64_e64 s[2:3], v[10:11], v[10:11]
	v_mov_b32_e32 v4, 0x7ff80000
                                        ; implicit-def: $vgpr16_vgpr17
	s_nop 0
	v_cndmask_b32_e64 v0, 0, v0, s[2:3]
	v_cndmask_b32_e64 v1, v4, v1, s[2:3]
	v_cmp_class_f64_e64 s[2:3], v[8:9], s18
	v_cmp_class_f64_e64 s[18:19], v[10:11], s18
	v_mov_b32_e32 v4, 0x7ff00000
	s_or_b64 s[2:3], s[18:19], s[2:3]
	v_cndmask_b32_e64 v5, v1, v4, s[2:3]
	v_cndmask_b32_e64 v4, v0, 0, s[2:3]
                                        ; implicit-def: $vgpr0_vgpr1
	s_and_saveexec_b64 s[2:3], vcc
	s_xor_b64 s[2:3], exec, s[2:3]
	s_cbranch_execz .LBB223_156
; %bb.155:
	v_add_f64 v[0:1], v[8:9], v[4:5]
	s_mov_b32 s18, 0
	v_mul_f64 v[0:1], v[0:1], 0.5
	s_brev_b32 s19, 8
	v_mov_b32_e32 v4, 0x100
	v_cmp_gt_f64_e32 vcc, s[18:19], v[0:1]
	s_nop 1
	v_cndmask_b32_e32 v4, 0, v4, vcc
	v_ldexp_f64 v[0:1], v[0:1], v4
	v_rsq_f64_e32 v[4:5], v[0:1]
	s_nop 0
	v_mul_f64 v[8:9], v[0:1], v[4:5]
	v_mul_f64 v[4:5], v[4:5], 0.5
	v_fma_f64 v[16:17], -v[4:5], v[8:9], 0.5
	v_fmac_f64_e32 v[8:9], v[8:9], v[16:17]
	v_fma_f64 v[26:27], -v[8:9], v[8:9], v[0:1]
	v_fmac_f64_e32 v[4:5], v[4:5], v[16:17]
	v_fmac_f64_e32 v[8:9], v[26:27], v[4:5]
	v_fma_f64 v[16:17], -v[8:9], v[8:9], v[0:1]
	v_fmac_f64_e32 v[8:9], v[16:17], v[4:5]
	v_mov_b32_e32 v4, 0xffffff80
	v_cndmask_b32_e32 v4, 0, v4, vcc
	v_ldexp_f64 v[4:5], v[8:9], v4
	v_mov_b32_e32 v8, 0x260
	v_cmp_class_f64_e32 vcc, v[0:1], v8
	s_nop 1
	v_cndmask_b32_e32 v17, v5, v1, vcc
	v_cndmask_b32_e32 v16, v4, v0, vcc
	v_add_f64 v[0:1], v[16:17], v[16:17]
	v_div_scale_f64 v[4:5], s[18:19], v[0:1], v[0:1], v[10:11]
	v_rcp_f64_e32 v[8:9], v[4:5]
	s_nop 0
	v_fma_f64 v[26:27], -v[4:5], v[8:9], 1.0
	v_fmac_f64_e32 v[8:9], v[8:9], v[26:27]
	v_fma_f64 v[26:27], -v[4:5], v[8:9], 1.0
	v_fmac_f64_e32 v[8:9], v[8:9], v[26:27]
	v_div_scale_f64 v[26:27], vcc, v[10:11], v[0:1], v[10:11]
	v_mul_f64 v[28:29], v[26:27], v[8:9]
	v_fma_f64 v[4:5], -v[4:5], v[28:29], v[26:27]
	s_nop 1
	v_div_fmas_f64 v[4:5], v[4:5], v[8:9], v[28:29]
	v_div_fixup_f64 v[0:1], v[4:5], v[0:1], v[10:11]
                                        ; implicit-def: $vgpr4_vgpr5
                                        ; implicit-def: $vgpr8_vgpr9
	s_andn2_saveexec_b64 s[2:3], s[2:3]
	s_cbranch_execz .LBB223_158
	s_branch .LBB223_157
.LBB223_156:
	s_andn2_saveexec_b64 s[2:3], s[2:3]
	s_cbranch_execz .LBB223_158
.LBB223_157:
	v_add_f64 v[0:1], v[4:5], -v[8:9]
	s_mov_b32 s18, 0
	v_mul_f64 v[0:1], v[0:1], 0.5
	s_brev_b32 s19, 8
	v_mov_b32_e32 v4, 0x100
	v_cmp_gt_f64_e32 vcc, s[18:19], v[0:1]
	s_nop 1
	v_cndmask_b32_e32 v4, 0, v4, vcc
	v_ldexp_f64 v[0:1], v[0:1], v4
	v_rsq_f64_e32 v[4:5], v[0:1]
	s_nop 0
	v_mul_f64 v[8:9], v[0:1], v[4:5]
	v_mul_f64 v[4:5], v[4:5], 0.5
	v_fma_f64 v[16:17], -v[4:5], v[8:9], 0.5
	v_fmac_f64_e32 v[8:9], v[8:9], v[16:17]
	v_fma_f64 v[26:27], -v[8:9], v[8:9], v[0:1]
	v_fmac_f64_e32 v[4:5], v[4:5], v[16:17]
	v_fmac_f64_e32 v[8:9], v[26:27], v[4:5]
	v_fma_f64 v[16:17], -v[8:9], v[8:9], v[0:1]
	v_fmac_f64_e32 v[8:9], v[16:17], v[4:5]
	v_mov_b32_e32 v4, 0xffffff80
	v_cndmask_b32_e32 v4, 0, v4, vcc
	v_ldexp_f64 v[4:5], v[8:9], v4
	v_mov_b32_e32 v8, 0x260
	v_cmp_class_f64_e32 vcc, v[0:1], v8
	v_and_b32_e32 v9, 0x7fffffff, v11
	v_mov_b32_e32 v8, v10
	v_cndmask_b32_e32 v1, v5, v1, vcc
	v_cndmask_b32_e32 v0, v4, v0, vcc
	v_add_f64 v[4:5], v[0:1], v[0:1]
	v_div_scale_f64 v[16:17], s[18:19], v[4:5], v[4:5], v[8:9]
	v_rcp_f64_e32 v[26:27], v[16:17]
	v_div_scale_f64 v[8:9], vcc, v[8:9], v[4:5], v[8:9]
	s_brev_b32 s18, -2
	v_fma_f64 v[28:29], -v[16:17], v[26:27], 1.0
	v_fmac_f64_e32 v[26:27], v[26:27], v[28:29]
	v_fma_f64 v[28:29], -v[16:17], v[26:27], 1.0
	v_fmac_f64_e32 v[26:27], v[26:27], v[28:29]
	v_mul_f64 v[28:29], v[8:9], v[26:27]
	v_fma_f64 v[8:9], -v[16:17], v[28:29], v[8:9]
	v_div_fmas_f64 v[8:9], v[8:9], v[26:27], v[28:29]
	v_div_fixup_f64 v[16:17], v[8:9], v[4:5], |v[10:11]|
	v_bfi_b32 v1, s18, v1, v11
.LBB223_158:
	s_or_b64 exec, exec, s[2:3]
                                        ; implicit-def: $vgpr10_vgpr11
                                        ; implicit-def: $vgpr4_vgpr5
	s_and_saveexec_b64 s[2:3], s[0:1]
	s_xor_b64 s[0:1], exec, s[2:3]
	s_cbranch_execz .LBB223_160
; %bb.159:
	v_mul_f64 v[4:5], v[16:17], 0.5
	v_mul_f64 v[8:9], v[0:1], 0.5
	v_cndmask_b32_e64 v5, v17, v5, s[16:17]
	v_cndmask_b32_e64 v4, v16, v4, s[16:17]
	;; [unrolled: 1-line block ×4, first 2 shown]
                                        ; implicit-def: $vgpr16_vgpr17
                                        ; implicit-def: $vgpr0_vgpr1
	s_andn2_saveexec_b64 s[0:1], s[0:1]
	s_cbranch_execnz .LBB223_161
	s_branch .LBB223_162
.LBB223_160:
	s_andn2_saveexec_b64 s[0:1], s[0:1]
.LBB223_161:
	v_add_f64 v[4:5], v[16:17], v[16:17]
	v_add_f64 v[10:11], v[0:1], v[0:1]
.LBB223_162:
	s_or_b64 exec, exec, s[0:1]
.LBB223_163:
	s_andn2_saveexec_b64 s[0:1], s[14:15]
	s_cbranch_execz .LBB223_169
; %bb.164:
	v_add_f64 v[0:1], v[10:11], -v[10:11]
	v_cmp_lt_i64_e32 vcc, -1, v[8:9]
	s_brev_b32 s14, -2
	v_and_b32_e32 v5, 0x7fffffff, v1
	v_mov_b32_e32 v4, v0
	s_and_saveexec_b64 s[2:3], vcc
	s_xor_b64 s[2:3], exec, s[2:3]
; %bb.165:
	v_bfi_b32 v1, s14, v1, v11
	v_mov_b64_e32 v[10:11], v[0:1]
	v_mov_b64_e32 v[4:5], v[8:9]
; %bb.166:
	s_andn2_saveexec_b64 s[2:3], s[2:3]
; %bb.167:
	v_bfi_b32 v9, s14, v9, v11
	v_mov_b64_e32 v[10:11], v[8:9]
; %bb.168:
	s_or_b64 exec, exec, s[2:3]
.LBB223_169:
	s_or_b64 exec, exec, s[0:1]
.LBB223_170:
	s_andn2_saveexec_b64 s[0:1], s[12:13]
	s_cbranch_execz .LBB223_172
; %bb.171:
	v_add_f64 v[0:1], v[10:11], -v[10:11]
	v_div_scale_f64 v[4:5], vcc, v[0:1], v[0:1], v[0:1]
	v_rcp_f64_e32 v[10:11], v[4:5]
	s_nop 0
	v_fma_f64 v[16:17], -v[4:5], v[10:11], 1.0
	v_fmac_f64_e32 v[10:11], v[10:11], v[16:17]
	v_fma_f64 v[16:17], -v[4:5], v[10:11], 1.0
	v_fmac_f64_e32 v[10:11], v[10:11], v[16:17]
	v_mul_f64 v[16:17], v[4:5], v[10:11]
	v_fma_f64 v[4:5], -v[4:5], v[16:17], v[4:5]
	v_div_fmas_f64 v[4:5], v[4:5], v[10:11], v[16:17]
	v_div_fixup_f64 v[10:11], v[4:5], v[0:1], v[0:1]
	v_mov_b64_e32 v[4:5], v[8:9]
.LBB223_172:
	s_or_b64 exec, exec, s[0:1]
.LBB223_173:
	s_or_b64 exec, exec, s[10:11]
.LBB223_174:
	s_or_b64 exec, exec, s[8:9]
	global_load_dwordx4 v[14:17], v14, s[6:7]
	v_mov_b64_e32 v[26:27], 0
	v_mov_b64_e32 v[0:1], 0
	s_waitcnt vmcnt(0)
	v_cmp_neq_f64_e32 vcc, 0, v[14:15]
	v_cmp_neq_f64_e64 s[0:1], 0, v[16:17]
	s_or_b64 s[0:1], vcc, s[0:1]
	s_and_saveexec_b64 s[8:9], s[0:1]
	s_cbranch_execz .LBB223_204
; %bb.175:
	v_mov_b32_e32 v0, 0
	v_mov_b32_e32 v1, 0x7ff00000
	v_cmp_neq_f64_e64 s[0:1], |v[16:17]|, v[0:1]
	s_and_saveexec_b64 s[10:11], s[0:1]
	s_cbranch_execz .LBB223_203
; %bb.176:
	v_cmp_o_f64_e32 vcc, v[14:15], v[14:15]
                                        ; implicit-def: $vgpr0_vgpr1
	s_and_saveexec_b64 s[0:1], vcc
	s_xor_b64 s[12:13], exec, s[0:1]
	s_cbranch_execz .LBB223_200
; %bb.177:
	s_mov_b32 s0, 0
	s_mov_b32 s1, 0x7ff00000
	v_cmp_neq_f64_e64 s[0:1], |v[14:15]|, s[0:1]
                                        ; implicit-def: $vgpr0_vgpr1
	s_and_saveexec_b64 s[2:3], s[0:1]
	s_xor_b64 s[14:15], exec, s[2:3]
	s_cbranch_execz .LBB223_193
; %bb.178:
	v_max_f64 v[0:1], |v[16:17]|, |v[16:17]|
	v_max_f64 v[8:9], |v[14:15]|, |v[14:15]|
	s_mov_b32 s0, 0x99fcef32
	v_max_f64 v[0:1], v[8:9], v[0:1]
	s_mov_b32 s1, 0x7fda8279
	v_cmp_nle_f64_e64 s[0:1], s[0:1], v[0:1]
                                        ; implicit-def: $sgpr16_sgpr17
	s_and_saveexec_b64 s[2:3], s[0:1]
	s_xor_b64 s[2:3], exec, s[2:3]
	s_cbranch_execz .LBB223_182
; %bb.179:
	s_mov_b32 s16, 0
	s_mov_b32 s17, 0x200000
	v_cmp_le_f64_e64 s[18:19], |v[14:15]|, s[16:17]
	v_cmp_le_f64_e64 s[16:17], |v[16:17]|, s[16:17]
	s_and_b64 s[20:21], s[18:19], s[16:17]
	s_mov_b64 s[16:17], 0
	s_and_saveexec_b64 s[18:19], s[20:21]
; %bb.180:
	s_mov_b64 s[16:17], exec
	v_mul_f64 v[14:15], v[14:15], 4.0
	v_mul_f64 v[16:17], v[16:17], 4.0
; %bb.181:
	s_or_b64 exec, exec, s[18:19]
.LBB223_182:
	s_andn2_saveexec_b64 s[2:3], s[2:3]
; %bb.183:
	v_ldexp_f64 v[14:15], v[14:15], -2
	v_ldexp_f64 v[16:17], v[16:17], -2
	s_andn2_b64 s[16:17], s[16:17], exec
; %bb.184:
	s_or_b64 exec, exec, s[2:3]
	v_max_f64 v[0:1], |v[16:17]|, |v[16:17]|
	v_max_f64 v[8:9], |v[14:15]|, |v[14:15]|
	v_max_f64 v[0:1], v[8:9], v[0:1]
	v_frexp_exp_i32_f64_e32 v13, v[0:1]
	v_sub_u32_e32 v8, 0, v13
	v_ldexp_f64 v[0:1], |v[14:15]|, v8
	v_ldexp_f64 v[8:9], |v[16:17]|, v8
	v_mul_f64 v[8:9], v[8:9], v[8:9]
	v_fmac_f64_e32 v[8:9], v[0:1], v[0:1]
	v_rsq_f64_e32 v[0:1], v[8:9]
	v_cmp_eq_f64_e64 s[2:3], 0, v[8:9]
	s_movk_i32 s18, 0x204
	v_cmp_le_f64_e32 vcc, 0, v[14:15]
	v_mul_f64 v[28:29], v[8:9], v[0:1]
	v_mul_f64 v[0:1], v[0:1], 0.5
	v_fma_f64 v[30:31], -v[0:1], v[28:29], 0.5
	v_fmac_f64_e32 v[28:29], v[28:29], v[30:31]
	v_fmac_f64_e32 v[0:1], v[0:1], v[30:31]
	v_fma_f64 v[30:31], -v[28:29], v[28:29], v[8:9]
	v_fmac_f64_e32 v[28:29], v[30:31], v[0:1]
	v_cndmask_b32_e64 v1, v29, v9, s[2:3]
	v_cndmask_b32_e64 v0, v28, v8, s[2:3]
	v_ldexp_f64 v[0:1], v[0:1], v13
	v_cmp_o_f64_e64 s[2:3], v[16:17], v[16:17]
	v_mov_b32_e32 v8, 0x7ff80000
                                        ; implicit-def: $vgpr28_vgpr29
	s_nop 0
	v_cndmask_b32_e64 v0, 0, v0, s[2:3]
	v_cndmask_b32_e64 v1, v8, v1, s[2:3]
	v_cmp_class_f64_e64 s[2:3], v[14:15], s18
	v_cmp_class_f64_e64 s[18:19], v[16:17], s18
	v_mov_b32_e32 v8, 0x7ff00000
	s_or_b64 s[2:3], s[18:19], s[2:3]
	v_cndmask_b32_e64 v1, v1, v8, s[2:3]
	v_cndmask_b32_e64 v0, v0, 0, s[2:3]
                                        ; implicit-def: $vgpr8_vgpr9
	s_and_saveexec_b64 s[2:3], vcc
	s_xor_b64 s[2:3], exec, s[2:3]
	s_cbranch_execz .LBB223_186
; %bb.185:
	v_add_f64 v[0:1], v[14:15], v[0:1]
	s_mov_b32 s18, 0
	v_mul_f64 v[0:1], v[0:1], 0.5
	s_brev_b32 s19, 8
	v_mov_b32_e32 v8, 0x100
	v_cmp_gt_f64_e32 vcc, s[18:19], v[0:1]
	v_mov_b32_e32 v13, 0x260
	s_nop 0
	v_cndmask_b32_e32 v8, 0, v8, vcc
	v_ldexp_f64 v[0:1], v[0:1], v8
	v_rsq_f64_e32 v[8:9], v[0:1]
	s_nop 0
	v_mul_f64 v[14:15], v[0:1], v[8:9]
	v_mul_f64 v[8:9], v[8:9], 0.5
	v_fma_f64 v[28:29], -v[8:9], v[14:15], 0.5
	v_fmac_f64_e32 v[14:15], v[14:15], v[28:29]
	v_fma_f64 v[30:31], -v[14:15], v[14:15], v[0:1]
	v_fmac_f64_e32 v[8:9], v[8:9], v[28:29]
	v_fmac_f64_e32 v[14:15], v[30:31], v[8:9]
	v_fma_f64 v[28:29], -v[14:15], v[14:15], v[0:1]
	v_fmac_f64_e32 v[14:15], v[28:29], v[8:9]
	v_mov_b32_e32 v8, 0xffffff80
	v_cndmask_b32_e32 v8, 0, v8, vcc
	v_ldexp_f64 v[8:9], v[14:15], v8
	v_cmp_class_f64_e32 vcc, v[0:1], v13
	s_nop 1
	v_cndmask_b32_e32 v29, v9, v1, vcc
	v_cndmask_b32_e32 v28, v8, v0, vcc
	v_add_f64 v[0:1], v[28:29], v[28:29]
	v_div_scale_f64 v[8:9], s[18:19], v[0:1], v[0:1], v[16:17]
	v_rcp_f64_e32 v[14:15], v[8:9]
	s_nop 0
	v_fma_f64 v[30:31], -v[8:9], v[14:15], 1.0
	v_fmac_f64_e32 v[14:15], v[14:15], v[30:31]
	v_fma_f64 v[30:31], -v[8:9], v[14:15], 1.0
	v_fmac_f64_e32 v[14:15], v[14:15], v[30:31]
	v_div_scale_f64 v[30:31], vcc, v[16:17], v[0:1], v[16:17]
	v_mul_f64 v[32:33], v[30:31], v[14:15]
	v_fma_f64 v[8:9], -v[8:9], v[32:33], v[30:31]
	s_nop 1
	v_div_fmas_f64 v[8:9], v[8:9], v[14:15], v[32:33]
	v_div_fixup_f64 v[8:9], v[8:9], v[0:1], v[16:17]
                                        ; implicit-def: $vgpr0_vgpr1
                                        ; implicit-def: $vgpr14_vgpr15
	s_andn2_saveexec_b64 s[2:3], s[2:3]
	s_cbranch_execz .LBB223_188
	s_branch .LBB223_187
.LBB223_186:
	s_andn2_saveexec_b64 s[2:3], s[2:3]
	s_cbranch_execz .LBB223_188
.LBB223_187:
	v_add_f64 v[0:1], v[0:1], -v[14:15]
	s_mov_b32 s18, 0
	v_mul_f64 v[0:1], v[0:1], 0.5
	s_brev_b32 s19, 8
	v_mov_b32_e32 v8, 0x100
	v_cmp_gt_f64_e32 vcc, s[18:19], v[0:1]
	v_mov_b32_e32 v13, 0x260
	s_nop 0
	v_cndmask_b32_e32 v8, 0, v8, vcc
	v_ldexp_f64 v[0:1], v[0:1], v8
	v_rsq_f64_e32 v[8:9], v[0:1]
	s_nop 0
	v_mul_f64 v[14:15], v[0:1], v[8:9]
	v_mul_f64 v[8:9], v[8:9], 0.5
	v_fma_f64 v[28:29], -v[8:9], v[14:15], 0.5
	v_fmac_f64_e32 v[14:15], v[14:15], v[28:29]
	v_fma_f64 v[30:31], -v[14:15], v[14:15], v[0:1]
	v_fmac_f64_e32 v[8:9], v[8:9], v[28:29]
	v_fmac_f64_e32 v[14:15], v[30:31], v[8:9]
	v_fma_f64 v[28:29], -v[14:15], v[14:15], v[0:1]
	v_fmac_f64_e32 v[14:15], v[28:29], v[8:9]
	v_mov_b32_e32 v8, 0xffffff80
	v_cndmask_b32_e32 v8, 0, v8, vcc
	v_ldexp_f64 v[8:9], v[14:15], v8
	v_cmp_class_f64_e32 vcc, v[0:1], v13
	v_and_b32_e32 v15, 0x7fffffff, v17
	v_mov_b32_e32 v14, v16
	v_cndmask_b32_e32 v9, v9, v1, vcc
	v_cndmask_b32_e32 v8, v8, v0, vcc
	v_add_f64 v[0:1], v[8:9], v[8:9]
	v_div_scale_f64 v[28:29], s[18:19], v[0:1], v[0:1], v[14:15]
	v_rcp_f64_e32 v[30:31], v[28:29]
	v_div_scale_f64 v[14:15], vcc, v[14:15], v[0:1], v[14:15]
	s_brev_b32 s18, -2
	v_fma_f64 v[32:33], -v[28:29], v[30:31], 1.0
	v_fmac_f64_e32 v[30:31], v[30:31], v[32:33]
	v_fma_f64 v[32:33], -v[28:29], v[30:31], 1.0
	v_fmac_f64_e32 v[30:31], v[30:31], v[32:33]
	v_mul_f64 v[32:33], v[14:15], v[30:31]
	v_fma_f64 v[14:15], -v[28:29], v[32:33], v[14:15]
	v_div_fmas_f64 v[14:15], v[14:15], v[30:31], v[32:33]
	v_div_fixup_f64 v[28:29], v[14:15], v[0:1], |v[16:17]|
	v_bfi_b32 v9, s18, v9, v17
.LBB223_188:
	s_or_b64 exec, exec, s[2:3]
                                        ; implicit-def: $vgpr16_vgpr17
                                        ; implicit-def: $vgpr0_vgpr1
	s_and_saveexec_b64 s[2:3], s[0:1]
	s_xor_b64 s[0:1], exec, s[2:3]
	s_cbranch_execz .LBB223_190
; %bb.189:
	v_mul_f64 v[0:1], v[28:29], 0.5
	v_mul_f64 v[14:15], v[8:9], 0.5
	v_cndmask_b32_e64 v1, v29, v1, s[16:17]
	v_cndmask_b32_e64 v0, v28, v0, s[16:17]
	;; [unrolled: 1-line block ×4, first 2 shown]
                                        ; implicit-def: $vgpr28_vgpr29
                                        ; implicit-def: $vgpr8_vgpr9
	s_andn2_saveexec_b64 s[0:1], s[0:1]
	s_cbranch_execnz .LBB223_191
	s_branch .LBB223_192
.LBB223_190:
	s_andn2_saveexec_b64 s[0:1], s[0:1]
.LBB223_191:
	v_add_f64 v[0:1], v[28:29], v[28:29]
	v_add_f64 v[16:17], v[8:9], v[8:9]
.LBB223_192:
	s_or_b64 exec, exec, s[0:1]
.LBB223_193:
	s_andn2_saveexec_b64 s[0:1], s[14:15]
	s_cbranch_execz .LBB223_199
; %bb.194:
	v_add_f64 v[8:9], v[16:17], -v[16:17]
	v_cmp_lt_i64_e32 vcc, -1, v[14:15]
	s_brev_b32 s14, -2
	v_and_b32_e32 v1, 0x7fffffff, v9
	v_mov_b32_e32 v0, v8
	s_and_saveexec_b64 s[2:3], vcc
	s_xor_b64 s[2:3], exec, s[2:3]
; %bb.195:
	v_bfi_b32 v9, s14, v9, v17
	v_mov_b64_e32 v[16:17], v[8:9]
	v_mov_b64_e32 v[0:1], v[14:15]
; %bb.196:
	s_andn2_saveexec_b64 s[2:3], s[2:3]
; %bb.197:
	v_bfi_b32 v15, s14, v15, v17
	v_mov_b64_e32 v[16:17], v[14:15]
; %bb.198:
	s_or_b64 exec, exec, s[2:3]
.LBB223_199:
	s_or_b64 exec, exec, s[0:1]
.LBB223_200:
	s_andn2_saveexec_b64 s[0:1], s[12:13]
	s_cbranch_execz .LBB223_202
; %bb.201:
	v_add_f64 v[0:1], v[16:17], -v[16:17]
	v_div_scale_f64 v[8:9], vcc, v[0:1], v[0:1], v[0:1]
	v_rcp_f64_e32 v[16:17], v[8:9]
	s_nop 0
	v_fma_f64 v[28:29], -v[8:9], v[16:17], 1.0
	v_fmac_f64_e32 v[16:17], v[16:17], v[28:29]
	v_fma_f64 v[28:29], -v[8:9], v[16:17], 1.0
	v_fmac_f64_e32 v[16:17], v[16:17], v[28:29]
	v_mul_f64 v[28:29], v[8:9], v[16:17]
	v_fma_f64 v[8:9], -v[8:9], v[28:29], v[8:9]
	v_div_fmas_f64 v[8:9], v[8:9], v[16:17], v[28:29]
	v_div_fixup_f64 v[16:17], v[8:9], v[0:1], v[0:1]
	v_mov_b64_e32 v[0:1], v[14:15]
.LBB223_202:
	s_or_b64 exec, exec, s[0:1]
.LBB223_203:
	s_or_b64 exec, exec, s[10:11]
.LBB223_204:
	s_or_b64 exec, exec, s[8:9]
	global_load_dwordx4 v[12:15], v12, s[6:7]
	s_waitcnt vmcnt(0)
	v_cmp_neq_f64_e32 vcc, 0, v[12:13]
	v_cmp_neq_f64_e64 s[0:1], 0, v[14:15]
	s_or_b64 s[0:1], vcc, s[0:1]
	s_and_saveexec_b64 s[6:7], s[0:1]
	s_cbranch_execz .LBB223_234
; %bb.205:
	v_mov_b32_e32 v26, 0
	v_mov_b32_e32 v27, 0x7ff00000
	v_cmp_neq_f64_e64 s[0:1], |v[14:15]|, v[26:27]
	s_and_saveexec_b64 s[8:9], s[0:1]
	s_cbranch_execz .LBB223_233
; %bb.206:
	v_cmp_o_f64_e32 vcc, v[12:13], v[12:13]
                                        ; implicit-def: $vgpr26_vgpr27
	s_and_saveexec_b64 s[0:1], vcc
	s_xor_b64 s[10:11], exec, s[0:1]
	s_cbranch_execz .LBB223_230
; %bb.207:
	s_mov_b32 s0, 0
	s_mov_b32 s1, 0x7ff00000
	v_cmp_neq_f64_e64 s[0:1], |v[12:13]|, s[0:1]
                                        ; implicit-def: $vgpr26_vgpr27
	s_and_saveexec_b64 s[2:3], s[0:1]
	s_xor_b64 s[12:13], exec, s[2:3]
	s_cbranch_execz .LBB223_223
; %bb.208:
	v_max_f64 v[8:9], |v[14:15]|, |v[14:15]|
	v_max_f64 v[26:27], |v[12:13]|, |v[12:13]|
	s_mov_b32 s0, 0x99fcef32
	v_max_f64 v[8:9], v[26:27], v[8:9]
	s_mov_b32 s1, 0x7fda8279
	v_cmp_nle_f64_e64 s[0:1], s[0:1], v[8:9]
                                        ; implicit-def: $sgpr14_sgpr15
	s_and_saveexec_b64 s[2:3], s[0:1]
	s_xor_b64 s[2:3], exec, s[2:3]
	s_cbranch_execz .LBB223_212
; %bb.209:
	s_mov_b32 s14, 0
	s_mov_b32 s15, 0x200000
	v_cmp_le_f64_e64 s[16:17], |v[12:13]|, s[14:15]
	v_cmp_le_f64_e64 s[14:15], |v[14:15]|, s[14:15]
	s_and_b64 s[18:19], s[16:17], s[14:15]
	s_mov_b64 s[14:15], 0
	s_and_saveexec_b64 s[16:17], s[18:19]
; %bb.210:
	s_mov_b64 s[14:15], exec
	v_mul_f64 v[12:13], v[12:13], 4.0
	v_mul_f64 v[14:15], v[14:15], 4.0
; %bb.211:
	s_or_b64 exec, exec, s[16:17]
.LBB223_212:
	s_andn2_saveexec_b64 s[2:3], s[2:3]
; %bb.213:
	v_ldexp_f64 v[12:13], v[12:13], -2
	v_ldexp_f64 v[14:15], v[14:15], -2
	s_andn2_b64 s[14:15], s[14:15], exec
; %bb.214:
	s_or_b64 exec, exec, s[2:3]
	v_max_f64 v[8:9], |v[14:15]|, |v[14:15]|
	v_max_f64 v[26:27], |v[12:13]|, |v[12:13]|
	v_max_f64 v[8:9], v[26:27], v[8:9]
	v_frexp_exp_i32_f64_e32 v19, v[8:9]
	v_sub_u32_e32 v21, 0, v19
	v_ldexp_f64 v[26:27], |v[14:15]|, v21
	v_ldexp_f64 v[8:9], |v[12:13]|, v21
	v_mul_f64 v[26:27], v[26:27], v[26:27]
	v_fmac_f64_e32 v[26:27], v[8:9], v[8:9]
	v_rsq_f64_e32 v[8:9], v[26:27]
	v_cmp_eq_f64_e64 s[2:3], 0, v[26:27]
	s_movk_i32 s16, 0x204
	v_cmp_le_f64_e32 vcc, 0, v[12:13]
	v_mul_f64 v[28:29], v[26:27], v[8:9]
	v_mul_f64 v[8:9], v[8:9], 0.5
	v_fma_f64 v[30:31], -v[8:9], v[28:29], 0.5
	v_fmac_f64_e32 v[28:29], v[28:29], v[30:31]
	v_fmac_f64_e32 v[8:9], v[8:9], v[30:31]
	v_fma_f64 v[30:31], -v[28:29], v[28:29], v[26:27]
	v_fmac_f64_e32 v[28:29], v[30:31], v[8:9]
	v_cndmask_b32_e64 v9, v29, v27, s[2:3]
	v_cndmask_b32_e64 v8, v28, v26, s[2:3]
	v_ldexp_f64 v[8:9], v[8:9], v19
	v_cmp_o_f64_e64 s[2:3], v[14:15], v[14:15]
	v_mov_b32_e32 v19, 0x7ff80000
                                        ; implicit-def: $vgpr28_vgpr29
	s_nop 0
	v_cndmask_b32_e64 v8, 0, v8, s[2:3]
	v_cndmask_b32_e64 v9, v19, v9, s[2:3]
	v_cmp_class_f64_e64 s[2:3], v[12:13], s16
	v_cmp_class_f64_e64 s[16:17], v[14:15], s16
	v_mov_b32_e32 v19, 0x7ff00000
	s_or_b64 s[2:3], s[16:17], s[2:3]
	v_cndmask_b32_e64 v27, v9, v19, s[2:3]
	v_cndmask_b32_e64 v26, v8, 0, s[2:3]
                                        ; implicit-def: $vgpr8_vgpr9
	s_and_saveexec_b64 s[2:3], vcc
	s_xor_b64 s[2:3], exec, s[2:3]
	s_cbranch_execz .LBB223_216
; %bb.215:
	v_add_f64 v[8:9], v[12:13], v[26:27]
	s_mov_b32 s16, 0
	v_mul_f64 v[8:9], v[8:9], 0.5
	s_brev_b32 s17, 8
	v_mov_b32_e32 v12, 0x100
	v_cmp_gt_f64_e32 vcc, s[16:17], v[8:9]
	v_mov_b32_e32 v19, 0x260
	s_nop 0
	v_cndmask_b32_e32 v12, 0, v12, vcc
	v_ldexp_f64 v[8:9], v[8:9], v12
	v_rsq_f64_e32 v[12:13], v[8:9]
	s_nop 0
	v_mul_f64 v[26:27], v[8:9], v[12:13]
	v_mul_f64 v[12:13], v[12:13], 0.5
	v_fma_f64 v[28:29], -v[12:13], v[26:27], 0.5
	v_fmac_f64_e32 v[26:27], v[26:27], v[28:29]
	v_fma_f64 v[30:31], -v[26:27], v[26:27], v[8:9]
	v_fmac_f64_e32 v[12:13], v[12:13], v[28:29]
	v_fmac_f64_e32 v[26:27], v[30:31], v[12:13]
	v_fma_f64 v[28:29], -v[26:27], v[26:27], v[8:9]
	v_fmac_f64_e32 v[26:27], v[28:29], v[12:13]
	v_mov_b32_e32 v12, 0xffffff80
	v_cndmask_b32_e32 v12, 0, v12, vcc
	v_ldexp_f64 v[12:13], v[26:27], v12
	v_cmp_class_f64_e32 vcc, v[8:9], v19
	s_nop 1
	v_cndmask_b32_e32 v29, v13, v9, vcc
	v_cndmask_b32_e32 v28, v12, v8, vcc
	v_add_f64 v[8:9], v[28:29], v[28:29]
	v_div_scale_f64 v[12:13], s[16:17], v[8:9], v[8:9], v[14:15]
	v_rcp_f64_e32 v[26:27], v[12:13]
	s_nop 0
	v_fma_f64 v[30:31], -v[12:13], v[26:27], 1.0
	v_fmac_f64_e32 v[26:27], v[26:27], v[30:31]
	v_fma_f64 v[30:31], -v[12:13], v[26:27], 1.0
	v_fmac_f64_e32 v[26:27], v[26:27], v[30:31]
	v_div_scale_f64 v[30:31], vcc, v[14:15], v[8:9], v[14:15]
	v_mul_f64 v[32:33], v[30:31], v[26:27]
	v_fma_f64 v[12:13], -v[12:13], v[32:33], v[30:31]
	s_nop 1
	v_div_fmas_f64 v[12:13], v[12:13], v[26:27], v[32:33]
	v_div_fixup_f64 v[8:9], v[12:13], v[8:9], v[14:15]
                                        ; implicit-def: $vgpr26_vgpr27
                                        ; implicit-def: $vgpr12_vgpr13
	s_andn2_saveexec_b64 s[2:3], s[2:3]
	s_cbranch_execz .LBB223_218
	s_branch .LBB223_217
.LBB223_216:
	s_andn2_saveexec_b64 s[2:3], s[2:3]
	s_cbranch_execz .LBB223_218
.LBB223_217:
	v_add_f64 v[8:9], v[26:27], -v[12:13]
	s_mov_b32 s16, 0
	v_mul_f64 v[8:9], v[8:9], 0.5
	s_brev_b32 s17, 8
	v_mov_b32_e32 v12, 0x100
	v_cmp_gt_f64_e32 vcc, s[16:17], v[8:9]
	v_mov_b32_e32 v19, 0x260
	s_nop 0
	v_cndmask_b32_e32 v12, 0, v12, vcc
	v_ldexp_f64 v[8:9], v[8:9], v12
	v_rsq_f64_e32 v[12:13], v[8:9]
	s_nop 0
	v_mul_f64 v[26:27], v[8:9], v[12:13]
	v_mul_f64 v[12:13], v[12:13], 0.5
	v_fma_f64 v[28:29], -v[12:13], v[26:27], 0.5
	v_fmac_f64_e32 v[26:27], v[26:27], v[28:29]
	v_fma_f64 v[30:31], -v[26:27], v[26:27], v[8:9]
	v_fmac_f64_e32 v[12:13], v[12:13], v[28:29]
	v_fmac_f64_e32 v[26:27], v[30:31], v[12:13]
	v_fma_f64 v[28:29], -v[26:27], v[26:27], v[8:9]
	v_fmac_f64_e32 v[26:27], v[28:29], v[12:13]
	v_mov_b32_e32 v12, 0xffffff80
	v_cndmask_b32_e32 v12, 0, v12, vcc
	v_ldexp_f64 v[12:13], v[26:27], v12
	v_cmp_class_f64_e32 vcc, v[8:9], v19
	v_and_b32_e32 v27, 0x7fffffff, v15
	v_mov_b32_e32 v26, v14
	v_cndmask_b32_e32 v9, v13, v9, vcc
	v_cndmask_b32_e32 v8, v12, v8, vcc
	v_add_f64 v[12:13], v[8:9], v[8:9]
	v_div_scale_f64 v[28:29], s[16:17], v[12:13], v[12:13], v[26:27]
	v_rcp_f64_e32 v[30:31], v[28:29]
	v_div_scale_f64 v[26:27], vcc, v[26:27], v[12:13], v[26:27]
	s_brev_b32 s16, -2
	v_fma_f64 v[32:33], -v[28:29], v[30:31], 1.0
	v_fmac_f64_e32 v[30:31], v[30:31], v[32:33]
	v_fma_f64 v[32:33], -v[28:29], v[30:31], 1.0
	v_fmac_f64_e32 v[30:31], v[30:31], v[32:33]
	v_mul_f64 v[32:33], v[26:27], v[30:31]
	v_fma_f64 v[26:27], -v[28:29], v[32:33], v[26:27]
	v_div_fmas_f64 v[26:27], v[26:27], v[30:31], v[32:33]
	v_div_fixup_f64 v[28:29], v[26:27], v[12:13], |v[14:15]|
	v_bfi_b32 v9, s16, v9, v15
.LBB223_218:
	s_or_b64 exec, exec, s[2:3]
                                        ; implicit-def: $vgpr14_vgpr15
                                        ; implicit-def: $vgpr26_vgpr27
	s_and_saveexec_b64 s[2:3], s[0:1]
	s_xor_b64 s[0:1], exec, s[2:3]
	s_cbranch_execz .LBB223_220
; %bb.219:
	v_mul_f64 v[12:13], v[28:29], 0.5
	v_mul_f64 v[14:15], v[8:9], 0.5
	v_cndmask_b32_e64 v27, v29, v13, s[14:15]
	v_cndmask_b32_e64 v26, v28, v12, s[14:15]
	;; [unrolled: 1-line block ×4, first 2 shown]
                                        ; implicit-def: $vgpr28_vgpr29
                                        ; implicit-def: $vgpr8_vgpr9
	s_andn2_saveexec_b64 s[0:1], s[0:1]
	s_cbranch_execnz .LBB223_221
	s_branch .LBB223_222
.LBB223_220:
	s_andn2_saveexec_b64 s[0:1], s[0:1]
.LBB223_221:
	v_add_f64 v[26:27], v[28:29], v[28:29]
	v_add_f64 v[14:15], v[8:9], v[8:9]
.LBB223_222:
	s_or_b64 exec, exec, s[0:1]
.LBB223_223:
	s_andn2_saveexec_b64 s[0:1], s[12:13]
	s_cbranch_execz .LBB223_229
; %bb.224:
	v_add_f64 v[8:9], v[14:15], -v[14:15]
	v_cmp_lt_i64_e32 vcc, -1, v[12:13]
	s_brev_b32 s12, -2
	v_and_b32_e32 v27, 0x7fffffff, v9
	v_mov_b32_e32 v26, v8
	s_and_saveexec_b64 s[2:3], vcc
	s_xor_b64 s[2:3], exec, s[2:3]
; %bb.225:
	v_bfi_b32 v9, s12, v9, v15
	v_mov_b64_e32 v[14:15], v[8:9]
	v_mov_b64_e32 v[26:27], v[12:13]
; %bb.226:
	s_andn2_saveexec_b64 s[2:3], s[2:3]
; %bb.227:
	v_bfi_b32 v13, s12, v13, v15
	v_mov_b64_e32 v[14:15], v[12:13]
; %bb.228:
	s_or_b64 exec, exec, s[2:3]
.LBB223_229:
	s_or_b64 exec, exec, s[0:1]
.LBB223_230:
	s_andn2_saveexec_b64 s[0:1], s[10:11]
	s_cbranch_execz .LBB223_232
; %bb.231:
	v_add_f64 v[8:9], v[14:15], -v[14:15]
	v_div_scale_f64 v[14:15], vcc, v[8:9], v[8:9], v[8:9]
	v_rcp_f64_e32 v[26:27], v[14:15]
	s_nop 0
	v_fma_f64 v[28:29], -v[14:15], v[26:27], 1.0
	v_fmac_f64_e32 v[26:27], v[26:27], v[28:29]
	v_fma_f64 v[28:29], -v[14:15], v[26:27], 1.0
	v_fmac_f64_e32 v[26:27], v[26:27], v[28:29]
	v_mul_f64 v[28:29], v[14:15], v[26:27]
	v_fma_f64 v[14:15], -v[14:15], v[28:29], v[14:15]
	v_div_fmas_f64 v[14:15], v[14:15], v[26:27], v[28:29]
	v_div_fixup_f64 v[14:15], v[14:15], v[8:9], v[8:9]
	v_mov_b64_e32 v[26:27], v[12:13]
.LBB223_232:
	s_or_b64 exec, exec, s[0:1]
.LBB223_233:
	s_or_b64 exec, exec, s[8:9]
.LBB223_234:
	s_or_b64 exec, exec, s[6:7]
	v_mov_b32_e32 v25, 0
	v_mov_b32_e32 v8, v2
	v_mov_b32_e32 v9, v3
	v_lshl_add_u64 v[12:13], s[4:5], 0, v[24:25]
	global_store_dwordx4 v18, v[6:9], s[4:5]
	v_mov_b32_e32 v2, v16
	v_mov_b32_e32 v3, v17
	;; [unrolled: 1-line block ×4, first 2 shown]
	s_or_b64 s[24:25], s[24:25], exec
	global_store_dwordx4 v20, v[4:7], s[4:5]
	global_store_dwordx4 v22, v[0:3], s[4:5]
	global_store_dwordx2 v24, v[26:27], s[4:5]
	s_or_b64 exec, exec, s[26:27]
	s_and_saveexec_b64 s[0:1], s[24:25]
	s_cbranch_execnz .LBB223_370
.LBB223_235:
	s_endpgm
.LBB223_236:
	s_andn2_saveexec_b64 s[2:3], s[2:3]
	s_cbranch_execz .LBB223_238
.LBB223_237:
	v_add_f64 v[0:1], v[4:5], -v[0:1]
	s_mov_b32 s14, 0
	v_mul_f64 v[0:1], v[0:1], 0.5
	s_brev_b32 s15, 8
	v_mov_b32_e32 v4, 0x100
	v_cmp_gt_f64_e32 vcc, s[14:15], v[0:1]
	s_nop 1
	v_cndmask_b32_e32 v4, 0, v4, vcc
	v_ldexp_f64 v[0:1], v[0:1], v4
	v_rsq_f64_e32 v[4:5], v[0:1]
	s_nop 0
	v_mul_f64 v[6:7], v[0:1], v[4:5]
	v_mul_f64 v[4:5], v[4:5], 0.5
	v_fma_f64 v[10:11], -v[4:5], v[6:7], 0.5
	v_fmac_f64_e32 v[6:7], v[6:7], v[10:11]
	v_fma_f64 v[12:13], -v[6:7], v[6:7], v[0:1]
	v_fmac_f64_e32 v[4:5], v[4:5], v[10:11]
	v_fmac_f64_e32 v[6:7], v[12:13], v[4:5]
	v_fma_f64 v[10:11], -v[6:7], v[6:7], v[0:1]
	v_fmac_f64_e32 v[6:7], v[10:11], v[4:5]
	v_mov_b32_e32 v4, 0xffffff80
	v_cndmask_b32_e32 v4, 0, v4, vcc
	v_ldexp_f64 v[4:5], v[6:7], v4
	v_mov_b32_e32 v6, 0x260
	v_cmp_class_f64_e32 vcc, v[0:1], v6
	s_nop 1
	v_cndmask_b32_e32 v7, v5, v1, vcc
	v_cndmask_b32_e32 v6, v4, v0, vcc
	v_add_f64 v[0:1], v[6:7], v[6:7]
	v_and_b32_e32 v5, 0x7fffffff, v3
	v_mov_b32_e32 v4, v2
	v_div_scale_f64 v[10:11], s[14:15], v[0:1], v[0:1], v[4:5]
	v_rcp_f64_e32 v[12:13], v[10:11]
	v_div_scale_f64 v[4:5], vcc, v[4:5], v[0:1], v[4:5]
	s_brev_b32 s14, -2
	v_fma_f64 v[14:15], -v[10:11], v[12:13], 1.0
	v_fmac_f64_e32 v[12:13], v[12:13], v[14:15]
	v_fma_f64 v[14:15], -v[10:11], v[12:13], 1.0
	v_fmac_f64_e32 v[12:13], v[12:13], v[14:15]
	v_mul_f64 v[14:15], v[4:5], v[12:13]
	v_fma_f64 v[4:5], -v[10:11], v[14:15], v[4:5]
	v_div_fmas_f64 v[4:5], v[4:5], v[12:13], v[14:15]
	v_div_fixup_f64 v[10:11], v[4:5], v[0:1], |v[2:3]|
	v_bfi_b32 v7, s14, v7, v3
.LBB223_238:
	s_or_b64 exec, exec, s[2:3]
                                        ; implicit-def: $vgpr2_vgpr3
                                        ; implicit-def: $vgpr4_vgpr5
	s_and_saveexec_b64 s[2:3], s[0:1]
	s_xor_b64 s[0:1], exec, s[2:3]
	s_cbranch_execz .LBB223_244
; %bb.239:
	v_mul_f64 v[0:1], v[10:11], 0.5
	v_mul_f64 v[2:3], v[6:7], 0.5
	v_cndmask_b32_e64 v5, v11, v1, s[12:13]
	v_cndmask_b32_e64 v4, v10, v0, s[12:13]
	;; [unrolled: 1-line block ×4, first 2 shown]
                                        ; implicit-def: $vgpr10_vgpr11
                                        ; implicit-def: $vgpr6_vgpr7
	s_andn2_saveexec_b64 s[0:1], s[0:1]
	s_cbranch_execnz .LBB223_245
	s_branch .LBB223_246
.LBB223_240:
	s_andn2_saveexec_b64 s[2:3], s[2:3]
	s_cbranch_execz .LBB223_242
.LBB223_241:
	v_add_f64 v[0:1], v[4:5], -v[0:1]
	s_mov_b32 s14, 0
	v_mul_f64 v[0:1], v[0:1], 0.5
	s_brev_b32 s15, 8
	v_mov_b32_e32 v4, 0x100
	v_cmp_gt_f64_e32 vcc, s[14:15], v[0:1]
	s_nop 1
	v_cndmask_b32_e32 v4, 0, v4, vcc
	v_ldexp_f64 v[0:1], v[0:1], v4
	v_rsq_f64_e32 v[4:5], v[0:1]
	s_nop 0
	v_mul_f64 v[6:7], v[0:1], v[4:5]
	v_mul_f64 v[4:5], v[4:5], 0.5
	v_fma_f64 v[10:11], -v[4:5], v[6:7], 0.5
	v_fmac_f64_e32 v[6:7], v[6:7], v[10:11]
	v_fma_f64 v[12:13], -v[6:7], v[6:7], v[0:1]
	v_fmac_f64_e32 v[4:5], v[4:5], v[10:11]
	v_fmac_f64_e32 v[6:7], v[12:13], v[4:5]
	v_fma_f64 v[10:11], -v[6:7], v[6:7], v[0:1]
	v_fmac_f64_e32 v[6:7], v[10:11], v[4:5]
	v_mov_b32_e32 v4, 0xffffff80
	v_cndmask_b32_e32 v4, 0, v4, vcc
	v_ldexp_f64 v[4:5], v[6:7], v4
	v_mov_b32_e32 v6, 0x260
	v_cmp_class_f64_e32 vcc, v[0:1], v6
	s_nop 1
	v_cndmask_b32_e32 v7, v5, v1, vcc
	v_cndmask_b32_e32 v6, v4, v0, vcc
	v_add_f64 v[0:1], v[6:7], v[6:7]
	v_and_b32_e32 v5, 0x7fffffff, v3
	v_mov_b32_e32 v4, v2
	v_div_scale_f64 v[10:11], s[14:15], v[0:1], v[0:1], v[4:5]
	v_rcp_f64_e32 v[12:13], v[10:11]
	v_div_scale_f64 v[4:5], vcc, v[4:5], v[0:1], v[4:5]
	s_brev_b32 s14, -2
	v_fma_f64 v[14:15], -v[10:11], v[12:13], 1.0
	v_fmac_f64_e32 v[12:13], v[12:13], v[14:15]
	v_fma_f64 v[14:15], -v[10:11], v[12:13], 1.0
	v_fmac_f64_e32 v[12:13], v[12:13], v[14:15]
	v_mul_f64 v[14:15], v[4:5], v[12:13]
	v_fma_f64 v[4:5], -v[10:11], v[14:15], v[4:5]
	v_div_fmas_f64 v[4:5], v[4:5], v[12:13], v[14:15]
	v_div_fixup_f64 v[10:11], v[4:5], v[0:1], |v[2:3]|
	v_bfi_b32 v7, s14, v7, v3
.LBB223_242:
	s_or_b64 exec, exec, s[2:3]
                                        ; implicit-def: $vgpr2_vgpr3
                                        ; implicit-def: $vgpr4_vgpr5
	s_and_saveexec_b64 s[2:3], s[0:1]
	s_xor_b64 s[0:1], exec, s[2:3]
	s_cbranch_execz .LBB223_260
; %bb.243:
	v_mul_f64 v[0:1], v[10:11], 0.5
	v_mul_f64 v[2:3], v[6:7], 0.5
	v_cndmask_b32_e64 v5, v11, v1, s[12:13]
	v_cndmask_b32_e64 v4, v10, v0, s[12:13]
	;; [unrolled: 1-line block ×4, first 2 shown]
                                        ; implicit-def: $vgpr10_vgpr11
                                        ; implicit-def: $vgpr6_vgpr7
	s_andn2_saveexec_b64 s[0:1], s[0:1]
	s_cbranch_execnz .LBB223_261
	s_branch .LBB223_262
.LBB223_244:
	s_andn2_saveexec_b64 s[0:1], s[0:1]
.LBB223_245:
	v_add_f64 v[4:5], v[10:11], v[10:11]
	v_add_f64 v[2:3], v[6:7], v[6:7]
.LBB223_246:
	s_or_b64 exec, exec, s[0:1]
.LBB223_247:
	s_andn2_saveexec_b64 s[0:1], s[10:11]
	s_cbranch_execz .LBB223_253
; %bb.248:
	v_add_f64 v[6:7], v[2:3], -v[2:3]
	v_cmp_lt_i64_e32 vcc, -1, v[0:1]
	s_brev_b32 s10, -2
	v_and_b32_e32 v5, 0x7fffffff, v7
	v_mov_b32_e32 v4, v6
	s_and_saveexec_b64 s[2:3], vcc
	s_xor_b64 s[2:3], exec, s[2:3]
; %bb.249:
	v_bfi_b32 v7, s10, v7, v3
	v_mov_b64_e32 v[2:3], v[6:7]
	v_mov_b64_e32 v[4:5], v[0:1]
; %bb.250:
	s_andn2_saveexec_b64 s[2:3], s[2:3]
; %bb.251:
	v_bfi_b32 v1, s10, v1, v3
	v_mov_b64_e32 v[2:3], v[0:1]
; %bb.252:
	s_or_b64 exec, exec, s[2:3]
.LBB223_253:
	s_or_b64 exec, exec, s[0:1]
.LBB223_254:
	s_andn2_saveexec_b64 s[0:1], s[8:9]
	s_cbranch_execz .LBB223_256
; %bb.255:
	v_add_f64 v[2:3], v[2:3], -v[2:3]
	v_div_scale_f64 v[4:5], vcc, v[2:3], v[2:3], v[2:3]
	v_rcp_f64_e32 v[6:7], v[4:5]
	s_nop 0
	v_fma_f64 v[10:11], -v[4:5], v[6:7], 1.0
	v_fmac_f64_e32 v[6:7], v[6:7], v[10:11]
	v_fma_f64 v[10:11], -v[4:5], v[6:7], 1.0
	v_fmac_f64_e32 v[6:7], v[6:7], v[10:11]
	v_mul_f64 v[10:11], v[4:5], v[6:7]
	v_fma_f64 v[4:5], -v[4:5], v[10:11], v[4:5]
	v_div_fmas_f64 v[4:5], v[4:5], v[6:7], v[10:11]
	v_div_fixup_f64 v[2:3], v[4:5], v[2:3], v[2:3]
	v_mov_b64_e32 v[4:5], v[0:1]
.LBB223_256:
	s_or_b64 exec, exec, s[0:1]
.LBB223_257:
	s_or_b64 exec, exec, s[6:7]
.LBB223_258:
	s_or_b64 exec, exec, s[4:5]
	v_mov_b32_e32 v6, v2
	v_mov_b32_e32 v7, v3
	v_add_u32_e32 v16, 0x80, v16
	global_store_dwordx4 v8, v[4:7], s[16:17]
	s_or_b64 exec, exec, s[48:49]
	v_cmp_gt_i32_e32 vcc, s55, v16
	s_and_saveexec_b64 s[48:49], vcc
	s_cbranch_execnz .LBB223_16
.LBB223_259:
	s_or_b64 exec, exec, s[48:49]
	v_cmp_gt_i32_e32 vcc, s55, v16
	s_and_saveexec_b64 s[48:49], vcc
	s_cbranch_execnz .LBB223_275
	s_branch .LBB223_321
.LBB223_260:
	s_andn2_saveexec_b64 s[0:1], s[0:1]
.LBB223_261:
	v_add_f64 v[4:5], v[10:11], v[10:11]
	v_add_f64 v[2:3], v[6:7], v[6:7]
.LBB223_262:
	s_or_b64 exec, exec, s[0:1]
.LBB223_263:
	s_andn2_saveexec_b64 s[0:1], s[10:11]
	s_cbranch_execz .LBB223_269
; %bb.264:
	v_add_f64 v[6:7], v[2:3], -v[2:3]
	v_cmp_lt_i64_e32 vcc, -1, v[0:1]
	s_brev_b32 s10, -2
	v_and_b32_e32 v5, 0x7fffffff, v7
	v_mov_b32_e32 v4, v6
	s_and_saveexec_b64 s[2:3], vcc
	s_xor_b64 s[2:3], exec, s[2:3]
; %bb.265:
	v_bfi_b32 v7, s10, v7, v3
	v_mov_b64_e32 v[2:3], v[6:7]
	v_mov_b64_e32 v[4:5], v[0:1]
; %bb.266:
	s_andn2_saveexec_b64 s[2:3], s[2:3]
; %bb.267:
	v_bfi_b32 v1, s10, v1, v3
	v_mov_b64_e32 v[2:3], v[0:1]
; %bb.268:
	s_or_b64 exec, exec, s[2:3]
.LBB223_269:
	s_or_b64 exec, exec, s[0:1]
.LBB223_270:
	s_andn2_saveexec_b64 s[0:1], s[8:9]
	s_cbranch_execz .LBB223_272
; %bb.271:
	v_add_f64 v[2:3], v[2:3], -v[2:3]
	v_div_scale_f64 v[4:5], vcc, v[2:3], v[2:3], v[2:3]
	v_rcp_f64_e32 v[6:7], v[4:5]
	s_nop 0
	v_fma_f64 v[10:11], -v[4:5], v[6:7], 1.0
	v_fmac_f64_e32 v[6:7], v[6:7], v[10:11]
	v_fma_f64 v[10:11], -v[4:5], v[6:7], 1.0
	v_fmac_f64_e32 v[6:7], v[6:7], v[10:11]
	v_mul_f64 v[10:11], v[4:5], v[6:7]
	v_fma_f64 v[4:5], -v[4:5], v[10:11], v[4:5]
	v_div_fmas_f64 v[4:5], v[4:5], v[6:7], v[10:11]
	v_div_fixup_f64 v[2:3], v[4:5], v[2:3], v[2:3]
	v_mov_b64_e32 v[4:5], v[0:1]
.LBB223_272:
	s_or_b64 exec, exec, s[0:1]
.LBB223_273:
	s_or_b64 exec, exec, s[6:7]
.LBB223_274:
	s_or_b64 exec, exec, s[4:5]
	v_mov_b32_e32 v6, v2
	v_mov_b32_e32 v7, v3
	v_add_u32_e32 v16, 0x80, v16
	global_store_dwordx4 v8, v[4:7], s[16:17]
	s_or_b64 exec, exec, s[48:49]
	v_cmp_gt_i32_e32 vcc, s55, v16
	s_and_saveexec_b64 s[48:49], vcc
	s_cbranch_execz .LBB223_321
.LBB223_275:
	s_andn2_b64 vcc, exec, s[36:37]
	s_cbranch_vccnz .LBB223_281
; %bb.276:
	s_andn2_b64 vcc, exec, s[46:47]
	s_cbranch_vccnz .LBB223_282
; %bb.277:
	s_add_i32 s58, s56, 1
	s_cmp_eq_u32 s54, 2
	s_cbranch_scc1 .LBB223_283
; %bb.278:
	s_and_b32 s57, s58, 28
	s_mov_b32 s59, 0
	v_mov_b32_e32 v8, 0
	v_mov_b32_e32 v0, 0
	s_mov_b64 s[50:51], s[34:35]
	s_mov_b64 s[52:53], s[44:45]
	v_mov_b32_e32 v2, v16
.LBB223_279:                            ; =>This Inner Loop Header: Depth=1
	s_load_dwordx8 s[8:15], s[50:51], 0x4
	s_load_dwordx4 s[28:31], s[50:51], 0x24
	s_load_dwordx8 s[0:7], s[52:53], 0x0
	s_add_u32 s50, s50, 48
	s_addc_u32 s51, s51, 0
	s_waitcnt lgkmcnt(0)
	v_mul_hi_u32 v1, s9, v2
	v_add_u32_e32 v1, v2, v1
	v_lshrrev_b32_e32 v1, s10, v1
	v_mul_lo_u32 v3, v1, s8
	v_mul_hi_u32 v4, s12, v1
	v_sub_u32_e32 v2, v2, v3
	v_add_u32_e32 v3, v1, v4
	v_lshrrev_b32_e32 v3, s13, v3
	v_mul_lo_u32 v5, v3, s11
	v_mul_hi_u32 v6, s15, v3
	v_sub_u32_e32 v1, v1, v5
	v_add_u32_e32 v5, v3, v6
	v_mul_lo_u32 v4, v2, s1
	v_mul_lo_u32 v2, v2, s0
	;; [unrolled: 1-line block ×4, first 2 shown]
	v_lshrrev_b32_e32 v5, s28, v5
	v_add3_u32 v1, v2, v8, v1
	v_add3_u32 v0, v4, v0, v6
	v_mul_lo_u32 v2, v5, s14
	v_mul_hi_u32 v4, s30, v5
	v_sub_u32_e32 v2, v3, v2
	v_add_u32_e32 v3, v5, v4
	v_mul_lo_u32 v4, v2, s4
	v_mul_lo_u32 v6, v2, s5
	v_lshrrev_b32_e32 v2, s31, v3
	s_add_i32 s59, s59, 4
	v_mul_lo_u32 v3, v2, s29
	s_add_u32 s52, s52, 32
	v_sub_u32_e32 v3, v5, v3
	s_addc_u32 s53, s53, 0
	v_mul_lo_u32 v5, v3, s6
	v_mul_lo_u32 v3, v3, s7
	s_cmp_eq_u32 s57, s59
	v_add3_u32 v0, v6, v0, v3
	v_add3_u32 v8, v4, v1, v5
	s_cbranch_scc0 .LBB223_279
; %bb.280:
	v_mov_b32_e32 v1, v0
	s_branch .LBB223_284
.LBB223_281:
                                        ; implicit-def: $vgpr0
                                        ; implicit-def: $vgpr8
	s_branch .LBB223_288
.LBB223_282:
	v_mov_b32_e32 v0, 0
	v_mov_b32_e32 v8, 0
	s_branch .LBB223_287
.LBB223_283:
	v_mov_b32_e32 v8, 0
	s_mov_b32 s57, 0
	v_mov_b32_e32 v1, v8
                                        ; implicit-def: $vgpr0
	v_mov_b32_e32 v2, v16
.LBB223_284:
	s_and_b32 s4, s58, 3
	s_cmp_eq_u32 s4, 0
	s_cbranch_scc1 .LBB223_287
; %bb.285:
	s_lshl_b32 s0, s57, 3
	s_add_u32 s0, s34, s0
	s_addc_u32 s1, s35, 0
	s_add_u32 s0, s0, 0xc4
	s_addc_u32 s1, s1, 0
	s_mul_i32 s2, s57, 12
	s_add_u32 s2, s34, s2
	s_addc_u32 s3, s35, 0
.LBB223_286:                            ; =>This Inner Loop Header: Depth=1
	s_load_dwordx2 s[6:7], s[2:3], 0x4
	s_load_dword s5, s[2:3], 0xc
	s_load_dwordx2 s[8:9], s[0:1], 0x0
	v_mov_b32_e32 v0, v1
	s_add_u32 s2, s2, 12
	s_waitcnt lgkmcnt(0)
	v_mul_hi_u32 v1, s7, v2
	v_add_u32_e32 v1, v2, v1
	v_lshrrev_b32_e32 v1, s5, v1
	s_addc_u32 s3, s3, 0
	v_mul_lo_u32 v3, v1, s6
	s_add_u32 s0, s0, 8
	v_sub_u32_e32 v3, v2, v3
	s_addc_u32 s1, s1, 0
	s_add_i32 s4, s4, -1
	v_mov_b32_e32 v2, v1
	v_mad_u64_u32 v[0:1], s[6:7], v3, s9, v[0:1]
	s_cmp_lg_u32 s4, 0
	v_mad_u64_u32 v[8:9], s[6:7], v3, s8, v[8:9]
	v_mov_b32_e32 v1, v0
	s_cbranch_scc1 .LBB223_286
.LBB223_287:
	s_cbranch_execnz .LBB223_290
.LBB223_288:
	s_waitcnt lgkmcnt(0)
	v_mul_hi_u32 v0, s25, v16
	v_add_u32_e32 v0, v16, v0
	v_lshrrev_b32_e32 v1, s26, v0
	v_mul_lo_u32 v0, v1, s24
	v_sub_u32_e32 v2, v16, v0
	v_mul_lo_u32 v0, v2, s21
	s_andn2_b64 vcc, exec, s[42:43]
	v_mul_lo_u32 v8, v2, s20
	s_cbranch_vccnz .LBB223_290
; %bb.289:
	v_mul_hi_u32 v2, s40, v1
	v_add_u32_e32 v2, v1, v2
	v_lshrrev_b32_e32 v2, s41, v2
	v_mul_lo_u32 v2, v2, s27
	v_sub_u32_e32 v1, v1, v2
	v_mad_u64_u32 v[8:9], s[0:1], v1, s22, v[8:9]
	v_mad_u64_u32 v[0:1], s[0:1], v1, s23, v[0:1]
.LBB223_290:
	s_waitcnt lgkmcnt(0)
	global_load_dwordx4 v[0:3], v0, s[18:19]
	v_mov_b64_e32 v[4:5], 0
	s_waitcnt vmcnt(0)
	v_cmp_neq_f64_e32 vcc, 0, v[0:1]
	v_cmp_neq_f64_e64 s[0:1], 0, v[2:3]
	s_or_b64 s[0:1], vcc, s[0:1]
	s_and_saveexec_b64 s[4:5], s[0:1]
	s_cbranch_execz .LBB223_320
; %bb.291:
	v_mov_b32_e32 v4, 0
	v_mov_b32_e32 v5, 0x7ff00000
	v_cmp_neq_f64_e64 s[0:1], |v[2:3]|, v[4:5]
	s_and_saveexec_b64 s[6:7], s[0:1]
	s_cbranch_execz .LBB223_319
; %bb.292:
	v_cmp_o_f64_e32 vcc, v[0:1], v[0:1]
                                        ; implicit-def: $vgpr4_vgpr5
	s_and_saveexec_b64 s[0:1], vcc
	s_xor_b64 s[8:9], exec, s[0:1]
	s_cbranch_execz .LBB223_316
; %bb.293:
	s_mov_b32 s0, 0
	s_mov_b32 s1, 0x7ff00000
	v_cmp_neq_f64_e64 s[0:1], |v[0:1]|, s[0:1]
                                        ; implicit-def: $vgpr4_vgpr5
	s_and_saveexec_b64 s[2:3], s[0:1]
	s_xor_b64 s[10:11], exec, s[2:3]
	s_cbranch_execz .LBB223_309
; %bb.294:
	v_max_f64 v[4:5], |v[2:3]|, |v[2:3]|
	v_max_f64 v[6:7], |v[0:1]|, |v[0:1]|
	s_mov_b32 s0, 0x99fcef32
	v_max_f64 v[4:5], v[6:7], v[4:5]
	s_mov_b32 s1, 0x7fda8279
	v_cmp_nle_f64_e64 s[0:1], s[0:1], v[4:5]
                                        ; implicit-def: $sgpr12_sgpr13
	s_and_saveexec_b64 s[2:3], s[0:1]
	s_xor_b64 s[2:3], exec, s[2:3]
	s_cbranch_execz .LBB223_298
; %bb.295:
	s_mov_b32 s12, 0
	s_mov_b32 s13, 0x200000
	v_cmp_le_f64_e64 s[14:15], |v[0:1]|, s[12:13]
	v_cmp_le_f64_e64 s[12:13], |v[2:3]|, s[12:13]
	s_and_b64 s[28:29], s[14:15], s[12:13]
	s_mov_b64 s[12:13], 0
	s_and_saveexec_b64 s[14:15], s[28:29]
; %bb.296:
	s_mov_b64 s[12:13], exec
	v_mul_f64 v[0:1], v[0:1], 4.0
	v_mul_f64 v[2:3], v[2:3], 4.0
; %bb.297:
	s_or_b64 exec, exec, s[14:15]
.LBB223_298:
	s_andn2_saveexec_b64 s[2:3], s[2:3]
; %bb.299:
	v_ldexp_f64 v[0:1], v[0:1], -2
	v_ldexp_f64 v[2:3], v[2:3], -2
	s_andn2_b64 s[12:13], s[12:13], exec
; %bb.300:
	s_or_b64 exec, exec, s[2:3]
	v_max_f64 v[4:5], |v[2:3]|, |v[2:3]|
	v_max_f64 v[6:7], |v[0:1]|, |v[0:1]|
	v_max_f64 v[4:5], v[6:7], v[4:5]
	v_frexp_exp_i32_f64_e32 v9, v[4:5]
	v_sub_u32_e32 v6, 0, v9
	v_ldexp_f64 v[4:5], |v[0:1]|, v6
	v_ldexp_f64 v[6:7], |v[2:3]|, v6
	v_mul_f64 v[6:7], v[6:7], v[6:7]
	v_fmac_f64_e32 v[6:7], v[4:5], v[4:5]
	v_rsq_f64_e32 v[4:5], v[6:7]
	v_cmp_eq_f64_e64 s[2:3], 0, v[6:7]
	s_movk_i32 s14, 0x204
	v_cmp_le_f64_e32 vcc, 0, v[0:1]
	v_mul_f64 v[10:11], v[6:7], v[4:5]
	v_mul_f64 v[4:5], v[4:5], 0.5
	v_fma_f64 v[12:13], -v[4:5], v[10:11], 0.5
	v_fmac_f64_e32 v[10:11], v[10:11], v[12:13]
	v_fmac_f64_e32 v[4:5], v[4:5], v[12:13]
	v_fma_f64 v[12:13], -v[10:11], v[10:11], v[6:7]
	v_fmac_f64_e32 v[10:11], v[12:13], v[4:5]
	v_cndmask_b32_e64 v5, v11, v7, s[2:3]
	v_cndmask_b32_e64 v4, v10, v6, s[2:3]
	v_ldexp_f64 v[4:5], v[4:5], v9
	v_cmp_o_f64_e64 s[2:3], v[2:3], v[2:3]
	v_mov_b32_e32 v6, 0x7ff80000
                                        ; implicit-def: $vgpr10_vgpr11
	s_nop 0
	v_cndmask_b32_e64 v4, 0, v4, s[2:3]
	v_cndmask_b32_e64 v5, v6, v5, s[2:3]
	v_cmp_class_f64_e64 s[2:3], v[0:1], s14
	v_cmp_class_f64_e64 s[14:15], v[2:3], s14
	v_mov_b32_e32 v6, 0x7ff00000
	s_or_b64 s[2:3], s[14:15], s[2:3]
	v_cndmask_b32_e64 v5, v5, v6, s[2:3]
	v_cndmask_b32_e64 v4, v4, 0, s[2:3]
                                        ; implicit-def: $vgpr6_vgpr7
	s_and_saveexec_b64 s[2:3], vcc
	s_xor_b64 s[2:3], exec, s[2:3]
	s_cbranch_execz .LBB223_302
; %bb.301:
	v_add_f64 v[0:1], v[0:1], v[4:5]
	s_mov_b32 s14, 0
	v_mul_f64 v[0:1], v[0:1], 0.5
	s_brev_b32 s15, 8
	v_mov_b32_e32 v4, 0x100
	v_cmp_gt_f64_e32 vcc, s[14:15], v[0:1]
	s_nop 1
	v_cndmask_b32_e32 v4, 0, v4, vcc
	v_ldexp_f64 v[0:1], v[0:1], v4
	v_rsq_f64_e32 v[4:5], v[0:1]
	s_nop 0
	v_mul_f64 v[6:7], v[0:1], v[4:5]
	v_mul_f64 v[4:5], v[4:5], 0.5
	v_fma_f64 v[10:11], -v[4:5], v[6:7], 0.5
	v_fmac_f64_e32 v[6:7], v[6:7], v[10:11]
	v_fma_f64 v[12:13], -v[6:7], v[6:7], v[0:1]
	v_fmac_f64_e32 v[4:5], v[4:5], v[10:11]
	v_fmac_f64_e32 v[6:7], v[12:13], v[4:5]
	v_fma_f64 v[10:11], -v[6:7], v[6:7], v[0:1]
	v_fmac_f64_e32 v[6:7], v[10:11], v[4:5]
	v_mov_b32_e32 v4, 0xffffff80
	v_cndmask_b32_e32 v4, 0, v4, vcc
	v_ldexp_f64 v[4:5], v[6:7], v4
	v_mov_b32_e32 v6, 0x260
	v_cmp_class_f64_e32 vcc, v[0:1], v6
	s_nop 1
	v_cndmask_b32_e32 v11, v5, v1, vcc
	v_cndmask_b32_e32 v10, v4, v0, vcc
	v_add_f64 v[0:1], v[10:11], v[10:11]
	v_div_scale_f64 v[4:5], s[14:15], v[0:1], v[0:1], v[2:3]
	v_rcp_f64_e32 v[6:7], v[4:5]
	s_nop 0
	v_fma_f64 v[12:13], -v[4:5], v[6:7], 1.0
	v_fmac_f64_e32 v[6:7], v[6:7], v[12:13]
	v_fma_f64 v[12:13], -v[4:5], v[6:7], 1.0
	v_fmac_f64_e32 v[6:7], v[6:7], v[12:13]
	v_div_scale_f64 v[12:13], vcc, v[2:3], v[0:1], v[2:3]
	v_mul_f64 v[14:15], v[12:13], v[6:7]
	v_fma_f64 v[4:5], -v[4:5], v[14:15], v[12:13]
	s_nop 1
	v_div_fmas_f64 v[4:5], v[4:5], v[6:7], v[14:15]
	v_div_fixup_f64 v[6:7], v[4:5], v[0:1], v[2:3]
                                        ; implicit-def: $vgpr4_vgpr5
                                        ; implicit-def: $vgpr0_vgpr1
	s_andn2_saveexec_b64 s[2:3], s[2:3]
	s_cbranch_execz .LBB223_304
	s_branch .LBB223_303
.LBB223_302:
	s_andn2_saveexec_b64 s[2:3], s[2:3]
	s_cbranch_execz .LBB223_304
.LBB223_303:
	v_add_f64 v[0:1], v[4:5], -v[0:1]
	s_mov_b32 s14, 0
	v_mul_f64 v[0:1], v[0:1], 0.5
	s_brev_b32 s15, 8
	v_mov_b32_e32 v4, 0x100
	v_cmp_gt_f64_e32 vcc, s[14:15], v[0:1]
	s_nop 1
	v_cndmask_b32_e32 v4, 0, v4, vcc
	v_ldexp_f64 v[0:1], v[0:1], v4
	v_rsq_f64_e32 v[4:5], v[0:1]
	s_nop 0
	v_mul_f64 v[6:7], v[0:1], v[4:5]
	v_mul_f64 v[4:5], v[4:5], 0.5
	v_fma_f64 v[10:11], -v[4:5], v[6:7], 0.5
	v_fmac_f64_e32 v[6:7], v[6:7], v[10:11]
	v_fma_f64 v[12:13], -v[6:7], v[6:7], v[0:1]
	v_fmac_f64_e32 v[4:5], v[4:5], v[10:11]
	v_fmac_f64_e32 v[6:7], v[12:13], v[4:5]
	v_fma_f64 v[10:11], -v[6:7], v[6:7], v[0:1]
	v_fmac_f64_e32 v[6:7], v[10:11], v[4:5]
	v_mov_b32_e32 v4, 0xffffff80
	v_cndmask_b32_e32 v4, 0, v4, vcc
	v_ldexp_f64 v[4:5], v[6:7], v4
	v_mov_b32_e32 v6, 0x260
	v_cmp_class_f64_e32 vcc, v[0:1], v6
	s_nop 1
	v_cndmask_b32_e32 v7, v5, v1, vcc
	v_cndmask_b32_e32 v6, v4, v0, vcc
	v_add_f64 v[0:1], v[6:7], v[6:7]
	v_and_b32_e32 v5, 0x7fffffff, v3
	v_mov_b32_e32 v4, v2
	v_div_scale_f64 v[10:11], s[14:15], v[0:1], v[0:1], v[4:5]
	v_rcp_f64_e32 v[12:13], v[10:11]
	v_div_scale_f64 v[4:5], vcc, v[4:5], v[0:1], v[4:5]
	s_brev_b32 s14, -2
	v_fma_f64 v[14:15], -v[10:11], v[12:13], 1.0
	v_fmac_f64_e32 v[12:13], v[12:13], v[14:15]
	v_fma_f64 v[14:15], -v[10:11], v[12:13], 1.0
	v_fmac_f64_e32 v[12:13], v[12:13], v[14:15]
	v_mul_f64 v[14:15], v[4:5], v[12:13]
	v_fma_f64 v[4:5], -v[10:11], v[14:15], v[4:5]
	v_div_fmas_f64 v[4:5], v[4:5], v[12:13], v[14:15]
	v_div_fixup_f64 v[10:11], v[4:5], v[0:1], |v[2:3]|
	v_bfi_b32 v7, s14, v7, v3
.LBB223_304:
	s_or_b64 exec, exec, s[2:3]
                                        ; implicit-def: $vgpr2_vgpr3
                                        ; implicit-def: $vgpr4_vgpr5
	s_and_saveexec_b64 s[2:3], s[0:1]
	s_xor_b64 s[0:1], exec, s[2:3]
	s_cbranch_execz .LBB223_306
; %bb.305:
	v_mul_f64 v[0:1], v[10:11], 0.5
	v_mul_f64 v[2:3], v[6:7], 0.5
	v_cndmask_b32_e64 v5, v11, v1, s[12:13]
	v_cndmask_b32_e64 v4, v10, v0, s[12:13]
	;; [unrolled: 1-line block ×4, first 2 shown]
                                        ; implicit-def: $vgpr10_vgpr11
                                        ; implicit-def: $vgpr6_vgpr7
	s_andn2_saveexec_b64 s[0:1], s[0:1]
	s_cbranch_execnz .LBB223_307
	s_branch .LBB223_308
.LBB223_306:
	s_andn2_saveexec_b64 s[0:1], s[0:1]
.LBB223_307:
	v_add_f64 v[4:5], v[10:11], v[10:11]
	v_add_f64 v[2:3], v[6:7], v[6:7]
.LBB223_308:
	s_or_b64 exec, exec, s[0:1]
.LBB223_309:
	s_andn2_saveexec_b64 s[0:1], s[10:11]
	s_cbranch_execz .LBB223_315
; %bb.310:
	v_add_f64 v[6:7], v[2:3], -v[2:3]
	v_cmp_lt_i64_e32 vcc, -1, v[0:1]
	s_brev_b32 s10, -2
	v_and_b32_e32 v5, 0x7fffffff, v7
	v_mov_b32_e32 v4, v6
	s_and_saveexec_b64 s[2:3], vcc
	s_xor_b64 s[2:3], exec, s[2:3]
; %bb.311:
	v_bfi_b32 v7, s10, v7, v3
	v_mov_b64_e32 v[2:3], v[6:7]
	v_mov_b64_e32 v[4:5], v[0:1]
; %bb.312:
	s_andn2_saveexec_b64 s[2:3], s[2:3]
; %bb.313:
	v_bfi_b32 v1, s10, v1, v3
	v_mov_b64_e32 v[2:3], v[0:1]
; %bb.314:
	s_or_b64 exec, exec, s[2:3]
.LBB223_315:
	s_or_b64 exec, exec, s[0:1]
.LBB223_316:
	s_andn2_saveexec_b64 s[0:1], s[8:9]
	s_cbranch_execz .LBB223_318
; %bb.317:
	v_add_f64 v[2:3], v[2:3], -v[2:3]
	v_div_scale_f64 v[4:5], vcc, v[2:3], v[2:3], v[2:3]
	v_rcp_f64_e32 v[6:7], v[4:5]
	s_nop 0
	v_fma_f64 v[10:11], -v[4:5], v[6:7], 1.0
	v_fmac_f64_e32 v[6:7], v[6:7], v[10:11]
	v_fma_f64 v[10:11], -v[4:5], v[6:7], 1.0
	v_fmac_f64_e32 v[6:7], v[6:7], v[10:11]
	v_mul_f64 v[10:11], v[4:5], v[6:7]
	v_fma_f64 v[4:5], -v[4:5], v[10:11], v[4:5]
	v_div_fmas_f64 v[4:5], v[4:5], v[6:7], v[10:11]
	v_div_fixup_f64 v[2:3], v[4:5], v[2:3], v[2:3]
	v_mov_b64_e32 v[4:5], v[0:1]
.LBB223_318:
	s_or_b64 exec, exec, s[0:1]
.LBB223_319:
	s_or_b64 exec, exec, s[6:7]
.LBB223_320:
	s_or_b64 exec, exec, s[4:5]
	v_mov_b32_e32 v6, v2
	v_mov_b32_e32 v7, v3
	v_add_u32_e32 v16, 0x80, v16
	global_store_dwordx4 v8, v[4:7], s[16:17]
.LBB223_321:
	s_or_b64 exec, exec, s[48:49]
	v_cmp_gt_i32_e32 vcc, s55, v16
	s_mov_b64 s[0:1], 0
                                        ; implicit-def: $vgpr14_vgpr15
                                        ; implicit-def: $vgpr12_vgpr13
	s_and_saveexec_b64 s[48:49], vcc
	s_cbranch_execz .LBB223_368
; %bb.322:
	s_andn2_b64 vcc, exec, s[36:37]
	s_cbranch_vccnz .LBB223_328
; %bb.323:
	s_andn2_b64 vcc, exec, s[46:47]
	s_cbranch_vccnz .LBB223_329
; %bb.324:
	s_add_i32 s56, s56, 1
	s_cmp_eq_u32 s54, 2
	s_cbranch_scc1 .LBB223_330
; %bb.325:
	s_and_b32 s50, s56, 28
	s_mov_b32 s51, 0
	v_mov_b32_e32 v0, 0
	v_mov_b32_e32 v2, 0
	s_mov_b64 s[46:47], s[34:35]
	v_mov_b32_e32 v4, v16
.LBB223_326:                            ; =>This Inner Loop Header: Depth=1
	s_load_dwordx8 s[8:15], s[46:47], 0x4
	s_load_dwordx4 s[28:31], s[46:47], 0x24
	s_load_dwordx8 s[0:7], s[44:45], 0x0
	s_add_u32 s46, s46, 48
	s_addc_u32 s47, s47, 0
	s_waitcnt lgkmcnt(0)
	v_mul_hi_u32 v1, s9, v4
	v_add_u32_e32 v1, v4, v1
	v_lshrrev_b32_e32 v1, s10, v1
	v_mul_lo_u32 v3, v1, s8
	v_mul_hi_u32 v5, s12, v1
	v_sub_u32_e32 v3, v4, v3
	v_add_u32_e32 v4, v1, v5
	v_lshrrev_b32_e32 v4, s13, v4
	v_mul_lo_u32 v6, v4, s11
	v_mul_hi_u32 v7, s15, v4
	v_sub_u32_e32 v1, v1, v6
	v_add_u32_e32 v6, v4, v7
	v_mul_lo_u32 v5, v3, s1
	v_mul_lo_u32 v3, v3, s0
	;; [unrolled: 1-line block ×4, first 2 shown]
	v_lshrrev_b32_e32 v6, s28, v6
	v_add3_u32 v0, v3, v0, v1
	v_mul_hi_u32 v3, s30, v6
	v_add3_u32 v1, v5, v2, v7
	v_mul_lo_u32 v2, v6, s14
	v_add_u32_e32 v3, v6, v3
	v_sub_u32_e32 v2, v4, v2
	v_lshrrev_b32_e32 v4, s31, v3
	s_add_i32 s51, s51, 4
	v_mul_lo_u32 v3, v4, s29
	s_add_u32 s44, s44, 32
	v_sub_u32_e32 v3, v6, v3
	s_addc_u32 s45, s45, 0
	v_mul_lo_u32 v5, v2, s4
	v_mul_lo_u32 v2, v2, s5
	;; [unrolled: 1-line block ×4, first 2 shown]
	s_cmp_eq_u32 s50, s51
	v_add3_u32 v2, v2, v1, v3
	v_add3_u32 v0, v5, v0, v6
	s_cbranch_scc0 .LBB223_326
; %bb.327:
	v_mov_b32_e32 v1, v2
	s_branch .LBB223_331
.LBB223_328:
                                        ; implicit-def: $vgpr2
                                        ; implicit-def: $vgpr0
	s_branch .LBB223_335
.LBB223_329:
	v_mov_b32_e32 v2, 0
	v_mov_b32_e32 v0, 0
	s_branch .LBB223_334
.LBB223_330:
	v_mov_b32_e32 v0, 0
	s_mov_b32 s50, 0
	v_mov_b32_e32 v1, v0
                                        ; implicit-def: $vgpr2
	v_mov_b32_e32 v4, v16
.LBB223_331:
	s_and_b32 s4, s56, 3
	s_cmp_eq_u32 s4, 0
	s_cbranch_scc1 .LBB223_334
; %bb.332:
	s_lshl_b32 s0, s50, 3
	s_add_u32 s0, s34, s0
	s_addc_u32 s1, s35, 0
	s_add_u32 s0, s0, 0xc4
	s_addc_u32 s1, s1, 0
	s_mul_i32 s2, s50, 12
	s_add_u32 s2, s34, s2
	s_addc_u32 s3, s35, 0
.LBB223_333:                            ; =>This Inner Loop Header: Depth=1
	s_load_dwordx2 s[6:7], s[2:3], 0x4
	s_load_dword s5, s[2:3], 0xc
	s_load_dwordx2 s[8:9], s[0:1], 0x0
	v_mov_b32_e32 v2, v1
	s_add_u32 s2, s2, 12
	s_waitcnt lgkmcnt(0)
	v_mul_hi_u32 v1, s7, v4
	v_add_u32_e32 v1, v4, v1
	v_lshrrev_b32_e32 v1, s5, v1
	s_addc_u32 s3, s3, 0
	v_mul_lo_u32 v3, v1, s6
	s_add_u32 s0, s0, 8
	v_sub_u32_e32 v5, v4, v3
	s_addc_u32 s1, s1, 0
	s_add_i32 s4, s4, -1
	v_mov_b32_e32 v4, v1
	v_mad_u64_u32 v[2:3], s[6:7], v5, s9, v[2:3]
	v_mad_u64_u32 v[0:1], s[6:7], v5, s8, v[0:1]
	s_cmp_lg_u32 s4, 0
	v_mov_b32_e32 v1, v2
	s_cbranch_scc1 .LBB223_333
.LBB223_334:
	s_cbranch_execnz .LBB223_337
.LBB223_335:
	s_waitcnt lgkmcnt(0)
	v_mul_hi_u32 v0, s25, v16
	v_add_u32_e32 v0, v16, v0
	v_lshrrev_b32_e32 v1, s26, v0
	v_mul_lo_u32 v0, v1, s24
	v_sub_u32_e32 v0, v16, v0
	v_mul_lo_u32 v2, v0, s21
	s_andn2_b64 vcc, exec, s[42:43]
	v_mul_lo_u32 v0, v0, s20
	s_cbranch_vccnz .LBB223_337
; %bb.336:
	v_mul_hi_u32 v3, s40, v1
	v_add_u32_e32 v3, v1, v3
	v_lshrrev_b32_e32 v3, s41, v3
	v_mul_lo_u32 v3, v3, s27
	v_sub_u32_e32 v3, v1, v3
	v_mad_u64_u32 v[0:1], s[0:1], v3, s22, v[0:1]
	v_mad_u64_u32 v[2:3], s[0:1], v3, s23, v[2:3]
.LBB223_337:
	s_waitcnt lgkmcnt(0)
	global_load_dwordx4 v[12:15], v2, s[18:19]
	v_mov_b64_e32 v[2:3], 0
	s_waitcnt vmcnt(0)
	v_cmp_neq_f64_e32 vcc, 0, v[12:13]
	v_cmp_neq_f64_e64 s[0:1], 0, v[14:15]
	s_or_b64 s[0:1], vcc, s[0:1]
	s_and_saveexec_b64 s[4:5], s[0:1]
	s_cbranch_execz .LBB223_367
; %bb.338:
	v_mov_b32_e32 v2, 0
	v_mov_b32_e32 v3, 0x7ff00000
	v_cmp_neq_f64_e64 s[0:1], |v[14:15]|, v[2:3]
	s_and_saveexec_b64 s[6:7], s[0:1]
	s_cbranch_execz .LBB223_366
; %bb.339:
	v_cmp_o_f64_e32 vcc, v[12:13], v[12:13]
                                        ; implicit-def: $vgpr2_vgpr3
	s_and_saveexec_b64 s[0:1], vcc
	s_xor_b64 s[8:9], exec, s[0:1]
	s_cbranch_execz .LBB223_363
; %bb.340:
	s_mov_b32 s0, 0
	s_mov_b32 s1, 0x7ff00000
	v_cmp_neq_f64_e64 s[0:1], |v[12:13]|, s[0:1]
                                        ; implicit-def: $vgpr2_vgpr3
	s_and_saveexec_b64 s[2:3], s[0:1]
	s_xor_b64 s[10:11], exec, s[2:3]
	s_cbranch_execz .LBB223_356
; %bb.341:
	v_max_f64 v[2:3], |v[14:15]|, |v[14:15]|
	v_max_f64 v[4:5], |v[12:13]|, |v[12:13]|
	s_mov_b32 s0, 0x99fcef32
	v_max_f64 v[2:3], v[4:5], v[2:3]
	s_mov_b32 s1, 0x7fda8279
	v_cmp_nle_f64_e64 s[0:1], s[0:1], v[2:3]
                                        ; implicit-def: $sgpr12_sgpr13
	s_and_saveexec_b64 s[2:3], s[0:1]
	s_xor_b64 s[2:3], exec, s[2:3]
	s_cbranch_execz .LBB223_345
; %bb.342:
	s_mov_b32 s12, 0
	s_mov_b32 s13, 0x200000
	v_cmp_le_f64_e64 s[14:15], |v[12:13]|, s[12:13]
	v_cmp_le_f64_e64 s[12:13], |v[14:15]|, s[12:13]
	s_and_b64 s[18:19], s[14:15], s[12:13]
	s_mov_b64 s[12:13], 0
	s_and_saveexec_b64 s[14:15], s[18:19]
; %bb.343:
	s_mov_b64 s[12:13], exec
	v_mul_f64 v[12:13], v[12:13], 4.0
	v_mul_f64 v[14:15], v[14:15], 4.0
; %bb.344:
	s_or_b64 exec, exec, s[14:15]
.LBB223_345:
	s_andn2_saveexec_b64 s[2:3], s[2:3]
; %bb.346:
	v_ldexp_f64 v[12:13], v[12:13], -2
	v_ldexp_f64 v[14:15], v[14:15], -2
	s_andn2_b64 s[12:13], s[12:13], exec
; %bb.347:
	s_or_b64 exec, exec, s[2:3]
	v_max_f64 v[2:3], |v[14:15]|, |v[14:15]|
	v_max_f64 v[4:5], |v[12:13]|, |v[12:13]|
	v_max_f64 v[2:3], v[4:5], v[2:3]
	v_frexp_exp_i32_f64_e32 v1, v[2:3]
	v_sub_u32_e32 v4, 0, v1
	v_ldexp_f64 v[2:3], |v[12:13]|, v4
	v_ldexp_f64 v[4:5], |v[14:15]|, v4
	v_mul_f64 v[4:5], v[4:5], v[4:5]
	v_fmac_f64_e32 v[4:5], v[2:3], v[2:3]
	v_rsq_f64_e32 v[2:3], v[4:5]
	v_cmp_eq_f64_e64 s[2:3], 0, v[4:5]
	s_movk_i32 s14, 0x204
	v_cmp_le_f64_e32 vcc, 0, v[12:13]
	v_mul_f64 v[6:7], v[4:5], v[2:3]
	v_mul_f64 v[2:3], v[2:3], 0.5
	v_fma_f64 v[8:9], -v[2:3], v[6:7], 0.5
	v_fmac_f64_e32 v[6:7], v[6:7], v[8:9]
	v_fmac_f64_e32 v[2:3], v[2:3], v[8:9]
	v_fma_f64 v[8:9], -v[6:7], v[6:7], v[4:5]
	v_fmac_f64_e32 v[6:7], v[8:9], v[2:3]
	v_cndmask_b32_e64 v3, v7, v5, s[2:3]
	v_cndmask_b32_e64 v2, v6, v4, s[2:3]
	v_ldexp_f64 v[2:3], v[2:3], v1
	v_cmp_o_f64_e64 s[2:3], v[14:15], v[14:15]
                                        ; implicit-def: $vgpr4_vgpr5
                                        ; implicit-def: $vgpr6_vgpr7
	s_nop 1
	v_cndmask_b32_e64 v1, 0, v2, s[2:3]
	v_mov_b32_e32 v2, 0x7ff80000
	v_cndmask_b32_e64 v2, v2, v3, s[2:3]
	v_cmp_class_f64_e64 s[2:3], v[12:13], s14
	v_cmp_class_f64_e64 s[14:15], v[14:15], s14
	v_mov_b32_e32 v3, 0x7ff00000
	s_or_b64 s[2:3], s[14:15], s[2:3]
	v_cndmask_b32_e64 v3, v2, v3, s[2:3]
	v_cndmask_b32_e64 v2, v1, 0, s[2:3]
	s_and_saveexec_b64 s[2:3], vcc
	s_xor_b64 s[2:3], exec, s[2:3]
	s_cbranch_execz .LBB223_349
; %bb.348:
	v_add_f64 v[2:3], v[12:13], v[2:3]
	s_mov_b32 s14, 0
	v_mul_f64 v[2:3], v[2:3], 0.5
	s_brev_b32 s15, 8
	v_mov_b32_e32 v1, 0x100
	v_cmp_gt_f64_e32 vcc, s[14:15], v[2:3]
	s_nop 1
	v_cndmask_b32_e32 v1, 0, v1, vcc
	v_ldexp_f64 v[2:3], v[2:3], v1
	v_rsq_f64_e32 v[4:5], v[2:3]
	v_mov_b32_e32 v1, 0xffffff80
	v_cndmask_b32_e32 v1, 0, v1, vcc
	v_mul_f64 v[6:7], v[2:3], v[4:5]
	v_mul_f64 v[4:5], v[4:5], 0.5
	v_fma_f64 v[8:9], -v[4:5], v[6:7], 0.5
	v_fmac_f64_e32 v[6:7], v[6:7], v[8:9]
	v_fma_f64 v[10:11], -v[6:7], v[6:7], v[2:3]
	v_fmac_f64_e32 v[4:5], v[4:5], v[8:9]
	v_fmac_f64_e32 v[6:7], v[10:11], v[4:5]
	v_fma_f64 v[8:9], -v[6:7], v[6:7], v[2:3]
	v_fmac_f64_e32 v[6:7], v[8:9], v[4:5]
	v_ldexp_f64 v[4:5], v[6:7], v1
	v_mov_b32_e32 v1, 0x260
	v_cmp_class_f64_e32 vcc, v[2:3], v1
	s_nop 1
	v_cndmask_b32_e32 v7, v5, v3, vcc
	v_cndmask_b32_e32 v6, v4, v2, vcc
	v_add_f64 v[2:3], v[6:7], v[6:7]
	v_div_scale_f64 v[4:5], s[14:15], v[2:3], v[2:3], v[14:15]
	v_rcp_f64_e32 v[8:9], v[4:5]
	s_nop 0
	v_fma_f64 v[10:11], -v[4:5], v[8:9], 1.0
	v_fmac_f64_e32 v[8:9], v[8:9], v[10:11]
	v_fma_f64 v[10:11], -v[4:5], v[8:9], 1.0
	v_fmac_f64_e32 v[8:9], v[8:9], v[10:11]
	v_div_scale_f64 v[10:11], vcc, v[14:15], v[2:3], v[14:15]
	v_mul_f64 v[12:13], v[10:11], v[8:9]
	v_fma_f64 v[4:5], -v[4:5], v[12:13], v[10:11]
	s_nop 1
	v_div_fmas_f64 v[4:5], v[4:5], v[8:9], v[12:13]
	v_div_fixup_f64 v[4:5], v[4:5], v[2:3], v[14:15]
                                        ; implicit-def: $vgpr2_vgpr3
                                        ; implicit-def: $vgpr12_vgpr13
	s_andn2_saveexec_b64 s[2:3], s[2:3]
	s_cbranch_execz .LBB223_351
	s_branch .LBB223_350
.LBB223_349:
	s_andn2_saveexec_b64 s[2:3], s[2:3]
	s_cbranch_execz .LBB223_351
.LBB223_350:
	v_add_f64 v[2:3], v[2:3], -v[12:13]
	s_mov_b32 s14, 0
	v_mul_f64 v[2:3], v[2:3], 0.5
	s_brev_b32 s15, 8
	v_mov_b32_e32 v1, 0x100
	v_cmp_gt_f64_e32 vcc, s[14:15], v[2:3]
	s_nop 1
	v_cndmask_b32_e32 v1, 0, v1, vcc
	v_ldexp_f64 v[2:3], v[2:3], v1
	v_rsq_f64_e32 v[4:5], v[2:3]
	v_mov_b32_e32 v1, 0xffffff80
	v_cndmask_b32_e32 v1, 0, v1, vcc
	v_mul_f64 v[6:7], v[2:3], v[4:5]
	v_mul_f64 v[4:5], v[4:5], 0.5
	v_fma_f64 v[8:9], -v[4:5], v[6:7], 0.5
	v_fmac_f64_e32 v[6:7], v[6:7], v[8:9]
	v_fma_f64 v[10:11], -v[6:7], v[6:7], v[2:3]
	v_fmac_f64_e32 v[4:5], v[4:5], v[8:9]
	v_fmac_f64_e32 v[6:7], v[10:11], v[4:5]
	v_fma_f64 v[8:9], -v[6:7], v[6:7], v[2:3]
	v_fmac_f64_e32 v[6:7], v[8:9], v[4:5]
	v_ldexp_f64 v[4:5], v[6:7], v1
	v_mov_b32_e32 v1, 0x260
	v_cmp_class_f64_e32 vcc, v[2:3], v1
	v_and_b32_e32 v7, 0x7fffffff, v15
	v_mov_b32_e32 v6, v14
	v_cndmask_b32_e32 v5, v5, v3, vcc
	v_cndmask_b32_e32 v4, v4, v2, vcc
	v_add_f64 v[2:3], v[4:5], v[4:5]
	v_div_scale_f64 v[8:9], s[14:15], v[2:3], v[2:3], v[6:7]
	v_rcp_f64_e32 v[10:11], v[8:9]
	v_div_scale_f64 v[6:7], vcc, v[6:7], v[2:3], v[6:7]
	s_brev_b32 s14, -2
	v_fma_f64 v[12:13], -v[8:9], v[10:11], 1.0
	v_fmac_f64_e32 v[10:11], v[10:11], v[12:13]
	v_fma_f64 v[12:13], -v[8:9], v[10:11], 1.0
	v_fmac_f64_e32 v[10:11], v[10:11], v[12:13]
	v_mul_f64 v[12:13], v[6:7], v[10:11]
	v_fma_f64 v[6:7], -v[8:9], v[12:13], v[6:7]
	v_div_fmas_f64 v[6:7], v[6:7], v[10:11], v[12:13]
	v_div_fixup_f64 v[6:7], v[6:7], v[2:3], |v[14:15]|
	v_bfi_b32 v5, s14, v5, v15
.LBB223_351:
	s_or_b64 exec, exec, s[2:3]
                                        ; implicit-def: $vgpr14_vgpr15
                                        ; implicit-def: $vgpr2_vgpr3
	s_and_saveexec_b64 s[2:3], s[0:1]
	s_xor_b64 s[0:1], exec, s[2:3]
	s_cbranch_execz .LBB223_353
; %bb.352:
	v_mul_f64 v[2:3], v[6:7], 0.5
	v_mul_f64 v[8:9], v[4:5], 0.5
	v_cndmask_b32_e64 v3, v7, v3, s[12:13]
	v_cndmask_b32_e64 v2, v6, v2, s[12:13]
	;; [unrolled: 1-line block ×4, first 2 shown]
                                        ; implicit-def: $vgpr6_vgpr7
                                        ; implicit-def: $vgpr4_vgpr5
	s_andn2_saveexec_b64 s[0:1], s[0:1]
	s_cbranch_execnz .LBB223_354
	s_branch .LBB223_355
.LBB223_353:
	s_andn2_saveexec_b64 s[0:1], s[0:1]
.LBB223_354:
	v_add_f64 v[2:3], v[6:7], v[6:7]
	v_add_f64 v[14:15], v[4:5], v[4:5]
.LBB223_355:
	s_or_b64 exec, exec, s[0:1]
.LBB223_356:
	s_andn2_saveexec_b64 s[0:1], s[10:11]
	s_cbranch_execz .LBB223_362
; %bb.357:
	v_add_f64 v[4:5], v[14:15], -v[14:15]
	v_cmp_lt_i64_e32 vcc, -1, v[12:13]
	s_brev_b32 s10, -2
	v_and_b32_e32 v3, 0x7fffffff, v5
	v_mov_b32_e32 v2, v4
	s_and_saveexec_b64 s[2:3], vcc
	s_xor_b64 s[2:3], exec, s[2:3]
; %bb.358:
	v_bfi_b32 v5, s10, v5, v15
	v_mov_b64_e32 v[14:15], v[4:5]
	v_mov_b64_e32 v[2:3], v[12:13]
; %bb.359:
	s_andn2_saveexec_b64 s[2:3], s[2:3]
; %bb.360:
	v_bfi_b32 v13, s10, v13, v15
	v_mov_b64_e32 v[14:15], v[12:13]
; %bb.361:
	s_or_b64 exec, exec, s[2:3]
.LBB223_362:
	s_or_b64 exec, exec, s[0:1]
.LBB223_363:
	s_andn2_saveexec_b64 s[0:1], s[8:9]
	s_cbranch_execz .LBB223_365
; %bb.364:
	v_add_f64 v[2:3], v[14:15], -v[14:15]
	v_div_scale_f64 v[4:5], vcc, v[2:3], v[2:3], v[2:3]
	v_rcp_f64_e32 v[6:7], v[4:5]
	s_nop 0
	v_fma_f64 v[8:9], -v[4:5], v[6:7], 1.0
	v_fmac_f64_e32 v[6:7], v[6:7], v[8:9]
	v_fma_f64 v[8:9], -v[4:5], v[6:7], 1.0
	v_fmac_f64_e32 v[6:7], v[6:7], v[8:9]
	v_mul_f64 v[8:9], v[4:5], v[6:7]
	v_fma_f64 v[4:5], -v[4:5], v[8:9], v[4:5]
	v_div_fmas_f64 v[4:5], v[4:5], v[6:7], v[8:9]
	v_div_fixup_f64 v[14:15], v[4:5], v[2:3], v[2:3]
	v_mov_b64_e32 v[2:3], v[12:13]
.LBB223_365:
	s_or_b64 exec, exec, s[0:1]
.LBB223_366:
	s_or_b64 exec, exec, s[6:7]
.LBB223_367:
	s_or_b64 exec, exec, s[4:5]
	v_mov_b32_e32 v1, 0
	s_mov_b64 s[0:1], exec
	v_lshl_add_u64 v[12:13], s[16:17], 0, v[0:1]
	global_store_dwordx2 v0, v[2:3], s[16:17]
.LBB223_368:
	s_or_b64 exec, exec, s[48:49]
	s_waitcnt lgkmcnt(0)
	s_and_b64 s[24:25], s[0:1], exec
                                        ; implicit-def: $vgpr2
                                        ; implicit-def: $vgpr16
	s_andn2_saveexec_b64 s[26:27], s[38:39]
	s_cbranch_execnz .LBB223_9
.LBB223_369:
	s_or_b64 exec, exec, s[26:27]
	s_and_saveexec_b64 s[0:1], s[24:25]
	s_cbranch_execz .LBB223_235
.LBB223_370:
	global_store_dwordx2 v[12:13], v[14:15], off offset:8
	s_endpgm
	.section	.rodata,"a",@progbits
	.p2align	6, 0x0
	.amdhsa_kernel _ZN2at6native32elementwise_kernel_manual_unrollILi128ELi4EZNS0_22gpu_kernel_impl_nocastIZZZNS0_16sqrt_kernel_cudaERNS_18TensorIteratorBaseEENKUlvE_clEvENKUlvE_clEvEUlN3c107complexIdEEE_EEvS4_RKT_EUlibE_EEviT1_
		.amdhsa_group_segment_fixed_size 0
		.amdhsa_private_segment_fixed_size 0
		.amdhsa_kernarg_size 360
		.amdhsa_user_sgpr_count 2
		.amdhsa_user_sgpr_dispatch_ptr 0
		.amdhsa_user_sgpr_queue_ptr 0
		.amdhsa_user_sgpr_kernarg_segment_ptr 1
		.amdhsa_user_sgpr_dispatch_id 0
		.amdhsa_user_sgpr_kernarg_preload_length 0
		.amdhsa_user_sgpr_kernarg_preload_offset 0
		.amdhsa_user_sgpr_private_segment_size 0
		.amdhsa_uses_dynamic_stack 0
		.amdhsa_enable_private_segment 0
		.amdhsa_system_sgpr_workgroup_id_x 1
		.amdhsa_system_sgpr_workgroup_id_y 0
		.amdhsa_system_sgpr_workgroup_id_z 0
		.amdhsa_system_sgpr_workgroup_info 0
		.amdhsa_system_vgpr_workitem_id 0
		.amdhsa_next_free_vgpr 34
		.amdhsa_next_free_sgpr 60
		.amdhsa_accum_offset 36
		.amdhsa_reserve_vcc 1
		.amdhsa_float_round_mode_32 0
		.amdhsa_float_round_mode_16_64 0
		.amdhsa_float_denorm_mode_32 3
		.amdhsa_float_denorm_mode_16_64 3
		.amdhsa_dx10_clamp 1
		.amdhsa_ieee_mode 1
		.amdhsa_fp16_overflow 0
		.amdhsa_tg_split 0
		.amdhsa_exception_fp_ieee_invalid_op 0
		.amdhsa_exception_fp_denorm_src 0
		.amdhsa_exception_fp_ieee_div_zero 0
		.amdhsa_exception_fp_ieee_overflow 0
		.amdhsa_exception_fp_ieee_underflow 0
		.amdhsa_exception_fp_ieee_inexact 0
		.amdhsa_exception_int_div_zero 0
	.end_amdhsa_kernel
	.section	.text._ZN2at6native32elementwise_kernel_manual_unrollILi128ELi4EZNS0_22gpu_kernel_impl_nocastIZZZNS0_16sqrt_kernel_cudaERNS_18TensorIteratorBaseEENKUlvE_clEvENKUlvE_clEvEUlN3c107complexIdEEE_EEvS4_RKT_EUlibE_EEviT1_,"axG",@progbits,_ZN2at6native32elementwise_kernel_manual_unrollILi128ELi4EZNS0_22gpu_kernel_impl_nocastIZZZNS0_16sqrt_kernel_cudaERNS_18TensorIteratorBaseEENKUlvE_clEvENKUlvE_clEvEUlN3c107complexIdEEE_EEvS4_RKT_EUlibE_EEviT1_,comdat
.Lfunc_end223:
	.size	_ZN2at6native32elementwise_kernel_manual_unrollILi128ELi4EZNS0_22gpu_kernel_impl_nocastIZZZNS0_16sqrt_kernel_cudaERNS_18TensorIteratorBaseEENKUlvE_clEvENKUlvE_clEvEUlN3c107complexIdEEE_EEvS4_RKT_EUlibE_EEviT1_, .Lfunc_end223-_ZN2at6native32elementwise_kernel_manual_unrollILi128ELi4EZNS0_22gpu_kernel_impl_nocastIZZZNS0_16sqrt_kernel_cudaERNS_18TensorIteratorBaseEENKUlvE_clEvENKUlvE_clEvEUlN3c107complexIdEEE_EEvS4_RKT_EUlibE_EEviT1_
                                        ; -- End function
	.set _ZN2at6native32elementwise_kernel_manual_unrollILi128ELi4EZNS0_22gpu_kernel_impl_nocastIZZZNS0_16sqrt_kernel_cudaERNS_18TensorIteratorBaseEENKUlvE_clEvENKUlvE_clEvEUlN3c107complexIdEEE_EEvS4_RKT_EUlibE_EEviT1_.num_vgpr, 34
	.set _ZN2at6native32elementwise_kernel_manual_unrollILi128ELi4EZNS0_22gpu_kernel_impl_nocastIZZZNS0_16sqrt_kernel_cudaERNS_18TensorIteratorBaseEENKUlvE_clEvENKUlvE_clEvEUlN3c107complexIdEEE_EEvS4_RKT_EUlibE_EEviT1_.num_agpr, 0
	.set _ZN2at6native32elementwise_kernel_manual_unrollILi128ELi4EZNS0_22gpu_kernel_impl_nocastIZZZNS0_16sqrt_kernel_cudaERNS_18TensorIteratorBaseEENKUlvE_clEvENKUlvE_clEvEUlN3c107complexIdEEE_EEvS4_RKT_EUlibE_EEviT1_.numbered_sgpr, 60
	.set _ZN2at6native32elementwise_kernel_manual_unrollILi128ELi4EZNS0_22gpu_kernel_impl_nocastIZZZNS0_16sqrt_kernel_cudaERNS_18TensorIteratorBaseEENKUlvE_clEvENKUlvE_clEvEUlN3c107complexIdEEE_EEvS4_RKT_EUlibE_EEviT1_.num_named_barrier, 0
	.set _ZN2at6native32elementwise_kernel_manual_unrollILi128ELi4EZNS0_22gpu_kernel_impl_nocastIZZZNS0_16sqrt_kernel_cudaERNS_18TensorIteratorBaseEENKUlvE_clEvENKUlvE_clEvEUlN3c107complexIdEEE_EEvS4_RKT_EUlibE_EEviT1_.private_seg_size, 0
	.set _ZN2at6native32elementwise_kernel_manual_unrollILi128ELi4EZNS0_22gpu_kernel_impl_nocastIZZZNS0_16sqrt_kernel_cudaERNS_18TensorIteratorBaseEENKUlvE_clEvENKUlvE_clEvEUlN3c107complexIdEEE_EEvS4_RKT_EUlibE_EEviT1_.uses_vcc, 1
	.set _ZN2at6native32elementwise_kernel_manual_unrollILi128ELi4EZNS0_22gpu_kernel_impl_nocastIZZZNS0_16sqrt_kernel_cudaERNS_18TensorIteratorBaseEENKUlvE_clEvENKUlvE_clEvEUlN3c107complexIdEEE_EEvS4_RKT_EUlibE_EEviT1_.uses_flat_scratch, 0
	.set _ZN2at6native32elementwise_kernel_manual_unrollILi128ELi4EZNS0_22gpu_kernel_impl_nocastIZZZNS0_16sqrt_kernel_cudaERNS_18TensorIteratorBaseEENKUlvE_clEvENKUlvE_clEvEUlN3c107complexIdEEE_EEvS4_RKT_EUlibE_EEviT1_.has_dyn_sized_stack, 0
	.set _ZN2at6native32elementwise_kernel_manual_unrollILi128ELi4EZNS0_22gpu_kernel_impl_nocastIZZZNS0_16sqrt_kernel_cudaERNS_18TensorIteratorBaseEENKUlvE_clEvENKUlvE_clEvEUlN3c107complexIdEEE_EEvS4_RKT_EUlibE_EEviT1_.has_recursion, 0
	.set _ZN2at6native32elementwise_kernel_manual_unrollILi128ELi4EZNS0_22gpu_kernel_impl_nocastIZZZNS0_16sqrt_kernel_cudaERNS_18TensorIteratorBaseEENKUlvE_clEvENKUlvE_clEvEUlN3c107complexIdEEE_EEvS4_RKT_EUlibE_EEviT1_.has_indirect_call, 0
	.section	.AMDGPU.csdata,"",@progbits
; Kernel info:
; codeLenInByte = 16428
; TotalNumSgprs: 66
; NumVgprs: 34
; NumAgprs: 0
; TotalNumVgprs: 34
; ScratchSize: 0
; MemoryBound: 0
; FloatMode: 240
; IeeeMode: 1
; LDSByteSize: 0 bytes/workgroup (compile time only)
; SGPRBlocks: 8
; VGPRBlocks: 4
; NumSGPRsForWavesPerEU: 66
; NumVGPRsForWavesPerEU: 34
; AccumOffset: 36
; Occupancy: 8
; WaveLimiterHint : 1
; COMPUTE_PGM_RSRC2:SCRATCH_EN: 0
; COMPUTE_PGM_RSRC2:USER_SGPR: 2
; COMPUTE_PGM_RSRC2:TRAP_HANDLER: 0
; COMPUTE_PGM_RSRC2:TGID_X_EN: 1
; COMPUTE_PGM_RSRC2:TGID_Y_EN: 0
; COMPUTE_PGM_RSRC2:TGID_Z_EN: 0
; COMPUTE_PGM_RSRC2:TIDIG_COMP_CNT: 0
; COMPUTE_PGM_RSRC3_GFX90A:ACCUM_OFFSET: 8
; COMPUTE_PGM_RSRC3_GFX90A:TG_SPLIT: 0
	.section	.text._ZN2at6native32elementwise_kernel_manual_unrollILi128ELi4EZNS0_15gpu_kernel_implIZZZNS0_16sqrt_kernel_cudaERNS_18TensorIteratorBaseEENKUlvE_clEvENKUlvE_clEvEUlN3c107complexIdEEE_EEvS4_RKT_EUlibE_EEviT1_,"axG",@progbits,_ZN2at6native32elementwise_kernel_manual_unrollILi128ELi4EZNS0_15gpu_kernel_implIZZZNS0_16sqrt_kernel_cudaERNS_18TensorIteratorBaseEENKUlvE_clEvENKUlvE_clEvEUlN3c107complexIdEEE_EEvS4_RKT_EUlibE_EEviT1_,comdat
	.globl	_ZN2at6native32elementwise_kernel_manual_unrollILi128ELi4EZNS0_15gpu_kernel_implIZZZNS0_16sqrt_kernel_cudaERNS_18TensorIteratorBaseEENKUlvE_clEvENKUlvE_clEvEUlN3c107complexIdEEE_EEvS4_RKT_EUlibE_EEviT1_ ; -- Begin function _ZN2at6native32elementwise_kernel_manual_unrollILi128ELi4EZNS0_15gpu_kernel_implIZZZNS0_16sqrt_kernel_cudaERNS_18TensorIteratorBaseEENKUlvE_clEvENKUlvE_clEvEUlN3c107complexIdEEE_EEvS4_RKT_EUlibE_EEviT1_
	.p2align	8
	.type	_ZN2at6native32elementwise_kernel_manual_unrollILi128ELi4EZNS0_15gpu_kernel_implIZZZNS0_16sqrt_kernel_cudaERNS_18TensorIteratorBaseEENKUlvE_clEvENKUlvE_clEvEUlN3c107complexIdEEE_EEvS4_RKT_EUlibE_EEviT1_,@function
_ZN2at6native32elementwise_kernel_manual_unrollILi128ELi4EZNS0_15gpu_kernel_implIZZZNS0_16sqrt_kernel_cudaERNS_18TensorIteratorBaseEENKUlvE_clEvENKUlvE_clEvEUlN3c107complexIdEEE_EEvS4_RKT_EUlibE_EEviT1_: ; @_ZN2at6native32elementwise_kernel_manual_unrollILi128ELi4EZNS0_15gpu_kernel_implIZZZNS0_16sqrt_kernel_cudaERNS_18TensorIteratorBaseEENKUlvE_clEvENKUlvE_clEvEUlN3c107complexIdEEE_EEvS4_RKT_EUlibE_EEviT1_
; %bb.0:
	v_mov_b32_e32 v1, 0
	global_load_ushort v1, v1, s[0:1] offset:33
	s_load_dwordx4 s[4:7], s[0:1], 0x8
	s_load_dwordx2 s[8:9], s[0:1], 0x18
	s_load_dword s45, s[0:1], 0x0
	v_lshl_or_b32 v22, s2, 9, v0
	v_or_b32_e32 v0, 0x180, v22
	s_mov_b64 s[10:11], 0
	s_mov_b64 s[14:15], 0
	s_waitcnt lgkmcnt(0)
	v_cmp_le_i32_e32 vcc, s45, v0
	s_waitcnt vmcnt(0)
	v_readfirstlane_b32 s33, v1
	s_and_b32 s0, 0xffff, s33
	s_lshr_b32 s44, s0, 8
	s_and_saveexec_b64 s[0:1], vcc
	s_xor_b64 s[12:13], exec, s[0:1]
	s_cbranch_execz .LBB224_1165
; %bb.1:
	v_cmp_gt_i32_e32 vcc, s45, v22
	s_mov_b64 s[2:3], -1
	s_mov_b64 s[22:23], 0
	s_mov_b64 s[16:17], 0
	s_and_saveexec_b64 s[18:19], vcc
	s_cbranch_execz .LBB224_285
; %bb.2:
	v_mul_lo_u32 v0, v22, s9
	v_ashrrev_i32_e32 v1, 31, v0
	s_and_b32 s20, 0xffff, s44
	s_cmp_lt_i32 s20, 11
	v_lshl_add_u64 v[4:5], s[6:7], 0, v[0:1]
	s_cbranch_scc1 .LBB224_9
; %bb.3:
	s_cmp_gt_i32 s20, 25
	s_cbranch_scc0 .LBB224_23
; %bb.4:
	s_cmp_gt_i32 s20, 28
	s_cbranch_scc0 .LBB224_24
	;; [unrolled: 3-line block ×4, first 2 shown]
; %bb.7:
	s_cmp_eq_u32 s20, 46
	s_mov_b64 s[2:3], 0
	s_cbranch_scc0 .LBB224_57
; %bb.8:
	global_load_dword v0, v[4:5], off
	s_mov_b64 s[0:1], -1
	s_waitcnt vmcnt(0)
	v_and_b32_e32 v2, 0xffff0000, v0
	v_lshlrev_b32_e32 v0, 16, v0
	v_cvt_f64_f32_e32 v[0:1], v0
	v_cvt_f64_f32_e32 v[2:3], v2
	s_branch .LBB224_59
.LBB224_9:
                                        ; implicit-def: $vgpr2_vgpr3
	s_mov_b64 s[0:1], 0
	s_and_b64 vcc, exec, s[2:3]
	s_cbranch_vccnz .LBB224_234
.LBB224_10:
	s_andn2_b64 vcc, exec, s[0:1]
	s_cbranch_vccnz .LBB224_283
.LBB224_11:
	s_waitcnt vmcnt(0)
	v_cmp_neq_f64_e32 vcc, 0, v[0:1]
	v_cmp_neq_f64_e64 s[0:1], 0, v[2:3]
	v_mov_b64_e32 v[4:5], 0
	s_or_b64 s[0:1], vcc, s[0:1]
	s_and_saveexec_b64 s[14:15], s[0:1]
	s_cbranch_execz .LBB224_44
; %bb.12:
	v_mov_b32_e32 v4, 0
	v_mov_b32_e32 v5, 0x7ff00000
	v_cmp_neq_f64_e64 s[0:1], |v[2:3]|, v[4:5]
	s_and_saveexec_b64 s[20:21], s[0:1]
	s_cbranch_execz .LBB224_43
; %bb.13:
	v_cmp_o_f64_e32 vcc, v[0:1], v[0:1]
                                        ; implicit-def: $vgpr4_vgpr5
	s_and_saveexec_b64 s[0:1], vcc
	s_xor_b64 s[24:25], exec, s[0:1]
	s_cbranch_execz .LBB224_40
; %bb.14:
	s_mov_b32 s0, 0
	s_mov_b32 s1, 0x7ff00000
	v_cmp_neq_f64_e64 s[0:1], |v[0:1]|, s[0:1]
                                        ; implicit-def: $vgpr4_vgpr5
	s_and_saveexec_b64 s[2:3], s[0:1]
	s_xor_b64 s[26:27], exec, s[2:3]
	s_cbranch_execz .LBB224_33
; %bb.15:
	v_max_f64 v[4:5], |v[2:3]|, |v[2:3]|
	v_max_f64 v[6:7], |v[0:1]|, |v[0:1]|
	s_mov_b32 s0, 0x99fcef32
	v_max_f64 v[4:5], v[6:7], v[4:5]
	s_mov_b32 s1, 0x7fda8279
	v_cmp_nle_f64_e64 s[0:1], s[0:1], v[4:5]
                                        ; implicit-def: $sgpr28_sgpr29
	s_and_saveexec_b64 s[2:3], s[0:1]
	s_xor_b64 s[2:3], exec, s[2:3]
	s_cbranch_execz .LBB224_19
; %bb.16:
	s_mov_b32 s28, 0
	s_mov_b32 s29, 0x200000
	v_cmp_le_f64_e64 s[30:31], |v[0:1]|, s[28:29]
	v_cmp_le_f64_e64 s[28:29], |v[2:3]|, s[28:29]
	s_and_b64 s[34:35], s[30:31], s[28:29]
	s_mov_b64 s[28:29], 0
	s_and_saveexec_b64 s[30:31], s[34:35]
; %bb.17:
	s_mov_b64 s[28:29], exec
	v_mul_f64 v[0:1], v[0:1], 4.0
	v_mul_f64 v[2:3], v[2:3], 4.0
; %bb.18:
	s_or_b64 exec, exec, s[30:31]
.LBB224_19:
	s_andn2_saveexec_b64 s[2:3], s[2:3]
; %bb.20:
	v_ldexp_f64 v[0:1], v[0:1], -2
	v_ldexp_f64 v[2:3], v[2:3], -2
	s_andn2_b64 s[28:29], s[28:29], exec
; %bb.21:
	s_or_b64 exec, exec, s[2:3]
	v_max_f64 v[4:5], |v[2:3]|, |v[2:3]|
	v_max_f64 v[6:7], |v[0:1]|, |v[0:1]|
	v_max_f64 v[4:5], v[6:7], v[4:5]
	v_frexp_exp_i32_f64_e32 v12, v[4:5]
	v_sub_u32_e32 v6, 0, v12
	v_ldexp_f64 v[4:5], |v[0:1]|, v6
	v_ldexp_f64 v[6:7], |v[2:3]|, v6
	v_mul_f64 v[6:7], v[6:7], v[6:7]
	v_fmac_f64_e32 v[6:7], v[4:5], v[4:5]
	v_rsq_f64_e32 v[4:5], v[6:7]
	v_cmp_eq_f64_e64 s[2:3], 0, v[6:7]
	s_movk_i32 s30, 0x204
	v_cmp_le_f64_e32 vcc, 0, v[0:1]
	v_mul_f64 v[8:9], v[6:7], v[4:5]
	v_mul_f64 v[4:5], v[4:5], 0.5
	v_fma_f64 v[10:11], -v[4:5], v[8:9], 0.5
	v_fmac_f64_e32 v[8:9], v[8:9], v[10:11]
	v_fmac_f64_e32 v[4:5], v[4:5], v[10:11]
	v_fma_f64 v[10:11], -v[8:9], v[8:9], v[6:7]
	v_fmac_f64_e32 v[8:9], v[10:11], v[4:5]
	v_cndmask_b32_e64 v5, v9, v7, s[2:3]
	v_cndmask_b32_e64 v4, v8, v6, s[2:3]
	v_ldexp_f64 v[4:5], v[4:5], v12
	v_cmp_o_f64_e64 s[2:3], v[2:3], v[2:3]
	v_mov_b32_e32 v6, 0x7ff80000
                                        ; implicit-def: $vgpr8_vgpr9
	s_nop 0
	v_cndmask_b32_e64 v4, 0, v4, s[2:3]
	v_cndmask_b32_e64 v5, v6, v5, s[2:3]
	v_cmp_class_f64_e64 s[2:3], v[0:1], s30
	v_cmp_class_f64_e64 s[30:31], v[2:3], s30
	v_mov_b32_e32 v6, 0x7ff00000
	s_or_b64 s[2:3], s[30:31], s[2:3]
	v_cndmask_b32_e64 v5, v5, v6, s[2:3]
	v_cndmask_b32_e64 v4, v4, 0, s[2:3]
                                        ; implicit-def: $vgpr6_vgpr7
	s_and_saveexec_b64 s[2:3], vcc
	s_xor_b64 s[2:3], exec, s[2:3]
	s_cbranch_execz .LBB224_26
; %bb.22:
	v_add_f64 v[0:1], v[0:1], v[4:5]
	s_mov_b32 s30, 0
	v_mul_f64 v[0:1], v[0:1], 0.5
	s_brev_b32 s31, 8
	v_mov_b32_e32 v4, 0x100
	v_cmp_gt_f64_e32 vcc, s[30:31], v[0:1]
	s_nop 1
	v_cndmask_b32_e32 v4, 0, v4, vcc
	v_ldexp_f64 v[0:1], v[0:1], v4
	v_rsq_f64_e32 v[4:5], v[0:1]
	s_nop 0
	v_mul_f64 v[6:7], v[0:1], v[4:5]
	v_mul_f64 v[4:5], v[4:5], 0.5
	v_fma_f64 v[8:9], -v[4:5], v[6:7], 0.5
	v_fmac_f64_e32 v[6:7], v[6:7], v[8:9]
	v_fma_f64 v[10:11], -v[6:7], v[6:7], v[0:1]
	v_fmac_f64_e32 v[4:5], v[4:5], v[8:9]
	v_fmac_f64_e32 v[6:7], v[10:11], v[4:5]
	v_fma_f64 v[8:9], -v[6:7], v[6:7], v[0:1]
	v_fmac_f64_e32 v[6:7], v[8:9], v[4:5]
	v_mov_b32_e32 v4, 0xffffff80
	v_cndmask_b32_e32 v4, 0, v4, vcc
	v_ldexp_f64 v[4:5], v[6:7], v4
	v_mov_b32_e32 v6, 0x260
	v_cmp_class_f64_e32 vcc, v[0:1], v6
	s_nop 1
	v_cndmask_b32_e32 v9, v5, v1, vcc
	v_cndmask_b32_e32 v8, v4, v0, vcc
	v_add_f64 v[0:1], v[8:9], v[8:9]
	v_div_scale_f64 v[4:5], s[30:31], v[0:1], v[0:1], v[2:3]
	v_rcp_f64_e32 v[6:7], v[4:5]
	s_nop 0
	v_fma_f64 v[10:11], -v[4:5], v[6:7], 1.0
	v_fmac_f64_e32 v[6:7], v[6:7], v[10:11]
	v_fma_f64 v[10:11], -v[4:5], v[6:7], 1.0
	v_fmac_f64_e32 v[6:7], v[6:7], v[10:11]
	v_div_scale_f64 v[10:11], vcc, v[2:3], v[0:1], v[2:3]
	v_mul_f64 v[12:13], v[10:11], v[6:7]
	v_fma_f64 v[4:5], -v[4:5], v[12:13], v[10:11]
	s_nop 1
	v_div_fmas_f64 v[4:5], v[4:5], v[6:7], v[12:13]
	v_div_fixup_f64 v[6:7], v[4:5], v[0:1], v[2:3]
                                        ; implicit-def: $vgpr4_vgpr5
                                        ; implicit-def: $vgpr0_vgpr1
	s_andn2_saveexec_b64 s[2:3], s[2:3]
	s_cbranch_execz .LBB224_28
	s_branch .LBB224_27
.LBB224_23:
	s_mov_b64 s[0:1], 0
                                        ; implicit-def: $vgpr2_vgpr3
	s_and_b64 vcc, exec, s[2:3]
	s_cbranch_vccnz .LBB224_201
	s_branch .LBB224_233
.LBB224_24:
	s_mov_b64 s[0:1], 0
                                        ; implicit-def: $vgpr2_vgpr3
	s_branch .LBB224_180
.LBB224_25:
	s_mov_b64 s[0:1], 0
                                        ; implicit-def: $vgpr2_vgpr3
	s_branch .LBB224_174
.LBB224_26:
	s_andn2_saveexec_b64 s[2:3], s[2:3]
	s_cbranch_execz .LBB224_28
.LBB224_27:
	v_add_f64 v[0:1], v[4:5], -v[0:1]
	s_mov_b32 s30, 0
	v_mul_f64 v[0:1], v[0:1], 0.5
	s_brev_b32 s31, 8
	v_mov_b32_e32 v4, 0x100
	v_cmp_gt_f64_e32 vcc, s[30:31], v[0:1]
	s_nop 1
	v_cndmask_b32_e32 v4, 0, v4, vcc
	v_ldexp_f64 v[0:1], v[0:1], v4
	v_rsq_f64_e32 v[4:5], v[0:1]
	s_nop 0
	v_mul_f64 v[6:7], v[0:1], v[4:5]
	v_mul_f64 v[4:5], v[4:5], 0.5
	v_fma_f64 v[8:9], -v[4:5], v[6:7], 0.5
	v_fmac_f64_e32 v[6:7], v[6:7], v[8:9]
	v_fma_f64 v[10:11], -v[6:7], v[6:7], v[0:1]
	v_fmac_f64_e32 v[4:5], v[4:5], v[8:9]
	v_fmac_f64_e32 v[6:7], v[10:11], v[4:5]
	v_fma_f64 v[8:9], -v[6:7], v[6:7], v[0:1]
	v_fmac_f64_e32 v[6:7], v[8:9], v[4:5]
	v_mov_b32_e32 v4, 0xffffff80
	v_cndmask_b32_e32 v4, 0, v4, vcc
	v_ldexp_f64 v[4:5], v[6:7], v4
	v_mov_b32_e32 v6, 0x260
	v_cmp_class_f64_e32 vcc, v[0:1], v6
	s_nop 1
	v_cndmask_b32_e32 v7, v5, v1, vcc
	v_cndmask_b32_e32 v6, v4, v0, vcc
	v_add_f64 v[0:1], v[6:7], v[6:7]
	v_and_b32_e32 v5, 0x7fffffff, v3
	v_mov_b32_e32 v4, v2
	v_div_scale_f64 v[8:9], s[30:31], v[0:1], v[0:1], v[4:5]
	v_rcp_f64_e32 v[10:11], v[8:9]
	v_div_scale_f64 v[4:5], vcc, v[4:5], v[0:1], v[4:5]
	s_brev_b32 s30, -2
	v_fma_f64 v[12:13], -v[8:9], v[10:11], 1.0
	v_fmac_f64_e32 v[10:11], v[10:11], v[12:13]
	v_fma_f64 v[12:13], -v[8:9], v[10:11], 1.0
	v_fmac_f64_e32 v[10:11], v[10:11], v[12:13]
	v_mul_f64 v[12:13], v[4:5], v[10:11]
	v_fma_f64 v[4:5], -v[8:9], v[12:13], v[4:5]
	v_div_fmas_f64 v[4:5], v[4:5], v[10:11], v[12:13]
	v_div_fixup_f64 v[8:9], v[4:5], v[0:1], |v[2:3]|
	v_bfi_b32 v7, s30, v7, v3
.LBB224_28:
	s_or_b64 exec, exec, s[2:3]
                                        ; implicit-def: $vgpr2_vgpr3
                                        ; implicit-def: $vgpr4_vgpr5
	s_and_saveexec_b64 s[2:3], s[0:1]
	s_xor_b64 s[0:1], exec, s[2:3]
	s_cbranch_execz .LBB224_30
; %bb.29:
	v_mul_f64 v[0:1], v[8:9], 0.5
	v_mul_f64 v[2:3], v[6:7], 0.5
	v_cndmask_b32_e64 v5, v9, v1, s[28:29]
	v_cndmask_b32_e64 v4, v8, v0, s[28:29]
	;; [unrolled: 1-line block ×4, first 2 shown]
                                        ; implicit-def: $vgpr8_vgpr9
                                        ; implicit-def: $vgpr6_vgpr7
	s_andn2_saveexec_b64 s[0:1], s[0:1]
	s_cbranch_execnz .LBB224_31
	s_branch .LBB224_32
.LBB224_30:
	s_andn2_saveexec_b64 s[0:1], s[0:1]
.LBB224_31:
	v_add_f64 v[4:5], v[8:9], v[8:9]
	v_add_f64 v[2:3], v[6:7], v[6:7]
.LBB224_32:
	s_or_b64 exec, exec, s[0:1]
.LBB224_33:
	s_andn2_saveexec_b64 s[0:1], s[26:27]
	s_cbranch_execz .LBB224_39
; %bb.34:
	v_add_f64 v[6:7], v[2:3], -v[2:3]
	v_cmp_lt_i64_e32 vcc, -1, v[0:1]
	s_brev_b32 s26, -2
	v_and_b32_e32 v5, 0x7fffffff, v7
	v_mov_b32_e32 v4, v6
	s_and_saveexec_b64 s[2:3], vcc
	s_xor_b64 s[2:3], exec, s[2:3]
; %bb.35:
	v_bfi_b32 v7, s26, v7, v3
	v_mov_b64_e32 v[2:3], v[6:7]
	v_mov_b64_e32 v[4:5], v[0:1]
; %bb.36:
	s_andn2_saveexec_b64 s[2:3], s[2:3]
; %bb.37:
	v_bfi_b32 v1, s26, v1, v3
	v_mov_b64_e32 v[2:3], v[0:1]
; %bb.38:
	s_or_b64 exec, exec, s[2:3]
.LBB224_39:
	s_or_b64 exec, exec, s[0:1]
.LBB224_40:
	s_andn2_saveexec_b64 s[0:1], s[24:25]
	s_cbranch_execz .LBB224_42
; %bb.41:
	v_add_f64 v[2:3], v[2:3], -v[2:3]
	v_div_scale_f64 v[4:5], vcc, v[2:3], v[2:3], v[2:3]
	v_rcp_f64_e32 v[6:7], v[4:5]
	s_nop 0
	v_fma_f64 v[8:9], -v[4:5], v[6:7], 1.0
	v_fmac_f64_e32 v[6:7], v[6:7], v[8:9]
	v_fma_f64 v[8:9], -v[4:5], v[6:7], 1.0
	v_fmac_f64_e32 v[6:7], v[6:7], v[8:9]
	v_mul_f64 v[8:9], v[4:5], v[6:7]
	v_fma_f64 v[4:5], -v[4:5], v[8:9], v[4:5]
	v_div_fmas_f64 v[4:5], v[4:5], v[6:7], v[8:9]
	v_div_fixup_f64 v[2:3], v[4:5], v[2:3], v[2:3]
	v_mov_b64_e32 v[4:5], v[0:1]
.LBB224_42:
	s_or_b64 exec, exec, s[0:1]
.LBB224_43:
	s_or_b64 exec, exec, s[20:21]
.LBB224_44:
	s_or_b64 exec, exec, s[14:15]
	v_mul_lo_u32 v0, v22, s8
	v_ashrrev_i32_e32 v1, 31, v0
	s_and_b32 s24, s33, 0xff
	s_cmp_lt_i32 s24, 11
	v_lshl_add_u64 v[0:1], s[4:5], 0, v[0:1]
	s_cbranch_scc1 .LBB224_51
; %bb.45:
	s_and_b32 s25, 0xffff, s24
	s_cmp_gt_i32 s25, 25
	s_cbranch_scc0 .LBB224_54
; %bb.46:
	s_cmp_gt_i32 s25, 28
	s_cbranch_scc0 .LBB224_55
; %bb.47:
	s_cmp_gt_i32 s25, 43
	s_cbranch_scc0 .LBB224_56
; %bb.48:
	s_cmp_gt_i32 s25, 45
	s_cbranch_scc0 .LBB224_62
; %bb.49:
	s_mov_b64 s[14:15], 0
	s_mov_b64 s[2:3], -1
	s_cmp_eq_u32 s25, 46
	s_mov_b64 s[0:1], 0
	s_cbranch_scc0 .LBB224_63
; %bb.50:
	v_cvt_f32_f64_e32 v7, v[2:3]
	s_movk_i32 s0, 0x7fff
	v_bfe_u32 v9, v7, 16, 1
	v_cvt_f32_f64_e32 v6, v[4:5]
	v_add3_u32 v9, v7, v9, s0
	v_bfe_u32 v8, v6, 16, 1
	v_and_b32_e32 v9, 0xffff0000, v9
	v_mov_b32_e32 v10, 0x7fc00000
	v_cmp_o_f32_e32 vcc, v7, v7
	v_add3_u32 v8, v6, v8, s0
	s_mov_b64 s[0:1], -1
	v_cndmask_b32_e32 v7, v10, v9, vcc
	v_cmp_o_f32_e32 vcc, v6, v6
	v_mov_b32_e32 v6, 0x7fc0
	s_mov_b64 s[2:3], 0
	v_cndmask_b32_sdwa v6, v6, v8, vcc dst_sel:DWORD dst_unused:UNUSED_PAD src0_sel:DWORD src1_sel:WORD_1
	v_or_b32_e32 v6, v7, v6
	global_store_dword v[0:1], v6, off
	s_branch .LBB224_63
.LBB224_51:
	s_mov_b64 s[2:3], 0
	s_mov_b64 s[0:1], 0
	s_cbranch_execnz .LBB224_132
.LBB224_52:
	s_andn2_b64 vcc, exec, s[0:1]
	s_cbranch_vccnz .LBB224_170
.LBB224_53:
	v_add_u32_e32 v22, 0x80, v22
	s_mov_b64 s[0:1], -1
	s_branch .LBB224_284
.LBB224_54:
	s_mov_b64 s[14:15], -1
	s_mov_b64 s[2:3], 0
	s_mov_b64 s[0:1], 0
	s_branch .LBB224_90
.LBB224_55:
	s_mov_b64 s[14:15], -1
	s_mov_b64 s[2:3], 0
	s_mov_b64 s[0:1], 0
	s_branch .LBB224_73
.LBB224_56:
	s_mov_b64 s[14:15], -1
	s_mov_b64 s[2:3], 0
	s_mov_b64 s[0:1], 0
	s_branch .LBB224_69
.LBB224_57:
	s_mov_b64 s[16:17], -1
.LBB224_58:
	s_mov_b64 s[0:1], 0
                                        ; implicit-def: $vgpr2_vgpr3
.LBB224_59:
	s_and_b64 vcc, exec, s[2:3]
	s_cbranch_vccz .LBB224_173
; %bb.60:
	s_cmp_eq_u32 s20, 44
	s_cbranch_scc0 .LBB224_171
; %bb.61:
	global_load_ubyte v2, v[4:5], off
	s_movk_i32 s2, 0xff
	v_bfrev_b32_e32 v3, 4
	v_mov_b32_e32 v6, 0x7ff80000
	v_bfrev_b32_e32 v7, 28
	s_mov_b64 s[0:1], -1
	s_mov_b64 s[16:17], 0
	s_waitcnt vmcnt(0)
	v_lshlrev_b32_e32 v0, 23, v2
	v_cvt_f64_f32_e32 v[0:1], v0
	v_cmp_ne_u32_e32 vcc, s2, v2
	s_nop 1
	v_cndmask_b32_e32 v0, v3, v0, vcc
	v_cndmask_b32_e32 v1, v6, v1, vcc
	v_cmp_ne_u32_e32 vcc, 0, v2
	s_nop 1
	v_cndmask_b32_e32 v1, v7, v1, vcc
	v_cndmask_b32_e32 v0, 0, v0, vcc
	s_branch .LBB224_172
.LBB224_62:
	s_mov_b64 s[14:15], -1
	s_mov_b64 s[2:3], 0
	s_mov_b64 s[0:1], 0
.LBB224_63:
	s_and_b64 vcc, exec, s[14:15]
	s_cbranch_vccz .LBB224_68
; %bb.64:
	s_cmp_eq_u32 s25, 44
	s_mov_b64 s[2:3], -1
	s_cbranch_scc0 .LBB224_68
; %bb.65:
	v_cvt_f32_f64_e32 v6, v[4:5]
	v_bfe_u32 v7, v6, 23, 8
	s_movk_i32 s0, 0xff
	v_cmp_ne_u32_e32 vcc, s0, v7
	v_mov_b32_e32 v8, 0xff
	s_and_saveexec_b64 s[2:3], vcc
; %bb.66:
	s_mov_b32 s0, 0x3fffff
	v_lshrrev_b32_e32 v8, 23, v6
	v_and_b32_e32 v9, 0x400000, v6
	v_and_or_b32 v6, v6, s0, v7
	v_cmp_ne_u32_e32 vcc, 0, v9
	v_cmp_ne_u32_e64 s[0:1], 0, v6
	s_and_b64 s[0:1], vcc, s[0:1]
	s_nop 0
	v_cndmask_b32_e64 v6, 0, 1, s[0:1]
	v_add_u32_e32 v8, v8, v6
; %bb.67:
	s_or_b64 exec, exec, s[2:3]
	s_mov_b64 s[0:1], -1
	s_mov_b64 s[2:3], 0
	global_store_byte v[0:1], v8, off
.LBB224_68:
	s_mov_b64 s[14:15], 0
.LBB224_69:
	s_and_b64 vcc, exec, s[14:15]
	s_cbranch_vccz .LBB224_72
; %bb.70:
	s_cmp_eq_u32 s25, 29
	s_mov_b64 s[2:3], -1
	s_cbranch_scc0 .LBB224_72
; %bb.71:
	v_trunc_f64_e32 v[6:7], v[4:5]
	s_movk_i32 s0, 0xffe0
	v_ldexp_f64 v[8:9], v[6:7], s0
	v_floor_f64_e32 v[8:9], v[8:9]
	v_fmac_f64_e32 v[6:7], 0xc1f00000, v[8:9]
	v_cvt_u32_f64_e32 v11, v[8:9]
	v_cvt_u32_f64_e32 v10, v[6:7]
	global_store_dwordx2 v[0:1], v[10:11], off
	s_mov_b64 s[0:1], -1
	s_mov_b64 s[2:3], 0
.LBB224_72:
	s_mov_b64 s[14:15], 0
.LBB224_73:
	s_and_b64 vcc, exec, s[14:15]
	s_cbranch_vccz .LBB224_89
; %bb.74:
	s_cmp_lt_i32 s25, 27
	s_mov_b64 s[0:1], -1
	s_cbranch_scc1 .LBB224_80
; %bb.75:
	s_cmp_gt_i32 s25, 27
	v_cvt_u32_f64_e32 v6, v[4:5]
	s_cbranch_scc0 .LBB224_77
; %bb.76:
	s_mov_b64 s[0:1], 0
	global_store_dword v[0:1], v6, off
.LBB224_77:
	s_andn2_b64 vcc, exec, s[0:1]
	s_cbranch_vccnz .LBB224_79
; %bb.78:
	global_store_short v[0:1], v6, off
.LBB224_79:
	s_mov_b64 s[0:1], 0
.LBB224_80:
	s_andn2_b64 vcc, exec, s[0:1]
	s_cbranch_vccnz .LBB224_88
; %bb.81:
	v_cvt_f32_f64_e32 v6, v[4:5]
	v_and_b32_e32 v7, 0x7fffffff, v6
	s_mov_b32 s0, 0x43800000
	v_cmp_gt_u32_e32 vcc, s0, v7
	v_mov_b32_e32 v8, 0x80
	s_and_saveexec_b64 s[0:1], vcc
	s_cbranch_execz .LBB224_87
; %bb.82:
	s_mov_b32 s14, 0x3bffffff
	v_cmp_lt_u32_e32 vcc, s14, v7
	s_mov_b64 s[14:15], 0
                                        ; implicit-def: $vgpr7
	s_and_saveexec_b64 s[20:21], vcc
	s_xor_b64 s[20:21], exec, s[20:21]
	s_cbranch_execz .LBB224_314
; %bb.83:
	v_bfe_u32 v7, v6, 20, 1
	s_mov_b32 s26, 0x487ffff
	v_add3_u32 v7, v6, v7, s26
	s_mov_b64 s[14:15], exec
	v_lshrrev_b32_e32 v7, 20, v7
	s_andn2_saveexec_b64 s[20:21], s[20:21]
	s_cbranch_execnz .LBB224_315
.LBB224_84:
	s_or_b64 exec, exec, s[20:21]
	v_mov_b32_e32 v8, 0
	s_and_saveexec_b64 s[20:21], s[14:15]
.LBB224_85:
	v_lshrrev_b32_e32 v6, 24, v6
	s_movk_i32 s14, 0x80
	v_and_or_b32 v8, v6, s14, v7
.LBB224_86:
	s_or_b64 exec, exec, s[20:21]
.LBB224_87:
	s_or_b64 exec, exec, s[0:1]
	global_store_byte v[0:1], v8, off
.LBB224_88:
	s_mov_b64 s[0:1], -1
.LBB224_89:
	s_mov_b64 s[14:15], 0
.LBB224_90:
	s_and_b64 vcc, exec, s[14:15]
	s_cbranch_vccz .LBB224_131
; %bb.91:
	s_cmp_gt_i32 s25, 22
	s_mov_b64 s[14:15], -1
	s_cbranch_scc0 .LBB224_123
; %bb.92:
	s_cmp_lt_i32 s25, 24
	s_mov_b64 s[0:1], -1
	s_cbranch_scc1 .LBB224_112
; %bb.93:
	s_cmp_gt_i32 s25, 24
	s_cbranch_scc0 .LBB224_101
; %bb.94:
	v_cvt_f32_f64_e32 v6, v[4:5]
	v_and_b32_e32 v7, 0x7fffffff, v6
	s_mov_b32 s0, 0x47800000
	v_cmp_gt_u32_e32 vcc, s0, v7
	v_mov_b32_e32 v8, 0x80
	s_and_saveexec_b64 s[0:1], vcc
	s_cbranch_execz .LBB224_100
; %bb.95:
	s_mov_b32 s14, 0x37ffffff
	v_cmp_lt_u32_e32 vcc, s14, v7
	s_mov_b64 s[14:15], 0
                                        ; implicit-def: $vgpr7
	s_and_saveexec_b64 s[20:21], vcc
	s_xor_b64 s[20:21], exec, s[20:21]
	s_cbranch_execz .LBB224_346
; %bb.96:
	v_bfe_u32 v7, v6, 21, 1
	s_mov_b32 s26, 0x88fffff
	v_add3_u32 v7, v6, v7, s26
	s_mov_b64 s[14:15], exec
	v_lshrrev_b32_e32 v7, 21, v7
	s_andn2_saveexec_b64 s[20:21], s[20:21]
	s_cbranch_execnz .LBB224_347
.LBB224_97:
	s_or_b64 exec, exec, s[20:21]
	v_mov_b32_e32 v8, 0
	s_and_saveexec_b64 s[20:21], s[14:15]
.LBB224_98:
	v_lshrrev_b32_e32 v6, 24, v6
	s_movk_i32 s14, 0x80
	v_and_or_b32 v8, v6, s14, v7
.LBB224_99:
	s_or_b64 exec, exec, s[20:21]
.LBB224_100:
	s_or_b64 exec, exec, s[0:1]
	s_mov_b64 s[0:1], 0
	global_store_byte v[0:1], v8, off
.LBB224_101:
	s_and_b64 vcc, exec, s[0:1]
	s_cbranch_vccz .LBB224_111
; %bb.102:
	v_cvt_f32_f64_e32 v6, v[4:5]
	v_and_b32_e32 v8, 0x7fffffff, v6
	s_mov_b32 s0, 0x43f00000
	v_cmp_gt_u32_e32 vcc, s0, v8
                                        ; implicit-def: $vgpr7
	s_and_saveexec_b64 s[0:1], vcc
	s_xor_b64 s[0:1], exec, s[0:1]
	s_cbranch_execz .LBB224_108
; %bb.103:
	s_mov_b32 s14, 0x3c7fffff
	v_cmp_lt_u32_e32 vcc, s14, v8
                                        ; implicit-def: $vgpr7
	s_and_saveexec_b64 s[14:15], vcc
	s_xor_b64 s[14:15], exec, s[14:15]
; %bb.104:
	v_bfe_u32 v7, v6, 20, 1
	s_mov_b32 s20, 0x407ffff
	v_add3_u32 v7, v6, v7, s20
	v_lshrrev_b32_e32 v8, 20, v7
	v_and_b32_e32 v7, 0xff00000, v7
	s_mov_b32 s20, 0x7f00000
	v_mov_b32_e32 v9, 0x7e
	v_cmp_ne_u32_e32 vcc, s20, v7
	s_nop 1
	v_cndmask_b32_e32 v7, v9, v8, vcc
; %bb.105:
	s_andn2_saveexec_b64 s[14:15], s[14:15]
; %bb.106:
	s_mov_b32 s20, 0x46800000
	v_add_f32_e64 v7, |v6|, s20
; %bb.107:
	s_or_b64 exec, exec, s[14:15]
                                        ; implicit-def: $vgpr8
.LBB224_108:
	s_andn2_saveexec_b64 s[0:1], s[0:1]
; %bb.109:
	s_mov_b32 s14, 0x7f800000
	v_mov_b32_e32 v7, 0x7e
	v_mov_b32_e32 v9, 0x7f
	v_cmp_lt_u32_e32 vcc, s14, v8
	s_nop 1
	v_cndmask_b32_e32 v7, v7, v9, vcc
; %bb.110:
	s_or_b64 exec, exec, s[0:1]
	v_lshrrev_b32_e32 v6, 24, v6
	s_movk_i32 s0, 0x80
	v_and_or_b32 v6, v6, s0, v7
	global_store_byte v[0:1], v6, off
.LBB224_111:
	s_mov_b64 s[0:1], 0
.LBB224_112:
	s_andn2_b64 vcc, exec, s[0:1]
	s_cbranch_vccnz .LBB224_122
; %bb.113:
	v_cvt_f32_f64_e32 v6, v[4:5]
	v_and_b32_e32 v8, 0x7fffffff, v6
	s_mov_b32 s0, 0x47800000
	v_cmp_gt_u32_e32 vcc, s0, v8
                                        ; implicit-def: $vgpr7
	s_and_saveexec_b64 s[0:1], vcc
	s_xor_b64 s[0:1], exec, s[0:1]
	s_cbranch_execz .LBB224_119
; %bb.114:
	s_mov_b32 s14, 0x387fffff
	v_cmp_lt_u32_e32 vcc, s14, v8
                                        ; implicit-def: $vgpr7
	s_and_saveexec_b64 s[14:15], vcc
	s_xor_b64 s[14:15], exec, s[14:15]
; %bb.115:
	v_bfe_u32 v7, v6, 21, 1
	s_mov_b32 s20, 0x80fffff
	v_add3_u32 v7, v6, v7, s20
	v_lshrrev_b32_e32 v7, 21, v7
; %bb.116:
	s_andn2_saveexec_b64 s[14:15], s[14:15]
; %bb.117:
	s_mov_b32 s20, 0x43000000
	v_add_f32_e64 v7, |v6|, s20
; %bb.118:
	s_or_b64 exec, exec, s[14:15]
                                        ; implicit-def: $vgpr8
.LBB224_119:
	s_andn2_saveexec_b64 s[0:1], s[0:1]
; %bb.120:
	s_mov_b32 s14, 0x7f800000
	v_mov_b32_e32 v7, 0x7c
	v_mov_b32_e32 v9, 0x7f
	v_cmp_lt_u32_e32 vcc, s14, v8
	s_nop 1
	v_cndmask_b32_e32 v7, v7, v9, vcc
; %bb.121:
	s_or_b64 exec, exec, s[0:1]
	v_lshrrev_b32_e32 v6, 24, v6
	s_movk_i32 s0, 0x80
	v_and_or_b32 v6, v6, s0, v7
	global_store_byte v[0:1], v6, off
.LBB224_122:
	s_mov_b64 s[14:15], 0
	s_mov_b64 s[0:1], -1
.LBB224_123:
	s_andn2_b64 vcc, exec, s[14:15]
	s_cbranch_vccnz .LBB224_131
; %bb.124:
	s_cmp_gt_i32 s25, 14
	s_mov_b64 s[14:15], -1
	s_cbranch_scc0 .LBB224_128
; %bb.125:
	s_cmp_eq_u32 s25, 15
	s_mov_b64 s[2:3], -1
	s_cbranch_scc0 .LBB224_127
; %bb.126:
	v_cvt_f32_f64_e32 v6, v[4:5]
	v_bfe_u32 v7, v6, 16, 1
	s_movk_i32 s0, 0x7fff
	v_add3_u32 v7, v6, v7, s0
	v_cmp_o_f32_e32 vcc, v6, v6
	v_mov_b32_e32 v6, 0x7fc0
	s_mov_b64 s[0:1], -1
	v_cndmask_b32_sdwa v6, v6, v7, vcc dst_sel:DWORD dst_unused:UNUSED_PAD src0_sel:DWORD src1_sel:WORD_1
	global_store_short v[0:1], v6, off
	s_mov_b64 s[2:3], 0
.LBB224_127:
	s_mov_b64 s[14:15], 0
.LBB224_128:
	s_and_b64 vcc, exec, s[14:15]
	s_cbranch_vccz .LBB224_131
; %bb.129:
	s_cmp_eq_u32 s25, 11
	s_mov_b64 s[2:3], -1
	s_cbranch_scc0 .LBB224_131
; %bb.130:
	v_cmp_neq_f64_e32 vcc, 0, v[4:5]
	v_cmp_neq_f64_e64 s[0:1], 0, v[2:3]
	s_or_b64 s[0:1], vcc, s[0:1]
	s_mov_b64 s[2:3], 0
	v_cndmask_b32_e64 v6, 0, 1, s[0:1]
	s_mov_b64 s[0:1], -1
	global_store_byte v[0:1], v6, off
.LBB224_131:
	s_branch .LBB224_52
.LBB224_132:
	s_and_b32 s14, 0xffff, s24
	s_cmp_lt_i32 s14, 5
	s_mov_b64 s[0:1], -1
	s_cbranch_scc1 .LBB224_153
; %bb.133:
	s_cmp_lt_i32 s14, 8
	s_cbranch_scc1 .LBB224_143
; %bb.134:
	s_cmp_lt_i32 s14, 9
	s_cbranch_scc1 .LBB224_140
; %bb.135:
	s_cmp_gt_i32 s14, 9
	s_cbranch_scc0 .LBB224_137
; %bb.136:
	v_mov_b32_e32 v6, v2
	v_mov_b32_e32 v7, v3
	global_store_dwordx4 v[0:1], v[4:7], off
	s_mov_b64 s[0:1], 0
.LBB224_137:
	s_andn2_b64 vcc, exec, s[0:1]
	s_cbranch_vccnz .LBB224_139
; %bb.138:
	v_cvt_f32_f64_e32 v6, v[4:5]
	v_cvt_f32_f64_e32 v7, v[2:3]
	global_store_dwordx2 v[0:1], v[6:7], off
.LBB224_139:
	s_mov_b64 s[0:1], 0
.LBB224_140:
	s_andn2_b64 vcc, exec, s[0:1]
	s_cbranch_vccnz .LBB224_142
; %bb.141:
	s_movk_i32 s0, 0x1ff
	v_and_or_b32 v6, v5, s0, v4
	v_cmp_ne_u32_e32 vcc, 0, v6
	v_lshrrev_b32_e32 v7, 8, v5
	s_movk_i32 s1, 0xffe
	v_cndmask_b32_e64 v6, 0, 1, vcc
	v_bfe_u32 v8, v5, 20, 11
	v_and_or_b32 v6, v7, s1, v6
	v_sub_u32_e32 v9, 0x3f1, v8
	v_or_b32_e32 v7, 0x1000, v6
	v_med3_i32 v9, v9, 0, 13
	v_lshrrev_b32_e32 v10, v9, v7
	v_lshlrev_b32_e32 v9, v9, v10
	v_cmp_ne_u32_e32 vcc, v9, v7
	v_add_u32_e32 v8, 0xfffffc10, v8
	v_lshl_or_b32 v9, v8, 12, v6
	v_cndmask_b32_e64 v7, 0, 1, vcc
	v_or_b32_e32 v7, v10, v7
	v_cmp_gt_i32_e32 vcc, 1, v8
	s_movk_i32 s15, 0x40f
	v_and_or_b32 v2, v3, s0, v2
	v_cndmask_b32_e32 v7, v9, v7, vcc
	v_and_b32_e32 v9, 7, v7
	v_cmp_lt_i32_e32 vcc, 5, v9
	v_lshrrev_b32_e32 v7, 2, v7
	v_bfe_u32 v11, v3, 20, 11
	v_cndmask_b32_e64 v10, 0, 1, vcc
	v_cmp_eq_u32_e32 vcc, 3, v9
	v_sub_u32_e32 v12, 0x3f1, v11
	v_med3_i32 v12, v12, 0, 13
	v_cndmask_b32_e64 v9, 0, 1, vcc
	v_or_b32_e32 v9, v9, v10
	v_add_u32_e32 v7, v7, v9
	v_mov_b32_e32 v9, 0x7c00
	v_cmp_gt_i32_e32 vcc, 31, v8
	v_mov_b32_e32 v10, 0x7e00
	v_add_u32_e32 v11, 0xfffffc10, v11
	v_cndmask_b32_e32 v7, v9, v7, vcc
	v_cmp_ne_u32_e32 vcc, 0, v6
	s_mov_b32 s20, 0x8000
	s_mov_b32 s0, 0xffff
	v_cndmask_b32_e32 v6, v9, v10, vcc
	v_cmp_eq_u32_e32 vcc, s15, v8
	v_lshrrev_b32_e32 v8, 8, v3
	v_lshrrev_b32_e32 v3, 16, v3
	v_cndmask_b32_e32 v6, v7, v6, vcc
	v_cmp_ne_u32_e32 vcc, 0, v2
	v_and_b32_sdwa v7, v5, s20 dst_sel:DWORD dst_unused:UNUSED_PAD src0_sel:WORD_1 src1_sel:DWORD
	s_nop 0
	v_cndmask_b32_e64 v2, 0, 1, vcc
	v_and_or_b32 v2, v8, s1, v2
	v_or_b32_e32 v8, 0x1000, v2
	v_lshrrev_b32_e32 v13, v12, v8
	v_lshlrev_b32_e32 v12, v12, v13
	v_cmp_ne_u32_e32 vcc, v12, v8
	v_lshl_or_b32 v12, v11, 12, v2
	s_nop 0
	v_cndmask_b32_e64 v8, 0, 1, vcc
	v_or_b32_e32 v8, v13, v8
	v_cmp_gt_i32_e32 vcc, 1, v11
	s_nop 1
	v_cndmask_b32_e32 v8, v12, v8, vcc
	v_and_b32_e32 v12, 7, v8
	v_cmp_lt_i32_e32 vcc, 5, v12
	v_lshrrev_b32_e32 v8, 2, v8
	s_nop 0
	v_cndmask_b32_e64 v13, 0, 1, vcc
	v_cmp_eq_u32_e32 vcc, 3, v12
	s_nop 1
	v_cndmask_b32_e64 v12, 0, 1, vcc
	v_or_b32_e32 v12, v12, v13
	v_add_u32_e32 v8, v8, v12
	v_cmp_gt_i32_e32 vcc, 31, v11
	s_nop 1
	v_cndmask_b32_e32 v8, v9, v8, vcc
	v_cmp_ne_u32_e32 vcc, 0, v2
	s_nop 1
	v_cndmask_b32_e32 v2, v9, v10, vcc
	v_cmp_eq_u32_e32 vcc, s15, v11
	s_nop 1
	v_cndmask_b32_e32 v2, v8, v2, vcc
	v_and_or_b32 v2, v3, s20, v2
	v_bitop3_b32 v3, v7, s0, v6 bitop3:0xc8
	v_lshl_or_b32 v2, v2, 16, v3
	global_store_dword v[0:1], v2, off
.LBB224_142:
	s_mov_b64 s[0:1], 0
.LBB224_143:
	s_andn2_b64 vcc, exec, s[0:1]
	s_cbranch_vccnz .LBB224_152
; %bb.144:
	s_cmp_lt_i32 s14, 6
	s_mov_b64 s[0:1], -1
	s_cbranch_scc1 .LBB224_150
; %bb.145:
	s_cmp_gt_i32 s14, 6
	s_cbranch_scc0 .LBB224_147
; %bb.146:
	global_store_dwordx2 v[0:1], v[4:5], off
	s_mov_b64 s[0:1], 0
.LBB224_147:
	s_andn2_b64 vcc, exec, s[0:1]
	s_cbranch_vccnz .LBB224_149
; %bb.148:
	v_cvt_f32_f64_e32 v2, v[4:5]
	global_store_dword v[0:1], v2, off
.LBB224_149:
	s_mov_b64 s[0:1], 0
.LBB224_150:
	s_andn2_b64 vcc, exec, s[0:1]
	s_cbranch_vccnz .LBB224_152
; %bb.151:
	s_movk_i32 s0, 0x1ff
	v_and_or_b32 v2, v5, s0, v4
	v_cmp_ne_u32_e32 vcc, 0, v2
	v_lshrrev_b32_e32 v3, 8, v5
	s_movk_i32 s0, 0xffe
	v_cndmask_b32_e64 v2, 0, 1, vcc
	v_bfe_u32 v6, v5, 20, 11
	v_and_or_b32 v2, v3, s0, v2
	v_sub_u32_e32 v7, 0x3f1, v6
	v_or_b32_e32 v3, 0x1000, v2
	v_med3_i32 v7, v7, 0, 13
	v_lshrrev_b32_e32 v8, v7, v3
	v_lshlrev_b32_e32 v7, v7, v8
	v_cmp_ne_u32_e32 vcc, v7, v3
	v_add_u32_e32 v6, 0xfffffc10, v6
	v_lshl_or_b32 v7, v6, 12, v2
	v_cndmask_b32_e64 v3, 0, 1, vcc
	v_or_b32_e32 v3, v8, v3
	v_cmp_gt_i32_e32 vcc, 1, v6
	s_movk_i32 s0, 0x40f
	s_nop 0
	v_cndmask_b32_e32 v3, v7, v3, vcc
	v_and_b32_e32 v7, 7, v3
	v_cmp_lt_i32_e32 vcc, 5, v7
	v_lshrrev_b32_e32 v3, 2, v3
	s_nop 0
	v_cndmask_b32_e64 v8, 0, 1, vcc
	v_cmp_eq_u32_e32 vcc, 3, v7
	s_nop 1
	v_cndmask_b32_e64 v7, 0, 1, vcc
	v_or_b32_e32 v7, v7, v8
	v_add_u32_e32 v3, v3, v7
	v_mov_b32_e32 v7, 0x7c00
	v_cmp_gt_i32_e32 vcc, 31, v6
	v_mov_b32_e32 v8, 0x7e00
	s_nop 0
	v_cndmask_b32_e32 v3, v7, v3, vcc
	v_cmp_ne_u32_e32 vcc, 0, v2
	s_nop 1
	v_cndmask_b32_e32 v2, v7, v8, vcc
	v_cmp_eq_u32_e32 vcc, s0, v6
	s_mov_b32 s0, 0x8000
	s_nop 0
	v_cndmask_b32_e32 v2, v3, v2, vcc
	v_lshrrev_b32_e32 v3, 16, v5
	v_and_or_b32 v2, v3, s0, v2
	global_store_short v[0:1], v2, off
.LBB224_152:
	s_mov_b64 s[0:1], 0
.LBB224_153:
	s_andn2_b64 vcc, exec, s[0:1]
	s_cbranch_vccnz .LBB224_169
; %bb.154:
	s_cmp_lt_i32 s14, 2
	s_mov_b64 s[0:1], -1
	s_cbranch_scc1 .LBB224_164
; %bb.155:
	s_cmp_lt_i32 s14, 3
	s_cbranch_scc1 .LBB224_161
; %bb.156:
	s_cmp_gt_i32 s14, 3
	s_cbranch_scc0 .LBB224_158
; %bb.157:
	v_trunc_f64_e32 v[2:3], v[4:5]
	s_movk_i32 s0, 0xffe0
	v_ldexp_f64 v[6:7], v[2:3], s0
	v_floor_f64_e32 v[6:7], v[6:7]
	v_fmac_f64_e32 v[2:3], 0xc1f00000, v[6:7]
	v_cvt_i32_f64_e32 v9, v[6:7]
	v_cvt_u32_f64_e32 v8, v[2:3]
	global_store_dwordx2 v[0:1], v[8:9], off
	s_mov_b64 s[0:1], 0
.LBB224_158:
	s_andn2_b64 vcc, exec, s[0:1]
	s_cbranch_vccnz .LBB224_160
; %bb.159:
	v_cvt_i32_f64_e32 v2, v[4:5]
	global_store_dword v[0:1], v2, off
.LBB224_160:
	s_mov_b64 s[0:1], 0
.LBB224_161:
	s_andn2_b64 vcc, exec, s[0:1]
	s_cbranch_vccnz .LBB224_163
; %bb.162:
	v_cvt_i32_f64_e32 v2, v[4:5]
	global_store_short v[0:1], v2, off
.LBB224_163:
	s_mov_b64 s[0:1], 0
.LBB224_164:
	s_andn2_b64 vcc, exec, s[0:1]
	s_cbranch_vccnz .LBB224_169
; %bb.165:
	s_cmp_gt_i32 s14, 0
	s_mov_b64 s[0:1], -1
	s_cbranch_scc0 .LBB224_167
; %bb.166:
	v_cvt_i32_f64_e32 v2, v[4:5]
	global_store_byte v[0:1], v2, off
	s_mov_b64 s[0:1], 0
.LBB224_167:
	s_andn2_b64 vcc, exec, s[0:1]
	s_cbranch_vccnz .LBB224_169
; %bb.168:
	v_trunc_f64_e32 v[2:3], v[4:5]
	s_movk_i32 s0, 0xffe0
	v_ldexp_f64 v[4:5], v[2:3], s0
	v_floor_f64_e32 v[4:5], v[4:5]
	v_fmac_f64_e32 v[2:3], 0xc1f00000, v[4:5]
	v_cvt_u32_f64_e32 v2, v[2:3]
	global_store_byte v[0:1], v2, off
.LBB224_169:
	s_branch .LBB224_53
.LBB224_170:
	s_mov_b64 s[0:1], 0
                                        ; implicit-def: $vgpr22
	s_branch .LBB224_284
.LBB224_171:
	s_mov_b64 s[16:17], -1
                                        ; implicit-def: $vgpr0_vgpr1
.LBB224_172:
	v_mov_b64_e32 v[2:3], 0
.LBB224_173:
	s_mov_b64 s[2:3], 0
.LBB224_174:
	s_and_b64 vcc, exec, s[2:3]
	s_cbranch_vccz .LBB224_179
; %bb.175:
	s_cmp_eq_u32 s20, 29
	s_cbranch_scc0 .LBB224_177
; %bb.176:
	global_load_dwordx2 v[0:1], v[4:5], off
	s_mov_b64 s[0:1], -1
	s_mov_b64 s[16:17], 0
	s_waitcnt vmcnt(0)
	v_cvt_f64_u32_e32 v[2:3], v1
	v_cvt_f64_u32_e32 v[0:1], v0
	v_ldexp_f64 v[2:3], v[2:3], 32
	v_add_f64 v[0:1], v[2:3], v[0:1]
	s_branch .LBB224_178
.LBB224_177:
	s_mov_b64 s[16:17], -1
                                        ; implicit-def: $vgpr0_vgpr1
.LBB224_178:
	v_mov_b64_e32 v[2:3], 0
.LBB224_179:
	s_mov_b64 s[2:3], 0
.LBB224_180:
	s_and_b64 vcc, exec, s[2:3]
	s_cbranch_vccz .LBB224_200
; %bb.181:
	s_cmp_lt_i32 s20, 27
	s_cbranch_scc1 .LBB224_184
; %bb.182:
	s_cmp_gt_i32 s20, 27
	s_cbranch_scc0 .LBB224_185
; %bb.183:
	global_load_dword v0, v[4:5], off
	s_mov_b64 s[0:1], 0
	s_waitcnt vmcnt(0)
	v_cvt_f64_u32_e32 v[0:1], v0
	s_branch .LBB224_186
.LBB224_184:
	s_mov_b64 s[0:1], -1
                                        ; implicit-def: $vgpr0_vgpr1
	s_branch .LBB224_189
.LBB224_185:
	s_mov_b64 s[0:1], -1
                                        ; implicit-def: $vgpr0_vgpr1
.LBB224_186:
	s_andn2_b64 vcc, exec, s[0:1]
	s_cbranch_vccnz .LBB224_188
; %bb.187:
	global_load_ushort v0, v[4:5], off
	s_waitcnt vmcnt(0)
	v_cvt_f64_u32_e32 v[0:1], v0
.LBB224_188:
	s_mov_b64 s[0:1], 0
.LBB224_189:
	s_andn2_b64 vcc, exec, s[0:1]
	s_cbranch_vccnz .LBB224_199
; %bb.190:
	global_load_ubyte v2, v[4:5], off
	s_movk_i32 s0, 0x7f
	s_waitcnt vmcnt(0)
	v_cmp_lt_i16_e32 vcc, s0, v2
	s_mov_b64 s[0:1], 0
	s_and_saveexec_b64 s[2:3], vcc
	s_xor_b64 s[2:3], exec, s[2:3]
	s_cbranch_execz .LBB224_194
; %bb.191:
	s_movk_i32 s0, 0x80
	v_cmp_eq_u16_e32 vcc, s0, v2
	s_mov_b64 s[0:1], -1
	s_and_saveexec_b64 s[14:15], vcc
; %bb.192:
	s_xor_b64 s[0:1], exec, -1
; %bb.193:
	s_or_b64 exec, exec, s[14:15]
	s_and_b64 s[0:1], s[0:1], exec
.LBB224_194:
	s_or_saveexec_b64 s[2:3], s[2:3]
	v_bfrev_b32_e32 v0, 4
	v_mov_b32_e32 v1, 0x7ff80000
	s_xor_b64 exec, exec, s[2:3]
; %bb.195:
	v_cmp_ne_u16_e32 vcc, 0, v2
	s_andn2_b64 s[0:1], s[0:1], exec
	s_and_b64 s[14:15], vcc, exec
	v_mov_b64_e32 v[0:1], 0
	s_or_b64 s[0:1], s[0:1], s[14:15]
; %bb.196:
	s_or_b64 exec, exec, s[2:3]
	s_and_saveexec_b64 s[2:3], s[0:1]
	s_cbranch_execz .LBB224_198
; %bb.197:
	v_and_b32_e32 v1, 0xffff, v2
	v_lshlrev_b32_e32 v0, 24, v2
	v_and_b32_e32 v2, 7, v1
	v_ffbh_u32_e32 v6, v2
	v_min_u32_e32 v6, 32, v6
	v_subrev_u32_e32 v7, 28, v6
	v_bfe_u32 v3, v1, 3, 4
	v_lshlrev_b32_e32 v1, v7, v1
	v_sub_u32_e32 v6, 29, v6
	v_and_b32_e32 v1, 7, v1
	v_cmp_eq_u32_e32 vcc, 0, v3
	v_and_b32_e32 v0, 0x80000000, v0
	s_nop 0
	v_cndmask_b32_e32 v3, v3, v6, vcc
	v_cndmask_b32_e32 v1, v2, v1, vcc
	v_mov_b32_e32 v2, 0x3b800000
	v_lshlrev_b32_e32 v1, 20, v1
	v_lshl_add_u32 v2, v3, 23, v2
	v_or3_b32 v0, v0, v2, v1
	v_cvt_f64_f32_e32 v[0:1], v0
.LBB224_198:
	s_or_b64 exec, exec, s[2:3]
.LBB224_199:
	s_mov_b64 s[0:1], -1
	v_mov_b64_e32 v[2:3], 0
.LBB224_200:
	s_branch .LBB224_233
.LBB224_201:
	s_cmp_gt_i32 s20, 22
	s_cbranch_scc0 .LBB224_213
; %bb.202:
	s_cmp_lt_i32 s20, 24
	s_cbranch_scc1 .LBB224_214
; %bb.203:
	s_cmp_gt_i32 s20, 24
	s_cbranch_scc0 .LBB224_215
; %bb.204:
	global_load_ubyte v2, v[4:5], off
	s_movk_i32 s0, 0x7f
	s_waitcnt vmcnt(0)
	v_cmp_lt_i16_e32 vcc, s0, v2
	s_mov_b64 s[0:1], 0
	s_and_saveexec_b64 s[2:3], vcc
	s_xor_b64 s[2:3], exec, s[2:3]
	s_cbranch_execz .LBB224_208
; %bb.205:
	s_movk_i32 s0, 0x80
	v_cmp_eq_u16_e32 vcc, s0, v2
	s_mov_b64 s[0:1], -1
	s_and_saveexec_b64 s[14:15], vcc
; %bb.206:
	s_xor_b64 s[0:1], exec, -1
; %bb.207:
	s_or_b64 exec, exec, s[14:15]
	s_and_b64 s[0:1], s[0:1], exec
.LBB224_208:
	s_or_saveexec_b64 s[2:3], s[2:3]
	v_bfrev_b32_e32 v0, 4
	v_mov_b32_e32 v1, 0x7ff80000
	s_xor_b64 exec, exec, s[2:3]
; %bb.209:
	v_cmp_ne_u16_e32 vcc, 0, v2
	s_andn2_b64 s[0:1], s[0:1], exec
	s_and_b64 s[14:15], vcc, exec
	v_mov_b64_e32 v[0:1], 0
	s_or_b64 s[0:1], s[0:1], s[14:15]
; %bb.210:
	s_or_b64 exec, exec, s[2:3]
	s_and_saveexec_b64 s[2:3], s[0:1]
	s_cbranch_execz .LBB224_212
; %bb.211:
	v_and_b32_e32 v1, 0xffff, v2
	v_lshlrev_b32_e32 v0, 24, v2
	v_and_b32_e32 v2, 3, v1
	v_ffbh_u32_e32 v6, v2
	v_min_u32_e32 v6, 32, v6
	v_subrev_u32_e32 v7, 29, v6
	v_bfe_u32 v3, v1, 2, 5
	v_lshlrev_b32_e32 v1, v7, v1
	v_sub_u32_e32 v6, 30, v6
	v_and_b32_e32 v1, 3, v1
	v_cmp_eq_u32_e32 vcc, 0, v3
	v_and_b32_e32 v0, 0x80000000, v0
	s_nop 0
	v_cndmask_b32_e32 v3, v3, v6, vcc
	v_cndmask_b32_e32 v1, v2, v1, vcc
	v_mov_b32_e32 v2, 0x37800000
	v_lshlrev_b32_e32 v1, 21, v1
	v_lshl_add_u32 v2, v3, 23, v2
	v_or3_b32 v0, v0, v2, v1
	v_cvt_f64_f32_e32 v[0:1], v0
.LBB224_212:
	s_or_b64 exec, exec, s[2:3]
	s_mov_b64 s[0:1], 0
	s_branch .LBB224_216
.LBB224_213:
                                        ; implicit-def: $vgpr0_vgpr1
	s_branch .LBB224_222
.LBB224_214:
	s_mov_b64 s[0:1], -1
                                        ; implicit-def: $vgpr0_vgpr1
	s_branch .LBB224_219
.LBB224_215:
	s_mov_b64 s[0:1], -1
                                        ; implicit-def: $vgpr0_vgpr1
.LBB224_216:
	s_and_b64 vcc, exec, s[0:1]
	s_cbranch_vccz .LBB224_218
; %bb.217:
	global_load_ubyte v0, v[4:5], off
	s_mov_b32 s0, 0x7f800000
	s_waitcnt vmcnt(0)
	v_lshlrev_b32_e32 v0, 24, v0
	v_and_b32_e32 v1, 0x7f000000, v0
	v_ffbh_u32_e32 v2, v1
	v_min_u32_e32 v2, 32, v2
	v_sub_u32_e64 v2, v2, 4 clamp
	v_lshlrev_b32_e32 v6, v2, v1
	v_lshlrev_b32_e32 v2, 23, v2
	v_lshrrev_b32_e32 v6, 4, v6
	v_add_u32_e32 v3, 0x1000000, v1
	v_sub_u32_e32 v2, v6, v2
	v_ashrrev_i32_e32 v3, 8, v3
	v_add_u32_e32 v2, 0x3c000000, v2
	v_and_or_b32 v2, v3, s0, v2
	v_cmp_ne_u32_e32 vcc, 0, v1
	s_brev_b32 s0, 1
	s_nop 0
	v_cndmask_b32_e32 v1, 0, v2, vcc
	v_and_or_b32 v0, v0, s0, v1
	v_cvt_f64_f32_e32 v[0:1], v0
.LBB224_218:
	s_mov_b64 s[0:1], 0
.LBB224_219:
	s_andn2_b64 vcc, exec, s[0:1]
	s_cbranch_vccnz .LBB224_221
; %bb.220:
	global_load_ubyte v0, v[4:5], off
	s_movk_i32 s0, 0x7f00
	s_brev_b32 s1, 16
	s_waitcnt vmcnt(0)
	v_lshlrev_b16_e32 v1, 8, v0
	v_lshlrev_b32_e32 v0, 25, v0
	v_lshrrev_b32_e32 v2, 4, v0
	v_and_or_b32 v3, v1, s0, 0.5
	v_or_b32_e32 v2, 0x70000000, v2
	v_add_f32_e32 v3, -0.5, v3
	v_mul_f32_e32 v2, 0x7800000, v2
	v_cmp_gt_u32_e32 vcc, s1, v0
	v_bfe_i32 v1, v1, 0, 16
	s_brev_b32 s0, 1
	v_cndmask_b32_e32 v0, v2, v3, vcc
	v_and_or_b32 v0, v1, s0, v0
	v_cvt_f64_f32_e32 v[0:1], v0
.LBB224_221:
	s_mov_b64 s[0:1], -1
	s_cbranch_execnz .LBB224_232
.LBB224_222:
	s_cmp_gt_i32 s20, 14
	s_cbranch_scc0 .LBB224_225
; %bb.223:
	s_cmp_eq_u32 s20, 15
	s_cbranch_scc0 .LBB224_226
; %bb.224:
	global_load_ushort v0, v[4:5], off
	s_mov_b64 s[0:1], -1
	s_mov_b64 s[16:17], 0
	s_waitcnt vmcnt(0)
	v_lshlrev_b32_e32 v0, 16, v0
	v_cvt_f64_f32_e32 v[0:1], v0
	s_branch .LBB224_227
.LBB224_225:
	s_mov_b64 s[2:3], -1
                                        ; implicit-def: $vgpr0_vgpr1
	s_branch .LBB224_228
.LBB224_226:
	s_mov_b64 s[16:17], -1
                                        ; implicit-def: $vgpr0_vgpr1
.LBB224_227:
	s_mov_b64 s[2:3], 0
.LBB224_228:
	s_and_b64 vcc, exec, s[2:3]
	s_cbranch_vccz .LBB224_232
; %bb.229:
	s_cmp_eq_u32 s20, 11
	s_cbranch_scc0 .LBB224_231
; %bb.230:
	global_load_ubyte v1, v[4:5], off
	v_mov_b32_e32 v2, 0x3ff00000
	v_mov_b32_e32 v0, 0
	s_mov_b64 s[0:1], -1
	s_mov_b64 s[16:17], 0
	s_waitcnt vmcnt(0)
	v_cmp_ne_u16_e32 vcc, 0, v1
	s_nop 1
	v_cndmask_b32_e32 v1, 0, v2, vcc
	s_branch .LBB224_232
.LBB224_231:
	s_mov_b64 s[16:17], -1
                                        ; implicit-def: $vgpr0_vgpr1
.LBB224_232:
	v_mov_b64_e32 v[2:3], 0
.LBB224_233:
	s_branch .LBB224_10
.LBB224_234:
	s_cmp_lt_i32 s20, 5
	s_cbranch_scc1 .LBB224_239
; %bb.235:
	s_cmp_lt_i32 s20, 8
	s_cbranch_scc1 .LBB224_240
; %bb.236:
	;; [unrolled: 3-line block ×3, first 2 shown]
	s_cmp_gt_i32 s20, 9
	s_cbranch_scc0 .LBB224_242
; %bb.238:
	global_load_dwordx4 v[0:3], v[4:5], off
	s_mov_b64 s[0:1], 0
	s_branch .LBB224_243
.LBB224_239:
                                        ; implicit-def: $vgpr2_vgpr3
	s_branch .LBB224_262
.LBB224_240:
	s_mov_b64 s[0:1], -1
                                        ; implicit-def: $vgpr2_vgpr3
	s_branch .LBB224_249
.LBB224_241:
	s_mov_b64 s[0:1], -1
                                        ; implicit-def: $vgpr2_vgpr3
	s_branch .LBB224_246
.LBB224_242:
	s_mov_b64 s[0:1], -1
                                        ; implicit-def: $vgpr2_vgpr3
.LBB224_243:
	s_andn2_b64 vcc, exec, s[0:1]
	s_cbranch_vccnz .LBB224_245
; %bb.244:
	global_load_dwordx2 v[2:3], v[4:5], off
	s_waitcnt vmcnt(0)
	v_cvt_f64_f32_e32 v[0:1], v2
	v_cvt_f64_f32_e32 v[2:3], v3
.LBB224_245:
	s_mov_b64 s[0:1], 0
.LBB224_246:
	s_andn2_b64 vcc, exec, s[0:1]
	s_cbranch_vccnz .LBB224_248
; %bb.247:
	global_load_dword v0, v[4:5], off
	s_waitcnt vmcnt(0)
	v_cvt_f32_f16_e32 v1, v0
	v_cvt_f32_f16_sdwa v2, v0 dst_sel:DWORD dst_unused:UNUSED_PAD src0_sel:WORD_1
	v_cvt_f64_f32_e32 v[0:1], v1
	v_cvt_f64_f32_e32 v[2:3], v2
.LBB224_248:
	s_mov_b64 s[0:1], 0
.LBB224_249:
	s_andn2_b64 vcc, exec, s[0:1]
	s_cbranch_vccnz .LBB224_261
; %bb.250:
	s_cmp_lt_i32 s20, 6
	s_cbranch_scc1 .LBB224_253
; %bb.251:
	s_cmp_gt_i32 s20, 6
	s_cbranch_scc0 .LBB224_254
; %bb.252:
	global_load_dwordx2 v[0:1], v[4:5], off
	s_mov_b64 s[0:1], 0
	s_branch .LBB224_255
.LBB224_253:
	s_mov_b64 s[0:1], -1
                                        ; implicit-def: $vgpr0_vgpr1
	s_branch .LBB224_258
.LBB224_254:
	s_mov_b64 s[0:1], -1
                                        ; implicit-def: $vgpr0_vgpr1
.LBB224_255:
	s_andn2_b64 vcc, exec, s[0:1]
	s_cbranch_vccnz .LBB224_257
; %bb.256:
	global_load_dword v0, v[4:5], off
	s_waitcnt vmcnt(0)
	v_cvt_f64_f32_e32 v[0:1], v0
.LBB224_257:
	s_mov_b64 s[0:1], 0
.LBB224_258:
	s_andn2_b64 vcc, exec, s[0:1]
	s_cbranch_vccnz .LBB224_260
; %bb.259:
	global_load_ushort v0, v[4:5], off
	s_waitcnt vmcnt(0)
	v_cvt_f32_f16_e32 v0, v0
	v_cvt_f64_f32_e32 v[0:1], v0
.LBB224_260:
	s_waitcnt vmcnt(0)
	v_mov_b64_e32 v[2:3], 0
.LBB224_261:
	s_cbranch_execnz .LBB224_282
.LBB224_262:
	s_cmp_lt_i32 s20, 2
	s_cbranch_scc1 .LBB224_266
; %bb.263:
	s_cmp_lt_i32 s20, 3
	s_cbranch_scc1 .LBB224_267
; %bb.264:
	s_cmp_gt_i32 s20, 3
	s_cbranch_scc0 .LBB224_268
; %bb.265:
	global_load_dwordx2 v[0:1], v[4:5], off
	s_mov_b64 s[0:1], 0
	s_waitcnt vmcnt(0)
	v_cvt_f64_i32_e32 v[2:3], v1
	v_cvt_f64_u32_e32 v[0:1], v0
	v_ldexp_f64 v[2:3], v[2:3], 32
	v_add_f64 v[0:1], v[2:3], v[0:1]
	s_branch .LBB224_269
.LBB224_266:
	s_mov_b64 s[0:1], -1
                                        ; implicit-def: $vgpr0_vgpr1
	s_branch .LBB224_275
.LBB224_267:
	s_mov_b64 s[0:1], -1
                                        ; implicit-def: $vgpr0_vgpr1
	s_branch .LBB224_272
.LBB224_268:
	s_mov_b64 s[0:1], -1
                                        ; implicit-def: $vgpr0_vgpr1
.LBB224_269:
	s_andn2_b64 vcc, exec, s[0:1]
	s_cbranch_vccnz .LBB224_271
; %bb.270:
	global_load_dword v0, v[4:5], off
	s_waitcnt vmcnt(0)
	v_cvt_f64_i32_e32 v[0:1], v0
.LBB224_271:
	s_mov_b64 s[0:1], 0
.LBB224_272:
	s_andn2_b64 vcc, exec, s[0:1]
	s_cbranch_vccnz .LBB224_274
; %bb.273:
	global_load_sshort v0, v[4:5], off
	s_waitcnt vmcnt(0)
	v_cvt_f64_i32_e32 v[0:1], v0
.LBB224_274:
	s_mov_b64 s[0:1], 0
.LBB224_275:
	s_andn2_b64 vcc, exec, s[0:1]
	s_cbranch_vccnz .LBB224_281
; %bb.276:
	s_cmp_gt_i32 s20, 0
	s_cbranch_scc0 .LBB224_278
; %bb.277:
	global_load_sbyte v0, v[4:5], off
	s_mov_b64 s[0:1], 0
	s_waitcnt vmcnt(0)
	v_cvt_f64_i32_e32 v[0:1], v0
	s_branch .LBB224_279
.LBB224_278:
	s_mov_b64 s[0:1], -1
                                        ; implicit-def: $vgpr0_vgpr1
.LBB224_279:
	s_andn2_b64 vcc, exec, s[0:1]
	s_cbranch_vccnz .LBB224_281
; %bb.280:
	global_load_ubyte v0, v[4:5], off
	s_waitcnt vmcnt(0)
	v_cvt_f64_u32_e32 v[0:1], v0
.LBB224_281:
	s_waitcnt vmcnt(0)
	v_mov_b64_e32 v[2:3], 0
.LBB224_282:
	s_branch .LBB224_11
.LBB224_283:
	s_mov_b64 s[2:3], 0
                                        ; implicit-def: $vgpr22
	s_mov_b64 s[0:1], 0
.LBB224_284:
	s_and_b64 s[14:15], s[2:3], exec
	s_and_b64 s[16:17], s[16:17], exec
	s_orn2_b64 s[2:3], s[0:1], exec
.LBB224_285:
	s_or_b64 exec, exec, s[18:19]
	s_mov_b64 s[24:25], 0
	s_mov_b64 s[0:1], 0
                                        ; implicit-def: $vgpr4_vgpr5
                                        ; implicit-def: $vgpr2_vgpr3
	s_and_saveexec_b64 s[18:19], s[2:3]
	s_cbranch_execz .LBB224_294
; %bb.286:
	v_cmp_gt_i32_e32 vcc, s45, v22
	s_mov_b64 s[0:1], -1
	s_mov_b64 s[20:21], s[16:17]
	s_mov_b64 s[22:23], s[14:15]
	s_and_saveexec_b64 s[24:25], vcc
	s_cbranch_execz .LBB224_581
; %bb.287:
	s_waitcnt vmcnt(0)
	v_mul_lo_u32 v0, v22, s9
	v_ashrrev_i32_e32 v1, 31, v0
	s_and_b32 s26, 0xffff, s44
	s_cmp_lt_i32 s26, 11
	v_lshl_add_u64 v[4:5], s[6:7], 0, v[0:1]
	s_cbranch_scc1 .LBB224_297
; %bb.288:
	s_cmp_gt_i32 s26, 25
	s_cbranch_scc0 .LBB224_311
; %bb.289:
	s_cmp_gt_i32 s26, 28
	s_cbranch_scc0 .LBB224_312
	;; [unrolled: 3-line block ×4, first 2 shown]
; %bb.292:
	s_cmp_eq_u32 s26, 46
	s_mov_b64 s[2:3], 0
	s_cbranch_scc0 .LBB224_348
; %bb.293:
	global_load_dword v0, v[4:5], off
	s_mov_b64 s[20:21], 0
	s_waitcnt vmcnt(0)
	v_and_b32_e32 v2, 0xffff0000, v0
	v_lshlrev_b32_e32 v0, 16, v0
	v_cvt_f64_f32_e32 v[0:1], v0
	v_cvt_f64_f32_e32 v[2:3], v2
	s_branch .LBB224_349
.LBB224_294:
	s_or_b64 exec, exec, s[18:19]
	s_mov_b64 s[18:19], 0
	s_and_saveexec_b64 s[2:3], s[16:17]
	s_cbranch_execnz .LBB224_965
.LBB224_295:
	s_or_b64 exec, exec, s[2:3]
	s_and_saveexec_b64 s[2:3], s[22:23]
	s_xor_b64 s[2:3], exec, s[2:3]
	s_cbranch_execz .LBB224_966
.LBB224_296:
	global_load_ubyte v1, v[4:5], off
	v_mov_b32_e32 v6, 0x3ff00000
	s_waitcnt vmcnt(1)
	v_mov_b32_e32 v0, 0
	v_mov_b64_e32 v[2:3], 0
	s_or_b64 s[0:1], s[0:1], exec
	s_waitcnt vmcnt(0)
	v_cmp_ne_u16_e32 vcc, 0, v1
	s_nop 1
	v_cndmask_b32_e32 v1, 0, v6, vcc
	s_or_b64 exec, exec, s[2:3]
	s_and_saveexec_b64 s[2:3], s[24:25]
	s_cbranch_execz .LBB224_1014
	s_branch .LBB224_967
.LBB224_297:
	s_mov_b64 s[0:1], 0
                                        ; implicit-def: $vgpr2_vgpr3
	s_mov_b64 s[20:21], s[16:17]
	s_cbranch_execnz .LBB224_529
.LBB224_298:
	s_andn2_b64 vcc, exec, s[0:1]
	s_cbranch_vccnz .LBB224_579
.LBB224_299:
	s_waitcnt vmcnt(0)
	v_cmp_neq_f64_e32 vcc, 0, v[0:1]
	v_cmp_neq_f64_e64 s[0:1], 0, v[2:3]
	v_mov_b64_e32 v[4:5], 0
	s_or_b64 s[0:1], vcc, s[0:1]
	s_and_saveexec_b64 s[22:23], s[0:1]
	s_cbranch_execz .LBB224_335
; %bb.300:
	v_mov_b32_e32 v4, 0
	v_mov_b32_e32 v5, 0x7ff00000
	v_cmp_neq_f64_e64 s[0:1], |v[2:3]|, v[4:5]
	s_and_saveexec_b64 s[26:27], s[0:1]
	s_cbranch_execz .LBB224_334
; %bb.301:
	v_cmp_o_f64_e32 vcc, v[0:1], v[0:1]
                                        ; implicit-def: $vgpr4_vgpr5
	s_and_saveexec_b64 s[0:1], vcc
	s_xor_b64 s[28:29], exec, s[0:1]
	s_cbranch_execz .LBB224_331
; %bb.302:
	s_mov_b32 s0, 0
	s_mov_b32 s1, 0x7ff00000
	v_cmp_neq_f64_e64 s[0:1], |v[0:1]|, s[0:1]
                                        ; implicit-def: $vgpr4_vgpr5
	s_and_saveexec_b64 s[2:3], s[0:1]
	s_xor_b64 s[30:31], exec, s[2:3]
	s_cbranch_execz .LBB224_324
; %bb.303:
	v_max_f64 v[4:5], |v[2:3]|, |v[2:3]|
	v_max_f64 v[6:7], |v[0:1]|, |v[0:1]|
	s_mov_b32 s0, 0x99fcef32
	v_max_f64 v[4:5], v[6:7], v[4:5]
	s_mov_b32 s1, 0x7fda8279
	v_cmp_nle_f64_e64 s[0:1], s[0:1], v[4:5]
                                        ; implicit-def: $sgpr34_sgpr35
	s_and_saveexec_b64 s[2:3], s[0:1]
	s_xor_b64 s[2:3], exec, s[2:3]
	s_cbranch_execz .LBB224_307
; %bb.304:
	s_mov_b32 s34, 0
	s_mov_b32 s35, 0x200000
	v_cmp_le_f64_e64 s[36:37], |v[0:1]|, s[34:35]
	v_cmp_le_f64_e64 s[34:35], |v[2:3]|, s[34:35]
	s_and_b64 s[38:39], s[36:37], s[34:35]
	s_mov_b64 s[34:35], 0
	s_and_saveexec_b64 s[36:37], s[38:39]
; %bb.305:
	s_mov_b64 s[34:35], exec
	v_mul_f64 v[0:1], v[0:1], 4.0
	v_mul_f64 v[2:3], v[2:3], 4.0
; %bb.306:
	s_or_b64 exec, exec, s[36:37]
.LBB224_307:
	s_andn2_saveexec_b64 s[2:3], s[2:3]
; %bb.308:
	v_ldexp_f64 v[0:1], v[0:1], -2
	v_ldexp_f64 v[2:3], v[2:3], -2
	s_andn2_b64 s[34:35], s[34:35], exec
; %bb.309:
	s_or_b64 exec, exec, s[2:3]
	v_max_f64 v[4:5], |v[2:3]|, |v[2:3]|
	v_max_f64 v[6:7], |v[0:1]|, |v[0:1]|
	v_max_f64 v[4:5], v[6:7], v[4:5]
	v_frexp_exp_i32_f64_e32 v12, v[4:5]
	v_sub_u32_e32 v6, 0, v12
	v_ldexp_f64 v[4:5], |v[0:1]|, v6
	v_ldexp_f64 v[6:7], |v[2:3]|, v6
	v_mul_f64 v[6:7], v[6:7], v[6:7]
	v_fmac_f64_e32 v[6:7], v[4:5], v[4:5]
	v_rsq_f64_e32 v[4:5], v[6:7]
	v_cmp_eq_f64_e64 s[2:3], 0, v[6:7]
	s_movk_i32 s36, 0x204
	v_cmp_le_f64_e32 vcc, 0, v[0:1]
	v_mul_f64 v[8:9], v[6:7], v[4:5]
	v_mul_f64 v[4:5], v[4:5], 0.5
	v_fma_f64 v[10:11], -v[4:5], v[8:9], 0.5
	v_fmac_f64_e32 v[8:9], v[8:9], v[10:11]
	v_fmac_f64_e32 v[4:5], v[4:5], v[10:11]
	v_fma_f64 v[10:11], -v[8:9], v[8:9], v[6:7]
	v_fmac_f64_e32 v[8:9], v[10:11], v[4:5]
	v_cndmask_b32_e64 v5, v9, v7, s[2:3]
	v_cndmask_b32_e64 v4, v8, v6, s[2:3]
	v_ldexp_f64 v[4:5], v[4:5], v12
	v_cmp_o_f64_e64 s[2:3], v[2:3], v[2:3]
	v_mov_b32_e32 v6, 0x7ff80000
                                        ; implicit-def: $vgpr8_vgpr9
	s_nop 0
	v_cndmask_b32_e64 v4, 0, v4, s[2:3]
	v_cndmask_b32_e64 v5, v6, v5, s[2:3]
	v_cmp_class_f64_e64 s[2:3], v[0:1], s36
	v_cmp_class_f64_e64 s[36:37], v[2:3], s36
	v_mov_b32_e32 v6, 0x7ff00000
	s_or_b64 s[2:3], s[36:37], s[2:3]
	v_cndmask_b32_e64 v5, v5, v6, s[2:3]
	v_cndmask_b32_e64 v4, v4, 0, s[2:3]
                                        ; implicit-def: $vgpr6_vgpr7
	s_and_saveexec_b64 s[2:3], vcc
	s_xor_b64 s[2:3], exec, s[2:3]
	s_cbranch_execz .LBB224_317
; %bb.310:
	v_add_f64 v[0:1], v[0:1], v[4:5]
	s_mov_b32 s36, 0
	v_mul_f64 v[0:1], v[0:1], 0.5
	s_brev_b32 s37, 8
	v_mov_b32_e32 v4, 0x100
	v_cmp_gt_f64_e32 vcc, s[36:37], v[0:1]
	s_nop 1
	v_cndmask_b32_e32 v4, 0, v4, vcc
	v_ldexp_f64 v[0:1], v[0:1], v4
	v_rsq_f64_e32 v[4:5], v[0:1]
	s_nop 0
	v_mul_f64 v[6:7], v[0:1], v[4:5]
	v_mul_f64 v[4:5], v[4:5], 0.5
	v_fma_f64 v[8:9], -v[4:5], v[6:7], 0.5
	v_fmac_f64_e32 v[6:7], v[6:7], v[8:9]
	v_fma_f64 v[10:11], -v[6:7], v[6:7], v[0:1]
	v_fmac_f64_e32 v[4:5], v[4:5], v[8:9]
	v_fmac_f64_e32 v[6:7], v[10:11], v[4:5]
	v_fma_f64 v[8:9], -v[6:7], v[6:7], v[0:1]
	v_fmac_f64_e32 v[6:7], v[8:9], v[4:5]
	v_mov_b32_e32 v4, 0xffffff80
	v_cndmask_b32_e32 v4, 0, v4, vcc
	v_ldexp_f64 v[4:5], v[6:7], v4
	v_mov_b32_e32 v6, 0x260
	v_cmp_class_f64_e32 vcc, v[0:1], v6
	s_nop 1
	v_cndmask_b32_e32 v9, v5, v1, vcc
	v_cndmask_b32_e32 v8, v4, v0, vcc
	v_add_f64 v[0:1], v[8:9], v[8:9]
	v_div_scale_f64 v[4:5], s[36:37], v[0:1], v[0:1], v[2:3]
	v_rcp_f64_e32 v[6:7], v[4:5]
	s_nop 0
	v_fma_f64 v[10:11], -v[4:5], v[6:7], 1.0
	v_fmac_f64_e32 v[6:7], v[6:7], v[10:11]
	v_fma_f64 v[10:11], -v[4:5], v[6:7], 1.0
	v_fmac_f64_e32 v[6:7], v[6:7], v[10:11]
	v_div_scale_f64 v[10:11], vcc, v[2:3], v[0:1], v[2:3]
	v_mul_f64 v[12:13], v[10:11], v[6:7]
	v_fma_f64 v[4:5], -v[4:5], v[12:13], v[10:11]
	s_nop 1
	v_div_fmas_f64 v[4:5], v[4:5], v[6:7], v[12:13]
	v_div_fixup_f64 v[6:7], v[4:5], v[0:1], v[2:3]
                                        ; implicit-def: $vgpr4_vgpr5
                                        ; implicit-def: $vgpr0_vgpr1
	s_andn2_saveexec_b64 s[2:3], s[2:3]
	s_cbranch_execz .LBB224_319
	s_branch .LBB224_318
.LBB224_311:
	s_mov_b64 s[2:3], -1
	s_mov_b64 s[0:1], 0
	s_mov_b64 s[20:21], s[16:17]
                                        ; implicit-def: $vgpr2_vgpr3
	s_branch .LBB224_494
.LBB224_312:
	s_mov_b64 s[2:3], -1
	s_mov_b64 s[0:1], 0
	s_mov_b64 s[20:21], s[16:17]
                                        ; implicit-def: $vgpr2_vgpr3
	s_branch .LBB224_473
.LBB224_313:
	s_mov_b64 s[2:3], -1
	s_mov_b64 s[0:1], 0
	s_mov_b64 s[20:21], s[16:17]
                                        ; implicit-def: $vgpr2_vgpr3
	s_branch .LBB224_467
.LBB224_314:
	s_andn2_saveexec_b64 s[20:21], s[20:21]
	s_cbranch_execz .LBB224_84
.LBB224_315:
	s_mov_b32 s26, 0x46000000
	v_add_f32_e64 v7, |v6|, s26
	v_and_b32_e32 v7, 0xff, v7
	v_cmp_ne_u32_e32 vcc, 0, v7
	s_andn2_b64 s[14:15], s[14:15], exec
	s_and_b64 s[26:27], vcc, exec
	s_or_b64 s[14:15], s[14:15], s[26:27]
	s_or_b64 exec, exec, s[20:21]
	v_mov_b32_e32 v8, 0
	s_and_saveexec_b64 s[20:21], s[14:15]
	s_cbranch_execnz .LBB224_85
	s_branch .LBB224_86
.LBB224_316:
	s_mov_b64 s[2:3], -1
	s_mov_b64 s[0:1], 0
	s_mov_b64 s[20:21], s[16:17]
                                        ; implicit-def: $vgpr2_vgpr3
	s_branch .LBB224_349
.LBB224_317:
	s_andn2_saveexec_b64 s[2:3], s[2:3]
	s_cbranch_execz .LBB224_319
.LBB224_318:
	v_add_f64 v[0:1], v[4:5], -v[0:1]
	s_mov_b32 s36, 0
	v_mul_f64 v[0:1], v[0:1], 0.5
	s_brev_b32 s37, 8
	v_mov_b32_e32 v4, 0x100
	v_cmp_gt_f64_e32 vcc, s[36:37], v[0:1]
	s_nop 1
	v_cndmask_b32_e32 v4, 0, v4, vcc
	v_ldexp_f64 v[0:1], v[0:1], v4
	v_rsq_f64_e32 v[4:5], v[0:1]
	s_nop 0
	v_mul_f64 v[6:7], v[0:1], v[4:5]
	v_mul_f64 v[4:5], v[4:5], 0.5
	v_fma_f64 v[8:9], -v[4:5], v[6:7], 0.5
	v_fmac_f64_e32 v[6:7], v[6:7], v[8:9]
	v_fma_f64 v[10:11], -v[6:7], v[6:7], v[0:1]
	v_fmac_f64_e32 v[4:5], v[4:5], v[8:9]
	v_fmac_f64_e32 v[6:7], v[10:11], v[4:5]
	v_fma_f64 v[8:9], -v[6:7], v[6:7], v[0:1]
	v_fmac_f64_e32 v[6:7], v[8:9], v[4:5]
	v_mov_b32_e32 v4, 0xffffff80
	v_cndmask_b32_e32 v4, 0, v4, vcc
	v_ldexp_f64 v[4:5], v[6:7], v4
	v_mov_b32_e32 v6, 0x260
	v_cmp_class_f64_e32 vcc, v[0:1], v6
	s_nop 1
	v_cndmask_b32_e32 v7, v5, v1, vcc
	v_cndmask_b32_e32 v6, v4, v0, vcc
	v_add_f64 v[0:1], v[6:7], v[6:7]
	v_and_b32_e32 v5, 0x7fffffff, v3
	v_mov_b32_e32 v4, v2
	v_div_scale_f64 v[8:9], s[36:37], v[0:1], v[0:1], v[4:5]
	v_rcp_f64_e32 v[10:11], v[8:9]
	v_div_scale_f64 v[4:5], vcc, v[4:5], v[0:1], v[4:5]
	s_brev_b32 s36, -2
	v_fma_f64 v[12:13], -v[8:9], v[10:11], 1.0
	v_fmac_f64_e32 v[10:11], v[10:11], v[12:13]
	v_fma_f64 v[12:13], -v[8:9], v[10:11], 1.0
	v_fmac_f64_e32 v[10:11], v[10:11], v[12:13]
	v_mul_f64 v[12:13], v[4:5], v[10:11]
	v_fma_f64 v[4:5], -v[8:9], v[12:13], v[4:5]
	v_div_fmas_f64 v[4:5], v[4:5], v[10:11], v[12:13]
	v_div_fixup_f64 v[8:9], v[4:5], v[0:1], |v[2:3]|
	v_bfi_b32 v7, s36, v7, v3
.LBB224_319:
	s_or_b64 exec, exec, s[2:3]
                                        ; implicit-def: $vgpr2_vgpr3
                                        ; implicit-def: $vgpr4_vgpr5
	s_and_saveexec_b64 s[2:3], s[0:1]
	s_xor_b64 s[0:1], exec, s[2:3]
	s_cbranch_execz .LBB224_321
; %bb.320:
	v_mul_f64 v[0:1], v[8:9], 0.5
	v_mul_f64 v[2:3], v[6:7], 0.5
	v_cndmask_b32_e64 v5, v9, v1, s[34:35]
	v_cndmask_b32_e64 v4, v8, v0, s[34:35]
	;; [unrolled: 1-line block ×4, first 2 shown]
                                        ; implicit-def: $vgpr8_vgpr9
                                        ; implicit-def: $vgpr6_vgpr7
	s_andn2_saveexec_b64 s[0:1], s[0:1]
	s_cbranch_execnz .LBB224_322
	s_branch .LBB224_323
.LBB224_321:
	s_andn2_saveexec_b64 s[0:1], s[0:1]
.LBB224_322:
	v_add_f64 v[4:5], v[8:9], v[8:9]
	v_add_f64 v[2:3], v[6:7], v[6:7]
.LBB224_323:
	s_or_b64 exec, exec, s[0:1]
.LBB224_324:
	s_andn2_saveexec_b64 s[0:1], s[30:31]
	s_cbranch_execz .LBB224_330
; %bb.325:
	v_add_f64 v[6:7], v[2:3], -v[2:3]
	v_cmp_lt_i64_e32 vcc, -1, v[0:1]
	s_brev_b32 s30, -2
	v_and_b32_e32 v5, 0x7fffffff, v7
	v_mov_b32_e32 v4, v6
	s_and_saveexec_b64 s[2:3], vcc
	s_xor_b64 s[2:3], exec, s[2:3]
; %bb.326:
	v_bfi_b32 v7, s30, v7, v3
	v_mov_b64_e32 v[2:3], v[6:7]
	v_mov_b64_e32 v[4:5], v[0:1]
; %bb.327:
	s_andn2_saveexec_b64 s[2:3], s[2:3]
; %bb.328:
	v_bfi_b32 v1, s30, v1, v3
	v_mov_b64_e32 v[2:3], v[0:1]
; %bb.329:
	s_or_b64 exec, exec, s[2:3]
.LBB224_330:
	s_or_b64 exec, exec, s[0:1]
.LBB224_331:
	s_andn2_saveexec_b64 s[0:1], s[28:29]
	s_cbranch_execz .LBB224_333
; %bb.332:
	v_add_f64 v[2:3], v[2:3], -v[2:3]
	v_div_scale_f64 v[4:5], vcc, v[2:3], v[2:3], v[2:3]
	v_rcp_f64_e32 v[6:7], v[4:5]
	s_nop 0
	v_fma_f64 v[8:9], -v[4:5], v[6:7], 1.0
	v_fmac_f64_e32 v[6:7], v[6:7], v[8:9]
	v_fma_f64 v[8:9], -v[4:5], v[6:7], 1.0
	v_fmac_f64_e32 v[6:7], v[6:7], v[8:9]
	v_mul_f64 v[8:9], v[4:5], v[6:7]
	v_fma_f64 v[4:5], -v[4:5], v[8:9], v[4:5]
	v_div_fmas_f64 v[4:5], v[4:5], v[6:7], v[8:9]
	v_div_fixup_f64 v[2:3], v[4:5], v[2:3], v[2:3]
	v_mov_b64_e32 v[4:5], v[0:1]
.LBB224_333:
	s_or_b64 exec, exec, s[0:1]
.LBB224_334:
	s_or_b64 exec, exec, s[26:27]
.LBB224_335:
	s_or_b64 exec, exec, s[22:23]
	v_mul_lo_u32 v0, v22, s8
	v_ashrrev_i32_e32 v1, 31, v0
	s_and_b32 s28, s33, 0xff
	s_cmp_lt_i32 s28, 11
	v_lshl_add_u64 v[0:1], s[4:5], 0, v[0:1]
	s_cbranch_scc1 .LBB224_342
; %bb.336:
	s_and_b32 s29, 0xffff, s28
	s_cmp_gt_i32 s29, 25
	s_cbranch_scc0 .LBB224_343
; %bb.337:
	s_cmp_gt_i32 s29, 28
	s_cbranch_scc0 .LBB224_344
; %bb.338:
	s_cmp_gt_i32 s29, 43
	s_cbranch_scc0 .LBB224_345
; %bb.339:
	s_cmp_gt_i32 s29, 45
	s_cbranch_scc0 .LBB224_352
; %bb.340:
	s_mov_b64 s[22:23], 0
	s_mov_b64 s[2:3], -1
	s_cmp_eq_u32 s29, 46
	s_mov_b64 s[0:1], 0
	s_cbranch_scc0 .LBB224_353
; %bb.341:
	v_cvt_f32_f64_e32 v7, v[2:3]
	s_movk_i32 s0, 0x7fff
	v_bfe_u32 v9, v7, 16, 1
	v_cvt_f32_f64_e32 v6, v[4:5]
	v_add3_u32 v9, v7, v9, s0
	v_bfe_u32 v8, v6, 16, 1
	v_and_b32_e32 v9, 0xffff0000, v9
	v_mov_b32_e32 v10, 0x7fc00000
	v_cmp_o_f32_e32 vcc, v7, v7
	v_add3_u32 v8, v6, v8, s0
	s_mov_b64 s[0:1], -1
	v_cndmask_b32_e32 v7, v10, v9, vcc
	v_cmp_o_f32_e32 vcc, v6, v6
	v_mov_b32_e32 v6, 0x7fc0
	s_mov_b64 s[2:3], 0
	v_cndmask_b32_sdwa v6, v6, v8, vcc dst_sel:DWORD dst_unused:UNUSED_PAD src0_sel:DWORD src1_sel:WORD_1
	v_or_b32_e32 v6, v7, v6
	global_store_dword v[0:1], v6, off
	s_branch .LBB224_353
.LBB224_342:
	s_mov_b64 s[22:23], -1
	s_mov_b64 s[0:1], 0
	s_mov_b64 s[2:3], s[14:15]
	s_branch .LBB224_422
.LBB224_343:
	s_mov_b64 s[22:23], -1
	s_mov_b64 s[0:1], 0
	s_mov_b64 s[2:3], s[14:15]
	s_branch .LBB224_380
.LBB224_344:
	s_mov_b64 s[22:23], -1
	s_mov_b64 s[0:1], 0
	s_mov_b64 s[2:3], s[14:15]
	s_branch .LBB224_363
.LBB224_345:
	s_mov_b64 s[22:23], -1
	s_mov_b64 s[0:1], 0
	s_mov_b64 s[2:3], s[14:15]
	s_branch .LBB224_359
.LBB224_346:
	s_andn2_saveexec_b64 s[20:21], s[20:21]
	s_cbranch_execz .LBB224_97
.LBB224_347:
	s_mov_b32 s26, 0x42800000
	v_add_f32_e64 v7, |v6|, s26
	v_and_b32_e32 v7, 0xff, v7
	v_cmp_ne_u32_e32 vcc, 0, v7
	s_andn2_b64 s[14:15], s[14:15], exec
	s_and_b64 s[26:27], vcc, exec
	s_or_b64 s[14:15], s[14:15], s[26:27]
	s_or_b64 exec, exec, s[20:21]
	v_mov_b32_e32 v8, 0
	s_and_saveexec_b64 s[20:21], s[14:15]
	s_cbranch_execnz .LBB224_98
	s_branch .LBB224_99
.LBB224_348:
	s_mov_b64 s[20:21], -1
                                        ; implicit-def: $vgpr2_vgpr3
	s_mov_b64 s[0:1], 0
.LBB224_349:
	s_and_b64 vcc, exec, s[2:3]
	s_cbranch_vccz .LBB224_466
; %bb.350:
	s_cmp_eq_u32 s26, 44
	s_cbranch_scc0 .LBB224_464
; %bb.351:
	global_load_ubyte v2, v[4:5], off
	s_movk_i32 s2, 0xff
	v_bfrev_b32_e32 v3, 4
	v_mov_b32_e32 v6, 0x7ff80000
	v_bfrev_b32_e32 v7, 28
	s_mov_b64 s[0:1], -1
	s_mov_b64 s[20:21], 0
	s_waitcnt vmcnt(0)
	v_lshlrev_b32_e32 v0, 23, v2
	v_cvt_f64_f32_e32 v[0:1], v0
	v_cmp_ne_u32_e32 vcc, s2, v2
	s_nop 1
	v_cndmask_b32_e32 v0, v3, v0, vcc
	v_cndmask_b32_e32 v1, v6, v1, vcc
	v_cmp_ne_u32_e32 vcc, 0, v2
	s_nop 1
	v_cndmask_b32_e32 v1, v7, v1, vcc
	v_cndmask_b32_e32 v0, 0, v0, vcc
	s_branch .LBB224_465
.LBB224_352:
	s_mov_b64 s[22:23], -1
	s_mov_b64 s[0:1], 0
	s_mov_b64 s[2:3], s[14:15]
.LBB224_353:
	s_and_b64 vcc, exec, s[22:23]
	s_cbranch_vccz .LBB224_358
; %bb.354:
	s_cmp_eq_u32 s29, 44
	s_mov_b64 s[2:3], -1
	s_cbranch_scc0 .LBB224_358
; %bb.355:
	v_cvt_f32_f64_e32 v6, v[4:5]
	v_bfe_u32 v7, v6, 23, 8
	s_movk_i32 s0, 0xff
	v_cmp_ne_u32_e32 vcc, s0, v7
	v_mov_b32_e32 v8, 0xff
	s_and_saveexec_b64 s[2:3], vcc
; %bb.356:
	s_mov_b32 s0, 0x3fffff
	v_lshrrev_b32_e32 v8, 23, v6
	v_and_b32_e32 v9, 0x400000, v6
	v_and_or_b32 v6, v6, s0, v7
	v_cmp_ne_u32_e32 vcc, 0, v9
	v_cmp_ne_u32_e64 s[0:1], 0, v6
	s_and_b64 s[0:1], vcc, s[0:1]
	s_nop 0
	v_cndmask_b32_e64 v6, 0, 1, s[0:1]
	v_add_u32_e32 v8, v8, v6
; %bb.357:
	s_or_b64 exec, exec, s[2:3]
	s_mov_b64 s[0:1], -1
	s_mov_b64 s[2:3], 0
	global_store_byte v[0:1], v8, off
.LBB224_358:
	s_mov_b64 s[22:23], 0
.LBB224_359:
	s_and_b64 vcc, exec, s[22:23]
	s_cbranch_vccz .LBB224_362
; %bb.360:
	s_cmp_eq_u32 s29, 29
	s_mov_b64 s[2:3], -1
	s_cbranch_scc0 .LBB224_362
; %bb.361:
	v_trunc_f64_e32 v[6:7], v[4:5]
	s_movk_i32 s0, 0xffe0
	v_ldexp_f64 v[8:9], v[6:7], s0
	v_floor_f64_e32 v[8:9], v[8:9]
	v_fmac_f64_e32 v[6:7], 0xc1f00000, v[8:9]
	v_cvt_u32_f64_e32 v11, v[8:9]
	v_cvt_u32_f64_e32 v10, v[6:7]
	global_store_dwordx2 v[0:1], v[10:11], off
	s_mov_b64 s[0:1], -1
	s_mov_b64 s[2:3], 0
.LBB224_362:
	s_mov_b64 s[22:23], 0
.LBB224_363:
	s_and_b64 vcc, exec, s[22:23]
	s_cbranch_vccz .LBB224_379
; %bb.364:
	s_cmp_lt_i32 s29, 27
	s_mov_b64 s[0:1], -1
	s_cbranch_scc1 .LBB224_370
; %bb.365:
	s_cmp_gt_i32 s29, 27
	v_cvt_u32_f64_e32 v6, v[4:5]
	s_cbranch_scc0 .LBB224_367
; %bb.366:
	s_mov_b64 s[0:1], 0
	global_store_dword v[0:1], v6, off
.LBB224_367:
	s_andn2_b64 vcc, exec, s[0:1]
	s_cbranch_vccnz .LBB224_369
; %bb.368:
	global_store_short v[0:1], v6, off
.LBB224_369:
	s_mov_b64 s[0:1], 0
.LBB224_370:
	s_andn2_b64 vcc, exec, s[0:1]
	s_cbranch_vccnz .LBB224_378
; %bb.371:
	v_cvt_f32_f64_e32 v6, v[4:5]
	v_and_b32_e32 v7, 0x7fffffff, v6
	s_mov_b32 s0, 0x43800000
	v_cmp_gt_u32_e32 vcc, s0, v7
	v_mov_b32_e32 v8, 0x80
	s_and_saveexec_b64 s[0:1], vcc
	s_cbranch_execz .LBB224_377
; %bb.372:
	s_mov_b32 s22, 0x3bffffff
	v_cmp_lt_u32_e32 vcc, s22, v7
	s_mov_b64 s[22:23], 0
                                        ; implicit-def: $vgpr7
	s_and_saveexec_b64 s[26:27], vcc
	s_xor_b64 s[26:27], exec, s[26:27]
	s_cbranch_execz .LBB224_594
; %bb.373:
	v_bfe_u32 v7, v6, 20, 1
	s_mov_b32 s30, 0x487ffff
	v_add3_u32 v7, v6, v7, s30
	s_mov_b64 s[22:23], exec
	v_lshrrev_b32_e32 v7, 20, v7
	s_andn2_saveexec_b64 s[26:27], s[26:27]
	s_cbranch_execnz .LBB224_595
.LBB224_374:
	s_or_b64 exec, exec, s[26:27]
	v_mov_b32_e32 v8, 0
	s_and_saveexec_b64 s[26:27], s[22:23]
.LBB224_375:
	v_lshrrev_b32_e32 v6, 24, v6
	s_movk_i32 s22, 0x80
	v_and_or_b32 v8, v6, s22, v7
.LBB224_376:
	s_or_b64 exec, exec, s[26:27]
.LBB224_377:
	s_or_b64 exec, exec, s[0:1]
	global_store_byte v[0:1], v8, off
.LBB224_378:
	s_mov_b64 s[0:1], -1
.LBB224_379:
	s_mov_b64 s[22:23], 0
.LBB224_380:
	s_and_b64 vcc, exec, s[22:23]
	s_cbranch_vccz .LBB224_421
; %bb.381:
	s_cmp_gt_i32 s29, 22
	s_mov_b64 s[22:23], -1
	s_cbranch_scc0 .LBB224_413
; %bb.382:
	s_cmp_lt_i32 s29, 24
	s_mov_b64 s[0:1], -1
	s_cbranch_scc1 .LBB224_402
; %bb.383:
	s_cmp_gt_i32 s29, 24
	s_cbranch_scc0 .LBB224_391
; %bb.384:
	v_cvt_f32_f64_e32 v6, v[4:5]
	v_and_b32_e32 v7, 0x7fffffff, v6
	s_mov_b32 s0, 0x47800000
	v_cmp_gt_u32_e32 vcc, s0, v7
	v_mov_b32_e32 v8, 0x80
	s_and_saveexec_b64 s[0:1], vcc
	s_cbranch_execz .LBB224_390
; %bb.385:
	s_mov_b32 s22, 0x37ffffff
	v_cmp_lt_u32_e32 vcc, s22, v7
	s_mov_b64 s[22:23], 0
                                        ; implicit-def: $vgpr7
	s_and_saveexec_b64 s[26:27], vcc
	s_xor_b64 s[26:27], exec, s[26:27]
	s_cbranch_execz .LBB224_597
; %bb.386:
	v_bfe_u32 v7, v6, 21, 1
	s_mov_b32 s30, 0x88fffff
	v_add3_u32 v7, v6, v7, s30
	s_mov_b64 s[22:23], exec
	v_lshrrev_b32_e32 v7, 21, v7
	s_andn2_saveexec_b64 s[26:27], s[26:27]
	s_cbranch_execnz .LBB224_598
.LBB224_387:
	s_or_b64 exec, exec, s[26:27]
	v_mov_b32_e32 v8, 0
	s_and_saveexec_b64 s[26:27], s[22:23]
.LBB224_388:
	v_lshrrev_b32_e32 v6, 24, v6
	s_movk_i32 s22, 0x80
	v_and_or_b32 v8, v6, s22, v7
.LBB224_389:
	s_or_b64 exec, exec, s[26:27]
.LBB224_390:
	s_or_b64 exec, exec, s[0:1]
	s_mov_b64 s[0:1], 0
	global_store_byte v[0:1], v8, off
.LBB224_391:
	s_and_b64 vcc, exec, s[0:1]
	s_cbranch_vccz .LBB224_401
; %bb.392:
	v_cvt_f32_f64_e32 v6, v[4:5]
	v_and_b32_e32 v8, 0x7fffffff, v6
	s_mov_b32 s0, 0x43f00000
	v_cmp_gt_u32_e32 vcc, s0, v8
                                        ; implicit-def: $vgpr7
	s_and_saveexec_b64 s[0:1], vcc
	s_xor_b64 s[0:1], exec, s[0:1]
	s_cbranch_execz .LBB224_398
; %bb.393:
	s_mov_b32 s22, 0x3c7fffff
	v_cmp_lt_u32_e32 vcc, s22, v8
                                        ; implicit-def: $vgpr7
	s_and_saveexec_b64 s[22:23], vcc
	s_xor_b64 s[22:23], exec, s[22:23]
; %bb.394:
	v_bfe_u32 v7, v6, 20, 1
	s_mov_b32 s26, 0x407ffff
	v_add3_u32 v7, v6, v7, s26
	v_lshrrev_b32_e32 v8, 20, v7
	v_and_b32_e32 v7, 0xff00000, v7
	s_mov_b32 s26, 0x7f00000
	v_mov_b32_e32 v9, 0x7e
	v_cmp_ne_u32_e32 vcc, s26, v7
	s_nop 1
	v_cndmask_b32_e32 v7, v9, v8, vcc
; %bb.395:
	s_andn2_saveexec_b64 s[22:23], s[22:23]
; %bb.396:
	s_mov_b32 s26, 0x46800000
	v_add_f32_e64 v7, |v6|, s26
; %bb.397:
	s_or_b64 exec, exec, s[22:23]
                                        ; implicit-def: $vgpr8
.LBB224_398:
	s_andn2_saveexec_b64 s[0:1], s[0:1]
; %bb.399:
	s_mov_b32 s22, 0x7f800000
	v_mov_b32_e32 v7, 0x7e
	v_mov_b32_e32 v9, 0x7f
	v_cmp_lt_u32_e32 vcc, s22, v8
	s_nop 1
	v_cndmask_b32_e32 v7, v7, v9, vcc
; %bb.400:
	s_or_b64 exec, exec, s[0:1]
	v_lshrrev_b32_e32 v6, 24, v6
	s_movk_i32 s0, 0x80
	v_and_or_b32 v6, v6, s0, v7
	global_store_byte v[0:1], v6, off
.LBB224_401:
	s_mov_b64 s[0:1], 0
.LBB224_402:
	s_andn2_b64 vcc, exec, s[0:1]
	s_cbranch_vccnz .LBB224_412
; %bb.403:
	v_cvt_f32_f64_e32 v6, v[4:5]
	v_and_b32_e32 v8, 0x7fffffff, v6
	s_mov_b32 s0, 0x47800000
	v_cmp_gt_u32_e32 vcc, s0, v8
                                        ; implicit-def: $vgpr7
	s_and_saveexec_b64 s[0:1], vcc
	s_xor_b64 s[0:1], exec, s[0:1]
	s_cbranch_execz .LBB224_409
; %bb.404:
	s_mov_b32 s22, 0x387fffff
	v_cmp_lt_u32_e32 vcc, s22, v8
                                        ; implicit-def: $vgpr7
	s_and_saveexec_b64 s[22:23], vcc
	s_xor_b64 s[22:23], exec, s[22:23]
; %bb.405:
	v_bfe_u32 v7, v6, 21, 1
	s_mov_b32 s26, 0x80fffff
	v_add3_u32 v7, v6, v7, s26
	v_lshrrev_b32_e32 v7, 21, v7
; %bb.406:
	s_andn2_saveexec_b64 s[22:23], s[22:23]
; %bb.407:
	s_mov_b32 s26, 0x43000000
	v_add_f32_e64 v7, |v6|, s26
; %bb.408:
	s_or_b64 exec, exec, s[22:23]
                                        ; implicit-def: $vgpr8
.LBB224_409:
	s_andn2_saveexec_b64 s[0:1], s[0:1]
; %bb.410:
	s_mov_b32 s22, 0x7f800000
	v_mov_b32_e32 v7, 0x7c
	v_mov_b32_e32 v9, 0x7f
	v_cmp_lt_u32_e32 vcc, s22, v8
	s_nop 1
	v_cndmask_b32_e32 v7, v7, v9, vcc
; %bb.411:
	s_or_b64 exec, exec, s[0:1]
	v_lshrrev_b32_e32 v6, 24, v6
	s_movk_i32 s0, 0x80
	v_and_or_b32 v6, v6, s0, v7
	global_store_byte v[0:1], v6, off
.LBB224_412:
	s_mov_b64 s[22:23], 0
	s_mov_b64 s[0:1], -1
.LBB224_413:
	s_andn2_b64 vcc, exec, s[22:23]
	s_cbranch_vccnz .LBB224_421
; %bb.414:
	s_cmp_gt_i32 s29, 14
	s_mov_b64 s[22:23], -1
	s_cbranch_scc0 .LBB224_418
; %bb.415:
	s_cmp_eq_u32 s29, 15
	s_mov_b64 s[2:3], -1
	s_cbranch_scc0 .LBB224_417
; %bb.416:
	v_cvt_f32_f64_e32 v6, v[4:5]
	v_bfe_u32 v7, v6, 16, 1
	s_movk_i32 s0, 0x7fff
	v_add3_u32 v7, v6, v7, s0
	v_cmp_o_f32_e32 vcc, v6, v6
	v_mov_b32_e32 v6, 0x7fc0
	s_mov_b64 s[0:1], -1
	v_cndmask_b32_sdwa v6, v6, v7, vcc dst_sel:DWORD dst_unused:UNUSED_PAD src0_sel:DWORD src1_sel:WORD_1
	global_store_short v[0:1], v6, off
	s_mov_b64 s[2:3], 0
.LBB224_417:
	s_mov_b64 s[22:23], 0
.LBB224_418:
	s_and_b64 vcc, exec, s[22:23]
	s_cbranch_vccz .LBB224_421
; %bb.419:
	s_cmp_eq_u32 s29, 11
	s_mov_b64 s[2:3], -1
	s_cbranch_scc0 .LBB224_421
; %bb.420:
	v_cmp_neq_f64_e32 vcc, 0, v[4:5]
	v_cmp_neq_f64_e64 s[0:1], 0, v[2:3]
	s_or_b64 s[0:1], vcc, s[0:1]
	s_mov_b64 s[2:3], 0
	v_cndmask_b32_e64 v6, 0, 1, s[0:1]
	s_mov_b64 s[0:1], -1
	global_store_byte v[0:1], v6, off
.LBB224_421:
	s_mov_b64 s[22:23], 0
.LBB224_422:
	s_and_b64 vcc, exec, s[22:23]
	s_cbranch_vccz .LBB224_461
; %bb.423:
	s_and_b32 s22, 0xffff, s28
	s_cmp_lt_i32 s22, 5
	s_mov_b64 s[0:1], -1
	s_cbranch_scc1 .LBB224_444
; %bb.424:
	s_cmp_lt_i32 s22, 8
	s_cbranch_scc1 .LBB224_434
; %bb.425:
	s_cmp_lt_i32 s22, 9
	s_cbranch_scc1 .LBB224_431
; %bb.426:
	s_cmp_gt_i32 s22, 9
	s_cbranch_scc0 .LBB224_428
; %bb.427:
	v_mov_b32_e32 v6, v2
	v_mov_b32_e32 v7, v3
	s_mov_b64 s[0:1], 0
	global_store_dwordx4 v[0:1], v[4:7], off
.LBB224_428:
	s_andn2_b64 vcc, exec, s[0:1]
	s_cbranch_vccnz .LBB224_430
; %bb.429:
	v_cvt_f32_f64_e32 v6, v[4:5]
	v_cvt_f32_f64_e32 v7, v[2:3]
	global_store_dwordx2 v[0:1], v[6:7], off
.LBB224_430:
	s_mov_b64 s[0:1], 0
.LBB224_431:
	s_andn2_b64 vcc, exec, s[0:1]
	s_cbranch_vccnz .LBB224_433
; %bb.432:
	s_movk_i32 s0, 0x1ff
	v_and_or_b32 v6, v5, s0, v4
	v_cmp_ne_u32_e32 vcc, 0, v6
	v_lshrrev_b32_e32 v7, 8, v5
	s_movk_i32 s1, 0xffe
	v_cndmask_b32_e64 v6, 0, 1, vcc
	v_bfe_u32 v8, v5, 20, 11
	v_and_or_b32 v6, v7, s1, v6
	v_sub_u32_e32 v9, 0x3f1, v8
	v_or_b32_e32 v7, 0x1000, v6
	v_med3_i32 v9, v9, 0, 13
	v_lshrrev_b32_e32 v10, v9, v7
	v_lshlrev_b32_e32 v9, v9, v10
	v_cmp_ne_u32_e32 vcc, v9, v7
	v_add_u32_e32 v8, 0xfffffc10, v8
	v_lshl_or_b32 v9, v8, 12, v6
	v_cndmask_b32_e64 v7, 0, 1, vcc
	v_or_b32_e32 v7, v10, v7
	v_cmp_gt_i32_e32 vcc, 1, v8
	s_movk_i32 s23, 0x40f
	v_and_or_b32 v2, v3, s0, v2
	v_cndmask_b32_e32 v7, v9, v7, vcc
	v_and_b32_e32 v9, 7, v7
	v_cmp_lt_i32_e32 vcc, 5, v9
	v_lshrrev_b32_e32 v7, 2, v7
	v_bfe_u32 v11, v3, 20, 11
	v_cndmask_b32_e64 v10, 0, 1, vcc
	v_cmp_eq_u32_e32 vcc, 3, v9
	v_sub_u32_e32 v12, 0x3f1, v11
	v_med3_i32 v12, v12, 0, 13
	v_cndmask_b32_e64 v9, 0, 1, vcc
	v_or_b32_e32 v9, v9, v10
	v_add_u32_e32 v7, v7, v9
	v_mov_b32_e32 v9, 0x7c00
	v_cmp_gt_i32_e32 vcc, 31, v8
	v_mov_b32_e32 v10, 0x7e00
	v_add_u32_e32 v11, 0xfffffc10, v11
	v_cndmask_b32_e32 v7, v9, v7, vcc
	v_cmp_ne_u32_e32 vcc, 0, v6
	s_mov_b32 s26, 0x8000
	s_mov_b32 s0, 0xffff
	v_cndmask_b32_e32 v6, v9, v10, vcc
	v_cmp_eq_u32_e32 vcc, s23, v8
	v_lshrrev_b32_e32 v8, 8, v3
	v_lshrrev_b32_e32 v3, 16, v3
	v_cndmask_b32_e32 v6, v7, v6, vcc
	v_cmp_ne_u32_e32 vcc, 0, v2
	v_and_b32_sdwa v7, v5, s26 dst_sel:DWORD dst_unused:UNUSED_PAD src0_sel:WORD_1 src1_sel:DWORD
	s_nop 0
	v_cndmask_b32_e64 v2, 0, 1, vcc
	v_and_or_b32 v2, v8, s1, v2
	v_or_b32_e32 v8, 0x1000, v2
	v_lshrrev_b32_e32 v13, v12, v8
	v_lshlrev_b32_e32 v12, v12, v13
	v_cmp_ne_u32_e32 vcc, v12, v8
	v_lshl_or_b32 v12, v11, 12, v2
	s_nop 0
	v_cndmask_b32_e64 v8, 0, 1, vcc
	v_or_b32_e32 v8, v13, v8
	v_cmp_gt_i32_e32 vcc, 1, v11
	s_nop 1
	v_cndmask_b32_e32 v8, v12, v8, vcc
	v_and_b32_e32 v12, 7, v8
	v_cmp_lt_i32_e32 vcc, 5, v12
	v_lshrrev_b32_e32 v8, 2, v8
	s_nop 0
	v_cndmask_b32_e64 v13, 0, 1, vcc
	v_cmp_eq_u32_e32 vcc, 3, v12
	s_nop 1
	v_cndmask_b32_e64 v12, 0, 1, vcc
	v_or_b32_e32 v12, v12, v13
	v_add_u32_e32 v8, v8, v12
	v_cmp_gt_i32_e32 vcc, 31, v11
	s_nop 1
	v_cndmask_b32_e32 v8, v9, v8, vcc
	v_cmp_ne_u32_e32 vcc, 0, v2
	s_nop 1
	v_cndmask_b32_e32 v2, v9, v10, vcc
	v_cmp_eq_u32_e32 vcc, s23, v11
	s_nop 1
	v_cndmask_b32_e32 v2, v8, v2, vcc
	v_and_or_b32 v2, v3, s26, v2
	v_bitop3_b32 v3, v7, s0, v6 bitop3:0xc8
	v_lshl_or_b32 v2, v2, 16, v3
	global_store_dword v[0:1], v2, off
.LBB224_433:
	s_mov_b64 s[0:1], 0
.LBB224_434:
	s_andn2_b64 vcc, exec, s[0:1]
	s_cbranch_vccnz .LBB224_443
; %bb.435:
	s_cmp_lt_i32 s22, 6
	s_mov_b64 s[0:1], -1
	s_cbranch_scc1 .LBB224_441
; %bb.436:
	s_cmp_gt_i32 s22, 6
	s_cbranch_scc0 .LBB224_438
; %bb.437:
	s_mov_b64 s[0:1], 0
	global_store_dwordx2 v[0:1], v[4:5], off
.LBB224_438:
	s_andn2_b64 vcc, exec, s[0:1]
	s_cbranch_vccnz .LBB224_440
; %bb.439:
	v_cvt_f32_f64_e32 v2, v[4:5]
	global_store_dword v[0:1], v2, off
.LBB224_440:
	s_mov_b64 s[0:1], 0
.LBB224_441:
	s_andn2_b64 vcc, exec, s[0:1]
	s_cbranch_vccnz .LBB224_443
; %bb.442:
	s_movk_i32 s0, 0x1ff
	v_and_or_b32 v2, v5, s0, v4
	v_cmp_ne_u32_e32 vcc, 0, v2
	v_lshrrev_b32_e32 v3, 8, v5
	s_movk_i32 s0, 0xffe
	v_cndmask_b32_e64 v2, 0, 1, vcc
	v_bfe_u32 v6, v5, 20, 11
	v_and_or_b32 v2, v3, s0, v2
	v_sub_u32_e32 v7, 0x3f1, v6
	v_or_b32_e32 v3, 0x1000, v2
	v_med3_i32 v7, v7, 0, 13
	v_lshrrev_b32_e32 v8, v7, v3
	v_lshlrev_b32_e32 v7, v7, v8
	v_cmp_ne_u32_e32 vcc, v7, v3
	v_add_u32_e32 v6, 0xfffffc10, v6
	v_lshl_or_b32 v7, v6, 12, v2
	v_cndmask_b32_e64 v3, 0, 1, vcc
	v_or_b32_e32 v3, v8, v3
	v_cmp_gt_i32_e32 vcc, 1, v6
	s_movk_i32 s0, 0x40f
	s_nop 0
	v_cndmask_b32_e32 v3, v7, v3, vcc
	v_and_b32_e32 v7, 7, v3
	v_cmp_lt_i32_e32 vcc, 5, v7
	v_lshrrev_b32_e32 v3, 2, v3
	s_nop 0
	v_cndmask_b32_e64 v8, 0, 1, vcc
	v_cmp_eq_u32_e32 vcc, 3, v7
	s_nop 1
	v_cndmask_b32_e64 v7, 0, 1, vcc
	v_or_b32_e32 v7, v7, v8
	v_add_u32_e32 v3, v3, v7
	v_mov_b32_e32 v7, 0x7c00
	v_cmp_gt_i32_e32 vcc, 31, v6
	v_mov_b32_e32 v8, 0x7e00
	s_nop 0
	v_cndmask_b32_e32 v3, v7, v3, vcc
	v_cmp_ne_u32_e32 vcc, 0, v2
	s_nop 1
	v_cndmask_b32_e32 v2, v7, v8, vcc
	v_cmp_eq_u32_e32 vcc, s0, v6
	s_mov_b32 s0, 0x8000
	s_nop 0
	v_cndmask_b32_e32 v2, v3, v2, vcc
	v_lshrrev_b32_e32 v3, 16, v5
	v_and_or_b32 v2, v3, s0, v2
	global_store_short v[0:1], v2, off
.LBB224_443:
	s_mov_b64 s[0:1], 0
.LBB224_444:
	s_andn2_b64 vcc, exec, s[0:1]
	s_cbranch_vccnz .LBB224_460
; %bb.445:
	s_cmp_lt_i32 s22, 2
	s_mov_b64 s[0:1], -1
	s_cbranch_scc1 .LBB224_455
; %bb.446:
	s_cmp_lt_i32 s22, 3
	s_cbranch_scc1 .LBB224_452
; %bb.447:
	s_cmp_gt_i32 s22, 3
	s_cbranch_scc0 .LBB224_449
; %bb.448:
	v_trunc_f64_e32 v[2:3], v[4:5]
	s_movk_i32 s0, 0xffe0
	v_ldexp_f64 v[6:7], v[2:3], s0
	v_floor_f64_e32 v[6:7], v[6:7]
	v_fmac_f64_e32 v[2:3], 0xc1f00000, v[6:7]
	v_cvt_i32_f64_e32 v9, v[6:7]
	v_cvt_u32_f64_e32 v8, v[2:3]
	s_mov_b64 s[0:1], 0
	global_store_dwordx2 v[0:1], v[8:9], off
.LBB224_449:
	s_andn2_b64 vcc, exec, s[0:1]
	s_cbranch_vccnz .LBB224_451
; %bb.450:
	v_cvt_i32_f64_e32 v2, v[4:5]
	global_store_dword v[0:1], v2, off
.LBB224_451:
	s_mov_b64 s[0:1], 0
.LBB224_452:
	s_andn2_b64 vcc, exec, s[0:1]
	s_cbranch_vccnz .LBB224_454
; %bb.453:
	v_cvt_i32_f64_e32 v2, v[4:5]
	global_store_short v[0:1], v2, off
.LBB224_454:
	s_mov_b64 s[0:1], 0
.LBB224_455:
	s_andn2_b64 vcc, exec, s[0:1]
	s_cbranch_vccnz .LBB224_460
; %bb.456:
	s_cmp_gt_i32 s22, 0
	s_mov_b64 s[0:1], -1
	s_cbranch_scc0 .LBB224_458
; %bb.457:
	v_cvt_i32_f64_e32 v2, v[4:5]
	s_mov_b64 s[0:1], 0
	global_store_byte v[0:1], v2, off
.LBB224_458:
	s_andn2_b64 vcc, exec, s[0:1]
	s_cbranch_vccnz .LBB224_460
; %bb.459:
	v_trunc_f64_e32 v[2:3], v[4:5]
	s_movk_i32 s0, 0xffe0
	v_ldexp_f64 v[4:5], v[2:3], s0
	v_floor_f64_e32 v[4:5], v[4:5]
	v_fmac_f64_e32 v[2:3], 0xc1f00000, v[4:5]
	v_cvt_u32_f64_e32 v2, v[2:3]
	global_store_byte v[0:1], v2, off
.LBB224_460:
	s_mov_b64 s[0:1], -1
.LBB224_461:
	s_andn2_b64 vcc, exec, s[0:1]
	s_cbranch_vccnz .LBB224_463
; %bb.462:
	v_add_u32_e32 v22, 0x80, v22
	s_mov_b64 s[0:1], -1
	s_branch .LBB224_580
.LBB224_463:
	s_mov_b64 s[0:1], 0
                                        ; implicit-def: $vgpr22
	s_branch .LBB224_580
.LBB224_464:
	s_mov_b64 s[20:21], -1
                                        ; implicit-def: $vgpr0_vgpr1
.LBB224_465:
	v_mov_b64_e32 v[2:3], 0
.LBB224_466:
	s_mov_b64 s[2:3], 0
.LBB224_467:
	s_and_b64 vcc, exec, s[2:3]
	s_cbranch_vccz .LBB224_472
; %bb.468:
	s_cmp_eq_u32 s26, 29
	s_cbranch_scc0 .LBB224_470
; %bb.469:
	global_load_dwordx2 v[0:1], v[4:5], off
	s_mov_b64 s[0:1], -1
	s_mov_b64 s[20:21], 0
	s_waitcnt vmcnt(0)
	v_cvt_f64_u32_e32 v[2:3], v1
	v_cvt_f64_u32_e32 v[0:1], v0
	v_ldexp_f64 v[2:3], v[2:3], 32
	v_add_f64 v[0:1], v[2:3], v[0:1]
	s_branch .LBB224_471
.LBB224_470:
	s_mov_b64 s[20:21], -1
                                        ; implicit-def: $vgpr0_vgpr1
.LBB224_471:
	v_mov_b64_e32 v[2:3], 0
.LBB224_472:
	s_mov_b64 s[2:3], 0
.LBB224_473:
	s_and_b64 vcc, exec, s[2:3]
	s_cbranch_vccz .LBB224_493
; %bb.474:
	s_cmp_lt_i32 s26, 27
	s_cbranch_scc1 .LBB224_477
; %bb.475:
	s_cmp_gt_i32 s26, 27
	s_cbranch_scc0 .LBB224_478
; %bb.476:
	global_load_dword v0, v[4:5], off
	s_mov_b64 s[0:1], 0
	s_waitcnt vmcnt(0)
	v_cvt_f64_u32_e32 v[0:1], v0
	s_branch .LBB224_479
.LBB224_477:
	s_mov_b64 s[0:1], -1
                                        ; implicit-def: $vgpr0_vgpr1
	s_branch .LBB224_482
.LBB224_478:
	s_mov_b64 s[0:1], -1
                                        ; implicit-def: $vgpr0_vgpr1
.LBB224_479:
	s_andn2_b64 vcc, exec, s[0:1]
	s_cbranch_vccnz .LBB224_481
; %bb.480:
	global_load_ushort v0, v[4:5], off
	s_waitcnt vmcnt(0)
	v_cvt_f64_u32_e32 v[0:1], v0
.LBB224_481:
	s_mov_b64 s[0:1], 0
.LBB224_482:
	s_andn2_b64 vcc, exec, s[0:1]
	s_cbranch_vccnz .LBB224_492
; %bb.483:
	global_load_ubyte v2, v[4:5], off
	s_movk_i32 s0, 0x7f
	s_waitcnt vmcnt(0)
	v_cmp_lt_i16_e32 vcc, s0, v2
	s_mov_b64 s[0:1], 0
	s_and_saveexec_b64 s[2:3], vcc
	s_xor_b64 s[2:3], exec, s[2:3]
	s_cbranch_execz .LBB224_487
; %bb.484:
	s_movk_i32 s0, 0x80
	v_cmp_eq_u16_e32 vcc, s0, v2
	s_mov_b64 s[0:1], -1
	s_and_saveexec_b64 s[22:23], vcc
; %bb.485:
	s_xor_b64 s[0:1], exec, -1
; %bb.486:
	s_or_b64 exec, exec, s[22:23]
	s_and_b64 s[0:1], s[0:1], exec
.LBB224_487:
	s_or_saveexec_b64 s[2:3], s[2:3]
	v_bfrev_b32_e32 v0, 4
	v_mov_b32_e32 v1, 0x7ff80000
	s_xor_b64 exec, exec, s[2:3]
; %bb.488:
	v_cmp_ne_u16_e32 vcc, 0, v2
	s_andn2_b64 s[0:1], s[0:1], exec
	s_and_b64 s[22:23], vcc, exec
	v_mov_b64_e32 v[0:1], 0
	s_or_b64 s[0:1], s[0:1], s[22:23]
; %bb.489:
	s_or_b64 exec, exec, s[2:3]
	s_and_saveexec_b64 s[2:3], s[0:1]
	s_cbranch_execz .LBB224_491
; %bb.490:
	v_and_b32_e32 v1, 0xffff, v2
	v_lshlrev_b32_e32 v0, 24, v2
	v_and_b32_e32 v2, 7, v1
	v_ffbh_u32_e32 v6, v2
	v_min_u32_e32 v6, 32, v6
	v_subrev_u32_e32 v7, 28, v6
	v_bfe_u32 v3, v1, 3, 4
	v_lshlrev_b32_e32 v1, v7, v1
	v_sub_u32_e32 v6, 29, v6
	v_and_b32_e32 v1, 7, v1
	v_cmp_eq_u32_e32 vcc, 0, v3
	v_and_b32_e32 v0, 0x80000000, v0
	s_nop 0
	v_cndmask_b32_e32 v3, v3, v6, vcc
	v_cndmask_b32_e32 v1, v2, v1, vcc
	v_mov_b32_e32 v2, 0x3b800000
	v_lshlrev_b32_e32 v1, 20, v1
	v_lshl_add_u32 v2, v3, 23, v2
	v_or3_b32 v0, v0, v2, v1
	v_cvt_f64_f32_e32 v[0:1], v0
.LBB224_491:
	s_or_b64 exec, exec, s[2:3]
.LBB224_492:
	s_mov_b64 s[0:1], -1
	v_mov_b64_e32 v[2:3], 0
.LBB224_493:
	s_mov_b64 s[2:3], 0
.LBB224_494:
	s_and_b64 vcc, exec, s[2:3]
	s_cbranch_vccz .LBB224_528
; %bb.495:
	s_cmp_gt_i32 s26, 22
	s_cbranch_scc0 .LBB224_507
; %bb.496:
	s_cmp_lt_i32 s26, 24
	s_cbranch_scc1 .LBB224_508
; %bb.497:
	s_cmp_gt_i32 s26, 24
	s_cbranch_scc0 .LBB224_509
; %bb.498:
	global_load_ubyte v2, v[4:5], off
	s_movk_i32 s0, 0x7f
	s_waitcnt vmcnt(0)
	v_cmp_lt_i16_e32 vcc, s0, v2
	s_mov_b64 s[0:1], 0
	s_and_saveexec_b64 s[2:3], vcc
	s_xor_b64 s[2:3], exec, s[2:3]
	s_cbranch_execz .LBB224_502
; %bb.499:
	s_movk_i32 s0, 0x80
	v_cmp_eq_u16_e32 vcc, s0, v2
	s_mov_b64 s[0:1], -1
	s_and_saveexec_b64 s[22:23], vcc
; %bb.500:
	s_xor_b64 s[0:1], exec, -1
; %bb.501:
	s_or_b64 exec, exec, s[22:23]
	s_and_b64 s[0:1], s[0:1], exec
.LBB224_502:
	s_or_saveexec_b64 s[2:3], s[2:3]
	v_bfrev_b32_e32 v0, 4
	v_mov_b32_e32 v1, 0x7ff80000
	s_xor_b64 exec, exec, s[2:3]
; %bb.503:
	v_cmp_ne_u16_e32 vcc, 0, v2
	s_andn2_b64 s[0:1], s[0:1], exec
	s_and_b64 s[22:23], vcc, exec
	v_mov_b64_e32 v[0:1], 0
	s_or_b64 s[0:1], s[0:1], s[22:23]
; %bb.504:
	s_or_b64 exec, exec, s[2:3]
	s_and_saveexec_b64 s[2:3], s[0:1]
	s_cbranch_execz .LBB224_506
; %bb.505:
	v_and_b32_e32 v1, 0xffff, v2
	v_lshlrev_b32_e32 v0, 24, v2
	v_and_b32_e32 v2, 3, v1
	v_ffbh_u32_e32 v6, v2
	v_min_u32_e32 v6, 32, v6
	v_subrev_u32_e32 v7, 29, v6
	v_bfe_u32 v3, v1, 2, 5
	v_lshlrev_b32_e32 v1, v7, v1
	v_sub_u32_e32 v6, 30, v6
	v_and_b32_e32 v1, 3, v1
	v_cmp_eq_u32_e32 vcc, 0, v3
	v_and_b32_e32 v0, 0x80000000, v0
	s_nop 0
	v_cndmask_b32_e32 v3, v3, v6, vcc
	v_cndmask_b32_e32 v1, v2, v1, vcc
	v_mov_b32_e32 v2, 0x37800000
	v_lshlrev_b32_e32 v1, 21, v1
	v_lshl_add_u32 v2, v3, 23, v2
	v_or3_b32 v0, v0, v2, v1
	v_cvt_f64_f32_e32 v[0:1], v0
.LBB224_506:
	s_or_b64 exec, exec, s[2:3]
	s_mov_b64 s[0:1], 0
	s_branch .LBB224_510
.LBB224_507:
	s_mov_b64 s[2:3], -1
                                        ; implicit-def: $vgpr0_vgpr1
	s_branch .LBB224_516
.LBB224_508:
	s_mov_b64 s[0:1], -1
                                        ; implicit-def: $vgpr0_vgpr1
	s_branch .LBB224_513
.LBB224_509:
	s_mov_b64 s[0:1], -1
                                        ; implicit-def: $vgpr0_vgpr1
.LBB224_510:
	s_and_b64 vcc, exec, s[0:1]
	s_cbranch_vccz .LBB224_512
; %bb.511:
	global_load_ubyte v0, v[4:5], off
	s_mov_b32 s0, 0x7f800000
	s_waitcnt vmcnt(0)
	v_lshlrev_b32_e32 v0, 24, v0
	v_and_b32_e32 v1, 0x7f000000, v0
	v_ffbh_u32_e32 v2, v1
	v_min_u32_e32 v2, 32, v2
	v_sub_u32_e64 v2, v2, 4 clamp
	v_lshlrev_b32_e32 v6, v2, v1
	v_lshlrev_b32_e32 v2, 23, v2
	v_lshrrev_b32_e32 v6, 4, v6
	v_add_u32_e32 v3, 0x1000000, v1
	v_sub_u32_e32 v2, v6, v2
	v_ashrrev_i32_e32 v3, 8, v3
	v_add_u32_e32 v2, 0x3c000000, v2
	v_and_or_b32 v2, v3, s0, v2
	v_cmp_ne_u32_e32 vcc, 0, v1
	s_brev_b32 s0, 1
	s_nop 0
	v_cndmask_b32_e32 v1, 0, v2, vcc
	v_and_or_b32 v0, v0, s0, v1
	v_cvt_f64_f32_e32 v[0:1], v0
.LBB224_512:
	s_mov_b64 s[0:1], 0
.LBB224_513:
	s_andn2_b64 vcc, exec, s[0:1]
	s_cbranch_vccnz .LBB224_515
; %bb.514:
	global_load_ubyte v0, v[4:5], off
	s_movk_i32 s0, 0x7f00
	s_brev_b32 s1, 16
	s_waitcnt vmcnt(0)
	v_lshlrev_b16_e32 v1, 8, v0
	v_lshlrev_b32_e32 v0, 25, v0
	v_lshrrev_b32_e32 v2, 4, v0
	v_and_or_b32 v3, v1, s0, 0.5
	v_or_b32_e32 v2, 0x70000000, v2
	v_add_f32_e32 v3, -0.5, v3
	v_mul_f32_e32 v2, 0x7800000, v2
	v_cmp_gt_u32_e32 vcc, s1, v0
	v_bfe_i32 v1, v1, 0, 16
	s_brev_b32 s0, 1
	v_cndmask_b32_e32 v0, v2, v3, vcc
	v_and_or_b32 v0, v1, s0, v0
	v_cvt_f64_f32_e32 v[0:1], v0
.LBB224_515:
	s_mov_b64 s[2:3], 0
	s_mov_b64 s[0:1], -1
.LBB224_516:
	s_andn2_b64 vcc, exec, s[2:3]
	s_cbranch_vccnz .LBB224_527
; %bb.517:
	s_cmp_gt_i32 s26, 14
	s_cbranch_scc0 .LBB224_520
; %bb.518:
	s_cmp_eq_u32 s26, 15
	s_cbranch_scc0 .LBB224_521
; %bb.519:
	global_load_ushort v0, v[4:5], off
	s_mov_b64 s[0:1], -1
	s_mov_b64 s[20:21], 0
	s_waitcnt vmcnt(0)
	v_lshlrev_b32_e32 v0, 16, v0
	v_cvt_f64_f32_e32 v[0:1], v0
	s_branch .LBB224_522
.LBB224_520:
	s_mov_b64 s[2:3], -1
                                        ; implicit-def: $vgpr0_vgpr1
	s_branch .LBB224_523
.LBB224_521:
	s_mov_b64 s[20:21], -1
                                        ; implicit-def: $vgpr0_vgpr1
.LBB224_522:
	s_mov_b64 s[2:3], 0
.LBB224_523:
	s_and_b64 vcc, exec, s[2:3]
	s_cbranch_vccz .LBB224_527
; %bb.524:
	s_cmp_eq_u32 s26, 11
	s_cbranch_scc0 .LBB224_526
; %bb.525:
	global_load_ubyte v1, v[4:5], off
	v_mov_b32_e32 v2, 0x3ff00000
	v_mov_b32_e32 v0, 0
	s_mov_b64 s[0:1], -1
	s_mov_b64 s[20:21], 0
	s_waitcnt vmcnt(0)
	v_cmp_ne_u16_e32 vcc, 0, v1
	s_nop 1
	v_cndmask_b32_e32 v1, 0, v2, vcc
	s_branch .LBB224_527
.LBB224_526:
	s_mov_b64 s[20:21], -1
                                        ; implicit-def: $vgpr0_vgpr1
.LBB224_527:
	v_mov_b64_e32 v[2:3], 0
.LBB224_528:
	s_branch .LBB224_298
.LBB224_529:
	s_cmp_lt_i32 s26, 5
	s_cbranch_scc1 .LBB224_534
; %bb.530:
	s_cmp_lt_i32 s26, 8
	s_cbranch_scc1 .LBB224_535
; %bb.531:
	;; [unrolled: 3-line block ×3, first 2 shown]
	s_cmp_gt_i32 s26, 9
	s_cbranch_scc0 .LBB224_537
; %bb.533:
	global_load_dwordx4 v[0:3], v[4:5], off
	s_mov_b64 s[0:1], 0
	s_branch .LBB224_538
.LBB224_534:
	s_mov_b64 s[0:1], -1
                                        ; implicit-def: $vgpr2_vgpr3
	s_branch .LBB224_557
.LBB224_535:
	s_mov_b64 s[0:1], -1
                                        ; implicit-def: $vgpr2_vgpr3
	s_branch .LBB224_544
.LBB224_536:
	s_mov_b64 s[0:1], -1
                                        ; implicit-def: $vgpr2_vgpr3
	s_branch .LBB224_541
.LBB224_537:
	s_mov_b64 s[0:1], -1
                                        ; implicit-def: $vgpr2_vgpr3
.LBB224_538:
	s_andn2_b64 vcc, exec, s[0:1]
	s_cbranch_vccnz .LBB224_540
; %bb.539:
	global_load_dwordx2 v[2:3], v[4:5], off
	s_waitcnt vmcnt(0)
	v_cvt_f64_f32_e32 v[0:1], v2
	v_cvt_f64_f32_e32 v[2:3], v3
.LBB224_540:
	s_mov_b64 s[0:1], 0
.LBB224_541:
	s_andn2_b64 vcc, exec, s[0:1]
	s_cbranch_vccnz .LBB224_543
; %bb.542:
	global_load_dword v0, v[4:5], off
	s_waitcnt vmcnt(0)
	v_cvt_f32_f16_e32 v1, v0
	v_cvt_f32_f16_sdwa v2, v0 dst_sel:DWORD dst_unused:UNUSED_PAD src0_sel:WORD_1
	v_cvt_f64_f32_e32 v[0:1], v1
	v_cvt_f64_f32_e32 v[2:3], v2
.LBB224_543:
	s_mov_b64 s[0:1], 0
.LBB224_544:
	s_andn2_b64 vcc, exec, s[0:1]
	s_cbranch_vccnz .LBB224_556
; %bb.545:
	s_cmp_lt_i32 s26, 6
	s_cbranch_scc1 .LBB224_548
; %bb.546:
	s_cmp_gt_i32 s26, 6
	s_cbranch_scc0 .LBB224_549
; %bb.547:
	global_load_dwordx2 v[0:1], v[4:5], off
	s_mov_b64 s[0:1], 0
	s_branch .LBB224_550
.LBB224_548:
	s_mov_b64 s[0:1], -1
                                        ; implicit-def: $vgpr0_vgpr1
	s_branch .LBB224_553
.LBB224_549:
	s_mov_b64 s[0:1], -1
                                        ; implicit-def: $vgpr0_vgpr1
.LBB224_550:
	s_andn2_b64 vcc, exec, s[0:1]
	s_cbranch_vccnz .LBB224_552
; %bb.551:
	global_load_dword v0, v[4:5], off
	s_waitcnt vmcnt(0)
	v_cvt_f64_f32_e32 v[0:1], v0
.LBB224_552:
	s_mov_b64 s[0:1], 0
.LBB224_553:
	s_andn2_b64 vcc, exec, s[0:1]
	s_cbranch_vccnz .LBB224_555
; %bb.554:
	global_load_ushort v0, v[4:5], off
	s_waitcnt vmcnt(0)
	v_cvt_f32_f16_e32 v0, v0
	v_cvt_f64_f32_e32 v[0:1], v0
.LBB224_555:
	s_waitcnt vmcnt(0)
	v_mov_b64_e32 v[2:3], 0
.LBB224_556:
	s_mov_b64 s[0:1], 0
.LBB224_557:
	s_andn2_b64 vcc, exec, s[0:1]
	s_cbranch_vccnz .LBB224_578
; %bb.558:
	s_cmp_lt_i32 s26, 2
	s_cbranch_scc1 .LBB224_562
; %bb.559:
	s_cmp_lt_i32 s26, 3
	s_cbranch_scc1 .LBB224_563
; %bb.560:
	s_cmp_gt_i32 s26, 3
	s_cbranch_scc0 .LBB224_564
; %bb.561:
	global_load_dwordx2 v[0:1], v[4:5], off
	s_mov_b64 s[0:1], 0
	s_waitcnt vmcnt(0)
	v_cvt_f64_i32_e32 v[2:3], v1
	v_cvt_f64_u32_e32 v[0:1], v0
	v_ldexp_f64 v[2:3], v[2:3], 32
	v_add_f64 v[0:1], v[2:3], v[0:1]
	s_branch .LBB224_565
.LBB224_562:
	s_mov_b64 s[0:1], -1
                                        ; implicit-def: $vgpr0_vgpr1
	s_branch .LBB224_571
.LBB224_563:
	s_mov_b64 s[0:1], -1
                                        ; implicit-def: $vgpr0_vgpr1
	s_branch .LBB224_568
.LBB224_564:
	s_mov_b64 s[0:1], -1
                                        ; implicit-def: $vgpr0_vgpr1
.LBB224_565:
	s_andn2_b64 vcc, exec, s[0:1]
	s_cbranch_vccnz .LBB224_567
; %bb.566:
	global_load_dword v0, v[4:5], off
	s_waitcnt vmcnt(0)
	v_cvt_f64_i32_e32 v[0:1], v0
.LBB224_567:
	s_mov_b64 s[0:1], 0
.LBB224_568:
	s_andn2_b64 vcc, exec, s[0:1]
	s_cbranch_vccnz .LBB224_570
; %bb.569:
	global_load_sshort v0, v[4:5], off
	s_waitcnt vmcnt(0)
	v_cvt_f64_i32_e32 v[0:1], v0
.LBB224_570:
	s_mov_b64 s[0:1], 0
.LBB224_571:
	s_andn2_b64 vcc, exec, s[0:1]
	s_cbranch_vccnz .LBB224_577
; %bb.572:
	s_cmp_gt_i32 s26, 0
	s_cbranch_scc0 .LBB224_574
; %bb.573:
	global_load_sbyte v0, v[4:5], off
	s_mov_b64 s[0:1], 0
	s_waitcnt vmcnt(0)
	v_cvt_f64_i32_e32 v[0:1], v0
	s_branch .LBB224_575
.LBB224_574:
	s_mov_b64 s[0:1], -1
                                        ; implicit-def: $vgpr0_vgpr1
.LBB224_575:
	s_andn2_b64 vcc, exec, s[0:1]
	s_cbranch_vccnz .LBB224_577
; %bb.576:
	global_load_ubyte v0, v[4:5], off
	s_waitcnt vmcnt(0)
	v_cvt_f64_u32_e32 v[0:1], v0
.LBB224_577:
	s_waitcnt vmcnt(0)
	v_mov_b64_e32 v[2:3], 0
.LBB224_578:
	s_branch .LBB224_299
.LBB224_579:
	s_mov_b64 s[0:1], 0
                                        ; implicit-def: $vgpr22
	s_mov_b64 s[2:3], s[14:15]
.LBB224_580:
	s_andn2_b64 s[22:23], s[14:15], exec
	s_and_b64 s[2:3], s[2:3], exec
	s_or_b64 s[22:23], s[22:23], s[2:3]
	s_andn2_b64 s[2:3], s[16:17], exec
	s_and_b64 s[20:21], s[20:21], exec
	s_or_b64 s[20:21], s[2:3], s[20:21]
	s_orn2_b64 s[0:1], s[0:1], exec
.LBB224_581:
	s_or_b64 exec, exec, s[24:25]
	s_mov_b64 s[2:3], 0
	s_mov_b64 s[26:27], 0
	;; [unrolled: 1-line block ×3, first 2 shown]
                                        ; implicit-def: $vgpr4_vgpr5
                                        ; implicit-def: $vgpr2_vgpr3
	s_and_saveexec_b64 s[24:25], s[0:1]
	s_cbranch_execz .LBB224_964
; %bb.582:
	v_cmp_gt_i32_e32 vcc, s45, v22
	s_mov_b64 s[34:35], -1
	s_mov_b64 s[0:1], s[20:21]
	s_mov_b64 s[2:3], s[22:23]
	s_and_saveexec_b64 s[26:27], vcc
	s_cbranch_execz .LBB224_875
; %bb.583:
	s_waitcnt vmcnt(0)
	v_mul_lo_u32 v0, v22, s9
	v_ashrrev_i32_e32 v1, 31, v0
	s_and_b32 s34, 0xffff, s44
	s_cmp_lt_i32 s34, 11
	v_lshl_add_u64 v[4:5], s[6:7], 0, v[0:1]
	s_cbranch_scc1 .LBB224_590
; %bb.584:
	s_cmp_gt_i32 s34, 25
	s_cbranch_scc0 .LBB224_591
; %bb.585:
	s_cmp_gt_i32 s34, 28
	s_cbranch_scc0 .LBB224_592
	;; [unrolled: 3-line block ×4, first 2 shown]
; %bb.588:
	s_cmp_eq_u32 s34, 46
	s_mov_b64 s[2:3], 0
	s_cbranch_scc0 .LBB224_599
; %bb.589:
	global_load_dword v0, v[4:5], off
	s_mov_b64 s[0:1], -1
	s_waitcnt vmcnt(0)
	v_and_b32_e32 v2, 0xffff0000, v0
	v_lshlrev_b32_e32 v0, 16, v0
	v_cvt_f64_f32_e32 v[0:1], v0
	v_cvt_f64_f32_e32 v[2:3], v2
	s_branch .LBB224_600
.LBB224_590:
	s_mov_b64 s[2:3], -1
	s_mov_b64 s[0:1], 0
                                        ; implicit-def: $vgpr2_vgpr3
	s_mov_b64 s[28:29], s[20:21]
	s_branch .LBB224_668
.LBB224_591:
	s_mov_b64 s[2:3], -1
	s_mov_b64 s[0:1], 0
	s_mov_b64 s[28:29], s[20:21]
                                        ; implicit-def: $vgpr2_vgpr3
	s_branch .LBB224_633
.LBB224_592:
	s_mov_b64 s[2:3], -1
	s_mov_b64 s[0:1], 0
	s_mov_b64 s[28:29], s[20:21]
                                        ; implicit-def: $vgpr2_vgpr3
	s_branch .LBB224_612
.LBB224_593:
	s_mov_b64 s[2:3], -1
	s_mov_b64 s[0:1], 0
	s_mov_b64 s[28:29], s[20:21]
                                        ; implicit-def: $vgpr2_vgpr3
	s_branch .LBB224_606
.LBB224_594:
	s_andn2_saveexec_b64 s[26:27], s[26:27]
	s_cbranch_execz .LBB224_374
.LBB224_595:
	s_mov_b32 s30, 0x46000000
	v_add_f32_e64 v7, |v6|, s30
	v_and_b32_e32 v7, 0xff, v7
	v_cmp_ne_u32_e32 vcc, 0, v7
	s_andn2_b64 s[22:23], s[22:23], exec
	s_and_b64 s[30:31], vcc, exec
	s_or_b64 s[22:23], s[22:23], s[30:31]
	s_or_b64 exec, exec, s[26:27]
	v_mov_b32_e32 v8, 0
	s_and_saveexec_b64 s[26:27], s[22:23]
	s_cbranch_execnz .LBB224_375
	s_branch .LBB224_376
.LBB224_596:
	s_mov_b64 s[2:3], -1
	s_mov_b64 s[0:1], 0
	s_mov_b64 s[28:29], s[20:21]
                                        ; implicit-def: $vgpr2_vgpr3
	s_branch .LBB224_600
.LBB224_597:
	s_andn2_saveexec_b64 s[26:27], s[26:27]
	s_cbranch_execz .LBB224_387
.LBB224_598:
	s_mov_b32 s30, 0x42800000
	v_add_f32_e64 v7, |v6|, s30
	v_and_b32_e32 v7, 0xff, v7
	v_cmp_ne_u32_e32 vcc, 0, v7
	s_andn2_b64 s[22:23], s[22:23], exec
	s_and_b64 s[30:31], vcc, exec
	s_or_b64 s[22:23], s[22:23], s[30:31]
	s_or_b64 exec, exec, s[26:27]
	v_mov_b32_e32 v8, 0
	s_and_saveexec_b64 s[26:27], s[22:23]
	s_cbranch_execnz .LBB224_388
	s_branch .LBB224_389
.LBB224_599:
	s_mov_b64 s[28:29], -1
                                        ; implicit-def: $vgpr2_vgpr3
	s_mov_b64 s[0:1], 0
.LBB224_600:
	s_and_b64 vcc, exec, s[2:3]
	s_cbranch_vccz .LBB224_605
; %bb.601:
	s_cmp_eq_u32 s34, 44
	s_cbranch_scc0 .LBB224_603
; %bb.602:
	global_load_ubyte v2, v[4:5], off
	s_movk_i32 s2, 0xff
	v_bfrev_b32_e32 v3, 4
	v_mov_b32_e32 v6, 0x7ff80000
	v_bfrev_b32_e32 v7, 28
	s_mov_b64 s[0:1], -1
	s_mov_b64 s[28:29], 0
	s_waitcnt vmcnt(0)
	v_lshlrev_b32_e32 v0, 23, v2
	v_cvt_f64_f32_e32 v[0:1], v0
	v_cmp_ne_u32_e32 vcc, s2, v2
	s_nop 1
	v_cndmask_b32_e32 v0, v3, v0, vcc
	v_cndmask_b32_e32 v1, v6, v1, vcc
	v_cmp_ne_u32_e32 vcc, 0, v2
	s_nop 1
	v_cndmask_b32_e32 v1, v7, v1, vcc
	v_cndmask_b32_e32 v0, 0, v0, vcc
	s_branch .LBB224_604
.LBB224_603:
	s_mov_b64 s[28:29], -1
                                        ; implicit-def: $vgpr0_vgpr1
.LBB224_604:
	v_mov_b64_e32 v[2:3], 0
.LBB224_605:
	s_mov_b64 s[2:3], 0
.LBB224_606:
	s_and_b64 vcc, exec, s[2:3]
	s_cbranch_vccz .LBB224_611
; %bb.607:
	s_cmp_eq_u32 s34, 29
	s_cbranch_scc0 .LBB224_609
; %bb.608:
	global_load_dwordx2 v[0:1], v[4:5], off
	s_mov_b64 s[0:1], -1
	s_mov_b64 s[28:29], 0
	s_waitcnt vmcnt(0)
	v_cvt_f64_u32_e32 v[2:3], v1
	v_cvt_f64_u32_e32 v[0:1], v0
	v_ldexp_f64 v[2:3], v[2:3], 32
	v_add_f64 v[0:1], v[2:3], v[0:1]
	s_branch .LBB224_610
.LBB224_609:
	s_mov_b64 s[28:29], -1
                                        ; implicit-def: $vgpr0_vgpr1
.LBB224_610:
	v_mov_b64_e32 v[2:3], 0
.LBB224_611:
	s_mov_b64 s[2:3], 0
.LBB224_612:
	s_and_b64 vcc, exec, s[2:3]
	s_cbranch_vccz .LBB224_632
; %bb.613:
	s_cmp_lt_i32 s34, 27
	s_cbranch_scc1 .LBB224_616
; %bb.614:
	s_cmp_gt_i32 s34, 27
	s_cbranch_scc0 .LBB224_617
; %bb.615:
	global_load_dword v0, v[4:5], off
	s_mov_b64 s[0:1], 0
	s_waitcnt vmcnt(0)
	v_cvt_f64_u32_e32 v[0:1], v0
	s_branch .LBB224_618
.LBB224_616:
	s_mov_b64 s[0:1], -1
                                        ; implicit-def: $vgpr0_vgpr1
	s_branch .LBB224_621
.LBB224_617:
	s_mov_b64 s[0:1], -1
                                        ; implicit-def: $vgpr0_vgpr1
.LBB224_618:
	s_andn2_b64 vcc, exec, s[0:1]
	s_cbranch_vccnz .LBB224_620
; %bb.619:
	global_load_ushort v0, v[4:5], off
	s_waitcnt vmcnt(0)
	v_cvt_f64_u32_e32 v[0:1], v0
.LBB224_620:
	s_mov_b64 s[0:1], 0
.LBB224_621:
	s_andn2_b64 vcc, exec, s[0:1]
	s_cbranch_vccnz .LBB224_631
; %bb.622:
	global_load_ubyte v2, v[4:5], off
	s_movk_i32 s0, 0x7f
	s_waitcnt vmcnt(0)
	v_cmp_lt_i16_e32 vcc, s0, v2
	s_mov_b64 s[0:1], 0
	s_and_saveexec_b64 s[2:3], vcc
	s_xor_b64 s[2:3], exec, s[2:3]
	s_cbranch_execz .LBB224_626
; %bb.623:
	s_movk_i32 s0, 0x80
	v_cmp_eq_u16_e32 vcc, s0, v2
	s_mov_b64 s[0:1], -1
	s_and_saveexec_b64 s[30:31], vcc
; %bb.624:
	s_xor_b64 s[0:1], exec, -1
; %bb.625:
	s_or_b64 exec, exec, s[30:31]
	s_and_b64 s[0:1], s[0:1], exec
.LBB224_626:
	s_or_saveexec_b64 s[2:3], s[2:3]
	v_bfrev_b32_e32 v0, 4
	v_mov_b32_e32 v1, 0x7ff80000
	s_xor_b64 exec, exec, s[2:3]
; %bb.627:
	v_cmp_ne_u16_e32 vcc, 0, v2
	s_andn2_b64 s[0:1], s[0:1], exec
	s_and_b64 s[30:31], vcc, exec
	v_mov_b64_e32 v[0:1], 0
	s_or_b64 s[0:1], s[0:1], s[30:31]
; %bb.628:
	s_or_b64 exec, exec, s[2:3]
	s_and_saveexec_b64 s[2:3], s[0:1]
	s_cbranch_execz .LBB224_630
; %bb.629:
	v_and_b32_e32 v1, 0xffff, v2
	v_lshlrev_b32_e32 v0, 24, v2
	v_and_b32_e32 v2, 7, v1
	v_ffbh_u32_e32 v6, v2
	v_min_u32_e32 v6, 32, v6
	v_subrev_u32_e32 v7, 28, v6
	v_bfe_u32 v3, v1, 3, 4
	v_lshlrev_b32_e32 v1, v7, v1
	v_sub_u32_e32 v6, 29, v6
	v_and_b32_e32 v1, 7, v1
	v_cmp_eq_u32_e32 vcc, 0, v3
	v_and_b32_e32 v0, 0x80000000, v0
	s_nop 0
	v_cndmask_b32_e32 v3, v3, v6, vcc
	v_cndmask_b32_e32 v1, v2, v1, vcc
	v_mov_b32_e32 v2, 0x3b800000
	v_lshlrev_b32_e32 v1, 20, v1
	v_lshl_add_u32 v2, v3, 23, v2
	v_or3_b32 v0, v0, v2, v1
	v_cvt_f64_f32_e32 v[0:1], v0
.LBB224_630:
	s_or_b64 exec, exec, s[2:3]
.LBB224_631:
	s_mov_b64 s[0:1], -1
	v_mov_b64_e32 v[2:3], 0
.LBB224_632:
	s_mov_b64 s[2:3], 0
.LBB224_633:
	s_and_b64 vcc, exec, s[2:3]
	s_cbranch_vccz .LBB224_667
; %bb.634:
	s_cmp_gt_i32 s34, 22
	s_cbranch_scc0 .LBB224_646
; %bb.635:
	s_cmp_lt_i32 s34, 24
	s_cbranch_scc1 .LBB224_647
; %bb.636:
	s_cmp_gt_i32 s34, 24
	s_cbranch_scc0 .LBB224_648
; %bb.637:
	global_load_ubyte v2, v[4:5], off
	s_movk_i32 s0, 0x7f
	s_waitcnt vmcnt(0)
	v_cmp_lt_i16_e32 vcc, s0, v2
	s_mov_b64 s[0:1], 0
	s_and_saveexec_b64 s[2:3], vcc
	s_xor_b64 s[2:3], exec, s[2:3]
	s_cbranch_execz .LBB224_641
; %bb.638:
	s_movk_i32 s0, 0x80
	v_cmp_eq_u16_e32 vcc, s0, v2
	s_mov_b64 s[0:1], -1
	s_and_saveexec_b64 s[30:31], vcc
; %bb.639:
	s_xor_b64 s[0:1], exec, -1
; %bb.640:
	s_or_b64 exec, exec, s[30:31]
	s_and_b64 s[0:1], s[0:1], exec
.LBB224_641:
	s_or_saveexec_b64 s[2:3], s[2:3]
	v_bfrev_b32_e32 v0, 4
	v_mov_b32_e32 v1, 0x7ff80000
	s_xor_b64 exec, exec, s[2:3]
; %bb.642:
	v_cmp_ne_u16_e32 vcc, 0, v2
	s_andn2_b64 s[0:1], s[0:1], exec
	s_and_b64 s[30:31], vcc, exec
	v_mov_b64_e32 v[0:1], 0
	s_or_b64 s[0:1], s[0:1], s[30:31]
; %bb.643:
	s_or_b64 exec, exec, s[2:3]
	s_and_saveexec_b64 s[2:3], s[0:1]
	s_cbranch_execz .LBB224_645
; %bb.644:
	v_and_b32_e32 v1, 0xffff, v2
	v_lshlrev_b32_e32 v0, 24, v2
	v_and_b32_e32 v2, 3, v1
	v_ffbh_u32_e32 v6, v2
	v_min_u32_e32 v6, 32, v6
	v_subrev_u32_e32 v7, 29, v6
	v_bfe_u32 v3, v1, 2, 5
	v_lshlrev_b32_e32 v1, v7, v1
	v_sub_u32_e32 v6, 30, v6
	v_and_b32_e32 v1, 3, v1
	v_cmp_eq_u32_e32 vcc, 0, v3
	v_and_b32_e32 v0, 0x80000000, v0
	s_nop 0
	v_cndmask_b32_e32 v3, v3, v6, vcc
	v_cndmask_b32_e32 v1, v2, v1, vcc
	v_mov_b32_e32 v2, 0x37800000
	v_lshlrev_b32_e32 v1, 21, v1
	v_lshl_add_u32 v2, v3, 23, v2
	v_or3_b32 v0, v0, v2, v1
	v_cvt_f64_f32_e32 v[0:1], v0
.LBB224_645:
	s_or_b64 exec, exec, s[2:3]
	s_mov_b64 s[0:1], 0
	s_branch .LBB224_649
.LBB224_646:
	s_mov_b64 s[2:3], -1
                                        ; implicit-def: $vgpr0_vgpr1
	s_branch .LBB224_655
.LBB224_647:
	s_mov_b64 s[0:1], -1
                                        ; implicit-def: $vgpr0_vgpr1
	s_branch .LBB224_652
.LBB224_648:
	s_mov_b64 s[0:1], -1
                                        ; implicit-def: $vgpr0_vgpr1
.LBB224_649:
	s_and_b64 vcc, exec, s[0:1]
	s_cbranch_vccz .LBB224_651
; %bb.650:
	global_load_ubyte v0, v[4:5], off
	s_mov_b32 s0, 0x7f800000
	s_waitcnt vmcnt(0)
	v_lshlrev_b32_e32 v0, 24, v0
	v_and_b32_e32 v1, 0x7f000000, v0
	v_ffbh_u32_e32 v2, v1
	v_min_u32_e32 v2, 32, v2
	v_sub_u32_e64 v2, v2, 4 clamp
	v_lshlrev_b32_e32 v6, v2, v1
	v_lshlrev_b32_e32 v2, 23, v2
	v_lshrrev_b32_e32 v6, 4, v6
	v_add_u32_e32 v3, 0x1000000, v1
	v_sub_u32_e32 v2, v6, v2
	v_ashrrev_i32_e32 v3, 8, v3
	v_add_u32_e32 v2, 0x3c000000, v2
	v_and_or_b32 v2, v3, s0, v2
	v_cmp_ne_u32_e32 vcc, 0, v1
	s_brev_b32 s0, 1
	s_nop 0
	v_cndmask_b32_e32 v1, 0, v2, vcc
	v_and_or_b32 v0, v0, s0, v1
	v_cvt_f64_f32_e32 v[0:1], v0
.LBB224_651:
	s_mov_b64 s[0:1], 0
.LBB224_652:
	s_andn2_b64 vcc, exec, s[0:1]
	s_cbranch_vccnz .LBB224_654
; %bb.653:
	global_load_ubyte v0, v[4:5], off
	s_movk_i32 s0, 0x7f00
	s_brev_b32 s1, 16
	s_waitcnt vmcnt(0)
	v_lshlrev_b16_e32 v1, 8, v0
	v_lshlrev_b32_e32 v0, 25, v0
	v_lshrrev_b32_e32 v2, 4, v0
	v_and_or_b32 v3, v1, s0, 0.5
	v_or_b32_e32 v2, 0x70000000, v2
	v_add_f32_e32 v3, -0.5, v3
	v_mul_f32_e32 v2, 0x7800000, v2
	v_cmp_gt_u32_e32 vcc, s1, v0
	v_bfe_i32 v1, v1, 0, 16
	s_brev_b32 s0, 1
	v_cndmask_b32_e32 v0, v2, v3, vcc
	v_and_or_b32 v0, v1, s0, v0
	v_cvt_f64_f32_e32 v[0:1], v0
.LBB224_654:
	s_mov_b64 s[2:3], 0
	s_mov_b64 s[0:1], -1
.LBB224_655:
	s_andn2_b64 vcc, exec, s[2:3]
	s_cbranch_vccnz .LBB224_666
; %bb.656:
	s_cmp_gt_i32 s34, 14
	s_cbranch_scc0 .LBB224_659
; %bb.657:
	s_cmp_eq_u32 s34, 15
	s_cbranch_scc0 .LBB224_660
; %bb.658:
	global_load_ushort v0, v[4:5], off
	s_mov_b64 s[0:1], -1
	s_mov_b64 s[28:29], 0
	s_waitcnt vmcnt(0)
	v_lshlrev_b32_e32 v0, 16, v0
	v_cvt_f64_f32_e32 v[0:1], v0
	s_branch .LBB224_661
.LBB224_659:
	s_mov_b64 s[2:3], -1
                                        ; implicit-def: $vgpr0_vgpr1
	s_branch .LBB224_662
.LBB224_660:
	s_mov_b64 s[28:29], -1
                                        ; implicit-def: $vgpr0_vgpr1
.LBB224_661:
	s_mov_b64 s[2:3], 0
.LBB224_662:
	s_and_b64 vcc, exec, s[2:3]
	s_cbranch_vccz .LBB224_666
; %bb.663:
	s_cmp_eq_u32 s34, 11
	s_cbranch_scc0 .LBB224_665
; %bb.664:
	global_load_ubyte v1, v[4:5], off
	v_mov_b32_e32 v2, 0x3ff00000
	v_mov_b32_e32 v0, 0
	s_mov_b64 s[0:1], -1
	s_mov_b64 s[28:29], 0
	s_waitcnt vmcnt(0)
	v_cmp_ne_u16_e32 vcc, 0, v1
	s_nop 1
	v_cndmask_b32_e32 v1, 0, v2, vcc
	s_branch .LBB224_666
.LBB224_665:
	s_mov_b64 s[28:29], -1
                                        ; implicit-def: $vgpr0_vgpr1
.LBB224_666:
	v_mov_b64_e32 v[2:3], 0
.LBB224_667:
	s_mov_b64 s[2:3], 0
.LBB224_668:
	s_and_b64 vcc, exec, s[2:3]
	s_cbranch_vccz .LBB224_719
; %bb.669:
	s_cmp_lt_i32 s34, 5
	s_cbranch_scc1 .LBB224_674
; %bb.670:
	s_cmp_lt_i32 s34, 8
	s_cbranch_scc1 .LBB224_675
	;; [unrolled: 3-line block ×3, first 2 shown]
; %bb.672:
	s_cmp_gt_i32 s34, 9
	s_cbranch_scc0 .LBB224_677
; %bb.673:
	global_load_dwordx4 v[0:3], v[4:5], off
	s_mov_b64 s[0:1], 0
	s_branch .LBB224_678
.LBB224_674:
	s_mov_b64 s[0:1], -1
                                        ; implicit-def: $vgpr2_vgpr3
	s_branch .LBB224_697
.LBB224_675:
	s_mov_b64 s[0:1], -1
                                        ; implicit-def: $vgpr2_vgpr3
	s_branch .LBB224_684
.LBB224_676:
	s_mov_b64 s[0:1], -1
                                        ; implicit-def: $vgpr2_vgpr3
	s_branch .LBB224_681
.LBB224_677:
	s_mov_b64 s[0:1], -1
                                        ; implicit-def: $vgpr2_vgpr3
.LBB224_678:
	s_andn2_b64 vcc, exec, s[0:1]
	s_cbranch_vccnz .LBB224_680
; %bb.679:
	global_load_dwordx2 v[2:3], v[4:5], off
	s_waitcnt vmcnt(0)
	v_cvt_f64_f32_e32 v[0:1], v2
	v_cvt_f64_f32_e32 v[2:3], v3
.LBB224_680:
	s_mov_b64 s[0:1], 0
.LBB224_681:
	s_andn2_b64 vcc, exec, s[0:1]
	s_cbranch_vccnz .LBB224_683
; %bb.682:
	global_load_dword v0, v[4:5], off
	s_waitcnt vmcnt(0)
	v_cvt_f32_f16_e32 v1, v0
	v_cvt_f32_f16_sdwa v2, v0 dst_sel:DWORD dst_unused:UNUSED_PAD src0_sel:WORD_1
	v_cvt_f64_f32_e32 v[0:1], v1
	v_cvt_f64_f32_e32 v[2:3], v2
.LBB224_683:
	s_mov_b64 s[0:1], 0
.LBB224_684:
	s_andn2_b64 vcc, exec, s[0:1]
	s_cbranch_vccnz .LBB224_696
; %bb.685:
	s_cmp_lt_i32 s34, 6
	s_cbranch_scc1 .LBB224_688
; %bb.686:
	s_cmp_gt_i32 s34, 6
	s_cbranch_scc0 .LBB224_689
; %bb.687:
	global_load_dwordx2 v[0:1], v[4:5], off
	s_mov_b64 s[0:1], 0
	s_branch .LBB224_690
.LBB224_688:
	s_mov_b64 s[0:1], -1
                                        ; implicit-def: $vgpr0_vgpr1
	s_branch .LBB224_693
.LBB224_689:
	s_mov_b64 s[0:1], -1
                                        ; implicit-def: $vgpr0_vgpr1
.LBB224_690:
	s_andn2_b64 vcc, exec, s[0:1]
	s_cbranch_vccnz .LBB224_692
; %bb.691:
	global_load_dword v0, v[4:5], off
	s_waitcnt vmcnt(0)
	v_cvt_f64_f32_e32 v[0:1], v0
.LBB224_692:
	s_mov_b64 s[0:1], 0
.LBB224_693:
	s_andn2_b64 vcc, exec, s[0:1]
	s_cbranch_vccnz .LBB224_695
; %bb.694:
	global_load_ushort v0, v[4:5], off
	s_waitcnt vmcnt(0)
	v_cvt_f32_f16_e32 v0, v0
	v_cvt_f64_f32_e32 v[0:1], v0
.LBB224_695:
	s_waitcnt vmcnt(0)
	v_mov_b64_e32 v[2:3], 0
.LBB224_696:
	s_mov_b64 s[0:1], 0
.LBB224_697:
	s_andn2_b64 vcc, exec, s[0:1]
	s_cbranch_vccnz .LBB224_718
; %bb.698:
	s_cmp_lt_i32 s34, 2
	s_cbranch_scc1 .LBB224_702
; %bb.699:
	s_cmp_lt_i32 s34, 3
	s_cbranch_scc1 .LBB224_703
; %bb.700:
	s_cmp_gt_i32 s34, 3
	s_cbranch_scc0 .LBB224_704
; %bb.701:
	global_load_dwordx2 v[0:1], v[4:5], off
	s_mov_b64 s[0:1], 0
	s_waitcnt vmcnt(0)
	v_cvt_f64_i32_e32 v[2:3], v1
	v_cvt_f64_u32_e32 v[0:1], v0
	v_ldexp_f64 v[2:3], v[2:3], 32
	v_add_f64 v[0:1], v[2:3], v[0:1]
	s_branch .LBB224_705
.LBB224_702:
	s_mov_b64 s[0:1], -1
                                        ; implicit-def: $vgpr0_vgpr1
	s_branch .LBB224_711
.LBB224_703:
	s_mov_b64 s[0:1], -1
                                        ; implicit-def: $vgpr0_vgpr1
	s_branch .LBB224_708
.LBB224_704:
	s_mov_b64 s[0:1], -1
                                        ; implicit-def: $vgpr0_vgpr1
.LBB224_705:
	s_andn2_b64 vcc, exec, s[0:1]
	s_cbranch_vccnz .LBB224_707
; %bb.706:
	global_load_dword v0, v[4:5], off
	s_waitcnt vmcnt(0)
	v_cvt_f64_i32_e32 v[0:1], v0
.LBB224_707:
	s_mov_b64 s[0:1], 0
.LBB224_708:
	s_andn2_b64 vcc, exec, s[0:1]
	s_cbranch_vccnz .LBB224_710
; %bb.709:
	global_load_sshort v0, v[4:5], off
	s_waitcnt vmcnt(0)
	v_cvt_f64_i32_e32 v[0:1], v0
.LBB224_710:
	s_mov_b64 s[0:1], 0
.LBB224_711:
	s_andn2_b64 vcc, exec, s[0:1]
	s_cbranch_vccnz .LBB224_717
; %bb.712:
	s_cmp_gt_i32 s34, 0
	s_cbranch_scc0 .LBB224_714
; %bb.713:
	global_load_sbyte v0, v[4:5], off
	s_mov_b64 s[0:1], 0
	s_waitcnt vmcnt(0)
	v_cvt_f64_i32_e32 v[0:1], v0
	s_branch .LBB224_715
.LBB224_714:
	s_mov_b64 s[0:1], -1
                                        ; implicit-def: $vgpr0_vgpr1
.LBB224_715:
	s_andn2_b64 vcc, exec, s[0:1]
	s_cbranch_vccnz .LBB224_717
; %bb.716:
	global_load_ubyte v0, v[4:5], off
	s_waitcnt vmcnt(0)
	v_cvt_f64_u32_e32 v[0:1], v0
.LBB224_717:
	s_waitcnt vmcnt(0)
	v_mov_b64_e32 v[2:3], 0
.LBB224_718:
	s_mov_b64 s[0:1], -1
.LBB224_719:
	s_andn2_b64 vcc, exec, s[0:1]
	s_cbranch_vccnz .LBB224_732
; %bb.720:
	s_waitcnt vmcnt(0)
	v_cmp_neq_f64_e32 vcc, 0, v[0:1]
	v_cmp_neq_f64_e64 s[0:1], 0, v[2:3]
	v_mov_b64_e32 v[4:5], 0
	s_or_b64 s[0:1], vcc, s[0:1]
	s_and_saveexec_b64 s[30:31], s[0:1]
	s_cbranch_execz .LBB224_751
; %bb.721:
	v_mov_b32_e32 v4, 0
	v_mov_b32_e32 v5, 0x7ff00000
	v_cmp_neq_f64_e64 s[0:1], |v[2:3]|, v[4:5]
	s_and_saveexec_b64 s[34:35], s[0:1]
	s_cbranch_execz .LBB224_750
; %bb.722:
	v_cmp_o_f64_e32 vcc, v[0:1], v[0:1]
                                        ; implicit-def: $vgpr4_vgpr5
	s_and_saveexec_b64 s[0:1], vcc
	s_xor_b64 s[36:37], exec, s[0:1]
	s_cbranch_execz .LBB224_747
; %bb.723:
	s_mov_b32 s0, 0
	s_mov_b32 s1, 0x7ff00000
	v_cmp_neq_f64_e64 s[0:1], |v[0:1]|, s[0:1]
                                        ; implicit-def: $vgpr4_vgpr5
	s_and_saveexec_b64 s[2:3], s[0:1]
	s_xor_b64 s[38:39], exec, s[2:3]
	s_cbranch_execz .LBB224_740
; %bb.724:
	v_max_f64 v[4:5], |v[2:3]|, |v[2:3]|
	v_max_f64 v[6:7], |v[0:1]|, |v[0:1]|
	s_mov_b32 s0, 0x99fcef32
	v_max_f64 v[4:5], v[6:7], v[4:5]
	s_mov_b32 s1, 0x7fda8279
	v_cmp_nle_f64_e64 s[0:1], s[0:1], v[4:5]
                                        ; implicit-def: $sgpr40_sgpr41
	s_and_saveexec_b64 s[2:3], s[0:1]
	s_xor_b64 s[2:3], exec, s[2:3]
	s_cbranch_execz .LBB224_728
; %bb.725:
	s_mov_b32 s40, 0
	s_mov_b32 s41, 0x200000
	v_cmp_le_f64_e64 s[42:43], |v[0:1]|, s[40:41]
	v_cmp_le_f64_e64 s[40:41], |v[2:3]|, s[40:41]
	s_and_b64 s[46:47], s[42:43], s[40:41]
	s_mov_b64 s[40:41], 0
	s_and_saveexec_b64 s[42:43], s[46:47]
; %bb.726:
	s_mov_b64 s[40:41], exec
	v_mul_f64 v[0:1], v[0:1], 4.0
	v_mul_f64 v[2:3], v[2:3], 4.0
; %bb.727:
	s_or_b64 exec, exec, s[42:43]
.LBB224_728:
	s_andn2_saveexec_b64 s[2:3], s[2:3]
; %bb.729:
	v_ldexp_f64 v[0:1], v[0:1], -2
	v_ldexp_f64 v[2:3], v[2:3], -2
	s_andn2_b64 s[40:41], s[40:41], exec
; %bb.730:
	s_or_b64 exec, exec, s[2:3]
	v_max_f64 v[4:5], |v[2:3]|, |v[2:3]|
	v_max_f64 v[6:7], |v[0:1]|, |v[0:1]|
	v_max_f64 v[4:5], v[6:7], v[4:5]
	v_frexp_exp_i32_f64_e32 v12, v[4:5]
	v_sub_u32_e32 v6, 0, v12
	v_ldexp_f64 v[4:5], |v[0:1]|, v6
	v_ldexp_f64 v[6:7], |v[2:3]|, v6
	v_mul_f64 v[6:7], v[6:7], v[6:7]
	v_fmac_f64_e32 v[6:7], v[4:5], v[4:5]
	v_rsq_f64_e32 v[4:5], v[6:7]
	v_cmp_eq_f64_e64 s[2:3], 0, v[6:7]
	s_movk_i32 s42, 0x204
	v_cmp_le_f64_e32 vcc, 0, v[0:1]
	v_mul_f64 v[8:9], v[6:7], v[4:5]
	v_mul_f64 v[4:5], v[4:5], 0.5
	v_fma_f64 v[10:11], -v[4:5], v[8:9], 0.5
	v_fmac_f64_e32 v[8:9], v[8:9], v[10:11]
	v_fmac_f64_e32 v[4:5], v[4:5], v[10:11]
	v_fma_f64 v[10:11], -v[8:9], v[8:9], v[6:7]
	v_fmac_f64_e32 v[8:9], v[10:11], v[4:5]
	v_cndmask_b32_e64 v5, v9, v7, s[2:3]
	v_cndmask_b32_e64 v4, v8, v6, s[2:3]
	v_ldexp_f64 v[4:5], v[4:5], v12
	v_cmp_o_f64_e64 s[2:3], v[2:3], v[2:3]
	v_mov_b32_e32 v6, 0x7ff80000
                                        ; implicit-def: $vgpr8_vgpr9
	s_nop 0
	v_cndmask_b32_e64 v4, 0, v4, s[2:3]
	v_cndmask_b32_e64 v5, v6, v5, s[2:3]
	v_cmp_class_f64_e64 s[2:3], v[0:1], s42
	v_cmp_class_f64_e64 s[42:43], v[2:3], s42
	v_mov_b32_e32 v6, 0x7ff00000
	s_or_b64 s[2:3], s[42:43], s[2:3]
	v_cndmask_b32_e64 v5, v5, v6, s[2:3]
	v_cndmask_b32_e64 v4, v4, 0, s[2:3]
                                        ; implicit-def: $vgpr6_vgpr7
	s_and_saveexec_b64 s[2:3], vcc
	s_xor_b64 s[2:3], exec, s[2:3]
	s_cbranch_execz .LBB224_733
; %bb.731:
	v_add_f64 v[0:1], v[0:1], v[4:5]
	s_mov_b32 s42, 0
	v_mul_f64 v[0:1], v[0:1], 0.5
	s_brev_b32 s43, 8
	v_mov_b32_e32 v4, 0x100
	v_cmp_gt_f64_e32 vcc, s[42:43], v[0:1]
	s_nop 1
	v_cndmask_b32_e32 v4, 0, v4, vcc
	v_ldexp_f64 v[0:1], v[0:1], v4
	v_rsq_f64_e32 v[4:5], v[0:1]
	s_nop 0
	v_mul_f64 v[6:7], v[0:1], v[4:5]
	v_mul_f64 v[4:5], v[4:5], 0.5
	v_fma_f64 v[8:9], -v[4:5], v[6:7], 0.5
	v_fmac_f64_e32 v[6:7], v[6:7], v[8:9]
	v_fma_f64 v[10:11], -v[6:7], v[6:7], v[0:1]
	v_fmac_f64_e32 v[4:5], v[4:5], v[8:9]
	v_fmac_f64_e32 v[6:7], v[10:11], v[4:5]
	v_fma_f64 v[8:9], -v[6:7], v[6:7], v[0:1]
	v_fmac_f64_e32 v[6:7], v[8:9], v[4:5]
	v_mov_b32_e32 v4, 0xffffff80
	v_cndmask_b32_e32 v4, 0, v4, vcc
	v_ldexp_f64 v[4:5], v[6:7], v4
	v_mov_b32_e32 v6, 0x260
	v_cmp_class_f64_e32 vcc, v[0:1], v6
	s_nop 1
	v_cndmask_b32_e32 v9, v5, v1, vcc
	v_cndmask_b32_e32 v8, v4, v0, vcc
	v_add_f64 v[0:1], v[8:9], v[8:9]
	v_div_scale_f64 v[4:5], s[42:43], v[0:1], v[0:1], v[2:3]
	v_rcp_f64_e32 v[6:7], v[4:5]
	s_nop 0
	v_fma_f64 v[10:11], -v[4:5], v[6:7], 1.0
	v_fmac_f64_e32 v[6:7], v[6:7], v[10:11]
	v_fma_f64 v[10:11], -v[4:5], v[6:7], 1.0
	v_fmac_f64_e32 v[6:7], v[6:7], v[10:11]
	v_div_scale_f64 v[10:11], vcc, v[2:3], v[0:1], v[2:3]
	v_mul_f64 v[12:13], v[10:11], v[6:7]
	v_fma_f64 v[4:5], -v[4:5], v[12:13], v[10:11]
	s_nop 1
	v_div_fmas_f64 v[4:5], v[4:5], v[6:7], v[12:13]
	v_div_fixup_f64 v[6:7], v[4:5], v[0:1], v[2:3]
                                        ; implicit-def: $vgpr4_vgpr5
                                        ; implicit-def: $vgpr0_vgpr1
	s_andn2_saveexec_b64 s[2:3], s[2:3]
	s_cbranch_execz .LBB224_735
	s_branch .LBB224_734
.LBB224_732:
	s_mov_b64 s[30:31], 0
                                        ; implicit-def: $vgpr22
	s_mov_b64 s[2:3], s[22:23]
	s_branch .LBB224_874
.LBB224_733:
	s_andn2_saveexec_b64 s[2:3], s[2:3]
	s_cbranch_execz .LBB224_735
.LBB224_734:
	v_add_f64 v[0:1], v[4:5], -v[0:1]
	s_mov_b32 s42, 0
	v_mul_f64 v[0:1], v[0:1], 0.5
	s_brev_b32 s43, 8
	v_mov_b32_e32 v4, 0x100
	v_cmp_gt_f64_e32 vcc, s[42:43], v[0:1]
	s_nop 1
	v_cndmask_b32_e32 v4, 0, v4, vcc
	v_ldexp_f64 v[0:1], v[0:1], v4
	v_rsq_f64_e32 v[4:5], v[0:1]
	s_nop 0
	v_mul_f64 v[6:7], v[0:1], v[4:5]
	v_mul_f64 v[4:5], v[4:5], 0.5
	v_fma_f64 v[8:9], -v[4:5], v[6:7], 0.5
	v_fmac_f64_e32 v[6:7], v[6:7], v[8:9]
	v_fma_f64 v[10:11], -v[6:7], v[6:7], v[0:1]
	v_fmac_f64_e32 v[4:5], v[4:5], v[8:9]
	v_fmac_f64_e32 v[6:7], v[10:11], v[4:5]
	v_fma_f64 v[8:9], -v[6:7], v[6:7], v[0:1]
	v_fmac_f64_e32 v[6:7], v[8:9], v[4:5]
	v_mov_b32_e32 v4, 0xffffff80
	v_cndmask_b32_e32 v4, 0, v4, vcc
	v_ldexp_f64 v[4:5], v[6:7], v4
	v_mov_b32_e32 v6, 0x260
	v_cmp_class_f64_e32 vcc, v[0:1], v6
	s_nop 1
	v_cndmask_b32_e32 v7, v5, v1, vcc
	v_cndmask_b32_e32 v6, v4, v0, vcc
	v_add_f64 v[0:1], v[6:7], v[6:7]
	v_and_b32_e32 v5, 0x7fffffff, v3
	v_mov_b32_e32 v4, v2
	v_div_scale_f64 v[8:9], s[42:43], v[0:1], v[0:1], v[4:5]
	v_rcp_f64_e32 v[10:11], v[8:9]
	v_div_scale_f64 v[4:5], vcc, v[4:5], v[0:1], v[4:5]
	s_brev_b32 s42, -2
	v_fma_f64 v[12:13], -v[8:9], v[10:11], 1.0
	v_fmac_f64_e32 v[10:11], v[10:11], v[12:13]
	v_fma_f64 v[12:13], -v[8:9], v[10:11], 1.0
	v_fmac_f64_e32 v[10:11], v[10:11], v[12:13]
	v_mul_f64 v[12:13], v[4:5], v[10:11]
	v_fma_f64 v[4:5], -v[8:9], v[12:13], v[4:5]
	v_div_fmas_f64 v[4:5], v[4:5], v[10:11], v[12:13]
	v_div_fixup_f64 v[8:9], v[4:5], v[0:1], |v[2:3]|
	v_bfi_b32 v7, s42, v7, v3
.LBB224_735:
	s_or_b64 exec, exec, s[2:3]
                                        ; implicit-def: $vgpr2_vgpr3
                                        ; implicit-def: $vgpr4_vgpr5
	s_and_saveexec_b64 s[2:3], s[0:1]
	s_xor_b64 s[0:1], exec, s[2:3]
	s_cbranch_execz .LBB224_737
; %bb.736:
	v_mul_f64 v[0:1], v[8:9], 0.5
	v_mul_f64 v[2:3], v[6:7], 0.5
	v_cndmask_b32_e64 v5, v9, v1, s[40:41]
	v_cndmask_b32_e64 v4, v8, v0, s[40:41]
	v_cndmask_b32_e64 v3, v7, v3, s[40:41]
	v_cndmask_b32_e64 v2, v6, v2, s[40:41]
                                        ; implicit-def: $vgpr8_vgpr9
                                        ; implicit-def: $vgpr6_vgpr7
	s_andn2_saveexec_b64 s[0:1], s[0:1]
	s_cbranch_execnz .LBB224_738
	s_branch .LBB224_739
.LBB224_737:
	s_andn2_saveexec_b64 s[0:1], s[0:1]
.LBB224_738:
	v_add_f64 v[4:5], v[8:9], v[8:9]
	v_add_f64 v[2:3], v[6:7], v[6:7]
.LBB224_739:
	s_or_b64 exec, exec, s[0:1]
.LBB224_740:
	s_andn2_saveexec_b64 s[0:1], s[38:39]
	s_cbranch_execz .LBB224_746
; %bb.741:
	v_add_f64 v[6:7], v[2:3], -v[2:3]
	v_cmp_lt_i64_e32 vcc, -1, v[0:1]
	s_brev_b32 s38, -2
	v_and_b32_e32 v5, 0x7fffffff, v7
	v_mov_b32_e32 v4, v6
	s_and_saveexec_b64 s[2:3], vcc
	s_xor_b64 s[2:3], exec, s[2:3]
; %bb.742:
	v_bfi_b32 v7, s38, v7, v3
	v_mov_b64_e32 v[2:3], v[6:7]
	v_mov_b64_e32 v[4:5], v[0:1]
; %bb.743:
	s_andn2_saveexec_b64 s[2:3], s[2:3]
; %bb.744:
	v_bfi_b32 v1, s38, v1, v3
	v_mov_b64_e32 v[2:3], v[0:1]
; %bb.745:
	s_or_b64 exec, exec, s[2:3]
.LBB224_746:
	s_or_b64 exec, exec, s[0:1]
.LBB224_747:
	s_andn2_saveexec_b64 s[0:1], s[36:37]
	s_cbranch_execz .LBB224_749
; %bb.748:
	v_add_f64 v[2:3], v[2:3], -v[2:3]
	v_div_scale_f64 v[4:5], vcc, v[2:3], v[2:3], v[2:3]
	v_rcp_f64_e32 v[6:7], v[4:5]
	s_nop 0
	v_fma_f64 v[8:9], -v[4:5], v[6:7], 1.0
	v_fmac_f64_e32 v[6:7], v[6:7], v[8:9]
	v_fma_f64 v[8:9], -v[4:5], v[6:7], 1.0
	v_fmac_f64_e32 v[6:7], v[6:7], v[8:9]
	v_mul_f64 v[8:9], v[4:5], v[6:7]
	v_fma_f64 v[4:5], -v[4:5], v[8:9], v[4:5]
	v_div_fmas_f64 v[4:5], v[4:5], v[6:7], v[8:9]
	v_div_fixup_f64 v[2:3], v[4:5], v[2:3], v[2:3]
	v_mov_b64_e32 v[4:5], v[0:1]
.LBB224_749:
	s_or_b64 exec, exec, s[0:1]
.LBB224_750:
	s_or_b64 exec, exec, s[34:35]
.LBB224_751:
	s_or_b64 exec, exec, s[30:31]
	v_mul_lo_u32 v0, v22, s8
	v_ashrrev_i32_e32 v1, 31, v0
	s_and_b32 s36, s33, 0xff
	s_cmp_lt_i32 s36, 11
	v_lshl_add_u64 v[0:1], s[4:5], 0, v[0:1]
	s_cbranch_scc1 .LBB224_758
; %bb.752:
	s_and_b32 s37, 0xffff, s36
	s_cmp_gt_i32 s37, 25
	s_cbranch_scc0 .LBB224_759
; %bb.753:
	s_cmp_gt_i32 s37, 28
	s_cbranch_scc0 .LBB224_760
; %bb.754:
	;; [unrolled: 3-line block ×4, first 2 shown]
	s_mov_b64 s[30:31], 0
	s_mov_b64 s[2:3], -1
	s_cmp_eq_u32 s37, 46
	s_mov_b64 s[0:1], 0
	s_cbranch_scc0 .LBB224_763
; %bb.757:
	v_cvt_f32_f64_e32 v7, v[2:3]
	s_movk_i32 s0, 0x7fff
	v_bfe_u32 v9, v7, 16, 1
	v_cvt_f32_f64_e32 v6, v[4:5]
	v_add3_u32 v9, v7, v9, s0
	v_bfe_u32 v8, v6, 16, 1
	v_and_b32_e32 v9, 0xffff0000, v9
	v_mov_b32_e32 v10, 0x7fc00000
	v_cmp_o_f32_e32 vcc, v7, v7
	v_add3_u32 v8, v6, v8, s0
	s_mov_b64 s[0:1], -1
	v_cndmask_b32_e32 v7, v10, v9, vcc
	v_cmp_o_f32_e32 vcc, v6, v6
	v_mov_b32_e32 v6, 0x7fc0
	s_mov_b64 s[2:3], 0
	v_cndmask_b32_sdwa v6, v6, v8, vcc dst_sel:DWORD dst_unused:UNUSED_PAD src0_sel:DWORD src1_sel:WORD_1
	v_or_b32_e32 v6, v7, v6
	global_store_dword v[0:1], v6, off
	s_branch .LBB224_763
.LBB224_758:
	s_mov_b64 s[30:31], -1
	s_mov_b64 s[0:1], 0
	s_mov_b64 s[2:3], s[22:23]
	s_branch .LBB224_832
.LBB224_759:
	s_mov_b64 s[30:31], -1
	s_mov_b64 s[0:1], 0
	s_mov_b64 s[2:3], s[22:23]
	s_branch .LBB224_790
.LBB224_760:
	s_mov_b64 s[30:31], -1
	s_mov_b64 s[0:1], 0
	s_mov_b64 s[2:3], s[22:23]
	s_branch .LBB224_773
.LBB224_761:
	s_mov_b64 s[30:31], -1
	s_mov_b64 s[0:1], 0
	s_mov_b64 s[2:3], s[22:23]
	s_branch .LBB224_769
.LBB224_762:
	s_mov_b64 s[30:31], -1
	s_mov_b64 s[0:1], 0
	s_mov_b64 s[2:3], s[22:23]
.LBB224_763:
	s_and_b64 vcc, exec, s[30:31]
	s_cbranch_vccz .LBB224_768
; %bb.764:
	s_cmp_eq_u32 s37, 44
	s_mov_b64 s[2:3], -1
	s_cbranch_scc0 .LBB224_768
; %bb.765:
	v_cvt_f32_f64_e32 v6, v[4:5]
	v_bfe_u32 v7, v6, 23, 8
	s_movk_i32 s0, 0xff
	v_cmp_ne_u32_e32 vcc, s0, v7
	v_mov_b32_e32 v8, 0xff
	s_and_saveexec_b64 s[2:3], vcc
; %bb.766:
	s_mov_b32 s0, 0x3fffff
	v_lshrrev_b32_e32 v8, 23, v6
	v_and_b32_e32 v9, 0x400000, v6
	v_and_or_b32 v6, v6, s0, v7
	v_cmp_ne_u32_e32 vcc, 0, v9
	v_cmp_ne_u32_e64 s[0:1], 0, v6
	s_and_b64 s[0:1], vcc, s[0:1]
	s_nop 0
	v_cndmask_b32_e64 v6, 0, 1, s[0:1]
	v_add_u32_e32 v8, v8, v6
; %bb.767:
	s_or_b64 exec, exec, s[2:3]
	s_mov_b64 s[0:1], -1
	s_mov_b64 s[2:3], 0
	global_store_byte v[0:1], v8, off
.LBB224_768:
	s_mov_b64 s[30:31], 0
.LBB224_769:
	s_and_b64 vcc, exec, s[30:31]
	s_cbranch_vccz .LBB224_772
; %bb.770:
	s_cmp_eq_u32 s37, 29
	s_mov_b64 s[2:3], -1
	s_cbranch_scc0 .LBB224_772
; %bb.771:
	v_trunc_f64_e32 v[6:7], v[4:5]
	s_movk_i32 s0, 0xffe0
	v_ldexp_f64 v[8:9], v[6:7], s0
	v_floor_f64_e32 v[8:9], v[8:9]
	v_fmac_f64_e32 v[6:7], 0xc1f00000, v[8:9]
	v_cvt_u32_f64_e32 v11, v[8:9]
	v_cvt_u32_f64_e32 v10, v[6:7]
	global_store_dwordx2 v[0:1], v[10:11], off
	s_mov_b64 s[0:1], -1
	s_mov_b64 s[2:3], 0
.LBB224_772:
	s_mov_b64 s[30:31], 0
.LBB224_773:
	s_and_b64 vcc, exec, s[30:31]
	s_cbranch_vccz .LBB224_789
; %bb.774:
	s_cmp_lt_i32 s37, 27
	s_mov_b64 s[0:1], -1
	s_cbranch_scc1 .LBB224_780
; %bb.775:
	s_cmp_gt_i32 s37, 27
	v_cvt_u32_f64_e32 v6, v[4:5]
	s_cbranch_scc0 .LBB224_777
; %bb.776:
	s_mov_b64 s[0:1], 0
	global_store_dword v[0:1], v6, off
.LBB224_777:
	s_andn2_b64 vcc, exec, s[0:1]
	s_cbranch_vccnz .LBB224_779
; %bb.778:
	global_store_short v[0:1], v6, off
.LBB224_779:
	s_mov_b64 s[0:1], 0
.LBB224_780:
	s_andn2_b64 vcc, exec, s[0:1]
	s_cbranch_vccnz .LBB224_788
; %bb.781:
	v_cvt_f32_f64_e32 v6, v[4:5]
	v_and_b32_e32 v7, 0x7fffffff, v6
	s_mov_b32 s0, 0x43800000
	v_cmp_gt_u32_e32 vcc, s0, v7
	v_mov_b32_e32 v8, 0x80
	s_and_saveexec_b64 s[0:1], vcc
	s_cbranch_execz .LBB224_787
; %bb.782:
	s_mov_b32 s30, 0x3bffffff
	v_cmp_lt_u32_e32 vcc, s30, v7
	s_mov_b64 s[30:31], 0
                                        ; implicit-def: $vgpr7
	s_and_saveexec_b64 s[34:35], vcc
	s_xor_b64 s[34:35], exec, s[34:35]
	s_cbranch_execz .LBB224_888
; %bb.783:
	v_bfe_u32 v7, v6, 20, 1
	s_mov_b32 s38, 0x487ffff
	v_add3_u32 v7, v6, v7, s38
	s_mov_b64 s[30:31], exec
	v_lshrrev_b32_e32 v7, 20, v7
	s_andn2_saveexec_b64 s[34:35], s[34:35]
	s_cbranch_execnz .LBB224_889
.LBB224_784:
	s_or_b64 exec, exec, s[34:35]
	v_mov_b32_e32 v8, 0
	s_and_saveexec_b64 s[34:35], s[30:31]
.LBB224_785:
	v_lshrrev_b32_e32 v6, 24, v6
	s_movk_i32 s30, 0x80
	v_and_or_b32 v8, v6, s30, v7
.LBB224_786:
	s_or_b64 exec, exec, s[34:35]
.LBB224_787:
	s_or_b64 exec, exec, s[0:1]
	global_store_byte v[0:1], v8, off
.LBB224_788:
	s_mov_b64 s[0:1], -1
.LBB224_789:
	s_mov_b64 s[30:31], 0
.LBB224_790:
	s_and_b64 vcc, exec, s[30:31]
	s_cbranch_vccz .LBB224_831
; %bb.791:
	s_cmp_gt_i32 s37, 22
	s_mov_b64 s[30:31], -1
	s_cbranch_scc0 .LBB224_823
; %bb.792:
	s_cmp_lt_i32 s37, 24
	s_mov_b64 s[0:1], -1
	s_cbranch_scc1 .LBB224_812
; %bb.793:
	s_cmp_gt_i32 s37, 24
	s_cbranch_scc0 .LBB224_801
; %bb.794:
	v_cvt_f32_f64_e32 v6, v[4:5]
	v_and_b32_e32 v7, 0x7fffffff, v6
	s_mov_b32 s0, 0x47800000
	v_cmp_gt_u32_e32 vcc, s0, v7
	v_mov_b32_e32 v8, 0x80
	s_and_saveexec_b64 s[0:1], vcc
	s_cbranch_execz .LBB224_800
; %bb.795:
	s_mov_b32 s30, 0x37ffffff
	v_cmp_lt_u32_e32 vcc, s30, v7
	s_mov_b64 s[30:31], 0
                                        ; implicit-def: $vgpr7
	s_and_saveexec_b64 s[34:35], vcc
	s_xor_b64 s[34:35], exec, s[34:35]
	s_cbranch_execz .LBB224_891
; %bb.796:
	v_bfe_u32 v7, v6, 21, 1
	s_mov_b32 s38, 0x88fffff
	v_add3_u32 v7, v6, v7, s38
	s_mov_b64 s[30:31], exec
	v_lshrrev_b32_e32 v7, 21, v7
	s_andn2_saveexec_b64 s[34:35], s[34:35]
	s_cbranch_execnz .LBB224_892
.LBB224_797:
	s_or_b64 exec, exec, s[34:35]
	v_mov_b32_e32 v8, 0
	s_and_saveexec_b64 s[34:35], s[30:31]
.LBB224_798:
	v_lshrrev_b32_e32 v6, 24, v6
	s_movk_i32 s30, 0x80
	v_and_or_b32 v8, v6, s30, v7
.LBB224_799:
	s_or_b64 exec, exec, s[34:35]
.LBB224_800:
	s_or_b64 exec, exec, s[0:1]
	s_mov_b64 s[0:1], 0
	global_store_byte v[0:1], v8, off
.LBB224_801:
	s_and_b64 vcc, exec, s[0:1]
	s_cbranch_vccz .LBB224_811
; %bb.802:
	v_cvt_f32_f64_e32 v6, v[4:5]
	v_and_b32_e32 v8, 0x7fffffff, v6
	s_mov_b32 s0, 0x43f00000
	v_cmp_gt_u32_e32 vcc, s0, v8
                                        ; implicit-def: $vgpr7
	s_and_saveexec_b64 s[0:1], vcc
	s_xor_b64 s[0:1], exec, s[0:1]
	s_cbranch_execz .LBB224_808
; %bb.803:
	s_mov_b32 s30, 0x3c7fffff
	v_cmp_lt_u32_e32 vcc, s30, v8
                                        ; implicit-def: $vgpr7
	s_and_saveexec_b64 s[30:31], vcc
	s_xor_b64 s[30:31], exec, s[30:31]
; %bb.804:
	v_bfe_u32 v7, v6, 20, 1
	s_mov_b32 s34, 0x407ffff
	v_add3_u32 v7, v6, v7, s34
	v_lshrrev_b32_e32 v8, 20, v7
	v_and_b32_e32 v7, 0xff00000, v7
	s_mov_b32 s34, 0x7f00000
	v_mov_b32_e32 v9, 0x7e
	v_cmp_ne_u32_e32 vcc, s34, v7
	s_nop 1
	v_cndmask_b32_e32 v7, v9, v8, vcc
; %bb.805:
	s_andn2_saveexec_b64 s[30:31], s[30:31]
; %bb.806:
	s_mov_b32 s34, 0x46800000
	v_add_f32_e64 v7, |v6|, s34
; %bb.807:
	s_or_b64 exec, exec, s[30:31]
                                        ; implicit-def: $vgpr8
.LBB224_808:
	s_andn2_saveexec_b64 s[0:1], s[0:1]
; %bb.809:
	s_mov_b32 s30, 0x7f800000
	v_mov_b32_e32 v7, 0x7e
	v_mov_b32_e32 v9, 0x7f
	v_cmp_lt_u32_e32 vcc, s30, v8
	s_nop 1
	v_cndmask_b32_e32 v7, v7, v9, vcc
; %bb.810:
	s_or_b64 exec, exec, s[0:1]
	v_lshrrev_b32_e32 v6, 24, v6
	s_movk_i32 s0, 0x80
	v_and_or_b32 v6, v6, s0, v7
	global_store_byte v[0:1], v6, off
.LBB224_811:
	s_mov_b64 s[0:1], 0
.LBB224_812:
	s_andn2_b64 vcc, exec, s[0:1]
	s_cbranch_vccnz .LBB224_822
; %bb.813:
	v_cvt_f32_f64_e32 v6, v[4:5]
	v_and_b32_e32 v8, 0x7fffffff, v6
	s_mov_b32 s0, 0x47800000
	v_cmp_gt_u32_e32 vcc, s0, v8
                                        ; implicit-def: $vgpr7
	s_and_saveexec_b64 s[0:1], vcc
	s_xor_b64 s[0:1], exec, s[0:1]
	s_cbranch_execz .LBB224_819
; %bb.814:
	s_mov_b32 s30, 0x387fffff
	v_cmp_lt_u32_e32 vcc, s30, v8
                                        ; implicit-def: $vgpr7
	s_and_saveexec_b64 s[30:31], vcc
	s_xor_b64 s[30:31], exec, s[30:31]
; %bb.815:
	v_bfe_u32 v7, v6, 21, 1
	s_mov_b32 s34, 0x80fffff
	v_add3_u32 v7, v6, v7, s34
	v_lshrrev_b32_e32 v7, 21, v7
; %bb.816:
	s_andn2_saveexec_b64 s[30:31], s[30:31]
; %bb.817:
	s_mov_b32 s34, 0x43000000
	v_add_f32_e64 v7, |v6|, s34
; %bb.818:
	s_or_b64 exec, exec, s[30:31]
                                        ; implicit-def: $vgpr8
.LBB224_819:
	s_andn2_saveexec_b64 s[0:1], s[0:1]
; %bb.820:
	s_mov_b32 s30, 0x7f800000
	v_mov_b32_e32 v7, 0x7c
	v_mov_b32_e32 v9, 0x7f
	v_cmp_lt_u32_e32 vcc, s30, v8
	s_nop 1
	v_cndmask_b32_e32 v7, v7, v9, vcc
; %bb.821:
	s_or_b64 exec, exec, s[0:1]
	v_lshrrev_b32_e32 v6, 24, v6
	s_movk_i32 s0, 0x80
	v_and_or_b32 v6, v6, s0, v7
	global_store_byte v[0:1], v6, off
.LBB224_822:
	s_mov_b64 s[30:31], 0
	s_mov_b64 s[0:1], -1
.LBB224_823:
	s_andn2_b64 vcc, exec, s[30:31]
	s_cbranch_vccnz .LBB224_831
; %bb.824:
	s_cmp_gt_i32 s37, 14
	s_mov_b64 s[30:31], -1
	s_cbranch_scc0 .LBB224_828
; %bb.825:
	s_cmp_eq_u32 s37, 15
	s_mov_b64 s[2:3], -1
	s_cbranch_scc0 .LBB224_827
; %bb.826:
	v_cvt_f32_f64_e32 v6, v[4:5]
	v_bfe_u32 v7, v6, 16, 1
	s_movk_i32 s0, 0x7fff
	v_add3_u32 v7, v6, v7, s0
	v_cmp_o_f32_e32 vcc, v6, v6
	v_mov_b32_e32 v6, 0x7fc0
	s_mov_b64 s[0:1], -1
	v_cndmask_b32_sdwa v6, v6, v7, vcc dst_sel:DWORD dst_unused:UNUSED_PAD src0_sel:DWORD src1_sel:WORD_1
	global_store_short v[0:1], v6, off
	s_mov_b64 s[2:3], 0
.LBB224_827:
	s_mov_b64 s[30:31], 0
.LBB224_828:
	s_and_b64 vcc, exec, s[30:31]
	s_cbranch_vccz .LBB224_831
; %bb.829:
	s_cmp_eq_u32 s37, 11
	s_mov_b64 s[2:3], -1
	s_cbranch_scc0 .LBB224_831
; %bb.830:
	v_cmp_neq_f64_e32 vcc, 0, v[4:5]
	v_cmp_neq_f64_e64 s[0:1], 0, v[2:3]
	s_or_b64 s[0:1], vcc, s[0:1]
	s_mov_b64 s[2:3], 0
	v_cndmask_b32_e64 v6, 0, 1, s[0:1]
	s_mov_b64 s[0:1], -1
	global_store_byte v[0:1], v6, off
.LBB224_831:
	s_mov_b64 s[30:31], 0
.LBB224_832:
	s_and_b64 vcc, exec, s[30:31]
	s_cbranch_vccz .LBB224_871
; %bb.833:
	s_and_b32 s30, 0xffff, s36
	s_cmp_lt_i32 s30, 5
	s_mov_b64 s[0:1], -1
	s_cbranch_scc1 .LBB224_854
; %bb.834:
	s_cmp_lt_i32 s30, 8
	s_cbranch_scc1 .LBB224_844
; %bb.835:
	s_cmp_lt_i32 s30, 9
	s_cbranch_scc1 .LBB224_841
; %bb.836:
	s_cmp_gt_i32 s30, 9
	s_cbranch_scc0 .LBB224_838
; %bb.837:
	v_mov_b32_e32 v6, v2
	v_mov_b32_e32 v7, v3
	s_mov_b64 s[0:1], 0
	global_store_dwordx4 v[0:1], v[4:7], off
.LBB224_838:
	s_andn2_b64 vcc, exec, s[0:1]
	s_cbranch_vccnz .LBB224_840
; %bb.839:
	v_cvt_f32_f64_e32 v6, v[4:5]
	v_cvt_f32_f64_e32 v7, v[2:3]
	global_store_dwordx2 v[0:1], v[6:7], off
.LBB224_840:
	s_mov_b64 s[0:1], 0
.LBB224_841:
	s_andn2_b64 vcc, exec, s[0:1]
	s_cbranch_vccnz .LBB224_843
; %bb.842:
	s_movk_i32 s0, 0x1ff
	v_and_or_b32 v6, v5, s0, v4
	v_cmp_ne_u32_e32 vcc, 0, v6
	v_lshrrev_b32_e32 v7, 8, v5
	s_movk_i32 s1, 0xffe
	v_cndmask_b32_e64 v6, 0, 1, vcc
	v_bfe_u32 v8, v5, 20, 11
	v_and_or_b32 v6, v7, s1, v6
	v_sub_u32_e32 v9, 0x3f1, v8
	v_or_b32_e32 v7, 0x1000, v6
	v_med3_i32 v9, v9, 0, 13
	v_lshrrev_b32_e32 v10, v9, v7
	v_lshlrev_b32_e32 v9, v9, v10
	v_cmp_ne_u32_e32 vcc, v9, v7
	v_add_u32_e32 v8, 0xfffffc10, v8
	v_lshl_or_b32 v9, v8, 12, v6
	v_cndmask_b32_e64 v7, 0, 1, vcc
	v_or_b32_e32 v7, v10, v7
	v_cmp_gt_i32_e32 vcc, 1, v8
	s_movk_i32 s31, 0x40f
	v_and_or_b32 v2, v3, s0, v2
	v_cndmask_b32_e32 v7, v9, v7, vcc
	v_and_b32_e32 v9, 7, v7
	v_cmp_lt_i32_e32 vcc, 5, v9
	v_lshrrev_b32_e32 v7, 2, v7
	v_bfe_u32 v11, v3, 20, 11
	v_cndmask_b32_e64 v10, 0, 1, vcc
	v_cmp_eq_u32_e32 vcc, 3, v9
	v_sub_u32_e32 v12, 0x3f1, v11
	v_med3_i32 v12, v12, 0, 13
	v_cndmask_b32_e64 v9, 0, 1, vcc
	v_or_b32_e32 v9, v9, v10
	v_add_u32_e32 v7, v7, v9
	v_mov_b32_e32 v9, 0x7c00
	v_cmp_gt_i32_e32 vcc, 31, v8
	v_mov_b32_e32 v10, 0x7e00
	v_add_u32_e32 v11, 0xfffffc10, v11
	v_cndmask_b32_e32 v7, v9, v7, vcc
	v_cmp_ne_u32_e32 vcc, 0, v6
	s_mov_b32 s34, 0x8000
	s_mov_b32 s0, 0xffff
	v_cndmask_b32_e32 v6, v9, v10, vcc
	v_cmp_eq_u32_e32 vcc, s31, v8
	v_lshrrev_b32_e32 v8, 8, v3
	v_lshrrev_b32_e32 v3, 16, v3
	v_cndmask_b32_e32 v6, v7, v6, vcc
	v_cmp_ne_u32_e32 vcc, 0, v2
	v_and_b32_sdwa v7, v5, s34 dst_sel:DWORD dst_unused:UNUSED_PAD src0_sel:WORD_1 src1_sel:DWORD
	s_nop 0
	v_cndmask_b32_e64 v2, 0, 1, vcc
	v_and_or_b32 v2, v8, s1, v2
	v_or_b32_e32 v8, 0x1000, v2
	v_lshrrev_b32_e32 v13, v12, v8
	v_lshlrev_b32_e32 v12, v12, v13
	v_cmp_ne_u32_e32 vcc, v12, v8
	v_lshl_or_b32 v12, v11, 12, v2
	s_nop 0
	v_cndmask_b32_e64 v8, 0, 1, vcc
	v_or_b32_e32 v8, v13, v8
	v_cmp_gt_i32_e32 vcc, 1, v11
	s_nop 1
	v_cndmask_b32_e32 v8, v12, v8, vcc
	v_and_b32_e32 v12, 7, v8
	v_cmp_lt_i32_e32 vcc, 5, v12
	v_lshrrev_b32_e32 v8, 2, v8
	s_nop 0
	v_cndmask_b32_e64 v13, 0, 1, vcc
	v_cmp_eq_u32_e32 vcc, 3, v12
	s_nop 1
	v_cndmask_b32_e64 v12, 0, 1, vcc
	v_or_b32_e32 v12, v12, v13
	v_add_u32_e32 v8, v8, v12
	v_cmp_gt_i32_e32 vcc, 31, v11
	s_nop 1
	v_cndmask_b32_e32 v8, v9, v8, vcc
	v_cmp_ne_u32_e32 vcc, 0, v2
	s_nop 1
	v_cndmask_b32_e32 v2, v9, v10, vcc
	v_cmp_eq_u32_e32 vcc, s31, v11
	s_nop 1
	v_cndmask_b32_e32 v2, v8, v2, vcc
	v_and_or_b32 v2, v3, s34, v2
	v_bitop3_b32 v3, v7, s0, v6 bitop3:0xc8
	v_lshl_or_b32 v2, v2, 16, v3
	global_store_dword v[0:1], v2, off
.LBB224_843:
	s_mov_b64 s[0:1], 0
.LBB224_844:
	s_andn2_b64 vcc, exec, s[0:1]
	s_cbranch_vccnz .LBB224_853
; %bb.845:
	s_cmp_lt_i32 s30, 6
	s_mov_b64 s[0:1], -1
	s_cbranch_scc1 .LBB224_851
; %bb.846:
	s_cmp_gt_i32 s30, 6
	s_cbranch_scc0 .LBB224_848
; %bb.847:
	s_mov_b64 s[0:1], 0
	global_store_dwordx2 v[0:1], v[4:5], off
.LBB224_848:
	s_andn2_b64 vcc, exec, s[0:1]
	s_cbranch_vccnz .LBB224_850
; %bb.849:
	v_cvt_f32_f64_e32 v2, v[4:5]
	global_store_dword v[0:1], v2, off
.LBB224_850:
	s_mov_b64 s[0:1], 0
.LBB224_851:
	s_andn2_b64 vcc, exec, s[0:1]
	s_cbranch_vccnz .LBB224_853
; %bb.852:
	s_movk_i32 s0, 0x1ff
	v_and_or_b32 v2, v5, s0, v4
	v_cmp_ne_u32_e32 vcc, 0, v2
	v_lshrrev_b32_e32 v3, 8, v5
	s_movk_i32 s0, 0xffe
	v_cndmask_b32_e64 v2, 0, 1, vcc
	v_bfe_u32 v6, v5, 20, 11
	v_and_or_b32 v2, v3, s0, v2
	v_sub_u32_e32 v7, 0x3f1, v6
	v_or_b32_e32 v3, 0x1000, v2
	v_med3_i32 v7, v7, 0, 13
	v_lshrrev_b32_e32 v8, v7, v3
	v_lshlrev_b32_e32 v7, v7, v8
	v_cmp_ne_u32_e32 vcc, v7, v3
	v_add_u32_e32 v6, 0xfffffc10, v6
	v_lshl_or_b32 v7, v6, 12, v2
	v_cndmask_b32_e64 v3, 0, 1, vcc
	v_or_b32_e32 v3, v8, v3
	v_cmp_gt_i32_e32 vcc, 1, v6
	s_movk_i32 s0, 0x40f
	s_nop 0
	v_cndmask_b32_e32 v3, v7, v3, vcc
	v_and_b32_e32 v7, 7, v3
	v_cmp_lt_i32_e32 vcc, 5, v7
	v_lshrrev_b32_e32 v3, 2, v3
	s_nop 0
	v_cndmask_b32_e64 v8, 0, 1, vcc
	v_cmp_eq_u32_e32 vcc, 3, v7
	s_nop 1
	v_cndmask_b32_e64 v7, 0, 1, vcc
	v_or_b32_e32 v7, v7, v8
	v_add_u32_e32 v3, v3, v7
	v_mov_b32_e32 v7, 0x7c00
	v_cmp_gt_i32_e32 vcc, 31, v6
	v_mov_b32_e32 v8, 0x7e00
	s_nop 0
	v_cndmask_b32_e32 v3, v7, v3, vcc
	v_cmp_ne_u32_e32 vcc, 0, v2
	s_nop 1
	v_cndmask_b32_e32 v2, v7, v8, vcc
	v_cmp_eq_u32_e32 vcc, s0, v6
	s_mov_b32 s0, 0x8000
	s_nop 0
	v_cndmask_b32_e32 v2, v3, v2, vcc
	v_lshrrev_b32_e32 v3, 16, v5
	v_and_or_b32 v2, v3, s0, v2
	global_store_short v[0:1], v2, off
.LBB224_853:
	s_mov_b64 s[0:1], 0
.LBB224_854:
	s_andn2_b64 vcc, exec, s[0:1]
	s_cbranch_vccnz .LBB224_870
; %bb.855:
	s_cmp_lt_i32 s30, 2
	s_mov_b64 s[0:1], -1
	s_cbranch_scc1 .LBB224_865
; %bb.856:
	s_cmp_lt_i32 s30, 3
	s_cbranch_scc1 .LBB224_862
; %bb.857:
	s_cmp_gt_i32 s30, 3
	s_cbranch_scc0 .LBB224_859
; %bb.858:
	v_trunc_f64_e32 v[2:3], v[4:5]
	s_movk_i32 s0, 0xffe0
	v_ldexp_f64 v[6:7], v[2:3], s0
	v_floor_f64_e32 v[6:7], v[6:7]
	v_fmac_f64_e32 v[2:3], 0xc1f00000, v[6:7]
	v_cvt_i32_f64_e32 v9, v[6:7]
	v_cvt_u32_f64_e32 v8, v[2:3]
	s_mov_b64 s[0:1], 0
	global_store_dwordx2 v[0:1], v[8:9], off
.LBB224_859:
	s_andn2_b64 vcc, exec, s[0:1]
	s_cbranch_vccnz .LBB224_861
; %bb.860:
	v_cvt_i32_f64_e32 v2, v[4:5]
	global_store_dword v[0:1], v2, off
.LBB224_861:
	s_mov_b64 s[0:1], 0
.LBB224_862:
	s_andn2_b64 vcc, exec, s[0:1]
	s_cbranch_vccnz .LBB224_864
; %bb.863:
	v_cvt_i32_f64_e32 v2, v[4:5]
	global_store_short v[0:1], v2, off
.LBB224_864:
	s_mov_b64 s[0:1], 0
.LBB224_865:
	s_andn2_b64 vcc, exec, s[0:1]
	s_cbranch_vccnz .LBB224_870
; %bb.866:
	s_cmp_gt_i32 s30, 0
	s_mov_b64 s[0:1], -1
	s_cbranch_scc0 .LBB224_868
; %bb.867:
	v_cvt_i32_f64_e32 v2, v[4:5]
	s_mov_b64 s[0:1], 0
	global_store_byte v[0:1], v2, off
.LBB224_868:
	s_andn2_b64 vcc, exec, s[0:1]
	s_cbranch_vccnz .LBB224_870
; %bb.869:
	v_trunc_f64_e32 v[2:3], v[4:5]
	s_movk_i32 s0, 0xffe0
	v_ldexp_f64 v[4:5], v[2:3], s0
	v_floor_f64_e32 v[4:5], v[4:5]
	v_fmac_f64_e32 v[2:3], 0xc1f00000, v[4:5]
	v_cvt_u32_f64_e32 v2, v[2:3]
	global_store_byte v[0:1], v2, off
.LBB224_870:
	s_mov_b64 s[0:1], -1
.LBB224_871:
	s_andn2_b64 vcc, exec, s[0:1]
	s_cbranch_vccnz .LBB224_873
; %bb.872:
	v_add_u32_e32 v22, 0x80, v22
	s_mov_b64 s[30:31], -1
	s_branch .LBB224_874
.LBB224_873:
	s_mov_b64 s[30:31], 0
                                        ; implicit-def: $vgpr22
.LBB224_874:
	s_andn2_b64 s[0:1], s[22:23], exec
	s_and_b64 s[2:3], s[2:3], exec
	s_or_b64 s[2:3], s[0:1], s[2:3]
	s_andn2_b64 s[0:1], s[20:21], exec
	s_and_b64 s[28:29], s[28:29], exec
	s_or_b64 s[0:1], s[0:1], s[28:29]
	s_orn2_b64 s[34:35], s[30:31], exec
.LBB224_875:
	s_or_b64 exec, exec, s[26:27]
	s_mov_b64 s[30:31], 0
	s_mov_b64 s[36:37], 0
	;; [unrolled: 1-line block ×3, first 2 shown]
                                        ; implicit-def: $vgpr4_vgpr5
                                        ; implicit-def: $vgpr2_vgpr3
	s_and_saveexec_b64 s[26:27], s[34:35]
	s_cbranch_execz .LBB224_963
; %bb.876:
	v_cmp_gt_i32_e32 vcc, s45, v22
	s_mov_b64 s[34:35], 0
	s_mov_b64 s[38:39], s[0:1]
	;; [unrolled: 1-line block ×3, first 2 shown]
                                        ; implicit-def: $vgpr4_vgpr5
                                        ; implicit-def: $vgpr2_vgpr3
	s_and_saveexec_b64 s[28:29], vcc
	s_cbranch_execz .LBB224_962
; %bb.877:
	s_waitcnt vmcnt(0)
	v_mul_lo_u32 v0, v22, s9
	v_ashrrev_i32_e32 v1, 31, v0
	s_and_b32 s42, 0xffff, s44
	s_cmp_lt_i32 s42, 11
	v_lshl_add_u64 v[4:5], s[6:7], 0, v[0:1]
	s_cbranch_scc1 .LBB224_884
; %bb.878:
	s_cmp_gt_i32 s42, 25
	s_cbranch_scc0 .LBB224_885
; %bb.879:
	s_cmp_gt_i32 s42, 28
	s_cbranch_scc0 .LBB224_886
	;; [unrolled: 3-line block ×4, first 2 shown]
; %bb.882:
	s_cmp_eq_u32 s42, 46
	s_mov_b64 s[38:39], 0
	s_cbranch_scc0 .LBB224_893
; %bb.883:
	global_load_dword v0, v[4:5], off
	s_mov_b64 s[36:37], -1
	s_waitcnt vmcnt(0)
	v_and_b32_e32 v2, 0xffff0000, v0
	v_lshlrev_b32_e32 v0, 16, v0
	v_cvt_f64_f32_e32 v[0:1], v0
	v_cvt_f64_f32_e32 v[2:3], v2
	s_branch .LBB224_895
.LBB224_884:
	s_mov_b64 s[38:39], -1
                                        ; implicit-def: $vgpr2_vgpr3
	s_mov_b64 s[30:31], s[0:1]
	s_branch .LBB224_961
.LBB224_885:
	s_mov_b64 s[38:39], -1
	s_mov_b64 s[30:31], s[0:1]
                                        ; implicit-def: $vgpr2_vgpr3
	s_branch .LBB224_928
.LBB224_886:
	s_mov_b64 s[38:39], -1
	s_mov_b64 s[30:31], s[0:1]
                                        ; implicit-def: $vgpr2_vgpr3
	s_branch .LBB224_907
.LBB224_887:
	s_mov_b64 s[38:39], -1
	s_mov_b64 s[30:31], s[0:1]
                                        ; implicit-def: $vgpr2_vgpr3
	s_branch .LBB224_901
.LBB224_888:
	s_andn2_saveexec_b64 s[34:35], s[34:35]
	s_cbranch_execz .LBB224_784
.LBB224_889:
	s_mov_b32 s38, 0x46000000
	v_add_f32_e64 v7, |v6|, s38
	v_and_b32_e32 v7, 0xff, v7
	v_cmp_ne_u32_e32 vcc, 0, v7
	s_andn2_b64 s[30:31], s[30:31], exec
	s_and_b64 s[38:39], vcc, exec
	s_or_b64 s[30:31], s[30:31], s[38:39]
	s_or_b64 exec, exec, s[34:35]
	v_mov_b32_e32 v8, 0
	s_and_saveexec_b64 s[34:35], s[30:31]
	s_cbranch_execnz .LBB224_785
	s_branch .LBB224_786
.LBB224_890:
	s_mov_b64 s[38:39], -1
	s_mov_b64 s[30:31], s[0:1]
	s_branch .LBB224_894
.LBB224_891:
	s_andn2_saveexec_b64 s[34:35], s[34:35]
	s_cbranch_execz .LBB224_797
.LBB224_892:
	s_mov_b32 s38, 0x42800000
	v_add_f32_e64 v7, |v6|, s38
	v_and_b32_e32 v7, 0xff, v7
	v_cmp_ne_u32_e32 vcc, 0, v7
	s_andn2_b64 s[30:31], s[30:31], exec
	s_and_b64 s[38:39], vcc, exec
	s_or_b64 s[30:31], s[30:31], s[38:39]
	s_or_b64 exec, exec, s[34:35]
	v_mov_b32_e32 v8, 0
	s_and_saveexec_b64 s[34:35], s[30:31]
	s_cbranch_execnz .LBB224_798
	s_branch .LBB224_799
.LBB224_893:
	s_mov_b64 s[30:31], -1
.LBB224_894:
                                        ; implicit-def: $vgpr2_vgpr3
.LBB224_895:
	s_and_b64 vcc, exec, s[38:39]
	s_cbranch_vccz .LBB224_900
; %bb.896:
	s_cmp_eq_u32 s42, 44
	s_cbranch_scc0 .LBB224_898
; %bb.897:
	global_load_ubyte v2, v[4:5], off
	s_movk_i32 s36, 0xff
	v_bfrev_b32_e32 v3, 4
	v_mov_b32_e32 v6, 0x7ff80000
	v_bfrev_b32_e32 v7, 28
	s_mov_b64 s[30:31], 0
	s_waitcnt vmcnt(0)
	v_lshlrev_b32_e32 v0, 23, v2
	v_cvt_f64_f32_e32 v[0:1], v0
	v_cmp_ne_u32_e32 vcc, s36, v2
	s_mov_b64 s[36:37], -1
	s_nop 0
	v_cndmask_b32_e32 v0, v3, v0, vcc
	v_cndmask_b32_e32 v1, v6, v1, vcc
	v_cmp_ne_u32_e32 vcc, 0, v2
	s_nop 1
	v_cndmask_b32_e32 v1, v7, v1, vcc
	v_cndmask_b32_e32 v0, 0, v0, vcc
	s_branch .LBB224_899
.LBB224_898:
	s_mov_b64 s[30:31], -1
                                        ; implicit-def: $vgpr0_vgpr1
.LBB224_899:
	v_mov_b64_e32 v[2:3], 0
.LBB224_900:
	s_mov_b64 s[38:39], 0
.LBB224_901:
	s_and_b64 vcc, exec, s[38:39]
	s_cbranch_vccz .LBB224_906
; %bb.902:
	s_cmp_eq_u32 s42, 29
	s_cbranch_scc0 .LBB224_904
; %bb.903:
	global_load_dwordx2 v[0:1], v[4:5], off
	s_mov_b64 s[30:31], 0
	s_mov_b64 s[36:37], -1
	s_waitcnt vmcnt(0)
	v_cvt_f64_u32_e32 v[2:3], v1
	v_cvt_f64_u32_e32 v[0:1], v0
	v_ldexp_f64 v[2:3], v[2:3], 32
	v_add_f64 v[0:1], v[2:3], v[0:1]
	s_branch .LBB224_905
.LBB224_904:
	s_mov_b64 s[30:31], -1
                                        ; implicit-def: $vgpr0_vgpr1
.LBB224_905:
	v_mov_b64_e32 v[2:3], 0
.LBB224_906:
	s_mov_b64 s[38:39], 0
.LBB224_907:
	s_and_b64 vcc, exec, s[38:39]
	s_cbranch_vccz .LBB224_927
; %bb.908:
	s_cmp_lt_i32 s42, 27
	s_cbranch_scc1 .LBB224_911
; %bb.909:
	s_cmp_gt_i32 s42, 27
	s_cbranch_scc0 .LBB224_912
; %bb.910:
	global_load_dword v0, v[4:5], off
	s_mov_b64 s[36:37], 0
	s_waitcnt vmcnt(0)
	v_cvt_f64_u32_e32 v[0:1], v0
	s_branch .LBB224_913
.LBB224_911:
	s_mov_b64 s[36:37], -1
                                        ; implicit-def: $vgpr0_vgpr1
	s_branch .LBB224_916
.LBB224_912:
	s_mov_b64 s[36:37], -1
                                        ; implicit-def: $vgpr0_vgpr1
.LBB224_913:
	s_andn2_b64 vcc, exec, s[36:37]
	s_cbranch_vccnz .LBB224_915
; %bb.914:
	global_load_ushort v0, v[4:5], off
	s_waitcnt vmcnt(0)
	v_cvt_f64_u32_e32 v[0:1], v0
.LBB224_915:
	s_mov_b64 s[36:37], 0
.LBB224_916:
	s_andn2_b64 vcc, exec, s[36:37]
	s_cbranch_vccnz .LBB224_926
; %bb.917:
	global_load_ubyte v2, v[4:5], off
	s_movk_i32 s36, 0x7f
	s_waitcnt vmcnt(0)
	v_cmp_lt_i16_e32 vcc, s36, v2
	s_mov_b64 s[36:37], 0
	s_and_saveexec_b64 s[38:39], vcc
	s_xor_b64 s[38:39], exec, s[38:39]
	s_cbranch_execz .LBB224_921
; %bb.918:
	s_movk_i32 s36, 0x80
	v_cmp_eq_u16_e32 vcc, s36, v2
	s_mov_b64 s[36:37], -1
	s_and_saveexec_b64 s[40:41], vcc
; %bb.919:
	s_xor_b64 s[36:37], exec, -1
; %bb.920:
	s_or_b64 exec, exec, s[40:41]
	s_and_b64 s[36:37], s[36:37], exec
.LBB224_921:
	s_or_saveexec_b64 s[38:39], s[38:39]
	v_bfrev_b32_e32 v0, 4
	v_mov_b32_e32 v1, 0x7ff80000
	s_xor_b64 exec, exec, s[38:39]
; %bb.922:
	v_cmp_ne_u16_e32 vcc, 0, v2
	s_andn2_b64 s[36:37], s[36:37], exec
	s_and_b64 s[40:41], vcc, exec
	v_mov_b64_e32 v[0:1], 0
	s_or_b64 s[36:37], s[36:37], s[40:41]
; %bb.923:
	s_or_b64 exec, exec, s[38:39]
	s_and_saveexec_b64 s[38:39], s[36:37]
	s_cbranch_execz .LBB224_925
; %bb.924:
	v_and_b32_e32 v1, 0xffff, v2
	v_lshlrev_b32_e32 v0, 24, v2
	v_and_b32_e32 v2, 7, v1
	v_ffbh_u32_e32 v6, v2
	v_min_u32_e32 v6, 32, v6
	v_subrev_u32_e32 v7, 28, v6
	v_bfe_u32 v3, v1, 3, 4
	v_lshlrev_b32_e32 v1, v7, v1
	v_sub_u32_e32 v6, 29, v6
	v_and_b32_e32 v1, 7, v1
	v_cmp_eq_u32_e32 vcc, 0, v3
	v_and_b32_e32 v0, 0x80000000, v0
	s_nop 0
	v_cndmask_b32_e32 v3, v3, v6, vcc
	v_cndmask_b32_e32 v1, v2, v1, vcc
	v_mov_b32_e32 v2, 0x3b800000
	v_lshlrev_b32_e32 v1, 20, v1
	v_lshl_add_u32 v2, v3, 23, v2
	v_or3_b32 v0, v0, v2, v1
	v_cvt_f64_f32_e32 v[0:1], v0
.LBB224_925:
	s_or_b64 exec, exec, s[38:39]
.LBB224_926:
	s_mov_b64 s[36:37], -1
	v_mov_b64_e32 v[2:3], 0
.LBB224_927:
	s_mov_b64 s[38:39], 0
.LBB224_928:
	s_and_b64 vcc, exec, s[38:39]
	s_cbranch_vccz .LBB224_960
; %bb.929:
	s_cmp_gt_i32 s42, 22
	s_cbranch_scc0 .LBB224_941
; %bb.930:
	s_cmp_lt_i32 s42, 24
	s_cbranch_scc1 .LBB224_942
; %bb.931:
	s_cmp_gt_i32 s42, 24
	s_cbranch_scc0 .LBB224_943
; %bb.932:
	global_load_ubyte v2, v[4:5], off
	s_movk_i32 s34, 0x7f
	s_waitcnt vmcnt(0)
	v_cmp_lt_i16_e32 vcc, s34, v2
	s_mov_b64 s[34:35], 0
	s_and_saveexec_b64 s[36:37], vcc
	s_xor_b64 s[36:37], exec, s[36:37]
	s_cbranch_execz .LBB224_936
; %bb.933:
	s_movk_i32 s34, 0x80
	v_cmp_eq_u16_e32 vcc, s34, v2
	s_mov_b64 s[34:35], -1
	s_and_saveexec_b64 s[38:39], vcc
; %bb.934:
	s_xor_b64 s[34:35], exec, -1
; %bb.935:
	s_or_b64 exec, exec, s[38:39]
	s_and_b64 s[34:35], s[34:35], exec
.LBB224_936:
	s_or_saveexec_b64 s[36:37], s[36:37]
	v_bfrev_b32_e32 v0, 4
	v_mov_b32_e32 v1, 0x7ff80000
	s_xor_b64 exec, exec, s[36:37]
; %bb.937:
	v_cmp_ne_u16_e32 vcc, 0, v2
	s_andn2_b64 s[34:35], s[34:35], exec
	s_and_b64 s[38:39], vcc, exec
	v_mov_b64_e32 v[0:1], 0
	s_or_b64 s[34:35], s[34:35], s[38:39]
; %bb.938:
	s_or_b64 exec, exec, s[36:37]
	s_and_saveexec_b64 s[36:37], s[34:35]
	s_cbranch_execz .LBB224_940
; %bb.939:
	v_and_b32_e32 v1, 0xffff, v2
	v_lshlrev_b32_e32 v0, 24, v2
	v_and_b32_e32 v2, 3, v1
	v_ffbh_u32_e32 v6, v2
	v_min_u32_e32 v6, 32, v6
	v_subrev_u32_e32 v7, 29, v6
	v_bfe_u32 v3, v1, 2, 5
	v_lshlrev_b32_e32 v1, v7, v1
	v_sub_u32_e32 v6, 30, v6
	v_and_b32_e32 v1, 3, v1
	v_cmp_eq_u32_e32 vcc, 0, v3
	v_and_b32_e32 v0, 0x80000000, v0
	s_nop 0
	v_cndmask_b32_e32 v3, v3, v6, vcc
	v_cndmask_b32_e32 v1, v2, v1, vcc
	v_mov_b32_e32 v2, 0x37800000
	v_lshlrev_b32_e32 v1, 21, v1
	v_lshl_add_u32 v2, v3, 23, v2
	v_or3_b32 v0, v0, v2, v1
	v_cvt_f64_f32_e32 v[0:1], v0
.LBB224_940:
	s_or_b64 exec, exec, s[36:37]
	s_mov_b64 s[34:35], 0
	s_branch .LBB224_944
.LBB224_941:
	s_mov_b64 s[34:35], -1
                                        ; implicit-def: $vgpr0_vgpr1
	s_branch .LBB224_950
.LBB224_942:
	s_mov_b64 s[34:35], -1
                                        ; implicit-def: $vgpr0_vgpr1
	s_branch .LBB224_947
.LBB224_943:
	s_mov_b64 s[34:35], -1
                                        ; implicit-def: $vgpr0_vgpr1
.LBB224_944:
	s_and_b64 vcc, exec, s[34:35]
	s_cbranch_vccz .LBB224_946
; %bb.945:
	global_load_ubyte v0, v[4:5], off
	s_mov_b32 s34, 0x7f800000
	s_waitcnt vmcnt(0)
	v_lshlrev_b32_e32 v0, 24, v0
	v_and_b32_e32 v1, 0x7f000000, v0
	v_ffbh_u32_e32 v2, v1
	v_min_u32_e32 v2, 32, v2
	v_sub_u32_e64 v2, v2, 4 clamp
	v_lshlrev_b32_e32 v6, v2, v1
	v_lshlrev_b32_e32 v2, 23, v2
	v_lshrrev_b32_e32 v6, 4, v6
	v_add_u32_e32 v3, 0x1000000, v1
	v_sub_u32_e32 v2, v6, v2
	v_ashrrev_i32_e32 v3, 8, v3
	v_add_u32_e32 v2, 0x3c000000, v2
	v_and_or_b32 v2, v3, s34, v2
	v_cmp_ne_u32_e32 vcc, 0, v1
	s_brev_b32 s34, 1
	s_nop 0
	v_cndmask_b32_e32 v1, 0, v2, vcc
	v_and_or_b32 v0, v0, s34, v1
	v_cvt_f64_f32_e32 v[0:1], v0
.LBB224_946:
	s_mov_b64 s[34:35], 0
.LBB224_947:
	s_andn2_b64 vcc, exec, s[34:35]
	s_cbranch_vccnz .LBB224_949
; %bb.948:
	global_load_ubyte v0, v[4:5], off
	s_movk_i32 s34, 0x7f00
	s_brev_b32 s35, 16
	s_waitcnt vmcnt(0)
	v_lshlrev_b16_e32 v1, 8, v0
	v_lshlrev_b32_e32 v0, 25, v0
	v_lshrrev_b32_e32 v2, 4, v0
	v_and_or_b32 v3, v1, s34, 0.5
	v_or_b32_e32 v2, 0x70000000, v2
	v_add_f32_e32 v3, -0.5, v3
	v_mul_f32_e32 v2, 0x7800000, v2
	v_cmp_gt_u32_e32 vcc, s35, v0
	v_bfe_i32 v1, v1, 0, 16
	s_brev_b32 s34, 1
	v_cndmask_b32_e32 v0, v2, v3, vcc
	v_and_or_b32 v0, v1, s34, v0
	v_cvt_f64_f32_e32 v[0:1], v0
.LBB224_949:
	s_mov_b64 s[34:35], 0
	s_mov_b64 s[36:37], -1
.LBB224_950:
	s_andn2_b64 vcc, exec, s[34:35]
	s_mov_b64 s[34:35], 0
	s_cbranch_vccnz .LBB224_959
; %bb.951:
	s_cmp_gt_i32 s42, 14
	s_cbranch_scc0 .LBB224_954
; %bb.952:
	s_cmp_eq_u32 s42, 15
	s_cbranch_scc0 .LBB224_955
; %bb.953:
	global_load_ushort v0, v[4:5], off
	s_mov_b64 s[30:31], 0
	s_mov_b64 s[36:37], -1
	s_waitcnt vmcnt(0)
	v_lshlrev_b32_e32 v0, 16, v0
	v_cvt_f64_f32_e32 v[0:1], v0
	s_branch .LBB224_956
.LBB224_954:
	s_mov_b64 s[38:39], -1
                                        ; implicit-def: $vgpr0_vgpr1
	s_branch .LBB224_957
.LBB224_955:
	s_mov_b64 s[30:31], -1
                                        ; implicit-def: $vgpr0_vgpr1
.LBB224_956:
	s_mov_b64 s[38:39], 0
.LBB224_957:
	s_and_b64 vcc, exec, s[38:39]
	s_cbranch_vccz .LBB224_959
; %bb.958:
	s_cmp_lg_u32 s42, 11
	s_cselect_b64 s[38:39], -1, 0
	s_andn2_b64 s[30:31], s[30:31], exec
	s_and_b64 s[38:39], s[38:39], exec
	s_mov_b64 s[34:35], -1
	s_or_b64 s[30:31], s[30:31], s[38:39]
.LBB224_959:
	v_mov_b64_e32 v[2:3], 0
.LBB224_960:
	s_mov_b64 s[38:39], 0
.LBB224_961:
	s_and_b64 s[40:41], s[36:37], exec
	s_and_b64 s[36:37], s[38:39], exec
	s_andn2_b64 s[38:39], s[0:1], exec
	s_and_b64 s[30:31], s[30:31], exec
	s_and_b64 s[34:35], s[34:35], exec
	s_or_b64 s[38:39], s[38:39], s[30:31]
.LBB224_962:
	s_or_b64 exec, exec, s[28:29]
	s_and_b64 s[30:31], s[34:35], exec
	s_andn2_b64 s[0:1], s[0:1], exec
	s_and_b64 s[34:35], s[38:39], exec
	s_and_b64 s[28:29], s[40:41], exec
	;; [unrolled: 1-line block ×3, first 2 shown]
	s_or_b64 s[0:1], s[0:1], s[34:35]
.LBB224_963:
	s_or_b64 exec, exec, s[26:27]
	s_andn2_b64 s[22:23], s[22:23], exec
	s_and_b64 s[2:3], s[2:3], exec
	s_andn2_b64 s[20:21], s[20:21], exec
	s_and_b64 s[0:1], s[0:1], exec
	s_or_b64 s[22:23], s[22:23], s[2:3]
	s_and_b64 s[28:29], s[28:29], exec
	s_and_b64 s[26:27], s[36:37], exec
	;; [unrolled: 1-line block ×3, first 2 shown]
	s_or_b64 s[20:21], s[20:21], s[0:1]
.LBB224_964:
	s_or_b64 exec, exec, s[24:25]
	s_andn2_b64 s[0:1], s[14:15], exec
	s_and_b64 s[14:15], s[22:23], exec
	s_and_b64 s[22:23], s[2:3], exec
	s_andn2_b64 s[2:3], s[16:17], exec
	s_and_b64 s[16:17], s[20:21], exec
	s_or_b64 s[14:15], s[0:1], s[14:15]
	s_and_b64 s[0:1], s[28:29], exec
	s_and_b64 s[24:25], s[26:27], exec
	s_or_b64 s[16:17], s[2:3], s[16:17]
	s_or_b64 exec, exec, s[18:19]
	s_mov_b64 s[18:19], 0
	s_and_saveexec_b64 s[2:3], s[16:17]
	s_cbranch_execz .LBB224_295
.LBB224_965:
	s_mov_b64 s[18:19], exec
	s_andn2_b64 s[22:23], s[22:23], exec
	s_trap 2
	s_or_b64 exec, exec, s[2:3]
	s_and_saveexec_b64 s[2:3], s[22:23]
	s_xor_b64 s[2:3], exec, s[2:3]
	s_cbranch_execnz .LBB224_296
.LBB224_966:
	s_or_b64 exec, exec, s[2:3]
	s_and_saveexec_b64 s[2:3], s[24:25]
	s_cbranch_execz .LBB224_1014
.LBB224_967:
	s_sext_i32_i16 s16, s44
	s_cmp_lt_i32 s16, 5
	s_cbranch_scc1 .LBB224_972
; %bb.968:
	s_cmp_lt_i32 s16, 8
	s_cbranch_scc1 .LBB224_973
; %bb.969:
	;; [unrolled: 3-line block ×3, first 2 shown]
	s_cmp_gt_i32 s16, 9
	s_cbranch_scc0 .LBB224_975
; %bb.971:
	global_load_dwordx4 v[0:3], v[4:5], off
	s_mov_b64 s[16:17], 0
	s_branch .LBB224_976
.LBB224_972:
                                        ; implicit-def: $vgpr2_vgpr3
	s_branch .LBB224_994
.LBB224_973:
                                        ; implicit-def: $vgpr2_vgpr3
	s_branch .LBB224_982
.LBB224_974:
	s_mov_b64 s[16:17], -1
                                        ; implicit-def: $vgpr2_vgpr3
	s_branch .LBB224_979
.LBB224_975:
	s_mov_b64 s[16:17], -1
                                        ; implicit-def: $vgpr2_vgpr3
.LBB224_976:
	s_andn2_b64 vcc, exec, s[16:17]
	s_cbranch_vccnz .LBB224_978
; %bb.977:
	global_load_dwordx2 v[2:3], v[4:5], off
	s_waitcnt vmcnt(0)
	v_cvt_f64_f32_e32 v[0:1], v2
	v_cvt_f64_f32_e32 v[2:3], v3
.LBB224_978:
	s_mov_b64 s[16:17], 0
.LBB224_979:
	s_andn2_b64 vcc, exec, s[16:17]
	s_cbranch_vccnz .LBB224_981
; %bb.980:
	global_load_dword v0, v[4:5], off
	s_waitcnt vmcnt(0)
	v_cvt_f32_f16_e32 v1, v0
	v_cvt_f32_f16_sdwa v2, v0 dst_sel:DWORD dst_unused:UNUSED_PAD src0_sel:WORD_1
	v_cvt_f64_f32_e32 v[0:1], v1
	v_cvt_f64_f32_e32 v[2:3], v2
.LBB224_981:
	s_cbranch_execnz .LBB224_993
.LBB224_982:
	s_sext_i32_i16 s16, s44
	s_cmp_lt_i32 s16, 6
	s_cbranch_scc1 .LBB224_985
; %bb.983:
	s_cmp_gt_i32 s16, 6
	s_cbranch_scc0 .LBB224_986
; %bb.984:
	global_load_dwordx2 v[0:1], v[4:5], off
	s_mov_b64 s[16:17], 0
	s_branch .LBB224_987
.LBB224_985:
	s_mov_b64 s[16:17], -1
                                        ; implicit-def: $vgpr0_vgpr1
	s_branch .LBB224_990
.LBB224_986:
	s_mov_b64 s[16:17], -1
                                        ; implicit-def: $vgpr0_vgpr1
.LBB224_987:
	s_andn2_b64 vcc, exec, s[16:17]
	s_cbranch_vccnz .LBB224_989
; %bb.988:
	global_load_dword v0, v[4:5], off
	s_waitcnt vmcnt(0)
	v_cvt_f64_f32_e32 v[0:1], v0
.LBB224_989:
	s_mov_b64 s[16:17], 0
.LBB224_990:
	s_andn2_b64 vcc, exec, s[16:17]
	s_cbranch_vccnz .LBB224_992
; %bb.991:
	global_load_ushort v0, v[4:5], off
	s_waitcnt vmcnt(0)
	v_cvt_f32_f16_e32 v0, v0
	v_cvt_f64_f32_e32 v[0:1], v0
.LBB224_992:
	s_waitcnt vmcnt(0)
	v_mov_b64_e32 v[2:3], 0
.LBB224_993:
	s_cbranch_execnz .LBB224_1013
.LBB224_994:
	s_sext_i32_i16 s16, s44
	s_cmp_lt_i32 s16, 2
	s_cbranch_scc1 .LBB224_998
; %bb.995:
	s_cmp_lt_i32 s16, 3
	s_cbranch_scc1 .LBB224_999
; %bb.996:
	s_cmp_gt_i32 s16, 3
	s_cbranch_scc0 .LBB224_1000
; %bb.997:
	global_load_dwordx2 v[0:1], v[4:5], off
	s_mov_b64 s[16:17], 0
	s_waitcnt vmcnt(0)
	v_cvt_f64_i32_e32 v[2:3], v1
	v_cvt_f64_u32_e32 v[0:1], v0
	v_ldexp_f64 v[2:3], v[2:3], 32
	v_add_f64 v[0:1], v[2:3], v[0:1]
	s_branch .LBB224_1001
.LBB224_998:
                                        ; implicit-def: $vgpr0_vgpr1
	s_branch .LBB224_1007
.LBB224_999:
	s_mov_b64 s[16:17], -1
                                        ; implicit-def: $vgpr0_vgpr1
	s_branch .LBB224_1004
.LBB224_1000:
	s_mov_b64 s[16:17], -1
                                        ; implicit-def: $vgpr0_vgpr1
.LBB224_1001:
	s_andn2_b64 vcc, exec, s[16:17]
	s_cbranch_vccnz .LBB224_1003
; %bb.1002:
	global_load_dword v0, v[4:5], off
	s_waitcnt vmcnt(0)
	v_cvt_f64_i32_e32 v[0:1], v0
.LBB224_1003:
	s_mov_b64 s[16:17], 0
.LBB224_1004:
	s_andn2_b64 vcc, exec, s[16:17]
	s_cbranch_vccnz .LBB224_1006
; %bb.1005:
	global_load_sshort v0, v[4:5], off
	s_waitcnt vmcnt(0)
	v_cvt_f64_i32_e32 v[0:1], v0
.LBB224_1006:
	s_cbranch_execnz .LBB224_1012
.LBB224_1007:
	s_sext_i32_i16 s16, s44
	s_cmp_gt_i32 s16, 0
	s_cbranch_scc0 .LBB224_1009
; %bb.1008:
	global_load_sbyte v0, v[4:5], off
	s_mov_b64 s[16:17], 0
	s_waitcnt vmcnt(0)
	v_cvt_f64_i32_e32 v[0:1], v0
	s_branch .LBB224_1010
.LBB224_1009:
	s_mov_b64 s[16:17], -1
                                        ; implicit-def: $vgpr0_vgpr1
.LBB224_1010:
	s_andn2_b64 vcc, exec, s[16:17]
	s_cbranch_vccnz .LBB224_1012
; %bb.1011:
	global_load_ubyte v0, v[4:5], off
	s_waitcnt vmcnt(0)
	v_cvt_f64_u32_e32 v[0:1], v0
.LBB224_1012:
	s_waitcnt vmcnt(0)
	v_mov_b64_e32 v[2:3], 0
.LBB224_1013:
	s_or_b64 s[0:1], s[0:1], exec
.LBB224_1014:
	s_or_b64 exec, exec, s[2:3]
	s_mov_b64 s[20:21], 0
	s_mov_b64 s[2:3], 0
                                        ; implicit-def: $sgpr26
                                        ; implicit-def: $vgpr8_vgpr9
                                        ; implicit-def: $vgpr4_vgpr5
	s_and_saveexec_b64 s[16:17], s[0:1]
	s_cbranch_execz .LBB224_1027
; %bb.1015:
	s_waitcnt vmcnt(0)
	v_cmp_neq_f64_e32 vcc, 0, v[0:1]
	v_cmp_neq_f64_e64 s[0:1], 0, v[2:3]
	v_mov_b64_e32 v[4:5], 0
	s_or_b64 s[0:1], vcc, s[0:1]
	s_and_saveexec_b64 s[20:21], s[0:1]
	s_cbranch_execz .LBB224_1048
; %bb.1016:
	v_mov_b32_e32 v4, 0
	v_mov_b32_e32 v5, 0x7ff00000
	v_cmp_neq_f64_e64 s[0:1], |v[2:3]|, v[4:5]
	s_and_saveexec_b64 s[22:23], s[0:1]
	s_cbranch_execz .LBB224_1047
; %bb.1017:
	v_cmp_o_f64_e32 vcc, v[0:1], v[0:1]
                                        ; implicit-def: $vgpr4_vgpr5
	s_and_saveexec_b64 s[0:1], vcc
	s_xor_b64 s[24:25], exec, s[0:1]
	s_cbranch_execz .LBB224_1044
; %bb.1018:
	s_mov_b32 s0, 0
	s_mov_b32 s1, 0x7ff00000
	v_cmp_neq_f64_e64 s[0:1], |v[0:1]|, s[0:1]
                                        ; implicit-def: $vgpr4_vgpr5
	s_and_saveexec_b64 s[2:3], s[0:1]
	s_xor_b64 s[26:27], exec, s[2:3]
	s_cbranch_execz .LBB224_1037
; %bb.1019:
	v_max_f64 v[4:5], |v[2:3]|, |v[2:3]|
	v_max_f64 v[6:7], |v[0:1]|, |v[0:1]|
	s_mov_b32 s0, 0x99fcef32
	v_max_f64 v[4:5], v[6:7], v[4:5]
	s_mov_b32 s1, 0x7fda8279
	v_cmp_nle_f64_e64 s[0:1], s[0:1], v[4:5]
                                        ; implicit-def: $sgpr28_sgpr29
	s_and_saveexec_b64 s[2:3], s[0:1]
	s_xor_b64 s[2:3], exec, s[2:3]
	s_cbranch_execz .LBB224_1023
; %bb.1020:
	s_mov_b32 s28, 0
	s_mov_b32 s29, 0x200000
	v_cmp_le_f64_e64 s[30:31], |v[0:1]|, s[28:29]
	v_cmp_le_f64_e64 s[28:29], |v[2:3]|, s[28:29]
	s_and_b64 s[34:35], s[30:31], s[28:29]
	s_mov_b64 s[28:29], 0
	s_and_saveexec_b64 s[30:31], s[34:35]
; %bb.1021:
	s_mov_b64 s[28:29], exec
	v_mul_f64 v[0:1], v[0:1], 4.0
	v_mul_f64 v[2:3], v[2:3], 4.0
; %bb.1022:
	s_or_b64 exec, exec, s[30:31]
.LBB224_1023:
	s_andn2_saveexec_b64 s[2:3], s[2:3]
; %bb.1024:
	v_ldexp_f64 v[0:1], v[0:1], -2
	v_ldexp_f64 v[2:3], v[2:3], -2
	s_andn2_b64 s[28:29], s[28:29], exec
; %bb.1025:
	s_or_b64 exec, exec, s[2:3]
	v_max_f64 v[4:5], |v[2:3]|, |v[2:3]|
	v_max_f64 v[6:7], |v[0:1]|, |v[0:1]|
	v_max_f64 v[4:5], v[6:7], v[4:5]
	v_frexp_exp_i32_f64_e32 v12, v[4:5]
	v_sub_u32_e32 v6, 0, v12
	v_ldexp_f64 v[4:5], |v[0:1]|, v6
	v_ldexp_f64 v[6:7], |v[2:3]|, v6
	v_mul_f64 v[6:7], v[6:7], v[6:7]
	v_fmac_f64_e32 v[6:7], v[4:5], v[4:5]
	v_rsq_f64_e32 v[4:5], v[6:7]
	v_cmp_eq_f64_e64 s[2:3], 0, v[6:7]
	s_movk_i32 s30, 0x204
	v_cmp_le_f64_e32 vcc, 0, v[0:1]
	v_mul_f64 v[8:9], v[6:7], v[4:5]
	v_mul_f64 v[4:5], v[4:5], 0.5
	v_fma_f64 v[10:11], -v[4:5], v[8:9], 0.5
	v_fmac_f64_e32 v[8:9], v[8:9], v[10:11]
	v_fmac_f64_e32 v[4:5], v[4:5], v[10:11]
	v_fma_f64 v[10:11], -v[8:9], v[8:9], v[6:7]
	v_fmac_f64_e32 v[8:9], v[10:11], v[4:5]
	v_cndmask_b32_e64 v5, v9, v7, s[2:3]
	v_cndmask_b32_e64 v4, v8, v6, s[2:3]
	v_ldexp_f64 v[4:5], v[4:5], v12
	v_cmp_o_f64_e64 s[2:3], v[2:3], v[2:3]
	v_mov_b32_e32 v6, 0x7ff80000
                                        ; implicit-def: $vgpr8_vgpr9
	s_nop 0
	v_cndmask_b32_e64 v4, 0, v4, s[2:3]
	v_cndmask_b32_e64 v5, v6, v5, s[2:3]
	v_cmp_class_f64_e64 s[2:3], v[0:1], s30
	v_cmp_class_f64_e64 s[30:31], v[2:3], s30
	v_mov_b32_e32 v6, 0x7ff00000
	s_or_b64 s[2:3], s[30:31], s[2:3]
	v_cndmask_b32_e64 v5, v5, v6, s[2:3]
	v_cndmask_b32_e64 v4, v4, 0, s[2:3]
                                        ; implicit-def: $vgpr6_vgpr7
	s_and_saveexec_b64 s[2:3], vcc
	s_xor_b64 s[2:3], exec, s[2:3]
	s_cbranch_execz .LBB224_1030
; %bb.1026:
	v_add_f64 v[0:1], v[0:1], v[4:5]
	s_mov_b32 s30, 0
	v_mul_f64 v[0:1], v[0:1], 0.5
	s_brev_b32 s31, 8
	v_mov_b32_e32 v4, 0x100
	v_cmp_gt_f64_e32 vcc, s[30:31], v[0:1]
	s_nop 1
	v_cndmask_b32_e32 v4, 0, v4, vcc
	v_ldexp_f64 v[0:1], v[0:1], v4
	v_rsq_f64_e32 v[4:5], v[0:1]
	s_nop 0
	v_mul_f64 v[6:7], v[0:1], v[4:5]
	v_mul_f64 v[4:5], v[4:5], 0.5
	v_fma_f64 v[8:9], -v[4:5], v[6:7], 0.5
	v_fmac_f64_e32 v[6:7], v[6:7], v[8:9]
	v_fma_f64 v[10:11], -v[6:7], v[6:7], v[0:1]
	v_fmac_f64_e32 v[4:5], v[4:5], v[8:9]
	v_fmac_f64_e32 v[6:7], v[10:11], v[4:5]
	v_fma_f64 v[8:9], -v[6:7], v[6:7], v[0:1]
	v_fmac_f64_e32 v[6:7], v[8:9], v[4:5]
	v_mov_b32_e32 v4, 0xffffff80
	v_cndmask_b32_e32 v4, 0, v4, vcc
	v_ldexp_f64 v[4:5], v[6:7], v4
	v_mov_b32_e32 v6, 0x260
	v_cmp_class_f64_e32 vcc, v[0:1], v6
	s_nop 1
	v_cndmask_b32_e32 v9, v5, v1, vcc
	v_cndmask_b32_e32 v8, v4, v0, vcc
	v_add_f64 v[0:1], v[8:9], v[8:9]
	v_div_scale_f64 v[4:5], s[30:31], v[0:1], v[0:1], v[2:3]
	v_rcp_f64_e32 v[6:7], v[4:5]
	s_nop 0
	v_fma_f64 v[10:11], -v[4:5], v[6:7], 1.0
	v_fmac_f64_e32 v[6:7], v[6:7], v[10:11]
	v_fma_f64 v[10:11], -v[4:5], v[6:7], 1.0
	v_fmac_f64_e32 v[6:7], v[6:7], v[10:11]
	v_div_scale_f64 v[10:11], vcc, v[2:3], v[0:1], v[2:3]
	v_mul_f64 v[12:13], v[10:11], v[6:7]
	v_fma_f64 v[4:5], -v[4:5], v[12:13], v[10:11]
	s_nop 1
	v_div_fmas_f64 v[4:5], v[4:5], v[6:7], v[12:13]
	v_div_fixup_f64 v[6:7], v[4:5], v[0:1], v[2:3]
                                        ; implicit-def: $vgpr4_vgpr5
                                        ; implicit-def: $vgpr0_vgpr1
	s_andn2_saveexec_b64 s[2:3], s[2:3]
	s_cbranch_execz .LBB224_1032
	s_branch .LBB224_1031
.LBB224_1027:
	s_or_b64 exec, exec, s[16:17]
	s_and_saveexec_b64 s[0:1], s[14:15]
	s_cbranch_execnz .LBB224_1125
.LBB224_1028:
	s_or_b64 exec, exec, s[0:1]
	s_and_saveexec_b64 s[0:1], s[20:21]
	s_xor_b64 s[14:15], exec, s[0:1]
	s_cbranch_execz .LBB224_1126
.LBB224_1029:
	v_cmp_neq_f64_e32 vcc, 0, v[4:5]
	s_waitcnt vmcnt(0)
	v_cmp_neq_f64_e64 s[0:1], 0, v[2:3]
	s_or_b64 s[0:1], vcc, s[0:1]
	s_nop 0
	v_cndmask_b32_e64 v0, 0, 1, s[0:1]
	global_store_byte v[8:9], v0, off
	s_or_b64 exec, exec, s[14:15]
	s_and_saveexec_b64 s[0:1], s[2:3]
	s_xor_b64 s[0:1], exec, s[0:1]
	s_cbranch_execz .LBB224_1164
	s_branch .LBB224_1127
.LBB224_1030:
	s_andn2_saveexec_b64 s[2:3], s[2:3]
	s_cbranch_execz .LBB224_1032
.LBB224_1031:
	v_add_f64 v[0:1], v[4:5], -v[0:1]
	s_mov_b32 s30, 0
	v_mul_f64 v[0:1], v[0:1], 0.5
	s_brev_b32 s31, 8
	v_mov_b32_e32 v4, 0x100
	v_cmp_gt_f64_e32 vcc, s[30:31], v[0:1]
	s_nop 1
	v_cndmask_b32_e32 v4, 0, v4, vcc
	v_ldexp_f64 v[0:1], v[0:1], v4
	v_rsq_f64_e32 v[4:5], v[0:1]
	s_nop 0
	v_mul_f64 v[6:7], v[0:1], v[4:5]
	v_mul_f64 v[4:5], v[4:5], 0.5
	v_fma_f64 v[8:9], -v[4:5], v[6:7], 0.5
	v_fmac_f64_e32 v[6:7], v[6:7], v[8:9]
	v_fma_f64 v[10:11], -v[6:7], v[6:7], v[0:1]
	v_fmac_f64_e32 v[4:5], v[4:5], v[8:9]
	v_fmac_f64_e32 v[6:7], v[10:11], v[4:5]
	v_fma_f64 v[8:9], -v[6:7], v[6:7], v[0:1]
	v_fmac_f64_e32 v[6:7], v[8:9], v[4:5]
	v_mov_b32_e32 v4, 0xffffff80
	v_cndmask_b32_e32 v4, 0, v4, vcc
	v_ldexp_f64 v[4:5], v[6:7], v4
	v_mov_b32_e32 v6, 0x260
	v_cmp_class_f64_e32 vcc, v[0:1], v6
	s_nop 1
	v_cndmask_b32_e32 v7, v5, v1, vcc
	v_cndmask_b32_e32 v6, v4, v0, vcc
	v_add_f64 v[0:1], v[6:7], v[6:7]
	v_and_b32_e32 v5, 0x7fffffff, v3
	v_mov_b32_e32 v4, v2
	v_div_scale_f64 v[8:9], s[30:31], v[0:1], v[0:1], v[4:5]
	v_rcp_f64_e32 v[10:11], v[8:9]
	v_div_scale_f64 v[4:5], vcc, v[4:5], v[0:1], v[4:5]
	s_brev_b32 s30, -2
	v_fma_f64 v[12:13], -v[8:9], v[10:11], 1.0
	v_fmac_f64_e32 v[10:11], v[10:11], v[12:13]
	v_fma_f64 v[12:13], -v[8:9], v[10:11], 1.0
	v_fmac_f64_e32 v[10:11], v[10:11], v[12:13]
	v_mul_f64 v[12:13], v[4:5], v[10:11]
	v_fma_f64 v[4:5], -v[8:9], v[12:13], v[4:5]
	v_div_fmas_f64 v[4:5], v[4:5], v[10:11], v[12:13]
	v_div_fixup_f64 v[8:9], v[4:5], v[0:1], |v[2:3]|
	v_bfi_b32 v7, s30, v7, v3
.LBB224_1032:
	s_or_b64 exec, exec, s[2:3]
                                        ; implicit-def: $vgpr2_vgpr3
                                        ; implicit-def: $vgpr4_vgpr5
	s_and_saveexec_b64 s[2:3], s[0:1]
	s_xor_b64 s[0:1], exec, s[2:3]
	s_cbranch_execz .LBB224_1034
; %bb.1033:
	v_mul_f64 v[0:1], v[8:9], 0.5
	v_mul_f64 v[2:3], v[6:7], 0.5
	v_cndmask_b32_e64 v5, v9, v1, s[28:29]
	v_cndmask_b32_e64 v4, v8, v0, s[28:29]
	;; [unrolled: 1-line block ×4, first 2 shown]
                                        ; implicit-def: $vgpr8_vgpr9
                                        ; implicit-def: $vgpr6_vgpr7
	s_andn2_saveexec_b64 s[0:1], s[0:1]
	s_cbranch_execnz .LBB224_1035
	s_branch .LBB224_1036
.LBB224_1034:
	s_andn2_saveexec_b64 s[0:1], s[0:1]
.LBB224_1035:
	v_add_f64 v[4:5], v[8:9], v[8:9]
	v_add_f64 v[2:3], v[6:7], v[6:7]
.LBB224_1036:
	s_or_b64 exec, exec, s[0:1]
.LBB224_1037:
	s_andn2_saveexec_b64 s[0:1], s[26:27]
	s_cbranch_execz .LBB224_1043
; %bb.1038:
	v_add_f64 v[6:7], v[2:3], -v[2:3]
	v_cmp_lt_i64_e32 vcc, -1, v[0:1]
	s_brev_b32 s26, -2
	v_and_b32_e32 v5, 0x7fffffff, v7
	v_mov_b32_e32 v4, v6
	s_and_saveexec_b64 s[2:3], vcc
	s_xor_b64 s[2:3], exec, s[2:3]
; %bb.1039:
	v_bfi_b32 v7, s26, v7, v3
	v_mov_b64_e32 v[2:3], v[6:7]
	v_mov_b64_e32 v[4:5], v[0:1]
; %bb.1040:
	s_andn2_saveexec_b64 s[2:3], s[2:3]
; %bb.1041:
	v_bfi_b32 v1, s26, v1, v3
	v_mov_b64_e32 v[2:3], v[0:1]
; %bb.1042:
	s_or_b64 exec, exec, s[2:3]
.LBB224_1043:
	s_or_b64 exec, exec, s[0:1]
.LBB224_1044:
	s_andn2_saveexec_b64 s[0:1], s[24:25]
	s_cbranch_execz .LBB224_1046
; %bb.1045:
	v_add_f64 v[2:3], v[2:3], -v[2:3]
	v_div_scale_f64 v[4:5], vcc, v[2:3], v[2:3], v[2:3]
	v_rcp_f64_e32 v[6:7], v[4:5]
	s_nop 0
	v_fma_f64 v[8:9], -v[4:5], v[6:7], 1.0
	v_fmac_f64_e32 v[6:7], v[6:7], v[8:9]
	v_fma_f64 v[8:9], -v[4:5], v[6:7], 1.0
	v_fmac_f64_e32 v[6:7], v[6:7], v[8:9]
	v_mul_f64 v[8:9], v[4:5], v[6:7]
	v_fma_f64 v[4:5], -v[4:5], v[8:9], v[4:5]
	v_div_fmas_f64 v[4:5], v[4:5], v[6:7], v[8:9]
	v_div_fixup_f64 v[2:3], v[4:5], v[2:3], v[2:3]
	v_mov_b64_e32 v[4:5], v[0:1]
.LBB224_1046:
	s_or_b64 exec, exec, s[0:1]
.LBB224_1047:
	s_or_b64 exec, exec, s[22:23]
.LBB224_1048:
	s_or_b64 exec, exec, s[20:21]
	v_mul_lo_u32 v0, v22, s8
	v_ashrrev_i32_e32 v1, 31, v0
	s_and_b32 s26, s33, 0xff
	s_cmp_lt_i32 s26, 11
	v_lshl_add_u64 v[8:9], s[4:5], 0, v[0:1]
	s_cbranch_scc1 .LBB224_1055
; %bb.1049:
	s_and_b32 s27, 0xffff, s26
	s_mov_b64 s[20:21], -1
	s_cmp_gt_i32 s27, 25
	s_mov_b64 s[0:1], s[14:15]
	s_cbranch_scc0 .LBB224_1083
; %bb.1050:
	s_mov_b64 s[2:3], -1
	s_cmp_gt_i32 s27, 28
	s_mov_b64 s[0:1], s[14:15]
	s_cbranch_scc0 .LBB224_1067
; %bb.1051:
	s_cmp_gt_i32 s27, 43
	s_mov_b64 s[0:1], s[14:15]
	s_cbranch_scc0 .LBB224_1063
; %bb.1052:
	;; [unrolled: 4-line block ×3, first 2 shown]
	s_cmp_eq_u32 s27, 46
	s_mov_b64 s[0:1], -1
	s_cbranch_scc0 .LBB224_1056
; %bb.1054:
	v_cvt_f32_f64_e32 v1, v[2:3]
	s_movk_i32 s0, 0x7fff
	v_bfe_u32 v7, v1, 16, 1
	v_cvt_f32_f64_e32 v0, v[4:5]
	v_add3_u32 v7, v1, v7, s0
	v_bfe_u32 v6, v0, 16, 1
	v_and_b32_e32 v7, 0xffff0000, v7
	v_mov_b32_e32 v10, 0x7fc00000
	v_cmp_o_f32_e32 vcc, v1, v1
	v_add3_u32 v6, v0, v6, s0
	s_mov_b64 s[0:1], 0
	v_cndmask_b32_e32 v1, v10, v7, vcc
	v_cmp_o_f32_e32 vcc, v0, v0
	v_mov_b32_e32 v0, 0x7fc0
	s_mov_b64 s[2:3], 0
	v_cndmask_b32_sdwa v0, v0, v6, vcc dst_sel:DWORD dst_unused:UNUSED_PAD src0_sel:DWORD src1_sel:WORD_1
	v_or_b32_e32 v0, v1, v0
	global_store_dword v[8:9], v0, off
	s_branch .LBB224_1057
.LBB224_1055:
	s_mov_b64 s[20:21], 0
	s_mov_b64 s[2:3], -1
	s_mov_b64 s[0:1], s[14:15]
	s_branch .LBB224_1124
.LBB224_1056:
	s_mov_b64 s[2:3], 0
.LBB224_1057:
	s_and_b64 vcc, exec, s[2:3]
	s_cbranch_vccz .LBB224_1062
; %bb.1058:
	s_cmp_eq_u32 s27, 44
	s_mov_b64 s[0:1], -1
	s_cbranch_scc0 .LBB224_1062
; %bb.1059:
	v_cvt_f32_f64_e32 v0, v[4:5]
	v_bfe_u32 v1, v0, 23, 8
	s_movk_i32 s0, 0xff
	v_cmp_ne_u32_e32 vcc, s0, v1
	v_mov_b32_e32 v6, 0xff
	s_and_saveexec_b64 s[2:3], vcc
; %bb.1060:
	s_mov_b32 s0, 0x3fffff
	v_lshrrev_b32_e32 v6, 23, v0
	v_and_b32_e32 v7, 0x400000, v0
	v_and_or_b32 v0, v0, s0, v1
	v_cmp_ne_u32_e32 vcc, 0, v7
	v_cmp_ne_u32_e64 s[0:1], 0, v0
	s_and_b64 s[0:1], vcc, s[0:1]
	s_nop 0
	v_cndmask_b32_e64 v0, 0, 1, s[0:1]
	v_add_u32_e32 v6, v6, v0
; %bb.1061:
	s_or_b64 exec, exec, s[2:3]
	s_mov_b64 s[0:1], 0
	global_store_byte v[8:9], v6, off
.LBB224_1062:
	s_mov_b64 s[2:3], 0
.LBB224_1063:
	s_and_b64 vcc, exec, s[2:3]
	s_cbranch_vccz .LBB224_1066
; %bb.1064:
	s_cmp_eq_u32 s27, 29
	s_mov_b64 s[0:1], -1
	s_cbranch_scc0 .LBB224_1066
; %bb.1065:
	v_trunc_f64_e32 v[0:1], v[4:5]
	s_movk_i32 s0, 0xffe0
	v_ldexp_f64 v[6:7], v[0:1], s0
	v_floor_f64_e32 v[6:7], v[6:7]
	v_fmac_f64_e32 v[0:1], 0xc1f00000, v[6:7]
	v_cvt_u32_f64_e32 v11, v[6:7]
	v_cvt_u32_f64_e32 v10, v[0:1]
	global_store_dwordx2 v[8:9], v[10:11], off
	s_mov_b64 s[0:1], 0
.LBB224_1066:
	s_mov_b64 s[2:3], 0
.LBB224_1067:
	s_and_b64 vcc, exec, s[2:3]
	s_cbranch_vccz .LBB224_1082
; %bb.1068:
	s_cmp_lt_i32 s27, 27
	s_mov_b64 s[2:3], -1
	s_cbranch_scc1 .LBB224_1074
; %bb.1069:
	s_cmp_gt_i32 s27, 27
	v_cvt_u32_f64_e32 v0, v[4:5]
	s_cbranch_scc0 .LBB224_1071
; %bb.1070:
	s_mov_b64 s[2:3], 0
	global_store_dword v[8:9], v0, off
.LBB224_1071:
	s_andn2_b64 vcc, exec, s[2:3]
	s_cbranch_vccnz .LBB224_1073
; %bb.1072:
	global_store_short v[8:9], v0, off
.LBB224_1073:
	s_mov_b64 s[2:3], 0
.LBB224_1074:
	s_andn2_b64 vcc, exec, s[2:3]
	s_cbranch_vccnz .LBB224_1082
; %bb.1075:
	v_cvt_f32_f64_e32 v0, v[4:5]
	v_and_b32_e32 v1, 0x7fffffff, v0
	s_mov_b32 s2, 0x43800000
	v_cmp_gt_u32_e32 vcc, s2, v1
	v_mov_b32_e32 v6, 0x80
	s_and_saveexec_b64 s[2:3], vcc
	s_cbranch_execz .LBB224_1081
; %bb.1076:
	s_mov_b32 s20, 0x3bffffff
	v_cmp_lt_u32_e32 vcc, s20, v1
	s_mov_b64 s[20:21], 0
                                        ; implicit-def: $vgpr1
	s_and_saveexec_b64 s[22:23], vcc
	s_xor_b64 s[22:23], exec, s[22:23]
	s_cbranch_execz .LBB224_1179
; %bb.1077:
	v_bfe_u32 v1, v0, 20, 1
	s_mov_b32 s24, 0x487ffff
	v_add3_u32 v1, v0, v1, s24
	s_mov_b64 s[20:21], exec
	v_lshrrev_b32_e32 v1, 20, v1
	s_andn2_saveexec_b64 s[22:23], s[22:23]
	s_cbranch_execnz .LBB224_1180
.LBB224_1078:
	s_or_b64 exec, exec, s[22:23]
	v_mov_b32_e32 v6, 0
	s_and_saveexec_b64 s[22:23], s[20:21]
.LBB224_1079:
	v_lshrrev_b32_e32 v0, 24, v0
	s_movk_i32 s20, 0x80
	v_and_or_b32 v6, v0, s20, v1
.LBB224_1080:
	s_or_b64 exec, exec, s[22:23]
.LBB224_1081:
	s_or_b64 exec, exec, s[2:3]
	global_store_byte v[8:9], v6, off
.LBB224_1082:
	s_mov_b64 s[20:21], 0
.LBB224_1083:
	s_mov_b64 s[2:3], 0
	s_and_b64 vcc, exec, s[20:21]
	s_cbranch_vccz .LBB224_1123
; %bb.1084:
	s_cmp_gt_i32 s27, 22
	s_mov_b64 s[20:21], -1
	s_cbranch_scc0 .LBB224_1116
; %bb.1085:
	s_cmp_lt_i32 s27, 24
	s_cbranch_scc1 .LBB224_1105
; %bb.1086:
	s_cmp_gt_i32 s27, 24
	s_cbranch_scc0 .LBB224_1094
; %bb.1087:
	v_cvt_f32_f64_e32 v0, v[4:5]
	v_and_b32_e32 v1, 0x7fffffff, v0
	s_mov_b32 s20, 0x47800000
	v_cmp_gt_u32_e32 vcc, s20, v1
	v_mov_b32_e32 v6, 0x80
	s_and_saveexec_b64 s[20:21], vcc
	s_cbranch_execz .LBB224_1093
; %bb.1088:
	s_mov_b32 s22, 0x37ffffff
	v_cmp_lt_u32_e32 vcc, s22, v1
	s_mov_b64 s[22:23], 0
                                        ; implicit-def: $vgpr1
	s_and_saveexec_b64 s[24:25], vcc
	s_xor_b64 s[24:25], exec, s[24:25]
	s_cbranch_execz .LBB224_1340
; %bb.1089:
	v_bfe_u32 v1, v0, 21, 1
	s_mov_b32 s28, 0x88fffff
	v_add3_u32 v1, v0, v1, s28
	s_mov_b64 s[22:23], exec
	v_lshrrev_b32_e32 v1, 21, v1
	s_andn2_saveexec_b64 s[24:25], s[24:25]
	s_cbranch_execnz .LBB224_1341
.LBB224_1090:
	s_or_b64 exec, exec, s[24:25]
	v_mov_b32_e32 v6, 0
	s_and_saveexec_b64 s[24:25], s[22:23]
.LBB224_1091:
	v_lshrrev_b32_e32 v0, 24, v0
	s_movk_i32 s22, 0x80
	v_and_or_b32 v6, v0, s22, v1
.LBB224_1092:
	s_or_b64 exec, exec, s[24:25]
.LBB224_1093:
	s_or_b64 exec, exec, s[20:21]
	s_mov_b64 s[20:21], 0
	global_store_byte v[8:9], v6, off
.LBB224_1094:
	s_and_b64 vcc, exec, s[20:21]
	s_cbranch_vccz .LBB224_1104
; %bb.1095:
	v_cvt_f32_f64_e32 v0, v[4:5]
	v_and_b32_e32 v6, 0x7fffffff, v0
	s_mov_b32 s20, 0x43f00000
	v_cmp_gt_u32_e32 vcc, s20, v6
                                        ; implicit-def: $vgpr1
	s_and_saveexec_b64 s[20:21], vcc
	s_xor_b64 s[20:21], exec, s[20:21]
	s_cbranch_execz .LBB224_1101
; %bb.1096:
	s_mov_b32 s22, 0x3c7fffff
	v_cmp_lt_u32_e32 vcc, s22, v6
                                        ; implicit-def: $vgpr1
	s_and_saveexec_b64 s[22:23], vcc
	s_xor_b64 s[22:23], exec, s[22:23]
; %bb.1097:
	v_bfe_u32 v1, v0, 20, 1
	s_mov_b32 s24, 0x407ffff
	v_add3_u32 v1, v0, v1, s24
	v_lshrrev_b32_e32 v6, 20, v1
	v_and_b32_e32 v1, 0xff00000, v1
	s_mov_b32 s24, 0x7f00000
	v_mov_b32_e32 v7, 0x7e
	v_cmp_ne_u32_e32 vcc, s24, v1
	s_nop 1
	v_cndmask_b32_e32 v1, v7, v6, vcc
; %bb.1098:
	s_andn2_saveexec_b64 s[22:23], s[22:23]
; %bb.1099:
	s_mov_b32 s24, 0x46800000
	v_add_f32_e64 v1, |v0|, s24
; %bb.1100:
	s_or_b64 exec, exec, s[22:23]
                                        ; implicit-def: $vgpr6
.LBB224_1101:
	s_andn2_saveexec_b64 s[20:21], s[20:21]
; %bb.1102:
	s_mov_b32 s22, 0x7f800000
	v_mov_b32_e32 v1, 0x7e
	v_mov_b32_e32 v7, 0x7f
	v_cmp_lt_u32_e32 vcc, s22, v6
	s_nop 1
	v_cndmask_b32_e32 v1, v1, v7, vcc
; %bb.1103:
	s_or_b64 exec, exec, s[20:21]
	v_lshrrev_b32_e32 v0, 24, v0
	s_movk_i32 s20, 0x80
	v_and_or_b32 v0, v0, s20, v1
	global_store_byte v[8:9], v0, off
.LBB224_1104:
	s_mov_b64 s[20:21], 0
.LBB224_1105:
	s_andn2_b64 vcc, exec, s[20:21]
	s_cbranch_vccnz .LBB224_1115
; %bb.1106:
	v_cvt_f32_f64_e32 v0, v[4:5]
	v_and_b32_e32 v6, 0x7fffffff, v0
	s_mov_b32 s20, 0x47800000
	v_cmp_gt_u32_e32 vcc, s20, v6
                                        ; implicit-def: $vgpr1
	s_and_saveexec_b64 s[20:21], vcc
	s_xor_b64 s[20:21], exec, s[20:21]
	s_cbranch_execz .LBB224_1112
; %bb.1107:
	s_mov_b32 s22, 0x387fffff
	v_cmp_lt_u32_e32 vcc, s22, v6
                                        ; implicit-def: $vgpr1
	s_and_saveexec_b64 s[22:23], vcc
	s_xor_b64 s[22:23], exec, s[22:23]
; %bb.1108:
	v_bfe_u32 v1, v0, 21, 1
	s_mov_b32 s24, 0x80fffff
	v_add3_u32 v1, v0, v1, s24
	v_lshrrev_b32_e32 v1, 21, v1
; %bb.1109:
	s_andn2_saveexec_b64 s[22:23], s[22:23]
; %bb.1110:
	s_mov_b32 s24, 0x43000000
	v_add_f32_e64 v1, |v0|, s24
; %bb.1111:
	s_or_b64 exec, exec, s[22:23]
                                        ; implicit-def: $vgpr6
.LBB224_1112:
	s_andn2_saveexec_b64 s[20:21], s[20:21]
; %bb.1113:
	s_mov_b32 s22, 0x7f800000
	v_mov_b32_e32 v1, 0x7c
	v_mov_b32_e32 v7, 0x7f
	v_cmp_lt_u32_e32 vcc, s22, v6
	s_nop 1
	v_cndmask_b32_e32 v1, v1, v7, vcc
; %bb.1114:
	s_or_b64 exec, exec, s[20:21]
	v_lshrrev_b32_e32 v0, 24, v0
	s_movk_i32 s20, 0x80
	v_and_or_b32 v0, v0, s20, v1
	global_store_byte v[8:9], v0, off
.LBB224_1115:
	s_mov_b64 s[20:21], 0
.LBB224_1116:
	s_andn2_b64 vcc, exec, s[20:21]
	s_mov_b64 s[20:21], 0
	s_cbranch_vccnz .LBB224_1124
; %bb.1117:
	s_cmp_gt_i32 s27, 14
	s_mov_b64 s[22:23], -1
	s_cbranch_scc0 .LBB224_1121
; %bb.1118:
	s_cmp_eq_u32 s27, 15
	s_mov_b64 s[0:1], -1
	s_cbranch_scc0 .LBB224_1120
; %bb.1119:
	v_cvt_f32_f64_e32 v0, v[4:5]
	v_bfe_u32 v1, v0, 16, 1
	s_movk_i32 s0, 0x7fff
	v_add3_u32 v1, v0, v1, s0
	v_cmp_o_f32_e32 vcc, v0, v0
	v_mov_b32_e32 v0, 0x7fc0
	s_mov_b64 s[0:1], 0
	v_cndmask_b32_sdwa v0, v0, v1, vcc dst_sel:DWORD dst_unused:UNUSED_PAD src0_sel:DWORD src1_sel:WORD_1
	global_store_short v[8:9], v0, off
.LBB224_1120:
	s_mov_b64 s[22:23], 0
.LBB224_1121:
	s_and_b64 vcc, exec, s[22:23]
	s_cbranch_vccz .LBB224_1124
; %bb.1122:
	s_cmp_lg_u32 s27, 11
	s_cselect_b64 s[22:23], -1, 0
	s_andn2_b64 s[0:1], s[0:1], exec
	s_and_b64 s[22:23], s[22:23], exec
	s_mov_b64 s[20:21], -1
	s_or_b64 s[0:1], s[0:1], s[22:23]
	s_branch .LBB224_1124
.LBB224_1123:
	s_mov_b64 s[20:21], 0
.LBB224_1124:
	s_andn2_b64 s[14:15], s[14:15], exec
	s_and_b64 s[0:1], s[0:1], exec
	s_and_b64 s[2:3], s[2:3], exec
	;; [unrolled: 1-line block ×3, first 2 shown]
	s_or_b64 s[14:15], s[14:15], s[0:1]
	s_or_b64 exec, exec, s[16:17]
	s_and_saveexec_b64 s[0:1], s[14:15]
	s_cbranch_execz .LBB224_1028
.LBB224_1125:
	s_or_b64 s[18:19], s[18:19], exec
	s_andn2_b64 s[20:21], s[20:21], exec
	s_trap 2
	s_or_b64 exec, exec, s[0:1]
	s_and_saveexec_b64 s[0:1], s[20:21]
	s_xor_b64 s[14:15], exec, s[0:1]
	s_cbranch_execnz .LBB224_1029
.LBB224_1126:
	s_or_b64 exec, exec, s[14:15]
	s_and_saveexec_b64 s[0:1], s[2:3]
	s_xor_b64 s[0:1], exec, s[0:1]
	s_cbranch_execz .LBB224_1164
.LBB224_1127:
	s_sext_i32_i16 s14, s26
	s_cmp_lt_i32 s14, 5
	s_mov_b64 s[2:3], -1
	s_cbranch_scc1 .LBB224_1148
; %bb.1128:
	s_cmp_lt_i32 s14, 8
	s_cbranch_scc1 .LBB224_1138
; %bb.1129:
	s_cmp_lt_i32 s14, 9
	s_cbranch_scc1 .LBB224_1135
; %bb.1130:
	s_cmp_gt_i32 s14, 9
	s_cbranch_scc0 .LBB224_1132
; %bb.1131:
	s_waitcnt vmcnt(0)
	v_mov_b32_e32 v6, v2
	v_mov_b32_e32 v7, v3
	s_mov_b64 s[2:3], 0
	global_store_dwordx4 v[8:9], v[4:7], off
.LBB224_1132:
	s_andn2_b64 vcc, exec, s[2:3]
	s_cbranch_vccnz .LBB224_1134
; %bb.1133:
	s_waitcnt vmcnt(0)
	v_cvt_f32_f64_e32 v0, v[4:5]
	v_cvt_f32_f64_e32 v1, v[2:3]
	global_store_dwordx2 v[8:9], v[0:1], off
.LBB224_1134:
	s_mov_b64 s[2:3], 0
.LBB224_1135:
	s_andn2_b64 vcc, exec, s[2:3]
	s_cbranch_vccnz .LBB224_1137
; %bb.1136:
	s_movk_i32 s2, 0x1ff
	s_waitcnt vmcnt(0)
	v_and_or_b32 v0, v5, s2, v4
	v_cmp_ne_u32_e32 vcc, 0, v0
	v_lshrrev_b32_e32 v1, 8, v5
	s_movk_i32 s3, 0xffe
	v_cndmask_b32_e64 v0, 0, 1, vcc
	v_bfe_u32 v6, v5, 20, 11
	v_and_or_b32 v0, v1, s3, v0
	v_sub_u32_e32 v7, 0x3f1, v6
	v_or_b32_e32 v1, 0x1000, v0
	v_med3_i32 v7, v7, 0, 13
	v_lshrrev_b32_e32 v10, v7, v1
	v_lshlrev_b32_e32 v7, v7, v10
	v_cmp_ne_u32_e32 vcc, v7, v1
	v_add_u32_e32 v6, 0xfffffc10, v6
	v_lshl_or_b32 v7, v6, 12, v0
	v_cndmask_b32_e64 v1, 0, 1, vcc
	v_or_b32_e32 v1, v10, v1
	v_cmp_gt_i32_e32 vcc, 1, v6
	s_movk_i32 s14, 0x40f
	v_and_or_b32 v2, v3, s2, v2
	v_cndmask_b32_e32 v1, v7, v1, vcc
	v_and_b32_e32 v7, 7, v1
	v_cmp_lt_i32_e32 vcc, 5, v7
	v_lshrrev_b32_e32 v1, 2, v1
	v_bfe_u32 v11, v3, 20, 11
	v_cndmask_b32_e64 v10, 0, 1, vcc
	v_cmp_eq_u32_e32 vcc, 3, v7
	v_sub_u32_e32 v12, 0x3f1, v11
	v_med3_i32 v12, v12, 0, 13
	v_cndmask_b32_e64 v7, 0, 1, vcc
	v_or_b32_e32 v7, v7, v10
	v_add_u32_e32 v1, v1, v7
	v_mov_b32_e32 v7, 0x7c00
	v_cmp_gt_i32_e32 vcc, 31, v6
	v_mov_b32_e32 v10, 0x7e00
	v_add_u32_e32 v11, 0xfffffc10, v11
	v_cndmask_b32_e32 v1, v7, v1, vcc
	v_cmp_ne_u32_e32 vcc, 0, v0
	s_mov_b32 s15, 0x8000
	s_mov_b32 s2, 0xffff
	v_cndmask_b32_e32 v0, v7, v10, vcc
	v_cmp_eq_u32_e32 vcc, s14, v6
	v_lshrrev_b32_e32 v6, 8, v3
	v_lshrrev_b32_e32 v3, 16, v3
	v_cndmask_b32_e32 v0, v1, v0, vcc
	v_cmp_ne_u32_e32 vcc, 0, v2
	v_and_b32_sdwa v1, v5, s15 dst_sel:DWORD dst_unused:UNUSED_PAD src0_sel:WORD_1 src1_sel:DWORD
	v_bitop3_b32 v0, v1, s2, v0 bitop3:0xc8
	v_cndmask_b32_e64 v2, 0, 1, vcc
	v_and_or_b32 v2, v6, s3, v2
	v_or_b32_e32 v6, 0x1000, v2
	v_lshrrev_b32_e32 v13, v12, v6
	v_lshlrev_b32_e32 v12, v12, v13
	v_cmp_ne_u32_e32 vcc, v12, v6
	v_lshl_or_b32 v12, v11, 12, v2
	s_nop 0
	v_cndmask_b32_e64 v6, 0, 1, vcc
	v_or_b32_e32 v6, v13, v6
	v_cmp_gt_i32_e32 vcc, 1, v11
	s_nop 1
	v_cndmask_b32_e32 v6, v12, v6, vcc
	v_and_b32_e32 v12, 7, v6
	v_cmp_lt_i32_e32 vcc, 5, v12
	v_lshrrev_b32_e32 v6, 2, v6
	s_nop 0
	v_cndmask_b32_e64 v13, 0, 1, vcc
	v_cmp_eq_u32_e32 vcc, 3, v12
	s_nop 1
	v_cndmask_b32_e64 v12, 0, 1, vcc
	v_or_b32_e32 v12, v12, v13
	v_add_u32_e32 v6, v6, v12
	v_cmp_gt_i32_e32 vcc, 31, v11
	s_nop 1
	v_cndmask_b32_e32 v6, v7, v6, vcc
	v_cmp_ne_u32_e32 vcc, 0, v2
	s_nop 1
	v_cndmask_b32_e32 v2, v7, v10, vcc
	v_cmp_eq_u32_e32 vcc, s14, v11
	s_nop 1
	v_cndmask_b32_e32 v2, v6, v2, vcc
	v_and_or_b32 v2, v3, s15, v2
	v_lshl_or_b32 v0, v2, 16, v0
	global_store_dword v[8:9], v0, off
.LBB224_1137:
	s_mov_b64 s[2:3], 0
.LBB224_1138:
	s_andn2_b64 vcc, exec, s[2:3]
	s_cbranch_vccnz .LBB224_1147
; %bb.1139:
	s_sext_i32_i16 s14, s26
	s_cmp_lt_i32 s14, 6
	s_mov_b64 s[2:3], -1
	s_cbranch_scc1 .LBB224_1145
; %bb.1140:
	s_cmp_gt_i32 s14, 6
	s_cbranch_scc0 .LBB224_1142
; %bb.1141:
	s_mov_b64 s[2:3], 0
	global_store_dwordx2 v[8:9], v[4:5], off
.LBB224_1142:
	s_andn2_b64 vcc, exec, s[2:3]
	s_cbranch_vccnz .LBB224_1144
; %bb.1143:
	s_waitcnt vmcnt(0)
	v_cvt_f32_f64_e32 v0, v[4:5]
	global_store_dword v[8:9], v0, off
.LBB224_1144:
	s_mov_b64 s[2:3], 0
.LBB224_1145:
	s_andn2_b64 vcc, exec, s[2:3]
	s_cbranch_vccnz .LBB224_1147
; %bb.1146:
	s_movk_i32 s2, 0x1ff
	s_waitcnt vmcnt(0)
	v_and_or_b32 v0, v5, s2, v4
	v_cmp_ne_u32_e32 vcc, 0, v0
	v_lshrrev_b32_e32 v1, 8, v5
	s_movk_i32 s2, 0xffe
	v_cndmask_b32_e64 v0, 0, 1, vcc
	v_bfe_u32 v2, v5, 20, 11
	v_and_or_b32 v0, v1, s2, v0
	v_sub_u32_e32 v3, 0x3f1, v2
	v_or_b32_e32 v1, 0x1000, v0
	v_med3_i32 v3, v3, 0, 13
	v_lshrrev_b32_e32 v6, v3, v1
	v_lshlrev_b32_e32 v3, v3, v6
	v_cmp_ne_u32_e32 vcc, v3, v1
	v_add_u32_e32 v2, 0xfffffc10, v2
	v_lshl_or_b32 v3, v2, 12, v0
	v_cndmask_b32_e64 v1, 0, 1, vcc
	v_or_b32_e32 v1, v6, v1
	v_cmp_gt_i32_e32 vcc, 1, v2
	s_movk_i32 s2, 0x40f
	s_nop 0
	v_cndmask_b32_e32 v1, v3, v1, vcc
	v_and_b32_e32 v3, 7, v1
	v_cmp_lt_i32_e32 vcc, 5, v3
	v_lshrrev_b32_e32 v1, 2, v1
	s_nop 0
	v_cndmask_b32_e64 v6, 0, 1, vcc
	v_cmp_eq_u32_e32 vcc, 3, v3
	s_nop 1
	v_cndmask_b32_e64 v3, 0, 1, vcc
	v_or_b32_e32 v3, v3, v6
	v_add_u32_e32 v1, v1, v3
	v_mov_b32_e32 v3, 0x7c00
	v_cmp_gt_i32_e32 vcc, 31, v2
	v_mov_b32_e32 v6, 0x7e00
	s_nop 0
	v_cndmask_b32_e32 v1, v3, v1, vcc
	v_cmp_ne_u32_e32 vcc, 0, v0
	s_nop 1
	v_cndmask_b32_e32 v0, v3, v6, vcc
	v_cmp_eq_u32_e32 vcc, s2, v2
	s_mov_b32 s2, 0x8000
	s_nop 0
	v_cndmask_b32_e32 v0, v1, v0, vcc
	v_lshrrev_b32_e32 v1, 16, v5
	v_and_or_b32 v0, v1, s2, v0
	global_store_short v[8:9], v0, off
.LBB224_1147:
	s_mov_b64 s[2:3], 0
.LBB224_1148:
	s_andn2_b64 vcc, exec, s[2:3]
	s_cbranch_vccnz .LBB224_1164
; %bb.1149:
	s_sext_i32_i16 s14, s26
	s_cmp_lt_i32 s14, 2
	s_mov_b64 s[2:3], -1
	s_cbranch_scc1 .LBB224_1159
; %bb.1150:
	s_cmp_lt_i32 s14, 3
	s_cbranch_scc1 .LBB224_1156
; %bb.1151:
	s_cmp_gt_i32 s14, 3
	s_cbranch_scc0 .LBB224_1153
; %bb.1152:
	s_waitcnt vmcnt(0)
	v_trunc_f64_e32 v[0:1], v[4:5]
	s_movk_i32 s2, 0xffe0
	v_ldexp_f64 v[2:3], v[0:1], s2
	v_floor_f64_e32 v[2:3], v[2:3]
	v_fmac_f64_e32 v[0:1], 0xc1f00000, v[2:3]
	v_cvt_i32_f64_e32 v7, v[2:3]
	v_cvt_u32_f64_e32 v6, v[0:1]
	s_mov_b64 s[2:3], 0
	global_store_dwordx2 v[8:9], v[6:7], off
.LBB224_1153:
	s_andn2_b64 vcc, exec, s[2:3]
	s_cbranch_vccnz .LBB224_1155
; %bb.1154:
	s_waitcnt vmcnt(0)
	v_cvt_i32_f64_e32 v0, v[4:5]
	global_store_dword v[8:9], v0, off
.LBB224_1155:
	s_mov_b64 s[2:3], 0
.LBB224_1156:
	s_andn2_b64 vcc, exec, s[2:3]
	s_cbranch_vccnz .LBB224_1158
; %bb.1157:
	s_waitcnt vmcnt(0)
	v_cvt_i32_f64_e32 v0, v[4:5]
	global_store_short v[8:9], v0, off
.LBB224_1158:
	s_mov_b64 s[2:3], 0
.LBB224_1159:
	s_andn2_b64 vcc, exec, s[2:3]
	s_cbranch_vccnz .LBB224_1164
; %bb.1160:
	s_sext_i32_i16 s2, s26
	s_cmp_gt_i32 s2, 0
	s_mov_b64 s[2:3], -1
	s_cbranch_scc0 .LBB224_1162
; %bb.1161:
	s_waitcnt vmcnt(0)
	v_cvt_i32_f64_e32 v0, v[4:5]
	s_mov_b64 s[2:3], 0
	global_store_byte v[8:9], v0, off
.LBB224_1162:
	s_andn2_b64 vcc, exec, s[2:3]
	s_cbranch_vccnz .LBB224_1164
; %bb.1163:
	s_waitcnt vmcnt(0)
	v_trunc_f64_e32 v[0:1], v[4:5]
	s_movk_i32 s2, 0xffe0
	v_ldexp_f64 v[2:3], v[0:1], s2
	v_floor_f64_e32 v[2:3], v[2:3]
	v_fmac_f64_e32 v[0:1], 0xc1f00000, v[2:3]
	v_cvt_u32_f64_e32 v0, v[0:1]
	global_store_byte v[8:9], v0, off
.LBB224_1164:
	s_or_b64 exec, exec, s[0:1]
	s_and_b64 s[14:15], s[18:19], exec
                                        ; implicit-def: $vgpr22
.LBB224_1165:
	s_or_saveexec_b64 s[12:13], s[12:13]
	s_mov_b64 s[18:19], 0
                                        ; implicit-def: $sgpr20
                                        ; implicit-def: $vgpr0_vgpr1
                                        ; implicit-def: $vgpr16_vgpr17
                                        ; implicit-def: $vgpr18_vgpr19
	s_xor_b64 exec, exec, s[12:13]
	s_cbranch_execz .LBB224_1804
; %bb.1166:
	v_mul_lo_u32 v4, s9, v22
	v_ashrrev_i32_e32 v5, 31, v4
	s_and_b32 s28, 0xffff, s44
	s_cmp_lt_i32 s28, 11
	v_lshl_add_u64 v[6:7], s[6:7], 0, v[4:5]
	s_cbranch_scc1 .LBB224_1173
; %bb.1167:
	s_cmp_gt_i32 s28, 25
	s_mov_b64 s[2:3], 0
	s_cbranch_scc0 .LBB224_1175
; %bb.1168:
	s_cmp_gt_i32 s28, 28
	s_cbranch_scc0 .LBB224_1176
; %bb.1169:
	s_cmp_gt_i32 s28, 43
	;; [unrolled: 3-line block ×3, first 2 shown]
	s_cbranch_scc0 .LBB224_1178
; %bb.1171:
	s_cmp_eq_u32 s28, 46
	s_mov_b64 s[16:17], 0
	s_cbranch_scc0 .LBB224_1181
; %bb.1172:
	global_load_dword v0, v[6:7], off
	s_mov_b64 s[0:1], 0
	s_mov_b64 s[10:11], -1
	s_waitcnt vmcnt(0)
	v_and_b32_e32 v2, 0xffff0000, v0
	v_lshlrev_b32_e32 v0, 16, v0
	v_cvt_f64_f32_e32 v[0:1], v0
	v_cvt_f64_f32_e32 v[2:3], v2
	s_branch .LBB224_1183
.LBB224_1173:
                                        ; implicit-def: $vgpr2_vgpr3
	s_mov_b64 s[16:17], s[14:15]
	s_cbranch_execnz .LBB224_1249
.LBB224_1174:
	s_andn2_b64 vcc, exec, s[10:11]
                                        ; implicit-def: $vgpr14_vgpr15
                                        ; implicit-def: $vgpr20_vgpr21
	s_cbranch_vccz .LBB224_1296
	s_branch .LBB224_1801
.LBB224_1175:
	s_mov_b64 s[0:1], 0
                                        ; implicit-def: $vgpr2_vgpr3
	s_cbranch_execnz .LBB224_1215
	s_branch .LBB224_1245
.LBB224_1176:
	s_mov_b64 s[0:1], 0
                                        ; implicit-def: $vgpr2_vgpr3
	s_cbranch_execnz .LBB224_1195
	s_branch .LBB224_1214
.LBB224_1177:
	s_mov_b64 s[16:17], -1
	s_mov_b64 s[0:1], 0
                                        ; implicit-def: $vgpr2_vgpr3
	s_branch .LBB224_1189
.LBB224_1178:
	s_mov_b64 s[16:17], -1
	s_mov_b64 s[0:1], 0
	s_branch .LBB224_1182
.LBB224_1179:
	s_andn2_saveexec_b64 s[22:23], s[22:23]
	s_cbranch_execz .LBB224_1078
.LBB224_1180:
	s_mov_b32 s24, 0x46000000
	v_add_f32_e64 v1, |v0|, s24
	v_and_b32_e32 v1, 0xff, v1
	v_cmp_ne_u32_e32 vcc, 0, v1
	s_andn2_b64 s[20:21], s[20:21], exec
	s_and_b64 s[24:25], vcc, exec
	s_or_b64 s[20:21], s[20:21], s[24:25]
	s_or_b64 exec, exec, s[22:23]
	v_mov_b32_e32 v6, 0
	s_and_saveexec_b64 s[22:23], s[20:21]
	s_cbranch_execnz .LBB224_1079
	s_branch .LBB224_1080
.LBB224_1181:
	s_mov_b64 s[0:1], -1
.LBB224_1182:
                                        ; implicit-def: $vgpr2_vgpr3
.LBB224_1183:
	s_and_b64 vcc, exec, s[16:17]
	s_cbranch_vccz .LBB224_1188
; %bb.1184:
	s_cmp_eq_u32 s28, 44
	s_cbranch_scc0 .LBB224_1186
; %bb.1185:
	global_load_ubyte v2, v[6:7], off
	s_movk_i32 s10, 0xff
	s_waitcnt vmcnt(1)
	v_bfrev_b32_e32 v3, 4
	v_mov_b32_e32 v5, 0x7ff80000
	v_bfrev_b32_e32 v8, 28
	s_mov_b64 s[0:1], 0
	s_waitcnt vmcnt(0)
	v_lshlrev_b32_e32 v0, 23, v2
	v_cvt_f64_f32_e32 v[0:1], v0
	v_cmp_ne_u32_e32 vcc, s10, v2
	s_mov_b64 s[10:11], -1
	s_nop 0
	v_cndmask_b32_e32 v0, v3, v0, vcc
	v_cndmask_b32_e32 v1, v5, v1, vcc
	v_cmp_ne_u32_e32 vcc, 0, v2
	s_nop 1
	v_cndmask_b32_e32 v1, v8, v1, vcc
	v_cndmask_b32_e32 v0, 0, v0, vcc
	s_branch .LBB224_1187
.LBB224_1186:
	s_mov_b64 s[0:1], -1
                                        ; implicit-def: $vgpr0_vgpr1
.LBB224_1187:
	s_waitcnt vmcnt(0)
	v_mov_b64_e32 v[2:3], 0
.LBB224_1188:
	s_mov_b64 s[16:17], 0
.LBB224_1189:
	s_and_b64 vcc, exec, s[16:17]
	s_cbranch_vccz .LBB224_1194
; %bb.1190:
	s_cmp_eq_u32 s28, 29
	s_cbranch_scc0 .LBB224_1192
; %bb.1191:
	global_load_dwordx2 v[0:1], v[6:7], off
	s_mov_b64 s[0:1], 0
	s_mov_b64 s[10:11], -1
	s_waitcnt vmcnt(0)
	v_cvt_f64_u32_e32 v[2:3], v1
	v_cvt_f64_u32_e32 v[0:1], v0
	v_ldexp_f64 v[2:3], v[2:3], 32
	v_add_f64 v[0:1], v[2:3], v[0:1]
	s_branch .LBB224_1193
.LBB224_1192:
	s_mov_b64 s[0:1], -1
                                        ; implicit-def: $vgpr0_vgpr1
.LBB224_1193:
	s_waitcnt vmcnt(0)
	v_mov_b64_e32 v[2:3], 0
.LBB224_1194:
	s_branch .LBB224_1214
.LBB224_1195:
	s_cmp_lt_i32 s28, 27
	s_cbranch_scc1 .LBB224_1198
; %bb.1196:
	s_cmp_gt_i32 s28, 27
	s_cbranch_scc0 .LBB224_1199
; %bb.1197:
	global_load_dword v0, v[6:7], off
	s_mov_b64 s[10:11], 0
	s_waitcnt vmcnt(0)
	v_cvt_f64_u32_e32 v[0:1], v0
	s_branch .LBB224_1200
.LBB224_1198:
	s_mov_b64 s[10:11], -1
                                        ; implicit-def: $vgpr0_vgpr1
	s_branch .LBB224_1203
.LBB224_1199:
	s_mov_b64 s[10:11], -1
                                        ; implicit-def: $vgpr0_vgpr1
.LBB224_1200:
	s_andn2_b64 vcc, exec, s[10:11]
	s_cbranch_vccnz .LBB224_1202
; %bb.1201:
	global_load_ushort v0, v[6:7], off
	s_waitcnt vmcnt(0)
	v_cvt_f64_u32_e32 v[0:1], v0
.LBB224_1202:
	s_mov_b64 s[10:11], 0
.LBB224_1203:
	s_andn2_b64 vcc, exec, s[10:11]
	s_cbranch_vccnz .LBB224_1213
; %bb.1204:
	global_load_ubyte v2, v[6:7], off
	s_movk_i32 s10, 0x7f
	s_waitcnt vmcnt(0)
	v_cmp_lt_i16_e32 vcc, s10, v2
	s_mov_b64 s[10:11], 0
	s_and_saveexec_b64 s[16:17], vcc
	s_xor_b64 s[16:17], exec, s[16:17]
	s_cbranch_execz .LBB224_1208
; %bb.1205:
	s_movk_i32 s10, 0x80
	v_cmp_eq_u16_e32 vcc, s10, v2
	s_mov_b64 s[10:11], -1
	s_and_saveexec_b64 s[18:19], vcc
; %bb.1206:
	s_xor_b64 s[10:11], exec, -1
; %bb.1207:
	s_or_b64 exec, exec, s[18:19]
	s_and_b64 s[10:11], s[10:11], exec
.LBB224_1208:
	s_or_saveexec_b64 s[16:17], s[16:17]
	v_bfrev_b32_e32 v0, 4
	v_mov_b32_e32 v1, 0x7ff80000
	s_xor_b64 exec, exec, s[16:17]
; %bb.1209:
	v_cmp_ne_u16_e32 vcc, 0, v2
	s_andn2_b64 s[10:11], s[10:11], exec
	s_and_b64 s[18:19], vcc, exec
	v_mov_b64_e32 v[0:1], 0
	s_or_b64 s[10:11], s[10:11], s[18:19]
; %bb.1210:
	s_or_b64 exec, exec, s[16:17]
	s_and_saveexec_b64 s[16:17], s[10:11]
	s_cbranch_execz .LBB224_1212
; %bb.1211:
	v_and_b32_e32 v1, 0xffff, v2
	v_lshlrev_b32_e32 v0, 24, v2
	v_and_b32_e32 v2, 7, v1
	v_ffbh_u32_e32 v5, v2
	v_min_u32_e32 v5, 32, v5
	v_subrev_u32_e32 v8, 28, v5
	v_bfe_u32 v3, v1, 3, 4
	v_lshlrev_b32_e32 v1, v8, v1
	v_sub_u32_e32 v5, 29, v5
	v_and_b32_e32 v1, 7, v1
	v_cmp_eq_u32_e32 vcc, 0, v3
	v_and_b32_e32 v0, 0x80000000, v0
	s_nop 0
	v_cndmask_b32_e32 v3, v3, v5, vcc
	v_cndmask_b32_e32 v1, v2, v1, vcc
	v_mov_b32_e32 v2, 0x3b800000
	v_lshlrev_b32_e32 v1, 20, v1
	v_lshl_add_u32 v2, v3, 23, v2
	v_or3_b32 v0, v0, v2, v1
	v_cvt_f64_f32_e32 v[0:1], v0
.LBB224_1212:
	s_or_b64 exec, exec, s[16:17]
.LBB224_1213:
	s_mov_b64 s[10:11], -1
	s_waitcnt vmcnt(0)
	v_mov_b64_e32 v[2:3], 0
.LBB224_1214:
	s_branch .LBB224_1245
.LBB224_1215:
	s_cmp_gt_i32 s28, 22
	s_cbranch_scc0 .LBB224_1227
; %bb.1216:
	s_cmp_lt_i32 s28, 24
	s_cbranch_scc1 .LBB224_1228
; %bb.1217:
	s_cmp_gt_i32 s28, 24
	s_cbranch_scc0 .LBB224_1229
; %bb.1218:
	global_load_ubyte v2, v[6:7], off
	s_movk_i32 s2, 0x7f
	s_waitcnt vmcnt(0)
	v_cmp_lt_i16_e32 vcc, s2, v2
	s_mov_b64 s[2:3], 0
	s_and_saveexec_b64 s[10:11], vcc
	s_xor_b64 s[10:11], exec, s[10:11]
	s_cbranch_execz .LBB224_1222
; %bb.1219:
	s_movk_i32 s2, 0x80
	v_cmp_eq_u16_e32 vcc, s2, v2
	s_mov_b64 s[2:3], -1
	s_and_saveexec_b64 s[16:17], vcc
; %bb.1220:
	s_xor_b64 s[2:3], exec, -1
; %bb.1221:
	s_or_b64 exec, exec, s[16:17]
	s_and_b64 s[2:3], s[2:3], exec
.LBB224_1222:
	s_or_saveexec_b64 s[10:11], s[10:11]
	v_bfrev_b32_e32 v0, 4
	v_mov_b32_e32 v1, 0x7ff80000
	s_xor_b64 exec, exec, s[10:11]
; %bb.1223:
	v_cmp_ne_u16_e32 vcc, 0, v2
	s_andn2_b64 s[2:3], s[2:3], exec
	s_and_b64 s[16:17], vcc, exec
	v_mov_b64_e32 v[0:1], 0
	s_or_b64 s[2:3], s[2:3], s[16:17]
; %bb.1224:
	s_or_b64 exec, exec, s[10:11]
	s_and_saveexec_b64 s[10:11], s[2:3]
	s_cbranch_execz .LBB224_1226
; %bb.1225:
	v_and_b32_e32 v1, 0xffff, v2
	v_lshlrev_b32_e32 v0, 24, v2
	v_and_b32_e32 v2, 3, v1
	v_ffbh_u32_e32 v5, v2
	v_min_u32_e32 v5, 32, v5
	v_subrev_u32_e32 v8, 29, v5
	v_bfe_u32 v3, v1, 2, 5
	v_lshlrev_b32_e32 v1, v8, v1
	v_sub_u32_e32 v5, 30, v5
	v_and_b32_e32 v1, 3, v1
	v_cmp_eq_u32_e32 vcc, 0, v3
	v_and_b32_e32 v0, 0x80000000, v0
	s_nop 0
	v_cndmask_b32_e32 v3, v3, v5, vcc
	v_cndmask_b32_e32 v1, v2, v1, vcc
	v_mov_b32_e32 v2, 0x37800000
	v_lshlrev_b32_e32 v1, 21, v1
	v_lshl_add_u32 v2, v3, 23, v2
	v_or3_b32 v0, v0, v2, v1
	v_cvt_f64_f32_e32 v[0:1], v0
.LBB224_1226:
	s_or_b64 exec, exec, s[10:11]
	s_mov_b64 s[2:3], 0
	s_branch .LBB224_1230
.LBB224_1227:
                                        ; implicit-def: $vgpr0_vgpr1
	s_mov_b64 s[2:3], 0
	s_branch .LBB224_1236
.LBB224_1228:
	s_mov_b64 s[2:3], -1
                                        ; implicit-def: $vgpr0_vgpr1
	s_branch .LBB224_1233
.LBB224_1229:
	s_mov_b64 s[2:3], -1
                                        ; implicit-def: $vgpr0_vgpr1
.LBB224_1230:
	s_and_b64 vcc, exec, s[2:3]
	s_cbranch_vccz .LBB224_1232
; %bb.1231:
	global_load_ubyte v0, v[6:7], off
	s_mov_b32 s2, 0x7f800000
	s_waitcnt vmcnt(0)
	v_lshlrev_b32_e32 v0, 24, v0
	v_and_b32_e32 v1, 0x7f000000, v0
	v_ffbh_u32_e32 v2, v1
	v_min_u32_e32 v2, 32, v2
	v_sub_u32_e64 v2, v2, 4 clamp
	v_lshlrev_b32_e32 v5, v2, v1
	v_lshlrev_b32_e32 v2, 23, v2
	v_lshrrev_b32_e32 v5, 4, v5
	v_add_u32_e32 v3, 0x1000000, v1
	v_sub_u32_e32 v2, v5, v2
	v_ashrrev_i32_e32 v3, 8, v3
	v_add_u32_e32 v2, 0x3c000000, v2
	v_and_or_b32 v2, v3, s2, v2
	v_cmp_ne_u32_e32 vcc, 0, v1
	s_brev_b32 s2, 1
	s_nop 0
	v_cndmask_b32_e32 v1, 0, v2, vcc
	v_and_or_b32 v0, v0, s2, v1
	v_cvt_f64_f32_e32 v[0:1], v0
.LBB224_1232:
	s_mov_b64 s[2:3], 0
.LBB224_1233:
	s_andn2_b64 vcc, exec, s[2:3]
	s_cbranch_vccnz .LBB224_1235
; %bb.1234:
	global_load_ubyte v0, v[6:7], off
	s_movk_i32 s2, 0x7f00
	s_brev_b32 s3, 16
	s_waitcnt vmcnt(0)
	v_lshlrev_b16_e32 v1, 8, v0
	v_lshlrev_b32_e32 v0, 25, v0
	v_lshrrev_b32_e32 v2, 4, v0
	v_and_or_b32 v3, v1, s2, 0.5
	v_or_b32_e32 v2, 0x70000000, v2
	v_add_f32_e32 v3, -0.5, v3
	v_mul_f32_e32 v2, 0x7800000, v2
	v_cmp_gt_u32_e32 vcc, s3, v0
	v_bfe_i32 v1, v1, 0, 16
	s_brev_b32 s2, 1
	v_cndmask_b32_e32 v0, v2, v3, vcc
	v_and_or_b32 v0, v1, s2, v0
	v_cvt_f64_f32_e32 v[0:1], v0
.LBB224_1235:
	s_mov_b64 s[10:11], -1
	s_mov_b64 s[2:3], 0
	s_cbranch_execnz .LBB224_1244
.LBB224_1236:
	s_cmp_gt_i32 s28, 14
	s_cbranch_scc0 .LBB224_1239
; %bb.1237:
	s_cmp_eq_u32 s28, 15
	s_cbranch_scc0 .LBB224_1240
; %bb.1238:
	global_load_ushort v0, v[6:7], off
	s_mov_b64 s[0:1], 0
	s_mov_b64 s[10:11], -1
	s_waitcnt vmcnt(0)
	v_lshlrev_b32_e32 v0, 16, v0
	v_cvt_f64_f32_e32 v[0:1], v0
	s_branch .LBB224_1241
.LBB224_1239:
	s_mov_b64 s[16:17], -1
                                        ; implicit-def: $vgpr0_vgpr1
	s_branch .LBB224_1242
.LBB224_1240:
	s_mov_b64 s[0:1], -1
                                        ; implicit-def: $vgpr0_vgpr1
.LBB224_1241:
	s_mov_b64 s[16:17], 0
.LBB224_1242:
	s_and_b64 vcc, exec, s[16:17]
	s_cbranch_vccz .LBB224_1244
; %bb.1243:
	s_cmp_lg_u32 s28, 11
	s_mov_b64 s[2:3], -1
	s_cselect_b64 s[0:1], -1, 0
.LBB224_1244:
	s_waitcnt vmcnt(0)
	v_mov_b64_e32 v[2:3], 0
.LBB224_1245:
	s_and_b64 vcc, exec, s[0:1]
	s_mov_b64 s[16:17], s[14:15]
	s_cbranch_vccnz .LBB224_1338
; %bb.1246:
	s_andn2_b64 vcc, exec, s[2:3]
	s_cbranch_vccnz .LBB224_1248
.LBB224_1247:
	global_load_ubyte v1, v[6:7], off
	s_waitcnt vmcnt(1)
	v_mov_b32_e32 v2, 0x3ff00000
	v_mov_b32_e32 v0, 0
	s_mov_b64 s[10:11], -1
	s_waitcnt vmcnt(0)
	v_cmp_ne_u16_e32 vcc, 0, v1
	s_nop 1
	v_cndmask_b32_e32 v1, 0, v2, vcc
	v_mov_b64_e32 v[2:3], 0
.LBB224_1248:
	s_branch .LBB224_1174
.LBB224_1249:
	s_cmp_lt_i32 s28, 5
	s_cbranch_scc1 .LBB224_1254
; %bb.1250:
	s_cmp_lt_i32 s28, 8
	s_cbranch_scc1 .LBB224_1256
; %bb.1251:
	;; [unrolled: 3-line block ×3, first 2 shown]
	s_cmp_gt_i32 s28, 9
	s_cbranch_scc0 .LBB224_1258
; %bb.1253:
	global_load_dwordx4 v[0:3], v[6:7], off
	s_mov_b64 s[0:1], 0
	s_branch .LBB224_1259
.LBB224_1254:
                                        ; implicit-def: $vgpr2_vgpr3
	s_branch .LBB224_1277
.LBB224_1255:
                                        ; implicit-def: $vgpr14_vgpr15
                                        ; implicit-def: $vgpr20_vgpr21
	s_branch .LBB224_1296
.LBB224_1256:
                                        ; implicit-def: $vgpr2_vgpr3
	s_branch .LBB224_1265
.LBB224_1257:
	s_mov_b64 s[0:1], -1
                                        ; implicit-def: $vgpr2_vgpr3
	s_branch .LBB224_1262
.LBB224_1258:
	s_mov_b64 s[0:1], -1
                                        ; implicit-def: $vgpr2_vgpr3
.LBB224_1259:
	s_andn2_b64 vcc, exec, s[0:1]
	s_cbranch_vccnz .LBB224_1261
; %bb.1260:
	global_load_dwordx2 v[2:3], v[6:7], off
	s_waitcnt vmcnt(0)
	v_cvt_f64_f32_e32 v[0:1], v2
	v_cvt_f64_f32_e32 v[2:3], v3
.LBB224_1261:
	s_mov_b64 s[0:1], 0
.LBB224_1262:
	s_andn2_b64 vcc, exec, s[0:1]
	s_cbranch_vccnz .LBB224_1264
; %bb.1263:
	global_load_dword v0, v[6:7], off
	s_waitcnt vmcnt(0)
	v_cvt_f32_f16_e32 v1, v0
	v_cvt_f32_f16_sdwa v2, v0 dst_sel:DWORD dst_unused:UNUSED_PAD src0_sel:WORD_1
	v_cvt_f64_f32_e32 v[0:1], v1
	v_cvt_f64_f32_e32 v[2:3], v2
.LBB224_1264:
	s_cbranch_execnz .LBB224_1276
.LBB224_1265:
	s_cmp_lt_i32 s28, 6
	s_cbranch_scc1 .LBB224_1268
; %bb.1266:
	s_cmp_gt_i32 s28, 6
	s_cbranch_scc0 .LBB224_1269
; %bb.1267:
	global_load_dwordx2 v[0:1], v[6:7], off
	s_mov_b64 s[0:1], 0
	s_branch .LBB224_1270
.LBB224_1268:
	s_mov_b64 s[0:1], -1
                                        ; implicit-def: $vgpr0_vgpr1
	s_branch .LBB224_1273
.LBB224_1269:
	s_mov_b64 s[0:1], -1
                                        ; implicit-def: $vgpr0_vgpr1
.LBB224_1270:
	s_andn2_b64 vcc, exec, s[0:1]
	s_cbranch_vccnz .LBB224_1272
; %bb.1271:
	global_load_dword v0, v[6:7], off
	s_waitcnt vmcnt(0)
	v_cvt_f64_f32_e32 v[0:1], v0
.LBB224_1272:
	s_mov_b64 s[0:1], 0
.LBB224_1273:
	s_andn2_b64 vcc, exec, s[0:1]
	s_cbranch_vccnz .LBB224_1275
; %bb.1274:
	global_load_ushort v0, v[6:7], off
	s_waitcnt vmcnt(0)
	v_cvt_f32_f16_e32 v0, v0
	v_cvt_f64_f32_e32 v[0:1], v0
.LBB224_1275:
	s_waitcnt vmcnt(0)
	v_mov_b64_e32 v[2:3], 0
.LBB224_1276:
	s_cbranch_execnz .LBB224_1255
.LBB224_1277:
	s_cmp_lt_i32 s28, 2
	s_cbranch_scc1 .LBB224_1281
; %bb.1278:
	s_cmp_lt_i32 s28, 3
	s_cbranch_scc1 .LBB224_1282
; %bb.1279:
	s_cmp_gt_i32 s28, 3
	s_cbranch_scc0 .LBB224_1283
; %bb.1280:
	global_load_dwordx2 v[0:1], v[6:7], off
	s_mov_b64 s[0:1], 0
	s_waitcnt vmcnt(0)
	v_cvt_f64_i32_e32 v[2:3], v1
	v_cvt_f64_u32_e32 v[0:1], v0
	v_ldexp_f64 v[2:3], v[2:3], 32
	v_add_f64 v[0:1], v[2:3], v[0:1]
	s_branch .LBB224_1284
.LBB224_1281:
                                        ; implicit-def: $vgpr0_vgpr1
	s_branch .LBB224_1290
.LBB224_1282:
	s_mov_b64 s[0:1], -1
                                        ; implicit-def: $vgpr0_vgpr1
	s_branch .LBB224_1287
.LBB224_1283:
	s_mov_b64 s[0:1], -1
                                        ; implicit-def: $vgpr0_vgpr1
.LBB224_1284:
	s_andn2_b64 vcc, exec, s[0:1]
	s_cbranch_vccnz .LBB224_1286
; %bb.1285:
	global_load_dword v0, v[6:7], off
	s_waitcnt vmcnt(0)
	v_cvt_f64_i32_e32 v[0:1], v0
.LBB224_1286:
	s_mov_b64 s[0:1], 0
.LBB224_1287:
	s_andn2_b64 vcc, exec, s[0:1]
	s_cbranch_vccnz .LBB224_1289
; %bb.1288:
	global_load_sshort v0, v[6:7], off
	s_waitcnt vmcnt(0)
	v_cvt_f64_i32_e32 v[0:1], v0
.LBB224_1289:
	s_cbranch_execnz .LBB224_1295
.LBB224_1290:
	s_cmp_gt_i32 s28, 0
	s_cbranch_scc0 .LBB224_1292
; %bb.1291:
	global_load_sbyte v0, v[6:7], off
	s_mov_b64 s[0:1], 0
	s_waitcnt vmcnt(0)
	v_cvt_f64_i32_e32 v[0:1], v0
	s_branch .LBB224_1293
.LBB224_1292:
	s_mov_b64 s[0:1], -1
                                        ; implicit-def: $vgpr0_vgpr1
.LBB224_1293:
	s_andn2_b64 vcc, exec, s[0:1]
	s_cbranch_vccnz .LBB224_1295
; %bb.1294:
	global_load_ubyte v0, v[6:7], off
	s_waitcnt vmcnt(0)
	v_cvt_f64_u32_e32 v[0:1], v0
.LBB224_1295:
	s_waitcnt vmcnt(0)
	v_mov_b64_e32 v[2:3], 0
                                        ; implicit-def: $vgpr14_vgpr15
                                        ; implicit-def: $vgpr20_vgpr21
.LBB224_1296:
	s_waitcnt vmcnt(0)
	v_cmp_neq_f64_e32 vcc, 0, v[0:1]
	v_cmp_neq_f64_e64 s[0:1], 0, v[2:3]
	v_mov_b64_e32 v[8:9], 0
	s_or_b64 s[0:1], vcc, s[0:1]
	s_and_saveexec_b64 s[10:11], s[0:1]
	s_cbranch_execz .LBB224_1326
; %bb.1297:
	v_mov_b32_e32 v8, 0
	v_mov_b32_e32 v9, 0x7ff00000
	v_cmp_neq_f64_e64 s[0:1], |v[2:3]|, v[8:9]
	s_and_saveexec_b64 s[18:19], s[0:1]
	s_cbranch_execz .LBB224_1325
; %bb.1298:
	v_cmp_o_f64_e32 vcc, v[0:1], v[0:1]
                                        ; implicit-def: $vgpr8_vgpr9
	s_and_saveexec_b64 s[0:1], vcc
	s_xor_b64 s[20:21], exec, s[0:1]
	s_cbranch_execz .LBB224_1322
; %bb.1299:
	s_mov_b32 s0, 0
	s_mov_b32 s1, 0x7ff00000
	v_cmp_neq_f64_e64 s[0:1], |v[0:1]|, s[0:1]
                                        ; implicit-def: $vgpr8_vgpr9
	s_and_saveexec_b64 s[2:3], s[0:1]
	s_xor_b64 s[22:23], exec, s[2:3]
	s_cbranch_execz .LBB224_1315
; %bb.1300:
	v_max_f64 v[6:7], |v[2:3]|, |v[2:3]|
	v_max_f64 v[8:9], |v[0:1]|, |v[0:1]|
	s_mov_b32 s0, 0x99fcef32
	v_max_f64 v[6:7], v[8:9], v[6:7]
	s_mov_b32 s1, 0x7fda8279
	v_cmp_nle_f64_e64 s[0:1], s[0:1], v[6:7]
                                        ; implicit-def: $sgpr24_sgpr25
	s_and_saveexec_b64 s[2:3], s[0:1]
	s_xor_b64 s[2:3], exec, s[2:3]
	s_cbranch_execz .LBB224_1304
; %bb.1301:
	s_mov_b32 s24, 0
	s_mov_b32 s25, 0x200000
	v_cmp_le_f64_e64 s[26:27], |v[0:1]|, s[24:25]
	v_cmp_le_f64_e64 s[24:25], |v[2:3]|, s[24:25]
	s_and_b64 s[30:31], s[26:27], s[24:25]
	s_mov_b64 s[24:25], 0
	s_and_saveexec_b64 s[26:27], s[30:31]
; %bb.1302:
	s_mov_b64 s[24:25], exec
	v_mul_f64 v[0:1], v[0:1], 4.0
	v_mul_f64 v[2:3], v[2:3], 4.0
; %bb.1303:
	s_or_b64 exec, exec, s[26:27]
.LBB224_1304:
	s_andn2_saveexec_b64 s[2:3], s[2:3]
; %bb.1305:
	v_ldexp_f64 v[0:1], v[0:1], -2
	v_ldexp_f64 v[2:3], v[2:3], -2
	s_andn2_b64 s[24:25], s[24:25], exec
; %bb.1306:
	s_or_b64 exec, exec, s[2:3]
	v_max_f64 v[6:7], |v[2:3]|, |v[2:3]|
	v_max_f64 v[8:9], |v[0:1]|, |v[0:1]|
	v_max_f64 v[6:7], v[8:9], v[6:7]
	v_frexp_exp_i32_f64_e32 v5, v[6:7]
	v_sub_u32_e32 v8, 0, v5
	v_ldexp_f64 v[6:7], |v[0:1]|, v8
	v_ldexp_f64 v[8:9], |v[2:3]|, v8
	v_mul_f64 v[8:9], v[8:9], v[8:9]
	v_fmac_f64_e32 v[8:9], v[6:7], v[6:7]
	v_rsq_f64_e32 v[6:7], v[8:9]
	v_cmp_eq_f64_e64 s[2:3], 0, v[8:9]
	s_movk_i32 s26, 0x204
	v_cmp_le_f64_e32 vcc, 0, v[0:1]
	v_mul_f64 v[10:11], v[8:9], v[6:7]
	v_mul_f64 v[6:7], v[6:7], 0.5
	v_fma_f64 v[12:13], -v[6:7], v[10:11], 0.5
	v_fmac_f64_e32 v[10:11], v[10:11], v[12:13]
	v_fmac_f64_e32 v[6:7], v[6:7], v[12:13]
	v_fma_f64 v[12:13], -v[10:11], v[10:11], v[8:9]
	v_fmac_f64_e32 v[10:11], v[12:13], v[6:7]
	v_cndmask_b32_e64 v7, v11, v9, s[2:3]
	v_cndmask_b32_e64 v6, v10, v8, s[2:3]
	v_ldexp_f64 v[6:7], v[6:7], v5
	v_cmp_o_f64_e64 s[2:3], v[2:3], v[2:3]
                                        ; implicit-def: $vgpr10_vgpr11
	s_nop 1
	v_cndmask_b32_e64 v5, 0, v6, s[2:3]
	v_mov_b32_e32 v6, 0x7ff80000
	v_cndmask_b32_e64 v6, v6, v7, s[2:3]
	v_cmp_class_f64_e64 s[2:3], v[0:1], s26
	v_cmp_class_f64_e64 s[26:27], v[2:3], s26
	v_mov_b32_e32 v7, 0x7ff00000
	s_or_b64 s[2:3], s[26:27], s[2:3]
	v_cndmask_b32_e64 v9, v6, v7, s[2:3]
	v_cndmask_b32_e64 v8, v5, 0, s[2:3]
                                        ; implicit-def: $vgpr6_vgpr7
	s_and_saveexec_b64 s[2:3], vcc
	s_xor_b64 s[2:3], exec, s[2:3]
	s_cbranch_execz .LBB224_1308
; %bb.1307:
	v_add_f64 v[0:1], v[0:1], v[8:9]
	s_mov_b32 s26, 0
	v_mul_f64 v[0:1], v[0:1], 0.5
	s_brev_b32 s27, 8
	v_mov_b32_e32 v5, 0x100
	v_cmp_gt_f64_e32 vcc, s[26:27], v[0:1]
	s_nop 1
	v_cndmask_b32_e32 v5, 0, v5, vcc
	v_ldexp_f64 v[0:1], v[0:1], v5
	v_rsq_f64_e32 v[6:7], v[0:1]
	v_mov_b32_e32 v5, 0xffffff80
	v_cndmask_b32_e32 v5, 0, v5, vcc
	v_mul_f64 v[8:9], v[0:1], v[6:7]
	v_mul_f64 v[6:7], v[6:7], 0.5
	v_fma_f64 v[10:11], -v[6:7], v[8:9], 0.5
	v_fmac_f64_e32 v[8:9], v[8:9], v[10:11]
	v_fma_f64 v[12:13], -v[8:9], v[8:9], v[0:1]
	v_fmac_f64_e32 v[6:7], v[6:7], v[10:11]
	v_fmac_f64_e32 v[8:9], v[12:13], v[6:7]
	v_fma_f64 v[10:11], -v[8:9], v[8:9], v[0:1]
	v_fmac_f64_e32 v[8:9], v[10:11], v[6:7]
	v_ldexp_f64 v[6:7], v[8:9], v5
	v_mov_b32_e32 v5, 0x260
	v_cmp_class_f64_e32 vcc, v[0:1], v5
	s_nop 1
	v_cndmask_b32_e32 v11, v7, v1, vcc
	v_cndmask_b32_e32 v10, v6, v0, vcc
	v_add_f64 v[0:1], v[10:11], v[10:11]
	v_div_scale_f64 v[6:7], s[26:27], v[0:1], v[0:1], v[2:3]
	v_rcp_f64_e32 v[8:9], v[6:7]
	s_nop 0
	v_fma_f64 v[12:13], -v[6:7], v[8:9], 1.0
	v_fmac_f64_e32 v[8:9], v[8:9], v[12:13]
	v_fma_f64 v[12:13], -v[6:7], v[8:9], 1.0
	v_fmac_f64_e32 v[8:9], v[8:9], v[12:13]
	v_div_scale_f64 v[12:13], vcc, v[2:3], v[0:1], v[2:3]
	v_mul_f64 v[14:15], v[12:13], v[8:9]
	v_fma_f64 v[6:7], -v[6:7], v[14:15], v[12:13]
	s_nop 1
	v_div_fmas_f64 v[6:7], v[6:7], v[8:9], v[14:15]
	v_div_fixup_f64 v[6:7], v[6:7], v[0:1], v[2:3]
                                        ; implicit-def: $vgpr8_vgpr9
                                        ; implicit-def: $vgpr0_vgpr1
	s_andn2_saveexec_b64 s[2:3], s[2:3]
	s_cbranch_execz .LBB224_1310
	s_branch .LBB224_1309
.LBB224_1308:
	s_andn2_saveexec_b64 s[2:3], s[2:3]
	s_cbranch_execz .LBB224_1310
.LBB224_1309:
	v_add_f64 v[0:1], v[8:9], -v[0:1]
	s_mov_b32 s26, 0
	v_mul_f64 v[0:1], v[0:1], 0.5
	s_brev_b32 s27, 8
	v_mov_b32_e32 v5, 0x100
	v_cmp_gt_f64_e32 vcc, s[26:27], v[0:1]
	s_nop 1
	v_cndmask_b32_e32 v5, 0, v5, vcc
	v_ldexp_f64 v[0:1], v[0:1], v5
	v_rsq_f64_e32 v[6:7], v[0:1]
	v_mov_b32_e32 v5, 0xffffff80
	v_cndmask_b32_e32 v5, 0, v5, vcc
	v_mul_f64 v[8:9], v[0:1], v[6:7]
	v_mul_f64 v[6:7], v[6:7], 0.5
	v_fma_f64 v[10:11], -v[6:7], v[8:9], 0.5
	v_fmac_f64_e32 v[8:9], v[8:9], v[10:11]
	v_fma_f64 v[12:13], -v[8:9], v[8:9], v[0:1]
	v_fmac_f64_e32 v[6:7], v[6:7], v[10:11]
	v_fmac_f64_e32 v[8:9], v[12:13], v[6:7]
	v_fma_f64 v[10:11], -v[8:9], v[8:9], v[0:1]
	v_fmac_f64_e32 v[8:9], v[10:11], v[6:7]
	v_ldexp_f64 v[6:7], v[8:9], v5
	v_mov_b32_e32 v5, 0x260
	v_cmp_class_f64_e32 vcc, v[0:1], v5
	v_and_b32_e32 v9, 0x7fffffff, v3
	v_mov_b32_e32 v8, v2
	v_cndmask_b32_e32 v7, v7, v1, vcc
	v_cndmask_b32_e32 v6, v6, v0, vcc
	v_add_f64 v[0:1], v[6:7], v[6:7]
	v_div_scale_f64 v[10:11], s[26:27], v[0:1], v[0:1], v[8:9]
	v_rcp_f64_e32 v[12:13], v[10:11]
	v_div_scale_f64 v[8:9], vcc, v[8:9], v[0:1], v[8:9]
	s_brev_b32 s26, -2
	v_fma_f64 v[14:15], -v[10:11], v[12:13], 1.0
	v_fmac_f64_e32 v[12:13], v[12:13], v[14:15]
	v_fma_f64 v[14:15], -v[10:11], v[12:13], 1.0
	v_fmac_f64_e32 v[12:13], v[12:13], v[14:15]
	v_mul_f64 v[14:15], v[8:9], v[12:13]
	v_fma_f64 v[8:9], -v[10:11], v[14:15], v[8:9]
	v_div_fmas_f64 v[8:9], v[8:9], v[12:13], v[14:15]
	v_div_fixup_f64 v[10:11], v[8:9], v[0:1], |v[2:3]|
	v_bfi_b32 v7, s26, v7, v3
.LBB224_1310:
	s_or_b64 exec, exec, s[2:3]
                                        ; implicit-def: $vgpr2_vgpr3
                                        ; implicit-def: $vgpr8_vgpr9
	s_and_saveexec_b64 s[2:3], s[0:1]
	s_xor_b64 s[0:1], exec, s[2:3]
	s_cbranch_execz .LBB224_1312
; %bb.1311:
	v_mul_f64 v[0:1], v[10:11], 0.5
	v_mul_f64 v[2:3], v[6:7], 0.5
	v_cndmask_b32_e64 v9, v11, v1, s[24:25]
	v_cndmask_b32_e64 v8, v10, v0, s[24:25]
	;; [unrolled: 1-line block ×4, first 2 shown]
                                        ; implicit-def: $vgpr10_vgpr11
                                        ; implicit-def: $vgpr6_vgpr7
	s_andn2_saveexec_b64 s[0:1], s[0:1]
	s_cbranch_execnz .LBB224_1313
	s_branch .LBB224_1314
.LBB224_1312:
	s_andn2_saveexec_b64 s[0:1], s[0:1]
.LBB224_1313:
	v_add_f64 v[8:9], v[10:11], v[10:11]
	v_add_f64 v[2:3], v[6:7], v[6:7]
.LBB224_1314:
	s_or_b64 exec, exec, s[0:1]
.LBB224_1315:
	s_andn2_saveexec_b64 s[0:1], s[22:23]
	s_cbranch_execz .LBB224_1321
; %bb.1316:
	v_add_f64 v[6:7], v[2:3], -v[2:3]
	v_cmp_lt_i64_e32 vcc, -1, v[0:1]
	s_brev_b32 s22, -2
	v_and_b32_e32 v9, 0x7fffffff, v7
	v_mov_b32_e32 v8, v6
	s_and_saveexec_b64 s[2:3], vcc
	s_xor_b64 s[2:3], exec, s[2:3]
; %bb.1317:
	v_bfi_b32 v7, s22, v7, v3
	v_mov_b64_e32 v[2:3], v[6:7]
	v_mov_b64_e32 v[8:9], v[0:1]
; %bb.1318:
	s_andn2_saveexec_b64 s[2:3], s[2:3]
; %bb.1319:
	v_bfi_b32 v1, s22, v1, v3
	v_mov_b64_e32 v[2:3], v[0:1]
; %bb.1320:
	s_or_b64 exec, exec, s[2:3]
.LBB224_1321:
	s_or_b64 exec, exec, s[0:1]
.LBB224_1322:
	s_andn2_saveexec_b64 s[0:1], s[20:21]
	s_cbranch_execz .LBB224_1324
; %bb.1323:
	v_add_f64 v[2:3], v[2:3], -v[2:3]
	v_div_scale_f64 v[6:7], vcc, v[2:3], v[2:3], v[2:3]
	v_rcp_f64_e32 v[8:9], v[6:7]
	s_nop 0
	v_fma_f64 v[10:11], -v[6:7], v[8:9], 1.0
	v_fmac_f64_e32 v[8:9], v[8:9], v[10:11]
	v_fma_f64 v[10:11], -v[6:7], v[8:9], 1.0
	v_fmac_f64_e32 v[8:9], v[8:9], v[10:11]
	v_mul_f64 v[10:11], v[6:7], v[8:9]
	v_fma_f64 v[6:7], -v[6:7], v[10:11], v[6:7]
	v_div_fmas_f64 v[6:7], v[6:7], v[8:9], v[10:11]
	v_div_fixup_f64 v[2:3], v[6:7], v[2:3], v[2:3]
	v_mov_b64_e32 v[8:9], v[0:1]
.LBB224_1324:
	s_or_b64 exec, exec, s[0:1]
.LBB224_1325:
	s_or_b64 exec, exec, s[18:19]
.LBB224_1326:
	s_or_b64 exec, exec, s[10:11]
	s_lshl_b32 s9, s9, 7
	v_add_u32_e32 v10, s9, v4
	v_ashrrev_i32_e32 v11, 31, v10
	s_cmp_lt_i32 s28, 11
	v_lshl_add_u64 v[0:1], s[6:7], 0, v[10:11]
	s_cbranch_scc1 .LBB224_1333
; %bb.1327:
	s_cmp_gt_i32 s28, 25
	s_mov_b64 s[2:3], 0
	s_cbranch_scc0 .LBB224_1335
; %bb.1328:
	s_cmp_gt_i32 s28, 28
	s_cbranch_scc0 .LBB224_1336
; %bb.1329:
	s_cmp_gt_i32 s28, 43
	;; [unrolled: 3-line block ×3, first 2 shown]
	s_cbranch_scc0 .LBB224_1339
; %bb.1331:
	s_cmp_eq_u32 s28, 46
	s_mov_b64 s[18:19], 0
	s_cbranch_scc0 .LBB224_1342
; %bb.1332:
	global_load_dword v4, v[0:1], off
	s_mov_b64 s[0:1], 0
	s_mov_b64 s[10:11], -1
	s_waitcnt vmcnt(0)
	v_and_b32_e32 v6, 0xffff0000, v4
	v_lshlrev_b32_e32 v4, 16, v4
	v_cvt_f64_f32_e32 v[4:5], v4
	v_cvt_f64_f32_e32 v[6:7], v6
	s_branch .LBB224_1343
.LBB224_1333:
	s_mov_b64 s[10:11], 0
                                        ; implicit-def: $vgpr6_vgpr7
	s_cbranch_execnz .LBB224_1411
.LBB224_1334:
	s_andn2_b64 vcc, exec, s[10:11]
	s_cbranch_vccnz .LBB224_1801
	s_branch .LBB224_1460
.LBB224_1335:
	s_mov_b64 s[10:11], 0
	s_mov_b64 s[0:1], 0
                                        ; implicit-def: $vgpr6_vgpr7
	s_cbranch_execnz .LBB224_1376
	s_branch .LBB224_1407
.LBB224_1336:
	s_mov_b64 s[18:19], -1
	s_mov_b64 s[10:11], 0
	s_mov_b64 s[0:1], 0
                                        ; implicit-def: $vgpr6_vgpr7
	s_branch .LBB224_1355
.LBB224_1337:
	s_mov_b64 s[18:19], -1
	s_mov_b64 s[10:11], 0
	s_mov_b64 s[0:1], 0
                                        ; implicit-def: $vgpr6_vgpr7
	s_branch .LBB224_1349
.LBB224_1338:
	s_trap 2
	s_or_b64 s[16:17], s[14:15], exec
	s_cbranch_execz .LBB224_1247
	s_branch .LBB224_1248
.LBB224_1339:
	s_mov_b64 s[18:19], -1
	s_mov_b64 s[10:11], 0
	s_mov_b64 s[0:1], 0
                                        ; implicit-def: $vgpr6_vgpr7
	s_branch .LBB224_1343
.LBB224_1340:
	s_andn2_saveexec_b64 s[24:25], s[24:25]
	s_cbranch_execz .LBB224_1090
.LBB224_1341:
	s_mov_b32 s28, 0x42800000
	v_add_f32_e64 v1, |v0|, s28
	v_and_b32_e32 v1, 0xff, v1
	v_cmp_ne_u32_e32 vcc, 0, v1
	s_andn2_b64 s[22:23], s[22:23], exec
	s_and_b64 s[28:29], vcc, exec
	s_or_b64 s[22:23], s[22:23], s[28:29]
	s_or_b64 exec, exec, s[24:25]
	v_mov_b32_e32 v6, 0
	s_and_saveexec_b64 s[24:25], s[22:23]
	s_cbranch_execnz .LBB224_1091
	s_branch .LBB224_1092
.LBB224_1342:
	s_mov_b64 s[0:1], -1
                                        ; implicit-def: $vgpr6_vgpr7
	s_mov_b64 s[10:11], 0
.LBB224_1343:
	s_and_b64 vcc, exec, s[18:19]
	s_cbranch_vccz .LBB224_1348
; %bb.1344:
	s_cmp_eq_u32 s28, 44
	s_cbranch_scc0 .LBB224_1346
; %bb.1345:
	global_load_ubyte v6, v[0:1], off
	s_movk_i32 s10, 0xff
	v_bfrev_b32_e32 v7, 4
	v_mov_b32_e32 v11, 0x7ff80000
	v_bfrev_b32_e32 v12, 28
	s_mov_b64 s[0:1], 0
	s_waitcnt vmcnt(0)
	v_lshlrev_b32_e32 v4, 23, v6
	v_cvt_f64_f32_e32 v[4:5], v4
	v_cmp_ne_u32_e32 vcc, s10, v6
	s_mov_b64 s[10:11], -1
	s_nop 0
	v_cndmask_b32_e32 v4, v7, v4, vcc
	v_cndmask_b32_e32 v5, v11, v5, vcc
	v_cmp_ne_u32_e32 vcc, 0, v6
	s_nop 1
	v_cndmask_b32_e32 v5, v12, v5, vcc
	v_cndmask_b32_e32 v4, 0, v4, vcc
	s_branch .LBB224_1347
.LBB224_1346:
	s_mov_b64 s[0:1], -1
                                        ; implicit-def: $vgpr4_vgpr5
.LBB224_1347:
	v_mov_b64_e32 v[6:7], 0
.LBB224_1348:
	s_mov_b64 s[18:19], 0
.LBB224_1349:
	s_and_b64 vcc, exec, s[18:19]
	s_cbranch_vccz .LBB224_1354
; %bb.1350:
	s_cmp_eq_u32 s28, 29
	s_cbranch_scc0 .LBB224_1352
; %bb.1351:
	global_load_dwordx2 v[4:5], v[0:1], off
	s_mov_b64 s[0:1], 0
	s_mov_b64 s[10:11], -1
	s_waitcnt vmcnt(0)
	v_cvt_f64_u32_e32 v[6:7], v5
	v_cvt_f64_u32_e32 v[4:5], v4
	v_ldexp_f64 v[6:7], v[6:7], 32
	v_add_f64 v[4:5], v[6:7], v[4:5]
	s_branch .LBB224_1353
.LBB224_1352:
	s_mov_b64 s[0:1], -1
                                        ; implicit-def: $vgpr4_vgpr5
.LBB224_1353:
	v_mov_b64_e32 v[6:7], 0
.LBB224_1354:
	s_mov_b64 s[18:19], 0
.LBB224_1355:
	s_and_b64 vcc, exec, s[18:19]
	s_cbranch_vccz .LBB224_1375
; %bb.1356:
	s_cmp_lt_i32 s28, 27
	s_cbranch_scc1 .LBB224_1359
; %bb.1357:
	s_cmp_gt_i32 s28, 27
	s_cbranch_scc0 .LBB224_1360
; %bb.1358:
	global_load_dword v4, v[0:1], off
	s_mov_b64 s[10:11], 0
	s_waitcnt vmcnt(0)
	v_cvt_f64_u32_e32 v[4:5], v4
	s_branch .LBB224_1361
.LBB224_1359:
	s_mov_b64 s[10:11], -1
                                        ; implicit-def: $vgpr4_vgpr5
	s_branch .LBB224_1364
.LBB224_1360:
	s_mov_b64 s[10:11], -1
                                        ; implicit-def: $vgpr4_vgpr5
.LBB224_1361:
	s_andn2_b64 vcc, exec, s[10:11]
	s_cbranch_vccnz .LBB224_1363
; %bb.1362:
	global_load_ushort v4, v[0:1], off
	s_waitcnt vmcnt(0)
	v_cvt_f64_u32_e32 v[4:5], v4
.LBB224_1363:
	s_mov_b64 s[10:11], 0
.LBB224_1364:
	s_andn2_b64 vcc, exec, s[10:11]
	s_cbranch_vccnz .LBB224_1374
; %bb.1365:
	global_load_ubyte v6, v[0:1], off
	s_movk_i32 s10, 0x7f
	s_waitcnt vmcnt(0)
	v_cmp_lt_i16_e32 vcc, s10, v6
	s_mov_b64 s[10:11], 0
	s_and_saveexec_b64 s[18:19], vcc
	s_xor_b64 s[18:19], exec, s[18:19]
	s_cbranch_execz .LBB224_1369
; %bb.1366:
	s_movk_i32 s10, 0x80
	v_cmp_eq_u16_e32 vcc, s10, v6
	s_mov_b64 s[10:11], -1
	s_and_saveexec_b64 s[20:21], vcc
; %bb.1367:
	s_xor_b64 s[10:11], exec, -1
; %bb.1368:
	s_or_b64 exec, exec, s[20:21]
	s_and_b64 s[10:11], s[10:11], exec
.LBB224_1369:
	s_or_saveexec_b64 s[18:19], s[18:19]
	v_bfrev_b32_e32 v4, 4
	v_mov_b32_e32 v5, 0x7ff80000
	s_xor_b64 exec, exec, s[18:19]
; %bb.1370:
	v_cmp_ne_u16_e32 vcc, 0, v6
	s_andn2_b64 s[10:11], s[10:11], exec
	s_and_b64 s[20:21], vcc, exec
	v_mov_b64_e32 v[4:5], 0
	s_or_b64 s[10:11], s[10:11], s[20:21]
; %bb.1371:
	s_or_b64 exec, exec, s[18:19]
	s_and_saveexec_b64 s[18:19], s[10:11]
	s_cbranch_execz .LBB224_1373
; %bb.1372:
	v_and_b32_e32 v5, 0xffff, v6
	v_lshlrev_b32_e32 v4, 24, v6
	v_and_b32_e32 v6, 7, v5
	v_ffbh_u32_e32 v11, v6
	v_min_u32_e32 v11, 32, v11
	v_subrev_u32_e32 v12, 28, v11
	v_bfe_u32 v7, v5, 3, 4
	v_lshlrev_b32_e32 v5, v12, v5
	v_sub_u32_e32 v11, 29, v11
	v_and_b32_e32 v5, 7, v5
	v_cmp_eq_u32_e32 vcc, 0, v7
	v_and_b32_e32 v4, 0x80000000, v4
	s_nop 0
	v_cndmask_b32_e32 v7, v7, v11, vcc
	v_cndmask_b32_e32 v5, v6, v5, vcc
	v_mov_b32_e32 v6, 0x3b800000
	v_lshlrev_b32_e32 v5, 20, v5
	v_lshl_add_u32 v6, v7, 23, v6
	v_or3_b32 v4, v4, v6, v5
	v_cvt_f64_f32_e32 v[4:5], v4
.LBB224_1373:
	s_or_b64 exec, exec, s[18:19]
.LBB224_1374:
	s_mov_b64 s[10:11], -1
	v_mov_b64_e32 v[6:7], 0
.LBB224_1375:
	s_branch .LBB224_1407
.LBB224_1376:
	s_cmp_gt_i32 s28, 22
	s_cbranch_scc0 .LBB224_1388
; %bb.1377:
	s_cmp_lt_i32 s28, 24
	s_cbranch_scc1 .LBB224_1389
; %bb.1378:
	s_cmp_gt_i32 s28, 24
	s_cbranch_scc0 .LBB224_1390
; %bb.1379:
	global_load_ubyte v6, v[0:1], off
	s_movk_i32 s2, 0x7f
	s_waitcnt vmcnt(0)
	v_cmp_lt_i16_e32 vcc, s2, v6
	s_mov_b64 s[2:3], 0
	s_and_saveexec_b64 s[10:11], vcc
	s_xor_b64 s[10:11], exec, s[10:11]
	s_cbranch_execz .LBB224_1383
; %bb.1380:
	s_movk_i32 s2, 0x80
	v_cmp_eq_u16_e32 vcc, s2, v6
	s_mov_b64 s[2:3], -1
	s_and_saveexec_b64 s[18:19], vcc
; %bb.1381:
	s_xor_b64 s[2:3], exec, -1
; %bb.1382:
	s_or_b64 exec, exec, s[18:19]
	s_and_b64 s[2:3], s[2:3], exec
.LBB224_1383:
	s_or_saveexec_b64 s[10:11], s[10:11]
	v_bfrev_b32_e32 v4, 4
	v_mov_b32_e32 v5, 0x7ff80000
	s_xor_b64 exec, exec, s[10:11]
; %bb.1384:
	v_cmp_ne_u16_e32 vcc, 0, v6
	s_andn2_b64 s[2:3], s[2:3], exec
	s_and_b64 s[18:19], vcc, exec
	v_mov_b64_e32 v[4:5], 0
	s_or_b64 s[2:3], s[2:3], s[18:19]
; %bb.1385:
	s_or_b64 exec, exec, s[10:11]
	s_and_saveexec_b64 s[10:11], s[2:3]
	s_cbranch_execz .LBB224_1387
; %bb.1386:
	v_and_b32_e32 v5, 0xffff, v6
	v_lshlrev_b32_e32 v4, 24, v6
	v_and_b32_e32 v6, 3, v5
	v_ffbh_u32_e32 v11, v6
	v_min_u32_e32 v11, 32, v11
	v_subrev_u32_e32 v12, 29, v11
	v_bfe_u32 v7, v5, 2, 5
	v_lshlrev_b32_e32 v5, v12, v5
	v_sub_u32_e32 v11, 30, v11
	v_and_b32_e32 v5, 3, v5
	v_cmp_eq_u32_e32 vcc, 0, v7
	v_and_b32_e32 v4, 0x80000000, v4
	s_nop 0
	v_cndmask_b32_e32 v7, v7, v11, vcc
	v_cndmask_b32_e32 v5, v6, v5, vcc
	v_mov_b32_e32 v6, 0x37800000
	v_lshlrev_b32_e32 v5, 21, v5
	v_lshl_add_u32 v6, v7, 23, v6
	v_or3_b32 v4, v4, v6, v5
	v_cvt_f64_f32_e32 v[4:5], v4
.LBB224_1387:
	s_or_b64 exec, exec, s[10:11]
	s_mov_b64 s[2:3], 0
	s_branch .LBB224_1391
.LBB224_1388:
	s_mov_b64 s[2:3], -1
                                        ; implicit-def: $vgpr4_vgpr5
	s_branch .LBB224_1397
.LBB224_1389:
	s_mov_b64 s[2:3], -1
                                        ; implicit-def: $vgpr4_vgpr5
	s_branch .LBB224_1394
.LBB224_1390:
	s_mov_b64 s[2:3], -1
                                        ; implicit-def: $vgpr4_vgpr5
.LBB224_1391:
	s_and_b64 vcc, exec, s[2:3]
	s_cbranch_vccz .LBB224_1393
; %bb.1392:
	global_load_ubyte v4, v[0:1], off
	s_mov_b32 s2, 0x7f800000
	s_waitcnt vmcnt(0)
	v_lshlrev_b32_e32 v4, 24, v4
	v_and_b32_e32 v5, 0x7f000000, v4
	v_ffbh_u32_e32 v6, v5
	v_min_u32_e32 v6, 32, v6
	v_sub_u32_e64 v6, v6, 4 clamp
	v_lshlrev_b32_e32 v11, v6, v5
	v_lshlrev_b32_e32 v6, 23, v6
	v_lshrrev_b32_e32 v11, 4, v11
	v_add_u32_e32 v7, 0x1000000, v5
	v_sub_u32_e32 v6, v11, v6
	v_ashrrev_i32_e32 v7, 8, v7
	v_add_u32_e32 v6, 0x3c000000, v6
	v_and_or_b32 v6, v7, s2, v6
	v_cmp_ne_u32_e32 vcc, 0, v5
	s_brev_b32 s2, 1
	s_nop 0
	v_cndmask_b32_e32 v5, 0, v6, vcc
	v_and_or_b32 v4, v4, s2, v5
	v_cvt_f64_f32_e32 v[4:5], v4
.LBB224_1393:
	s_mov_b64 s[2:3], 0
.LBB224_1394:
	s_andn2_b64 vcc, exec, s[2:3]
	s_cbranch_vccnz .LBB224_1396
; %bb.1395:
	global_load_ubyte v4, v[0:1], off
	s_movk_i32 s2, 0x7f00
	s_brev_b32 s3, 16
	s_waitcnt vmcnt(0)
	v_lshlrev_b16_e32 v5, 8, v4
	v_lshlrev_b32_e32 v4, 25, v4
	v_lshrrev_b32_e32 v6, 4, v4
	v_and_or_b32 v7, v5, s2, 0.5
	v_or_b32_e32 v6, 0x70000000, v6
	v_add_f32_e32 v7, -0.5, v7
	v_mul_f32_e32 v6, 0x7800000, v6
	v_cmp_gt_u32_e32 vcc, s3, v4
	v_bfe_i32 v5, v5, 0, 16
	s_brev_b32 s2, 1
	v_cndmask_b32_e32 v4, v6, v7, vcc
	v_and_or_b32 v4, v5, s2, v4
	v_cvt_f64_f32_e32 v[4:5], v4
.LBB224_1396:
	s_mov_b64 s[2:3], 0
	s_mov_b64 s[10:11], -1
.LBB224_1397:
	s_andn2_b64 vcc, exec, s[2:3]
	s_mov_b64 s[2:3], 0
	s_cbranch_vccnz .LBB224_1406
; %bb.1398:
	s_cmp_gt_i32 s28, 14
	s_cbranch_scc0 .LBB224_1401
; %bb.1399:
	s_cmp_eq_u32 s28, 15
	s_cbranch_scc0 .LBB224_1402
; %bb.1400:
	global_load_ushort v4, v[0:1], off
	s_mov_b64 s[0:1], 0
	s_mov_b64 s[10:11], -1
	s_waitcnt vmcnt(0)
	v_lshlrev_b32_e32 v4, 16, v4
	v_cvt_f64_f32_e32 v[4:5], v4
	s_branch .LBB224_1403
.LBB224_1401:
	s_mov_b64 s[18:19], -1
                                        ; implicit-def: $vgpr4_vgpr5
	s_branch .LBB224_1404
.LBB224_1402:
	s_mov_b64 s[0:1], -1
                                        ; implicit-def: $vgpr4_vgpr5
.LBB224_1403:
	s_mov_b64 s[18:19], 0
.LBB224_1404:
	s_and_b64 vcc, exec, s[18:19]
	s_cbranch_vccz .LBB224_1406
; %bb.1405:
	s_cmp_lg_u32 s28, 11
	s_mov_b64 s[2:3], -1
	s_cselect_b64 s[0:1], -1, 0
.LBB224_1406:
	v_mov_b64_e32 v[6:7], 0
.LBB224_1407:
	s_and_b64 vcc, exec, s[0:1]
	s_cbranch_vccnz .LBB224_1514
; %bb.1408:
	s_andn2_b64 vcc, exec, s[2:3]
	s_cbranch_vccnz .LBB224_1410
.LBB224_1409:
	global_load_ubyte v5, v[0:1], off
	v_mov_b32_e32 v6, 0x3ff00000
	v_mov_b32_e32 v4, 0
	s_mov_b64 s[10:11], -1
	s_waitcnt vmcnt(0)
	v_cmp_ne_u16_e32 vcc, 0, v5
	s_nop 1
	v_cndmask_b32_e32 v5, 0, v6, vcc
	v_mov_b64_e32 v[6:7], 0
.LBB224_1410:
	s_branch .LBB224_1334
.LBB224_1411:
	s_cmp_lt_i32 s28, 5
	s_cbranch_scc1 .LBB224_1416
; %bb.1412:
	s_cmp_lt_i32 s28, 8
	s_cbranch_scc1 .LBB224_1418
; %bb.1413:
	;; [unrolled: 3-line block ×3, first 2 shown]
	s_cmp_gt_i32 s28, 9
	s_cbranch_scc0 .LBB224_1420
; %bb.1415:
	global_load_dwordx4 v[4:7], v[0:1], off
	s_mov_b64 s[0:1], 0
	s_branch .LBB224_1421
.LBB224_1416:
                                        ; implicit-def: $vgpr6_vgpr7
	s_branch .LBB224_1440
.LBB224_1417:
	s_branch .LBB224_1460
.LBB224_1418:
	s_mov_b64 s[0:1], -1
                                        ; implicit-def: $vgpr6_vgpr7
	s_branch .LBB224_1427
.LBB224_1419:
	s_mov_b64 s[0:1], -1
                                        ; implicit-def: $vgpr6_vgpr7
	s_branch .LBB224_1424
.LBB224_1420:
	s_mov_b64 s[0:1], -1
                                        ; implicit-def: $vgpr6_vgpr7
.LBB224_1421:
	s_andn2_b64 vcc, exec, s[0:1]
	s_cbranch_vccnz .LBB224_1423
; %bb.1422:
	global_load_dwordx2 v[6:7], v[0:1], off
	s_waitcnt vmcnt(0)
	v_cvt_f64_f32_e32 v[4:5], v6
	v_cvt_f64_f32_e32 v[6:7], v7
.LBB224_1423:
	s_mov_b64 s[0:1], 0
.LBB224_1424:
	s_andn2_b64 vcc, exec, s[0:1]
	s_cbranch_vccnz .LBB224_1426
; %bb.1425:
	global_load_dword v4, v[0:1], off
	s_waitcnt vmcnt(0)
	v_cvt_f32_f16_e32 v5, v4
	v_cvt_f32_f16_sdwa v6, v4 dst_sel:DWORD dst_unused:UNUSED_PAD src0_sel:WORD_1
	v_cvt_f64_f32_e32 v[4:5], v5
	v_cvt_f64_f32_e32 v[6:7], v6
.LBB224_1426:
	s_mov_b64 s[0:1], 0
.LBB224_1427:
	s_andn2_b64 vcc, exec, s[0:1]
	s_cbranch_vccnz .LBB224_1439
; %bb.1428:
	s_cmp_lt_i32 s28, 6
	s_cbranch_scc1 .LBB224_1431
; %bb.1429:
	s_cmp_gt_i32 s28, 6
	s_cbranch_scc0 .LBB224_1432
; %bb.1430:
	global_load_dwordx2 v[4:5], v[0:1], off
	s_mov_b64 s[0:1], 0
	s_branch .LBB224_1433
.LBB224_1431:
	s_mov_b64 s[0:1], -1
                                        ; implicit-def: $vgpr4_vgpr5
	s_branch .LBB224_1436
.LBB224_1432:
	s_mov_b64 s[0:1], -1
                                        ; implicit-def: $vgpr4_vgpr5
.LBB224_1433:
	s_andn2_b64 vcc, exec, s[0:1]
	s_cbranch_vccnz .LBB224_1435
; %bb.1434:
	global_load_dword v4, v[0:1], off
	s_waitcnt vmcnt(0)
	v_cvt_f64_f32_e32 v[4:5], v4
.LBB224_1435:
	s_mov_b64 s[0:1], 0
.LBB224_1436:
	s_andn2_b64 vcc, exec, s[0:1]
	s_cbranch_vccnz .LBB224_1438
; %bb.1437:
	global_load_ushort v4, v[0:1], off
	s_waitcnt vmcnt(0)
	v_cvt_f32_f16_e32 v4, v4
	v_cvt_f64_f32_e32 v[4:5], v4
.LBB224_1438:
	s_waitcnt vmcnt(0)
	v_mov_b64_e32 v[6:7], 0
.LBB224_1439:
	s_cbranch_execnz .LBB224_1417
.LBB224_1440:
	s_cmp_lt_i32 s28, 2
	s_cbranch_scc1 .LBB224_1444
; %bb.1441:
	s_cmp_lt_i32 s28, 3
	s_cbranch_scc1 .LBB224_1445
; %bb.1442:
	s_cmp_gt_i32 s28, 3
	s_cbranch_scc0 .LBB224_1446
; %bb.1443:
	global_load_dwordx2 v[4:5], v[0:1], off
	s_mov_b64 s[0:1], 0
	s_waitcnt vmcnt(0)
	v_cvt_f64_i32_e32 v[6:7], v5
	v_cvt_f64_u32_e32 v[4:5], v4
	v_ldexp_f64 v[6:7], v[6:7], 32
	v_add_f64 v[4:5], v[6:7], v[4:5]
	s_branch .LBB224_1447
.LBB224_1444:
	s_mov_b64 s[0:1], -1
                                        ; implicit-def: $vgpr4_vgpr5
	s_branch .LBB224_1453
.LBB224_1445:
	s_mov_b64 s[0:1], -1
                                        ; implicit-def: $vgpr4_vgpr5
	s_branch .LBB224_1450
.LBB224_1446:
	s_mov_b64 s[0:1], -1
                                        ; implicit-def: $vgpr4_vgpr5
.LBB224_1447:
	s_andn2_b64 vcc, exec, s[0:1]
	s_cbranch_vccnz .LBB224_1449
; %bb.1448:
	global_load_dword v4, v[0:1], off
	s_waitcnt vmcnt(0)
	v_cvt_f64_i32_e32 v[4:5], v4
.LBB224_1449:
	s_mov_b64 s[0:1], 0
.LBB224_1450:
	s_andn2_b64 vcc, exec, s[0:1]
	s_cbranch_vccnz .LBB224_1452
; %bb.1451:
	global_load_sshort v4, v[0:1], off
	s_waitcnt vmcnt(0)
	v_cvt_f64_i32_e32 v[4:5], v4
.LBB224_1452:
	s_mov_b64 s[0:1], 0
.LBB224_1453:
	s_andn2_b64 vcc, exec, s[0:1]
	s_cbranch_vccnz .LBB224_1459
; %bb.1454:
	s_cmp_gt_i32 s28, 0
	s_cbranch_scc0 .LBB224_1456
; %bb.1455:
	global_load_sbyte v4, v[0:1], off
	s_mov_b64 s[0:1], 0
	s_waitcnt vmcnt(0)
	v_cvt_f64_i32_e32 v[4:5], v4
	s_branch .LBB224_1457
.LBB224_1456:
	s_mov_b64 s[0:1], -1
                                        ; implicit-def: $vgpr4_vgpr5
.LBB224_1457:
	s_andn2_b64 vcc, exec, s[0:1]
	s_cbranch_vccnz .LBB224_1459
; %bb.1458:
	global_load_ubyte v0, v[0:1], off
	s_waitcnt vmcnt(0)
	v_cvt_f64_u32_e32 v[4:5], v0
.LBB224_1459:
	s_waitcnt vmcnt(0)
	v_mov_b64_e32 v[6:7], 0
.LBB224_1460:
	s_waitcnt vmcnt(0)
	v_cmp_neq_f64_e32 vcc, 0, v[4:5]
	v_cmp_neq_f64_e64 s[0:1], 0, v[6:7]
	v_mov_b64_e32 v[0:1], 0
	s_or_b64 s[0:1], vcc, s[0:1]
	s_and_saveexec_b64 s[10:11], s[0:1]
	s_cbranch_execz .LBB224_1490
; %bb.1461:
	v_mov_b32_e32 v0, 0
	v_mov_b32_e32 v1, 0x7ff00000
	v_cmp_neq_f64_e64 s[0:1], |v[6:7]|, v[0:1]
	s_and_saveexec_b64 s[18:19], s[0:1]
	s_cbranch_execz .LBB224_1489
; %bb.1462:
	v_cmp_o_f64_e32 vcc, v[4:5], v[4:5]
                                        ; implicit-def: $vgpr0_vgpr1
	s_and_saveexec_b64 s[0:1], vcc
	s_xor_b64 s[20:21], exec, s[0:1]
	s_cbranch_execz .LBB224_1486
; %bb.1463:
	s_mov_b32 s0, 0
	s_mov_b32 s1, 0x7ff00000
	v_cmp_neq_f64_e64 s[0:1], |v[4:5]|, s[0:1]
                                        ; implicit-def: $vgpr0_vgpr1
	s_and_saveexec_b64 s[2:3], s[0:1]
	s_xor_b64 s[22:23], exec, s[2:3]
	s_cbranch_execz .LBB224_1479
; %bb.1464:
	v_max_f64 v[0:1], |v[6:7]|, |v[6:7]|
	v_max_f64 v[12:13], |v[4:5]|, |v[4:5]|
	s_mov_b32 s0, 0x99fcef32
	v_max_f64 v[0:1], v[12:13], v[0:1]
	s_mov_b32 s1, 0x7fda8279
	v_cmp_nle_f64_e64 s[0:1], s[0:1], v[0:1]
                                        ; implicit-def: $sgpr24_sgpr25
	s_and_saveexec_b64 s[2:3], s[0:1]
	s_xor_b64 s[2:3], exec, s[2:3]
	s_cbranch_execz .LBB224_1468
; %bb.1465:
	s_mov_b32 s24, 0
	s_mov_b32 s25, 0x200000
	v_cmp_le_f64_e64 s[26:27], |v[4:5]|, s[24:25]
	v_cmp_le_f64_e64 s[24:25], |v[6:7]|, s[24:25]
	s_and_b64 s[30:31], s[26:27], s[24:25]
	s_mov_b64 s[24:25], 0
	s_and_saveexec_b64 s[26:27], s[30:31]
; %bb.1466:
	s_mov_b64 s[24:25], exec
	v_mul_f64 v[4:5], v[4:5], 4.0
	v_mul_f64 v[6:7], v[6:7], 4.0
; %bb.1467:
	s_or_b64 exec, exec, s[26:27]
.LBB224_1468:
	s_andn2_saveexec_b64 s[2:3], s[2:3]
; %bb.1469:
	v_ldexp_f64 v[4:5], v[4:5], -2
	v_ldexp_f64 v[6:7], v[6:7], -2
	s_andn2_b64 s[24:25], s[24:25], exec
; %bb.1470:
	s_or_b64 exec, exec, s[2:3]
	v_max_f64 v[0:1], |v[6:7]|, |v[6:7]|
	v_max_f64 v[12:13], |v[4:5]|, |v[4:5]|
	v_max_f64 v[0:1], v[12:13], v[0:1]
	v_frexp_exp_i32_f64_e32 v11, v[0:1]
	v_sub_u32_e32 v12, 0, v11
	v_ldexp_f64 v[0:1], |v[4:5]|, v12
	v_ldexp_f64 v[12:13], |v[6:7]|, v12
	v_mul_f64 v[12:13], v[12:13], v[12:13]
	v_fmac_f64_e32 v[12:13], v[0:1], v[0:1]
	v_rsq_f64_e32 v[0:1], v[12:13]
	v_cmp_eq_f64_e64 s[2:3], 0, v[12:13]
	s_movk_i32 s26, 0x204
	v_cmp_le_f64_e32 vcc, 0, v[4:5]
	v_mul_f64 v[14:15], v[12:13], v[0:1]
	v_mul_f64 v[0:1], v[0:1], 0.5
	v_fma_f64 v[16:17], -v[0:1], v[14:15], 0.5
	v_fmac_f64_e32 v[14:15], v[14:15], v[16:17]
	v_fmac_f64_e32 v[0:1], v[0:1], v[16:17]
	v_fma_f64 v[16:17], -v[14:15], v[14:15], v[12:13]
	v_fmac_f64_e32 v[14:15], v[16:17], v[0:1]
	v_cndmask_b32_e64 v1, v15, v13, s[2:3]
	v_cndmask_b32_e64 v0, v14, v12, s[2:3]
	v_ldexp_f64 v[0:1], v[0:1], v11
	v_cmp_o_f64_e64 s[2:3], v[6:7], v[6:7]
	v_mov_b32_e32 v11, 0x7ff80000
                                        ; implicit-def: $vgpr12_vgpr13
                                        ; implicit-def: $vgpr14_vgpr15
	s_nop 0
	v_cndmask_b32_e64 v0, 0, v0, s[2:3]
	v_cndmask_b32_e64 v1, v11, v1, s[2:3]
	v_cmp_class_f64_e64 s[2:3], v[4:5], s26
	v_cmp_class_f64_e64 s[26:27], v[6:7], s26
	v_mov_b32_e32 v11, 0x7ff00000
	s_or_b64 s[2:3], s[26:27], s[2:3]
	v_cndmask_b32_e64 v1, v1, v11, s[2:3]
	v_cndmask_b32_e64 v0, v0, 0, s[2:3]
	s_and_saveexec_b64 s[2:3], vcc
	s_xor_b64 s[2:3], exec, s[2:3]
	s_cbranch_execz .LBB224_1472
; %bb.1471:
	v_add_f64 v[0:1], v[4:5], v[0:1]
	s_mov_b32 s26, 0
	v_mul_f64 v[0:1], v[0:1], 0.5
	s_brev_b32 s27, 8
	v_mov_b32_e32 v4, 0x100
	v_cmp_gt_f64_e32 vcc, s[26:27], v[0:1]
	v_mov_b32_e32 v11, 0x260
	s_nop 0
	v_cndmask_b32_e32 v4, 0, v4, vcc
	v_ldexp_f64 v[0:1], v[0:1], v4
	v_rsq_f64_e32 v[4:5], v[0:1]
	s_nop 0
	v_mul_f64 v[12:13], v[0:1], v[4:5]
	v_mul_f64 v[4:5], v[4:5], 0.5
	v_fma_f64 v[14:15], -v[4:5], v[12:13], 0.5
	v_fmac_f64_e32 v[12:13], v[12:13], v[14:15]
	v_fma_f64 v[16:17], -v[12:13], v[12:13], v[0:1]
	v_fmac_f64_e32 v[4:5], v[4:5], v[14:15]
	v_fmac_f64_e32 v[12:13], v[16:17], v[4:5]
	v_fma_f64 v[14:15], -v[12:13], v[12:13], v[0:1]
	v_fmac_f64_e32 v[12:13], v[14:15], v[4:5]
	v_mov_b32_e32 v4, 0xffffff80
	v_cndmask_b32_e32 v4, 0, v4, vcc
	v_ldexp_f64 v[4:5], v[12:13], v4
	v_cmp_class_f64_e32 vcc, v[0:1], v11
	s_nop 1
	v_cndmask_b32_e32 v15, v5, v1, vcc
	v_cndmask_b32_e32 v14, v4, v0, vcc
	v_add_f64 v[0:1], v[14:15], v[14:15]
	v_div_scale_f64 v[4:5], s[26:27], v[0:1], v[0:1], v[6:7]
	v_rcp_f64_e32 v[12:13], v[4:5]
	s_nop 0
	v_fma_f64 v[16:17], -v[4:5], v[12:13], 1.0
	v_fmac_f64_e32 v[12:13], v[12:13], v[16:17]
	v_fma_f64 v[16:17], -v[4:5], v[12:13], 1.0
	v_fmac_f64_e32 v[12:13], v[12:13], v[16:17]
	v_div_scale_f64 v[16:17], vcc, v[6:7], v[0:1], v[6:7]
	v_mul_f64 v[18:19], v[16:17], v[12:13]
	v_fma_f64 v[4:5], -v[4:5], v[18:19], v[16:17]
	s_nop 1
	v_div_fmas_f64 v[4:5], v[4:5], v[12:13], v[18:19]
	v_div_fixup_f64 v[12:13], v[4:5], v[0:1], v[6:7]
                                        ; implicit-def: $vgpr0_vgpr1
                                        ; implicit-def: $vgpr4_vgpr5
	s_andn2_saveexec_b64 s[2:3], s[2:3]
	s_cbranch_execz .LBB224_1474
	s_branch .LBB224_1473
.LBB224_1472:
	s_andn2_saveexec_b64 s[2:3], s[2:3]
	s_cbranch_execz .LBB224_1474
.LBB224_1473:
	v_add_f64 v[0:1], v[0:1], -v[4:5]
	s_mov_b32 s26, 0
	v_mul_f64 v[0:1], v[0:1], 0.5
	s_brev_b32 s27, 8
	v_mov_b32_e32 v4, 0x100
	v_cmp_gt_f64_e32 vcc, s[26:27], v[0:1]
	v_mov_b32_e32 v11, 0x260
	s_nop 0
	v_cndmask_b32_e32 v4, 0, v4, vcc
	v_ldexp_f64 v[0:1], v[0:1], v4
	v_rsq_f64_e32 v[4:5], v[0:1]
	s_nop 0
	v_mul_f64 v[12:13], v[0:1], v[4:5]
	v_mul_f64 v[4:5], v[4:5], 0.5
	v_fma_f64 v[14:15], -v[4:5], v[12:13], 0.5
	v_fmac_f64_e32 v[12:13], v[12:13], v[14:15]
	v_fma_f64 v[16:17], -v[12:13], v[12:13], v[0:1]
	v_fmac_f64_e32 v[4:5], v[4:5], v[14:15]
	v_fmac_f64_e32 v[12:13], v[16:17], v[4:5]
	v_fma_f64 v[14:15], -v[12:13], v[12:13], v[0:1]
	v_fmac_f64_e32 v[12:13], v[14:15], v[4:5]
	v_mov_b32_e32 v4, 0xffffff80
	v_cndmask_b32_e32 v4, 0, v4, vcc
	v_ldexp_f64 v[4:5], v[12:13], v4
	v_cmp_class_f64_e32 vcc, v[0:1], v11
	s_nop 1
	v_cndmask_b32_e32 v13, v5, v1, vcc
	v_cndmask_b32_e32 v12, v4, v0, vcc
	v_add_f64 v[0:1], v[12:13], v[12:13]
	v_and_b32_e32 v5, 0x7fffffff, v7
	v_mov_b32_e32 v4, v6
	v_div_scale_f64 v[14:15], s[26:27], v[0:1], v[0:1], v[4:5]
	v_rcp_f64_e32 v[16:17], v[14:15]
	v_div_scale_f64 v[4:5], vcc, v[4:5], v[0:1], v[4:5]
	s_brev_b32 s26, -2
	v_fma_f64 v[18:19], -v[14:15], v[16:17], 1.0
	v_fmac_f64_e32 v[16:17], v[16:17], v[18:19]
	v_fma_f64 v[18:19], -v[14:15], v[16:17], 1.0
	v_fmac_f64_e32 v[16:17], v[16:17], v[18:19]
	v_mul_f64 v[18:19], v[4:5], v[16:17]
	v_fma_f64 v[4:5], -v[14:15], v[18:19], v[4:5]
	v_div_fmas_f64 v[4:5], v[4:5], v[16:17], v[18:19]
	v_div_fixup_f64 v[14:15], v[4:5], v[0:1], |v[6:7]|
	v_bfi_b32 v13, s26, v13, v7
.LBB224_1474:
	s_or_b64 exec, exec, s[2:3]
                                        ; implicit-def: $vgpr6_vgpr7
                                        ; implicit-def: $vgpr0_vgpr1
	s_and_saveexec_b64 s[2:3], s[0:1]
	s_xor_b64 s[0:1], exec, s[2:3]
	s_cbranch_execz .LBB224_1476
; %bb.1475:
	v_mul_f64 v[0:1], v[14:15], 0.5
	v_mul_f64 v[4:5], v[12:13], 0.5
	v_cndmask_b32_e64 v1, v15, v1, s[24:25]
	v_cndmask_b32_e64 v0, v14, v0, s[24:25]
	;; [unrolled: 1-line block ×4, first 2 shown]
                                        ; implicit-def: $vgpr14_vgpr15
                                        ; implicit-def: $vgpr12_vgpr13
	s_andn2_saveexec_b64 s[0:1], s[0:1]
	s_cbranch_execnz .LBB224_1477
	s_branch .LBB224_1478
.LBB224_1476:
	s_andn2_saveexec_b64 s[0:1], s[0:1]
.LBB224_1477:
	v_add_f64 v[0:1], v[14:15], v[14:15]
	v_add_f64 v[6:7], v[12:13], v[12:13]
.LBB224_1478:
	s_or_b64 exec, exec, s[0:1]
.LBB224_1479:
	s_andn2_saveexec_b64 s[0:1], s[22:23]
	s_cbranch_execz .LBB224_1485
; %bb.1480:
	v_add_f64 v[12:13], v[6:7], -v[6:7]
	v_cmp_lt_i64_e32 vcc, -1, v[4:5]
	s_brev_b32 s22, -2
	v_and_b32_e32 v1, 0x7fffffff, v13
	v_mov_b32_e32 v0, v12
	s_and_saveexec_b64 s[2:3], vcc
	s_xor_b64 s[2:3], exec, s[2:3]
; %bb.1481:
	v_bfi_b32 v13, s22, v13, v7
	v_mov_b64_e32 v[6:7], v[12:13]
	v_mov_b64_e32 v[0:1], v[4:5]
; %bb.1482:
	s_andn2_saveexec_b64 s[2:3], s[2:3]
; %bb.1483:
	v_bfi_b32 v5, s22, v5, v7
	v_mov_b64_e32 v[6:7], v[4:5]
; %bb.1484:
	s_or_b64 exec, exec, s[2:3]
.LBB224_1485:
	s_or_b64 exec, exec, s[0:1]
.LBB224_1486:
	s_andn2_saveexec_b64 s[0:1], s[20:21]
	s_cbranch_execz .LBB224_1488
; %bb.1487:
	v_add_f64 v[0:1], v[6:7], -v[6:7]
	v_div_scale_f64 v[6:7], vcc, v[0:1], v[0:1], v[0:1]
	v_rcp_f64_e32 v[12:13], v[6:7]
	s_nop 0
	v_fma_f64 v[14:15], -v[6:7], v[12:13], 1.0
	v_fmac_f64_e32 v[12:13], v[12:13], v[14:15]
	v_fma_f64 v[14:15], -v[6:7], v[12:13], 1.0
	v_fmac_f64_e32 v[12:13], v[12:13], v[14:15]
	v_mul_f64 v[14:15], v[6:7], v[12:13]
	v_fma_f64 v[6:7], -v[6:7], v[14:15], v[6:7]
	v_div_fmas_f64 v[6:7], v[6:7], v[12:13], v[14:15]
	v_div_fixup_f64 v[6:7], v[6:7], v[0:1], v[0:1]
	v_mov_b64_e32 v[0:1], v[4:5]
.LBB224_1488:
	s_or_b64 exec, exec, s[0:1]
.LBB224_1489:
	s_or_b64 exec, exec, s[18:19]
.LBB224_1490:
	s_or_b64 exec, exec, s[10:11]
	v_add_u32_e32 v14, s9, v10
	v_ashrrev_i32_e32 v15, 31, v14
	s_cmp_lt_i32 s28, 11
	v_lshl_add_u64 v[4:5], s[6:7], 0, v[14:15]
	s_cbranch_scc1 .LBB224_1497
; %bb.1491:
	s_cmp_gt_i32 s28, 25
	s_mov_b64 s[2:3], 0
	s_cbranch_scc0 .LBB224_1499
; %bb.1492:
	s_cmp_gt_i32 s28, 28
	s_cbranch_scc0 .LBB224_1510
; %bb.1493:
	s_cmp_gt_i32 s28, 43
	;; [unrolled: 3-line block ×3, first 2 shown]
	s_cbranch_scc0 .LBB224_1515
; %bb.1495:
	s_cmp_eq_u32 s28, 46
	s_mov_b64 s[18:19], 0
	s_cbranch_scc0 .LBB224_1599
; %bb.1496:
	global_load_dword v10, v[4:5], off
	s_mov_b64 s[0:1], 0
	s_mov_b64 s[10:11], -1
	s_waitcnt vmcnt(0)
	v_and_b32_e32 v12, 0xffff0000, v10
	v_lshlrev_b32_e32 v10, 16, v10
	v_cvt_f64_f32_e32 v[10:11], v10
	v_cvt_f64_f32_e32 v[12:13], v12
	s_branch .LBB224_1600
.LBB224_1497:
	s_mov_b64 s[10:11], 0
                                        ; implicit-def: $vgpr12_vgpr13
	s_cbranch_execnz .LBB224_1504
.LBB224_1498:
	s_andn2_b64 vcc, exec, s[10:11]
	s_cbranch_vccnz .LBB224_1801
	s_branch .LBB224_1558
.LBB224_1499:
	s_mov_b64 s[10:11], 0
	s_mov_b64 s[0:1], 0
                                        ; implicit-def: $vgpr12_vgpr13
	s_cbranch_execnz .LBB224_1634
.LBB224_1500:
	s_and_b64 vcc, exec, s[0:1]
	s_cbranch_vccnz .LBB224_1665
.LBB224_1501:
	s_andn2_b64 vcc, exec, s[2:3]
	s_cbranch_vccnz .LBB224_1503
.LBB224_1502:
	global_load_ubyte v11, v[4:5], off
	v_mov_b32_e32 v12, 0x3ff00000
	v_mov_b32_e32 v10, 0
	s_mov_b64 s[10:11], -1
	s_waitcnt vmcnt(0)
	v_cmp_ne_u16_e32 vcc, 0, v11
	s_nop 1
	v_cndmask_b32_e32 v11, 0, v12, vcc
	v_mov_b64_e32 v[12:13], 0
.LBB224_1503:
	s_branch .LBB224_1498
.LBB224_1504:
	s_cmp_lt_i32 s28, 5
	s_cbranch_scc1 .LBB224_1509
; %bb.1505:
	s_cmp_lt_i32 s28, 8
	s_cbranch_scc1 .LBB224_1511
; %bb.1506:
	;; [unrolled: 3-line block ×3, first 2 shown]
	s_cmp_gt_i32 s28, 9
	s_cbranch_scc0 .LBB224_1516
; %bb.1508:
	global_load_dwordx4 v[10:13], v[4:5], off
	s_mov_b64 s[0:1], 0
	s_branch .LBB224_1517
.LBB224_1509:
	s_mov_b64 s[0:1], -1
                                        ; implicit-def: $vgpr12_vgpr13
	s_branch .LBB224_1536
.LBB224_1510:
	s_mov_b64 s[18:19], -1
	s_mov_b64 s[10:11], 0
	s_mov_b64 s[0:1], 0
                                        ; implicit-def: $vgpr12_vgpr13
	s_branch .LBB224_1613
.LBB224_1511:
	s_mov_b64 s[0:1], -1
                                        ; implicit-def: $vgpr12_vgpr13
	s_branch .LBB224_1523
.LBB224_1512:
	s_mov_b64 s[18:19], -1
	s_mov_b64 s[10:11], 0
	s_mov_b64 s[0:1], 0
                                        ; implicit-def: $vgpr12_vgpr13
	s_branch .LBB224_1607
.LBB224_1513:
	s_mov_b64 s[0:1], -1
                                        ; implicit-def: $vgpr12_vgpr13
	s_branch .LBB224_1520
.LBB224_1514:
	s_trap 2
	s_or_b64 s[16:17], s[16:17], exec
	s_cbranch_execz .LBB224_1409
	s_branch .LBB224_1410
.LBB224_1515:
	s_mov_b64 s[18:19], -1
	s_mov_b64 s[10:11], 0
	s_mov_b64 s[0:1], 0
                                        ; implicit-def: $vgpr12_vgpr13
	s_branch .LBB224_1600
.LBB224_1516:
	s_mov_b64 s[0:1], -1
                                        ; implicit-def: $vgpr12_vgpr13
.LBB224_1517:
	s_andn2_b64 vcc, exec, s[0:1]
	s_cbranch_vccnz .LBB224_1519
; %bb.1518:
	global_load_dwordx2 v[12:13], v[4:5], off
	s_waitcnt vmcnt(0)
	v_cvt_f64_f32_e32 v[10:11], v12
	v_cvt_f64_f32_e32 v[12:13], v13
.LBB224_1519:
	s_mov_b64 s[0:1], 0
.LBB224_1520:
	s_andn2_b64 vcc, exec, s[0:1]
	s_cbranch_vccnz .LBB224_1522
; %bb.1521:
	global_load_dword v10, v[4:5], off
	s_waitcnt vmcnt(0)
	v_cvt_f32_f16_e32 v11, v10
	v_cvt_f32_f16_sdwa v12, v10 dst_sel:DWORD dst_unused:UNUSED_PAD src0_sel:WORD_1
	v_cvt_f64_f32_e32 v[10:11], v11
	v_cvt_f64_f32_e32 v[12:13], v12
.LBB224_1522:
	s_mov_b64 s[0:1], 0
.LBB224_1523:
	s_andn2_b64 vcc, exec, s[0:1]
	s_cbranch_vccnz .LBB224_1535
; %bb.1524:
	s_cmp_lt_i32 s28, 6
	s_cbranch_scc1 .LBB224_1527
; %bb.1525:
	s_cmp_gt_i32 s28, 6
	s_cbranch_scc0 .LBB224_1528
; %bb.1526:
	global_load_dwordx2 v[10:11], v[4:5], off
	s_mov_b64 s[0:1], 0
	s_branch .LBB224_1529
.LBB224_1527:
	s_mov_b64 s[0:1], -1
                                        ; implicit-def: $vgpr10_vgpr11
	s_branch .LBB224_1532
.LBB224_1528:
	s_mov_b64 s[0:1], -1
                                        ; implicit-def: $vgpr10_vgpr11
.LBB224_1529:
	s_andn2_b64 vcc, exec, s[0:1]
	s_cbranch_vccnz .LBB224_1531
; %bb.1530:
	global_load_dword v10, v[4:5], off
	s_waitcnt vmcnt(0)
	v_cvt_f64_f32_e32 v[10:11], v10
.LBB224_1531:
	s_mov_b64 s[0:1], 0
.LBB224_1532:
	s_andn2_b64 vcc, exec, s[0:1]
	s_cbranch_vccnz .LBB224_1534
; %bb.1533:
	global_load_ushort v10, v[4:5], off
	s_waitcnt vmcnt(0)
	v_cvt_f32_f16_e32 v10, v10
	v_cvt_f64_f32_e32 v[10:11], v10
.LBB224_1534:
	s_waitcnt vmcnt(0)
	v_mov_b64_e32 v[12:13], 0
.LBB224_1535:
	s_mov_b64 s[0:1], 0
.LBB224_1536:
	s_andn2_b64 vcc, exec, s[0:1]
	s_cbranch_vccnz .LBB224_1557
; %bb.1537:
	s_cmp_lt_i32 s28, 2
	s_cbranch_scc1 .LBB224_1541
; %bb.1538:
	s_cmp_lt_i32 s28, 3
	s_cbranch_scc1 .LBB224_1542
; %bb.1539:
	s_cmp_gt_i32 s28, 3
	s_cbranch_scc0 .LBB224_1543
; %bb.1540:
	global_load_dwordx2 v[10:11], v[4:5], off
	s_mov_b64 s[0:1], 0
	s_waitcnt vmcnt(0)
	v_cvt_f64_i32_e32 v[12:13], v11
	v_cvt_f64_u32_e32 v[10:11], v10
	v_ldexp_f64 v[12:13], v[12:13], 32
	v_add_f64 v[10:11], v[12:13], v[10:11]
	s_branch .LBB224_1544
.LBB224_1541:
	s_mov_b64 s[0:1], -1
                                        ; implicit-def: $vgpr10_vgpr11
	s_branch .LBB224_1550
.LBB224_1542:
	s_mov_b64 s[0:1], -1
                                        ; implicit-def: $vgpr10_vgpr11
	s_branch .LBB224_1547
.LBB224_1543:
	s_mov_b64 s[0:1], -1
                                        ; implicit-def: $vgpr10_vgpr11
.LBB224_1544:
	s_andn2_b64 vcc, exec, s[0:1]
	s_cbranch_vccnz .LBB224_1546
; %bb.1545:
	global_load_dword v10, v[4:5], off
	s_waitcnt vmcnt(0)
	v_cvt_f64_i32_e32 v[10:11], v10
.LBB224_1546:
	s_mov_b64 s[0:1], 0
.LBB224_1547:
	s_andn2_b64 vcc, exec, s[0:1]
	s_cbranch_vccnz .LBB224_1549
; %bb.1548:
	global_load_sshort v10, v[4:5], off
	s_waitcnt vmcnt(0)
	v_cvt_f64_i32_e32 v[10:11], v10
.LBB224_1549:
	s_mov_b64 s[0:1], 0
.LBB224_1550:
	s_andn2_b64 vcc, exec, s[0:1]
	s_cbranch_vccnz .LBB224_1556
; %bb.1551:
	s_cmp_gt_i32 s28, 0
	s_cbranch_scc0 .LBB224_1553
; %bb.1552:
	global_load_sbyte v10, v[4:5], off
	s_mov_b64 s[0:1], 0
	s_waitcnt vmcnt(0)
	v_cvt_f64_i32_e32 v[10:11], v10
	s_branch .LBB224_1554
.LBB224_1553:
	s_mov_b64 s[0:1], -1
                                        ; implicit-def: $vgpr10_vgpr11
.LBB224_1554:
	s_andn2_b64 vcc, exec, s[0:1]
	s_cbranch_vccnz .LBB224_1556
; %bb.1555:
	global_load_ubyte v4, v[4:5], off
	s_waitcnt vmcnt(0)
	v_cvt_f64_u32_e32 v[10:11], v4
.LBB224_1556:
	s_waitcnt vmcnt(0)
	v_mov_b64_e32 v[12:13], 0
.LBB224_1557:
.LBB224_1558:
	s_waitcnt vmcnt(0)
	v_cmp_neq_f64_e32 vcc, 0, v[10:11]
	v_cmp_neq_f64_e64 s[0:1], 0, v[12:13]
	v_mov_b64_e32 v[4:5], 0
	s_or_b64 s[0:1], vcc, s[0:1]
	s_and_saveexec_b64 s[10:11], s[0:1]
	s_cbranch_execz .LBB224_1588
; %bb.1559:
	v_mov_b32_e32 v4, 0
	v_mov_b32_e32 v5, 0x7ff00000
	v_cmp_neq_f64_e64 s[0:1], |v[12:13]|, v[4:5]
	s_and_saveexec_b64 s[18:19], s[0:1]
	s_cbranch_execz .LBB224_1587
; %bb.1560:
	v_cmp_o_f64_e32 vcc, v[10:11], v[10:11]
                                        ; implicit-def: $vgpr4_vgpr5
	s_and_saveexec_b64 s[0:1], vcc
	s_xor_b64 s[20:21], exec, s[0:1]
	s_cbranch_execz .LBB224_1584
; %bb.1561:
	s_mov_b32 s0, 0
	s_mov_b32 s1, 0x7ff00000
	v_cmp_neq_f64_e64 s[0:1], |v[10:11]|, s[0:1]
                                        ; implicit-def: $vgpr4_vgpr5
	s_and_saveexec_b64 s[2:3], s[0:1]
	s_xor_b64 s[22:23], exec, s[2:3]
	s_cbranch_execz .LBB224_1577
; %bb.1562:
	v_max_f64 v[4:5], |v[12:13]|, |v[12:13]|
	v_max_f64 v[16:17], |v[10:11]|, |v[10:11]|
	s_mov_b32 s0, 0x99fcef32
	v_max_f64 v[4:5], v[16:17], v[4:5]
	s_mov_b32 s1, 0x7fda8279
	v_cmp_nle_f64_e64 s[0:1], s[0:1], v[4:5]
                                        ; implicit-def: $sgpr24_sgpr25
	s_and_saveexec_b64 s[2:3], s[0:1]
	s_xor_b64 s[2:3], exec, s[2:3]
	s_cbranch_execz .LBB224_1566
; %bb.1563:
	s_mov_b32 s24, 0
	s_mov_b32 s25, 0x200000
	v_cmp_le_f64_e64 s[26:27], |v[10:11]|, s[24:25]
	v_cmp_le_f64_e64 s[24:25], |v[12:13]|, s[24:25]
	s_and_b64 s[30:31], s[26:27], s[24:25]
	s_mov_b64 s[24:25], 0
	s_and_saveexec_b64 s[26:27], s[30:31]
; %bb.1564:
	s_mov_b64 s[24:25], exec
	v_mul_f64 v[10:11], v[10:11], 4.0
	v_mul_f64 v[12:13], v[12:13], 4.0
; %bb.1565:
	s_or_b64 exec, exec, s[26:27]
.LBB224_1566:
	s_andn2_saveexec_b64 s[2:3], s[2:3]
; %bb.1567:
	v_ldexp_f64 v[10:11], v[10:11], -2
	v_ldexp_f64 v[12:13], v[12:13], -2
	s_andn2_b64 s[24:25], s[24:25], exec
; %bb.1568:
	s_or_b64 exec, exec, s[2:3]
	v_max_f64 v[4:5], |v[12:13]|, |v[12:13]|
	v_max_f64 v[16:17], |v[10:11]|, |v[10:11]|
	v_max_f64 v[4:5], v[16:17], v[4:5]
	v_frexp_exp_i32_f64_e32 v15, v[4:5]
	v_sub_u32_e32 v16, 0, v15
	v_ldexp_f64 v[4:5], |v[10:11]|, v16
	v_ldexp_f64 v[16:17], |v[12:13]|, v16
	v_mul_f64 v[16:17], v[16:17], v[16:17]
	v_fmac_f64_e32 v[16:17], v[4:5], v[4:5]
	v_rsq_f64_e32 v[4:5], v[16:17]
	v_cmp_eq_f64_e64 s[2:3], 0, v[16:17]
	s_movk_i32 s26, 0x204
	v_cmp_le_f64_e32 vcc, 0, v[10:11]
	v_mul_f64 v[18:19], v[16:17], v[4:5]
	v_mul_f64 v[4:5], v[4:5], 0.5
	v_fma_f64 v[20:21], -v[4:5], v[18:19], 0.5
	v_fmac_f64_e32 v[18:19], v[18:19], v[20:21]
	v_fmac_f64_e32 v[4:5], v[4:5], v[20:21]
	v_fma_f64 v[20:21], -v[18:19], v[18:19], v[16:17]
	v_fmac_f64_e32 v[18:19], v[20:21], v[4:5]
	v_cndmask_b32_e64 v5, v19, v17, s[2:3]
	v_cndmask_b32_e64 v4, v18, v16, s[2:3]
	v_ldexp_f64 v[4:5], v[4:5], v15
	v_cmp_o_f64_e64 s[2:3], v[12:13], v[12:13]
	v_mov_b32_e32 v15, 0x7ff80000
                                        ; implicit-def: $vgpr16_vgpr17
                                        ; implicit-def: $vgpr18_vgpr19
	s_nop 0
	v_cndmask_b32_e64 v4, 0, v4, s[2:3]
	v_cndmask_b32_e64 v5, v15, v5, s[2:3]
	v_cmp_class_f64_e64 s[2:3], v[10:11], s26
	v_cmp_class_f64_e64 s[26:27], v[12:13], s26
	v_mov_b32_e32 v15, 0x7ff00000
	s_or_b64 s[2:3], s[26:27], s[2:3]
	v_cndmask_b32_e64 v5, v5, v15, s[2:3]
	v_cndmask_b32_e64 v4, v4, 0, s[2:3]
	s_and_saveexec_b64 s[2:3], vcc
	s_xor_b64 s[2:3], exec, s[2:3]
	s_cbranch_execz .LBB224_1570
; %bb.1569:
	v_add_f64 v[4:5], v[10:11], v[4:5]
	s_mov_b32 s26, 0
	v_mul_f64 v[4:5], v[4:5], 0.5
	s_brev_b32 s27, 8
	v_mov_b32_e32 v10, 0x100
	v_cmp_gt_f64_e32 vcc, s[26:27], v[4:5]
	v_mov_b32_e32 v15, 0x260
	s_nop 0
	v_cndmask_b32_e32 v10, 0, v10, vcc
	v_ldexp_f64 v[4:5], v[4:5], v10
	v_rsq_f64_e32 v[10:11], v[4:5]
	s_nop 0
	v_mul_f64 v[16:17], v[4:5], v[10:11]
	v_mul_f64 v[10:11], v[10:11], 0.5
	v_fma_f64 v[18:19], -v[10:11], v[16:17], 0.5
	v_fmac_f64_e32 v[16:17], v[16:17], v[18:19]
	v_fma_f64 v[20:21], -v[16:17], v[16:17], v[4:5]
	v_fmac_f64_e32 v[10:11], v[10:11], v[18:19]
	v_fmac_f64_e32 v[16:17], v[20:21], v[10:11]
	v_fma_f64 v[18:19], -v[16:17], v[16:17], v[4:5]
	v_fmac_f64_e32 v[16:17], v[18:19], v[10:11]
	v_mov_b32_e32 v10, 0xffffff80
	v_cndmask_b32_e32 v10, 0, v10, vcc
	v_ldexp_f64 v[10:11], v[16:17], v10
	v_cmp_class_f64_e32 vcc, v[4:5], v15
	s_nop 1
	v_cndmask_b32_e32 v19, v11, v5, vcc
	v_cndmask_b32_e32 v18, v10, v4, vcc
	v_add_f64 v[4:5], v[18:19], v[18:19]
	v_div_scale_f64 v[10:11], s[26:27], v[4:5], v[4:5], v[12:13]
	v_rcp_f64_e32 v[16:17], v[10:11]
	s_nop 0
	v_fma_f64 v[20:21], -v[10:11], v[16:17], 1.0
	v_fmac_f64_e32 v[16:17], v[16:17], v[20:21]
	v_fma_f64 v[20:21], -v[10:11], v[16:17], 1.0
	v_fmac_f64_e32 v[16:17], v[16:17], v[20:21]
	v_div_scale_f64 v[20:21], vcc, v[12:13], v[4:5], v[12:13]
	v_mul_f64 v[24:25], v[20:21], v[16:17]
	v_fma_f64 v[10:11], -v[10:11], v[24:25], v[20:21]
	s_nop 1
	v_div_fmas_f64 v[10:11], v[10:11], v[16:17], v[24:25]
	v_div_fixup_f64 v[16:17], v[10:11], v[4:5], v[12:13]
                                        ; implicit-def: $vgpr4_vgpr5
                                        ; implicit-def: $vgpr10_vgpr11
	s_andn2_saveexec_b64 s[2:3], s[2:3]
	s_cbranch_execz .LBB224_1572
	s_branch .LBB224_1571
.LBB224_1570:
	s_andn2_saveexec_b64 s[2:3], s[2:3]
	s_cbranch_execz .LBB224_1572
.LBB224_1571:
	v_add_f64 v[4:5], v[4:5], -v[10:11]
	s_mov_b32 s26, 0
	v_mul_f64 v[4:5], v[4:5], 0.5
	s_brev_b32 s27, 8
	v_mov_b32_e32 v10, 0x100
	v_cmp_gt_f64_e32 vcc, s[26:27], v[4:5]
	v_mov_b32_e32 v15, 0x260
	s_nop 0
	v_cndmask_b32_e32 v10, 0, v10, vcc
	v_ldexp_f64 v[4:5], v[4:5], v10
	v_rsq_f64_e32 v[10:11], v[4:5]
	s_nop 0
	v_mul_f64 v[16:17], v[4:5], v[10:11]
	v_mul_f64 v[10:11], v[10:11], 0.5
	v_fma_f64 v[18:19], -v[10:11], v[16:17], 0.5
	v_fmac_f64_e32 v[16:17], v[16:17], v[18:19]
	v_fma_f64 v[20:21], -v[16:17], v[16:17], v[4:5]
	v_fmac_f64_e32 v[10:11], v[10:11], v[18:19]
	v_fmac_f64_e32 v[16:17], v[20:21], v[10:11]
	v_fma_f64 v[18:19], -v[16:17], v[16:17], v[4:5]
	v_fmac_f64_e32 v[16:17], v[18:19], v[10:11]
	v_mov_b32_e32 v10, 0xffffff80
	v_cndmask_b32_e32 v10, 0, v10, vcc
	v_ldexp_f64 v[10:11], v[16:17], v10
	v_cmp_class_f64_e32 vcc, v[4:5], v15
	s_nop 1
	v_cndmask_b32_e32 v17, v11, v5, vcc
	v_cndmask_b32_e32 v16, v10, v4, vcc
	v_add_f64 v[4:5], v[16:17], v[16:17]
	v_and_b32_e32 v11, 0x7fffffff, v13
	v_mov_b32_e32 v10, v12
	v_div_scale_f64 v[18:19], s[26:27], v[4:5], v[4:5], v[10:11]
	v_rcp_f64_e32 v[20:21], v[18:19]
	v_div_scale_f64 v[10:11], vcc, v[10:11], v[4:5], v[10:11]
	s_brev_b32 s26, -2
	v_fma_f64 v[24:25], -v[18:19], v[20:21], 1.0
	v_fmac_f64_e32 v[20:21], v[20:21], v[24:25]
	v_fma_f64 v[24:25], -v[18:19], v[20:21], 1.0
	v_fmac_f64_e32 v[20:21], v[20:21], v[24:25]
	v_mul_f64 v[24:25], v[10:11], v[20:21]
	v_fma_f64 v[10:11], -v[18:19], v[24:25], v[10:11]
	v_div_fmas_f64 v[10:11], v[10:11], v[20:21], v[24:25]
	v_div_fixup_f64 v[18:19], v[10:11], v[4:5], |v[12:13]|
	v_bfi_b32 v17, s26, v17, v13
.LBB224_1572:
	s_or_b64 exec, exec, s[2:3]
                                        ; implicit-def: $vgpr12_vgpr13
                                        ; implicit-def: $vgpr4_vgpr5
	s_and_saveexec_b64 s[2:3], s[0:1]
	s_xor_b64 s[0:1], exec, s[2:3]
	s_cbranch_execz .LBB224_1574
; %bb.1573:
	v_mul_f64 v[4:5], v[18:19], 0.5
	v_mul_f64 v[10:11], v[16:17], 0.5
	v_cndmask_b32_e64 v5, v19, v5, s[24:25]
	v_cndmask_b32_e64 v4, v18, v4, s[24:25]
	;; [unrolled: 1-line block ×4, first 2 shown]
                                        ; implicit-def: $vgpr18_vgpr19
                                        ; implicit-def: $vgpr16_vgpr17
	s_andn2_saveexec_b64 s[0:1], s[0:1]
	s_cbranch_execnz .LBB224_1575
	s_branch .LBB224_1576
.LBB224_1574:
	s_andn2_saveexec_b64 s[0:1], s[0:1]
.LBB224_1575:
	v_add_f64 v[4:5], v[18:19], v[18:19]
	v_add_f64 v[12:13], v[16:17], v[16:17]
.LBB224_1576:
	s_or_b64 exec, exec, s[0:1]
.LBB224_1577:
	s_andn2_saveexec_b64 s[0:1], s[22:23]
	s_cbranch_execz .LBB224_1583
; %bb.1578:
	v_add_f64 v[16:17], v[12:13], -v[12:13]
	v_cmp_lt_i64_e32 vcc, -1, v[10:11]
	s_brev_b32 s22, -2
	v_and_b32_e32 v5, 0x7fffffff, v17
	v_mov_b32_e32 v4, v16
	s_and_saveexec_b64 s[2:3], vcc
	s_xor_b64 s[2:3], exec, s[2:3]
; %bb.1579:
	v_bfi_b32 v17, s22, v17, v13
	v_mov_b64_e32 v[12:13], v[16:17]
	v_mov_b64_e32 v[4:5], v[10:11]
; %bb.1580:
	s_andn2_saveexec_b64 s[2:3], s[2:3]
; %bb.1581:
	v_bfi_b32 v11, s22, v11, v13
	v_mov_b64_e32 v[12:13], v[10:11]
; %bb.1582:
	s_or_b64 exec, exec, s[2:3]
.LBB224_1583:
	s_or_b64 exec, exec, s[0:1]
.LBB224_1584:
	s_andn2_saveexec_b64 s[0:1], s[20:21]
	s_cbranch_execz .LBB224_1586
; %bb.1585:
	v_add_f64 v[4:5], v[12:13], -v[12:13]
	v_div_scale_f64 v[12:13], vcc, v[4:5], v[4:5], v[4:5]
	v_rcp_f64_e32 v[16:17], v[12:13]
	s_nop 0
	v_fma_f64 v[18:19], -v[12:13], v[16:17], 1.0
	v_fmac_f64_e32 v[16:17], v[16:17], v[18:19]
	v_fma_f64 v[18:19], -v[12:13], v[16:17], 1.0
	v_fmac_f64_e32 v[16:17], v[16:17], v[18:19]
	v_mul_f64 v[18:19], v[12:13], v[16:17]
	v_fma_f64 v[12:13], -v[12:13], v[18:19], v[12:13]
	v_div_fmas_f64 v[12:13], v[12:13], v[16:17], v[18:19]
	v_div_fixup_f64 v[12:13], v[12:13], v[4:5], v[4:5]
	v_mov_b64_e32 v[4:5], v[10:11]
.LBB224_1586:
	s_or_b64 exec, exec, s[0:1]
.LBB224_1587:
	s_or_b64 exec, exec, s[18:19]
.LBB224_1588:
	s_or_b64 exec, exec, s[10:11]
	v_add_u32_e32 v10, s9, v14
	v_ashrrev_i32_e32 v11, 31, v10
	s_cmp_lt_i32 s28, 11
	v_lshl_add_u64 v[10:11], s[6:7], 0, v[10:11]
	s_cbranch_scc1 .LBB224_1595
; %bb.1589:
	s_cmp_gt_i32 s28, 25
	s_mov_b64 s[2:3], 0
	s_cbranch_scc0 .LBB224_1596
; %bb.1590:
	s_cmp_gt_i32 s28, 28
	s_cbranch_scc0 .LBB224_1597
; %bb.1591:
	s_cmp_gt_i32 s28, 43
	;; [unrolled: 3-line block ×3, first 2 shown]
	s_cbranch_scc0 .LBB224_1603
; %bb.1593:
	s_cmp_eq_u32 s28, 46
	s_mov_b64 s[10:11], 0
	s_cbranch_scc0 .LBB224_1666
; %bb.1594:
	global_load_dword v14, v[10:11], off
	s_mov_b64 s[0:1], 0
	s_mov_b64 s[6:7], -1
	s_waitcnt vmcnt(0)
	v_and_b32_e32 v16, 0xffff0000, v14
	v_lshlrev_b32_e32 v14, 16, v14
	v_cvt_f64_f32_e32 v[14:15], v14
	v_cvt_f64_f32_e32 v[16:17], v16
	s_branch .LBB224_1667
.LBB224_1595:
	s_mov_b64 s[0:1], -1
	s_mov_b64 s[6:7], 0
                                        ; implicit-def: $vgpr16_vgpr17
	s_branch .LBB224_1717
.LBB224_1596:
	s_mov_b64 s[10:11], -1
	s_mov_b64 s[6:7], 0
	s_mov_b64 s[0:1], 0
                                        ; implicit-def: $vgpr16_vgpr17
	s_branch .LBB224_1700
.LBB224_1597:
	s_mov_b64 s[10:11], -1
	s_mov_b64 s[6:7], 0
	s_mov_b64 s[0:1], 0
                                        ; implicit-def: $vgpr16_vgpr17
	s_branch .LBB224_1679
.LBB224_1598:
	s_mov_b64 s[10:11], -1
	s_mov_b64 s[6:7], 0
	s_mov_b64 s[0:1], 0
                                        ; implicit-def: $vgpr16_vgpr17
	s_branch .LBB224_1673
.LBB224_1599:
	s_mov_b64 s[0:1], -1
                                        ; implicit-def: $vgpr12_vgpr13
	s_mov_b64 s[10:11], 0
.LBB224_1600:
	s_and_b64 vcc, exec, s[18:19]
	s_cbranch_vccz .LBB224_1606
; %bb.1601:
	s_cmp_eq_u32 s28, 44
	s_cbranch_scc0 .LBB224_1604
; %bb.1602:
	global_load_ubyte v12, v[4:5], off
	s_movk_i32 s10, 0xff
	v_bfrev_b32_e32 v13, 4
	v_mov_b32_e32 v15, 0x7ff80000
	v_bfrev_b32_e32 v16, 28
	s_mov_b64 s[0:1], 0
	s_waitcnt vmcnt(0)
	v_lshlrev_b32_e32 v10, 23, v12
	v_cvt_f64_f32_e32 v[10:11], v10
	v_cmp_ne_u32_e32 vcc, s10, v12
	s_mov_b64 s[10:11], -1
	s_nop 0
	v_cndmask_b32_e32 v10, v13, v10, vcc
	v_cndmask_b32_e32 v11, v15, v11, vcc
	v_cmp_ne_u32_e32 vcc, 0, v12
	s_nop 1
	v_cndmask_b32_e32 v11, v16, v11, vcc
	v_cndmask_b32_e32 v10, 0, v10, vcc
	s_branch .LBB224_1605
.LBB224_1603:
	s_mov_b64 s[10:11], -1
	s_mov_b64 s[6:7], 0
	s_mov_b64 s[0:1], 0
                                        ; implicit-def: $vgpr16_vgpr17
	s_branch .LBB224_1667
.LBB224_1604:
	s_mov_b64 s[0:1], -1
                                        ; implicit-def: $vgpr10_vgpr11
.LBB224_1605:
	v_mov_b64_e32 v[12:13], 0
.LBB224_1606:
	s_mov_b64 s[18:19], 0
.LBB224_1607:
	s_and_b64 vcc, exec, s[18:19]
	s_cbranch_vccz .LBB224_1612
; %bb.1608:
	s_cmp_eq_u32 s28, 29
	s_cbranch_scc0 .LBB224_1610
; %bb.1609:
	global_load_dwordx2 v[10:11], v[4:5], off
	s_mov_b64 s[0:1], 0
	s_mov_b64 s[10:11], -1
	s_waitcnt vmcnt(0)
	v_cvt_f64_u32_e32 v[12:13], v11
	v_cvt_f64_u32_e32 v[10:11], v10
	v_ldexp_f64 v[12:13], v[12:13], 32
	v_add_f64 v[10:11], v[12:13], v[10:11]
	s_branch .LBB224_1611
.LBB224_1610:
	s_mov_b64 s[0:1], -1
                                        ; implicit-def: $vgpr10_vgpr11
.LBB224_1611:
	v_mov_b64_e32 v[12:13], 0
.LBB224_1612:
	s_mov_b64 s[18:19], 0
.LBB224_1613:
	s_and_b64 vcc, exec, s[18:19]
	s_cbranch_vccz .LBB224_1633
; %bb.1614:
	s_cmp_lt_i32 s28, 27
	s_cbranch_scc1 .LBB224_1617
; %bb.1615:
	s_cmp_gt_i32 s28, 27
	s_cbranch_scc0 .LBB224_1618
; %bb.1616:
	global_load_dword v10, v[4:5], off
	s_mov_b64 s[10:11], 0
	s_waitcnt vmcnt(0)
	v_cvt_f64_u32_e32 v[10:11], v10
	s_branch .LBB224_1619
.LBB224_1617:
	s_mov_b64 s[10:11], -1
                                        ; implicit-def: $vgpr10_vgpr11
	s_branch .LBB224_1622
.LBB224_1618:
	s_mov_b64 s[10:11], -1
                                        ; implicit-def: $vgpr10_vgpr11
.LBB224_1619:
	s_andn2_b64 vcc, exec, s[10:11]
	s_cbranch_vccnz .LBB224_1621
; %bb.1620:
	global_load_ushort v10, v[4:5], off
	s_waitcnt vmcnt(0)
	v_cvt_f64_u32_e32 v[10:11], v10
.LBB224_1621:
	s_mov_b64 s[10:11], 0
.LBB224_1622:
	s_andn2_b64 vcc, exec, s[10:11]
	s_cbranch_vccnz .LBB224_1632
; %bb.1623:
	global_load_ubyte v12, v[4:5], off
	s_movk_i32 s10, 0x7f
	s_waitcnt vmcnt(0)
	v_cmp_lt_i16_e32 vcc, s10, v12
	s_mov_b64 s[10:11], 0
	s_and_saveexec_b64 s[18:19], vcc
	s_xor_b64 s[18:19], exec, s[18:19]
	s_cbranch_execz .LBB224_1627
; %bb.1624:
	s_movk_i32 s10, 0x80
	v_cmp_eq_u16_e32 vcc, s10, v12
	s_mov_b64 s[10:11], -1
	s_and_saveexec_b64 s[20:21], vcc
; %bb.1625:
	s_xor_b64 s[10:11], exec, -1
; %bb.1626:
	s_or_b64 exec, exec, s[20:21]
	s_and_b64 s[10:11], s[10:11], exec
.LBB224_1627:
	s_or_saveexec_b64 s[18:19], s[18:19]
	v_bfrev_b32_e32 v10, 4
	v_mov_b32_e32 v11, 0x7ff80000
	s_xor_b64 exec, exec, s[18:19]
; %bb.1628:
	v_cmp_ne_u16_e32 vcc, 0, v12
	s_andn2_b64 s[10:11], s[10:11], exec
	s_and_b64 s[20:21], vcc, exec
	v_mov_b64_e32 v[10:11], 0
	s_or_b64 s[10:11], s[10:11], s[20:21]
; %bb.1629:
	s_or_b64 exec, exec, s[18:19]
	s_and_saveexec_b64 s[18:19], s[10:11]
	s_cbranch_execz .LBB224_1631
; %bb.1630:
	v_and_b32_e32 v11, 0xffff, v12
	v_lshlrev_b32_e32 v10, 24, v12
	v_and_b32_e32 v12, 7, v11
	v_ffbh_u32_e32 v15, v12
	v_min_u32_e32 v15, 32, v15
	v_subrev_u32_e32 v16, 28, v15
	v_bfe_u32 v13, v11, 3, 4
	v_lshlrev_b32_e32 v11, v16, v11
	v_sub_u32_e32 v15, 29, v15
	v_and_b32_e32 v11, 7, v11
	v_cmp_eq_u32_e32 vcc, 0, v13
	v_and_b32_e32 v10, 0x80000000, v10
	s_nop 0
	v_cndmask_b32_e32 v13, v13, v15, vcc
	v_cndmask_b32_e32 v11, v12, v11, vcc
	v_mov_b32_e32 v12, 0x3b800000
	v_lshlrev_b32_e32 v11, 20, v11
	v_lshl_add_u32 v12, v13, 23, v12
	v_or3_b32 v10, v10, v12, v11
	v_cvt_f64_f32_e32 v[10:11], v10
.LBB224_1631:
	s_or_b64 exec, exec, s[18:19]
.LBB224_1632:
	s_mov_b64 s[10:11], -1
	v_mov_b64_e32 v[12:13], 0
.LBB224_1633:
	s_branch .LBB224_1500
.LBB224_1634:
	s_cmp_gt_i32 s28, 22
	s_cbranch_scc0 .LBB224_1646
; %bb.1635:
	s_cmp_lt_i32 s28, 24
	s_cbranch_scc1 .LBB224_1647
; %bb.1636:
	s_cmp_gt_i32 s28, 24
	s_cbranch_scc0 .LBB224_1648
; %bb.1637:
	global_load_ubyte v12, v[4:5], off
	s_movk_i32 s2, 0x7f
	s_waitcnt vmcnt(0)
	v_cmp_lt_i16_e32 vcc, s2, v12
	s_mov_b64 s[2:3], 0
	s_and_saveexec_b64 s[10:11], vcc
	s_xor_b64 s[10:11], exec, s[10:11]
	s_cbranch_execz .LBB224_1641
; %bb.1638:
	s_movk_i32 s2, 0x80
	v_cmp_eq_u16_e32 vcc, s2, v12
	s_mov_b64 s[2:3], -1
	s_and_saveexec_b64 s[18:19], vcc
; %bb.1639:
	s_xor_b64 s[2:3], exec, -1
; %bb.1640:
	s_or_b64 exec, exec, s[18:19]
	s_and_b64 s[2:3], s[2:3], exec
.LBB224_1641:
	s_or_saveexec_b64 s[10:11], s[10:11]
	v_bfrev_b32_e32 v10, 4
	v_mov_b32_e32 v11, 0x7ff80000
	s_xor_b64 exec, exec, s[10:11]
; %bb.1642:
	v_cmp_ne_u16_e32 vcc, 0, v12
	s_andn2_b64 s[2:3], s[2:3], exec
	s_and_b64 s[18:19], vcc, exec
	v_mov_b64_e32 v[10:11], 0
	s_or_b64 s[2:3], s[2:3], s[18:19]
; %bb.1643:
	s_or_b64 exec, exec, s[10:11]
	s_and_saveexec_b64 s[10:11], s[2:3]
	s_cbranch_execz .LBB224_1645
; %bb.1644:
	v_and_b32_e32 v11, 0xffff, v12
	v_lshlrev_b32_e32 v10, 24, v12
	v_and_b32_e32 v12, 3, v11
	v_ffbh_u32_e32 v15, v12
	v_min_u32_e32 v15, 32, v15
	v_subrev_u32_e32 v16, 29, v15
	v_bfe_u32 v13, v11, 2, 5
	v_lshlrev_b32_e32 v11, v16, v11
	v_sub_u32_e32 v15, 30, v15
	v_and_b32_e32 v11, 3, v11
	v_cmp_eq_u32_e32 vcc, 0, v13
	v_and_b32_e32 v10, 0x80000000, v10
	s_nop 0
	v_cndmask_b32_e32 v13, v13, v15, vcc
	v_cndmask_b32_e32 v11, v12, v11, vcc
	v_mov_b32_e32 v12, 0x37800000
	v_lshlrev_b32_e32 v11, 21, v11
	v_lshl_add_u32 v12, v13, 23, v12
	v_or3_b32 v10, v10, v12, v11
	v_cvt_f64_f32_e32 v[10:11], v10
.LBB224_1645:
	s_or_b64 exec, exec, s[10:11]
	s_mov_b64 s[2:3], 0
	s_branch .LBB224_1649
.LBB224_1646:
	s_mov_b64 s[2:3], -1
                                        ; implicit-def: $vgpr10_vgpr11
	s_branch .LBB224_1655
.LBB224_1647:
	s_mov_b64 s[2:3], -1
                                        ; implicit-def: $vgpr10_vgpr11
	s_branch .LBB224_1652
.LBB224_1648:
	s_mov_b64 s[2:3], -1
                                        ; implicit-def: $vgpr10_vgpr11
.LBB224_1649:
	s_and_b64 vcc, exec, s[2:3]
	s_cbranch_vccz .LBB224_1651
; %bb.1650:
	global_load_ubyte v10, v[4:5], off
	s_mov_b32 s2, 0x7f800000
	s_waitcnt vmcnt(0)
	v_lshlrev_b32_e32 v10, 24, v10
	v_and_b32_e32 v11, 0x7f000000, v10
	v_ffbh_u32_e32 v12, v11
	v_min_u32_e32 v12, 32, v12
	v_sub_u32_e64 v12, v12, 4 clamp
	v_lshlrev_b32_e32 v15, v12, v11
	v_lshlrev_b32_e32 v12, 23, v12
	v_lshrrev_b32_e32 v15, 4, v15
	v_add_u32_e32 v13, 0x1000000, v11
	v_sub_u32_e32 v12, v15, v12
	v_ashrrev_i32_e32 v13, 8, v13
	v_add_u32_e32 v12, 0x3c000000, v12
	v_and_or_b32 v12, v13, s2, v12
	v_cmp_ne_u32_e32 vcc, 0, v11
	s_brev_b32 s2, 1
	s_nop 0
	v_cndmask_b32_e32 v11, 0, v12, vcc
	v_and_or_b32 v10, v10, s2, v11
	v_cvt_f64_f32_e32 v[10:11], v10
.LBB224_1651:
	s_mov_b64 s[2:3], 0
.LBB224_1652:
	s_andn2_b64 vcc, exec, s[2:3]
	s_cbranch_vccnz .LBB224_1654
; %bb.1653:
	global_load_ubyte v10, v[4:5], off
	s_movk_i32 s2, 0x7f00
	s_brev_b32 s3, 16
	s_waitcnt vmcnt(0)
	v_lshlrev_b16_e32 v11, 8, v10
	v_lshlrev_b32_e32 v10, 25, v10
	v_lshrrev_b32_e32 v12, 4, v10
	v_and_or_b32 v13, v11, s2, 0.5
	v_or_b32_e32 v12, 0x70000000, v12
	v_add_f32_e32 v13, -0.5, v13
	v_mul_f32_e32 v12, 0x7800000, v12
	v_cmp_gt_u32_e32 vcc, s3, v10
	v_bfe_i32 v11, v11, 0, 16
	s_brev_b32 s2, 1
	v_cndmask_b32_e32 v10, v12, v13, vcc
	v_and_or_b32 v10, v11, s2, v10
	v_cvt_f64_f32_e32 v[10:11], v10
.LBB224_1654:
	s_mov_b64 s[2:3], 0
	s_mov_b64 s[10:11], -1
.LBB224_1655:
	s_andn2_b64 vcc, exec, s[2:3]
	s_mov_b64 s[2:3], 0
	s_cbranch_vccnz .LBB224_1664
; %bb.1656:
	s_cmp_gt_i32 s28, 14
	s_cbranch_scc0 .LBB224_1659
; %bb.1657:
	s_cmp_eq_u32 s28, 15
	s_cbranch_scc0 .LBB224_1660
; %bb.1658:
	global_load_ushort v10, v[4:5], off
	s_mov_b64 s[0:1], 0
	s_mov_b64 s[10:11], -1
	s_waitcnt vmcnt(0)
	v_lshlrev_b32_e32 v10, 16, v10
	v_cvt_f64_f32_e32 v[10:11], v10
	s_branch .LBB224_1661
.LBB224_1659:
	s_mov_b64 s[18:19], -1
                                        ; implicit-def: $vgpr10_vgpr11
	s_branch .LBB224_1662
.LBB224_1660:
	s_mov_b64 s[0:1], -1
                                        ; implicit-def: $vgpr10_vgpr11
.LBB224_1661:
	s_mov_b64 s[18:19], 0
.LBB224_1662:
	s_and_b64 vcc, exec, s[18:19]
	s_cbranch_vccz .LBB224_1664
; %bb.1663:
	s_cmp_lg_u32 s28, 11
	s_mov_b64 s[2:3], -1
	s_cselect_b64 s[0:1], -1, 0
.LBB224_1664:
	v_mov_b64_e32 v[12:13], 0
	s_and_b64 vcc, exec, s[0:1]
	s_cbranch_vccz .LBB224_1501
.LBB224_1665:
	s_trap 2
	s_or_b64 s[16:17], s[16:17], exec
	s_cbranch_execz .LBB224_1502
	s_branch .LBB224_1503
.LBB224_1666:
	s_mov_b64 s[0:1], -1
                                        ; implicit-def: $vgpr16_vgpr17
	s_mov_b64 s[6:7], 0
.LBB224_1667:
	s_and_b64 vcc, exec, s[10:11]
	s_cbranch_vccz .LBB224_1672
; %bb.1668:
	s_cmp_eq_u32 s28, 44
	s_cbranch_scc0 .LBB224_1670
; %bb.1669:
	global_load_ubyte v16, v[10:11], off
	s_movk_i32 s6, 0xff
	v_bfrev_b32_e32 v17, 4
	v_mov_b32_e32 v18, 0x7ff80000
	v_bfrev_b32_e32 v19, 28
	s_mov_b64 s[0:1], 0
	s_waitcnt vmcnt(0)
	v_lshlrev_b32_e32 v14, 23, v16
	v_cvt_f64_f32_e32 v[14:15], v14
	v_cmp_ne_u32_e32 vcc, s6, v16
	s_mov_b64 s[6:7], -1
	s_nop 0
	v_cndmask_b32_e32 v14, v17, v14, vcc
	v_cndmask_b32_e32 v15, v18, v15, vcc
	v_cmp_ne_u32_e32 vcc, 0, v16
	s_nop 1
	v_cndmask_b32_e32 v15, v19, v15, vcc
	v_cndmask_b32_e32 v14, 0, v14, vcc
	s_branch .LBB224_1671
.LBB224_1670:
	s_mov_b64 s[0:1], -1
                                        ; implicit-def: $vgpr14_vgpr15
.LBB224_1671:
	v_mov_b64_e32 v[16:17], 0
.LBB224_1672:
	s_mov_b64 s[10:11], 0
.LBB224_1673:
	s_and_b64 vcc, exec, s[10:11]
	s_cbranch_vccz .LBB224_1678
; %bb.1674:
	s_cmp_eq_u32 s28, 29
	s_cbranch_scc0 .LBB224_1676
; %bb.1675:
	global_load_dwordx2 v[14:15], v[10:11], off
	s_mov_b64 s[0:1], 0
	s_mov_b64 s[6:7], -1
	s_waitcnt vmcnt(0)
	v_cvt_f64_u32_e32 v[16:17], v15
	v_cvt_f64_u32_e32 v[14:15], v14
	v_ldexp_f64 v[16:17], v[16:17], 32
	v_add_f64 v[14:15], v[16:17], v[14:15]
	s_branch .LBB224_1677
.LBB224_1676:
	s_mov_b64 s[0:1], -1
                                        ; implicit-def: $vgpr14_vgpr15
.LBB224_1677:
	v_mov_b64_e32 v[16:17], 0
.LBB224_1678:
	s_mov_b64 s[10:11], 0
.LBB224_1679:
	s_and_b64 vcc, exec, s[10:11]
	s_cbranch_vccz .LBB224_1699
; %bb.1680:
	s_cmp_lt_i32 s28, 27
	s_cbranch_scc1 .LBB224_1683
; %bb.1681:
	s_cmp_gt_i32 s28, 27
	s_cbranch_scc0 .LBB224_1684
; %bb.1682:
	global_load_dword v14, v[10:11], off
	s_mov_b64 s[6:7], 0
	s_waitcnt vmcnt(0)
	v_cvt_f64_u32_e32 v[14:15], v14
	s_branch .LBB224_1685
.LBB224_1683:
	s_mov_b64 s[6:7], -1
                                        ; implicit-def: $vgpr14_vgpr15
	s_branch .LBB224_1688
.LBB224_1684:
	s_mov_b64 s[6:7], -1
                                        ; implicit-def: $vgpr14_vgpr15
.LBB224_1685:
	s_andn2_b64 vcc, exec, s[6:7]
	s_cbranch_vccnz .LBB224_1687
; %bb.1686:
	global_load_ushort v14, v[10:11], off
	s_waitcnt vmcnt(0)
	v_cvt_f64_u32_e32 v[14:15], v14
.LBB224_1687:
	s_mov_b64 s[6:7], 0
.LBB224_1688:
	s_andn2_b64 vcc, exec, s[6:7]
	s_cbranch_vccnz .LBB224_1698
; %bb.1689:
	global_load_ubyte v16, v[10:11], off
	s_movk_i32 s6, 0x7f
	s_waitcnt vmcnt(0)
	v_cmp_lt_i16_e32 vcc, s6, v16
	s_mov_b64 s[6:7], 0
	s_and_saveexec_b64 s[10:11], vcc
	s_xor_b64 s[10:11], exec, s[10:11]
	s_cbranch_execz .LBB224_1693
; %bb.1690:
	s_movk_i32 s6, 0x80
	v_cmp_eq_u16_e32 vcc, s6, v16
	s_mov_b64 s[6:7], -1
	s_and_saveexec_b64 s[18:19], vcc
; %bb.1691:
	s_xor_b64 s[6:7], exec, -1
; %bb.1692:
	s_or_b64 exec, exec, s[18:19]
	s_and_b64 s[6:7], s[6:7], exec
.LBB224_1693:
	s_or_saveexec_b64 s[10:11], s[10:11]
	v_bfrev_b32_e32 v14, 4
	v_mov_b32_e32 v15, 0x7ff80000
	s_xor_b64 exec, exec, s[10:11]
; %bb.1694:
	v_cmp_ne_u16_e32 vcc, 0, v16
	s_andn2_b64 s[6:7], s[6:7], exec
	s_and_b64 s[18:19], vcc, exec
	v_mov_b64_e32 v[14:15], 0
	s_or_b64 s[6:7], s[6:7], s[18:19]
; %bb.1695:
	s_or_b64 exec, exec, s[10:11]
	s_and_saveexec_b64 s[10:11], s[6:7]
	s_cbranch_execz .LBB224_1697
; %bb.1696:
	v_and_b32_e32 v15, 0xffff, v16
	v_lshlrev_b32_e32 v14, 24, v16
	v_and_b32_e32 v16, 7, v15
	v_ffbh_u32_e32 v18, v16
	v_min_u32_e32 v18, 32, v18
	v_subrev_u32_e32 v19, 28, v18
	v_bfe_u32 v17, v15, 3, 4
	v_lshlrev_b32_e32 v15, v19, v15
	v_sub_u32_e32 v18, 29, v18
	v_and_b32_e32 v15, 7, v15
	v_cmp_eq_u32_e32 vcc, 0, v17
	v_and_b32_e32 v14, 0x80000000, v14
	s_nop 0
	v_cndmask_b32_e32 v17, v17, v18, vcc
	v_cndmask_b32_e32 v15, v16, v15, vcc
	v_mov_b32_e32 v16, 0x3b800000
	v_lshlrev_b32_e32 v15, 20, v15
	v_lshl_add_u32 v16, v17, 23, v16
	v_or3_b32 v14, v14, v16, v15
	v_cvt_f64_f32_e32 v[14:15], v14
.LBB224_1697:
	s_or_b64 exec, exec, s[10:11]
.LBB224_1698:
	s_mov_b64 s[6:7], -1
	v_mov_b64_e32 v[16:17], 0
.LBB224_1699:
	s_mov_b64 s[10:11], 0
.LBB224_1700:
	s_and_b64 vcc, exec, s[10:11]
	s_cbranch_vccz .LBB224_1713
; %bb.1701:
	s_cmp_gt_i32 s28, 22
	s_cbranch_scc0 .LBB224_1724
; %bb.1702:
	s_cmp_lt_i32 s28, 24
	s_cbranch_scc1 .LBB224_1726
; %bb.1703:
	s_cmp_gt_i32 s28, 24
	s_cbranch_scc0 .LBB224_1728
; %bb.1704:
	global_load_ubyte v16, v[10:11], off
	s_movk_i32 s2, 0x7f
	s_waitcnt vmcnt(0)
	v_cmp_lt_i16_e32 vcc, s2, v16
	s_mov_b64 s[2:3], 0
	s_and_saveexec_b64 s[6:7], vcc
	s_xor_b64 s[6:7], exec, s[6:7]
	s_cbranch_execz .LBB224_1708
; %bb.1705:
	s_movk_i32 s2, 0x80
	v_cmp_eq_u16_e32 vcc, s2, v16
	s_mov_b64 s[2:3], -1
	s_and_saveexec_b64 s[10:11], vcc
; %bb.1706:
	s_xor_b64 s[2:3], exec, -1
; %bb.1707:
	s_or_b64 exec, exec, s[10:11]
	s_and_b64 s[2:3], s[2:3], exec
.LBB224_1708:
	s_or_saveexec_b64 s[6:7], s[6:7]
	v_bfrev_b32_e32 v14, 4
	v_mov_b32_e32 v15, 0x7ff80000
	s_xor_b64 exec, exec, s[6:7]
; %bb.1709:
	v_cmp_ne_u16_e32 vcc, 0, v16
	s_andn2_b64 s[2:3], s[2:3], exec
	s_and_b64 s[10:11], vcc, exec
	v_mov_b64_e32 v[14:15], 0
	s_or_b64 s[2:3], s[2:3], s[10:11]
; %bb.1710:
	s_or_b64 exec, exec, s[6:7]
	s_and_saveexec_b64 s[6:7], s[2:3]
	s_cbranch_execz .LBB224_1712
; %bb.1711:
	v_and_b32_e32 v15, 0xffff, v16
	v_lshlrev_b32_e32 v14, 24, v16
	v_and_b32_e32 v16, 3, v15
	v_ffbh_u32_e32 v18, v16
	v_min_u32_e32 v18, 32, v18
	v_subrev_u32_e32 v19, 29, v18
	v_bfe_u32 v17, v15, 2, 5
	v_lshlrev_b32_e32 v15, v19, v15
	v_sub_u32_e32 v18, 30, v18
	v_and_b32_e32 v15, 3, v15
	v_cmp_eq_u32_e32 vcc, 0, v17
	v_and_b32_e32 v14, 0x80000000, v14
	s_nop 0
	v_cndmask_b32_e32 v17, v17, v18, vcc
	v_cndmask_b32_e32 v15, v16, v15, vcc
	v_mov_b32_e32 v16, 0x37800000
	v_lshlrev_b32_e32 v15, 21, v15
	v_lshl_add_u32 v16, v17, 23, v16
	v_or3_b32 v14, v14, v16, v15
	v_cvt_f64_f32_e32 v[14:15], v14
.LBB224_1712:
	s_or_b64 exec, exec, s[6:7]
	s_mov_b64 s[2:3], 0
	s_branch .LBB224_1729
.LBB224_1713:
	s_and_b64 vcc, exec, s[0:1]
	s_cbranch_vccnz .LBB224_1757
.LBB224_1714:
	s_andn2_b64 vcc, exec, s[2:3]
	s_cbranch_vccnz .LBB224_1716
.LBB224_1715:
	global_load_ubyte v15, v[10:11], off
	v_mov_b32_e32 v16, 0x3ff00000
	v_mov_b32_e32 v14, 0
	s_mov_b64 s[6:7], -1
	s_waitcnt vmcnt(0)
	v_cmp_ne_u16_e32 vcc, 0, v15
	s_nop 1
	v_cndmask_b32_e32 v15, 0, v16, vcc
	v_mov_b64_e32 v[16:17], 0
.LBB224_1716:
	s_mov_b64 s[0:1], 0
.LBB224_1717:
	s_and_b64 vcc, exec, s[0:1]
	s_cbranch_vccz .LBB224_1788
; %bb.1718:
	s_cmp_lt_i32 s28, 5
	s_cbranch_scc1 .LBB224_1723
; %bb.1719:
	s_cmp_lt_i32 s28, 8
	s_cbranch_scc1 .LBB224_1725
	;; [unrolled: 3-line block ×3, first 2 shown]
; %bb.1721:
	s_cmp_gt_i32 s28, 9
	s_cbranch_scc0 .LBB224_1740
; %bb.1722:
	global_load_dwordx4 v[14:17], v[10:11], off
	s_mov_b64 s[0:1], 0
	s_branch .LBB224_1741
.LBB224_1723:
	s_mov_b64 s[0:1], -1
                                        ; implicit-def: $vgpr16_vgpr17
	s_branch .LBB224_1766
.LBB224_1724:
	s_mov_b64 s[2:3], -1
                                        ; implicit-def: $vgpr14_vgpr15
	s_branch .LBB224_1735
.LBB224_1725:
	s_mov_b64 s[0:1], -1
                                        ; implicit-def: $vgpr16_vgpr17
	s_branch .LBB224_1747
.LBB224_1726:
	s_mov_b64 s[2:3], -1
                                        ; implicit-def: $vgpr14_vgpr15
	s_branch .LBB224_1732
.LBB224_1727:
	s_mov_b64 s[0:1], -1
                                        ; implicit-def: $vgpr16_vgpr17
	s_branch .LBB224_1744
.LBB224_1728:
	s_mov_b64 s[2:3], -1
                                        ; implicit-def: $vgpr14_vgpr15
.LBB224_1729:
	s_and_b64 vcc, exec, s[2:3]
	s_cbranch_vccz .LBB224_1731
; %bb.1730:
	global_load_ubyte v14, v[10:11], off
	s_mov_b32 s2, 0x7f800000
	s_waitcnt vmcnt(0)
	v_lshlrev_b32_e32 v14, 24, v14
	v_and_b32_e32 v15, 0x7f000000, v14
	v_ffbh_u32_e32 v16, v15
	v_min_u32_e32 v16, 32, v16
	v_sub_u32_e64 v16, v16, 4 clamp
	v_lshlrev_b32_e32 v18, v16, v15
	v_lshlrev_b32_e32 v16, 23, v16
	v_lshrrev_b32_e32 v18, 4, v18
	v_add_u32_e32 v17, 0x1000000, v15
	v_sub_u32_e32 v16, v18, v16
	v_ashrrev_i32_e32 v17, 8, v17
	v_add_u32_e32 v16, 0x3c000000, v16
	v_and_or_b32 v16, v17, s2, v16
	v_cmp_ne_u32_e32 vcc, 0, v15
	s_brev_b32 s2, 1
	s_nop 0
	v_cndmask_b32_e32 v15, 0, v16, vcc
	v_and_or_b32 v14, v14, s2, v15
	v_cvt_f64_f32_e32 v[14:15], v14
.LBB224_1731:
	s_mov_b64 s[2:3], 0
.LBB224_1732:
	s_andn2_b64 vcc, exec, s[2:3]
	s_cbranch_vccnz .LBB224_1734
; %bb.1733:
	global_load_ubyte v14, v[10:11], off
	s_movk_i32 s2, 0x7f00
	s_brev_b32 s3, 16
	s_waitcnt vmcnt(0)
	v_lshlrev_b16_e32 v15, 8, v14
	v_lshlrev_b32_e32 v14, 25, v14
	v_lshrrev_b32_e32 v16, 4, v14
	v_and_or_b32 v17, v15, s2, 0.5
	v_or_b32_e32 v16, 0x70000000, v16
	v_add_f32_e32 v17, -0.5, v17
	v_mul_f32_e32 v16, 0x7800000, v16
	v_cmp_gt_u32_e32 vcc, s3, v14
	v_bfe_i32 v15, v15, 0, 16
	s_brev_b32 s2, 1
	v_cndmask_b32_e32 v14, v16, v17, vcc
	v_and_or_b32 v14, v15, s2, v14
	v_cvt_f64_f32_e32 v[14:15], v14
.LBB224_1734:
	s_mov_b64 s[2:3], 0
	s_mov_b64 s[6:7], -1
.LBB224_1735:
	s_andn2_b64 vcc, exec, s[2:3]
	s_mov_b64 s[2:3], 0
	s_cbranch_vccnz .LBB224_1756
; %bb.1736:
	s_cmp_gt_i32 s28, 14
	s_cbranch_scc0 .LBB224_1739
; %bb.1737:
	s_cmp_eq_u32 s28, 15
	s_cbranch_scc0 .LBB224_1752
; %bb.1738:
	global_load_ushort v14, v[10:11], off
	s_mov_b64 s[0:1], 0
	s_mov_b64 s[6:7], -1
	s_waitcnt vmcnt(0)
	v_lshlrev_b32_e32 v14, 16, v14
	v_cvt_f64_f32_e32 v[14:15], v14
	s_branch .LBB224_1753
.LBB224_1739:
	s_mov_b64 s[10:11], -1
                                        ; implicit-def: $vgpr14_vgpr15
	s_branch .LBB224_1754
.LBB224_1740:
	s_mov_b64 s[0:1], -1
                                        ; implicit-def: $vgpr16_vgpr17
.LBB224_1741:
	s_andn2_b64 vcc, exec, s[0:1]
	s_cbranch_vccnz .LBB224_1743
; %bb.1742:
	global_load_dwordx2 v[16:17], v[10:11], off
	s_waitcnt vmcnt(0)
	v_cvt_f64_f32_e32 v[14:15], v16
	v_cvt_f64_f32_e32 v[16:17], v17
.LBB224_1743:
	s_mov_b64 s[0:1], 0
.LBB224_1744:
	s_andn2_b64 vcc, exec, s[0:1]
	s_cbranch_vccnz .LBB224_1746
; %bb.1745:
	global_load_dword v14, v[10:11], off
	s_waitcnt vmcnt(0)
	v_cvt_f32_f16_e32 v15, v14
	v_cvt_f32_f16_sdwa v16, v14 dst_sel:DWORD dst_unused:UNUSED_PAD src0_sel:WORD_1
	v_cvt_f64_f32_e32 v[14:15], v15
	v_cvt_f64_f32_e32 v[16:17], v16
.LBB224_1746:
	s_mov_b64 s[0:1], 0
.LBB224_1747:
	s_andn2_b64 vcc, exec, s[0:1]
	s_cbranch_vccnz .LBB224_1765
; %bb.1748:
	s_cmp_lt_i32 s28, 6
	s_cbranch_scc1 .LBB224_1751
; %bb.1749:
	s_cmp_gt_i32 s28, 6
	s_cbranch_scc0 .LBB224_1758
; %bb.1750:
	global_load_dwordx2 v[14:15], v[10:11], off
	s_mov_b64 s[0:1], 0
	s_branch .LBB224_1759
.LBB224_1751:
	s_mov_b64 s[0:1], -1
                                        ; implicit-def: $vgpr14_vgpr15
	s_branch .LBB224_1762
.LBB224_1752:
	s_mov_b64 s[0:1], -1
                                        ; implicit-def: $vgpr14_vgpr15
.LBB224_1753:
	s_mov_b64 s[10:11], 0
.LBB224_1754:
	s_and_b64 vcc, exec, s[10:11]
	s_cbranch_vccz .LBB224_1756
; %bb.1755:
	s_cmp_lg_u32 s28, 11
	s_mov_b64 s[2:3], -1
	s_cselect_b64 s[0:1], -1, 0
.LBB224_1756:
	v_mov_b64_e32 v[16:17], 0
	s_and_b64 vcc, exec, s[0:1]
	s_cbranch_vccz .LBB224_1714
.LBB224_1757:
	s_trap 2
	s_or_b64 s[16:17], s[16:17], exec
	s_cbranch_execz .LBB224_1715
	s_branch .LBB224_1716
.LBB224_1758:
	s_mov_b64 s[0:1], -1
                                        ; implicit-def: $vgpr14_vgpr15
.LBB224_1759:
	s_andn2_b64 vcc, exec, s[0:1]
	s_cbranch_vccnz .LBB224_1761
; %bb.1760:
	global_load_dword v14, v[10:11], off
	s_waitcnt vmcnt(0)
	v_cvt_f64_f32_e32 v[14:15], v14
.LBB224_1761:
	s_mov_b64 s[0:1], 0
.LBB224_1762:
	s_andn2_b64 vcc, exec, s[0:1]
	s_cbranch_vccnz .LBB224_1764
; %bb.1763:
	global_load_ushort v14, v[10:11], off
	s_waitcnt vmcnt(0)
	v_cvt_f32_f16_e32 v14, v14
	v_cvt_f64_f32_e32 v[14:15], v14
.LBB224_1764:
	s_waitcnt vmcnt(0)
	v_mov_b64_e32 v[16:17], 0
.LBB224_1765:
	s_mov_b64 s[0:1], 0
.LBB224_1766:
	s_andn2_b64 vcc, exec, s[0:1]
	s_cbranch_vccnz .LBB224_1787
; %bb.1767:
	s_cmp_lt_i32 s28, 2
	s_cbranch_scc1 .LBB224_1771
; %bb.1768:
	s_cmp_lt_i32 s28, 3
	s_cbranch_scc1 .LBB224_1772
; %bb.1769:
	s_cmp_gt_i32 s28, 3
	s_cbranch_scc0 .LBB224_1773
; %bb.1770:
	global_load_dwordx2 v[14:15], v[10:11], off
	s_mov_b64 s[0:1], 0
	s_waitcnt vmcnt(0)
	v_cvt_f64_i32_e32 v[16:17], v15
	v_cvt_f64_u32_e32 v[14:15], v14
	v_ldexp_f64 v[16:17], v[16:17], 32
	v_add_f64 v[14:15], v[16:17], v[14:15]
	s_branch .LBB224_1774
.LBB224_1771:
	s_mov_b64 s[0:1], -1
                                        ; implicit-def: $vgpr14_vgpr15
	s_branch .LBB224_1780
.LBB224_1772:
	s_mov_b64 s[0:1], -1
                                        ; implicit-def: $vgpr14_vgpr15
	s_branch .LBB224_1777
.LBB224_1773:
	s_mov_b64 s[0:1], -1
                                        ; implicit-def: $vgpr14_vgpr15
.LBB224_1774:
	s_andn2_b64 vcc, exec, s[0:1]
	s_cbranch_vccnz .LBB224_1776
; %bb.1775:
	global_load_dword v14, v[10:11], off
	s_waitcnt vmcnt(0)
	v_cvt_f64_i32_e32 v[14:15], v14
.LBB224_1776:
	s_mov_b64 s[0:1], 0
.LBB224_1777:
	s_andn2_b64 vcc, exec, s[0:1]
	s_cbranch_vccnz .LBB224_1779
; %bb.1778:
	global_load_sshort v14, v[10:11], off
	s_waitcnt vmcnt(0)
	v_cvt_f64_i32_e32 v[14:15], v14
.LBB224_1779:
	s_mov_b64 s[0:1], 0
.LBB224_1780:
	s_andn2_b64 vcc, exec, s[0:1]
	s_cbranch_vccnz .LBB224_1786
; %bb.1781:
	s_cmp_gt_i32 s28, 0
	s_cbranch_scc0 .LBB224_1783
; %bb.1782:
	global_load_sbyte v14, v[10:11], off
	s_mov_b64 s[0:1], 0
	s_waitcnt vmcnt(0)
	v_cvt_f64_i32_e32 v[14:15], v14
	s_branch .LBB224_1784
.LBB224_1783:
	s_mov_b64 s[0:1], -1
                                        ; implicit-def: $vgpr14_vgpr15
.LBB224_1784:
	s_andn2_b64 vcc, exec, s[0:1]
	s_cbranch_vccnz .LBB224_1786
; %bb.1785:
	global_load_ubyte v10, v[10:11], off
	s_waitcnt vmcnt(0)
	v_cvt_f64_u32_e32 v[14:15], v10
.LBB224_1786:
	s_waitcnt vmcnt(0)
	v_mov_b64_e32 v[16:17], 0
.LBB224_1787:
	s_mov_b64 s[6:7], -1
.LBB224_1788:
	s_andn2_b64 vcc, exec, s[6:7]
	s_cbranch_vccnz .LBB224_1801
; %bb.1789:
	s_waitcnt vmcnt(0)
	v_cmp_neq_f64_e32 vcc, 0, v[14:15]
	v_cmp_neq_f64_e64 s[0:1], 0, v[16:17]
	v_mov_b64_e32 v[18:19], 0
	s_or_b64 s[0:1], vcc, s[0:1]
	s_and_saveexec_b64 s[6:7], s[0:1]
	s_cbranch_execz .LBB224_1865
; %bb.1790:
	v_mov_b32_e32 v18, 0
	v_mov_b32_e32 v19, 0x7ff00000
	v_cmp_neq_f64_e64 s[0:1], |v[16:17]|, v[18:19]
	s_and_saveexec_b64 s[10:11], s[0:1]
	s_cbranch_execz .LBB224_1864
; %bb.1791:
	v_cmp_o_f64_e32 vcc, v[14:15], v[14:15]
                                        ; implicit-def: $vgpr18_vgpr19
	s_and_saveexec_b64 s[0:1], vcc
	s_xor_b64 s[18:19], exec, s[0:1]
	s_cbranch_execz .LBB224_1861
; %bb.1792:
	s_mov_b32 s0, 0
	s_mov_b32 s1, 0x7ff00000
	v_cmp_neq_f64_e64 s[0:1], |v[14:15]|, s[0:1]
                                        ; implicit-def: $vgpr18_vgpr19
	s_and_saveexec_b64 s[2:3], s[0:1]
	s_xor_b64 s[20:21], exec, s[2:3]
	s_cbranch_execz .LBB224_1854
; %bb.1793:
	v_max_f64 v[10:11], |v[16:17]|, |v[16:17]|
	v_max_f64 v[18:19], |v[14:15]|, |v[14:15]|
	s_mov_b32 s0, 0x99fcef32
	v_max_f64 v[10:11], v[18:19], v[10:11]
	s_mov_b32 s1, 0x7fda8279
	v_cmp_nle_f64_e64 s[0:1], s[0:1], v[10:11]
                                        ; implicit-def: $sgpr22_sgpr23
	s_and_saveexec_b64 s[2:3], s[0:1]
	s_xor_b64 s[2:3], exec, s[2:3]
	s_cbranch_execz .LBB224_1797
; %bb.1794:
	s_mov_b32 s22, 0
	s_mov_b32 s23, 0x200000
	v_cmp_le_f64_e64 s[24:25], |v[14:15]|, s[22:23]
	v_cmp_le_f64_e64 s[22:23], |v[16:17]|, s[22:23]
	s_and_b64 s[26:27], s[24:25], s[22:23]
	s_mov_b64 s[22:23], 0
	s_and_saveexec_b64 s[24:25], s[26:27]
; %bb.1795:
	s_mov_b64 s[22:23], exec
	v_mul_f64 v[14:15], v[14:15], 4.0
	v_mul_f64 v[16:17], v[16:17], 4.0
; %bb.1796:
	s_or_b64 exec, exec, s[24:25]
.LBB224_1797:
	s_andn2_saveexec_b64 s[2:3], s[2:3]
; %bb.1798:
	v_ldexp_f64 v[14:15], v[14:15], -2
	v_ldexp_f64 v[16:17], v[16:17], -2
	s_andn2_b64 s[22:23], s[22:23], exec
; %bb.1799:
	s_or_b64 exec, exec, s[2:3]
	v_max_f64 v[10:11], |v[16:17]|, |v[16:17]|
	v_max_f64 v[18:19], |v[14:15]|, |v[14:15]|
	v_max_f64 v[10:11], v[18:19], v[10:11]
	v_frexp_exp_i32_f64_e32 v23, v[10:11]
	v_sub_u32_e32 v18, 0, v23
	v_ldexp_f64 v[10:11], |v[14:15]|, v18
	v_ldexp_f64 v[18:19], |v[16:17]|, v18
	v_mul_f64 v[18:19], v[18:19], v[18:19]
	v_fmac_f64_e32 v[18:19], v[10:11], v[10:11]
	v_rsq_f64_e32 v[10:11], v[18:19]
	v_cmp_eq_f64_e64 s[2:3], 0, v[18:19]
	s_movk_i32 s9, 0x204
	v_cmp_class_f64_e64 s[24:25], v[16:17], s9
	v_mul_f64 v[20:21], v[18:19], v[10:11]
	v_mul_f64 v[10:11], v[10:11], 0.5
	v_fma_f64 v[24:25], -v[10:11], v[20:21], 0.5
	v_fmac_f64_e32 v[20:21], v[20:21], v[24:25]
	v_fmac_f64_e32 v[10:11], v[10:11], v[24:25]
	v_fma_f64 v[24:25], -v[20:21], v[20:21], v[18:19]
	v_fmac_f64_e32 v[20:21], v[24:25], v[10:11]
	v_cndmask_b32_e64 v11, v21, v19, s[2:3]
	v_cndmask_b32_e64 v10, v20, v18, s[2:3]
	v_ldexp_f64 v[10:11], v[10:11], v23
	v_cmp_o_f64_e64 s[2:3], v[16:17], v[16:17]
	v_mov_b32_e32 v18, 0x7ff80000
	v_cmp_le_f64_e32 vcc, 0, v[14:15]
	v_cndmask_b32_e64 v10, 0, v10, s[2:3]
	v_cndmask_b32_e64 v11, v18, v11, s[2:3]
	v_cmp_class_f64_e64 s[2:3], v[14:15], s9
	v_mov_b32_e32 v18, 0x7ff00000
	s_or_b64 s[2:3], s[24:25], s[2:3]
	v_cndmask_b32_e64 v19, v11, v18, s[2:3]
	v_cndmask_b32_e64 v18, v10, 0, s[2:3]
                                        ; implicit-def: $vgpr10_vgpr11
                                        ; implicit-def: $vgpr20_vgpr21
	s_and_saveexec_b64 s[2:3], vcc
	s_xor_b64 s[2:3], exec, s[2:3]
	s_cbranch_execz .LBB224_1847
; %bb.1800:
	v_add_f64 v[10:11], v[14:15], v[18:19]
	s_mov_b32 s24, 0
	v_mul_f64 v[10:11], v[10:11], 0.5
	s_brev_b32 s25, 8
	v_mov_b32_e32 v14, 0x100
	v_cmp_gt_f64_e32 vcc, s[24:25], v[10:11]
	s_nop 1
	v_cndmask_b32_e32 v14, 0, v14, vcc
	v_ldexp_f64 v[10:11], v[10:11], v14
	v_rsq_f64_e32 v[14:15], v[10:11]
	s_nop 0
	v_mul_f64 v[18:19], v[10:11], v[14:15]
	v_mul_f64 v[14:15], v[14:15], 0.5
	v_fma_f64 v[20:21], -v[14:15], v[18:19], 0.5
	v_fmac_f64_e32 v[18:19], v[18:19], v[20:21]
	v_fma_f64 v[24:25], -v[18:19], v[18:19], v[10:11]
	v_fmac_f64_e32 v[14:15], v[14:15], v[20:21]
	v_fmac_f64_e32 v[18:19], v[24:25], v[14:15]
	v_fma_f64 v[20:21], -v[18:19], v[18:19], v[10:11]
	v_fmac_f64_e32 v[18:19], v[20:21], v[14:15]
	v_mov_b32_e32 v14, 0xffffff80
	v_cndmask_b32_e32 v14, 0, v14, vcc
	v_ldexp_f64 v[14:15], v[18:19], v14
	v_mov_b32_e32 v18, 0x260
	v_cmp_class_f64_e32 vcc, v[10:11], v18
	s_nop 1
	v_cndmask_b32_e32 v21, v15, v11, vcc
	v_cndmask_b32_e32 v20, v14, v10, vcc
	v_add_f64 v[10:11], v[20:21], v[20:21]
	v_div_scale_f64 v[14:15], s[24:25], v[10:11], v[10:11], v[16:17]
	v_rcp_f64_e32 v[18:19], v[14:15]
	s_nop 0
	v_fma_f64 v[24:25], -v[14:15], v[18:19], 1.0
	v_fmac_f64_e32 v[18:19], v[18:19], v[24:25]
	v_fma_f64 v[24:25], -v[14:15], v[18:19], 1.0
	v_fmac_f64_e32 v[18:19], v[18:19], v[24:25]
	v_div_scale_f64 v[24:25], vcc, v[16:17], v[10:11], v[16:17]
	v_mul_f64 v[26:27], v[24:25], v[18:19]
	v_fma_f64 v[14:15], -v[14:15], v[26:27], v[24:25]
	s_nop 1
	v_div_fmas_f64 v[14:15], v[14:15], v[18:19], v[26:27]
	v_div_fixup_f64 v[10:11], v[14:15], v[10:11], v[16:17]
                                        ; implicit-def: $vgpr18_vgpr19
                                        ; implicit-def: $vgpr14_vgpr15
	s_andn2_saveexec_b64 s[2:3], s[2:3]
	s_cbranch_execz .LBB224_1849
	s_branch .LBB224_1848
.LBB224_1801:
	s_mov_b64 s[0:1], 0
                                        ; implicit-def: $sgpr20
                                        ; implicit-def: $vgpr0_vgpr1
                                        ; implicit-def: $vgpr16_vgpr17
                                        ; implicit-def: $vgpr18_vgpr19
.LBB224_1802:
	s_mov_b64 s[2:3], 0
.LBB224_1803:
	s_and_b64 s[18:19], s[0:1], exec
	s_and_b64 s[10:11], s[2:3], exec
	s_andn2_b64 s[0:1], s[14:15], exec
	s_and_b64 s[2:3], s[16:17], exec
	s_or_b64 s[14:15], s[0:1], s[2:3]
.LBB224_1804:
	s_or_b64 exec, exec, s[12:13]
	s_and_saveexec_b64 s[0:1], s[14:15]
	s_cbranch_execz .LBB224_1807
; %bb.1805:
	; divergent unreachable
	s_or_b64 exec, exec, s[0:1]
	s_and_saveexec_b64 s[0:1], s[10:11]
	s_xor_b64 s[2:3], exec, s[0:1]
	s_cbranch_execnz .LBB224_1808
.LBB224_1806:
	s_or_b64 exec, exec, s[2:3]
	s_and_saveexec_b64 s[0:1], s[18:19]
	s_cbranch_execnz .LBB224_1809
	s_branch .LBB224_1846
.LBB224_1807:
	s_or_b64 exec, exec, s[0:1]
	s_and_saveexec_b64 s[0:1], s[10:11]
	s_xor_b64 s[2:3], exec, s[0:1]
	s_cbranch_execz .LBB224_1806
.LBB224_1808:
	v_cmp_neq_f64_e32 vcc, 0, v[18:19]
	s_waitcnt vmcnt(0)
	v_cmp_neq_f64_e64 s[0:1], 0, v[16:17]
	s_or_b64 s[0:1], vcc, s[0:1]
	s_nop 0
	v_cndmask_b32_e64 v2, 0, 1, s[0:1]
	global_store_byte v[0:1], v2, off
	s_or_b64 exec, exec, s[2:3]
	s_and_saveexec_b64 s[0:1], s[18:19]
	s_cbranch_execz .LBB224_1846
.LBB224_1809:
	s_sext_i32_i16 s2, s20
	s_cmp_lt_i32 s2, 5
	s_mov_b64 s[0:1], -1
	s_cbranch_scc1 .LBB224_1830
; %bb.1810:
	s_cmp_lt_i32 s2, 8
	s_cbranch_scc1 .LBB224_1820
; %bb.1811:
	s_cmp_lt_i32 s2, 9
	s_cbranch_scc1 .LBB224_1817
; %bb.1812:
	s_cmp_gt_i32 s2, 9
	s_cbranch_scc0 .LBB224_1814
; %bb.1813:
	s_waitcnt vmcnt(0)
	v_mov_b32_e32 v20, v16
	v_mov_b32_e32 v21, v17
	global_store_dwordx4 v[0:1], v[18:21], off
	s_mov_b64 s[0:1], 0
.LBB224_1814:
	s_andn2_b64 vcc, exec, s[0:1]
	s_cbranch_vccnz .LBB224_1816
; %bb.1815:
	s_waitcnt vmcnt(0)
	v_cvt_f32_f64_e32 v2, v[18:19]
	v_cvt_f32_f64_e32 v3, v[16:17]
	global_store_dwordx2 v[0:1], v[2:3], off
.LBB224_1816:
	s_mov_b64 s[0:1], 0
.LBB224_1817:
	s_andn2_b64 vcc, exec, s[0:1]
	s_cbranch_vccnz .LBB224_1819
; %bb.1818:
	s_movk_i32 s0, 0x1ff
	s_waitcnt vmcnt(0)
	v_and_or_b32 v2, v19, s0, v18
	v_cmp_ne_u32_e32 vcc, 0, v2
	v_lshrrev_b32_e32 v3, 8, v19
	s_movk_i32 s1, 0xffe
	v_cndmask_b32_e64 v2, 0, 1, vcc
	v_bfe_u32 v4, v19, 20, 11
	v_and_or_b32 v2, v3, s1, v2
	v_sub_u32_e32 v5, 0x3f1, v4
	v_or_b32_e32 v3, 0x1000, v2
	v_med3_i32 v5, v5, 0, 13
	v_lshrrev_b32_e32 v6, v5, v3
	v_lshlrev_b32_e32 v5, v5, v6
	v_cmp_ne_u32_e32 vcc, v5, v3
	v_add_u32_e32 v4, 0xfffffc10, v4
	v_lshl_or_b32 v5, v4, 12, v2
	v_cndmask_b32_e64 v3, 0, 1, vcc
	v_or_b32_e32 v3, v6, v3
	v_cmp_gt_i32_e32 vcc, 1, v4
	s_movk_i32 s2, 0x40f
	v_lshrrev_b32_e32 v7, 8, v17
	v_cndmask_b32_e32 v3, v5, v3, vcc
	v_and_b32_e32 v5, 7, v3
	v_cmp_lt_i32_e32 vcc, 5, v5
	v_lshrrev_b32_e32 v3, 2, v3
	v_bfe_u32 v8, v17, 20, 11
	v_cndmask_b32_e64 v6, 0, 1, vcc
	v_cmp_eq_u32_e32 vcc, 3, v5
	v_sub_u32_e32 v9, 0x3f1, v8
	v_med3_i32 v9, v9, 0, 13
	v_cndmask_b32_e64 v5, 0, 1, vcc
	v_or_b32_e32 v5, v5, v6
	v_add_u32_e32 v3, v3, v5
	v_mov_b32_e32 v5, 0x7c00
	v_cmp_gt_i32_e32 vcc, 31, v4
	v_mov_b32_e32 v6, 0x7e00
	v_add_u32_e32 v8, 0xfffffc10, v8
	v_cndmask_b32_e32 v3, v5, v3, vcc
	v_cmp_ne_u32_e32 vcc, 0, v2
	s_mov_b32 s3, 0x8000
	s_nop 0
	v_cndmask_b32_e32 v2, v5, v6, vcc
	v_cmp_eq_u32_e32 vcc, s2, v4
	v_and_or_b32 v4, v17, s0, v16
	s_mov_b32 s0, 0xffff
	v_cndmask_b32_e32 v2, v3, v2, vcc
	v_cmp_ne_u32_e32 vcc, 0, v4
	v_and_b32_sdwa v3, v19, s3 dst_sel:DWORD dst_unused:UNUSED_PAD src0_sel:WORD_1 src1_sel:DWORD
	v_bitop3_b32 v2, v3, s0, v2 bitop3:0xc8
	v_cndmask_b32_e64 v4, 0, 1, vcc
	v_and_or_b32 v4, v7, s1, v4
	v_or_b32_e32 v7, 0x1000, v4
	v_lshrrev_b32_e32 v10, v9, v7
	v_lshlrev_b32_e32 v9, v9, v10
	v_cmp_ne_u32_e32 vcc, v9, v7
	v_lshl_or_b32 v9, v8, 12, v4
	s_nop 0
	v_cndmask_b32_e64 v7, 0, 1, vcc
	v_or_b32_e32 v7, v10, v7
	v_cmp_gt_i32_e32 vcc, 1, v8
	s_nop 1
	v_cndmask_b32_e32 v7, v9, v7, vcc
	v_and_b32_e32 v9, 7, v7
	v_cmp_lt_i32_e32 vcc, 5, v9
	v_lshrrev_b32_e32 v7, 2, v7
	s_nop 0
	v_cndmask_b32_e64 v10, 0, 1, vcc
	v_cmp_eq_u32_e32 vcc, 3, v9
	s_nop 1
	v_cndmask_b32_e64 v9, 0, 1, vcc
	v_or_b32_e32 v9, v9, v10
	v_add_u32_e32 v7, v7, v9
	v_cmp_gt_i32_e32 vcc, 31, v8
	s_nop 1
	v_cndmask_b32_e32 v7, v5, v7, vcc
	v_cmp_ne_u32_e32 vcc, 0, v4
	s_nop 1
	v_cndmask_b32_e32 v4, v5, v6, vcc
	v_cmp_eq_u32_e32 vcc, s2, v8
	v_lshrrev_b32_e32 v5, 16, v17
	s_nop 0
	v_cndmask_b32_e32 v4, v7, v4, vcc
	v_and_or_b32 v4, v5, s3, v4
	v_lshl_or_b32 v2, v4, 16, v2
	global_store_dword v[0:1], v2, off
.LBB224_1819:
	s_mov_b64 s[0:1], 0
.LBB224_1820:
	s_andn2_b64 vcc, exec, s[0:1]
	s_cbranch_vccnz .LBB224_1829
; %bb.1821:
	s_sext_i32_i16 s2, s20
	s_cmp_lt_i32 s2, 6
	s_mov_b64 s[0:1], -1
	s_cbranch_scc1 .LBB224_1827
; %bb.1822:
	s_cmp_gt_i32 s2, 6
	s_cbranch_scc0 .LBB224_1824
; %bb.1823:
	s_waitcnt vmcnt(0)
	global_store_dwordx2 v[0:1], v[18:19], off
	s_mov_b64 s[0:1], 0
.LBB224_1824:
	s_andn2_b64 vcc, exec, s[0:1]
	s_cbranch_vccnz .LBB224_1826
; %bb.1825:
	s_waitcnt vmcnt(0)
	v_cvt_f32_f64_e32 v2, v[18:19]
	global_store_dword v[0:1], v2, off
.LBB224_1826:
	s_mov_b64 s[0:1], 0
.LBB224_1827:
	s_andn2_b64 vcc, exec, s[0:1]
	s_cbranch_vccnz .LBB224_1829
; %bb.1828:
	s_movk_i32 s0, 0x1ff
	s_waitcnt vmcnt(0)
	v_and_or_b32 v2, v19, s0, v18
	v_cmp_ne_u32_e32 vcc, 0, v2
	v_lshrrev_b32_e32 v3, 8, v19
	s_movk_i32 s0, 0xffe
	v_cndmask_b32_e64 v2, 0, 1, vcc
	v_bfe_u32 v4, v19, 20, 11
	v_and_or_b32 v2, v3, s0, v2
	v_sub_u32_e32 v5, 0x3f1, v4
	v_or_b32_e32 v3, 0x1000, v2
	v_med3_i32 v5, v5, 0, 13
	v_lshrrev_b32_e32 v6, v5, v3
	v_lshlrev_b32_e32 v5, v5, v6
	v_cmp_ne_u32_e32 vcc, v5, v3
	v_add_u32_e32 v4, 0xfffffc10, v4
	v_lshl_or_b32 v5, v4, 12, v2
	v_cndmask_b32_e64 v3, 0, 1, vcc
	v_or_b32_e32 v3, v6, v3
	v_cmp_gt_i32_e32 vcc, 1, v4
	s_movk_i32 s0, 0x40f
	s_nop 0
	v_cndmask_b32_e32 v3, v5, v3, vcc
	v_and_b32_e32 v5, 7, v3
	v_cmp_lt_i32_e32 vcc, 5, v5
	v_lshrrev_b32_e32 v3, 2, v3
	s_nop 0
	v_cndmask_b32_e64 v6, 0, 1, vcc
	v_cmp_eq_u32_e32 vcc, 3, v5
	s_nop 1
	v_cndmask_b32_e64 v5, 0, 1, vcc
	v_or_b32_e32 v5, v5, v6
	v_add_u32_e32 v3, v3, v5
	v_mov_b32_e32 v5, 0x7c00
	v_cmp_gt_i32_e32 vcc, 31, v4
	v_mov_b32_e32 v6, 0x7e00
	s_nop 0
	v_cndmask_b32_e32 v3, v5, v3, vcc
	v_cmp_ne_u32_e32 vcc, 0, v2
	s_nop 1
	v_cndmask_b32_e32 v2, v5, v6, vcc
	v_cmp_eq_u32_e32 vcc, s0, v4
	s_mov_b32 s0, 0x8000
	s_nop 0
	v_cndmask_b32_e32 v2, v3, v2, vcc
	v_lshrrev_b32_e32 v3, 16, v19
	v_and_or_b32 v2, v3, s0, v2
	global_store_short v[0:1], v2, off
.LBB224_1829:
	s_mov_b64 s[0:1], 0
.LBB224_1830:
	s_andn2_b64 vcc, exec, s[0:1]
	s_cbranch_vccnz .LBB224_1846
; %bb.1831:
	s_sext_i32_i16 s2, s20
	s_cmp_lt_i32 s2, 2
	s_mov_b64 s[0:1], -1
	s_cbranch_scc1 .LBB224_1841
; %bb.1832:
	s_cmp_lt_i32 s2, 3
	s_cbranch_scc1 .LBB224_1838
; %bb.1833:
	s_cmp_gt_i32 s2, 3
	s_cbranch_scc0 .LBB224_1835
; %bb.1834:
	s_waitcnt vmcnt(0)
	v_trunc_f64_e32 v[2:3], v[18:19]
	s_movk_i32 s0, 0xffe0
	v_ldexp_f64 v[4:5], v[2:3], s0
	v_floor_f64_e32 v[4:5], v[4:5]
	v_fmac_f64_e32 v[2:3], 0xc1f00000, v[4:5]
	v_cvt_i32_f64_e32 v7, v[4:5]
	v_cvt_u32_f64_e32 v6, v[2:3]
	global_store_dwordx2 v[0:1], v[6:7], off
	s_mov_b64 s[0:1], 0
.LBB224_1835:
	s_andn2_b64 vcc, exec, s[0:1]
	s_cbranch_vccnz .LBB224_1837
; %bb.1836:
	s_waitcnt vmcnt(0)
	v_cvt_i32_f64_e32 v2, v[18:19]
	global_store_dword v[0:1], v2, off
.LBB224_1837:
	s_mov_b64 s[0:1], 0
.LBB224_1838:
	s_andn2_b64 vcc, exec, s[0:1]
	s_cbranch_vccnz .LBB224_1840
; %bb.1839:
	s_waitcnt vmcnt(0)
	v_cvt_i32_f64_e32 v2, v[18:19]
	global_store_short v[0:1], v2, off
.LBB224_1840:
	s_mov_b64 s[0:1], 0
.LBB224_1841:
	s_andn2_b64 vcc, exec, s[0:1]
	s_cbranch_vccnz .LBB224_1846
; %bb.1842:
	s_sext_i32_i16 s0, s20
	s_cmp_gt_i32 s0, 0
	s_mov_b64 s[0:1], -1
	s_cbranch_scc0 .LBB224_1844
; %bb.1843:
	s_waitcnt vmcnt(0)
	v_cvt_i32_f64_e32 v2, v[18:19]
	global_store_byte v[0:1], v2, off
	s_mov_b64 s[0:1], 0
.LBB224_1844:
	s_andn2_b64 vcc, exec, s[0:1]
	s_cbranch_vccnz .LBB224_1846
; %bb.1845:
	s_waitcnt vmcnt(0)
	v_trunc_f64_e32 v[2:3], v[18:19]
	s_movk_i32 s0, 0xffe0
	v_ldexp_f64 v[4:5], v[2:3], s0
	v_floor_f64_e32 v[4:5], v[4:5]
	v_fmac_f64_e32 v[2:3], 0xc1f00000, v[4:5]
	v_cvt_u32_f64_e32 v2, v[2:3]
	global_store_byte v[0:1], v2, off
	s_endpgm
.LBB224_1846:
	s_endpgm
.LBB224_1847:
	s_andn2_saveexec_b64 s[2:3], s[2:3]
	s_cbranch_execz .LBB224_1849
.LBB224_1848:
	v_add_f64 v[10:11], v[18:19], -v[14:15]
	s_mov_b32 s24, 0
	v_mul_f64 v[10:11], v[10:11], 0.5
	s_brev_b32 s25, 8
	v_mov_b32_e32 v14, 0x100
	v_cmp_gt_f64_e32 vcc, s[24:25], v[10:11]
	s_brev_b32 s9, -2
	s_nop 0
	v_cndmask_b32_e32 v14, 0, v14, vcc
	v_ldexp_f64 v[10:11], v[10:11], v14
	v_rsq_f64_e32 v[14:15], v[10:11]
	s_nop 0
	v_mul_f64 v[18:19], v[10:11], v[14:15]
	v_mul_f64 v[14:15], v[14:15], 0.5
	v_fma_f64 v[20:21], -v[14:15], v[18:19], 0.5
	v_fmac_f64_e32 v[18:19], v[18:19], v[20:21]
	v_fma_f64 v[24:25], -v[18:19], v[18:19], v[10:11]
	v_fmac_f64_e32 v[14:15], v[14:15], v[20:21]
	v_fmac_f64_e32 v[18:19], v[24:25], v[14:15]
	v_fma_f64 v[20:21], -v[18:19], v[18:19], v[10:11]
	v_fmac_f64_e32 v[18:19], v[20:21], v[14:15]
	v_mov_b32_e32 v14, 0xffffff80
	v_cndmask_b32_e32 v14, 0, v14, vcc
	v_ldexp_f64 v[14:15], v[18:19], v14
	v_mov_b32_e32 v18, 0x260
	v_cmp_class_f64_e32 vcc, v[10:11], v18
	v_and_b32_e32 v19, 0x7fffffff, v17
	v_mov_b32_e32 v18, v16
	v_cndmask_b32_e32 v11, v15, v11, vcc
	v_cndmask_b32_e32 v10, v14, v10, vcc
	v_add_f64 v[14:15], v[10:11], v[10:11]
	v_div_scale_f64 v[20:21], s[24:25], v[14:15], v[14:15], v[18:19]
	v_rcp_f64_e32 v[24:25], v[20:21]
	v_div_scale_f64 v[18:19], vcc, v[18:19], v[14:15], v[18:19]
	v_bfi_b32 v11, s9, v11, v17
	v_fma_f64 v[26:27], -v[20:21], v[24:25], 1.0
	v_fmac_f64_e32 v[24:25], v[24:25], v[26:27]
	v_fma_f64 v[26:27], -v[20:21], v[24:25], 1.0
	v_fmac_f64_e32 v[24:25], v[24:25], v[26:27]
	v_mul_f64 v[26:27], v[18:19], v[24:25]
	v_fma_f64 v[18:19], -v[20:21], v[26:27], v[18:19]
	v_div_fmas_f64 v[18:19], v[18:19], v[24:25], v[26:27]
	v_div_fixup_f64 v[20:21], v[18:19], v[14:15], |v[16:17]|
.LBB224_1849:
	s_or_b64 exec, exec, s[2:3]
                                        ; implicit-def: $vgpr16_vgpr17
                                        ; implicit-def: $vgpr18_vgpr19
	s_and_saveexec_b64 s[2:3], s[0:1]
	s_xor_b64 s[0:1], exec, s[2:3]
	s_cbranch_execz .LBB224_1851
; %bb.1850:
	v_mul_f64 v[14:15], v[20:21], 0.5
	v_mul_f64 v[16:17], v[10:11], 0.5
	v_cndmask_b32_e64 v19, v21, v15, s[22:23]
	v_cndmask_b32_e64 v18, v20, v14, s[22:23]
	;; [unrolled: 1-line block ×4, first 2 shown]
                                        ; implicit-def: $vgpr20_vgpr21
                                        ; implicit-def: $vgpr10_vgpr11
	s_andn2_saveexec_b64 s[0:1], s[0:1]
	s_cbranch_execnz .LBB224_1852
	s_branch .LBB224_1853
.LBB224_1851:
	s_andn2_saveexec_b64 s[0:1], s[0:1]
.LBB224_1852:
	v_add_f64 v[18:19], v[20:21], v[20:21]
	v_add_f64 v[16:17], v[10:11], v[10:11]
.LBB224_1853:
	s_or_b64 exec, exec, s[0:1]
.LBB224_1854:
	s_andn2_saveexec_b64 s[0:1], s[20:21]
	s_cbranch_execz .LBB224_1860
; %bb.1855:
	v_add_f64 v[10:11], v[16:17], -v[16:17]
	v_cmp_lt_i64_e32 vcc, -1, v[14:15]
	s_brev_b32 s9, -2
	v_and_b32_e32 v19, 0x7fffffff, v11
	v_mov_b32_e32 v18, v10
	s_and_saveexec_b64 s[2:3], vcc
	s_xor_b64 s[2:3], exec, s[2:3]
; %bb.1856:
	v_bfi_b32 v11, s9, v11, v17
	v_mov_b64_e32 v[16:17], v[10:11]
	v_mov_b64_e32 v[18:19], v[14:15]
; %bb.1857:
	s_andn2_saveexec_b64 s[2:3], s[2:3]
; %bb.1858:
	v_bfi_b32 v15, s9, v15, v17
	v_mov_b64_e32 v[16:17], v[14:15]
; %bb.1859:
	s_or_b64 exec, exec, s[2:3]
.LBB224_1860:
	s_or_b64 exec, exec, s[0:1]
.LBB224_1861:
	s_andn2_saveexec_b64 s[0:1], s[18:19]
	s_cbranch_execz .LBB224_1863
; %bb.1862:
	v_add_f64 v[10:11], v[16:17], -v[16:17]
	v_div_scale_f64 v[16:17], vcc, v[10:11], v[10:11], v[10:11]
	v_rcp_f64_e32 v[18:19], v[16:17]
	s_nop 0
	v_fma_f64 v[20:21], -v[16:17], v[18:19], 1.0
	v_fmac_f64_e32 v[18:19], v[18:19], v[20:21]
	v_fma_f64 v[20:21], -v[16:17], v[18:19], 1.0
	v_fmac_f64_e32 v[18:19], v[18:19], v[20:21]
	v_mul_f64 v[20:21], v[16:17], v[18:19]
	v_fma_f64 v[16:17], -v[16:17], v[20:21], v[16:17]
	v_div_fmas_f64 v[16:17], v[16:17], v[18:19], v[20:21]
	v_div_fixup_f64 v[16:17], v[16:17], v[10:11], v[10:11]
	v_mov_b64_e32 v[18:19], v[14:15]
.LBB224_1863:
	s_or_b64 exec, exec, s[0:1]
.LBB224_1864:
	s_or_b64 exec, exec, s[10:11]
.LBB224_1865:
	s_or_b64 exec, exec, s[6:7]
	v_mul_lo_u32 v14, s8, v22
	v_ashrrev_i32_e32 v15, 31, v14
	s_and_b32 s20, s33, 0xff
	s_cmp_lt_i32 s20, 11
	v_lshl_add_u64 v[20:21], s[4:5], 0, v[14:15]
	s_cbranch_scc1 .LBB224_1943
; %bb.1866:
	s_and_b32 s9, 0xffff, s20
	s_mov_b64 s[10:11], -1
	s_mov_b64 s[2:3], 0
	s_cmp_gt_i32 s9, 25
	s_mov_b64 s[6:7], 0
	s_mov_b64 s[0:1], 0
	s_cbranch_scc0 .LBB224_1899
; %bb.1867:
	s_cmp_gt_i32 s9, 28
	s_cbranch_scc0 .LBB224_1882
; %bb.1868:
	s_cmp_gt_i32 s9, 43
	;; [unrolled: 3-line block ×3, first 2 shown]
	s_cbranch_scc0 .LBB224_1872
; %bb.1870:
	s_mov_b64 s[0:1], -1
	s_mov_b64 s[10:11], 0
	s_cmp_eq_u32 s9, 46
	s_cbranch_scc0 .LBB224_1872
; %bb.1871:
	v_cvt_f32_f64_e32 v11, v[2:3]
	s_movk_i32 s0, 0x7fff
	v_bfe_u32 v22, v11, 16, 1
	v_cvt_f32_f64_e32 v10, v[8:9]
	v_add3_u32 v22, v11, v22, s0
	v_bfe_u32 v15, v10, 16, 1
	v_and_b32_e32 v22, 0xffff0000, v22
	v_mov_b32_e32 v23, 0x7fc00000
	v_cmp_o_f32_e32 vcc, v11, v11
	v_add3_u32 v15, v10, v15, s0
	s_mov_b64 s[0:1], 0
	v_cndmask_b32_e32 v11, v23, v22, vcc
	v_cmp_o_f32_e32 vcc, v10, v10
	v_mov_b32_e32 v10, 0x7fc0
	s_mov_b64 s[6:7], -1
	v_cndmask_b32_sdwa v10, v10, v15, vcc dst_sel:DWORD dst_unused:UNUSED_PAD src0_sel:DWORD src1_sel:WORD_1
	v_or_b32_e32 v10, v11, v10
	global_store_dword v[20:21], v10, off
.LBB224_1872:
	s_and_b64 vcc, exec, s[10:11]
	s_cbranch_vccz .LBB224_1877
; %bb.1873:
	s_cmp_eq_u32 s9, 44
	s_mov_b64 s[0:1], -1
	s_cbranch_scc0 .LBB224_1877
; %bb.1874:
	v_cvt_f32_f64_e32 v10, v[8:9]
	v_bfe_u32 v11, v10, 23, 8
	s_movk_i32 s0, 0xff
	v_cmp_ne_u32_e32 vcc, s0, v11
	v_mov_b32_e32 v15, 0xff
	s_and_saveexec_b64 s[6:7], vcc
; %bb.1875:
	s_mov_b32 s0, 0x3fffff
	v_lshrrev_b32_e32 v15, 23, v10
	v_and_b32_e32 v22, 0x400000, v10
	v_and_or_b32 v10, v10, s0, v11
	v_cmp_ne_u32_e32 vcc, 0, v22
	v_cmp_ne_u32_e64 s[0:1], 0, v10
	s_and_b64 s[0:1], vcc, s[0:1]
	s_nop 0
	v_cndmask_b32_e64 v10, 0, 1, s[0:1]
	v_add_u32_e32 v15, v15, v10
; %bb.1876:
	s_or_b64 exec, exec, s[6:7]
	s_mov_b64 s[0:1], 0
	s_mov_b64 s[6:7], -1
	global_store_byte v[20:21], v15, off
.LBB224_1877:
	s_mov_b64 s[10:11], 0
.LBB224_1878:
	s_and_b64 vcc, exec, s[10:11]
	s_cbranch_vccz .LBB224_1881
; %bb.1879:
	s_cmp_eq_u32 s9, 29
	s_mov_b64 s[0:1], -1
	s_cbranch_scc0 .LBB224_1881
; %bb.1880:
	v_trunc_f64_e32 v[10:11], v[8:9]
	s_movk_i32 s0, 0xffe0
	v_ldexp_f64 v[22:23], v[10:11], s0
	v_floor_f64_e32 v[22:23], v[22:23]
	v_fmac_f64_e32 v[10:11], 0xc1f00000, v[22:23]
	v_cvt_u32_f64_e32 v25, v[22:23]
	v_cvt_u32_f64_e32 v24, v[10:11]
	global_store_dwordx2 v[20:21], v[24:25], off
	s_mov_b64 s[0:1], 0
	s_mov_b64 s[6:7], -1
.LBB224_1881:
	s_mov_b64 s[10:11], 0
.LBB224_1882:
	s_and_b64 vcc, exec, s[10:11]
	s_cbranch_vccz .LBB224_1898
; %bb.1883:
	s_cmp_lt_i32 s9, 27
	s_mov_b64 s[6:7], -1
	s_cbranch_scc1 .LBB224_1889
; %bb.1884:
	s_cmp_gt_i32 s9, 27
	v_cvt_u32_f64_e32 v10, v[8:9]
	s_cbranch_scc0 .LBB224_1886
; %bb.1885:
	s_mov_b64 s[6:7], 0
	global_store_dword v[20:21], v10, off
.LBB224_1886:
	s_andn2_b64 vcc, exec, s[6:7]
	s_cbranch_vccnz .LBB224_1888
; %bb.1887:
	global_store_short v[20:21], v10, off
.LBB224_1888:
	s_mov_b64 s[6:7], 0
.LBB224_1889:
	s_andn2_b64 vcc, exec, s[6:7]
	s_cbranch_vccnz .LBB224_1897
; %bb.1890:
	v_cvt_f32_f64_e32 v10, v[8:9]
	v_and_b32_e32 v11, 0x7fffffff, v10
	s_mov_b32 s6, 0x43800000
	v_cmp_gt_u32_e32 vcc, s6, v11
	v_mov_b32_e32 v15, 0x80
	s_and_saveexec_b64 s[6:7], vcc
	s_cbranch_execz .LBB224_1896
; %bb.1891:
	s_mov_b32 s10, 0x3bffffff
	v_cmp_lt_u32_e32 vcc, s10, v11
	s_mov_b64 s[10:11], 0
                                        ; implicit-def: $vgpr11
	s_and_saveexec_b64 s[18:19], vcc
	s_xor_b64 s[18:19], exec, s[18:19]
	s_cbranch_execz .LBB224_2300
; %bb.1892:
	v_bfe_u32 v11, v10, 20, 1
	s_mov_b32 s21, 0x487ffff
	v_add3_u32 v11, v10, v11, s21
	s_mov_b64 s[10:11], exec
	v_lshrrev_b32_e32 v11, 20, v11
	s_andn2_saveexec_b64 s[18:19], s[18:19]
	s_cbranch_execnz .LBB224_2301
.LBB224_1893:
	s_or_b64 exec, exec, s[18:19]
	v_mov_b32_e32 v15, 0
	s_and_saveexec_b64 s[18:19], s[10:11]
.LBB224_1894:
	v_lshrrev_b32_e32 v10, 24, v10
	s_movk_i32 s10, 0x80
	v_and_or_b32 v15, v10, s10, v11
.LBB224_1895:
	s_or_b64 exec, exec, s[18:19]
.LBB224_1896:
	s_or_b64 exec, exec, s[6:7]
	global_store_byte v[20:21], v15, off
.LBB224_1897:
	s_mov_b64 s[6:7], -1
.LBB224_1898:
	s_mov_b64 s[10:11], 0
.LBB224_1899:
	s_and_b64 vcc, exec, s[10:11]
	s_cbranch_vccz .LBB224_1939
; %bb.1900:
	s_cmp_gt_i32 s9, 22
	s_mov_b64 s[2:3], -1
	s_cbranch_scc0 .LBB224_1932
; %bb.1901:
	s_cmp_lt_i32 s9, 24
	s_cbranch_scc1 .LBB224_1921
; %bb.1902:
	s_cmp_gt_i32 s9, 24
	s_cbranch_scc0 .LBB224_1910
; %bb.1903:
	v_cvt_f32_f64_e32 v10, v[8:9]
	v_and_b32_e32 v11, 0x7fffffff, v10
	s_mov_b32 s2, 0x47800000
	v_cmp_gt_u32_e32 vcc, s2, v11
	v_mov_b32_e32 v15, 0x80
	s_and_saveexec_b64 s[2:3], vcc
	s_cbranch_execz .LBB224_1909
; %bb.1904:
	s_mov_b32 s6, 0x37ffffff
	v_cmp_lt_u32_e32 vcc, s6, v11
	s_mov_b64 s[6:7], 0
                                        ; implicit-def: $vgpr11
	s_and_saveexec_b64 s[10:11], vcc
	s_xor_b64 s[10:11], exec, s[10:11]
	s_cbranch_execz .LBB224_2303
; %bb.1905:
	v_bfe_u32 v11, v10, 21, 1
	s_mov_b32 s18, 0x88fffff
	v_add3_u32 v11, v10, v11, s18
	s_mov_b64 s[6:7], exec
	v_lshrrev_b32_e32 v11, 21, v11
	s_andn2_saveexec_b64 s[10:11], s[10:11]
	s_cbranch_execnz .LBB224_2304
.LBB224_1906:
	s_or_b64 exec, exec, s[10:11]
	v_mov_b32_e32 v15, 0
	s_and_saveexec_b64 s[10:11], s[6:7]
.LBB224_1907:
	v_lshrrev_b32_e32 v10, 24, v10
	s_movk_i32 s6, 0x80
	v_and_or_b32 v15, v10, s6, v11
.LBB224_1908:
	s_or_b64 exec, exec, s[10:11]
.LBB224_1909:
	s_or_b64 exec, exec, s[2:3]
	s_mov_b64 s[2:3], 0
	global_store_byte v[20:21], v15, off
.LBB224_1910:
	s_and_b64 vcc, exec, s[2:3]
	s_cbranch_vccz .LBB224_1920
; %bb.1911:
	v_cvt_f32_f64_e32 v10, v[8:9]
	v_and_b32_e32 v15, 0x7fffffff, v10
	s_mov_b32 s2, 0x43f00000
	v_cmp_gt_u32_e32 vcc, s2, v15
                                        ; implicit-def: $vgpr11
	s_and_saveexec_b64 s[2:3], vcc
	s_xor_b64 s[2:3], exec, s[2:3]
	s_cbranch_execz .LBB224_1917
; %bb.1912:
	s_mov_b32 s6, 0x3c7fffff
	v_cmp_lt_u32_e32 vcc, s6, v15
                                        ; implicit-def: $vgpr11
	s_and_saveexec_b64 s[6:7], vcc
	s_xor_b64 s[6:7], exec, s[6:7]
; %bb.1913:
	v_bfe_u32 v11, v10, 20, 1
	s_mov_b32 s10, 0x407ffff
	v_add3_u32 v11, v10, v11, s10
	v_lshrrev_b32_e32 v15, 20, v11
	v_and_b32_e32 v11, 0xff00000, v11
	s_mov_b32 s10, 0x7f00000
	v_mov_b32_e32 v22, 0x7e
	v_cmp_ne_u32_e32 vcc, s10, v11
	s_nop 1
	v_cndmask_b32_e32 v11, v22, v15, vcc
; %bb.1914:
	s_andn2_saveexec_b64 s[6:7], s[6:7]
; %bb.1915:
	s_mov_b32 s10, 0x46800000
	v_add_f32_e64 v11, |v10|, s10
; %bb.1916:
	s_or_b64 exec, exec, s[6:7]
                                        ; implicit-def: $vgpr15
.LBB224_1917:
	s_andn2_saveexec_b64 s[2:3], s[2:3]
; %bb.1918:
	s_mov_b32 s6, 0x7f800000
	v_mov_b32_e32 v11, 0x7e
	v_mov_b32_e32 v22, 0x7f
	v_cmp_lt_u32_e32 vcc, s6, v15
	s_nop 1
	v_cndmask_b32_e32 v11, v11, v22, vcc
; %bb.1919:
	s_or_b64 exec, exec, s[2:3]
	v_lshrrev_b32_e32 v10, 24, v10
	s_movk_i32 s2, 0x80
	v_and_or_b32 v10, v10, s2, v11
	global_store_byte v[20:21], v10, off
.LBB224_1920:
	s_mov_b64 s[2:3], 0
.LBB224_1921:
	s_andn2_b64 vcc, exec, s[2:3]
	s_cbranch_vccnz .LBB224_1931
; %bb.1922:
	v_cvt_f32_f64_e32 v10, v[8:9]
	v_and_b32_e32 v15, 0x7fffffff, v10
	s_mov_b32 s2, 0x47800000
	v_cmp_gt_u32_e32 vcc, s2, v15
                                        ; implicit-def: $vgpr11
	s_and_saveexec_b64 s[2:3], vcc
	s_xor_b64 s[2:3], exec, s[2:3]
	s_cbranch_execz .LBB224_1928
; %bb.1923:
	s_mov_b32 s6, 0x387fffff
	v_cmp_lt_u32_e32 vcc, s6, v15
                                        ; implicit-def: $vgpr11
	s_and_saveexec_b64 s[6:7], vcc
	s_xor_b64 s[6:7], exec, s[6:7]
; %bb.1924:
	v_bfe_u32 v11, v10, 21, 1
	s_mov_b32 s10, 0x80fffff
	v_add3_u32 v11, v10, v11, s10
	v_lshrrev_b32_e32 v11, 21, v11
; %bb.1925:
	s_andn2_saveexec_b64 s[6:7], s[6:7]
; %bb.1926:
	s_mov_b32 s10, 0x43000000
	v_add_f32_e64 v11, |v10|, s10
; %bb.1927:
	s_or_b64 exec, exec, s[6:7]
                                        ; implicit-def: $vgpr15
.LBB224_1928:
	s_andn2_saveexec_b64 s[2:3], s[2:3]
; %bb.1929:
	s_mov_b32 s6, 0x7f800000
	v_mov_b32_e32 v11, 0x7c
	v_mov_b32_e32 v22, 0x7f
	v_cmp_lt_u32_e32 vcc, s6, v15
	s_nop 1
	v_cndmask_b32_e32 v11, v11, v22, vcc
; %bb.1930:
	s_or_b64 exec, exec, s[2:3]
	v_lshrrev_b32_e32 v10, 24, v10
	s_movk_i32 s2, 0x80
	v_and_or_b32 v10, v10, s2, v11
	global_store_byte v[20:21], v10, off
.LBB224_1931:
	s_mov_b64 s[2:3], 0
	s_mov_b64 s[6:7], -1
.LBB224_1932:
	s_andn2_b64 vcc, exec, s[2:3]
	s_mov_b64 s[2:3], 0
	s_cbranch_vccnz .LBB224_1939
; %bb.1933:
	s_cmp_gt_i32 s9, 14
	s_mov_b64 s[10:11], -1
	s_cbranch_scc0 .LBB224_1937
; %bb.1934:
	s_cmp_eq_u32 s9, 15
	s_mov_b64 s[0:1], -1
	s_cbranch_scc0 .LBB224_1936
; %bb.1935:
	v_cvt_f32_f64_e32 v10, v[8:9]
	v_bfe_u32 v11, v10, 16, 1
	s_movk_i32 s0, 0x7fff
	v_add3_u32 v11, v10, v11, s0
	v_cmp_o_f32_e32 vcc, v10, v10
	v_mov_b32_e32 v10, 0x7fc0
	s_mov_b64 s[0:1], 0
	v_cndmask_b32_sdwa v10, v10, v11, vcc dst_sel:DWORD dst_unused:UNUSED_PAD src0_sel:DWORD src1_sel:WORD_1
	global_store_short v[20:21], v10, off
	s_mov_b64 s[6:7], -1
.LBB224_1936:
	s_mov_b64 s[10:11], 0
.LBB224_1937:
	s_and_b64 vcc, exec, s[10:11]
	s_cbranch_vccz .LBB224_1939
; %bb.1938:
	s_cmp_lg_u32 s9, 11
	s_mov_b64 s[2:3], -1
	s_cselect_b64 s[0:1], -1, 0
.LBB224_1939:
	s_and_b64 vcc, exec, s[0:1]
	s_cbranch_vccnz .LBB224_2302
; %bb.1940:
	s_andn2_b64 vcc, exec, s[2:3]
	s_cbranch_vccnz .LBB224_1942
.LBB224_1941:
	v_cmp_neq_f64_e32 vcc, 0, v[8:9]
	v_cmp_neq_f64_e64 s[0:1], 0, v[2:3]
	s_or_b64 s[0:1], vcc, s[0:1]
	s_mov_b64 s[6:7], -1
	v_cndmask_b32_e64 v10, 0, 1, s[0:1]
	global_store_byte v[20:21], v10, off
.LBB224_1942:
	s_mov_b64 s[0:1], 0
	s_branch .LBB224_1944
.LBB224_1943:
	s_mov_b64 s[0:1], -1
	s_mov_b64 s[6:7], 0
.LBB224_1944:
	s_and_b64 vcc, exec, s[0:1]
	s_cbranch_vccz .LBB224_1983
; %bb.1945:
	s_and_b32 s2, 0xffff, s20
	s_cmp_lt_i32 s2, 5
	s_mov_b64 s[0:1], -1
	s_cbranch_scc1 .LBB224_1966
; %bb.1946:
	s_cmp_lt_i32 s2, 8
	s_cbranch_scc1 .LBB224_1956
; %bb.1947:
	s_cmp_lt_i32 s2, 9
	s_cbranch_scc1 .LBB224_1953
; %bb.1948:
	s_cmp_gt_i32 s2, 9
	s_cbranch_scc0 .LBB224_1950
; %bb.1949:
	v_mov_b32_e32 v10, v2
	v_mov_b32_e32 v11, v3
	global_store_dwordx4 v[20:21], v[8:11], off
	s_mov_b64 s[0:1], 0
.LBB224_1950:
	s_andn2_b64 vcc, exec, s[0:1]
	s_cbranch_vccnz .LBB224_1952
; %bb.1951:
	v_cvt_f32_f64_e32 v10, v[8:9]
	v_cvt_f32_f64_e32 v11, v[2:3]
	global_store_dwordx2 v[20:21], v[10:11], off
.LBB224_1952:
	s_mov_b64 s[0:1], 0
.LBB224_1953:
	s_andn2_b64 vcc, exec, s[0:1]
	s_cbranch_vccnz .LBB224_1955
; %bb.1954:
	s_movk_i32 s0, 0x1ff
	v_and_or_b32 v10, v9, s0, v8
	v_cmp_ne_u32_e32 vcc, 0, v10
	v_lshrrev_b32_e32 v11, 8, v9
	s_movk_i32 s1, 0xffe
	v_cndmask_b32_e64 v10, 0, 1, vcc
	v_bfe_u32 v15, v9, 20, 11
	v_and_or_b32 v10, v11, s1, v10
	v_sub_u32_e32 v22, 0x3f1, v15
	v_or_b32_e32 v11, 0x1000, v10
	v_med3_i32 v22, v22, 0, 13
	v_lshrrev_b32_e32 v23, v22, v11
	v_lshlrev_b32_e32 v22, v22, v23
	v_cmp_ne_u32_e32 vcc, v22, v11
	v_add_u32_e32 v15, 0xfffffc10, v15
	v_lshl_or_b32 v22, v15, 12, v10
	v_cndmask_b32_e64 v11, 0, 1, vcc
	v_or_b32_e32 v11, v23, v11
	v_cmp_gt_i32_e32 vcc, 1, v15
	s_movk_i32 s3, 0x40f
	v_and_or_b32 v2, v3, s0, v2
	v_cndmask_b32_e32 v11, v22, v11, vcc
	v_and_b32_e32 v22, 7, v11
	v_cmp_lt_i32_e32 vcc, 5, v22
	v_lshrrev_b32_e32 v11, 2, v11
	v_bfe_u32 v24, v3, 20, 11
	v_cndmask_b32_e64 v23, 0, 1, vcc
	v_cmp_eq_u32_e32 vcc, 3, v22
	v_sub_u32_e32 v25, 0x3f1, v24
	v_med3_i32 v25, v25, 0, 13
	v_cndmask_b32_e64 v22, 0, 1, vcc
	v_or_b32_e32 v22, v22, v23
	v_add_u32_e32 v11, v11, v22
	v_mov_b32_e32 v22, 0x7c00
	v_cmp_gt_i32_e32 vcc, 31, v15
	v_mov_b32_e32 v23, 0x7e00
	v_add_u32_e32 v24, 0xfffffc10, v24
	v_cndmask_b32_e32 v11, v22, v11, vcc
	v_cmp_ne_u32_e32 vcc, 0, v10
	s_mov_b32 s6, 0x8000
	s_mov_b32 s0, 0xffff
	v_cndmask_b32_e32 v10, v22, v23, vcc
	v_cmp_eq_u32_e32 vcc, s3, v15
	v_lshrrev_b32_e32 v15, 8, v3
	v_lshrrev_b32_e32 v3, 16, v3
	v_cndmask_b32_e32 v10, v11, v10, vcc
	v_cmp_ne_u32_e32 vcc, 0, v2
	v_and_b32_sdwa v11, v9, s6 dst_sel:DWORD dst_unused:UNUSED_PAD src0_sel:WORD_1 src1_sel:DWORD
	s_nop 0
	v_cndmask_b32_e64 v2, 0, 1, vcc
	v_and_or_b32 v2, v15, s1, v2
	v_or_b32_e32 v15, 0x1000, v2
	v_lshrrev_b32_e32 v26, v25, v15
	v_lshlrev_b32_e32 v25, v25, v26
	v_cmp_ne_u32_e32 vcc, v25, v15
	v_lshl_or_b32 v25, v24, 12, v2
	s_nop 0
	v_cndmask_b32_e64 v15, 0, 1, vcc
	v_or_b32_e32 v15, v26, v15
	v_cmp_gt_i32_e32 vcc, 1, v24
	s_nop 1
	v_cndmask_b32_e32 v15, v25, v15, vcc
	v_and_b32_e32 v25, 7, v15
	v_cmp_lt_i32_e32 vcc, 5, v25
	v_lshrrev_b32_e32 v15, 2, v15
	s_nop 0
	v_cndmask_b32_e64 v26, 0, 1, vcc
	v_cmp_eq_u32_e32 vcc, 3, v25
	s_nop 1
	v_cndmask_b32_e64 v25, 0, 1, vcc
	v_or_b32_e32 v25, v25, v26
	v_add_u32_e32 v15, v15, v25
	v_cmp_gt_i32_e32 vcc, 31, v24
	s_nop 1
	v_cndmask_b32_e32 v15, v22, v15, vcc
	v_cmp_ne_u32_e32 vcc, 0, v2
	s_nop 1
	v_cndmask_b32_e32 v2, v22, v23, vcc
	v_cmp_eq_u32_e32 vcc, s3, v24
	s_nop 1
	v_cndmask_b32_e32 v2, v15, v2, vcc
	v_and_or_b32 v2, v3, s6, v2
	v_bitop3_b32 v3, v11, s0, v10 bitop3:0xc8
	v_lshl_or_b32 v2, v2, 16, v3
	global_store_dword v[20:21], v2, off
.LBB224_1955:
	s_mov_b64 s[0:1], 0
.LBB224_1956:
	s_andn2_b64 vcc, exec, s[0:1]
	s_cbranch_vccnz .LBB224_1965
; %bb.1957:
	s_cmp_lt_i32 s2, 6
	s_mov_b64 s[0:1], -1
	s_cbranch_scc1 .LBB224_1963
; %bb.1958:
	s_cmp_gt_i32 s2, 6
	s_cbranch_scc0 .LBB224_1960
; %bb.1959:
	global_store_dwordx2 v[20:21], v[8:9], off
	s_mov_b64 s[0:1], 0
.LBB224_1960:
	s_andn2_b64 vcc, exec, s[0:1]
	s_cbranch_vccnz .LBB224_1962
; %bb.1961:
	v_cvt_f32_f64_e32 v2, v[8:9]
	global_store_dword v[20:21], v2, off
.LBB224_1962:
	s_mov_b64 s[0:1], 0
.LBB224_1963:
	s_andn2_b64 vcc, exec, s[0:1]
	s_cbranch_vccnz .LBB224_1965
; %bb.1964:
	s_movk_i32 s0, 0x1ff
	v_and_or_b32 v2, v9, s0, v8
	v_cmp_ne_u32_e32 vcc, 0, v2
	v_lshrrev_b32_e32 v3, 8, v9
	s_movk_i32 s0, 0xffe
	v_cndmask_b32_e64 v2, 0, 1, vcc
	v_bfe_u32 v10, v9, 20, 11
	v_and_or_b32 v2, v3, s0, v2
	v_sub_u32_e32 v11, 0x3f1, v10
	v_or_b32_e32 v3, 0x1000, v2
	v_med3_i32 v11, v11, 0, 13
	v_lshrrev_b32_e32 v15, v11, v3
	v_lshlrev_b32_e32 v11, v11, v15
	v_cmp_ne_u32_e32 vcc, v11, v3
	v_add_u32_e32 v10, 0xfffffc10, v10
	v_lshl_or_b32 v11, v10, 12, v2
	v_cndmask_b32_e64 v3, 0, 1, vcc
	v_or_b32_e32 v3, v15, v3
	v_cmp_gt_i32_e32 vcc, 1, v10
	s_movk_i32 s0, 0x40f
	s_nop 0
	v_cndmask_b32_e32 v3, v11, v3, vcc
	v_and_b32_e32 v11, 7, v3
	v_cmp_lt_i32_e32 vcc, 5, v11
	v_lshrrev_b32_e32 v3, 2, v3
	s_nop 0
	v_cndmask_b32_e64 v15, 0, 1, vcc
	v_cmp_eq_u32_e32 vcc, 3, v11
	s_nop 1
	v_cndmask_b32_e64 v11, 0, 1, vcc
	v_or_b32_e32 v11, v11, v15
	v_add_u32_e32 v3, v3, v11
	v_mov_b32_e32 v11, 0x7c00
	v_cmp_gt_i32_e32 vcc, 31, v10
	v_mov_b32_e32 v15, 0x7e00
	s_nop 0
	v_cndmask_b32_e32 v3, v11, v3, vcc
	v_cmp_ne_u32_e32 vcc, 0, v2
	s_nop 1
	v_cndmask_b32_e32 v2, v11, v15, vcc
	v_cmp_eq_u32_e32 vcc, s0, v10
	s_mov_b32 s0, 0x8000
	s_nop 0
	v_cndmask_b32_e32 v2, v3, v2, vcc
	v_lshrrev_b32_e32 v3, 16, v9
	v_and_or_b32 v2, v3, s0, v2
	global_store_short v[20:21], v2, off
.LBB224_1965:
	s_mov_b64 s[0:1], 0
.LBB224_1966:
	s_andn2_b64 vcc, exec, s[0:1]
	s_cbranch_vccnz .LBB224_1982
; %bb.1967:
	s_cmp_lt_i32 s2, 2
	s_mov_b64 s[0:1], -1
	s_cbranch_scc1 .LBB224_1977
; %bb.1968:
	s_cmp_lt_i32 s2, 3
	s_cbranch_scc1 .LBB224_1974
; %bb.1969:
	s_cmp_gt_i32 s2, 3
	s_cbranch_scc0 .LBB224_1971
; %bb.1970:
	v_trunc_f64_e32 v[2:3], v[8:9]
	s_movk_i32 s0, 0xffe0
	v_ldexp_f64 v[10:11], v[2:3], s0
	v_floor_f64_e32 v[10:11], v[10:11]
	v_fmac_f64_e32 v[2:3], 0xc1f00000, v[10:11]
	v_cvt_i32_f64_e32 v23, v[10:11]
	v_cvt_u32_f64_e32 v22, v[2:3]
	global_store_dwordx2 v[20:21], v[22:23], off
	s_mov_b64 s[0:1], 0
.LBB224_1971:
	s_andn2_b64 vcc, exec, s[0:1]
	s_cbranch_vccnz .LBB224_1973
; %bb.1972:
	v_cvt_i32_f64_e32 v2, v[8:9]
	global_store_dword v[20:21], v2, off
.LBB224_1973:
	s_mov_b64 s[0:1], 0
.LBB224_1974:
	s_andn2_b64 vcc, exec, s[0:1]
	s_cbranch_vccnz .LBB224_1976
; %bb.1975:
	v_cvt_i32_f64_e32 v2, v[8:9]
	global_store_short v[20:21], v2, off
.LBB224_1976:
	s_mov_b64 s[0:1], 0
.LBB224_1977:
	s_andn2_b64 vcc, exec, s[0:1]
	s_cbranch_vccnz .LBB224_1982
; %bb.1978:
	s_cmp_gt_i32 s2, 0
	s_mov_b64 s[0:1], -1
	s_cbranch_scc0 .LBB224_1980
; %bb.1979:
	v_cvt_i32_f64_e32 v2, v[8:9]
	global_store_byte v[20:21], v2, off
	s_mov_b64 s[0:1], 0
.LBB224_1980:
	s_andn2_b64 vcc, exec, s[0:1]
	s_cbranch_vccnz .LBB224_1982
; %bb.1981:
	v_trunc_f64_e32 v[2:3], v[8:9]
	s_movk_i32 s0, 0xffe0
	v_ldexp_f64 v[8:9], v[2:3], s0
	v_floor_f64_e32 v[8:9], v[8:9]
	v_fmac_f64_e32 v[2:3], 0xc1f00000, v[8:9]
	v_cvt_u32_f64_e32 v2, v[2:3]
	global_store_byte v[20:21], v2, off
.LBB224_1982:
	s_mov_b64 s[6:7], -1
.LBB224_1983:
	s_andn2_b64 vcc, exec, s[6:7]
	s_cbranch_vccnz .LBB224_2298
; %bb.1984:
	s_lshl_b32 s18, s8, 7
	v_add_u32_e32 v8, s18, v14
	v_ashrrev_i32_e32 v9, 31, v8
	s_cmp_lt_i32 s20, 11
	v_lshl_add_u64 v[10:11], s[4:5], 0, v[8:9]
	s_cbranch_scc1 .LBB224_2062
; %bb.1985:
	s_and_b32 s19, 0xffff, s20
	s_mov_b64 s[8:9], -1
	s_mov_b64 s[2:3], 0
	s_cmp_gt_i32 s19, 25
	s_mov_b64 s[6:7], 0
	s_mov_b64 s[0:1], 0
	s_cbranch_scc0 .LBB224_2018
; %bb.1986:
	s_cmp_gt_i32 s19, 28
	s_cbranch_scc0 .LBB224_2001
; %bb.1987:
	s_cmp_gt_i32 s19, 43
	;; [unrolled: 3-line block ×3, first 2 shown]
	s_cbranch_scc0 .LBB224_1991
; %bb.1989:
	s_mov_b64 s[0:1], -1
	s_mov_b64 s[8:9], 0
	s_cmp_eq_u32 s19, 46
	s_cbranch_scc0 .LBB224_1991
; %bb.1990:
	v_cvt_f32_f64_e32 v3, v[6:7]
	s_movk_i32 s0, 0x7fff
	v_bfe_u32 v14, v3, 16, 1
	v_cvt_f32_f64_e32 v2, v[0:1]
	v_add3_u32 v14, v3, v14, s0
	v_bfe_u32 v9, v2, 16, 1
	v_and_b32_e32 v14, 0xffff0000, v14
	v_mov_b32_e32 v15, 0x7fc00000
	v_cmp_o_f32_e32 vcc, v3, v3
	v_add3_u32 v9, v2, v9, s0
	s_mov_b64 s[0:1], 0
	v_cndmask_b32_e32 v3, v15, v14, vcc
	v_cmp_o_f32_e32 vcc, v2, v2
	v_mov_b32_e32 v2, 0x7fc0
	s_mov_b64 s[6:7], -1
	v_cndmask_b32_sdwa v2, v2, v9, vcc dst_sel:DWORD dst_unused:UNUSED_PAD src0_sel:DWORD src1_sel:WORD_1
	v_or_b32_e32 v2, v3, v2
	global_store_dword v[10:11], v2, off
.LBB224_1991:
	s_and_b64 vcc, exec, s[8:9]
	s_cbranch_vccz .LBB224_1996
; %bb.1992:
	s_cmp_eq_u32 s19, 44
	s_mov_b64 s[0:1], -1
	s_cbranch_scc0 .LBB224_1996
; %bb.1993:
	v_cvt_f32_f64_e32 v2, v[0:1]
	v_bfe_u32 v3, v2, 23, 8
	s_movk_i32 s0, 0xff
	v_cmp_ne_u32_e32 vcc, s0, v3
	v_mov_b32_e32 v9, 0xff
	s_and_saveexec_b64 s[6:7], vcc
; %bb.1994:
	s_mov_b32 s0, 0x3fffff
	v_lshrrev_b32_e32 v9, 23, v2
	v_and_b32_e32 v14, 0x400000, v2
	v_and_or_b32 v2, v2, s0, v3
	v_cmp_ne_u32_e32 vcc, 0, v14
	v_cmp_ne_u32_e64 s[0:1], 0, v2
	s_and_b64 s[0:1], vcc, s[0:1]
	s_nop 0
	v_cndmask_b32_e64 v2, 0, 1, s[0:1]
	v_add_u32_e32 v9, v9, v2
; %bb.1995:
	s_or_b64 exec, exec, s[6:7]
	s_mov_b64 s[0:1], 0
	s_mov_b64 s[6:7], -1
	global_store_byte v[10:11], v9, off
.LBB224_1996:
	s_mov_b64 s[8:9], 0
.LBB224_1997:
	s_and_b64 vcc, exec, s[8:9]
	s_cbranch_vccz .LBB224_2000
; %bb.1998:
	s_cmp_eq_u32 s19, 29
	s_mov_b64 s[0:1], -1
	s_cbranch_scc0 .LBB224_2000
; %bb.1999:
	v_trunc_f64_e32 v[2:3], v[0:1]
	s_movk_i32 s0, 0xffe0
	v_ldexp_f64 v[14:15], v[2:3], s0
	v_floor_f64_e32 v[14:15], v[14:15]
	v_fmac_f64_e32 v[2:3], 0xc1f00000, v[14:15]
	v_cvt_u32_f64_e32 v21, v[14:15]
	v_cvt_u32_f64_e32 v20, v[2:3]
	global_store_dwordx2 v[10:11], v[20:21], off
	s_mov_b64 s[0:1], 0
	s_mov_b64 s[6:7], -1
.LBB224_2000:
	s_mov_b64 s[8:9], 0
.LBB224_2001:
	s_and_b64 vcc, exec, s[8:9]
	s_cbranch_vccz .LBB224_2017
; %bb.2002:
	s_cmp_lt_i32 s19, 27
	s_mov_b64 s[6:7], -1
	s_cbranch_scc1 .LBB224_2008
; %bb.2003:
	s_cmp_gt_i32 s19, 27
	v_cvt_u32_f64_e32 v2, v[0:1]
	s_cbranch_scc0 .LBB224_2005
; %bb.2004:
	s_mov_b64 s[6:7], 0
	global_store_dword v[10:11], v2, off
.LBB224_2005:
	s_andn2_b64 vcc, exec, s[6:7]
	s_cbranch_vccnz .LBB224_2007
; %bb.2006:
	global_store_short v[10:11], v2, off
.LBB224_2007:
	s_mov_b64 s[6:7], 0
.LBB224_2008:
	s_andn2_b64 vcc, exec, s[6:7]
	s_cbranch_vccnz .LBB224_2016
; %bb.2009:
	v_cvt_f32_f64_e32 v2, v[0:1]
	v_and_b32_e32 v3, 0x7fffffff, v2
	s_mov_b32 s6, 0x43800000
	v_cmp_gt_u32_e32 vcc, s6, v3
	v_mov_b32_e32 v9, 0x80
	s_and_saveexec_b64 s[6:7], vcc
	s_cbranch_execz .LBB224_2015
; %bb.2010:
	s_mov_b32 s8, 0x3bffffff
	v_cmp_lt_u32_e32 vcc, s8, v3
	s_mov_b64 s[8:9], 0
                                        ; implicit-def: $vgpr3
	s_and_saveexec_b64 s[10:11], vcc
	s_xor_b64 s[10:11], exec, s[10:11]
	s_cbranch_execz .LBB224_2305
; %bb.2011:
	v_bfe_u32 v3, v2, 20, 1
	s_mov_b32 s21, 0x487ffff
	v_add3_u32 v3, v2, v3, s21
	s_mov_b64 s[8:9], exec
	v_lshrrev_b32_e32 v3, 20, v3
	s_andn2_saveexec_b64 s[10:11], s[10:11]
	s_cbranch_execnz .LBB224_2306
.LBB224_2012:
	s_or_b64 exec, exec, s[10:11]
	v_mov_b32_e32 v9, 0
	s_and_saveexec_b64 s[10:11], s[8:9]
.LBB224_2013:
	v_lshrrev_b32_e32 v2, 24, v2
	s_movk_i32 s8, 0x80
	v_and_or_b32 v9, v2, s8, v3
.LBB224_2014:
	s_or_b64 exec, exec, s[10:11]
.LBB224_2015:
	s_or_b64 exec, exec, s[6:7]
	global_store_byte v[10:11], v9, off
.LBB224_2016:
	s_mov_b64 s[6:7], -1
.LBB224_2017:
	s_mov_b64 s[8:9], 0
.LBB224_2018:
	s_and_b64 vcc, exec, s[8:9]
	s_cbranch_vccz .LBB224_2058
; %bb.2019:
	s_cmp_gt_i32 s19, 22
	s_mov_b64 s[2:3], -1
	s_cbranch_scc0 .LBB224_2051
; %bb.2020:
	s_cmp_lt_i32 s19, 24
	s_cbranch_scc1 .LBB224_2040
; %bb.2021:
	s_cmp_gt_i32 s19, 24
	s_cbranch_scc0 .LBB224_2029
; %bb.2022:
	v_cvt_f32_f64_e32 v2, v[0:1]
	v_and_b32_e32 v3, 0x7fffffff, v2
	s_mov_b32 s2, 0x47800000
	v_cmp_gt_u32_e32 vcc, s2, v3
	v_mov_b32_e32 v9, 0x80
	s_and_saveexec_b64 s[2:3], vcc
	s_cbranch_execz .LBB224_2028
; %bb.2023:
	s_mov_b32 s6, 0x37ffffff
	v_cmp_lt_u32_e32 vcc, s6, v3
	s_mov_b64 s[6:7], 0
                                        ; implicit-def: $vgpr3
	s_and_saveexec_b64 s[8:9], vcc
	s_xor_b64 s[8:9], exec, s[8:9]
	s_cbranch_execz .LBB224_2308
; %bb.2024:
	v_bfe_u32 v3, v2, 21, 1
	s_mov_b32 s10, 0x88fffff
	v_add3_u32 v3, v2, v3, s10
	s_mov_b64 s[6:7], exec
	v_lshrrev_b32_e32 v3, 21, v3
	s_andn2_saveexec_b64 s[8:9], s[8:9]
	s_cbranch_execnz .LBB224_2309
.LBB224_2025:
	s_or_b64 exec, exec, s[8:9]
	v_mov_b32_e32 v9, 0
	s_and_saveexec_b64 s[8:9], s[6:7]
.LBB224_2026:
	v_lshrrev_b32_e32 v2, 24, v2
	s_movk_i32 s6, 0x80
	v_and_or_b32 v9, v2, s6, v3
.LBB224_2027:
	s_or_b64 exec, exec, s[8:9]
.LBB224_2028:
	s_or_b64 exec, exec, s[2:3]
	s_mov_b64 s[2:3], 0
	global_store_byte v[10:11], v9, off
.LBB224_2029:
	s_and_b64 vcc, exec, s[2:3]
	s_cbranch_vccz .LBB224_2039
; %bb.2030:
	v_cvt_f32_f64_e32 v2, v[0:1]
	v_and_b32_e32 v9, 0x7fffffff, v2
	s_mov_b32 s2, 0x43f00000
	v_cmp_gt_u32_e32 vcc, s2, v9
                                        ; implicit-def: $vgpr3
	s_and_saveexec_b64 s[2:3], vcc
	s_xor_b64 s[2:3], exec, s[2:3]
	s_cbranch_execz .LBB224_2036
; %bb.2031:
	s_mov_b32 s6, 0x3c7fffff
	v_cmp_lt_u32_e32 vcc, s6, v9
                                        ; implicit-def: $vgpr3
	s_and_saveexec_b64 s[6:7], vcc
	s_xor_b64 s[6:7], exec, s[6:7]
; %bb.2032:
	v_bfe_u32 v3, v2, 20, 1
	s_mov_b32 s8, 0x407ffff
	v_add3_u32 v3, v2, v3, s8
	v_lshrrev_b32_e32 v9, 20, v3
	v_and_b32_e32 v3, 0xff00000, v3
	s_mov_b32 s8, 0x7f00000
	v_mov_b32_e32 v14, 0x7e
	v_cmp_ne_u32_e32 vcc, s8, v3
	s_nop 1
	v_cndmask_b32_e32 v3, v14, v9, vcc
; %bb.2033:
	s_andn2_saveexec_b64 s[6:7], s[6:7]
; %bb.2034:
	s_mov_b32 s8, 0x46800000
	v_add_f32_e64 v3, |v2|, s8
; %bb.2035:
	s_or_b64 exec, exec, s[6:7]
                                        ; implicit-def: $vgpr9
.LBB224_2036:
	s_andn2_saveexec_b64 s[2:3], s[2:3]
; %bb.2037:
	s_mov_b32 s6, 0x7f800000
	v_mov_b32_e32 v3, 0x7e
	v_mov_b32_e32 v14, 0x7f
	v_cmp_lt_u32_e32 vcc, s6, v9
	s_nop 1
	v_cndmask_b32_e32 v3, v3, v14, vcc
; %bb.2038:
	s_or_b64 exec, exec, s[2:3]
	v_lshrrev_b32_e32 v2, 24, v2
	s_movk_i32 s2, 0x80
	v_and_or_b32 v2, v2, s2, v3
	global_store_byte v[10:11], v2, off
.LBB224_2039:
	s_mov_b64 s[2:3], 0
.LBB224_2040:
	s_andn2_b64 vcc, exec, s[2:3]
	s_cbranch_vccnz .LBB224_2050
; %bb.2041:
	v_cvt_f32_f64_e32 v2, v[0:1]
	v_and_b32_e32 v9, 0x7fffffff, v2
	s_mov_b32 s2, 0x47800000
	v_cmp_gt_u32_e32 vcc, s2, v9
                                        ; implicit-def: $vgpr3
	s_and_saveexec_b64 s[2:3], vcc
	s_xor_b64 s[2:3], exec, s[2:3]
	s_cbranch_execz .LBB224_2047
; %bb.2042:
	s_mov_b32 s6, 0x387fffff
	v_cmp_lt_u32_e32 vcc, s6, v9
                                        ; implicit-def: $vgpr3
	s_and_saveexec_b64 s[6:7], vcc
	s_xor_b64 s[6:7], exec, s[6:7]
; %bb.2043:
	v_bfe_u32 v3, v2, 21, 1
	s_mov_b32 s8, 0x80fffff
	v_add3_u32 v3, v2, v3, s8
	v_lshrrev_b32_e32 v3, 21, v3
; %bb.2044:
	s_andn2_saveexec_b64 s[6:7], s[6:7]
; %bb.2045:
	s_mov_b32 s8, 0x43000000
	v_add_f32_e64 v3, |v2|, s8
; %bb.2046:
	s_or_b64 exec, exec, s[6:7]
                                        ; implicit-def: $vgpr9
.LBB224_2047:
	s_andn2_saveexec_b64 s[2:3], s[2:3]
; %bb.2048:
	s_mov_b32 s6, 0x7f800000
	v_mov_b32_e32 v3, 0x7c
	v_mov_b32_e32 v14, 0x7f
	v_cmp_lt_u32_e32 vcc, s6, v9
	s_nop 1
	v_cndmask_b32_e32 v3, v3, v14, vcc
; %bb.2049:
	s_or_b64 exec, exec, s[2:3]
	v_lshrrev_b32_e32 v2, 24, v2
	s_movk_i32 s2, 0x80
	v_and_or_b32 v2, v2, s2, v3
	global_store_byte v[10:11], v2, off
.LBB224_2050:
	s_mov_b64 s[2:3], 0
	s_mov_b64 s[6:7], -1
.LBB224_2051:
	s_andn2_b64 vcc, exec, s[2:3]
	s_mov_b64 s[2:3], 0
	s_cbranch_vccnz .LBB224_2058
; %bb.2052:
	s_cmp_gt_i32 s19, 14
	s_mov_b64 s[8:9], -1
	s_cbranch_scc0 .LBB224_2056
; %bb.2053:
	s_cmp_eq_u32 s19, 15
	s_mov_b64 s[0:1], -1
	s_cbranch_scc0 .LBB224_2055
; %bb.2054:
	v_cvt_f32_f64_e32 v2, v[0:1]
	v_bfe_u32 v3, v2, 16, 1
	s_movk_i32 s0, 0x7fff
	v_add3_u32 v3, v2, v3, s0
	v_cmp_o_f32_e32 vcc, v2, v2
	v_mov_b32_e32 v2, 0x7fc0
	s_mov_b64 s[0:1], 0
	v_cndmask_b32_sdwa v2, v2, v3, vcc dst_sel:DWORD dst_unused:UNUSED_PAD src0_sel:DWORD src1_sel:WORD_1
	global_store_short v[10:11], v2, off
	s_mov_b64 s[6:7], -1
.LBB224_2055:
	s_mov_b64 s[8:9], 0
.LBB224_2056:
	s_and_b64 vcc, exec, s[8:9]
	s_cbranch_vccz .LBB224_2058
; %bb.2057:
	s_cmp_lg_u32 s19, 11
	s_mov_b64 s[2:3], -1
	s_cselect_b64 s[0:1], -1, 0
.LBB224_2058:
	s_and_b64 vcc, exec, s[0:1]
	s_cbranch_vccnz .LBB224_2307
; %bb.2059:
	s_andn2_b64 vcc, exec, s[2:3]
	s_cbranch_vccnz .LBB224_2061
.LBB224_2060:
	v_cmp_neq_f64_e32 vcc, 0, v[0:1]
	v_cmp_neq_f64_e64 s[0:1], 0, v[6:7]
	s_or_b64 s[0:1], vcc, s[0:1]
	s_mov_b64 s[6:7], -1
	v_cndmask_b32_e64 v2, 0, 1, s[0:1]
	global_store_byte v[10:11], v2, off
.LBB224_2061:
	s_mov_b64 s[0:1], 0
	s_branch .LBB224_2063
.LBB224_2062:
	s_mov_b64 s[0:1], -1
	s_mov_b64 s[6:7], 0
.LBB224_2063:
	s_and_b64 vcc, exec, s[0:1]
	s_cbranch_vccz .LBB224_2102
; %bb.2064:
	s_and_b32 s2, 0xffff, s20
	s_cmp_lt_i32 s2, 5
	s_mov_b64 s[0:1], -1
	s_cbranch_scc1 .LBB224_2085
; %bb.2065:
	s_cmp_lt_i32 s2, 8
	s_cbranch_scc1 .LBB224_2075
; %bb.2066:
	s_cmp_lt_i32 s2, 9
	s_cbranch_scc1 .LBB224_2072
; %bb.2067:
	s_cmp_gt_i32 s2, 9
	s_cbranch_scc0 .LBB224_2069
; %bb.2068:
	v_mov_b32_e32 v2, v6
	v_mov_b32_e32 v3, v7
	global_store_dwordx4 v[10:11], v[0:3], off
	s_mov_b64 s[0:1], 0
.LBB224_2069:
	s_andn2_b64 vcc, exec, s[0:1]
	s_cbranch_vccnz .LBB224_2071
; %bb.2070:
	v_cvt_f32_f64_e32 v2, v[0:1]
	v_cvt_f32_f64_e32 v3, v[6:7]
	global_store_dwordx2 v[10:11], v[2:3], off
.LBB224_2071:
	s_mov_b64 s[0:1], 0
.LBB224_2072:
	s_andn2_b64 vcc, exec, s[0:1]
	s_cbranch_vccnz .LBB224_2074
; %bb.2073:
	s_movk_i32 s0, 0x1ff
	v_and_or_b32 v2, v1, s0, v0
	v_cmp_ne_u32_e32 vcc, 0, v2
	v_lshrrev_b32_e32 v3, 8, v1
	s_movk_i32 s1, 0xffe
	v_cndmask_b32_e64 v2, 0, 1, vcc
	v_bfe_u32 v9, v1, 20, 11
	v_and_or_b32 v2, v3, s1, v2
	v_sub_u32_e32 v14, 0x3f1, v9
	v_or_b32_e32 v3, 0x1000, v2
	v_med3_i32 v14, v14, 0, 13
	v_lshrrev_b32_e32 v15, v14, v3
	v_lshlrev_b32_e32 v14, v14, v15
	v_cmp_ne_u32_e32 vcc, v14, v3
	v_add_u32_e32 v9, 0xfffffc10, v9
	v_lshl_or_b32 v14, v9, 12, v2
	v_cndmask_b32_e64 v3, 0, 1, vcc
	v_or_b32_e32 v3, v15, v3
	v_cmp_gt_i32_e32 vcc, 1, v9
	s_movk_i32 s3, 0x40f
	v_and_or_b32 v6, v7, s0, v6
	v_cndmask_b32_e32 v3, v14, v3, vcc
	v_and_b32_e32 v14, 7, v3
	v_cmp_lt_i32_e32 vcc, 5, v14
	v_lshrrev_b32_e32 v3, 2, v3
	v_bfe_u32 v20, v7, 20, 11
	v_cndmask_b32_e64 v15, 0, 1, vcc
	v_cmp_eq_u32_e32 vcc, 3, v14
	v_sub_u32_e32 v21, 0x3f1, v20
	v_med3_i32 v21, v21, 0, 13
	v_cndmask_b32_e64 v14, 0, 1, vcc
	v_or_b32_e32 v14, v14, v15
	v_add_u32_e32 v3, v3, v14
	v_mov_b32_e32 v14, 0x7c00
	v_cmp_gt_i32_e32 vcc, 31, v9
	v_mov_b32_e32 v15, 0x7e00
	v_add_u32_e32 v20, 0xfffffc10, v20
	v_cndmask_b32_e32 v3, v14, v3, vcc
	v_cmp_ne_u32_e32 vcc, 0, v2
	s_mov_b32 s6, 0x8000
	s_mov_b32 s0, 0xffff
	v_cndmask_b32_e32 v2, v14, v15, vcc
	v_cmp_eq_u32_e32 vcc, s3, v9
	v_lshrrev_b32_e32 v9, 8, v7
	v_lshrrev_b32_e32 v7, 16, v7
	v_cndmask_b32_e32 v2, v3, v2, vcc
	v_cmp_ne_u32_e32 vcc, 0, v6
	v_and_b32_sdwa v3, v1, s6 dst_sel:DWORD dst_unused:UNUSED_PAD src0_sel:WORD_1 src1_sel:DWORD
	v_bitop3_b32 v2, v3, s0, v2 bitop3:0xc8
	v_cndmask_b32_e64 v6, 0, 1, vcc
	v_and_or_b32 v6, v9, s1, v6
	v_or_b32_e32 v9, 0x1000, v6
	v_lshrrev_b32_e32 v22, v21, v9
	v_lshlrev_b32_e32 v21, v21, v22
	v_cmp_ne_u32_e32 vcc, v21, v9
	v_lshl_or_b32 v21, v20, 12, v6
	s_nop 0
	v_cndmask_b32_e64 v9, 0, 1, vcc
	v_or_b32_e32 v9, v22, v9
	v_cmp_gt_i32_e32 vcc, 1, v20
	s_nop 1
	v_cndmask_b32_e32 v9, v21, v9, vcc
	v_and_b32_e32 v21, 7, v9
	v_cmp_lt_i32_e32 vcc, 5, v21
	v_lshrrev_b32_e32 v9, 2, v9
	s_nop 0
	v_cndmask_b32_e64 v22, 0, 1, vcc
	v_cmp_eq_u32_e32 vcc, 3, v21
	s_nop 1
	v_cndmask_b32_e64 v21, 0, 1, vcc
	v_or_b32_e32 v21, v21, v22
	v_add_u32_e32 v9, v9, v21
	v_cmp_gt_i32_e32 vcc, 31, v20
	s_nop 1
	v_cndmask_b32_e32 v9, v14, v9, vcc
	v_cmp_ne_u32_e32 vcc, 0, v6
	s_nop 1
	v_cndmask_b32_e32 v6, v14, v15, vcc
	v_cmp_eq_u32_e32 vcc, s3, v20
	s_nop 1
	v_cndmask_b32_e32 v6, v9, v6, vcc
	v_and_or_b32 v6, v7, s6, v6
	v_lshl_or_b32 v2, v6, 16, v2
	global_store_dword v[10:11], v2, off
.LBB224_2074:
	s_mov_b64 s[0:1], 0
.LBB224_2075:
	s_andn2_b64 vcc, exec, s[0:1]
	s_cbranch_vccnz .LBB224_2084
; %bb.2076:
	s_cmp_lt_i32 s2, 6
	s_mov_b64 s[0:1], -1
	s_cbranch_scc1 .LBB224_2082
; %bb.2077:
	s_cmp_gt_i32 s2, 6
	s_cbranch_scc0 .LBB224_2079
; %bb.2078:
	global_store_dwordx2 v[10:11], v[0:1], off
	s_mov_b64 s[0:1], 0
.LBB224_2079:
	s_andn2_b64 vcc, exec, s[0:1]
	s_cbranch_vccnz .LBB224_2081
; %bb.2080:
	v_cvt_f32_f64_e32 v2, v[0:1]
	global_store_dword v[10:11], v2, off
.LBB224_2081:
	s_mov_b64 s[0:1], 0
.LBB224_2082:
	s_andn2_b64 vcc, exec, s[0:1]
	s_cbranch_vccnz .LBB224_2084
; %bb.2083:
	s_movk_i32 s0, 0x1ff
	v_and_or_b32 v2, v1, s0, v0
	v_cmp_ne_u32_e32 vcc, 0, v2
	v_lshrrev_b32_e32 v3, 8, v1
	s_movk_i32 s0, 0xffe
	v_cndmask_b32_e64 v2, 0, 1, vcc
	v_bfe_u32 v6, v1, 20, 11
	v_and_or_b32 v2, v3, s0, v2
	v_sub_u32_e32 v7, 0x3f1, v6
	v_or_b32_e32 v3, 0x1000, v2
	v_med3_i32 v7, v7, 0, 13
	v_lshrrev_b32_e32 v9, v7, v3
	v_lshlrev_b32_e32 v7, v7, v9
	v_cmp_ne_u32_e32 vcc, v7, v3
	v_add_u32_e32 v6, 0xfffffc10, v6
	v_lshl_or_b32 v7, v6, 12, v2
	v_cndmask_b32_e64 v3, 0, 1, vcc
	v_or_b32_e32 v3, v9, v3
	v_cmp_gt_i32_e32 vcc, 1, v6
	s_movk_i32 s0, 0x40f
	s_nop 0
	v_cndmask_b32_e32 v3, v7, v3, vcc
	v_and_b32_e32 v7, 7, v3
	v_cmp_lt_i32_e32 vcc, 5, v7
	v_lshrrev_b32_e32 v3, 2, v3
	s_nop 0
	v_cndmask_b32_e64 v9, 0, 1, vcc
	v_cmp_eq_u32_e32 vcc, 3, v7
	s_nop 1
	v_cndmask_b32_e64 v7, 0, 1, vcc
	v_or_b32_e32 v7, v7, v9
	v_add_u32_e32 v3, v3, v7
	v_mov_b32_e32 v7, 0x7c00
	v_cmp_gt_i32_e32 vcc, 31, v6
	v_mov_b32_e32 v9, 0x7e00
	s_nop 0
	v_cndmask_b32_e32 v3, v7, v3, vcc
	v_cmp_ne_u32_e32 vcc, 0, v2
	s_nop 1
	v_cndmask_b32_e32 v2, v7, v9, vcc
	v_cmp_eq_u32_e32 vcc, s0, v6
	s_mov_b32 s0, 0x8000
	s_nop 0
	v_cndmask_b32_e32 v2, v3, v2, vcc
	v_lshrrev_b32_e32 v3, 16, v1
	v_and_or_b32 v2, v3, s0, v2
	global_store_short v[10:11], v2, off
.LBB224_2084:
	s_mov_b64 s[0:1], 0
.LBB224_2085:
	s_andn2_b64 vcc, exec, s[0:1]
	s_cbranch_vccnz .LBB224_2101
; %bb.2086:
	s_cmp_lt_i32 s2, 2
	s_mov_b64 s[0:1], -1
	s_cbranch_scc1 .LBB224_2096
; %bb.2087:
	s_cmp_lt_i32 s2, 3
	s_cbranch_scc1 .LBB224_2093
; %bb.2088:
	s_cmp_gt_i32 s2, 3
	s_cbranch_scc0 .LBB224_2090
; %bb.2089:
	v_trunc_f64_e32 v[2:3], v[0:1]
	s_movk_i32 s0, 0xffe0
	v_ldexp_f64 v[6:7], v[2:3], s0
	v_floor_f64_e32 v[6:7], v[6:7]
	v_fmac_f64_e32 v[2:3], 0xc1f00000, v[6:7]
	v_cvt_i32_f64_e32 v15, v[6:7]
	v_cvt_u32_f64_e32 v14, v[2:3]
	global_store_dwordx2 v[10:11], v[14:15], off
	s_mov_b64 s[0:1], 0
.LBB224_2090:
	s_andn2_b64 vcc, exec, s[0:1]
	s_cbranch_vccnz .LBB224_2092
; %bb.2091:
	v_cvt_i32_f64_e32 v2, v[0:1]
	global_store_dword v[10:11], v2, off
.LBB224_2092:
	s_mov_b64 s[0:1], 0
.LBB224_2093:
	s_andn2_b64 vcc, exec, s[0:1]
	s_cbranch_vccnz .LBB224_2095
; %bb.2094:
	v_cvt_i32_f64_e32 v2, v[0:1]
	global_store_short v[10:11], v2, off
.LBB224_2095:
	s_mov_b64 s[0:1], 0
.LBB224_2096:
	s_andn2_b64 vcc, exec, s[0:1]
	s_cbranch_vccnz .LBB224_2101
; %bb.2097:
	s_cmp_gt_i32 s2, 0
	s_mov_b64 s[0:1], -1
	s_cbranch_scc0 .LBB224_2099
; %bb.2098:
	v_cvt_i32_f64_e32 v2, v[0:1]
	global_store_byte v[10:11], v2, off
	s_mov_b64 s[0:1], 0
.LBB224_2099:
	s_andn2_b64 vcc, exec, s[0:1]
	s_cbranch_vccnz .LBB224_2101
; %bb.2100:
	v_trunc_f64_e32 v[0:1], v[0:1]
	s_movk_i32 s0, 0xffe0
	v_ldexp_f64 v[2:3], v[0:1], s0
	v_floor_f64_e32 v[2:3], v[2:3]
	v_fmac_f64_e32 v[0:1], 0xc1f00000, v[2:3]
	v_cvt_u32_f64_e32 v0, v[0:1]
	global_store_byte v[10:11], v0, off
.LBB224_2101:
	s_mov_b64 s[6:7], -1
.LBB224_2102:
	s_andn2_b64 vcc, exec, s[6:7]
	s_cbranch_vccnz .LBB224_2298
; %bb.2103:
	v_add_u32_e32 v0, s18, v8
	v_ashrrev_i32_e32 v1, 31, v0
	s_cmp_lt_i32 s20, 11
	v_lshl_add_u64 v[2:3], s[4:5], 0, v[0:1]
	s_cbranch_scc1 .LBB224_2181
; %bb.2104:
	s_and_b32 s19, 0xffff, s20
	s_mov_b64 s[8:9], -1
	s_mov_b64 s[2:3], 0
	s_cmp_gt_i32 s19, 25
	s_mov_b64 s[6:7], 0
	s_mov_b64 s[0:1], 0
	s_cbranch_scc0 .LBB224_2137
; %bb.2105:
	s_cmp_gt_i32 s19, 28
	s_cbranch_scc0 .LBB224_2120
; %bb.2106:
	s_cmp_gt_i32 s19, 43
	;; [unrolled: 3-line block ×3, first 2 shown]
	s_cbranch_scc0 .LBB224_2110
; %bb.2108:
	s_mov_b64 s[0:1], -1
	s_mov_b64 s[8:9], 0
	s_cmp_eq_u32 s19, 46
	s_cbranch_scc0 .LBB224_2110
; %bb.2109:
	v_cvt_f32_f64_e32 v6, v[12:13]
	s_movk_i32 s0, 0x7fff
	v_bfe_u32 v8, v6, 16, 1
	v_cvt_f32_f64_e32 v1, v[4:5]
	v_add3_u32 v8, v6, v8, s0
	v_bfe_u32 v7, v1, 16, 1
	v_and_b32_e32 v8, 0xffff0000, v8
	v_mov_b32_e32 v9, 0x7fc00000
	v_cmp_o_f32_e32 vcc, v6, v6
	v_add3_u32 v7, v1, v7, s0
	s_mov_b64 s[0:1], 0
	v_cndmask_b32_e32 v6, v9, v8, vcc
	v_cmp_o_f32_e32 vcc, v1, v1
	v_mov_b32_e32 v1, 0x7fc0
	s_mov_b64 s[6:7], -1
	v_cndmask_b32_sdwa v1, v1, v7, vcc dst_sel:DWORD dst_unused:UNUSED_PAD src0_sel:DWORD src1_sel:WORD_1
	v_or_b32_e32 v1, v6, v1
	global_store_dword v[2:3], v1, off
.LBB224_2110:
	s_and_b64 vcc, exec, s[8:9]
	s_cbranch_vccz .LBB224_2115
; %bb.2111:
	s_cmp_eq_u32 s19, 44
	s_mov_b64 s[0:1], -1
	s_cbranch_scc0 .LBB224_2115
; %bb.2112:
	v_cvt_f32_f64_e32 v1, v[4:5]
	v_bfe_u32 v6, v1, 23, 8
	s_movk_i32 s0, 0xff
	v_cmp_ne_u32_e32 vcc, s0, v6
	v_mov_b32_e32 v7, 0xff
	s_and_saveexec_b64 s[6:7], vcc
; %bb.2113:
	s_mov_b32 s0, 0x3fffff
	v_lshrrev_b32_e32 v7, 23, v1
	v_and_b32_e32 v8, 0x400000, v1
	v_and_or_b32 v1, v1, s0, v6
	v_cmp_ne_u32_e32 vcc, 0, v8
	v_cmp_ne_u32_e64 s[0:1], 0, v1
	s_and_b64 s[0:1], vcc, s[0:1]
	s_nop 0
	v_cndmask_b32_e64 v1, 0, 1, s[0:1]
	v_add_u32_e32 v7, v7, v1
; %bb.2114:
	s_or_b64 exec, exec, s[6:7]
	s_mov_b64 s[0:1], 0
	s_mov_b64 s[6:7], -1
	global_store_byte v[2:3], v7, off
.LBB224_2115:
	s_mov_b64 s[8:9], 0
.LBB224_2116:
	s_and_b64 vcc, exec, s[8:9]
	s_cbranch_vccz .LBB224_2119
; %bb.2117:
	s_cmp_eq_u32 s19, 29
	s_mov_b64 s[0:1], -1
	s_cbranch_scc0 .LBB224_2119
; %bb.2118:
	v_trunc_f64_e32 v[6:7], v[4:5]
	s_movk_i32 s0, 0xffe0
	v_ldexp_f64 v[8:9], v[6:7], s0
	v_floor_f64_e32 v[8:9], v[8:9]
	v_fmac_f64_e32 v[6:7], 0xc1f00000, v[8:9]
	v_cvt_u32_f64_e32 v11, v[8:9]
	v_cvt_u32_f64_e32 v10, v[6:7]
	global_store_dwordx2 v[2:3], v[10:11], off
	s_mov_b64 s[0:1], 0
	s_mov_b64 s[6:7], -1
.LBB224_2119:
	s_mov_b64 s[8:9], 0
.LBB224_2120:
	s_and_b64 vcc, exec, s[8:9]
	s_cbranch_vccz .LBB224_2136
; %bb.2121:
	s_cmp_lt_i32 s19, 27
	s_mov_b64 s[6:7], -1
	s_cbranch_scc1 .LBB224_2127
; %bb.2122:
	s_cmp_gt_i32 s19, 27
	v_cvt_u32_f64_e32 v1, v[4:5]
	s_cbranch_scc0 .LBB224_2124
; %bb.2123:
	s_mov_b64 s[6:7], 0
	global_store_dword v[2:3], v1, off
.LBB224_2124:
	s_andn2_b64 vcc, exec, s[6:7]
	s_cbranch_vccnz .LBB224_2126
; %bb.2125:
	global_store_short v[2:3], v1, off
.LBB224_2126:
	s_mov_b64 s[6:7], 0
.LBB224_2127:
	s_andn2_b64 vcc, exec, s[6:7]
	s_cbranch_vccnz .LBB224_2135
; %bb.2128:
	v_cvt_f32_f64_e32 v1, v[4:5]
	v_and_b32_e32 v6, 0x7fffffff, v1
	s_mov_b32 s6, 0x43800000
	v_cmp_gt_u32_e32 vcc, s6, v6
	v_mov_b32_e32 v7, 0x80
	s_and_saveexec_b64 s[6:7], vcc
	s_cbranch_execz .LBB224_2134
; %bb.2129:
	s_mov_b32 s8, 0x3bffffff
	v_cmp_lt_u32_e32 vcc, s8, v6
	s_mov_b64 s[8:9], 0
                                        ; implicit-def: $vgpr6
	s_and_saveexec_b64 s[10:11], vcc
	s_xor_b64 s[10:11], exec, s[10:11]
	s_cbranch_execz .LBB224_2310
; %bb.2130:
	v_bfe_u32 v6, v1, 20, 1
	s_mov_b32 s21, 0x487ffff
	v_add3_u32 v6, v1, v6, s21
	s_mov_b64 s[8:9], exec
	v_lshrrev_b32_e32 v6, 20, v6
	s_andn2_saveexec_b64 s[10:11], s[10:11]
	s_cbranch_execnz .LBB224_2311
.LBB224_2131:
	s_or_b64 exec, exec, s[10:11]
	v_mov_b32_e32 v7, 0
	s_and_saveexec_b64 s[10:11], s[8:9]
.LBB224_2132:
	v_lshrrev_b32_e32 v1, 24, v1
	s_movk_i32 s8, 0x80
	v_and_or_b32 v7, v1, s8, v6
.LBB224_2133:
	s_or_b64 exec, exec, s[10:11]
.LBB224_2134:
	s_or_b64 exec, exec, s[6:7]
	global_store_byte v[2:3], v7, off
.LBB224_2135:
	s_mov_b64 s[6:7], -1
.LBB224_2136:
	s_mov_b64 s[8:9], 0
.LBB224_2137:
	s_and_b64 vcc, exec, s[8:9]
	s_cbranch_vccz .LBB224_2177
; %bb.2138:
	s_cmp_gt_i32 s19, 22
	s_mov_b64 s[2:3], -1
	s_cbranch_scc0 .LBB224_2170
; %bb.2139:
	s_cmp_lt_i32 s19, 24
	s_cbranch_scc1 .LBB224_2159
; %bb.2140:
	s_cmp_gt_i32 s19, 24
	s_cbranch_scc0 .LBB224_2148
; %bb.2141:
	v_cvt_f32_f64_e32 v1, v[4:5]
	v_and_b32_e32 v6, 0x7fffffff, v1
	s_mov_b32 s2, 0x47800000
	v_cmp_gt_u32_e32 vcc, s2, v6
	v_mov_b32_e32 v7, 0x80
	s_and_saveexec_b64 s[2:3], vcc
	s_cbranch_execz .LBB224_2147
; %bb.2142:
	s_mov_b32 s6, 0x37ffffff
	v_cmp_lt_u32_e32 vcc, s6, v6
	s_mov_b64 s[6:7], 0
                                        ; implicit-def: $vgpr6
	s_and_saveexec_b64 s[8:9], vcc
	s_xor_b64 s[8:9], exec, s[8:9]
	s_cbranch_execz .LBB224_2313
; %bb.2143:
	v_bfe_u32 v6, v1, 21, 1
	s_mov_b32 s10, 0x88fffff
	v_add3_u32 v6, v1, v6, s10
	s_mov_b64 s[6:7], exec
	v_lshrrev_b32_e32 v6, 21, v6
	s_andn2_saveexec_b64 s[8:9], s[8:9]
	s_cbranch_execnz .LBB224_2314
.LBB224_2144:
	s_or_b64 exec, exec, s[8:9]
	v_mov_b32_e32 v7, 0
	s_and_saveexec_b64 s[8:9], s[6:7]
.LBB224_2145:
	v_lshrrev_b32_e32 v1, 24, v1
	s_movk_i32 s6, 0x80
	v_and_or_b32 v7, v1, s6, v6
.LBB224_2146:
	s_or_b64 exec, exec, s[8:9]
.LBB224_2147:
	s_or_b64 exec, exec, s[2:3]
	s_mov_b64 s[2:3], 0
	global_store_byte v[2:3], v7, off
.LBB224_2148:
	s_and_b64 vcc, exec, s[2:3]
	s_cbranch_vccz .LBB224_2158
; %bb.2149:
	v_cvt_f32_f64_e32 v1, v[4:5]
	v_and_b32_e32 v7, 0x7fffffff, v1
	s_mov_b32 s2, 0x43f00000
	v_cmp_gt_u32_e32 vcc, s2, v7
                                        ; implicit-def: $vgpr6
	s_and_saveexec_b64 s[2:3], vcc
	s_xor_b64 s[2:3], exec, s[2:3]
	s_cbranch_execz .LBB224_2155
; %bb.2150:
	s_mov_b32 s6, 0x3c7fffff
	v_cmp_lt_u32_e32 vcc, s6, v7
                                        ; implicit-def: $vgpr6
	s_and_saveexec_b64 s[6:7], vcc
	s_xor_b64 s[6:7], exec, s[6:7]
; %bb.2151:
	v_bfe_u32 v6, v1, 20, 1
	s_mov_b32 s8, 0x407ffff
	v_add3_u32 v6, v1, v6, s8
	v_lshrrev_b32_e32 v7, 20, v6
	v_and_b32_e32 v6, 0xff00000, v6
	s_mov_b32 s8, 0x7f00000
	v_mov_b32_e32 v8, 0x7e
	v_cmp_ne_u32_e32 vcc, s8, v6
	s_nop 1
	v_cndmask_b32_e32 v6, v8, v7, vcc
; %bb.2152:
	s_andn2_saveexec_b64 s[6:7], s[6:7]
; %bb.2153:
	s_mov_b32 s8, 0x46800000
	v_add_f32_e64 v6, |v1|, s8
; %bb.2154:
	s_or_b64 exec, exec, s[6:7]
                                        ; implicit-def: $vgpr7
.LBB224_2155:
	s_andn2_saveexec_b64 s[2:3], s[2:3]
; %bb.2156:
	s_mov_b32 s6, 0x7f800000
	v_mov_b32_e32 v6, 0x7e
	v_mov_b32_e32 v8, 0x7f
	v_cmp_lt_u32_e32 vcc, s6, v7
	s_nop 1
	v_cndmask_b32_e32 v6, v6, v8, vcc
; %bb.2157:
	s_or_b64 exec, exec, s[2:3]
	v_lshrrev_b32_e32 v1, 24, v1
	s_movk_i32 s2, 0x80
	v_and_or_b32 v1, v1, s2, v6
	global_store_byte v[2:3], v1, off
.LBB224_2158:
	s_mov_b64 s[2:3], 0
.LBB224_2159:
	s_andn2_b64 vcc, exec, s[2:3]
	s_cbranch_vccnz .LBB224_2169
; %bb.2160:
	v_cvt_f32_f64_e32 v1, v[4:5]
	v_and_b32_e32 v7, 0x7fffffff, v1
	s_mov_b32 s2, 0x47800000
	v_cmp_gt_u32_e32 vcc, s2, v7
                                        ; implicit-def: $vgpr6
	s_and_saveexec_b64 s[2:3], vcc
	s_xor_b64 s[2:3], exec, s[2:3]
	s_cbranch_execz .LBB224_2166
; %bb.2161:
	s_mov_b32 s6, 0x387fffff
	v_cmp_lt_u32_e32 vcc, s6, v7
                                        ; implicit-def: $vgpr6
	s_and_saveexec_b64 s[6:7], vcc
	s_xor_b64 s[6:7], exec, s[6:7]
; %bb.2162:
	v_bfe_u32 v6, v1, 21, 1
	s_mov_b32 s8, 0x80fffff
	v_add3_u32 v6, v1, v6, s8
	v_lshrrev_b32_e32 v6, 21, v6
; %bb.2163:
	s_andn2_saveexec_b64 s[6:7], s[6:7]
; %bb.2164:
	s_mov_b32 s8, 0x43000000
	v_add_f32_e64 v6, |v1|, s8
; %bb.2165:
	s_or_b64 exec, exec, s[6:7]
                                        ; implicit-def: $vgpr7
.LBB224_2166:
	s_andn2_saveexec_b64 s[2:3], s[2:3]
; %bb.2167:
	s_mov_b32 s6, 0x7f800000
	v_mov_b32_e32 v6, 0x7c
	v_mov_b32_e32 v8, 0x7f
	v_cmp_lt_u32_e32 vcc, s6, v7
	s_nop 1
	v_cndmask_b32_e32 v6, v6, v8, vcc
; %bb.2168:
	s_or_b64 exec, exec, s[2:3]
	v_lshrrev_b32_e32 v1, 24, v1
	s_movk_i32 s2, 0x80
	v_and_or_b32 v1, v1, s2, v6
	global_store_byte v[2:3], v1, off
.LBB224_2169:
	s_mov_b64 s[2:3], 0
	s_mov_b64 s[6:7], -1
.LBB224_2170:
	s_andn2_b64 vcc, exec, s[2:3]
	s_mov_b64 s[2:3], 0
	s_cbranch_vccnz .LBB224_2177
; %bb.2171:
	s_cmp_gt_i32 s19, 14
	s_mov_b64 s[8:9], -1
	s_cbranch_scc0 .LBB224_2175
; %bb.2172:
	s_cmp_eq_u32 s19, 15
	s_mov_b64 s[0:1], -1
	s_cbranch_scc0 .LBB224_2174
; %bb.2173:
	v_cvt_f32_f64_e32 v1, v[4:5]
	v_bfe_u32 v6, v1, 16, 1
	s_movk_i32 s0, 0x7fff
	v_add3_u32 v6, v1, v6, s0
	v_cmp_o_f32_e32 vcc, v1, v1
	v_mov_b32_e32 v1, 0x7fc0
	s_mov_b64 s[0:1], 0
	v_cndmask_b32_sdwa v1, v1, v6, vcc dst_sel:DWORD dst_unused:UNUSED_PAD src0_sel:DWORD src1_sel:WORD_1
	global_store_short v[2:3], v1, off
	s_mov_b64 s[6:7], -1
.LBB224_2174:
	s_mov_b64 s[8:9], 0
.LBB224_2175:
	s_and_b64 vcc, exec, s[8:9]
	s_cbranch_vccz .LBB224_2177
; %bb.2176:
	s_cmp_lg_u32 s19, 11
	s_mov_b64 s[2:3], -1
	s_cselect_b64 s[0:1], -1, 0
.LBB224_2177:
	s_and_b64 vcc, exec, s[0:1]
	s_cbranch_vccnz .LBB224_2312
; %bb.2178:
	s_andn2_b64 vcc, exec, s[2:3]
	s_cbranch_vccnz .LBB224_2180
.LBB224_2179:
	v_cmp_neq_f64_e32 vcc, 0, v[4:5]
	v_cmp_neq_f64_e64 s[0:1], 0, v[12:13]
	s_or_b64 s[0:1], vcc, s[0:1]
	s_mov_b64 s[6:7], -1
	v_cndmask_b32_e64 v1, 0, 1, s[0:1]
	global_store_byte v[2:3], v1, off
.LBB224_2180:
	s_mov_b64 s[0:1], 0
	s_branch .LBB224_2182
.LBB224_2181:
	s_mov_b64 s[0:1], -1
	s_mov_b64 s[6:7], 0
.LBB224_2182:
	s_and_b64 vcc, exec, s[0:1]
	s_cbranch_vccz .LBB224_2221
; %bb.2183:
	s_and_b32 s2, 0xffff, s20
	s_cmp_lt_i32 s2, 5
	s_mov_b64 s[0:1], -1
	s_cbranch_scc1 .LBB224_2204
; %bb.2184:
	s_cmp_lt_i32 s2, 8
	s_cbranch_scc1 .LBB224_2194
; %bb.2185:
	s_cmp_lt_i32 s2, 9
	s_cbranch_scc1 .LBB224_2191
; %bb.2186:
	s_cmp_gt_i32 s2, 9
	s_cbranch_scc0 .LBB224_2188
; %bb.2187:
	v_mov_b32_e32 v6, v12
	v_mov_b32_e32 v7, v13
	global_store_dwordx4 v[2:3], v[4:7], off
	s_mov_b64 s[0:1], 0
.LBB224_2188:
	s_andn2_b64 vcc, exec, s[0:1]
	s_cbranch_vccnz .LBB224_2190
; %bb.2189:
	v_cvt_f32_f64_e32 v6, v[4:5]
	v_cvt_f32_f64_e32 v7, v[12:13]
	global_store_dwordx2 v[2:3], v[6:7], off
.LBB224_2190:
	s_mov_b64 s[0:1], 0
.LBB224_2191:
	s_andn2_b64 vcc, exec, s[0:1]
	s_cbranch_vccnz .LBB224_2193
; %bb.2192:
	s_movk_i32 s0, 0x1ff
	v_and_or_b32 v1, v5, s0, v4
	v_cmp_ne_u32_e32 vcc, 0, v1
	v_lshrrev_b32_e32 v6, 8, v5
	s_movk_i32 s1, 0xffe
	v_cndmask_b32_e64 v1, 0, 1, vcc
	v_bfe_u32 v7, v5, 20, 11
	v_and_or_b32 v1, v6, s1, v1
	v_sub_u32_e32 v8, 0x3f1, v7
	v_or_b32_e32 v6, 0x1000, v1
	v_med3_i32 v8, v8, 0, 13
	v_lshrrev_b32_e32 v9, v8, v6
	v_lshlrev_b32_e32 v8, v8, v9
	v_cmp_ne_u32_e32 vcc, v8, v6
	v_add_u32_e32 v7, 0xfffffc10, v7
	v_lshl_or_b32 v8, v7, 12, v1
	v_cndmask_b32_e64 v6, 0, 1, vcc
	v_or_b32_e32 v6, v9, v6
	v_cmp_gt_i32_e32 vcc, 1, v7
	s_movk_i32 s3, 0x40f
	v_lshrrev_b32_e32 v10, 8, v13
	v_cndmask_b32_e32 v6, v8, v6, vcc
	v_and_b32_e32 v8, 7, v6
	v_cmp_lt_i32_e32 vcc, 5, v8
	v_lshrrev_b32_e32 v6, 2, v6
	v_bfe_u32 v11, v13, 20, 11
	v_cndmask_b32_e64 v9, 0, 1, vcc
	v_cmp_eq_u32_e32 vcc, 3, v8
	s_mov_b32 s6, 0x8000
	s_nop 0
	v_cndmask_b32_e64 v8, 0, 1, vcc
	v_or_b32_e32 v8, v8, v9
	v_add_u32_e32 v6, v6, v8
	v_mov_b32_e32 v8, 0x7c00
	v_cmp_gt_i32_e32 vcc, 31, v7
	v_mov_b32_e32 v9, 0x7e00
	s_nop 0
	v_cndmask_b32_e32 v6, v8, v6, vcc
	v_cmp_ne_u32_e32 vcc, 0, v1
	s_nop 1
	v_cndmask_b32_e32 v1, v8, v9, vcc
	v_cmp_eq_u32_e32 vcc, s3, v7
	v_and_or_b32 v7, v13, s0, v12
	v_sub_u32_e32 v12, 0x3f1, v11
	v_cndmask_b32_e32 v1, v6, v1, vcc
	v_cmp_ne_u32_e32 vcc, 0, v7
	v_med3_i32 v12, v12, 0, 13
	v_add_u32_e32 v11, 0xfffffc10, v11
	v_cndmask_b32_e64 v7, 0, 1, vcc
	v_and_or_b32 v7, v10, s1, v7
	v_or_b32_e32 v10, 0x1000, v7
	v_lshrrev_b32_e32 v14, v12, v10
	v_lshlrev_b32_e32 v12, v12, v14
	v_cmp_ne_u32_e32 vcc, v12, v10
	v_lshl_or_b32 v12, v11, 12, v7
	v_and_b32_sdwa v6, v5, s6 dst_sel:DWORD dst_unused:UNUSED_PAD src0_sel:WORD_1 src1_sel:DWORD
	v_cndmask_b32_e64 v10, 0, 1, vcc
	v_or_b32_e32 v10, v14, v10
	v_cmp_gt_i32_e32 vcc, 1, v11
	s_mov_b32 s0, 0xffff
	v_bitop3_b32 v1, v6, s0, v1 bitop3:0xc8
	v_cndmask_b32_e32 v10, v12, v10, vcc
	v_and_b32_e32 v12, 7, v10
	v_cmp_lt_i32_e32 vcc, 5, v12
	v_lshrrev_b32_e32 v10, 2, v10
	s_nop 0
	v_cndmask_b32_e64 v14, 0, 1, vcc
	v_cmp_eq_u32_e32 vcc, 3, v12
	s_nop 1
	v_cndmask_b32_e64 v12, 0, 1, vcc
	v_or_b32_e32 v12, v12, v14
	v_add_u32_e32 v10, v10, v12
	v_cmp_gt_i32_e32 vcc, 31, v11
	s_nop 1
	v_cndmask_b32_e32 v10, v8, v10, vcc
	v_cmp_ne_u32_e32 vcc, 0, v7
	s_nop 1
	v_cndmask_b32_e32 v7, v8, v9, vcc
	v_cmp_eq_u32_e32 vcc, s3, v11
	v_lshrrev_b32_e32 v8, 16, v13
	s_nop 0
	v_cndmask_b32_e32 v7, v10, v7, vcc
	v_and_or_b32 v7, v8, s6, v7
	v_lshl_or_b32 v1, v7, 16, v1
	global_store_dword v[2:3], v1, off
.LBB224_2193:
	s_mov_b64 s[0:1], 0
.LBB224_2194:
	s_andn2_b64 vcc, exec, s[0:1]
	s_cbranch_vccnz .LBB224_2203
; %bb.2195:
	s_cmp_lt_i32 s2, 6
	s_mov_b64 s[0:1], -1
	s_cbranch_scc1 .LBB224_2201
; %bb.2196:
	s_cmp_gt_i32 s2, 6
	s_cbranch_scc0 .LBB224_2198
; %bb.2197:
	global_store_dwordx2 v[2:3], v[4:5], off
	s_mov_b64 s[0:1], 0
.LBB224_2198:
	s_andn2_b64 vcc, exec, s[0:1]
	s_cbranch_vccnz .LBB224_2200
; %bb.2199:
	v_cvt_f32_f64_e32 v1, v[4:5]
	global_store_dword v[2:3], v1, off
.LBB224_2200:
	s_mov_b64 s[0:1], 0
.LBB224_2201:
	s_andn2_b64 vcc, exec, s[0:1]
	s_cbranch_vccnz .LBB224_2203
; %bb.2202:
	s_movk_i32 s0, 0x1ff
	v_and_or_b32 v1, v5, s0, v4
	v_cmp_ne_u32_e32 vcc, 0, v1
	v_lshrrev_b32_e32 v6, 8, v5
	s_movk_i32 s0, 0xffe
	v_cndmask_b32_e64 v1, 0, 1, vcc
	v_bfe_u32 v7, v5, 20, 11
	v_and_or_b32 v1, v6, s0, v1
	v_sub_u32_e32 v8, 0x3f1, v7
	v_or_b32_e32 v6, 0x1000, v1
	v_med3_i32 v8, v8, 0, 13
	v_lshrrev_b32_e32 v9, v8, v6
	v_lshlrev_b32_e32 v8, v8, v9
	v_cmp_ne_u32_e32 vcc, v8, v6
	v_add_u32_e32 v7, 0xfffffc10, v7
	v_lshl_or_b32 v8, v7, 12, v1
	v_cndmask_b32_e64 v6, 0, 1, vcc
	v_or_b32_e32 v6, v9, v6
	v_cmp_gt_i32_e32 vcc, 1, v7
	s_movk_i32 s0, 0x40f
	s_nop 0
	v_cndmask_b32_e32 v6, v8, v6, vcc
	v_and_b32_e32 v8, 7, v6
	v_cmp_lt_i32_e32 vcc, 5, v8
	v_lshrrev_b32_e32 v6, 2, v6
	s_nop 0
	v_cndmask_b32_e64 v9, 0, 1, vcc
	v_cmp_eq_u32_e32 vcc, 3, v8
	s_nop 1
	v_cndmask_b32_e64 v8, 0, 1, vcc
	v_or_b32_e32 v8, v8, v9
	v_add_u32_e32 v6, v6, v8
	v_mov_b32_e32 v8, 0x7c00
	v_cmp_gt_i32_e32 vcc, 31, v7
	v_mov_b32_e32 v9, 0x7e00
	s_nop 0
	v_cndmask_b32_e32 v6, v8, v6, vcc
	v_cmp_ne_u32_e32 vcc, 0, v1
	s_nop 1
	v_cndmask_b32_e32 v1, v8, v9, vcc
	v_cmp_eq_u32_e32 vcc, s0, v7
	s_mov_b32 s0, 0x8000
	s_nop 0
	v_cndmask_b32_e32 v1, v6, v1, vcc
	v_lshrrev_b32_e32 v6, 16, v5
	v_and_or_b32 v1, v6, s0, v1
	global_store_short v[2:3], v1, off
.LBB224_2203:
	s_mov_b64 s[0:1], 0
.LBB224_2204:
	s_andn2_b64 vcc, exec, s[0:1]
	s_cbranch_vccnz .LBB224_2220
; %bb.2205:
	s_cmp_lt_i32 s2, 2
	s_mov_b64 s[0:1], -1
	s_cbranch_scc1 .LBB224_2215
; %bb.2206:
	s_cmp_lt_i32 s2, 3
	s_cbranch_scc1 .LBB224_2212
; %bb.2207:
	s_cmp_gt_i32 s2, 3
	s_cbranch_scc0 .LBB224_2209
; %bb.2208:
	v_trunc_f64_e32 v[6:7], v[4:5]
	s_movk_i32 s0, 0xffe0
	v_ldexp_f64 v[8:9], v[6:7], s0
	v_floor_f64_e32 v[8:9], v[8:9]
	v_fmac_f64_e32 v[6:7], 0xc1f00000, v[8:9]
	v_cvt_i32_f64_e32 v11, v[8:9]
	v_cvt_u32_f64_e32 v10, v[6:7]
	global_store_dwordx2 v[2:3], v[10:11], off
	s_mov_b64 s[0:1], 0
.LBB224_2209:
	s_andn2_b64 vcc, exec, s[0:1]
	s_cbranch_vccnz .LBB224_2211
; %bb.2210:
	v_cvt_i32_f64_e32 v1, v[4:5]
	global_store_dword v[2:3], v1, off
.LBB224_2211:
	s_mov_b64 s[0:1], 0
.LBB224_2212:
	s_andn2_b64 vcc, exec, s[0:1]
	s_cbranch_vccnz .LBB224_2214
; %bb.2213:
	v_cvt_i32_f64_e32 v1, v[4:5]
	global_store_short v[2:3], v1, off
.LBB224_2214:
	s_mov_b64 s[0:1], 0
.LBB224_2215:
	s_andn2_b64 vcc, exec, s[0:1]
	s_cbranch_vccnz .LBB224_2220
; %bb.2216:
	s_cmp_gt_i32 s2, 0
	s_mov_b64 s[0:1], -1
	s_cbranch_scc0 .LBB224_2218
; %bb.2217:
	v_cvt_i32_f64_e32 v1, v[4:5]
	global_store_byte v[2:3], v1, off
	s_mov_b64 s[0:1], 0
.LBB224_2218:
	s_andn2_b64 vcc, exec, s[0:1]
	s_cbranch_vccnz .LBB224_2220
; %bb.2219:
	v_trunc_f64_e32 v[4:5], v[4:5]
	s_movk_i32 s0, 0xffe0
	v_ldexp_f64 v[6:7], v[4:5], s0
	v_floor_f64_e32 v[6:7], v[6:7]
	v_fmac_f64_e32 v[4:5], 0xc1f00000, v[6:7]
	v_cvt_u32_f64_e32 v1, v[4:5]
	global_store_byte v[2:3], v1, off
.LBB224_2220:
	s_mov_b64 s[6:7], -1
.LBB224_2221:
	s_andn2_b64 vcc, exec, s[6:7]
	s_cbranch_vccnz .LBB224_2298
; %bb.2222:
	v_add_u32_e32 v0, s18, v0
	v_ashrrev_i32_e32 v1, 31, v0
	s_cmp_lt_i32 s20, 11
	v_lshl_add_u64 v[0:1], s[4:5], 0, v[0:1]
	s_cbranch_scc1 .LBB224_2299
; %bb.2223:
	s_and_b32 s10, 0xffff, s20
	s_mov_b64 s[4:5], -1
	s_mov_b64 s[2:3], 0
	s_cmp_gt_i32 s10, 25
	s_mov_b64 s[0:1], 0
	s_cbranch_scc0 .LBB224_2256
; %bb.2224:
	s_cmp_gt_i32 s10, 28
	s_cbranch_scc0 .LBB224_2240
; %bb.2225:
	s_cmp_gt_i32 s10, 43
	;; [unrolled: 3-line block ×3, first 2 shown]
	s_cbranch_scc0 .LBB224_2230
; %bb.2227:
	s_cmp_eq_u32 s10, 46
	s_mov_b64 s[0:1], -1
	s_cbranch_scc0 .LBB224_2229
; %bb.2228:
	v_cvt_f32_f64_e32 v3, v[16:17]
	s_movk_i32 s0, 0x7fff
	v_bfe_u32 v5, v3, 16, 1
	v_cvt_f32_f64_e32 v2, v[18:19]
	v_add3_u32 v5, v3, v5, s0
	v_bfe_u32 v4, v2, 16, 1
	v_and_b32_e32 v5, 0xffff0000, v5
	v_mov_b32_e32 v6, 0x7fc00000
	v_cmp_o_f32_e32 vcc, v3, v3
	v_add3_u32 v4, v2, v4, s0
	s_mov_b64 s[0:1], 0
	v_cndmask_b32_e32 v3, v6, v5, vcc
	v_cmp_o_f32_e32 vcc, v2, v2
	v_mov_b32_e32 v2, 0x7fc0
	s_nop 0
	v_cndmask_b32_sdwa v2, v2, v4, vcc dst_sel:DWORD dst_unused:UNUSED_PAD src0_sel:DWORD src1_sel:WORD_1
	v_or_b32_e32 v2, v3, v2
	global_store_dword v[0:1], v2, off
.LBB224_2229:
	s_mov_b64 s[4:5], 0
.LBB224_2230:
	s_and_b64 vcc, exec, s[4:5]
	s_cbranch_vccz .LBB224_2235
; %bb.2231:
	s_cmp_eq_u32 s10, 44
	s_mov_b64 s[0:1], -1
	s_cbranch_scc0 .LBB224_2235
; %bb.2232:
	v_cvt_f32_f64_e32 v2, v[18:19]
	v_bfe_u32 v3, v2, 23, 8
	s_movk_i32 s0, 0xff
	v_cmp_ne_u32_e32 vcc, s0, v3
	v_mov_b32_e32 v4, 0xff
	s_and_saveexec_b64 s[4:5], vcc
; %bb.2233:
	s_mov_b32 s0, 0x3fffff
	v_lshrrev_b32_e32 v4, 23, v2
	v_and_b32_e32 v5, 0x400000, v2
	v_and_or_b32 v2, v2, s0, v3
	v_cmp_ne_u32_e32 vcc, 0, v5
	v_cmp_ne_u32_e64 s[0:1], 0, v2
	s_and_b64 s[0:1], vcc, s[0:1]
	s_nop 0
	v_cndmask_b32_e64 v2, 0, 1, s[0:1]
	v_add_u32_e32 v4, v4, v2
; %bb.2234:
	s_or_b64 exec, exec, s[4:5]
	s_mov_b64 s[0:1], 0
	global_store_byte v[0:1], v4, off
.LBB224_2235:
	s_mov_b64 s[4:5], 0
.LBB224_2236:
	s_and_b64 vcc, exec, s[4:5]
	s_cbranch_vccz .LBB224_2239
; %bb.2237:
	s_cmp_eq_u32 s10, 29
	s_mov_b64 s[0:1], -1
	s_cbranch_scc0 .LBB224_2239
; %bb.2238:
	v_trunc_f64_e32 v[2:3], v[18:19]
	s_movk_i32 s0, 0xffe0
	v_ldexp_f64 v[4:5], v[2:3], s0
	v_floor_f64_e32 v[4:5], v[4:5]
	v_fmac_f64_e32 v[2:3], 0xc1f00000, v[4:5]
	v_cvt_u32_f64_e32 v7, v[4:5]
	v_cvt_u32_f64_e32 v6, v[2:3]
	global_store_dwordx2 v[0:1], v[6:7], off
	s_mov_b64 s[0:1], 0
.LBB224_2239:
	s_mov_b64 s[4:5], 0
.LBB224_2240:
	s_and_b64 vcc, exec, s[4:5]
	s_cbranch_vccz .LBB224_2255
; %bb.2241:
	s_cmp_lt_i32 s10, 27
	s_mov_b64 s[4:5], -1
	s_cbranch_scc1 .LBB224_2247
; %bb.2242:
	s_cmp_gt_i32 s10, 27
	v_cvt_u32_f64_e32 v2, v[18:19]
	s_cbranch_scc0 .LBB224_2244
; %bb.2243:
	global_store_dword v[0:1], v2, off
	s_mov_b64 s[4:5], 0
.LBB224_2244:
	s_andn2_b64 vcc, exec, s[4:5]
	s_cbranch_vccnz .LBB224_2246
; %bb.2245:
	global_store_short v[0:1], v2, off
.LBB224_2246:
	s_mov_b64 s[4:5], 0
.LBB224_2247:
	s_andn2_b64 vcc, exec, s[4:5]
	s_cbranch_vccnz .LBB224_2255
; %bb.2248:
	v_cvt_f32_f64_e32 v2, v[18:19]
	v_and_b32_e32 v3, 0x7fffffff, v2
	s_mov_b32 s4, 0x43800000
	v_cmp_gt_u32_e32 vcc, s4, v3
	v_mov_b32_e32 v4, 0x80
	s_and_saveexec_b64 s[4:5], vcc
	s_cbranch_execz .LBB224_2254
; %bb.2249:
	s_mov_b32 s6, 0x3bffffff
	v_cmp_lt_u32_e32 vcc, s6, v3
	s_mov_b64 s[6:7], 0
                                        ; implicit-def: $vgpr3
	s_and_saveexec_b64 s[8:9], vcc
	s_xor_b64 s[8:9], exec, s[8:9]
	s_cbranch_execz .LBB224_2315
; %bb.2250:
	v_bfe_u32 v3, v2, 20, 1
	s_mov_b32 s11, 0x487ffff
	v_add3_u32 v3, v2, v3, s11
	s_mov_b64 s[6:7], exec
	v_lshrrev_b32_e32 v3, 20, v3
	s_andn2_saveexec_b64 s[8:9], s[8:9]
	s_cbranch_execnz .LBB224_2316
.LBB224_2251:
	s_or_b64 exec, exec, s[8:9]
	v_mov_b32_e32 v4, 0
	s_and_saveexec_b64 s[8:9], s[6:7]
.LBB224_2252:
	v_lshrrev_b32_e32 v2, 24, v2
	s_movk_i32 s6, 0x80
	v_and_or_b32 v4, v2, s6, v3
.LBB224_2253:
	s_or_b64 exec, exec, s[8:9]
.LBB224_2254:
	s_or_b64 exec, exec, s[4:5]
	global_store_byte v[0:1], v4, off
.LBB224_2255:
	s_mov_b64 s[4:5], 0
.LBB224_2256:
	s_and_b64 vcc, exec, s[4:5]
	s_cbranch_vccz .LBB224_2296
; %bb.2257:
	s_cmp_gt_i32 s10, 22
	s_mov_b64 s[2:3], -1
	s_cbranch_scc0 .LBB224_2289
; %bb.2258:
	s_cmp_lt_i32 s10, 24
	s_cbranch_scc1 .LBB224_2278
; %bb.2259:
	s_cmp_gt_i32 s10, 24
	s_cbranch_scc0 .LBB224_2267
; %bb.2260:
	v_cvt_f32_f64_e32 v2, v[18:19]
	v_and_b32_e32 v3, 0x7fffffff, v2
	s_mov_b32 s2, 0x47800000
	v_cmp_gt_u32_e32 vcc, s2, v3
	v_mov_b32_e32 v4, 0x80
	s_and_saveexec_b64 s[2:3], vcc
	s_cbranch_execz .LBB224_2266
; %bb.2261:
	s_mov_b32 s4, 0x37ffffff
	v_cmp_lt_u32_e32 vcc, s4, v3
	s_mov_b64 s[4:5], 0
                                        ; implicit-def: $vgpr3
	s_and_saveexec_b64 s[6:7], vcc
	s_xor_b64 s[6:7], exec, s[6:7]
	s_cbranch_execz .LBB224_2318
; %bb.2262:
	v_bfe_u32 v3, v2, 21, 1
	s_mov_b32 s8, 0x88fffff
	v_add3_u32 v3, v2, v3, s8
	s_mov_b64 s[4:5], exec
	v_lshrrev_b32_e32 v3, 21, v3
	s_andn2_saveexec_b64 s[6:7], s[6:7]
	s_cbranch_execnz .LBB224_2319
.LBB224_2263:
	s_or_b64 exec, exec, s[6:7]
	v_mov_b32_e32 v4, 0
	s_and_saveexec_b64 s[6:7], s[4:5]
.LBB224_2264:
	v_lshrrev_b32_e32 v2, 24, v2
	s_movk_i32 s4, 0x80
	v_and_or_b32 v4, v2, s4, v3
.LBB224_2265:
	s_or_b64 exec, exec, s[6:7]
.LBB224_2266:
	s_or_b64 exec, exec, s[2:3]
	s_mov_b64 s[2:3], 0
	global_store_byte v[0:1], v4, off
.LBB224_2267:
	s_and_b64 vcc, exec, s[2:3]
	s_cbranch_vccz .LBB224_2277
; %bb.2268:
	v_cvt_f32_f64_e32 v2, v[18:19]
	v_and_b32_e32 v4, 0x7fffffff, v2
	s_mov_b32 s2, 0x43f00000
	v_cmp_gt_u32_e32 vcc, s2, v4
                                        ; implicit-def: $vgpr3
	s_and_saveexec_b64 s[2:3], vcc
	s_xor_b64 s[2:3], exec, s[2:3]
	s_cbranch_execz .LBB224_2274
; %bb.2269:
	s_mov_b32 s4, 0x3c7fffff
	v_cmp_lt_u32_e32 vcc, s4, v4
                                        ; implicit-def: $vgpr3
	s_and_saveexec_b64 s[4:5], vcc
	s_xor_b64 s[4:5], exec, s[4:5]
; %bb.2270:
	v_bfe_u32 v3, v2, 20, 1
	s_mov_b32 s6, 0x407ffff
	v_add3_u32 v3, v2, v3, s6
	v_lshrrev_b32_e32 v4, 20, v3
	v_and_b32_e32 v3, 0xff00000, v3
	s_mov_b32 s6, 0x7f00000
	v_mov_b32_e32 v5, 0x7e
	v_cmp_ne_u32_e32 vcc, s6, v3
	s_nop 1
	v_cndmask_b32_e32 v3, v5, v4, vcc
; %bb.2271:
	s_andn2_saveexec_b64 s[4:5], s[4:5]
; %bb.2272:
	s_mov_b32 s6, 0x46800000
	v_add_f32_e64 v3, |v2|, s6
; %bb.2273:
	s_or_b64 exec, exec, s[4:5]
                                        ; implicit-def: $vgpr4
.LBB224_2274:
	s_andn2_saveexec_b64 s[2:3], s[2:3]
; %bb.2275:
	s_mov_b32 s4, 0x7f800000
	v_mov_b32_e32 v3, 0x7e
	v_mov_b32_e32 v5, 0x7f
	v_cmp_lt_u32_e32 vcc, s4, v4
	s_nop 1
	v_cndmask_b32_e32 v3, v3, v5, vcc
; %bb.2276:
	s_or_b64 exec, exec, s[2:3]
	v_lshrrev_b32_e32 v2, 24, v2
	s_movk_i32 s2, 0x80
	v_and_or_b32 v2, v2, s2, v3
	global_store_byte v[0:1], v2, off
.LBB224_2277:
	s_mov_b64 s[2:3], 0
.LBB224_2278:
	s_andn2_b64 vcc, exec, s[2:3]
	s_cbranch_vccnz .LBB224_2288
; %bb.2279:
	v_cvt_f32_f64_e32 v2, v[18:19]
	v_and_b32_e32 v4, 0x7fffffff, v2
	s_mov_b32 s2, 0x47800000
	v_cmp_gt_u32_e32 vcc, s2, v4
                                        ; implicit-def: $vgpr3
	s_and_saveexec_b64 s[2:3], vcc
	s_xor_b64 s[2:3], exec, s[2:3]
	s_cbranch_execz .LBB224_2285
; %bb.2280:
	s_mov_b32 s4, 0x387fffff
	v_cmp_lt_u32_e32 vcc, s4, v4
                                        ; implicit-def: $vgpr3
	s_and_saveexec_b64 s[4:5], vcc
	s_xor_b64 s[4:5], exec, s[4:5]
; %bb.2281:
	v_bfe_u32 v3, v2, 21, 1
	s_mov_b32 s6, 0x80fffff
	v_add3_u32 v3, v2, v3, s6
	v_lshrrev_b32_e32 v3, 21, v3
; %bb.2282:
	s_andn2_saveexec_b64 s[4:5], s[4:5]
; %bb.2283:
	s_mov_b32 s6, 0x43000000
	v_add_f32_e64 v3, |v2|, s6
; %bb.2284:
	s_or_b64 exec, exec, s[4:5]
                                        ; implicit-def: $vgpr4
.LBB224_2285:
	s_andn2_saveexec_b64 s[2:3], s[2:3]
; %bb.2286:
	s_mov_b32 s4, 0x7f800000
	v_mov_b32_e32 v3, 0x7c
	v_mov_b32_e32 v5, 0x7f
	v_cmp_lt_u32_e32 vcc, s4, v4
	s_nop 1
	v_cndmask_b32_e32 v3, v3, v5, vcc
; %bb.2287:
	s_or_b64 exec, exec, s[2:3]
	v_lshrrev_b32_e32 v2, 24, v2
	s_movk_i32 s2, 0x80
	v_and_or_b32 v2, v2, s2, v3
	global_store_byte v[0:1], v2, off
.LBB224_2288:
	s_mov_b64 s[2:3], 0
.LBB224_2289:
	s_andn2_b64 vcc, exec, s[2:3]
	s_mov_b64 s[2:3], 0
	s_cbranch_vccnz .LBB224_2296
; %bb.2290:
	s_cmp_gt_i32 s10, 14
	s_mov_b64 s[4:5], -1
	s_cbranch_scc0 .LBB224_2294
; %bb.2291:
	s_cmp_eq_u32 s10, 15
	s_mov_b64 s[0:1], -1
	s_cbranch_scc0 .LBB224_2293
; %bb.2292:
	v_cvt_f32_f64_e32 v2, v[18:19]
	v_bfe_u32 v3, v2, 16, 1
	s_movk_i32 s0, 0x7fff
	v_add3_u32 v3, v2, v3, s0
	v_cmp_o_f32_e32 vcc, v2, v2
	v_mov_b32_e32 v2, 0x7fc0
	s_mov_b64 s[0:1], 0
	v_cndmask_b32_sdwa v2, v2, v3, vcc dst_sel:DWORD dst_unused:UNUSED_PAD src0_sel:DWORD src1_sel:WORD_1
	global_store_short v[0:1], v2, off
.LBB224_2293:
	s_mov_b64 s[4:5], 0
.LBB224_2294:
	s_and_b64 vcc, exec, s[4:5]
	s_cbranch_vccz .LBB224_2296
; %bb.2295:
	s_cmp_lg_u32 s10, 11
	s_mov_b64 s[2:3], -1
	s_cselect_b64 s[0:1], -1, 0
.LBB224_2296:
	s_and_b64 vcc, exec, s[0:1]
	s_cbranch_vccnz .LBB224_2317
.LBB224_2297:
	s_mov_b64 s[0:1], 0
	s_branch .LBB224_1803
.LBB224_2298:
	s_mov_b64 s[0:1], 0
                                        ; implicit-def: $sgpr20
                                        ; implicit-def: $vgpr0_vgpr1
	s_branch .LBB224_1802
.LBB224_2299:
	s_mov_b64 s[2:3], 0
	s_mov_b64 s[0:1], -1
	s_branch .LBB224_1803
.LBB224_2300:
	s_andn2_saveexec_b64 s[18:19], s[18:19]
	s_cbranch_execz .LBB224_1893
.LBB224_2301:
	s_mov_b32 s21, 0x46000000
	v_add_f32_e64 v11, |v10|, s21
	v_and_b32_e32 v11, 0xff, v11
	v_cmp_ne_u32_e32 vcc, 0, v11
	s_andn2_b64 s[10:11], s[10:11], exec
	s_and_b64 s[22:23], vcc, exec
	s_or_b64 s[10:11], s[10:11], s[22:23]
	s_or_b64 exec, exec, s[18:19]
	v_mov_b32_e32 v15, 0
	s_and_saveexec_b64 s[18:19], s[10:11]
	s_cbranch_execnz .LBB224_1894
	s_branch .LBB224_1895
.LBB224_2302:
	s_trap 2
	s_or_b64 s[16:17], s[16:17], exec
	s_cbranch_execz .LBB224_1941
	s_branch .LBB224_1942
.LBB224_2303:
	s_andn2_saveexec_b64 s[10:11], s[10:11]
	s_cbranch_execz .LBB224_1906
.LBB224_2304:
	s_mov_b32 s18, 0x42800000
	v_add_f32_e64 v11, |v10|, s18
	v_and_b32_e32 v11, 0xff, v11
	v_cmp_ne_u32_e32 vcc, 0, v11
	s_andn2_b64 s[6:7], s[6:7], exec
	s_and_b64 s[18:19], vcc, exec
	s_or_b64 s[6:7], s[6:7], s[18:19]
	s_or_b64 exec, exec, s[10:11]
	v_mov_b32_e32 v15, 0
	s_and_saveexec_b64 s[10:11], s[6:7]
	s_cbranch_execnz .LBB224_1907
	s_branch .LBB224_1908
.LBB224_2305:
	s_andn2_saveexec_b64 s[10:11], s[10:11]
	s_cbranch_execz .LBB224_2012
.LBB224_2306:
	s_mov_b32 s21, 0x46000000
	v_add_f32_e64 v3, |v2|, s21
	v_and_b32_e32 v3, 0xff, v3
	v_cmp_ne_u32_e32 vcc, 0, v3
	s_andn2_b64 s[8:9], s[8:9], exec
	s_and_b64 s[22:23], vcc, exec
	s_or_b64 s[8:9], s[8:9], s[22:23]
	s_or_b64 exec, exec, s[10:11]
	v_mov_b32_e32 v9, 0
	s_and_saveexec_b64 s[10:11], s[8:9]
	s_cbranch_execnz .LBB224_2013
	s_branch .LBB224_2014
.LBB224_2307:
	s_trap 2
	s_or_b64 s[16:17], s[16:17], exec
	s_cbranch_execz .LBB224_2060
	s_branch .LBB224_2061
.LBB224_2308:
	s_andn2_saveexec_b64 s[8:9], s[8:9]
	s_cbranch_execz .LBB224_2025
.LBB224_2309:
	s_mov_b32 s10, 0x42800000
	v_add_f32_e64 v3, |v2|, s10
	v_and_b32_e32 v3, 0xff, v3
	v_cmp_ne_u32_e32 vcc, 0, v3
	s_andn2_b64 s[6:7], s[6:7], exec
	s_and_b64 s[10:11], vcc, exec
	s_or_b64 s[6:7], s[6:7], s[10:11]
	s_or_b64 exec, exec, s[8:9]
	v_mov_b32_e32 v9, 0
	s_and_saveexec_b64 s[8:9], s[6:7]
	s_cbranch_execnz .LBB224_2026
	s_branch .LBB224_2027
.LBB224_2310:
	s_andn2_saveexec_b64 s[10:11], s[10:11]
	s_cbranch_execz .LBB224_2131
.LBB224_2311:
	s_mov_b32 s21, 0x46000000
	v_add_f32_e64 v6, |v1|, s21
	v_and_b32_e32 v6, 0xff, v6
	v_cmp_ne_u32_e32 vcc, 0, v6
	s_andn2_b64 s[8:9], s[8:9], exec
	s_and_b64 s[22:23], vcc, exec
	s_or_b64 s[8:9], s[8:9], s[22:23]
	s_or_b64 exec, exec, s[10:11]
	v_mov_b32_e32 v7, 0
	s_and_saveexec_b64 s[10:11], s[8:9]
	s_cbranch_execnz .LBB224_2132
	s_branch .LBB224_2133
.LBB224_2312:
	s_trap 2
	s_or_b64 s[16:17], s[16:17], exec
	s_cbranch_execz .LBB224_2179
	s_branch .LBB224_2180
.LBB224_2313:
	s_andn2_saveexec_b64 s[8:9], s[8:9]
	s_cbranch_execz .LBB224_2144
.LBB224_2314:
	s_mov_b32 s10, 0x42800000
	v_add_f32_e64 v6, |v1|, s10
	v_and_b32_e32 v6, 0xff, v6
	v_cmp_ne_u32_e32 vcc, 0, v6
	s_andn2_b64 s[6:7], s[6:7], exec
	s_and_b64 s[10:11], vcc, exec
	s_or_b64 s[6:7], s[6:7], s[10:11]
	s_or_b64 exec, exec, s[8:9]
	v_mov_b32_e32 v7, 0
	s_and_saveexec_b64 s[8:9], s[6:7]
	s_cbranch_execnz .LBB224_2145
	s_branch .LBB224_2146
.LBB224_2315:
	s_andn2_saveexec_b64 s[8:9], s[8:9]
	s_cbranch_execz .LBB224_2251
.LBB224_2316:
	s_mov_b32 s11, 0x46000000
	v_add_f32_e64 v3, |v2|, s11
	v_and_b32_e32 v3, 0xff, v3
	v_cmp_ne_u32_e32 vcc, 0, v3
	s_andn2_b64 s[6:7], s[6:7], exec
	s_and_b64 s[18:19], vcc, exec
	s_or_b64 s[6:7], s[6:7], s[18:19]
	s_or_b64 exec, exec, s[8:9]
	v_mov_b32_e32 v4, 0
	s_and_saveexec_b64 s[8:9], s[6:7]
	s_cbranch_execnz .LBB224_2252
	s_branch .LBB224_2253
.LBB224_2317:
	s_mov_b64 s[2:3], 0
	s_or_b64 s[16:17], s[16:17], exec
	s_trap 2
	s_branch .LBB224_2297
.LBB224_2318:
	s_andn2_saveexec_b64 s[6:7], s[6:7]
	s_cbranch_execz .LBB224_2263
.LBB224_2319:
	s_mov_b32 s8, 0x42800000
	v_add_f32_e64 v3, |v2|, s8
	v_and_b32_e32 v3, 0xff, v3
	v_cmp_ne_u32_e32 vcc, 0, v3
	s_andn2_b64 s[4:5], s[4:5], exec
	s_and_b64 s[8:9], vcc, exec
	s_or_b64 s[4:5], s[4:5], s[8:9]
	s_or_b64 exec, exec, s[6:7]
	v_mov_b32_e32 v4, 0
	s_and_saveexec_b64 s[6:7], s[4:5]
	s_cbranch_execnz .LBB224_2264
	s_branch .LBB224_2265
	.section	.rodata,"a",@progbits
	.p2align	6, 0x0
	.amdhsa_kernel _ZN2at6native32elementwise_kernel_manual_unrollILi128ELi4EZNS0_15gpu_kernel_implIZZZNS0_16sqrt_kernel_cudaERNS_18TensorIteratorBaseEENKUlvE_clEvENKUlvE_clEvEUlN3c107complexIdEEE_EEvS4_RKT_EUlibE_EEviT1_
		.amdhsa_group_segment_fixed_size 0
		.amdhsa_private_segment_fixed_size 0
		.amdhsa_kernarg_size 40
		.amdhsa_user_sgpr_count 2
		.amdhsa_user_sgpr_dispatch_ptr 0
		.amdhsa_user_sgpr_queue_ptr 0
		.amdhsa_user_sgpr_kernarg_segment_ptr 1
		.amdhsa_user_sgpr_dispatch_id 0
		.amdhsa_user_sgpr_kernarg_preload_length 0
		.amdhsa_user_sgpr_kernarg_preload_offset 0
		.amdhsa_user_sgpr_private_segment_size 0
		.amdhsa_uses_dynamic_stack 0
		.amdhsa_enable_private_segment 0
		.amdhsa_system_sgpr_workgroup_id_x 1
		.amdhsa_system_sgpr_workgroup_id_y 0
		.amdhsa_system_sgpr_workgroup_id_z 0
		.amdhsa_system_sgpr_workgroup_info 0
		.amdhsa_system_vgpr_workitem_id 0
		.amdhsa_next_free_vgpr 28
		.amdhsa_next_free_sgpr 48
		.amdhsa_accum_offset 28
		.amdhsa_reserve_vcc 1
		.amdhsa_float_round_mode_32 0
		.amdhsa_float_round_mode_16_64 0
		.amdhsa_float_denorm_mode_32 3
		.amdhsa_float_denorm_mode_16_64 3
		.amdhsa_dx10_clamp 1
		.amdhsa_ieee_mode 1
		.amdhsa_fp16_overflow 0
		.amdhsa_tg_split 0
		.amdhsa_exception_fp_ieee_invalid_op 0
		.amdhsa_exception_fp_denorm_src 0
		.amdhsa_exception_fp_ieee_div_zero 0
		.amdhsa_exception_fp_ieee_overflow 0
		.amdhsa_exception_fp_ieee_underflow 0
		.amdhsa_exception_fp_ieee_inexact 0
		.amdhsa_exception_int_div_zero 0
	.end_amdhsa_kernel
	.section	.text._ZN2at6native32elementwise_kernel_manual_unrollILi128ELi4EZNS0_15gpu_kernel_implIZZZNS0_16sqrt_kernel_cudaERNS_18TensorIteratorBaseEENKUlvE_clEvENKUlvE_clEvEUlN3c107complexIdEEE_EEvS4_RKT_EUlibE_EEviT1_,"axG",@progbits,_ZN2at6native32elementwise_kernel_manual_unrollILi128ELi4EZNS0_15gpu_kernel_implIZZZNS0_16sqrt_kernel_cudaERNS_18TensorIteratorBaseEENKUlvE_clEvENKUlvE_clEvEUlN3c107complexIdEEE_EEvS4_RKT_EUlibE_EEviT1_,comdat
.Lfunc_end224:
	.size	_ZN2at6native32elementwise_kernel_manual_unrollILi128ELi4EZNS0_15gpu_kernel_implIZZZNS0_16sqrt_kernel_cudaERNS_18TensorIteratorBaseEENKUlvE_clEvENKUlvE_clEvEUlN3c107complexIdEEE_EEvS4_RKT_EUlibE_EEviT1_, .Lfunc_end224-_ZN2at6native32elementwise_kernel_manual_unrollILi128ELi4EZNS0_15gpu_kernel_implIZZZNS0_16sqrt_kernel_cudaERNS_18TensorIteratorBaseEENKUlvE_clEvENKUlvE_clEvEUlN3c107complexIdEEE_EEvS4_RKT_EUlibE_EEviT1_
                                        ; -- End function
	.set _ZN2at6native32elementwise_kernel_manual_unrollILi128ELi4EZNS0_15gpu_kernel_implIZZZNS0_16sqrt_kernel_cudaERNS_18TensorIteratorBaseEENKUlvE_clEvENKUlvE_clEvEUlN3c107complexIdEEE_EEvS4_RKT_EUlibE_EEviT1_.num_vgpr, 28
	.set _ZN2at6native32elementwise_kernel_manual_unrollILi128ELi4EZNS0_15gpu_kernel_implIZZZNS0_16sqrt_kernel_cudaERNS_18TensorIteratorBaseEENKUlvE_clEvENKUlvE_clEvEUlN3c107complexIdEEE_EEvS4_RKT_EUlibE_EEviT1_.num_agpr, 0
	.set _ZN2at6native32elementwise_kernel_manual_unrollILi128ELi4EZNS0_15gpu_kernel_implIZZZNS0_16sqrt_kernel_cudaERNS_18TensorIteratorBaseEENKUlvE_clEvENKUlvE_clEvEUlN3c107complexIdEEE_EEvS4_RKT_EUlibE_EEviT1_.numbered_sgpr, 48
	.set _ZN2at6native32elementwise_kernel_manual_unrollILi128ELi4EZNS0_15gpu_kernel_implIZZZNS0_16sqrt_kernel_cudaERNS_18TensorIteratorBaseEENKUlvE_clEvENKUlvE_clEvEUlN3c107complexIdEEE_EEvS4_RKT_EUlibE_EEviT1_.num_named_barrier, 0
	.set _ZN2at6native32elementwise_kernel_manual_unrollILi128ELi4EZNS0_15gpu_kernel_implIZZZNS0_16sqrt_kernel_cudaERNS_18TensorIteratorBaseEENKUlvE_clEvENKUlvE_clEvEUlN3c107complexIdEEE_EEvS4_RKT_EUlibE_EEviT1_.private_seg_size, 0
	.set _ZN2at6native32elementwise_kernel_manual_unrollILi128ELi4EZNS0_15gpu_kernel_implIZZZNS0_16sqrt_kernel_cudaERNS_18TensorIteratorBaseEENKUlvE_clEvENKUlvE_clEvEUlN3c107complexIdEEE_EEvS4_RKT_EUlibE_EEviT1_.uses_vcc, 1
	.set _ZN2at6native32elementwise_kernel_manual_unrollILi128ELi4EZNS0_15gpu_kernel_implIZZZNS0_16sqrt_kernel_cudaERNS_18TensorIteratorBaseEENKUlvE_clEvENKUlvE_clEvEUlN3c107complexIdEEE_EEvS4_RKT_EUlibE_EEviT1_.uses_flat_scratch, 0
	.set _ZN2at6native32elementwise_kernel_manual_unrollILi128ELi4EZNS0_15gpu_kernel_implIZZZNS0_16sqrt_kernel_cudaERNS_18TensorIteratorBaseEENKUlvE_clEvENKUlvE_clEvEUlN3c107complexIdEEE_EEvS4_RKT_EUlibE_EEviT1_.has_dyn_sized_stack, 0
	.set _ZN2at6native32elementwise_kernel_manual_unrollILi128ELi4EZNS0_15gpu_kernel_implIZZZNS0_16sqrt_kernel_cudaERNS_18TensorIteratorBaseEENKUlvE_clEvENKUlvE_clEvEUlN3c107complexIdEEE_EEvS4_RKT_EUlibE_EEviT1_.has_recursion, 0
	.set _ZN2at6native32elementwise_kernel_manual_unrollILi128ELi4EZNS0_15gpu_kernel_implIZZZNS0_16sqrt_kernel_cudaERNS_18TensorIteratorBaseEENKUlvE_clEvENKUlvE_clEvEUlN3c107complexIdEEE_EEvS4_RKT_EUlibE_EEviT1_.has_indirect_call, 0
	.section	.AMDGPU.csdata,"",@progbits
; Kernel info:
; codeLenInByte = 48880
; TotalNumSgprs: 54
; NumVgprs: 28
; NumAgprs: 0
; TotalNumVgprs: 28
; ScratchSize: 0
; MemoryBound: 1
; FloatMode: 240
; IeeeMode: 1
; LDSByteSize: 0 bytes/workgroup (compile time only)
; SGPRBlocks: 6
; VGPRBlocks: 3
; NumSGPRsForWavesPerEU: 54
; NumVGPRsForWavesPerEU: 28
; AccumOffset: 28
; Occupancy: 8
; WaveLimiterHint : 0
; COMPUTE_PGM_RSRC2:SCRATCH_EN: 0
; COMPUTE_PGM_RSRC2:USER_SGPR: 2
; COMPUTE_PGM_RSRC2:TRAP_HANDLER: 0
; COMPUTE_PGM_RSRC2:TGID_X_EN: 1
; COMPUTE_PGM_RSRC2:TGID_Y_EN: 0
; COMPUTE_PGM_RSRC2:TGID_Z_EN: 0
; COMPUTE_PGM_RSRC2:TIDIG_COMP_CNT: 0
; COMPUTE_PGM_RSRC3_GFX90A:ACCUM_OFFSET: 6
; COMPUTE_PGM_RSRC3_GFX90A:TG_SPLIT: 0
	.section	.text._ZN2at6native32elementwise_kernel_manual_unrollILi128ELi4EZNS0_15gpu_kernel_implIZZZNS0_16sqrt_kernel_cudaERNS_18TensorIteratorBaseEENKUlvE_clEvENKUlvE_clEvEUlN3c107complexIdEEE_EEvS4_RKT_EUlibE0_EEviT1_,"axG",@progbits,_ZN2at6native32elementwise_kernel_manual_unrollILi128ELi4EZNS0_15gpu_kernel_implIZZZNS0_16sqrt_kernel_cudaERNS_18TensorIteratorBaseEENKUlvE_clEvENKUlvE_clEvEUlN3c107complexIdEEE_EEvS4_RKT_EUlibE0_EEviT1_,comdat
	.globl	_ZN2at6native32elementwise_kernel_manual_unrollILi128ELi4EZNS0_15gpu_kernel_implIZZZNS0_16sqrt_kernel_cudaERNS_18TensorIteratorBaseEENKUlvE_clEvENKUlvE_clEvEUlN3c107complexIdEEE_EEvS4_RKT_EUlibE0_EEviT1_ ; -- Begin function _ZN2at6native32elementwise_kernel_manual_unrollILi128ELi4EZNS0_15gpu_kernel_implIZZZNS0_16sqrt_kernel_cudaERNS_18TensorIteratorBaseEENKUlvE_clEvENKUlvE_clEvEUlN3c107complexIdEEE_EEvS4_RKT_EUlibE0_EEviT1_
	.p2align	8
	.type	_ZN2at6native32elementwise_kernel_manual_unrollILi128ELi4EZNS0_15gpu_kernel_implIZZZNS0_16sqrt_kernel_cudaERNS_18TensorIteratorBaseEENKUlvE_clEvENKUlvE_clEvEUlN3c107complexIdEEE_EEvS4_RKT_EUlibE0_EEviT1_,@function
_ZN2at6native32elementwise_kernel_manual_unrollILi128ELi4EZNS0_15gpu_kernel_implIZZZNS0_16sqrt_kernel_cudaERNS_18TensorIteratorBaseEENKUlvE_clEvENKUlvE_clEvEUlN3c107complexIdEEE_EEvS4_RKT_EUlibE0_EEviT1_: ; @_ZN2at6native32elementwise_kernel_manual_unrollILi128ELi4EZNS0_15gpu_kernel_implIZZZNS0_16sqrt_kernel_cudaERNS_18TensorIteratorBaseEENKUlvE_clEvENKUlvE_clEvEUlN3c107complexIdEEE_EEvS4_RKT_EUlibE0_EEviT1_
; %bb.0:
	s_load_dword s70, s[0:1], 0x0
	s_load_dword s33, s[0:1], 0x8
	s_add_u32 s34, s0, 8
	s_addc_u32 s35, s1, 0
	v_lshl_or_b32 v12, s2, 9, v0
	v_or_b32_e32 v2, 0x180, v12
	s_waitcnt lgkmcnt(0)
	s_add_i32 s72, s33, -1
	s_cmp_gt_u32 s72, 1
	v_cmp_le_i32_e32 vcc, s70, v2
	s_cselect_b64 s[42:43], -1, 0
	s_mov_b64 s[40:41], 0
	s_mov_b64 s[24:25], 0
	s_and_saveexec_b64 s[2:3], vcc
	s_xor_b64 s[44:45], exec, s[2:3]
	s_cbranch_execz .LBB225_1229
; %bb.1:
	v_mov_b32_e32 v0, 0
	global_load_ushort v0, v0, s[34:35] offset:345
	s_load_dwordx4 s[28:31], s[34:35], 0x4
	s_load_dwordx2 s[46:47], s[34:35], 0x14
	s_load_dwordx4 s[24:27], s[34:35], 0xc4
	s_load_dwordx4 s[20:23], s[34:35], 0x148
	s_cmp_lg_u32 s33, 0
	s_cselect_b64 s[52:53], -1, 0
	s_add_u32 s50, s34, 0xc4
	s_addc_u32 s51, s35, 0
	s_min_u32 s75, s72, 15
	s_cmp_gt_u32 s33, 1
	s_cselect_b64 s[48:49], -1, 0
	v_cmp_gt_i32_e32 vcc, s70, v12
	s_mov_b64 s[4:5], -1
	s_mov_b64 s[62:63], 0
	s_mov_b64 s[56:57], 0
	;; [unrolled: 1-line block ×3, first 2 shown]
	s_waitcnt vmcnt(0)
	v_readfirstlane_b32 s73, v0
	s_and_b32 s2, 0xffff, s73
	s_lshr_b32 s74, s2, 8
	s_and_saveexec_b64 s[58:59], vcc
	s_cbranch_execz .LBB225_301
; %bb.2:
	s_andn2_b64 vcc, exec, s[42:43]
	s_cbranch_vccnz .LBB225_8
; %bb.3:
	s_andn2_b64 vcc, exec, s[52:53]
	s_cbranch_vccnz .LBB225_9
; %bb.4:
	s_add_i32 s57, s75, 1
	s_cmp_eq_u32 s72, 2
	s_cbranch_scc1 .LBB225_10
; %bb.5:
	s_and_b32 s56, s57, 28
	s_mov_b32 s60, 0
	v_mov_b32_e32 v6, 0
	v_mov_b32_e32 v0, 0
	s_mov_b64 s[2:3], s[34:35]
	s_mov_b64 s[54:55], s[50:51]
	v_mov_b32_e32 v2, v12
.LBB225_6:                              ; =>This Inner Loop Header: Depth=1
	s_load_dwordx8 s[12:19], s[2:3], 0x4
	s_load_dwordx4 s[36:39], s[2:3], 0x24
	s_load_dwordx8 s[4:11], s[54:55], 0x0
	s_add_u32 s2, s2, 48
	s_addc_u32 s3, s3, 0
	s_waitcnt lgkmcnt(0)
	v_mul_hi_u32 v1, s13, v2
	v_add_u32_e32 v1, v2, v1
	v_lshrrev_b32_e32 v1, s14, v1
	v_mul_lo_u32 v3, v1, s12
	v_mul_hi_u32 v4, s16, v1
	v_sub_u32_e32 v2, v2, v3
	v_add_u32_e32 v3, v1, v4
	v_lshrrev_b32_e32 v3, s17, v3
	v_mul_lo_u32 v5, v3, s15
	v_mul_hi_u32 v7, s19, v3
	v_sub_u32_e32 v1, v1, v5
	v_add_u32_e32 v5, v3, v7
	v_mul_lo_u32 v4, v2, s5
	v_mul_lo_u32 v2, v2, s4
	;; [unrolled: 1-line block ×4, first 2 shown]
	v_lshrrev_b32_e32 v5, s36, v5
	v_add3_u32 v1, v2, v6, v1
	v_add3_u32 v0, v4, v0, v7
	v_mul_lo_u32 v2, v5, s18
	v_mul_hi_u32 v4, s38, v5
	v_sub_u32_e32 v2, v3, v2
	v_add_u32_e32 v3, v5, v4
	v_mul_lo_u32 v4, v2, s8
	v_mul_lo_u32 v6, v2, s9
	v_lshrrev_b32_e32 v2, s39, v3
	s_add_i32 s60, s60, 4
	v_mul_lo_u32 v3, v2, s37
	s_add_u32 s54, s54, 32
	v_sub_u32_e32 v3, v5, v3
	s_addc_u32 s55, s55, 0
	v_mul_lo_u32 v5, v3, s10
	v_mul_lo_u32 v3, v3, s11
	s_cmp_lg_u32 s56, s60
	v_add3_u32 v0, v6, v0, v3
	v_add3_u32 v6, v4, v1, v5
	s_cbranch_scc1 .LBB225_6
; %bb.7:
	v_mov_b32_e32 v1, v0
	s_branch .LBB225_11
.LBB225_8:
                                        ; implicit-def: $vgpr0
                                        ; implicit-def: $vgpr6
	s_branch .LBB225_15
.LBB225_9:
	v_mov_b32_e32 v0, 0
	v_mov_b32_e32 v6, 0
	s_branch .LBB225_14
.LBB225_10:
	v_mov_b32_e32 v6, 0
	s_mov_b32 s56, 0
	v_mov_b32_e32 v1, v6
                                        ; implicit-def: $vgpr0
	v_mov_b32_e32 v2, v12
.LBB225_11:
	s_and_b32 s6, s57, 3
	s_cmp_eq_u32 s6, 0
	s_cbranch_scc1 .LBB225_14
; %bb.12:
	s_lshl_b32 s2, s56, 3
	s_add_u32 s2, s34, s2
	s_addc_u32 s3, s35, 0
	s_add_u32 s2, s2, 0xc4
	s_addc_u32 s3, s3, 0
	s_mul_i32 s4, s56, 12
	s_add_u32 s4, s34, s4
	s_addc_u32 s5, s35, 0
.LBB225_13:                             ; =>This Inner Loop Header: Depth=1
	s_load_dwordx2 s[8:9], s[4:5], 0x4
	s_load_dword s7, s[4:5], 0xc
	s_load_dwordx2 s[10:11], s[2:3], 0x0
	v_mov_b32_e32 v0, v1
	s_add_u32 s4, s4, 12
	s_waitcnt lgkmcnt(0)
	v_mul_hi_u32 v1, s9, v2
	v_add_u32_e32 v1, v2, v1
	v_lshrrev_b32_e32 v1, s7, v1
	s_addc_u32 s5, s5, 0
	v_mul_lo_u32 v3, v1, s8
	s_add_u32 s2, s2, 8
	v_sub_u32_e32 v3, v2, v3
	s_addc_u32 s3, s3, 0
	s_add_i32 s6, s6, -1
	v_mov_b32_e32 v2, v1
	v_mad_u64_u32 v[0:1], s[8:9], v3, s11, v[0:1]
	s_cmp_lg_u32 s6, 0
	v_mad_u64_u32 v[6:7], s[8:9], v3, s10, v[6:7]
	v_mov_b32_e32 v1, v0
	s_cbranch_scc1 .LBB225_13
.LBB225_14:
	s_cbranch_execnz .LBB225_17
.LBB225_15:
	s_waitcnt lgkmcnt(0)
	v_mul_hi_u32 v0, s29, v12
	v_add_u32_e32 v0, v12, v0
	v_lshrrev_b32_e32 v1, s30, v0
	v_mul_lo_u32 v0, v1, s28
	v_sub_u32_e32 v2, v12, v0
	v_mul_lo_u32 v0, v2, s25
	s_andn2_b64 vcc, exec, s[48:49]
	v_mul_lo_u32 v6, v2, s24
	s_cbranch_vccnz .LBB225_17
; %bb.16:
	v_mul_hi_u32 v2, s46, v1
	v_add_u32_e32 v2, v1, v2
	v_lshrrev_b32_e32 v2, s47, v2
	v_mul_lo_u32 v2, v2, s31
	v_sub_u32_e32 v1, v1, v2
	v_mad_u64_u32 v[6:7], s[2:3], v1, s26, v[6:7]
	v_mad_u64_u32 v[0:1], s[2:3], v1, s27, v[0:1]
.LBB225_17:
	v_mov_b32_e32 v1, 0
	s_and_b32 s10, 0xffff, s74
	s_cmp_lt_i32 s10, 11
	s_waitcnt lgkmcnt(0)
	v_lshl_add_u64 v[4:5], s[22:23], 0, v[0:1]
	s_cbranch_scc1 .LBB225_24
; %bb.18:
	s_cmp_gt_i32 s10, 25
	s_cbranch_scc0 .LBB225_38
; %bb.19:
	s_cmp_gt_i32 s10, 28
	s_cbranch_scc0 .LBB225_39
	;; [unrolled: 3-line block ×4, first 2 shown]
; %bb.22:
	s_cmp_eq_u32 s10, 46
	s_mov_b64 s[4:5], 0
	s_cbranch_scc0 .LBB225_72
; %bb.23:
	global_load_dword v0, v[4:5], off
	s_mov_b64 s[2:3], -1
	s_mov_b64 s[6:7], 0
	s_waitcnt vmcnt(0)
	v_and_b32_e32 v2, 0xffff0000, v0
	v_lshlrev_b32_e32 v0, 16, v0
	v_cvt_f64_f32_e32 v[0:1], v0
	v_cvt_f64_f32_e32 v[2:3], v2
	s_branch .LBB225_74
.LBB225_24:
	s_mov_b64 s[6:7], 0
                                        ; implicit-def: $vgpr2_vgpr3
	s_mov_b64 s[2:3], 0
	s_cbranch_execnz .LBB225_249
.LBB225_25:
	s_andn2_b64 vcc, exec, s[2:3]
	s_cbranch_vccnz .LBB225_298
.LBB225_26:
	s_waitcnt vmcnt(0)
	v_cmp_neq_f64_e32 vcc, 0, v[0:1]
	v_cmp_neq_f64_e64 s[2:3], 0, v[2:3]
	v_mov_b64_e32 v[4:5], 0
	s_or_b64 s[2:3], vcc, s[2:3]
	s_and_saveexec_b64 s[8:9], s[2:3]
	s_cbranch_execz .LBB225_60
; %bb.27:
	v_mov_b32_e32 v4, 0
	v_mov_b32_e32 v5, 0x7ff00000
	v_cmp_neq_f64_e64 s[2:3], |v[2:3]|, v[4:5]
	s_and_saveexec_b64 s[10:11], s[2:3]
	s_cbranch_execz .LBB225_59
; %bb.28:
	v_cmp_o_f64_e32 vcc, v[0:1], v[0:1]
                                        ; implicit-def: $vgpr4_vgpr5
	s_and_saveexec_b64 s[2:3], vcc
	s_xor_b64 s[12:13], exec, s[2:3]
	s_cbranch_execz .LBB225_56
; %bb.29:
	s_mov_b32 s2, 0
	s_mov_b32 s3, 0x7ff00000
	v_cmp_neq_f64_e64 s[2:3], |v[0:1]|, s[2:3]
                                        ; implicit-def: $vgpr4_vgpr5
	s_and_saveexec_b64 s[4:5], s[2:3]
	s_xor_b64 s[14:15], exec, s[4:5]
	s_cbranch_execz .LBB225_49
; %bb.30:
	v_max_f64 v[4:5], |v[2:3]|, |v[2:3]|
	v_max_f64 v[8:9], |v[0:1]|, |v[0:1]|
	s_mov_b32 s2, 0x99fcef32
	v_max_f64 v[4:5], v[8:9], v[4:5]
	s_mov_b32 s3, 0x7fda8279
	v_cmp_nle_f64_e64 s[2:3], s[2:3], v[4:5]
                                        ; implicit-def: $sgpr16_sgpr17
	s_and_saveexec_b64 s[4:5], s[2:3]
	s_xor_b64 s[4:5], exec, s[4:5]
	s_cbranch_execz .LBB225_34
; %bb.31:
	s_mov_b32 s16, 0
	s_mov_b32 s17, 0x200000
	v_cmp_le_f64_e64 s[18:19], |v[0:1]|, s[16:17]
	v_cmp_le_f64_e64 s[16:17], |v[2:3]|, s[16:17]
	s_and_b64 s[36:37], s[18:19], s[16:17]
	s_mov_b64 s[16:17], 0
	s_and_saveexec_b64 s[18:19], s[36:37]
; %bb.32:
	s_mov_b64 s[16:17], exec
	v_mul_f64 v[0:1], v[0:1], 4.0
	v_mul_f64 v[2:3], v[2:3], 4.0
; %bb.33:
	s_or_b64 exec, exec, s[18:19]
.LBB225_34:
	s_andn2_saveexec_b64 s[4:5], s[4:5]
; %bb.35:
	v_ldexp_f64 v[0:1], v[0:1], -2
	v_ldexp_f64 v[2:3], v[2:3], -2
	s_andn2_b64 s[16:17], s[16:17], exec
; %bb.36:
	s_or_b64 exec, exec, s[4:5]
	v_max_f64 v[4:5], |v[2:3]|, |v[2:3]|
	v_max_f64 v[8:9], |v[0:1]|, |v[0:1]|
	v_max_f64 v[4:5], v[8:9], v[4:5]
	v_frexp_exp_i32_f64_e32 v7, v[4:5]
	v_sub_u32_e32 v8, 0, v7
	v_ldexp_f64 v[4:5], |v[0:1]|, v8
	v_ldexp_f64 v[8:9], |v[2:3]|, v8
	v_mul_f64 v[8:9], v[8:9], v[8:9]
	v_fmac_f64_e32 v[8:9], v[4:5], v[4:5]
	v_rsq_f64_e32 v[4:5], v[8:9]
	v_cmp_eq_f64_e64 s[4:5], 0, v[8:9]
	s_movk_i32 s18, 0x204
	v_cmp_le_f64_e32 vcc, 0, v[0:1]
	v_mul_f64 v[10:11], v[8:9], v[4:5]
	v_mul_f64 v[4:5], v[4:5], 0.5
	v_fma_f64 v[14:15], -v[4:5], v[10:11], 0.5
	v_fmac_f64_e32 v[10:11], v[10:11], v[14:15]
	v_fmac_f64_e32 v[4:5], v[4:5], v[14:15]
	v_fma_f64 v[14:15], -v[10:11], v[10:11], v[8:9]
	v_fmac_f64_e32 v[10:11], v[14:15], v[4:5]
	v_cndmask_b32_e64 v5, v11, v9, s[4:5]
	v_cndmask_b32_e64 v4, v10, v8, s[4:5]
	v_ldexp_f64 v[4:5], v[4:5], v7
	v_cmp_o_f64_e64 s[4:5], v[2:3], v[2:3]
	v_mov_b32_e32 v7, 0x7ff80000
                                        ; implicit-def: $vgpr8_vgpr9
                                        ; implicit-def: $vgpr10_vgpr11
	s_nop 0
	v_cndmask_b32_e64 v4, 0, v4, s[4:5]
	v_cndmask_b32_e64 v5, v7, v5, s[4:5]
	v_cmp_class_f64_e64 s[4:5], v[0:1], s18
	v_cmp_class_f64_e64 s[18:19], v[2:3], s18
	v_mov_b32_e32 v7, 0x7ff00000
	s_or_b64 s[4:5], s[18:19], s[4:5]
	v_cndmask_b32_e64 v5, v5, v7, s[4:5]
	v_cndmask_b32_e64 v4, v4, 0, s[4:5]
	s_and_saveexec_b64 s[4:5], vcc
	s_xor_b64 s[4:5], exec, s[4:5]
	s_cbranch_execz .LBB225_42
; %bb.37:
	v_add_f64 v[0:1], v[0:1], v[4:5]
	s_mov_b32 s18, 0
	v_mul_f64 v[0:1], v[0:1], 0.5
	s_brev_b32 s19, 8
	v_mov_b32_e32 v4, 0x100
	v_cmp_gt_f64_e32 vcc, s[18:19], v[0:1]
	v_mov_b32_e32 v7, 0x260
	s_nop 0
	v_cndmask_b32_e32 v4, 0, v4, vcc
	v_ldexp_f64 v[0:1], v[0:1], v4
	v_rsq_f64_e32 v[4:5], v[0:1]
	s_nop 0
	v_mul_f64 v[8:9], v[0:1], v[4:5]
	v_mul_f64 v[4:5], v[4:5], 0.5
	v_fma_f64 v[10:11], -v[4:5], v[8:9], 0.5
	v_fmac_f64_e32 v[8:9], v[8:9], v[10:11]
	v_fma_f64 v[14:15], -v[8:9], v[8:9], v[0:1]
	v_fmac_f64_e32 v[4:5], v[4:5], v[10:11]
	v_fmac_f64_e32 v[8:9], v[14:15], v[4:5]
	v_fma_f64 v[10:11], -v[8:9], v[8:9], v[0:1]
	v_fmac_f64_e32 v[8:9], v[10:11], v[4:5]
	v_mov_b32_e32 v4, 0xffffff80
	v_cndmask_b32_e32 v4, 0, v4, vcc
	v_ldexp_f64 v[4:5], v[8:9], v4
	v_cmp_class_f64_e32 vcc, v[0:1], v7
	s_nop 1
	v_cndmask_b32_e32 v11, v5, v1, vcc
	v_cndmask_b32_e32 v10, v4, v0, vcc
	v_add_f64 v[0:1], v[10:11], v[10:11]
	v_div_scale_f64 v[4:5], s[18:19], v[0:1], v[0:1], v[2:3]
	v_rcp_f64_e32 v[8:9], v[4:5]
	s_nop 0
	v_fma_f64 v[14:15], -v[4:5], v[8:9], 1.0
	v_fmac_f64_e32 v[8:9], v[8:9], v[14:15]
	v_fma_f64 v[14:15], -v[4:5], v[8:9], 1.0
	v_fmac_f64_e32 v[8:9], v[8:9], v[14:15]
	v_div_scale_f64 v[14:15], vcc, v[2:3], v[0:1], v[2:3]
	v_mul_f64 v[16:17], v[14:15], v[8:9]
	v_fma_f64 v[4:5], -v[4:5], v[16:17], v[14:15]
	s_nop 1
	v_div_fmas_f64 v[4:5], v[4:5], v[8:9], v[16:17]
	v_div_fixup_f64 v[8:9], v[4:5], v[0:1], v[2:3]
                                        ; implicit-def: $vgpr4_vgpr5
                                        ; implicit-def: $vgpr0_vgpr1
	s_andn2_saveexec_b64 s[4:5], s[4:5]
	s_cbranch_execz .LBB225_44
	s_branch .LBB225_43
.LBB225_38:
	s_mov_b64 s[6:7], 0
	s_mov_b64 s[2:3], 0
                                        ; implicit-def: $vgpr2_vgpr3
	s_cbranch_execnz .LBB225_216
	s_branch .LBB225_248
.LBB225_39:
	s_mov_b64 s[4:5], -1
	s_mov_b64 s[6:7], 0
	s_mov_b64 s[2:3], 0
                                        ; implicit-def: $vgpr2_vgpr3
	s_branch .LBB225_195
.LBB225_40:
	s_mov_b64 s[4:5], -1
	s_mov_b64 s[6:7], 0
	s_mov_b64 s[2:3], 0
                                        ; implicit-def: $vgpr2_vgpr3
	s_branch .LBB225_189
.LBB225_41:
	s_mov_b64 s[4:5], -1
	s_mov_b64 s[6:7], 0
	s_branch .LBB225_73
.LBB225_42:
	s_andn2_saveexec_b64 s[4:5], s[4:5]
	s_cbranch_execz .LBB225_44
.LBB225_43:
	v_add_f64 v[0:1], v[4:5], -v[0:1]
	s_mov_b32 s18, 0
	v_mul_f64 v[0:1], v[0:1], 0.5
	s_brev_b32 s19, 8
	v_mov_b32_e32 v4, 0x100
	v_cmp_gt_f64_e32 vcc, s[18:19], v[0:1]
	v_mov_b32_e32 v7, 0x260
	s_nop 0
	v_cndmask_b32_e32 v4, 0, v4, vcc
	v_ldexp_f64 v[0:1], v[0:1], v4
	v_rsq_f64_e32 v[4:5], v[0:1]
	s_nop 0
	v_mul_f64 v[8:9], v[0:1], v[4:5]
	v_mul_f64 v[4:5], v[4:5], 0.5
	v_fma_f64 v[10:11], -v[4:5], v[8:9], 0.5
	v_fmac_f64_e32 v[8:9], v[8:9], v[10:11]
	v_fma_f64 v[14:15], -v[8:9], v[8:9], v[0:1]
	v_fmac_f64_e32 v[4:5], v[4:5], v[10:11]
	v_fmac_f64_e32 v[8:9], v[14:15], v[4:5]
	v_fma_f64 v[10:11], -v[8:9], v[8:9], v[0:1]
	v_fmac_f64_e32 v[8:9], v[10:11], v[4:5]
	v_mov_b32_e32 v4, 0xffffff80
	v_cndmask_b32_e32 v4, 0, v4, vcc
	v_ldexp_f64 v[4:5], v[8:9], v4
	v_cmp_class_f64_e32 vcc, v[0:1], v7
	s_nop 1
	v_cndmask_b32_e32 v9, v5, v1, vcc
	v_cndmask_b32_e32 v8, v4, v0, vcc
	v_add_f64 v[0:1], v[8:9], v[8:9]
	v_and_b32_e32 v5, 0x7fffffff, v3
	v_mov_b32_e32 v4, v2
	v_div_scale_f64 v[10:11], s[18:19], v[0:1], v[0:1], v[4:5]
	v_rcp_f64_e32 v[14:15], v[10:11]
	v_div_scale_f64 v[4:5], vcc, v[4:5], v[0:1], v[4:5]
	s_brev_b32 s18, -2
	v_fma_f64 v[16:17], -v[10:11], v[14:15], 1.0
	v_fmac_f64_e32 v[14:15], v[14:15], v[16:17]
	v_fma_f64 v[16:17], -v[10:11], v[14:15], 1.0
	v_fmac_f64_e32 v[14:15], v[14:15], v[16:17]
	v_mul_f64 v[16:17], v[4:5], v[14:15]
	v_fma_f64 v[4:5], -v[10:11], v[16:17], v[4:5]
	v_div_fmas_f64 v[4:5], v[4:5], v[14:15], v[16:17]
	v_div_fixup_f64 v[10:11], v[4:5], v[0:1], |v[2:3]|
	v_bfi_b32 v9, s18, v9, v3
.LBB225_44:
	s_or_b64 exec, exec, s[4:5]
                                        ; implicit-def: $vgpr2_vgpr3
                                        ; implicit-def: $vgpr4_vgpr5
	s_and_saveexec_b64 s[4:5], s[2:3]
	s_xor_b64 s[2:3], exec, s[4:5]
	s_cbranch_execz .LBB225_46
; %bb.45:
	v_mul_f64 v[0:1], v[10:11], 0.5
	v_mul_f64 v[2:3], v[8:9], 0.5
	v_cndmask_b32_e64 v5, v11, v1, s[16:17]
	v_cndmask_b32_e64 v4, v10, v0, s[16:17]
	;; [unrolled: 1-line block ×4, first 2 shown]
                                        ; implicit-def: $vgpr10_vgpr11
                                        ; implicit-def: $vgpr8_vgpr9
	s_andn2_saveexec_b64 s[2:3], s[2:3]
	s_cbranch_execnz .LBB225_47
	s_branch .LBB225_48
.LBB225_46:
	s_andn2_saveexec_b64 s[2:3], s[2:3]
.LBB225_47:
	v_add_f64 v[4:5], v[10:11], v[10:11]
	v_add_f64 v[2:3], v[8:9], v[8:9]
.LBB225_48:
	s_or_b64 exec, exec, s[2:3]
.LBB225_49:
	s_andn2_saveexec_b64 s[2:3], s[14:15]
	s_cbranch_execz .LBB225_55
; %bb.50:
	v_add_f64 v[8:9], v[2:3], -v[2:3]
	v_cmp_lt_i64_e32 vcc, -1, v[0:1]
	s_brev_b32 s14, -2
	v_and_b32_e32 v5, 0x7fffffff, v9
	v_mov_b32_e32 v4, v8
	s_and_saveexec_b64 s[4:5], vcc
	s_xor_b64 s[4:5], exec, s[4:5]
; %bb.51:
	v_bfi_b32 v9, s14, v9, v3
	v_mov_b64_e32 v[2:3], v[8:9]
	v_mov_b64_e32 v[4:5], v[0:1]
; %bb.52:
	s_andn2_saveexec_b64 s[4:5], s[4:5]
; %bb.53:
	v_bfi_b32 v1, s14, v1, v3
	v_mov_b64_e32 v[2:3], v[0:1]
; %bb.54:
	s_or_b64 exec, exec, s[4:5]
.LBB225_55:
	s_or_b64 exec, exec, s[2:3]
.LBB225_56:
	s_andn2_saveexec_b64 s[2:3], s[12:13]
	s_cbranch_execz .LBB225_58
; %bb.57:
	v_add_f64 v[2:3], v[2:3], -v[2:3]
	v_div_scale_f64 v[4:5], vcc, v[2:3], v[2:3], v[2:3]
	v_rcp_f64_e32 v[8:9], v[4:5]
	s_nop 0
	v_fma_f64 v[10:11], -v[4:5], v[8:9], 1.0
	v_fmac_f64_e32 v[8:9], v[8:9], v[10:11]
	v_fma_f64 v[10:11], -v[4:5], v[8:9], 1.0
	v_fmac_f64_e32 v[8:9], v[8:9], v[10:11]
	v_mul_f64 v[10:11], v[4:5], v[8:9]
	v_fma_f64 v[4:5], -v[4:5], v[10:11], v[4:5]
	v_div_fmas_f64 v[4:5], v[4:5], v[8:9], v[10:11]
	v_div_fixup_f64 v[2:3], v[4:5], v[2:3], v[2:3]
	v_mov_b64_e32 v[4:5], v[0:1]
.LBB225_58:
	s_or_b64 exec, exec, s[2:3]
.LBB225_59:
	s_or_b64 exec, exec, s[10:11]
.LBB225_60:
	s_or_b64 exec, exec, s[8:9]
	v_mov_b32_e32 v7, 0
	s_and_b32 s12, s73, 0xff
	s_cmp_lt_i32 s12, 11
	v_lshl_add_u64 v[0:1], s[20:21], 0, v[6:7]
	s_cbranch_scc1 .LBB225_67
; %bb.61:
	s_and_b32 s13, 0xffff, s12
	s_cmp_gt_i32 s13, 25
	s_cbranch_scc0 .LBB225_69
; %bb.62:
	s_cmp_gt_i32 s13, 28
	s_cbranch_scc0 .LBB225_70
; %bb.63:
	;; [unrolled: 3-line block ×4, first 2 shown]
	s_mov_b64 s[8:9], 0
	s_mov_b64 s[4:5], -1
	s_cmp_eq_u32 s13, 46
	s_mov_b64 s[2:3], 0
	s_cbranch_scc0 .LBB225_78
; %bb.66:
	v_cvt_f32_f64_e32 v7, v[2:3]
	s_movk_i32 s2, 0x7fff
	v_bfe_u32 v9, v7, 16, 1
	v_cvt_f32_f64_e32 v6, v[4:5]
	v_add3_u32 v9, v7, v9, s2
	v_bfe_u32 v8, v6, 16, 1
	v_and_b32_e32 v9, 0xffff0000, v9
	v_mov_b32_e32 v10, 0x7fc00000
	v_cmp_o_f32_e32 vcc, v7, v7
	v_add3_u32 v8, v6, v8, s2
	s_mov_b64 s[2:3], -1
	v_cndmask_b32_e32 v7, v10, v9, vcc
	v_cmp_o_f32_e32 vcc, v6, v6
	v_mov_b32_e32 v6, 0x7fc0
	s_mov_b64 s[4:5], 0
	v_cndmask_b32_sdwa v6, v6, v8, vcc dst_sel:DWORD dst_unused:UNUSED_PAD src0_sel:DWORD src1_sel:WORD_1
	v_or_b32_e32 v6, v7, v6
	global_store_dword v[0:1], v6, off
	s_branch .LBB225_78
.LBB225_67:
	s_mov_b64 s[4:5], 0
	s_mov_b64 s[2:3], 0
	s_cbranch_execnz .LBB225_147
.LBB225_68:
	s_andn2_b64 vcc, exec, s[2:3]
	s_cbranch_vccnz .LBB225_299
	s_branch .LBB225_185
.LBB225_69:
	s_mov_b64 s[8:9], -1
	s_mov_b64 s[4:5], 0
	s_mov_b64 s[2:3], 0
	s_branch .LBB225_105
.LBB225_70:
	s_mov_b64 s[8:9], -1
	s_mov_b64 s[4:5], 0
	s_mov_b64 s[2:3], 0
	s_branch .LBB225_88
.LBB225_71:
	s_mov_b64 s[8:9], -1
	s_mov_b64 s[4:5], 0
	s_mov_b64 s[2:3], 0
	s_branch .LBB225_84
.LBB225_72:
	s_mov_b64 s[6:7], -1
.LBB225_73:
	s_mov_b64 s[2:3], 0
                                        ; implicit-def: $vgpr2_vgpr3
.LBB225_74:
	s_and_b64 vcc, exec, s[4:5]
	s_cbranch_vccz .LBB225_188
; %bb.75:
	s_cmp_eq_u32 s10, 44
	s_cbranch_scc0 .LBB225_186
; %bb.76:
	global_load_ubyte v2, v[4:5], off
	s_movk_i32 s4, 0xff
	v_bfrev_b32_e32 v3, 4
	v_mov_b32_e32 v7, 0x7ff80000
	v_bfrev_b32_e32 v8, 28
	s_mov_b64 s[2:3], -1
	s_mov_b64 s[6:7], 0
	s_waitcnt vmcnt(0)
	v_lshlrev_b32_e32 v0, 23, v2
	v_cvt_f64_f32_e32 v[0:1], v0
	v_cmp_ne_u32_e32 vcc, s4, v2
	s_nop 1
	v_cndmask_b32_e32 v0, v3, v0, vcc
	v_cndmask_b32_e32 v1, v7, v1, vcc
	v_cmp_ne_u32_e32 vcc, 0, v2
	s_nop 1
	v_cndmask_b32_e32 v1, v8, v1, vcc
	v_cndmask_b32_e32 v0, 0, v0, vcc
	s_branch .LBB225_187
.LBB225_77:
	s_mov_b64 s[8:9], -1
	s_mov_b64 s[4:5], 0
	s_mov_b64 s[2:3], 0
.LBB225_78:
	s_and_b64 vcc, exec, s[8:9]
	s_cbranch_vccz .LBB225_83
; %bb.79:
	s_cmp_eq_u32 s13, 44
	s_mov_b64 s[4:5], -1
	s_cbranch_scc0 .LBB225_83
; %bb.80:
	v_cvt_f32_f64_e32 v6, v[4:5]
	v_bfe_u32 v7, v6, 23, 8
	s_movk_i32 s2, 0xff
	v_cmp_ne_u32_e32 vcc, s2, v7
	v_mov_b32_e32 v8, 0xff
	s_and_saveexec_b64 s[4:5], vcc
; %bb.81:
	s_mov_b32 s2, 0x3fffff
	v_lshrrev_b32_e32 v8, 23, v6
	v_and_b32_e32 v9, 0x400000, v6
	v_and_or_b32 v6, v6, s2, v7
	v_cmp_ne_u32_e32 vcc, 0, v9
	v_cmp_ne_u32_e64 s[2:3], 0, v6
	s_and_b64 s[2:3], vcc, s[2:3]
	s_nop 0
	v_cndmask_b32_e64 v6, 0, 1, s[2:3]
	v_add_u32_e32 v8, v8, v6
; %bb.82:
	s_or_b64 exec, exec, s[4:5]
	s_mov_b64 s[2:3], -1
	s_mov_b64 s[4:5], 0
	global_store_byte v[0:1], v8, off
.LBB225_83:
	s_mov_b64 s[8:9], 0
.LBB225_84:
	s_and_b64 vcc, exec, s[8:9]
	s_cbranch_vccz .LBB225_87
; %bb.85:
	s_cmp_eq_u32 s13, 29
	s_mov_b64 s[4:5], -1
	s_cbranch_scc0 .LBB225_87
; %bb.86:
	v_trunc_f64_e32 v[6:7], v[4:5]
	s_movk_i32 s2, 0xffe0
	v_ldexp_f64 v[8:9], v[6:7], s2
	v_floor_f64_e32 v[8:9], v[8:9]
	v_fmac_f64_e32 v[6:7], 0xc1f00000, v[8:9]
	v_cvt_u32_f64_e32 v11, v[8:9]
	v_cvt_u32_f64_e32 v10, v[6:7]
	global_store_dwordx2 v[0:1], v[10:11], off
	s_mov_b64 s[2:3], -1
	s_mov_b64 s[4:5], 0
.LBB225_87:
	s_mov_b64 s[8:9], 0
.LBB225_88:
	s_and_b64 vcc, exec, s[8:9]
	s_cbranch_vccz .LBB225_104
; %bb.89:
	s_cmp_lt_i32 s13, 27
	s_mov_b64 s[2:3], -1
	s_cbranch_scc1 .LBB225_95
; %bb.90:
	s_cmp_gt_i32 s13, 27
	v_cvt_u32_f64_e32 v6, v[4:5]
	s_cbranch_scc0 .LBB225_92
; %bb.91:
	s_mov_b64 s[2:3], 0
	global_store_dword v[0:1], v6, off
.LBB225_92:
	s_andn2_b64 vcc, exec, s[2:3]
	s_cbranch_vccnz .LBB225_94
; %bb.93:
	global_store_short v[0:1], v6, off
.LBB225_94:
	s_mov_b64 s[2:3], 0
.LBB225_95:
	s_andn2_b64 vcc, exec, s[2:3]
	s_cbranch_vccnz .LBB225_103
; %bb.96:
	v_cvt_f32_f64_e32 v6, v[4:5]
	v_and_b32_e32 v7, 0x7fffffff, v6
	s_mov_b32 s2, 0x43800000
	v_cmp_gt_u32_e32 vcc, s2, v7
	v_mov_b32_e32 v8, 0x80
	s_and_saveexec_b64 s[2:3], vcc
	s_cbranch_execz .LBB225_102
; %bb.97:
	s_mov_b32 s8, 0x3bffffff
	v_cmp_lt_u32_e32 vcc, s8, v7
	s_mov_b64 s[8:9], 0
                                        ; implicit-def: $vgpr7
	s_and_saveexec_b64 s[10:11], vcc
	s_xor_b64 s[10:11], exec, s[10:11]
	s_cbranch_execz .LBB225_345
; %bb.98:
	v_bfe_u32 v7, v6, 20, 1
	s_mov_b32 s14, 0x487ffff
	v_add3_u32 v7, v6, v7, s14
	s_mov_b64 s[8:9], exec
	v_lshrrev_b32_e32 v7, 20, v7
	s_andn2_saveexec_b64 s[10:11], s[10:11]
	s_cbranch_execnz .LBB225_346
.LBB225_99:
	s_or_b64 exec, exec, s[10:11]
	v_mov_b32_e32 v8, 0
	s_and_saveexec_b64 s[10:11], s[8:9]
.LBB225_100:
	v_lshrrev_b32_e32 v6, 24, v6
	s_movk_i32 s8, 0x80
	v_and_or_b32 v8, v6, s8, v7
.LBB225_101:
	s_or_b64 exec, exec, s[10:11]
.LBB225_102:
	s_or_b64 exec, exec, s[2:3]
	global_store_byte v[0:1], v8, off
.LBB225_103:
	s_mov_b64 s[2:3], -1
.LBB225_104:
	s_mov_b64 s[8:9], 0
.LBB225_105:
	s_and_b64 vcc, exec, s[8:9]
	s_cbranch_vccz .LBB225_146
; %bb.106:
	s_cmp_gt_i32 s13, 22
	s_mov_b64 s[8:9], -1
	s_cbranch_scc0 .LBB225_138
; %bb.107:
	s_cmp_lt_i32 s13, 24
	s_mov_b64 s[2:3], -1
	s_cbranch_scc1 .LBB225_127
; %bb.108:
	s_cmp_gt_i32 s13, 24
	s_cbranch_scc0 .LBB225_116
; %bb.109:
	v_cvt_f32_f64_e32 v6, v[4:5]
	v_and_b32_e32 v7, 0x7fffffff, v6
	s_mov_b32 s2, 0x47800000
	v_cmp_gt_u32_e32 vcc, s2, v7
	v_mov_b32_e32 v8, 0x80
	s_and_saveexec_b64 s[2:3], vcc
	s_cbranch_execz .LBB225_115
; %bb.110:
	s_mov_b32 s8, 0x37ffffff
	v_cmp_lt_u32_e32 vcc, s8, v7
	s_mov_b64 s[8:9], 0
                                        ; implicit-def: $vgpr7
	s_and_saveexec_b64 s[10:11], vcc
	s_xor_b64 s[10:11], exec, s[10:11]
	s_cbranch_execz .LBB225_377
; %bb.111:
	v_bfe_u32 v7, v6, 21, 1
	s_mov_b32 s14, 0x88fffff
	v_add3_u32 v7, v6, v7, s14
	s_mov_b64 s[8:9], exec
	v_lshrrev_b32_e32 v7, 21, v7
	s_andn2_saveexec_b64 s[10:11], s[10:11]
	s_cbranch_execnz .LBB225_378
.LBB225_112:
	s_or_b64 exec, exec, s[10:11]
	v_mov_b32_e32 v8, 0
	s_and_saveexec_b64 s[10:11], s[8:9]
.LBB225_113:
	v_lshrrev_b32_e32 v6, 24, v6
	s_movk_i32 s8, 0x80
	v_and_or_b32 v8, v6, s8, v7
.LBB225_114:
	s_or_b64 exec, exec, s[10:11]
.LBB225_115:
	s_or_b64 exec, exec, s[2:3]
	s_mov_b64 s[2:3], 0
	global_store_byte v[0:1], v8, off
.LBB225_116:
	s_and_b64 vcc, exec, s[2:3]
	s_cbranch_vccz .LBB225_126
; %bb.117:
	v_cvt_f32_f64_e32 v6, v[4:5]
	v_and_b32_e32 v8, 0x7fffffff, v6
	s_mov_b32 s2, 0x43f00000
	v_cmp_gt_u32_e32 vcc, s2, v8
                                        ; implicit-def: $vgpr7
	s_and_saveexec_b64 s[2:3], vcc
	s_xor_b64 s[2:3], exec, s[2:3]
	s_cbranch_execz .LBB225_123
; %bb.118:
	s_mov_b32 s8, 0x3c7fffff
	v_cmp_lt_u32_e32 vcc, s8, v8
                                        ; implicit-def: $vgpr7
	s_and_saveexec_b64 s[8:9], vcc
	s_xor_b64 s[8:9], exec, s[8:9]
; %bb.119:
	v_bfe_u32 v7, v6, 20, 1
	s_mov_b32 s10, 0x407ffff
	v_add3_u32 v7, v6, v7, s10
	v_lshrrev_b32_e32 v8, 20, v7
	v_and_b32_e32 v7, 0xff00000, v7
	s_mov_b32 s10, 0x7f00000
	v_mov_b32_e32 v9, 0x7e
	v_cmp_ne_u32_e32 vcc, s10, v7
	s_nop 1
	v_cndmask_b32_e32 v7, v9, v8, vcc
; %bb.120:
	s_andn2_saveexec_b64 s[8:9], s[8:9]
; %bb.121:
	s_mov_b32 s10, 0x46800000
	v_add_f32_e64 v7, |v6|, s10
; %bb.122:
	s_or_b64 exec, exec, s[8:9]
                                        ; implicit-def: $vgpr8
.LBB225_123:
	s_andn2_saveexec_b64 s[2:3], s[2:3]
; %bb.124:
	s_mov_b32 s8, 0x7f800000
	v_mov_b32_e32 v7, 0x7e
	v_mov_b32_e32 v9, 0x7f
	v_cmp_lt_u32_e32 vcc, s8, v8
	s_nop 1
	v_cndmask_b32_e32 v7, v7, v9, vcc
; %bb.125:
	s_or_b64 exec, exec, s[2:3]
	v_lshrrev_b32_e32 v6, 24, v6
	s_movk_i32 s2, 0x80
	v_and_or_b32 v6, v6, s2, v7
	global_store_byte v[0:1], v6, off
.LBB225_126:
	s_mov_b64 s[2:3], 0
.LBB225_127:
	s_andn2_b64 vcc, exec, s[2:3]
	s_cbranch_vccnz .LBB225_137
; %bb.128:
	v_cvt_f32_f64_e32 v6, v[4:5]
	v_and_b32_e32 v8, 0x7fffffff, v6
	s_mov_b32 s2, 0x47800000
	v_cmp_gt_u32_e32 vcc, s2, v8
                                        ; implicit-def: $vgpr7
	s_and_saveexec_b64 s[2:3], vcc
	s_xor_b64 s[2:3], exec, s[2:3]
	s_cbranch_execz .LBB225_134
; %bb.129:
	s_mov_b32 s8, 0x387fffff
	v_cmp_lt_u32_e32 vcc, s8, v8
                                        ; implicit-def: $vgpr7
	s_and_saveexec_b64 s[8:9], vcc
	s_xor_b64 s[8:9], exec, s[8:9]
; %bb.130:
	v_bfe_u32 v7, v6, 21, 1
	s_mov_b32 s10, 0x80fffff
	v_add3_u32 v7, v6, v7, s10
	v_lshrrev_b32_e32 v7, 21, v7
; %bb.131:
	s_andn2_saveexec_b64 s[8:9], s[8:9]
; %bb.132:
	s_mov_b32 s10, 0x43000000
	v_add_f32_e64 v7, |v6|, s10
; %bb.133:
	s_or_b64 exec, exec, s[8:9]
                                        ; implicit-def: $vgpr8
.LBB225_134:
	s_andn2_saveexec_b64 s[2:3], s[2:3]
; %bb.135:
	s_mov_b32 s8, 0x7f800000
	v_mov_b32_e32 v7, 0x7c
	v_mov_b32_e32 v9, 0x7f
	v_cmp_lt_u32_e32 vcc, s8, v8
	s_nop 1
	v_cndmask_b32_e32 v7, v7, v9, vcc
; %bb.136:
	s_or_b64 exec, exec, s[2:3]
	v_lshrrev_b32_e32 v6, 24, v6
	s_movk_i32 s2, 0x80
	v_and_or_b32 v6, v6, s2, v7
	global_store_byte v[0:1], v6, off
.LBB225_137:
	s_mov_b64 s[8:9], 0
	s_mov_b64 s[2:3], -1
.LBB225_138:
	s_andn2_b64 vcc, exec, s[8:9]
	s_cbranch_vccnz .LBB225_146
; %bb.139:
	s_cmp_gt_i32 s13, 14
	s_mov_b64 s[8:9], -1
	s_cbranch_scc0 .LBB225_143
; %bb.140:
	s_cmp_eq_u32 s13, 15
	s_mov_b64 s[4:5], -1
	s_cbranch_scc0 .LBB225_142
; %bb.141:
	v_cvt_f32_f64_e32 v6, v[4:5]
	v_bfe_u32 v7, v6, 16, 1
	s_movk_i32 s2, 0x7fff
	v_add3_u32 v7, v6, v7, s2
	v_cmp_o_f32_e32 vcc, v6, v6
	v_mov_b32_e32 v6, 0x7fc0
	s_mov_b64 s[2:3], -1
	v_cndmask_b32_sdwa v6, v6, v7, vcc dst_sel:DWORD dst_unused:UNUSED_PAD src0_sel:DWORD src1_sel:WORD_1
	global_store_short v[0:1], v6, off
	s_mov_b64 s[4:5], 0
.LBB225_142:
	s_mov_b64 s[8:9], 0
.LBB225_143:
	s_and_b64 vcc, exec, s[8:9]
	s_cbranch_vccz .LBB225_146
; %bb.144:
	s_cmp_eq_u32 s13, 11
	s_mov_b64 s[4:5], -1
	s_cbranch_scc0 .LBB225_146
; %bb.145:
	v_cmp_neq_f64_e32 vcc, 0, v[4:5]
	v_cmp_neq_f64_e64 s[2:3], 0, v[2:3]
	s_or_b64 s[2:3], vcc, s[2:3]
	s_mov_b64 s[4:5], 0
	v_cndmask_b32_e64 v6, 0, 1, s[2:3]
	s_mov_b64 s[2:3], -1
	global_store_byte v[0:1], v6, off
.LBB225_146:
	s_branch .LBB225_68
.LBB225_147:
	s_and_b32 s8, 0xffff, s12
	s_cmp_lt_i32 s8, 5
	s_mov_b64 s[2:3], -1
	s_cbranch_scc1 .LBB225_168
; %bb.148:
	s_cmp_lt_i32 s8, 8
	s_cbranch_scc1 .LBB225_158
; %bb.149:
	s_cmp_lt_i32 s8, 9
	s_cbranch_scc1 .LBB225_155
; %bb.150:
	s_cmp_gt_i32 s8, 9
	s_cbranch_scc0 .LBB225_152
; %bb.151:
	v_mov_b32_e32 v6, v2
	v_mov_b32_e32 v7, v3
	global_store_dwordx4 v[0:1], v[4:7], off
	s_mov_b64 s[2:3], 0
.LBB225_152:
	s_andn2_b64 vcc, exec, s[2:3]
	s_cbranch_vccnz .LBB225_154
; %bb.153:
	v_cvt_f32_f64_e32 v6, v[4:5]
	v_cvt_f32_f64_e32 v7, v[2:3]
	global_store_dwordx2 v[0:1], v[6:7], off
.LBB225_154:
	s_mov_b64 s[2:3], 0
.LBB225_155:
	s_andn2_b64 vcc, exec, s[2:3]
	s_cbranch_vccnz .LBB225_157
; %bb.156:
	s_movk_i32 s2, 0x1ff
	v_and_or_b32 v6, v5, s2, v4
	v_cmp_ne_u32_e32 vcc, 0, v6
	v_lshrrev_b32_e32 v7, 8, v5
	s_movk_i32 s3, 0xffe
	v_cndmask_b32_e64 v6, 0, 1, vcc
	v_bfe_u32 v8, v5, 20, 11
	v_and_or_b32 v6, v7, s3, v6
	v_sub_u32_e32 v9, 0x3f1, v8
	v_or_b32_e32 v7, 0x1000, v6
	v_med3_i32 v9, v9, 0, 13
	v_lshrrev_b32_e32 v10, v9, v7
	v_lshlrev_b32_e32 v9, v9, v10
	v_cmp_ne_u32_e32 vcc, v9, v7
	v_add_u32_e32 v8, 0xfffffc10, v8
	v_lshl_or_b32 v9, v8, 12, v6
	v_cndmask_b32_e64 v7, 0, 1, vcc
	v_or_b32_e32 v7, v10, v7
	v_cmp_gt_i32_e32 vcc, 1, v8
	s_movk_i32 s9, 0x40f
	v_and_or_b32 v2, v3, s2, v2
	v_cndmask_b32_e32 v7, v9, v7, vcc
	v_and_b32_e32 v9, 7, v7
	v_cmp_lt_i32_e32 vcc, 5, v9
	v_lshrrev_b32_e32 v7, 2, v7
	v_bfe_u32 v11, v3, 20, 11
	v_cndmask_b32_e64 v10, 0, 1, vcc
	v_cmp_eq_u32_e32 vcc, 3, v9
	v_sub_u32_e32 v13, 0x3f1, v11
	v_med3_i32 v13, v13, 0, 13
	v_cndmask_b32_e64 v9, 0, 1, vcc
	v_or_b32_e32 v9, v9, v10
	v_add_u32_e32 v7, v7, v9
	v_mov_b32_e32 v9, 0x7c00
	v_cmp_gt_i32_e32 vcc, 31, v8
	v_mov_b32_e32 v10, 0x7e00
	v_add_u32_e32 v11, 0xfffffc10, v11
	v_cndmask_b32_e32 v7, v9, v7, vcc
	v_cmp_ne_u32_e32 vcc, 0, v6
	s_mov_b32 s10, 0x8000
	s_mov_b32 s2, 0xffff
	v_cndmask_b32_e32 v6, v9, v10, vcc
	v_cmp_eq_u32_e32 vcc, s9, v8
	v_lshrrev_b32_e32 v8, 8, v3
	v_lshrrev_b32_e32 v3, 16, v3
	v_cndmask_b32_e32 v6, v7, v6, vcc
	v_cmp_ne_u32_e32 vcc, 0, v2
	v_and_b32_sdwa v7, v5, s10 dst_sel:DWORD dst_unused:UNUSED_PAD src0_sel:WORD_1 src1_sel:DWORD
	s_nop 0
	v_cndmask_b32_e64 v2, 0, 1, vcc
	v_and_or_b32 v2, v8, s3, v2
	v_or_b32_e32 v8, 0x1000, v2
	v_lshrrev_b32_e32 v14, v13, v8
	v_lshlrev_b32_e32 v13, v13, v14
	v_cmp_ne_u32_e32 vcc, v13, v8
	v_lshl_or_b32 v13, v11, 12, v2
	s_nop 0
	v_cndmask_b32_e64 v8, 0, 1, vcc
	v_or_b32_e32 v8, v14, v8
	v_cmp_gt_i32_e32 vcc, 1, v11
	s_nop 1
	v_cndmask_b32_e32 v8, v13, v8, vcc
	v_and_b32_e32 v13, 7, v8
	v_cmp_lt_i32_e32 vcc, 5, v13
	v_lshrrev_b32_e32 v8, 2, v8
	s_nop 0
	v_cndmask_b32_e64 v14, 0, 1, vcc
	v_cmp_eq_u32_e32 vcc, 3, v13
	s_nop 1
	v_cndmask_b32_e64 v13, 0, 1, vcc
	v_or_b32_e32 v13, v13, v14
	v_add_u32_e32 v8, v8, v13
	v_cmp_gt_i32_e32 vcc, 31, v11
	s_nop 1
	v_cndmask_b32_e32 v8, v9, v8, vcc
	v_cmp_ne_u32_e32 vcc, 0, v2
	s_nop 1
	v_cndmask_b32_e32 v2, v9, v10, vcc
	v_cmp_eq_u32_e32 vcc, s9, v11
	s_nop 1
	v_cndmask_b32_e32 v2, v8, v2, vcc
	v_and_or_b32 v2, v3, s10, v2
	v_bitop3_b32 v3, v7, s2, v6 bitop3:0xc8
	v_lshl_or_b32 v2, v2, 16, v3
	global_store_dword v[0:1], v2, off
.LBB225_157:
	s_mov_b64 s[2:3], 0
.LBB225_158:
	s_andn2_b64 vcc, exec, s[2:3]
	s_cbranch_vccnz .LBB225_167
; %bb.159:
	s_cmp_lt_i32 s8, 6
	s_mov_b64 s[2:3], -1
	s_cbranch_scc1 .LBB225_165
; %bb.160:
	s_cmp_gt_i32 s8, 6
	s_cbranch_scc0 .LBB225_162
; %bb.161:
	global_store_dwordx2 v[0:1], v[4:5], off
	s_mov_b64 s[2:3], 0
.LBB225_162:
	s_andn2_b64 vcc, exec, s[2:3]
	s_cbranch_vccnz .LBB225_164
; %bb.163:
	v_cvt_f32_f64_e32 v2, v[4:5]
	global_store_dword v[0:1], v2, off
.LBB225_164:
	s_mov_b64 s[2:3], 0
.LBB225_165:
	s_andn2_b64 vcc, exec, s[2:3]
	s_cbranch_vccnz .LBB225_167
; %bb.166:
	s_movk_i32 s2, 0x1ff
	v_and_or_b32 v2, v5, s2, v4
	v_cmp_ne_u32_e32 vcc, 0, v2
	v_lshrrev_b32_e32 v3, 8, v5
	s_movk_i32 s2, 0xffe
	v_cndmask_b32_e64 v2, 0, 1, vcc
	v_bfe_u32 v6, v5, 20, 11
	v_and_or_b32 v2, v3, s2, v2
	v_sub_u32_e32 v7, 0x3f1, v6
	v_or_b32_e32 v3, 0x1000, v2
	v_med3_i32 v7, v7, 0, 13
	v_lshrrev_b32_e32 v8, v7, v3
	v_lshlrev_b32_e32 v7, v7, v8
	v_cmp_ne_u32_e32 vcc, v7, v3
	v_add_u32_e32 v6, 0xfffffc10, v6
	v_lshl_or_b32 v7, v6, 12, v2
	v_cndmask_b32_e64 v3, 0, 1, vcc
	v_or_b32_e32 v3, v8, v3
	v_cmp_gt_i32_e32 vcc, 1, v6
	s_movk_i32 s2, 0x40f
	s_nop 0
	v_cndmask_b32_e32 v3, v7, v3, vcc
	v_and_b32_e32 v7, 7, v3
	v_cmp_lt_i32_e32 vcc, 5, v7
	v_lshrrev_b32_e32 v3, 2, v3
	s_nop 0
	v_cndmask_b32_e64 v8, 0, 1, vcc
	v_cmp_eq_u32_e32 vcc, 3, v7
	s_nop 1
	v_cndmask_b32_e64 v7, 0, 1, vcc
	v_or_b32_e32 v7, v7, v8
	v_add_u32_e32 v3, v3, v7
	v_mov_b32_e32 v7, 0x7c00
	v_cmp_gt_i32_e32 vcc, 31, v6
	v_mov_b32_e32 v8, 0x7e00
	s_nop 0
	v_cndmask_b32_e32 v3, v7, v3, vcc
	v_cmp_ne_u32_e32 vcc, 0, v2
	s_nop 1
	v_cndmask_b32_e32 v2, v7, v8, vcc
	v_cmp_eq_u32_e32 vcc, s2, v6
	s_mov_b32 s2, 0x8000
	s_nop 0
	v_cndmask_b32_e32 v2, v3, v2, vcc
	v_lshrrev_b32_e32 v3, 16, v5
	v_and_or_b32 v2, v3, s2, v2
	global_store_short v[0:1], v2, off
.LBB225_167:
	s_mov_b64 s[2:3], 0
.LBB225_168:
	s_andn2_b64 vcc, exec, s[2:3]
	s_cbranch_vccnz .LBB225_184
; %bb.169:
	s_cmp_lt_i32 s8, 2
	s_mov_b64 s[2:3], -1
	s_cbranch_scc1 .LBB225_179
; %bb.170:
	s_cmp_lt_i32 s8, 3
	s_cbranch_scc1 .LBB225_176
; %bb.171:
	s_cmp_gt_i32 s8, 3
	s_cbranch_scc0 .LBB225_173
; %bb.172:
	v_trunc_f64_e32 v[2:3], v[4:5]
	s_movk_i32 s2, 0xffe0
	v_ldexp_f64 v[6:7], v[2:3], s2
	v_floor_f64_e32 v[6:7], v[6:7]
	v_fmac_f64_e32 v[2:3], 0xc1f00000, v[6:7]
	v_cvt_i32_f64_e32 v9, v[6:7]
	v_cvt_u32_f64_e32 v8, v[2:3]
	global_store_dwordx2 v[0:1], v[8:9], off
	s_mov_b64 s[2:3], 0
.LBB225_173:
	s_andn2_b64 vcc, exec, s[2:3]
	s_cbranch_vccnz .LBB225_175
; %bb.174:
	v_cvt_i32_f64_e32 v2, v[4:5]
	global_store_dword v[0:1], v2, off
.LBB225_175:
	s_mov_b64 s[2:3], 0
.LBB225_176:
	s_andn2_b64 vcc, exec, s[2:3]
	s_cbranch_vccnz .LBB225_178
; %bb.177:
	v_cvt_i32_f64_e32 v2, v[4:5]
	global_store_short v[0:1], v2, off
.LBB225_178:
	s_mov_b64 s[2:3], 0
.LBB225_179:
	s_andn2_b64 vcc, exec, s[2:3]
	s_cbranch_vccnz .LBB225_184
; %bb.180:
	s_cmp_gt_i32 s8, 0
	s_mov_b64 s[2:3], -1
	s_cbranch_scc0 .LBB225_182
; %bb.181:
	v_cvt_i32_f64_e32 v2, v[4:5]
	global_store_byte v[0:1], v2, off
	s_mov_b64 s[2:3], 0
.LBB225_182:
	s_andn2_b64 vcc, exec, s[2:3]
	s_cbranch_vccnz .LBB225_184
; %bb.183:
	v_trunc_f64_e32 v[2:3], v[4:5]
	s_movk_i32 s2, 0xffe0
	v_ldexp_f64 v[4:5], v[2:3], s2
	v_floor_f64_e32 v[4:5], v[4:5]
	v_fmac_f64_e32 v[2:3], 0xc1f00000, v[4:5]
	v_cvt_u32_f64_e32 v2, v[2:3]
	global_store_byte v[0:1], v2, off
.LBB225_184:
.LBB225_185:
	v_add_u32_e32 v12, 0x80, v12
	s_mov_b64 s[2:3], -1
	s_branch .LBB225_300
.LBB225_186:
	s_mov_b64 s[6:7], -1
                                        ; implicit-def: $vgpr0_vgpr1
.LBB225_187:
	v_mov_b64_e32 v[2:3], 0
.LBB225_188:
	s_mov_b64 s[4:5], 0
.LBB225_189:
	s_and_b64 vcc, exec, s[4:5]
	s_cbranch_vccz .LBB225_194
; %bb.190:
	s_cmp_eq_u32 s10, 29
	s_cbranch_scc0 .LBB225_192
; %bb.191:
	global_load_dwordx2 v[0:1], v[4:5], off
	s_mov_b64 s[2:3], -1
	s_mov_b64 s[6:7], 0
	s_waitcnt vmcnt(0)
	v_cvt_f64_u32_e32 v[2:3], v1
	v_cvt_f64_u32_e32 v[0:1], v0
	v_ldexp_f64 v[2:3], v[2:3], 32
	v_add_f64 v[0:1], v[2:3], v[0:1]
	s_branch .LBB225_193
.LBB225_192:
	s_mov_b64 s[6:7], -1
                                        ; implicit-def: $vgpr0_vgpr1
.LBB225_193:
	v_mov_b64_e32 v[2:3], 0
.LBB225_194:
	s_mov_b64 s[4:5], 0
.LBB225_195:
	s_and_b64 vcc, exec, s[4:5]
	s_cbranch_vccz .LBB225_215
; %bb.196:
	s_cmp_lt_i32 s10, 27
	s_cbranch_scc1 .LBB225_199
; %bb.197:
	s_cmp_gt_i32 s10, 27
	s_cbranch_scc0 .LBB225_200
; %bb.198:
	global_load_dword v0, v[4:5], off
	s_mov_b64 s[2:3], 0
	s_waitcnt vmcnt(0)
	v_cvt_f64_u32_e32 v[0:1], v0
	s_branch .LBB225_201
.LBB225_199:
	s_mov_b64 s[2:3], -1
                                        ; implicit-def: $vgpr0_vgpr1
	s_branch .LBB225_204
.LBB225_200:
	s_mov_b64 s[2:3], -1
                                        ; implicit-def: $vgpr0_vgpr1
.LBB225_201:
	s_andn2_b64 vcc, exec, s[2:3]
	s_cbranch_vccnz .LBB225_203
; %bb.202:
	global_load_ushort v0, v[4:5], off
	s_waitcnt vmcnt(0)
	v_cvt_f64_u32_e32 v[0:1], v0
.LBB225_203:
	s_mov_b64 s[2:3], 0
.LBB225_204:
	s_andn2_b64 vcc, exec, s[2:3]
	s_cbranch_vccnz .LBB225_214
; %bb.205:
	global_load_ubyte v2, v[4:5], off
	s_movk_i32 s2, 0x7f
	s_waitcnt vmcnt(0)
	v_cmp_lt_i16_e32 vcc, s2, v2
	s_mov_b64 s[2:3], 0
	s_and_saveexec_b64 s[4:5], vcc
	s_xor_b64 s[4:5], exec, s[4:5]
	s_cbranch_execz .LBB225_209
; %bb.206:
	s_movk_i32 s2, 0x80
	v_cmp_eq_u16_e32 vcc, s2, v2
	s_mov_b64 s[2:3], -1
	s_and_saveexec_b64 s[8:9], vcc
; %bb.207:
	s_xor_b64 s[2:3], exec, -1
; %bb.208:
	s_or_b64 exec, exec, s[8:9]
	s_and_b64 s[2:3], s[2:3], exec
.LBB225_209:
	s_or_saveexec_b64 s[4:5], s[4:5]
	v_bfrev_b32_e32 v0, 4
	v_mov_b32_e32 v1, 0x7ff80000
	s_xor_b64 exec, exec, s[4:5]
; %bb.210:
	v_cmp_ne_u16_e32 vcc, 0, v2
	s_andn2_b64 s[2:3], s[2:3], exec
	s_and_b64 s[8:9], vcc, exec
	v_mov_b64_e32 v[0:1], 0
	s_or_b64 s[2:3], s[2:3], s[8:9]
; %bb.211:
	s_or_b64 exec, exec, s[4:5]
	s_and_saveexec_b64 s[4:5], s[2:3]
	s_cbranch_execz .LBB225_213
; %bb.212:
	v_and_b32_e32 v1, 0xffff, v2
	v_lshlrev_b32_e32 v0, 24, v2
	v_and_b32_e32 v2, 7, v1
	v_ffbh_u32_e32 v7, v2
	v_min_u32_e32 v7, 32, v7
	v_subrev_u32_e32 v8, 28, v7
	v_bfe_u32 v3, v1, 3, 4
	v_lshlrev_b32_e32 v1, v8, v1
	v_sub_u32_e32 v7, 29, v7
	v_and_b32_e32 v1, 7, v1
	v_cmp_eq_u32_e32 vcc, 0, v3
	v_and_b32_e32 v0, 0x80000000, v0
	s_nop 0
	v_cndmask_b32_e32 v3, v3, v7, vcc
	v_cndmask_b32_e32 v1, v2, v1, vcc
	v_mov_b32_e32 v2, 0x3b800000
	v_lshlrev_b32_e32 v1, 20, v1
	v_lshl_add_u32 v2, v3, 23, v2
	v_or3_b32 v0, v0, v2, v1
	v_cvt_f64_f32_e32 v[0:1], v0
.LBB225_213:
	s_or_b64 exec, exec, s[4:5]
.LBB225_214:
	s_mov_b64 s[2:3], -1
	v_mov_b64_e32 v[2:3], 0
.LBB225_215:
	s_branch .LBB225_248
.LBB225_216:
	s_cmp_gt_i32 s10, 22
	s_cbranch_scc0 .LBB225_228
; %bb.217:
	s_cmp_lt_i32 s10, 24
	s_cbranch_scc1 .LBB225_229
; %bb.218:
	s_cmp_gt_i32 s10, 24
	s_cbranch_scc0 .LBB225_230
; %bb.219:
	global_load_ubyte v2, v[4:5], off
	s_movk_i32 s2, 0x7f
	s_waitcnt vmcnt(0)
	v_cmp_lt_i16_e32 vcc, s2, v2
	s_mov_b64 s[2:3], 0
	s_and_saveexec_b64 s[4:5], vcc
	s_xor_b64 s[4:5], exec, s[4:5]
	s_cbranch_execz .LBB225_223
; %bb.220:
	s_movk_i32 s2, 0x80
	v_cmp_eq_u16_e32 vcc, s2, v2
	s_mov_b64 s[2:3], -1
	s_and_saveexec_b64 s[8:9], vcc
; %bb.221:
	s_xor_b64 s[2:3], exec, -1
; %bb.222:
	s_or_b64 exec, exec, s[8:9]
	s_and_b64 s[2:3], s[2:3], exec
.LBB225_223:
	s_or_saveexec_b64 s[4:5], s[4:5]
	v_bfrev_b32_e32 v0, 4
	v_mov_b32_e32 v1, 0x7ff80000
	s_xor_b64 exec, exec, s[4:5]
; %bb.224:
	v_cmp_ne_u16_e32 vcc, 0, v2
	s_andn2_b64 s[2:3], s[2:3], exec
	s_and_b64 s[8:9], vcc, exec
	v_mov_b64_e32 v[0:1], 0
	s_or_b64 s[2:3], s[2:3], s[8:9]
; %bb.225:
	s_or_b64 exec, exec, s[4:5]
	s_and_saveexec_b64 s[4:5], s[2:3]
	s_cbranch_execz .LBB225_227
; %bb.226:
	v_and_b32_e32 v1, 0xffff, v2
	v_lshlrev_b32_e32 v0, 24, v2
	v_and_b32_e32 v2, 3, v1
	v_ffbh_u32_e32 v7, v2
	v_min_u32_e32 v7, 32, v7
	v_subrev_u32_e32 v8, 29, v7
	v_bfe_u32 v3, v1, 2, 5
	v_lshlrev_b32_e32 v1, v8, v1
	v_sub_u32_e32 v7, 30, v7
	v_and_b32_e32 v1, 3, v1
	v_cmp_eq_u32_e32 vcc, 0, v3
	v_and_b32_e32 v0, 0x80000000, v0
	s_nop 0
	v_cndmask_b32_e32 v3, v3, v7, vcc
	v_cndmask_b32_e32 v1, v2, v1, vcc
	v_mov_b32_e32 v2, 0x37800000
	v_lshlrev_b32_e32 v1, 21, v1
	v_lshl_add_u32 v2, v3, 23, v2
	v_or3_b32 v0, v0, v2, v1
	v_cvt_f64_f32_e32 v[0:1], v0
.LBB225_227:
	s_or_b64 exec, exec, s[4:5]
	s_mov_b64 s[2:3], 0
	s_branch .LBB225_231
.LBB225_228:
                                        ; implicit-def: $vgpr0_vgpr1
	s_branch .LBB225_237
.LBB225_229:
	s_mov_b64 s[2:3], -1
                                        ; implicit-def: $vgpr0_vgpr1
	s_branch .LBB225_234
.LBB225_230:
	s_mov_b64 s[2:3], -1
                                        ; implicit-def: $vgpr0_vgpr1
.LBB225_231:
	s_and_b64 vcc, exec, s[2:3]
	s_cbranch_vccz .LBB225_233
; %bb.232:
	global_load_ubyte v0, v[4:5], off
	s_mov_b32 s2, 0x7f800000
	s_waitcnt vmcnt(0)
	v_lshlrev_b32_e32 v0, 24, v0
	v_and_b32_e32 v1, 0x7f000000, v0
	v_ffbh_u32_e32 v2, v1
	v_min_u32_e32 v2, 32, v2
	v_sub_u32_e64 v2, v2, 4 clamp
	v_lshlrev_b32_e32 v7, v2, v1
	v_lshlrev_b32_e32 v2, 23, v2
	v_lshrrev_b32_e32 v7, 4, v7
	v_add_u32_e32 v3, 0x1000000, v1
	v_sub_u32_e32 v2, v7, v2
	v_ashrrev_i32_e32 v3, 8, v3
	v_add_u32_e32 v2, 0x3c000000, v2
	v_and_or_b32 v2, v3, s2, v2
	v_cmp_ne_u32_e32 vcc, 0, v1
	s_brev_b32 s2, 1
	s_nop 0
	v_cndmask_b32_e32 v1, 0, v2, vcc
	v_and_or_b32 v0, v0, s2, v1
	v_cvt_f64_f32_e32 v[0:1], v0
.LBB225_233:
	s_mov_b64 s[2:3], 0
.LBB225_234:
	s_andn2_b64 vcc, exec, s[2:3]
	s_cbranch_vccnz .LBB225_236
; %bb.235:
	global_load_ubyte v0, v[4:5], off
	s_movk_i32 s2, 0x7f00
	s_brev_b32 s3, 16
	s_waitcnt vmcnt(0)
	v_lshlrev_b16_e32 v1, 8, v0
	v_lshlrev_b32_e32 v0, 25, v0
	v_lshrrev_b32_e32 v2, 4, v0
	v_and_or_b32 v3, v1, s2, 0.5
	v_or_b32_e32 v2, 0x70000000, v2
	v_add_f32_e32 v3, -0.5, v3
	v_mul_f32_e32 v2, 0x7800000, v2
	v_cmp_gt_u32_e32 vcc, s3, v0
	v_bfe_i32 v1, v1, 0, 16
	s_brev_b32 s2, 1
	v_cndmask_b32_e32 v0, v2, v3, vcc
	v_and_or_b32 v0, v1, s2, v0
	v_cvt_f64_f32_e32 v[0:1], v0
.LBB225_236:
	s_mov_b64 s[2:3], -1
	s_cbranch_execnz .LBB225_247
.LBB225_237:
	s_cmp_gt_i32 s10, 14
	s_cbranch_scc0 .LBB225_240
; %bb.238:
	s_cmp_eq_u32 s10, 15
	s_cbranch_scc0 .LBB225_241
; %bb.239:
	global_load_ushort v0, v[4:5], off
	s_mov_b64 s[2:3], -1
	s_mov_b64 s[6:7], 0
	s_waitcnt vmcnt(0)
	v_lshlrev_b32_e32 v0, 16, v0
	v_cvt_f64_f32_e32 v[0:1], v0
	s_branch .LBB225_242
.LBB225_240:
	s_mov_b64 s[4:5], -1
                                        ; implicit-def: $vgpr0_vgpr1
	s_branch .LBB225_243
.LBB225_241:
	s_mov_b64 s[6:7], -1
                                        ; implicit-def: $vgpr0_vgpr1
.LBB225_242:
	s_mov_b64 s[4:5], 0
.LBB225_243:
	s_and_b64 vcc, exec, s[4:5]
	s_cbranch_vccz .LBB225_247
; %bb.244:
	s_cmp_eq_u32 s10, 11
	s_cbranch_scc0 .LBB225_246
; %bb.245:
	global_load_ubyte v1, v[4:5], off
	v_mov_b32_e32 v2, 0x3ff00000
	v_mov_b32_e32 v0, 0
	s_mov_b64 s[2:3], -1
	s_mov_b64 s[6:7], 0
	s_waitcnt vmcnt(0)
	v_cmp_ne_u16_e32 vcc, 0, v1
	s_nop 1
	v_cndmask_b32_e32 v1, 0, v2, vcc
	s_branch .LBB225_247
.LBB225_246:
	s_mov_b64 s[6:7], -1
                                        ; implicit-def: $vgpr0_vgpr1
.LBB225_247:
	v_mov_b64_e32 v[2:3], 0
.LBB225_248:
	s_branch .LBB225_25
.LBB225_249:
	s_cmp_lt_i32 s10, 5
	s_cbranch_scc1 .LBB225_254
; %bb.250:
	s_cmp_lt_i32 s10, 8
	s_cbranch_scc1 .LBB225_255
; %bb.251:
	;; [unrolled: 3-line block ×3, first 2 shown]
	s_cmp_gt_i32 s10, 9
	s_cbranch_scc0 .LBB225_257
; %bb.253:
	global_load_dwordx4 v[0:3], v[4:5], off
	s_mov_b64 s[2:3], 0
	s_branch .LBB225_258
.LBB225_254:
                                        ; implicit-def: $vgpr2_vgpr3
	s_branch .LBB225_277
.LBB225_255:
	s_mov_b64 s[2:3], -1
                                        ; implicit-def: $vgpr2_vgpr3
	s_branch .LBB225_264
.LBB225_256:
	s_mov_b64 s[2:3], -1
                                        ; implicit-def: $vgpr2_vgpr3
	s_branch .LBB225_261
.LBB225_257:
	s_mov_b64 s[2:3], -1
                                        ; implicit-def: $vgpr2_vgpr3
.LBB225_258:
	s_andn2_b64 vcc, exec, s[2:3]
	s_cbranch_vccnz .LBB225_260
; %bb.259:
	global_load_dwordx2 v[2:3], v[4:5], off
	s_waitcnt vmcnt(0)
	v_cvt_f64_f32_e32 v[0:1], v2
	v_cvt_f64_f32_e32 v[2:3], v3
.LBB225_260:
	s_mov_b64 s[2:3], 0
.LBB225_261:
	s_andn2_b64 vcc, exec, s[2:3]
	s_cbranch_vccnz .LBB225_263
; %bb.262:
	global_load_dword v0, v[4:5], off
	s_waitcnt vmcnt(0)
	v_cvt_f32_f16_e32 v1, v0
	v_cvt_f32_f16_sdwa v2, v0 dst_sel:DWORD dst_unused:UNUSED_PAD src0_sel:WORD_1
	v_cvt_f64_f32_e32 v[0:1], v1
	v_cvt_f64_f32_e32 v[2:3], v2
.LBB225_263:
	s_mov_b64 s[2:3], 0
.LBB225_264:
	s_andn2_b64 vcc, exec, s[2:3]
	s_cbranch_vccnz .LBB225_276
; %bb.265:
	s_cmp_lt_i32 s10, 6
	s_cbranch_scc1 .LBB225_268
; %bb.266:
	s_cmp_gt_i32 s10, 6
	s_cbranch_scc0 .LBB225_269
; %bb.267:
	global_load_dwordx2 v[0:1], v[4:5], off
	s_mov_b64 s[2:3], 0
	s_branch .LBB225_270
.LBB225_268:
	s_mov_b64 s[2:3], -1
                                        ; implicit-def: $vgpr0_vgpr1
	s_branch .LBB225_273
.LBB225_269:
	s_mov_b64 s[2:3], -1
                                        ; implicit-def: $vgpr0_vgpr1
.LBB225_270:
	s_andn2_b64 vcc, exec, s[2:3]
	s_cbranch_vccnz .LBB225_272
; %bb.271:
	global_load_dword v0, v[4:5], off
	s_waitcnt vmcnt(0)
	v_cvt_f64_f32_e32 v[0:1], v0
.LBB225_272:
	s_mov_b64 s[2:3], 0
.LBB225_273:
	s_andn2_b64 vcc, exec, s[2:3]
	s_cbranch_vccnz .LBB225_275
; %bb.274:
	global_load_ushort v0, v[4:5], off
	s_waitcnt vmcnt(0)
	v_cvt_f32_f16_e32 v0, v0
	v_cvt_f64_f32_e32 v[0:1], v0
.LBB225_275:
	s_waitcnt vmcnt(0)
	v_mov_b64_e32 v[2:3], 0
.LBB225_276:
	s_cbranch_execnz .LBB225_297
.LBB225_277:
	s_cmp_lt_i32 s10, 2
	s_cbranch_scc1 .LBB225_281
; %bb.278:
	s_cmp_lt_i32 s10, 3
	s_cbranch_scc1 .LBB225_282
; %bb.279:
	s_cmp_gt_i32 s10, 3
	s_cbranch_scc0 .LBB225_283
; %bb.280:
	global_load_dwordx2 v[0:1], v[4:5], off
	s_mov_b64 s[2:3], 0
	s_waitcnt vmcnt(0)
	v_cvt_f64_i32_e32 v[2:3], v1
	v_cvt_f64_u32_e32 v[0:1], v0
	v_ldexp_f64 v[2:3], v[2:3], 32
	v_add_f64 v[0:1], v[2:3], v[0:1]
	s_branch .LBB225_284
.LBB225_281:
	s_mov_b64 s[2:3], -1
                                        ; implicit-def: $vgpr0_vgpr1
	s_branch .LBB225_290
.LBB225_282:
	s_mov_b64 s[2:3], -1
                                        ; implicit-def: $vgpr0_vgpr1
	s_branch .LBB225_287
.LBB225_283:
	s_mov_b64 s[2:3], -1
                                        ; implicit-def: $vgpr0_vgpr1
.LBB225_284:
	s_andn2_b64 vcc, exec, s[2:3]
	s_cbranch_vccnz .LBB225_286
; %bb.285:
	global_load_dword v0, v[4:5], off
	s_waitcnt vmcnt(0)
	v_cvt_f64_i32_e32 v[0:1], v0
.LBB225_286:
	s_mov_b64 s[2:3], 0
.LBB225_287:
	s_andn2_b64 vcc, exec, s[2:3]
	s_cbranch_vccnz .LBB225_289
; %bb.288:
	global_load_sshort v0, v[4:5], off
	s_waitcnt vmcnt(0)
	v_cvt_f64_i32_e32 v[0:1], v0
.LBB225_289:
	s_mov_b64 s[2:3], 0
.LBB225_290:
	s_andn2_b64 vcc, exec, s[2:3]
	s_cbranch_vccnz .LBB225_296
; %bb.291:
	s_cmp_gt_i32 s10, 0
	s_cbranch_scc0 .LBB225_293
; %bb.292:
	global_load_sbyte v0, v[4:5], off
	s_mov_b64 s[2:3], 0
	s_waitcnt vmcnt(0)
	v_cvt_f64_i32_e32 v[0:1], v0
	s_branch .LBB225_294
.LBB225_293:
	s_mov_b64 s[2:3], -1
                                        ; implicit-def: $vgpr0_vgpr1
.LBB225_294:
	s_andn2_b64 vcc, exec, s[2:3]
	s_cbranch_vccnz .LBB225_296
; %bb.295:
	global_load_ubyte v0, v[4:5], off
	s_waitcnt vmcnt(0)
	v_cvt_f64_u32_e32 v[0:1], v0
.LBB225_296:
	s_waitcnt vmcnt(0)
	v_mov_b64_e32 v[2:3], 0
.LBB225_297:
	s_branch .LBB225_26
.LBB225_298:
	s_mov_b64 s[4:5], 0
.LBB225_299:
	s_mov_b64 s[2:3], 0
                                        ; implicit-def: $vgpr12
.LBB225_300:
	s_and_b64 s[54:55], s[4:5], exec
	s_and_b64 s[56:57], s[6:7], exec
	s_orn2_b64 s[4:5], s[2:3], exec
.LBB225_301:
	s_or_b64 exec, exec, s[58:59]
	s_mov_b64 s[8:9], 0
	s_mov_b64 s[2:3], 0
                                        ; implicit-def: $vgpr4_vgpr5
                                        ; implicit-def: $vgpr6
                                        ; implicit-def: $vgpr2_vgpr3
	s_and_saveexec_b64 s[58:59], s[4:5]
	s_cbranch_execz .LBB225_309
; %bb.302:
	v_cmp_gt_i32_e32 vcc, s70, v12
	s_mov_b64 s[2:3], -1
	s_mov_b64 s[60:61], s[56:57]
	s_mov_b64 s[62:63], s[54:55]
	s_and_saveexec_b64 s[64:65], vcc
	s_cbranch_execz .LBB225_613
; %bb.303:
	s_andn2_b64 vcc, exec, s[42:43]
	s_cbranch_vccnz .LBB225_312
; %bb.304:
	s_andn2_b64 vcc, exec, s[52:53]
	s_cbranch_vccnz .LBB225_313
; %bb.305:
	s_add_i32 s63, s75, 1
	s_cmp_eq_u32 s72, 2
	s_cbranch_scc1 .LBB225_314
; %bb.306:
	s_and_b32 s62, s63, 28
	s_mov_b32 s66, 0
	v_mov_b32_e32 v6, 0
	s_waitcnt vmcnt(0)
	v_mov_b32_e32 v0, 0
	s_mov_b64 s[2:3], s[34:35]
	s_mov_b64 s[60:61], s[50:51]
	v_mov_b32_e32 v2, v12
.LBB225_307:                            ; =>This Inner Loop Header: Depth=1
	s_load_dwordx8 s[12:19], s[2:3], 0x4
	s_load_dwordx4 s[36:39], s[2:3], 0x24
	s_load_dwordx8 s[4:11], s[60:61], 0x0
	s_add_u32 s2, s2, 48
	s_addc_u32 s3, s3, 0
	s_waitcnt lgkmcnt(0)
	v_mul_hi_u32 v1, s13, v2
	v_add_u32_e32 v1, v2, v1
	v_lshrrev_b32_e32 v1, s14, v1
	v_mul_lo_u32 v3, v1, s12
	v_mul_hi_u32 v4, s16, v1
	v_sub_u32_e32 v2, v2, v3
	v_add_u32_e32 v3, v1, v4
	v_lshrrev_b32_e32 v3, s17, v3
	v_mul_lo_u32 v5, v3, s15
	v_mul_hi_u32 v7, s19, v3
	v_sub_u32_e32 v1, v1, v5
	v_add_u32_e32 v5, v3, v7
	v_mul_lo_u32 v4, v2, s5
	v_mul_lo_u32 v2, v2, s4
	;; [unrolled: 1-line block ×4, first 2 shown]
	v_lshrrev_b32_e32 v5, s36, v5
	v_add3_u32 v1, v2, v6, v1
	v_add3_u32 v0, v4, v0, v7
	v_mul_lo_u32 v2, v5, s18
	v_mul_hi_u32 v4, s38, v5
	v_sub_u32_e32 v2, v3, v2
	v_add_u32_e32 v3, v5, v4
	v_mul_lo_u32 v4, v2, s8
	v_mul_lo_u32 v6, v2, s9
	v_lshrrev_b32_e32 v2, s39, v3
	s_add_i32 s66, s66, 4
	v_mul_lo_u32 v3, v2, s37
	s_add_u32 s60, s60, 32
	v_sub_u32_e32 v3, v5, v3
	s_addc_u32 s61, s61, 0
	v_mul_lo_u32 v5, v3, s10
	v_mul_lo_u32 v3, v3, s11
	s_cmp_eq_u32 s62, s66
	v_add3_u32 v0, v6, v0, v3
	v_add3_u32 v6, v4, v1, v5
	s_cbranch_scc0 .LBB225_307
; %bb.308:
	v_mov_b32_e32 v1, v0
	s_branch .LBB225_315
.LBB225_309:
	s_or_b64 exec, exec, s[58:59]
	s_mov_b64 s[6:7], 0
	s_and_saveexec_b64 s[4:5], s[56:57]
	s_cbranch_execnz .LBB225_1029
.LBB225_310:
	s_or_b64 exec, exec, s[4:5]
	s_and_saveexec_b64 s[4:5], s[62:63]
	s_xor_b64 s[4:5], exec, s[4:5]
	s_cbranch_execz .LBB225_1030
.LBB225_311:
	global_load_ubyte v1, v[4:5], off
	v_mov_b32_e32 v7, 0x3ff00000
	s_waitcnt vmcnt(1)
	v_mov_b32_e32 v0, 0
	v_mov_b64_e32 v[2:3], 0
	s_or_b64 s[2:3], s[2:3], exec
	s_waitcnt vmcnt(0)
	v_cmp_ne_u16_e32 vcc, 0, v1
	s_nop 1
	v_cndmask_b32_e32 v1, 0, v7, vcc
	s_or_b64 exec, exec, s[4:5]
	s_and_saveexec_b64 s[4:5], s[8:9]
	s_cbranch_execz .LBB225_1078
	s_branch .LBB225_1031
.LBB225_312:
                                        ; implicit-def: $vgpr0
                                        ; implicit-def: $vgpr6
	s_andn2_b64 vcc, exec, s[2:3]
	s_cbranch_vccz .LBB225_319
	s_branch .LBB225_321
.LBB225_313:
	s_waitcnt vmcnt(0)
	v_mov_b32_e32 v0, 0
	v_mov_b32_e32 v6, 0
	s_branch .LBB225_318
.LBB225_314:
	v_mov_b32_e32 v6, 0
	s_mov_b32 s62, 0
	s_waitcnt vmcnt(0)
	v_mov_b32_e32 v1, v6
                                        ; implicit-def: $vgpr0
	v_mov_b32_e32 v2, v12
.LBB225_315:
	s_and_b32 s6, s63, 3
	s_cmp_eq_u32 s6, 0
	s_cbranch_scc1 .LBB225_318
; %bb.316:
	s_lshl_b32 s2, s62, 3
	s_add_u32 s2, s34, s2
	s_addc_u32 s3, s35, 0
	s_add_u32 s2, s2, 0xc4
	s_addc_u32 s3, s3, 0
	s_mul_i32 s4, s62, 12
	s_add_u32 s4, s34, s4
	s_addc_u32 s5, s35, 0
.LBB225_317:                            ; =>This Inner Loop Header: Depth=1
	s_load_dwordx2 s[8:9], s[4:5], 0x4
	s_load_dword s7, s[4:5], 0xc
	s_load_dwordx2 s[10:11], s[2:3], 0x0
	v_mov_b32_e32 v0, v1
	s_add_u32 s4, s4, 12
	s_waitcnt lgkmcnt(0)
	v_mul_hi_u32 v1, s9, v2
	v_add_u32_e32 v1, v2, v1
	v_lshrrev_b32_e32 v1, s7, v1
	s_addc_u32 s5, s5, 0
	v_mul_lo_u32 v3, v1, s8
	s_add_u32 s2, s2, 8
	v_sub_u32_e32 v3, v2, v3
	s_addc_u32 s3, s3, 0
	s_add_i32 s6, s6, -1
	v_mov_b32_e32 v2, v1
	v_mad_u64_u32 v[0:1], s[8:9], v3, s11, v[0:1]
	s_cmp_lg_u32 s6, 0
	v_mad_u64_u32 v[6:7], s[8:9], v3, s10, v[6:7]
	v_mov_b32_e32 v1, v0
	s_cbranch_scc1 .LBB225_317
.LBB225_318:
	s_cbranch_execnz .LBB225_321
.LBB225_319:
	s_waitcnt vmcnt(0) lgkmcnt(0)
	v_mul_hi_u32 v0, s29, v12
	v_add_u32_e32 v0, v12, v0
	v_lshrrev_b32_e32 v1, s30, v0
	v_mul_lo_u32 v0, v1, s28
	v_sub_u32_e32 v2, v12, v0
	v_mul_lo_u32 v0, v2, s25
	s_andn2_b64 vcc, exec, s[48:49]
	v_mul_lo_u32 v6, v2, s24
	s_cbranch_vccnz .LBB225_321
; %bb.320:
	v_mul_hi_u32 v2, s46, v1
	v_add_u32_e32 v2, v1, v2
	v_lshrrev_b32_e32 v2, s47, v2
	v_mul_lo_u32 v2, v2, s31
	v_sub_u32_e32 v1, v1, v2
	v_mad_u64_u32 v[6:7], s[2:3], v1, s26, v[6:7]
	v_mad_u64_u32 v[0:1], s[2:3], v1, s27, v[0:1]
.LBB225_321:
	s_waitcnt vmcnt(0)
	v_mov_b32_e32 v1, 0
	s_and_b32 s10, 0xffff, s74
	s_cmp_lt_i32 s10, 11
	s_waitcnt lgkmcnt(0)
	v_lshl_add_u64 v[4:5], s[22:23], 0, v[0:1]
	s_cbranch_scc1 .LBB225_328
; %bb.322:
	s_cmp_gt_i32 s10, 25
	s_cbranch_scc0 .LBB225_342
; %bb.323:
	s_cmp_gt_i32 s10, 28
	s_cbranch_scc0 .LBB225_343
	;; [unrolled: 3-line block ×4, first 2 shown]
; %bb.326:
	s_cmp_eq_u32 s10, 46
	s_mov_b64 s[4:5], 0
	s_cbranch_scc0 .LBB225_379
; %bb.327:
	global_load_dword v0, v[4:5], off
	s_mov_b64 s[2:3], -1
	s_mov_b64 s[6:7], 0
	s_waitcnt vmcnt(0)
	v_and_b32_e32 v2, 0xffff0000, v0
	v_lshlrev_b32_e32 v0, 16, v0
	v_cvt_f64_f32_e32 v[0:1], v0
	v_cvt_f64_f32_e32 v[2:3], v2
	s_branch .LBB225_380
.LBB225_328:
	s_mov_b64 s[2:3], 0
                                        ; implicit-def: $vgpr2_vgpr3
	s_mov_b64 s[6:7], s[56:57]
	s_cbranch_execnz .LBB225_560
.LBB225_329:
	s_andn2_b64 vcc, exec, s[2:3]
	s_cbranch_vccnz .LBB225_610
.LBB225_330:
	s_waitcnt vmcnt(0)
	v_cmp_neq_f64_e32 vcc, 0, v[0:1]
	v_cmp_neq_f64_e64 s[2:3], 0, v[2:3]
	v_mov_b64_e32 v[4:5], 0
	s_or_b64 s[2:3], vcc, s[2:3]
	s_and_saveexec_b64 s[8:9], s[2:3]
	s_cbranch_execz .LBB225_366
; %bb.331:
	v_mov_b32_e32 v4, 0
	v_mov_b32_e32 v5, 0x7ff00000
	v_cmp_neq_f64_e64 s[2:3], |v[2:3]|, v[4:5]
	s_and_saveexec_b64 s[10:11], s[2:3]
	s_cbranch_execz .LBB225_365
; %bb.332:
	v_cmp_o_f64_e32 vcc, v[0:1], v[0:1]
                                        ; implicit-def: $vgpr4_vgpr5
	s_and_saveexec_b64 s[2:3], vcc
	s_xor_b64 s[12:13], exec, s[2:3]
	s_cbranch_execz .LBB225_362
; %bb.333:
	s_mov_b32 s2, 0
	s_mov_b32 s3, 0x7ff00000
	v_cmp_neq_f64_e64 s[2:3], |v[0:1]|, s[2:3]
                                        ; implicit-def: $vgpr4_vgpr5
	s_and_saveexec_b64 s[4:5], s[2:3]
	s_xor_b64 s[14:15], exec, s[4:5]
	s_cbranch_execz .LBB225_355
; %bb.334:
	v_max_f64 v[4:5], |v[2:3]|, |v[2:3]|
	v_max_f64 v[8:9], |v[0:1]|, |v[0:1]|
	s_mov_b32 s2, 0x99fcef32
	v_max_f64 v[4:5], v[8:9], v[4:5]
	s_mov_b32 s3, 0x7fda8279
	v_cmp_nle_f64_e64 s[2:3], s[2:3], v[4:5]
                                        ; implicit-def: $sgpr16_sgpr17
	s_and_saveexec_b64 s[4:5], s[2:3]
	s_xor_b64 s[4:5], exec, s[4:5]
	s_cbranch_execz .LBB225_338
; %bb.335:
	s_mov_b32 s16, 0
	s_mov_b32 s17, 0x200000
	v_cmp_le_f64_e64 s[18:19], |v[0:1]|, s[16:17]
	v_cmp_le_f64_e64 s[16:17], |v[2:3]|, s[16:17]
	s_and_b64 s[36:37], s[18:19], s[16:17]
	s_mov_b64 s[16:17], 0
	s_and_saveexec_b64 s[18:19], s[36:37]
; %bb.336:
	s_mov_b64 s[16:17], exec
	v_mul_f64 v[0:1], v[0:1], 4.0
	v_mul_f64 v[2:3], v[2:3], 4.0
; %bb.337:
	s_or_b64 exec, exec, s[18:19]
.LBB225_338:
	s_andn2_saveexec_b64 s[4:5], s[4:5]
; %bb.339:
	v_ldexp_f64 v[0:1], v[0:1], -2
	v_ldexp_f64 v[2:3], v[2:3], -2
	s_andn2_b64 s[16:17], s[16:17], exec
; %bb.340:
	s_or_b64 exec, exec, s[4:5]
	v_max_f64 v[4:5], |v[2:3]|, |v[2:3]|
	v_max_f64 v[8:9], |v[0:1]|, |v[0:1]|
	v_max_f64 v[4:5], v[8:9], v[4:5]
	v_frexp_exp_i32_f64_e32 v7, v[4:5]
	v_sub_u32_e32 v8, 0, v7
	v_ldexp_f64 v[4:5], |v[0:1]|, v8
	v_ldexp_f64 v[8:9], |v[2:3]|, v8
	v_mul_f64 v[8:9], v[8:9], v[8:9]
	v_fmac_f64_e32 v[8:9], v[4:5], v[4:5]
	v_rsq_f64_e32 v[4:5], v[8:9]
	v_cmp_eq_f64_e64 s[4:5], 0, v[8:9]
	s_movk_i32 s18, 0x204
	v_cmp_le_f64_e32 vcc, 0, v[0:1]
	v_mul_f64 v[10:11], v[8:9], v[4:5]
	v_mul_f64 v[4:5], v[4:5], 0.5
	v_fma_f64 v[14:15], -v[4:5], v[10:11], 0.5
	v_fmac_f64_e32 v[10:11], v[10:11], v[14:15]
	v_fmac_f64_e32 v[4:5], v[4:5], v[14:15]
	v_fma_f64 v[14:15], -v[10:11], v[10:11], v[8:9]
	v_fmac_f64_e32 v[10:11], v[14:15], v[4:5]
	v_cndmask_b32_e64 v5, v11, v9, s[4:5]
	v_cndmask_b32_e64 v4, v10, v8, s[4:5]
	v_ldexp_f64 v[4:5], v[4:5], v7
	v_cmp_o_f64_e64 s[4:5], v[2:3], v[2:3]
	v_mov_b32_e32 v7, 0x7ff80000
                                        ; implicit-def: $vgpr8_vgpr9
                                        ; implicit-def: $vgpr10_vgpr11
	s_nop 0
	v_cndmask_b32_e64 v4, 0, v4, s[4:5]
	v_cndmask_b32_e64 v5, v7, v5, s[4:5]
	v_cmp_class_f64_e64 s[4:5], v[0:1], s18
	v_cmp_class_f64_e64 s[18:19], v[2:3], s18
	v_mov_b32_e32 v7, 0x7ff00000
	s_or_b64 s[4:5], s[18:19], s[4:5]
	v_cndmask_b32_e64 v5, v5, v7, s[4:5]
	v_cndmask_b32_e64 v4, v4, 0, s[4:5]
	s_and_saveexec_b64 s[4:5], vcc
	s_xor_b64 s[4:5], exec, s[4:5]
	s_cbranch_execz .LBB225_348
; %bb.341:
	v_add_f64 v[0:1], v[0:1], v[4:5]
	s_mov_b32 s18, 0
	v_mul_f64 v[0:1], v[0:1], 0.5
	s_brev_b32 s19, 8
	v_mov_b32_e32 v4, 0x100
	v_cmp_gt_f64_e32 vcc, s[18:19], v[0:1]
	v_mov_b32_e32 v7, 0x260
	s_nop 0
	v_cndmask_b32_e32 v4, 0, v4, vcc
	v_ldexp_f64 v[0:1], v[0:1], v4
	v_rsq_f64_e32 v[4:5], v[0:1]
	s_nop 0
	v_mul_f64 v[8:9], v[0:1], v[4:5]
	v_mul_f64 v[4:5], v[4:5], 0.5
	v_fma_f64 v[10:11], -v[4:5], v[8:9], 0.5
	v_fmac_f64_e32 v[8:9], v[8:9], v[10:11]
	v_fma_f64 v[14:15], -v[8:9], v[8:9], v[0:1]
	v_fmac_f64_e32 v[4:5], v[4:5], v[10:11]
	v_fmac_f64_e32 v[8:9], v[14:15], v[4:5]
	v_fma_f64 v[10:11], -v[8:9], v[8:9], v[0:1]
	v_fmac_f64_e32 v[8:9], v[10:11], v[4:5]
	v_mov_b32_e32 v4, 0xffffff80
	v_cndmask_b32_e32 v4, 0, v4, vcc
	v_ldexp_f64 v[4:5], v[8:9], v4
	v_cmp_class_f64_e32 vcc, v[0:1], v7
	s_nop 1
	v_cndmask_b32_e32 v11, v5, v1, vcc
	v_cndmask_b32_e32 v10, v4, v0, vcc
	v_add_f64 v[0:1], v[10:11], v[10:11]
	v_div_scale_f64 v[4:5], s[18:19], v[0:1], v[0:1], v[2:3]
	v_rcp_f64_e32 v[8:9], v[4:5]
	s_nop 0
	v_fma_f64 v[14:15], -v[4:5], v[8:9], 1.0
	v_fmac_f64_e32 v[8:9], v[8:9], v[14:15]
	v_fma_f64 v[14:15], -v[4:5], v[8:9], 1.0
	v_fmac_f64_e32 v[8:9], v[8:9], v[14:15]
	v_div_scale_f64 v[14:15], vcc, v[2:3], v[0:1], v[2:3]
	v_mul_f64 v[16:17], v[14:15], v[8:9]
	v_fma_f64 v[4:5], -v[4:5], v[16:17], v[14:15]
	s_nop 1
	v_div_fmas_f64 v[4:5], v[4:5], v[8:9], v[16:17]
	v_div_fixup_f64 v[8:9], v[4:5], v[0:1], v[2:3]
                                        ; implicit-def: $vgpr4_vgpr5
                                        ; implicit-def: $vgpr0_vgpr1
	s_andn2_saveexec_b64 s[4:5], s[4:5]
	s_cbranch_execz .LBB225_350
	s_branch .LBB225_349
.LBB225_342:
	s_mov_b64 s[4:5], -1
	s_mov_b64 s[2:3], 0
	s_mov_b64 s[6:7], s[56:57]
                                        ; implicit-def: $vgpr2_vgpr3
	s_branch .LBB225_525
.LBB225_343:
	s_mov_b64 s[4:5], -1
	s_mov_b64 s[2:3], 0
	s_mov_b64 s[6:7], s[56:57]
                                        ; implicit-def: $vgpr2_vgpr3
	s_branch .LBB225_504
.LBB225_344:
	s_mov_b64 s[4:5], -1
	s_mov_b64 s[2:3], 0
	s_mov_b64 s[6:7], s[56:57]
                                        ; implicit-def: $vgpr2_vgpr3
	s_branch .LBB225_498
.LBB225_345:
	s_andn2_saveexec_b64 s[10:11], s[10:11]
	s_cbranch_execz .LBB225_99
.LBB225_346:
	s_mov_b32 s14, 0x46000000
	v_add_f32_e64 v7, |v6|, s14
	v_and_b32_e32 v7, 0xff, v7
	v_cmp_ne_u32_e32 vcc, 0, v7
	s_andn2_b64 s[8:9], s[8:9], exec
	s_and_b64 s[14:15], vcc, exec
	s_or_b64 s[8:9], s[8:9], s[14:15]
	s_or_b64 exec, exec, s[10:11]
	v_mov_b32_e32 v8, 0
	s_and_saveexec_b64 s[10:11], s[8:9]
	s_cbranch_execnz .LBB225_100
	s_branch .LBB225_101
.LBB225_347:
	s_mov_b64 s[4:5], -1
	s_mov_b64 s[2:3], 0
	s_mov_b64 s[6:7], s[56:57]
                                        ; implicit-def: $vgpr2_vgpr3
	s_branch .LBB225_380
.LBB225_348:
	s_andn2_saveexec_b64 s[4:5], s[4:5]
	s_cbranch_execz .LBB225_350
.LBB225_349:
	v_add_f64 v[0:1], v[4:5], -v[0:1]
	s_mov_b32 s18, 0
	v_mul_f64 v[0:1], v[0:1], 0.5
	s_brev_b32 s19, 8
	v_mov_b32_e32 v4, 0x100
	v_cmp_gt_f64_e32 vcc, s[18:19], v[0:1]
	v_mov_b32_e32 v7, 0x260
	s_nop 0
	v_cndmask_b32_e32 v4, 0, v4, vcc
	v_ldexp_f64 v[0:1], v[0:1], v4
	v_rsq_f64_e32 v[4:5], v[0:1]
	s_nop 0
	v_mul_f64 v[8:9], v[0:1], v[4:5]
	v_mul_f64 v[4:5], v[4:5], 0.5
	v_fma_f64 v[10:11], -v[4:5], v[8:9], 0.5
	v_fmac_f64_e32 v[8:9], v[8:9], v[10:11]
	v_fma_f64 v[14:15], -v[8:9], v[8:9], v[0:1]
	v_fmac_f64_e32 v[4:5], v[4:5], v[10:11]
	v_fmac_f64_e32 v[8:9], v[14:15], v[4:5]
	v_fma_f64 v[10:11], -v[8:9], v[8:9], v[0:1]
	v_fmac_f64_e32 v[8:9], v[10:11], v[4:5]
	v_mov_b32_e32 v4, 0xffffff80
	v_cndmask_b32_e32 v4, 0, v4, vcc
	v_ldexp_f64 v[4:5], v[8:9], v4
	v_cmp_class_f64_e32 vcc, v[0:1], v7
	s_nop 1
	v_cndmask_b32_e32 v9, v5, v1, vcc
	v_cndmask_b32_e32 v8, v4, v0, vcc
	v_add_f64 v[0:1], v[8:9], v[8:9]
	v_and_b32_e32 v5, 0x7fffffff, v3
	v_mov_b32_e32 v4, v2
	v_div_scale_f64 v[10:11], s[18:19], v[0:1], v[0:1], v[4:5]
	v_rcp_f64_e32 v[14:15], v[10:11]
	v_div_scale_f64 v[4:5], vcc, v[4:5], v[0:1], v[4:5]
	s_brev_b32 s18, -2
	v_fma_f64 v[16:17], -v[10:11], v[14:15], 1.0
	v_fmac_f64_e32 v[14:15], v[14:15], v[16:17]
	v_fma_f64 v[16:17], -v[10:11], v[14:15], 1.0
	v_fmac_f64_e32 v[14:15], v[14:15], v[16:17]
	v_mul_f64 v[16:17], v[4:5], v[14:15]
	v_fma_f64 v[4:5], -v[10:11], v[16:17], v[4:5]
	v_div_fmas_f64 v[4:5], v[4:5], v[14:15], v[16:17]
	v_div_fixup_f64 v[10:11], v[4:5], v[0:1], |v[2:3]|
	v_bfi_b32 v9, s18, v9, v3
.LBB225_350:
	s_or_b64 exec, exec, s[4:5]
                                        ; implicit-def: $vgpr2_vgpr3
                                        ; implicit-def: $vgpr4_vgpr5
	s_and_saveexec_b64 s[4:5], s[2:3]
	s_xor_b64 s[2:3], exec, s[4:5]
	s_cbranch_execz .LBB225_352
; %bb.351:
	v_mul_f64 v[0:1], v[10:11], 0.5
	v_mul_f64 v[2:3], v[8:9], 0.5
	v_cndmask_b32_e64 v5, v11, v1, s[16:17]
	v_cndmask_b32_e64 v4, v10, v0, s[16:17]
	;; [unrolled: 1-line block ×4, first 2 shown]
                                        ; implicit-def: $vgpr10_vgpr11
                                        ; implicit-def: $vgpr8_vgpr9
	s_andn2_saveexec_b64 s[2:3], s[2:3]
	s_cbranch_execnz .LBB225_353
	s_branch .LBB225_354
.LBB225_352:
	s_andn2_saveexec_b64 s[2:3], s[2:3]
.LBB225_353:
	v_add_f64 v[4:5], v[10:11], v[10:11]
	v_add_f64 v[2:3], v[8:9], v[8:9]
.LBB225_354:
	s_or_b64 exec, exec, s[2:3]
.LBB225_355:
	s_andn2_saveexec_b64 s[2:3], s[14:15]
	s_cbranch_execz .LBB225_361
; %bb.356:
	v_add_f64 v[8:9], v[2:3], -v[2:3]
	v_cmp_lt_i64_e32 vcc, -1, v[0:1]
	s_brev_b32 s14, -2
	v_and_b32_e32 v5, 0x7fffffff, v9
	v_mov_b32_e32 v4, v8
	s_and_saveexec_b64 s[4:5], vcc
	s_xor_b64 s[4:5], exec, s[4:5]
; %bb.357:
	v_bfi_b32 v9, s14, v9, v3
	v_mov_b64_e32 v[2:3], v[8:9]
	v_mov_b64_e32 v[4:5], v[0:1]
; %bb.358:
	s_andn2_saveexec_b64 s[4:5], s[4:5]
; %bb.359:
	v_bfi_b32 v1, s14, v1, v3
	v_mov_b64_e32 v[2:3], v[0:1]
; %bb.360:
	s_or_b64 exec, exec, s[4:5]
.LBB225_361:
	s_or_b64 exec, exec, s[2:3]
.LBB225_362:
	s_andn2_saveexec_b64 s[2:3], s[12:13]
	s_cbranch_execz .LBB225_364
; %bb.363:
	v_add_f64 v[2:3], v[2:3], -v[2:3]
	v_div_scale_f64 v[4:5], vcc, v[2:3], v[2:3], v[2:3]
	v_rcp_f64_e32 v[8:9], v[4:5]
	s_nop 0
	v_fma_f64 v[10:11], -v[4:5], v[8:9], 1.0
	v_fmac_f64_e32 v[8:9], v[8:9], v[10:11]
	v_fma_f64 v[10:11], -v[4:5], v[8:9], 1.0
	v_fmac_f64_e32 v[8:9], v[8:9], v[10:11]
	v_mul_f64 v[10:11], v[4:5], v[8:9]
	v_fma_f64 v[4:5], -v[4:5], v[10:11], v[4:5]
	v_div_fmas_f64 v[4:5], v[4:5], v[8:9], v[10:11]
	v_div_fixup_f64 v[2:3], v[4:5], v[2:3], v[2:3]
	v_mov_b64_e32 v[4:5], v[0:1]
.LBB225_364:
	s_or_b64 exec, exec, s[2:3]
.LBB225_365:
	s_or_b64 exec, exec, s[10:11]
.LBB225_366:
	s_or_b64 exec, exec, s[8:9]
	v_mov_b32_e32 v7, 0
	s_and_b32 s12, s73, 0xff
	s_cmp_lt_i32 s12, 11
	v_lshl_add_u64 v[0:1], s[20:21], 0, v[6:7]
	s_cbranch_scc1 .LBB225_373
; %bb.367:
	s_and_b32 s13, 0xffff, s12
	s_cmp_gt_i32 s13, 25
	s_cbranch_scc0 .LBB225_374
; %bb.368:
	s_cmp_gt_i32 s13, 28
	s_cbranch_scc0 .LBB225_375
; %bb.369:
	;; [unrolled: 3-line block ×4, first 2 shown]
	s_mov_b64 s[8:9], 0
	s_mov_b64 s[4:5], -1
	s_cmp_eq_u32 s13, 46
	s_mov_b64 s[2:3], 0
	s_cbranch_scc0 .LBB225_384
; %bb.372:
	v_cvt_f32_f64_e32 v7, v[2:3]
	s_movk_i32 s2, 0x7fff
	v_bfe_u32 v9, v7, 16, 1
	v_cvt_f32_f64_e32 v6, v[4:5]
	v_add3_u32 v9, v7, v9, s2
	v_bfe_u32 v8, v6, 16, 1
	v_and_b32_e32 v9, 0xffff0000, v9
	v_mov_b32_e32 v10, 0x7fc00000
	v_cmp_o_f32_e32 vcc, v7, v7
	v_add3_u32 v8, v6, v8, s2
	s_mov_b64 s[2:3], -1
	v_cndmask_b32_e32 v7, v10, v9, vcc
	v_cmp_o_f32_e32 vcc, v6, v6
	v_mov_b32_e32 v6, 0x7fc0
	s_mov_b64 s[4:5], 0
	v_cndmask_b32_sdwa v6, v6, v8, vcc dst_sel:DWORD dst_unused:UNUSED_PAD src0_sel:DWORD src1_sel:WORD_1
	v_or_b32_e32 v6, v7, v6
	global_store_dword v[0:1], v6, off
	s_branch .LBB225_384
.LBB225_373:
	s_mov_b64 s[8:9], -1
	s_mov_b64 s[2:3], 0
	s_mov_b64 s[4:5], s[54:55]
	s_branch .LBB225_453
.LBB225_374:
	s_mov_b64 s[8:9], -1
	s_mov_b64 s[2:3], 0
	s_mov_b64 s[4:5], s[54:55]
	s_branch .LBB225_411
.LBB225_375:
	s_mov_b64 s[8:9], -1
	s_mov_b64 s[2:3], 0
	s_mov_b64 s[4:5], s[54:55]
	s_branch .LBB225_394
.LBB225_376:
	s_mov_b64 s[8:9], -1
	s_mov_b64 s[2:3], 0
	s_mov_b64 s[4:5], s[54:55]
	s_branch .LBB225_390
.LBB225_377:
	s_andn2_saveexec_b64 s[10:11], s[10:11]
	s_cbranch_execz .LBB225_112
.LBB225_378:
	s_mov_b32 s14, 0x42800000
	v_add_f32_e64 v7, |v6|, s14
	v_and_b32_e32 v7, 0xff, v7
	v_cmp_ne_u32_e32 vcc, 0, v7
	s_andn2_b64 s[8:9], s[8:9], exec
	s_and_b64 s[14:15], vcc, exec
	s_or_b64 s[8:9], s[8:9], s[14:15]
	s_or_b64 exec, exec, s[10:11]
	v_mov_b32_e32 v8, 0
	s_and_saveexec_b64 s[10:11], s[8:9]
	s_cbranch_execnz .LBB225_113
	s_branch .LBB225_114
.LBB225_379:
	s_mov_b64 s[6:7], -1
                                        ; implicit-def: $vgpr2_vgpr3
	s_mov_b64 s[2:3], 0
.LBB225_380:
	s_and_b64 vcc, exec, s[4:5]
	s_cbranch_vccz .LBB225_497
; %bb.381:
	s_cmp_eq_u32 s10, 44
	s_cbranch_scc0 .LBB225_495
; %bb.382:
	global_load_ubyte v2, v[4:5], off
	s_movk_i32 s4, 0xff
	v_bfrev_b32_e32 v3, 4
	v_mov_b32_e32 v7, 0x7ff80000
	v_bfrev_b32_e32 v8, 28
	s_mov_b64 s[2:3], -1
	s_mov_b64 s[6:7], 0
	s_waitcnt vmcnt(0)
	v_lshlrev_b32_e32 v0, 23, v2
	v_cvt_f64_f32_e32 v[0:1], v0
	v_cmp_ne_u32_e32 vcc, s4, v2
	s_nop 1
	v_cndmask_b32_e32 v0, v3, v0, vcc
	v_cndmask_b32_e32 v1, v7, v1, vcc
	v_cmp_ne_u32_e32 vcc, 0, v2
	s_nop 1
	v_cndmask_b32_e32 v1, v8, v1, vcc
	v_cndmask_b32_e32 v0, 0, v0, vcc
	s_branch .LBB225_496
.LBB225_383:
	s_mov_b64 s[8:9], -1
	s_mov_b64 s[2:3], 0
	s_mov_b64 s[4:5], s[54:55]
.LBB225_384:
	s_and_b64 vcc, exec, s[8:9]
	s_cbranch_vccz .LBB225_389
; %bb.385:
	s_cmp_eq_u32 s13, 44
	s_mov_b64 s[4:5], -1
	s_cbranch_scc0 .LBB225_389
; %bb.386:
	v_cvt_f32_f64_e32 v6, v[4:5]
	v_bfe_u32 v7, v6, 23, 8
	s_movk_i32 s2, 0xff
	v_cmp_ne_u32_e32 vcc, s2, v7
	v_mov_b32_e32 v8, 0xff
	s_and_saveexec_b64 s[4:5], vcc
; %bb.387:
	s_mov_b32 s2, 0x3fffff
	v_lshrrev_b32_e32 v8, 23, v6
	v_and_b32_e32 v9, 0x400000, v6
	v_and_or_b32 v6, v6, s2, v7
	v_cmp_ne_u32_e32 vcc, 0, v9
	v_cmp_ne_u32_e64 s[2:3], 0, v6
	s_and_b64 s[2:3], vcc, s[2:3]
	s_nop 0
	v_cndmask_b32_e64 v6, 0, 1, s[2:3]
	v_add_u32_e32 v8, v8, v6
; %bb.388:
	s_or_b64 exec, exec, s[4:5]
	s_mov_b64 s[2:3], -1
	s_mov_b64 s[4:5], 0
	global_store_byte v[0:1], v8, off
.LBB225_389:
	s_mov_b64 s[8:9], 0
.LBB225_390:
	s_and_b64 vcc, exec, s[8:9]
	s_cbranch_vccz .LBB225_393
; %bb.391:
	s_cmp_eq_u32 s13, 29
	s_mov_b64 s[4:5], -1
	s_cbranch_scc0 .LBB225_393
; %bb.392:
	v_trunc_f64_e32 v[6:7], v[4:5]
	s_movk_i32 s2, 0xffe0
	v_ldexp_f64 v[8:9], v[6:7], s2
	v_floor_f64_e32 v[8:9], v[8:9]
	v_fmac_f64_e32 v[6:7], 0xc1f00000, v[8:9]
	v_cvt_u32_f64_e32 v11, v[8:9]
	v_cvt_u32_f64_e32 v10, v[6:7]
	global_store_dwordx2 v[0:1], v[10:11], off
	s_mov_b64 s[2:3], -1
	s_mov_b64 s[4:5], 0
.LBB225_393:
	s_mov_b64 s[8:9], 0
.LBB225_394:
	s_and_b64 vcc, exec, s[8:9]
	s_cbranch_vccz .LBB225_410
; %bb.395:
	s_cmp_lt_i32 s13, 27
	s_mov_b64 s[2:3], -1
	s_cbranch_scc1 .LBB225_401
; %bb.396:
	s_cmp_gt_i32 s13, 27
	v_cvt_u32_f64_e32 v6, v[4:5]
	s_cbranch_scc0 .LBB225_398
; %bb.397:
	s_mov_b64 s[2:3], 0
	global_store_dword v[0:1], v6, off
.LBB225_398:
	s_andn2_b64 vcc, exec, s[2:3]
	s_cbranch_vccnz .LBB225_400
; %bb.399:
	global_store_short v[0:1], v6, off
.LBB225_400:
	s_mov_b64 s[2:3], 0
.LBB225_401:
	s_andn2_b64 vcc, exec, s[2:3]
	s_cbranch_vccnz .LBB225_409
; %bb.402:
	v_cvt_f32_f64_e32 v6, v[4:5]
	v_and_b32_e32 v7, 0x7fffffff, v6
	s_mov_b32 s2, 0x43800000
	v_cmp_gt_u32_e32 vcc, s2, v7
	v_mov_b32_e32 v8, 0x80
	s_and_saveexec_b64 s[2:3], vcc
	s_cbranch_execz .LBB225_408
; %bb.403:
	s_mov_b32 s8, 0x3bffffff
	v_cmp_lt_u32_e32 vcc, s8, v7
	s_mov_b64 s[8:9], 0
                                        ; implicit-def: $vgpr7
	s_and_saveexec_b64 s[10:11], vcc
	s_xor_b64 s[10:11], exec, s[10:11]
	s_cbranch_execz .LBB225_642
; %bb.404:
	v_bfe_u32 v7, v6, 20, 1
	s_mov_b32 s14, 0x487ffff
	v_add3_u32 v7, v6, v7, s14
	s_mov_b64 s[8:9], exec
	v_lshrrev_b32_e32 v7, 20, v7
	s_andn2_saveexec_b64 s[10:11], s[10:11]
	s_cbranch_execnz .LBB225_643
.LBB225_405:
	s_or_b64 exec, exec, s[10:11]
	v_mov_b32_e32 v8, 0
	s_and_saveexec_b64 s[10:11], s[8:9]
.LBB225_406:
	v_lshrrev_b32_e32 v6, 24, v6
	s_movk_i32 s8, 0x80
	v_and_or_b32 v8, v6, s8, v7
.LBB225_407:
	s_or_b64 exec, exec, s[10:11]
.LBB225_408:
	s_or_b64 exec, exec, s[2:3]
	global_store_byte v[0:1], v8, off
.LBB225_409:
	s_mov_b64 s[2:3], -1
.LBB225_410:
	s_mov_b64 s[8:9], 0
.LBB225_411:
	s_and_b64 vcc, exec, s[8:9]
	s_cbranch_vccz .LBB225_452
; %bb.412:
	s_cmp_gt_i32 s13, 22
	s_mov_b64 s[8:9], -1
	s_cbranch_scc0 .LBB225_444
; %bb.413:
	s_cmp_lt_i32 s13, 24
	s_mov_b64 s[2:3], -1
	s_cbranch_scc1 .LBB225_433
; %bb.414:
	s_cmp_gt_i32 s13, 24
	s_cbranch_scc0 .LBB225_422
; %bb.415:
	v_cvt_f32_f64_e32 v6, v[4:5]
	v_and_b32_e32 v7, 0x7fffffff, v6
	s_mov_b32 s2, 0x47800000
	v_cmp_gt_u32_e32 vcc, s2, v7
	v_mov_b32_e32 v8, 0x80
	s_and_saveexec_b64 s[2:3], vcc
	s_cbranch_execz .LBB225_421
; %bb.416:
	s_mov_b32 s8, 0x37ffffff
	v_cmp_lt_u32_e32 vcc, s8, v7
	s_mov_b64 s[8:9], 0
                                        ; implicit-def: $vgpr7
	s_and_saveexec_b64 s[10:11], vcc
	s_xor_b64 s[10:11], exec, s[10:11]
	s_cbranch_execz .LBB225_645
; %bb.417:
	v_bfe_u32 v7, v6, 21, 1
	s_mov_b32 s14, 0x88fffff
	v_add3_u32 v7, v6, v7, s14
	s_mov_b64 s[8:9], exec
	v_lshrrev_b32_e32 v7, 21, v7
	s_andn2_saveexec_b64 s[10:11], s[10:11]
	s_cbranch_execnz .LBB225_646
.LBB225_418:
	s_or_b64 exec, exec, s[10:11]
	v_mov_b32_e32 v8, 0
	s_and_saveexec_b64 s[10:11], s[8:9]
.LBB225_419:
	v_lshrrev_b32_e32 v6, 24, v6
	s_movk_i32 s8, 0x80
	v_and_or_b32 v8, v6, s8, v7
.LBB225_420:
	s_or_b64 exec, exec, s[10:11]
.LBB225_421:
	s_or_b64 exec, exec, s[2:3]
	s_mov_b64 s[2:3], 0
	global_store_byte v[0:1], v8, off
.LBB225_422:
	s_and_b64 vcc, exec, s[2:3]
	s_cbranch_vccz .LBB225_432
; %bb.423:
	v_cvt_f32_f64_e32 v6, v[4:5]
	v_and_b32_e32 v8, 0x7fffffff, v6
	s_mov_b32 s2, 0x43f00000
	v_cmp_gt_u32_e32 vcc, s2, v8
                                        ; implicit-def: $vgpr7
	s_and_saveexec_b64 s[2:3], vcc
	s_xor_b64 s[2:3], exec, s[2:3]
	s_cbranch_execz .LBB225_429
; %bb.424:
	s_mov_b32 s8, 0x3c7fffff
	v_cmp_lt_u32_e32 vcc, s8, v8
                                        ; implicit-def: $vgpr7
	s_and_saveexec_b64 s[8:9], vcc
	s_xor_b64 s[8:9], exec, s[8:9]
; %bb.425:
	v_bfe_u32 v7, v6, 20, 1
	s_mov_b32 s10, 0x407ffff
	v_add3_u32 v7, v6, v7, s10
	v_lshrrev_b32_e32 v8, 20, v7
	v_and_b32_e32 v7, 0xff00000, v7
	s_mov_b32 s10, 0x7f00000
	v_mov_b32_e32 v9, 0x7e
	v_cmp_ne_u32_e32 vcc, s10, v7
	s_nop 1
	v_cndmask_b32_e32 v7, v9, v8, vcc
; %bb.426:
	s_andn2_saveexec_b64 s[8:9], s[8:9]
; %bb.427:
	s_mov_b32 s10, 0x46800000
	v_add_f32_e64 v7, |v6|, s10
; %bb.428:
	s_or_b64 exec, exec, s[8:9]
                                        ; implicit-def: $vgpr8
.LBB225_429:
	s_andn2_saveexec_b64 s[2:3], s[2:3]
; %bb.430:
	s_mov_b32 s8, 0x7f800000
	v_mov_b32_e32 v7, 0x7e
	v_mov_b32_e32 v9, 0x7f
	v_cmp_lt_u32_e32 vcc, s8, v8
	s_nop 1
	v_cndmask_b32_e32 v7, v7, v9, vcc
; %bb.431:
	s_or_b64 exec, exec, s[2:3]
	v_lshrrev_b32_e32 v6, 24, v6
	s_movk_i32 s2, 0x80
	v_and_or_b32 v6, v6, s2, v7
	global_store_byte v[0:1], v6, off
.LBB225_432:
	s_mov_b64 s[2:3], 0
.LBB225_433:
	s_andn2_b64 vcc, exec, s[2:3]
	s_cbranch_vccnz .LBB225_443
; %bb.434:
	v_cvt_f32_f64_e32 v6, v[4:5]
	v_and_b32_e32 v8, 0x7fffffff, v6
	s_mov_b32 s2, 0x47800000
	v_cmp_gt_u32_e32 vcc, s2, v8
                                        ; implicit-def: $vgpr7
	s_and_saveexec_b64 s[2:3], vcc
	s_xor_b64 s[2:3], exec, s[2:3]
	s_cbranch_execz .LBB225_440
; %bb.435:
	s_mov_b32 s8, 0x387fffff
	v_cmp_lt_u32_e32 vcc, s8, v8
                                        ; implicit-def: $vgpr7
	s_and_saveexec_b64 s[8:9], vcc
	s_xor_b64 s[8:9], exec, s[8:9]
; %bb.436:
	v_bfe_u32 v7, v6, 21, 1
	s_mov_b32 s10, 0x80fffff
	v_add3_u32 v7, v6, v7, s10
	v_lshrrev_b32_e32 v7, 21, v7
; %bb.437:
	s_andn2_saveexec_b64 s[8:9], s[8:9]
; %bb.438:
	s_mov_b32 s10, 0x43000000
	v_add_f32_e64 v7, |v6|, s10
; %bb.439:
	s_or_b64 exec, exec, s[8:9]
                                        ; implicit-def: $vgpr8
.LBB225_440:
	s_andn2_saveexec_b64 s[2:3], s[2:3]
; %bb.441:
	s_mov_b32 s8, 0x7f800000
	v_mov_b32_e32 v7, 0x7c
	v_mov_b32_e32 v9, 0x7f
	v_cmp_lt_u32_e32 vcc, s8, v8
	s_nop 1
	v_cndmask_b32_e32 v7, v7, v9, vcc
; %bb.442:
	s_or_b64 exec, exec, s[2:3]
	v_lshrrev_b32_e32 v6, 24, v6
	s_movk_i32 s2, 0x80
	v_and_or_b32 v6, v6, s2, v7
	global_store_byte v[0:1], v6, off
.LBB225_443:
	s_mov_b64 s[8:9], 0
	s_mov_b64 s[2:3], -1
.LBB225_444:
	s_andn2_b64 vcc, exec, s[8:9]
	s_cbranch_vccnz .LBB225_452
; %bb.445:
	s_cmp_gt_i32 s13, 14
	s_mov_b64 s[8:9], -1
	s_cbranch_scc0 .LBB225_449
; %bb.446:
	s_cmp_eq_u32 s13, 15
	s_mov_b64 s[4:5], -1
	s_cbranch_scc0 .LBB225_448
; %bb.447:
	v_cvt_f32_f64_e32 v6, v[4:5]
	v_bfe_u32 v7, v6, 16, 1
	s_movk_i32 s2, 0x7fff
	v_add3_u32 v7, v6, v7, s2
	v_cmp_o_f32_e32 vcc, v6, v6
	v_mov_b32_e32 v6, 0x7fc0
	s_mov_b64 s[2:3], -1
	v_cndmask_b32_sdwa v6, v6, v7, vcc dst_sel:DWORD dst_unused:UNUSED_PAD src0_sel:DWORD src1_sel:WORD_1
	global_store_short v[0:1], v6, off
	s_mov_b64 s[4:5], 0
.LBB225_448:
	s_mov_b64 s[8:9], 0
.LBB225_449:
	s_and_b64 vcc, exec, s[8:9]
	s_cbranch_vccz .LBB225_452
; %bb.450:
	s_cmp_eq_u32 s13, 11
	s_mov_b64 s[4:5], -1
	s_cbranch_scc0 .LBB225_452
; %bb.451:
	v_cmp_neq_f64_e32 vcc, 0, v[4:5]
	v_cmp_neq_f64_e64 s[2:3], 0, v[2:3]
	s_or_b64 s[2:3], vcc, s[2:3]
	s_mov_b64 s[4:5], 0
	v_cndmask_b32_e64 v6, 0, 1, s[2:3]
	s_mov_b64 s[2:3], -1
	global_store_byte v[0:1], v6, off
.LBB225_452:
	s_mov_b64 s[8:9], 0
.LBB225_453:
	s_and_b64 vcc, exec, s[8:9]
	s_cbranch_vccz .LBB225_492
; %bb.454:
	s_and_b32 s8, 0xffff, s12
	s_cmp_lt_i32 s8, 5
	s_mov_b64 s[2:3], -1
	s_cbranch_scc1 .LBB225_475
; %bb.455:
	s_cmp_lt_i32 s8, 8
	s_cbranch_scc1 .LBB225_465
; %bb.456:
	s_cmp_lt_i32 s8, 9
	s_cbranch_scc1 .LBB225_462
; %bb.457:
	s_cmp_gt_i32 s8, 9
	s_cbranch_scc0 .LBB225_459
; %bb.458:
	v_mov_b32_e32 v6, v2
	v_mov_b32_e32 v7, v3
	s_mov_b64 s[2:3], 0
	global_store_dwordx4 v[0:1], v[4:7], off
.LBB225_459:
	s_andn2_b64 vcc, exec, s[2:3]
	s_cbranch_vccnz .LBB225_461
; %bb.460:
	v_cvt_f32_f64_e32 v6, v[4:5]
	v_cvt_f32_f64_e32 v7, v[2:3]
	global_store_dwordx2 v[0:1], v[6:7], off
.LBB225_461:
	s_mov_b64 s[2:3], 0
.LBB225_462:
	s_andn2_b64 vcc, exec, s[2:3]
	s_cbranch_vccnz .LBB225_464
; %bb.463:
	s_movk_i32 s2, 0x1ff
	v_and_or_b32 v6, v5, s2, v4
	v_cmp_ne_u32_e32 vcc, 0, v6
	v_lshrrev_b32_e32 v7, 8, v5
	s_movk_i32 s3, 0xffe
	v_cndmask_b32_e64 v6, 0, 1, vcc
	v_bfe_u32 v8, v5, 20, 11
	v_and_or_b32 v6, v7, s3, v6
	v_sub_u32_e32 v9, 0x3f1, v8
	v_or_b32_e32 v7, 0x1000, v6
	v_med3_i32 v9, v9, 0, 13
	v_lshrrev_b32_e32 v10, v9, v7
	v_lshlrev_b32_e32 v9, v9, v10
	v_cmp_ne_u32_e32 vcc, v9, v7
	v_add_u32_e32 v8, 0xfffffc10, v8
	v_lshl_or_b32 v9, v8, 12, v6
	v_cndmask_b32_e64 v7, 0, 1, vcc
	v_or_b32_e32 v7, v10, v7
	v_cmp_gt_i32_e32 vcc, 1, v8
	s_movk_i32 s9, 0x40f
	v_and_or_b32 v2, v3, s2, v2
	v_cndmask_b32_e32 v7, v9, v7, vcc
	v_and_b32_e32 v9, 7, v7
	v_cmp_lt_i32_e32 vcc, 5, v9
	v_lshrrev_b32_e32 v7, 2, v7
	v_bfe_u32 v11, v3, 20, 11
	v_cndmask_b32_e64 v10, 0, 1, vcc
	v_cmp_eq_u32_e32 vcc, 3, v9
	v_sub_u32_e32 v13, 0x3f1, v11
	v_med3_i32 v13, v13, 0, 13
	v_cndmask_b32_e64 v9, 0, 1, vcc
	v_or_b32_e32 v9, v9, v10
	v_add_u32_e32 v7, v7, v9
	v_mov_b32_e32 v9, 0x7c00
	v_cmp_gt_i32_e32 vcc, 31, v8
	v_mov_b32_e32 v10, 0x7e00
	v_add_u32_e32 v11, 0xfffffc10, v11
	v_cndmask_b32_e32 v7, v9, v7, vcc
	v_cmp_ne_u32_e32 vcc, 0, v6
	s_mov_b32 s10, 0x8000
	s_mov_b32 s2, 0xffff
	v_cndmask_b32_e32 v6, v9, v10, vcc
	v_cmp_eq_u32_e32 vcc, s9, v8
	v_lshrrev_b32_e32 v8, 8, v3
	v_lshrrev_b32_e32 v3, 16, v3
	v_cndmask_b32_e32 v6, v7, v6, vcc
	v_cmp_ne_u32_e32 vcc, 0, v2
	v_and_b32_sdwa v7, v5, s10 dst_sel:DWORD dst_unused:UNUSED_PAD src0_sel:WORD_1 src1_sel:DWORD
	s_nop 0
	v_cndmask_b32_e64 v2, 0, 1, vcc
	v_and_or_b32 v2, v8, s3, v2
	v_or_b32_e32 v8, 0x1000, v2
	v_lshrrev_b32_e32 v14, v13, v8
	v_lshlrev_b32_e32 v13, v13, v14
	v_cmp_ne_u32_e32 vcc, v13, v8
	v_lshl_or_b32 v13, v11, 12, v2
	s_nop 0
	v_cndmask_b32_e64 v8, 0, 1, vcc
	v_or_b32_e32 v8, v14, v8
	v_cmp_gt_i32_e32 vcc, 1, v11
	s_nop 1
	v_cndmask_b32_e32 v8, v13, v8, vcc
	v_and_b32_e32 v13, 7, v8
	v_cmp_lt_i32_e32 vcc, 5, v13
	v_lshrrev_b32_e32 v8, 2, v8
	s_nop 0
	v_cndmask_b32_e64 v14, 0, 1, vcc
	v_cmp_eq_u32_e32 vcc, 3, v13
	s_nop 1
	v_cndmask_b32_e64 v13, 0, 1, vcc
	v_or_b32_e32 v13, v13, v14
	v_add_u32_e32 v8, v8, v13
	v_cmp_gt_i32_e32 vcc, 31, v11
	s_nop 1
	v_cndmask_b32_e32 v8, v9, v8, vcc
	v_cmp_ne_u32_e32 vcc, 0, v2
	s_nop 1
	v_cndmask_b32_e32 v2, v9, v10, vcc
	v_cmp_eq_u32_e32 vcc, s9, v11
	s_nop 1
	v_cndmask_b32_e32 v2, v8, v2, vcc
	v_and_or_b32 v2, v3, s10, v2
	v_bitop3_b32 v3, v7, s2, v6 bitop3:0xc8
	v_lshl_or_b32 v2, v2, 16, v3
	global_store_dword v[0:1], v2, off
.LBB225_464:
	s_mov_b64 s[2:3], 0
.LBB225_465:
	s_andn2_b64 vcc, exec, s[2:3]
	s_cbranch_vccnz .LBB225_474
; %bb.466:
	s_cmp_lt_i32 s8, 6
	s_mov_b64 s[2:3], -1
	s_cbranch_scc1 .LBB225_472
; %bb.467:
	s_cmp_gt_i32 s8, 6
	s_cbranch_scc0 .LBB225_469
; %bb.468:
	s_mov_b64 s[2:3], 0
	global_store_dwordx2 v[0:1], v[4:5], off
.LBB225_469:
	s_andn2_b64 vcc, exec, s[2:3]
	s_cbranch_vccnz .LBB225_471
; %bb.470:
	v_cvt_f32_f64_e32 v2, v[4:5]
	global_store_dword v[0:1], v2, off
.LBB225_471:
	s_mov_b64 s[2:3], 0
.LBB225_472:
	s_andn2_b64 vcc, exec, s[2:3]
	s_cbranch_vccnz .LBB225_474
; %bb.473:
	s_movk_i32 s2, 0x1ff
	v_and_or_b32 v2, v5, s2, v4
	v_cmp_ne_u32_e32 vcc, 0, v2
	v_lshrrev_b32_e32 v3, 8, v5
	s_movk_i32 s2, 0xffe
	v_cndmask_b32_e64 v2, 0, 1, vcc
	v_bfe_u32 v6, v5, 20, 11
	v_and_or_b32 v2, v3, s2, v2
	v_sub_u32_e32 v7, 0x3f1, v6
	v_or_b32_e32 v3, 0x1000, v2
	v_med3_i32 v7, v7, 0, 13
	v_lshrrev_b32_e32 v8, v7, v3
	v_lshlrev_b32_e32 v7, v7, v8
	v_cmp_ne_u32_e32 vcc, v7, v3
	v_add_u32_e32 v6, 0xfffffc10, v6
	v_lshl_or_b32 v7, v6, 12, v2
	v_cndmask_b32_e64 v3, 0, 1, vcc
	v_or_b32_e32 v3, v8, v3
	v_cmp_gt_i32_e32 vcc, 1, v6
	s_movk_i32 s2, 0x40f
	s_nop 0
	v_cndmask_b32_e32 v3, v7, v3, vcc
	v_and_b32_e32 v7, 7, v3
	v_cmp_lt_i32_e32 vcc, 5, v7
	v_lshrrev_b32_e32 v3, 2, v3
	s_nop 0
	v_cndmask_b32_e64 v8, 0, 1, vcc
	v_cmp_eq_u32_e32 vcc, 3, v7
	s_nop 1
	v_cndmask_b32_e64 v7, 0, 1, vcc
	v_or_b32_e32 v7, v7, v8
	v_add_u32_e32 v3, v3, v7
	v_mov_b32_e32 v7, 0x7c00
	v_cmp_gt_i32_e32 vcc, 31, v6
	v_mov_b32_e32 v8, 0x7e00
	s_nop 0
	v_cndmask_b32_e32 v3, v7, v3, vcc
	v_cmp_ne_u32_e32 vcc, 0, v2
	s_nop 1
	v_cndmask_b32_e32 v2, v7, v8, vcc
	v_cmp_eq_u32_e32 vcc, s2, v6
	s_mov_b32 s2, 0x8000
	s_nop 0
	v_cndmask_b32_e32 v2, v3, v2, vcc
	v_lshrrev_b32_e32 v3, 16, v5
	v_and_or_b32 v2, v3, s2, v2
	global_store_short v[0:1], v2, off
.LBB225_474:
	s_mov_b64 s[2:3], 0
.LBB225_475:
	s_andn2_b64 vcc, exec, s[2:3]
	s_cbranch_vccnz .LBB225_491
; %bb.476:
	s_cmp_lt_i32 s8, 2
	s_mov_b64 s[2:3], -1
	s_cbranch_scc1 .LBB225_486
; %bb.477:
	s_cmp_lt_i32 s8, 3
	s_cbranch_scc1 .LBB225_483
; %bb.478:
	s_cmp_gt_i32 s8, 3
	s_cbranch_scc0 .LBB225_480
; %bb.479:
	v_trunc_f64_e32 v[2:3], v[4:5]
	s_movk_i32 s2, 0xffe0
	v_ldexp_f64 v[6:7], v[2:3], s2
	v_floor_f64_e32 v[6:7], v[6:7]
	v_fmac_f64_e32 v[2:3], 0xc1f00000, v[6:7]
	v_cvt_i32_f64_e32 v9, v[6:7]
	v_cvt_u32_f64_e32 v8, v[2:3]
	s_mov_b64 s[2:3], 0
	global_store_dwordx2 v[0:1], v[8:9], off
.LBB225_480:
	s_andn2_b64 vcc, exec, s[2:3]
	s_cbranch_vccnz .LBB225_482
; %bb.481:
	v_cvt_i32_f64_e32 v2, v[4:5]
	global_store_dword v[0:1], v2, off
.LBB225_482:
	s_mov_b64 s[2:3], 0
.LBB225_483:
	s_andn2_b64 vcc, exec, s[2:3]
	s_cbranch_vccnz .LBB225_485
; %bb.484:
	v_cvt_i32_f64_e32 v2, v[4:5]
	global_store_short v[0:1], v2, off
.LBB225_485:
	s_mov_b64 s[2:3], 0
.LBB225_486:
	s_andn2_b64 vcc, exec, s[2:3]
	s_cbranch_vccnz .LBB225_491
; %bb.487:
	s_cmp_gt_i32 s8, 0
	s_mov_b64 s[2:3], -1
	s_cbranch_scc0 .LBB225_489
; %bb.488:
	v_cvt_i32_f64_e32 v2, v[4:5]
	s_mov_b64 s[2:3], 0
	global_store_byte v[0:1], v2, off
.LBB225_489:
	s_andn2_b64 vcc, exec, s[2:3]
	s_cbranch_vccnz .LBB225_491
; %bb.490:
	v_trunc_f64_e32 v[2:3], v[4:5]
	s_movk_i32 s2, 0xffe0
	v_ldexp_f64 v[4:5], v[2:3], s2
	v_floor_f64_e32 v[4:5], v[4:5]
	v_fmac_f64_e32 v[2:3], 0xc1f00000, v[4:5]
	v_cvt_u32_f64_e32 v2, v[2:3]
	global_store_byte v[0:1], v2, off
.LBB225_491:
	s_mov_b64 s[2:3], -1
.LBB225_492:
	s_andn2_b64 vcc, exec, s[2:3]
	s_cbranch_vccnz .LBB225_494
; %bb.493:
	v_add_u32_e32 v12, 0x80, v12
	s_mov_b64 s[2:3], -1
	s_branch .LBB225_612
.LBB225_494:
	s_mov_b64 s[2:3], 0
	s_branch .LBB225_611
.LBB225_495:
	s_mov_b64 s[6:7], -1
                                        ; implicit-def: $vgpr0_vgpr1
.LBB225_496:
	v_mov_b64_e32 v[2:3], 0
.LBB225_497:
	s_mov_b64 s[4:5], 0
.LBB225_498:
	s_and_b64 vcc, exec, s[4:5]
	s_cbranch_vccz .LBB225_503
; %bb.499:
	s_cmp_eq_u32 s10, 29
	s_cbranch_scc0 .LBB225_501
; %bb.500:
	global_load_dwordx2 v[0:1], v[4:5], off
	s_mov_b64 s[2:3], -1
	s_mov_b64 s[6:7], 0
	s_waitcnt vmcnt(0)
	v_cvt_f64_u32_e32 v[2:3], v1
	v_cvt_f64_u32_e32 v[0:1], v0
	v_ldexp_f64 v[2:3], v[2:3], 32
	v_add_f64 v[0:1], v[2:3], v[0:1]
	s_branch .LBB225_502
.LBB225_501:
	s_mov_b64 s[6:7], -1
                                        ; implicit-def: $vgpr0_vgpr1
.LBB225_502:
	v_mov_b64_e32 v[2:3], 0
.LBB225_503:
	s_mov_b64 s[4:5], 0
.LBB225_504:
	s_and_b64 vcc, exec, s[4:5]
	s_cbranch_vccz .LBB225_524
; %bb.505:
	s_cmp_lt_i32 s10, 27
	s_cbranch_scc1 .LBB225_508
; %bb.506:
	s_cmp_gt_i32 s10, 27
	s_cbranch_scc0 .LBB225_509
; %bb.507:
	global_load_dword v0, v[4:5], off
	s_mov_b64 s[2:3], 0
	s_waitcnt vmcnt(0)
	v_cvt_f64_u32_e32 v[0:1], v0
	s_branch .LBB225_510
.LBB225_508:
	s_mov_b64 s[2:3], -1
                                        ; implicit-def: $vgpr0_vgpr1
	s_branch .LBB225_513
.LBB225_509:
	s_mov_b64 s[2:3], -1
                                        ; implicit-def: $vgpr0_vgpr1
.LBB225_510:
	s_andn2_b64 vcc, exec, s[2:3]
	s_cbranch_vccnz .LBB225_512
; %bb.511:
	global_load_ushort v0, v[4:5], off
	s_waitcnt vmcnt(0)
	v_cvt_f64_u32_e32 v[0:1], v0
.LBB225_512:
	s_mov_b64 s[2:3], 0
.LBB225_513:
	s_andn2_b64 vcc, exec, s[2:3]
	s_cbranch_vccnz .LBB225_523
; %bb.514:
	global_load_ubyte v2, v[4:5], off
	s_movk_i32 s2, 0x7f
	s_waitcnt vmcnt(0)
	v_cmp_lt_i16_e32 vcc, s2, v2
	s_mov_b64 s[2:3], 0
	s_and_saveexec_b64 s[4:5], vcc
	s_xor_b64 s[4:5], exec, s[4:5]
	s_cbranch_execz .LBB225_518
; %bb.515:
	s_movk_i32 s2, 0x80
	v_cmp_eq_u16_e32 vcc, s2, v2
	s_mov_b64 s[2:3], -1
	s_and_saveexec_b64 s[8:9], vcc
; %bb.516:
	s_xor_b64 s[2:3], exec, -1
; %bb.517:
	s_or_b64 exec, exec, s[8:9]
	s_and_b64 s[2:3], s[2:3], exec
.LBB225_518:
	s_or_saveexec_b64 s[4:5], s[4:5]
	v_bfrev_b32_e32 v0, 4
	v_mov_b32_e32 v1, 0x7ff80000
	s_xor_b64 exec, exec, s[4:5]
; %bb.519:
	v_cmp_ne_u16_e32 vcc, 0, v2
	s_andn2_b64 s[2:3], s[2:3], exec
	s_and_b64 s[8:9], vcc, exec
	v_mov_b64_e32 v[0:1], 0
	s_or_b64 s[2:3], s[2:3], s[8:9]
; %bb.520:
	s_or_b64 exec, exec, s[4:5]
	s_and_saveexec_b64 s[4:5], s[2:3]
	s_cbranch_execz .LBB225_522
; %bb.521:
	v_and_b32_e32 v1, 0xffff, v2
	v_lshlrev_b32_e32 v0, 24, v2
	v_and_b32_e32 v2, 7, v1
	v_ffbh_u32_e32 v7, v2
	v_min_u32_e32 v7, 32, v7
	v_subrev_u32_e32 v8, 28, v7
	v_bfe_u32 v3, v1, 3, 4
	v_lshlrev_b32_e32 v1, v8, v1
	v_sub_u32_e32 v7, 29, v7
	v_and_b32_e32 v1, 7, v1
	v_cmp_eq_u32_e32 vcc, 0, v3
	v_and_b32_e32 v0, 0x80000000, v0
	s_nop 0
	v_cndmask_b32_e32 v3, v3, v7, vcc
	v_cndmask_b32_e32 v1, v2, v1, vcc
	v_mov_b32_e32 v2, 0x3b800000
	v_lshlrev_b32_e32 v1, 20, v1
	v_lshl_add_u32 v2, v3, 23, v2
	v_or3_b32 v0, v0, v2, v1
	v_cvt_f64_f32_e32 v[0:1], v0
.LBB225_522:
	s_or_b64 exec, exec, s[4:5]
.LBB225_523:
	s_mov_b64 s[2:3], -1
	v_mov_b64_e32 v[2:3], 0
.LBB225_524:
	s_mov_b64 s[4:5], 0
.LBB225_525:
	s_and_b64 vcc, exec, s[4:5]
	s_cbranch_vccz .LBB225_559
; %bb.526:
	s_cmp_gt_i32 s10, 22
	s_cbranch_scc0 .LBB225_538
; %bb.527:
	s_cmp_lt_i32 s10, 24
	s_cbranch_scc1 .LBB225_539
; %bb.528:
	s_cmp_gt_i32 s10, 24
	s_cbranch_scc0 .LBB225_540
; %bb.529:
	global_load_ubyte v2, v[4:5], off
	s_movk_i32 s2, 0x7f
	s_waitcnt vmcnt(0)
	v_cmp_lt_i16_e32 vcc, s2, v2
	s_mov_b64 s[2:3], 0
	s_and_saveexec_b64 s[4:5], vcc
	s_xor_b64 s[4:5], exec, s[4:5]
	s_cbranch_execz .LBB225_533
; %bb.530:
	s_movk_i32 s2, 0x80
	v_cmp_eq_u16_e32 vcc, s2, v2
	s_mov_b64 s[2:3], -1
	s_and_saveexec_b64 s[8:9], vcc
; %bb.531:
	s_xor_b64 s[2:3], exec, -1
; %bb.532:
	s_or_b64 exec, exec, s[8:9]
	s_and_b64 s[2:3], s[2:3], exec
.LBB225_533:
	s_or_saveexec_b64 s[4:5], s[4:5]
	v_bfrev_b32_e32 v0, 4
	v_mov_b32_e32 v1, 0x7ff80000
	s_xor_b64 exec, exec, s[4:5]
; %bb.534:
	v_cmp_ne_u16_e32 vcc, 0, v2
	s_andn2_b64 s[2:3], s[2:3], exec
	s_and_b64 s[8:9], vcc, exec
	v_mov_b64_e32 v[0:1], 0
	s_or_b64 s[2:3], s[2:3], s[8:9]
; %bb.535:
	s_or_b64 exec, exec, s[4:5]
	s_and_saveexec_b64 s[4:5], s[2:3]
	s_cbranch_execz .LBB225_537
; %bb.536:
	v_and_b32_e32 v1, 0xffff, v2
	v_lshlrev_b32_e32 v0, 24, v2
	v_and_b32_e32 v2, 3, v1
	v_ffbh_u32_e32 v7, v2
	v_min_u32_e32 v7, 32, v7
	v_subrev_u32_e32 v8, 29, v7
	v_bfe_u32 v3, v1, 2, 5
	v_lshlrev_b32_e32 v1, v8, v1
	v_sub_u32_e32 v7, 30, v7
	v_and_b32_e32 v1, 3, v1
	v_cmp_eq_u32_e32 vcc, 0, v3
	v_and_b32_e32 v0, 0x80000000, v0
	s_nop 0
	v_cndmask_b32_e32 v3, v3, v7, vcc
	v_cndmask_b32_e32 v1, v2, v1, vcc
	v_mov_b32_e32 v2, 0x37800000
	v_lshlrev_b32_e32 v1, 21, v1
	v_lshl_add_u32 v2, v3, 23, v2
	v_or3_b32 v0, v0, v2, v1
	v_cvt_f64_f32_e32 v[0:1], v0
.LBB225_537:
	s_or_b64 exec, exec, s[4:5]
	s_mov_b64 s[2:3], 0
	s_branch .LBB225_541
.LBB225_538:
	s_mov_b64 s[4:5], -1
                                        ; implicit-def: $vgpr0_vgpr1
	s_branch .LBB225_547
.LBB225_539:
	s_mov_b64 s[2:3], -1
                                        ; implicit-def: $vgpr0_vgpr1
	s_branch .LBB225_544
.LBB225_540:
	s_mov_b64 s[2:3], -1
                                        ; implicit-def: $vgpr0_vgpr1
.LBB225_541:
	s_and_b64 vcc, exec, s[2:3]
	s_cbranch_vccz .LBB225_543
; %bb.542:
	global_load_ubyte v0, v[4:5], off
	s_mov_b32 s2, 0x7f800000
	s_waitcnt vmcnt(0)
	v_lshlrev_b32_e32 v0, 24, v0
	v_and_b32_e32 v1, 0x7f000000, v0
	v_ffbh_u32_e32 v2, v1
	v_min_u32_e32 v2, 32, v2
	v_sub_u32_e64 v2, v2, 4 clamp
	v_lshlrev_b32_e32 v7, v2, v1
	v_lshlrev_b32_e32 v2, 23, v2
	v_lshrrev_b32_e32 v7, 4, v7
	v_add_u32_e32 v3, 0x1000000, v1
	v_sub_u32_e32 v2, v7, v2
	v_ashrrev_i32_e32 v3, 8, v3
	v_add_u32_e32 v2, 0x3c000000, v2
	v_and_or_b32 v2, v3, s2, v2
	v_cmp_ne_u32_e32 vcc, 0, v1
	s_brev_b32 s2, 1
	s_nop 0
	v_cndmask_b32_e32 v1, 0, v2, vcc
	v_and_or_b32 v0, v0, s2, v1
	v_cvt_f64_f32_e32 v[0:1], v0
.LBB225_543:
	s_mov_b64 s[2:3], 0
.LBB225_544:
	s_andn2_b64 vcc, exec, s[2:3]
	s_cbranch_vccnz .LBB225_546
; %bb.545:
	global_load_ubyte v0, v[4:5], off
	s_movk_i32 s2, 0x7f00
	s_brev_b32 s3, 16
	s_waitcnt vmcnt(0)
	v_lshlrev_b16_e32 v1, 8, v0
	v_lshlrev_b32_e32 v0, 25, v0
	v_lshrrev_b32_e32 v2, 4, v0
	v_and_or_b32 v3, v1, s2, 0.5
	v_or_b32_e32 v2, 0x70000000, v2
	v_add_f32_e32 v3, -0.5, v3
	v_mul_f32_e32 v2, 0x7800000, v2
	v_cmp_gt_u32_e32 vcc, s3, v0
	v_bfe_i32 v1, v1, 0, 16
	s_brev_b32 s2, 1
	v_cndmask_b32_e32 v0, v2, v3, vcc
	v_and_or_b32 v0, v1, s2, v0
	v_cvt_f64_f32_e32 v[0:1], v0
.LBB225_546:
	s_mov_b64 s[4:5], 0
	s_mov_b64 s[2:3], -1
.LBB225_547:
	s_andn2_b64 vcc, exec, s[4:5]
	s_cbranch_vccnz .LBB225_558
; %bb.548:
	s_cmp_gt_i32 s10, 14
	s_cbranch_scc0 .LBB225_551
; %bb.549:
	s_cmp_eq_u32 s10, 15
	s_cbranch_scc0 .LBB225_552
; %bb.550:
	global_load_ushort v0, v[4:5], off
	s_mov_b64 s[2:3], -1
	s_mov_b64 s[6:7], 0
	s_waitcnt vmcnt(0)
	v_lshlrev_b32_e32 v0, 16, v0
	v_cvt_f64_f32_e32 v[0:1], v0
	s_branch .LBB225_553
.LBB225_551:
	s_mov_b64 s[4:5], -1
                                        ; implicit-def: $vgpr0_vgpr1
	s_branch .LBB225_554
.LBB225_552:
	s_mov_b64 s[6:7], -1
                                        ; implicit-def: $vgpr0_vgpr1
.LBB225_553:
	s_mov_b64 s[4:5], 0
.LBB225_554:
	s_and_b64 vcc, exec, s[4:5]
	s_cbranch_vccz .LBB225_558
; %bb.555:
	s_cmp_eq_u32 s10, 11
	s_cbranch_scc0 .LBB225_557
; %bb.556:
	global_load_ubyte v1, v[4:5], off
	v_mov_b32_e32 v2, 0x3ff00000
	v_mov_b32_e32 v0, 0
	s_mov_b64 s[2:3], -1
	s_mov_b64 s[6:7], 0
	s_waitcnt vmcnt(0)
	v_cmp_ne_u16_e32 vcc, 0, v1
	s_nop 1
	v_cndmask_b32_e32 v1, 0, v2, vcc
	s_branch .LBB225_558
.LBB225_557:
	s_mov_b64 s[6:7], -1
                                        ; implicit-def: $vgpr0_vgpr1
.LBB225_558:
	v_mov_b64_e32 v[2:3], 0
.LBB225_559:
	s_branch .LBB225_329
.LBB225_560:
	s_cmp_lt_i32 s10, 5
	s_cbranch_scc1 .LBB225_565
; %bb.561:
	s_cmp_lt_i32 s10, 8
	s_cbranch_scc1 .LBB225_566
; %bb.562:
	;; [unrolled: 3-line block ×3, first 2 shown]
	s_cmp_gt_i32 s10, 9
	s_cbranch_scc0 .LBB225_568
; %bb.564:
	global_load_dwordx4 v[0:3], v[4:5], off
	s_mov_b64 s[2:3], 0
	s_branch .LBB225_569
.LBB225_565:
	s_mov_b64 s[2:3], -1
                                        ; implicit-def: $vgpr2_vgpr3
	s_branch .LBB225_588
.LBB225_566:
	s_mov_b64 s[2:3], -1
                                        ; implicit-def: $vgpr2_vgpr3
	s_branch .LBB225_575
.LBB225_567:
	s_mov_b64 s[2:3], -1
                                        ; implicit-def: $vgpr2_vgpr3
	s_branch .LBB225_572
.LBB225_568:
	s_mov_b64 s[2:3], -1
                                        ; implicit-def: $vgpr2_vgpr3
.LBB225_569:
	s_andn2_b64 vcc, exec, s[2:3]
	s_cbranch_vccnz .LBB225_571
; %bb.570:
	global_load_dwordx2 v[2:3], v[4:5], off
	s_waitcnt vmcnt(0)
	v_cvt_f64_f32_e32 v[0:1], v2
	v_cvt_f64_f32_e32 v[2:3], v3
.LBB225_571:
	s_mov_b64 s[2:3], 0
.LBB225_572:
	s_andn2_b64 vcc, exec, s[2:3]
	s_cbranch_vccnz .LBB225_574
; %bb.573:
	global_load_dword v0, v[4:5], off
	s_waitcnt vmcnt(0)
	v_cvt_f32_f16_e32 v1, v0
	v_cvt_f32_f16_sdwa v2, v0 dst_sel:DWORD dst_unused:UNUSED_PAD src0_sel:WORD_1
	v_cvt_f64_f32_e32 v[0:1], v1
	v_cvt_f64_f32_e32 v[2:3], v2
.LBB225_574:
	s_mov_b64 s[2:3], 0
.LBB225_575:
	s_andn2_b64 vcc, exec, s[2:3]
	s_cbranch_vccnz .LBB225_587
; %bb.576:
	s_cmp_lt_i32 s10, 6
	s_cbranch_scc1 .LBB225_579
; %bb.577:
	s_cmp_gt_i32 s10, 6
	s_cbranch_scc0 .LBB225_580
; %bb.578:
	global_load_dwordx2 v[0:1], v[4:5], off
	s_mov_b64 s[2:3], 0
	s_branch .LBB225_581
.LBB225_579:
	s_mov_b64 s[2:3], -1
                                        ; implicit-def: $vgpr0_vgpr1
	s_branch .LBB225_584
.LBB225_580:
	s_mov_b64 s[2:3], -1
                                        ; implicit-def: $vgpr0_vgpr1
.LBB225_581:
	s_andn2_b64 vcc, exec, s[2:3]
	s_cbranch_vccnz .LBB225_583
; %bb.582:
	global_load_dword v0, v[4:5], off
	s_waitcnt vmcnt(0)
	v_cvt_f64_f32_e32 v[0:1], v0
.LBB225_583:
	s_mov_b64 s[2:3], 0
.LBB225_584:
	s_andn2_b64 vcc, exec, s[2:3]
	s_cbranch_vccnz .LBB225_586
; %bb.585:
	global_load_ushort v0, v[4:5], off
	s_waitcnt vmcnt(0)
	v_cvt_f32_f16_e32 v0, v0
	v_cvt_f64_f32_e32 v[0:1], v0
.LBB225_586:
	s_waitcnt vmcnt(0)
	v_mov_b64_e32 v[2:3], 0
.LBB225_587:
	s_mov_b64 s[2:3], 0
.LBB225_588:
	s_andn2_b64 vcc, exec, s[2:3]
	s_cbranch_vccnz .LBB225_609
; %bb.589:
	s_cmp_lt_i32 s10, 2
	s_cbranch_scc1 .LBB225_593
; %bb.590:
	s_cmp_lt_i32 s10, 3
	s_cbranch_scc1 .LBB225_594
; %bb.591:
	s_cmp_gt_i32 s10, 3
	s_cbranch_scc0 .LBB225_595
; %bb.592:
	global_load_dwordx2 v[0:1], v[4:5], off
	s_mov_b64 s[2:3], 0
	s_waitcnt vmcnt(0)
	v_cvt_f64_i32_e32 v[2:3], v1
	v_cvt_f64_u32_e32 v[0:1], v0
	v_ldexp_f64 v[2:3], v[2:3], 32
	v_add_f64 v[0:1], v[2:3], v[0:1]
	s_branch .LBB225_596
.LBB225_593:
	s_mov_b64 s[2:3], -1
                                        ; implicit-def: $vgpr0_vgpr1
	s_branch .LBB225_602
.LBB225_594:
	s_mov_b64 s[2:3], -1
                                        ; implicit-def: $vgpr0_vgpr1
	s_branch .LBB225_599
.LBB225_595:
	s_mov_b64 s[2:3], -1
                                        ; implicit-def: $vgpr0_vgpr1
.LBB225_596:
	s_andn2_b64 vcc, exec, s[2:3]
	s_cbranch_vccnz .LBB225_598
; %bb.597:
	global_load_dword v0, v[4:5], off
	s_waitcnt vmcnt(0)
	v_cvt_f64_i32_e32 v[0:1], v0
.LBB225_598:
	s_mov_b64 s[2:3], 0
.LBB225_599:
	s_andn2_b64 vcc, exec, s[2:3]
	s_cbranch_vccnz .LBB225_601
; %bb.600:
	global_load_sshort v0, v[4:5], off
	s_waitcnt vmcnt(0)
	v_cvt_f64_i32_e32 v[0:1], v0
.LBB225_601:
	s_mov_b64 s[2:3], 0
.LBB225_602:
	s_andn2_b64 vcc, exec, s[2:3]
	s_cbranch_vccnz .LBB225_608
; %bb.603:
	s_cmp_gt_i32 s10, 0
	s_cbranch_scc0 .LBB225_605
; %bb.604:
	global_load_sbyte v0, v[4:5], off
	s_mov_b64 s[2:3], 0
	s_waitcnt vmcnt(0)
	v_cvt_f64_i32_e32 v[0:1], v0
	s_branch .LBB225_606
.LBB225_605:
	s_mov_b64 s[2:3], -1
                                        ; implicit-def: $vgpr0_vgpr1
.LBB225_606:
	s_andn2_b64 vcc, exec, s[2:3]
	s_cbranch_vccnz .LBB225_608
; %bb.607:
	global_load_ubyte v0, v[4:5], off
	s_waitcnt vmcnt(0)
	v_cvt_f64_u32_e32 v[0:1], v0
.LBB225_608:
	s_waitcnt vmcnt(0)
	v_mov_b64_e32 v[2:3], 0
.LBB225_609:
	s_branch .LBB225_330
.LBB225_610:
	s_mov_b64 s[2:3], 0
	s_mov_b64 s[4:5], s[54:55]
.LBB225_611:
                                        ; implicit-def: $vgpr12
.LBB225_612:
	s_andn2_b64 s[8:9], s[54:55], exec
	s_and_b64 s[4:5], s[4:5], exec
	s_or_b64 s[62:63], s[8:9], s[4:5]
	s_andn2_b64 s[4:5], s[56:57], exec
	s_and_b64 s[6:7], s[6:7], exec
	s_or_b64 s[60:61], s[4:5], s[6:7]
	s_orn2_b64 s[2:3], s[2:3], exec
.LBB225_613:
	s_or_b64 exec, exec, s[64:65]
	s_mov_b64 s[4:5], 0
	s_mov_b64 s[6:7], 0
	;; [unrolled: 1-line block ×3, first 2 shown]
                                        ; implicit-def: $vgpr4_vgpr5
                                        ; implicit-def: $vgpr6
                                        ; implicit-def: $vgpr2_vgpr3
	s_and_saveexec_b64 s[64:65], s[2:3]
	s_cbranch_execz .LBB225_1028
; %bb.614:
	v_cmp_gt_i32_e32 vcc, s70, v12
	s_mov_b64 s[6:7], -1
	s_mov_b64 s[2:3], s[60:61]
	s_mov_b64 s[68:69], s[62:63]
	s_and_saveexec_b64 s[66:67], vcc
	s_cbranch_execz .LBB225_924
; %bb.615:
	s_andn2_b64 vcc, exec, s[42:43]
	s_cbranch_vccnz .LBB225_621
; %bb.616:
	s_andn2_b64 vcc, exec, s[52:53]
	s_cbranch_vccnz .LBB225_622
; %bb.617:
	s_add_i32 s76, s75, 1
	s_cmp_eq_u32 s72, 2
	s_cbranch_scc1 .LBB225_623
; %bb.618:
	s_and_b32 s71, s76, 28
	s_mov_b32 s77, 0
	v_mov_b32_e32 v6, 0
	s_waitcnt vmcnt(0)
	v_mov_b32_e32 v0, 0
	s_mov_b64 s[2:3], s[34:35]
	s_mov_b64 s[68:69], s[50:51]
	v_mov_b32_e32 v2, v12
.LBB225_619:                            ; =>This Inner Loop Header: Depth=1
	s_load_dwordx8 s[12:19], s[2:3], 0x4
	s_load_dwordx4 s[36:39], s[2:3], 0x24
	s_load_dwordx8 s[4:11], s[68:69], 0x0
	s_add_u32 s2, s2, 48
	s_addc_u32 s3, s3, 0
	s_waitcnt lgkmcnt(0)
	v_mul_hi_u32 v1, s13, v2
	v_add_u32_e32 v1, v2, v1
	v_lshrrev_b32_e32 v1, s14, v1
	v_mul_lo_u32 v3, v1, s12
	v_mul_hi_u32 v4, s16, v1
	v_sub_u32_e32 v2, v2, v3
	v_add_u32_e32 v3, v1, v4
	v_lshrrev_b32_e32 v3, s17, v3
	v_mul_lo_u32 v5, v3, s15
	v_mul_hi_u32 v7, s19, v3
	v_sub_u32_e32 v1, v1, v5
	v_add_u32_e32 v5, v3, v7
	v_mul_lo_u32 v4, v2, s5
	v_mul_lo_u32 v2, v2, s4
	;; [unrolled: 1-line block ×4, first 2 shown]
	v_lshrrev_b32_e32 v5, s36, v5
	v_add3_u32 v1, v2, v6, v1
	v_add3_u32 v0, v4, v0, v7
	v_mul_lo_u32 v2, v5, s18
	v_mul_hi_u32 v4, s38, v5
	v_sub_u32_e32 v2, v3, v2
	v_add_u32_e32 v3, v5, v4
	v_mul_lo_u32 v4, v2, s8
	v_mul_lo_u32 v6, v2, s9
	v_lshrrev_b32_e32 v2, s39, v3
	s_add_i32 s77, s77, 4
	v_mul_lo_u32 v3, v2, s37
	s_add_u32 s68, s68, 32
	v_sub_u32_e32 v3, v5, v3
	s_addc_u32 s69, s69, 0
	v_mul_lo_u32 v5, v3, s10
	v_mul_lo_u32 v3, v3, s11
	s_cmp_eq_u32 s71, s77
	v_add3_u32 v0, v6, v0, v3
	v_add3_u32 v6, v4, v1, v5
	s_cbranch_scc0 .LBB225_619
; %bb.620:
	v_mov_b32_e32 v1, v0
	s_branch .LBB225_624
.LBB225_621:
	s_mov_b64 s[2:3], -1
                                        ; implicit-def: $vgpr0
                                        ; implicit-def: $vgpr6
	s_branch .LBB225_628
.LBB225_622:
	s_waitcnt vmcnt(0)
	v_mov_b32_e32 v0, 0
	v_mov_b32_e32 v6, 0
	s_branch .LBB225_627
.LBB225_623:
	v_mov_b32_e32 v6, 0
	s_mov_b32 s71, 0
	s_waitcnt vmcnt(0)
	v_mov_b32_e32 v1, v6
                                        ; implicit-def: $vgpr0
	v_mov_b32_e32 v2, v12
.LBB225_624:
	s_and_b32 s6, s76, 3
	s_cmp_eq_u32 s6, 0
	s_cbranch_scc1 .LBB225_627
; %bb.625:
	s_lshl_b32 s2, s71, 3
	s_add_u32 s2, s34, s2
	s_addc_u32 s3, s35, 0
	s_add_u32 s2, s2, 0xc4
	s_addc_u32 s3, s3, 0
	s_mul_i32 s4, s71, 12
	s_add_u32 s4, s34, s4
	s_addc_u32 s5, s35, 0
.LBB225_626:                            ; =>This Inner Loop Header: Depth=1
	s_load_dwordx2 s[8:9], s[4:5], 0x4
	s_load_dword s7, s[4:5], 0xc
	s_load_dwordx2 s[10:11], s[2:3], 0x0
	v_mov_b32_e32 v0, v1
	s_add_u32 s4, s4, 12
	s_waitcnt lgkmcnt(0)
	v_mul_hi_u32 v1, s9, v2
	v_add_u32_e32 v1, v2, v1
	v_lshrrev_b32_e32 v1, s7, v1
	s_addc_u32 s5, s5, 0
	v_mul_lo_u32 v3, v1, s8
	s_add_u32 s2, s2, 8
	v_sub_u32_e32 v3, v2, v3
	s_addc_u32 s3, s3, 0
	s_add_i32 s6, s6, -1
	v_mov_b32_e32 v2, v1
	v_mad_u64_u32 v[0:1], s[8:9], v3, s11, v[0:1]
	s_cmp_lg_u32 s6, 0
	v_mad_u64_u32 v[6:7], s[8:9], v3, s10, v[6:7]
	v_mov_b32_e32 v1, v0
	s_cbranch_scc1 .LBB225_626
.LBB225_627:
	s_mov_b64 s[2:3], 0
.LBB225_628:
	s_andn2_b64 vcc, exec, s[2:3]
	s_cbranch_vccnz .LBB225_631
; %bb.629:
	s_waitcnt vmcnt(0) lgkmcnt(0)
	v_mul_hi_u32 v0, s29, v12
	v_add_u32_e32 v0, v12, v0
	v_lshrrev_b32_e32 v1, s30, v0
	v_mul_lo_u32 v0, v1, s28
	v_sub_u32_e32 v2, v12, v0
	v_mul_lo_u32 v0, v2, s25
	s_andn2_b64 vcc, exec, s[48:49]
	v_mul_lo_u32 v6, v2, s24
	s_cbranch_vccnz .LBB225_631
; %bb.630:
	v_mul_hi_u32 v2, s46, v1
	v_add_u32_e32 v2, v1, v2
	v_lshrrev_b32_e32 v2, s47, v2
	v_mul_lo_u32 v2, v2, s31
	v_sub_u32_e32 v1, v1, v2
	v_mad_u64_u32 v[6:7], s[2:3], v1, s26, v[6:7]
	v_mad_u64_u32 v[0:1], s[2:3], v1, s27, v[0:1]
.LBB225_631:
	s_waitcnt vmcnt(0)
	v_mov_b32_e32 v1, 0
	s_and_b32 s10, 0xffff, s74
	s_cmp_lt_i32 s10, 11
	s_waitcnt lgkmcnt(0)
	v_lshl_add_u64 v[4:5], s[22:23], 0, v[0:1]
	s_cbranch_scc1 .LBB225_638
; %bb.632:
	s_cmp_gt_i32 s10, 25
	s_cbranch_scc0 .LBB225_639
; %bb.633:
	s_cmp_gt_i32 s10, 28
	s_cbranch_scc0 .LBB225_640
	;; [unrolled: 3-line block ×4, first 2 shown]
; %bb.636:
	s_cmp_eq_u32 s10, 46
	s_mov_b64 s[4:5], 0
	s_cbranch_scc0 .LBB225_647
; %bb.637:
	global_load_dword v0, v[4:5], off
	s_mov_b64 s[2:3], -1
	s_mov_b64 s[6:7], 0
	s_waitcnt vmcnt(0)
	v_and_b32_e32 v2, 0xffff0000, v0
	v_lshlrev_b32_e32 v0, 16, v0
	v_cvt_f64_f32_e32 v[0:1], v0
	v_cvt_f64_f32_e32 v[2:3], v2
	s_branch .LBB225_648
.LBB225_638:
	s_mov_b64 s[4:5], -1
	s_mov_b64 s[2:3], 0
                                        ; implicit-def: $vgpr2_vgpr3
	s_mov_b64 s[6:7], s[60:61]
	s_branch .LBB225_716
.LBB225_639:
	s_mov_b64 s[4:5], -1
	s_mov_b64 s[2:3], 0
	s_mov_b64 s[6:7], s[60:61]
                                        ; implicit-def: $vgpr2_vgpr3
	s_branch .LBB225_681
.LBB225_640:
	s_mov_b64 s[4:5], -1
	s_mov_b64 s[2:3], 0
	s_mov_b64 s[6:7], s[60:61]
                                        ; implicit-def: $vgpr2_vgpr3
	s_branch .LBB225_660
.LBB225_641:
	s_mov_b64 s[4:5], -1
	s_mov_b64 s[2:3], 0
	s_mov_b64 s[6:7], s[60:61]
                                        ; implicit-def: $vgpr2_vgpr3
	s_branch .LBB225_654
.LBB225_642:
	s_andn2_saveexec_b64 s[10:11], s[10:11]
	s_cbranch_execz .LBB225_405
.LBB225_643:
	s_mov_b32 s14, 0x46000000
	v_add_f32_e64 v7, |v6|, s14
	v_and_b32_e32 v7, 0xff, v7
	v_cmp_ne_u32_e32 vcc, 0, v7
	s_andn2_b64 s[8:9], s[8:9], exec
	s_and_b64 s[14:15], vcc, exec
	s_or_b64 s[8:9], s[8:9], s[14:15]
	s_or_b64 exec, exec, s[10:11]
	v_mov_b32_e32 v8, 0
	s_and_saveexec_b64 s[10:11], s[8:9]
	s_cbranch_execnz .LBB225_406
	s_branch .LBB225_407
.LBB225_644:
	s_mov_b64 s[4:5], -1
	s_mov_b64 s[2:3], 0
	s_mov_b64 s[6:7], s[60:61]
                                        ; implicit-def: $vgpr2_vgpr3
	s_branch .LBB225_648
.LBB225_645:
	s_andn2_saveexec_b64 s[10:11], s[10:11]
	s_cbranch_execz .LBB225_418
.LBB225_646:
	s_mov_b32 s14, 0x42800000
	v_add_f32_e64 v7, |v6|, s14
	v_and_b32_e32 v7, 0xff, v7
	v_cmp_ne_u32_e32 vcc, 0, v7
	s_andn2_b64 s[8:9], s[8:9], exec
	s_and_b64 s[14:15], vcc, exec
	s_or_b64 s[8:9], s[8:9], s[14:15]
	s_or_b64 exec, exec, s[10:11]
	v_mov_b32_e32 v8, 0
	s_and_saveexec_b64 s[10:11], s[8:9]
	s_cbranch_execnz .LBB225_419
	s_branch .LBB225_420
.LBB225_647:
	s_mov_b64 s[6:7], -1
                                        ; implicit-def: $vgpr2_vgpr3
	s_mov_b64 s[2:3], 0
.LBB225_648:
	s_and_b64 vcc, exec, s[4:5]
	s_cbranch_vccz .LBB225_653
; %bb.649:
	s_cmp_eq_u32 s10, 44
	s_cbranch_scc0 .LBB225_651
; %bb.650:
	global_load_ubyte v2, v[4:5], off
	s_movk_i32 s4, 0xff
	v_bfrev_b32_e32 v3, 4
	v_mov_b32_e32 v7, 0x7ff80000
	v_bfrev_b32_e32 v8, 28
	s_mov_b64 s[2:3], -1
	s_mov_b64 s[6:7], 0
	s_waitcnt vmcnt(0)
	v_lshlrev_b32_e32 v0, 23, v2
	v_cvt_f64_f32_e32 v[0:1], v0
	v_cmp_ne_u32_e32 vcc, s4, v2
	s_nop 1
	v_cndmask_b32_e32 v0, v3, v0, vcc
	v_cndmask_b32_e32 v1, v7, v1, vcc
	v_cmp_ne_u32_e32 vcc, 0, v2
	s_nop 1
	v_cndmask_b32_e32 v1, v8, v1, vcc
	v_cndmask_b32_e32 v0, 0, v0, vcc
	s_branch .LBB225_652
.LBB225_651:
	s_mov_b64 s[6:7], -1
                                        ; implicit-def: $vgpr0_vgpr1
.LBB225_652:
	v_mov_b64_e32 v[2:3], 0
.LBB225_653:
	s_mov_b64 s[4:5], 0
.LBB225_654:
	s_and_b64 vcc, exec, s[4:5]
	s_cbranch_vccz .LBB225_659
; %bb.655:
	s_cmp_eq_u32 s10, 29
	s_cbranch_scc0 .LBB225_657
; %bb.656:
	global_load_dwordx2 v[0:1], v[4:5], off
	s_mov_b64 s[2:3], -1
	s_mov_b64 s[6:7], 0
	s_waitcnt vmcnt(0)
	v_cvt_f64_u32_e32 v[2:3], v1
	v_cvt_f64_u32_e32 v[0:1], v0
	v_ldexp_f64 v[2:3], v[2:3], 32
	v_add_f64 v[0:1], v[2:3], v[0:1]
	s_branch .LBB225_658
.LBB225_657:
	s_mov_b64 s[6:7], -1
                                        ; implicit-def: $vgpr0_vgpr1
.LBB225_658:
	v_mov_b64_e32 v[2:3], 0
.LBB225_659:
	s_mov_b64 s[4:5], 0
.LBB225_660:
	s_and_b64 vcc, exec, s[4:5]
	s_cbranch_vccz .LBB225_680
; %bb.661:
	s_cmp_lt_i32 s10, 27
	s_cbranch_scc1 .LBB225_664
; %bb.662:
	s_cmp_gt_i32 s10, 27
	s_cbranch_scc0 .LBB225_665
; %bb.663:
	global_load_dword v0, v[4:5], off
	s_mov_b64 s[2:3], 0
	s_waitcnt vmcnt(0)
	v_cvt_f64_u32_e32 v[0:1], v0
	s_branch .LBB225_666
.LBB225_664:
	s_mov_b64 s[2:3], -1
                                        ; implicit-def: $vgpr0_vgpr1
	s_branch .LBB225_669
.LBB225_665:
	s_mov_b64 s[2:3], -1
                                        ; implicit-def: $vgpr0_vgpr1
.LBB225_666:
	s_andn2_b64 vcc, exec, s[2:3]
	s_cbranch_vccnz .LBB225_668
; %bb.667:
	global_load_ushort v0, v[4:5], off
	s_waitcnt vmcnt(0)
	v_cvt_f64_u32_e32 v[0:1], v0
.LBB225_668:
	s_mov_b64 s[2:3], 0
.LBB225_669:
	s_andn2_b64 vcc, exec, s[2:3]
	s_cbranch_vccnz .LBB225_679
; %bb.670:
	global_load_ubyte v2, v[4:5], off
	s_movk_i32 s2, 0x7f
	s_waitcnt vmcnt(0)
	v_cmp_lt_i16_e32 vcc, s2, v2
	s_mov_b64 s[2:3], 0
	s_and_saveexec_b64 s[4:5], vcc
	s_xor_b64 s[4:5], exec, s[4:5]
	s_cbranch_execz .LBB225_674
; %bb.671:
	s_movk_i32 s2, 0x80
	v_cmp_eq_u16_e32 vcc, s2, v2
	s_mov_b64 s[2:3], -1
	s_and_saveexec_b64 s[8:9], vcc
; %bb.672:
	s_xor_b64 s[2:3], exec, -1
; %bb.673:
	s_or_b64 exec, exec, s[8:9]
	s_and_b64 s[2:3], s[2:3], exec
.LBB225_674:
	s_or_saveexec_b64 s[4:5], s[4:5]
	v_bfrev_b32_e32 v0, 4
	v_mov_b32_e32 v1, 0x7ff80000
	s_xor_b64 exec, exec, s[4:5]
; %bb.675:
	v_cmp_ne_u16_e32 vcc, 0, v2
	s_andn2_b64 s[2:3], s[2:3], exec
	s_and_b64 s[8:9], vcc, exec
	v_mov_b64_e32 v[0:1], 0
	s_or_b64 s[2:3], s[2:3], s[8:9]
; %bb.676:
	s_or_b64 exec, exec, s[4:5]
	s_and_saveexec_b64 s[4:5], s[2:3]
	s_cbranch_execz .LBB225_678
; %bb.677:
	v_and_b32_e32 v1, 0xffff, v2
	v_lshlrev_b32_e32 v0, 24, v2
	v_and_b32_e32 v2, 7, v1
	v_ffbh_u32_e32 v7, v2
	v_min_u32_e32 v7, 32, v7
	v_subrev_u32_e32 v8, 28, v7
	v_bfe_u32 v3, v1, 3, 4
	v_lshlrev_b32_e32 v1, v8, v1
	v_sub_u32_e32 v7, 29, v7
	v_and_b32_e32 v1, 7, v1
	v_cmp_eq_u32_e32 vcc, 0, v3
	v_and_b32_e32 v0, 0x80000000, v0
	s_nop 0
	v_cndmask_b32_e32 v3, v3, v7, vcc
	v_cndmask_b32_e32 v1, v2, v1, vcc
	v_mov_b32_e32 v2, 0x3b800000
	v_lshlrev_b32_e32 v1, 20, v1
	v_lshl_add_u32 v2, v3, 23, v2
	v_or3_b32 v0, v0, v2, v1
	v_cvt_f64_f32_e32 v[0:1], v0
.LBB225_678:
	s_or_b64 exec, exec, s[4:5]
.LBB225_679:
	s_mov_b64 s[2:3], -1
	v_mov_b64_e32 v[2:3], 0
.LBB225_680:
	s_mov_b64 s[4:5], 0
.LBB225_681:
	s_and_b64 vcc, exec, s[4:5]
	s_cbranch_vccz .LBB225_715
; %bb.682:
	s_cmp_gt_i32 s10, 22
	s_cbranch_scc0 .LBB225_694
; %bb.683:
	s_cmp_lt_i32 s10, 24
	s_cbranch_scc1 .LBB225_695
; %bb.684:
	s_cmp_gt_i32 s10, 24
	s_cbranch_scc0 .LBB225_696
; %bb.685:
	global_load_ubyte v2, v[4:5], off
	s_movk_i32 s2, 0x7f
	s_waitcnt vmcnt(0)
	v_cmp_lt_i16_e32 vcc, s2, v2
	s_mov_b64 s[2:3], 0
	s_and_saveexec_b64 s[4:5], vcc
	s_xor_b64 s[4:5], exec, s[4:5]
	s_cbranch_execz .LBB225_689
; %bb.686:
	s_movk_i32 s2, 0x80
	v_cmp_eq_u16_e32 vcc, s2, v2
	s_mov_b64 s[2:3], -1
	s_and_saveexec_b64 s[8:9], vcc
; %bb.687:
	s_xor_b64 s[2:3], exec, -1
; %bb.688:
	s_or_b64 exec, exec, s[8:9]
	s_and_b64 s[2:3], s[2:3], exec
.LBB225_689:
	s_or_saveexec_b64 s[4:5], s[4:5]
	v_bfrev_b32_e32 v0, 4
	v_mov_b32_e32 v1, 0x7ff80000
	s_xor_b64 exec, exec, s[4:5]
; %bb.690:
	v_cmp_ne_u16_e32 vcc, 0, v2
	s_andn2_b64 s[2:3], s[2:3], exec
	s_and_b64 s[8:9], vcc, exec
	v_mov_b64_e32 v[0:1], 0
	s_or_b64 s[2:3], s[2:3], s[8:9]
; %bb.691:
	s_or_b64 exec, exec, s[4:5]
	s_and_saveexec_b64 s[4:5], s[2:3]
	s_cbranch_execz .LBB225_693
; %bb.692:
	v_and_b32_e32 v1, 0xffff, v2
	v_lshlrev_b32_e32 v0, 24, v2
	v_and_b32_e32 v2, 3, v1
	v_ffbh_u32_e32 v7, v2
	v_min_u32_e32 v7, 32, v7
	v_subrev_u32_e32 v8, 29, v7
	v_bfe_u32 v3, v1, 2, 5
	v_lshlrev_b32_e32 v1, v8, v1
	v_sub_u32_e32 v7, 30, v7
	v_and_b32_e32 v1, 3, v1
	v_cmp_eq_u32_e32 vcc, 0, v3
	v_and_b32_e32 v0, 0x80000000, v0
	s_nop 0
	v_cndmask_b32_e32 v3, v3, v7, vcc
	v_cndmask_b32_e32 v1, v2, v1, vcc
	v_mov_b32_e32 v2, 0x37800000
	v_lshlrev_b32_e32 v1, 21, v1
	v_lshl_add_u32 v2, v3, 23, v2
	v_or3_b32 v0, v0, v2, v1
	v_cvt_f64_f32_e32 v[0:1], v0
.LBB225_693:
	s_or_b64 exec, exec, s[4:5]
	s_mov_b64 s[2:3], 0
	s_branch .LBB225_697
.LBB225_694:
	s_mov_b64 s[4:5], -1
                                        ; implicit-def: $vgpr0_vgpr1
	s_branch .LBB225_703
.LBB225_695:
	s_mov_b64 s[2:3], -1
                                        ; implicit-def: $vgpr0_vgpr1
	s_branch .LBB225_700
.LBB225_696:
	s_mov_b64 s[2:3], -1
                                        ; implicit-def: $vgpr0_vgpr1
.LBB225_697:
	s_and_b64 vcc, exec, s[2:3]
	s_cbranch_vccz .LBB225_699
; %bb.698:
	global_load_ubyte v0, v[4:5], off
	s_mov_b32 s2, 0x7f800000
	s_waitcnt vmcnt(0)
	v_lshlrev_b32_e32 v0, 24, v0
	v_and_b32_e32 v1, 0x7f000000, v0
	v_ffbh_u32_e32 v2, v1
	v_min_u32_e32 v2, 32, v2
	v_sub_u32_e64 v2, v2, 4 clamp
	v_lshlrev_b32_e32 v7, v2, v1
	v_lshlrev_b32_e32 v2, 23, v2
	v_lshrrev_b32_e32 v7, 4, v7
	v_add_u32_e32 v3, 0x1000000, v1
	v_sub_u32_e32 v2, v7, v2
	v_ashrrev_i32_e32 v3, 8, v3
	v_add_u32_e32 v2, 0x3c000000, v2
	v_and_or_b32 v2, v3, s2, v2
	v_cmp_ne_u32_e32 vcc, 0, v1
	s_brev_b32 s2, 1
	s_nop 0
	v_cndmask_b32_e32 v1, 0, v2, vcc
	v_and_or_b32 v0, v0, s2, v1
	v_cvt_f64_f32_e32 v[0:1], v0
.LBB225_699:
	s_mov_b64 s[2:3], 0
.LBB225_700:
	s_andn2_b64 vcc, exec, s[2:3]
	s_cbranch_vccnz .LBB225_702
; %bb.701:
	global_load_ubyte v0, v[4:5], off
	s_movk_i32 s2, 0x7f00
	s_brev_b32 s3, 16
	s_waitcnt vmcnt(0)
	v_lshlrev_b16_e32 v1, 8, v0
	v_lshlrev_b32_e32 v0, 25, v0
	v_lshrrev_b32_e32 v2, 4, v0
	v_and_or_b32 v3, v1, s2, 0.5
	v_or_b32_e32 v2, 0x70000000, v2
	v_add_f32_e32 v3, -0.5, v3
	v_mul_f32_e32 v2, 0x7800000, v2
	v_cmp_gt_u32_e32 vcc, s3, v0
	v_bfe_i32 v1, v1, 0, 16
	s_brev_b32 s2, 1
	v_cndmask_b32_e32 v0, v2, v3, vcc
	v_and_or_b32 v0, v1, s2, v0
	v_cvt_f64_f32_e32 v[0:1], v0
.LBB225_702:
	s_mov_b64 s[4:5], 0
	s_mov_b64 s[2:3], -1
.LBB225_703:
	s_andn2_b64 vcc, exec, s[4:5]
	s_cbranch_vccnz .LBB225_714
; %bb.704:
	s_cmp_gt_i32 s10, 14
	s_cbranch_scc0 .LBB225_707
; %bb.705:
	s_cmp_eq_u32 s10, 15
	s_cbranch_scc0 .LBB225_708
; %bb.706:
	global_load_ushort v0, v[4:5], off
	s_mov_b64 s[2:3], -1
	s_mov_b64 s[6:7], 0
	s_waitcnt vmcnt(0)
	v_lshlrev_b32_e32 v0, 16, v0
	v_cvt_f64_f32_e32 v[0:1], v0
	s_branch .LBB225_709
.LBB225_707:
	s_mov_b64 s[4:5], -1
                                        ; implicit-def: $vgpr0_vgpr1
	s_branch .LBB225_710
.LBB225_708:
	s_mov_b64 s[6:7], -1
                                        ; implicit-def: $vgpr0_vgpr1
.LBB225_709:
	s_mov_b64 s[4:5], 0
.LBB225_710:
	s_and_b64 vcc, exec, s[4:5]
	s_cbranch_vccz .LBB225_714
; %bb.711:
	s_cmp_eq_u32 s10, 11
	s_cbranch_scc0 .LBB225_713
; %bb.712:
	global_load_ubyte v1, v[4:5], off
	v_mov_b32_e32 v2, 0x3ff00000
	v_mov_b32_e32 v0, 0
	s_mov_b64 s[2:3], -1
	s_mov_b64 s[6:7], 0
	s_waitcnt vmcnt(0)
	v_cmp_ne_u16_e32 vcc, 0, v1
	s_nop 1
	v_cndmask_b32_e32 v1, 0, v2, vcc
	s_branch .LBB225_714
.LBB225_713:
	s_mov_b64 s[6:7], -1
                                        ; implicit-def: $vgpr0_vgpr1
.LBB225_714:
	v_mov_b64_e32 v[2:3], 0
.LBB225_715:
	s_mov_b64 s[4:5], 0
.LBB225_716:
	s_and_b64 vcc, exec, s[4:5]
	s_cbranch_vccz .LBB225_767
; %bb.717:
	s_cmp_lt_i32 s10, 5
	s_cbranch_scc1 .LBB225_722
; %bb.718:
	s_cmp_lt_i32 s10, 8
	s_cbranch_scc1 .LBB225_723
	;; [unrolled: 3-line block ×3, first 2 shown]
; %bb.720:
	s_cmp_gt_i32 s10, 9
	s_cbranch_scc0 .LBB225_725
; %bb.721:
	global_load_dwordx4 v[0:3], v[4:5], off
	s_mov_b64 s[2:3], 0
	s_branch .LBB225_726
.LBB225_722:
	s_mov_b64 s[2:3], -1
                                        ; implicit-def: $vgpr2_vgpr3
	s_branch .LBB225_745
.LBB225_723:
	s_mov_b64 s[2:3], -1
                                        ; implicit-def: $vgpr2_vgpr3
	s_branch .LBB225_732
.LBB225_724:
	s_mov_b64 s[2:3], -1
                                        ; implicit-def: $vgpr2_vgpr3
	s_branch .LBB225_729
.LBB225_725:
	s_mov_b64 s[2:3], -1
                                        ; implicit-def: $vgpr2_vgpr3
.LBB225_726:
	s_andn2_b64 vcc, exec, s[2:3]
	s_cbranch_vccnz .LBB225_728
; %bb.727:
	global_load_dwordx2 v[2:3], v[4:5], off
	s_waitcnt vmcnt(0)
	v_cvt_f64_f32_e32 v[0:1], v2
	v_cvt_f64_f32_e32 v[2:3], v3
.LBB225_728:
	s_mov_b64 s[2:3], 0
.LBB225_729:
	s_andn2_b64 vcc, exec, s[2:3]
	s_cbranch_vccnz .LBB225_731
; %bb.730:
	global_load_dword v0, v[4:5], off
	s_waitcnt vmcnt(0)
	v_cvt_f32_f16_e32 v1, v0
	v_cvt_f32_f16_sdwa v2, v0 dst_sel:DWORD dst_unused:UNUSED_PAD src0_sel:WORD_1
	v_cvt_f64_f32_e32 v[0:1], v1
	v_cvt_f64_f32_e32 v[2:3], v2
.LBB225_731:
	s_mov_b64 s[2:3], 0
.LBB225_732:
	s_andn2_b64 vcc, exec, s[2:3]
	s_cbranch_vccnz .LBB225_744
; %bb.733:
	s_cmp_lt_i32 s10, 6
	s_cbranch_scc1 .LBB225_736
; %bb.734:
	s_cmp_gt_i32 s10, 6
	s_cbranch_scc0 .LBB225_737
; %bb.735:
	global_load_dwordx2 v[0:1], v[4:5], off
	s_mov_b64 s[2:3], 0
	s_branch .LBB225_738
.LBB225_736:
	s_mov_b64 s[2:3], -1
                                        ; implicit-def: $vgpr0_vgpr1
	s_branch .LBB225_741
.LBB225_737:
	s_mov_b64 s[2:3], -1
                                        ; implicit-def: $vgpr0_vgpr1
.LBB225_738:
	s_andn2_b64 vcc, exec, s[2:3]
	s_cbranch_vccnz .LBB225_740
; %bb.739:
	global_load_dword v0, v[4:5], off
	s_waitcnt vmcnt(0)
	v_cvt_f64_f32_e32 v[0:1], v0
.LBB225_740:
	s_mov_b64 s[2:3], 0
.LBB225_741:
	s_andn2_b64 vcc, exec, s[2:3]
	s_cbranch_vccnz .LBB225_743
; %bb.742:
	global_load_ushort v0, v[4:5], off
	s_waitcnt vmcnt(0)
	v_cvt_f32_f16_e32 v0, v0
	v_cvt_f64_f32_e32 v[0:1], v0
.LBB225_743:
	s_waitcnt vmcnt(0)
	v_mov_b64_e32 v[2:3], 0
.LBB225_744:
	s_mov_b64 s[2:3], 0
.LBB225_745:
	s_andn2_b64 vcc, exec, s[2:3]
	s_cbranch_vccnz .LBB225_766
; %bb.746:
	s_cmp_lt_i32 s10, 2
	s_cbranch_scc1 .LBB225_750
; %bb.747:
	s_cmp_lt_i32 s10, 3
	s_cbranch_scc1 .LBB225_751
; %bb.748:
	s_cmp_gt_i32 s10, 3
	s_cbranch_scc0 .LBB225_752
; %bb.749:
	global_load_dwordx2 v[0:1], v[4:5], off
	s_mov_b64 s[2:3], 0
	s_waitcnt vmcnt(0)
	v_cvt_f64_i32_e32 v[2:3], v1
	v_cvt_f64_u32_e32 v[0:1], v0
	v_ldexp_f64 v[2:3], v[2:3], 32
	v_add_f64 v[0:1], v[2:3], v[0:1]
	s_branch .LBB225_753
.LBB225_750:
	s_mov_b64 s[2:3], -1
                                        ; implicit-def: $vgpr0_vgpr1
	s_branch .LBB225_759
.LBB225_751:
	s_mov_b64 s[2:3], -1
                                        ; implicit-def: $vgpr0_vgpr1
	s_branch .LBB225_756
.LBB225_752:
	s_mov_b64 s[2:3], -1
                                        ; implicit-def: $vgpr0_vgpr1
.LBB225_753:
	s_andn2_b64 vcc, exec, s[2:3]
	s_cbranch_vccnz .LBB225_755
; %bb.754:
	global_load_dword v0, v[4:5], off
	s_waitcnt vmcnt(0)
	v_cvt_f64_i32_e32 v[0:1], v0
.LBB225_755:
	s_mov_b64 s[2:3], 0
.LBB225_756:
	s_andn2_b64 vcc, exec, s[2:3]
	s_cbranch_vccnz .LBB225_758
; %bb.757:
	global_load_sshort v0, v[4:5], off
	s_waitcnt vmcnt(0)
	v_cvt_f64_i32_e32 v[0:1], v0
.LBB225_758:
	s_mov_b64 s[2:3], 0
.LBB225_759:
	s_andn2_b64 vcc, exec, s[2:3]
	s_cbranch_vccnz .LBB225_765
; %bb.760:
	s_cmp_gt_i32 s10, 0
	s_cbranch_scc0 .LBB225_762
; %bb.761:
	global_load_sbyte v0, v[4:5], off
	s_mov_b64 s[2:3], 0
	s_waitcnt vmcnt(0)
	v_cvt_f64_i32_e32 v[0:1], v0
	s_branch .LBB225_763
.LBB225_762:
	s_mov_b64 s[2:3], -1
                                        ; implicit-def: $vgpr0_vgpr1
.LBB225_763:
	s_andn2_b64 vcc, exec, s[2:3]
	s_cbranch_vccnz .LBB225_765
; %bb.764:
	global_load_ubyte v0, v[4:5], off
	s_waitcnt vmcnt(0)
	v_cvt_f64_u32_e32 v[0:1], v0
.LBB225_765:
	s_waitcnt vmcnt(0)
	v_mov_b64_e32 v[2:3], 0
.LBB225_766:
	s_mov_b64 s[2:3], -1
.LBB225_767:
	s_andn2_b64 vcc, exec, s[2:3]
	s_cbranch_vccnz .LBB225_780
; %bb.768:
	s_waitcnt vmcnt(0)
	v_cmp_neq_f64_e32 vcc, 0, v[0:1]
	v_cmp_neq_f64_e64 s[2:3], 0, v[2:3]
	v_mov_b64_e32 v[4:5], 0
	s_or_b64 s[2:3], vcc, s[2:3]
	s_and_saveexec_b64 s[8:9], s[2:3]
	s_cbranch_execz .LBB225_799
; %bb.769:
	v_mov_b32_e32 v4, 0
	v_mov_b32_e32 v5, 0x7ff00000
	v_cmp_neq_f64_e64 s[2:3], |v[2:3]|, v[4:5]
	s_and_saveexec_b64 s[10:11], s[2:3]
	s_cbranch_execz .LBB225_798
; %bb.770:
	v_cmp_o_f64_e32 vcc, v[0:1], v[0:1]
                                        ; implicit-def: $vgpr4_vgpr5
	s_and_saveexec_b64 s[2:3], vcc
	s_xor_b64 s[12:13], exec, s[2:3]
	s_cbranch_execz .LBB225_795
; %bb.771:
	s_mov_b32 s2, 0
	s_mov_b32 s3, 0x7ff00000
	v_cmp_neq_f64_e64 s[2:3], |v[0:1]|, s[2:3]
                                        ; implicit-def: $vgpr4_vgpr5
	s_and_saveexec_b64 s[4:5], s[2:3]
	s_xor_b64 s[14:15], exec, s[4:5]
	s_cbranch_execz .LBB225_788
; %bb.772:
	v_max_f64 v[4:5], |v[2:3]|, |v[2:3]|
	v_max_f64 v[8:9], |v[0:1]|, |v[0:1]|
	s_mov_b32 s2, 0x99fcef32
	v_max_f64 v[4:5], v[8:9], v[4:5]
	s_mov_b32 s3, 0x7fda8279
	v_cmp_nle_f64_e64 s[2:3], s[2:3], v[4:5]
                                        ; implicit-def: $sgpr16_sgpr17
	s_and_saveexec_b64 s[4:5], s[2:3]
	s_xor_b64 s[4:5], exec, s[4:5]
	s_cbranch_execz .LBB225_776
; %bb.773:
	s_mov_b32 s16, 0
	s_mov_b32 s17, 0x200000
	v_cmp_le_f64_e64 s[18:19], |v[0:1]|, s[16:17]
	v_cmp_le_f64_e64 s[16:17], |v[2:3]|, s[16:17]
	s_and_b64 s[36:37], s[18:19], s[16:17]
	s_mov_b64 s[16:17], 0
	s_and_saveexec_b64 s[18:19], s[36:37]
; %bb.774:
	s_mov_b64 s[16:17], exec
	v_mul_f64 v[0:1], v[0:1], 4.0
	v_mul_f64 v[2:3], v[2:3], 4.0
; %bb.775:
	s_or_b64 exec, exec, s[18:19]
.LBB225_776:
	s_andn2_saveexec_b64 s[4:5], s[4:5]
; %bb.777:
	v_ldexp_f64 v[0:1], v[0:1], -2
	v_ldexp_f64 v[2:3], v[2:3], -2
	s_andn2_b64 s[16:17], s[16:17], exec
; %bb.778:
	s_or_b64 exec, exec, s[4:5]
	v_max_f64 v[4:5], |v[2:3]|, |v[2:3]|
	v_max_f64 v[8:9], |v[0:1]|, |v[0:1]|
	v_max_f64 v[4:5], v[8:9], v[4:5]
	v_frexp_exp_i32_f64_e32 v7, v[4:5]
	v_sub_u32_e32 v8, 0, v7
	v_ldexp_f64 v[4:5], |v[0:1]|, v8
	v_ldexp_f64 v[8:9], |v[2:3]|, v8
	v_mul_f64 v[8:9], v[8:9], v[8:9]
	v_fmac_f64_e32 v[8:9], v[4:5], v[4:5]
	v_rsq_f64_e32 v[4:5], v[8:9]
	v_cmp_eq_f64_e64 s[4:5], 0, v[8:9]
	s_movk_i32 s18, 0x204
	v_cmp_le_f64_e32 vcc, 0, v[0:1]
	v_mul_f64 v[10:11], v[8:9], v[4:5]
	v_mul_f64 v[4:5], v[4:5], 0.5
	v_fma_f64 v[14:15], -v[4:5], v[10:11], 0.5
	v_fmac_f64_e32 v[10:11], v[10:11], v[14:15]
	v_fmac_f64_e32 v[4:5], v[4:5], v[14:15]
	v_fma_f64 v[14:15], -v[10:11], v[10:11], v[8:9]
	v_fmac_f64_e32 v[10:11], v[14:15], v[4:5]
	v_cndmask_b32_e64 v5, v11, v9, s[4:5]
	v_cndmask_b32_e64 v4, v10, v8, s[4:5]
	v_ldexp_f64 v[4:5], v[4:5], v7
	v_cmp_o_f64_e64 s[4:5], v[2:3], v[2:3]
	v_mov_b32_e32 v7, 0x7ff80000
                                        ; implicit-def: $vgpr8_vgpr9
                                        ; implicit-def: $vgpr10_vgpr11
	s_nop 0
	v_cndmask_b32_e64 v4, 0, v4, s[4:5]
	v_cndmask_b32_e64 v5, v7, v5, s[4:5]
	v_cmp_class_f64_e64 s[4:5], v[0:1], s18
	v_cmp_class_f64_e64 s[18:19], v[2:3], s18
	v_mov_b32_e32 v7, 0x7ff00000
	s_or_b64 s[4:5], s[18:19], s[4:5]
	v_cndmask_b32_e64 v5, v5, v7, s[4:5]
	v_cndmask_b32_e64 v4, v4, 0, s[4:5]
	s_and_saveexec_b64 s[4:5], vcc
	s_xor_b64 s[4:5], exec, s[4:5]
	s_cbranch_execz .LBB225_781
; %bb.779:
	v_add_f64 v[0:1], v[0:1], v[4:5]
	s_mov_b32 s18, 0
	v_mul_f64 v[0:1], v[0:1], 0.5
	s_brev_b32 s19, 8
	v_mov_b32_e32 v4, 0x100
	v_cmp_gt_f64_e32 vcc, s[18:19], v[0:1]
	v_mov_b32_e32 v7, 0x260
	s_nop 0
	v_cndmask_b32_e32 v4, 0, v4, vcc
	v_ldexp_f64 v[0:1], v[0:1], v4
	v_rsq_f64_e32 v[4:5], v[0:1]
	s_nop 0
	v_mul_f64 v[8:9], v[0:1], v[4:5]
	v_mul_f64 v[4:5], v[4:5], 0.5
	v_fma_f64 v[10:11], -v[4:5], v[8:9], 0.5
	v_fmac_f64_e32 v[8:9], v[8:9], v[10:11]
	v_fma_f64 v[14:15], -v[8:9], v[8:9], v[0:1]
	v_fmac_f64_e32 v[4:5], v[4:5], v[10:11]
	v_fmac_f64_e32 v[8:9], v[14:15], v[4:5]
	v_fma_f64 v[10:11], -v[8:9], v[8:9], v[0:1]
	v_fmac_f64_e32 v[8:9], v[10:11], v[4:5]
	v_mov_b32_e32 v4, 0xffffff80
	v_cndmask_b32_e32 v4, 0, v4, vcc
	v_ldexp_f64 v[4:5], v[8:9], v4
	v_cmp_class_f64_e32 vcc, v[0:1], v7
	s_nop 1
	v_cndmask_b32_e32 v11, v5, v1, vcc
	v_cndmask_b32_e32 v10, v4, v0, vcc
	v_add_f64 v[0:1], v[10:11], v[10:11]
	v_div_scale_f64 v[4:5], s[18:19], v[0:1], v[0:1], v[2:3]
	v_rcp_f64_e32 v[8:9], v[4:5]
	s_nop 0
	v_fma_f64 v[14:15], -v[4:5], v[8:9], 1.0
	v_fmac_f64_e32 v[8:9], v[8:9], v[14:15]
	v_fma_f64 v[14:15], -v[4:5], v[8:9], 1.0
	v_fmac_f64_e32 v[8:9], v[8:9], v[14:15]
	v_div_scale_f64 v[14:15], vcc, v[2:3], v[0:1], v[2:3]
	v_mul_f64 v[16:17], v[14:15], v[8:9]
	v_fma_f64 v[4:5], -v[4:5], v[16:17], v[14:15]
	s_nop 1
	v_div_fmas_f64 v[4:5], v[4:5], v[8:9], v[16:17]
	v_div_fixup_f64 v[8:9], v[4:5], v[0:1], v[2:3]
                                        ; implicit-def: $vgpr4_vgpr5
                                        ; implicit-def: $vgpr0_vgpr1
	s_andn2_saveexec_b64 s[4:5], s[4:5]
	s_cbranch_execz .LBB225_783
	s_branch .LBB225_782
.LBB225_780:
	s_mov_b64 s[8:9], 0
	s_mov_b64 s[4:5], s[62:63]
	s_branch .LBB225_922
.LBB225_781:
	s_andn2_saveexec_b64 s[4:5], s[4:5]
	s_cbranch_execz .LBB225_783
.LBB225_782:
	v_add_f64 v[0:1], v[4:5], -v[0:1]
	s_mov_b32 s18, 0
	v_mul_f64 v[0:1], v[0:1], 0.5
	s_brev_b32 s19, 8
	v_mov_b32_e32 v4, 0x100
	v_cmp_gt_f64_e32 vcc, s[18:19], v[0:1]
	v_mov_b32_e32 v7, 0x260
	s_nop 0
	v_cndmask_b32_e32 v4, 0, v4, vcc
	v_ldexp_f64 v[0:1], v[0:1], v4
	v_rsq_f64_e32 v[4:5], v[0:1]
	s_nop 0
	v_mul_f64 v[8:9], v[0:1], v[4:5]
	v_mul_f64 v[4:5], v[4:5], 0.5
	v_fma_f64 v[10:11], -v[4:5], v[8:9], 0.5
	v_fmac_f64_e32 v[8:9], v[8:9], v[10:11]
	v_fma_f64 v[14:15], -v[8:9], v[8:9], v[0:1]
	v_fmac_f64_e32 v[4:5], v[4:5], v[10:11]
	v_fmac_f64_e32 v[8:9], v[14:15], v[4:5]
	v_fma_f64 v[10:11], -v[8:9], v[8:9], v[0:1]
	v_fmac_f64_e32 v[8:9], v[10:11], v[4:5]
	v_mov_b32_e32 v4, 0xffffff80
	v_cndmask_b32_e32 v4, 0, v4, vcc
	v_ldexp_f64 v[4:5], v[8:9], v4
	v_cmp_class_f64_e32 vcc, v[0:1], v7
	s_nop 1
	v_cndmask_b32_e32 v9, v5, v1, vcc
	v_cndmask_b32_e32 v8, v4, v0, vcc
	v_add_f64 v[0:1], v[8:9], v[8:9]
	v_and_b32_e32 v5, 0x7fffffff, v3
	v_mov_b32_e32 v4, v2
	v_div_scale_f64 v[10:11], s[18:19], v[0:1], v[0:1], v[4:5]
	v_rcp_f64_e32 v[14:15], v[10:11]
	v_div_scale_f64 v[4:5], vcc, v[4:5], v[0:1], v[4:5]
	s_brev_b32 s18, -2
	v_fma_f64 v[16:17], -v[10:11], v[14:15], 1.0
	v_fmac_f64_e32 v[14:15], v[14:15], v[16:17]
	v_fma_f64 v[16:17], -v[10:11], v[14:15], 1.0
	v_fmac_f64_e32 v[14:15], v[14:15], v[16:17]
	v_mul_f64 v[16:17], v[4:5], v[14:15]
	v_fma_f64 v[4:5], -v[10:11], v[16:17], v[4:5]
	v_div_fmas_f64 v[4:5], v[4:5], v[14:15], v[16:17]
	v_div_fixup_f64 v[10:11], v[4:5], v[0:1], |v[2:3]|
	v_bfi_b32 v9, s18, v9, v3
.LBB225_783:
	s_or_b64 exec, exec, s[4:5]
                                        ; implicit-def: $vgpr2_vgpr3
                                        ; implicit-def: $vgpr4_vgpr5
	s_and_saveexec_b64 s[4:5], s[2:3]
	s_xor_b64 s[2:3], exec, s[4:5]
	s_cbranch_execz .LBB225_785
; %bb.784:
	v_mul_f64 v[0:1], v[10:11], 0.5
	v_mul_f64 v[2:3], v[8:9], 0.5
	v_cndmask_b32_e64 v5, v11, v1, s[16:17]
	v_cndmask_b32_e64 v4, v10, v0, s[16:17]
	;; [unrolled: 1-line block ×4, first 2 shown]
                                        ; implicit-def: $vgpr10_vgpr11
                                        ; implicit-def: $vgpr8_vgpr9
	s_andn2_saveexec_b64 s[2:3], s[2:3]
	s_cbranch_execnz .LBB225_786
	s_branch .LBB225_787
.LBB225_785:
	s_andn2_saveexec_b64 s[2:3], s[2:3]
.LBB225_786:
	v_add_f64 v[4:5], v[10:11], v[10:11]
	v_add_f64 v[2:3], v[8:9], v[8:9]
.LBB225_787:
	s_or_b64 exec, exec, s[2:3]
.LBB225_788:
	s_andn2_saveexec_b64 s[2:3], s[14:15]
	s_cbranch_execz .LBB225_794
; %bb.789:
	v_add_f64 v[8:9], v[2:3], -v[2:3]
	v_cmp_lt_i64_e32 vcc, -1, v[0:1]
	s_brev_b32 s14, -2
	v_and_b32_e32 v5, 0x7fffffff, v9
	v_mov_b32_e32 v4, v8
	s_and_saveexec_b64 s[4:5], vcc
	s_xor_b64 s[4:5], exec, s[4:5]
; %bb.790:
	v_bfi_b32 v9, s14, v9, v3
	v_mov_b64_e32 v[2:3], v[8:9]
	v_mov_b64_e32 v[4:5], v[0:1]
; %bb.791:
	s_andn2_saveexec_b64 s[4:5], s[4:5]
; %bb.792:
	v_bfi_b32 v1, s14, v1, v3
	v_mov_b64_e32 v[2:3], v[0:1]
; %bb.793:
	s_or_b64 exec, exec, s[4:5]
.LBB225_794:
	s_or_b64 exec, exec, s[2:3]
.LBB225_795:
	s_andn2_saveexec_b64 s[2:3], s[12:13]
	s_cbranch_execz .LBB225_797
; %bb.796:
	v_add_f64 v[2:3], v[2:3], -v[2:3]
	v_div_scale_f64 v[4:5], vcc, v[2:3], v[2:3], v[2:3]
	v_rcp_f64_e32 v[8:9], v[4:5]
	s_nop 0
	v_fma_f64 v[10:11], -v[4:5], v[8:9], 1.0
	v_fmac_f64_e32 v[8:9], v[8:9], v[10:11]
	v_fma_f64 v[10:11], -v[4:5], v[8:9], 1.0
	v_fmac_f64_e32 v[8:9], v[8:9], v[10:11]
	v_mul_f64 v[10:11], v[4:5], v[8:9]
	v_fma_f64 v[4:5], -v[4:5], v[10:11], v[4:5]
	v_div_fmas_f64 v[4:5], v[4:5], v[8:9], v[10:11]
	v_div_fixup_f64 v[2:3], v[4:5], v[2:3], v[2:3]
	v_mov_b64_e32 v[4:5], v[0:1]
.LBB225_797:
	s_or_b64 exec, exec, s[2:3]
.LBB225_798:
	s_or_b64 exec, exec, s[10:11]
.LBB225_799:
	s_or_b64 exec, exec, s[8:9]
	v_mov_b32_e32 v7, 0
	s_and_b32 s12, s73, 0xff
	s_cmp_lt_i32 s12, 11
	v_lshl_add_u64 v[0:1], s[20:21], 0, v[6:7]
	s_cbranch_scc1 .LBB225_806
; %bb.800:
	s_and_b32 s13, 0xffff, s12
	s_cmp_gt_i32 s13, 25
	s_cbranch_scc0 .LBB225_807
; %bb.801:
	s_cmp_gt_i32 s13, 28
	s_cbranch_scc0 .LBB225_808
; %bb.802:
	s_cmp_gt_i32 s13, 43
	s_cbranch_scc0 .LBB225_809
; %bb.803:
	s_cmp_gt_i32 s13, 45
	s_cbranch_scc0 .LBB225_810
; %bb.804:
	s_mov_b64 s[8:9], 0
	s_mov_b64 s[4:5], -1
	s_cmp_eq_u32 s13, 46
	s_mov_b64 s[2:3], 0
	s_cbranch_scc0 .LBB225_811
; %bb.805:
	v_cvt_f32_f64_e32 v7, v[2:3]
	s_movk_i32 s2, 0x7fff
	v_bfe_u32 v9, v7, 16, 1
	v_cvt_f32_f64_e32 v6, v[4:5]
	v_add3_u32 v9, v7, v9, s2
	v_bfe_u32 v8, v6, 16, 1
	v_and_b32_e32 v9, 0xffff0000, v9
	v_mov_b32_e32 v10, 0x7fc00000
	v_cmp_o_f32_e32 vcc, v7, v7
	v_add3_u32 v8, v6, v8, s2
	s_mov_b64 s[2:3], -1
	v_cndmask_b32_e32 v7, v10, v9, vcc
	v_cmp_o_f32_e32 vcc, v6, v6
	v_mov_b32_e32 v6, 0x7fc0
	s_mov_b64 s[4:5], 0
	v_cndmask_b32_sdwa v6, v6, v8, vcc dst_sel:DWORD dst_unused:UNUSED_PAD src0_sel:DWORD src1_sel:WORD_1
	v_or_b32_e32 v6, v7, v6
	global_store_dword v[0:1], v6, off
	s_branch .LBB225_811
.LBB225_806:
	s_mov_b64 s[8:9], -1
	s_mov_b64 s[2:3], 0
	s_mov_b64 s[4:5], s[62:63]
	s_branch .LBB225_880
.LBB225_807:
	s_mov_b64 s[8:9], -1
	s_mov_b64 s[2:3], 0
	s_mov_b64 s[4:5], s[62:63]
	s_branch .LBB225_838
.LBB225_808:
	s_mov_b64 s[8:9], -1
	s_mov_b64 s[2:3], 0
	s_mov_b64 s[4:5], s[62:63]
	s_branch .LBB225_821
.LBB225_809:
	s_mov_b64 s[8:9], -1
	s_mov_b64 s[2:3], 0
	s_mov_b64 s[4:5], s[62:63]
	s_branch .LBB225_817
.LBB225_810:
	s_mov_b64 s[8:9], -1
	s_mov_b64 s[2:3], 0
	s_mov_b64 s[4:5], s[62:63]
.LBB225_811:
	s_and_b64 vcc, exec, s[8:9]
	s_cbranch_vccz .LBB225_816
; %bb.812:
	s_cmp_eq_u32 s13, 44
	s_mov_b64 s[4:5], -1
	s_cbranch_scc0 .LBB225_816
; %bb.813:
	v_cvt_f32_f64_e32 v6, v[4:5]
	v_bfe_u32 v7, v6, 23, 8
	s_movk_i32 s2, 0xff
	v_cmp_ne_u32_e32 vcc, s2, v7
	v_mov_b32_e32 v8, 0xff
	s_and_saveexec_b64 s[4:5], vcc
; %bb.814:
	s_mov_b32 s2, 0x3fffff
	v_lshrrev_b32_e32 v8, 23, v6
	v_and_b32_e32 v9, 0x400000, v6
	v_and_or_b32 v6, v6, s2, v7
	v_cmp_ne_u32_e32 vcc, 0, v9
	v_cmp_ne_u32_e64 s[2:3], 0, v6
	s_and_b64 s[2:3], vcc, s[2:3]
	s_nop 0
	v_cndmask_b32_e64 v6, 0, 1, s[2:3]
	v_add_u32_e32 v8, v8, v6
; %bb.815:
	s_or_b64 exec, exec, s[4:5]
	s_mov_b64 s[2:3], -1
	s_mov_b64 s[4:5], 0
	global_store_byte v[0:1], v8, off
.LBB225_816:
	s_mov_b64 s[8:9], 0
.LBB225_817:
	s_and_b64 vcc, exec, s[8:9]
	s_cbranch_vccz .LBB225_820
; %bb.818:
	s_cmp_eq_u32 s13, 29
	s_mov_b64 s[4:5], -1
	s_cbranch_scc0 .LBB225_820
; %bb.819:
	v_trunc_f64_e32 v[6:7], v[4:5]
	s_movk_i32 s2, 0xffe0
	v_ldexp_f64 v[8:9], v[6:7], s2
	v_floor_f64_e32 v[8:9], v[8:9]
	v_fmac_f64_e32 v[6:7], 0xc1f00000, v[8:9]
	v_cvt_u32_f64_e32 v11, v[8:9]
	v_cvt_u32_f64_e32 v10, v[6:7]
	global_store_dwordx2 v[0:1], v[10:11], off
	s_mov_b64 s[2:3], -1
	s_mov_b64 s[4:5], 0
.LBB225_820:
	s_mov_b64 s[8:9], 0
.LBB225_821:
	s_and_b64 vcc, exec, s[8:9]
	s_cbranch_vccz .LBB225_837
; %bb.822:
	s_cmp_lt_i32 s13, 27
	s_mov_b64 s[2:3], -1
	s_cbranch_scc1 .LBB225_828
; %bb.823:
	s_cmp_gt_i32 s13, 27
	v_cvt_u32_f64_e32 v6, v[4:5]
	s_cbranch_scc0 .LBB225_825
; %bb.824:
	s_mov_b64 s[2:3], 0
	global_store_dword v[0:1], v6, off
.LBB225_825:
	s_andn2_b64 vcc, exec, s[2:3]
	s_cbranch_vccnz .LBB225_827
; %bb.826:
	global_store_short v[0:1], v6, off
.LBB225_827:
	s_mov_b64 s[2:3], 0
.LBB225_828:
	s_andn2_b64 vcc, exec, s[2:3]
	s_cbranch_vccnz .LBB225_836
; %bb.829:
	v_cvt_f32_f64_e32 v6, v[4:5]
	v_and_b32_e32 v7, 0x7fffffff, v6
	s_mov_b32 s2, 0x43800000
	v_cmp_gt_u32_e32 vcc, s2, v7
	v_mov_b32_e32 v8, 0x80
	s_and_saveexec_b64 s[2:3], vcc
	s_cbranch_execz .LBB225_835
; %bb.830:
	s_mov_b32 s8, 0x3bffffff
	v_cmp_lt_u32_e32 vcc, s8, v7
	s_mov_b64 s[8:9], 0
                                        ; implicit-def: $vgpr7
	s_and_saveexec_b64 s[10:11], vcc
	s_xor_b64 s[10:11], exec, s[10:11]
	s_cbranch_execz .LBB225_953
; %bb.831:
	v_bfe_u32 v7, v6, 20, 1
	s_mov_b32 s14, 0x487ffff
	v_add3_u32 v7, v6, v7, s14
	s_mov_b64 s[8:9], exec
	v_lshrrev_b32_e32 v7, 20, v7
	s_andn2_saveexec_b64 s[10:11], s[10:11]
	s_cbranch_execnz .LBB225_954
.LBB225_832:
	s_or_b64 exec, exec, s[10:11]
	v_mov_b32_e32 v8, 0
	s_and_saveexec_b64 s[10:11], s[8:9]
.LBB225_833:
	v_lshrrev_b32_e32 v6, 24, v6
	s_movk_i32 s8, 0x80
	v_and_or_b32 v8, v6, s8, v7
.LBB225_834:
	s_or_b64 exec, exec, s[10:11]
.LBB225_835:
	s_or_b64 exec, exec, s[2:3]
	global_store_byte v[0:1], v8, off
.LBB225_836:
	s_mov_b64 s[2:3], -1
.LBB225_837:
	s_mov_b64 s[8:9], 0
.LBB225_838:
	s_and_b64 vcc, exec, s[8:9]
	s_cbranch_vccz .LBB225_879
; %bb.839:
	s_cmp_gt_i32 s13, 22
	s_mov_b64 s[8:9], -1
	s_cbranch_scc0 .LBB225_871
; %bb.840:
	s_cmp_lt_i32 s13, 24
	s_mov_b64 s[2:3], -1
	s_cbranch_scc1 .LBB225_860
; %bb.841:
	s_cmp_gt_i32 s13, 24
	s_cbranch_scc0 .LBB225_849
; %bb.842:
	v_cvt_f32_f64_e32 v6, v[4:5]
	v_and_b32_e32 v7, 0x7fffffff, v6
	s_mov_b32 s2, 0x47800000
	v_cmp_gt_u32_e32 vcc, s2, v7
	v_mov_b32_e32 v8, 0x80
	s_and_saveexec_b64 s[2:3], vcc
	s_cbranch_execz .LBB225_848
; %bb.843:
	s_mov_b32 s8, 0x37ffffff
	v_cmp_lt_u32_e32 vcc, s8, v7
	s_mov_b64 s[8:9], 0
                                        ; implicit-def: $vgpr7
	s_and_saveexec_b64 s[10:11], vcc
	s_xor_b64 s[10:11], exec, s[10:11]
	s_cbranch_execz .LBB225_956
; %bb.844:
	v_bfe_u32 v7, v6, 21, 1
	s_mov_b32 s14, 0x88fffff
	v_add3_u32 v7, v6, v7, s14
	s_mov_b64 s[8:9], exec
	v_lshrrev_b32_e32 v7, 21, v7
	s_andn2_saveexec_b64 s[10:11], s[10:11]
	s_cbranch_execnz .LBB225_957
.LBB225_845:
	s_or_b64 exec, exec, s[10:11]
	v_mov_b32_e32 v8, 0
	s_and_saveexec_b64 s[10:11], s[8:9]
.LBB225_846:
	v_lshrrev_b32_e32 v6, 24, v6
	s_movk_i32 s8, 0x80
	v_and_or_b32 v8, v6, s8, v7
.LBB225_847:
	s_or_b64 exec, exec, s[10:11]
.LBB225_848:
	s_or_b64 exec, exec, s[2:3]
	s_mov_b64 s[2:3], 0
	global_store_byte v[0:1], v8, off
.LBB225_849:
	s_and_b64 vcc, exec, s[2:3]
	s_cbranch_vccz .LBB225_859
; %bb.850:
	v_cvt_f32_f64_e32 v6, v[4:5]
	v_and_b32_e32 v8, 0x7fffffff, v6
	s_mov_b32 s2, 0x43f00000
	v_cmp_gt_u32_e32 vcc, s2, v8
                                        ; implicit-def: $vgpr7
	s_and_saveexec_b64 s[2:3], vcc
	s_xor_b64 s[2:3], exec, s[2:3]
	s_cbranch_execz .LBB225_856
; %bb.851:
	s_mov_b32 s8, 0x3c7fffff
	v_cmp_lt_u32_e32 vcc, s8, v8
                                        ; implicit-def: $vgpr7
	s_and_saveexec_b64 s[8:9], vcc
	s_xor_b64 s[8:9], exec, s[8:9]
; %bb.852:
	v_bfe_u32 v7, v6, 20, 1
	s_mov_b32 s10, 0x407ffff
	v_add3_u32 v7, v6, v7, s10
	v_lshrrev_b32_e32 v8, 20, v7
	v_and_b32_e32 v7, 0xff00000, v7
	s_mov_b32 s10, 0x7f00000
	v_mov_b32_e32 v9, 0x7e
	v_cmp_ne_u32_e32 vcc, s10, v7
	s_nop 1
	v_cndmask_b32_e32 v7, v9, v8, vcc
; %bb.853:
	s_andn2_saveexec_b64 s[8:9], s[8:9]
; %bb.854:
	s_mov_b32 s10, 0x46800000
	v_add_f32_e64 v7, |v6|, s10
; %bb.855:
	s_or_b64 exec, exec, s[8:9]
                                        ; implicit-def: $vgpr8
.LBB225_856:
	s_andn2_saveexec_b64 s[2:3], s[2:3]
; %bb.857:
	s_mov_b32 s8, 0x7f800000
	v_mov_b32_e32 v7, 0x7e
	v_mov_b32_e32 v9, 0x7f
	v_cmp_lt_u32_e32 vcc, s8, v8
	s_nop 1
	v_cndmask_b32_e32 v7, v7, v9, vcc
; %bb.858:
	s_or_b64 exec, exec, s[2:3]
	v_lshrrev_b32_e32 v6, 24, v6
	s_movk_i32 s2, 0x80
	v_and_or_b32 v6, v6, s2, v7
	global_store_byte v[0:1], v6, off
.LBB225_859:
	s_mov_b64 s[2:3], 0
.LBB225_860:
	s_andn2_b64 vcc, exec, s[2:3]
	s_cbranch_vccnz .LBB225_870
; %bb.861:
	v_cvt_f32_f64_e32 v6, v[4:5]
	v_and_b32_e32 v8, 0x7fffffff, v6
	s_mov_b32 s2, 0x47800000
	v_cmp_gt_u32_e32 vcc, s2, v8
                                        ; implicit-def: $vgpr7
	s_and_saveexec_b64 s[2:3], vcc
	s_xor_b64 s[2:3], exec, s[2:3]
	s_cbranch_execz .LBB225_867
; %bb.862:
	s_mov_b32 s8, 0x387fffff
	v_cmp_lt_u32_e32 vcc, s8, v8
                                        ; implicit-def: $vgpr7
	s_and_saveexec_b64 s[8:9], vcc
	s_xor_b64 s[8:9], exec, s[8:9]
; %bb.863:
	v_bfe_u32 v7, v6, 21, 1
	s_mov_b32 s10, 0x80fffff
	v_add3_u32 v7, v6, v7, s10
	v_lshrrev_b32_e32 v7, 21, v7
; %bb.864:
	s_andn2_saveexec_b64 s[8:9], s[8:9]
; %bb.865:
	s_mov_b32 s10, 0x43000000
	v_add_f32_e64 v7, |v6|, s10
; %bb.866:
	s_or_b64 exec, exec, s[8:9]
                                        ; implicit-def: $vgpr8
.LBB225_867:
	s_andn2_saveexec_b64 s[2:3], s[2:3]
; %bb.868:
	s_mov_b32 s8, 0x7f800000
	v_mov_b32_e32 v7, 0x7c
	v_mov_b32_e32 v9, 0x7f
	v_cmp_lt_u32_e32 vcc, s8, v8
	s_nop 1
	v_cndmask_b32_e32 v7, v7, v9, vcc
; %bb.869:
	s_or_b64 exec, exec, s[2:3]
	v_lshrrev_b32_e32 v6, 24, v6
	s_movk_i32 s2, 0x80
	v_and_or_b32 v6, v6, s2, v7
	global_store_byte v[0:1], v6, off
.LBB225_870:
	s_mov_b64 s[8:9], 0
	s_mov_b64 s[2:3], -1
.LBB225_871:
	s_andn2_b64 vcc, exec, s[8:9]
	s_cbranch_vccnz .LBB225_879
; %bb.872:
	s_cmp_gt_i32 s13, 14
	s_mov_b64 s[8:9], -1
	s_cbranch_scc0 .LBB225_876
; %bb.873:
	s_cmp_eq_u32 s13, 15
	s_mov_b64 s[4:5], -1
	s_cbranch_scc0 .LBB225_875
; %bb.874:
	v_cvt_f32_f64_e32 v6, v[4:5]
	v_bfe_u32 v7, v6, 16, 1
	s_movk_i32 s2, 0x7fff
	v_add3_u32 v7, v6, v7, s2
	v_cmp_o_f32_e32 vcc, v6, v6
	v_mov_b32_e32 v6, 0x7fc0
	s_mov_b64 s[2:3], -1
	v_cndmask_b32_sdwa v6, v6, v7, vcc dst_sel:DWORD dst_unused:UNUSED_PAD src0_sel:DWORD src1_sel:WORD_1
	global_store_short v[0:1], v6, off
	s_mov_b64 s[4:5], 0
.LBB225_875:
	s_mov_b64 s[8:9], 0
.LBB225_876:
	s_and_b64 vcc, exec, s[8:9]
	s_cbranch_vccz .LBB225_879
; %bb.877:
	s_cmp_eq_u32 s13, 11
	s_mov_b64 s[4:5], -1
	s_cbranch_scc0 .LBB225_879
; %bb.878:
	v_cmp_neq_f64_e32 vcc, 0, v[4:5]
	v_cmp_neq_f64_e64 s[2:3], 0, v[2:3]
	s_or_b64 s[2:3], vcc, s[2:3]
	s_mov_b64 s[4:5], 0
	v_cndmask_b32_e64 v6, 0, 1, s[2:3]
	s_mov_b64 s[2:3], -1
	global_store_byte v[0:1], v6, off
.LBB225_879:
	s_mov_b64 s[8:9], 0
.LBB225_880:
	s_and_b64 vcc, exec, s[8:9]
	s_cbranch_vccz .LBB225_919
; %bb.881:
	s_and_b32 s8, 0xffff, s12
	s_cmp_lt_i32 s8, 5
	s_mov_b64 s[2:3], -1
	s_cbranch_scc1 .LBB225_902
; %bb.882:
	s_cmp_lt_i32 s8, 8
	s_cbranch_scc1 .LBB225_892
; %bb.883:
	s_cmp_lt_i32 s8, 9
	s_cbranch_scc1 .LBB225_889
; %bb.884:
	s_cmp_gt_i32 s8, 9
	s_cbranch_scc0 .LBB225_886
; %bb.885:
	v_mov_b32_e32 v6, v2
	v_mov_b32_e32 v7, v3
	s_mov_b64 s[2:3], 0
	global_store_dwordx4 v[0:1], v[4:7], off
.LBB225_886:
	s_andn2_b64 vcc, exec, s[2:3]
	s_cbranch_vccnz .LBB225_888
; %bb.887:
	v_cvt_f32_f64_e32 v6, v[4:5]
	v_cvt_f32_f64_e32 v7, v[2:3]
	global_store_dwordx2 v[0:1], v[6:7], off
.LBB225_888:
	s_mov_b64 s[2:3], 0
.LBB225_889:
	s_andn2_b64 vcc, exec, s[2:3]
	s_cbranch_vccnz .LBB225_891
; %bb.890:
	s_movk_i32 s2, 0x1ff
	v_and_or_b32 v6, v5, s2, v4
	v_cmp_ne_u32_e32 vcc, 0, v6
	v_lshrrev_b32_e32 v7, 8, v5
	s_movk_i32 s3, 0xffe
	v_cndmask_b32_e64 v6, 0, 1, vcc
	v_bfe_u32 v8, v5, 20, 11
	v_and_or_b32 v6, v7, s3, v6
	v_sub_u32_e32 v9, 0x3f1, v8
	v_or_b32_e32 v7, 0x1000, v6
	v_med3_i32 v9, v9, 0, 13
	v_lshrrev_b32_e32 v10, v9, v7
	v_lshlrev_b32_e32 v9, v9, v10
	v_cmp_ne_u32_e32 vcc, v9, v7
	v_add_u32_e32 v8, 0xfffffc10, v8
	v_lshl_or_b32 v9, v8, 12, v6
	v_cndmask_b32_e64 v7, 0, 1, vcc
	v_or_b32_e32 v7, v10, v7
	v_cmp_gt_i32_e32 vcc, 1, v8
	s_movk_i32 s9, 0x40f
	v_and_or_b32 v2, v3, s2, v2
	v_cndmask_b32_e32 v7, v9, v7, vcc
	v_and_b32_e32 v9, 7, v7
	v_cmp_lt_i32_e32 vcc, 5, v9
	v_lshrrev_b32_e32 v7, 2, v7
	v_bfe_u32 v11, v3, 20, 11
	v_cndmask_b32_e64 v10, 0, 1, vcc
	v_cmp_eq_u32_e32 vcc, 3, v9
	v_sub_u32_e32 v13, 0x3f1, v11
	v_med3_i32 v13, v13, 0, 13
	v_cndmask_b32_e64 v9, 0, 1, vcc
	v_or_b32_e32 v9, v9, v10
	v_add_u32_e32 v7, v7, v9
	v_mov_b32_e32 v9, 0x7c00
	v_cmp_gt_i32_e32 vcc, 31, v8
	v_mov_b32_e32 v10, 0x7e00
	v_add_u32_e32 v11, 0xfffffc10, v11
	v_cndmask_b32_e32 v7, v9, v7, vcc
	v_cmp_ne_u32_e32 vcc, 0, v6
	s_mov_b32 s10, 0x8000
	s_mov_b32 s2, 0xffff
	v_cndmask_b32_e32 v6, v9, v10, vcc
	v_cmp_eq_u32_e32 vcc, s9, v8
	v_lshrrev_b32_e32 v8, 8, v3
	v_lshrrev_b32_e32 v3, 16, v3
	v_cndmask_b32_e32 v6, v7, v6, vcc
	v_cmp_ne_u32_e32 vcc, 0, v2
	v_and_b32_sdwa v7, v5, s10 dst_sel:DWORD dst_unused:UNUSED_PAD src0_sel:WORD_1 src1_sel:DWORD
	s_nop 0
	v_cndmask_b32_e64 v2, 0, 1, vcc
	v_and_or_b32 v2, v8, s3, v2
	v_or_b32_e32 v8, 0x1000, v2
	v_lshrrev_b32_e32 v14, v13, v8
	v_lshlrev_b32_e32 v13, v13, v14
	v_cmp_ne_u32_e32 vcc, v13, v8
	v_lshl_or_b32 v13, v11, 12, v2
	s_nop 0
	v_cndmask_b32_e64 v8, 0, 1, vcc
	v_or_b32_e32 v8, v14, v8
	v_cmp_gt_i32_e32 vcc, 1, v11
	s_nop 1
	v_cndmask_b32_e32 v8, v13, v8, vcc
	v_and_b32_e32 v13, 7, v8
	v_cmp_lt_i32_e32 vcc, 5, v13
	v_lshrrev_b32_e32 v8, 2, v8
	s_nop 0
	v_cndmask_b32_e64 v14, 0, 1, vcc
	v_cmp_eq_u32_e32 vcc, 3, v13
	s_nop 1
	v_cndmask_b32_e64 v13, 0, 1, vcc
	v_or_b32_e32 v13, v13, v14
	v_add_u32_e32 v8, v8, v13
	v_cmp_gt_i32_e32 vcc, 31, v11
	s_nop 1
	v_cndmask_b32_e32 v8, v9, v8, vcc
	v_cmp_ne_u32_e32 vcc, 0, v2
	s_nop 1
	v_cndmask_b32_e32 v2, v9, v10, vcc
	v_cmp_eq_u32_e32 vcc, s9, v11
	s_nop 1
	v_cndmask_b32_e32 v2, v8, v2, vcc
	v_and_or_b32 v2, v3, s10, v2
	v_bitop3_b32 v3, v7, s2, v6 bitop3:0xc8
	v_lshl_or_b32 v2, v2, 16, v3
	global_store_dword v[0:1], v2, off
.LBB225_891:
	s_mov_b64 s[2:3], 0
.LBB225_892:
	s_andn2_b64 vcc, exec, s[2:3]
	s_cbranch_vccnz .LBB225_901
; %bb.893:
	s_cmp_lt_i32 s8, 6
	s_mov_b64 s[2:3], -1
	s_cbranch_scc1 .LBB225_899
; %bb.894:
	s_cmp_gt_i32 s8, 6
	s_cbranch_scc0 .LBB225_896
; %bb.895:
	s_mov_b64 s[2:3], 0
	global_store_dwordx2 v[0:1], v[4:5], off
.LBB225_896:
	s_andn2_b64 vcc, exec, s[2:3]
	s_cbranch_vccnz .LBB225_898
; %bb.897:
	v_cvt_f32_f64_e32 v2, v[4:5]
	global_store_dword v[0:1], v2, off
.LBB225_898:
	s_mov_b64 s[2:3], 0
.LBB225_899:
	s_andn2_b64 vcc, exec, s[2:3]
	s_cbranch_vccnz .LBB225_901
; %bb.900:
	s_movk_i32 s2, 0x1ff
	v_and_or_b32 v2, v5, s2, v4
	v_cmp_ne_u32_e32 vcc, 0, v2
	v_lshrrev_b32_e32 v3, 8, v5
	s_movk_i32 s2, 0xffe
	v_cndmask_b32_e64 v2, 0, 1, vcc
	v_bfe_u32 v6, v5, 20, 11
	v_and_or_b32 v2, v3, s2, v2
	v_sub_u32_e32 v7, 0x3f1, v6
	v_or_b32_e32 v3, 0x1000, v2
	v_med3_i32 v7, v7, 0, 13
	v_lshrrev_b32_e32 v8, v7, v3
	v_lshlrev_b32_e32 v7, v7, v8
	v_cmp_ne_u32_e32 vcc, v7, v3
	v_add_u32_e32 v6, 0xfffffc10, v6
	v_lshl_or_b32 v7, v6, 12, v2
	v_cndmask_b32_e64 v3, 0, 1, vcc
	v_or_b32_e32 v3, v8, v3
	v_cmp_gt_i32_e32 vcc, 1, v6
	s_movk_i32 s2, 0x40f
	s_nop 0
	v_cndmask_b32_e32 v3, v7, v3, vcc
	v_and_b32_e32 v7, 7, v3
	v_cmp_lt_i32_e32 vcc, 5, v7
	v_lshrrev_b32_e32 v3, 2, v3
	s_nop 0
	v_cndmask_b32_e64 v8, 0, 1, vcc
	v_cmp_eq_u32_e32 vcc, 3, v7
	s_nop 1
	v_cndmask_b32_e64 v7, 0, 1, vcc
	v_or_b32_e32 v7, v7, v8
	v_add_u32_e32 v3, v3, v7
	v_mov_b32_e32 v7, 0x7c00
	v_cmp_gt_i32_e32 vcc, 31, v6
	v_mov_b32_e32 v8, 0x7e00
	s_nop 0
	v_cndmask_b32_e32 v3, v7, v3, vcc
	v_cmp_ne_u32_e32 vcc, 0, v2
	s_nop 1
	v_cndmask_b32_e32 v2, v7, v8, vcc
	v_cmp_eq_u32_e32 vcc, s2, v6
	s_mov_b32 s2, 0x8000
	s_nop 0
	v_cndmask_b32_e32 v2, v3, v2, vcc
	v_lshrrev_b32_e32 v3, 16, v5
	v_and_or_b32 v2, v3, s2, v2
	global_store_short v[0:1], v2, off
.LBB225_901:
	s_mov_b64 s[2:3], 0
.LBB225_902:
	s_andn2_b64 vcc, exec, s[2:3]
	s_cbranch_vccnz .LBB225_918
; %bb.903:
	s_cmp_lt_i32 s8, 2
	s_mov_b64 s[2:3], -1
	s_cbranch_scc1 .LBB225_913
; %bb.904:
	s_cmp_lt_i32 s8, 3
	s_cbranch_scc1 .LBB225_910
; %bb.905:
	s_cmp_gt_i32 s8, 3
	s_cbranch_scc0 .LBB225_907
; %bb.906:
	v_trunc_f64_e32 v[2:3], v[4:5]
	s_movk_i32 s2, 0xffe0
	v_ldexp_f64 v[6:7], v[2:3], s2
	v_floor_f64_e32 v[6:7], v[6:7]
	v_fmac_f64_e32 v[2:3], 0xc1f00000, v[6:7]
	v_cvt_i32_f64_e32 v9, v[6:7]
	v_cvt_u32_f64_e32 v8, v[2:3]
	s_mov_b64 s[2:3], 0
	global_store_dwordx2 v[0:1], v[8:9], off
.LBB225_907:
	s_andn2_b64 vcc, exec, s[2:3]
	s_cbranch_vccnz .LBB225_909
; %bb.908:
	v_cvt_i32_f64_e32 v2, v[4:5]
	global_store_dword v[0:1], v2, off
.LBB225_909:
	s_mov_b64 s[2:3], 0
.LBB225_910:
	s_andn2_b64 vcc, exec, s[2:3]
	s_cbranch_vccnz .LBB225_912
; %bb.911:
	v_cvt_i32_f64_e32 v2, v[4:5]
	global_store_short v[0:1], v2, off
.LBB225_912:
	s_mov_b64 s[2:3], 0
.LBB225_913:
	s_andn2_b64 vcc, exec, s[2:3]
	s_cbranch_vccnz .LBB225_918
; %bb.914:
	s_cmp_gt_i32 s8, 0
	s_mov_b64 s[2:3], -1
	s_cbranch_scc0 .LBB225_916
; %bb.915:
	v_cvt_i32_f64_e32 v2, v[4:5]
	s_mov_b64 s[2:3], 0
	global_store_byte v[0:1], v2, off
.LBB225_916:
	s_andn2_b64 vcc, exec, s[2:3]
	s_cbranch_vccnz .LBB225_918
; %bb.917:
	v_trunc_f64_e32 v[2:3], v[4:5]
	s_movk_i32 s2, 0xffe0
	v_ldexp_f64 v[4:5], v[2:3], s2
	v_floor_f64_e32 v[4:5], v[4:5]
	v_fmac_f64_e32 v[2:3], 0xc1f00000, v[4:5]
	v_cvt_u32_f64_e32 v2, v[2:3]
	global_store_byte v[0:1], v2, off
.LBB225_918:
	s_mov_b64 s[2:3], -1
.LBB225_919:
	s_andn2_b64 vcc, exec, s[2:3]
	s_cbranch_vccnz .LBB225_921
; %bb.920:
	v_add_u32_e32 v12, 0x80, v12
	s_mov_b64 s[8:9], -1
	s_branch .LBB225_923
.LBB225_921:
	s_mov_b64 s[8:9], 0
.LBB225_922:
                                        ; implicit-def: $vgpr12
.LBB225_923:
	s_andn2_b64 s[2:3], s[62:63], exec
	s_and_b64 s[4:5], s[4:5], exec
	s_or_b64 s[68:69], s[2:3], s[4:5]
	s_andn2_b64 s[2:3], s[60:61], exec
	s_and_b64 s[4:5], s[6:7], exec
	s_or_b64 s[2:3], s[2:3], s[4:5]
	s_orn2_b64 s[6:7], s[8:9], exec
.LBB225_924:
	s_or_b64 exec, exec, s[66:67]
	s_mov_b64 s[4:5], 0
	s_mov_b64 s[10:11], 0
	;; [unrolled: 1-line block ×3, first 2 shown]
                                        ; implicit-def: $vgpr4_vgpr5
                                        ; implicit-def: $vgpr6
                                        ; implicit-def: $vgpr2_vgpr3
	s_and_saveexec_b64 s[66:67], s[6:7]
	s_cbranch_execz .LBB225_1027
; %bb.925:
	v_cmp_gt_i32_e32 vcc, s70, v12
	s_mov_b64 s[6:7], 0
	s_mov_b64 s[12:13], s[2:3]
                                        ; implicit-def: $vgpr4_vgpr5
                                        ; implicit-def: $vgpr6
                                        ; implicit-def: $vgpr2_vgpr3
	s_and_saveexec_b64 s[70:71], vcc
	s_cbranch_execz .LBB225_1026
; %bb.926:
	s_andn2_b64 vcc, exec, s[42:43]
	s_cbranch_vccnz .LBB225_932
; %bb.927:
	s_andn2_b64 vcc, exec, s[52:53]
	s_cbranch_vccnz .LBB225_933
; %bb.928:
	s_add_i32 s76, s75, 1
	s_cmp_eq_u32 s72, 2
	s_cbranch_scc1 .LBB225_934
; %bb.929:
	s_and_b32 s75, s76, 28
	s_mov_b32 s77, 0
	v_mov_b32_e32 v6, 0
	s_waitcnt vmcnt(0)
	v_mov_b32_e32 v0, 0
	s_mov_b64 s[52:53], s[34:35]
	v_mov_b32_e32 v2, v12
.LBB225_930:                            ; =>This Inner Loop Header: Depth=1
	s_load_dwordx8 s[12:19], s[52:53], 0x4
	s_load_dwordx4 s[36:39], s[52:53], 0x24
	s_load_dwordx8 s[4:11], s[50:51], 0x0
	s_add_u32 s52, s52, 48
	s_addc_u32 s53, s53, 0
	s_waitcnt lgkmcnt(0)
	v_mul_hi_u32 v1, s13, v2
	v_add_u32_e32 v1, v2, v1
	v_lshrrev_b32_e32 v1, s14, v1
	v_mul_lo_u32 v3, v1, s12
	v_mul_hi_u32 v4, s16, v1
	v_sub_u32_e32 v2, v2, v3
	v_add_u32_e32 v3, v1, v4
	v_lshrrev_b32_e32 v3, s17, v3
	v_mul_lo_u32 v5, v3, s15
	v_mul_hi_u32 v7, s19, v3
	v_sub_u32_e32 v1, v1, v5
	v_add_u32_e32 v5, v3, v7
	v_mul_lo_u32 v4, v2, s5
	v_mul_lo_u32 v2, v2, s4
	;; [unrolled: 1-line block ×4, first 2 shown]
	v_lshrrev_b32_e32 v5, s36, v5
	v_add3_u32 v1, v2, v6, v1
	v_add3_u32 v0, v4, v0, v7
	v_mul_lo_u32 v2, v5, s18
	v_mul_hi_u32 v4, s38, v5
	v_sub_u32_e32 v2, v3, v2
	v_add_u32_e32 v3, v5, v4
	v_mul_lo_u32 v4, v2, s8
	v_mul_lo_u32 v6, v2, s9
	v_lshrrev_b32_e32 v2, s39, v3
	s_add_i32 s77, s77, 4
	v_mul_lo_u32 v3, v2, s37
	s_add_u32 s50, s50, 32
	v_sub_u32_e32 v3, v5, v3
	s_addc_u32 s51, s51, 0
	v_mul_lo_u32 v5, v3, s10
	v_mul_lo_u32 v3, v3, s11
	s_cmp_eq_u32 s75, s77
	v_add3_u32 v0, v6, v0, v3
	v_add3_u32 v6, v4, v1, v5
	s_cbranch_scc0 .LBB225_930
; %bb.931:
	v_mov_b32_e32 v1, v0
	s_branch .LBB225_935
.LBB225_932:
	s_mov_b64 s[4:5], -1
                                        ; implicit-def: $vgpr0
                                        ; implicit-def: $vgpr6
	s_branch .LBB225_939
.LBB225_933:
	s_waitcnt vmcnt(0)
	v_mov_b32_e32 v0, 0
	v_mov_b32_e32 v6, 0
	s_branch .LBB225_938
.LBB225_934:
	v_mov_b32_e32 v6, 0
	s_mov_b32 s75, 0
	s_waitcnt vmcnt(0)
	v_mov_b32_e32 v1, v6
                                        ; implicit-def: $vgpr0
	v_mov_b32_e32 v2, v12
.LBB225_935:
	s_and_b32 s8, s76, 3
	s_cmp_eq_u32 s8, 0
	s_cbranch_scc1 .LBB225_938
; %bb.936:
	s_lshl_b32 s4, s75, 3
	s_add_u32 s4, s34, s4
	s_addc_u32 s5, s35, 0
	s_add_u32 s4, s4, 0xc4
	s_addc_u32 s5, s5, 0
	s_mul_i32 s6, s75, 12
	s_add_u32 s6, s34, s6
	s_addc_u32 s7, s35, 0
.LBB225_937:                            ; =>This Inner Loop Header: Depth=1
	s_load_dwordx2 s[10:11], s[6:7], 0x4
	s_load_dword s9, s[6:7], 0xc
	s_load_dwordx2 s[12:13], s[4:5], 0x0
	v_mov_b32_e32 v0, v1
	s_add_u32 s6, s6, 12
	s_waitcnt lgkmcnt(0)
	v_mul_hi_u32 v1, s11, v2
	v_add_u32_e32 v1, v2, v1
	v_lshrrev_b32_e32 v1, s9, v1
	s_addc_u32 s7, s7, 0
	v_mul_lo_u32 v3, v1, s10
	s_add_u32 s4, s4, 8
	v_sub_u32_e32 v3, v2, v3
	s_addc_u32 s5, s5, 0
	s_add_i32 s8, s8, -1
	v_mov_b32_e32 v2, v1
	v_mad_u64_u32 v[0:1], s[10:11], v3, s13, v[0:1]
	s_cmp_lg_u32 s8, 0
	v_mad_u64_u32 v[6:7], s[10:11], v3, s12, v[6:7]
	v_mov_b32_e32 v1, v0
	s_cbranch_scc1 .LBB225_937
.LBB225_938:
	s_mov_b64 s[4:5], 0
.LBB225_939:
	s_andn2_b64 vcc, exec, s[4:5]
	s_cbranch_vccnz .LBB225_942
; %bb.940:
	s_waitcnt vmcnt(0) lgkmcnt(0)
	v_mul_hi_u32 v0, s29, v12
	v_add_u32_e32 v0, v12, v0
	v_lshrrev_b32_e32 v1, s30, v0
	v_mul_lo_u32 v0, v1, s28
	v_sub_u32_e32 v2, v12, v0
	v_mul_lo_u32 v0, v2, s25
	s_andn2_b64 vcc, exec, s[48:49]
	v_mul_lo_u32 v6, v2, s24
	s_cbranch_vccnz .LBB225_942
; %bb.941:
	v_mul_hi_u32 v2, s46, v1
	v_add_u32_e32 v2, v1, v2
	v_lshrrev_b32_e32 v2, s47, v2
	v_mul_lo_u32 v2, v2, s31
	v_sub_u32_e32 v1, v1, v2
	v_mad_u64_u32 v[6:7], s[4:5], v1, s26, v[6:7]
	v_mad_u64_u32 v[0:1], s[4:5], v1, s27, v[0:1]
.LBB225_942:
	s_waitcnt vmcnt(0)
	v_mov_b32_e32 v1, 0
	s_and_b32 s14, 0xffff, s74
	s_cmp_lt_i32 s14, 11
	s_waitcnt lgkmcnt(0)
	v_lshl_add_u64 v[4:5], s[22:23], 0, v[0:1]
	s_cbranch_scc1 .LBB225_949
; %bb.943:
	s_cmp_gt_i32 s14, 25
	s_mov_b64 s[6:7], 0
	s_cbranch_scc0 .LBB225_950
; %bb.944:
	s_cmp_gt_i32 s14, 28
	s_cbranch_scc0 .LBB225_951
; %bb.945:
	s_cmp_gt_i32 s14, 43
	;; [unrolled: 3-line block ×3, first 2 shown]
	s_cbranch_scc0 .LBB225_955
; %bb.947:
	s_cmp_eq_u32 s14, 46
	s_mov_b64 s[10:11], 0
	s_cbranch_scc0 .LBB225_958
; %bb.948:
	global_load_dword v0, v[4:5], off
	s_mov_b64 s[4:5], 0
	s_mov_b64 s[8:9], -1
	s_waitcnt vmcnt(0)
	v_and_b32_e32 v2, 0xffff0000, v0
	v_lshlrev_b32_e32 v0, 16, v0
	v_cvt_f64_f32_e32 v[0:1], v0
	v_cvt_f64_f32_e32 v[2:3], v2
	s_branch .LBB225_959
.LBB225_949:
	s_mov_b64 s[10:11], -1
	s_mov_b64 s[8:9], 0
	s_mov_b64 s[6:7], 0
	;; [unrolled: 1-line block ×3, first 2 shown]
                                        ; implicit-def: $vgpr2_vgpr3
	s_branch .LBB225_1025
.LBB225_950:
	s_mov_b64 s[10:11], -1
	s_mov_b64 s[8:9], 0
	s_mov_b64 s[4:5], s[2:3]
                                        ; implicit-def: $vgpr2_vgpr3
	s_branch .LBB225_992
.LBB225_951:
	s_mov_b64 s[10:11], -1
	s_mov_b64 s[8:9], 0
	s_mov_b64 s[4:5], s[2:3]
                                        ; implicit-def: $vgpr2_vgpr3
	s_branch .LBB225_971
.LBB225_952:
	s_mov_b64 s[10:11], -1
	s_mov_b64 s[8:9], 0
	s_mov_b64 s[4:5], s[2:3]
                                        ; implicit-def: $vgpr2_vgpr3
	s_branch .LBB225_965
.LBB225_953:
	s_andn2_saveexec_b64 s[10:11], s[10:11]
	s_cbranch_execz .LBB225_832
.LBB225_954:
	s_mov_b32 s14, 0x46000000
	v_add_f32_e64 v7, |v6|, s14
	v_and_b32_e32 v7, 0xff, v7
	v_cmp_ne_u32_e32 vcc, 0, v7
	s_andn2_b64 s[8:9], s[8:9], exec
	s_and_b64 s[14:15], vcc, exec
	s_or_b64 s[8:9], s[8:9], s[14:15]
	s_or_b64 exec, exec, s[10:11]
	v_mov_b32_e32 v8, 0
	s_and_saveexec_b64 s[10:11], s[8:9]
	s_cbranch_execnz .LBB225_833
	s_branch .LBB225_834
.LBB225_955:
	s_mov_b64 s[10:11], -1
	s_mov_b64 s[8:9], 0
	s_mov_b64 s[4:5], s[2:3]
                                        ; implicit-def: $vgpr2_vgpr3
	s_branch .LBB225_959
.LBB225_956:
	s_andn2_saveexec_b64 s[10:11], s[10:11]
	s_cbranch_execz .LBB225_845
.LBB225_957:
	s_mov_b32 s14, 0x42800000
	v_add_f32_e64 v7, |v6|, s14
	v_and_b32_e32 v7, 0xff, v7
	v_cmp_ne_u32_e32 vcc, 0, v7
	s_andn2_b64 s[8:9], s[8:9], exec
	s_and_b64 s[14:15], vcc, exec
	s_or_b64 s[8:9], s[8:9], s[14:15]
	s_or_b64 exec, exec, s[10:11]
	v_mov_b32_e32 v8, 0
	s_and_saveexec_b64 s[10:11], s[8:9]
	s_cbranch_execnz .LBB225_846
	s_branch .LBB225_847
.LBB225_958:
	s_mov_b64 s[4:5], -1
                                        ; implicit-def: $vgpr2_vgpr3
	s_mov_b64 s[8:9], 0
.LBB225_959:
	s_and_b64 vcc, exec, s[10:11]
	s_cbranch_vccz .LBB225_964
; %bb.960:
	s_cmp_eq_u32 s14, 44
	s_cbranch_scc0 .LBB225_962
; %bb.961:
	global_load_ubyte v2, v[4:5], off
	s_movk_i32 s8, 0xff
	v_bfrev_b32_e32 v3, 4
	v_mov_b32_e32 v7, 0x7ff80000
	v_bfrev_b32_e32 v8, 28
	s_mov_b64 s[4:5], 0
	s_waitcnt vmcnt(0)
	v_lshlrev_b32_e32 v0, 23, v2
	v_cvt_f64_f32_e32 v[0:1], v0
	v_cmp_ne_u32_e32 vcc, s8, v2
	s_mov_b64 s[8:9], -1
	s_nop 0
	v_cndmask_b32_e32 v0, v3, v0, vcc
	v_cndmask_b32_e32 v1, v7, v1, vcc
	v_cmp_ne_u32_e32 vcc, 0, v2
	s_nop 1
	v_cndmask_b32_e32 v1, v8, v1, vcc
	v_cndmask_b32_e32 v0, 0, v0, vcc
	s_branch .LBB225_963
.LBB225_962:
	s_mov_b64 s[4:5], -1
                                        ; implicit-def: $vgpr0_vgpr1
.LBB225_963:
	v_mov_b64_e32 v[2:3], 0
.LBB225_964:
	s_mov_b64 s[10:11], 0
.LBB225_965:
	s_and_b64 vcc, exec, s[10:11]
	s_cbranch_vccz .LBB225_970
; %bb.966:
	s_cmp_eq_u32 s14, 29
	s_cbranch_scc0 .LBB225_968
; %bb.967:
	global_load_dwordx2 v[0:1], v[4:5], off
	s_mov_b64 s[4:5], 0
	s_mov_b64 s[8:9], -1
	s_waitcnt vmcnt(0)
	v_cvt_f64_u32_e32 v[2:3], v1
	v_cvt_f64_u32_e32 v[0:1], v0
	v_ldexp_f64 v[2:3], v[2:3], 32
	v_add_f64 v[0:1], v[2:3], v[0:1]
	s_branch .LBB225_969
.LBB225_968:
	s_mov_b64 s[4:5], -1
                                        ; implicit-def: $vgpr0_vgpr1
.LBB225_969:
	v_mov_b64_e32 v[2:3], 0
.LBB225_970:
	s_mov_b64 s[10:11], 0
.LBB225_971:
	s_and_b64 vcc, exec, s[10:11]
	s_cbranch_vccz .LBB225_991
; %bb.972:
	s_cmp_lt_i32 s14, 27
	s_cbranch_scc1 .LBB225_975
; %bb.973:
	s_cmp_gt_i32 s14, 27
	s_cbranch_scc0 .LBB225_976
; %bb.974:
	global_load_dword v0, v[4:5], off
	s_mov_b64 s[8:9], 0
	s_waitcnt vmcnt(0)
	v_cvt_f64_u32_e32 v[0:1], v0
	s_branch .LBB225_977
.LBB225_975:
	s_mov_b64 s[8:9], -1
                                        ; implicit-def: $vgpr0_vgpr1
	s_branch .LBB225_980
.LBB225_976:
	s_mov_b64 s[8:9], -1
                                        ; implicit-def: $vgpr0_vgpr1
.LBB225_977:
	s_andn2_b64 vcc, exec, s[8:9]
	s_cbranch_vccnz .LBB225_979
; %bb.978:
	global_load_ushort v0, v[4:5], off
	s_waitcnt vmcnt(0)
	v_cvt_f64_u32_e32 v[0:1], v0
.LBB225_979:
	s_mov_b64 s[8:9], 0
.LBB225_980:
	s_andn2_b64 vcc, exec, s[8:9]
	s_cbranch_vccnz .LBB225_990
; %bb.981:
	global_load_ubyte v2, v[4:5], off
	s_movk_i32 s8, 0x7f
	s_waitcnt vmcnt(0)
	v_cmp_lt_i16_e32 vcc, s8, v2
	s_mov_b64 s[8:9], 0
	s_and_saveexec_b64 s[10:11], vcc
	s_xor_b64 s[10:11], exec, s[10:11]
	s_cbranch_execz .LBB225_985
; %bb.982:
	s_movk_i32 s8, 0x80
	v_cmp_eq_u16_e32 vcc, s8, v2
	s_mov_b64 s[8:9], -1
	s_and_saveexec_b64 s[12:13], vcc
; %bb.983:
	s_xor_b64 s[8:9], exec, -1
; %bb.984:
	s_or_b64 exec, exec, s[12:13]
	s_and_b64 s[8:9], s[8:9], exec
.LBB225_985:
	s_or_saveexec_b64 s[10:11], s[10:11]
	v_bfrev_b32_e32 v0, 4
	v_mov_b32_e32 v1, 0x7ff80000
	s_xor_b64 exec, exec, s[10:11]
; %bb.986:
	v_cmp_ne_u16_e32 vcc, 0, v2
	s_andn2_b64 s[8:9], s[8:9], exec
	s_and_b64 s[12:13], vcc, exec
	v_mov_b64_e32 v[0:1], 0
	s_or_b64 s[8:9], s[8:9], s[12:13]
; %bb.987:
	s_or_b64 exec, exec, s[10:11]
	s_and_saveexec_b64 s[10:11], s[8:9]
	s_cbranch_execz .LBB225_989
; %bb.988:
	v_and_b32_e32 v1, 0xffff, v2
	v_lshlrev_b32_e32 v0, 24, v2
	v_and_b32_e32 v2, 7, v1
	v_ffbh_u32_e32 v7, v2
	v_min_u32_e32 v7, 32, v7
	v_subrev_u32_e32 v8, 28, v7
	v_bfe_u32 v3, v1, 3, 4
	v_lshlrev_b32_e32 v1, v8, v1
	v_sub_u32_e32 v7, 29, v7
	v_and_b32_e32 v1, 7, v1
	v_cmp_eq_u32_e32 vcc, 0, v3
	v_and_b32_e32 v0, 0x80000000, v0
	s_nop 0
	v_cndmask_b32_e32 v3, v3, v7, vcc
	v_cndmask_b32_e32 v1, v2, v1, vcc
	v_mov_b32_e32 v2, 0x3b800000
	v_lshlrev_b32_e32 v1, 20, v1
	v_lshl_add_u32 v2, v3, 23, v2
	v_or3_b32 v0, v0, v2, v1
	v_cvt_f64_f32_e32 v[0:1], v0
.LBB225_989:
	s_or_b64 exec, exec, s[10:11]
.LBB225_990:
	s_mov_b64 s[8:9], -1
	v_mov_b64_e32 v[2:3], 0
.LBB225_991:
	s_mov_b64 s[10:11], 0
.LBB225_992:
	s_and_b64 vcc, exec, s[10:11]
	s_cbranch_vccz .LBB225_1024
; %bb.993:
	s_cmp_gt_i32 s14, 22
	s_cbranch_scc0 .LBB225_1005
; %bb.994:
	s_cmp_lt_i32 s14, 24
	s_cbranch_scc1 .LBB225_1006
; %bb.995:
	s_cmp_gt_i32 s14, 24
	s_cbranch_scc0 .LBB225_1007
; %bb.996:
	global_load_ubyte v2, v[4:5], off
	s_movk_i32 s6, 0x7f
	s_waitcnt vmcnt(0)
	v_cmp_lt_i16_e32 vcc, s6, v2
	s_mov_b64 s[6:7], 0
	s_and_saveexec_b64 s[8:9], vcc
	s_xor_b64 s[8:9], exec, s[8:9]
	s_cbranch_execz .LBB225_1000
; %bb.997:
	s_movk_i32 s6, 0x80
	v_cmp_eq_u16_e32 vcc, s6, v2
	s_mov_b64 s[6:7], -1
	s_and_saveexec_b64 s[10:11], vcc
; %bb.998:
	s_xor_b64 s[6:7], exec, -1
; %bb.999:
	s_or_b64 exec, exec, s[10:11]
	s_and_b64 s[6:7], s[6:7], exec
.LBB225_1000:
	s_or_saveexec_b64 s[8:9], s[8:9]
	v_bfrev_b32_e32 v0, 4
	v_mov_b32_e32 v1, 0x7ff80000
	s_xor_b64 exec, exec, s[8:9]
; %bb.1001:
	v_cmp_ne_u16_e32 vcc, 0, v2
	s_andn2_b64 s[6:7], s[6:7], exec
	s_and_b64 s[10:11], vcc, exec
	v_mov_b64_e32 v[0:1], 0
	s_or_b64 s[6:7], s[6:7], s[10:11]
; %bb.1002:
	s_or_b64 exec, exec, s[8:9]
	s_and_saveexec_b64 s[8:9], s[6:7]
	s_cbranch_execz .LBB225_1004
; %bb.1003:
	v_and_b32_e32 v1, 0xffff, v2
	v_lshlrev_b32_e32 v0, 24, v2
	v_and_b32_e32 v2, 3, v1
	v_ffbh_u32_e32 v7, v2
	v_min_u32_e32 v7, 32, v7
	v_subrev_u32_e32 v8, 29, v7
	v_bfe_u32 v3, v1, 2, 5
	v_lshlrev_b32_e32 v1, v8, v1
	v_sub_u32_e32 v7, 30, v7
	v_and_b32_e32 v1, 3, v1
	v_cmp_eq_u32_e32 vcc, 0, v3
	v_and_b32_e32 v0, 0x80000000, v0
	s_nop 0
	v_cndmask_b32_e32 v3, v3, v7, vcc
	v_cndmask_b32_e32 v1, v2, v1, vcc
	v_mov_b32_e32 v2, 0x37800000
	v_lshlrev_b32_e32 v1, 21, v1
	v_lshl_add_u32 v2, v3, 23, v2
	v_or3_b32 v0, v0, v2, v1
	v_cvt_f64_f32_e32 v[0:1], v0
.LBB225_1004:
	s_or_b64 exec, exec, s[8:9]
	s_mov_b64 s[6:7], 0
	s_branch .LBB225_1008
.LBB225_1005:
	s_mov_b64 s[6:7], -1
                                        ; implicit-def: $vgpr0_vgpr1
	s_branch .LBB225_1014
.LBB225_1006:
	s_mov_b64 s[6:7], -1
                                        ; implicit-def: $vgpr0_vgpr1
	s_branch .LBB225_1011
.LBB225_1007:
	s_mov_b64 s[6:7], -1
                                        ; implicit-def: $vgpr0_vgpr1
.LBB225_1008:
	s_and_b64 vcc, exec, s[6:7]
	s_cbranch_vccz .LBB225_1010
; %bb.1009:
	global_load_ubyte v0, v[4:5], off
	s_mov_b32 s6, 0x7f800000
	s_waitcnt vmcnt(0)
	v_lshlrev_b32_e32 v0, 24, v0
	v_and_b32_e32 v1, 0x7f000000, v0
	v_ffbh_u32_e32 v2, v1
	v_min_u32_e32 v2, 32, v2
	v_sub_u32_e64 v2, v2, 4 clamp
	v_lshlrev_b32_e32 v7, v2, v1
	v_lshlrev_b32_e32 v2, 23, v2
	v_lshrrev_b32_e32 v7, 4, v7
	v_add_u32_e32 v3, 0x1000000, v1
	v_sub_u32_e32 v2, v7, v2
	v_ashrrev_i32_e32 v3, 8, v3
	v_add_u32_e32 v2, 0x3c000000, v2
	v_and_or_b32 v2, v3, s6, v2
	v_cmp_ne_u32_e32 vcc, 0, v1
	s_brev_b32 s6, 1
	s_nop 0
	v_cndmask_b32_e32 v1, 0, v2, vcc
	v_and_or_b32 v0, v0, s6, v1
	v_cvt_f64_f32_e32 v[0:1], v0
.LBB225_1010:
	s_mov_b64 s[6:7], 0
.LBB225_1011:
	s_andn2_b64 vcc, exec, s[6:7]
	s_cbranch_vccnz .LBB225_1013
; %bb.1012:
	global_load_ubyte v0, v[4:5], off
	s_movk_i32 s6, 0x7f00
	s_brev_b32 s7, 16
	s_waitcnt vmcnt(0)
	v_lshlrev_b16_e32 v1, 8, v0
	v_lshlrev_b32_e32 v0, 25, v0
	v_lshrrev_b32_e32 v2, 4, v0
	v_and_or_b32 v3, v1, s6, 0.5
	v_or_b32_e32 v2, 0x70000000, v2
	v_add_f32_e32 v3, -0.5, v3
	v_mul_f32_e32 v2, 0x7800000, v2
	v_cmp_gt_u32_e32 vcc, s7, v0
	v_bfe_i32 v1, v1, 0, 16
	s_brev_b32 s6, 1
	v_cndmask_b32_e32 v0, v2, v3, vcc
	v_and_or_b32 v0, v1, s6, v0
	v_cvt_f64_f32_e32 v[0:1], v0
.LBB225_1013:
	s_mov_b64 s[6:7], 0
	s_mov_b64 s[8:9], -1
.LBB225_1014:
	s_andn2_b64 vcc, exec, s[6:7]
	s_mov_b64 s[6:7], 0
	s_cbranch_vccnz .LBB225_1023
; %bb.1015:
	s_cmp_gt_i32 s14, 14
	s_cbranch_scc0 .LBB225_1018
; %bb.1016:
	s_cmp_eq_u32 s14, 15
	s_cbranch_scc0 .LBB225_1019
; %bb.1017:
	global_load_ushort v0, v[4:5], off
	s_mov_b64 s[4:5], 0
	s_mov_b64 s[8:9], -1
	s_waitcnt vmcnt(0)
	v_lshlrev_b32_e32 v0, 16, v0
	v_cvt_f64_f32_e32 v[0:1], v0
	s_branch .LBB225_1020
.LBB225_1018:
	s_mov_b64 s[10:11], -1
                                        ; implicit-def: $vgpr0_vgpr1
	s_branch .LBB225_1021
.LBB225_1019:
	s_mov_b64 s[4:5], -1
                                        ; implicit-def: $vgpr0_vgpr1
.LBB225_1020:
	s_mov_b64 s[10:11], 0
.LBB225_1021:
	s_and_b64 vcc, exec, s[10:11]
	s_cbranch_vccz .LBB225_1023
; %bb.1022:
	s_cmp_lg_u32 s14, 11
	s_cselect_b64 s[10:11], -1, 0
	s_andn2_b64 s[4:5], s[4:5], exec
	s_and_b64 s[10:11], s[10:11], exec
	s_mov_b64 s[6:7], -1
	s_or_b64 s[4:5], s[4:5], s[10:11]
.LBB225_1023:
	v_mov_b64_e32 v[2:3], 0
.LBB225_1024:
	s_mov_b64 s[10:11], 0
.LBB225_1025:
	s_andn2_b64 s[12:13], s[2:3], exec
	s_and_b64 s[4:5], s[4:5], exec
	s_and_b64 s[8:9], s[8:9], exec
	;; [unrolled: 1-line block ×4, first 2 shown]
	s_or_b64 s[12:13], s[12:13], s[4:5]
.LBB225_1026:
	s_or_b64 exec, exec, s[70:71]
	s_and_b64 s[4:5], s[6:7], exec
	s_andn2_b64 s[2:3], s[2:3], exec
	s_and_b64 s[6:7], s[12:13], exec
	s_and_b64 s[8:9], s[8:9], exec
	;; [unrolled: 1-line block ×3, first 2 shown]
	s_or_b64 s[2:3], s[2:3], s[6:7]
.LBB225_1027:
	s_or_b64 exec, exec, s[66:67]
	s_andn2_b64 s[6:7], s[62:63], exec
	s_and_b64 s[12:13], s[68:69], exec
	s_or_b64 s[62:63], s[6:7], s[12:13]
	s_and_b64 s[6:7], s[10:11], exec
	s_andn2_b64 s[10:11], s[60:61], exec
	s_and_b64 s[2:3], s[2:3], exec
	s_and_b64 s[8:9], s[8:9], exec
	;; [unrolled: 1-line block ×3, first 2 shown]
	s_or_b64 s[60:61], s[10:11], s[2:3]
.LBB225_1028:
	s_or_b64 exec, exec, s[64:65]
	s_andn2_b64 s[2:3], s[54:55], exec
	s_and_b64 s[10:11], s[62:63], exec
	s_or_b64 s[54:55], s[2:3], s[10:11]
	s_and_b64 s[2:3], s[8:9], exec
	s_and_b64 s[8:9], s[6:7], exec
	;; [unrolled: 1-line block ×3, first 2 shown]
	s_andn2_b64 s[4:5], s[56:57], exec
	s_and_b64 s[6:7], s[60:61], exec
	s_or_b64 s[56:57], s[4:5], s[6:7]
	s_or_b64 exec, exec, s[58:59]
	s_mov_b64 s[6:7], 0
	s_and_saveexec_b64 s[4:5], s[56:57]
	s_cbranch_execz .LBB225_310
.LBB225_1029:
	s_mov_b64 s[6:7], exec
	s_andn2_b64 s[62:63], s[62:63], exec
	s_trap 2
	s_or_b64 exec, exec, s[4:5]
	s_and_saveexec_b64 s[4:5], s[62:63]
	s_xor_b64 s[4:5], exec, s[4:5]
	s_cbranch_execnz .LBB225_311
.LBB225_1030:
	s_or_b64 exec, exec, s[4:5]
	s_and_saveexec_b64 s[4:5], s[8:9]
	s_cbranch_execz .LBB225_1078
.LBB225_1031:
	s_sext_i32_i16 s8, s74
	s_cmp_lt_i32 s8, 5
	s_cbranch_scc1 .LBB225_1036
; %bb.1032:
	s_cmp_lt_i32 s8, 8
	s_cbranch_scc1 .LBB225_1037
; %bb.1033:
	;; [unrolled: 3-line block ×3, first 2 shown]
	s_cmp_gt_i32 s8, 9
	s_cbranch_scc0 .LBB225_1039
; %bb.1035:
	global_load_dwordx4 v[0:3], v[4:5], off
	s_mov_b64 s[8:9], 0
	s_branch .LBB225_1040
.LBB225_1036:
                                        ; implicit-def: $vgpr2_vgpr3
	s_branch .LBB225_1058
.LBB225_1037:
                                        ; implicit-def: $vgpr2_vgpr3
	s_branch .LBB225_1046
.LBB225_1038:
	s_mov_b64 s[8:9], -1
                                        ; implicit-def: $vgpr2_vgpr3
	s_branch .LBB225_1043
.LBB225_1039:
	s_mov_b64 s[8:9], -1
                                        ; implicit-def: $vgpr2_vgpr3
.LBB225_1040:
	s_andn2_b64 vcc, exec, s[8:9]
	s_cbranch_vccnz .LBB225_1042
; %bb.1041:
	global_load_dwordx2 v[2:3], v[4:5], off
	s_waitcnt vmcnt(0)
	v_cvt_f64_f32_e32 v[0:1], v2
	v_cvt_f64_f32_e32 v[2:3], v3
.LBB225_1042:
	s_mov_b64 s[8:9], 0
.LBB225_1043:
	s_andn2_b64 vcc, exec, s[8:9]
	s_cbranch_vccnz .LBB225_1045
; %bb.1044:
	global_load_dword v0, v[4:5], off
	s_waitcnt vmcnt(0)
	v_cvt_f32_f16_e32 v1, v0
	v_cvt_f32_f16_sdwa v2, v0 dst_sel:DWORD dst_unused:UNUSED_PAD src0_sel:WORD_1
	v_cvt_f64_f32_e32 v[0:1], v1
	v_cvt_f64_f32_e32 v[2:3], v2
.LBB225_1045:
	s_cbranch_execnz .LBB225_1057
.LBB225_1046:
	s_sext_i32_i16 s8, s74
	s_cmp_lt_i32 s8, 6
	s_cbranch_scc1 .LBB225_1049
; %bb.1047:
	s_cmp_gt_i32 s8, 6
	s_cbranch_scc0 .LBB225_1050
; %bb.1048:
	global_load_dwordx2 v[0:1], v[4:5], off
	s_mov_b64 s[8:9], 0
	s_branch .LBB225_1051
.LBB225_1049:
	s_mov_b64 s[8:9], -1
                                        ; implicit-def: $vgpr0_vgpr1
	s_branch .LBB225_1054
.LBB225_1050:
	s_mov_b64 s[8:9], -1
                                        ; implicit-def: $vgpr0_vgpr1
.LBB225_1051:
	s_andn2_b64 vcc, exec, s[8:9]
	s_cbranch_vccnz .LBB225_1053
; %bb.1052:
	global_load_dword v0, v[4:5], off
	s_waitcnt vmcnt(0)
	v_cvt_f64_f32_e32 v[0:1], v0
.LBB225_1053:
	s_mov_b64 s[8:9], 0
.LBB225_1054:
	s_andn2_b64 vcc, exec, s[8:9]
	s_cbranch_vccnz .LBB225_1056
; %bb.1055:
	global_load_ushort v0, v[4:5], off
	s_waitcnt vmcnt(0)
	v_cvt_f32_f16_e32 v0, v0
	v_cvt_f64_f32_e32 v[0:1], v0
.LBB225_1056:
	s_waitcnt vmcnt(0)
	v_mov_b64_e32 v[2:3], 0
.LBB225_1057:
	s_cbranch_execnz .LBB225_1077
.LBB225_1058:
	s_sext_i32_i16 s8, s74
	s_cmp_lt_i32 s8, 2
	s_cbranch_scc1 .LBB225_1062
; %bb.1059:
	s_cmp_lt_i32 s8, 3
	s_cbranch_scc1 .LBB225_1063
; %bb.1060:
	s_cmp_gt_i32 s8, 3
	s_cbranch_scc0 .LBB225_1064
; %bb.1061:
	global_load_dwordx2 v[0:1], v[4:5], off
	s_mov_b64 s[8:9], 0
	s_waitcnt vmcnt(0)
	v_cvt_f64_i32_e32 v[2:3], v1
	v_cvt_f64_u32_e32 v[0:1], v0
	v_ldexp_f64 v[2:3], v[2:3], 32
	v_add_f64 v[0:1], v[2:3], v[0:1]
	s_branch .LBB225_1065
.LBB225_1062:
                                        ; implicit-def: $vgpr0_vgpr1
	s_branch .LBB225_1071
.LBB225_1063:
	s_mov_b64 s[8:9], -1
                                        ; implicit-def: $vgpr0_vgpr1
	s_branch .LBB225_1068
.LBB225_1064:
	s_mov_b64 s[8:9], -1
                                        ; implicit-def: $vgpr0_vgpr1
.LBB225_1065:
	s_andn2_b64 vcc, exec, s[8:9]
	s_cbranch_vccnz .LBB225_1067
; %bb.1066:
	global_load_dword v0, v[4:5], off
	s_waitcnt vmcnt(0)
	v_cvt_f64_i32_e32 v[0:1], v0
.LBB225_1067:
	s_mov_b64 s[8:9], 0
.LBB225_1068:
	s_andn2_b64 vcc, exec, s[8:9]
	s_cbranch_vccnz .LBB225_1070
; %bb.1069:
	global_load_sshort v0, v[4:5], off
	s_waitcnt vmcnt(0)
	v_cvt_f64_i32_e32 v[0:1], v0
.LBB225_1070:
	s_cbranch_execnz .LBB225_1076
.LBB225_1071:
	s_sext_i32_i16 s8, s74
	s_cmp_gt_i32 s8, 0
	s_cbranch_scc0 .LBB225_1073
; %bb.1072:
	global_load_sbyte v0, v[4:5], off
	s_mov_b64 s[8:9], 0
	s_waitcnt vmcnt(0)
	v_cvt_f64_i32_e32 v[0:1], v0
	s_branch .LBB225_1074
.LBB225_1073:
	s_mov_b64 s[8:9], -1
                                        ; implicit-def: $vgpr0_vgpr1
.LBB225_1074:
	s_andn2_b64 vcc, exec, s[8:9]
	s_cbranch_vccnz .LBB225_1076
; %bb.1075:
	global_load_ubyte v0, v[4:5], off
	s_waitcnt vmcnt(0)
	v_cvt_f64_u32_e32 v[0:1], v0
.LBB225_1076:
	s_waitcnt vmcnt(0)
	v_mov_b64_e32 v[2:3], 0
.LBB225_1077:
	s_or_b64 s[2:3], s[2:3], exec
.LBB225_1078:
	s_or_b64 exec, exec, s[4:5]
	s_mov_b64 s[10:11], 0
	s_mov_b64 s[4:5], 0
                                        ; implicit-def: $sgpr16
                                        ; implicit-def: $vgpr8_vgpr9
                                        ; implicit-def: $vgpr4_vgpr5
	s_and_saveexec_b64 s[8:9], s[2:3]
	s_cbranch_execz .LBB225_1091
; %bb.1079:
	s_waitcnt vmcnt(0)
	v_cmp_neq_f64_e32 vcc, 0, v[0:1]
	v_cmp_neq_f64_e64 s[2:3], 0, v[2:3]
	v_mov_b64_e32 v[4:5], 0
	s_or_b64 s[2:3], vcc, s[2:3]
	s_and_saveexec_b64 s[10:11], s[2:3]
	s_cbranch_execz .LBB225_1112
; %bb.1080:
	v_mov_b32_e32 v4, 0
	v_mov_b32_e32 v5, 0x7ff00000
	v_cmp_neq_f64_e64 s[2:3], |v[2:3]|, v[4:5]
	s_and_saveexec_b64 s[12:13], s[2:3]
	s_cbranch_execz .LBB225_1111
; %bb.1081:
	v_cmp_o_f64_e32 vcc, v[0:1], v[0:1]
                                        ; implicit-def: $vgpr4_vgpr5
	s_and_saveexec_b64 s[2:3], vcc
	s_xor_b64 s[14:15], exec, s[2:3]
	s_cbranch_execz .LBB225_1108
; %bb.1082:
	s_mov_b32 s2, 0
	s_mov_b32 s3, 0x7ff00000
	v_cmp_neq_f64_e64 s[2:3], |v[0:1]|, s[2:3]
                                        ; implicit-def: $vgpr4_vgpr5
	s_and_saveexec_b64 s[4:5], s[2:3]
	s_xor_b64 s[16:17], exec, s[4:5]
	s_cbranch_execz .LBB225_1101
; %bb.1083:
	v_max_f64 v[4:5], |v[2:3]|, |v[2:3]|
	v_max_f64 v[8:9], |v[0:1]|, |v[0:1]|
	s_mov_b32 s2, 0x99fcef32
	v_max_f64 v[4:5], v[8:9], v[4:5]
	s_mov_b32 s3, 0x7fda8279
	v_cmp_nle_f64_e64 s[2:3], s[2:3], v[4:5]
                                        ; implicit-def: $sgpr18_sgpr19
	s_and_saveexec_b64 s[4:5], s[2:3]
	s_xor_b64 s[4:5], exec, s[4:5]
	s_cbranch_execz .LBB225_1087
; %bb.1084:
	s_mov_b32 s18, 0
	s_mov_b32 s19, 0x200000
	s_waitcnt lgkmcnt(0)
	v_cmp_le_f64_e64 s[22:23], |v[0:1]|, s[18:19]
	v_cmp_le_f64_e64 s[18:19], |v[2:3]|, s[18:19]
	s_and_b64 s[24:25], s[22:23], s[18:19]
	s_mov_b64 s[18:19], 0
	s_and_saveexec_b64 s[22:23], s[24:25]
; %bb.1085:
	s_mov_b64 s[18:19], exec
	v_mul_f64 v[0:1], v[0:1], 4.0
	v_mul_f64 v[2:3], v[2:3], 4.0
; %bb.1086:
	s_or_b64 exec, exec, s[22:23]
.LBB225_1087:
	s_andn2_saveexec_b64 s[4:5], s[4:5]
; %bb.1088:
	v_ldexp_f64 v[0:1], v[0:1], -2
	v_ldexp_f64 v[2:3], v[2:3], -2
	s_andn2_b64 s[18:19], s[18:19], exec
; %bb.1089:
	s_or_b64 exec, exec, s[4:5]
	v_max_f64 v[4:5], |v[2:3]|, |v[2:3]|
	v_max_f64 v[8:9], |v[0:1]|, |v[0:1]|
	v_max_f64 v[4:5], v[8:9], v[4:5]
	v_frexp_exp_i32_f64_e32 v7, v[4:5]
	v_sub_u32_e32 v8, 0, v7
	v_ldexp_f64 v[4:5], |v[0:1]|, v8
	v_ldexp_f64 v[8:9], |v[2:3]|, v8
	v_mul_f64 v[8:9], v[8:9], v[8:9]
	v_fmac_f64_e32 v[8:9], v[4:5], v[4:5]
	v_rsq_f64_e32 v[4:5], v[8:9]
	v_cmp_eq_f64_e64 s[4:5], 0, v[8:9]
	s_waitcnt lgkmcnt(0)
	s_movk_i32 s22, 0x204
	v_cmp_le_f64_e32 vcc, 0, v[0:1]
	v_mul_f64 v[10:11], v[8:9], v[4:5]
	v_mul_f64 v[4:5], v[4:5], 0.5
	v_fma_f64 v[12:13], -v[4:5], v[10:11], 0.5
	v_fmac_f64_e32 v[10:11], v[10:11], v[12:13]
	v_fmac_f64_e32 v[4:5], v[4:5], v[12:13]
	v_fma_f64 v[12:13], -v[10:11], v[10:11], v[8:9]
	v_fmac_f64_e32 v[10:11], v[12:13], v[4:5]
	v_cndmask_b32_e64 v5, v11, v9, s[4:5]
	v_cndmask_b32_e64 v4, v10, v8, s[4:5]
	v_ldexp_f64 v[4:5], v[4:5], v7
	v_cmp_o_f64_e64 s[4:5], v[2:3], v[2:3]
	v_mov_b32_e32 v7, 0x7ff80000
                                        ; implicit-def: $vgpr8_vgpr9
                                        ; implicit-def: $vgpr10_vgpr11
	s_nop 0
	v_cndmask_b32_e64 v4, 0, v4, s[4:5]
	v_cndmask_b32_e64 v5, v7, v5, s[4:5]
	v_cmp_class_f64_e64 s[4:5], v[0:1], s22
	v_cmp_class_f64_e64 s[22:23], v[2:3], s22
	v_mov_b32_e32 v7, 0x7ff00000
	s_or_b64 s[4:5], s[22:23], s[4:5]
	v_cndmask_b32_e64 v5, v5, v7, s[4:5]
	v_cndmask_b32_e64 v4, v4, 0, s[4:5]
	s_and_saveexec_b64 s[4:5], vcc
	s_xor_b64 s[4:5], exec, s[4:5]
	s_cbranch_execz .LBB225_1094
; %bb.1090:
	v_add_f64 v[0:1], v[0:1], v[4:5]
	s_mov_b32 s22, 0
	v_mul_f64 v[0:1], v[0:1], 0.5
	s_brev_b32 s23, 8
	v_mov_b32_e32 v4, 0x100
	v_cmp_gt_f64_e32 vcc, s[22:23], v[0:1]
	v_mov_b32_e32 v7, 0x260
	s_nop 0
	v_cndmask_b32_e32 v4, 0, v4, vcc
	v_ldexp_f64 v[0:1], v[0:1], v4
	v_rsq_f64_e32 v[4:5], v[0:1]
	s_nop 0
	v_mul_f64 v[8:9], v[0:1], v[4:5]
	v_mul_f64 v[4:5], v[4:5], 0.5
	v_fma_f64 v[10:11], -v[4:5], v[8:9], 0.5
	v_fmac_f64_e32 v[8:9], v[8:9], v[10:11]
	v_fma_f64 v[12:13], -v[8:9], v[8:9], v[0:1]
	v_fmac_f64_e32 v[4:5], v[4:5], v[10:11]
	v_fmac_f64_e32 v[8:9], v[12:13], v[4:5]
	v_fma_f64 v[10:11], -v[8:9], v[8:9], v[0:1]
	v_fmac_f64_e32 v[8:9], v[10:11], v[4:5]
	v_mov_b32_e32 v4, 0xffffff80
	v_cndmask_b32_e32 v4, 0, v4, vcc
	v_ldexp_f64 v[4:5], v[8:9], v4
	v_cmp_class_f64_e32 vcc, v[0:1], v7
	s_nop 1
	v_cndmask_b32_e32 v11, v5, v1, vcc
	v_cndmask_b32_e32 v10, v4, v0, vcc
	v_add_f64 v[0:1], v[10:11], v[10:11]
	v_div_scale_f64 v[4:5], s[22:23], v[0:1], v[0:1], v[2:3]
	v_rcp_f64_e32 v[8:9], v[4:5]
	s_nop 0
	v_fma_f64 v[12:13], -v[4:5], v[8:9], 1.0
	v_fmac_f64_e32 v[8:9], v[8:9], v[12:13]
	v_fma_f64 v[12:13], -v[4:5], v[8:9], 1.0
	v_fmac_f64_e32 v[8:9], v[8:9], v[12:13]
	v_div_scale_f64 v[12:13], vcc, v[2:3], v[0:1], v[2:3]
	v_mul_f64 v[14:15], v[12:13], v[8:9]
	v_fma_f64 v[4:5], -v[4:5], v[14:15], v[12:13]
	s_nop 1
	v_div_fmas_f64 v[4:5], v[4:5], v[8:9], v[14:15]
	v_div_fixup_f64 v[8:9], v[4:5], v[0:1], v[2:3]
                                        ; implicit-def: $vgpr4_vgpr5
                                        ; implicit-def: $vgpr0_vgpr1
	s_andn2_saveexec_b64 s[4:5], s[4:5]
	s_cbranch_execz .LBB225_1096
	s_branch .LBB225_1095
.LBB225_1091:
	s_or_b64 exec, exec, s[8:9]
	s_and_saveexec_b64 s[2:3], s[54:55]
	s_cbranch_execnz .LBB225_1189
.LBB225_1092:
	s_or_b64 exec, exec, s[2:3]
	s_and_saveexec_b64 s[2:3], s[10:11]
	s_xor_b64 s[8:9], exec, s[2:3]
	s_cbranch_execz .LBB225_1190
.LBB225_1093:
	v_cmp_neq_f64_e32 vcc, 0, v[4:5]
	s_waitcnt vmcnt(0)
	v_cmp_neq_f64_e64 s[2:3], 0, v[2:3]
	s_or_b64 s[2:3], vcc, s[2:3]
	s_nop 0
	v_cndmask_b32_e64 v0, 0, 1, s[2:3]
	global_store_byte v[8:9], v0, off
	s_or_b64 exec, exec, s[8:9]
	s_and_saveexec_b64 s[2:3], s[4:5]
	s_xor_b64 s[2:3], exec, s[2:3]
	s_cbranch_execz .LBB225_1228
	s_branch .LBB225_1191
.LBB225_1094:
	s_andn2_saveexec_b64 s[4:5], s[4:5]
	s_cbranch_execz .LBB225_1096
.LBB225_1095:
	v_add_f64 v[0:1], v[4:5], -v[0:1]
	s_mov_b32 s22, 0
	v_mul_f64 v[0:1], v[0:1], 0.5
	s_brev_b32 s23, 8
	v_mov_b32_e32 v4, 0x100
	v_cmp_gt_f64_e32 vcc, s[22:23], v[0:1]
	v_mov_b32_e32 v7, 0x260
	s_nop 0
	v_cndmask_b32_e32 v4, 0, v4, vcc
	v_ldexp_f64 v[0:1], v[0:1], v4
	v_rsq_f64_e32 v[4:5], v[0:1]
	s_nop 0
	v_mul_f64 v[8:9], v[0:1], v[4:5]
	v_mul_f64 v[4:5], v[4:5], 0.5
	v_fma_f64 v[10:11], -v[4:5], v[8:9], 0.5
	v_fmac_f64_e32 v[8:9], v[8:9], v[10:11]
	v_fma_f64 v[12:13], -v[8:9], v[8:9], v[0:1]
	v_fmac_f64_e32 v[4:5], v[4:5], v[10:11]
	v_fmac_f64_e32 v[8:9], v[12:13], v[4:5]
	v_fma_f64 v[10:11], -v[8:9], v[8:9], v[0:1]
	v_fmac_f64_e32 v[8:9], v[10:11], v[4:5]
	v_mov_b32_e32 v4, 0xffffff80
	v_cndmask_b32_e32 v4, 0, v4, vcc
	v_ldexp_f64 v[4:5], v[8:9], v4
	v_cmp_class_f64_e32 vcc, v[0:1], v7
	s_nop 1
	v_cndmask_b32_e32 v9, v5, v1, vcc
	v_cndmask_b32_e32 v8, v4, v0, vcc
	v_add_f64 v[0:1], v[8:9], v[8:9]
	v_and_b32_e32 v5, 0x7fffffff, v3
	v_mov_b32_e32 v4, v2
	v_div_scale_f64 v[10:11], s[22:23], v[0:1], v[0:1], v[4:5]
	v_rcp_f64_e32 v[12:13], v[10:11]
	v_div_scale_f64 v[4:5], vcc, v[4:5], v[0:1], v[4:5]
	s_brev_b32 s22, -2
	v_fma_f64 v[14:15], -v[10:11], v[12:13], 1.0
	v_fmac_f64_e32 v[12:13], v[12:13], v[14:15]
	v_fma_f64 v[14:15], -v[10:11], v[12:13], 1.0
	v_fmac_f64_e32 v[12:13], v[12:13], v[14:15]
	v_mul_f64 v[14:15], v[4:5], v[12:13]
	v_fma_f64 v[4:5], -v[10:11], v[14:15], v[4:5]
	v_div_fmas_f64 v[4:5], v[4:5], v[12:13], v[14:15]
	v_div_fixup_f64 v[10:11], v[4:5], v[0:1], |v[2:3]|
	v_bfi_b32 v9, s22, v9, v3
.LBB225_1096:
	s_or_b64 exec, exec, s[4:5]
                                        ; implicit-def: $vgpr2_vgpr3
                                        ; implicit-def: $vgpr4_vgpr5
	s_and_saveexec_b64 s[4:5], s[2:3]
	s_xor_b64 s[2:3], exec, s[4:5]
	s_cbranch_execz .LBB225_1098
; %bb.1097:
	v_mul_f64 v[0:1], v[10:11], 0.5
	v_mul_f64 v[2:3], v[8:9], 0.5
	v_cndmask_b32_e64 v5, v11, v1, s[18:19]
	v_cndmask_b32_e64 v4, v10, v0, s[18:19]
	;; [unrolled: 1-line block ×4, first 2 shown]
                                        ; implicit-def: $vgpr10_vgpr11
                                        ; implicit-def: $vgpr8_vgpr9
	s_andn2_saveexec_b64 s[2:3], s[2:3]
	s_cbranch_execnz .LBB225_1099
	s_branch .LBB225_1100
.LBB225_1098:
	s_andn2_saveexec_b64 s[2:3], s[2:3]
.LBB225_1099:
	v_add_f64 v[4:5], v[10:11], v[10:11]
	v_add_f64 v[2:3], v[8:9], v[8:9]
.LBB225_1100:
	s_or_b64 exec, exec, s[2:3]
.LBB225_1101:
	s_andn2_saveexec_b64 s[2:3], s[16:17]
	s_cbranch_execz .LBB225_1107
; %bb.1102:
	v_add_f64 v[8:9], v[2:3], -v[2:3]
	v_cmp_lt_i64_e32 vcc, -1, v[0:1]
	s_brev_b32 s16, -2
	v_and_b32_e32 v5, 0x7fffffff, v9
	v_mov_b32_e32 v4, v8
	s_and_saveexec_b64 s[4:5], vcc
	s_xor_b64 s[4:5], exec, s[4:5]
; %bb.1103:
	v_bfi_b32 v9, s16, v9, v3
	v_mov_b64_e32 v[2:3], v[8:9]
	v_mov_b64_e32 v[4:5], v[0:1]
; %bb.1104:
	s_andn2_saveexec_b64 s[4:5], s[4:5]
; %bb.1105:
	v_bfi_b32 v1, s16, v1, v3
	v_mov_b64_e32 v[2:3], v[0:1]
; %bb.1106:
	s_or_b64 exec, exec, s[4:5]
.LBB225_1107:
	s_or_b64 exec, exec, s[2:3]
.LBB225_1108:
	s_andn2_saveexec_b64 s[2:3], s[14:15]
	s_cbranch_execz .LBB225_1110
; %bb.1109:
	v_add_f64 v[2:3], v[2:3], -v[2:3]
	v_div_scale_f64 v[4:5], vcc, v[2:3], v[2:3], v[2:3]
	v_rcp_f64_e32 v[8:9], v[4:5]
	s_nop 0
	v_fma_f64 v[10:11], -v[4:5], v[8:9], 1.0
	v_fmac_f64_e32 v[8:9], v[8:9], v[10:11]
	v_fma_f64 v[10:11], -v[4:5], v[8:9], 1.0
	v_fmac_f64_e32 v[8:9], v[8:9], v[10:11]
	v_mul_f64 v[10:11], v[4:5], v[8:9]
	v_fma_f64 v[4:5], -v[4:5], v[10:11], v[4:5]
	v_div_fmas_f64 v[4:5], v[4:5], v[8:9], v[10:11]
	v_div_fixup_f64 v[2:3], v[4:5], v[2:3], v[2:3]
	v_mov_b64_e32 v[4:5], v[0:1]
.LBB225_1110:
	s_or_b64 exec, exec, s[2:3]
.LBB225_1111:
	s_or_b64 exec, exec, s[12:13]
.LBB225_1112:
	s_or_b64 exec, exec, s[10:11]
	v_mov_b32_e32 v7, 0
	s_and_b32 s16, s73, 0xff
	s_cmp_lt_i32 s16, 11
	s_waitcnt lgkmcnt(0)
	v_lshl_add_u64 v[8:9], s[20:21], 0, v[6:7]
	s_cbranch_scc1 .LBB225_1119
; %bb.1113:
	s_and_b32 s17, 0xffff, s16
	s_mov_b64 s[10:11], -1
	s_cmp_gt_i32 s17, 25
	s_mov_b64 s[2:3], s[54:55]
	s_cbranch_scc0 .LBB225_1147
; %bb.1114:
	s_mov_b64 s[4:5], -1
	s_cmp_gt_i32 s17, 28
	s_mov_b64 s[2:3], s[54:55]
	s_cbranch_scc0 .LBB225_1131
; %bb.1115:
	s_cmp_gt_i32 s17, 43
	s_mov_b64 s[2:3], s[54:55]
	s_cbranch_scc0 .LBB225_1127
; %bb.1116:
	;; [unrolled: 4-line block ×3, first 2 shown]
	s_cmp_eq_u32 s17, 46
	s_mov_b64 s[2:3], -1
	s_cbranch_scc0 .LBB225_1120
; %bb.1118:
	v_cvt_f32_f64_e32 v1, v[2:3]
	s_movk_i32 s2, 0x7fff
	v_bfe_u32 v7, v1, 16, 1
	v_cvt_f32_f64_e32 v0, v[4:5]
	v_add3_u32 v7, v1, v7, s2
	v_bfe_u32 v6, v0, 16, 1
	v_and_b32_e32 v7, 0xffff0000, v7
	v_mov_b32_e32 v10, 0x7fc00000
	v_cmp_o_f32_e32 vcc, v1, v1
	v_add3_u32 v6, v0, v6, s2
	s_mov_b64 s[2:3], 0
	v_cndmask_b32_e32 v1, v10, v7, vcc
	v_cmp_o_f32_e32 vcc, v0, v0
	v_mov_b32_e32 v0, 0x7fc0
	s_mov_b64 s[4:5], 0
	v_cndmask_b32_sdwa v0, v0, v6, vcc dst_sel:DWORD dst_unused:UNUSED_PAD src0_sel:DWORD src1_sel:WORD_1
	v_or_b32_e32 v0, v1, v0
	global_store_dword v[8:9], v0, off
	s_branch .LBB225_1121
.LBB225_1119:
	s_mov_b64 s[10:11], 0
	s_mov_b64 s[4:5], -1
	s_mov_b64 s[2:3], s[54:55]
	s_branch .LBB225_1188
.LBB225_1120:
	s_mov_b64 s[4:5], 0
.LBB225_1121:
	s_and_b64 vcc, exec, s[4:5]
	s_cbranch_vccz .LBB225_1126
; %bb.1122:
	s_cmp_eq_u32 s17, 44
	s_mov_b64 s[2:3], -1
	s_cbranch_scc0 .LBB225_1126
; %bb.1123:
	v_cvt_f32_f64_e32 v0, v[4:5]
	v_bfe_u32 v1, v0, 23, 8
	s_movk_i32 s2, 0xff
	v_cmp_ne_u32_e32 vcc, s2, v1
	v_mov_b32_e32 v6, 0xff
	s_and_saveexec_b64 s[4:5], vcc
; %bb.1124:
	s_mov_b32 s2, 0x3fffff
	v_lshrrev_b32_e32 v6, 23, v0
	v_and_b32_e32 v7, 0x400000, v0
	v_and_or_b32 v0, v0, s2, v1
	v_cmp_ne_u32_e32 vcc, 0, v7
	v_cmp_ne_u32_e64 s[2:3], 0, v0
	s_and_b64 s[2:3], vcc, s[2:3]
	s_nop 0
	v_cndmask_b32_e64 v0, 0, 1, s[2:3]
	v_add_u32_e32 v6, v6, v0
; %bb.1125:
	s_or_b64 exec, exec, s[4:5]
	s_mov_b64 s[2:3], 0
	global_store_byte v[8:9], v6, off
.LBB225_1126:
	s_mov_b64 s[4:5], 0
.LBB225_1127:
	s_and_b64 vcc, exec, s[4:5]
	s_cbranch_vccz .LBB225_1130
; %bb.1128:
	s_cmp_eq_u32 s17, 29
	s_mov_b64 s[2:3], -1
	s_cbranch_scc0 .LBB225_1130
; %bb.1129:
	v_trunc_f64_e32 v[0:1], v[4:5]
	s_movk_i32 s2, 0xffe0
	v_ldexp_f64 v[6:7], v[0:1], s2
	v_floor_f64_e32 v[6:7], v[6:7]
	v_fmac_f64_e32 v[0:1], 0xc1f00000, v[6:7]
	v_cvt_u32_f64_e32 v11, v[6:7]
	v_cvt_u32_f64_e32 v10, v[0:1]
	global_store_dwordx2 v[8:9], v[10:11], off
	s_mov_b64 s[2:3], 0
.LBB225_1130:
	s_mov_b64 s[4:5], 0
.LBB225_1131:
	s_and_b64 vcc, exec, s[4:5]
	s_cbranch_vccz .LBB225_1146
; %bb.1132:
	s_cmp_lt_i32 s17, 27
	s_mov_b64 s[4:5], -1
	s_cbranch_scc1 .LBB225_1138
; %bb.1133:
	s_cmp_gt_i32 s17, 27
	s_cbranch_scc0 .LBB225_1135
; %bb.1134:
	v_cvt_u32_f64_e32 v0, v[4:5]
	s_mov_b64 s[4:5], 0
	global_store_dword v[8:9], v0, off
.LBB225_1135:
	s_andn2_b64 vcc, exec, s[4:5]
	s_cbranch_vccnz .LBB225_1137
; %bb.1136:
	v_cvt_u32_f64_e32 v0, v[4:5]
	global_store_short v[8:9], v0, off
.LBB225_1137:
	s_mov_b64 s[4:5], 0
.LBB225_1138:
	s_andn2_b64 vcc, exec, s[4:5]
	s_cbranch_vccnz .LBB225_1146
; %bb.1139:
	v_cvt_f32_f64_e32 v0, v[4:5]
	v_and_b32_e32 v1, 0x7fffffff, v0
	s_mov_b32 s4, 0x43800000
	v_cmp_gt_u32_e32 vcc, s4, v1
	v_mov_b32_e32 v6, 0x80
	s_and_saveexec_b64 s[4:5], vcc
	s_cbranch_execz .LBB225_1145
; %bb.1140:
	s_mov_b32 s10, 0x3bffffff
	v_cmp_lt_u32_e32 vcc, s10, v1
	s_mov_b64 s[10:11], 0
                                        ; implicit-def: $vgpr1
	s_and_saveexec_b64 s[12:13], vcc
	s_xor_b64 s[12:13], exec, s[12:13]
	s_cbranch_execz .LBB225_1299
; %bb.1141:
	v_bfe_u32 v1, v0, 20, 1
	s_mov_b32 s14, 0x487ffff
	v_add3_u32 v1, v0, v1, s14
	s_mov_b64 s[10:11], exec
	v_lshrrev_b32_e32 v1, 20, v1
	s_andn2_saveexec_b64 s[12:13], s[12:13]
	s_cbranch_execnz .LBB225_1300
.LBB225_1142:
	s_or_b64 exec, exec, s[12:13]
	v_mov_b32_e32 v6, 0
	s_and_saveexec_b64 s[12:13], s[10:11]
.LBB225_1143:
	v_lshrrev_b32_e32 v0, 24, v0
	s_movk_i32 s10, 0x80
	v_and_or_b32 v6, v0, s10, v1
.LBB225_1144:
	s_or_b64 exec, exec, s[12:13]
.LBB225_1145:
	s_or_b64 exec, exec, s[4:5]
	global_store_byte v[8:9], v6, off
.LBB225_1146:
	s_mov_b64 s[10:11], 0
.LBB225_1147:
	s_mov_b64 s[4:5], 0
	s_and_b64 vcc, exec, s[10:11]
	s_cbranch_vccz .LBB225_1187
; %bb.1148:
	s_cmp_gt_i32 s17, 22
	s_mov_b64 s[10:11], -1
	s_cbranch_scc0 .LBB225_1180
; %bb.1149:
	s_cmp_lt_i32 s17, 24
	s_cbranch_scc1 .LBB225_1169
; %bb.1150:
	s_cmp_gt_i32 s17, 24
	s_cbranch_scc0 .LBB225_1158
; %bb.1151:
	v_cvt_f32_f64_e32 v0, v[4:5]
	v_and_b32_e32 v1, 0x7fffffff, v0
	s_mov_b32 s10, 0x47800000
	v_cmp_gt_u32_e32 vcc, s10, v1
	v_mov_b32_e32 v6, 0x80
	s_and_saveexec_b64 s[10:11], vcc
	s_cbranch_execz .LBB225_1157
; %bb.1152:
	s_mov_b32 s12, 0x37ffffff
	v_cmp_lt_u32_e32 vcc, s12, v1
	s_mov_b64 s[12:13], 0
                                        ; implicit-def: $vgpr1
	s_and_saveexec_b64 s[14:15], vcc
	s_xor_b64 s[14:15], exec, s[14:15]
	s_cbranch_execz .LBB225_1459
; %bb.1153:
	v_bfe_u32 v1, v0, 21, 1
	s_mov_b32 s18, 0x88fffff
	v_add3_u32 v1, v0, v1, s18
	s_mov_b64 s[12:13], exec
	v_lshrrev_b32_e32 v1, 21, v1
	s_andn2_saveexec_b64 s[14:15], s[14:15]
	s_cbranch_execnz .LBB225_1460
.LBB225_1154:
	s_or_b64 exec, exec, s[14:15]
	v_mov_b32_e32 v6, 0
	s_and_saveexec_b64 s[14:15], s[12:13]
.LBB225_1155:
	v_lshrrev_b32_e32 v0, 24, v0
	s_movk_i32 s12, 0x80
	v_and_or_b32 v6, v0, s12, v1
.LBB225_1156:
	s_or_b64 exec, exec, s[14:15]
.LBB225_1157:
	s_or_b64 exec, exec, s[10:11]
	s_mov_b64 s[10:11], 0
	global_store_byte v[8:9], v6, off
.LBB225_1158:
	s_and_b64 vcc, exec, s[10:11]
	s_cbranch_vccz .LBB225_1168
; %bb.1159:
	v_cvt_f32_f64_e32 v0, v[4:5]
	v_and_b32_e32 v6, 0x7fffffff, v0
	s_mov_b32 s10, 0x43f00000
	v_cmp_gt_u32_e32 vcc, s10, v6
                                        ; implicit-def: $vgpr1
	s_and_saveexec_b64 s[10:11], vcc
	s_xor_b64 s[10:11], exec, s[10:11]
	s_cbranch_execz .LBB225_1165
; %bb.1160:
	s_mov_b32 s12, 0x3c7fffff
	v_cmp_lt_u32_e32 vcc, s12, v6
                                        ; implicit-def: $vgpr1
	s_and_saveexec_b64 s[12:13], vcc
	s_xor_b64 s[12:13], exec, s[12:13]
; %bb.1161:
	v_bfe_u32 v1, v0, 20, 1
	s_mov_b32 s14, 0x407ffff
	v_add3_u32 v1, v0, v1, s14
	v_lshrrev_b32_e32 v6, 20, v1
	v_and_b32_e32 v1, 0xff00000, v1
	s_mov_b32 s14, 0x7f00000
	v_mov_b32_e32 v7, 0x7e
	v_cmp_ne_u32_e32 vcc, s14, v1
	s_nop 1
	v_cndmask_b32_e32 v1, v7, v6, vcc
; %bb.1162:
	s_andn2_saveexec_b64 s[12:13], s[12:13]
; %bb.1163:
	s_mov_b32 s14, 0x46800000
	v_add_f32_e64 v1, |v0|, s14
; %bb.1164:
	s_or_b64 exec, exec, s[12:13]
                                        ; implicit-def: $vgpr6
.LBB225_1165:
	s_andn2_saveexec_b64 s[10:11], s[10:11]
; %bb.1166:
	s_mov_b32 s12, 0x7f800000
	v_mov_b32_e32 v1, 0x7e
	v_mov_b32_e32 v7, 0x7f
	v_cmp_lt_u32_e32 vcc, s12, v6
	s_nop 1
	v_cndmask_b32_e32 v1, v1, v7, vcc
; %bb.1167:
	s_or_b64 exec, exec, s[10:11]
	v_lshrrev_b32_e32 v0, 24, v0
	s_movk_i32 s10, 0x80
	v_and_or_b32 v0, v0, s10, v1
	global_store_byte v[8:9], v0, off
.LBB225_1168:
	s_mov_b64 s[10:11], 0
.LBB225_1169:
	s_andn2_b64 vcc, exec, s[10:11]
	s_cbranch_vccnz .LBB225_1179
; %bb.1170:
	v_cvt_f32_f64_e32 v0, v[4:5]
	v_and_b32_e32 v6, 0x7fffffff, v0
	s_mov_b32 s10, 0x47800000
	v_cmp_gt_u32_e32 vcc, s10, v6
                                        ; implicit-def: $vgpr1
	s_and_saveexec_b64 s[10:11], vcc
	s_xor_b64 s[10:11], exec, s[10:11]
	s_cbranch_execz .LBB225_1176
; %bb.1171:
	s_mov_b32 s12, 0x387fffff
	v_cmp_lt_u32_e32 vcc, s12, v6
                                        ; implicit-def: $vgpr1
	s_and_saveexec_b64 s[12:13], vcc
	s_xor_b64 s[12:13], exec, s[12:13]
; %bb.1172:
	v_bfe_u32 v1, v0, 21, 1
	s_mov_b32 s14, 0x80fffff
	v_add3_u32 v1, v0, v1, s14
	v_lshrrev_b32_e32 v1, 21, v1
; %bb.1173:
	s_andn2_saveexec_b64 s[12:13], s[12:13]
; %bb.1174:
	s_mov_b32 s14, 0x43000000
	v_add_f32_e64 v1, |v0|, s14
; %bb.1175:
	s_or_b64 exec, exec, s[12:13]
                                        ; implicit-def: $vgpr6
.LBB225_1176:
	s_andn2_saveexec_b64 s[10:11], s[10:11]
; %bb.1177:
	s_mov_b32 s12, 0x7f800000
	v_mov_b32_e32 v1, 0x7c
	v_mov_b32_e32 v7, 0x7f
	v_cmp_lt_u32_e32 vcc, s12, v6
	s_nop 1
	v_cndmask_b32_e32 v1, v1, v7, vcc
; %bb.1178:
	s_or_b64 exec, exec, s[10:11]
	v_lshrrev_b32_e32 v0, 24, v0
	s_movk_i32 s10, 0x80
	v_and_or_b32 v0, v0, s10, v1
	global_store_byte v[8:9], v0, off
.LBB225_1179:
	s_mov_b64 s[10:11], 0
.LBB225_1180:
	s_andn2_b64 vcc, exec, s[10:11]
	s_mov_b64 s[10:11], 0
	s_cbranch_vccnz .LBB225_1188
; %bb.1181:
	s_cmp_gt_i32 s17, 14
	s_mov_b64 s[12:13], -1
	s_cbranch_scc0 .LBB225_1185
; %bb.1182:
	s_cmp_eq_u32 s17, 15
	s_mov_b64 s[2:3], -1
	s_cbranch_scc0 .LBB225_1184
; %bb.1183:
	v_cvt_f32_f64_e32 v0, v[4:5]
	v_bfe_u32 v1, v0, 16, 1
	s_movk_i32 s2, 0x7fff
	v_add3_u32 v1, v0, v1, s2
	v_cmp_o_f32_e32 vcc, v0, v0
	v_mov_b32_e32 v0, 0x7fc0
	s_mov_b64 s[2:3], 0
	v_cndmask_b32_sdwa v0, v0, v1, vcc dst_sel:DWORD dst_unused:UNUSED_PAD src0_sel:DWORD src1_sel:WORD_1
	global_store_short v[8:9], v0, off
.LBB225_1184:
	s_mov_b64 s[12:13], 0
.LBB225_1185:
	s_and_b64 vcc, exec, s[12:13]
	s_cbranch_vccz .LBB225_1188
; %bb.1186:
	s_cmp_lg_u32 s17, 11
	s_cselect_b64 s[12:13], -1, 0
	s_andn2_b64 s[2:3], s[2:3], exec
	s_and_b64 s[12:13], s[12:13], exec
	s_mov_b64 s[10:11], -1
	s_or_b64 s[2:3], s[2:3], s[12:13]
	s_branch .LBB225_1188
.LBB225_1187:
	s_mov_b64 s[10:11], 0
.LBB225_1188:
	s_andn2_b64 s[12:13], s[54:55], exec
	s_and_b64 s[2:3], s[2:3], exec
	s_and_b64 s[4:5], s[4:5], exec
	;; [unrolled: 1-line block ×3, first 2 shown]
	s_or_b64 s[54:55], s[12:13], s[2:3]
	s_or_b64 exec, exec, s[8:9]
	s_and_saveexec_b64 s[2:3], s[54:55]
	s_cbranch_execz .LBB225_1092
.LBB225_1189:
	s_or_b64 s[6:7], s[6:7], exec
	s_andn2_b64 s[10:11], s[10:11], exec
	s_trap 2
	s_or_b64 exec, exec, s[2:3]
	s_and_saveexec_b64 s[2:3], s[10:11]
	s_xor_b64 s[8:9], exec, s[2:3]
	s_cbranch_execnz .LBB225_1093
.LBB225_1190:
	s_or_b64 exec, exec, s[8:9]
	s_and_saveexec_b64 s[2:3], s[4:5]
	s_xor_b64 s[2:3], exec, s[2:3]
	s_cbranch_execz .LBB225_1228
.LBB225_1191:
	s_sext_i32_i16 s8, s16
	s_cmp_lt_i32 s8, 5
	s_mov_b64 s[4:5], -1
	s_cbranch_scc1 .LBB225_1212
; %bb.1192:
	s_cmp_lt_i32 s8, 8
	s_cbranch_scc1 .LBB225_1202
; %bb.1193:
	s_cmp_lt_i32 s8, 9
	s_cbranch_scc1 .LBB225_1199
; %bb.1194:
	s_cmp_gt_i32 s8, 9
	s_cbranch_scc0 .LBB225_1196
; %bb.1195:
	s_waitcnt vmcnt(0)
	v_mov_b32_e32 v6, v2
	v_mov_b32_e32 v7, v3
	s_mov_b64 s[4:5], 0
	global_store_dwordx4 v[8:9], v[4:7], off
.LBB225_1196:
	s_andn2_b64 vcc, exec, s[4:5]
	s_cbranch_vccnz .LBB225_1198
; %bb.1197:
	s_waitcnt vmcnt(0)
	v_cvt_f32_f64_e32 v0, v[4:5]
	v_cvt_f32_f64_e32 v1, v[2:3]
	global_store_dwordx2 v[8:9], v[0:1], off
.LBB225_1198:
	s_mov_b64 s[4:5], 0
.LBB225_1199:
	s_andn2_b64 vcc, exec, s[4:5]
	s_cbranch_vccnz .LBB225_1201
; %bb.1200:
	s_movk_i32 s4, 0x1ff
	s_waitcnt vmcnt(0)
	v_and_or_b32 v0, v5, s4, v4
	v_cmp_ne_u32_e32 vcc, 0, v0
	v_lshrrev_b32_e32 v1, 8, v5
	s_movk_i32 s5, 0xffe
	v_cndmask_b32_e64 v0, 0, 1, vcc
	v_bfe_u32 v6, v5, 20, 11
	v_and_or_b32 v0, v1, s5, v0
	v_sub_u32_e32 v7, 0x3f1, v6
	v_or_b32_e32 v1, 0x1000, v0
	v_med3_i32 v7, v7, 0, 13
	v_lshrrev_b32_e32 v10, v7, v1
	v_lshlrev_b32_e32 v7, v7, v10
	v_cmp_ne_u32_e32 vcc, v7, v1
	v_add_u32_e32 v6, 0xfffffc10, v6
	v_lshl_or_b32 v7, v6, 12, v0
	v_cndmask_b32_e64 v1, 0, 1, vcc
	v_or_b32_e32 v1, v10, v1
	v_cmp_gt_i32_e32 vcc, 1, v6
	s_movk_i32 s8, 0x40f
	v_and_or_b32 v2, v3, s4, v2
	v_cndmask_b32_e32 v1, v7, v1, vcc
	v_and_b32_e32 v7, 7, v1
	v_cmp_lt_i32_e32 vcc, 5, v7
	v_lshrrev_b32_e32 v1, 2, v1
	v_bfe_u32 v11, v3, 20, 11
	v_cndmask_b32_e64 v10, 0, 1, vcc
	v_cmp_eq_u32_e32 vcc, 3, v7
	v_sub_u32_e32 v12, 0x3f1, v11
	v_med3_i32 v12, v12, 0, 13
	v_cndmask_b32_e64 v7, 0, 1, vcc
	v_or_b32_e32 v7, v7, v10
	v_add_u32_e32 v1, v1, v7
	v_mov_b32_e32 v7, 0x7c00
	v_cmp_gt_i32_e32 vcc, 31, v6
	v_mov_b32_e32 v10, 0x7e00
	v_add_u32_e32 v11, 0xfffffc10, v11
	v_cndmask_b32_e32 v1, v7, v1, vcc
	v_cmp_ne_u32_e32 vcc, 0, v0
	s_mov_b32 s9, 0x8000
	s_mov_b32 s4, 0xffff
	v_cndmask_b32_e32 v0, v7, v10, vcc
	v_cmp_eq_u32_e32 vcc, s8, v6
	v_lshrrev_b32_e32 v6, 8, v3
	v_lshrrev_b32_e32 v3, 16, v3
	v_cndmask_b32_e32 v0, v1, v0, vcc
	v_cmp_ne_u32_e32 vcc, 0, v2
	v_and_b32_sdwa v1, v5, s9 dst_sel:DWORD dst_unused:UNUSED_PAD src0_sel:WORD_1 src1_sel:DWORD
	v_bitop3_b32 v0, v1, s4, v0 bitop3:0xc8
	v_cndmask_b32_e64 v2, 0, 1, vcc
	v_and_or_b32 v2, v6, s5, v2
	v_or_b32_e32 v6, 0x1000, v2
	v_lshrrev_b32_e32 v13, v12, v6
	v_lshlrev_b32_e32 v12, v12, v13
	v_cmp_ne_u32_e32 vcc, v12, v6
	v_lshl_or_b32 v12, v11, 12, v2
	s_nop 0
	v_cndmask_b32_e64 v6, 0, 1, vcc
	v_or_b32_e32 v6, v13, v6
	v_cmp_gt_i32_e32 vcc, 1, v11
	s_nop 1
	v_cndmask_b32_e32 v6, v12, v6, vcc
	v_and_b32_e32 v12, 7, v6
	v_cmp_lt_i32_e32 vcc, 5, v12
	v_lshrrev_b32_e32 v6, 2, v6
	s_nop 0
	v_cndmask_b32_e64 v13, 0, 1, vcc
	v_cmp_eq_u32_e32 vcc, 3, v12
	s_nop 1
	v_cndmask_b32_e64 v12, 0, 1, vcc
	v_or_b32_e32 v12, v12, v13
	v_add_u32_e32 v6, v6, v12
	v_cmp_gt_i32_e32 vcc, 31, v11
	s_nop 1
	v_cndmask_b32_e32 v6, v7, v6, vcc
	v_cmp_ne_u32_e32 vcc, 0, v2
	s_nop 1
	v_cndmask_b32_e32 v2, v7, v10, vcc
	v_cmp_eq_u32_e32 vcc, s8, v11
	s_nop 1
	v_cndmask_b32_e32 v2, v6, v2, vcc
	v_and_or_b32 v2, v3, s9, v2
	v_lshl_or_b32 v0, v2, 16, v0
	global_store_dword v[8:9], v0, off
.LBB225_1201:
	s_mov_b64 s[4:5], 0
.LBB225_1202:
	s_andn2_b64 vcc, exec, s[4:5]
	s_cbranch_vccnz .LBB225_1211
; %bb.1203:
	s_sext_i32_i16 s8, s16
	s_cmp_lt_i32 s8, 6
	s_mov_b64 s[4:5], -1
	s_cbranch_scc1 .LBB225_1209
; %bb.1204:
	s_cmp_gt_i32 s8, 6
	s_cbranch_scc0 .LBB225_1206
; %bb.1205:
	s_mov_b64 s[4:5], 0
	global_store_dwordx2 v[8:9], v[4:5], off
.LBB225_1206:
	s_andn2_b64 vcc, exec, s[4:5]
	s_cbranch_vccnz .LBB225_1208
; %bb.1207:
	s_waitcnt vmcnt(0)
	v_cvt_f32_f64_e32 v0, v[4:5]
	global_store_dword v[8:9], v0, off
.LBB225_1208:
	s_mov_b64 s[4:5], 0
.LBB225_1209:
	s_andn2_b64 vcc, exec, s[4:5]
	s_cbranch_vccnz .LBB225_1211
; %bb.1210:
	s_movk_i32 s4, 0x1ff
	s_waitcnt vmcnt(0)
	v_and_or_b32 v0, v5, s4, v4
	v_cmp_ne_u32_e32 vcc, 0, v0
	v_lshrrev_b32_e32 v1, 8, v5
	s_movk_i32 s4, 0xffe
	v_cndmask_b32_e64 v0, 0, 1, vcc
	v_bfe_u32 v2, v5, 20, 11
	v_and_or_b32 v0, v1, s4, v0
	v_sub_u32_e32 v3, 0x3f1, v2
	v_or_b32_e32 v1, 0x1000, v0
	v_med3_i32 v3, v3, 0, 13
	v_lshrrev_b32_e32 v6, v3, v1
	v_lshlrev_b32_e32 v3, v3, v6
	v_cmp_ne_u32_e32 vcc, v3, v1
	v_add_u32_e32 v2, 0xfffffc10, v2
	v_lshl_or_b32 v3, v2, 12, v0
	v_cndmask_b32_e64 v1, 0, 1, vcc
	v_or_b32_e32 v1, v6, v1
	v_cmp_gt_i32_e32 vcc, 1, v2
	s_movk_i32 s4, 0x40f
	s_nop 0
	v_cndmask_b32_e32 v1, v3, v1, vcc
	v_and_b32_e32 v3, 7, v1
	v_cmp_lt_i32_e32 vcc, 5, v3
	v_lshrrev_b32_e32 v1, 2, v1
	s_nop 0
	v_cndmask_b32_e64 v6, 0, 1, vcc
	v_cmp_eq_u32_e32 vcc, 3, v3
	s_nop 1
	v_cndmask_b32_e64 v3, 0, 1, vcc
	v_or_b32_e32 v3, v3, v6
	v_add_u32_e32 v1, v1, v3
	v_mov_b32_e32 v3, 0x7c00
	v_cmp_gt_i32_e32 vcc, 31, v2
	v_mov_b32_e32 v6, 0x7e00
	s_nop 0
	v_cndmask_b32_e32 v1, v3, v1, vcc
	v_cmp_ne_u32_e32 vcc, 0, v0
	s_nop 1
	v_cndmask_b32_e32 v0, v3, v6, vcc
	v_cmp_eq_u32_e32 vcc, s4, v2
	s_mov_b32 s4, 0x8000
	s_nop 0
	v_cndmask_b32_e32 v0, v1, v0, vcc
	v_lshrrev_b32_e32 v1, 16, v5
	v_and_or_b32 v0, v1, s4, v0
	global_store_short v[8:9], v0, off
.LBB225_1211:
	s_mov_b64 s[4:5], 0
.LBB225_1212:
	s_andn2_b64 vcc, exec, s[4:5]
	s_cbranch_vccnz .LBB225_1228
; %bb.1213:
	s_sext_i32_i16 s8, s16
	s_cmp_lt_i32 s8, 2
	s_mov_b64 s[4:5], -1
	s_cbranch_scc1 .LBB225_1223
; %bb.1214:
	s_cmp_lt_i32 s8, 3
	s_cbranch_scc1 .LBB225_1220
; %bb.1215:
	s_cmp_gt_i32 s8, 3
	s_cbranch_scc0 .LBB225_1217
; %bb.1216:
	s_waitcnt vmcnt(0)
	v_trunc_f64_e32 v[0:1], v[4:5]
	s_movk_i32 s4, 0xffe0
	v_ldexp_f64 v[2:3], v[0:1], s4
	v_floor_f64_e32 v[2:3], v[2:3]
	v_fmac_f64_e32 v[0:1], 0xc1f00000, v[2:3]
	v_cvt_i32_f64_e32 v7, v[2:3]
	v_cvt_u32_f64_e32 v6, v[0:1]
	s_mov_b64 s[4:5], 0
	global_store_dwordx2 v[8:9], v[6:7], off
.LBB225_1217:
	s_andn2_b64 vcc, exec, s[4:5]
	s_cbranch_vccnz .LBB225_1219
; %bb.1218:
	s_waitcnt vmcnt(0)
	v_cvt_i32_f64_e32 v0, v[4:5]
	global_store_dword v[8:9], v0, off
.LBB225_1219:
	s_mov_b64 s[4:5], 0
.LBB225_1220:
	s_andn2_b64 vcc, exec, s[4:5]
	s_cbranch_vccnz .LBB225_1222
; %bb.1221:
	s_waitcnt vmcnt(0)
	v_cvt_i32_f64_e32 v0, v[4:5]
	global_store_short v[8:9], v0, off
.LBB225_1222:
	s_mov_b64 s[4:5], 0
.LBB225_1223:
	s_andn2_b64 vcc, exec, s[4:5]
	s_cbranch_vccnz .LBB225_1228
; %bb.1224:
	s_sext_i32_i16 s4, s16
	s_cmp_gt_i32 s4, 0
	s_mov_b64 s[4:5], -1
	s_cbranch_scc0 .LBB225_1226
; %bb.1225:
	s_waitcnt vmcnt(0)
	v_cvt_i32_f64_e32 v0, v[4:5]
	s_mov_b64 s[4:5], 0
	global_store_byte v[8:9], v0, off
.LBB225_1226:
	s_andn2_b64 vcc, exec, s[4:5]
	s_cbranch_vccnz .LBB225_1228
; %bb.1227:
	s_waitcnt vmcnt(0)
	v_trunc_f64_e32 v[0:1], v[4:5]
	s_movk_i32 s4, 0xffe0
	v_ldexp_f64 v[2:3], v[0:1], s4
	v_floor_f64_e32 v[2:3], v[2:3]
	v_fmac_f64_e32 v[0:1], 0xc1f00000, v[2:3]
	v_cvt_u32_f64_e32 v0, v[0:1]
	global_store_byte v[8:9], v0, off
.LBB225_1228:
	s_or_b64 exec, exec, s[2:3]
	s_waitcnt lgkmcnt(0)
	s_and_b64 s[24:25], s[6:7], exec
                                        ; implicit-def: $vgpr2
                                        ; implicit-def: $vgpr12
.LBB225_1229:
	s_or_saveexec_b64 s[26:27], s[44:45]
	s_mov_b64 s[4:5], 0
                                        ; implicit-def: $vgpr0_vgpr1
                                        ; implicit-def: $sgpr14
                                        ; implicit-def: $vgpr16_vgpr17
                                        ; implicit-def: $vgpr18_vgpr19
	s_xor_b64 exec, exec, s[26:27]
	s_cbranch_execz .LBB225_1923
; %bb.1230:
	s_waitcnt vmcnt(0)
	v_cndmask_b32_e64 v0, 0, 1, s[42:43]
	v_cmp_ne_u32_e64 s[2:3], 1, v0
	s_andn2_b64 vcc, exec, s[42:43]
	s_cbranch_vccnz .LBB225_1236
; %bb.1231:
	s_cmp_lg_u32 s33, 0
	s_mov_b32 s36, 0
	s_cbranch_scc0 .LBB225_1237
; %bb.1232:
	s_min_u32 s37, s72, 15
	s_add_i32 s37, s37, 1
	s_cmp_eq_u32 s72, 2
	s_cbranch_scc1 .LBB225_1238
; %bb.1233:
	s_and_b32 s36, s37, 28
	s_add_u32 s28, s34, 0xc4
	s_addc_u32 s29, s35, 0
	s_mov_b32 s38, 0
	v_mov_b32_e32 v26, 0
	v_mov_b32_e32 v0, 0
	s_mov_b64 s[30:31], s[34:35]
	v_mov_b32_e32 v3, v12
.LBB225_1234:                           ; =>This Inner Loop Header: Depth=1
	s_load_dwordx8 s[12:19], s[30:31], 0x4
	s_load_dwordx4 s[20:23], s[30:31], 0x24
	s_load_dwordx8 s[4:11], s[28:29], 0x0
	s_add_u32 s30, s30, 48
	s_addc_u32 s31, s31, 0
	s_waitcnt lgkmcnt(0)
	v_mul_hi_u32 v1, s13, v3
	v_add_u32_e32 v1, v3, v1
	v_lshrrev_b32_e32 v1, s14, v1
	v_mul_lo_u32 v4, v1, s12
	v_mul_hi_u32 v5, s16, v1
	v_sub_u32_e32 v3, v3, v4
	v_add_u32_e32 v4, v1, v5
	v_lshrrev_b32_e32 v4, s17, v4
	v_mul_lo_u32 v6, v4, s15
	v_mul_hi_u32 v7, s19, v4
	v_sub_u32_e32 v1, v1, v6
	v_add_u32_e32 v6, v4, v7
	v_mul_lo_u32 v5, v3, s5
	v_mul_lo_u32 v3, v3, s4
	;; [unrolled: 1-line block ×4, first 2 shown]
	v_lshrrev_b32_e32 v6, s20, v6
	v_add3_u32 v1, v3, v26, v1
	v_add3_u32 v0, v5, v0, v7
	v_mul_lo_u32 v3, v6, s18
	v_mul_hi_u32 v5, s22, v6
	v_sub_u32_e32 v3, v4, v3
	v_add_u32_e32 v4, v6, v5
	v_mul_lo_u32 v5, v3, s8
	v_mul_lo_u32 v7, v3, s9
	v_lshrrev_b32_e32 v3, s23, v4
	s_add_i32 s38, s38, 4
	v_mul_lo_u32 v4, v3, s21
	s_add_u32 s28, s28, 32
	v_sub_u32_e32 v4, v6, v4
	s_addc_u32 s29, s29, 0
	v_mul_lo_u32 v6, v4, s10
	v_mul_lo_u32 v4, v4, s11
	s_cmp_lg_u32 s36, s38
	v_add3_u32 v0, v7, v0, v4
	v_add3_u32 v26, v5, v1, v6
	s_cbranch_scc1 .LBB225_1234
; %bb.1235:
	v_mov_b32_e32 v1, v0
	s_and_b32 s8, s37, 3
	s_cmp_eq_u32 s8, 0
	s_cbranch_scc0 .LBB225_1239
	s_branch .LBB225_1241
.LBB225_1236:
                                        ; implicit-def: $vgpr0
                                        ; implicit-def: $vgpr26
	s_branch .LBB225_1242
.LBB225_1237:
	v_mov_b32_e32 v0, 0
	v_mov_b32_e32 v26, 0
	s_branch .LBB225_1241
.LBB225_1238:
	v_mov_b32_e32 v26, 0
                                        ; implicit-def: $vgpr0
	v_mov_b32_e32 v1, v26
	v_mov_b32_e32 v3, v12
	s_and_b32 s8, s37, 3
	s_cmp_eq_u32 s8, 0
	s_cbranch_scc1 .LBB225_1241
.LBB225_1239:
	s_lshl_b32 s4, s36, 3
	s_add_u32 s4, s34, s4
	s_addc_u32 s5, s35, 0
	s_add_u32 s4, s4, 0xc4
	s_addc_u32 s5, s5, 0
	s_mul_i32 s6, s36, 12
	s_add_u32 s6, s34, s6
	s_addc_u32 s7, s35, 0
.LBB225_1240:                           ; =>This Inner Loop Header: Depth=1
	s_load_dwordx2 s[10:11], s[6:7], 0x4
	s_load_dword s9, s[6:7], 0xc
	s_load_dwordx2 s[12:13], s[4:5], 0x0
	v_mov_b32_e32 v0, v1
	s_add_u32 s6, s6, 12
	s_waitcnt lgkmcnt(0)
	v_mul_hi_u32 v1, s11, v3
	v_add_u32_e32 v1, v3, v1
	v_lshrrev_b32_e32 v1, s9, v1
	s_addc_u32 s7, s7, 0
	v_mul_lo_u32 v4, v1, s10
	s_add_u32 s4, s4, 8
	v_sub_u32_e32 v4, v3, v4
	s_addc_u32 s5, s5, 0
	s_add_i32 s8, s8, -1
	v_mov_b32_e32 v3, v1
	v_mad_u64_u32 v[0:1], s[10:11], v4, s13, v[0:1]
	s_cmp_lg_u32 s8, 0
	v_mad_u64_u32 v[26:27], s[10:11], v4, s12, v[26:27]
	v_mov_b32_e32 v1, v0
	s_cbranch_scc1 .LBB225_1240
.LBB225_1241:
	s_cbranch_execnz .LBB225_1244
.LBB225_1242:
	s_load_dwordx4 s[4:7], s[34:35], 0x4
	s_load_dwordx2 s[8:9], s[34:35], 0xc4
	s_cmp_lt_u32 s33, 2
	s_waitcnt lgkmcnt(0)
	v_mul_hi_u32 v0, s5, v12
	v_add_u32_e32 v0, v12, v0
	v_lshrrev_b32_e32 v1, s6, v0
	v_mul_lo_u32 v0, v1, s4
	v_sub_u32_e32 v3, v12, v0
	v_mul_lo_u32 v0, v3, s9
	v_mul_lo_u32 v26, v3, s8
	s_cbranch_scc1 .LBB225_1244
; %bb.1243:
	s_load_dwordx4 s[4:7], s[34:35], 0x10
	s_load_dwordx2 s[8:9], s[34:35], 0xcc
	s_waitcnt lgkmcnt(0)
	v_mul_hi_u32 v3, s5, v1
	v_add_u32_e32 v3, v1, v3
	v_lshrrev_b32_e32 v3, s6, v3
	v_mul_lo_u32 v3, v3, s4
	v_sub_u32_e32 v1, v1, v3
	v_mad_u64_u32 v[26:27], s[4:5], v1, s8, v[26:27]
	v_mad_u64_u32 v[0:1], s[4:5], v1, s9, v[0:1]
.LBB225_1244:
	s_and_b64 vcc, exec, s[2:3]
	v_add_u32_e32 v3, 0x80, v12
	s_cbranch_vccnz .LBB225_1250
; %bb.1245:
	s_cmp_lg_u32 s33, 0
	s_mov_b32 s36, 0
	s_cbranch_scc0 .LBB225_1251
; %bb.1246:
	s_min_u32 s37, s72, 15
	s_add_i32 s37, s37, 1
	s_cmp_eq_u32 s72, 2
	s_cbranch_scc1 .LBB225_1252
; %bb.1247:
	s_and_b32 s36, s37, 28
	s_add_u32 s28, s34, 0xc4
	s_addc_u32 s29, s35, 0
	s_mov_b32 s38, 0
	v_mov_b32_e32 v24, 0
	v_mov_b32_e32 v4, 0
	s_mov_b64 s[30:31], s[34:35]
	v_mov_b32_e32 v6, v3
.LBB225_1248:                           ; =>This Inner Loop Header: Depth=1
	s_load_dwordx8 s[12:19], s[30:31], 0x4
	s_load_dwordx4 s[20:23], s[30:31], 0x24
	s_load_dwordx8 s[4:11], s[28:29], 0x0
	s_add_u32 s30, s30, 48
	s_addc_u32 s31, s31, 0
	s_waitcnt lgkmcnt(0)
	v_mul_hi_u32 v1, s13, v6
	v_add_u32_e32 v1, v6, v1
	v_lshrrev_b32_e32 v1, s14, v1
	v_mul_lo_u32 v5, v1, s12
	v_mul_hi_u32 v7, s16, v1
	v_sub_u32_e32 v5, v6, v5
	v_add_u32_e32 v6, v1, v7
	v_lshrrev_b32_e32 v6, s17, v6
	v_mul_lo_u32 v8, v6, s15
	v_mul_hi_u32 v9, s19, v6
	v_sub_u32_e32 v1, v1, v8
	v_add_u32_e32 v8, v6, v9
	v_mul_lo_u32 v7, v5, s5
	v_mul_lo_u32 v5, v5, s4
	;; [unrolled: 1-line block ×4, first 2 shown]
	v_lshrrev_b32_e32 v8, s20, v8
	v_add3_u32 v1, v5, v24, v1
	v_add3_u32 v4, v7, v4, v9
	v_mul_lo_u32 v5, v8, s18
	v_mul_hi_u32 v7, s22, v8
	v_sub_u32_e32 v5, v6, v5
	v_add_u32_e32 v6, v8, v7
	v_lshrrev_b32_e32 v6, s23, v6
	s_add_i32 s38, s38, 4
	v_mul_lo_u32 v9, v6, s21
	s_add_u32 s28, s28, 32
	v_sub_u32_e32 v8, v8, v9
	s_addc_u32 s29, s29, 0
	v_mul_lo_u32 v7, v5, s8
	v_mul_lo_u32 v5, v5, s9
	;; [unrolled: 1-line block ×4, first 2 shown]
	s_cmp_lg_u32 s36, s38
	v_add3_u32 v4, v5, v4, v8
	v_add3_u32 v24, v7, v1, v9
	s_cbranch_scc1 .LBB225_1248
; %bb.1249:
	v_mov_b32_e32 v1, v4
	s_and_b32 s8, s37, 3
	s_cmp_eq_u32 s8, 0
	s_cbranch_scc0 .LBB225_1253
	s_branch .LBB225_1255
.LBB225_1250:
                                        ; implicit-def: $vgpr4
                                        ; implicit-def: $vgpr24
	s_branch .LBB225_1256
.LBB225_1251:
	v_mov_b32_e32 v4, 0
	v_mov_b32_e32 v24, 0
	s_branch .LBB225_1255
.LBB225_1252:
	v_mov_b32_e32 v24, 0
                                        ; implicit-def: $vgpr4
	v_mov_b32_e32 v1, v24
	v_mov_b32_e32 v6, v3
	s_and_b32 s8, s37, 3
	s_cmp_eq_u32 s8, 0
	s_cbranch_scc1 .LBB225_1255
.LBB225_1253:
	s_lshl_b32 s4, s36, 3
	s_add_u32 s4, s34, s4
	s_addc_u32 s5, s35, 0
	s_add_u32 s4, s4, 0xc4
	s_addc_u32 s5, s5, 0
	s_mul_i32 s6, s36, 12
	s_add_u32 s6, s34, s6
	s_addc_u32 s7, s35, 0
.LBB225_1254:                           ; =>This Inner Loop Header: Depth=1
	s_load_dwordx2 s[10:11], s[6:7], 0x4
	s_load_dword s9, s[6:7], 0xc
	s_load_dwordx2 s[12:13], s[4:5], 0x0
	v_mov_b32_e32 v4, v1
	s_add_u32 s6, s6, 12
	s_waitcnt lgkmcnt(0)
	v_mul_hi_u32 v1, s11, v6
	v_add_u32_e32 v1, v6, v1
	v_lshrrev_b32_e32 v1, s9, v1
	s_addc_u32 s7, s7, 0
	v_mul_lo_u32 v5, v1, s10
	s_add_u32 s4, s4, 8
	v_sub_u32_e32 v7, v6, v5
	s_addc_u32 s5, s5, 0
	s_add_i32 s8, s8, -1
	v_mad_u64_u32 v[4:5], s[10:11], v7, s13, v[4:5]
	s_cmp_lg_u32 s8, 0
	v_mov_b32_e32 v6, v1
	v_mad_u64_u32 v[24:25], s[10:11], v7, s12, v[24:25]
	v_mov_b32_e32 v1, v4
	s_cbranch_scc1 .LBB225_1254
.LBB225_1255:
	s_cbranch_execnz .LBB225_1258
.LBB225_1256:
	s_load_dwordx4 s[4:7], s[34:35], 0x4
	s_load_dwordx2 s[8:9], s[34:35], 0xc4
	s_cmp_lt_u32 s33, 2
	s_waitcnt lgkmcnt(0)
	v_mul_hi_u32 v1, s5, v3
	v_add_u32_e32 v1, v3, v1
	v_lshrrev_b32_e32 v1, s6, v1
	v_mul_lo_u32 v4, v1, s4
	v_sub_u32_e32 v3, v3, v4
	v_mul_lo_u32 v4, v3, s9
	v_mul_lo_u32 v24, v3, s8
	s_cbranch_scc1 .LBB225_1258
; %bb.1257:
	s_load_dwordx4 s[4:7], s[34:35], 0x10
	s_load_dwordx2 s[8:9], s[34:35], 0xcc
	s_waitcnt lgkmcnt(0)
	v_mul_hi_u32 v3, s5, v1
	v_add_u32_e32 v3, v1, v3
	v_lshrrev_b32_e32 v3, s6, v3
	v_mul_lo_u32 v3, v3, s4
	v_sub_u32_e32 v1, v1, v3
	v_mad_u64_u32 v[24:25], s[4:5], v1, s8, v[24:25]
	v_mad_u64_u32 v[4:5], s[4:5], v1, s9, v[4:5]
.LBB225_1258:
	s_and_b64 vcc, exec, s[2:3]
	v_add_u32_e32 v3, 0x100, v12
	s_cbranch_vccnz .LBB225_1264
; %bb.1259:
	s_cmp_lg_u32 s33, 0
	s_mov_b32 s36, 0
	s_cbranch_scc0 .LBB225_1265
; %bb.1260:
	s_min_u32 s37, s72, 15
	s_add_i32 s37, s37, 1
	s_cmp_eq_u32 s72, 2
	s_cbranch_scc1 .LBB225_1266
; %bb.1261:
	s_and_b32 s36, s37, 28
	s_add_u32 s28, s34, 0xc4
	s_addc_u32 s29, s35, 0
	s_mov_b32 s38, 0
	v_mov_b32_e32 v22, 0
	v_mov_b32_e32 v10, 0
	s_mov_b64 s[30:31], s[34:35]
	v_mov_b32_e32 v5, v3
.LBB225_1262:                           ; =>This Inner Loop Header: Depth=1
	s_load_dwordx8 s[12:19], s[30:31], 0x4
	s_load_dwordx4 s[20:23], s[30:31], 0x24
	s_load_dwordx8 s[4:11], s[28:29], 0x0
	s_add_u32 s30, s30, 48
	s_addc_u32 s31, s31, 0
	s_waitcnt lgkmcnt(0)
	v_mul_hi_u32 v1, s13, v5
	v_add_u32_e32 v1, v5, v1
	v_lshrrev_b32_e32 v1, s14, v1
	v_mul_lo_u32 v6, v1, s12
	v_mul_hi_u32 v7, s16, v1
	v_sub_u32_e32 v5, v5, v6
	v_add_u32_e32 v6, v1, v7
	v_lshrrev_b32_e32 v6, s17, v6
	v_mul_lo_u32 v8, v6, s15
	v_mul_hi_u32 v9, s19, v6
	v_sub_u32_e32 v1, v1, v8
	v_add_u32_e32 v8, v6, v9
	v_mul_lo_u32 v7, v5, s5
	v_mul_lo_u32 v5, v5, s4
	;; [unrolled: 1-line block ×4, first 2 shown]
	v_lshrrev_b32_e32 v8, s20, v8
	v_add3_u32 v1, v5, v22, v1
	v_add3_u32 v7, v7, v10, v9
	v_mul_lo_u32 v5, v8, s18
	v_mul_hi_u32 v9, s22, v8
	v_sub_u32_e32 v5, v6, v5
	v_add_u32_e32 v6, v8, v9
	v_mul_lo_u32 v9, v5, s8
	v_mul_lo_u32 v10, v5, s9
	v_lshrrev_b32_e32 v5, s23, v6
	s_add_i32 s38, s38, 4
	v_mul_lo_u32 v6, v5, s21
	s_add_u32 s28, s28, 32
	v_sub_u32_e32 v6, v8, v6
	s_addc_u32 s29, s29, 0
	v_mul_lo_u32 v8, v6, s10
	v_mul_lo_u32 v6, v6, s11
	s_cmp_lg_u32 s36, s38
	v_add3_u32 v10, v10, v7, v6
	v_add3_u32 v22, v9, v1, v8
	s_cbranch_scc1 .LBB225_1262
; %bb.1263:
	v_mov_b32_e32 v1, v10
	s_and_b32 s8, s37, 3
	s_cmp_eq_u32 s8, 0
	s_cbranch_scc0 .LBB225_1267
	s_branch .LBB225_1269
.LBB225_1264:
                                        ; implicit-def: $vgpr10
                                        ; implicit-def: $vgpr22
	s_branch .LBB225_1270
.LBB225_1265:
	v_mov_b32_e32 v10, 0
	v_mov_b32_e32 v22, 0
	s_branch .LBB225_1269
.LBB225_1266:
	v_mov_b32_e32 v22, 0
                                        ; implicit-def: $vgpr10
	v_mov_b32_e32 v1, v22
	v_mov_b32_e32 v5, v3
	s_and_b32 s8, s37, 3
	s_cmp_eq_u32 s8, 0
	s_cbranch_scc1 .LBB225_1269
.LBB225_1267:
	s_lshl_b32 s4, s36, 3
	s_add_u32 s4, s34, s4
	s_addc_u32 s5, s35, 0
	s_add_u32 s4, s4, 0xc4
	s_addc_u32 s5, s5, 0
	s_mul_i32 s6, s36, 12
	s_add_u32 s6, s34, s6
	s_addc_u32 s7, s35, 0
.LBB225_1268:                           ; =>This Inner Loop Header: Depth=1
	s_load_dwordx2 s[10:11], s[6:7], 0x4
	s_load_dword s9, s[6:7], 0xc
	s_load_dwordx2 s[12:13], s[4:5], 0x0
	v_mov_b32_e32 v6, v1
	s_add_u32 s6, s6, 12
	s_waitcnt lgkmcnt(0)
	v_mul_hi_u32 v1, s11, v5
	v_add_u32_e32 v1, v5, v1
	v_lshrrev_b32_e32 v1, s9, v1
	s_addc_u32 s7, s7, 0
	v_mul_lo_u32 v7, v1, s10
	s_add_u32 s4, s4, 8
	v_sub_u32_e32 v7, v5, v7
	s_addc_u32 s5, s5, 0
	s_add_i32 s8, s8, -1
	v_mad_u64_u32 v[10:11], s[10:11], v7, s13, v[6:7]
	s_cmp_lg_u32 s8, 0
	v_mov_b32_e32 v5, v1
	v_mad_u64_u32 v[22:23], s[10:11], v7, s12, v[22:23]
	v_mov_b32_e32 v1, v10
	s_cbranch_scc1 .LBB225_1268
.LBB225_1269:
	s_cbranch_execnz .LBB225_1272
.LBB225_1270:
	s_load_dwordx4 s[4:7], s[34:35], 0x4
	s_load_dwordx2 s[8:9], s[34:35], 0xc4
	s_cmp_lt_u32 s33, 2
	s_waitcnt lgkmcnt(0)
	v_mul_hi_u32 v1, s5, v3
	v_add_u32_e32 v1, v3, v1
	v_lshrrev_b32_e32 v1, s6, v1
	v_mul_lo_u32 v5, v1, s4
	v_sub_u32_e32 v3, v3, v5
	v_mul_lo_u32 v10, v3, s9
	v_mul_lo_u32 v22, v3, s8
	s_cbranch_scc1 .LBB225_1272
; %bb.1271:
	s_load_dwordx4 s[4:7], s[34:35], 0x10
	s_load_dwordx2 s[8:9], s[34:35], 0xcc
	s_waitcnt lgkmcnt(0)
	v_mul_hi_u32 v3, s5, v1
	v_add_u32_e32 v3, v1, v3
	v_lshrrev_b32_e32 v3, s6, v3
	v_mul_lo_u32 v3, v3, s4
	v_sub_u32_e32 v1, v1, v3
	v_mad_u64_u32 v[22:23], s[4:5], v1, s8, v[22:23]
	v_mad_u64_u32 v[10:11], s[4:5], v1, s9, v[10:11]
.LBB225_1272:
	s_and_b64 vcc, exec, s[2:3]
	s_cbranch_vccnz .LBB225_1278
; %bb.1273:
	s_cmp_lg_u32 s33, 0
	s_mov_b32 s30, 0
	s_cbranch_scc0 .LBB225_1279
; %bb.1274:
	s_min_u32 s31, s72, 15
	s_add_i32 s31, s31, 1
	s_cmp_eq_u32 s72, 2
	s_cbranch_scc1 .LBB225_1280
; %bb.1275:
	s_and_b32 s30, s31, 28
	s_add_u32 s2, s34, 0xc4
	s_addc_u32 s3, s35, 0
	s_mov_b32 s36, 0
	v_mov_b32_e32 v20, 0
	v_mov_b32_e32 v14, 0
	s_mov_b64 s[28:29], s[34:35]
	v_mov_b32_e32 v3, v2
.LBB225_1276:                           ; =>This Inner Loop Header: Depth=1
	s_load_dwordx8 s[12:19], s[28:29], 0x4
	s_load_dwordx4 s[20:23], s[28:29], 0x24
	s_load_dwordx8 s[4:11], s[2:3], 0x0
	s_add_u32 s28, s28, 48
	s_addc_u32 s29, s29, 0
	s_waitcnt lgkmcnt(0)
	v_mul_hi_u32 v1, s13, v3
	v_add_u32_e32 v1, v3, v1
	v_lshrrev_b32_e32 v1, s14, v1
	v_mul_lo_u32 v5, v1, s12
	v_mul_hi_u32 v6, s16, v1
	v_sub_u32_e32 v3, v3, v5
	v_add_u32_e32 v5, v1, v6
	v_lshrrev_b32_e32 v5, s17, v5
	v_mul_lo_u32 v7, v5, s15
	v_mul_hi_u32 v8, s19, v5
	v_sub_u32_e32 v1, v1, v7
	v_add_u32_e32 v7, v5, v8
	v_mul_lo_u32 v6, v3, s5
	v_mul_lo_u32 v3, v3, s4
	v_mul_lo_u32 v8, v1, s7
	v_mul_lo_u32 v1, v1, s6
	v_lshrrev_b32_e32 v7, s20, v7
	v_add3_u32 v1, v3, v20, v1
	v_add3_u32 v6, v6, v14, v8
	v_mul_lo_u32 v3, v7, s18
	v_mul_hi_u32 v8, s22, v7
	v_sub_u32_e32 v3, v5, v3
	v_add_u32_e32 v5, v7, v8
	v_mul_lo_u32 v8, v3, s8
	v_mul_lo_u32 v9, v3, s9
	v_lshrrev_b32_e32 v3, s23, v5
	s_add_i32 s36, s36, 4
	v_mul_lo_u32 v5, v3, s21
	s_add_u32 s2, s2, 32
	v_sub_u32_e32 v5, v7, v5
	s_addc_u32 s3, s3, 0
	v_mul_lo_u32 v7, v5, s10
	v_mul_lo_u32 v5, v5, s11
	s_cmp_lg_u32 s30, s36
	v_add3_u32 v14, v9, v6, v5
	v_add3_u32 v20, v8, v1, v7
	s_cbranch_scc1 .LBB225_1276
; %bb.1277:
	v_mov_b32_e32 v1, v14
	s_and_b32 s6, s31, 3
	s_cmp_eq_u32 s6, 0
	s_cbranch_scc0 .LBB225_1281
	s_branch .LBB225_1283
.LBB225_1278:
                                        ; implicit-def: $vgpr14
                                        ; implicit-def: $vgpr20
	s_branch .LBB225_1284
.LBB225_1279:
	v_mov_b32_e32 v14, 0
	v_mov_b32_e32 v20, 0
	s_branch .LBB225_1283
.LBB225_1280:
	v_mov_b32_e32 v20, 0
                                        ; implicit-def: $vgpr14
	v_mov_b32_e32 v1, v20
	v_mov_b32_e32 v3, v2
	s_and_b32 s6, s31, 3
	s_cmp_eq_u32 s6, 0
	s_cbranch_scc1 .LBB225_1283
.LBB225_1281:
	s_lshl_b32 s2, s30, 3
	s_add_u32 s2, s34, s2
	s_addc_u32 s3, s35, 0
	s_add_u32 s2, s2, 0xc4
	s_addc_u32 s3, s3, 0
	s_mul_i32 s4, s30, 12
	s_add_u32 s4, s34, s4
	s_addc_u32 s5, s35, 0
.LBB225_1282:                           ; =>This Inner Loop Header: Depth=1
	s_load_dwordx2 s[8:9], s[4:5], 0x4
	s_load_dword s7, s[4:5], 0xc
	s_load_dwordx2 s[10:11], s[2:3], 0x0
	v_mov_b32_e32 v6, v1
	s_add_u32 s4, s4, 12
	s_waitcnt lgkmcnt(0)
	v_mul_hi_u32 v1, s9, v3
	v_add_u32_e32 v1, v3, v1
	v_lshrrev_b32_e32 v1, s7, v1
	s_addc_u32 s5, s5, 0
	v_mul_lo_u32 v5, v1, s8
	s_add_u32 s2, s2, 8
	v_sub_u32_e32 v5, v3, v5
	s_addc_u32 s3, s3, 0
	s_add_i32 s6, s6, -1
	v_mad_u64_u32 v[14:15], s[8:9], v5, s11, v[6:7]
	s_cmp_lg_u32 s6, 0
	v_mov_b32_e32 v3, v1
	v_mad_u64_u32 v[20:21], s[8:9], v5, s10, v[20:21]
	v_mov_b32_e32 v1, v14
	s_cbranch_scc1 .LBB225_1282
.LBB225_1283:
	s_cbranch_execnz .LBB225_1286
.LBB225_1284:
	s_load_dwordx4 s[4:7], s[34:35], 0x4
	s_load_dwordx2 s[2:3], s[34:35], 0xc4
	s_cmp_lt_u32 s33, 2
	s_waitcnt lgkmcnt(0)
	v_mul_hi_u32 v1, s5, v2
	v_add_u32_e32 v1, v2, v1
	v_lshrrev_b32_e32 v1, s6, v1
	v_mul_lo_u32 v3, v1, s4
	v_sub_u32_e32 v2, v2, v3
	v_mul_lo_u32 v14, v2, s3
	v_mul_lo_u32 v20, v2, s2
	s_cbranch_scc1 .LBB225_1286
; %bb.1285:
	s_load_dwordx4 s[4:7], s[34:35], 0x10
	s_load_dwordx2 s[2:3], s[34:35], 0xcc
	s_waitcnt lgkmcnt(0)
	v_mul_hi_u32 v2, s5, v1
	v_add_u32_e32 v2, v1, v2
	v_lshrrev_b32_e32 v2, s6, v2
	v_mul_lo_u32 v2, v2, s4
	v_sub_u32_e32 v1, v1, v2
	v_mad_u64_u32 v[20:21], s[4:5], v1, s2, v[20:21]
	v_mad_u64_u32 v[14:15], s[2:3], v1, s3, v[14:15]
.LBB225_1286:
	s_load_dword s22, s[0:1], 0x160
	s_load_dwordx4 s[4:7], s[34:35], 0x148
	v_mov_b32_e32 v1, 0
	s_waitcnt lgkmcnt(0)
	s_bfe_u32 s14, s22, 0x80010
	s_cmp_lt_i32 s14, 11
	v_lshl_add_u64 v[6:7], s[6:7], 0, v[0:1]
	s_cbranch_scc1 .LBB225_1293
; %bb.1287:
	s_and_b32 s15, 0xffff, s14
	s_cmp_gt_i32 s15, 25
	s_mov_b64 s[2:3], 0
	s_cbranch_scc0 .LBB225_1295
; %bb.1288:
	s_cmp_gt_i32 s15, 28
	s_cbranch_scc0 .LBB225_1296
; %bb.1289:
	s_cmp_gt_i32 s15, 43
	;; [unrolled: 3-line block ×3, first 2 shown]
	s_cbranch_scc0 .LBB225_1298
; %bb.1291:
	s_cmp_eq_u32 s15, 46
	s_mov_b64 s[8:9], 0
	s_cbranch_scc0 .LBB225_1301
; %bb.1292:
	global_load_dword v0, v[6:7], off
	s_mov_b64 s[0:1], 0
	s_mov_b64 s[10:11], -1
	s_waitcnt vmcnt(0)
	v_and_b32_e32 v2, 0xffff0000, v0
	v_lshlrev_b32_e32 v0, 16, v0
	v_cvt_f64_f32_e32 v[0:1], v0
	v_cvt_f64_f32_e32 v[2:3], v2
	s_branch .LBB225_1302
.LBB225_1293:
	s_mov_b64 s[10:11], 0
                                        ; implicit-def: $vgpr2_vgpr3
	s_mov_b64 s[8:9], s[24:25]
	s_cbranch_execnz .LBB225_1368
.LBB225_1294:
	s_andn2_b64 vcc, exec, s[10:11]
	s_cbranch_vccz .LBB225_1415
	s_branch .LBB225_1920
.LBB225_1295:
	s_mov_b64 s[10:11], 0
	s_mov_b64 s[0:1], 0
                                        ; implicit-def: $vgpr2_vgpr3
	s_cbranch_execnz .LBB225_1334
	s_branch .LBB225_1364
.LBB225_1296:
	s_mov_b64 s[10:11], 0
	s_mov_b64 s[0:1], 0
                                        ; implicit-def: $vgpr2_vgpr3
	s_cbranch_execnz .LBB225_1314
	s_branch .LBB225_1333
.LBB225_1297:
	s_mov_b64 s[8:9], -1
	s_mov_b64 s[10:11], 0
	s_mov_b64 s[0:1], 0
                                        ; implicit-def: $vgpr2_vgpr3
	s_branch .LBB225_1308
.LBB225_1298:
	s_mov_b64 s[8:9], -1
	s_mov_b64 s[10:11], 0
	s_mov_b64 s[0:1], 0
                                        ; implicit-def: $vgpr2_vgpr3
	s_branch .LBB225_1302
.LBB225_1299:
	s_andn2_saveexec_b64 s[12:13], s[12:13]
	s_cbranch_execz .LBB225_1142
.LBB225_1300:
	s_mov_b32 s14, 0x46000000
	v_add_f32_e64 v1, |v0|, s14
	v_and_b32_e32 v1, 0xff, v1
	v_cmp_ne_u32_e32 vcc, 0, v1
	s_andn2_b64 s[10:11], s[10:11], exec
	s_and_b64 s[14:15], vcc, exec
	s_or_b64 s[10:11], s[10:11], s[14:15]
	s_or_b64 exec, exec, s[12:13]
	v_mov_b32_e32 v6, 0
	s_and_saveexec_b64 s[12:13], s[10:11]
	s_cbranch_execnz .LBB225_1143
	s_branch .LBB225_1144
.LBB225_1301:
	s_mov_b64 s[0:1], -1
                                        ; implicit-def: $vgpr2_vgpr3
	s_mov_b64 s[10:11], 0
.LBB225_1302:
	s_and_b64 vcc, exec, s[8:9]
	s_cbranch_vccz .LBB225_1307
; %bb.1303:
	s_cmp_eq_u32 s15, 44
	s_cbranch_scc0 .LBB225_1305
; %bb.1304:
	global_load_ubyte v2, v[6:7], off
	s_movk_i32 s8, 0xff
	v_bfrev_b32_e32 v3, 4
	v_mov_b32_e32 v5, 0x7ff80000
	v_bfrev_b32_e32 v8, 28
	s_mov_b64 s[0:1], 0
	s_mov_b64 s[10:11], -1
	s_waitcnt vmcnt(0)
	v_lshlrev_b32_e32 v0, 23, v2
	v_cvt_f64_f32_e32 v[0:1], v0
	v_cmp_ne_u32_e32 vcc, s8, v2
	s_nop 1
	v_cndmask_b32_e32 v0, v3, v0, vcc
	v_cndmask_b32_e32 v1, v5, v1, vcc
	v_cmp_ne_u32_e32 vcc, 0, v2
	s_nop 1
	v_cndmask_b32_e32 v1, v8, v1, vcc
	v_cndmask_b32_e32 v0, 0, v0, vcc
	s_branch .LBB225_1306
.LBB225_1305:
	s_mov_b64 s[0:1], -1
                                        ; implicit-def: $vgpr0_vgpr1
.LBB225_1306:
	v_mov_b64_e32 v[2:3], 0
.LBB225_1307:
	s_mov_b64 s[8:9], 0
.LBB225_1308:
	s_and_b64 vcc, exec, s[8:9]
	s_cbranch_vccz .LBB225_1313
; %bb.1309:
	s_cmp_eq_u32 s15, 29
	s_cbranch_scc0 .LBB225_1311
; %bb.1310:
	global_load_dwordx2 v[0:1], v[6:7], off
	s_mov_b64 s[0:1], 0
	s_mov_b64 s[10:11], -1
	s_waitcnt vmcnt(0)
	v_cvt_f64_u32_e32 v[2:3], v1
	v_cvt_f64_u32_e32 v[0:1], v0
	v_ldexp_f64 v[2:3], v[2:3], 32
	v_add_f64 v[0:1], v[2:3], v[0:1]
	s_branch .LBB225_1312
.LBB225_1311:
	s_mov_b64 s[0:1], -1
                                        ; implicit-def: $vgpr0_vgpr1
.LBB225_1312:
	v_mov_b64_e32 v[2:3], 0
.LBB225_1313:
	s_branch .LBB225_1333
.LBB225_1314:
	s_cmp_lt_i32 s15, 27
	s_cbranch_scc1 .LBB225_1317
; %bb.1315:
	s_cmp_gt_i32 s15, 27
	s_cbranch_scc0 .LBB225_1318
; %bb.1316:
	global_load_dword v0, v[6:7], off
	s_mov_b64 s[8:9], 0
	s_waitcnt vmcnt(0)
	v_cvt_f64_u32_e32 v[0:1], v0
	s_branch .LBB225_1319
.LBB225_1317:
	s_mov_b64 s[8:9], -1
                                        ; implicit-def: $vgpr0_vgpr1
	s_branch .LBB225_1322
.LBB225_1318:
	s_mov_b64 s[8:9], -1
                                        ; implicit-def: $vgpr0_vgpr1
.LBB225_1319:
	s_andn2_b64 vcc, exec, s[8:9]
	s_cbranch_vccnz .LBB225_1321
; %bb.1320:
	global_load_ushort v0, v[6:7], off
	s_waitcnt vmcnt(0)
	v_cvt_f64_u32_e32 v[0:1], v0
.LBB225_1321:
	s_mov_b64 s[8:9], 0
.LBB225_1322:
	s_andn2_b64 vcc, exec, s[8:9]
	s_cbranch_vccnz .LBB225_1332
; %bb.1323:
	global_load_ubyte v2, v[6:7], off
	s_movk_i32 s8, 0x7f
	s_waitcnt vmcnt(0)
	v_cmp_lt_i16_e32 vcc, s8, v2
	s_mov_b64 s[8:9], 0
	s_and_saveexec_b64 s[10:11], vcc
	s_xor_b64 s[10:11], exec, s[10:11]
	s_cbranch_execz .LBB225_1327
; %bb.1324:
	s_movk_i32 s8, 0x80
	v_cmp_eq_u16_e32 vcc, s8, v2
	s_mov_b64 s[8:9], -1
	s_and_saveexec_b64 s[12:13], vcc
; %bb.1325:
	s_xor_b64 s[8:9], exec, -1
; %bb.1326:
	s_or_b64 exec, exec, s[12:13]
	s_and_b64 s[8:9], s[8:9], exec
.LBB225_1327:
	s_or_saveexec_b64 s[10:11], s[10:11]
	v_bfrev_b32_e32 v0, 4
	v_mov_b32_e32 v1, 0x7ff80000
	s_xor_b64 exec, exec, s[10:11]
; %bb.1328:
	v_cmp_ne_u16_e32 vcc, 0, v2
	s_andn2_b64 s[8:9], s[8:9], exec
	s_and_b64 s[12:13], vcc, exec
	v_mov_b64_e32 v[0:1], 0
	s_or_b64 s[8:9], s[8:9], s[12:13]
; %bb.1329:
	s_or_b64 exec, exec, s[10:11]
	s_and_saveexec_b64 s[10:11], s[8:9]
	s_cbranch_execz .LBB225_1331
; %bb.1330:
	v_and_b32_e32 v1, 0xffff, v2
	v_lshlrev_b32_e32 v0, 24, v2
	v_and_b32_e32 v2, 7, v1
	v_ffbh_u32_e32 v5, v2
	v_min_u32_e32 v5, 32, v5
	v_subrev_u32_e32 v8, 28, v5
	v_bfe_u32 v3, v1, 3, 4
	v_lshlrev_b32_e32 v1, v8, v1
	v_sub_u32_e32 v5, 29, v5
	v_and_b32_e32 v1, 7, v1
	v_cmp_eq_u32_e32 vcc, 0, v3
	v_and_b32_e32 v0, 0x80000000, v0
	s_nop 0
	v_cndmask_b32_e32 v3, v3, v5, vcc
	v_cndmask_b32_e32 v1, v2, v1, vcc
	v_mov_b32_e32 v2, 0x3b800000
	v_lshlrev_b32_e32 v1, 20, v1
	v_lshl_add_u32 v2, v3, 23, v2
	v_or3_b32 v0, v0, v2, v1
	v_cvt_f64_f32_e32 v[0:1], v0
.LBB225_1331:
	s_or_b64 exec, exec, s[10:11]
.LBB225_1332:
	s_mov_b64 s[10:11], -1
	v_mov_b64_e32 v[2:3], 0
.LBB225_1333:
	s_branch .LBB225_1364
.LBB225_1334:
	s_cmp_gt_i32 s15, 22
	s_cbranch_scc0 .LBB225_1346
; %bb.1335:
	s_cmp_lt_i32 s15, 24
	s_cbranch_scc1 .LBB225_1347
; %bb.1336:
	s_cmp_gt_i32 s15, 24
	s_cbranch_scc0 .LBB225_1348
; %bb.1337:
	global_load_ubyte v2, v[6:7], off
	s_movk_i32 s2, 0x7f
	s_waitcnt vmcnt(0)
	v_cmp_lt_i16_e32 vcc, s2, v2
	s_mov_b64 s[2:3], 0
	s_and_saveexec_b64 s[8:9], vcc
	s_xor_b64 s[8:9], exec, s[8:9]
	s_cbranch_execz .LBB225_1341
; %bb.1338:
	s_movk_i32 s2, 0x80
	v_cmp_eq_u16_e32 vcc, s2, v2
	s_mov_b64 s[2:3], -1
	s_and_saveexec_b64 s[10:11], vcc
; %bb.1339:
	s_xor_b64 s[2:3], exec, -1
; %bb.1340:
	s_or_b64 exec, exec, s[10:11]
	s_and_b64 s[2:3], s[2:3], exec
.LBB225_1341:
	s_or_saveexec_b64 s[8:9], s[8:9]
	v_bfrev_b32_e32 v0, 4
	v_mov_b32_e32 v1, 0x7ff80000
	s_xor_b64 exec, exec, s[8:9]
; %bb.1342:
	v_cmp_ne_u16_e32 vcc, 0, v2
	s_andn2_b64 s[2:3], s[2:3], exec
	s_and_b64 s[10:11], vcc, exec
	v_mov_b64_e32 v[0:1], 0
	s_or_b64 s[2:3], s[2:3], s[10:11]
; %bb.1343:
	s_or_b64 exec, exec, s[8:9]
	s_and_saveexec_b64 s[8:9], s[2:3]
	s_cbranch_execz .LBB225_1345
; %bb.1344:
	v_and_b32_e32 v1, 0xffff, v2
	v_lshlrev_b32_e32 v0, 24, v2
	v_and_b32_e32 v2, 3, v1
	v_ffbh_u32_e32 v5, v2
	v_min_u32_e32 v5, 32, v5
	v_subrev_u32_e32 v8, 29, v5
	v_bfe_u32 v3, v1, 2, 5
	v_lshlrev_b32_e32 v1, v8, v1
	v_sub_u32_e32 v5, 30, v5
	v_and_b32_e32 v1, 3, v1
	v_cmp_eq_u32_e32 vcc, 0, v3
	v_and_b32_e32 v0, 0x80000000, v0
	s_nop 0
	v_cndmask_b32_e32 v3, v3, v5, vcc
	v_cndmask_b32_e32 v1, v2, v1, vcc
	v_mov_b32_e32 v2, 0x37800000
	v_lshlrev_b32_e32 v1, 21, v1
	v_lshl_add_u32 v2, v3, 23, v2
	v_or3_b32 v0, v0, v2, v1
	v_cvt_f64_f32_e32 v[0:1], v0
.LBB225_1345:
	s_or_b64 exec, exec, s[8:9]
	s_mov_b64 s[2:3], 0
	s_branch .LBB225_1349
.LBB225_1346:
                                        ; implicit-def: $vgpr0_vgpr1
	s_mov_b64 s[2:3], 0
	s_branch .LBB225_1355
.LBB225_1347:
	s_mov_b64 s[2:3], -1
                                        ; implicit-def: $vgpr0_vgpr1
	s_branch .LBB225_1352
.LBB225_1348:
	s_mov_b64 s[2:3], -1
                                        ; implicit-def: $vgpr0_vgpr1
.LBB225_1349:
	s_and_b64 vcc, exec, s[2:3]
	s_cbranch_vccz .LBB225_1351
; %bb.1350:
	global_load_ubyte v0, v[6:7], off
	s_mov_b32 s2, 0x7f800000
	s_waitcnt vmcnt(0)
	v_lshlrev_b32_e32 v0, 24, v0
	v_and_b32_e32 v1, 0x7f000000, v0
	v_ffbh_u32_e32 v2, v1
	v_min_u32_e32 v2, 32, v2
	v_sub_u32_e64 v2, v2, 4 clamp
	v_lshlrev_b32_e32 v5, v2, v1
	v_lshlrev_b32_e32 v2, 23, v2
	v_lshrrev_b32_e32 v5, 4, v5
	v_add_u32_e32 v3, 0x1000000, v1
	v_sub_u32_e32 v2, v5, v2
	v_ashrrev_i32_e32 v3, 8, v3
	v_add_u32_e32 v2, 0x3c000000, v2
	v_and_or_b32 v2, v3, s2, v2
	v_cmp_ne_u32_e32 vcc, 0, v1
	s_brev_b32 s2, 1
	s_nop 0
	v_cndmask_b32_e32 v1, 0, v2, vcc
	v_and_or_b32 v0, v0, s2, v1
	v_cvt_f64_f32_e32 v[0:1], v0
.LBB225_1351:
	s_mov_b64 s[2:3], 0
.LBB225_1352:
	s_andn2_b64 vcc, exec, s[2:3]
	s_cbranch_vccnz .LBB225_1354
; %bb.1353:
	global_load_ubyte v0, v[6:7], off
	s_movk_i32 s2, 0x7f00
	s_brev_b32 s3, 16
	s_waitcnt vmcnt(0)
	v_lshlrev_b16_e32 v1, 8, v0
	v_lshlrev_b32_e32 v0, 25, v0
	v_lshrrev_b32_e32 v2, 4, v0
	v_and_or_b32 v3, v1, s2, 0.5
	v_or_b32_e32 v2, 0x70000000, v2
	v_add_f32_e32 v3, -0.5, v3
	v_mul_f32_e32 v2, 0x7800000, v2
	v_cmp_gt_u32_e32 vcc, s3, v0
	v_bfe_i32 v1, v1, 0, 16
	s_brev_b32 s2, 1
	v_cndmask_b32_e32 v0, v2, v3, vcc
	v_and_or_b32 v0, v1, s2, v0
	v_cvt_f64_f32_e32 v[0:1], v0
.LBB225_1354:
	s_mov_b64 s[10:11], -1
	s_mov_b64 s[2:3], 0
	s_cbranch_execnz .LBB225_1363
.LBB225_1355:
	s_cmp_gt_i32 s15, 14
	s_cbranch_scc0 .LBB225_1358
; %bb.1356:
	s_cmp_eq_u32 s15, 15
	s_cbranch_scc0 .LBB225_1359
; %bb.1357:
	global_load_ushort v0, v[6:7], off
	s_mov_b64 s[0:1], 0
	s_mov_b64 s[10:11], -1
	s_waitcnt vmcnt(0)
	v_lshlrev_b32_e32 v0, 16, v0
	v_cvt_f64_f32_e32 v[0:1], v0
	s_branch .LBB225_1360
.LBB225_1358:
	s_mov_b64 s[8:9], -1
                                        ; implicit-def: $vgpr0_vgpr1
	s_branch .LBB225_1361
.LBB225_1359:
	s_mov_b64 s[0:1], -1
                                        ; implicit-def: $vgpr0_vgpr1
.LBB225_1360:
	s_mov_b64 s[8:9], 0
.LBB225_1361:
	s_and_b64 vcc, exec, s[8:9]
	s_cbranch_vccz .LBB225_1363
; %bb.1362:
	s_cmp_lg_u32 s15, 11
	s_mov_b64 s[2:3], -1
	s_cselect_b64 s[0:1], -1, 0
.LBB225_1363:
	v_mov_b64_e32 v[2:3], 0
.LBB225_1364:
	s_and_b64 vcc, exec, s[0:1]
	s_mov_b64 s[8:9], s[24:25]
	s_cbranch_vccnz .LBB225_1457
; %bb.1365:
	s_andn2_b64 vcc, exec, s[2:3]
	s_cbranch_vccnz .LBB225_1367
.LBB225_1366:
	global_load_ubyte v1, v[6:7], off
	v_mov_b32_e32 v2, 0x3ff00000
	v_mov_b32_e32 v0, 0
	s_mov_b64 s[10:11], -1
	s_waitcnt vmcnt(0)
	v_cmp_ne_u16_e32 vcc, 0, v1
	s_nop 1
	v_cndmask_b32_e32 v1, 0, v2, vcc
	v_mov_b64_e32 v[2:3], 0
.LBB225_1367:
	s_branch .LBB225_1294
.LBB225_1368:
	s_and_b32 s2, 0xffff, s14
	s_cmp_lt_i32 s2, 5
	s_cbranch_scc1 .LBB225_1373
; %bb.1369:
	s_cmp_lt_i32 s2, 8
	s_cbranch_scc1 .LBB225_1375
; %bb.1370:
	;; [unrolled: 3-line block ×3, first 2 shown]
	s_cmp_gt_i32 s2, 9
	s_cbranch_scc0 .LBB225_1377
; %bb.1372:
	global_load_dwordx4 v[0:3], v[6:7], off
	s_mov_b64 s[0:1], 0
	s_branch .LBB225_1378
.LBB225_1373:
                                        ; implicit-def: $vgpr2_vgpr3
	s_branch .LBB225_1396
.LBB225_1374:
	s_branch .LBB225_1415
.LBB225_1375:
                                        ; implicit-def: $vgpr2_vgpr3
	s_branch .LBB225_1384
.LBB225_1376:
	s_mov_b64 s[0:1], -1
                                        ; implicit-def: $vgpr2_vgpr3
	s_branch .LBB225_1381
.LBB225_1377:
	s_mov_b64 s[0:1], -1
                                        ; implicit-def: $vgpr2_vgpr3
.LBB225_1378:
	s_andn2_b64 vcc, exec, s[0:1]
	s_cbranch_vccnz .LBB225_1380
; %bb.1379:
	global_load_dwordx2 v[2:3], v[6:7], off
	s_waitcnt vmcnt(0)
	v_cvt_f64_f32_e32 v[0:1], v2
	v_cvt_f64_f32_e32 v[2:3], v3
.LBB225_1380:
	s_mov_b64 s[0:1], 0
.LBB225_1381:
	s_andn2_b64 vcc, exec, s[0:1]
	s_cbranch_vccnz .LBB225_1383
; %bb.1382:
	global_load_dword v0, v[6:7], off
	s_waitcnt vmcnt(0)
	v_cvt_f32_f16_e32 v1, v0
	v_cvt_f32_f16_sdwa v2, v0 dst_sel:DWORD dst_unused:UNUSED_PAD src0_sel:WORD_1
	v_cvt_f64_f32_e32 v[0:1], v1
	v_cvt_f64_f32_e32 v[2:3], v2
.LBB225_1383:
	s_cbranch_execnz .LBB225_1395
.LBB225_1384:
	s_cmp_lt_i32 s2, 6
	s_cbranch_scc1 .LBB225_1387
; %bb.1385:
	s_cmp_gt_i32 s2, 6
	s_cbranch_scc0 .LBB225_1388
; %bb.1386:
	global_load_dwordx2 v[0:1], v[6:7], off
	s_mov_b64 s[0:1], 0
	s_branch .LBB225_1389
.LBB225_1387:
	s_mov_b64 s[0:1], -1
                                        ; implicit-def: $vgpr0_vgpr1
	s_branch .LBB225_1392
.LBB225_1388:
	s_mov_b64 s[0:1], -1
                                        ; implicit-def: $vgpr0_vgpr1
.LBB225_1389:
	s_andn2_b64 vcc, exec, s[0:1]
	s_cbranch_vccnz .LBB225_1391
; %bb.1390:
	global_load_dword v0, v[6:7], off
	s_waitcnt vmcnt(0)
	v_cvt_f64_f32_e32 v[0:1], v0
.LBB225_1391:
	s_mov_b64 s[0:1], 0
.LBB225_1392:
	s_andn2_b64 vcc, exec, s[0:1]
	s_cbranch_vccnz .LBB225_1394
; %bb.1393:
	global_load_ushort v0, v[6:7], off
	s_waitcnt vmcnt(0)
	v_cvt_f32_f16_e32 v0, v0
	v_cvt_f64_f32_e32 v[0:1], v0
.LBB225_1394:
	s_waitcnt vmcnt(0)
	v_mov_b64_e32 v[2:3], 0
.LBB225_1395:
	s_cbranch_execnz .LBB225_1374
.LBB225_1396:
	s_cmp_lt_i32 s2, 2
	s_cbranch_scc1 .LBB225_1400
; %bb.1397:
	s_cmp_lt_i32 s2, 3
	s_cbranch_scc1 .LBB225_1401
; %bb.1398:
	s_cmp_gt_i32 s2, 3
	s_cbranch_scc0 .LBB225_1402
; %bb.1399:
	global_load_dwordx2 v[0:1], v[6:7], off
	s_mov_b64 s[0:1], 0
	s_waitcnt vmcnt(0)
	v_cvt_f64_i32_e32 v[2:3], v1
	v_cvt_f64_u32_e32 v[0:1], v0
	v_ldexp_f64 v[2:3], v[2:3], 32
	v_add_f64 v[0:1], v[2:3], v[0:1]
	s_branch .LBB225_1403
.LBB225_1400:
                                        ; implicit-def: $vgpr0_vgpr1
	s_branch .LBB225_1409
.LBB225_1401:
	s_mov_b64 s[0:1], -1
                                        ; implicit-def: $vgpr0_vgpr1
	s_branch .LBB225_1406
.LBB225_1402:
	s_mov_b64 s[0:1], -1
                                        ; implicit-def: $vgpr0_vgpr1
.LBB225_1403:
	s_andn2_b64 vcc, exec, s[0:1]
	s_cbranch_vccnz .LBB225_1405
; %bb.1404:
	global_load_dword v0, v[6:7], off
	s_waitcnt vmcnt(0)
	v_cvt_f64_i32_e32 v[0:1], v0
.LBB225_1405:
	s_mov_b64 s[0:1], 0
.LBB225_1406:
	s_andn2_b64 vcc, exec, s[0:1]
	s_cbranch_vccnz .LBB225_1408
; %bb.1407:
	global_load_sshort v0, v[6:7], off
	s_waitcnt vmcnt(0)
	v_cvt_f64_i32_e32 v[0:1], v0
.LBB225_1408:
	s_cbranch_execnz .LBB225_1414
.LBB225_1409:
	s_cmp_gt_i32 s2, 0
	s_cbranch_scc0 .LBB225_1411
; %bb.1410:
	global_load_sbyte v0, v[6:7], off
	s_mov_b64 s[0:1], 0
	s_waitcnt vmcnt(0)
	v_cvt_f64_i32_e32 v[0:1], v0
	s_branch .LBB225_1412
.LBB225_1411:
	s_mov_b64 s[0:1], -1
                                        ; implicit-def: $vgpr0_vgpr1
.LBB225_1412:
	s_andn2_b64 vcc, exec, s[0:1]
	s_cbranch_vccnz .LBB225_1414
; %bb.1413:
	global_load_ubyte v0, v[6:7], off
	s_waitcnt vmcnt(0)
	v_cvt_f64_u32_e32 v[0:1], v0
.LBB225_1414:
	s_waitcnt vmcnt(0)
	v_mov_b64_e32 v[2:3], 0
.LBB225_1415:
	s_waitcnt vmcnt(0)
	v_cmp_neq_f64_e32 vcc, 0, v[0:1]
	v_cmp_neq_f64_e64 s[0:1], 0, v[2:3]
	v_mov_b64_e32 v[8:9], 0
	s_or_b64 s[0:1], vcc, s[0:1]
	s_and_saveexec_b64 s[10:11], s[0:1]
	s_cbranch_execz .LBB225_1445
; %bb.1416:
	v_mov_b32_e32 v8, 0
	v_mov_b32_e32 v9, 0x7ff00000
	v_cmp_neq_f64_e64 s[0:1], |v[2:3]|, v[8:9]
	s_and_saveexec_b64 s[12:13], s[0:1]
	s_cbranch_execz .LBB225_1444
; %bb.1417:
	v_cmp_o_f64_e32 vcc, v[0:1], v[0:1]
                                        ; implicit-def: $vgpr8_vgpr9
	s_and_saveexec_b64 s[0:1], vcc
	s_xor_b64 s[14:15], exec, s[0:1]
	s_cbranch_execz .LBB225_1441
; %bb.1418:
	s_mov_b32 s0, 0
	s_mov_b32 s1, 0x7ff00000
	v_cmp_neq_f64_e64 s[0:1], |v[0:1]|, s[0:1]
                                        ; implicit-def: $vgpr8_vgpr9
	s_and_saveexec_b64 s[2:3], s[0:1]
	s_xor_b64 s[16:17], exec, s[2:3]
	s_cbranch_execz .LBB225_1434
; %bb.1419:
	v_max_f64 v[6:7], |v[2:3]|, |v[2:3]|
	v_max_f64 v[8:9], |v[0:1]|, |v[0:1]|
	s_mov_b32 s0, 0x99fcef32
	v_max_f64 v[6:7], v[8:9], v[6:7]
	s_mov_b32 s1, 0x7fda8279
	v_cmp_nle_f64_e64 s[0:1], s[0:1], v[6:7]
                                        ; implicit-def: $sgpr18_sgpr19
	s_and_saveexec_b64 s[2:3], s[0:1]
	s_xor_b64 s[2:3], exec, s[2:3]
	s_cbranch_execz .LBB225_1423
; %bb.1420:
	s_mov_b32 s18, 0
	s_mov_b32 s19, 0x200000
	v_cmp_le_f64_e64 s[20:21], |v[0:1]|, s[18:19]
	v_cmp_le_f64_e64 s[18:19], |v[2:3]|, s[18:19]
	s_and_b64 s[28:29], s[20:21], s[18:19]
	s_mov_b64 s[18:19], 0
	s_and_saveexec_b64 s[20:21], s[28:29]
; %bb.1421:
	s_mov_b64 s[18:19], exec
	v_mul_f64 v[0:1], v[0:1], 4.0
	v_mul_f64 v[2:3], v[2:3], 4.0
; %bb.1422:
	s_or_b64 exec, exec, s[20:21]
.LBB225_1423:
	s_andn2_saveexec_b64 s[2:3], s[2:3]
; %bb.1424:
	v_ldexp_f64 v[0:1], v[0:1], -2
	v_ldexp_f64 v[2:3], v[2:3], -2
	s_andn2_b64 s[18:19], s[18:19], exec
; %bb.1425:
	s_or_b64 exec, exec, s[2:3]
	v_max_f64 v[6:7], |v[2:3]|, |v[2:3]|
	v_max_f64 v[8:9], |v[0:1]|, |v[0:1]|
	v_max_f64 v[6:7], v[8:9], v[6:7]
	v_frexp_exp_i32_f64_e32 v5, v[6:7]
	v_sub_u32_e32 v8, 0, v5
	v_ldexp_f64 v[6:7], |v[0:1]|, v8
	v_ldexp_f64 v[8:9], |v[2:3]|, v8
	v_mul_f64 v[8:9], v[8:9], v[8:9]
	v_fmac_f64_e32 v[8:9], v[6:7], v[6:7]
	v_rsq_f64_e32 v[6:7], v[8:9]
	v_cmp_eq_f64_e64 s[2:3], 0, v[8:9]
	s_movk_i32 s20, 0x204
	v_cmp_le_f64_e32 vcc, 0, v[0:1]
	v_mul_f64 v[12:13], v[8:9], v[6:7]
	v_mul_f64 v[6:7], v[6:7], 0.5
	v_fma_f64 v[16:17], -v[6:7], v[12:13], 0.5
	v_fmac_f64_e32 v[12:13], v[12:13], v[16:17]
	v_fmac_f64_e32 v[6:7], v[6:7], v[16:17]
	v_fma_f64 v[16:17], -v[12:13], v[12:13], v[8:9]
	v_fmac_f64_e32 v[12:13], v[16:17], v[6:7]
	v_cndmask_b32_e64 v7, v13, v9, s[2:3]
	v_cndmask_b32_e64 v6, v12, v8, s[2:3]
	v_ldexp_f64 v[6:7], v[6:7], v5
	v_cmp_o_f64_e64 s[2:3], v[2:3], v[2:3]
                                        ; implicit-def: $vgpr12_vgpr13
	s_nop 1
	v_cndmask_b32_e64 v5, 0, v6, s[2:3]
	v_mov_b32_e32 v6, 0x7ff80000
	v_cndmask_b32_e64 v6, v6, v7, s[2:3]
	v_cmp_class_f64_e64 s[2:3], v[0:1], s20
	v_cmp_class_f64_e64 s[20:21], v[2:3], s20
	v_mov_b32_e32 v7, 0x7ff00000
	s_or_b64 s[2:3], s[20:21], s[2:3]
	v_cndmask_b32_e64 v9, v6, v7, s[2:3]
	v_cndmask_b32_e64 v8, v5, 0, s[2:3]
                                        ; implicit-def: $vgpr6_vgpr7
	s_and_saveexec_b64 s[2:3], vcc
	s_xor_b64 s[2:3], exec, s[2:3]
	s_cbranch_execz .LBB225_1427
; %bb.1426:
	v_add_f64 v[0:1], v[0:1], v[8:9]
	s_mov_b32 s20, 0
	v_mul_f64 v[0:1], v[0:1], 0.5
	s_brev_b32 s21, 8
	v_mov_b32_e32 v5, 0x100
	v_cmp_gt_f64_e32 vcc, s[20:21], v[0:1]
	s_nop 1
	v_cndmask_b32_e32 v5, 0, v5, vcc
	v_ldexp_f64 v[0:1], v[0:1], v5
	v_rsq_f64_e32 v[6:7], v[0:1]
	v_mov_b32_e32 v5, 0xffffff80
	v_cndmask_b32_e32 v5, 0, v5, vcc
	v_mul_f64 v[8:9], v[0:1], v[6:7]
	v_mul_f64 v[6:7], v[6:7], 0.5
	v_fma_f64 v[12:13], -v[6:7], v[8:9], 0.5
	v_fmac_f64_e32 v[8:9], v[8:9], v[12:13]
	v_fma_f64 v[16:17], -v[8:9], v[8:9], v[0:1]
	v_fmac_f64_e32 v[6:7], v[6:7], v[12:13]
	v_fmac_f64_e32 v[8:9], v[16:17], v[6:7]
	v_fma_f64 v[12:13], -v[8:9], v[8:9], v[0:1]
	v_fmac_f64_e32 v[8:9], v[12:13], v[6:7]
	v_ldexp_f64 v[6:7], v[8:9], v5
	v_mov_b32_e32 v5, 0x260
	v_cmp_class_f64_e32 vcc, v[0:1], v5
	s_nop 1
	v_cndmask_b32_e32 v13, v7, v1, vcc
	v_cndmask_b32_e32 v12, v6, v0, vcc
	v_add_f64 v[0:1], v[12:13], v[12:13]
	v_div_scale_f64 v[6:7], s[20:21], v[0:1], v[0:1], v[2:3]
	v_rcp_f64_e32 v[8:9], v[6:7]
	s_nop 0
	v_fma_f64 v[16:17], -v[6:7], v[8:9], 1.0
	v_fmac_f64_e32 v[8:9], v[8:9], v[16:17]
	v_fma_f64 v[16:17], -v[6:7], v[8:9], 1.0
	v_fmac_f64_e32 v[8:9], v[8:9], v[16:17]
	v_div_scale_f64 v[16:17], vcc, v[2:3], v[0:1], v[2:3]
	v_mul_f64 v[18:19], v[16:17], v[8:9]
	v_fma_f64 v[6:7], -v[6:7], v[18:19], v[16:17]
	s_nop 1
	v_div_fmas_f64 v[6:7], v[6:7], v[8:9], v[18:19]
	v_div_fixup_f64 v[6:7], v[6:7], v[0:1], v[2:3]
                                        ; implicit-def: $vgpr8_vgpr9
                                        ; implicit-def: $vgpr0_vgpr1
	s_andn2_saveexec_b64 s[2:3], s[2:3]
	s_cbranch_execz .LBB225_1429
	s_branch .LBB225_1428
.LBB225_1427:
	s_andn2_saveexec_b64 s[2:3], s[2:3]
	s_cbranch_execz .LBB225_1429
.LBB225_1428:
	v_add_f64 v[0:1], v[8:9], -v[0:1]
	s_mov_b32 s20, 0
	v_mul_f64 v[0:1], v[0:1], 0.5
	s_brev_b32 s21, 8
	v_mov_b32_e32 v5, 0x100
	v_cmp_gt_f64_e32 vcc, s[20:21], v[0:1]
	s_nop 1
	v_cndmask_b32_e32 v5, 0, v5, vcc
	v_ldexp_f64 v[0:1], v[0:1], v5
	v_rsq_f64_e32 v[6:7], v[0:1]
	v_mov_b32_e32 v5, 0xffffff80
	v_cndmask_b32_e32 v5, 0, v5, vcc
	v_mul_f64 v[8:9], v[0:1], v[6:7]
	v_mul_f64 v[6:7], v[6:7], 0.5
	v_fma_f64 v[12:13], -v[6:7], v[8:9], 0.5
	v_fmac_f64_e32 v[8:9], v[8:9], v[12:13]
	v_fma_f64 v[16:17], -v[8:9], v[8:9], v[0:1]
	v_fmac_f64_e32 v[6:7], v[6:7], v[12:13]
	v_fmac_f64_e32 v[8:9], v[16:17], v[6:7]
	v_fma_f64 v[12:13], -v[8:9], v[8:9], v[0:1]
	v_fmac_f64_e32 v[8:9], v[12:13], v[6:7]
	v_ldexp_f64 v[6:7], v[8:9], v5
	v_mov_b32_e32 v5, 0x260
	v_cmp_class_f64_e32 vcc, v[0:1], v5
	v_and_b32_e32 v9, 0x7fffffff, v3
	v_mov_b32_e32 v8, v2
	v_cndmask_b32_e32 v7, v7, v1, vcc
	v_cndmask_b32_e32 v6, v6, v0, vcc
	v_add_f64 v[0:1], v[6:7], v[6:7]
	v_div_scale_f64 v[12:13], s[20:21], v[0:1], v[0:1], v[8:9]
	v_rcp_f64_e32 v[16:17], v[12:13]
	v_div_scale_f64 v[8:9], vcc, v[8:9], v[0:1], v[8:9]
	s_brev_b32 s20, -2
	v_fma_f64 v[18:19], -v[12:13], v[16:17], 1.0
	v_fmac_f64_e32 v[16:17], v[16:17], v[18:19]
	v_fma_f64 v[18:19], -v[12:13], v[16:17], 1.0
	v_fmac_f64_e32 v[16:17], v[16:17], v[18:19]
	v_mul_f64 v[18:19], v[8:9], v[16:17]
	v_fma_f64 v[8:9], -v[12:13], v[18:19], v[8:9]
	v_div_fmas_f64 v[8:9], v[8:9], v[16:17], v[18:19]
	v_div_fixup_f64 v[12:13], v[8:9], v[0:1], |v[2:3]|
	v_bfi_b32 v7, s20, v7, v3
.LBB225_1429:
	s_or_b64 exec, exec, s[2:3]
                                        ; implicit-def: $vgpr2_vgpr3
                                        ; implicit-def: $vgpr8_vgpr9
	s_and_saveexec_b64 s[2:3], s[0:1]
	s_xor_b64 s[0:1], exec, s[2:3]
	s_cbranch_execz .LBB225_1431
; %bb.1430:
	v_mul_f64 v[0:1], v[12:13], 0.5
	v_mul_f64 v[2:3], v[6:7], 0.5
	v_cndmask_b32_e64 v9, v13, v1, s[18:19]
	v_cndmask_b32_e64 v8, v12, v0, s[18:19]
	;; [unrolled: 1-line block ×4, first 2 shown]
                                        ; implicit-def: $vgpr12_vgpr13
                                        ; implicit-def: $vgpr6_vgpr7
	s_andn2_saveexec_b64 s[0:1], s[0:1]
	s_cbranch_execnz .LBB225_1432
	s_branch .LBB225_1433
.LBB225_1431:
	s_andn2_saveexec_b64 s[0:1], s[0:1]
.LBB225_1432:
	v_add_f64 v[8:9], v[12:13], v[12:13]
	v_add_f64 v[2:3], v[6:7], v[6:7]
.LBB225_1433:
	s_or_b64 exec, exec, s[0:1]
.LBB225_1434:
	s_andn2_saveexec_b64 s[0:1], s[16:17]
	s_cbranch_execz .LBB225_1440
; %bb.1435:
	v_add_f64 v[6:7], v[2:3], -v[2:3]
	v_cmp_lt_i64_e32 vcc, -1, v[0:1]
	s_brev_b32 s16, -2
	v_and_b32_e32 v9, 0x7fffffff, v7
	v_mov_b32_e32 v8, v6
	s_and_saveexec_b64 s[2:3], vcc
	s_xor_b64 s[2:3], exec, s[2:3]
; %bb.1436:
	v_bfi_b32 v7, s16, v7, v3
	v_mov_b64_e32 v[2:3], v[6:7]
	v_mov_b64_e32 v[8:9], v[0:1]
; %bb.1437:
	s_andn2_saveexec_b64 s[2:3], s[2:3]
; %bb.1438:
	v_bfi_b32 v1, s16, v1, v3
	v_mov_b64_e32 v[2:3], v[0:1]
; %bb.1439:
	s_or_b64 exec, exec, s[2:3]
.LBB225_1440:
	s_or_b64 exec, exec, s[0:1]
.LBB225_1441:
	s_andn2_saveexec_b64 s[0:1], s[14:15]
	s_cbranch_execz .LBB225_1443
; %bb.1442:
	v_add_f64 v[2:3], v[2:3], -v[2:3]
	v_div_scale_f64 v[6:7], vcc, v[2:3], v[2:3], v[2:3]
	v_rcp_f64_e32 v[8:9], v[6:7]
	s_nop 0
	v_fma_f64 v[12:13], -v[6:7], v[8:9], 1.0
	v_fmac_f64_e32 v[8:9], v[8:9], v[12:13]
	v_fma_f64 v[12:13], -v[6:7], v[8:9], 1.0
	v_fmac_f64_e32 v[8:9], v[8:9], v[12:13]
	v_mul_f64 v[12:13], v[6:7], v[8:9]
	v_fma_f64 v[6:7], -v[6:7], v[12:13], v[6:7]
	v_div_fmas_f64 v[6:7], v[6:7], v[8:9], v[12:13]
	v_div_fixup_f64 v[2:3], v[6:7], v[2:3], v[2:3]
	v_mov_b64_e32 v[8:9], v[0:1]
.LBB225_1443:
	s_or_b64 exec, exec, s[0:1]
.LBB225_1444:
	s_or_b64 exec, exec, s[12:13]
.LBB225_1445:
	s_or_b64 exec, exec, s[10:11]
	s_lshr_b32 s0, s22, 16
	v_mov_b32_e32 v5, 0
	s_and_b32 s23, s0, 0xff
	s_cmp_lt_i32 s23, 11
	v_lshl_add_u64 v[0:1], s[6:7], 0, v[4:5]
	s_cbranch_scc1 .LBB225_1452
; %bb.1446:
	s_and_b32 s16, 0xffff, s23
	s_cmp_gt_i32 s16, 25
	s_mov_b64 s[2:3], 0
	s_cbranch_scc0 .LBB225_1454
; %bb.1447:
	s_cmp_gt_i32 s16, 28
	s_cbranch_scc0 .LBB225_1455
; %bb.1448:
	s_cmp_gt_i32 s16, 43
	;; [unrolled: 3-line block ×3, first 2 shown]
	s_cbranch_scc0 .LBB225_1458
; %bb.1450:
	s_cmp_eq_u32 s16, 46
	s_mov_b64 s[12:13], 0
	s_cbranch_scc0 .LBB225_1461
; %bb.1451:
	global_load_dword v4, v[0:1], off
	s_mov_b64 s[0:1], 0
	s_mov_b64 s[10:11], -1
	s_waitcnt vmcnt(0)
	v_and_b32_e32 v6, 0xffff0000, v4
	v_lshlrev_b32_e32 v4, 16, v4
	v_cvt_f64_f32_e32 v[4:5], v4
	v_cvt_f64_f32_e32 v[6:7], v6
	s_branch .LBB225_1462
.LBB225_1452:
	s_mov_b64 s[10:11], 0
                                        ; implicit-def: $vgpr6_vgpr7
	s_cbranch_execnz .LBB225_1530
.LBB225_1453:
	s_andn2_b64 vcc, exec, s[10:11]
	s_cbranch_vccnz .LBB225_1920
	s_branch .LBB225_1579
.LBB225_1454:
	s_mov_b64 s[10:11], 0
	s_mov_b64 s[0:1], 0
                                        ; implicit-def: $vgpr6_vgpr7
	s_cbranch_execnz .LBB225_1495
	s_branch .LBB225_1526
.LBB225_1455:
	s_mov_b64 s[12:13], -1
	s_mov_b64 s[10:11], 0
	s_mov_b64 s[0:1], 0
                                        ; implicit-def: $vgpr6_vgpr7
	s_branch .LBB225_1474
.LBB225_1456:
	s_mov_b64 s[12:13], -1
	s_mov_b64 s[10:11], 0
	s_mov_b64 s[0:1], 0
                                        ; implicit-def: $vgpr6_vgpr7
	s_branch .LBB225_1468
.LBB225_1457:
	s_trap 2
	s_or_b64 s[8:9], s[24:25], exec
	s_cbranch_execz .LBB225_1366
	s_branch .LBB225_1367
.LBB225_1458:
	s_mov_b64 s[12:13], -1
	s_mov_b64 s[10:11], 0
	s_mov_b64 s[0:1], 0
                                        ; implicit-def: $vgpr6_vgpr7
	s_branch .LBB225_1462
.LBB225_1459:
	s_andn2_saveexec_b64 s[14:15], s[14:15]
	s_cbranch_execz .LBB225_1154
.LBB225_1460:
	s_mov_b32 s18, 0x42800000
	v_add_f32_e64 v1, |v0|, s18
	v_and_b32_e32 v1, 0xff, v1
	v_cmp_ne_u32_e32 vcc, 0, v1
	s_andn2_b64 s[12:13], s[12:13], exec
	s_and_b64 s[18:19], vcc, exec
	s_or_b64 s[12:13], s[12:13], s[18:19]
	s_or_b64 exec, exec, s[14:15]
	v_mov_b32_e32 v6, 0
	s_and_saveexec_b64 s[14:15], s[12:13]
	s_cbranch_execnz .LBB225_1155
	s_branch .LBB225_1156
.LBB225_1461:
	s_mov_b64 s[0:1], -1
                                        ; implicit-def: $vgpr6_vgpr7
	s_mov_b64 s[10:11], 0
.LBB225_1462:
	s_and_b64 vcc, exec, s[12:13]
	s_cbranch_vccz .LBB225_1467
; %bb.1463:
	s_cmp_eq_u32 s16, 44
	s_cbranch_scc0 .LBB225_1465
; %bb.1464:
	global_load_ubyte v6, v[0:1], off
	s_movk_i32 s10, 0xff
	v_bfrev_b32_e32 v7, 4
	v_mov_b32_e32 v11, 0x7ff80000
	v_bfrev_b32_e32 v12, 28
	s_mov_b64 s[0:1], 0
	s_waitcnt vmcnt(0)
	v_lshlrev_b32_e32 v4, 23, v6
	v_cvt_f64_f32_e32 v[4:5], v4
	v_cmp_ne_u32_e32 vcc, s10, v6
	s_mov_b64 s[10:11], -1
	s_nop 0
	v_cndmask_b32_e32 v4, v7, v4, vcc
	v_cndmask_b32_e32 v5, v11, v5, vcc
	v_cmp_ne_u32_e32 vcc, 0, v6
	s_nop 1
	v_cndmask_b32_e32 v5, v12, v5, vcc
	v_cndmask_b32_e32 v4, 0, v4, vcc
	s_branch .LBB225_1466
.LBB225_1465:
	s_mov_b64 s[0:1], -1
                                        ; implicit-def: $vgpr4_vgpr5
.LBB225_1466:
	v_mov_b64_e32 v[6:7], 0
.LBB225_1467:
	s_mov_b64 s[12:13], 0
.LBB225_1468:
	s_and_b64 vcc, exec, s[12:13]
	s_cbranch_vccz .LBB225_1473
; %bb.1469:
	s_cmp_eq_u32 s16, 29
	s_cbranch_scc0 .LBB225_1471
; %bb.1470:
	global_load_dwordx2 v[4:5], v[0:1], off
	s_mov_b64 s[0:1], 0
	s_mov_b64 s[10:11], -1
	s_waitcnt vmcnt(0)
	v_cvt_f64_u32_e32 v[6:7], v5
	v_cvt_f64_u32_e32 v[4:5], v4
	v_ldexp_f64 v[6:7], v[6:7], 32
	v_add_f64 v[4:5], v[6:7], v[4:5]
	s_branch .LBB225_1472
.LBB225_1471:
	s_mov_b64 s[0:1], -1
                                        ; implicit-def: $vgpr4_vgpr5
.LBB225_1472:
	v_mov_b64_e32 v[6:7], 0
.LBB225_1473:
	s_mov_b64 s[12:13], 0
.LBB225_1474:
	s_and_b64 vcc, exec, s[12:13]
	s_cbranch_vccz .LBB225_1494
; %bb.1475:
	s_cmp_lt_i32 s16, 27
	s_cbranch_scc1 .LBB225_1478
; %bb.1476:
	s_cmp_gt_i32 s16, 27
	s_cbranch_scc0 .LBB225_1479
; %bb.1477:
	global_load_dword v4, v[0:1], off
	s_mov_b64 s[10:11], 0
	s_waitcnt vmcnt(0)
	v_cvt_f64_u32_e32 v[4:5], v4
	s_branch .LBB225_1480
.LBB225_1478:
	s_mov_b64 s[10:11], -1
                                        ; implicit-def: $vgpr4_vgpr5
	s_branch .LBB225_1483
.LBB225_1479:
	s_mov_b64 s[10:11], -1
                                        ; implicit-def: $vgpr4_vgpr5
.LBB225_1480:
	s_andn2_b64 vcc, exec, s[10:11]
	s_cbranch_vccnz .LBB225_1482
; %bb.1481:
	global_load_ushort v4, v[0:1], off
	s_waitcnt vmcnt(0)
	v_cvt_f64_u32_e32 v[4:5], v4
.LBB225_1482:
	s_mov_b64 s[10:11], 0
.LBB225_1483:
	s_andn2_b64 vcc, exec, s[10:11]
	s_cbranch_vccnz .LBB225_1493
; %bb.1484:
	global_load_ubyte v6, v[0:1], off
	s_movk_i32 s10, 0x7f
	s_waitcnt vmcnt(0)
	v_cmp_lt_i16_e32 vcc, s10, v6
	s_mov_b64 s[10:11], 0
	s_and_saveexec_b64 s[12:13], vcc
	s_xor_b64 s[12:13], exec, s[12:13]
	s_cbranch_execz .LBB225_1488
; %bb.1485:
	s_movk_i32 s10, 0x80
	v_cmp_eq_u16_e32 vcc, s10, v6
	s_mov_b64 s[10:11], -1
	s_and_saveexec_b64 s[14:15], vcc
; %bb.1486:
	s_xor_b64 s[10:11], exec, -1
; %bb.1487:
	s_or_b64 exec, exec, s[14:15]
	s_and_b64 s[10:11], s[10:11], exec
.LBB225_1488:
	s_or_saveexec_b64 s[12:13], s[12:13]
	v_bfrev_b32_e32 v4, 4
	v_mov_b32_e32 v5, 0x7ff80000
	s_xor_b64 exec, exec, s[12:13]
; %bb.1489:
	v_cmp_ne_u16_e32 vcc, 0, v6
	s_andn2_b64 s[10:11], s[10:11], exec
	s_and_b64 s[14:15], vcc, exec
	v_mov_b64_e32 v[4:5], 0
	s_or_b64 s[10:11], s[10:11], s[14:15]
; %bb.1490:
	s_or_b64 exec, exec, s[12:13]
	s_and_saveexec_b64 s[12:13], s[10:11]
	s_cbranch_execz .LBB225_1492
; %bb.1491:
	v_and_b32_e32 v5, 0xffff, v6
	v_lshlrev_b32_e32 v4, 24, v6
	v_and_b32_e32 v6, 7, v5
	v_ffbh_u32_e32 v11, v6
	v_min_u32_e32 v11, 32, v11
	v_subrev_u32_e32 v12, 28, v11
	v_bfe_u32 v7, v5, 3, 4
	v_lshlrev_b32_e32 v5, v12, v5
	v_sub_u32_e32 v11, 29, v11
	v_and_b32_e32 v5, 7, v5
	v_cmp_eq_u32_e32 vcc, 0, v7
	v_and_b32_e32 v4, 0x80000000, v4
	s_nop 0
	v_cndmask_b32_e32 v7, v7, v11, vcc
	v_cndmask_b32_e32 v5, v6, v5, vcc
	v_mov_b32_e32 v6, 0x3b800000
	v_lshlrev_b32_e32 v5, 20, v5
	v_lshl_add_u32 v6, v7, 23, v6
	v_or3_b32 v4, v4, v6, v5
	v_cvt_f64_f32_e32 v[4:5], v4
.LBB225_1492:
	s_or_b64 exec, exec, s[12:13]
.LBB225_1493:
	s_mov_b64 s[10:11], -1
	v_mov_b64_e32 v[6:7], 0
.LBB225_1494:
	s_branch .LBB225_1526
.LBB225_1495:
	s_cmp_gt_i32 s16, 22
	s_cbranch_scc0 .LBB225_1507
; %bb.1496:
	s_cmp_lt_i32 s16, 24
	s_cbranch_scc1 .LBB225_1508
; %bb.1497:
	s_cmp_gt_i32 s16, 24
	s_cbranch_scc0 .LBB225_1509
; %bb.1498:
	global_load_ubyte v6, v[0:1], off
	s_movk_i32 s2, 0x7f
	s_waitcnt vmcnt(0)
	v_cmp_lt_i16_e32 vcc, s2, v6
	s_mov_b64 s[2:3], 0
	s_and_saveexec_b64 s[10:11], vcc
	s_xor_b64 s[10:11], exec, s[10:11]
	s_cbranch_execz .LBB225_1502
; %bb.1499:
	s_movk_i32 s2, 0x80
	v_cmp_eq_u16_e32 vcc, s2, v6
	s_mov_b64 s[2:3], -1
	s_and_saveexec_b64 s[12:13], vcc
; %bb.1500:
	s_xor_b64 s[2:3], exec, -1
; %bb.1501:
	s_or_b64 exec, exec, s[12:13]
	s_and_b64 s[2:3], s[2:3], exec
.LBB225_1502:
	s_or_saveexec_b64 s[10:11], s[10:11]
	v_bfrev_b32_e32 v4, 4
	v_mov_b32_e32 v5, 0x7ff80000
	s_xor_b64 exec, exec, s[10:11]
; %bb.1503:
	v_cmp_ne_u16_e32 vcc, 0, v6
	s_andn2_b64 s[2:3], s[2:3], exec
	s_and_b64 s[12:13], vcc, exec
	v_mov_b64_e32 v[4:5], 0
	s_or_b64 s[2:3], s[2:3], s[12:13]
; %bb.1504:
	s_or_b64 exec, exec, s[10:11]
	s_and_saveexec_b64 s[10:11], s[2:3]
	s_cbranch_execz .LBB225_1506
; %bb.1505:
	v_and_b32_e32 v5, 0xffff, v6
	v_lshlrev_b32_e32 v4, 24, v6
	v_and_b32_e32 v6, 3, v5
	v_ffbh_u32_e32 v11, v6
	v_min_u32_e32 v11, 32, v11
	v_subrev_u32_e32 v12, 29, v11
	v_bfe_u32 v7, v5, 2, 5
	v_lshlrev_b32_e32 v5, v12, v5
	v_sub_u32_e32 v11, 30, v11
	v_and_b32_e32 v5, 3, v5
	v_cmp_eq_u32_e32 vcc, 0, v7
	v_and_b32_e32 v4, 0x80000000, v4
	s_nop 0
	v_cndmask_b32_e32 v7, v7, v11, vcc
	v_cndmask_b32_e32 v5, v6, v5, vcc
	v_mov_b32_e32 v6, 0x37800000
	v_lshlrev_b32_e32 v5, 21, v5
	v_lshl_add_u32 v6, v7, 23, v6
	v_or3_b32 v4, v4, v6, v5
	v_cvt_f64_f32_e32 v[4:5], v4
.LBB225_1506:
	s_or_b64 exec, exec, s[10:11]
	s_mov_b64 s[2:3], 0
	s_branch .LBB225_1510
.LBB225_1507:
	s_mov_b64 s[2:3], -1
                                        ; implicit-def: $vgpr4_vgpr5
	s_branch .LBB225_1516
.LBB225_1508:
	s_mov_b64 s[2:3], -1
                                        ; implicit-def: $vgpr4_vgpr5
	s_branch .LBB225_1513
.LBB225_1509:
	s_mov_b64 s[2:3], -1
                                        ; implicit-def: $vgpr4_vgpr5
.LBB225_1510:
	s_and_b64 vcc, exec, s[2:3]
	s_cbranch_vccz .LBB225_1512
; %bb.1511:
	global_load_ubyte v4, v[0:1], off
	s_mov_b32 s2, 0x7f800000
	s_waitcnt vmcnt(0)
	v_lshlrev_b32_e32 v4, 24, v4
	v_and_b32_e32 v5, 0x7f000000, v4
	v_ffbh_u32_e32 v6, v5
	v_min_u32_e32 v6, 32, v6
	v_sub_u32_e64 v6, v6, 4 clamp
	v_lshlrev_b32_e32 v11, v6, v5
	v_lshlrev_b32_e32 v6, 23, v6
	v_lshrrev_b32_e32 v11, 4, v11
	v_add_u32_e32 v7, 0x1000000, v5
	v_sub_u32_e32 v6, v11, v6
	v_ashrrev_i32_e32 v7, 8, v7
	v_add_u32_e32 v6, 0x3c000000, v6
	v_and_or_b32 v6, v7, s2, v6
	v_cmp_ne_u32_e32 vcc, 0, v5
	s_brev_b32 s2, 1
	s_nop 0
	v_cndmask_b32_e32 v5, 0, v6, vcc
	v_and_or_b32 v4, v4, s2, v5
	v_cvt_f64_f32_e32 v[4:5], v4
.LBB225_1512:
	s_mov_b64 s[2:3], 0
.LBB225_1513:
	s_andn2_b64 vcc, exec, s[2:3]
	s_cbranch_vccnz .LBB225_1515
; %bb.1514:
	global_load_ubyte v4, v[0:1], off
	s_movk_i32 s2, 0x7f00
	s_brev_b32 s3, 16
	s_waitcnt vmcnt(0)
	v_lshlrev_b16_e32 v5, 8, v4
	v_lshlrev_b32_e32 v4, 25, v4
	v_lshrrev_b32_e32 v6, 4, v4
	v_and_or_b32 v7, v5, s2, 0.5
	v_or_b32_e32 v6, 0x70000000, v6
	v_add_f32_e32 v7, -0.5, v7
	v_mul_f32_e32 v6, 0x7800000, v6
	v_cmp_gt_u32_e32 vcc, s3, v4
	v_bfe_i32 v5, v5, 0, 16
	s_brev_b32 s2, 1
	v_cndmask_b32_e32 v4, v6, v7, vcc
	v_and_or_b32 v4, v5, s2, v4
	v_cvt_f64_f32_e32 v[4:5], v4
.LBB225_1515:
	s_mov_b64 s[2:3], 0
	s_mov_b64 s[10:11], -1
.LBB225_1516:
	s_andn2_b64 vcc, exec, s[2:3]
	s_mov_b64 s[2:3], 0
	s_cbranch_vccnz .LBB225_1525
; %bb.1517:
	s_cmp_gt_i32 s16, 14
	s_cbranch_scc0 .LBB225_1520
; %bb.1518:
	s_cmp_eq_u32 s16, 15
	s_cbranch_scc0 .LBB225_1521
; %bb.1519:
	global_load_ushort v4, v[0:1], off
	s_mov_b64 s[0:1], 0
	s_mov_b64 s[10:11], -1
	s_waitcnt vmcnt(0)
	v_lshlrev_b32_e32 v4, 16, v4
	v_cvt_f64_f32_e32 v[4:5], v4
	s_branch .LBB225_1522
.LBB225_1520:
	s_mov_b64 s[12:13], -1
                                        ; implicit-def: $vgpr4_vgpr5
	s_branch .LBB225_1523
.LBB225_1521:
	s_mov_b64 s[0:1], -1
                                        ; implicit-def: $vgpr4_vgpr5
.LBB225_1522:
	s_mov_b64 s[12:13], 0
.LBB225_1523:
	s_and_b64 vcc, exec, s[12:13]
	s_cbranch_vccz .LBB225_1525
; %bb.1524:
	s_cmp_lg_u32 s16, 11
	s_mov_b64 s[2:3], -1
	s_cselect_b64 s[0:1], -1, 0
.LBB225_1525:
	v_mov_b64_e32 v[6:7], 0
.LBB225_1526:
	s_and_b64 vcc, exec, s[0:1]
	s_cbranch_vccnz .LBB225_1633
; %bb.1527:
	s_andn2_b64 vcc, exec, s[2:3]
	s_cbranch_vccnz .LBB225_1529
.LBB225_1528:
	global_load_ubyte v5, v[0:1], off
	v_mov_b32_e32 v6, 0x3ff00000
	v_mov_b32_e32 v4, 0
	s_mov_b64 s[10:11], -1
	s_waitcnt vmcnt(0)
	v_cmp_ne_u16_e32 vcc, 0, v5
	s_nop 1
	v_cndmask_b32_e32 v5, 0, v6, vcc
	v_mov_b64_e32 v[6:7], 0
.LBB225_1529:
	s_branch .LBB225_1453
.LBB225_1530:
	s_and_b32 s2, 0xffff, s23
	s_cmp_lt_i32 s2, 5
	s_cbranch_scc1 .LBB225_1535
; %bb.1531:
	s_cmp_lt_i32 s2, 8
	s_cbranch_scc1 .LBB225_1537
; %bb.1532:
	;; [unrolled: 3-line block ×3, first 2 shown]
	s_cmp_gt_i32 s2, 9
	s_cbranch_scc0 .LBB225_1539
; %bb.1534:
	global_load_dwordx4 v[4:7], v[0:1], off
	s_mov_b64 s[0:1], 0
	s_branch .LBB225_1540
.LBB225_1535:
                                        ; implicit-def: $vgpr6_vgpr7
	s_branch .LBB225_1559
.LBB225_1536:
	s_branch .LBB225_1579
.LBB225_1537:
	s_mov_b64 s[0:1], -1
                                        ; implicit-def: $vgpr6_vgpr7
	s_branch .LBB225_1546
.LBB225_1538:
	s_mov_b64 s[0:1], -1
                                        ; implicit-def: $vgpr6_vgpr7
	s_branch .LBB225_1543
.LBB225_1539:
	s_mov_b64 s[0:1], -1
                                        ; implicit-def: $vgpr6_vgpr7
.LBB225_1540:
	s_andn2_b64 vcc, exec, s[0:1]
	s_cbranch_vccnz .LBB225_1542
; %bb.1541:
	global_load_dwordx2 v[6:7], v[0:1], off
	s_waitcnt vmcnt(0)
	v_cvt_f64_f32_e32 v[4:5], v6
	v_cvt_f64_f32_e32 v[6:7], v7
.LBB225_1542:
	s_mov_b64 s[0:1], 0
.LBB225_1543:
	s_andn2_b64 vcc, exec, s[0:1]
	s_cbranch_vccnz .LBB225_1545
; %bb.1544:
	global_load_dword v4, v[0:1], off
	s_waitcnt vmcnt(0)
	v_cvt_f32_f16_e32 v5, v4
	v_cvt_f32_f16_sdwa v6, v4 dst_sel:DWORD dst_unused:UNUSED_PAD src0_sel:WORD_1
	v_cvt_f64_f32_e32 v[4:5], v5
	v_cvt_f64_f32_e32 v[6:7], v6
.LBB225_1545:
	s_mov_b64 s[0:1], 0
.LBB225_1546:
	s_andn2_b64 vcc, exec, s[0:1]
	s_cbranch_vccnz .LBB225_1558
; %bb.1547:
	s_cmp_lt_i32 s2, 6
	s_cbranch_scc1 .LBB225_1550
; %bb.1548:
	s_cmp_gt_i32 s2, 6
	s_cbranch_scc0 .LBB225_1551
; %bb.1549:
	global_load_dwordx2 v[4:5], v[0:1], off
	s_mov_b64 s[0:1], 0
	s_branch .LBB225_1552
.LBB225_1550:
	s_mov_b64 s[0:1], -1
                                        ; implicit-def: $vgpr4_vgpr5
	s_branch .LBB225_1555
.LBB225_1551:
	s_mov_b64 s[0:1], -1
                                        ; implicit-def: $vgpr4_vgpr5
.LBB225_1552:
	s_andn2_b64 vcc, exec, s[0:1]
	s_cbranch_vccnz .LBB225_1554
; %bb.1553:
	global_load_dword v4, v[0:1], off
	s_waitcnt vmcnt(0)
	v_cvt_f64_f32_e32 v[4:5], v4
.LBB225_1554:
	s_mov_b64 s[0:1], 0
.LBB225_1555:
	s_andn2_b64 vcc, exec, s[0:1]
	s_cbranch_vccnz .LBB225_1557
; %bb.1556:
	global_load_ushort v4, v[0:1], off
	s_waitcnt vmcnt(0)
	v_cvt_f32_f16_e32 v4, v4
	v_cvt_f64_f32_e32 v[4:5], v4
.LBB225_1557:
	s_waitcnt vmcnt(0)
	v_mov_b64_e32 v[6:7], 0
.LBB225_1558:
	s_cbranch_execnz .LBB225_1536
.LBB225_1559:
	s_cmp_lt_i32 s2, 2
	s_cbranch_scc1 .LBB225_1563
; %bb.1560:
	s_cmp_lt_i32 s2, 3
	s_cbranch_scc1 .LBB225_1564
; %bb.1561:
	s_cmp_gt_i32 s2, 3
	s_cbranch_scc0 .LBB225_1565
; %bb.1562:
	global_load_dwordx2 v[4:5], v[0:1], off
	s_mov_b64 s[0:1], 0
	s_waitcnt vmcnt(0)
	v_cvt_f64_i32_e32 v[6:7], v5
	v_cvt_f64_u32_e32 v[4:5], v4
	v_ldexp_f64 v[6:7], v[6:7], 32
	v_add_f64 v[4:5], v[6:7], v[4:5]
	s_branch .LBB225_1566
.LBB225_1563:
	s_mov_b64 s[0:1], -1
                                        ; implicit-def: $vgpr4_vgpr5
	s_branch .LBB225_1572
.LBB225_1564:
	s_mov_b64 s[0:1], -1
                                        ; implicit-def: $vgpr4_vgpr5
	s_branch .LBB225_1569
.LBB225_1565:
	s_mov_b64 s[0:1], -1
                                        ; implicit-def: $vgpr4_vgpr5
.LBB225_1566:
	s_andn2_b64 vcc, exec, s[0:1]
	s_cbranch_vccnz .LBB225_1568
; %bb.1567:
	global_load_dword v4, v[0:1], off
	s_waitcnt vmcnt(0)
	v_cvt_f64_i32_e32 v[4:5], v4
.LBB225_1568:
	s_mov_b64 s[0:1], 0
.LBB225_1569:
	s_andn2_b64 vcc, exec, s[0:1]
	s_cbranch_vccnz .LBB225_1571
; %bb.1570:
	global_load_sshort v4, v[0:1], off
	s_waitcnt vmcnt(0)
	v_cvt_f64_i32_e32 v[4:5], v4
.LBB225_1571:
	s_mov_b64 s[0:1], 0
.LBB225_1572:
	s_andn2_b64 vcc, exec, s[0:1]
	s_cbranch_vccnz .LBB225_1578
; %bb.1573:
	s_cmp_gt_i32 s2, 0
	s_cbranch_scc0 .LBB225_1575
; %bb.1574:
	global_load_sbyte v4, v[0:1], off
	s_mov_b64 s[0:1], 0
	s_waitcnt vmcnt(0)
	v_cvt_f64_i32_e32 v[4:5], v4
	s_branch .LBB225_1576
.LBB225_1575:
	s_mov_b64 s[0:1], -1
                                        ; implicit-def: $vgpr4_vgpr5
.LBB225_1576:
	s_andn2_b64 vcc, exec, s[0:1]
	s_cbranch_vccnz .LBB225_1578
; %bb.1577:
	global_load_ubyte v0, v[0:1], off
	s_waitcnt vmcnt(0)
	v_cvt_f64_u32_e32 v[4:5], v0
.LBB225_1578:
	s_waitcnt vmcnt(0)
	v_mov_b64_e32 v[6:7], 0
.LBB225_1579:
	s_waitcnt vmcnt(0)
	v_cmp_neq_f64_e32 vcc, 0, v[4:5]
	v_cmp_neq_f64_e64 s[0:1], 0, v[6:7]
	v_mov_b64_e32 v[0:1], 0
	s_or_b64 s[0:1], vcc, s[0:1]
	s_and_saveexec_b64 s[10:11], s[0:1]
	s_cbranch_execz .LBB225_1609
; %bb.1580:
	v_mov_b32_e32 v0, 0
	v_mov_b32_e32 v1, 0x7ff00000
	v_cmp_neq_f64_e64 s[0:1], |v[6:7]|, v[0:1]
	s_and_saveexec_b64 s[12:13], s[0:1]
	s_cbranch_execz .LBB225_1608
; %bb.1581:
	v_cmp_o_f64_e32 vcc, v[4:5], v[4:5]
                                        ; implicit-def: $vgpr0_vgpr1
	s_and_saveexec_b64 s[0:1], vcc
	s_xor_b64 s[14:15], exec, s[0:1]
	s_cbranch_execz .LBB225_1605
; %bb.1582:
	s_mov_b32 s0, 0
	s_mov_b32 s1, 0x7ff00000
	v_cmp_neq_f64_e64 s[0:1], |v[4:5]|, s[0:1]
                                        ; implicit-def: $vgpr0_vgpr1
	s_and_saveexec_b64 s[2:3], s[0:1]
	s_xor_b64 s[16:17], exec, s[2:3]
	s_cbranch_execz .LBB225_1598
; %bb.1583:
	v_max_f64 v[0:1], |v[6:7]|, |v[6:7]|
	v_max_f64 v[12:13], |v[4:5]|, |v[4:5]|
	s_mov_b32 s0, 0x99fcef32
	v_max_f64 v[0:1], v[12:13], v[0:1]
	s_mov_b32 s1, 0x7fda8279
	v_cmp_nle_f64_e64 s[0:1], s[0:1], v[0:1]
                                        ; implicit-def: $sgpr18_sgpr19
	s_and_saveexec_b64 s[2:3], s[0:1]
	s_xor_b64 s[2:3], exec, s[2:3]
	s_cbranch_execz .LBB225_1587
; %bb.1584:
	s_mov_b32 s18, 0
	s_mov_b32 s19, 0x200000
	v_cmp_le_f64_e64 s[20:21], |v[4:5]|, s[18:19]
	v_cmp_le_f64_e64 s[18:19], |v[6:7]|, s[18:19]
	s_and_b64 s[28:29], s[20:21], s[18:19]
	s_mov_b64 s[18:19], 0
	s_and_saveexec_b64 s[20:21], s[28:29]
; %bb.1585:
	s_mov_b64 s[18:19], exec
	v_mul_f64 v[4:5], v[4:5], 4.0
	v_mul_f64 v[6:7], v[6:7], 4.0
; %bb.1586:
	s_or_b64 exec, exec, s[20:21]
.LBB225_1587:
	s_andn2_saveexec_b64 s[2:3], s[2:3]
; %bb.1588:
	v_ldexp_f64 v[4:5], v[4:5], -2
	v_ldexp_f64 v[6:7], v[6:7], -2
	s_andn2_b64 s[18:19], s[18:19], exec
; %bb.1589:
	s_or_b64 exec, exec, s[2:3]
	v_max_f64 v[0:1], |v[6:7]|, |v[6:7]|
	v_max_f64 v[12:13], |v[4:5]|, |v[4:5]|
	v_max_f64 v[0:1], v[12:13], v[0:1]
	v_frexp_exp_i32_f64_e32 v11, v[0:1]
	v_sub_u32_e32 v12, 0, v11
	v_ldexp_f64 v[0:1], |v[4:5]|, v12
	v_ldexp_f64 v[12:13], |v[6:7]|, v12
	v_mul_f64 v[12:13], v[12:13], v[12:13]
	v_fmac_f64_e32 v[12:13], v[0:1], v[0:1]
	v_rsq_f64_e32 v[0:1], v[12:13]
	v_cmp_eq_f64_e64 s[2:3], 0, v[12:13]
	s_movk_i32 s20, 0x204
	v_cmp_le_f64_e32 vcc, 0, v[4:5]
	v_mul_f64 v[16:17], v[12:13], v[0:1]
	v_mul_f64 v[0:1], v[0:1], 0.5
	v_fma_f64 v[18:19], -v[0:1], v[16:17], 0.5
	v_fmac_f64_e32 v[16:17], v[16:17], v[18:19]
	v_fmac_f64_e32 v[0:1], v[0:1], v[18:19]
	v_fma_f64 v[18:19], -v[16:17], v[16:17], v[12:13]
	v_fmac_f64_e32 v[16:17], v[18:19], v[0:1]
	v_cndmask_b32_e64 v1, v17, v13, s[2:3]
	v_cndmask_b32_e64 v0, v16, v12, s[2:3]
	v_ldexp_f64 v[0:1], v[0:1], v11
	v_cmp_o_f64_e64 s[2:3], v[6:7], v[6:7]
	v_mov_b32_e32 v11, 0x7ff80000
                                        ; implicit-def: $vgpr12_vgpr13
                                        ; implicit-def: $vgpr16_vgpr17
	s_nop 0
	v_cndmask_b32_e64 v0, 0, v0, s[2:3]
	v_cndmask_b32_e64 v1, v11, v1, s[2:3]
	v_cmp_class_f64_e64 s[2:3], v[4:5], s20
	v_cmp_class_f64_e64 s[20:21], v[6:7], s20
	v_mov_b32_e32 v11, 0x7ff00000
	s_or_b64 s[2:3], s[20:21], s[2:3]
	v_cndmask_b32_e64 v1, v1, v11, s[2:3]
	v_cndmask_b32_e64 v0, v0, 0, s[2:3]
	s_and_saveexec_b64 s[2:3], vcc
	s_xor_b64 s[2:3], exec, s[2:3]
	s_cbranch_execz .LBB225_1591
; %bb.1590:
	v_add_f64 v[0:1], v[4:5], v[0:1]
	s_mov_b32 s20, 0
	v_mul_f64 v[0:1], v[0:1], 0.5
	s_brev_b32 s21, 8
	v_mov_b32_e32 v4, 0x100
	v_cmp_gt_f64_e32 vcc, s[20:21], v[0:1]
	v_mov_b32_e32 v11, 0x260
	s_nop 0
	v_cndmask_b32_e32 v4, 0, v4, vcc
	v_ldexp_f64 v[0:1], v[0:1], v4
	v_rsq_f64_e32 v[4:5], v[0:1]
	s_nop 0
	v_mul_f64 v[12:13], v[0:1], v[4:5]
	v_mul_f64 v[4:5], v[4:5], 0.5
	v_fma_f64 v[16:17], -v[4:5], v[12:13], 0.5
	v_fmac_f64_e32 v[12:13], v[12:13], v[16:17]
	v_fma_f64 v[18:19], -v[12:13], v[12:13], v[0:1]
	v_fmac_f64_e32 v[4:5], v[4:5], v[16:17]
	v_fmac_f64_e32 v[12:13], v[18:19], v[4:5]
	v_fma_f64 v[16:17], -v[12:13], v[12:13], v[0:1]
	v_fmac_f64_e32 v[12:13], v[16:17], v[4:5]
	v_mov_b32_e32 v4, 0xffffff80
	v_cndmask_b32_e32 v4, 0, v4, vcc
	v_ldexp_f64 v[4:5], v[12:13], v4
	v_cmp_class_f64_e32 vcc, v[0:1], v11
	s_nop 1
	v_cndmask_b32_e32 v17, v5, v1, vcc
	v_cndmask_b32_e32 v16, v4, v0, vcc
	v_add_f64 v[0:1], v[16:17], v[16:17]
	v_div_scale_f64 v[4:5], s[20:21], v[0:1], v[0:1], v[6:7]
	v_rcp_f64_e32 v[12:13], v[4:5]
	s_nop 0
	v_fma_f64 v[18:19], -v[4:5], v[12:13], 1.0
	v_fmac_f64_e32 v[12:13], v[12:13], v[18:19]
	v_fma_f64 v[18:19], -v[4:5], v[12:13], 1.0
	v_fmac_f64_e32 v[12:13], v[12:13], v[18:19]
	v_div_scale_f64 v[18:19], vcc, v[6:7], v[0:1], v[6:7]
	v_mul_f64 v[28:29], v[18:19], v[12:13]
	v_fma_f64 v[4:5], -v[4:5], v[28:29], v[18:19]
	s_nop 1
	v_div_fmas_f64 v[4:5], v[4:5], v[12:13], v[28:29]
	v_div_fixup_f64 v[12:13], v[4:5], v[0:1], v[6:7]
                                        ; implicit-def: $vgpr0_vgpr1
                                        ; implicit-def: $vgpr4_vgpr5
	s_andn2_saveexec_b64 s[2:3], s[2:3]
	s_cbranch_execz .LBB225_1593
	s_branch .LBB225_1592
.LBB225_1591:
	s_andn2_saveexec_b64 s[2:3], s[2:3]
	s_cbranch_execz .LBB225_1593
.LBB225_1592:
	v_add_f64 v[0:1], v[0:1], -v[4:5]
	s_mov_b32 s20, 0
	v_mul_f64 v[0:1], v[0:1], 0.5
	s_brev_b32 s21, 8
	v_mov_b32_e32 v4, 0x100
	v_cmp_gt_f64_e32 vcc, s[20:21], v[0:1]
	v_mov_b32_e32 v11, 0x260
	s_nop 0
	v_cndmask_b32_e32 v4, 0, v4, vcc
	v_ldexp_f64 v[0:1], v[0:1], v4
	v_rsq_f64_e32 v[4:5], v[0:1]
	s_nop 0
	v_mul_f64 v[12:13], v[0:1], v[4:5]
	v_mul_f64 v[4:5], v[4:5], 0.5
	v_fma_f64 v[16:17], -v[4:5], v[12:13], 0.5
	v_fmac_f64_e32 v[12:13], v[12:13], v[16:17]
	v_fma_f64 v[18:19], -v[12:13], v[12:13], v[0:1]
	v_fmac_f64_e32 v[4:5], v[4:5], v[16:17]
	v_fmac_f64_e32 v[12:13], v[18:19], v[4:5]
	v_fma_f64 v[16:17], -v[12:13], v[12:13], v[0:1]
	v_fmac_f64_e32 v[12:13], v[16:17], v[4:5]
	v_mov_b32_e32 v4, 0xffffff80
	v_cndmask_b32_e32 v4, 0, v4, vcc
	v_ldexp_f64 v[4:5], v[12:13], v4
	v_cmp_class_f64_e32 vcc, v[0:1], v11
	s_nop 1
	v_cndmask_b32_e32 v13, v5, v1, vcc
	v_cndmask_b32_e32 v12, v4, v0, vcc
	v_add_f64 v[0:1], v[12:13], v[12:13]
	v_and_b32_e32 v5, 0x7fffffff, v7
	v_mov_b32_e32 v4, v6
	v_div_scale_f64 v[16:17], s[20:21], v[0:1], v[0:1], v[4:5]
	v_rcp_f64_e32 v[18:19], v[16:17]
	v_div_scale_f64 v[4:5], vcc, v[4:5], v[0:1], v[4:5]
	s_brev_b32 s20, -2
	v_fma_f64 v[28:29], -v[16:17], v[18:19], 1.0
	v_fmac_f64_e32 v[18:19], v[18:19], v[28:29]
	v_fma_f64 v[28:29], -v[16:17], v[18:19], 1.0
	v_fmac_f64_e32 v[18:19], v[18:19], v[28:29]
	v_mul_f64 v[28:29], v[4:5], v[18:19]
	v_fma_f64 v[4:5], -v[16:17], v[28:29], v[4:5]
	v_div_fmas_f64 v[4:5], v[4:5], v[18:19], v[28:29]
	v_div_fixup_f64 v[16:17], v[4:5], v[0:1], |v[6:7]|
	v_bfi_b32 v13, s20, v13, v7
.LBB225_1593:
	s_or_b64 exec, exec, s[2:3]
                                        ; implicit-def: $vgpr6_vgpr7
                                        ; implicit-def: $vgpr0_vgpr1
	s_and_saveexec_b64 s[2:3], s[0:1]
	s_xor_b64 s[0:1], exec, s[2:3]
	s_cbranch_execz .LBB225_1595
; %bb.1594:
	v_mul_f64 v[0:1], v[16:17], 0.5
	v_mul_f64 v[4:5], v[12:13], 0.5
	v_cndmask_b32_e64 v1, v17, v1, s[18:19]
	v_cndmask_b32_e64 v0, v16, v0, s[18:19]
	;; [unrolled: 1-line block ×4, first 2 shown]
                                        ; implicit-def: $vgpr16_vgpr17
                                        ; implicit-def: $vgpr12_vgpr13
	s_andn2_saveexec_b64 s[0:1], s[0:1]
	s_cbranch_execnz .LBB225_1596
	s_branch .LBB225_1597
.LBB225_1595:
	s_andn2_saveexec_b64 s[0:1], s[0:1]
.LBB225_1596:
	v_add_f64 v[0:1], v[16:17], v[16:17]
	v_add_f64 v[6:7], v[12:13], v[12:13]
.LBB225_1597:
	s_or_b64 exec, exec, s[0:1]
.LBB225_1598:
	s_andn2_saveexec_b64 s[0:1], s[16:17]
	s_cbranch_execz .LBB225_1604
; %bb.1599:
	v_add_f64 v[12:13], v[6:7], -v[6:7]
	v_cmp_lt_i64_e32 vcc, -1, v[4:5]
	s_brev_b32 s16, -2
	v_and_b32_e32 v1, 0x7fffffff, v13
	v_mov_b32_e32 v0, v12
	s_and_saveexec_b64 s[2:3], vcc
	s_xor_b64 s[2:3], exec, s[2:3]
; %bb.1600:
	v_bfi_b32 v13, s16, v13, v7
	v_mov_b64_e32 v[6:7], v[12:13]
	v_mov_b64_e32 v[0:1], v[4:5]
; %bb.1601:
	s_andn2_saveexec_b64 s[2:3], s[2:3]
; %bb.1602:
	v_bfi_b32 v5, s16, v5, v7
	v_mov_b64_e32 v[6:7], v[4:5]
; %bb.1603:
	s_or_b64 exec, exec, s[2:3]
.LBB225_1604:
	s_or_b64 exec, exec, s[0:1]
.LBB225_1605:
	s_andn2_saveexec_b64 s[0:1], s[14:15]
	s_cbranch_execz .LBB225_1607
; %bb.1606:
	v_add_f64 v[0:1], v[6:7], -v[6:7]
	v_div_scale_f64 v[6:7], vcc, v[0:1], v[0:1], v[0:1]
	v_rcp_f64_e32 v[12:13], v[6:7]
	s_nop 0
	v_fma_f64 v[16:17], -v[6:7], v[12:13], 1.0
	v_fmac_f64_e32 v[12:13], v[12:13], v[16:17]
	v_fma_f64 v[16:17], -v[6:7], v[12:13], 1.0
	v_fmac_f64_e32 v[12:13], v[12:13], v[16:17]
	v_mul_f64 v[16:17], v[6:7], v[12:13]
	v_fma_f64 v[6:7], -v[6:7], v[16:17], v[6:7]
	v_div_fmas_f64 v[6:7], v[6:7], v[12:13], v[16:17]
	v_div_fixup_f64 v[6:7], v[6:7], v[0:1], v[0:1]
	v_mov_b64_e32 v[0:1], v[4:5]
.LBB225_1607:
	s_or_b64 exec, exec, s[0:1]
.LBB225_1608:
	s_or_b64 exec, exec, s[12:13]
.LBB225_1609:
	s_or_b64 exec, exec, s[10:11]
	v_mov_b32_e32 v11, 0
	s_cmp_lt_i32 s23, 11
	v_lshl_add_u64 v[4:5], s[6:7], 0, v[10:11]
	s_cbranch_scc1 .LBB225_1616
; %bb.1610:
	s_and_b32 s16, 0xffff, s23
	s_cmp_gt_i32 s16, 25
	s_mov_b64 s[2:3], 0
	s_cbranch_scc0 .LBB225_1618
; %bb.1611:
	s_cmp_gt_i32 s16, 28
	s_cbranch_scc0 .LBB225_1629
; %bb.1612:
	s_cmp_gt_i32 s16, 43
	;; [unrolled: 3-line block ×3, first 2 shown]
	s_cbranch_scc0 .LBB225_1634
; %bb.1614:
	s_cmp_eq_u32 s16, 46
	s_mov_b64 s[12:13], 0
	s_cbranch_scc0 .LBB225_1718
; %bb.1615:
	global_load_dword v10, v[4:5], off
	s_mov_b64 s[0:1], 0
	s_mov_b64 s[10:11], -1
	s_waitcnt vmcnt(0)
	v_and_b32_e32 v12, 0xffff0000, v10
	v_lshlrev_b32_e32 v10, 16, v10
	v_cvt_f64_f32_e32 v[10:11], v10
	v_cvt_f64_f32_e32 v[12:13], v12
	s_branch .LBB225_1719
.LBB225_1616:
	s_mov_b64 s[10:11], 0
                                        ; implicit-def: $vgpr12_vgpr13
	s_cbranch_execnz .LBB225_1623
.LBB225_1617:
	s_andn2_b64 vcc, exec, s[10:11]
	s_cbranch_vccnz .LBB225_1920
	s_branch .LBB225_1677
.LBB225_1618:
	s_mov_b64 s[10:11], 0
	s_mov_b64 s[0:1], 0
                                        ; implicit-def: $vgpr12_vgpr13
	s_cbranch_execnz .LBB225_1753
.LBB225_1619:
	s_and_b64 vcc, exec, s[0:1]
	s_cbranch_vccnz .LBB225_1784
.LBB225_1620:
	s_andn2_b64 vcc, exec, s[2:3]
	s_cbranch_vccnz .LBB225_1622
.LBB225_1621:
	global_load_ubyte v11, v[4:5], off
	v_mov_b32_e32 v12, 0x3ff00000
	v_mov_b32_e32 v10, 0
	s_mov_b64 s[10:11], -1
	s_waitcnt vmcnt(0)
	v_cmp_ne_u16_e32 vcc, 0, v11
	s_nop 1
	v_cndmask_b32_e32 v11, 0, v12, vcc
	v_mov_b64_e32 v[12:13], 0
.LBB225_1622:
	s_branch .LBB225_1617
.LBB225_1623:
	s_and_b32 s2, 0xffff, s23
	s_cmp_lt_i32 s2, 5
	s_cbranch_scc1 .LBB225_1628
; %bb.1624:
	s_cmp_lt_i32 s2, 8
	s_cbranch_scc1 .LBB225_1630
; %bb.1625:
	;; [unrolled: 3-line block ×3, first 2 shown]
	s_cmp_gt_i32 s2, 9
	s_cbranch_scc0 .LBB225_1635
; %bb.1627:
	global_load_dwordx4 v[10:13], v[4:5], off
	s_mov_b64 s[0:1], 0
	s_branch .LBB225_1636
.LBB225_1628:
	s_mov_b64 s[0:1], -1
                                        ; implicit-def: $vgpr12_vgpr13
	s_branch .LBB225_1655
.LBB225_1629:
	s_mov_b64 s[12:13], -1
	s_mov_b64 s[10:11], 0
	s_mov_b64 s[0:1], 0
                                        ; implicit-def: $vgpr12_vgpr13
	s_branch .LBB225_1732
.LBB225_1630:
	s_mov_b64 s[0:1], -1
                                        ; implicit-def: $vgpr12_vgpr13
	s_branch .LBB225_1642
.LBB225_1631:
	s_mov_b64 s[12:13], -1
	s_mov_b64 s[10:11], 0
	s_mov_b64 s[0:1], 0
                                        ; implicit-def: $vgpr12_vgpr13
	s_branch .LBB225_1726
.LBB225_1632:
	s_mov_b64 s[0:1], -1
                                        ; implicit-def: $vgpr12_vgpr13
	s_branch .LBB225_1639
.LBB225_1633:
	s_trap 2
	s_or_b64 s[8:9], s[8:9], exec
	s_cbranch_execz .LBB225_1528
	s_branch .LBB225_1529
.LBB225_1634:
	s_mov_b64 s[12:13], -1
	s_mov_b64 s[10:11], 0
	s_mov_b64 s[0:1], 0
                                        ; implicit-def: $vgpr12_vgpr13
	s_branch .LBB225_1719
.LBB225_1635:
	s_mov_b64 s[0:1], -1
                                        ; implicit-def: $vgpr12_vgpr13
.LBB225_1636:
	s_andn2_b64 vcc, exec, s[0:1]
	s_cbranch_vccnz .LBB225_1638
; %bb.1637:
	global_load_dwordx2 v[12:13], v[4:5], off
	s_waitcnt vmcnt(0)
	v_cvt_f64_f32_e32 v[10:11], v12
	v_cvt_f64_f32_e32 v[12:13], v13
.LBB225_1638:
	s_mov_b64 s[0:1], 0
.LBB225_1639:
	s_andn2_b64 vcc, exec, s[0:1]
	s_cbranch_vccnz .LBB225_1641
; %bb.1640:
	global_load_dword v10, v[4:5], off
	s_waitcnt vmcnt(0)
	v_cvt_f32_f16_e32 v11, v10
	v_cvt_f32_f16_sdwa v12, v10 dst_sel:DWORD dst_unused:UNUSED_PAD src0_sel:WORD_1
	v_cvt_f64_f32_e32 v[10:11], v11
	v_cvt_f64_f32_e32 v[12:13], v12
.LBB225_1641:
	s_mov_b64 s[0:1], 0
.LBB225_1642:
	s_andn2_b64 vcc, exec, s[0:1]
	s_cbranch_vccnz .LBB225_1654
; %bb.1643:
	s_cmp_lt_i32 s2, 6
	s_cbranch_scc1 .LBB225_1646
; %bb.1644:
	s_cmp_gt_i32 s2, 6
	s_cbranch_scc0 .LBB225_1647
; %bb.1645:
	global_load_dwordx2 v[10:11], v[4:5], off
	s_mov_b64 s[0:1], 0
	s_branch .LBB225_1648
.LBB225_1646:
	s_mov_b64 s[0:1], -1
                                        ; implicit-def: $vgpr10_vgpr11
	s_branch .LBB225_1651
.LBB225_1647:
	s_mov_b64 s[0:1], -1
                                        ; implicit-def: $vgpr10_vgpr11
.LBB225_1648:
	s_andn2_b64 vcc, exec, s[0:1]
	s_cbranch_vccnz .LBB225_1650
; %bb.1649:
	global_load_dword v10, v[4:5], off
	s_waitcnt vmcnt(0)
	v_cvt_f64_f32_e32 v[10:11], v10
.LBB225_1650:
	s_mov_b64 s[0:1], 0
.LBB225_1651:
	s_andn2_b64 vcc, exec, s[0:1]
	s_cbranch_vccnz .LBB225_1653
; %bb.1652:
	global_load_ushort v10, v[4:5], off
	s_waitcnt vmcnt(0)
	v_cvt_f32_f16_e32 v10, v10
	v_cvt_f64_f32_e32 v[10:11], v10
.LBB225_1653:
	s_waitcnt vmcnt(0)
	v_mov_b64_e32 v[12:13], 0
.LBB225_1654:
	s_mov_b64 s[0:1], 0
.LBB225_1655:
	s_andn2_b64 vcc, exec, s[0:1]
	s_cbranch_vccnz .LBB225_1676
; %bb.1656:
	s_cmp_lt_i32 s2, 2
	s_cbranch_scc1 .LBB225_1660
; %bb.1657:
	s_cmp_lt_i32 s2, 3
	s_cbranch_scc1 .LBB225_1661
; %bb.1658:
	s_cmp_gt_i32 s2, 3
	s_cbranch_scc0 .LBB225_1662
; %bb.1659:
	global_load_dwordx2 v[10:11], v[4:5], off
	s_mov_b64 s[0:1], 0
	s_waitcnt vmcnt(0)
	v_cvt_f64_i32_e32 v[12:13], v11
	v_cvt_f64_u32_e32 v[10:11], v10
	v_ldexp_f64 v[12:13], v[12:13], 32
	v_add_f64 v[10:11], v[12:13], v[10:11]
	s_branch .LBB225_1663
.LBB225_1660:
	s_mov_b64 s[0:1], -1
                                        ; implicit-def: $vgpr10_vgpr11
	s_branch .LBB225_1669
.LBB225_1661:
	s_mov_b64 s[0:1], -1
                                        ; implicit-def: $vgpr10_vgpr11
	s_branch .LBB225_1666
.LBB225_1662:
	s_mov_b64 s[0:1], -1
                                        ; implicit-def: $vgpr10_vgpr11
.LBB225_1663:
	s_andn2_b64 vcc, exec, s[0:1]
	s_cbranch_vccnz .LBB225_1665
; %bb.1664:
	global_load_dword v10, v[4:5], off
	s_waitcnt vmcnt(0)
	v_cvt_f64_i32_e32 v[10:11], v10
.LBB225_1665:
	s_mov_b64 s[0:1], 0
.LBB225_1666:
	s_andn2_b64 vcc, exec, s[0:1]
	s_cbranch_vccnz .LBB225_1668
; %bb.1667:
	global_load_sshort v10, v[4:5], off
	s_waitcnt vmcnt(0)
	v_cvt_f64_i32_e32 v[10:11], v10
.LBB225_1668:
	s_mov_b64 s[0:1], 0
.LBB225_1669:
	s_andn2_b64 vcc, exec, s[0:1]
	s_cbranch_vccnz .LBB225_1675
; %bb.1670:
	s_cmp_gt_i32 s2, 0
	s_cbranch_scc0 .LBB225_1672
; %bb.1671:
	global_load_sbyte v10, v[4:5], off
	s_mov_b64 s[0:1], 0
	s_waitcnt vmcnt(0)
	v_cvt_f64_i32_e32 v[10:11], v10
	s_branch .LBB225_1673
.LBB225_1672:
	s_mov_b64 s[0:1], -1
                                        ; implicit-def: $vgpr10_vgpr11
.LBB225_1673:
	s_andn2_b64 vcc, exec, s[0:1]
	s_cbranch_vccnz .LBB225_1675
; %bb.1674:
	global_load_ubyte v4, v[4:5], off
	s_waitcnt vmcnt(0)
	v_cvt_f64_u32_e32 v[10:11], v4
.LBB225_1675:
	s_waitcnt vmcnt(0)
	v_mov_b64_e32 v[12:13], 0
.LBB225_1676:
.LBB225_1677:
	s_waitcnt vmcnt(0)
	v_cmp_neq_f64_e32 vcc, 0, v[10:11]
	v_cmp_neq_f64_e64 s[0:1], 0, v[12:13]
	v_mov_b64_e32 v[4:5], 0
	s_or_b64 s[0:1], vcc, s[0:1]
	s_and_saveexec_b64 s[10:11], s[0:1]
	s_cbranch_execz .LBB225_1707
; %bb.1678:
	v_mov_b32_e32 v4, 0
	v_mov_b32_e32 v5, 0x7ff00000
	v_cmp_neq_f64_e64 s[0:1], |v[12:13]|, v[4:5]
	s_and_saveexec_b64 s[12:13], s[0:1]
	s_cbranch_execz .LBB225_1706
; %bb.1679:
	v_cmp_o_f64_e32 vcc, v[10:11], v[10:11]
                                        ; implicit-def: $vgpr4_vgpr5
	s_and_saveexec_b64 s[0:1], vcc
	s_xor_b64 s[14:15], exec, s[0:1]
	s_cbranch_execz .LBB225_1703
; %bb.1680:
	s_mov_b32 s0, 0
	s_mov_b32 s1, 0x7ff00000
	v_cmp_neq_f64_e64 s[0:1], |v[10:11]|, s[0:1]
                                        ; implicit-def: $vgpr4_vgpr5
	s_and_saveexec_b64 s[2:3], s[0:1]
	s_xor_b64 s[16:17], exec, s[2:3]
	s_cbranch_execz .LBB225_1696
; %bb.1681:
	v_max_f64 v[4:5], |v[12:13]|, |v[12:13]|
	v_max_f64 v[16:17], |v[10:11]|, |v[10:11]|
	s_mov_b32 s0, 0x99fcef32
	v_max_f64 v[4:5], v[16:17], v[4:5]
	s_mov_b32 s1, 0x7fda8279
	v_cmp_nle_f64_e64 s[0:1], s[0:1], v[4:5]
                                        ; implicit-def: $sgpr18_sgpr19
	s_and_saveexec_b64 s[2:3], s[0:1]
	s_xor_b64 s[2:3], exec, s[2:3]
	s_cbranch_execz .LBB225_1685
; %bb.1682:
	s_mov_b32 s18, 0
	s_mov_b32 s19, 0x200000
	v_cmp_le_f64_e64 s[20:21], |v[10:11]|, s[18:19]
	v_cmp_le_f64_e64 s[18:19], |v[12:13]|, s[18:19]
	s_and_b64 s[28:29], s[20:21], s[18:19]
	s_mov_b64 s[18:19], 0
	s_and_saveexec_b64 s[20:21], s[28:29]
; %bb.1683:
	s_mov_b64 s[18:19], exec
	v_mul_f64 v[10:11], v[10:11], 4.0
	v_mul_f64 v[12:13], v[12:13], 4.0
; %bb.1684:
	s_or_b64 exec, exec, s[20:21]
.LBB225_1685:
	s_andn2_saveexec_b64 s[2:3], s[2:3]
; %bb.1686:
	v_ldexp_f64 v[10:11], v[10:11], -2
	v_ldexp_f64 v[12:13], v[12:13], -2
	s_andn2_b64 s[18:19], s[18:19], exec
; %bb.1687:
	s_or_b64 exec, exec, s[2:3]
	v_max_f64 v[4:5], |v[12:13]|, |v[12:13]|
	v_max_f64 v[16:17], |v[10:11]|, |v[10:11]|
	v_max_f64 v[4:5], v[16:17], v[4:5]
	v_frexp_exp_i32_f64_e32 v15, v[4:5]
	v_sub_u32_e32 v16, 0, v15
	v_ldexp_f64 v[4:5], |v[10:11]|, v16
	v_ldexp_f64 v[16:17], |v[12:13]|, v16
	v_mul_f64 v[16:17], v[16:17], v[16:17]
	v_fmac_f64_e32 v[16:17], v[4:5], v[4:5]
	v_rsq_f64_e32 v[4:5], v[16:17]
	v_cmp_eq_f64_e64 s[2:3], 0, v[16:17]
	s_movk_i32 s20, 0x204
	v_cmp_le_f64_e32 vcc, 0, v[10:11]
	v_mul_f64 v[18:19], v[16:17], v[4:5]
	v_mul_f64 v[4:5], v[4:5], 0.5
	v_fma_f64 v[28:29], -v[4:5], v[18:19], 0.5
	v_fmac_f64_e32 v[18:19], v[18:19], v[28:29]
	v_fmac_f64_e32 v[4:5], v[4:5], v[28:29]
	v_fma_f64 v[28:29], -v[18:19], v[18:19], v[16:17]
	v_fmac_f64_e32 v[18:19], v[28:29], v[4:5]
	v_cndmask_b32_e64 v5, v19, v17, s[2:3]
	v_cndmask_b32_e64 v4, v18, v16, s[2:3]
	v_ldexp_f64 v[4:5], v[4:5], v15
	v_cmp_o_f64_e64 s[2:3], v[12:13], v[12:13]
	v_mov_b32_e32 v15, 0x7ff80000
                                        ; implicit-def: $vgpr16_vgpr17
                                        ; implicit-def: $vgpr18_vgpr19
	s_nop 0
	v_cndmask_b32_e64 v4, 0, v4, s[2:3]
	v_cndmask_b32_e64 v5, v15, v5, s[2:3]
	v_cmp_class_f64_e64 s[2:3], v[10:11], s20
	v_cmp_class_f64_e64 s[20:21], v[12:13], s20
	v_mov_b32_e32 v15, 0x7ff00000
	s_or_b64 s[2:3], s[20:21], s[2:3]
	v_cndmask_b32_e64 v5, v5, v15, s[2:3]
	v_cndmask_b32_e64 v4, v4, 0, s[2:3]
	s_and_saveexec_b64 s[2:3], vcc
	s_xor_b64 s[2:3], exec, s[2:3]
	s_cbranch_execz .LBB225_1689
; %bb.1688:
	v_add_f64 v[4:5], v[10:11], v[4:5]
	s_mov_b32 s20, 0
	v_mul_f64 v[4:5], v[4:5], 0.5
	s_brev_b32 s21, 8
	v_mov_b32_e32 v10, 0x100
	v_cmp_gt_f64_e32 vcc, s[20:21], v[4:5]
	v_mov_b32_e32 v15, 0x260
	s_nop 0
	v_cndmask_b32_e32 v10, 0, v10, vcc
	v_ldexp_f64 v[4:5], v[4:5], v10
	v_rsq_f64_e32 v[10:11], v[4:5]
	s_nop 0
	v_mul_f64 v[16:17], v[4:5], v[10:11]
	v_mul_f64 v[10:11], v[10:11], 0.5
	v_fma_f64 v[18:19], -v[10:11], v[16:17], 0.5
	v_fmac_f64_e32 v[16:17], v[16:17], v[18:19]
	v_fma_f64 v[28:29], -v[16:17], v[16:17], v[4:5]
	v_fmac_f64_e32 v[10:11], v[10:11], v[18:19]
	v_fmac_f64_e32 v[16:17], v[28:29], v[10:11]
	v_fma_f64 v[18:19], -v[16:17], v[16:17], v[4:5]
	v_fmac_f64_e32 v[16:17], v[18:19], v[10:11]
	v_mov_b32_e32 v10, 0xffffff80
	v_cndmask_b32_e32 v10, 0, v10, vcc
	v_ldexp_f64 v[10:11], v[16:17], v10
	v_cmp_class_f64_e32 vcc, v[4:5], v15
	s_nop 1
	v_cndmask_b32_e32 v19, v11, v5, vcc
	v_cndmask_b32_e32 v18, v10, v4, vcc
	v_add_f64 v[4:5], v[18:19], v[18:19]
	v_div_scale_f64 v[10:11], s[20:21], v[4:5], v[4:5], v[12:13]
	v_rcp_f64_e32 v[16:17], v[10:11]
	s_nop 0
	v_fma_f64 v[28:29], -v[10:11], v[16:17], 1.0
	v_fmac_f64_e32 v[16:17], v[16:17], v[28:29]
	v_fma_f64 v[28:29], -v[10:11], v[16:17], 1.0
	v_fmac_f64_e32 v[16:17], v[16:17], v[28:29]
	v_div_scale_f64 v[28:29], vcc, v[12:13], v[4:5], v[12:13]
	v_mul_f64 v[30:31], v[28:29], v[16:17]
	v_fma_f64 v[10:11], -v[10:11], v[30:31], v[28:29]
	s_nop 1
	v_div_fmas_f64 v[10:11], v[10:11], v[16:17], v[30:31]
	v_div_fixup_f64 v[16:17], v[10:11], v[4:5], v[12:13]
                                        ; implicit-def: $vgpr4_vgpr5
                                        ; implicit-def: $vgpr10_vgpr11
	s_andn2_saveexec_b64 s[2:3], s[2:3]
	s_cbranch_execz .LBB225_1691
	s_branch .LBB225_1690
.LBB225_1689:
	s_andn2_saveexec_b64 s[2:3], s[2:3]
	s_cbranch_execz .LBB225_1691
.LBB225_1690:
	v_add_f64 v[4:5], v[4:5], -v[10:11]
	s_mov_b32 s20, 0
	v_mul_f64 v[4:5], v[4:5], 0.5
	s_brev_b32 s21, 8
	v_mov_b32_e32 v10, 0x100
	v_cmp_gt_f64_e32 vcc, s[20:21], v[4:5]
	v_mov_b32_e32 v15, 0x260
	s_nop 0
	v_cndmask_b32_e32 v10, 0, v10, vcc
	v_ldexp_f64 v[4:5], v[4:5], v10
	v_rsq_f64_e32 v[10:11], v[4:5]
	s_nop 0
	v_mul_f64 v[16:17], v[4:5], v[10:11]
	v_mul_f64 v[10:11], v[10:11], 0.5
	v_fma_f64 v[18:19], -v[10:11], v[16:17], 0.5
	v_fmac_f64_e32 v[16:17], v[16:17], v[18:19]
	v_fma_f64 v[28:29], -v[16:17], v[16:17], v[4:5]
	v_fmac_f64_e32 v[10:11], v[10:11], v[18:19]
	v_fmac_f64_e32 v[16:17], v[28:29], v[10:11]
	v_fma_f64 v[18:19], -v[16:17], v[16:17], v[4:5]
	v_fmac_f64_e32 v[16:17], v[18:19], v[10:11]
	v_mov_b32_e32 v10, 0xffffff80
	v_cndmask_b32_e32 v10, 0, v10, vcc
	v_ldexp_f64 v[10:11], v[16:17], v10
	v_cmp_class_f64_e32 vcc, v[4:5], v15
	s_nop 1
	v_cndmask_b32_e32 v17, v11, v5, vcc
	v_cndmask_b32_e32 v16, v10, v4, vcc
	v_add_f64 v[4:5], v[16:17], v[16:17]
	v_and_b32_e32 v11, 0x7fffffff, v13
	v_mov_b32_e32 v10, v12
	v_div_scale_f64 v[18:19], s[20:21], v[4:5], v[4:5], v[10:11]
	v_rcp_f64_e32 v[28:29], v[18:19]
	v_div_scale_f64 v[10:11], vcc, v[10:11], v[4:5], v[10:11]
	s_brev_b32 s20, -2
	v_fma_f64 v[30:31], -v[18:19], v[28:29], 1.0
	v_fmac_f64_e32 v[28:29], v[28:29], v[30:31]
	v_fma_f64 v[30:31], -v[18:19], v[28:29], 1.0
	v_fmac_f64_e32 v[28:29], v[28:29], v[30:31]
	v_mul_f64 v[30:31], v[10:11], v[28:29]
	v_fma_f64 v[10:11], -v[18:19], v[30:31], v[10:11]
	v_div_fmas_f64 v[10:11], v[10:11], v[28:29], v[30:31]
	v_div_fixup_f64 v[18:19], v[10:11], v[4:5], |v[12:13]|
	v_bfi_b32 v17, s20, v17, v13
.LBB225_1691:
	s_or_b64 exec, exec, s[2:3]
                                        ; implicit-def: $vgpr12_vgpr13
                                        ; implicit-def: $vgpr4_vgpr5
	s_and_saveexec_b64 s[2:3], s[0:1]
	s_xor_b64 s[0:1], exec, s[2:3]
	s_cbranch_execz .LBB225_1693
; %bb.1692:
	v_mul_f64 v[4:5], v[18:19], 0.5
	v_mul_f64 v[10:11], v[16:17], 0.5
	v_cndmask_b32_e64 v5, v19, v5, s[18:19]
	v_cndmask_b32_e64 v4, v18, v4, s[18:19]
	;; [unrolled: 1-line block ×4, first 2 shown]
                                        ; implicit-def: $vgpr18_vgpr19
                                        ; implicit-def: $vgpr16_vgpr17
	s_andn2_saveexec_b64 s[0:1], s[0:1]
	s_cbranch_execnz .LBB225_1694
	s_branch .LBB225_1695
.LBB225_1693:
	s_andn2_saveexec_b64 s[0:1], s[0:1]
.LBB225_1694:
	v_add_f64 v[4:5], v[18:19], v[18:19]
	v_add_f64 v[12:13], v[16:17], v[16:17]
.LBB225_1695:
	s_or_b64 exec, exec, s[0:1]
.LBB225_1696:
	s_andn2_saveexec_b64 s[0:1], s[16:17]
	s_cbranch_execz .LBB225_1702
; %bb.1697:
	v_add_f64 v[16:17], v[12:13], -v[12:13]
	v_cmp_lt_i64_e32 vcc, -1, v[10:11]
	s_brev_b32 s16, -2
	v_and_b32_e32 v5, 0x7fffffff, v17
	v_mov_b32_e32 v4, v16
	s_and_saveexec_b64 s[2:3], vcc
	s_xor_b64 s[2:3], exec, s[2:3]
; %bb.1698:
	v_bfi_b32 v17, s16, v17, v13
	v_mov_b64_e32 v[12:13], v[16:17]
	v_mov_b64_e32 v[4:5], v[10:11]
; %bb.1699:
	s_andn2_saveexec_b64 s[2:3], s[2:3]
; %bb.1700:
	v_bfi_b32 v11, s16, v11, v13
	v_mov_b64_e32 v[12:13], v[10:11]
; %bb.1701:
	s_or_b64 exec, exec, s[2:3]
.LBB225_1702:
	s_or_b64 exec, exec, s[0:1]
.LBB225_1703:
	s_andn2_saveexec_b64 s[0:1], s[14:15]
	s_cbranch_execz .LBB225_1705
; %bb.1704:
	v_add_f64 v[4:5], v[12:13], -v[12:13]
	v_div_scale_f64 v[12:13], vcc, v[4:5], v[4:5], v[4:5]
	v_rcp_f64_e32 v[16:17], v[12:13]
	s_nop 0
	v_fma_f64 v[18:19], -v[12:13], v[16:17], 1.0
	v_fmac_f64_e32 v[16:17], v[16:17], v[18:19]
	v_fma_f64 v[18:19], -v[12:13], v[16:17], 1.0
	v_fmac_f64_e32 v[16:17], v[16:17], v[18:19]
	v_mul_f64 v[18:19], v[12:13], v[16:17]
	v_fma_f64 v[12:13], -v[12:13], v[18:19], v[12:13]
	v_div_fmas_f64 v[12:13], v[12:13], v[16:17], v[18:19]
	v_div_fixup_f64 v[12:13], v[12:13], v[4:5], v[4:5]
	v_mov_b64_e32 v[4:5], v[10:11]
.LBB225_1705:
	s_or_b64 exec, exec, s[0:1]
.LBB225_1706:
	s_or_b64 exec, exec, s[12:13]
.LBB225_1707:
	s_or_b64 exec, exec, s[10:11]
	v_mov_b32_e32 v15, 0
	s_cmp_lt_i32 s23, 11
	v_lshl_add_u64 v[10:11], s[6:7], 0, v[14:15]
	s_cbranch_scc1 .LBB225_1714
; %bb.1708:
	s_and_b32 s14, 0xffff, s23
	s_cmp_gt_i32 s14, 25
	s_mov_b64 s[2:3], 0
	s_cbranch_scc0 .LBB225_1715
; %bb.1709:
	s_cmp_gt_i32 s14, 28
	s_cbranch_scc0 .LBB225_1716
; %bb.1710:
	s_cmp_gt_i32 s14, 43
	;; [unrolled: 3-line block ×3, first 2 shown]
	s_cbranch_scc0 .LBB225_1722
; %bb.1712:
	s_cmp_eq_u32 s14, 46
	s_mov_b64 s[10:11], 0
	s_cbranch_scc0 .LBB225_1785
; %bb.1713:
	global_load_dword v14, v[10:11], off
	s_mov_b64 s[0:1], 0
	s_mov_b64 s[6:7], -1
	s_waitcnt vmcnt(0)
	v_and_b32_e32 v16, 0xffff0000, v14
	v_lshlrev_b32_e32 v14, 16, v14
	v_cvt_f64_f32_e32 v[14:15], v14
	v_cvt_f64_f32_e32 v[16:17], v16
	s_branch .LBB225_1786
.LBB225_1714:
	s_mov_b64 s[0:1], -1
	s_mov_b64 s[6:7], 0
                                        ; implicit-def: $vgpr16_vgpr17
	s_branch .LBB225_1836
.LBB225_1715:
	s_mov_b64 s[10:11], -1
	s_mov_b64 s[6:7], 0
	s_mov_b64 s[0:1], 0
                                        ; implicit-def: $vgpr16_vgpr17
	s_branch .LBB225_1819
.LBB225_1716:
	s_mov_b64 s[10:11], -1
	s_mov_b64 s[6:7], 0
	s_mov_b64 s[0:1], 0
                                        ; implicit-def: $vgpr16_vgpr17
	s_branch .LBB225_1798
.LBB225_1717:
	s_mov_b64 s[10:11], -1
	s_mov_b64 s[6:7], 0
	s_mov_b64 s[0:1], 0
                                        ; implicit-def: $vgpr16_vgpr17
	s_branch .LBB225_1792
.LBB225_1718:
	s_mov_b64 s[0:1], -1
                                        ; implicit-def: $vgpr12_vgpr13
	s_mov_b64 s[10:11], 0
.LBB225_1719:
	s_and_b64 vcc, exec, s[12:13]
	s_cbranch_vccz .LBB225_1725
; %bb.1720:
	s_cmp_eq_u32 s16, 44
	s_cbranch_scc0 .LBB225_1723
; %bb.1721:
	global_load_ubyte v12, v[4:5], off
	s_movk_i32 s10, 0xff
	v_bfrev_b32_e32 v13, 4
	v_mov_b32_e32 v15, 0x7ff80000
	v_bfrev_b32_e32 v16, 28
	s_mov_b64 s[0:1], 0
	s_waitcnt vmcnt(0)
	v_lshlrev_b32_e32 v10, 23, v12
	v_cvt_f64_f32_e32 v[10:11], v10
	v_cmp_ne_u32_e32 vcc, s10, v12
	s_mov_b64 s[10:11], -1
	s_nop 0
	v_cndmask_b32_e32 v10, v13, v10, vcc
	v_cndmask_b32_e32 v11, v15, v11, vcc
	v_cmp_ne_u32_e32 vcc, 0, v12
	s_nop 1
	v_cndmask_b32_e32 v11, v16, v11, vcc
	v_cndmask_b32_e32 v10, 0, v10, vcc
	s_branch .LBB225_1724
.LBB225_1722:
	s_mov_b64 s[10:11], -1
	s_mov_b64 s[6:7], 0
	s_mov_b64 s[0:1], 0
                                        ; implicit-def: $vgpr16_vgpr17
	s_branch .LBB225_1786
.LBB225_1723:
	s_mov_b64 s[0:1], -1
                                        ; implicit-def: $vgpr10_vgpr11
.LBB225_1724:
	v_mov_b64_e32 v[12:13], 0
.LBB225_1725:
	s_mov_b64 s[12:13], 0
.LBB225_1726:
	s_and_b64 vcc, exec, s[12:13]
	s_cbranch_vccz .LBB225_1731
; %bb.1727:
	s_cmp_eq_u32 s16, 29
	s_cbranch_scc0 .LBB225_1729
; %bb.1728:
	global_load_dwordx2 v[10:11], v[4:5], off
	s_mov_b64 s[0:1], 0
	s_mov_b64 s[10:11], -1
	s_waitcnt vmcnt(0)
	v_cvt_f64_u32_e32 v[12:13], v11
	v_cvt_f64_u32_e32 v[10:11], v10
	v_ldexp_f64 v[12:13], v[12:13], 32
	v_add_f64 v[10:11], v[12:13], v[10:11]
	s_branch .LBB225_1730
.LBB225_1729:
	s_mov_b64 s[0:1], -1
                                        ; implicit-def: $vgpr10_vgpr11
.LBB225_1730:
	v_mov_b64_e32 v[12:13], 0
.LBB225_1731:
	s_mov_b64 s[12:13], 0
.LBB225_1732:
	s_and_b64 vcc, exec, s[12:13]
	s_cbranch_vccz .LBB225_1752
; %bb.1733:
	s_cmp_lt_i32 s16, 27
	s_cbranch_scc1 .LBB225_1736
; %bb.1734:
	s_cmp_gt_i32 s16, 27
	s_cbranch_scc0 .LBB225_1737
; %bb.1735:
	global_load_dword v10, v[4:5], off
	s_mov_b64 s[10:11], 0
	s_waitcnt vmcnt(0)
	v_cvt_f64_u32_e32 v[10:11], v10
	s_branch .LBB225_1738
.LBB225_1736:
	s_mov_b64 s[10:11], -1
                                        ; implicit-def: $vgpr10_vgpr11
	s_branch .LBB225_1741
.LBB225_1737:
	s_mov_b64 s[10:11], -1
                                        ; implicit-def: $vgpr10_vgpr11
.LBB225_1738:
	s_andn2_b64 vcc, exec, s[10:11]
	s_cbranch_vccnz .LBB225_1740
; %bb.1739:
	global_load_ushort v10, v[4:5], off
	s_waitcnt vmcnt(0)
	v_cvt_f64_u32_e32 v[10:11], v10
.LBB225_1740:
	s_mov_b64 s[10:11], 0
.LBB225_1741:
	s_andn2_b64 vcc, exec, s[10:11]
	s_cbranch_vccnz .LBB225_1751
; %bb.1742:
	global_load_ubyte v12, v[4:5], off
	s_movk_i32 s10, 0x7f
	s_waitcnt vmcnt(0)
	v_cmp_lt_i16_e32 vcc, s10, v12
	s_mov_b64 s[10:11], 0
	s_and_saveexec_b64 s[12:13], vcc
	s_xor_b64 s[12:13], exec, s[12:13]
	s_cbranch_execz .LBB225_1746
; %bb.1743:
	s_movk_i32 s10, 0x80
	v_cmp_eq_u16_e32 vcc, s10, v12
	s_mov_b64 s[10:11], -1
	s_and_saveexec_b64 s[14:15], vcc
; %bb.1744:
	s_xor_b64 s[10:11], exec, -1
; %bb.1745:
	s_or_b64 exec, exec, s[14:15]
	s_and_b64 s[10:11], s[10:11], exec
.LBB225_1746:
	s_or_saveexec_b64 s[12:13], s[12:13]
	v_bfrev_b32_e32 v10, 4
	v_mov_b32_e32 v11, 0x7ff80000
	s_xor_b64 exec, exec, s[12:13]
; %bb.1747:
	v_cmp_ne_u16_e32 vcc, 0, v12
	s_andn2_b64 s[10:11], s[10:11], exec
	s_and_b64 s[14:15], vcc, exec
	v_mov_b64_e32 v[10:11], 0
	s_or_b64 s[10:11], s[10:11], s[14:15]
; %bb.1748:
	s_or_b64 exec, exec, s[12:13]
	s_and_saveexec_b64 s[12:13], s[10:11]
	s_cbranch_execz .LBB225_1750
; %bb.1749:
	v_and_b32_e32 v11, 0xffff, v12
	v_lshlrev_b32_e32 v10, 24, v12
	v_and_b32_e32 v12, 7, v11
	v_ffbh_u32_e32 v15, v12
	v_min_u32_e32 v15, 32, v15
	v_subrev_u32_e32 v16, 28, v15
	v_bfe_u32 v13, v11, 3, 4
	v_lshlrev_b32_e32 v11, v16, v11
	v_sub_u32_e32 v15, 29, v15
	v_and_b32_e32 v11, 7, v11
	v_cmp_eq_u32_e32 vcc, 0, v13
	v_and_b32_e32 v10, 0x80000000, v10
	s_nop 0
	v_cndmask_b32_e32 v13, v13, v15, vcc
	v_cndmask_b32_e32 v11, v12, v11, vcc
	v_mov_b32_e32 v12, 0x3b800000
	v_lshlrev_b32_e32 v11, 20, v11
	v_lshl_add_u32 v12, v13, 23, v12
	v_or3_b32 v10, v10, v12, v11
	v_cvt_f64_f32_e32 v[10:11], v10
.LBB225_1750:
	s_or_b64 exec, exec, s[12:13]
.LBB225_1751:
	s_mov_b64 s[10:11], -1
	v_mov_b64_e32 v[12:13], 0
.LBB225_1752:
	s_branch .LBB225_1619
.LBB225_1753:
	s_cmp_gt_i32 s16, 22
	s_cbranch_scc0 .LBB225_1765
; %bb.1754:
	s_cmp_lt_i32 s16, 24
	s_cbranch_scc1 .LBB225_1766
; %bb.1755:
	s_cmp_gt_i32 s16, 24
	s_cbranch_scc0 .LBB225_1767
; %bb.1756:
	global_load_ubyte v12, v[4:5], off
	s_movk_i32 s2, 0x7f
	s_waitcnt vmcnt(0)
	v_cmp_lt_i16_e32 vcc, s2, v12
	s_mov_b64 s[2:3], 0
	s_and_saveexec_b64 s[10:11], vcc
	s_xor_b64 s[10:11], exec, s[10:11]
	s_cbranch_execz .LBB225_1760
; %bb.1757:
	s_movk_i32 s2, 0x80
	v_cmp_eq_u16_e32 vcc, s2, v12
	s_mov_b64 s[2:3], -1
	s_and_saveexec_b64 s[12:13], vcc
; %bb.1758:
	s_xor_b64 s[2:3], exec, -1
; %bb.1759:
	s_or_b64 exec, exec, s[12:13]
	s_and_b64 s[2:3], s[2:3], exec
.LBB225_1760:
	s_or_saveexec_b64 s[10:11], s[10:11]
	v_bfrev_b32_e32 v10, 4
	v_mov_b32_e32 v11, 0x7ff80000
	s_xor_b64 exec, exec, s[10:11]
; %bb.1761:
	v_cmp_ne_u16_e32 vcc, 0, v12
	s_andn2_b64 s[2:3], s[2:3], exec
	s_and_b64 s[12:13], vcc, exec
	v_mov_b64_e32 v[10:11], 0
	s_or_b64 s[2:3], s[2:3], s[12:13]
; %bb.1762:
	s_or_b64 exec, exec, s[10:11]
	s_and_saveexec_b64 s[10:11], s[2:3]
	s_cbranch_execz .LBB225_1764
; %bb.1763:
	v_and_b32_e32 v11, 0xffff, v12
	v_lshlrev_b32_e32 v10, 24, v12
	v_and_b32_e32 v12, 3, v11
	v_ffbh_u32_e32 v15, v12
	v_min_u32_e32 v15, 32, v15
	v_subrev_u32_e32 v16, 29, v15
	v_bfe_u32 v13, v11, 2, 5
	v_lshlrev_b32_e32 v11, v16, v11
	v_sub_u32_e32 v15, 30, v15
	v_and_b32_e32 v11, 3, v11
	v_cmp_eq_u32_e32 vcc, 0, v13
	v_and_b32_e32 v10, 0x80000000, v10
	s_nop 0
	v_cndmask_b32_e32 v13, v13, v15, vcc
	v_cndmask_b32_e32 v11, v12, v11, vcc
	v_mov_b32_e32 v12, 0x37800000
	v_lshlrev_b32_e32 v11, 21, v11
	v_lshl_add_u32 v12, v13, 23, v12
	v_or3_b32 v10, v10, v12, v11
	v_cvt_f64_f32_e32 v[10:11], v10
.LBB225_1764:
	s_or_b64 exec, exec, s[10:11]
	s_mov_b64 s[2:3], 0
	s_branch .LBB225_1768
.LBB225_1765:
	s_mov_b64 s[2:3], -1
                                        ; implicit-def: $vgpr10_vgpr11
	s_branch .LBB225_1774
.LBB225_1766:
	s_mov_b64 s[2:3], -1
                                        ; implicit-def: $vgpr10_vgpr11
	s_branch .LBB225_1771
.LBB225_1767:
	s_mov_b64 s[2:3], -1
                                        ; implicit-def: $vgpr10_vgpr11
.LBB225_1768:
	s_and_b64 vcc, exec, s[2:3]
	s_cbranch_vccz .LBB225_1770
; %bb.1769:
	global_load_ubyte v10, v[4:5], off
	s_mov_b32 s2, 0x7f800000
	s_waitcnt vmcnt(0)
	v_lshlrev_b32_e32 v10, 24, v10
	v_and_b32_e32 v11, 0x7f000000, v10
	v_ffbh_u32_e32 v12, v11
	v_min_u32_e32 v12, 32, v12
	v_sub_u32_e64 v12, v12, 4 clamp
	v_lshlrev_b32_e32 v15, v12, v11
	v_lshlrev_b32_e32 v12, 23, v12
	v_lshrrev_b32_e32 v15, 4, v15
	v_add_u32_e32 v13, 0x1000000, v11
	v_sub_u32_e32 v12, v15, v12
	v_ashrrev_i32_e32 v13, 8, v13
	v_add_u32_e32 v12, 0x3c000000, v12
	v_and_or_b32 v12, v13, s2, v12
	v_cmp_ne_u32_e32 vcc, 0, v11
	s_brev_b32 s2, 1
	s_nop 0
	v_cndmask_b32_e32 v11, 0, v12, vcc
	v_and_or_b32 v10, v10, s2, v11
	v_cvt_f64_f32_e32 v[10:11], v10
.LBB225_1770:
	s_mov_b64 s[2:3], 0
.LBB225_1771:
	s_andn2_b64 vcc, exec, s[2:3]
	s_cbranch_vccnz .LBB225_1773
; %bb.1772:
	global_load_ubyte v10, v[4:5], off
	s_movk_i32 s2, 0x7f00
	s_brev_b32 s3, 16
	s_waitcnt vmcnt(0)
	v_lshlrev_b16_e32 v11, 8, v10
	v_lshlrev_b32_e32 v10, 25, v10
	v_lshrrev_b32_e32 v12, 4, v10
	v_and_or_b32 v13, v11, s2, 0.5
	v_or_b32_e32 v12, 0x70000000, v12
	v_add_f32_e32 v13, -0.5, v13
	v_mul_f32_e32 v12, 0x7800000, v12
	v_cmp_gt_u32_e32 vcc, s3, v10
	v_bfe_i32 v11, v11, 0, 16
	s_brev_b32 s2, 1
	v_cndmask_b32_e32 v10, v12, v13, vcc
	v_and_or_b32 v10, v11, s2, v10
	v_cvt_f64_f32_e32 v[10:11], v10
.LBB225_1773:
	s_mov_b64 s[2:3], 0
	s_mov_b64 s[10:11], -1
.LBB225_1774:
	s_andn2_b64 vcc, exec, s[2:3]
	s_mov_b64 s[2:3], 0
	s_cbranch_vccnz .LBB225_1783
; %bb.1775:
	s_cmp_gt_i32 s16, 14
	s_cbranch_scc0 .LBB225_1778
; %bb.1776:
	s_cmp_eq_u32 s16, 15
	s_cbranch_scc0 .LBB225_1779
; %bb.1777:
	global_load_ushort v10, v[4:5], off
	s_mov_b64 s[0:1], 0
	s_mov_b64 s[10:11], -1
	s_waitcnt vmcnt(0)
	v_lshlrev_b32_e32 v10, 16, v10
	v_cvt_f64_f32_e32 v[10:11], v10
	s_branch .LBB225_1780
.LBB225_1778:
	s_mov_b64 s[12:13], -1
                                        ; implicit-def: $vgpr10_vgpr11
	s_branch .LBB225_1781
.LBB225_1779:
	s_mov_b64 s[0:1], -1
                                        ; implicit-def: $vgpr10_vgpr11
.LBB225_1780:
	s_mov_b64 s[12:13], 0
.LBB225_1781:
	s_and_b64 vcc, exec, s[12:13]
	s_cbranch_vccz .LBB225_1783
; %bb.1782:
	s_cmp_lg_u32 s16, 11
	s_mov_b64 s[2:3], -1
	s_cselect_b64 s[0:1], -1, 0
.LBB225_1783:
	v_mov_b64_e32 v[12:13], 0
	s_and_b64 vcc, exec, s[0:1]
	s_cbranch_vccz .LBB225_1620
.LBB225_1784:
	s_trap 2
	s_or_b64 s[8:9], s[8:9], exec
	s_cbranch_execz .LBB225_1621
	s_branch .LBB225_1622
.LBB225_1785:
	s_mov_b64 s[0:1], -1
                                        ; implicit-def: $vgpr16_vgpr17
	s_mov_b64 s[6:7], 0
.LBB225_1786:
	s_and_b64 vcc, exec, s[10:11]
	s_cbranch_vccz .LBB225_1791
; %bb.1787:
	s_cmp_eq_u32 s14, 44
	s_cbranch_scc0 .LBB225_1789
; %bb.1788:
	global_load_ubyte v16, v[10:11], off
	s_movk_i32 s6, 0xff
	v_bfrev_b32_e32 v17, 4
	v_mov_b32_e32 v18, 0x7ff80000
	v_bfrev_b32_e32 v19, 28
	s_mov_b64 s[0:1], 0
	s_waitcnt vmcnt(0)
	v_lshlrev_b32_e32 v14, 23, v16
	v_cvt_f64_f32_e32 v[14:15], v14
	v_cmp_ne_u32_e32 vcc, s6, v16
	s_mov_b64 s[6:7], -1
	s_nop 0
	v_cndmask_b32_e32 v14, v17, v14, vcc
	v_cndmask_b32_e32 v15, v18, v15, vcc
	v_cmp_ne_u32_e32 vcc, 0, v16
	s_nop 1
	v_cndmask_b32_e32 v15, v19, v15, vcc
	v_cndmask_b32_e32 v14, 0, v14, vcc
	s_branch .LBB225_1790
.LBB225_1789:
	s_mov_b64 s[0:1], -1
                                        ; implicit-def: $vgpr14_vgpr15
.LBB225_1790:
	v_mov_b64_e32 v[16:17], 0
.LBB225_1791:
	s_mov_b64 s[10:11], 0
.LBB225_1792:
	s_and_b64 vcc, exec, s[10:11]
	s_cbranch_vccz .LBB225_1797
; %bb.1793:
	s_cmp_eq_u32 s14, 29
	s_cbranch_scc0 .LBB225_1795
; %bb.1794:
	global_load_dwordx2 v[14:15], v[10:11], off
	s_mov_b64 s[0:1], 0
	s_mov_b64 s[6:7], -1
	s_waitcnt vmcnt(0)
	v_cvt_f64_u32_e32 v[16:17], v15
	v_cvt_f64_u32_e32 v[14:15], v14
	v_ldexp_f64 v[16:17], v[16:17], 32
	v_add_f64 v[14:15], v[16:17], v[14:15]
	s_branch .LBB225_1796
.LBB225_1795:
	s_mov_b64 s[0:1], -1
                                        ; implicit-def: $vgpr14_vgpr15
.LBB225_1796:
	v_mov_b64_e32 v[16:17], 0
.LBB225_1797:
	s_mov_b64 s[10:11], 0
.LBB225_1798:
	s_and_b64 vcc, exec, s[10:11]
	s_cbranch_vccz .LBB225_1818
; %bb.1799:
	s_cmp_lt_i32 s14, 27
	s_cbranch_scc1 .LBB225_1802
; %bb.1800:
	s_cmp_gt_i32 s14, 27
	s_cbranch_scc0 .LBB225_1803
; %bb.1801:
	global_load_dword v14, v[10:11], off
	s_mov_b64 s[6:7], 0
	s_waitcnt vmcnt(0)
	v_cvt_f64_u32_e32 v[14:15], v14
	s_branch .LBB225_1804
.LBB225_1802:
	s_mov_b64 s[6:7], -1
                                        ; implicit-def: $vgpr14_vgpr15
	s_branch .LBB225_1807
.LBB225_1803:
	s_mov_b64 s[6:7], -1
                                        ; implicit-def: $vgpr14_vgpr15
.LBB225_1804:
	s_andn2_b64 vcc, exec, s[6:7]
	s_cbranch_vccnz .LBB225_1806
; %bb.1805:
	global_load_ushort v14, v[10:11], off
	s_waitcnt vmcnt(0)
	v_cvt_f64_u32_e32 v[14:15], v14
.LBB225_1806:
	s_mov_b64 s[6:7], 0
.LBB225_1807:
	s_andn2_b64 vcc, exec, s[6:7]
	s_cbranch_vccnz .LBB225_1817
; %bb.1808:
	global_load_ubyte v16, v[10:11], off
	s_movk_i32 s6, 0x7f
	s_waitcnt vmcnt(0)
	v_cmp_lt_i16_e32 vcc, s6, v16
	s_mov_b64 s[6:7], 0
	s_and_saveexec_b64 s[10:11], vcc
	s_xor_b64 s[10:11], exec, s[10:11]
	s_cbranch_execz .LBB225_1812
; %bb.1809:
	s_movk_i32 s6, 0x80
	v_cmp_eq_u16_e32 vcc, s6, v16
	s_mov_b64 s[6:7], -1
	s_and_saveexec_b64 s[12:13], vcc
; %bb.1810:
	s_xor_b64 s[6:7], exec, -1
; %bb.1811:
	s_or_b64 exec, exec, s[12:13]
	s_and_b64 s[6:7], s[6:7], exec
.LBB225_1812:
	s_or_saveexec_b64 s[10:11], s[10:11]
	v_bfrev_b32_e32 v14, 4
	v_mov_b32_e32 v15, 0x7ff80000
	s_xor_b64 exec, exec, s[10:11]
; %bb.1813:
	v_cmp_ne_u16_e32 vcc, 0, v16
	s_andn2_b64 s[6:7], s[6:7], exec
	s_and_b64 s[12:13], vcc, exec
	v_mov_b64_e32 v[14:15], 0
	s_or_b64 s[6:7], s[6:7], s[12:13]
; %bb.1814:
	s_or_b64 exec, exec, s[10:11]
	s_and_saveexec_b64 s[10:11], s[6:7]
	s_cbranch_execz .LBB225_1816
; %bb.1815:
	v_and_b32_e32 v15, 0xffff, v16
	v_lshlrev_b32_e32 v14, 24, v16
	v_and_b32_e32 v16, 7, v15
	v_ffbh_u32_e32 v18, v16
	v_min_u32_e32 v18, 32, v18
	v_subrev_u32_e32 v19, 28, v18
	v_bfe_u32 v17, v15, 3, 4
	v_lshlrev_b32_e32 v15, v19, v15
	v_sub_u32_e32 v18, 29, v18
	v_and_b32_e32 v15, 7, v15
	v_cmp_eq_u32_e32 vcc, 0, v17
	v_and_b32_e32 v14, 0x80000000, v14
	s_nop 0
	v_cndmask_b32_e32 v17, v17, v18, vcc
	v_cndmask_b32_e32 v15, v16, v15, vcc
	v_mov_b32_e32 v16, 0x3b800000
	v_lshlrev_b32_e32 v15, 20, v15
	v_lshl_add_u32 v16, v17, 23, v16
	v_or3_b32 v14, v14, v16, v15
	v_cvt_f64_f32_e32 v[14:15], v14
.LBB225_1816:
	s_or_b64 exec, exec, s[10:11]
.LBB225_1817:
	s_mov_b64 s[6:7], -1
	v_mov_b64_e32 v[16:17], 0
.LBB225_1818:
	s_mov_b64 s[10:11], 0
.LBB225_1819:
	s_and_b64 vcc, exec, s[10:11]
	s_cbranch_vccz .LBB225_1832
; %bb.1820:
	s_cmp_gt_i32 s14, 22
	s_cbranch_scc0 .LBB225_1843
; %bb.1821:
	s_cmp_lt_i32 s14, 24
	s_cbranch_scc1 .LBB225_1845
; %bb.1822:
	s_cmp_gt_i32 s14, 24
	s_cbranch_scc0 .LBB225_1847
; %bb.1823:
	global_load_ubyte v16, v[10:11], off
	s_movk_i32 s2, 0x7f
	s_waitcnt vmcnt(0)
	v_cmp_lt_i16_e32 vcc, s2, v16
	s_mov_b64 s[2:3], 0
	s_and_saveexec_b64 s[6:7], vcc
	s_xor_b64 s[6:7], exec, s[6:7]
	s_cbranch_execz .LBB225_1827
; %bb.1824:
	s_movk_i32 s2, 0x80
	v_cmp_eq_u16_e32 vcc, s2, v16
	s_mov_b64 s[2:3], -1
	s_and_saveexec_b64 s[10:11], vcc
; %bb.1825:
	s_xor_b64 s[2:3], exec, -1
; %bb.1826:
	s_or_b64 exec, exec, s[10:11]
	s_and_b64 s[2:3], s[2:3], exec
.LBB225_1827:
	s_or_saveexec_b64 s[6:7], s[6:7]
	v_bfrev_b32_e32 v14, 4
	v_mov_b32_e32 v15, 0x7ff80000
	s_xor_b64 exec, exec, s[6:7]
; %bb.1828:
	v_cmp_ne_u16_e32 vcc, 0, v16
	s_andn2_b64 s[2:3], s[2:3], exec
	s_and_b64 s[10:11], vcc, exec
	v_mov_b64_e32 v[14:15], 0
	s_or_b64 s[2:3], s[2:3], s[10:11]
; %bb.1829:
	s_or_b64 exec, exec, s[6:7]
	s_and_saveexec_b64 s[6:7], s[2:3]
	s_cbranch_execz .LBB225_1831
; %bb.1830:
	v_and_b32_e32 v15, 0xffff, v16
	v_lshlrev_b32_e32 v14, 24, v16
	v_and_b32_e32 v16, 3, v15
	v_ffbh_u32_e32 v18, v16
	v_min_u32_e32 v18, 32, v18
	v_subrev_u32_e32 v19, 29, v18
	v_bfe_u32 v17, v15, 2, 5
	v_lshlrev_b32_e32 v15, v19, v15
	v_sub_u32_e32 v18, 30, v18
	v_and_b32_e32 v15, 3, v15
	v_cmp_eq_u32_e32 vcc, 0, v17
	v_and_b32_e32 v14, 0x80000000, v14
	s_nop 0
	v_cndmask_b32_e32 v17, v17, v18, vcc
	v_cndmask_b32_e32 v15, v16, v15, vcc
	v_mov_b32_e32 v16, 0x37800000
	v_lshlrev_b32_e32 v15, 21, v15
	v_lshl_add_u32 v16, v17, 23, v16
	v_or3_b32 v14, v14, v16, v15
	v_cvt_f64_f32_e32 v[14:15], v14
.LBB225_1831:
	s_or_b64 exec, exec, s[6:7]
	s_mov_b64 s[2:3], 0
	s_branch .LBB225_1848
.LBB225_1832:
	s_and_b64 vcc, exec, s[0:1]
	s_cbranch_vccnz .LBB225_1876
.LBB225_1833:
	s_andn2_b64 vcc, exec, s[2:3]
	s_cbranch_vccnz .LBB225_1835
.LBB225_1834:
	global_load_ubyte v15, v[10:11], off
	v_mov_b32_e32 v16, 0x3ff00000
	v_mov_b32_e32 v14, 0
	s_mov_b64 s[6:7], -1
	s_waitcnt vmcnt(0)
	v_cmp_ne_u16_e32 vcc, 0, v15
	s_nop 1
	v_cndmask_b32_e32 v15, 0, v16, vcc
	v_mov_b64_e32 v[16:17], 0
.LBB225_1835:
	s_mov_b64 s[0:1], 0
.LBB225_1836:
	s_and_b64 vcc, exec, s[0:1]
	s_cbranch_vccz .LBB225_1907
; %bb.1837:
	s_and_b32 s2, 0xffff, s23
	s_cmp_lt_i32 s2, 5
	s_cbranch_scc1 .LBB225_1842
; %bb.1838:
	s_cmp_lt_i32 s2, 8
	s_cbranch_scc1 .LBB225_1844
; %bb.1839:
	;; [unrolled: 3-line block ×3, first 2 shown]
	s_cmp_gt_i32 s2, 9
	s_cbranch_scc0 .LBB225_1859
; %bb.1841:
	global_load_dwordx4 v[14:17], v[10:11], off
	s_mov_b64 s[0:1], 0
	s_branch .LBB225_1860
.LBB225_1842:
	s_mov_b64 s[0:1], -1
                                        ; implicit-def: $vgpr16_vgpr17
	s_branch .LBB225_1885
.LBB225_1843:
	s_mov_b64 s[2:3], -1
                                        ; implicit-def: $vgpr14_vgpr15
	s_branch .LBB225_1854
.LBB225_1844:
	s_mov_b64 s[0:1], -1
                                        ; implicit-def: $vgpr16_vgpr17
	s_branch .LBB225_1866
.LBB225_1845:
	s_mov_b64 s[2:3], -1
                                        ; implicit-def: $vgpr14_vgpr15
	s_branch .LBB225_1851
.LBB225_1846:
	s_mov_b64 s[0:1], -1
                                        ; implicit-def: $vgpr16_vgpr17
	s_branch .LBB225_1863
.LBB225_1847:
	s_mov_b64 s[2:3], -1
                                        ; implicit-def: $vgpr14_vgpr15
.LBB225_1848:
	s_and_b64 vcc, exec, s[2:3]
	s_cbranch_vccz .LBB225_1850
; %bb.1849:
	global_load_ubyte v14, v[10:11], off
	s_mov_b32 s2, 0x7f800000
	s_waitcnt vmcnt(0)
	v_lshlrev_b32_e32 v14, 24, v14
	v_and_b32_e32 v15, 0x7f000000, v14
	v_ffbh_u32_e32 v16, v15
	v_min_u32_e32 v16, 32, v16
	v_sub_u32_e64 v16, v16, 4 clamp
	v_lshlrev_b32_e32 v18, v16, v15
	v_lshlrev_b32_e32 v16, 23, v16
	v_lshrrev_b32_e32 v18, 4, v18
	v_add_u32_e32 v17, 0x1000000, v15
	v_sub_u32_e32 v16, v18, v16
	v_ashrrev_i32_e32 v17, 8, v17
	v_add_u32_e32 v16, 0x3c000000, v16
	v_and_or_b32 v16, v17, s2, v16
	v_cmp_ne_u32_e32 vcc, 0, v15
	s_brev_b32 s2, 1
	s_nop 0
	v_cndmask_b32_e32 v15, 0, v16, vcc
	v_and_or_b32 v14, v14, s2, v15
	v_cvt_f64_f32_e32 v[14:15], v14
.LBB225_1850:
	s_mov_b64 s[2:3], 0
.LBB225_1851:
	s_andn2_b64 vcc, exec, s[2:3]
	s_cbranch_vccnz .LBB225_1853
; %bb.1852:
	global_load_ubyte v14, v[10:11], off
	s_movk_i32 s2, 0x7f00
	s_brev_b32 s3, 16
	s_waitcnt vmcnt(0)
	v_lshlrev_b16_e32 v15, 8, v14
	v_lshlrev_b32_e32 v14, 25, v14
	v_lshrrev_b32_e32 v16, 4, v14
	v_and_or_b32 v17, v15, s2, 0.5
	v_or_b32_e32 v16, 0x70000000, v16
	v_add_f32_e32 v17, -0.5, v17
	v_mul_f32_e32 v16, 0x7800000, v16
	v_cmp_gt_u32_e32 vcc, s3, v14
	v_bfe_i32 v15, v15, 0, 16
	s_brev_b32 s2, 1
	v_cndmask_b32_e32 v14, v16, v17, vcc
	v_and_or_b32 v14, v15, s2, v14
	v_cvt_f64_f32_e32 v[14:15], v14
.LBB225_1853:
	s_mov_b64 s[2:3], 0
	s_mov_b64 s[6:7], -1
.LBB225_1854:
	s_andn2_b64 vcc, exec, s[2:3]
	s_mov_b64 s[2:3], 0
	s_cbranch_vccnz .LBB225_1875
; %bb.1855:
	s_cmp_gt_i32 s14, 14
	s_cbranch_scc0 .LBB225_1858
; %bb.1856:
	s_cmp_eq_u32 s14, 15
	s_cbranch_scc0 .LBB225_1871
; %bb.1857:
	global_load_ushort v14, v[10:11], off
	s_mov_b64 s[0:1], 0
	s_mov_b64 s[6:7], -1
	s_waitcnt vmcnt(0)
	v_lshlrev_b32_e32 v14, 16, v14
	v_cvt_f64_f32_e32 v[14:15], v14
	s_branch .LBB225_1872
.LBB225_1858:
	s_mov_b64 s[10:11], -1
                                        ; implicit-def: $vgpr14_vgpr15
	s_branch .LBB225_1873
.LBB225_1859:
	s_mov_b64 s[0:1], -1
                                        ; implicit-def: $vgpr16_vgpr17
.LBB225_1860:
	s_andn2_b64 vcc, exec, s[0:1]
	s_cbranch_vccnz .LBB225_1862
; %bb.1861:
	global_load_dwordx2 v[16:17], v[10:11], off
	s_waitcnt vmcnt(0)
	v_cvt_f64_f32_e32 v[14:15], v16
	v_cvt_f64_f32_e32 v[16:17], v17
.LBB225_1862:
	s_mov_b64 s[0:1], 0
.LBB225_1863:
	s_andn2_b64 vcc, exec, s[0:1]
	s_cbranch_vccnz .LBB225_1865
; %bb.1864:
	global_load_dword v14, v[10:11], off
	s_waitcnt vmcnt(0)
	v_cvt_f32_f16_e32 v15, v14
	v_cvt_f32_f16_sdwa v16, v14 dst_sel:DWORD dst_unused:UNUSED_PAD src0_sel:WORD_1
	v_cvt_f64_f32_e32 v[14:15], v15
	v_cvt_f64_f32_e32 v[16:17], v16
.LBB225_1865:
	s_mov_b64 s[0:1], 0
.LBB225_1866:
	s_andn2_b64 vcc, exec, s[0:1]
	s_cbranch_vccnz .LBB225_1884
; %bb.1867:
	s_cmp_lt_i32 s2, 6
	s_cbranch_scc1 .LBB225_1870
; %bb.1868:
	s_cmp_gt_i32 s2, 6
	s_cbranch_scc0 .LBB225_1877
; %bb.1869:
	global_load_dwordx2 v[14:15], v[10:11], off
	s_mov_b64 s[0:1], 0
	s_branch .LBB225_1878
.LBB225_1870:
	s_mov_b64 s[0:1], -1
                                        ; implicit-def: $vgpr14_vgpr15
	s_branch .LBB225_1881
.LBB225_1871:
	s_mov_b64 s[0:1], -1
                                        ; implicit-def: $vgpr14_vgpr15
.LBB225_1872:
	s_mov_b64 s[10:11], 0
.LBB225_1873:
	s_and_b64 vcc, exec, s[10:11]
	s_cbranch_vccz .LBB225_1875
; %bb.1874:
	s_cmp_lg_u32 s14, 11
	s_mov_b64 s[2:3], -1
	s_cselect_b64 s[0:1], -1, 0
.LBB225_1875:
	v_mov_b64_e32 v[16:17], 0
	s_and_b64 vcc, exec, s[0:1]
	s_cbranch_vccz .LBB225_1833
.LBB225_1876:
	s_trap 2
	s_or_b64 s[8:9], s[8:9], exec
	s_cbranch_execz .LBB225_1834
	s_branch .LBB225_1835
.LBB225_1877:
	s_mov_b64 s[0:1], -1
                                        ; implicit-def: $vgpr14_vgpr15
.LBB225_1878:
	s_andn2_b64 vcc, exec, s[0:1]
	s_cbranch_vccnz .LBB225_1880
; %bb.1879:
	global_load_dword v14, v[10:11], off
	s_waitcnt vmcnt(0)
	v_cvt_f64_f32_e32 v[14:15], v14
.LBB225_1880:
	s_mov_b64 s[0:1], 0
.LBB225_1881:
	s_andn2_b64 vcc, exec, s[0:1]
	s_cbranch_vccnz .LBB225_1883
; %bb.1882:
	global_load_ushort v14, v[10:11], off
	s_waitcnt vmcnt(0)
	v_cvt_f32_f16_e32 v14, v14
	v_cvt_f64_f32_e32 v[14:15], v14
.LBB225_1883:
	s_waitcnt vmcnt(0)
	v_mov_b64_e32 v[16:17], 0
.LBB225_1884:
	s_mov_b64 s[0:1], 0
.LBB225_1885:
	s_andn2_b64 vcc, exec, s[0:1]
	s_cbranch_vccnz .LBB225_1906
; %bb.1886:
	s_cmp_lt_i32 s2, 2
	s_cbranch_scc1 .LBB225_1890
; %bb.1887:
	s_cmp_lt_i32 s2, 3
	s_cbranch_scc1 .LBB225_1891
; %bb.1888:
	s_cmp_gt_i32 s2, 3
	s_cbranch_scc0 .LBB225_1892
; %bb.1889:
	global_load_dwordx2 v[14:15], v[10:11], off
	s_mov_b64 s[0:1], 0
	s_waitcnt vmcnt(0)
	v_cvt_f64_i32_e32 v[16:17], v15
	v_cvt_f64_u32_e32 v[14:15], v14
	v_ldexp_f64 v[16:17], v[16:17], 32
	v_add_f64 v[14:15], v[16:17], v[14:15]
	s_branch .LBB225_1893
.LBB225_1890:
	s_mov_b64 s[0:1], -1
                                        ; implicit-def: $vgpr14_vgpr15
	s_branch .LBB225_1899
.LBB225_1891:
	s_mov_b64 s[0:1], -1
                                        ; implicit-def: $vgpr14_vgpr15
	s_branch .LBB225_1896
.LBB225_1892:
	s_mov_b64 s[0:1], -1
                                        ; implicit-def: $vgpr14_vgpr15
.LBB225_1893:
	s_andn2_b64 vcc, exec, s[0:1]
	s_cbranch_vccnz .LBB225_1895
; %bb.1894:
	global_load_dword v14, v[10:11], off
	s_waitcnt vmcnt(0)
	v_cvt_f64_i32_e32 v[14:15], v14
.LBB225_1895:
	s_mov_b64 s[0:1], 0
.LBB225_1896:
	s_andn2_b64 vcc, exec, s[0:1]
	s_cbranch_vccnz .LBB225_1898
; %bb.1897:
	global_load_sshort v14, v[10:11], off
	s_waitcnt vmcnt(0)
	v_cvt_f64_i32_e32 v[14:15], v14
.LBB225_1898:
	s_mov_b64 s[0:1], 0
.LBB225_1899:
	s_andn2_b64 vcc, exec, s[0:1]
	s_cbranch_vccnz .LBB225_1905
; %bb.1900:
	s_cmp_gt_i32 s2, 0
	s_cbranch_scc0 .LBB225_1902
; %bb.1901:
	global_load_sbyte v14, v[10:11], off
	s_mov_b64 s[0:1], 0
	s_waitcnt vmcnt(0)
	v_cvt_f64_i32_e32 v[14:15], v14
	s_branch .LBB225_1903
.LBB225_1902:
	s_mov_b64 s[0:1], -1
                                        ; implicit-def: $vgpr14_vgpr15
.LBB225_1903:
	s_andn2_b64 vcc, exec, s[0:1]
	s_cbranch_vccnz .LBB225_1905
; %bb.1904:
	global_load_ubyte v10, v[10:11], off
	s_waitcnt vmcnt(0)
	v_cvt_f64_u32_e32 v[14:15], v10
.LBB225_1905:
	s_waitcnt vmcnt(0)
	v_mov_b64_e32 v[16:17], 0
.LBB225_1906:
	s_mov_b64 s[6:7], -1
.LBB225_1907:
	s_andn2_b64 vcc, exec, s[6:7]
	s_cbranch_vccnz .LBB225_1920
; %bb.1908:
	s_waitcnt vmcnt(0)
	v_cmp_neq_f64_e32 vcc, 0, v[14:15]
	v_cmp_neq_f64_e64 s[0:1], 0, v[16:17]
	v_mov_b64_e32 v[18:19], 0
	s_or_b64 s[0:1], vcc, s[0:1]
	s_and_saveexec_b64 s[6:7], s[0:1]
	s_cbranch_execz .LBB225_1984
; %bb.1909:
	v_mov_b32_e32 v18, 0
	v_mov_b32_e32 v19, 0x7ff00000
	v_cmp_neq_f64_e64 s[0:1], |v[16:17]|, v[18:19]
	s_and_saveexec_b64 s[10:11], s[0:1]
	s_cbranch_execz .LBB225_1983
; %bb.1910:
	v_cmp_o_f64_e32 vcc, v[14:15], v[14:15]
                                        ; implicit-def: $vgpr18_vgpr19
	s_and_saveexec_b64 s[0:1], vcc
	s_xor_b64 s[12:13], exec, s[0:1]
	s_cbranch_execz .LBB225_1980
; %bb.1911:
	s_mov_b32 s0, 0
	s_mov_b32 s1, 0x7ff00000
	v_cmp_neq_f64_e64 s[0:1], |v[14:15]|, s[0:1]
                                        ; implicit-def: $vgpr18_vgpr19
	s_and_saveexec_b64 s[2:3], s[0:1]
	s_xor_b64 s[14:15], exec, s[2:3]
	s_cbranch_execz .LBB225_1973
; %bb.1912:
	v_max_f64 v[10:11], |v[16:17]|, |v[16:17]|
	v_max_f64 v[18:19], |v[14:15]|, |v[14:15]|
	s_mov_b32 s0, 0x99fcef32
	v_max_f64 v[10:11], v[18:19], v[10:11]
	s_mov_b32 s1, 0x7fda8279
	v_cmp_nle_f64_e64 s[0:1], s[0:1], v[10:11]
                                        ; implicit-def: $sgpr16_sgpr17
	s_and_saveexec_b64 s[2:3], s[0:1]
	s_xor_b64 s[2:3], exec, s[2:3]
	s_cbranch_execz .LBB225_1916
; %bb.1913:
	s_mov_b32 s16, 0
	s_mov_b32 s17, 0x200000
	v_cmp_le_f64_e64 s[18:19], |v[14:15]|, s[16:17]
	v_cmp_le_f64_e64 s[16:17], |v[16:17]|, s[16:17]
	s_and_b64 s[20:21], s[18:19], s[16:17]
	s_mov_b64 s[16:17], 0
	s_and_saveexec_b64 s[18:19], s[20:21]
; %bb.1914:
	s_mov_b64 s[16:17], exec
	v_mul_f64 v[14:15], v[14:15], 4.0
	v_mul_f64 v[16:17], v[16:17], 4.0
; %bb.1915:
	s_or_b64 exec, exec, s[18:19]
.LBB225_1916:
	s_andn2_saveexec_b64 s[2:3], s[2:3]
; %bb.1917:
	v_ldexp_f64 v[14:15], v[14:15], -2
	v_ldexp_f64 v[16:17], v[16:17], -2
	s_andn2_b64 s[16:17], s[16:17], exec
; %bb.1918:
	s_or_b64 exec, exec, s[2:3]
	v_max_f64 v[10:11], |v[16:17]|, |v[16:17]|
	v_max_f64 v[18:19], |v[14:15]|, |v[14:15]|
	v_max_f64 v[10:11], v[18:19], v[10:11]
	v_frexp_exp_i32_f64_e32 v21, v[10:11]
	v_sub_u32_e32 v18, 0, v21
	v_ldexp_f64 v[10:11], |v[14:15]|, v18
	v_ldexp_f64 v[18:19], |v[16:17]|, v18
	v_mul_f64 v[18:19], v[18:19], v[18:19]
	v_fmac_f64_e32 v[18:19], v[10:11], v[10:11]
	v_rsq_f64_e32 v[10:11], v[18:19]
	v_cmp_eq_f64_e64 s[2:3], 0, v[18:19]
	s_movk_i32 s18, 0x204
	v_cmp_le_f64_e32 vcc, 0, v[14:15]
	v_mul_f64 v[28:29], v[18:19], v[10:11]
	v_mul_f64 v[10:11], v[10:11], 0.5
	v_fma_f64 v[30:31], -v[10:11], v[28:29], 0.5
	v_fmac_f64_e32 v[28:29], v[28:29], v[30:31]
	v_fmac_f64_e32 v[10:11], v[10:11], v[30:31]
	v_fma_f64 v[30:31], -v[28:29], v[28:29], v[18:19]
	v_fmac_f64_e32 v[28:29], v[30:31], v[10:11]
	v_cndmask_b32_e64 v11, v29, v19, s[2:3]
	v_cndmask_b32_e64 v10, v28, v18, s[2:3]
	v_ldexp_f64 v[10:11], v[10:11], v21
	v_cmp_o_f64_e64 s[2:3], v[16:17], v[16:17]
	v_mov_b32_e32 v18, 0x7ff80000
                                        ; implicit-def: $vgpr28_vgpr29
	s_nop 0
	v_cndmask_b32_e64 v10, 0, v10, s[2:3]
	v_cndmask_b32_e64 v11, v18, v11, s[2:3]
	v_cmp_class_f64_e64 s[2:3], v[14:15], s18
	v_cmp_class_f64_e64 s[18:19], v[16:17], s18
	v_mov_b32_e32 v18, 0x7ff00000
	s_or_b64 s[2:3], s[18:19], s[2:3]
	v_cndmask_b32_e64 v19, v11, v18, s[2:3]
	v_cndmask_b32_e64 v18, v10, 0, s[2:3]
                                        ; implicit-def: $vgpr10_vgpr11
	s_and_saveexec_b64 s[2:3], vcc
	s_xor_b64 s[2:3], exec, s[2:3]
	s_cbranch_execz .LBB225_1966
; %bb.1919:
	v_add_f64 v[10:11], v[14:15], v[18:19]
	s_mov_b32 s18, 0
	v_mul_f64 v[10:11], v[10:11], 0.5
	s_brev_b32 s19, 8
	v_mov_b32_e32 v14, 0x100
	v_cmp_gt_f64_e32 vcc, s[18:19], v[10:11]
	s_nop 1
	v_cndmask_b32_e32 v14, 0, v14, vcc
	v_ldexp_f64 v[10:11], v[10:11], v14
	v_rsq_f64_e32 v[14:15], v[10:11]
	s_nop 0
	v_mul_f64 v[18:19], v[10:11], v[14:15]
	v_mul_f64 v[14:15], v[14:15], 0.5
	v_fma_f64 v[28:29], -v[14:15], v[18:19], 0.5
	v_fmac_f64_e32 v[18:19], v[18:19], v[28:29]
	v_fma_f64 v[30:31], -v[18:19], v[18:19], v[10:11]
	v_fmac_f64_e32 v[14:15], v[14:15], v[28:29]
	v_fmac_f64_e32 v[18:19], v[30:31], v[14:15]
	v_fma_f64 v[28:29], -v[18:19], v[18:19], v[10:11]
	v_fmac_f64_e32 v[18:19], v[28:29], v[14:15]
	v_mov_b32_e32 v14, 0xffffff80
	v_cndmask_b32_e32 v14, 0, v14, vcc
	v_ldexp_f64 v[14:15], v[18:19], v14
	v_mov_b32_e32 v18, 0x260
	v_cmp_class_f64_e32 vcc, v[10:11], v18
	s_nop 1
	v_cndmask_b32_e32 v29, v15, v11, vcc
	v_cndmask_b32_e32 v28, v14, v10, vcc
	v_add_f64 v[10:11], v[28:29], v[28:29]
	v_div_scale_f64 v[14:15], s[18:19], v[10:11], v[10:11], v[16:17]
	v_rcp_f64_e32 v[18:19], v[14:15]
	s_nop 0
	v_fma_f64 v[30:31], -v[14:15], v[18:19], 1.0
	v_fmac_f64_e32 v[18:19], v[18:19], v[30:31]
	v_fma_f64 v[30:31], -v[14:15], v[18:19], 1.0
	v_fmac_f64_e32 v[18:19], v[18:19], v[30:31]
	v_div_scale_f64 v[30:31], vcc, v[16:17], v[10:11], v[16:17]
	v_mul_f64 v[32:33], v[30:31], v[18:19]
	v_fma_f64 v[14:15], -v[14:15], v[32:33], v[30:31]
	s_nop 1
	v_div_fmas_f64 v[14:15], v[14:15], v[18:19], v[32:33]
	v_div_fixup_f64 v[10:11], v[14:15], v[10:11], v[16:17]
                                        ; implicit-def: $vgpr18_vgpr19
                                        ; implicit-def: $vgpr14_vgpr15
	s_andn2_saveexec_b64 s[2:3], s[2:3]
	s_cbranch_execz .LBB225_1968
	s_branch .LBB225_1967
.LBB225_1920:
	s_mov_b64 s[0:1], 0
                                        ; implicit-def: $vgpr0_vgpr1
                                        ; implicit-def: $sgpr14
                                        ; implicit-def: $vgpr16_vgpr17
                                        ; implicit-def: $vgpr18_vgpr19
.LBB225_1921:
	s_mov_b64 s[2:3], 0
.LBB225_1922:
	s_and_b64 s[4:5], s[0:1], exec
	s_and_b64 s[40:41], s[2:3], exec
	s_andn2_b64 s[0:1], s[24:25], exec
	s_and_b64 s[2:3], s[8:9], exec
	s_or_b64 s[24:25], s[0:1], s[2:3]
.LBB225_1923:
	s_or_b64 exec, exec, s[26:27]
	s_and_saveexec_b64 s[0:1], s[24:25]
	s_cbranch_execz .LBB225_1926
; %bb.1924:
	; divergent unreachable
	s_or_b64 exec, exec, s[0:1]
	s_and_saveexec_b64 s[0:1], s[40:41]
	s_xor_b64 s[2:3], exec, s[0:1]
	s_cbranch_execnz .LBB225_1927
.LBB225_1925:
	s_or_b64 exec, exec, s[2:3]
	s_and_saveexec_b64 s[0:1], s[4:5]
	s_cbranch_execnz .LBB225_1928
	s_branch .LBB225_1965
.LBB225_1926:
	s_or_b64 exec, exec, s[0:1]
	s_and_saveexec_b64 s[0:1], s[40:41]
	s_xor_b64 s[2:3], exec, s[0:1]
	s_cbranch_execz .LBB225_1925
.LBB225_1927:
	v_cmp_neq_f64_e32 vcc, 0, v[18:19]
	s_waitcnt vmcnt(0)
	v_cmp_neq_f64_e64 s[0:1], 0, v[16:17]
	s_or_b64 s[0:1], vcc, s[0:1]
	s_nop 0
	v_cndmask_b32_e64 v2, 0, 1, s[0:1]
	global_store_byte v[0:1], v2, off
	s_or_b64 exec, exec, s[2:3]
	s_and_saveexec_b64 s[0:1], s[4:5]
	s_cbranch_execz .LBB225_1965
.LBB225_1928:
	s_sext_i32_i16 s2, s14
	s_cmp_lt_i32 s2, 5
	s_mov_b64 s[0:1], -1
	s_cbranch_scc1 .LBB225_1949
; %bb.1929:
	s_cmp_lt_i32 s2, 8
	s_cbranch_scc1 .LBB225_1939
; %bb.1930:
	s_cmp_lt_i32 s2, 9
	s_cbranch_scc1 .LBB225_1936
; %bb.1931:
	s_cmp_gt_i32 s2, 9
	s_cbranch_scc0 .LBB225_1933
; %bb.1932:
	s_waitcnt vmcnt(0)
	v_mov_b32_e32 v20, v16
	v_mov_b32_e32 v21, v17
	global_store_dwordx4 v[0:1], v[18:21], off
	s_mov_b64 s[0:1], 0
.LBB225_1933:
	s_andn2_b64 vcc, exec, s[0:1]
	s_cbranch_vccnz .LBB225_1935
; %bb.1934:
	s_waitcnt vmcnt(0)
	v_cvt_f32_f64_e32 v2, v[18:19]
	v_cvt_f32_f64_e32 v3, v[16:17]
	global_store_dwordx2 v[0:1], v[2:3], off
.LBB225_1935:
	s_mov_b64 s[0:1], 0
.LBB225_1936:
	s_andn2_b64 vcc, exec, s[0:1]
	s_cbranch_vccnz .LBB225_1938
; %bb.1937:
	s_movk_i32 s0, 0x1ff
	s_waitcnt vmcnt(0)
	v_and_or_b32 v2, v19, s0, v18
	v_cmp_ne_u32_e32 vcc, 0, v2
	v_lshrrev_b32_e32 v3, 8, v19
	s_movk_i32 s1, 0xffe
	v_cndmask_b32_e64 v2, 0, 1, vcc
	v_bfe_u32 v4, v19, 20, 11
	v_and_or_b32 v2, v3, s1, v2
	v_sub_u32_e32 v5, 0x3f1, v4
	v_or_b32_e32 v3, 0x1000, v2
	v_med3_i32 v5, v5, 0, 13
	v_lshrrev_b32_e32 v6, v5, v3
	v_lshlrev_b32_e32 v5, v5, v6
	v_cmp_ne_u32_e32 vcc, v5, v3
	v_add_u32_e32 v4, 0xfffffc10, v4
	v_lshl_or_b32 v5, v4, 12, v2
	v_cndmask_b32_e64 v3, 0, 1, vcc
	v_or_b32_e32 v3, v6, v3
	v_cmp_gt_i32_e32 vcc, 1, v4
	s_movk_i32 s2, 0x40f
	v_lshrrev_b32_e32 v7, 8, v17
	v_cndmask_b32_e32 v3, v5, v3, vcc
	v_and_b32_e32 v5, 7, v3
	v_cmp_lt_i32_e32 vcc, 5, v5
	v_lshrrev_b32_e32 v3, 2, v3
	v_bfe_u32 v8, v17, 20, 11
	v_cndmask_b32_e64 v6, 0, 1, vcc
	v_cmp_eq_u32_e32 vcc, 3, v5
	v_sub_u32_e32 v9, 0x3f1, v8
	v_med3_i32 v9, v9, 0, 13
	v_cndmask_b32_e64 v5, 0, 1, vcc
	v_or_b32_e32 v5, v5, v6
	v_add_u32_e32 v3, v3, v5
	v_mov_b32_e32 v5, 0x7c00
	v_cmp_gt_i32_e32 vcc, 31, v4
	v_mov_b32_e32 v6, 0x7e00
	v_add_u32_e32 v8, 0xfffffc10, v8
	v_cndmask_b32_e32 v3, v5, v3, vcc
	v_cmp_ne_u32_e32 vcc, 0, v2
	s_mov_b32 s3, 0x8000
	s_nop 0
	v_cndmask_b32_e32 v2, v5, v6, vcc
	v_cmp_eq_u32_e32 vcc, s2, v4
	v_and_or_b32 v4, v17, s0, v16
	s_mov_b32 s0, 0xffff
	v_cndmask_b32_e32 v2, v3, v2, vcc
	v_cmp_ne_u32_e32 vcc, 0, v4
	v_and_b32_sdwa v3, v19, s3 dst_sel:DWORD dst_unused:UNUSED_PAD src0_sel:WORD_1 src1_sel:DWORD
	v_bitop3_b32 v2, v3, s0, v2 bitop3:0xc8
	v_cndmask_b32_e64 v4, 0, 1, vcc
	v_and_or_b32 v4, v7, s1, v4
	v_or_b32_e32 v7, 0x1000, v4
	v_lshrrev_b32_e32 v10, v9, v7
	v_lshlrev_b32_e32 v9, v9, v10
	v_cmp_ne_u32_e32 vcc, v9, v7
	v_lshl_or_b32 v9, v8, 12, v4
	s_nop 0
	v_cndmask_b32_e64 v7, 0, 1, vcc
	v_or_b32_e32 v7, v10, v7
	v_cmp_gt_i32_e32 vcc, 1, v8
	s_nop 1
	v_cndmask_b32_e32 v7, v9, v7, vcc
	v_and_b32_e32 v9, 7, v7
	v_cmp_lt_i32_e32 vcc, 5, v9
	v_lshrrev_b32_e32 v7, 2, v7
	s_nop 0
	v_cndmask_b32_e64 v10, 0, 1, vcc
	v_cmp_eq_u32_e32 vcc, 3, v9
	s_nop 1
	v_cndmask_b32_e64 v9, 0, 1, vcc
	v_or_b32_e32 v9, v9, v10
	v_add_u32_e32 v7, v7, v9
	v_cmp_gt_i32_e32 vcc, 31, v8
	s_nop 1
	v_cndmask_b32_e32 v7, v5, v7, vcc
	v_cmp_ne_u32_e32 vcc, 0, v4
	s_nop 1
	v_cndmask_b32_e32 v4, v5, v6, vcc
	v_cmp_eq_u32_e32 vcc, s2, v8
	v_lshrrev_b32_e32 v5, 16, v17
	s_nop 0
	v_cndmask_b32_e32 v4, v7, v4, vcc
	v_and_or_b32 v4, v5, s3, v4
	v_lshl_or_b32 v2, v4, 16, v2
	global_store_dword v[0:1], v2, off
.LBB225_1938:
	s_mov_b64 s[0:1], 0
.LBB225_1939:
	s_andn2_b64 vcc, exec, s[0:1]
	s_cbranch_vccnz .LBB225_1948
; %bb.1940:
	s_sext_i32_i16 s2, s14
	s_cmp_lt_i32 s2, 6
	s_mov_b64 s[0:1], -1
	s_cbranch_scc1 .LBB225_1946
; %bb.1941:
	s_cmp_gt_i32 s2, 6
	s_cbranch_scc0 .LBB225_1943
; %bb.1942:
	s_waitcnt vmcnt(0)
	global_store_dwordx2 v[0:1], v[18:19], off
	s_mov_b64 s[0:1], 0
.LBB225_1943:
	s_andn2_b64 vcc, exec, s[0:1]
	s_cbranch_vccnz .LBB225_1945
; %bb.1944:
	s_waitcnt vmcnt(0)
	v_cvt_f32_f64_e32 v2, v[18:19]
	global_store_dword v[0:1], v2, off
.LBB225_1945:
	s_mov_b64 s[0:1], 0
.LBB225_1946:
	s_andn2_b64 vcc, exec, s[0:1]
	s_cbranch_vccnz .LBB225_1948
; %bb.1947:
	s_movk_i32 s0, 0x1ff
	s_waitcnt vmcnt(0)
	v_and_or_b32 v2, v19, s0, v18
	v_cmp_ne_u32_e32 vcc, 0, v2
	v_lshrrev_b32_e32 v3, 8, v19
	s_movk_i32 s0, 0xffe
	v_cndmask_b32_e64 v2, 0, 1, vcc
	v_bfe_u32 v4, v19, 20, 11
	v_and_or_b32 v2, v3, s0, v2
	v_sub_u32_e32 v5, 0x3f1, v4
	v_or_b32_e32 v3, 0x1000, v2
	v_med3_i32 v5, v5, 0, 13
	v_lshrrev_b32_e32 v6, v5, v3
	v_lshlrev_b32_e32 v5, v5, v6
	v_cmp_ne_u32_e32 vcc, v5, v3
	v_add_u32_e32 v4, 0xfffffc10, v4
	v_lshl_or_b32 v5, v4, 12, v2
	v_cndmask_b32_e64 v3, 0, 1, vcc
	v_or_b32_e32 v3, v6, v3
	v_cmp_gt_i32_e32 vcc, 1, v4
	s_movk_i32 s0, 0x40f
	s_nop 0
	v_cndmask_b32_e32 v3, v5, v3, vcc
	v_and_b32_e32 v5, 7, v3
	v_cmp_lt_i32_e32 vcc, 5, v5
	v_lshrrev_b32_e32 v3, 2, v3
	s_nop 0
	v_cndmask_b32_e64 v6, 0, 1, vcc
	v_cmp_eq_u32_e32 vcc, 3, v5
	s_nop 1
	v_cndmask_b32_e64 v5, 0, 1, vcc
	v_or_b32_e32 v5, v5, v6
	v_add_u32_e32 v3, v3, v5
	v_mov_b32_e32 v5, 0x7c00
	v_cmp_gt_i32_e32 vcc, 31, v4
	v_mov_b32_e32 v6, 0x7e00
	s_nop 0
	v_cndmask_b32_e32 v3, v5, v3, vcc
	v_cmp_ne_u32_e32 vcc, 0, v2
	s_nop 1
	v_cndmask_b32_e32 v2, v5, v6, vcc
	v_cmp_eq_u32_e32 vcc, s0, v4
	s_mov_b32 s0, 0x8000
	s_nop 0
	v_cndmask_b32_e32 v2, v3, v2, vcc
	v_lshrrev_b32_e32 v3, 16, v19
	v_and_or_b32 v2, v3, s0, v2
	global_store_short v[0:1], v2, off
.LBB225_1948:
	s_mov_b64 s[0:1], 0
.LBB225_1949:
	s_andn2_b64 vcc, exec, s[0:1]
	s_cbranch_vccnz .LBB225_1965
; %bb.1950:
	s_sext_i32_i16 s2, s14
	s_cmp_lt_i32 s2, 2
	s_mov_b64 s[0:1], -1
	s_cbranch_scc1 .LBB225_1960
; %bb.1951:
	s_cmp_lt_i32 s2, 3
	s_cbranch_scc1 .LBB225_1957
; %bb.1952:
	s_cmp_gt_i32 s2, 3
	s_cbranch_scc0 .LBB225_1954
; %bb.1953:
	s_waitcnt vmcnt(0)
	v_trunc_f64_e32 v[2:3], v[18:19]
	s_movk_i32 s0, 0xffe0
	v_ldexp_f64 v[4:5], v[2:3], s0
	v_floor_f64_e32 v[4:5], v[4:5]
	v_fmac_f64_e32 v[2:3], 0xc1f00000, v[4:5]
	v_cvt_i32_f64_e32 v7, v[4:5]
	v_cvt_u32_f64_e32 v6, v[2:3]
	global_store_dwordx2 v[0:1], v[6:7], off
	s_mov_b64 s[0:1], 0
.LBB225_1954:
	s_andn2_b64 vcc, exec, s[0:1]
	s_cbranch_vccnz .LBB225_1956
; %bb.1955:
	s_waitcnt vmcnt(0)
	v_cvt_i32_f64_e32 v2, v[18:19]
	global_store_dword v[0:1], v2, off
.LBB225_1956:
	s_mov_b64 s[0:1], 0
.LBB225_1957:
	s_andn2_b64 vcc, exec, s[0:1]
	s_cbranch_vccnz .LBB225_1959
; %bb.1958:
	s_waitcnt vmcnt(0)
	v_cvt_i32_f64_e32 v2, v[18:19]
	global_store_short v[0:1], v2, off
.LBB225_1959:
	s_mov_b64 s[0:1], 0
.LBB225_1960:
	s_andn2_b64 vcc, exec, s[0:1]
	s_cbranch_vccnz .LBB225_1965
; %bb.1961:
	s_sext_i32_i16 s0, s14
	s_cmp_gt_i32 s0, 0
	s_mov_b64 s[0:1], -1
	s_cbranch_scc0 .LBB225_1963
; %bb.1962:
	s_waitcnt vmcnt(0)
	v_cvt_i32_f64_e32 v2, v[18:19]
	global_store_byte v[0:1], v2, off
	s_mov_b64 s[0:1], 0
.LBB225_1963:
	s_andn2_b64 vcc, exec, s[0:1]
	s_cbranch_vccnz .LBB225_1965
; %bb.1964:
	s_waitcnt vmcnt(0)
	v_trunc_f64_e32 v[2:3], v[18:19]
	s_movk_i32 s0, 0xffe0
	v_ldexp_f64 v[4:5], v[2:3], s0
	v_floor_f64_e32 v[4:5], v[4:5]
	v_fmac_f64_e32 v[2:3], 0xc1f00000, v[4:5]
	v_cvt_u32_f64_e32 v2, v[2:3]
	global_store_byte v[0:1], v2, off
	s_endpgm
.LBB225_1965:
	s_endpgm
.LBB225_1966:
	s_andn2_saveexec_b64 s[2:3], s[2:3]
	s_cbranch_execz .LBB225_1968
.LBB225_1967:
	v_add_f64 v[10:11], v[18:19], -v[14:15]
	s_mov_b32 s18, 0
	v_mul_f64 v[10:11], v[10:11], 0.5
	s_brev_b32 s19, 8
	v_mov_b32_e32 v14, 0x100
	v_cmp_gt_f64_e32 vcc, s[18:19], v[10:11]
	s_nop 1
	v_cndmask_b32_e32 v14, 0, v14, vcc
	v_ldexp_f64 v[10:11], v[10:11], v14
	v_rsq_f64_e32 v[14:15], v[10:11]
	s_nop 0
	v_mul_f64 v[18:19], v[10:11], v[14:15]
	v_mul_f64 v[14:15], v[14:15], 0.5
	v_fma_f64 v[28:29], -v[14:15], v[18:19], 0.5
	v_fmac_f64_e32 v[18:19], v[18:19], v[28:29]
	v_fma_f64 v[30:31], -v[18:19], v[18:19], v[10:11]
	v_fmac_f64_e32 v[14:15], v[14:15], v[28:29]
	v_fmac_f64_e32 v[18:19], v[30:31], v[14:15]
	v_fma_f64 v[28:29], -v[18:19], v[18:19], v[10:11]
	v_fmac_f64_e32 v[18:19], v[28:29], v[14:15]
	v_mov_b32_e32 v14, 0xffffff80
	v_cndmask_b32_e32 v14, 0, v14, vcc
	v_ldexp_f64 v[14:15], v[18:19], v14
	v_mov_b32_e32 v18, 0x260
	v_cmp_class_f64_e32 vcc, v[10:11], v18
	v_and_b32_e32 v19, 0x7fffffff, v17
	v_mov_b32_e32 v18, v16
	v_cndmask_b32_e32 v11, v15, v11, vcc
	v_cndmask_b32_e32 v10, v14, v10, vcc
	v_add_f64 v[14:15], v[10:11], v[10:11]
	v_div_scale_f64 v[28:29], s[18:19], v[14:15], v[14:15], v[18:19]
	v_rcp_f64_e32 v[30:31], v[28:29]
	v_div_scale_f64 v[18:19], vcc, v[18:19], v[14:15], v[18:19]
	s_brev_b32 s18, -2
	v_fma_f64 v[32:33], -v[28:29], v[30:31], 1.0
	v_fmac_f64_e32 v[30:31], v[30:31], v[32:33]
	v_fma_f64 v[32:33], -v[28:29], v[30:31], 1.0
	v_fmac_f64_e32 v[30:31], v[30:31], v[32:33]
	v_mul_f64 v[32:33], v[18:19], v[30:31]
	v_fma_f64 v[18:19], -v[28:29], v[32:33], v[18:19]
	v_div_fmas_f64 v[18:19], v[18:19], v[30:31], v[32:33]
	v_div_fixup_f64 v[28:29], v[18:19], v[14:15], |v[16:17]|
	v_bfi_b32 v11, s18, v11, v17
.LBB225_1968:
	s_or_b64 exec, exec, s[2:3]
                                        ; implicit-def: $vgpr16_vgpr17
                                        ; implicit-def: $vgpr18_vgpr19
	s_and_saveexec_b64 s[2:3], s[0:1]
	s_xor_b64 s[0:1], exec, s[2:3]
	s_cbranch_execz .LBB225_1970
; %bb.1969:
	v_mul_f64 v[14:15], v[28:29], 0.5
	v_mul_f64 v[16:17], v[10:11], 0.5
	v_cndmask_b32_e64 v19, v29, v15, s[16:17]
	v_cndmask_b32_e64 v18, v28, v14, s[16:17]
	;; [unrolled: 1-line block ×4, first 2 shown]
                                        ; implicit-def: $vgpr28_vgpr29
                                        ; implicit-def: $vgpr10_vgpr11
	s_andn2_saveexec_b64 s[0:1], s[0:1]
	s_cbranch_execnz .LBB225_1971
	s_branch .LBB225_1972
.LBB225_1970:
	s_andn2_saveexec_b64 s[0:1], s[0:1]
.LBB225_1971:
	v_add_f64 v[18:19], v[28:29], v[28:29]
	v_add_f64 v[16:17], v[10:11], v[10:11]
.LBB225_1972:
	s_or_b64 exec, exec, s[0:1]
.LBB225_1973:
	s_andn2_saveexec_b64 s[0:1], s[14:15]
	s_cbranch_execz .LBB225_1979
; %bb.1974:
	v_add_f64 v[10:11], v[16:17], -v[16:17]
	v_cmp_lt_i64_e32 vcc, -1, v[14:15]
	s_brev_b32 s14, -2
	v_and_b32_e32 v19, 0x7fffffff, v11
	v_mov_b32_e32 v18, v10
	s_and_saveexec_b64 s[2:3], vcc
	s_xor_b64 s[2:3], exec, s[2:3]
; %bb.1975:
	v_bfi_b32 v11, s14, v11, v17
	v_mov_b64_e32 v[16:17], v[10:11]
	v_mov_b64_e32 v[18:19], v[14:15]
; %bb.1976:
	s_andn2_saveexec_b64 s[2:3], s[2:3]
; %bb.1977:
	v_bfi_b32 v15, s14, v15, v17
	v_mov_b64_e32 v[16:17], v[14:15]
; %bb.1978:
	s_or_b64 exec, exec, s[2:3]
.LBB225_1979:
	s_or_b64 exec, exec, s[0:1]
.LBB225_1980:
	s_andn2_saveexec_b64 s[0:1], s[12:13]
	s_cbranch_execz .LBB225_1982
; %bb.1981:
	v_add_f64 v[10:11], v[16:17], -v[16:17]
	v_div_scale_f64 v[16:17], vcc, v[10:11], v[10:11], v[10:11]
	v_rcp_f64_e32 v[18:19], v[16:17]
	s_nop 0
	v_fma_f64 v[28:29], -v[16:17], v[18:19], 1.0
	v_fmac_f64_e32 v[18:19], v[18:19], v[28:29]
	v_fma_f64 v[28:29], -v[16:17], v[18:19], 1.0
	v_fmac_f64_e32 v[18:19], v[18:19], v[28:29]
	v_mul_f64 v[28:29], v[16:17], v[18:19]
	v_fma_f64 v[16:17], -v[16:17], v[28:29], v[16:17]
	v_div_fmas_f64 v[16:17], v[16:17], v[18:19], v[28:29]
	v_div_fixup_f64 v[16:17], v[16:17], v[10:11], v[10:11]
	v_mov_b64_e32 v[18:19], v[14:15]
.LBB225_1982:
	s_or_b64 exec, exec, s[0:1]
.LBB225_1983:
	s_or_b64 exec, exec, s[10:11]
.LBB225_1984:
	s_or_b64 exec, exec, s[6:7]
	s_bfe_u32 s14, s22, 0x80008
	v_mov_b32_e32 v27, 0
	s_cmp_lt_i32 s14, 11
	v_lshl_add_u64 v[14:15], s[4:5], 0, v[26:27]
	s_cbranch_scc1 .LBB225_2062
; %bb.1985:
	s_and_b32 s15, 0xffff, s14
	s_mov_b64 s[10:11], -1
	s_mov_b64 s[2:3], 0
	s_cmp_gt_i32 s15, 25
	s_mov_b64 s[6:7], 0
	s_mov_b64 s[0:1], 0
	s_cbranch_scc0 .LBB225_2018
; %bb.1986:
	s_cmp_gt_i32 s15, 28
	s_cbranch_scc0 .LBB225_2001
; %bb.1987:
	s_cmp_gt_i32 s15, 43
	;; [unrolled: 3-line block ×3, first 2 shown]
	s_cbranch_scc0 .LBB225_1991
; %bb.1989:
	s_mov_b64 s[0:1], -1
	s_mov_b64 s[10:11], 0
	s_cmp_eq_u32 s15, 46
	s_cbranch_scc0 .LBB225_1991
; %bb.1990:
	v_cvt_f32_f64_e32 v11, v[2:3]
	s_movk_i32 s0, 0x7fff
	v_bfe_u32 v23, v11, 16, 1
	v_cvt_f32_f64_e32 v10, v[8:9]
	v_add3_u32 v23, v11, v23, s0
	v_bfe_u32 v21, v10, 16, 1
	v_and_b32_e32 v23, 0xffff0000, v23
	v_mov_b32_e32 v25, 0x7fc00000
	v_cmp_o_f32_e32 vcc, v11, v11
	v_add3_u32 v21, v10, v21, s0
	s_mov_b64 s[0:1], 0
	v_cndmask_b32_e32 v11, v25, v23, vcc
	v_cmp_o_f32_e32 vcc, v10, v10
	v_mov_b32_e32 v10, 0x7fc0
	s_mov_b64 s[6:7], -1
	v_cndmask_b32_sdwa v10, v10, v21, vcc dst_sel:DWORD dst_unused:UNUSED_PAD src0_sel:DWORD src1_sel:WORD_1
	v_or_b32_e32 v10, v11, v10
	global_store_dword v[14:15], v10, off
.LBB225_1991:
	s_and_b64 vcc, exec, s[10:11]
	s_cbranch_vccz .LBB225_1996
; %bb.1992:
	s_cmp_eq_u32 s15, 44
	s_mov_b64 s[0:1], -1
	s_cbranch_scc0 .LBB225_1996
; %bb.1993:
	v_cvt_f32_f64_e32 v10, v[8:9]
	v_bfe_u32 v11, v10, 23, 8
	s_movk_i32 s0, 0xff
	v_cmp_ne_u32_e32 vcc, s0, v11
	v_mov_b32_e32 v21, 0xff
	s_and_saveexec_b64 s[6:7], vcc
; %bb.1994:
	s_mov_b32 s0, 0x3fffff
	v_lshrrev_b32_e32 v21, 23, v10
	v_and_b32_e32 v23, 0x400000, v10
	v_and_or_b32 v10, v10, s0, v11
	v_cmp_ne_u32_e32 vcc, 0, v23
	v_cmp_ne_u32_e64 s[0:1], 0, v10
	s_and_b64 s[0:1], vcc, s[0:1]
	s_nop 0
	v_cndmask_b32_e64 v10, 0, 1, s[0:1]
	v_add_u32_e32 v21, v21, v10
; %bb.1995:
	s_or_b64 exec, exec, s[6:7]
	s_mov_b64 s[0:1], 0
	s_mov_b64 s[6:7], -1
	global_store_byte v[14:15], v21, off
.LBB225_1996:
	s_mov_b64 s[10:11], 0
.LBB225_1997:
	s_and_b64 vcc, exec, s[10:11]
	s_cbranch_vccz .LBB225_2000
; %bb.1998:
	s_cmp_eq_u32 s15, 29
	s_mov_b64 s[0:1], -1
	s_cbranch_scc0 .LBB225_2000
; %bb.1999:
	v_trunc_f64_e32 v[10:11], v[8:9]
	s_movk_i32 s0, 0xffe0
	v_ldexp_f64 v[26:27], v[10:11], s0
	v_floor_f64_e32 v[26:27], v[26:27]
	v_fmac_f64_e32 v[10:11], 0xc1f00000, v[26:27]
	v_cvt_u32_f64_e32 v29, v[26:27]
	v_cvt_u32_f64_e32 v28, v[10:11]
	global_store_dwordx2 v[14:15], v[28:29], off
	s_mov_b64 s[0:1], 0
	s_mov_b64 s[6:7], -1
.LBB225_2000:
	s_mov_b64 s[10:11], 0
.LBB225_2001:
	s_and_b64 vcc, exec, s[10:11]
	s_cbranch_vccz .LBB225_2017
; %bb.2002:
	s_cmp_lt_i32 s15, 27
	s_mov_b64 s[6:7], -1
	s_cbranch_scc1 .LBB225_2008
; %bb.2003:
	s_cmp_gt_i32 s15, 27
	v_cvt_u32_f64_e32 v10, v[8:9]
	s_cbranch_scc0 .LBB225_2005
; %bb.2004:
	s_mov_b64 s[6:7], 0
	global_store_dword v[14:15], v10, off
.LBB225_2005:
	s_andn2_b64 vcc, exec, s[6:7]
	s_cbranch_vccnz .LBB225_2007
; %bb.2006:
	global_store_short v[14:15], v10, off
.LBB225_2007:
	s_mov_b64 s[6:7], 0
.LBB225_2008:
	s_andn2_b64 vcc, exec, s[6:7]
	s_cbranch_vccnz .LBB225_2016
; %bb.2009:
	v_cvt_f32_f64_e32 v10, v[8:9]
	v_and_b32_e32 v11, 0x7fffffff, v10
	s_mov_b32 s6, 0x43800000
	v_cmp_gt_u32_e32 vcc, s6, v11
	v_mov_b32_e32 v21, 0x80
	s_and_saveexec_b64 s[6:7], vcc
	s_cbranch_execz .LBB225_2015
; %bb.2010:
	s_mov_b32 s10, 0x3bffffff
	v_cmp_lt_u32_e32 vcc, s10, v11
	s_mov_b64 s[10:11], 0
                                        ; implicit-def: $vgpr11
	s_and_saveexec_b64 s[12:13], vcc
	s_xor_b64 s[12:13], exec, s[12:13]
	s_cbranch_execz .LBB225_2419
; %bb.2011:
	v_bfe_u32 v11, v10, 20, 1
	s_mov_b32 s16, 0x487ffff
	v_add3_u32 v11, v10, v11, s16
	s_mov_b64 s[10:11], exec
	v_lshrrev_b32_e32 v11, 20, v11
	s_andn2_saveexec_b64 s[12:13], s[12:13]
	s_cbranch_execnz .LBB225_2420
.LBB225_2012:
	s_or_b64 exec, exec, s[12:13]
	v_mov_b32_e32 v21, 0
	s_and_saveexec_b64 s[12:13], s[10:11]
.LBB225_2013:
	v_lshrrev_b32_e32 v10, 24, v10
	s_movk_i32 s10, 0x80
	v_and_or_b32 v21, v10, s10, v11
.LBB225_2014:
	s_or_b64 exec, exec, s[12:13]
.LBB225_2015:
	s_or_b64 exec, exec, s[6:7]
	global_store_byte v[14:15], v21, off
.LBB225_2016:
	s_mov_b64 s[6:7], -1
.LBB225_2017:
	s_mov_b64 s[10:11], 0
.LBB225_2018:
	s_and_b64 vcc, exec, s[10:11]
	s_cbranch_vccz .LBB225_2058
; %bb.2019:
	s_cmp_gt_i32 s15, 22
	s_mov_b64 s[2:3], -1
	s_cbranch_scc0 .LBB225_2051
; %bb.2020:
	s_cmp_lt_i32 s15, 24
	s_cbranch_scc1 .LBB225_2040
; %bb.2021:
	s_cmp_gt_i32 s15, 24
	s_cbranch_scc0 .LBB225_2029
; %bb.2022:
	v_cvt_f32_f64_e32 v10, v[8:9]
	v_and_b32_e32 v11, 0x7fffffff, v10
	s_mov_b32 s2, 0x47800000
	v_cmp_gt_u32_e32 vcc, s2, v11
	v_mov_b32_e32 v21, 0x80
	s_and_saveexec_b64 s[2:3], vcc
	s_cbranch_execz .LBB225_2028
; %bb.2023:
	s_mov_b32 s6, 0x37ffffff
	v_cmp_lt_u32_e32 vcc, s6, v11
	s_mov_b64 s[6:7], 0
                                        ; implicit-def: $vgpr11
	s_and_saveexec_b64 s[10:11], vcc
	s_xor_b64 s[10:11], exec, s[10:11]
	s_cbranch_execz .LBB225_2422
; %bb.2024:
	v_bfe_u32 v11, v10, 21, 1
	s_mov_b32 s12, 0x88fffff
	v_add3_u32 v11, v10, v11, s12
	s_mov_b64 s[6:7], exec
	v_lshrrev_b32_e32 v11, 21, v11
	s_andn2_saveexec_b64 s[10:11], s[10:11]
	s_cbranch_execnz .LBB225_2423
.LBB225_2025:
	s_or_b64 exec, exec, s[10:11]
	v_mov_b32_e32 v21, 0
	s_and_saveexec_b64 s[10:11], s[6:7]
.LBB225_2026:
	v_lshrrev_b32_e32 v10, 24, v10
	s_movk_i32 s6, 0x80
	v_and_or_b32 v21, v10, s6, v11
.LBB225_2027:
	s_or_b64 exec, exec, s[10:11]
.LBB225_2028:
	s_or_b64 exec, exec, s[2:3]
	s_mov_b64 s[2:3], 0
	global_store_byte v[14:15], v21, off
.LBB225_2029:
	s_and_b64 vcc, exec, s[2:3]
	s_cbranch_vccz .LBB225_2039
; %bb.2030:
	v_cvt_f32_f64_e32 v10, v[8:9]
	v_and_b32_e32 v21, 0x7fffffff, v10
	s_mov_b32 s2, 0x43f00000
	v_cmp_gt_u32_e32 vcc, s2, v21
                                        ; implicit-def: $vgpr11
	s_and_saveexec_b64 s[2:3], vcc
	s_xor_b64 s[2:3], exec, s[2:3]
	s_cbranch_execz .LBB225_2036
; %bb.2031:
	s_mov_b32 s6, 0x3c7fffff
	v_cmp_lt_u32_e32 vcc, s6, v21
                                        ; implicit-def: $vgpr11
	s_and_saveexec_b64 s[6:7], vcc
	s_xor_b64 s[6:7], exec, s[6:7]
; %bb.2032:
	v_bfe_u32 v11, v10, 20, 1
	s_mov_b32 s10, 0x407ffff
	v_add3_u32 v11, v10, v11, s10
	v_lshrrev_b32_e32 v21, 20, v11
	v_and_b32_e32 v11, 0xff00000, v11
	s_mov_b32 s10, 0x7f00000
	v_mov_b32_e32 v23, 0x7e
	v_cmp_ne_u32_e32 vcc, s10, v11
	s_nop 1
	v_cndmask_b32_e32 v11, v23, v21, vcc
; %bb.2033:
	s_andn2_saveexec_b64 s[6:7], s[6:7]
; %bb.2034:
	s_mov_b32 s10, 0x46800000
	v_add_f32_e64 v11, |v10|, s10
; %bb.2035:
	s_or_b64 exec, exec, s[6:7]
                                        ; implicit-def: $vgpr21
.LBB225_2036:
	s_andn2_saveexec_b64 s[2:3], s[2:3]
; %bb.2037:
	s_mov_b32 s6, 0x7f800000
	v_mov_b32_e32 v11, 0x7e
	v_mov_b32_e32 v23, 0x7f
	v_cmp_lt_u32_e32 vcc, s6, v21
	s_nop 1
	v_cndmask_b32_e32 v11, v11, v23, vcc
; %bb.2038:
	s_or_b64 exec, exec, s[2:3]
	v_lshrrev_b32_e32 v10, 24, v10
	s_movk_i32 s2, 0x80
	v_and_or_b32 v10, v10, s2, v11
	global_store_byte v[14:15], v10, off
.LBB225_2039:
	s_mov_b64 s[2:3], 0
.LBB225_2040:
	s_andn2_b64 vcc, exec, s[2:3]
	s_cbranch_vccnz .LBB225_2050
; %bb.2041:
	v_cvt_f32_f64_e32 v10, v[8:9]
	v_and_b32_e32 v21, 0x7fffffff, v10
	s_mov_b32 s2, 0x47800000
	v_cmp_gt_u32_e32 vcc, s2, v21
                                        ; implicit-def: $vgpr11
	s_and_saveexec_b64 s[2:3], vcc
	s_xor_b64 s[2:3], exec, s[2:3]
	s_cbranch_execz .LBB225_2047
; %bb.2042:
	s_mov_b32 s6, 0x387fffff
	v_cmp_lt_u32_e32 vcc, s6, v21
                                        ; implicit-def: $vgpr11
	s_and_saveexec_b64 s[6:7], vcc
	s_xor_b64 s[6:7], exec, s[6:7]
; %bb.2043:
	v_bfe_u32 v11, v10, 21, 1
	s_mov_b32 s10, 0x80fffff
	v_add3_u32 v11, v10, v11, s10
	v_lshrrev_b32_e32 v11, 21, v11
; %bb.2044:
	s_andn2_saveexec_b64 s[6:7], s[6:7]
; %bb.2045:
	s_mov_b32 s10, 0x43000000
	v_add_f32_e64 v11, |v10|, s10
; %bb.2046:
	s_or_b64 exec, exec, s[6:7]
                                        ; implicit-def: $vgpr21
.LBB225_2047:
	s_andn2_saveexec_b64 s[2:3], s[2:3]
; %bb.2048:
	s_mov_b32 s6, 0x7f800000
	v_mov_b32_e32 v11, 0x7c
	v_mov_b32_e32 v23, 0x7f
	v_cmp_lt_u32_e32 vcc, s6, v21
	s_nop 1
	v_cndmask_b32_e32 v11, v11, v23, vcc
; %bb.2049:
	s_or_b64 exec, exec, s[2:3]
	v_lshrrev_b32_e32 v10, 24, v10
	s_movk_i32 s2, 0x80
	v_and_or_b32 v10, v10, s2, v11
	global_store_byte v[14:15], v10, off
.LBB225_2050:
	s_mov_b64 s[2:3], 0
	s_mov_b64 s[6:7], -1
.LBB225_2051:
	s_andn2_b64 vcc, exec, s[2:3]
	s_mov_b64 s[2:3], 0
	s_cbranch_vccnz .LBB225_2058
; %bb.2052:
	s_cmp_gt_i32 s15, 14
	s_mov_b64 s[10:11], -1
	s_cbranch_scc0 .LBB225_2056
; %bb.2053:
	s_cmp_eq_u32 s15, 15
	s_mov_b64 s[0:1], -1
	s_cbranch_scc0 .LBB225_2055
; %bb.2054:
	v_cvt_f32_f64_e32 v10, v[8:9]
	v_bfe_u32 v11, v10, 16, 1
	s_movk_i32 s0, 0x7fff
	v_add3_u32 v11, v10, v11, s0
	v_cmp_o_f32_e32 vcc, v10, v10
	v_mov_b32_e32 v10, 0x7fc0
	s_mov_b64 s[0:1], 0
	v_cndmask_b32_sdwa v10, v10, v11, vcc dst_sel:DWORD dst_unused:UNUSED_PAD src0_sel:DWORD src1_sel:WORD_1
	global_store_short v[14:15], v10, off
	s_mov_b64 s[6:7], -1
.LBB225_2055:
	s_mov_b64 s[10:11], 0
.LBB225_2056:
	s_and_b64 vcc, exec, s[10:11]
	s_cbranch_vccz .LBB225_2058
; %bb.2057:
	s_cmp_lg_u32 s15, 11
	s_mov_b64 s[2:3], -1
	s_cselect_b64 s[0:1], -1, 0
.LBB225_2058:
	s_and_b64 vcc, exec, s[0:1]
	s_cbranch_vccnz .LBB225_2421
; %bb.2059:
	s_andn2_b64 vcc, exec, s[2:3]
	s_cbranch_vccnz .LBB225_2061
.LBB225_2060:
	v_cmp_neq_f64_e32 vcc, 0, v[8:9]
	v_cmp_neq_f64_e64 s[0:1], 0, v[2:3]
	s_or_b64 s[0:1], vcc, s[0:1]
	s_mov_b64 s[6:7], -1
	v_cndmask_b32_e64 v10, 0, 1, s[0:1]
	global_store_byte v[14:15], v10, off
.LBB225_2061:
	s_mov_b64 s[0:1], 0
	s_branch .LBB225_2063
.LBB225_2062:
	s_mov_b64 s[0:1], -1
	s_mov_b64 s[6:7], 0
.LBB225_2063:
	s_and_b64 vcc, exec, s[0:1]
	s_cbranch_vccz .LBB225_2102
; %bb.2064:
	s_and_b32 s2, 0xffff, s14
	s_cmp_lt_i32 s2, 5
	s_mov_b64 s[0:1], -1
	s_cbranch_scc1 .LBB225_2085
; %bb.2065:
	s_cmp_lt_i32 s2, 8
	s_cbranch_scc1 .LBB225_2075
; %bb.2066:
	s_cmp_lt_i32 s2, 9
	s_cbranch_scc1 .LBB225_2072
; %bb.2067:
	s_cmp_gt_i32 s2, 9
	s_cbranch_scc0 .LBB225_2069
; %bb.2068:
	v_mov_b32_e32 v10, v2
	v_mov_b32_e32 v11, v3
	global_store_dwordx4 v[14:15], v[8:11], off
	s_mov_b64 s[0:1], 0
.LBB225_2069:
	s_andn2_b64 vcc, exec, s[0:1]
	s_cbranch_vccnz .LBB225_2071
; %bb.2070:
	v_cvt_f32_f64_e32 v10, v[8:9]
	v_cvt_f32_f64_e32 v11, v[2:3]
	global_store_dwordx2 v[14:15], v[10:11], off
.LBB225_2071:
	s_mov_b64 s[0:1], 0
.LBB225_2072:
	s_andn2_b64 vcc, exec, s[0:1]
	s_cbranch_vccnz .LBB225_2074
; %bb.2073:
	s_movk_i32 s0, 0x1ff
	v_and_or_b32 v10, v9, s0, v8
	v_cmp_ne_u32_e32 vcc, 0, v10
	v_lshrrev_b32_e32 v11, 8, v9
	s_movk_i32 s1, 0xffe
	v_cndmask_b32_e64 v10, 0, 1, vcc
	v_bfe_u32 v21, v9, 20, 11
	v_and_or_b32 v10, v11, s1, v10
	v_sub_u32_e32 v23, 0x3f1, v21
	v_or_b32_e32 v11, 0x1000, v10
	v_med3_i32 v23, v23, 0, 13
	v_lshrrev_b32_e32 v25, v23, v11
	v_lshlrev_b32_e32 v23, v23, v25
	v_cmp_ne_u32_e32 vcc, v23, v11
	v_add_u32_e32 v21, 0xfffffc10, v21
	v_lshl_or_b32 v23, v21, 12, v10
	v_cndmask_b32_e64 v11, 0, 1, vcc
	v_or_b32_e32 v11, v25, v11
	v_cmp_gt_i32_e32 vcc, 1, v21
	s_movk_i32 s3, 0x40f
	v_and_or_b32 v2, v3, s0, v2
	v_cndmask_b32_e32 v11, v23, v11, vcc
	v_and_b32_e32 v23, 7, v11
	v_cmp_lt_i32_e32 vcc, 5, v23
	v_lshrrev_b32_e32 v11, 2, v11
	v_bfe_u32 v26, v3, 20, 11
	v_cndmask_b32_e64 v25, 0, 1, vcc
	v_cmp_eq_u32_e32 vcc, 3, v23
	v_sub_u32_e32 v27, 0x3f1, v26
	v_med3_i32 v27, v27, 0, 13
	v_cndmask_b32_e64 v23, 0, 1, vcc
	v_or_b32_e32 v23, v23, v25
	v_add_u32_e32 v11, v11, v23
	v_mov_b32_e32 v23, 0x7c00
	v_cmp_gt_i32_e32 vcc, 31, v21
	v_mov_b32_e32 v25, 0x7e00
	v_add_u32_e32 v26, 0xfffffc10, v26
	v_cndmask_b32_e32 v11, v23, v11, vcc
	v_cmp_ne_u32_e32 vcc, 0, v10
	s_mov_b32 s6, 0x8000
	s_mov_b32 s0, 0xffff
	v_cndmask_b32_e32 v10, v23, v25, vcc
	v_cmp_eq_u32_e32 vcc, s3, v21
	v_lshrrev_b32_e32 v21, 8, v3
	v_lshrrev_b32_e32 v3, 16, v3
	v_cndmask_b32_e32 v10, v11, v10, vcc
	v_cmp_ne_u32_e32 vcc, 0, v2
	v_and_b32_sdwa v11, v9, s6 dst_sel:DWORD dst_unused:UNUSED_PAD src0_sel:WORD_1 src1_sel:DWORD
	s_nop 0
	v_cndmask_b32_e64 v2, 0, 1, vcc
	v_and_or_b32 v2, v21, s1, v2
	v_or_b32_e32 v21, 0x1000, v2
	v_lshrrev_b32_e32 v28, v27, v21
	v_lshlrev_b32_e32 v27, v27, v28
	v_cmp_ne_u32_e32 vcc, v27, v21
	v_lshl_or_b32 v27, v26, 12, v2
	s_nop 0
	v_cndmask_b32_e64 v21, 0, 1, vcc
	v_or_b32_e32 v21, v28, v21
	v_cmp_gt_i32_e32 vcc, 1, v26
	s_nop 1
	v_cndmask_b32_e32 v21, v27, v21, vcc
	v_and_b32_e32 v27, 7, v21
	v_cmp_lt_i32_e32 vcc, 5, v27
	v_lshrrev_b32_e32 v21, 2, v21
	s_nop 0
	v_cndmask_b32_e64 v28, 0, 1, vcc
	v_cmp_eq_u32_e32 vcc, 3, v27
	s_nop 1
	v_cndmask_b32_e64 v27, 0, 1, vcc
	v_or_b32_e32 v27, v27, v28
	v_add_u32_e32 v21, v21, v27
	v_cmp_gt_i32_e32 vcc, 31, v26
	s_nop 1
	v_cndmask_b32_e32 v21, v23, v21, vcc
	v_cmp_ne_u32_e32 vcc, 0, v2
	s_nop 1
	v_cndmask_b32_e32 v2, v23, v25, vcc
	v_cmp_eq_u32_e32 vcc, s3, v26
	s_nop 1
	v_cndmask_b32_e32 v2, v21, v2, vcc
	v_and_or_b32 v2, v3, s6, v2
	v_bitop3_b32 v3, v11, s0, v10 bitop3:0xc8
	v_lshl_or_b32 v2, v2, 16, v3
	global_store_dword v[14:15], v2, off
.LBB225_2074:
	s_mov_b64 s[0:1], 0
.LBB225_2075:
	s_andn2_b64 vcc, exec, s[0:1]
	s_cbranch_vccnz .LBB225_2084
; %bb.2076:
	s_cmp_lt_i32 s2, 6
	s_mov_b64 s[0:1], -1
	s_cbranch_scc1 .LBB225_2082
; %bb.2077:
	s_cmp_gt_i32 s2, 6
	s_cbranch_scc0 .LBB225_2079
; %bb.2078:
	global_store_dwordx2 v[14:15], v[8:9], off
	s_mov_b64 s[0:1], 0
.LBB225_2079:
	s_andn2_b64 vcc, exec, s[0:1]
	s_cbranch_vccnz .LBB225_2081
; %bb.2080:
	v_cvt_f32_f64_e32 v2, v[8:9]
	global_store_dword v[14:15], v2, off
.LBB225_2081:
	s_mov_b64 s[0:1], 0
.LBB225_2082:
	s_andn2_b64 vcc, exec, s[0:1]
	s_cbranch_vccnz .LBB225_2084
; %bb.2083:
	s_movk_i32 s0, 0x1ff
	v_and_or_b32 v2, v9, s0, v8
	v_cmp_ne_u32_e32 vcc, 0, v2
	v_lshrrev_b32_e32 v3, 8, v9
	s_movk_i32 s0, 0xffe
	v_cndmask_b32_e64 v2, 0, 1, vcc
	v_bfe_u32 v10, v9, 20, 11
	v_and_or_b32 v2, v3, s0, v2
	v_sub_u32_e32 v11, 0x3f1, v10
	v_or_b32_e32 v3, 0x1000, v2
	v_med3_i32 v11, v11, 0, 13
	v_lshrrev_b32_e32 v21, v11, v3
	v_lshlrev_b32_e32 v11, v11, v21
	v_cmp_ne_u32_e32 vcc, v11, v3
	v_add_u32_e32 v10, 0xfffffc10, v10
	v_lshl_or_b32 v11, v10, 12, v2
	v_cndmask_b32_e64 v3, 0, 1, vcc
	v_or_b32_e32 v3, v21, v3
	v_cmp_gt_i32_e32 vcc, 1, v10
	s_movk_i32 s0, 0x40f
	s_nop 0
	v_cndmask_b32_e32 v3, v11, v3, vcc
	v_and_b32_e32 v11, 7, v3
	v_cmp_lt_i32_e32 vcc, 5, v11
	v_lshrrev_b32_e32 v3, 2, v3
	s_nop 0
	v_cndmask_b32_e64 v21, 0, 1, vcc
	v_cmp_eq_u32_e32 vcc, 3, v11
	s_nop 1
	v_cndmask_b32_e64 v11, 0, 1, vcc
	v_or_b32_e32 v11, v11, v21
	v_add_u32_e32 v3, v3, v11
	v_mov_b32_e32 v11, 0x7c00
	v_cmp_gt_i32_e32 vcc, 31, v10
	v_mov_b32_e32 v21, 0x7e00
	s_nop 0
	v_cndmask_b32_e32 v3, v11, v3, vcc
	v_cmp_ne_u32_e32 vcc, 0, v2
	s_nop 1
	v_cndmask_b32_e32 v2, v11, v21, vcc
	v_cmp_eq_u32_e32 vcc, s0, v10
	s_mov_b32 s0, 0x8000
	s_nop 0
	v_cndmask_b32_e32 v2, v3, v2, vcc
	v_lshrrev_b32_e32 v3, 16, v9
	v_and_or_b32 v2, v3, s0, v2
	global_store_short v[14:15], v2, off
.LBB225_2084:
	s_mov_b64 s[0:1], 0
.LBB225_2085:
	s_andn2_b64 vcc, exec, s[0:1]
	s_cbranch_vccnz .LBB225_2101
; %bb.2086:
	s_cmp_lt_i32 s2, 2
	s_mov_b64 s[0:1], -1
	s_cbranch_scc1 .LBB225_2096
; %bb.2087:
	s_cmp_lt_i32 s2, 3
	s_cbranch_scc1 .LBB225_2093
; %bb.2088:
	s_cmp_gt_i32 s2, 3
	s_cbranch_scc0 .LBB225_2090
; %bb.2089:
	v_trunc_f64_e32 v[2:3], v[8:9]
	s_movk_i32 s0, 0xffe0
	v_ldexp_f64 v[10:11], v[2:3], s0
	v_floor_f64_e32 v[10:11], v[10:11]
	v_fmac_f64_e32 v[2:3], 0xc1f00000, v[10:11]
	v_cvt_i32_f64_e32 v27, v[10:11]
	v_cvt_u32_f64_e32 v26, v[2:3]
	global_store_dwordx2 v[14:15], v[26:27], off
	s_mov_b64 s[0:1], 0
.LBB225_2090:
	s_andn2_b64 vcc, exec, s[0:1]
	s_cbranch_vccnz .LBB225_2092
; %bb.2091:
	v_cvt_i32_f64_e32 v2, v[8:9]
	global_store_dword v[14:15], v2, off
.LBB225_2092:
	s_mov_b64 s[0:1], 0
.LBB225_2093:
	s_andn2_b64 vcc, exec, s[0:1]
	s_cbranch_vccnz .LBB225_2095
; %bb.2094:
	v_cvt_i32_f64_e32 v2, v[8:9]
	global_store_short v[14:15], v2, off
.LBB225_2095:
	s_mov_b64 s[0:1], 0
.LBB225_2096:
	s_andn2_b64 vcc, exec, s[0:1]
	s_cbranch_vccnz .LBB225_2101
; %bb.2097:
	s_cmp_gt_i32 s2, 0
	s_mov_b64 s[0:1], -1
	s_cbranch_scc0 .LBB225_2099
; %bb.2098:
	v_cvt_i32_f64_e32 v2, v[8:9]
	global_store_byte v[14:15], v2, off
	s_mov_b64 s[0:1], 0
.LBB225_2099:
	s_andn2_b64 vcc, exec, s[0:1]
	s_cbranch_vccnz .LBB225_2101
; %bb.2100:
	v_trunc_f64_e32 v[2:3], v[8:9]
	s_movk_i32 s0, 0xffe0
	v_ldexp_f64 v[8:9], v[2:3], s0
	v_floor_f64_e32 v[8:9], v[8:9]
	v_fmac_f64_e32 v[2:3], 0xc1f00000, v[8:9]
	v_cvt_u32_f64_e32 v2, v[2:3]
	global_store_byte v[14:15], v2, off
.LBB225_2101:
	s_mov_b64 s[6:7], -1
.LBB225_2102:
	s_andn2_b64 vcc, exec, s[6:7]
	s_cbranch_vccnz .LBB225_2417
; %bb.2103:
	s_lshr_b32 s0, s22, 8
	s_and_b32 s14, s0, 0xff
	v_mov_b32_e32 v25, 0
	s_cmp_lt_i32 s14, 11
	v_lshl_add_u64 v[8:9], s[4:5], 0, v[24:25]
	s_cbranch_scc1 .LBB225_2181
; %bb.2104:
	s_and_b32 s15, 0xffff, s14
	s_mov_b64 s[10:11], -1
	s_mov_b64 s[2:3], 0
	s_cmp_gt_i32 s15, 25
	s_mov_b64 s[6:7], 0
	s_mov_b64 s[0:1], 0
	s_cbranch_scc0 .LBB225_2137
; %bb.2105:
	s_cmp_gt_i32 s15, 28
	s_cbranch_scc0 .LBB225_2120
; %bb.2106:
	s_cmp_gt_i32 s15, 43
	;; [unrolled: 3-line block ×3, first 2 shown]
	s_cbranch_scc0 .LBB225_2110
; %bb.2108:
	s_mov_b64 s[0:1], -1
	s_mov_b64 s[10:11], 0
	s_cmp_eq_u32 s15, 46
	s_cbranch_scc0 .LBB225_2110
; %bb.2109:
	v_cvt_f32_f64_e32 v3, v[6:7]
	s_movk_i32 s0, 0x7fff
	v_bfe_u32 v11, v3, 16, 1
	v_cvt_f32_f64_e32 v2, v[0:1]
	v_add3_u32 v11, v3, v11, s0
	v_bfe_u32 v10, v2, 16, 1
	v_and_b32_e32 v11, 0xffff0000, v11
	v_mov_b32_e32 v14, 0x7fc00000
	v_cmp_o_f32_e32 vcc, v3, v3
	v_add3_u32 v10, v2, v10, s0
	s_mov_b64 s[0:1], 0
	v_cndmask_b32_e32 v3, v14, v11, vcc
	v_cmp_o_f32_e32 vcc, v2, v2
	v_mov_b32_e32 v2, 0x7fc0
	s_mov_b64 s[6:7], -1
	v_cndmask_b32_sdwa v2, v2, v10, vcc dst_sel:DWORD dst_unused:UNUSED_PAD src0_sel:DWORD src1_sel:WORD_1
	v_or_b32_e32 v2, v3, v2
	global_store_dword v[8:9], v2, off
.LBB225_2110:
	s_and_b64 vcc, exec, s[10:11]
	s_cbranch_vccz .LBB225_2115
; %bb.2111:
	s_cmp_eq_u32 s15, 44
	s_mov_b64 s[0:1], -1
	s_cbranch_scc0 .LBB225_2115
; %bb.2112:
	v_cvt_f32_f64_e32 v2, v[0:1]
	v_bfe_u32 v3, v2, 23, 8
	s_movk_i32 s0, 0xff
	v_cmp_ne_u32_e32 vcc, s0, v3
	v_mov_b32_e32 v10, 0xff
	s_and_saveexec_b64 s[6:7], vcc
; %bb.2113:
	s_mov_b32 s0, 0x3fffff
	v_lshrrev_b32_e32 v10, 23, v2
	v_and_b32_e32 v11, 0x400000, v2
	v_and_or_b32 v2, v2, s0, v3
	v_cmp_ne_u32_e32 vcc, 0, v11
	v_cmp_ne_u32_e64 s[0:1], 0, v2
	s_and_b64 s[0:1], vcc, s[0:1]
	s_nop 0
	v_cndmask_b32_e64 v2, 0, 1, s[0:1]
	v_add_u32_e32 v10, v10, v2
; %bb.2114:
	s_or_b64 exec, exec, s[6:7]
	s_mov_b64 s[0:1], 0
	s_mov_b64 s[6:7], -1
	global_store_byte v[8:9], v10, off
.LBB225_2115:
	s_mov_b64 s[10:11], 0
.LBB225_2116:
	s_and_b64 vcc, exec, s[10:11]
	s_cbranch_vccz .LBB225_2119
; %bb.2117:
	s_cmp_eq_u32 s15, 29
	s_mov_b64 s[0:1], -1
	s_cbranch_scc0 .LBB225_2119
; %bb.2118:
	v_trunc_f64_e32 v[2:3], v[0:1]
	s_movk_i32 s0, 0xffe0
	v_ldexp_f64 v[10:11], v[2:3], s0
	v_floor_f64_e32 v[10:11], v[10:11]
	v_fmac_f64_e32 v[2:3], 0xc1f00000, v[10:11]
	v_cvt_u32_f64_e32 v15, v[10:11]
	v_cvt_u32_f64_e32 v14, v[2:3]
	global_store_dwordx2 v[8:9], v[14:15], off
	s_mov_b64 s[0:1], 0
	s_mov_b64 s[6:7], -1
.LBB225_2119:
	s_mov_b64 s[10:11], 0
.LBB225_2120:
	s_and_b64 vcc, exec, s[10:11]
	s_cbranch_vccz .LBB225_2136
; %bb.2121:
	s_cmp_lt_i32 s15, 27
	s_mov_b64 s[6:7], -1
	s_cbranch_scc1 .LBB225_2127
; %bb.2122:
	s_cmp_gt_i32 s15, 27
	s_cbranch_scc0 .LBB225_2124
; %bb.2123:
	v_cvt_u32_f64_e32 v2, v[0:1]
	s_mov_b64 s[6:7], 0
	global_store_dword v[8:9], v2, off
.LBB225_2124:
	s_andn2_b64 vcc, exec, s[6:7]
	s_cbranch_vccnz .LBB225_2126
; %bb.2125:
	v_cvt_u32_f64_e32 v2, v[0:1]
	global_store_short v[8:9], v2, off
.LBB225_2126:
	s_mov_b64 s[6:7], 0
.LBB225_2127:
	s_andn2_b64 vcc, exec, s[6:7]
	s_cbranch_vccnz .LBB225_2135
; %bb.2128:
	v_cvt_f32_f64_e32 v2, v[0:1]
	v_and_b32_e32 v3, 0x7fffffff, v2
	s_mov_b32 s6, 0x43800000
	v_cmp_gt_u32_e32 vcc, s6, v3
	v_mov_b32_e32 v10, 0x80
	s_and_saveexec_b64 s[6:7], vcc
	s_cbranch_execz .LBB225_2134
; %bb.2129:
	s_mov_b32 s10, 0x3bffffff
	v_cmp_lt_u32_e32 vcc, s10, v3
	s_mov_b64 s[10:11], 0
                                        ; implicit-def: $vgpr3
	s_and_saveexec_b64 s[12:13], vcc
	s_xor_b64 s[12:13], exec, s[12:13]
	s_cbranch_execz .LBB225_2424
; %bb.2130:
	v_bfe_u32 v3, v2, 20, 1
	s_mov_b32 s16, 0x487ffff
	v_add3_u32 v3, v2, v3, s16
	s_mov_b64 s[10:11], exec
	v_lshrrev_b32_e32 v3, 20, v3
	s_andn2_saveexec_b64 s[12:13], s[12:13]
	s_cbranch_execnz .LBB225_2425
.LBB225_2131:
	s_or_b64 exec, exec, s[12:13]
	v_mov_b32_e32 v10, 0
	s_and_saveexec_b64 s[12:13], s[10:11]
.LBB225_2132:
	v_lshrrev_b32_e32 v2, 24, v2
	s_movk_i32 s10, 0x80
	v_and_or_b32 v10, v2, s10, v3
.LBB225_2133:
	s_or_b64 exec, exec, s[12:13]
.LBB225_2134:
	s_or_b64 exec, exec, s[6:7]
	global_store_byte v[8:9], v10, off
.LBB225_2135:
	s_mov_b64 s[6:7], -1
.LBB225_2136:
	s_mov_b64 s[10:11], 0
.LBB225_2137:
	s_and_b64 vcc, exec, s[10:11]
	s_cbranch_vccz .LBB225_2177
; %bb.2138:
	s_cmp_gt_i32 s15, 22
	s_mov_b64 s[2:3], -1
	s_cbranch_scc0 .LBB225_2170
; %bb.2139:
	s_cmp_lt_i32 s15, 24
	s_cbranch_scc1 .LBB225_2159
; %bb.2140:
	s_cmp_gt_i32 s15, 24
	s_cbranch_scc0 .LBB225_2148
; %bb.2141:
	v_cvt_f32_f64_e32 v2, v[0:1]
	v_and_b32_e32 v3, 0x7fffffff, v2
	s_mov_b32 s2, 0x47800000
	v_cmp_gt_u32_e32 vcc, s2, v3
	v_mov_b32_e32 v10, 0x80
	s_and_saveexec_b64 s[2:3], vcc
	s_cbranch_execz .LBB225_2147
; %bb.2142:
	s_mov_b32 s6, 0x37ffffff
	v_cmp_lt_u32_e32 vcc, s6, v3
	s_mov_b64 s[6:7], 0
                                        ; implicit-def: $vgpr3
	s_and_saveexec_b64 s[10:11], vcc
	s_xor_b64 s[10:11], exec, s[10:11]
	s_cbranch_execz .LBB225_2427
; %bb.2143:
	v_bfe_u32 v3, v2, 21, 1
	s_mov_b32 s12, 0x88fffff
	v_add3_u32 v3, v2, v3, s12
	s_mov_b64 s[6:7], exec
	v_lshrrev_b32_e32 v3, 21, v3
	s_andn2_saveexec_b64 s[10:11], s[10:11]
	s_cbranch_execnz .LBB225_2428
.LBB225_2144:
	s_or_b64 exec, exec, s[10:11]
	v_mov_b32_e32 v10, 0
	s_and_saveexec_b64 s[10:11], s[6:7]
.LBB225_2145:
	v_lshrrev_b32_e32 v2, 24, v2
	s_movk_i32 s6, 0x80
	v_and_or_b32 v10, v2, s6, v3
.LBB225_2146:
	s_or_b64 exec, exec, s[10:11]
.LBB225_2147:
	s_or_b64 exec, exec, s[2:3]
	s_mov_b64 s[2:3], 0
	global_store_byte v[8:9], v10, off
.LBB225_2148:
	s_and_b64 vcc, exec, s[2:3]
	s_cbranch_vccz .LBB225_2158
; %bb.2149:
	v_cvt_f32_f64_e32 v2, v[0:1]
	v_and_b32_e32 v10, 0x7fffffff, v2
	s_mov_b32 s2, 0x43f00000
	v_cmp_gt_u32_e32 vcc, s2, v10
                                        ; implicit-def: $vgpr3
	s_and_saveexec_b64 s[2:3], vcc
	s_xor_b64 s[2:3], exec, s[2:3]
	s_cbranch_execz .LBB225_2155
; %bb.2150:
	s_mov_b32 s6, 0x3c7fffff
	v_cmp_lt_u32_e32 vcc, s6, v10
                                        ; implicit-def: $vgpr3
	s_and_saveexec_b64 s[6:7], vcc
	s_xor_b64 s[6:7], exec, s[6:7]
; %bb.2151:
	v_bfe_u32 v3, v2, 20, 1
	s_mov_b32 s10, 0x407ffff
	v_add3_u32 v3, v2, v3, s10
	v_lshrrev_b32_e32 v10, 20, v3
	v_and_b32_e32 v3, 0xff00000, v3
	s_mov_b32 s10, 0x7f00000
	v_mov_b32_e32 v11, 0x7e
	v_cmp_ne_u32_e32 vcc, s10, v3
	s_nop 1
	v_cndmask_b32_e32 v3, v11, v10, vcc
; %bb.2152:
	s_andn2_saveexec_b64 s[6:7], s[6:7]
; %bb.2153:
	s_mov_b32 s10, 0x46800000
	v_add_f32_e64 v3, |v2|, s10
; %bb.2154:
	s_or_b64 exec, exec, s[6:7]
                                        ; implicit-def: $vgpr10
.LBB225_2155:
	s_andn2_saveexec_b64 s[2:3], s[2:3]
; %bb.2156:
	s_mov_b32 s6, 0x7f800000
	v_mov_b32_e32 v3, 0x7e
	v_mov_b32_e32 v11, 0x7f
	v_cmp_lt_u32_e32 vcc, s6, v10
	s_nop 1
	v_cndmask_b32_e32 v3, v3, v11, vcc
; %bb.2157:
	s_or_b64 exec, exec, s[2:3]
	v_lshrrev_b32_e32 v2, 24, v2
	s_movk_i32 s2, 0x80
	v_and_or_b32 v2, v2, s2, v3
	global_store_byte v[8:9], v2, off
.LBB225_2158:
	s_mov_b64 s[2:3], 0
.LBB225_2159:
	s_andn2_b64 vcc, exec, s[2:3]
	s_cbranch_vccnz .LBB225_2169
; %bb.2160:
	v_cvt_f32_f64_e32 v2, v[0:1]
	v_and_b32_e32 v10, 0x7fffffff, v2
	s_mov_b32 s2, 0x47800000
	v_cmp_gt_u32_e32 vcc, s2, v10
                                        ; implicit-def: $vgpr3
	s_and_saveexec_b64 s[2:3], vcc
	s_xor_b64 s[2:3], exec, s[2:3]
	s_cbranch_execz .LBB225_2166
; %bb.2161:
	s_mov_b32 s6, 0x387fffff
	v_cmp_lt_u32_e32 vcc, s6, v10
                                        ; implicit-def: $vgpr3
	s_and_saveexec_b64 s[6:7], vcc
	s_xor_b64 s[6:7], exec, s[6:7]
; %bb.2162:
	v_bfe_u32 v3, v2, 21, 1
	s_mov_b32 s10, 0x80fffff
	v_add3_u32 v3, v2, v3, s10
	v_lshrrev_b32_e32 v3, 21, v3
; %bb.2163:
	s_andn2_saveexec_b64 s[6:7], s[6:7]
; %bb.2164:
	s_mov_b32 s10, 0x43000000
	v_add_f32_e64 v3, |v2|, s10
; %bb.2165:
	s_or_b64 exec, exec, s[6:7]
                                        ; implicit-def: $vgpr10
.LBB225_2166:
	s_andn2_saveexec_b64 s[2:3], s[2:3]
; %bb.2167:
	s_mov_b32 s6, 0x7f800000
	v_mov_b32_e32 v3, 0x7c
	v_mov_b32_e32 v11, 0x7f
	v_cmp_lt_u32_e32 vcc, s6, v10
	s_nop 1
	v_cndmask_b32_e32 v3, v3, v11, vcc
; %bb.2168:
	s_or_b64 exec, exec, s[2:3]
	v_lshrrev_b32_e32 v2, 24, v2
	s_movk_i32 s2, 0x80
	v_and_or_b32 v2, v2, s2, v3
	global_store_byte v[8:9], v2, off
.LBB225_2169:
	s_mov_b64 s[2:3], 0
	s_mov_b64 s[6:7], -1
.LBB225_2170:
	s_andn2_b64 vcc, exec, s[2:3]
	s_mov_b64 s[2:3], 0
	s_cbranch_vccnz .LBB225_2177
; %bb.2171:
	s_cmp_gt_i32 s15, 14
	s_mov_b64 s[10:11], -1
	s_cbranch_scc0 .LBB225_2175
; %bb.2172:
	s_cmp_eq_u32 s15, 15
	s_mov_b64 s[0:1], -1
	s_cbranch_scc0 .LBB225_2174
; %bb.2173:
	v_cvt_f32_f64_e32 v2, v[0:1]
	v_bfe_u32 v3, v2, 16, 1
	s_movk_i32 s0, 0x7fff
	v_add3_u32 v3, v2, v3, s0
	v_cmp_o_f32_e32 vcc, v2, v2
	v_mov_b32_e32 v2, 0x7fc0
	s_mov_b64 s[0:1], 0
	v_cndmask_b32_sdwa v2, v2, v3, vcc dst_sel:DWORD dst_unused:UNUSED_PAD src0_sel:DWORD src1_sel:WORD_1
	global_store_short v[8:9], v2, off
	s_mov_b64 s[6:7], -1
.LBB225_2174:
	s_mov_b64 s[10:11], 0
.LBB225_2175:
	s_and_b64 vcc, exec, s[10:11]
	s_cbranch_vccz .LBB225_2177
; %bb.2176:
	s_cmp_lg_u32 s15, 11
	s_mov_b64 s[2:3], -1
	s_cselect_b64 s[0:1], -1, 0
.LBB225_2177:
	s_and_b64 vcc, exec, s[0:1]
	s_cbranch_vccnz .LBB225_2426
; %bb.2178:
	s_andn2_b64 vcc, exec, s[2:3]
	s_cbranch_vccnz .LBB225_2180
.LBB225_2179:
	v_cmp_neq_f64_e32 vcc, 0, v[0:1]
	v_cmp_neq_f64_e64 s[0:1], 0, v[6:7]
	s_or_b64 s[0:1], vcc, s[0:1]
	s_mov_b64 s[6:7], -1
	v_cndmask_b32_e64 v2, 0, 1, s[0:1]
	global_store_byte v[8:9], v2, off
.LBB225_2180:
	s_mov_b64 s[0:1], 0
	s_branch .LBB225_2182
.LBB225_2181:
	s_mov_b64 s[0:1], -1
	s_mov_b64 s[6:7], 0
.LBB225_2182:
	s_and_b64 vcc, exec, s[0:1]
	s_cbranch_vccz .LBB225_2221
; %bb.2183:
	s_and_b32 s2, 0xffff, s14
	s_cmp_lt_i32 s2, 5
	s_mov_b64 s[0:1], -1
	s_cbranch_scc1 .LBB225_2204
; %bb.2184:
	s_cmp_lt_i32 s2, 8
	s_cbranch_scc1 .LBB225_2194
; %bb.2185:
	s_cmp_lt_i32 s2, 9
	s_cbranch_scc1 .LBB225_2191
; %bb.2186:
	s_cmp_gt_i32 s2, 9
	s_cbranch_scc0 .LBB225_2188
; %bb.2187:
	v_mov_b32_e32 v2, v6
	v_mov_b32_e32 v3, v7
	global_store_dwordx4 v[8:9], v[0:3], off
	s_mov_b64 s[0:1], 0
.LBB225_2188:
	s_andn2_b64 vcc, exec, s[0:1]
	s_cbranch_vccnz .LBB225_2190
; %bb.2189:
	v_cvt_f32_f64_e32 v2, v[0:1]
	v_cvt_f32_f64_e32 v3, v[6:7]
	global_store_dwordx2 v[8:9], v[2:3], off
.LBB225_2190:
	s_mov_b64 s[0:1], 0
.LBB225_2191:
	s_andn2_b64 vcc, exec, s[0:1]
	s_cbranch_vccnz .LBB225_2193
; %bb.2192:
	s_movk_i32 s0, 0x1ff
	v_and_or_b32 v2, v1, s0, v0
	v_cmp_ne_u32_e32 vcc, 0, v2
	v_lshrrev_b32_e32 v3, 8, v1
	s_movk_i32 s1, 0xffe
	v_cndmask_b32_e64 v2, 0, 1, vcc
	v_bfe_u32 v10, v1, 20, 11
	v_and_or_b32 v2, v3, s1, v2
	v_sub_u32_e32 v11, 0x3f1, v10
	v_or_b32_e32 v3, 0x1000, v2
	v_med3_i32 v11, v11, 0, 13
	v_lshrrev_b32_e32 v14, v11, v3
	v_lshlrev_b32_e32 v11, v11, v14
	v_cmp_ne_u32_e32 vcc, v11, v3
	v_add_u32_e32 v10, 0xfffffc10, v10
	v_lshl_or_b32 v11, v10, 12, v2
	v_cndmask_b32_e64 v3, 0, 1, vcc
	v_or_b32_e32 v3, v14, v3
	v_cmp_gt_i32_e32 vcc, 1, v10
	s_movk_i32 s3, 0x40f
	v_and_or_b32 v6, v7, s0, v6
	v_cndmask_b32_e32 v3, v11, v3, vcc
	v_and_b32_e32 v11, 7, v3
	v_cmp_lt_i32_e32 vcc, 5, v11
	v_lshrrev_b32_e32 v3, 2, v3
	v_bfe_u32 v15, v7, 20, 11
	v_cndmask_b32_e64 v14, 0, 1, vcc
	v_cmp_eq_u32_e32 vcc, 3, v11
	v_sub_u32_e32 v21, 0x3f1, v15
	v_med3_i32 v21, v21, 0, 13
	v_cndmask_b32_e64 v11, 0, 1, vcc
	v_or_b32_e32 v11, v11, v14
	v_add_u32_e32 v3, v3, v11
	v_mov_b32_e32 v11, 0x7c00
	v_cmp_gt_i32_e32 vcc, 31, v10
	v_mov_b32_e32 v14, 0x7e00
	v_add_u32_e32 v15, 0xfffffc10, v15
	v_cndmask_b32_e32 v3, v11, v3, vcc
	v_cmp_ne_u32_e32 vcc, 0, v2
	s_mov_b32 s6, 0x8000
	s_mov_b32 s0, 0xffff
	v_cndmask_b32_e32 v2, v11, v14, vcc
	v_cmp_eq_u32_e32 vcc, s3, v10
	v_lshrrev_b32_e32 v10, 8, v7
	v_lshrrev_b32_e32 v7, 16, v7
	v_cndmask_b32_e32 v2, v3, v2, vcc
	v_cmp_ne_u32_e32 vcc, 0, v6
	v_and_b32_sdwa v3, v1, s6 dst_sel:DWORD dst_unused:UNUSED_PAD src0_sel:WORD_1 src1_sel:DWORD
	v_bitop3_b32 v2, v3, s0, v2 bitop3:0xc8
	v_cndmask_b32_e64 v6, 0, 1, vcc
	v_and_or_b32 v6, v10, s1, v6
	v_or_b32_e32 v10, 0x1000, v6
	v_lshrrev_b32_e32 v23, v21, v10
	v_lshlrev_b32_e32 v21, v21, v23
	v_cmp_ne_u32_e32 vcc, v21, v10
	v_lshl_or_b32 v21, v15, 12, v6
	s_nop 0
	v_cndmask_b32_e64 v10, 0, 1, vcc
	v_or_b32_e32 v10, v23, v10
	v_cmp_gt_i32_e32 vcc, 1, v15
	s_nop 1
	v_cndmask_b32_e32 v10, v21, v10, vcc
	v_and_b32_e32 v21, 7, v10
	v_cmp_lt_i32_e32 vcc, 5, v21
	v_lshrrev_b32_e32 v10, 2, v10
	s_nop 0
	v_cndmask_b32_e64 v23, 0, 1, vcc
	v_cmp_eq_u32_e32 vcc, 3, v21
	s_nop 1
	v_cndmask_b32_e64 v21, 0, 1, vcc
	v_or_b32_e32 v21, v21, v23
	v_add_u32_e32 v10, v10, v21
	v_cmp_gt_i32_e32 vcc, 31, v15
	s_nop 1
	v_cndmask_b32_e32 v10, v11, v10, vcc
	v_cmp_ne_u32_e32 vcc, 0, v6
	s_nop 1
	v_cndmask_b32_e32 v6, v11, v14, vcc
	v_cmp_eq_u32_e32 vcc, s3, v15
	s_nop 1
	v_cndmask_b32_e32 v6, v10, v6, vcc
	v_and_or_b32 v6, v7, s6, v6
	v_lshl_or_b32 v2, v6, 16, v2
	global_store_dword v[8:9], v2, off
.LBB225_2193:
	s_mov_b64 s[0:1], 0
.LBB225_2194:
	s_andn2_b64 vcc, exec, s[0:1]
	s_cbranch_vccnz .LBB225_2203
; %bb.2195:
	s_cmp_lt_i32 s2, 6
	s_mov_b64 s[0:1], -1
	s_cbranch_scc1 .LBB225_2201
; %bb.2196:
	s_cmp_gt_i32 s2, 6
	s_cbranch_scc0 .LBB225_2198
; %bb.2197:
	global_store_dwordx2 v[8:9], v[0:1], off
	s_mov_b64 s[0:1], 0
.LBB225_2198:
	s_andn2_b64 vcc, exec, s[0:1]
	s_cbranch_vccnz .LBB225_2200
; %bb.2199:
	v_cvt_f32_f64_e32 v2, v[0:1]
	global_store_dword v[8:9], v2, off
.LBB225_2200:
	s_mov_b64 s[0:1], 0
.LBB225_2201:
	s_andn2_b64 vcc, exec, s[0:1]
	s_cbranch_vccnz .LBB225_2203
; %bb.2202:
	s_movk_i32 s0, 0x1ff
	v_and_or_b32 v2, v1, s0, v0
	v_cmp_ne_u32_e32 vcc, 0, v2
	v_lshrrev_b32_e32 v3, 8, v1
	s_movk_i32 s0, 0xffe
	v_cndmask_b32_e64 v2, 0, 1, vcc
	v_bfe_u32 v6, v1, 20, 11
	v_and_or_b32 v2, v3, s0, v2
	v_sub_u32_e32 v7, 0x3f1, v6
	v_or_b32_e32 v3, 0x1000, v2
	v_med3_i32 v7, v7, 0, 13
	v_lshrrev_b32_e32 v10, v7, v3
	v_lshlrev_b32_e32 v7, v7, v10
	v_cmp_ne_u32_e32 vcc, v7, v3
	v_add_u32_e32 v6, 0xfffffc10, v6
	v_lshl_or_b32 v7, v6, 12, v2
	v_cndmask_b32_e64 v3, 0, 1, vcc
	v_or_b32_e32 v3, v10, v3
	v_cmp_gt_i32_e32 vcc, 1, v6
	s_movk_i32 s0, 0x40f
	s_nop 0
	v_cndmask_b32_e32 v3, v7, v3, vcc
	v_and_b32_e32 v7, 7, v3
	v_cmp_lt_i32_e32 vcc, 5, v7
	v_lshrrev_b32_e32 v3, 2, v3
	s_nop 0
	v_cndmask_b32_e64 v10, 0, 1, vcc
	v_cmp_eq_u32_e32 vcc, 3, v7
	s_nop 1
	v_cndmask_b32_e64 v7, 0, 1, vcc
	v_or_b32_e32 v7, v7, v10
	v_add_u32_e32 v3, v3, v7
	v_mov_b32_e32 v7, 0x7c00
	v_cmp_gt_i32_e32 vcc, 31, v6
	v_mov_b32_e32 v10, 0x7e00
	s_nop 0
	v_cndmask_b32_e32 v3, v7, v3, vcc
	v_cmp_ne_u32_e32 vcc, 0, v2
	s_nop 1
	v_cndmask_b32_e32 v2, v7, v10, vcc
	v_cmp_eq_u32_e32 vcc, s0, v6
	s_mov_b32 s0, 0x8000
	s_nop 0
	v_cndmask_b32_e32 v2, v3, v2, vcc
	v_lshrrev_b32_e32 v3, 16, v1
	v_and_or_b32 v2, v3, s0, v2
	global_store_short v[8:9], v2, off
.LBB225_2203:
	s_mov_b64 s[0:1], 0
.LBB225_2204:
	s_andn2_b64 vcc, exec, s[0:1]
	s_cbranch_vccnz .LBB225_2220
; %bb.2205:
	s_cmp_lt_i32 s2, 2
	s_mov_b64 s[0:1], -1
	s_cbranch_scc1 .LBB225_2215
; %bb.2206:
	s_cmp_lt_i32 s2, 3
	s_cbranch_scc1 .LBB225_2212
; %bb.2207:
	s_cmp_gt_i32 s2, 3
	s_cbranch_scc0 .LBB225_2209
; %bb.2208:
	v_trunc_f64_e32 v[2:3], v[0:1]
	s_movk_i32 s0, 0xffe0
	v_ldexp_f64 v[6:7], v[2:3], s0
	v_floor_f64_e32 v[6:7], v[6:7]
	v_fmac_f64_e32 v[2:3], 0xc1f00000, v[6:7]
	v_cvt_i32_f64_e32 v11, v[6:7]
	v_cvt_u32_f64_e32 v10, v[2:3]
	global_store_dwordx2 v[8:9], v[10:11], off
	s_mov_b64 s[0:1], 0
.LBB225_2209:
	s_andn2_b64 vcc, exec, s[0:1]
	s_cbranch_vccnz .LBB225_2211
; %bb.2210:
	v_cvt_i32_f64_e32 v2, v[0:1]
	global_store_dword v[8:9], v2, off
.LBB225_2211:
	s_mov_b64 s[0:1], 0
.LBB225_2212:
	s_andn2_b64 vcc, exec, s[0:1]
	s_cbranch_vccnz .LBB225_2214
; %bb.2213:
	v_cvt_i32_f64_e32 v2, v[0:1]
	global_store_short v[8:9], v2, off
.LBB225_2214:
	s_mov_b64 s[0:1], 0
.LBB225_2215:
	s_andn2_b64 vcc, exec, s[0:1]
	s_cbranch_vccnz .LBB225_2220
; %bb.2216:
	s_cmp_gt_i32 s2, 0
	s_mov_b64 s[0:1], -1
	s_cbranch_scc0 .LBB225_2218
; %bb.2217:
	v_cvt_i32_f64_e32 v2, v[0:1]
	global_store_byte v[8:9], v2, off
	s_mov_b64 s[0:1], 0
.LBB225_2218:
	s_andn2_b64 vcc, exec, s[0:1]
	s_cbranch_vccnz .LBB225_2220
; %bb.2219:
	v_trunc_f64_e32 v[0:1], v[0:1]
	s_movk_i32 s0, 0xffe0
	v_ldexp_f64 v[2:3], v[0:1], s0
	v_floor_f64_e32 v[2:3], v[2:3]
	v_fmac_f64_e32 v[0:1], 0xc1f00000, v[2:3]
	v_cvt_u32_f64_e32 v0, v[0:1]
	global_store_byte v[8:9], v0, off
.LBB225_2220:
	s_mov_b64 s[6:7], -1
.LBB225_2221:
	s_andn2_b64 vcc, exec, s[6:7]
	s_cbranch_vccnz .LBB225_2417
; %bb.2222:
	v_mov_b32_e32 v23, 0
	s_cmp_lt_i32 s14, 11
	v_lshl_add_u64 v[0:1], s[4:5], 0, v[22:23]
	s_cbranch_scc1 .LBB225_2300
; %bb.2223:
	s_and_b32 s15, 0xffff, s14
	s_mov_b64 s[10:11], -1
	s_mov_b64 s[2:3], 0
	s_cmp_gt_i32 s15, 25
	s_mov_b64 s[6:7], 0
	s_mov_b64 s[0:1], 0
	s_cbranch_scc0 .LBB225_2256
; %bb.2224:
	s_cmp_gt_i32 s15, 28
	s_cbranch_scc0 .LBB225_2239
; %bb.2225:
	s_cmp_gt_i32 s15, 43
	;; [unrolled: 3-line block ×3, first 2 shown]
	s_cbranch_scc0 .LBB225_2229
; %bb.2227:
	s_mov_b64 s[0:1], -1
	s_mov_b64 s[10:11], 0
	s_cmp_eq_u32 s15, 46
	s_cbranch_scc0 .LBB225_2229
; %bb.2228:
	v_cvt_f32_f64_e32 v3, v[12:13]
	s_movk_i32 s0, 0x7fff
	v_bfe_u32 v7, v3, 16, 1
	v_cvt_f32_f64_e32 v2, v[4:5]
	v_add3_u32 v7, v3, v7, s0
	v_bfe_u32 v6, v2, 16, 1
	v_and_b32_e32 v7, 0xffff0000, v7
	v_mov_b32_e32 v8, 0x7fc00000
	v_cmp_o_f32_e32 vcc, v3, v3
	v_add3_u32 v6, v2, v6, s0
	s_mov_b64 s[0:1], 0
	v_cndmask_b32_e32 v3, v8, v7, vcc
	v_cmp_o_f32_e32 vcc, v2, v2
	v_mov_b32_e32 v2, 0x7fc0
	s_mov_b64 s[6:7], -1
	v_cndmask_b32_sdwa v2, v2, v6, vcc dst_sel:DWORD dst_unused:UNUSED_PAD src0_sel:DWORD src1_sel:WORD_1
	v_or_b32_e32 v2, v3, v2
	global_store_dword v[0:1], v2, off
.LBB225_2229:
	s_and_b64 vcc, exec, s[10:11]
	s_cbranch_vccz .LBB225_2234
; %bb.2230:
	s_cmp_eq_u32 s15, 44
	s_mov_b64 s[0:1], -1
	s_cbranch_scc0 .LBB225_2234
; %bb.2231:
	v_cvt_f32_f64_e32 v2, v[4:5]
	v_bfe_u32 v3, v2, 23, 8
	s_movk_i32 s0, 0xff
	v_cmp_ne_u32_e32 vcc, s0, v3
	v_mov_b32_e32 v6, 0xff
	s_and_saveexec_b64 s[6:7], vcc
; %bb.2232:
	s_mov_b32 s0, 0x3fffff
	v_lshrrev_b32_e32 v6, 23, v2
	v_and_b32_e32 v7, 0x400000, v2
	v_and_or_b32 v2, v2, s0, v3
	v_cmp_ne_u32_e32 vcc, 0, v7
	v_cmp_ne_u32_e64 s[0:1], 0, v2
	s_and_b64 s[0:1], vcc, s[0:1]
	s_nop 0
	v_cndmask_b32_e64 v2, 0, 1, s[0:1]
	v_add_u32_e32 v6, v6, v2
; %bb.2233:
	s_or_b64 exec, exec, s[6:7]
	s_mov_b64 s[0:1], 0
	s_mov_b64 s[6:7], -1
	global_store_byte v[0:1], v6, off
.LBB225_2234:
	s_mov_b64 s[10:11], 0
.LBB225_2235:
	s_and_b64 vcc, exec, s[10:11]
	s_cbranch_vccz .LBB225_2238
; %bb.2236:
	s_cmp_eq_u32 s15, 29
	s_mov_b64 s[0:1], -1
	s_cbranch_scc0 .LBB225_2238
; %bb.2237:
	v_trunc_f64_e32 v[2:3], v[4:5]
	s_movk_i32 s0, 0xffe0
	v_ldexp_f64 v[6:7], v[2:3], s0
	v_floor_f64_e32 v[6:7], v[6:7]
	v_fmac_f64_e32 v[2:3], 0xc1f00000, v[6:7]
	v_cvt_u32_f64_e32 v9, v[6:7]
	v_cvt_u32_f64_e32 v8, v[2:3]
	global_store_dwordx2 v[0:1], v[8:9], off
	s_mov_b64 s[0:1], 0
	s_mov_b64 s[6:7], -1
.LBB225_2238:
	s_mov_b64 s[10:11], 0
.LBB225_2239:
	s_and_b64 vcc, exec, s[10:11]
	s_cbranch_vccz .LBB225_2255
; %bb.2240:
	s_cmp_lt_i32 s15, 27
	s_mov_b64 s[6:7], -1
	s_cbranch_scc1 .LBB225_2246
; %bb.2241:
	s_cmp_gt_i32 s15, 27
	v_cvt_u32_f64_e32 v2, v[4:5]
	s_cbranch_scc0 .LBB225_2243
; %bb.2242:
	s_mov_b64 s[6:7], 0
	global_store_dword v[0:1], v2, off
.LBB225_2243:
	s_andn2_b64 vcc, exec, s[6:7]
	s_cbranch_vccnz .LBB225_2245
; %bb.2244:
	global_store_short v[0:1], v2, off
.LBB225_2245:
	s_mov_b64 s[6:7], 0
.LBB225_2246:
	s_andn2_b64 vcc, exec, s[6:7]
	s_cbranch_vccnz .LBB225_2254
; %bb.2247:
	v_cvt_f32_f64_e32 v2, v[4:5]
	v_and_b32_e32 v3, 0x7fffffff, v2
	s_mov_b32 s6, 0x43800000
	v_cmp_gt_u32_e32 vcc, s6, v3
	v_mov_b32_e32 v6, 0x80
	s_and_saveexec_b64 s[6:7], vcc
	s_cbranch_execz .LBB225_2253
; %bb.2248:
	s_mov_b32 s10, 0x3bffffff
	v_cmp_lt_u32_e32 vcc, s10, v3
	s_mov_b64 s[10:11], 0
                                        ; implicit-def: $vgpr3
	s_and_saveexec_b64 s[12:13], vcc
	s_xor_b64 s[12:13], exec, s[12:13]
	s_cbranch_execz .LBB225_2429
; %bb.2249:
	v_bfe_u32 v3, v2, 20, 1
	s_mov_b32 s16, 0x487ffff
	v_add3_u32 v3, v2, v3, s16
	s_mov_b64 s[10:11], exec
	v_lshrrev_b32_e32 v3, 20, v3
	s_andn2_saveexec_b64 s[12:13], s[12:13]
	s_cbranch_execnz .LBB225_2430
.LBB225_2250:
	s_or_b64 exec, exec, s[12:13]
	v_mov_b32_e32 v6, 0
	s_and_saveexec_b64 s[12:13], s[10:11]
.LBB225_2251:
	v_lshrrev_b32_e32 v2, 24, v2
	s_movk_i32 s10, 0x80
	v_and_or_b32 v6, v2, s10, v3
.LBB225_2252:
	s_or_b64 exec, exec, s[12:13]
.LBB225_2253:
	s_or_b64 exec, exec, s[6:7]
	global_store_byte v[0:1], v6, off
.LBB225_2254:
	s_mov_b64 s[6:7], -1
.LBB225_2255:
	s_mov_b64 s[10:11], 0
.LBB225_2256:
	s_and_b64 vcc, exec, s[10:11]
	s_cbranch_vccz .LBB225_2296
; %bb.2257:
	s_cmp_gt_i32 s15, 22
	s_mov_b64 s[2:3], -1
	s_cbranch_scc0 .LBB225_2289
; %bb.2258:
	s_cmp_lt_i32 s15, 24
	s_cbranch_scc1 .LBB225_2278
; %bb.2259:
	s_cmp_gt_i32 s15, 24
	s_cbranch_scc0 .LBB225_2267
; %bb.2260:
	v_cvt_f32_f64_e32 v2, v[4:5]
	v_and_b32_e32 v3, 0x7fffffff, v2
	s_mov_b32 s2, 0x47800000
	v_cmp_gt_u32_e32 vcc, s2, v3
	v_mov_b32_e32 v6, 0x80
	s_and_saveexec_b64 s[2:3], vcc
	s_cbranch_execz .LBB225_2266
; %bb.2261:
	s_mov_b32 s6, 0x37ffffff
	v_cmp_lt_u32_e32 vcc, s6, v3
	s_mov_b64 s[6:7], 0
                                        ; implicit-def: $vgpr3
	s_and_saveexec_b64 s[10:11], vcc
	s_xor_b64 s[10:11], exec, s[10:11]
	s_cbranch_execz .LBB225_2432
; %bb.2262:
	v_bfe_u32 v3, v2, 21, 1
	s_mov_b32 s12, 0x88fffff
	v_add3_u32 v3, v2, v3, s12
	s_mov_b64 s[6:7], exec
	v_lshrrev_b32_e32 v3, 21, v3
	s_andn2_saveexec_b64 s[10:11], s[10:11]
	s_cbranch_execnz .LBB225_2433
.LBB225_2263:
	s_or_b64 exec, exec, s[10:11]
	v_mov_b32_e32 v6, 0
	s_and_saveexec_b64 s[10:11], s[6:7]
.LBB225_2264:
	v_lshrrev_b32_e32 v2, 24, v2
	s_movk_i32 s6, 0x80
	v_and_or_b32 v6, v2, s6, v3
.LBB225_2265:
	s_or_b64 exec, exec, s[10:11]
.LBB225_2266:
	s_or_b64 exec, exec, s[2:3]
	s_mov_b64 s[2:3], 0
	global_store_byte v[0:1], v6, off
.LBB225_2267:
	s_and_b64 vcc, exec, s[2:3]
	s_cbranch_vccz .LBB225_2277
; %bb.2268:
	v_cvt_f32_f64_e32 v2, v[4:5]
	v_and_b32_e32 v6, 0x7fffffff, v2
	s_mov_b32 s2, 0x43f00000
	v_cmp_gt_u32_e32 vcc, s2, v6
                                        ; implicit-def: $vgpr3
	s_and_saveexec_b64 s[2:3], vcc
	s_xor_b64 s[2:3], exec, s[2:3]
	s_cbranch_execz .LBB225_2274
; %bb.2269:
	s_mov_b32 s6, 0x3c7fffff
	v_cmp_lt_u32_e32 vcc, s6, v6
                                        ; implicit-def: $vgpr3
	s_and_saveexec_b64 s[6:7], vcc
	s_xor_b64 s[6:7], exec, s[6:7]
; %bb.2270:
	v_bfe_u32 v3, v2, 20, 1
	s_mov_b32 s10, 0x407ffff
	v_add3_u32 v3, v2, v3, s10
	v_lshrrev_b32_e32 v6, 20, v3
	v_and_b32_e32 v3, 0xff00000, v3
	s_mov_b32 s10, 0x7f00000
	v_mov_b32_e32 v7, 0x7e
	v_cmp_ne_u32_e32 vcc, s10, v3
	s_nop 1
	v_cndmask_b32_e32 v3, v7, v6, vcc
; %bb.2271:
	s_andn2_saveexec_b64 s[6:7], s[6:7]
; %bb.2272:
	s_mov_b32 s10, 0x46800000
	v_add_f32_e64 v3, |v2|, s10
; %bb.2273:
	s_or_b64 exec, exec, s[6:7]
                                        ; implicit-def: $vgpr6
.LBB225_2274:
	s_andn2_saveexec_b64 s[2:3], s[2:3]
; %bb.2275:
	s_mov_b32 s6, 0x7f800000
	v_mov_b32_e32 v3, 0x7e
	v_mov_b32_e32 v7, 0x7f
	v_cmp_lt_u32_e32 vcc, s6, v6
	s_nop 1
	v_cndmask_b32_e32 v3, v3, v7, vcc
; %bb.2276:
	s_or_b64 exec, exec, s[2:3]
	v_lshrrev_b32_e32 v2, 24, v2
	s_movk_i32 s2, 0x80
	v_and_or_b32 v2, v2, s2, v3
	global_store_byte v[0:1], v2, off
.LBB225_2277:
	s_mov_b64 s[2:3], 0
.LBB225_2278:
	s_andn2_b64 vcc, exec, s[2:3]
	s_cbranch_vccnz .LBB225_2288
; %bb.2279:
	v_cvt_f32_f64_e32 v2, v[4:5]
	v_and_b32_e32 v6, 0x7fffffff, v2
	s_mov_b32 s2, 0x47800000
	v_cmp_gt_u32_e32 vcc, s2, v6
                                        ; implicit-def: $vgpr3
	s_and_saveexec_b64 s[2:3], vcc
	s_xor_b64 s[2:3], exec, s[2:3]
	s_cbranch_execz .LBB225_2285
; %bb.2280:
	s_mov_b32 s6, 0x387fffff
	v_cmp_lt_u32_e32 vcc, s6, v6
                                        ; implicit-def: $vgpr3
	s_and_saveexec_b64 s[6:7], vcc
	s_xor_b64 s[6:7], exec, s[6:7]
; %bb.2281:
	v_bfe_u32 v3, v2, 21, 1
	s_mov_b32 s10, 0x80fffff
	v_add3_u32 v3, v2, v3, s10
	v_lshrrev_b32_e32 v3, 21, v3
; %bb.2282:
	s_andn2_saveexec_b64 s[6:7], s[6:7]
; %bb.2283:
	s_mov_b32 s10, 0x43000000
	v_add_f32_e64 v3, |v2|, s10
; %bb.2284:
	s_or_b64 exec, exec, s[6:7]
                                        ; implicit-def: $vgpr6
.LBB225_2285:
	s_andn2_saveexec_b64 s[2:3], s[2:3]
; %bb.2286:
	s_mov_b32 s6, 0x7f800000
	v_mov_b32_e32 v3, 0x7c
	v_mov_b32_e32 v7, 0x7f
	v_cmp_lt_u32_e32 vcc, s6, v6
	s_nop 1
	v_cndmask_b32_e32 v3, v3, v7, vcc
; %bb.2287:
	s_or_b64 exec, exec, s[2:3]
	v_lshrrev_b32_e32 v2, 24, v2
	s_movk_i32 s2, 0x80
	v_and_or_b32 v2, v2, s2, v3
	global_store_byte v[0:1], v2, off
.LBB225_2288:
	s_mov_b64 s[2:3], 0
	s_mov_b64 s[6:7], -1
.LBB225_2289:
	s_andn2_b64 vcc, exec, s[2:3]
	s_mov_b64 s[2:3], 0
	s_cbranch_vccnz .LBB225_2296
; %bb.2290:
	s_cmp_gt_i32 s15, 14
	s_mov_b64 s[10:11], -1
	s_cbranch_scc0 .LBB225_2294
; %bb.2291:
	s_cmp_eq_u32 s15, 15
	s_mov_b64 s[0:1], -1
	s_cbranch_scc0 .LBB225_2293
; %bb.2292:
	v_cvt_f32_f64_e32 v2, v[4:5]
	v_bfe_u32 v3, v2, 16, 1
	s_movk_i32 s0, 0x7fff
	v_add3_u32 v3, v2, v3, s0
	v_cmp_o_f32_e32 vcc, v2, v2
	v_mov_b32_e32 v2, 0x7fc0
	s_mov_b64 s[0:1], 0
	v_cndmask_b32_sdwa v2, v2, v3, vcc dst_sel:DWORD dst_unused:UNUSED_PAD src0_sel:DWORD src1_sel:WORD_1
	global_store_short v[0:1], v2, off
	s_mov_b64 s[6:7], -1
.LBB225_2293:
	s_mov_b64 s[10:11], 0
.LBB225_2294:
	s_and_b64 vcc, exec, s[10:11]
	s_cbranch_vccz .LBB225_2296
; %bb.2295:
	s_cmp_lg_u32 s15, 11
	s_mov_b64 s[2:3], -1
	s_cselect_b64 s[0:1], -1, 0
.LBB225_2296:
	s_and_b64 vcc, exec, s[0:1]
	s_cbranch_vccnz .LBB225_2431
; %bb.2297:
	s_andn2_b64 vcc, exec, s[2:3]
	s_cbranch_vccnz .LBB225_2299
.LBB225_2298:
	v_cmp_neq_f64_e32 vcc, 0, v[4:5]
	v_cmp_neq_f64_e64 s[0:1], 0, v[12:13]
	s_or_b64 s[0:1], vcc, s[0:1]
	s_mov_b64 s[6:7], -1
	v_cndmask_b32_e64 v2, 0, 1, s[0:1]
	global_store_byte v[0:1], v2, off
.LBB225_2299:
	s_mov_b64 s[0:1], 0
	s_branch .LBB225_2301
.LBB225_2300:
	s_mov_b64 s[0:1], -1
	s_mov_b64 s[6:7], 0
.LBB225_2301:
	s_and_b64 vcc, exec, s[0:1]
	s_cbranch_vccz .LBB225_2340
; %bb.2302:
	s_and_b32 s2, 0xffff, s14
	s_cmp_lt_i32 s2, 5
	s_mov_b64 s[0:1], -1
	s_cbranch_scc1 .LBB225_2323
; %bb.2303:
	s_cmp_lt_i32 s2, 8
	s_cbranch_scc1 .LBB225_2313
; %bb.2304:
	s_cmp_lt_i32 s2, 9
	s_cbranch_scc1 .LBB225_2310
; %bb.2305:
	s_cmp_gt_i32 s2, 9
	s_cbranch_scc0 .LBB225_2307
; %bb.2306:
	v_mov_b32_e32 v6, v12
	v_mov_b32_e32 v7, v13
	global_store_dwordx4 v[0:1], v[4:7], off
	s_mov_b64 s[0:1], 0
.LBB225_2307:
	s_andn2_b64 vcc, exec, s[0:1]
	s_cbranch_vccnz .LBB225_2309
; %bb.2308:
	v_cvt_f32_f64_e32 v2, v[4:5]
	v_cvt_f32_f64_e32 v3, v[12:13]
	global_store_dwordx2 v[0:1], v[2:3], off
.LBB225_2309:
	s_mov_b64 s[0:1], 0
.LBB225_2310:
	s_andn2_b64 vcc, exec, s[0:1]
	s_cbranch_vccnz .LBB225_2312
; %bb.2311:
	s_movk_i32 s0, 0x1ff
	v_and_or_b32 v2, v5, s0, v4
	v_cmp_ne_u32_e32 vcc, 0, v2
	v_lshrrev_b32_e32 v3, 8, v5
	s_movk_i32 s1, 0xffe
	v_cndmask_b32_e64 v2, 0, 1, vcc
	v_bfe_u32 v6, v5, 20, 11
	v_and_or_b32 v2, v3, s1, v2
	v_sub_u32_e32 v7, 0x3f1, v6
	v_or_b32_e32 v3, 0x1000, v2
	v_med3_i32 v7, v7, 0, 13
	v_lshrrev_b32_e32 v8, v7, v3
	v_lshlrev_b32_e32 v7, v7, v8
	v_cmp_ne_u32_e32 vcc, v7, v3
	v_add_u32_e32 v6, 0xfffffc10, v6
	v_lshl_or_b32 v7, v6, 12, v2
	v_cndmask_b32_e64 v3, 0, 1, vcc
	v_or_b32_e32 v3, v8, v3
	v_cmp_gt_i32_e32 vcc, 1, v6
	s_movk_i32 s3, 0x40f
	v_lshrrev_b32_e32 v9, 8, v13
	v_cndmask_b32_e32 v3, v7, v3, vcc
	v_and_b32_e32 v7, 7, v3
	v_cmp_lt_i32_e32 vcc, 5, v7
	v_lshrrev_b32_e32 v3, 2, v3
	v_bfe_u32 v10, v13, 20, 11
	v_cndmask_b32_e64 v8, 0, 1, vcc
	v_cmp_eq_u32_e32 vcc, 3, v7
	v_sub_u32_e32 v11, 0x3f1, v10
	v_med3_i32 v11, v11, 0, 13
	v_cndmask_b32_e64 v7, 0, 1, vcc
	v_or_b32_e32 v7, v7, v8
	v_add_u32_e32 v3, v3, v7
	v_mov_b32_e32 v7, 0x7c00
	v_cmp_gt_i32_e32 vcc, 31, v6
	v_mov_b32_e32 v8, 0x7e00
	v_add_u32_e32 v10, 0xfffffc10, v10
	v_cndmask_b32_e32 v3, v7, v3, vcc
	v_cmp_ne_u32_e32 vcc, 0, v2
	s_mov_b32 s6, 0x8000
	s_nop 0
	v_cndmask_b32_e32 v2, v7, v8, vcc
	v_cmp_eq_u32_e32 vcc, s3, v6
	v_and_or_b32 v6, v13, s0, v12
	s_mov_b32 s0, 0xffff
	v_cndmask_b32_e32 v2, v3, v2, vcc
	v_cmp_ne_u32_e32 vcc, 0, v6
	v_and_b32_sdwa v3, v5, s6 dst_sel:DWORD dst_unused:UNUSED_PAD src0_sel:WORD_1 src1_sel:DWORD
	v_bitop3_b32 v2, v3, s0, v2 bitop3:0xc8
	v_cndmask_b32_e64 v6, 0, 1, vcc
	v_and_or_b32 v6, v9, s1, v6
	v_or_b32_e32 v9, 0x1000, v6
	v_lshrrev_b32_e32 v12, v11, v9
	v_lshlrev_b32_e32 v11, v11, v12
	v_cmp_ne_u32_e32 vcc, v11, v9
	v_lshl_or_b32 v11, v10, 12, v6
	s_nop 0
	v_cndmask_b32_e64 v9, 0, 1, vcc
	v_or_b32_e32 v9, v12, v9
	v_cmp_gt_i32_e32 vcc, 1, v10
	s_nop 1
	v_cndmask_b32_e32 v9, v11, v9, vcc
	v_and_b32_e32 v11, 7, v9
	v_cmp_lt_i32_e32 vcc, 5, v11
	v_lshrrev_b32_e32 v9, 2, v9
	s_nop 0
	v_cndmask_b32_e64 v12, 0, 1, vcc
	v_cmp_eq_u32_e32 vcc, 3, v11
	s_nop 1
	v_cndmask_b32_e64 v11, 0, 1, vcc
	v_or_b32_e32 v11, v11, v12
	v_add_u32_e32 v9, v9, v11
	v_cmp_gt_i32_e32 vcc, 31, v10
	s_nop 1
	v_cndmask_b32_e32 v9, v7, v9, vcc
	v_cmp_ne_u32_e32 vcc, 0, v6
	s_nop 1
	v_cndmask_b32_e32 v6, v7, v8, vcc
	v_cmp_eq_u32_e32 vcc, s3, v10
	v_lshrrev_b32_e32 v7, 16, v13
	s_nop 0
	v_cndmask_b32_e32 v6, v9, v6, vcc
	v_and_or_b32 v6, v7, s6, v6
	v_lshl_or_b32 v2, v6, 16, v2
	global_store_dword v[0:1], v2, off
.LBB225_2312:
	s_mov_b64 s[0:1], 0
.LBB225_2313:
	s_andn2_b64 vcc, exec, s[0:1]
	s_cbranch_vccnz .LBB225_2322
; %bb.2314:
	s_cmp_lt_i32 s2, 6
	s_mov_b64 s[0:1], -1
	s_cbranch_scc1 .LBB225_2320
; %bb.2315:
	s_cmp_gt_i32 s2, 6
	s_cbranch_scc0 .LBB225_2317
; %bb.2316:
	global_store_dwordx2 v[0:1], v[4:5], off
	s_mov_b64 s[0:1], 0
.LBB225_2317:
	s_andn2_b64 vcc, exec, s[0:1]
	s_cbranch_vccnz .LBB225_2319
; %bb.2318:
	v_cvt_f32_f64_e32 v2, v[4:5]
	global_store_dword v[0:1], v2, off
.LBB225_2319:
	s_mov_b64 s[0:1], 0
.LBB225_2320:
	s_andn2_b64 vcc, exec, s[0:1]
	s_cbranch_vccnz .LBB225_2322
; %bb.2321:
	s_movk_i32 s0, 0x1ff
	v_and_or_b32 v2, v5, s0, v4
	v_cmp_ne_u32_e32 vcc, 0, v2
	v_lshrrev_b32_e32 v3, 8, v5
	s_movk_i32 s0, 0xffe
	v_cndmask_b32_e64 v2, 0, 1, vcc
	v_bfe_u32 v6, v5, 20, 11
	v_and_or_b32 v2, v3, s0, v2
	v_sub_u32_e32 v7, 0x3f1, v6
	v_or_b32_e32 v3, 0x1000, v2
	v_med3_i32 v7, v7, 0, 13
	v_lshrrev_b32_e32 v8, v7, v3
	v_lshlrev_b32_e32 v7, v7, v8
	v_cmp_ne_u32_e32 vcc, v7, v3
	v_add_u32_e32 v6, 0xfffffc10, v6
	v_lshl_or_b32 v7, v6, 12, v2
	v_cndmask_b32_e64 v3, 0, 1, vcc
	v_or_b32_e32 v3, v8, v3
	v_cmp_gt_i32_e32 vcc, 1, v6
	s_movk_i32 s0, 0x40f
	s_nop 0
	v_cndmask_b32_e32 v3, v7, v3, vcc
	v_and_b32_e32 v7, 7, v3
	v_cmp_lt_i32_e32 vcc, 5, v7
	v_lshrrev_b32_e32 v3, 2, v3
	s_nop 0
	v_cndmask_b32_e64 v8, 0, 1, vcc
	v_cmp_eq_u32_e32 vcc, 3, v7
	s_nop 1
	v_cndmask_b32_e64 v7, 0, 1, vcc
	v_or_b32_e32 v7, v7, v8
	v_add_u32_e32 v3, v3, v7
	v_mov_b32_e32 v7, 0x7c00
	v_cmp_gt_i32_e32 vcc, 31, v6
	v_mov_b32_e32 v8, 0x7e00
	s_nop 0
	v_cndmask_b32_e32 v3, v7, v3, vcc
	v_cmp_ne_u32_e32 vcc, 0, v2
	s_nop 1
	v_cndmask_b32_e32 v2, v7, v8, vcc
	v_cmp_eq_u32_e32 vcc, s0, v6
	s_mov_b32 s0, 0x8000
	s_nop 0
	v_cndmask_b32_e32 v2, v3, v2, vcc
	v_lshrrev_b32_e32 v3, 16, v5
	v_and_or_b32 v2, v3, s0, v2
	global_store_short v[0:1], v2, off
.LBB225_2322:
	s_mov_b64 s[0:1], 0
.LBB225_2323:
	s_andn2_b64 vcc, exec, s[0:1]
	s_cbranch_vccnz .LBB225_2339
; %bb.2324:
	s_cmp_lt_i32 s2, 2
	s_mov_b64 s[0:1], -1
	s_cbranch_scc1 .LBB225_2334
; %bb.2325:
	s_cmp_lt_i32 s2, 3
	s_cbranch_scc1 .LBB225_2331
; %bb.2326:
	s_cmp_gt_i32 s2, 3
	s_cbranch_scc0 .LBB225_2328
; %bb.2327:
	v_trunc_f64_e32 v[2:3], v[4:5]
	s_movk_i32 s0, 0xffe0
	v_ldexp_f64 v[6:7], v[2:3], s0
	v_floor_f64_e32 v[6:7], v[6:7]
	v_fmac_f64_e32 v[2:3], 0xc1f00000, v[6:7]
	v_cvt_i32_f64_e32 v9, v[6:7]
	v_cvt_u32_f64_e32 v8, v[2:3]
	global_store_dwordx2 v[0:1], v[8:9], off
	s_mov_b64 s[0:1], 0
.LBB225_2328:
	s_andn2_b64 vcc, exec, s[0:1]
	s_cbranch_vccnz .LBB225_2330
; %bb.2329:
	v_cvt_i32_f64_e32 v2, v[4:5]
	global_store_dword v[0:1], v2, off
.LBB225_2330:
	s_mov_b64 s[0:1], 0
.LBB225_2331:
	s_andn2_b64 vcc, exec, s[0:1]
	s_cbranch_vccnz .LBB225_2333
; %bb.2332:
	v_cvt_i32_f64_e32 v2, v[4:5]
	global_store_short v[0:1], v2, off
.LBB225_2333:
	s_mov_b64 s[0:1], 0
.LBB225_2334:
	s_andn2_b64 vcc, exec, s[0:1]
	s_cbranch_vccnz .LBB225_2339
; %bb.2335:
	s_cmp_gt_i32 s2, 0
	s_mov_b64 s[0:1], -1
	s_cbranch_scc0 .LBB225_2337
; %bb.2336:
	v_cvt_i32_f64_e32 v2, v[4:5]
	global_store_byte v[0:1], v2, off
	s_mov_b64 s[0:1], 0
.LBB225_2337:
	s_andn2_b64 vcc, exec, s[0:1]
	s_cbranch_vccnz .LBB225_2339
; %bb.2338:
	v_trunc_f64_e32 v[2:3], v[4:5]
	s_movk_i32 s0, 0xffe0
	v_ldexp_f64 v[4:5], v[2:3], s0
	v_floor_f64_e32 v[4:5], v[4:5]
	v_fmac_f64_e32 v[2:3], 0xc1f00000, v[4:5]
	v_cvt_u32_f64_e32 v2, v[2:3]
	global_store_byte v[0:1], v2, off
.LBB225_2339:
	s_mov_b64 s[6:7], -1
.LBB225_2340:
	s_andn2_b64 vcc, exec, s[6:7]
	s_cbranch_vccnz .LBB225_2417
; %bb.2341:
	v_mov_b32_e32 v21, 0
	s_cmp_lt_i32 s14, 11
	v_lshl_add_u64 v[0:1], s[4:5], 0, v[20:21]
	s_cbranch_scc1 .LBB225_2418
; %bb.2342:
	s_and_b32 s12, 0xffff, s14
	s_mov_b64 s[4:5], -1
	s_mov_b64 s[2:3], 0
	s_cmp_gt_i32 s12, 25
	s_mov_b64 s[0:1], 0
	s_cbranch_scc0 .LBB225_2375
; %bb.2343:
	s_cmp_gt_i32 s12, 28
	s_cbranch_scc0 .LBB225_2359
; %bb.2344:
	s_cmp_gt_i32 s12, 43
	;; [unrolled: 3-line block ×3, first 2 shown]
	s_cbranch_scc0 .LBB225_2349
; %bb.2346:
	s_cmp_eq_u32 s12, 46
	s_mov_b64 s[0:1], -1
	s_cbranch_scc0 .LBB225_2348
; %bb.2347:
	v_cvt_f32_f64_e32 v3, v[16:17]
	s_movk_i32 s0, 0x7fff
	v_bfe_u32 v5, v3, 16, 1
	v_cvt_f32_f64_e32 v2, v[18:19]
	v_add3_u32 v5, v3, v5, s0
	v_bfe_u32 v4, v2, 16, 1
	v_and_b32_e32 v5, 0xffff0000, v5
	v_mov_b32_e32 v6, 0x7fc00000
	v_cmp_o_f32_e32 vcc, v3, v3
	v_add3_u32 v4, v2, v4, s0
	s_mov_b64 s[0:1], 0
	v_cndmask_b32_e32 v3, v6, v5, vcc
	v_cmp_o_f32_e32 vcc, v2, v2
	v_mov_b32_e32 v2, 0x7fc0
	s_nop 0
	v_cndmask_b32_sdwa v2, v2, v4, vcc dst_sel:DWORD dst_unused:UNUSED_PAD src0_sel:DWORD src1_sel:WORD_1
	v_or_b32_e32 v2, v3, v2
	global_store_dword v[0:1], v2, off
.LBB225_2348:
	s_mov_b64 s[4:5], 0
.LBB225_2349:
	s_and_b64 vcc, exec, s[4:5]
	s_cbranch_vccz .LBB225_2354
; %bb.2350:
	s_cmp_eq_u32 s12, 44
	s_mov_b64 s[0:1], -1
	s_cbranch_scc0 .LBB225_2354
; %bb.2351:
	v_cvt_f32_f64_e32 v2, v[18:19]
	v_bfe_u32 v3, v2, 23, 8
	s_movk_i32 s0, 0xff
	v_cmp_ne_u32_e32 vcc, s0, v3
	v_mov_b32_e32 v4, 0xff
	s_and_saveexec_b64 s[4:5], vcc
; %bb.2352:
	s_mov_b32 s0, 0x3fffff
	v_lshrrev_b32_e32 v4, 23, v2
	v_and_b32_e32 v5, 0x400000, v2
	v_and_or_b32 v2, v2, s0, v3
	v_cmp_ne_u32_e32 vcc, 0, v5
	v_cmp_ne_u32_e64 s[0:1], 0, v2
	s_and_b64 s[0:1], vcc, s[0:1]
	s_nop 0
	v_cndmask_b32_e64 v2, 0, 1, s[0:1]
	v_add_u32_e32 v4, v4, v2
; %bb.2353:
	s_or_b64 exec, exec, s[4:5]
	s_mov_b64 s[0:1], 0
	global_store_byte v[0:1], v4, off
.LBB225_2354:
	s_mov_b64 s[4:5], 0
.LBB225_2355:
	s_and_b64 vcc, exec, s[4:5]
	s_cbranch_vccz .LBB225_2358
; %bb.2356:
	s_cmp_eq_u32 s12, 29
	s_mov_b64 s[0:1], -1
	s_cbranch_scc0 .LBB225_2358
; %bb.2357:
	v_trunc_f64_e32 v[2:3], v[18:19]
	s_movk_i32 s0, 0xffe0
	v_ldexp_f64 v[4:5], v[2:3], s0
	v_floor_f64_e32 v[4:5], v[4:5]
	v_fmac_f64_e32 v[2:3], 0xc1f00000, v[4:5]
	v_cvt_u32_f64_e32 v7, v[4:5]
	v_cvt_u32_f64_e32 v6, v[2:3]
	global_store_dwordx2 v[0:1], v[6:7], off
	s_mov_b64 s[0:1], 0
.LBB225_2358:
	s_mov_b64 s[4:5], 0
.LBB225_2359:
	s_and_b64 vcc, exec, s[4:5]
	s_cbranch_vccz .LBB225_2374
; %bb.2360:
	s_cmp_lt_i32 s12, 27
	s_mov_b64 s[4:5], -1
	s_cbranch_scc1 .LBB225_2366
; %bb.2361:
	s_cmp_gt_i32 s12, 27
	s_cbranch_scc0 .LBB225_2363
; %bb.2362:
	v_cvt_u32_f64_e32 v2, v[18:19]
	global_store_dword v[0:1], v2, off
	s_mov_b64 s[4:5], 0
.LBB225_2363:
	s_andn2_b64 vcc, exec, s[4:5]
	s_cbranch_vccnz .LBB225_2365
; %bb.2364:
	v_cvt_u32_f64_e32 v2, v[18:19]
	global_store_short v[0:1], v2, off
.LBB225_2365:
	s_mov_b64 s[4:5], 0
.LBB225_2366:
	s_andn2_b64 vcc, exec, s[4:5]
	s_cbranch_vccnz .LBB225_2374
; %bb.2367:
	v_cvt_f32_f64_e32 v2, v[18:19]
	v_and_b32_e32 v3, 0x7fffffff, v2
	s_mov_b32 s4, 0x43800000
	v_cmp_gt_u32_e32 vcc, s4, v3
	v_mov_b32_e32 v4, 0x80
	s_and_saveexec_b64 s[4:5], vcc
	s_cbranch_execz .LBB225_2373
; %bb.2368:
	s_mov_b32 s6, 0x3bffffff
	v_cmp_lt_u32_e32 vcc, s6, v3
	s_mov_b64 s[6:7], 0
                                        ; implicit-def: $vgpr3
	s_and_saveexec_b64 s[10:11], vcc
	s_xor_b64 s[10:11], exec, s[10:11]
	s_cbranch_execz .LBB225_2434
; %bb.2369:
	v_bfe_u32 v3, v2, 20, 1
	s_mov_b32 s13, 0x487ffff
	v_add3_u32 v3, v2, v3, s13
	s_mov_b64 s[6:7], exec
	v_lshrrev_b32_e32 v3, 20, v3
	s_andn2_saveexec_b64 s[10:11], s[10:11]
	s_cbranch_execnz .LBB225_2435
.LBB225_2370:
	s_or_b64 exec, exec, s[10:11]
	v_mov_b32_e32 v4, 0
	s_and_saveexec_b64 s[10:11], s[6:7]
.LBB225_2371:
	v_lshrrev_b32_e32 v2, 24, v2
	s_movk_i32 s6, 0x80
	v_and_or_b32 v4, v2, s6, v3
.LBB225_2372:
	s_or_b64 exec, exec, s[10:11]
.LBB225_2373:
	s_or_b64 exec, exec, s[4:5]
	global_store_byte v[0:1], v4, off
.LBB225_2374:
	s_mov_b64 s[4:5], 0
.LBB225_2375:
	s_and_b64 vcc, exec, s[4:5]
	s_cbranch_vccz .LBB225_2415
; %bb.2376:
	s_cmp_gt_i32 s12, 22
	s_mov_b64 s[2:3], -1
	s_cbranch_scc0 .LBB225_2408
; %bb.2377:
	s_cmp_lt_i32 s12, 24
	s_cbranch_scc1 .LBB225_2397
; %bb.2378:
	s_cmp_gt_i32 s12, 24
	s_cbranch_scc0 .LBB225_2386
; %bb.2379:
	v_cvt_f32_f64_e32 v2, v[18:19]
	v_and_b32_e32 v3, 0x7fffffff, v2
	s_mov_b32 s2, 0x47800000
	v_cmp_gt_u32_e32 vcc, s2, v3
	v_mov_b32_e32 v4, 0x80
	s_and_saveexec_b64 s[2:3], vcc
	s_cbranch_execz .LBB225_2385
; %bb.2380:
	s_mov_b32 s4, 0x37ffffff
	v_cmp_lt_u32_e32 vcc, s4, v3
	s_mov_b64 s[4:5], 0
                                        ; implicit-def: $vgpr3
	s_and_saveexec_b64 s[6:7], vcc
	s_xor_b64 s[6:7], exec, s[6:7]
	s_cbranch_execz .LBB225_2437
; %bb.2381:
	v_bfe_u32 v3, v2, 21, 1
	s_mov_b32 s10, 0x88fffff
	v_add3_u32 v3, v2, v3, s10
	s_mov_b64 s[4:5], exec
	v_lshrrev_b32_e32 v3, 21, v3
	s_andn2_saveexec_b64 s[6:7], s[6:7]
	s_cbranch_execnz .LBB225_2438
.LBB225_2382:
	s_or_b64 exec, exec, s[6:7]
	v_mov_b32_e32 v4, 0
	s_and_saveexec_b64 s[6:7], s[4:5]
.LBB225_2383:
	v_lshrrev_b32_e32 v2, 24, v2
	s_movk_i32 s4, 0x80
	v_and_or_b32 v4, v2, s4, v3
.LBB225_2384:
	s_or_b64 exec, exec, s[6:7]
.LBB225_2385:
	s_or_b64 exec, exec, s[2:3]
	s_mov_b64 s[2:3], 0
	global_store_byte v[0:1], v4, off
.LBB225_2386:
	s_and_b64 vcc, exec, s[2:3]
	s_cbranch_vccz .LBB225_2396
; %bb.2387:
	v_cvt_f32_f64_e32 v2, v[18:19]
	v_and_b32_e32 v4, 0x7fffffff, v2
	s_mov_b32 s2, 0x43f00000
	v_cmp_gt_u32_e32 vcc, s2, v4
                                        ; implicit-def: $vgpr3
	s_and_saveexec_b64 s[2:3], vcc
	s_xor_b64 s[2:3], exec, s[2:3]
	s_cbranch_execz .LBB225_2393
; %bb.2388:
	s_mov_b32 s4, 0x3c7fffff
	v_cmp_lt_u32_e32 vcc, s4, v4
                                        ; implicit-def: $vgpr3
	s_and_saveexec_b64 s[4:5], vcc
	s_xor_b64 s[4:5], exec, s[4:5]
; %bb.2389:
	v_bfe_u32 v3, v2, 20, 1
	s_mov_b32 s6, 0x407ffff
	v_add3_u32 v3, v2, v3, s6
	v_lshrrev_b32_e32 v4, 20, v3
	v_and_b32_e32 v3, 0xff00000, v3
	s_mov_b32 s6, 0x7f00000
	v_mov_b32_e32 v5, 0x7e
	v_cmp_ne_u32_e32 vcc, s6, v3
	s_nop 1
	v_cndmask_b32_e32 v3, v5, v4, vcc
; %bb.2390:
	s_andn2_saveexec_b64 s[4:5], s[4:5]
; %bb.2391:
	s_mov_b32 s6, 0x46800000
	v_add_f32_e64 v3, |v2|, s6
; %bb.2392:
	s_or_b64 exec, exec, s[4:5]
                                        ; implicit-def: $vgpr4
.LBB225_2393:
	s_andn2_saveexec_b64 s[2:3], s[2:3]
; %bb.2394:
	s_mov_b32 s4, 0x7f800000
	v_mov_b32_e32 v3, 0x7e
	v_mov_b32_e32 v5, 0x7f
	v_cmp_lt_u32_e32 vcc, s4, v4
	s_nop 1
	v_cndmask_b32_e32 v3, v3, v5, vcc
; %bb.2395:
	s_or_b64 exec, exec, s[2:3]
	v_lshrrev_b32_e32 v2, 24, v2
	s_movk_i32 s2, 0x80
	v_and_or_b32 v2, v2, s2, v3
	global_store_byte v[0:1], v2, off
.LBB225_2396:
	s_mov_b64 s[2:3], 0
.LBB225_2397:
	s_andn2_b64 vcc, exec, s[2:3]
	s_cbranch_vccnz .LBB225_2407
; %bb.2398:
	v_cvt_f32_f64_e32 v2, v[18:19]
	v_and_b32_e32 v4, 0x7fffffff, v2
	s_mov_b32 s2, 0x47800000
	v_cmp_gt_u32_e32 vcc, s2, v4
                                        ; implicit-def: $vgpr3
	s_and_saveexec_b64 s[2:3], vcc
	s_xor_b64 s[2:3], exec, s[2:3]
	s_cbranch_execz .LBB225_2404
; %bb.2399:
	s_mov_b32 s4, 0x387fffff
	v_cmp_lt_u32_e32 vcc, s4, v4
                                        ; implicit-def: $vgpr3
	s_and_saveexec_b64 s[4:5], vcc
	s_xor_b64 s[4:5], exec, s[4:5]
; %bb.2400:
	v_bfe_u32 v3, v2, 21, 1
	s_mov_b32 s6, 0x80fffff
	v_add3_u32 v3, v2, v3, s6
	v_lshrrev_b32_e32 v3, 21, v3
; %bb.2401:
	s_andn2_saveexec_b64 s[4:5], s[4:5]
; %bb.2402:
	s_mov_b32 s6, 0x43000000
	v_add_f32_e64 v3, |v2|, s6
; %bb.2403:
	s_or_b64 exec, exec, s[4:5]
                                        ; implicit-def: $vgpr4
.LBB225_2404:
	s_andn2_saveexec_b64 s[2:3], s[2:3]
; %bb.2405:
	s_mov_b32 s4, 0x7f800000
	v_mov_b32_e32 v3, 0x7c
	v_mov_b32_e32 v5, 0x7f
	v_cmp_lt_u32_e32 vcc, s4, v4
	s_nop 1
	v_cndmask_b32_e32 v3, v3, v5, vcc
; %bb.2406:
	s_or_b64 exec, exec, s[2:3]
	v_lshrrev_b32_e32 v2, 24, v2
	s_movk_i32 s2, 0x80
	v_and_or_b32 v2, v2, s2, v3
	global_store_byte v[0:1], v2, off
.LBB225_2407:
	s_mov_b64 s[2:3], 0
.LBB225_2408:
	s_andn2_b64 vcc, exec, s[2:3]
	s_mov_b64 s[2:3], 0
	s_cbranch_vccnz .LBB225_2415
; %bb.2409:
	s_cmp_gt_i32 s12, 14
	s_mov_b64 s[4:5], -1
	s_cbranch_scc0 .LBB225_2413
; %bb.2410:
	s_cmp_eq_u32 s12, 15
	s_mov_b64 s[0:1], -1
	s_cbranch_scc0 .LBB225_2412
; %bb.2411:
	v_cvt_f32_f64_e32 v2, v[18:19]
	v_bfe_u32 v3, v2, 16, 1
	s_movk_i32 s0, 0x7fff
	v_add3_u32 v3, v2, v3, s0
	v_cmp_o_f32_e32 vcc, v2, v2
	v_mov_b32_e32 v2, 0x7fc0
	s_mov_b64 s[0:1], 0
	v_cndmask_b32_sdwa v2, v2, v3, vcc dst_sel:DWORD dst_unused:UNUSED_PAD src0_sel:DWORD src1_sel:WORD_1
	global_store_short v[0:1], v2, off
.LBB225_2412:
	s_mov_b64 s[4:5], 0
.LBB225_2413:
	s_and_b64 vcc, exec, s[4:5]
	s_cbranch_vccz .LBB225_2415
; %bb.2414:
	s_cmp_lg_u32 s12, 11
	s_mov_b64 s[2:3], -1
	s_cselect_b64 s[0:1], -1, 0
.LBB225_2415:
	s_and_b64 vcc, exec, s[0:1]
	s_cbranch_vccnz .LBB225_2436
.LBB225_2416:
	s_mov_b64 s[0:1], 0
	s_branch .LBB225_1922
.LBB225_2417:
	s_mov_b64 s[0:1], 0
                                        ; implicit-def: $vgpr0_vgpr1
                                        ; implicit-def: $sgpr14
	s_branch .LBB225_1921
.LBB225_2418:
	s_mov_b64 s[2:3], 0
	s_mov_b64 s[0:1], -1
	s_branch .LBB225_1922
.LBB225_2419:
	s_andn2_saveexec_b64 s[12:13], s[12:13]
	s_cbranch_execz .LBB225_2012
.LBB225_2420:
	s_mov_b32 s16, 0x46000000
	v_add_f32_e64 v11, |v10|, s16
	v_and_b32_e32 v11, 0xff, v11
	v_cmp_ne_u32_e32 vcc, 0, v11
	s_andn2_b64 s[10:11], s[10:11], exec
	s_and_b64 s[16:17], vcc, exec
	s_or_b64 s[10:11], s[10:11], s[16:17]
	s_or_b64 exec, exec, s[12:13]
	v_mov_b32_e32 v21, 0
	s_and_saveexec_b64 s[12:13], s[10:11]
	s_cbranch_execnz .LBB225_2013
	s_branch .LBB225_2014
.LBB225_2421:
	s_trap 2
	s_or_b64 s[8:9], s[8:9], exec
	s_cbranch_execz .LBB225_2060
	s_branch .LBB225_2061
.LBB225_2422:
	s_andn2_saveexec_b64 s[10:11], s[10:11]
	s_cbranch_execz .LBB225_2025
.LBB225_2423:
	s_mov_b32 s12, 0x42800000
	v_add_f32_e64 v11, |v10|, s12
	v_and_b32_e32 v11, 0xff, v11
	v_cmp_ne_u32_e32 vcc, 0, v11
	s_andn2_b64 s[6:7], s[6:7], exec
	s_and_b64 s[12:13], vcc, exec
	s_or_b64 s[6:7], s[6:7], s[12:13]
	s_or_b64 exec, exec, s[10:11]
	v_mov_b32_e32 v21, 0
	s_and_saveexec_b64 s[10:11], s[6:7]
	s_cbranch_execnz .LBB225_2026
	s_branch .LBB225_2027
.LBB225_2424:
	s_andn2_saveexec_b64 s[12:13], s[12:13]
	s_cbranch_execz .LBB225_2131
.LBB225_2425:
	s_mov_b32 s16, 0x46000000
	v_add_f32_e64 v3, |v2|, s16
	v_and_b32_e32 v3, 0xff, v3
	v_cmp_ne_u32_e32 vcc, 0, v3
	s_andn2_b64 s[10:11], s[10:11], exec
	s_and_b64 s[16:17], vcc, exec
	s_or_b64 s[10:11], s[10:11], s[16:17]
	s_or_b64 exec, exec, s[12:13]
	v_mov_b32_e32 v10, 0
	s_and_saveexec_b64 s[12:13], s[10:11]
	s_cbranch_execnz .LBB225_2132
	s_branch .LBB225_2133
.LBB225_2426:
	s_trap 2
	s_or_b64 s[8:9], s[8:9], exec
	s_cbranch_execz .LBB225_2179
	s_branch .LBB225_2180
.LBB225_2427:
	s_andn2_saveexec_b64 s[10:11], s[10:11]
	s_cbranch_execz .LBB225_2144
.LBB225_2428:
	s_mov_b32 s12, 0x42800000
	v_add_f32_e64 v3, |v2|, s12
	v_and_b32_e32 v3, 0xff, v3
	v_cmp_ne_u32_e32 vcc, 0, v3
	s_andn2_b64 s[6:7], s[6:7], exec
	s_and_b64 s[12:13], vcc, exec
	s_or_b64 s[6:7], s[6:7], s[12:13]
	s_or_b64 exec, exec, s[10:11]
	v_mov_b32_e32 v10, 0
	s_and_saveexec_b64 s[10:11], s[6:7]
	s_cbranch_execnz .LBB225_2145
	s_branch .LBB225_2146
.LBB225_2429:
	s_andn2_saveexec_b64 s[12:13], s[12:13]
	s_cbranch_execz .LBB225_2250
.LBB225_2430:
	s_mov_b32 s16, 0x46000000
	v_add_f32_e64 v3, |v2|, s16
	v_and_b32_e32 v3, 0xff, v3
	v_cmp_ne_u32_e32 vcc, 0, v3
	s_andn2_b64 s[10:11], s[10:11], exec
	s_and_b64 s[16:17], vcc, exec
	s_or_b64 s[10:11], s[10:11], s[16:17]
	s_or_b64 exec, exec, s[12:13]
	v_mov_b32_e32 v6, 0
	s_and_saveexec_b64 s[12:13], s[10:11]
	s_cbranch_execnz .LBB225_2251
	s_branch .LBB225_2252
.LBB225_2431:
	s_trap 2
	s_or_b64 s[8:9], s[8:9], exec
	s_cbranch_execz .LBB225_2298
	s_branch .LBB225_2299
.LBB225_2432:
	s_andn2_saveexec_b64 s[10:11], s[10:11]
	s_cbranch_execz .LBB225_2263
.LBB225_2433:
	s_mov_b32 s12, 0x42800000
	v_add_f32_e64 v3, |v2|, s12
	v_and_b32_e32 v3, 0xff, v3
	v_cmp_ne_u32_e32 vcc, 0, v3
	s_andn2_b64 s[6:7], s[6:7], exec
	s_and_b64 s[12:13], vcc, exec
	s_or_b64 s[6:7], s[6:7], s[12:13]
	s_or_b64 exec, exec, s[10:11]
	v_mov_b32_e32 v6, 0
	s_and_saveexec_b64 s[10:11], s[6:7]
	s_cbranch_execnz .LBB225_2264
	s_branch .LBB225_2265
.LBB225_2434:
	s_andn2_saveexec_b64 s[10:11], s[10:11]
	s_cbranch_execz .LBB225_2370
.LBB225_2435:
	s_mov_b32 s13, 0x46000000
	v_add_f32_e64 v3, |v2|, s13
	v_and_b32_e32 v3, 0xff, v3
	v_cmp_ne_u32_e32 vcc, 0, v3
	s_andn2_b64 s[6:7], s[6:7], exec
	s_and_b64 s[16:17], vcc, exec
	s_or_b64 s[6:7], s[6:7], s[16:17]
	s_or_b64 exec, exec, s[10:11]
	v_mov_b32_e32 v4, 0
	s_and_saveexec_b64 s[10:11], s[6:7]
	s_cbranch_execnz .LBB225_2371
	s_branch .LBB225_2372
.LBB225_2436:
	s_mov_b64 s[2:3], 0
	s_or_b64 s[8:9], s[8:9], exec
	s_trap 2
	s_branch .LBB225_2416
.LBB225_2437:
	s_andn2_saveexec_b64 s[6:7], s[6:7]
	s_cbranch_execz .LBB225_2382
.LBB225_2438:
	s_mov_b32 s10, 0x42800000
	v_add_f32_e64 v3, |v2|, s10
	v_and_b32_e32 v3, 0xff, v3
	v_cmp_ne_u32_e32 vcc, 0, v3
	s_andn2_b64 s[4:5], s[4:5], exec
	s_and_b64 s[10:11], vcc, exec
	s_or_b64 s[4:5], s[4:5], s[10:11]
	s_or_b64 exec, exec, s[6:7]
	v_mov_b32_e32 v4, 0
	s_and_saveexec_b64 s[6:7], s[4:5]
	s_cbranch_execnz .LBB225_2383
	s_branch .LBB225_2384
	.section	.rodata,"a",@progbits
	.p2align	6, 0x0
	.amdhsa_kernel _ZN2at6native32elementwise_kernel_manual_unrollILi128ELi4EZNS0_15gpu_kernel_implIZZZNS0_16sqrt_kernel_cudaERNS_18TensorIteratorBaseEENKUlvE_clEvENKUlvE_clEvEUlN3c107complexIdEEE_EEvS4_RKT_EUlibE0_EEviT1_
		.amdhsa_group_segment_fixed_size 0
		.amdhsa_private_segment_fixed_size 0
		.amdhsa_kernarg_size 360
		.amdhsa_user_sgpr_count 2
		.amdhsa_user_sgpr_dispatch_ptr 0
		.amdhsa_user_sgpr_queue_ptr 0
		.amdhsa_user_sgpr_kernarg_segment_ptr 1
		.amdhsa_user_sgpr_dispatch_id 0
		.amdhsa_user_sgpr_kernarg_preload_length 0
		.amdhsa_user_sgpr_kernarg_preload_offset 0
		.amdhsa_user_sgpr_private_segment_size 0
		.amdhsa_uses_dynamic_stack 0
		.amdhsa_enable_private_segment 0
		.amdhsa_system_sgpr_workgroup_id_x 1
		.amdhsa_system_sgpr_workgroup_id_y 0
		.amdhsa_system_sgpr_workgroup_id_z 0
		.amdhsa_system_sgpr_workgroup_info 0
		.amdhsa_system_vgpr_workitem_id 0
		.amdhsa_next_free_vgpr 34
		.amdhsa_next_free_sgpr 78
		.amdhsa_accum_offset 36
		.amdhsa_reserve_vcc 1
		.amdhsa_float_round_mode_32 0
		.amdhsa_float_round_mode_16_64 0
		.amdhsa_float_denorm_mode_32 3
		.amdhsa_float_denorm_mode_16_64 3
		.amdhsa_dx10_clamp 1
		.amdhsa_ieee_mode 1
		.amdhsa_fp16_overflow 0
		.amdhsa_tg_split 0
		.amdhsa_exception_fp_ieee_invalid_op 0
		.amdhsa_exception_fp_denorm_src 0
		.amdhsa_exception_fp_ieee_div_zero 0
		.amdhsa_exception_fp_ieee_overflow 0
		.amdhsa_exception_fp_ieee_underflow 0
		.amdhsa_exception_fp_ieee_inexact 0
		.amdhsa_exception_int_div_zero 0
	.end_amdhsa_kernel
	.section	.text._ZN2at6native32elementwise_kernel_manual_unrollILi128ELi4EZNS0_15gpu_kernel_implIZZZNS0_16sqrt_kernel_cudaERNS_18TensorIteratorBaseEENKUlvE_clEvENKUlvE_clEvEUlN3c107complexIdEEE_EEvS4_RKT_EUlibE0_EEviT1_,"axG",@progbits,_ZN2at6native32elementwise_kernel_manual_unrollILi128ELi4EZNS0_15gpu_kernel_implIZZZNS0_16sqrt_kernel_cudaERNS_18TensorIteratorBaseEENKUlvE_clEvENKUlvE_clEvEUlN3c107complexIdEEE_EEvS4_RKT_EUlibE0_EEviT1_,comdat
.Lfunc_end225:
	.size	_ZN2at6native32elementwise_kernel_manual_unrollILi128ELi4EZNS0_15gpu_kernel_implIZZZNS0_16sqrt_kernel_cudaERNS_18TensorIteratorBaseEENKUlvE_clEvENKUlvE_clEvEUlN3c107complexIdEEE_EEvS4_RKT_EUlibE0_EEviT1_, .Lfunc_end225-_ZN2at6native32elementwise_kernel_manual_unrollILi128ELi4EZNS0_15gpu_kernel_implIZZZNS0_16sqrt_kernel_cudaERNS_18TensorIteratorBaseEENKUlvE_clEvENKUlvE_clEvEUlN3c107complexIdEEE_EEvS4_RKT_EUlibE0_EEviT1_
                                        ; -- End function
	.set _ZN2at6native32elementwise_kernel_manual_unrollILi128ELi4EZNS0_15gpu_kernel_implIZZZNS0_16sqrt_kernel_cudaERNS_18TensorIteratorBaseEENKUlvE_clEvENKUlvE_clEvEUlN3c107complexIdEEE_EEvS4_RKT_EUlibE0_EEviT1_.num_vgpr, 34
	.set _ZN2at6native32elementwise_kernel_manual_unrollILi128ELi4EZNS0_15gpu_kernel_implIZZZNS0_16sqrt_kernel_cudaERNS_18TensorIteratorBaseEENKUlvE_clEvENKUlvE_clEvEUlN3c107complexIdEEE_EEvS4_RKT_EUlibE0_EEviT1_.num_agpr, 0
	.set _ZN2at6native32elementwise_kernel_manual_unrollILi128ELi4EZNS0_15gpu_kernel_implIZZZNS0_16sqrt_kernel_cudaERNS_18TensorIteratorBaseEENKUlvE_clEvENKUlvE_clEvEUlN3c107complexIdEEE_EEvS4_RKT_EUlibE0_EEviT1_.numbered_sgpr, 78
	.set _ZN2at6native32elementwise_kernel_manual_unrollILi128ELi4EZNS0_15gpu_kernel_implIZZZNS0_16sqrt_kernel_cudaERNS_18TensorIteratorBaseEENKUlvE_clEvENKUlvE_clEvEUlN3c107complexIdEEE_EEvS4_RKT_EUlibE0_EEviT1_.num_named_barrier, 0
	.set _ZN2at6native32elementwise_kernel_manual_unrollILi128ELi4EZNS0_15gpu_kernel_implIZZZNS0_16sqrt_kernel_cudaERNS_18TensorIteratorBaseEENKUlvE_clEvENKUlvE_clEvEUlN3c107complexIdEEE_EEvS4_RKT_EUlibE0_EEviT1_.private_seg_size, 0
	.set _ZN2at6native32elementwise_kernel_manual_unrollILi128ELi4EZNS0_15gpu_kernel_implIZZZNS0_16sqrt_kernel_cudaERNS_18TensorIteratorBaseEENKUlvE_clEvENKUlvE_clEvEUlN3c107complexIdEEE_EEvS4_RKT_EUlibE0_EEviT1_.uses_vcc, 1
	.set _ZN2at6native32elementwise_kernel_manual_unrollILi128ELi4EZNS0_15gpu_kernel_implIZZZNS0_16sqrt_kernel_cudaERNS_18TensorIteratorBaseEENKUlvE_clEvENKUlvE_clEvEUlN3c107complexIdEEE_EEvS4_RKT_EUlibE0_EEviT1_.uses_flat_scratch, 0
	.set _ZN2at6native32elementwise_kernel_manual_unrollILi128ELi4EZNS0_15gpu_kernel_implIZZZNS0_16sqrt_kernel_cudaERNS_18TensorIteratorBaseEENKUlvE_clEvENKUlvE_clEvEUlN3c107complexIdEEE_EEvS4_RKT_EUlibE0_EEviT1_.has_dyn_sized_stack, 0
	.set _ZN2at6native32elementwise_kernel_manual_unrollILi128ELi4EZNS0_15gpu_kernel_implIZZZNS0_16sqrt_kernel_cudaERNS_18TensorIteratorBaseEENKUlvE_clEvENKUlvE_clEvEUlN3c107complexIdEEE_EEvS4_RKT_EUlibE0_EEviT1_.has_recursion, 0
	.set _ZN2at6native32elementwise_kernel_manual_unrollILi128ELi4EZNS0_15gpu_kernel_implIZZZNS0_16sqrt_kernel_cudaERNS_18TensorIteratorBaseEENKUlvE_clEvENKUlvE_clEvEUlN3c107complexIdEEE_EEvS4_RKT_EUlibE0_EEviT1_.has_indirect_call, 0
	.section	.AMDGPU.csdata,"",@progbits
; Kernel info:
; codeLenInByte = 54400
; TotalNumSgprs: 84
; NumVgprs: 34
; NumAgprs: 0
; TotalNumVgprs: 34
; ScratchSize: 0
; MemoryBound: 1
; FloatMode: 240
; IeeeMode: 1
; LDSByteSize: 0 bytes/workgroup (compile time only)
; SGPRBlocks: 10
; VGPRBlocks: 4
; NumSGPRsForWavesPerEU: 84
; NumVGPRsForWavesPerEU: 34
; AccumOffset: 36
; Occupancy: 8
; WaveLimiterHint : 1
; COMPUTE_PGM_RSRC2:SCRATCH_EN: 0
; COMPUTE_PGM_RSRC2:USER_SGPR: 2
; COMPUTE_PGM_RSRC2:TRAP_HANDLER: 0
; COMPUTE_PGM_RSRC2:TGID_X_EN: 1
; COMPUTE_PGM_RSRC2:TGID_Y_EN: 0
; COMPUTE_PGM_RSRC2:TGID_Z_EN: 0
; COMPUTE_PGM_RSRC2:TIDIG_COMP_CNT: 0
; COMPUTE_PGM_RSRC3_GFX90A:ACCUM_OFFSET: 8
; COMPUTE_PGM_RSRC3_GFX90A:TG_SPLIT: 0
	.section	.text._ZN2at6native29vectorized_elementwise_kernelILi16EZZZNS0_16sqrt_kernel_cudaERNS_18TensorIteratorBaseEENKUlvE_clEvENKUlvE0_clEvEUlN3c107complexIfEEE_St5arrayIPcLm2EEEEviT0_T1_,"axG",@progbits,_ZN2at6native29vectorized_elementwise_kernelILi16EZZZNS0_16sqrt_kernel_cudaERNS_18TensorIteratorBaseEENKUlvE_clEvENKUlvE0_clEvEUlN3c107complexIfEEE_St5arrayIPcLm2EEEEviT0_T1_,comdat
	.globl	_ZN2at6native29vectorized_elementwise_kernelILi16EZZZNS0_16sqrt_kernel_cudaERNS_18TensorIteratorBaseEENKUlvE_clEvENKUlvE0_clEvEUlN3c107complexIfEEE_St5arrayIPcLm2EEEEviT0_T1_ ; -- Begin function _ZN2at6native29vectorized_elementwise_kernelILi16EZZZNS0_16sqrt_kernel_cudaERNS_18TensorIteratorBaseEENKUlvE_clEvENKUlvE0_clEvEUlN3c107complexIfEEE_St5arrayIPcLm2EEEEviT0_T1_
	.p2align	8
	.type	_ZN2at6native29vectorized_elementwise_kernelILi16EZZZNS0_16sqrt_kernel_cudaERNS_18TensorIteratorBaseEENKUlvE_clEvENKUlvE0_clEvEUlN3c107complexIfEEE_St5arrayIPcLm2EEEEviT0_T1_,@function
_ZN2at6native29vectorized_elementwise_kernelILi16EZZZNS0_16sqrt_kernel_cudaERNS_18TensorIteratorBaseEENKUlvE_clEvENKUlvE0_clEvEUlN3c107complexIfEEE_St5arrayIPcLm2EEEEviT0_T1_: ; @_ZN2at6native29vectorized_elementwise_kernelILi16EZZZNS0_16sqrt_kernel_cudaERNS_18TensorIteratorBaseEENKUlvE_clEvENKUlvE0_clEvEUlN3c107complexIfEEE_St5arrayIPcLm2EEEEviT0_T1_
; %bb.0:
	s_load_dword s3, s[0:1], 0x0
	s_load_dwordx4 s[8:11], s[0:1], 0x8
	s_lshl_b32 s6, s2, 10
	s_mov_b64 s[0:1], -1
	s_waitcnt lgkmcnt(0)
	s_sub_i32 s24, s3, s6
	s_cmpk_gt_i32 s24, 0x3ff
	s_cbranch_scc0 .LBB226_122
; %bb.1:
	s_ashr_i32 s7, s6, 31
	s_lshl_b64 s[4:5], s[6:7], 3
	s_add_u32 s0, s10, s4
	s_addc_u32 s1, s11, s5
	v_lshlrev_b32_e32 v1, 5, v0
	global_load_dwordx4 v[10:13], v1, s[0:1]
	global_load_dwordx4 v[6:9], v1, s[0:1] offset:16
	v_mov_b32_e32 v4, 0
	v_mov_b32_e32 v2, 0
	s_waitcnt vmcnt(1)
	v_cmp_neq_f32_e32 vcc, 0, v10
	v_cmp_neq_f32_e64 s[0:1], 0, v11
	s_or_b64 s[0:1], vcc, s[0:1]
	v_mov_b32_e32 v3, v11
	s_and_saveexec_b64 s[12:13], s[0:1]
	s_cbranch_execz .LBB226_31
; %bb.2:
	v_mov_b32_e32 v2, 0x7f800000
	v_cmp_neq_f32_e64 s[0:1], |v11|, v2
	v_mov_b32_e32 v3, v11
	s_and_saveexec_b64 s[14:15], s[0:1]
	s_cbranch_execz .LBB226_30
; %bb.3:
	v_cmp_o_f32_e32 vcc, v10, v10
	s_and_saveexec_b64 s[0:1], vcc
	s_xor_b64 s[16:17], exec, s[0:1]
	s_cbranch_execz .LBB226_27
; %bb.4:
	s_mov_b32 s0, 0x7f800000
	v_cmp_neq_f32_e64 s[0:1], |v10|, s0
	s_and_saveexec_b64 s[2:3], s[0:1]
	s_xor_b64 s[18:19], exec, s[2:3]
	s_cbranch_execz .LBB226_20
; %bb.5:
	v_max_f32_e64 v2, |v11|, |v11|
	v_max_f32_e64 v3, |v10|, |v10|
	v_max_f32_e32 v2, v3, v2
	s_mov_b32 s0, 0x7ed413cb
	v_cmp_nle_f32_e64 s[0:1], s0, v2
                                        ; implicit-def: $sgpr20_sgpr21
                                        ; implicit-def: $vgpr3
	s_and_saveexec_b64 s[2:3], s[0:1]
	s_xor_b64 s[2:3], exec, s[2:3]
	s_cbranch_execz .LBB226_9
; %bb.6:
	s_mov_b32 s7, 0x1000000
	v_cmp_le_f32_e64 s[20:21], |v10|, s7
	v_cmp_le_f32_e64 s[22:23], |v11|, s7
	s_and_b64 s[26:27], s[20:21], s[22:23]
	s_mov_b64 s[20:21], 0
	v_mov_b32_e32 v3, v10
	v_mov_b32_e32 v2, v11
	s_and_saveexec_b64 s[22:23], s[26:27]
; %bb.7:
	v_mov_b32_e32 v2, v11
	v_mov_b32_e32 v3, v10
	s_mov_b64 s[20:21], exec
	v_pk_mul_f32 v[2:3], v[2:3], 4.0 op_sel_hi:[1,0]
; %bb.8:
	s_or_b64 exec, exec, s[22:23]
.LBB226_9:
	s_andn2_saveexec_b64 s[2:3], s[2:3]
; %bb.10:
	v_mov_b32_e32 v2, v11
	v_mov_b32_e32 v3, v10
	s_mov_b32 s22, 0x3e800000
	v_pk_mul_f32 v[2:3], v[2:3], s[22:23] op_sel_hi:[1,0]
	s_andn2_b64 s[20:21], s[20:21], exec
; %bb.11:
	s_or_b64 exec, exec, s[2:3]
	v_max_f32_e64 v5, |v2|, |v2|
	v_max_f32_e64 v14, |v3|, |v3|
	v_max_f32_e32 v5, v14, v5
	v_cvt_f64_f32_e32 v[14:15], v5
	v_frexp_exp_i32_f64_e32 v14, v[14:15]
	v_sub_u32_e32 v15, 0, v14
	v_ldexp_f32 v16, |v3|, v15
	v_ldexp_f32 v15, |v2|, v15
	v_mul_f32_e32 v15, v15, v15
	v_fmac_f32_e32 v15, v16, v16
	v_sqrt_f32_e32 v15, v15
	s_mov_b32 s2, 0x7f800000
	v_cmp_neq_f32_e64 s[2:3], s2, v5
	v_cmp_le_f32_e32 vcc, 0, v3
	v_ldexp_f32 v14, v15, v14
	v_mov_b32_e32 v15, 0x7f800000
	v_cndmask_b32_e64 v15, v15, v14, s[2:3]
                                        ; implicit-def: $vgpr14
                                        ; implicit-def: $vgpr5
	s_and_saveexec_b64 s[2:3], vcc
	s_xor_b64 s[22:23], exec, s[2:3]
	s_cbranch_execz .LBB226_15
; %bb.12:
	v_add_f32_e32 v3, v3, v15
	v_mul_f32_e32 v3, 0.5, v3
	s_mov_b32 s2, 0xf800000
	v_mul_f32_e32 v5, 0x4f800000, v3
	v_cmp_gt_f32_e32 vcc, s2, v3
	s_nop 1
	v_cndmask_b32_e32 v3, v3, v5, vcc
	v_sqrt_f32_e32 v5, v3
	s_nop 0
	v_add_u32_e32 v14, -1, v5
	v_fma_f32 v15, -v14, v5, v3
	v_cmp_ge_f32_e64 s[2:3], 0, v15
	v_add_u32_e32 v15, 1, v5
	s_nop 0
	v_cndmask_b32_e64 v14, v5, v14, s[2:3]
	v_fma_f32 v5, -v15, v5, v3
	v_cmp_lt_f32_e64 s[2:3], 0, v5
	s_nop 1
	v_cndmask_b32_e64 v5, v14, v15, s[2:3]
	v_mul_f32_e32 v14, 0x37800000, v5
	v_cndmask_b32_e32 v5, v5, v14, vcc
	v_mov_b32_e32 v14, 0x260
	v_cmp_class_f32_e32 vcc, v3, v14
	s_nop 1
	v_cndmask_b32_e32 v5, v5, v3, vcc
	v_add_f32_e32 v3, v5, v5
	v_div_scale_f32 v14, s[2:3], v3, v3, v2
	v_rcp_f32_e32 v15, v14
	s_nop 0
	v_fma_f32 v16, -v14, v15, 1.0
	v_fmac_f32_e32 v15, v16, v15
	v_div_scale_f32 v16, vcc, v2, v3, v2
	v_mul_f32_e32 v17, v16, v15
	v_fma_f32 v18, -v14, v17, v16
	v_fmac_f32_e32 v17, v18, v15
	v_fma_f32 v14, -v14, v17, v16
	v_div_fmas_f32 v14, v14, v15, v17
	v_div_fixup_f32 v14, v14, v3, v2
                                        ; implicit-def: $vgpr15
                                        ; implicit-def: $vgpr3
	s_andn2_saveexec_b64 s[22:23], s[22:23]
	s_cbranch_execnz .LBB226_16
.LBB226_13:
	s_or_b64 exec, exec, s[22:23]
	s_and_saveexec_b64 s[2:3], s[0:1]
	s_xor_b64 s[0:1], exec, s[2:3]
	s_cbranch_execz .LBB226_17
.LBB226_14:
	v_mul_f32_e32 v2, 0.5, v5
	v_mul_f32_e32 v3, 0.5, v14
	v_cndmask_b32_e64 v2, v5, v2, s[20:21]
	v_cndmask_b32_e64 v3, v14, v3, s[20:21]
                                        ; implicit-def: $vgpr5
                                        ; implicit-def: $vgpr14
	s_andn2_saveexec_b64 s[0:1], s[0:1]
	s_cbranch_execnz .LBB226_18
	s_branch .LBB226_19
.LBB226_15:
	s_andn2_saveexec_b64 s[22:23], s[22:23]
	s_cbranch_execz .LBB226_13
.LBB226_16:
	v_sub_f32_e32 v3, v15, v3
	v_mul_f32_e32 v3, 0.5, v3
	s_mov_b32 s2, 0xf800000
	v_mul_f32_e32 v5, 0x4f800000, v3
	v_cmp_gt_f32_e32 vcc, s2, v3
	s_nop 1
	v_cndmask_b32_e32 v3, v3, v5, vcc
	v_sqrt_f32_e32 v5, v3
	s_nop 0
	v_add_u32_e32 v14, -1, v5
	v_fma_f32 v15, -v14, v5, v3
	v_cmp_ge_f32_e64 s[2:3], 0, v15
	v_add_u32_e32 v15, 1, v5
	s_nop 0
	v_cndmask_b32_e64 v14, v5, v14, s[2:3]
	v_fma_f32 v5, -v15, v5, v3
	v_cmp_lt_f32_e64 s[2:3], 0, v5
	s_nop 1
	v_cndmask_b32_e64 v5, v14, v15, s[2:3]
	v_mul_f32_e32 v14, 0x37800000, v5
	v_cndmask_b32_e32 v5, v5, v14, vcc
	v_mov_b32_e32 v14, 0x260
	v_cmp_class_f32_e32 vcc, v3, v14
	v_and_b32_e32 v14, 0x7fffffff, v2
	s_nop 0
	v_cndmask_b32_e32 v3, v5, v3, vcc
	v_add_f32_e32 v5, v3, v3
	v_div_scale_f32 v15, s[2:3], v5, v5, v14
	v_rcp_f32_e32 v16, v15
	v_div_scale_f32 v14, vcc, v14, v5, v14
	s_brev_b32 s2, -2
	v_fma_f32 v17, -v15, v16, 1.0
	v_fmac_f32_e32 v16, v17, v16
	v_mul_f32_e32 v17, v14, v16
	v_fma_f32 v18, -v15, v17, v14
	v_fmac_f32_e32 v17, v18, v16
	v_fma_f32 v14, -v15, v17, v14
	v_div_fmas_f32 v14, v14, v16, v17
	v_div_fixup_f32 v5, v14, v5, |v2|
	v_bfi_b32 v14, s2, v3, v2
	s_or_b64 exec, exec, s[22:23]
	s_and_saveexec_b64 s[2:3], s[0:1]
	s_xor_b64 s[0:1], exec, s[2:3]
	s_cbranch_execnz .LBB226_14
.LBB226_17:
	s_andn2_saveexec_b64 s[0:1], s[0:1]
.LBB226_18:
	v_add_f32_e32 v2, v5, v5
	v_add_f32_e32 v3, v14, v14
.LBB226_19:
	s_or_b64 exec, exec, s[0:1]
.LBB226_20:
	s_andn2_saveexec_b64 s[0:1], s[18:19]
	s_cbranch_execz .LBB226_26
; %bb.21:
	v_sub_f32_e32 v3, v11, v11
	v_cmp_lt_i32_e32 vcc, -1, v10
	s_brev_b32 s7, -2
	v_and_b32_e32 v2, 0x7fffffff, v3
	s_and_saveexec_b64 s[2:3], vcc
	s_xor_b64 s[2:3], exec, s[2:3]
; %bb.22:
	v_bfi_b32 v3, s7, v3, v11
	v_mov_b32_e32 v2, v10
; %bb.23:
	s_andn2_saveexec_b64 s[2:3], s[2:3]
; %bb.24:
	v_bfi_b32 v3, s7, v10, v11
; %bb.25:
	s_or_b64 exec, exec, s[2:3]
.LBB226_26:
	s_or_b64 exec, exec, s[0:1]
.LBB226_27:
	s_andn2_saveexec_b64 s[0:1], s[16:17]
	s_cbranch_execz .LBB226_29
; %bb.28:
	v_sub_f32_e32 v2, v11, v11
	v_div_scale_f32 v3, vcc, v2, v2, v2
	v_rcp_f32_e32 v5, v3
	s_nop 0
	v_fma_f32 v11, -v3, v5, 1.0
	v_fmac_f32_e32 v5, v11, v5
	v_mul_f32_e32 v11, v3, v5
	v_fma_f32 v14, -v3, v11, v3
	v_fmac_f32_e32 v11, v14, v5
	v_fma_f32 v3, -v3, v11, v3
	v_div_fmas_f32 v3, v3, v5, v11
	v_div_fixup_f32 v3, v3, v2, v2
	v_mov_b32_e32 v2, v10
.LBB226_29:
	s_or_b64 exec, exec, s[0:1]
.LBB226_30:
	s_or_b64 exec, exec, s[14:15]
.LBB226_31:
	s_or_b64 exec, exec, s[12:13]
	v_cmp_neq_f32_e32 vcc, 0, v12
	v_cmp_neq_f32_e64 s[0:1], 0, v13
	s_or_b64 s[0:1], vcc, s[0:1]
	s_and_saveexec_b64 s[12:13], s[0:1]
	s_cbranch_execz .LBB226_61
; %bb.32:
	v_mov_b32_e32 v4, 0x7f800000
	v_cmp_neq_f32_e64 s[0:1], |v13|, v4
	s_and_saveexec_b64 s[14:15], s[0:1]
	s_cbranch_execz .LBB226_60
; %bb.33:
	v_cmp_o_f32_e32 vcc, v12, v12
	s_and_saveexec_b64 s[0:1], vcc
	s_xor_b64 s[16:17], exec, s[0:1]
	s_cbranch_execz .LBB226_57
; %bb.34:
	s_mov_b32 s0, 0x7f800000
	v_cmp_neq_f32_e64 s[0:1], |v12|, s0
	s_and_saveexec_b64 s[2:3], s[0:1]
	s_xor_b64 s[18:19], exec, s[2:3]
	s_cbranch_execz .LBB226_50
; %bb.35:
	v_max_f32_e64 v4, |v13|, |v13|
	v_max_f32_e64 v5, |v12|, |v12|
	v_max_f32_e32 v4, v5, v4
	s_mov_b32 s0, 0x7ed413cb
	v_cmp_nle_f32_e64 s[0:1], s0, v4
                                        ; implicit-def: $sgpr20_sgpr21
	s_and_saveexec_b64 s[2:3], s[0:1]
	s_xor_b64 s[2:3], exec, s[2:3]
	s_cbranch_execz .LBB226_39
; %bb.36:
	s_mov_b32 s7, 0x1000000
	v_cmp_le_f32_e64 s[20:21], |v12|, s7
	v_cmp_le_f32_e64 s[22:23], |v13|, s7
	s_and_b64 s[26:27], s[20:21], s[22:23]
	s_mov_b64 s[20:21], 0
	s_and_saveexec_b64 s[22:23], s[26:27]
; %bb.37:
	v_mov_b32_e32 v4, v13
	v_mov_b32_e32 v5, v12
	v_pk_mul_f32 v[4:5], v[4:5], 4.0 op_sel_hi:[1,0]
	s_mov_b64 s[20:21], exec
	v_mov_b32_e32 v12, v5
	v_mov_b32_e32 v13, v4
; %bb.38:
	s_or_b64 exec, exec, s[22:23]
.LBB226_39:
	s_andn2_saveexec_b64 s[2:3], s[2:3]
; %bb.40:
	v_mov_b32_e32 v4, v13
	v_mov_b32_e32 v5, v12
	s_mov_b32 s22, 0x3e800000
	v_pk_mul_f32 v[4:5], v[4:5], s[22:23] op_sel_hi:[1,0]
	s_andn2_b64 s[20:21], s[20:21], exec
	v_mov_b32_e32 v13, v4
	v_mov_b32_e32 v12, v5
; %bb.41:
	s_or_b64 exec, exec, s[2:3]
	v_max_f32_e64 v4, |v13|, |v13|
	v_max_f32_e64 v5, |v12|, |v12|
	v_max_f32_e32 v10, v5, v4
	v_cvt_f64_f32_e32 v[4:5], v10
	v_frexp_exp_i32_f64_e32 v4, v[4:5]
	v_sub_u32_e32 v5, 0, v4
	v_ldexp_f32 v11, |v12|, v5
	v_ldexp_f32 v5, |v13|, v5
	v_mul_f32_e32 v5, v5, v5
	v_fmac_f32_e32 v5, v11, v11
	v_sqrt_f32_e32 v5, v5
	s_mov_b32 s2, 0x7f800000
	v_cmp_neq_f32_e64 s[2:3], s2, v10
	v_cmp_le_f32_e32 vcc, 0, v12
	v_ldexp_f32 v4, v5, v4
	v_mov_b32_e32 v5, 0x7f800000
	v_cndmask_b32_e64 v4, v5, v4, s[2:3]
                                        ; implicit-def: $vgpr10
                                        ; implicit-def: $vgpr5
	s_and_saveexec_b64 s[2:3], vcc
	s_xor_b64 s[22:23], exec, s[2:3]
	s_cbranch_execz .LBB226_43
; %bb.42:
	v_add_f32_e32 v4, v12, v4
	v_mul_f32_e32 v4, 0.5, v4
	s_mov_b32 s2, 0xf800000
	v_mul_f32_e32 v5, 0x4f800000, v4
	v_cmp_gt_f32_e32 vcc, s2, v4
	s_nop 1
	v_cndmask_b32_e32 v4, v4, v5, vcc
	v_sqrt_f32_e32 v5, v4
	s_nop 0
	v_add_u32_e32 v10, -1, v5
	v_fma_f32 v11, -v10, v5, v4
	v_cmp_ge_f32_e64 s[2:3], 0, v11
	v_add_u32_e32 v11, 1, v5
	s_nop 0
	v_cndmask_b32_e64 v10, v5, v10, s[2:3]
	v_fma_f32 v5, -v11, v5, v4
	v_cmp_lt_f32_e64 s[2:3], 0, v5
	s_nop 1
	v_cndmask_b32_e64 v5, v10, v11, s[2:3]
	v_mul_f32_e32 v10, 0x37800000, v5
	v_cndmask_b32_e32 v5, v5, v10, vcc
	v_mov_b32_e32 v10, 0x260
	v_cmp_class_f32_e32 vcc, v4, v10
	s_nop 1
	v_cndmask_b32_e32 v5, v5, v4, vcc
	v_add_f32_e32 v4, v5, v5
	v_div_scale_f32 v10, s[2:3], v4, v4, v13
	v_rcp_f32_e32 v11, v10
	s_nop 0
	v_fma_f32 v12, -v10, v11, 1.0
	v_fmac_f32_e32 v11, v12, v11
	v_div_scale_f32 v12, vcc, v13, v4, v13
	v_mul_f32_e32 v14, v12, v11
	v_fma_f32 v15, -v10, v14, v12
	v_fmac_f32_e32 v14, v15, v11
	v_fma_f32 v10, -v10, v14, v12
	v_div_fmas_f32 v10, v10, v11, v14
	v_div_fixup_f32 v10, v10, v4, v13
                                        ; implicit-def: $vgpr4
                                        ; implicit-def: $vgpr12
	s_andn2_saveexec_b64 s[22:23], s[22:23]
	s_cbranch_execz .LBB226_45
	s_branch .LBB226_44
.LBB226_43:
	s_andn2_saveexec_b64 s[22:23], s[22:23]
	s_cbranch_execz .LBB226_45
.LBB226_44:
	v_sub_f32_e32 v4, v4, v12
	v_mul_f32_e32 v4, 0.5, v4
	s_mov_b32 s2, 0xf800000
	v_mul_f32_e32 v5, 0x4f800000, v4
	v_cmp_gt_f32_e32 vcc, s2, v4
	s_nop 1
	v_cndmask_b32_e32 v4, v4, v5, vcc
	v_sqrt_f32_e32 v5, v4
	s_nop 0
	v_add_u32_e32 v10, -1, v5
	v_fma_f32 v11, -v10, v5, v4
	v_cmp_ge_f32_e64 s[2:3], 0, v11
	v_add_u32_e32 v11, 1, v5
	s_nop 0
	v_cndmask_b32_e64 v10, v5, v10, s[2:3]
	v_fma_f32 v5, -v11, v5, v4
	v_cmp_lt_f32_e64 s[2:3], 0, v5
	s_nop 1
	v_cndmask_b32_e64 v5, v10, v11, s[2:3]
	v_mul_f32_e32 v10, 0x37800000, v5
	v_cndmask_b32_e32 v5, v5, v10, vcc
	v_mov_b32_e32 v10, 0x260
	v_cmp_class_f32_e32 vcc, v4, v10
	v_and_b32_e32 v10, 0x7fffffff, v13
	s_nop 0
	v_cndmask_b32_e32 v4, v5, v4, vcc
	v_add_f32_e32 v5, v4, v4
	v_div_scale_f32 v11, s[2:3], v5, v5, v10
	v_rcp_f32_e32 v12, v11
	v_div_scale_f32 v10, vcc, v10, v5, v10
	s_brev_b32 s2, -2
	v_fma_f32 v14, -v11, v12, 1.0
	v_fmac_f32_e32 v12, v14, v12
	v_mul_f32_e32 v14, v10, v12
	v_fma_f32 v15, -v11, v14, v10
	v_fmac_f32_e32 v14, v15, v12
	v_fma_f32 v10, -v11, v14, v10
	v_div_fmas_f32 v10, v10, v12, v14
	v_div_fixup_f32 v5, v10, v5, |v13|
	v_bfi_b32 v10, s2, v4, v13
.LBB226_45:
	s_or_b64 exec, exec, s[22:23]
                                        ; implicit-def: $vgpr13
	s_and_saveexec_b64 s[2:3], s[0:1]
	s_xor_b64 s[0:1], exec, s[2:3]
	s_cbranch_execz .LBB226_47
; %bb.46:
	v_mul_f32_e32 v4, 0.5, v5
	v_mul_f32_e32 v11, 0.5, v10
	v_cndmask_b32_e64 v4, v5, v4, s[20:21]
	v_cndmask_b32_e64 v13, v10, v11, s[20:21]
                                        ; implicit-def: $vgpr5
                                        ; implicit-def: $vgpr10
	s_andn2_saveexec_b64 s[0:1], s[0:1]
	s_cbranch_execnz .LBB226_48
	s_branch .LBB226_49
.LBB226_47:
	s_andn2_saveexec_b64 s[0:1], s[0:1]
.LBB226_48:
	v_add_f32_e32 v4, v5, v5
	v_add_f32_e32 v13, v10, v10
.LBB226_49:
	s_or_b64 exec, exec, s[0:1]
.LBB226_50:
	s_andn2_saveexec_b64 s[0:1], s[18:19]
	s_cbranch_execz .LBB226_56
; %bb.51:
	v_sub_f32_e32 v5, v13, v13
	v_cmp_lt_i32_e32 vcc, -1, v12
	s_brev_b32 s7, -2
	v_and_b32_e32 v4, 0x7fffffff, v5
	s_and_saveexec_b64 s[2:3], vcc
	s_xor_b64 s[2:3], exec, s[2:3]
; %bb.52:
	v_bfi_b32 v13, s7, v5, v13
	v_mov_b32_e32 v4, v12
; %bb.53:
	s_andn2_saveexec_b64 s[2:3], s[2:3]
; %bb.54:
	v_bfi_b32 v13, s7, v12, v13
; %bb.55:
	s_or_b64 exec, exec, s[2:3]
.LBB226_56:
	s_or_b64 exec, exec, s[0:1]
.LBB226_57:
	s_andn2_saveexec_b64 s[0:1], s[16:17]
	s_cbranch_execz .LBB226_59
; %bb.58:
	v_sub_f32_e32 v4, v13, v13
	v_div_scale_f32 v5, vcc, v4, v4, v4
	v_rcp_f32_e32 v10, v5
	s_nop 0
	v_fma_f32 v11, -v5, v10, 1.0
	v_fmac_f32_e32 v10, v11, v10
	v_mul_f32_e32 v11, v5, v10
	v_fma_f32 v13, -v5, v11, v5
	v_fmac_f32_e32 v11, v13, v10
	v_fma_f32 v5, -v5, v11, v5
	v_div_fmas_f32 v5, v5, v10, v11
	v_div_fixup_f32 v13, v5, v4, v4
	v_mov_b32_e32 v4, v12
.LBB226_59:
	s_or_b64 exec, exec, s[0:1]
.LBB226_60:
	s_or_b64 exec, exec, s[14:15]
.LBB226_61:
	s_or_b64 exec, exec, s[12:13]
	s_waitcnt vmcnt(0)
	v_cmp_neq_f32_e32 vcc, 0, v6
	v_cmp_neq_f32_e64 s[0:1], 0, v7
	v_mov_b32_e32 v12, 0
	s_or_b64 s[0:1], vcc, s[0:1]
	v_mov_b32_e32 v10, 0
	v_mov_b32_e32 v11, v7
	s_and_saveexec_b64 s[12:13], s[0:1]
	s_cbranch_execz .LBB226_91
; %bb.62:
	v_mov_b32_e32 v10, 0x7f800000
	v_cmp_neq_f32_e64 s[0:1], |v7|, v10
	v_mov_b32_e32 v11, v7
	s_and_saveexec_b64 s[14:15], s[0:1]
	s_cbranch_execz .LBB226_90
; %bb.63:
	v_cmp_o_f32_e32 vcc, v6, v6
	s_and_saveexec_b64 s[0:1], vcc
	s_xor_b64 s[16:17], exec, s[0:1]
	s_cbranch_execz .LBB226_87
; %bb.64:
	s_mov_b32 s0, 0x7f800000
	v_cmp_neq_f32_e64 s[0:1], |v6|, s0
	s_and_saveexec_b64 s[2:3], s[0:1]
	s_xor_b64 s[18:19], exec, s[2:3]
	s_cbranch_execz .LBB226_80
; %bb.65:
	v_max_f32_e64 v5, |v7|, |v7|
	v_max_f32_e64 v10, |v6|, |v6|
	v_max_f32_e32 v5, v10, v5
	s_mov_b32 s0, 0x7ed413cb
	v_cmp_nle_f32_e64 s[0:1], s0, v5
                                        ; implicit-def: $sgpr20_sgpr21
                                        ; implicit-def: $vgpr11
	s_and_saveexec_b64 s[2:3], s[0:1]
	s_xor_b64 s[2:3], exec, s[2:3]
	s_cbranch_execz .LBB226_69
; %bb.66:
	s_mov_b32 s7, 0x1000000
	v_cmp_le_f32_e64 s[20:21], |v6|, s7
	v_cmp_le_f32_e64 s[22:23], |v7|, s7
	s_and_b64 s[26:27], s[20:21], s[22:23]
	s_mov_b64 s[20:21], 0
	v_mov_b32_e32 v11, v6
	v_mov_b32_e32 v10, v7
	s_and_saveexec_b64 s[22:23], s[26:27]
; %bb.67:
	v_mov_b32_e32 v10, v7
	v_mov_b32_e32 v11, v6
	s_mov_b64 s[20:21], exec
	v_pk_mul_f32 v[10:11], v[10:11], 4.0 op_sel_hi:[1,0]
; %bb.68:
	s_or_b64 exec, exec, s[22:23]
.LBB226_69:
	s_andn2_saveexec_b64 s[2:3], s[2:3]
; %bb.70:
	v_mov_b32_e32 v10, v7
	v_mov_b32_e32 v11, v6
	s_mov_b32 s22, 0x3e800000
	v_pk_mul_f32 v[10:11], v[10:11], s[22:23] op_sel_hi:[1,0]
	s_andn2_b64 s[20:21], s[20:21], exec
; %bb.71:
	s_or_b64 exec, exec, s[2:3]
	v_max_f32_e64 v5, |v10|, |v10|
	v_max_f32_e64 v14, |v11|, |v11|
	v_max_f32_e32 v5, v14, v5
	v_cvt_f64_f32_e32 v[14:15], v5
	v_frexp_exp_i32_f64_e32 v14, v[14:15]
	v_sub_u32_e32 v15, 0, v14
	v_ldexp_f32 v16, |v11|, v15
	v_ldexp_f32 v15, |v10|, v15
	v_mul_f32_e32 v15, v15, v15
	v_fmac_f32_e32 v15, v16, v16
	v_sqrt_f32_e32 v15, v15
	s_mov_b32 s2, 0x7f800000
	v_cmp_neq_f32_e64 s[2:3], s2, v5
	v_cmp_le_f32_e32 vcc, 0, v11
	v_ldexp_f32 v14, v15, v14
	v_mov_b32_e32 v15, 0x7f800000
	v_cndmask_b32_e64 v15, v15, v14, s[2:3]
                                        ; implicit-def: $vgpr14
                                        ; implicit-def: $vgpr5
	s_and_saveexec_b64 s[2:3], vcc
	s_xor_b64 s[22:23], exec, s[2:3]
	s_cbranch_execz .LBB226_75
; %bb.72:
	v_add_f32_e32 v5, v11, v15
	v_mul_f32_e32 v5, 0.5, v5
	s_mov_b32 s2, 0xf800000
	v_mul_f32_e32 v11, 0x4f800000, v5
	v_cmp_gt_f32_e32 vcc, s2, v5
	s_nop 1
	v_cndmask_b32_e32 v5, v5, v11, vcc
	v_sqrt_f32_e32 v11, v5
	s_nop 0
	v_add_u32_e32 v14, -1, v11
	v_fma_f32 v15, -v14, v11, v5
	v_cmp_ge_f32_e64 s[2:3], 0, v15
	v_add_u32_e32 v15, 1, v11
	s_nop 0
	v_cndmask_b32_e64 v14, v11, v14, s[2:3]
	v_fma_f32 v11, -v15, v11, v5
	v_cmp_lt_f32_e64 s[2:3], 0, v11
	s_nop 1
	v_cndmask_b32_e64 v11, v14, v15, s[2:3]
	v_mul_f32_e32 v14, 0x37800000, v11
	v_cndmask_b32_e32 v11, v11, v14, vcc
	v_mov_b32_e32 v14, 0x260
	v_cmp_class_f32_e32 vcc, v5, v14
	s_nop 1
	v_cndmask_b32_e32 v5, v11, v5, vcc
	v_add_f32_e32 v11, v5, v5
	v_div_scale_f32 v14, s[2:3], v11, v11, v10
	v_rcp_f32_e32 v15, v14
	s_nop 0
	v_fma_f32 v16, -v14, v15, 1.0
	v_fmac_f32_e32 v15, v16, v15
	v_div_scale_f32 v16, vcc, v10, v11, v10
	v_mul_f32_e32 v17, v16, v15
	v_fma_f32 v18, -v14, v17, v16
	v_fmac_f32_e32 v17, v18, v15
	v_fma_f32 v14, -v14, v17, v16
	v_div_fmas_f32 v14, v14, v15, v17
	v_div_fixup_f32 v14, v14, v11, v10
                                        ; implicit-def: $vgpr15
                                        ; implicit-def: $vgpr11
	s_andn2_saveexec_b64 s[22:23], s[22:23]
	s_cbranch_execnz .LBB226_76
.LBB226_73:
	s_or_b64 exec, exec, s[22:23]
	s_and_saveexec_b64 s[2:3], s[0:1]
	s_xor_b64 s[0:1], exec, s[2:3]
	s_cbranch_execz .LBB226_77
.LBB226_74:
	v_mul_f32_e32 v10, 0.5, v5
	v_mul_f32_e32 v11, 0.5, v14
	v_cndmask_b32_e64 v10, v5, v10, s[20:21]
	v_cndmask_b32_e64 v11, v14, v11, s[20:21]
                                        ; implicit-def: $vgpr5
                                        ; implicit-def: $vgpr14
	s_andn2_saveexec_b64 s[0:1], s[0:1]
	s_cbranch_execnz .LBB226_78
	s_branch .LBB226_79
.LBB226_75:
	s_andn2_saveexec_b64 s[22:23], s[22:23]
	s_cbranch_execz .LBB226_73
.LBB226_76:
	v_sub_f32_e32 v5, v15, v11
	v_mul_f32_e32 v5, 0.5, v5
	s_mov_b32 s2, 0xf800000
	v_mul_f32_e32 v11, 0x4f800000, v5
	v_cmp_gt_f32_e32 vcc, s2, v5
	s_nop 1
	v_cndmask_b32_e32 v5, v5, v11, vcc
	v_sqrt_f32_e32 v11, v5
	s_nop 0
	v_add_u32_e32 v14, -1, v11
	v_fma_f32 v15, -v14, v11, v5
	v_cmp_ge_f32_e64 s[2:3], 0, v15
	v_add_u32_e32 v15, 1, v11
	s_nop 0
	v_cndmask_b32_e64 v14, v11, v14, s[2:3]
	v_fma_f32 v11, -v15, v11, v5
	v_cmp_lt_f32_e64 s[2:3], 0, v11
	s_nop 1
	v_cndmask_b32_e64 v11, v14, v15, s[2:3]
	v_mul_f32_e32 v14, 0x37800000, v11
	v_cndmask_b32_e32 v11, v11, v14, vcc
	v_mov_b32_e32 v14, 0x260
	v_cmp_class_f32_e32 vcc, v5, v14
	v_and_b32_e32 v14, 0x7fffffff, v10
	s_nop 0
	v_cndmask_b32_e32 v11, v11, v5, vcc
	v_add_f32_e32 v5, v11, v11
	v_div_scale_f32 v15, s[2:3], v5, v5, v14
	v_rcp_f32_e32 v16, v15
	v_div_scale_f32 v14, vcc, v14, v5, v14
	s_brev_b32 s2, -2
	v_fma_f32 v17, -v15, v16, 1.0
	v_fmac_f32_e32 v16, v17, v16
	v_mul_f32_e32 v17, v14, v16
	v_fma_f32 v18, -v15, v17, v14
	v_fmac_f32_e32 v17, v18, v16
	v_fma_f32 v14, -v15, v17, v14
	v_div_fmas_f32 v14, v14, v16, v17
	v_div_fixup_f32 v5, v14, v5, |v10|
	v_bfi_b32 v14, s2, v11, v10
	s_or_b64 exec, exec, s[22:23]
	s_and_saveexec_b64 s[2:3], s[0:1]
	s_xor_b64 s[0:1], exec, s[2:3]
	s_cbranch_execnz .LBB226_74
.LBB226_77:
	s_andn2_saveexec_b64 s[0:1], s[0:1]
.LBB226_78:
	v_add_f32_e32 v10, v5, v5
	v_add_f32_e32 v11, v14, v14
.LBB226_79:
	s_or_b64 exec, exec, s[0:1]
.LBB226_80:
	s_andn2_saveexec_b64 s[0:1], s[18:19]
	s_cbranch_execz .LBB226_86
; %bb.81:
	v_sub_f32_e32 v5, v7, v7
	v_cmp_lt_i32_e32 vcc, -1, v6
	s_brev_b32 s7, -2
	v_and_b32_e32 v10, 0x7fffffff, v5
	s_and_saveexec_b64 s[2:3], vcc
	s_xor_b64 s[2:3], exec, s[2:3]
; %bb.82:
	v_bfi_b32 v11, s7, v5, v7
	v_mov_b32_e32 v10, v6
; %bb.83:
	s_andn2_saveexec_b64 s[2:3], s[2:3]
; %bb.84:
	v_bfi_b32 v11, s7, v6, v7
; %bb.85:
	s_or_b64 exec, exec, s[2:3]
.LBB226_86:
	s_or_b64 exec, exec, s[0:1]
.LBB226_87:
	s_andn2_saveexec_b64 s[0:1], s[16:17]
	s_cbranch_execz .LBB226_89
; %bb.88:
	v_sub_f32_e32 v5, v7, v7
	v_div_scale_f32 v7, vcc, v5, v5, v5
	v_rcp_f32_e32 v10, v7
	s_nop 0
	v_fma_f32 v11, -v7, v10, 1.0
	v_fmac_f32_e32 v10, v11, v10
	v_mul_f32_e32 v11, v7, v10
	v_fma_f32 v14, -v7, v11, v7
	v_fmac_f32_e32 v11, v14, v10
	v_fma_f32 v7, -v7, v11, v7
	v_div_fmas_f32 v7, v7, v10, v11
	v_div_fixup_f32 v11, v7, v5, v5
	v_mov_b32_e32 v10, v6
.LBB226_89:
	s_or_b64 exec, exec, s[0:1]
.LBB226_90:
	s_or_b64 exec, exec, s[14:15]
.LBB226_91:
	s_or_b64 exec, exec, s[12:13]
	v_cmp_neq_f32_e32 vcc, 0, v8
	v_cmp_neq_f32_e64 s[0:1], 0, v9
	s_or_b64 s[0:1], vcc, s[0:1]
	s_and_saveexec_b64 s[12:13], s[0:1]
	s_cbranch_execz .LBB226_121
; %bb.92:
	v_mov_b32_e32 v12, 0x7f800000
	v_cmp_neq_f32_e64 s[0:1], |v9|, v12
	s_and_saveexec_b64 s[14:15], s[0:1]
	s_cbranch_execz .LBB226_120
; %bb.93:
	v_cmp_o_f32_e32 vcc, v8, v8
	s_and_saveexec_b64 s[0:1], vcc
	s_xor_b64 s[16:17], exec, s[0:1]
	s_cbranch_execz .LBB226_117
; %bb.94:
	s_mov_b32 s0, 0x7f800000
	v_cmp_neq_f32_e64 s[0:1], |v8|, s0
	s_and_saveexec_b64 s[2:3], s[0:1]
	s_xor_b64 s[18:19], exec, s[2:3]
	s_cbranch_execz .LBB226_110
; %bb.95:
	v_max_f32_e64 v5, |v9|, |v9|
	v_max_f32_e64 v6, |v8|, |v8|
	v_max_f32_e32 v5, v6, v5
	s_mov_b32 s0, 0x7ed413cb
	v_cmp_nle_f32_e64 s[0:1], s0, v5
                                        ; implicit-def: $sgpr20_sgpr21
	s_and_saveexec_b64 s[2:3], s[0:1]
	s_xor_b64 s[2:3], exec, s[2:3]
	s_cbranch_execz .LBB226_99
; %bb.96:
	s_mov_b32 s7, 0x1000000
	v_cmp_le_f32_e64 s[20:21], |v8|, s7
	v_cmp_le_f32_e64 s[22:23], |v9|, s7
	s_and_b64 s[26:27], s[20:21], s[22:23]
	s_mov_b64 s[20:21], 0
	s_and_saveexec_b64 s[22:23], s[26:27]
; %bb.97:
	v_mov_b32_e32 v6, v9
	v_mov_b32_e32 v7, v8
	v_pk_mul_f32 v[6:7], v[6:7], 4.0 op_sel_hi:[1,0]
	s_mov_b64 s[20:21], exec
	v_mov_b32_e32 v8, v7
	v_mov_b32_e32 v9, v6
; %bb.98:
	s_or_b64 exec, exec, s[22:23]
.LBB226_99:
	s_andn2_saveexec_b64 s[2:3], s[2:3]
; %bb.100:
	v_mov_b32_e32 v6, v9
	v_mov_b32_e32 v7, v8
	s_mov_b32 s22, 0x3e800000
	v_pk_mul_f32 v[6:7], v[6:7], s[22:23] op_sel_hi:[1,0]
	s_andn2_b64 s[20:21], s[20:21], exec
	v_mov_b32_e32 v9, v6
	v_mov_b32_e32 v8, v7
; %bb.101:
	s_or_b64 exec, exec, s[2:3]
	v_max_f32_e64 v5, |v9|, |v9|
	v_max_f32_e64 v6, |v8|, |v8|
	v_max_f32_e32 v5, v6, v5
	v_cvt_f64_f32_e32 v[6:7], v5
	v_frexp_exp_i32_f64_e32 v6, v[6:7]
	v_sub_u32_e32 v7, 0, v6
	v_ldexp_f32 v12, |v8|, v7
	v_ldexp_f32 v7, |v9|, v7
	v_mul_f32_e32 v7, v7, v7
	v_fmac_f32_e32 v7, v12, v12
	v_sqrt_f32_e32 v7, v7
	s_mov_b32 s2, 0x7f800000
	v_cmp_neq_f32_e64 s[2:3], s2, v5
	v_cmp_le_f32_e32 vcc, 0, v8
	v_ldexp_f32 v6, v7, v6
	v_mov_b32_e32 v7, 0x7f800000
	v_cndmask_b32_e64 v7, v7, v6, s[2:3]
                                        ; implicit-def: $vgpr6
                                        ; implicit-def: $vgpr5
	s_and_saveexec_b64 s[2:3], vcc
	s_xor_b64 s[22:23], exec, s[2:3]
	s_cbranch_execz .LBB226_103
; %bb.102:
	v_add_f32_e32 v5, v8, v7
	v_mul_f32_e32 v5, 0.5, v5
	s_mov_b32 s2, 0xf800000
	v_mul_f32_e32 v6, 0x4f800000, v5
	v_cmp_gt_f32_e32 vcc, s2, v5
	s_nop 1
	v_cndmask_b32_e32 v5, v5, v6, vcc
	v_sqrt_f32_e32 v6, v5
	s_nop 0
	v_add_u32_e32 v7, -1, v6
	v_fma_f32 v8, -v7, v6, v5
	v_cmp_ge_f32_e64 s[2:3], 0, v8
	v_add_u32_e32 v8, 1, v6
	s_nop 0
	v_cndmask_b32_e64 v7, v6, v7, s[2:3]
	v_fma_f32 v6, -v8, v6, v5
	v_cmp_lt_f32_e64 s[2:3], 0, v6
	s_nop 1
	v_cndmask_b32_e64 v6, v7, v8, s[2:3]
	v_mul_f32_e32 v7, 0x37800000, v6
	v_cndmask_b32_e32 v6, v6, v7, vcc
	v_mov_b32_e32 v7, 0x260
	v_cmp_class_f32_e32 vcc, v5, v7
	s_nop 1
	v_cndmask_b32_e32 v5, v6, v5, vcc
	v_add_f32_e32 v6, v5, v5
	v_div_scale_f32 v7, s[2:3], v6, v6, v9
	v_rcp_f32_e32 v8, v7
	s_nop 0
	v_fma_f32 v12, -v7, v8, 1.0
	v_fmac_f32_e32 v8, v12, v8
	v_div_scale_f32 v12, vcc, v9, v6, v9
	v_mul_f32_e32 v14, v12, v8
	v_fma_f32 v15, -v7, v14, v12
	v_fmac_f32_e32 v14, v15, v8
	v_fma_f32 v7, -v7, v14, v12
	v_div_fmas_f32 v7, v7, v8, v14
	v_div_fixup_f32 v6, v7, v6, v9
                                        ; implicit-def: $vgpr7
                                        ; implicit-def: $vgpr8
	s_andn2_saveexec_b64 s[22:23], s[22:23]
	s_cbranch_execz .LBB226_105
	s_branch .LBB226_104
.LBB226_103:
	s_andn2_saveexec_b64 s[22:23], s[22:23]
	s_cbranch_execz .LBB226_105
.LBB226_104:
	v_sub_f32_e32 v5, v7, v8
	v_mul_f32_e32 v5, 0.5, v5
	s_mov_b32 s2, 0xf800000
	v_mul_f32_e32 v6, 0x4f800000, v5
	v_cmp_gt_f32_e32 vcc, s2, v5
	s_nop 1
	v_cndmask_b32_e32 v5, v5, v6, vcc
	v_sqrt_f32_e32 v6, v5
	s_nop 0
	v_add_u32_e32 v7, -1, v6
	v_fma_f32 v8, -v7, v6, v5
	v_cmp_ge_f32_e64 s[2:3], 0, v8
	v_add_u32_e32 v8, 1, v6
	s_nop 0
	v_cndmask_b32_e64 v7, v6, v7, s[2:3]
	v_fma_f32 v6, -v8, v6, v5
	v_cmp_lt_f32_e64 s[2:3], 0, v6
	s_nop 1
	v_cndmask_b32_e64 v6, v7, v8, s[2:3]
	v_mul_f32_e32 v7, 0x37800000, v6
	v_cndmask_b32_e32 v6, v6, v7, vcc
	v_mov_b32_e32 v7, 0x260
	v_cmp_class_f32_e32 vcc, v5, v7
	v_and_b32_e32 v7, 0x7fffffff, v9
	s_nop 0
	v_cndmask_b32_e32 v6, v6, v5, vcc
	v_add_f32_e32 v5, v6, v6
	v_div_scale_f32 v8, s[2:3], v5, v5, v7
	v_rcp_f32_e32 v12, v8
	v_div_scale_f32 v7, vcc, v7, v5, v7
	s_brev_b32 s2, -2
	v_fma_f32 v14, -v8, v12, 1.0
	v_fmac_f32_e32 v12, v14, v12
	v_mul_f32_e32 v14, v7, v12
	v_fma_f32 v15, -v8, v14, v7
	v_fmac_f32_e32 v14, v15, v12
	v_fma_f32 v7, -v8, v14, v7
	v_div_fmas_f32 v7, v7, v12, v14
	v_div_fixup_f32 v5, v7, v5, |v9|
	v_bfi_b32 v6, s2, v6, v9
.LBB226_105:
	s_or_b64 exec, exec, s[22:23]
                                        ; implicit-def: $vgpr9
	s_and_saveexec_b64 s[2:3], s[0:1]
	s_xor_b64 s[0:1], exec, s[2:3]
	s_cbranch_execz .LBB226_107
; %bb.106:
	v_mul_f32_e32 v7, 0.5, v5
	v_mul_f32_e32 v8, 0.5, v6
	v_cndmask_b32_e64 v12, v5, v7, s[20:21]
	v_cndmask_b32_e64 v9, v6, v8, s[20:21]
                                        ; implicit-def: $vgpr5
                                        ; implicit-def: $vgpr6
	s_andn2_saveexec_b64 s[0:1], s[0:1]
	s_cbranch_execnz .LBB226_108
	s_branch .LBB226_109
.LBB226_107:
	s_andn2_saveexec_b64 s[0:1], s[0:1]
.LBB226_108:
	v_add_f32_e32 v12, v5, v5
	v_add_f32_e32 v9, v6, v6
.LBB226_109:
	s_or_b64 exec, exec, s[0:1]
.LBB226_110:
	s_andn2_saveexec_b64 s[0:1], s[18:19]
	s_cbranch_execz .LBB226_116
; %bb.111:
	v_sub_f32_e32 v5, v9, v9
	v_cmp_lt_i32_e32 vcc, -1, v8
	s_brev_b32 s7, -2
	v_and_b32_e32 v12, 0x7fffffff, v5
	s_and_saveexec_b64 s[2:3], vcc
	s_xor_b64 s[2:3], exec, s[2:3]
; %bb.112:
	v_bfi_b32 v9, s7, v5, v9
	v_mov_b32_e32 v12, v8
; %bb.113:
	s_andn2_saveexec_b64 s[2:3], s[2:3]
; %bb.114:
	v_bfi_b32 v9, s7, v8, v9
; %bb.115:
	s_or_b64 exec, exec, s[2:3]
.LBB226_116:
	s_or_b64 exec, exec, s[0:1]
.LBB226_117:
	s_andn2_saveexec_b64 s[0:1], s[16:17]
	s_cbranch_execz .LBB226_119
; %bb.118:
	v_sub_f32_e32 v5, v9, v9
	v_div_scale_f32 v6, vcc, v5, v5, v5
	v_rcp_f32_e32 v7, v6
	s_nop 0
	v_fma_f32 v9, -v6, v7, 1.0
	v_fmac_f32_e32 v7, v9, v7
	v_mul_f32_e32 v9, v6, v7
	v_fma_f32 v12, -v6, v9, v6
	v_fmac_f32_e32 v9, v12, v7
	v_fma_f32 v6, -v6, v9, v6
	v_div_fmas_f32 v6, v6, v7, v9
	v_div_fixup_f32 v9, v6, v5, v5
	v_mov_b32_e32 v12, v8
.LBB226_119:
	s_or_b64 exec, exec, s[0:1]
.LBB226_120:
	s_or_b64 exec, exec, s[14:15]
.LBB226_121:
	s_or_b64 exec, exec, s[12:13]
	s_add_u32 s0, s8, s4
	s_addc_u32 s1, s9, s5
	v_mov_b32_e32 v5, v13
	v_mov_b32_e32 v13, v9
	global_store_dwordx4 v1, v[2:5], s[0:1]
	global_store_dwordx4 v1, v[10:13], s[0:1] offset:16
	s_mov_b64 s[0:1], 0
.LBB226_122:
	s_and_b64 vcc, exec, s[0:1]
	s_cbranch_vccz .LBB226_267
; %bb.123:
	v_mov_b32_e32 v12, 0
	v_mov_b32_e32 v13, v12
	v_cmp_gt_i32_e64 s[0:1], s24, v0
	v_or_b32_e32 v2, s6, v0
	v_mov_b32_e32 v1, v0
	v_mov_b64_e32 v[10:11], v[12:13]
	s_and_saveexec_b64 s[2:3], s[0:1]
	s_cbranch_execz .LBB226_125
; %bb.124:
	v_mov_b32_e32 v3, v12
	v_lshl_add_u64 v[4:5], v[2:3], 3, s[10:11]
	global_load_dwordx2 v[10:11], v[4:5], off
	v_or_b32_e32 v1, 0x100, v0
.LBB226_125:
	s_or_b64 exec, exec, s[2:3]
	v_cmp_gt_i32_e32 vcc, s24, v1
	s_and_saveexec_b64 s[2:3], vcc
	s_cbranch_execz .LBB226_127
; %bb.126:
	v_add_u32_e32 v4, s6, v1
	v_mov_b32_e32 v5, 0
	v_lshl_add_u64 v[4:5], v[4:5], 3, s[10:11]
	global_load_dwordx2 v[12:13], v[4:5], off
	v_add_u32_e32 v1, 0x100, v1
.LBB226_127:
	s_or_b64 exec, exec, s[2:3]
	v_mov_b32_e32 v4, 0
	v_mov_b32_e32 v5, v4
	v_cmp_gt_i32_e32 vcc, s24, v1
	v_mov_b64_e32 v[8:9], v[4:5]
	s_and_saveexec_b64 s[2:3], vcc
	s_cbranch_execz .LBB226_129
; %bb.128:
	v_add_u32_e32 v6, s6, v1
	v_mov_b32_e32 v7, v4
	v_lshl_add_u64 v[6:7], v[6:7], 3, s[10:11]
	global_load_dwordx2 v[8:9], v[6:7], off
	v_add_u32_e32 v1, 0x100, v1
.LBB226_129:
	s_or_b64 exec, exec, s[2:3]
	v_cmp_gt_i32_e32 vcc, s24, v1
	s_and_saveexec_b64 s[2:3], vcc
	s_cbranch_execz .LBB226_131
; %bb.130:
	v_add_u32_e32 v4, s6, v1
	v_mov_b32_e32 v5, 0
	v_lshl_add_u64 v[4:5], v[4:5], 3, s[10:11]
	global_load_dwordx2 v[4:5], v[4:5], off
.LBB226_131:
	s_or_b64 exec, exec, s[2:3]
	v_mov_b32_e32 v7, 0
	v_mov_b32_e32 v6, 0
	s_and_saveexec_b64 s[10:11], s[0:1]
	s_cbranch_execz .LBB226_163
; %bb.132:
	s_waitcnt vmcnt(0)
	v_cmp_neq_f32_e32 vcc, 0, v10
	v_cmp_neq_f32_e64 s[2:3], 0, v11
	v_mov_b32_e32 v6, 0
	s_or_b64 s[2:3], vcc, s[2:3]
	s_and_saveexec_b64 s[12:13], s[2:3]
	s_cbranch_execz .LBB226_162
; %bb.133:
	v_mov_b32_e32 v6, 0x7f800000
	v_cmp_neq_f32_e64 s[2:3], |v11|, v6
	s_and_saveexec_b64 s[14:15], s[2:3]
	s_cbranch_execz .LBB226_161
; %bb.134:
	v_cmp_o_f32_e32 vcc, v10, v10
                                        ; implicit-def: $vgpr6
	s_and_saveexec_b64 s[2:3], vcc
	s_xor_b64 s[16:17], exec, s[2:3]
	s_cbranch_execz .LBB226_158
; %bb.135:
	s_mov_b32 s2, 0x7f800000
	v_cmp_neq_f32_e64 s[2:3], |v10|, s2
                                        ; implicit-def: $vgpr6
	s_and_saveexec_b64 s[4:5], s[2:3]
	s_xor_b64 s[18:19], exec, s[4:5]
	s_cbranch_execz .LBB226_151
; %bb.136:
	v_max_f32_e64 v1, |v10|, |v10|
	v_max_f32_e64 v3, |v11|, |v11|
	v_max_f32_e32 v1, v3, v1
	s_mov_b32 s2, 0x7ed413cb
	v_cmp_nle_f32_e64 s[2:3], s2, v1
                                        ; implicit-def: $sgpr20_sgpr21
	s_and_saveexec_b64 s[4:5], s[2:3]
	s_xor_b64 s[4:5], exec, s[4:5]
	s_cbranch_execz .LBB226_140
; %bb.137:
	s_mov_b32 s7, 0x1000000
	v_cmp_le_f32_e64 s[20:21], |v10|, s7
	v_cmp_le_f32_e64 s[22:23], |v11|, s7
	s_and_b64 s[26:27], s[22:23], s[20:21]
	s_mov_b64 s[20:21], 0
	s_and_saveexec_b64 s[22:23], s[26:27]
; %bb.138:
	s_mov_b64 s[20:21], exec
	v_pk_mul_f32 v[10:11], v[10:11], 4.0 op_sel_hi:[1,0]
; %bb.139:
	s_or_b64 exec, exec, s[22:23]
.LBB226_140:
	s_andn2_saveexec_b64 s[4:5], s[4:5]
; %bb.141:
	s_mov_b32 s22, 0x3e800000
	v_pk_mul_f32 v[10:11], v[10:11], s[22:23] op_sel_hi:[1,0]
	s_andn2_b64 s[20:21], s[20:21], exec
; %bb.142:
	s_or_b64 exec, exec, s[4:5]
	v_max_f32_e64 v1, |v11|, |v11|
	v_max_f32_e64 v3, |v10|, |v10|
	v_max_f32_e32 v1, v3, v1
	v_cvt_f64_f32_e32 v[6:7], v1
	v_frexp_exp_i32_f64_e32 v3, v[6:7]
	v_sub_u32_e32 v6, 0, v3
	v_ldexp_f32 v7, |v10|, v6
	v_ldexp_f32 v6, |v11|, v6
	v_mul_f32_e32 v6, v6, v6
	v_fmac_f32_e32 v6, v7, v7
	v_sqrt_f32_e32 v6, v6
	s_mov_b32 s4, 0x7f800000
	v_cmp_neq_f32_e64 s[4:5], s4, v1
	v_cmp_le_f32_e32 vcc, 0, v10
	v_ldexp_f32 v3, v6, v3
	v_mov_b32_e32 v6, 0x7f800000
	v_cndmask_b32_e64 v1, v6, v3, s[4:5]
                                        ; implicit-def: $vgpr14_vgpr15
	s_and_saveexec_b64 s[4:5], vcc
	s_xor_b64 s[22:23], exec, s[4:5]
	s_cbranch_execz .LBB226_144
; %bb.143:
	v_add_f32_e32 v1, v10, v1
	v_mul_f32_e32 v1, 0.5, v1
	s_mov_b32 s4, 0xf800000
	v_mul_f32_e32 v3, 0x4f800000, v1
	v_cmp_gt_f32_e32 vcc, s4, v1
	s_nop 1
	v_cndmask_b32_e32 v1, v1, v3, vcc
	v_sqrt_f32_e32 v3, v1
	s_nop 0
	v_add_u32_e32 v6, -1, v3
	v_fma_f32 v7, -v6, v3, v1
	v_cmp_ge_f32_e64 s[4:5], 0, v7
	v_add_u32_e32 v7, 1, v3
	s_nop 0
	v_cndmask_b32_e64 v6, v3, v6, s[4:5]
	v_fma_f32 v3, -v7, v3, v1
	v_cmp_lt_f32_e64 s[4:5], 0, v3
	s_nop 1
	v_cndmask_b32_e64 v3, v6, v7, s[4:5]
	v_mul_f32_e32 v6, 0x37800000, v3
	v_cndmask_b32_e32 v3, v3, v6, vcc
	v_mov_b32_e32 v6, 0x260
	v_cmp_class_f32_e32 vcc, v1, v6
	s_nop 1
	v_cndmask_b32_e32 v14, v3, v1, vcc
	v_add_f32_e32 v1, v14, v14
	v_div_scale_f32 v3, s[4:5], v1, v1, v11
	v_rcp_f32_e32 v6, v3
	s_nop 0
	v_fma_f32 v7, -v3, v6, 1.0
	v_fmac_f32_e32 v6, v7, v6
	v_div_scale_f32 v7, vcc, v11, v1, v11
	v_mul_f32_e32 v10, v7, v6
	v_fma_f32 v15, -v3, v10, v7
	v_fmac_f32_e32 v10, v15, v6
	v_fma_f32 v3, -v3, v10, v7
	v_div_fmas_f32 v3, v3, v6, v10
	v_div_fixup_f32 v15, v3, v1, v11
                                        ; implicit-def: $vgpr1
                                        ; implicit-def: $vgpr10_vgpr11
	s_andn2_saveexec_b64 s[22:23], s[22:23]
	s_cbranch_execz .LBB226_146
	s_branch .LBB226_145
.LBB226_144:
	s_andn2_saveexec_b64 s[22:23], s[22:23]
	s_cbranch_execz .LBB226_146
.LBB226_145:
	v_sub_f32_e32 v1, v1, v10
	v_mul_f32_e32 v1, 0.5, v1
	s_mov_b32 s4, 0xf800000
	v_mul_f32_e32 v3, 0x4f800000, v1
	v_cmp_gt_f32_e32 vcc, s4, v1
	s_nop 1
	v_cndmask_b32_e32 v1, v1, v3, vcc
	v_sqrt_f32_e32 v3, v1
	s_nop 0
	v_add_u32_e32 v6, -1, v3
	v_fma_f32 v7, -v6, v3, v1
	v_cmp_ge_f32_e64 s[4:5], 0, v7
	v_add_u32_e32 v7, 1, v3
	s_nop 0
	v_cndmask_b32_e64 v6, v3, v6, s[4:5]
	v_fma_f32 v3, -v7, v3, v1
	v_cmp_lt_f32_e64 s[4:5], 0, v3
	s_nop 1
	v_cndmask_b32_e64 v3, v6, v7, s[4:5]
	v_mul_f32_e32 v6, 0x37800000, v3
	v_cndmask_b32_e32 v3, v3, v6, vcc
	v_mov_b32_e32 v6, 0x260
	v_cmp_class_f32_e32 vcc, v1, v6
	v_and_b32_e32 v6, 0x7fffffff, v11
	s_nop 0
	v_cndmask_b32_e32 v1, v3, v1, vcc
	v_add_f32_e32 v3, v1, v1
	v_div_scale_f32 v7, s[4:5], v3, v3, v6
	v_rcp_f32_e32 v10, v7
	v_div_scale_f32 v6, vcc, v6, v3, v6
	s_brev_b32 s4, -2
	v_fma_f32 v14, -v7, v10, 1.0
	v_fmac_f32_e32 v10, v14, v10
	v_mul_f32_e32 v14, v6, v10
	v_fma_f32 v15, -v7, v14, v6
	v_fmac_f32_e32 v14, v15, v10
	v_fma_f32 v6, -v7, v14, v6
	v_div_fmas_f32 v6, v6, v10, v14
	v_div_fixup_f32 v14, v6, v3, |v11|
	v_bfi_b32 v15, s4, v1, v11
.LBB226_146:
	s_or_b64 exec, exec, s[22:23]
                                        ; implicit-def: $vgpr11
                                        ; implicit-def: $vgpr6
	s_and_saveexec_b64 s[4:5], s[2:3]
	s_xor_b64 s[2:3], exec, s[4:5]
	s_cbranch_execz .LBB226_148
; %bb.147:
	v_pk_mul_f32 v[6:7], v[14:15], 0.5 op_sel_hi:[1,0]
	s_nop 0
	v_cndmask_b32_e64 v6, v14, v6, s[20:21]
	v_cndmask_b32_e64 v11, v15, v7, s[20:21]
                                        ; implicit-def: $vgpr14_vgpr15
	s_andn2_saveexec_b64 s[2:3], s[2:3]
	s_cbranch_execnz .LBB226_149
	s_branch .LBB226_150
.LBB226_148:
	s_andn2_saveexec_b64 s[2:3], s[2:3]
.LBB226_149:
	v_pk_add_f32 v[10:11], v[14:15], v[14:15]
	s_nop 0
	v_mov_b32_e32 v6, v10
.LBB226_150:
	s_or_b64 exec, exec, s[2:3]
.LBB226_151:
	s_andn2_saveexec_b64 s[2:3], s[18:19]
	s_cbranch_execz .LBB226_157
; %bb.152:
	v_sub_f32_e32 v1, v11, v11
	v_cmp_lt_i32_e32 vcc, -1, v10
	s_brev_b32 s7, -2
	v_and_b32_e32 v6, 0x7fffffff, v1
	s_and_saveexec_b64 s[4:5], vcc
	s_xor_b64 s[4:5], exec, s[4:5]
; %bb.153:
	v_bfi_b32 v11, s7, v1, v11
	v_mov_b32_e32 v6, v10
; %bb.154:
	s_andn2_saveexec_b64 s[4:5], s[4:5]
; %bb.155:
	v_bfi_b32 v11, s7, v10, v11
; %bb.156:
	s_or_b64 exec, exec, s[4:5]
.LBB226_157:
	s_or_b64 exec, exec, s[2:3]
.LBB226_158:
	s_andn2_saveexec_b64 s[2:3], s[16:17]
	s_cbranch_execz .LBB226_160
; %bb.159:
	v_sub_f32_e32 v1, v11, v11
	v_div_scale_f32 v3, vcc, v1, v1, v1
	v_rcp_f32_e32 v6, v3
	s_nop 0
	v_fma_f32 v7, -v3, v6, 1.0
	v_fmac_f32_e32 v6, v7, v6
	v_mul_f32_e32 v7, v3, v6
	v_fma_f32 v11, -v3, v7, v3
	v_fmac_f32_e32 v7, v11, v6
	v_fma_f32 v3, -v3, v7, v3
	v_div_fmas_f32 v3, v3, v6, v7
	v_div_fixup_f32 v11, v3, v1, v1
	v_mov_b32_e32 v6, v10
.LBB226_160:
	s_or_b64 exec, exec, s[2:3]
.LBB226_161:
	s_or_b64 exec, exec, s[14:15]
.LBB226_162:
	s_or_b64 exec, exec, s[12:13]
	v_mov_b32_e32 v7, v11
.LBB226_163:
	s_or_b64 exec, exec, s[10:11]
	v_or_b32_e32 v1, 0x100, v0
	v_cmp_gt_i32_e32 vcc, s24, v1
	s_waitcnt vmcnt(0)
	v_mov_b32_e32 v11, 0
	v_mov_b32_e32 v10, 0
	s_and_saveexec_b64 s[10:11], vcc
	s_cbranch_execz .LBB226_195
; %bb.164:
	v_cmp_neq_f32_e32 vcc, 0, v12
	v_cmp_neq_f32_e64 s[2:3], 0, v13
	v_mov_b32_e32 v10, 0
	s_or_b64 s[2:3], vcc, s[2:3]
	s_and_saveexec_b64 s[12:13], s[2:3]
	s_cbranch_execz .LBB226_194
; %bb.165:
	v_mov_b32_e32 v10, 0x7f800000
	v_cmp_neq_f32_e64 s[2:3], |v13|, v10
	s_and_saveexec_b64 s[14:15], s[2:3]
	s_cbranch_execz .LBB226_193
; %bb.166:
	v_cmp_o_f32_e32 vcc, v12, v12
                                        ; implicit-def: $vgpr10
	s_and_saveexec_b64 s[2:3], vcc
	s_xor_b64 s[16:17], exec, s[2:3]
	s_cbranch_execz .LBB226_190
; %bb.167:
	s_mov_b32 s2, 0x7f800000
	v_cmp_neq_f32_e64 s[2:3], |v12|, s2
                                        ; implicit-def: $vgpr10
	s_and_saveexec_b64 s[4:5], s[2:3]
	s_xor_b64 s[18:19], exec, s[4:5]
	s_cbranch_execz .LBB226_183
; %bb.168:
	v_max_f32_e64 v3, |v12|, |v12|
	v_max_f32_e64 v10, |v13|, |v13|
	v_max_f32_e32 v3, v10, v3
	s_mov_b32 s2, 0x7ed413cb
	v_cmp_nle_f32_e64 s[2:3], s2, v3
                                        ; implicit-def: $sgpr20_sgpr21
	s_and_saveexec_b64 s[4:5], s[2:3]
	s_xor_b64 s[4:5], exec, s[4:5]
	s_cbranch_execz .LBB226_172
; %bb.169:
	s_mov_b32 s7, 0x1000000
	v_cmp_le_f32_e64 s[20:21], |v12|, s7
	v_cmp_le_f32_e64 s[22:23], |v13|, s7
	s_and_b64 s[26:27], s[22:23], s[20:21]
	s_mov_b64 s[20:21], 0
	s_and_saveexec_b64 s[22:23], s[26:27]
; %bb.170:
	s_mov_b64 s[20:21], exec
	v_pk_mul_f32 v[12:13], v[12:13], 4.0 op_sel_hi:[1,0]
; %bb.171:
	s_or_b64 exec, exec, s[22:23]
.LBB226_172:
	s_andn2_saveexec_b64 s[4:5], s[4:5]
; %bb.173:
	s_mov_b32 s22, 0x3e800000
	v_pk_mul_f32 v[12:13], v[12:13], s[22:23] op_sel_hi:[1,0]
	s_andn2_b64 s[20:21], s[20:21], exec
; %bb.174:
	s_or_b64 exec, exec, s[4:5]
	v_max_f32_e64 v3, |v13|, |v13|
	v_max_f32_e64 v10, |v12|, |v12|
	v_max_f32_e32 v3, v10, v3
	v_cvt_f64_f32_e32 v[10:11], v3
	v_frexp_exp_i32_f64_e32 v10, v[10:11]
	v_sub_u32_e32 v11, 0, v10
	v_ldexp_f32 v14, |v12|, v11
	v_ldexp_f32 v11, |v13|, v11
	v_mul_f32_e32 v11, v11, v11
	v_fmac_f32_e32 v11, v14, v14
	v_sqrt_f32_e32 v11, v11
	s_mov_b32 s4, 0x7f800000
	v_cmp_neq_f32_e64 s[4:5], s4, v3
	v_cmp_le_f32_e32 vcc, 0, v12
	v_ldexp_f32 v10, v11, v10
	v_mov_b32_e32 v11, 0x7f800000
	v_cndmask_b32_e64 v3, v11, v10, s[4:5]
                                        ; implicit-def: $vgpr14_vgpr15
	s_and_saveexec_b64 s[4:5], vcc
	s_xor_b64 s[22:23], exec, s[4:5]
	s_cbranch_execz .LBB226_176
; %bb.175:
	v_add_f32_e32 v3, v12, v3
	v_mul_f32_e32 v3, 0.5, v3
	s_mov_b32 s4, 0xf800000
	v_mul_f32_e32 v10, 0x4f800000, v3
	v_cmp_gt_f32_e32 vcc, s4, v3
	s_nop 1
	v_cndmask_b32_e32 v3, v3, v10, vcc
	v_sqrt_f32_e32 v10, v3
	s_nop 0
	v_add_u32_e32 v11, -1, v10
	v_fma_f32 v12, -v11, v10, v3
	v_cmp_ge_f32_e64 s[4:5], 0, v12
	v_add_u32_e32 v12, 1, v10
	s_nop 0
	v_cndmask_b32_e64 v11, v10, v11, s[4:5]
	v_fma_f32 v10, -v12, v10, v3
	v_cmp_lt_f32_e64 s[4:5], 0, v10
	s_nop 1
	v_cndmask_b32_e64 v10, v11, v12, s[4:5]
	v_mul_f32_e32 v11, 0x37800000, v10
	v_cndmask_b32_e32 v10, v10, v11, vcc
	v_mov_b32_e32 v11, 0x260
	v_cmp_class_f32_e32 vcc, v3, v11
	s_nop 1
	v_cndmask_b32_e32 v14, v10, v3, vcc
	v_add_f32_e32 v3, v14, v14
	v_div_scale_f32 v10, s[4:5], v3, v3, v13
	v_rcp_f32_e32 v11, v10
	s_nop 0
	v_fma_f32 v12, -v10, v11, 1.0
	v_fmac_f32_e32 v11, v12, v11
	v_div_scale_f32 v12, vcc, v13, v3, v13
	v_mul_f32_e32 v15, v12, v11
	v_fma_f32 v16, -v10, v15, v12
	v_fmac_f32_e32 v15, v16, v11
	v_fma_f32 v10, -v10, v15, v12
	v_div_fmas_f32 v10, v10, v11, v15
	v_div_fixup_f32 v15, v10, v3, v13
                                        ; implicit-def: $vgpr3
                                        ; implicit-def: $vgpr12_vgpr13
	s_andn2_saveexec_b64 s[22:23], s[22:23]
	s_cbranch_execz .LBB226_178
	s_branch .LBB226_177
.LBB226_176:
	s_andn2_saveexec_b64 s[22:23], s[22:23]
	s_cbranch_execz .LBB226_178
.LBB226_177:
	v_sub_f32_e32 v3, v3, v12
	v_mul_f32_e32 v3, 0.5, v3
	s_mov_b32 s4, 0xf800000
	v_mul_f32_e32 v10, 0x4f800000, v3
	v_cmp_gt_f32_e32 vcc, s4, v3
	s_nop 1
	v_cndmask_b32_e32 v3, v3, v10, vcc
	v_sqrt_f32_e32 v10, v3
	s_nop 0
	v_add_u32_e32 v11, -1, v10
	v_fma_f32 v12, -v11, v10, v3
	v_cmp_ge_f32_e64 s[4:5], 0, v12
	v_add_u32_e32 v12, 1, v10
	s_nop 0
	v_cndmask_b32_e64 v11, v10, v11, s[4:5]
	v_fma_f32 v10, -v12, v10, v3
	v_cmp_lt_f32_e64 s[4:5], 0, v10
	s_nop 1
	v_cndmask_b32_e64 v10, v11, v12, s[4:5]
	v_mul_f32_e32 v11, 0x37800000, v10
	v_cndmask_b32_e32 v10, v10, v11, vcc
	v_mov_b32_e32 v11, 0x260
	v_cmp_class_f32_e32 vcc, v3, v11
	v_and_b32_e32 v11, 0x7fffffff, v13
	s_nop 0
	v_cndmask_b32_e32 v3, v10, v3, vcc
	v_add_f32_e32 v10, v3, v3
	v_div_scale_f32 v12, s[4:5], v10, v10, v11
	v_rcp_f32_e32 v14, v12
	v_div_scale_f32 v11, vcc, v11, v10, v11
	s_brev_b32 s4, -2
	v_fma_f32 v15, -v12, v14, 1.0
	v_fmac_f32_e32 v14, v15, v14
	v_mul_f32_e32 v15, v11, v14
	v_fma_f32 v16, -v12, v15, v11
	v_fmac_f32_e32 v15, v16, v14
	v_fma_f32 v11, -v12, v15, v11
	v_div_fmas_f32 v11, v11, v14, v15
	v_div_fixup_f32 v14, v11, v10, |v13|
	v_bfi_b32 v15, s4, v3, v13
.LBB226_178:
	s_or_b64 exec, exec, s[22:23]
                                        ; implicit-def: $vgpr13
                                        ; implicit-def: $vgpr10
	s_and_saveexec_b64 s[4:5], s[2:3]
	s_xor_b64 s[2:3], exec, s[4:5]
	s_cbranch_execz .LBB226_180
; %bb.179:
	v_pk_mul_f32 v[10:11], v[14:15], 0.5 op_sel_hi:[1,0]
	s_nop 0
	v_cndmask_b32_e64 v10, v14, v10, s[20:21]
	v_cndmask_b32_e64 v13, v15, v11, s[20:21]
                                        ; implicit-def: $vgpr14_vgpr15
	s_andn2_saveexec_b64 s[2:3], s[2:3]
	s_cbranch_execnz .LBB226_181
	s_branch .LBB226_182
.LBB226_180:
	s_andn2_saveexec_b64 s[2:3], s[2:3]
.LBB226_181:
	v_pk_add_f32 v[12:13], v[14:15], v[14:15]
	s_nop 0
	v_mov_b32_e32 v10, v12
.LBB226_182:
	s_or_b64 exec, exec, s[2:3]
.LBB226_183:
	s_andn2_saveexec_b64 s[2:3], s[18:19]
	s_cbranch_execz .LBB226_189
; %bb.184:
	v_sub_f32_e32 v3, v13, v13
	v_cmp_lt_i32_e32 vcc, -1, v12
	s_brev_b32 s7, -2
	v_and_b32_e32 v10, 0x7fffffff, v3
	s_and_saveexec_b64 s[4:5], vcc
	s_xor_b64 s[4:5], exec, s[4:5]
; %bb.185:
	v_bfi_b32 v13, s7, v3, v13
	v_mov_b32_e32 v10, v12
; %bb.186:
	s_andn2_saveexec_b64 s[4:5], s[4:5]
; %bb.187:
	v_bfi_b32 v13, s7, v12, v13
; %bb.188:
	s_or_b64 exec, exec, s[4:5]
.LBB226_189:
	s_or_b64 exec, exec, s[2:3]
.LBB226_190:
	s_andn2_saveexec_b64 s[2:3], s[16:17]
	s_cbranch_execz .LBB226_192
; %bb.191:
	v_sub_f32_e32 v3, v13, v13
	v_div_scale_f32 v10, vcc, v3, v3, v3
	v_rcp_f32_e32 v11, v10
	s_nop 0
	v_fma_f32 v13, -v10, v11, 1.0
	v_fmac_f32_e32 v11, v13, v11
	v_mul_f32_e32 v13, v10, v11
	v_fma_f32 v14, -v10, v13, v10
	v_fmac_f32_e32 v13, v14, v11
	v_fma_f32 v10, -v10, v13, v10
	v_div_fmas_f32 v10, v10, v11, v13
	v_div_fixup_f32 v13, v10, v3, v3
	v_mov_b32_e32 v10, v12
.LBB226_192:
	s_or_b64 exec, exec, s[2:3]
.LBB226_193:
	s_or_b64 exec, exec, s[14:15]
.LBB226_194:
	s_or_b64 exec, exec, s[12:13]
	v_mov_b32_e32 v11, v13
.LBB226_195:
	s_or_b64 exec, exec, s[10:11]
	v_or_b32_e32 v3, 0x200, v0
	v_cmp_gt_i32_e32 vcc, s24, v3
	v_mov_b32_e32 v13, 0
	v_mov_b32_e32 v12, 0
	s_and_saveexec_b64 s[10:11], vcc
	s_cbranch_execz .LBB226_227
; %bb.196:
	v_cmp_neq_f32_e32 vcc, 0, v8
	v_cmp_neq_f32_e64 s[2:3], 0, v9
	v_mov_b32_e32 v12, 0
	s_or_b64 s[2:3], vcc, s[2:3]
	s_and_saveexec_b64 s[12:13], s[2:3]
	s_cbranch_execz .LBB226_226
; %bb.197:
	v_mov_b32_e32 v12, 0x7f800000
	v_cmp_neq_f32_e64 s[2:3], |v9|, v12
	s_and_saveexec_b64 s[14:15], s[2:3]
	s_cbranch_execz .LBB226_225
; %bb.198:
	v_cmp_o_f32_e32 vcc, v8, v8
                                        ; implicit-def: $vgpr12
	s_and_saveexec_b64 s[2:3], vcc
	s_xor_b64 s[16:17], exec, s[2:3]
	s_cbranch_execz .LBB226_222
; %bb.199:
	s_mov_b32 s2, 0x7f800000
	v_cmp_neq_f32_e64 s[2:3], |v8|, s2
                                        ; implicit-def: $vgpr12
	s_and_saveexec_b64 s[4:5], s[2:3]
	s_xor_b64 s[18:19], exec, s[4:5]
	s_cbranch_execz .LBB226_215
; %bb.200:
	v_max_f32_e64 v3, |v8|, |v8|
	v_max_f32_e64 v12, |v9|, |v9|
	v_max_f32_e32 v3, v12, v3
	s_mov_b32 s2, 0x7ed413cb
	v_cmp_nle_f32_e64 s[2:3], s2, v3
                                        ; implicit-def: $sgpr20_sgpr21
	s_and_saveexec_b64 s[4:5], s[2:3]
	s_xor_b64 s[4:5], exec, s[4:5]
	s_cbranch_execz .LBB226_204
; %bb.201:
	s_mov_b32 s7, 0x1000000
	v_cmp_le_f32_e64 s[20:21], |v8|, s7
	v_cmp_le_f32_e64 s[22:23], |v9|, s7
	s_and_b64 s[26:27], s[22:23], s[20:21]
	s_mov_b64 s[20:21], 0
	s_and_saveexec_b64 s[22:23], s[26:27]
; %bb.202:
	s_mov_b64 s[20:21], exec
	v_pk_mul_f32 v[8:9], v[8:9], 4.0 op_sel_hi:[1,0]
; %bb.203:
	s_or_b64 exec, exec, s[22:23]
.LBB226_204:
	s_andn2_saveexec_b64 s[4:5], s[4:5]
; %bb.205:
	s_mov_b32 s22, 0x3e800000
	v_pk_mul_f32 v[8:9], v[8:9], s[22:23] op_sel_hi:[1,0]
	s_andn2_b64 s[20:21], s[20:21], exec
; %bb.206:
	s_or_b64 exec, exec, s[4:5]
	v_max_f32_e64 v3, |v9|, |v9|
	v_max_f32_e64 v12, |v8|, |v8|
	v_max_f32_e32 v3, v12, v3
	v_cvt_f64_f32_e32 v[12:13], v3
	v_frexp_exp_i32_f64_e32 v12, v[12:13]
	v_sub_u32_e32 v13, 0, v12
	v_ldexp_f32 v14, |v8|, v13
	v_ldexp_f32 v13, |v9|, v13
	v_mul_f32_e32 v13, v13, v13
	v_fmac_f32_e32 v13, v14, v14
	v_sqrt_f32_e32 v13, v13
	s_mov_b32 s4, 0x7f800000
	v_cmp_neq_f32_e64 s[4:5], s4, v3
	v_cmp_le_f32_e32 vcc, 0, v8
	v_ldexp_f32 v12, v13, v12
	v_mov_b32_e32 v13, 0x7f800000
	v_cndmask_b32_e64 v3, v13, v12, s[4:5]
                                        ; implicit-def: $vgpr14_vgpr15
	s_and_saveexec_b64 s[4:5], vcc
	s_xor_b64 s[22:23], exec, s[4:5]
	s_cbranch_execz .LBB226_208
; %bb.207:
	v_add_f32_e32 v3, v8, v3
	v_mul_f32_e32 v3, 0.5, v3
	s_mov_b32 s4, 0xf800000
	v_mul_f32_e32 v8, 0x4f800000, v3
	v_cmp_gt_f32_e32 vcc, s4, v3
	s_nop 1
	v_cndmask_b32_e32 v3, v3, v8, vcc
	v_sqrt_f32_e32 v8, v3
	s_nop 0
	v_add_u32_e32 v12, -1, v8
	v_fma_f32 v13, -v12, v8, v3
	v_cmp_ge_f32_e64 s[4:5], 0, v13
	v_add_u32_e32 v13, 1, v8
	s_nop 0
	v_cndmask_b32_e64 v12, v8, v12, s[4:5]
	v_fma_f32 v8, -v13, v8, v3
	v_cmp_lt_f32_e64 s[4:5], 0, v8
	s_nop 1
	v_cndmask_b32_e64 v8, v12, v13, s[4:5]
	v_mul_f32_e32 v12, 0x37800000, v8
	v_cndmask_b32_e32 v8, v8, v12, vcc
	v_mov_b32_e32 v12, 0x260
	v_cmp_class_f32_e32 vcc, v3, v12
	s_nop 1
	v_cndmask_b32_e32 v14, v8, v3, vcc
	v_add_f32_e32 v3, v14, v14
	v_div_scale_f32 v8, s[4:5], v3, v3, v9
	v_rcp_f32_e32 v12, v8
	s_nop 0
	v_fma_f32 v13, -v8, v12, 1.0
	v_fmac_f32_e32 v12, v13, v12
	v_div_scale_f32 v13, vcc, v9, v3, v9
	v_mul_f32_e32 v15, v13, v12
	v_fma_f32 v16, -v8, v15, v13
	v_fmac_f32_e32 v15, v16, v12
	v_fma_f32 v8, -v8, v15, v13
	v_div_fmas_f32 v8, v8, v12, v15
	v_div_fixup_f32 v15, v8, v3, v9
                                        ; implicit-def: $vgpr3
                                        ; implicit-def: $vgpr8_vgpr9
	s_andn2_saveexec_b64 s[22:23], s[22:23]
	s_cbranch_execz .LBB226_210
	s_branch .LBB226_209
.LBB226_208:
	s_andn2_saveexec_b64 s[22:23], s[22:23]
	s_cbranch_execz .LBB226_210
.LBB226_209:
	v_sub_f32_e32 v3, v3, v8
	v_mul_f32_e32 v3, 0.5, v3
	s_mov_b32 s4, 0xf800000
	v_mul_f32_e32 v8, 0x4f800000, v3
	v_cmp_gt_f32_e32 vcc, s4, v3
	s_nop 1
	v_cndmask_b32_e32 v3, v3, v8, vcc
	v_sqrt_f32_e32 v8, v3
	s_nop 0
	v_add_u32_e32 v12, -1, v8
	v_fma_f32 v13, -v12, v8, v3
	v_cmp_ge_f32_e64 s[4:5], 0, v13
	v_add_u32_e32 v13, 1, v8
	s_nop 0
	v_cndmask_b32_e64 v12, v8, v12, s[4:5]
	v_fma_f32 v8, -v13, v8, v3
	v_cmp_lt_f32_e64 s[4:5], 0, v8
	s_nop 1
	v_cndmask_b32_e64 v8, v12, v13, s[4:5]
	v_mul_f32_e32 v12, 0x37800000, v8
	v_cndmask_b32_e32 v8, v8, v12, vcc
	v_mov_b32_e32 v12, 0x260
	v_cmp_class_f32_e32 vcc, v3, v12
	v_and_b32_e32 v12, 0x7fffffff, v9
	s_nop 0
	v_cndmask_b32_e32 v3, v8, v3, vcc
	v_add_f32_e32 v8, v3, v3
	v_div_scale_f32 v13, s[4:5], v8, v8, v12
	v_rcp_f32_e32 v14, v13
	v_div_scale_f32 v12, vcc, v12, v8, v12
	s_brev_b32 s4, -2
	v_fma_f32 v15, -v13, v14, 1.0
	v_fmac_f32_e32 v14, v15, v14
	v_mul_f32_e32 v15, v12, v14
	v_fma_f32 v16, -v13, v15, v12
	v_fmac_f32_e32 v15, v16, v14
	v_fma_f32 v12, -v13, v15, v12
	v_div_fmas_f32 v12, v12, v14, v15
	v_div_fixup_f32 v14, v12, v8, |v9|
	v_bfi_b32 v15, s4, v3, v9
.LBB226_210:
	s_or_b64 exec, exec, s[22:23]
                                        ; implicit-def: $vgpr9
                                        ; implicit-def: $vgpr12
	s_and_saveexec_b64 s[4:5], s[2:3]
	s_xor_b64 s[2:3], exec, s[4:5]
	s_cbranch_execz .LBB226_212
; %bb.211:
	v_pk_mul_f32 v[8:9], v[14:15], 0.5 op_sel_hi:[1,0]
	s_nop 0
	v_cndmask_b32_e64 v12, v14, v8, s[20:21]
	v_cndmask_b32_e64 v9, v15, v9, s[20:21]
                                        ; implicit-def: $vgpr14_vgpr15
	s_andn2_saveexec_b64 s[2:3], s[2:3]
	s_cbranch_execnz .LBB226_213
	s_branch .LBB226_214
.LBB226_212:
	s_andn2_saveexec_b64 s[2:3], s[2:3]
.LBB226_213:
	v_pk_add_f32 v[8:9], v[14:15], v[14:15]
	s_nop 0
	v_mov_b32_e32 v12, v8
.LBB226_214:
	s_or_b64 exec, exec, s[2:3]
.LBB226_215:
	s_andn2_saveexec_b64 s[2:3], s[18:19]
	s_cbranch_execz .LBB226_221
; %bb.216:
	v_sub_f32_e32 v3, v9, v9
	v_cmp_lt_i32_e32 vcc, -1, v8
	s_brev_b32 s7, -2
	v_and_b32_e32 v12, 0x7fffffff, v3
	s_and_saveexec_b64 s[4:5], vcc
	s_xor_b64 s[4:5], exec, s[4:5]
; %bb.217:
	v_bfi_b32 v9, s7, v3, v9
	v_mov_b32_e32 v12, v8
; %bb.218:
	s_andn2_saveexec_b64 s[4:5], s[4:5]
; %bb.219:
	v_bfi_b32 v9, s7, v8, v9
; %bb.220:
	s_or_b64 exec, exec, s[4:5]
.LBB226_221:
	s_or_b64 exec, exec, s[2:3]
.LBB226_222:
	s_andn2_saveexec_b64 s[2:3], s[16:17]
	s_cbranch_execz .LBB226_224
; %bb.223:
	v_sub_f32_e32 v3, v9, v9
	v_div_scale_f32 v9, vcc, v3, v3, v3
	v_rcp_f32_e32 v12, v9
	s_nop 0
	v_fma_f32 v13, -v9, v12, 1.0
	v_fmac_f32_e32 v12, v13, v12
	v_mul_f32_e32 v13, v9, v12
	v_fma_f32 v14, -v9, v13, v9
	v_fmac_f32_e32 v13, v14, v12
	v_fma_f32 v9, -v9, v13, v9
	v_div_fmas_f32 v9, v9, v12, v13
	v_div_fixup_f32 v9, v9, v3, v3
	v_mov_b32_e32 v12, v8
.LBB226_224:
	s_or_b64 exec, exec, s[2:3]
.LBB226_225:
	s_or_b64 exec, exec, s[14:15]
.LBB226_226:
	s_or_b64 exec, exec, s[12:13]
	v_mov_b32_e32 v13, v9
.LBB226_227:
	s_or_b64 exec, exec, s[10:11]
	v_or_b32_e32 v3, 0x300, v0
	v_cmp_gt_i32_e32 vcc, s24, v3
	v_mov_b32_e32 v9, 0
	v_mov_b32_e32 v8, 0
	s_and_saveexec_b64 s[10:11], vcc
	s_cbranch_execz .LBB226_240
; %bb.228:
	v_cmp_neq_f32_e32 vcc, 0, v4
	v_cmp_neq_f32_e64 s[2:3], 0, v5
	v_mov_b32_e32 v8, 0
	s_or_b64 s[2:3], vcc, s[2:3]
	s_and_saveexec_b64 s[12:13], s[2:3]
	s_cbranch_execz .LBB226_262
; %bb.229:
	v_mov_b32_e32 v8, 0x7f800000
	v_cmp_neq_f32_e64 s[2:3], |v5|, v8
	s_and_saveexec_b64 s[14:15], s[2:3]
	s_cbranch_execz .LBB226_261
; %bb.230:
	v_cmp_o_f32_e32 vcc, v4, v4
                                        ; implicit-def: $vgpr8
	s_and_saveexec_b64 s[2:3], vcc
	s_xor_b64 s[16:17], exec, s[2:3]
	s_cbranch_execz .LBB226_258
; %bb.231:
	s_mov_b32 s2, 0x7f800000
	v_cmp_neq_f32_e64 s[2:3], |v4|, s2
                                        ; implicit-def: $vgpr8
	s_and_saveexec_b64 s[4:5], s[2:3]
	s_xor_b64 s[18:19], exec, s[4:5]
	s_cbranch_execz .LBB226_251
; %bb.232:
	v_max_f32_e64 v3, |v4|, |v4|
	v_max_f32_e64 v8, |v5|, |v5|
	v_max_f32_e32 v3, v8, v3
	s_mov_b32 s2, 0x7ed413cb
	v_cmp_nle_f32_e64 s[2:3], s2, v3
                                        ; implicit-def: $sgpr20_sgpr21
	s_and_saveexec_b64 s[4:5], s[2:3]
	s_xor_b64 s[4:5], exec, s[4:5]
	s_cbranch_execz .LBB226_236
; %bb.233:
	s_mov_b32 s7, 0x1000000
	v_cmp_le_f32_e64 s[20:21], |v4|, s7
	v_cmp_le_f32_e64 s[22:23], |v5|, s7
	s_and_b64 s[26:27], s[22:23], s[20:21]
	s_mov_b64 s[20:21], 0
	s_and_saveexec_b64 s[22:23], s[26:27]
; %bb.234:
	s_mov_b64 s[20:21], exec
	v_pk_mul_f32 v[4:5], v[4:5], 4.0 op_sel_hi:[1,0]
; %bb.235:
	s_or_b64 exec, exec, s[22:23]
.LBB226_236:
	s_andn2_saveexec_b64 s[4:5], s[4:5]
; %bb.237:
	s_mov_b32 s22, 0x3e800000
	v_pk_mul_f32 v[4:5], v[4:5], s[22:23] op_sel_hi:[1,0]
	s_andn2_b64 s[20:21], s[20:21], exec
; %bb.238:
	s_or_b64 exec, exec, s[4:5]
	v_max_f32_e64 v3, |v5|, |v5|
	v_max_f32_e64 v8, |v4|, |v4|
	v_max_f32_e32 v3, v8, v3
	v_cvt_f64_f32_e32 v[8:9], v3
	v_frexp_exp_i32_f64_e32 v8, v[8:9]
	v_sub_u32_e32 v9, 0, v8
	v_ldexp_f32 v14, |v4|, v9
	v_ldexp_f32 v9, |v5|, v9
	v_mul_f32_e32 v9, v9, v9
	v_fmac_f32_e32 v9, v14, v14
	v_sqrt_f32_e32 v9, v9
	s_mov_b32 s4, 0x7f800000
	v_cmp_neq_f32_e64 s[4:5], s4, v3
	v_cmp_le_f32_e32 vcc, 0, v4
	v_ldexp_f32 v8, v9, v8
	v_mov_b32_e32 v9, 0x7f800000
	v_cndmask_b32_e64 v3, v9, v8, s[4:5]
                                        ; implicit-def: $vgpr14_vgpr15
	s_and_saveexec_b64 s[4:5], vcc
	s_xor_b64 s[22:23], exec, s[4:5]
	s_cbranch_execz .LBB226_244
; %bb.239:
	v_add_f32_e32 v3, v4, v3
	v_mul_f32_e32 v3, 0.5, v3
	s_mov_b32 s4, 0xf800000
	v_mul_f32_e32 v4, 0x4f800000, v3
	v_cmp_gt_f32_e32 vcc, s4, v3
	s_nop 1
	v_cndmask_b32_e32 v3, v3, v4, vcc
	v_sqrt_f32_e32 v4, v3
	s_nop 0
	v_add_u32_e32 v8, -1, v4
	v_fma_f32 v9, -v8, v4, v3
	v_cmp_ge_f32_e64 s[4:5], 0, v9
	v_add_u32_e32 v9, 1, v4
	s_nop 0
	v_cndmask_b32_e64 v8, v4, v8, s[4:5]
	v_fma_f32 v4, -v9, v4, v3
	v_cmp_lt_f32_e64 s[4:5], 0, v4
	s_nop 1
	v_cndmask_b32_e64 v4, v8, v9, s[4:5]
	v_mul_f32_e32 v8, 0x37800000, v4
	v_cndmask_b32_e32 v4, v4, v8, vcc
	v_mov_b32_e32 v8, 0x260
	v_cmp_class_f32_e32 vcc, v3, v8
	s_nop 1
	v_cndmask_b32_e32 v14, v4, v3, vcc
	v_add_f32_e32 v3, v14, v14
	v_div_scale_f32 v4, s[4:5], v3, v3, v5
	v_rcp_f32_e32 v8, v4
	s_nop 0
	v_fma_f32 v9, -v4, v8, 1.0
	v_fmac_f32_e32 v8, v9, v8
	v_div_scale_f32 v9, vcc, v5, v3, v5
	v_mul_f32_e32 v15, v9, v8
	v_fma_f32 v16, -v4, v15, v9
	v_fmac_f32_e32 v15, v16, v8
	v_fma_f32 v4, -v4, v15, v9
	v_div_fmas_f32 v4, v4, v8, v15
	v_div_fixup_f32 v15, v4, v3, v5
                                        ; implicit-def: $vgpr3
                                        ; implicit-def: $vgpr4_vgpr5
	s_andn2_saveexec_b64 s[22:23], s[22:23]
	s_cbranch_execz .LBB226_246
	s_branch .LBB226_245
.LBB226_240:
	s_or_b64 exec, exec, s[10:11]
	s_and_saveexec_b64 s[2:3], s[0:1]
	s_xor_b64 s[0:1], exec, s[2:3]
	s_cbranch_execz .LBB226_263
.LBB226_241:
	v_mov_b32_e32 v3, 0
	v_lshl_add_u64 v[2:3], v[2:3], 3, s[8:9]
	v_mov_b32_e32 v0, v1
	global_store_dwordx2 v[2:3], v[6:7], off
	s_or_b64 exec, exec, s[0:1]
	v_cmp_gt_i32_e32 vcc, s24, v0
	s_and_saveexec_b64 s[0:1], vcc
	s_cbranch_execnz .LBB226_264
.LBB226_242:
	s_or_b64 exec, exec, s[0:1]
	v_cmp_gt_i32_e32 vcc, s24, v0
	s_and_saveexec_b64 s[0:1], vcc
	s_cbranch_execz .LBB226_265
.LBB226_243:
	v_add_u32_e32 v2, 0x100, v0
	v_add_u32_e32 v0, s6, v0
	v_mov_b32_e32 v1, 0
	v_lshl_add_u64 v[0:1], v[0:1], 3, s[8:9]
	global_store_dwordx2 v[0:1], v[12:13], off
	v_mov_b32_e32 v0, v2
	s_or_b64 exec, exec, s[0:1]
	v_cmp_gt_i32_e32 vcc, s24, v0
	s_and_saveexec_b64 s[0:1], vcc
	s_cbranch_execnz .LBB226_266
	s_branch .LBB226_267
.LBB226_244:
	s_andn2_saveexec_b64 s[22:23], s[22:23]
	s_cbranch_execz .LBB226_246
.LBB226_245:
	v_sub_f32_e32 v3, v3, v4
	v_mul_f32_e32 v3, 0.5, v3
	s_mov_b32 s4, 0xf800000
	v_mul_f32_e32 v4, 0x4f800000, v3
	v_cmp_gt_f32_e32 vcc, s4, v3
	s_nop 1
	v_cndmask_b32_e32 v3, v3, v4, vcc
	v_sqrt_f32_e32 v4, v3
	s_nop 0
	v_add_u32_e32 v8, -1, v4
	v_fma_f32 v9, -v8, v4, v3
	v_cmp_ge_f32_e64 s[4:5], 0, v9
	v_add_u32_e32 v9, 1, v4
	s_nop 0
	v_cndmask_b32_e64 v8, v4, v8, s[4:5]
	v_fma_f32 v4, -v9, v4, v3
	v_cmp_lt_f32_e64 s[4:5], 0, v4
	s_nop 1
	v_cndmask_b32_e64 v4, v8, v9, s[4:5]
	v_mul_f32_e32 v8, 0x37800000, v4
	v_cndmask_b32_e32 v4, v4, v8, vcc
	v_mov_b32_e32 v8, 0x260
	v_cmp_class_f32_e32 vcc, v3, v8
	v_and_b32_e32 v8, 0x7fffffff, v5
	s_nop 0
	v_cndmask_b32_e32 v3, v4, v3, vcc
	v_add_f32_e32 v4, v3, v3
	v_div_scale_f32 v9, s[4:5], v4, v4, v8
	v_rcp_f32_e32 v14, v9
	v_div_scale_f32 v8, vcc, v8, v4, v8
	s_brev_b32 s4, -2
	v_fma_f32 v15, -v9, v14, 1.0
	v_fmac_f32_e32 v14, v15, v14
	v_mul_f32_e32 v15, v8, v14
	v_fma_f32 v16, -v9, v15, v8
	v_fmac_f32_e32 v15, v16, v14
	v_fma_f32 v8, -v9, v15, v8
	v_div_fmas_f32 v8, v8, v14, v15
	v_div_fixup_f32 v14, v8, v4, |v5|
	v_bfi_b32 v15, s4, v3, v5
.LBB226_246:
	s_or_b64 exec, exec, s[22:23]
                                        ; implicit-def: $vgpr5
                                        ; implicit-def: $vgpr8
	s_and_saveexec_b64 s[4:5], s[2:3]
	s_xor_b64 s[2:3], exec, s[4:5]
	s_cbranch_execz .LBB226_248
; %bb.247:
	v_pk_mul_f32 v[4:5], v[14:15], 0.5 op_sel_hi:[1,0]
	s_nop 0
	v_cndmask_b32_e64 v8, v14, v4, s[20:21]
	v_cndmask_b32_e64 v5, v15, v5, s[20:21]
                                        ; implicit-def: $vgpr14_vgpr15
	s_andn2_saveexec_b64 s[2:3], s[2:3]
	s_cbranch_execnz .LBB226_249
	s_branch .LBB226_250
.LBB226_248:
	s_andn2_saveexec_b64 s[2:3], s[2:3]
.LBB226_249:
	v_pk_add_f32 v[4:5], v[14:15], v[14:15]
	s_nop 0
	v_mov_b32_e32 v8, v4
.LBB226_250:
	s_or_b64 exec, exec, s[2:3]
.LBB226_251:
	s_andn2_saveexec_b64 s[2:3], s[18:19]
	s_cbranch_execz .LBB226_257
; %bb.252:
	v_sub_f32_e32 v3, v5, v5
	v_cmp_lt_i32_e32 vcc, -1, v4
	s_brev_b32 s7, -2
	v_and_b32_e32 v8, 0x7fffffff, v3
	s_and_saveexec_b64 s[4:5], vcc
	s_xor_b64 s[4:5], exec, s[4:5]
; %bb.253:
	v_bfi_b32 v5, s7, v3, v5
	v_mov_b32_e32 v8, v4
; %bb.254:
	s_andn2_saveexec_b64 s[4:5], s[4:5]
; %bb.255:
	v_bfi_b32 v5, s7, v4, v5
; %bb.256:
	s_or_b64 exec, exec, s[4:5]
.LBB226_257:
	s_or_b64 exec, exec, s[2:3]
.LBB226_258:
	s_andn2_saveexec_b64 s[2:3], s[16:17]
	s_cbranch_execz .LBB226_260
; %bb.259:
	v_sub_f32_e32 v3, v5, v5
	v_div_scale_f32 v5, vcc, v3, v3, v3
	v_rcp_f32_e32 v8, v5
	s_nop 0
	v_fma_f32 v9, -v5, v8, 1.0
	v_fmac_f32_e32 v8, v9, v8
	v_mul_f32_e32 v9, v5, v8
	v_fma_f32 v14, -v5, v9, v5
	v_fmac_f32_e32 v9, v14, v8
	v_fma_f32 v5, -v5, v9, v5
	v_div_fmas_f32 v5, v5, v8, v9
	v_div_fixup_f32 v5, v5, v3, v3
	v_mov_b32_e32 v8, v4
.LBB226_260:
	s_or_b64 exec, exec, s[2:3]
.LBB226_261:
	s_or_b64 exec, exec, s[14:15]
.LBB226_262:
	s_or_b64 exec, exec, s[12:13]
	v_mov_b32_e32 v9, v5
	s_or_b64 exec, exec, s[10:11]
	s_and_saveexec_b64 s[2:3], s[0:1]
	s_xor_b64 s[0:1], exec, s[2:3]
	s_cbranch_execnz .LBB226_241
.LBB226_263:
	s_or_b64 exec, exec, s[0:1]
	v_cmp_gt_i32_e32 vcc, s24, v0
	s_and_saveexec_b64 s[0:1], vcc
	s_cbranch_execz .LBB226_242
.LBB226_264:
	v_add_u32_e32 v2, 0x100, v0
	v_add_u32_e32 v0, s6, v0
	v_mov_b32_e32 v1, 0
	v_lshl_add_u64 v[0:1], v[0:1], 3, s[8:9]
	global_store_dwordx2 v[0:1], v[10:11], off
	v_mov_b32_e32 v0, v2
	s_or_b64 exec, exec, s[0:1]
	v_cmp_gt_i32_e32 vcc, s24, v0
	s_and_saveexec_b64 s[0:1], vcc
	s_cbranch_execnz .LBB226_243
.LBB226_265:
	s_or_b64 exec, exec, s[0:1]
	v_cmp_gt_i32_e32 vcc, s24, v0
	s_and_saveexec_b64 s[0:1], vcc
	s_cbranch_execz .LBB226_267
.LBB226_266:
	v_add_u32_e32 v0, s6, v0
	v_mov_b32_e32 v1, 0
	v_lshl_add_u64 v[0:1], v[0:1], 3, s[8:9]
	global_store_dwordx2 v[0:1], v[8:9], off
.LBB226_267:
	s_endpgm
	.section	.rodata,"a",@progbits
	.p2align	6, 0x0
	.amdhsa_kernel _ZN2at6native29vectorized_elementwise_kernelILi16EZZZNS0_16sqrt_kernel_cudaERNS_18TensorIteratorBaseEENKUlvE_clEvENKUlvE0_clEvEUlN3c107complexIfEEE_St5arrayIPcLm2EEEEviT0_T1_
		.amdhsa_group_segment_fixed_size 0
		.amdhsa_private_segment_fixed_size 0
		.amdhsa_kernarg_size 24
		.amdhsa_user_sgpr_count 2
		.amdhsa_user_sgpr_dispatch_ptr 0
		.amdhsa_user_sgpr_queue_ptr 0
		.amdhsa_user_sgpr_kernarg_segment_ptr 1
		.amdhsa_user_sgpr_dispatch_id 0
		.amdhsa_user_sgpr_kernarg_preload_length 0
		.amdhsa_user_sgpr_kernarg_preload_offset 0
		.amdhsa_user_sgpr_private_segment_size 0
		.amdhsa_uses_dynamic_stack 0
		.amdhsa_enable_private_segment 0
		.amdhsa_system_sgpr_workgroup_id_x 1
		.amdhsa_system_sgpr_workgroup_id_y 0
		.amdhsa_system_sgpr_workgroup_id_z 0
		.amdhsa_system_sgpr_workgroup_info 0
		.amdhsa_system_vgpr_workitem_id 0
		.amdhsa_next_free_vgpr 19
		.amdhsa_next_free_sgpr 28
		.amdhsa_accum_offset 20
		.amdhsa_reserve_vcc 1
		.amdhsa_float_round_mode_32 0
		.amdhsa_float_round_mode_16_64 0
		.amdhsa_float_denorm_mode_32 3
		.amdhsa_float_denorm_mode_16_64 3
		.amdhsa_dx10_clamp 1
		.amdhsa_ieee_mode 1
		.amdhsa_fp16_overflow 0
		.amdhsa_tg_split 0
		.amdhsa_exception_fp_ieee_invalid_op 0
		.amdhsa_exception_fp_denorm_src 0
		.amdhsa_exception_fp_ieee_div_zero 0
		.amdhsa_exception_fp_ieee_overflow 0
		.amdhsa_exception_fp_ieee_underflow 0
		.amdhsa_exception_fp_ieee_inexact 0
		.amdhsa_exception_int_div_zero 0
	.end_amdhsa_kernel
	.section	.text._ZN2at6native29vectorized_elementwise_kernelILi16EZZZNS0_16sqrt_kernel_cudaERNS_18TensorIteratorBaseEENKUlvE_clEvENKUlvE0_clEvEUlN3c107complexIfEEE_St5arrayIPcLm2EEEEviT0_T1_,"axG",@progbits,_ZN2at6native29vectorized_elementwise_kernelILi16EZZZNS0_16sqrt_kernel_cudaERNS_18TensorIteratorBaseEENKUlvE_clEvENKUlvE0_clEvEUlN3c107complexIfEEE_St5arrayIPcLm2EEEEviT0_T1_,comdat
.Lfunc_end226:
	.size	_ZN2at6native29vectorized_elementwise_kernelILi16EZZZNS0_16sqrt_kernel_cudaERNS_18TensorIteratorBaseEENKUlvE_clEvENKUlvE0_clEvEUlN3c107complexIfEEE_St5arrayIPcLm2EEEEviT0_T1_, .Lfunc_end226-_ZN2at6native29vectorized_elementwise_kernelILi16EZZZNS0_16sqrt_kernel_cudaERNS_18TensorIteratorBaseEENKUlvE_clEvENKUlvE0_clEvEUlN3c107complexIfEEE_St5arrayIPcLm2EEEEviT0_T1_
                                        ; -- End function
	.set _ZN2at6native29vectorized_elementwise_kernelILi16EZZZNS0_16sqrt_kernel_cudaERNS_18TensorIteratorBaseEENKUlvE_clEvENKUlvE0_clEvEUlN3c107complexIfEEE_St5arrayIPcLm2EEEEviT0_T1_.num_vgpr, 19
	.set _ZN2at6native29vectorized_elementwise_kernelILi16EZZZNS0_16sqrt_kernel_cudaERNS_18TensorIteratorBaseEENKUlvE_clEvENKUlvE0_clEvEUlN3c107complexIfEEE_St5arrayIPcLm2EEEEviT0_T1_.num_agpr, 0
	.set _ZN2at6native29vectorized_elementwise_kernelILi16EZZZNS0_16sqrt_kernel_cudaERNS_18TensorIteratorBaseEENKUlvE_clEvENKUlvE0_clEvEUlN3c107complexIfEEE_St5arrayIPcLm2EEEEviT0_T1_.numbered_sgpr, 28
	.set _ZN2at6native29vectorized_elementwise_kernelILi16EZZZNS0_16sqrt_kernel_cudaERNS_18TensorIteratorBaseEENKUlvE_clEvENKUlvE0_clEvEUlN3c107complexIfEEE_St5arrayIPcLm2EEEEviT0_T1_.num_named_barrier, 0
	.set _ZN2at6native29vectorized_elementwise_kernelILi16EZZZNS0_16sqrt_kernel_cudaERNS_18TensorIteratorBaseEENKUlvE_clEvENKUlvE0_clEvEUlN3c107complexIfEEE_St5arrayIPcLm2EEEEviT0_T1_.private_seg_size, 0
	.set _ZN2at6native29vectorized_elementwise_kernelILi16EZZZNS0_16sqrt_kernel_cudaERNS_18TensorIteratorBaseEENKUlvE_clEvENKUlvE0_clEvEUlN3c107complexIfEEE_St5arrayIPcLm2EEEEviT0_T1_.uses_vcc, 1
	.set _ZN2at6native29vectorized_elementwise_kernelILi16EZZZNS0_16sqrt_kernel_cudaERNS_18TensorIteratorBaseEENKUlvE_clEvENKUlvE0_clEvEUlN3c107complexIfEEE_St5arrayIPcLm2EEEEviT0_T1_.uses_flat_scratch, 0
	.set _ZN2at6native29vectorized_elementwise_kernelILi16EZZZNS0_16sqrt_kernel_cudaERNS_18TensorIteratorBaseEENKUlvE_clEvENKUlvE0_clEvEUlN3c107complexIfEEE_St5arrayIPcLm2EEEEviT0_T1_.has_dyn_sized_stack, 0
	.set _ZN2at6native29vectorized_elementwise_kernelILi16EZZZNS0_16sqrt_kernel_cudaERNS_18TensorIteratorBaseEENKUlvE_clEvENKUlvE0_clEvEUlN3c107complexIfEEE_St5arrayIPcLm2EEEEviT0_T1_.has_recursion, 0
	.set _ZN2at6native29vectorized_elementwise_kernelILi16EZZZNS0_16sqrt_kernel_cudaERNS_18TensorIteratorBaseEENKUlvE_clEvENKUlvE0_clEvEUlN3c107complexIfEEE_St5arrayIPcLm2EEEEviT0_T1_.has_indirect_call, 0
	.section	.AMDGPU.csdata,"",@progbits
; Kernel info:
; codeLenInByte = 9320
; TotalNumSgprs: 34
; NumVgprs: 19
; NumAgprs: 0
; TotalNumVgprs: 19
; ScratchSize: 0
; MemoryBound: 0
; FloatMode: 240
; IeeeMode: 1
; LDSByteSize: 0 bytes/workgroup (compile time only)
; SGPRBlocks: 4
; VGPRBlocks: 2
; NumSGPRsForWavesPerEU: 34
; NumVGPRsForWavesPerEU: 19
; AccumOffset: 20
; Occupancy: 8
; WaveLimiterHint : 0
; COMPUTE_PGM_RSRC2:SCRATCH_EN: 0
; COMPUTE_PGM_RSRC2:USER_SGPR: 2
; COMPUTE_PGM_RSRC2:TRAP_HANDLER: 0
; COMPUTE_PGM_RSRC2:TGID_X_EN: 1
; COMPUTE_PGM_RSRC2:TGID_Y_EN: 0
; COMPUTE_PGM_RSRC2:TGID_Z_EN: 0
; COMPUTE_PGM_RSRC2:TIDIG_COMP_CNT: 0
; COMPUTE_PGM_RSRC3_GFX90A:ACCUM_OFFSET: 4
; COMPUTE_PGM_RSRC3_GFX90A:TG_SPLIT: 0
	.section	.text._ZN2at6native29vectorized_elementwise_kernelILi8EZZZNS0_16sqrt_kernel_cudaERNS_18TensorIteratorBaseEENKUlvE_clEvENKUlvE0_clEvEUlN3c107complexIfEEE_St5arrayIPcLm2EEEEviT0_T1_,"axG",@progbits,_ZN2at6native29vectorized_elementwise_kernelILi8EZZZNS0_16sqrt_kernel_cudaERNS_18TensorIteratorBaseEENKUlvE_clEvENKUlvE0_clEvEUlN3c107complexIfEEE_St5arrayIPcLm2EEEEviT0_T1_,comdat
	.globl	_ZN2at6native29vectorized_elementwise_kernelILi8EZZZNS0_16sqrt_kernel_cudaERNS_18TensorIteratorBaseEENKUlvE_clEvENKUlvE0_clEvEUlN3c107complexIfEEE_St5arrayIPcLm2EEEEviT0_T1_ ; -- Begin function _ZN2at6native29vectorized_elementwise_kernelILi8EZZZNS0_16sqrt_kernel_cudaERNS_18TensorIteratorBaseEENKUlvE_clEvENKUlvE0_clEvEUlN3c107complexIfEEE_St5arrayIPcLm2EEEEviT0_T1_
	.p2align	8
	.type	_ZN2at6native29vectorized_elementwise_kernelILi8EZZZNS0_16sqrt_kernel_cudaERNS_18TensorIteratorBaseEENKUlvE_clEvENKUlvE0_clEvEUlN3c107complexIfEEE_St5arrayIPcLm2EEEEviT0_T1_,@function
_ZN2at6native29vectorized_elementwise_kernelILi8EZZZNS0_16sqrt_kernel_cudaERNS_18TensorIteratorBaseEENKUlvE_clEvENKUlvE0_clEvEUlN3c107complexIfEEE_St5arrayIPcLm2EEEEviT0_T1_: ; @_ZN2at6native29vectorized_elementwise_kernelILi8EZZZNS0_16sqrt_kernel_cudaERNS_18TensorIteratorBaseEENKUlvE_clEvENKUlvE0_clEvEUlN3c107complexIfEEE_St5arrayIPcLm2EEEEviT0_T1_
; %bb.0:
	s_load_dword s3, s[0:1], 0x0
	s_load_dwordx4 s[8:11], s[0:1], 0x8
	s_lshl_b32 s6, s2, 10
	s_mov_b64 s[0:1], -1
	s_waitcnt lgkmcnt(0)
	s_sub_i32 s24, s3, s6
	s_cmpk_gt_i32 s24, 0x3ff
	s_cbranch_scc0 .LBB227_122
; %bb.1:
	s_ashr_i32 s7, s6, 31
	s_lshl_b64 s[4:5], s[6:7], 3
	s_add_u32 s0, s10, s4
	s_addc_u32 s1, s11, s5
	v_lshlrev_b32_e32 v1, 5, v0
	global_load_dwordx4 v[10:13], v1, s[0:1]
	global_load_dwordx4 v[6:9], v1, s[0:1] offset:16
	v_mov_b32_e32 v4, 0
	v_mov_b32_e32 v2, 0
	s_waitcnt vmcnt(1)
	v_cmp_neq_f32_e32 vcc, 0, v10
	v_cmp_neq_f32_e64 s[0:1], 0, v11
	s_or_b64 s[0:1], vcc, s[0:1]
	v_mov_b32_e32 v3, v11
	s_and_saveexec_b64 s[12:13], s[0:1]
	s_cbranch_execz .LBB227_31
; %bb.2:
	v_mov_b32_e32 v2, 0x7f800000
	v_cmp_neq_f32_e64 s[0:1], |v11|, v2
	v_mov_b32_e32 v3, v11
	s_and_saveexec_b64 s[14:15], s[0:1]
	s_cbranch_execz .LBB227_30
; %bb.3:
	v_cmp_o_f32_e32 vcc, v10, v10
	s_and_saveexec_b64 s[0:1], vcc
	s_xor_b64 s[16:17], exec, s[0:1]
	s_cbranch_execz .LBB227_27
; %bb.4:
	s_mov_b32 s0, 0x7f800000
	v_cmp_neq_f32_e64 s[0:1], |v10|, s0
	s_and_saveexec_b64 s[2:3], s[0:1]
	s_xor_b64 s[18:19], exec, s[2:3]
	s_cbranch_execz .LBB227_20
; %bb.5:
	v_max_f32_e64 v2, |v11|, |v11|
	v_max_f32_e64 v3, |v10|, |v10|
	v_max_f32_e32 v2, v3, v2
	s_mov_b32 s0, 0x7ed413cb
	v_cmp_nle_f32_e64 s[0:1], s0, v2
                                        ; implicit-def: $sgpr20_sgpr21
                                        ; implicit-def: $vgpr3
	s_and_saveexec_b64 s[2:3], s[0:1]
	s_xor_b64 s[2:3], exec, s[2:3]
	s_cbranch_execz .LBB227_9
; %bb.6:
	s_mov_b32 s7, 0x1000000
	v_cmp_le_f32_e64 s[20:21], |v10|, s7
	v_cmp_le_f32_e64 s[22:23], |v11|, s7
	s_and_b64 s[26:27], s[20:21], s[22:23]
	s_mov_b64 s[20:21], 0
	v_mov_b32_e32 v3, v10
	v_mov_b32_e32 v2, v11
	s_and_saveexec_b64 s[22:23], s[26:27]
; %bb.7:
	v_mov_b32_e32 v2, v11
	v_mov_b32_e32 v3, v10
	s_mov_b64 s[20:21], exec
	v_pk_mul_f32 v[2:3], v[2:3], 4.0 op_sel_hi:[1,0]
; %bb.8:
	s_or_b64 exec, exec, s[22:23]
.LBB227_9:
	s_andn2_saveexec_b64 s[2:3], s[2:3]
; %bb.10:
	v_mov_b32_e32 v2, v11
	v_mov_b32_e32 v3, v10
	s_mov_b32 s22, 0x3e800000
	v_pk_mul_f32 v[2:3], v[2:3], s[22:23] op_sel_hi:[1,0]
	s_andn2_b64 s[20:21], s[20:21], exec
; %bb.11:
	s_or_b64 exec, exec, s[2:3]
	v_max_f32_e64 v5, |v2|, |v2|
	v_max_f32_e64 v14, |v3|, |v3|
	v_max_f32_e32 v5, v14, v5
	v_cvt_f64_f32_e32 v[14:15], v5
	v_frexp_exp_i32_f64_e32 v14, v[14:15]
	v_sub_u32_e32 v15, 0, v14
	v_ldexp_f32 v16, |v3|, v15
	v_ldexp_f32 v15, |v2|, v15
	v_mul_f32_e32 v15, v15, v15
	v_fmac_f32_e32 v15, v16, v16
	v_sqrt_f32_e32 v15, v15
	s_mov_b32 s2, 0x7f800000
	v_cmp_neq_f32_e64 s[2:3], s2, v5
	v_cmp_le_f32_e32 vcc, 0, v3
	v_ldexp_f32 v14, v15, v14
	v_mov_b32_e32 v15, 0x7f800000
	v_cndmask_b32_e64 v15, v15, v14, s[2:3]
                                        ; implicit-def: $vgpr14
                                        ; implicit-def: $vgpr5
	s_and_saveexec_b64 s[2:3], vcc
	s_xor_b64 s[22:23], exec, s[2:3]
	s_cbranch_execz .LBB227_15
; %bb.12:
	v_add_f32_e32 v3, v3, v15
	v_mul_f32_e32 v3, 0.5, v3
	s_mov_b32 s2, 0xf800000
	v_mul_f32_e32 v5, 0x4f800000, v3
	v_cmp_gt_f32_e32 vcc, s2, v3
	s_nop 1
	v_cndmask_b32_e32 v3, v3, v5, vcc
	v_sqrt_f32_e32 v5, v3
	s_nop 0
	v_add_u32_e32 v14, -1, v5
	v_fma_f32 v15, -v14, v5, v3
	v_cmp_ge_f32_e64 s[2:3], 0, v15
	v_add_u32_e32 v15, 1, v5
	s_nop 0
	v_cndmask_b32_e64 v14, v5, v14, s[2:3]
	v_fma_f32 v5, -v15, v5, v3
	v_cmp_lt_f32_e64 s[2:3], 0, v5
	s_nop 1
	v_cndmask_b32_e64 v5, v14, v15, s[2:3]
	v_mul_f32_e32 v14, 0x37800000, v5
	v_cndmask_b32_e32 v5, v5, v14, vcc
	v_mov_b32_e32 v14, 0x260
	v_cmp_class_f32_e32 vcc, v3, v14
	s_nop 1
	v_cndmask_b32_e32 v5, v5, v3, vcc
	v_add_f32_e32 v3, v5, v5
	v_div_scale_f32 v14, s[2:3], v3, v3, v2
	v_rcp_f32_e32 v15, v14
	s_nop 0
	v_fma_f32 v16, -v14, v15, 1.0
	v_fmac_f32_e32 v15, v16, v15
	v_div_scale_f32 v16, vcc, v2, v3, v2
	v_mul_f32_e32 v17, v16, v15
	v_fma_f32 v18, -v14, v17, v16
	v_fmac_f32_e32 v17, v18, v15
	v_fma_f32 v14, -v14, v17, v16
	v_div_fmas_f32 v14, v14, v15, v17
	v_div_fixup_f32 v14, v14, v3, v2
                                        ; implicit-def: $vgpr15
                                        ; implicit-def: $vgpr3
	s_andn2_saveexec_b64 s[22:23], s[22:23]
	s_cbranch_execnz .LBB227_16
.LBB227_13:
	s_or_b64 exec, exec, s[22:23]
	s_and_saveexec_b64 s[2:3], s[0:1]
	s_xor_b64 s[0:1], exec, s[2:3]
	s_cbranch_execz .LBB227_17
.LBB227_14:
	v_mul_f32_e32 v2, 0.5, v5
	v_mul_f32_e32 v3, 0.5, v14
	v_cndmask_b32_e64 v2, v5, v2, s[20:21]
	v_cndmask_b32_e64 v3, v14, v3, s[20:21]
                                        ; implicit-def: $vgpr5
                                        ; implicit-def: $vgpr14
	s_andn2_saveexec_b64 s[0:1], s[0:1]
	s_cbranch_execnz .LBB227_18
	s_branch .LBB227_19
.LBB227_15:
	s_andn2_saveexec_b64 s[22:23], s[22:23]
	s_cbranch_execz .LBB227_13
.LBB227_16:
	v_sub_f32_e32 v3, v15, v3
	v_mul_f32_e32 v3, 0.5, v3
	s_mov_b32 s2, 0xf800000
	v_mul_f32_e32 v5, 0x4f800000, v3
	v_cmp_gt_f32_e32 vcc, s2, v3
	s_nop 1
	v_cndmask_b32_e32 v3, v3, v5, vcc
	v_sqrt_f32_e32 v5, v3
	s_nop 0
	v_add_u32_e32 v14, -1, v5
	v_fma_f32 v15, -v14, v5, v3
	v_cmp_ge_f32_e64 s[2:3], 0, v15
	v_add_u32_e32 v15, 1, v5
	s_nop 0
	v_cndmask_b32_e64 v14, v5, v14, s[2:3]
	v_fma_f32 v5, -v15, v5, v3
	v_cmp_lt_f32_e64 s[2:3], 0, v5
	s_nop 1
	v_cndmask_b32_e64 v5, v14, v15, s[2:3]
	v_mul_f32_e32 v14, 0x37800000, v5
	v_cndmask_b32_e32 v5, v5, v14, vcc
	v_mov_b32_e32 v14, 0x260
	v_cmp_class_f32_e32 vcc, v3, v14
	v_and_b32_e32 v14, 0x7fffffff, v2
	s_nop 0
	v_cndmask_b32_e32 v3, v5, v3, vcc
	v_add_f32_e32 v5, v3, v3
	v_div_scale_f32 v15, s[2:3], v5, v5, v14
	v_rcp_f32_e32 v16, v15
	v_div_scale_f32 v14, vcc, v14, v5, v14
	s_brev_b32 s2, -2
	v_fma_f32 v17, -v15, v16, 1.0
	v_fmac_f32_e32 v16, v17, v16
	v_mul_f32_e32 v17, v14, v16
	v_fma_f32 v18, -v15, v17, v14
	v_fmac_f32_e32 v17, v18, v16
	v_fma_f32 v14, -v15, v17, v14
	v_div_fmas_f32 v14, v14, v16, v17
	v_div_fixup_f32 v5, v14, v5, |v2|
	v_bfi_b32 v14, s2, v3, v2
	s_or_b64 exec, exec, s[22:23]
	s_and_saveexec_b64 s[2:3], s[0:1]
	s_xor_b64 s[0:1], exec, s[2:3]
	s_cbranch_execnz .LBB227_14
.LBB227_17:
	s_andn2_saveexec_b64 s[0:1], s[0:1]
.LBB227_18:
	v_add_f32_e32 v2, v5, v5
	v_add_f32_e32 v3, v14, v14
.LBB227_19:
	s_or_b64 exec, exec, s[0:1]
.LBB227_20:
	s_andn2_saveexec_b64 s[0:1], s[18:19]
	s_cbranch_execz .LBB227_26
; %bb.21:
	v_sub_f32_e32 v3, v11, v11
	v_cmp_lt_i32_e32 vcc, -1, v10
	s_brev_b32 s7, -2
	v_and_b32_e32 v2, 0x7fffffff, v3
	s_and_saveexec_b64 s[2:3], vcc
	s_xor_b64 s[2:3], exec, s[2:3]
; %bb.22:
	v_bfi_b32 v3, s7, v3, v11
	v_mov_b32_e32 v2, v10
; %bb.23:
	s_andn2_saveexec_b64 s[2:3], s[2:3]
; %bb.24:
	v_bfi_b32 v3, s7, v10, v11
; %bb.25:
	s_or_b64 exec, exec, s[2:3]
.LBB227_26:
	s_or_b64 exec, exec, s[0:1]
.LBB227_27:
	s_andn2_saveexec_b64 s[0:1], s[16:17]
	s_cbranch_execz .LBB227_29
; %bb.28:
	v_sub_f32_e32 v2, v11, v11
	v_div_scale_f32 v3, vcc, v2, v2, v2
	v_rcp_f32_e32 v5, v3
	s_nop 0
	v_fma_f32 v11, -v3, v5, 1.0
	v_fmac_f32_e32 v5, v11, v5
	v_mul_f32_e32 v11, v3, v5
	v_fma_f32 v14, -v3, v11, v3
	v_fmac_f32_e32 v11, v14, v5
	v_fma_f32 v3, -v3, v11, v3
	v_div_fmas_f32 v3, v3, v5, v11
	v_div_fixup_f32 v3, v3, v2, v2
	v_mov_b32_e32 v2, v10
.LBB227_29:
	s_or_b64 exec, exec, s[0:1]
.LBB227_30:
	s_or_b64 exec, exec, s[14:15]
.LBB227_31:
	s_or_b64 exec, exec, s[12:13]
	v_cmp_neq_f32_e32 vcc, 0, v12
	v_cmp_neq_f32_e64 s[0:1], 0, v13
	s_or_b64 s[0:1], vcc, s[0:1]
	s_and_saveexec_b64 s[12:13], s[0:1]
	s_cbranch_execz .LBB227_61
; %bb.32:
	v_mov_b32_e32 v4, 0x7f800000
	v_cmp_neq_f32_e64 s[0:1], |v13|, v4
	s_and_saveexec_b64 s[14:15], s[0:1]
	s_cbranch_execz .LBB227_60
; %bb.33:
	v_cmp_o_f32_e32 vcc, v12, v12
	s_and_saveexec_b64 s[0:1], vcc
	s_xor_b64 s[16:17], exec, s[0:1]
	s_cbranch_execz .LBB227_57
; %bb.34:
	s_mov_b32 s0, 0x7f800000
	v_cmp_neq_f32_e64 s[0:1], |v12|, s0
	s_and_saveexec_b64 s[2:3], s[0:1]
	s_xor_b64 s[18:19], exec, s[2:3]
	s_cbranch_execz .LBB227_50
; %bb.35:
	v_max_f32_e64 v4, |v13|, |v13|
	v_max_f32_e64 v5, |v12|, |v12|
	v_max_f32_e32 v4, v5, v4
	s_mov_b32 s0, 0x7ed413cb
	v_cmp_nle_f32_e64 s[0:1], s0, v4
                                        ; implicit-def: $sgpr20_sgpr21
	s_and_saveexec_b64 s[2:3], s[0:1]
	s_xor_b64 s[2:3], exec, s[2:3]
	s_cbranch_execz .LBB227_39
; %bb.36:
	s_mov_b32 s7, 0x1000000
	v_cmp_le_f32_e64 s[20:21], |v12|, s7
	v_cmp_le_f32_e64 s[22:23], |v13|, s7
	s_and_b64 s[26:27], s[20:21], s[22:23]
	s_mov_b64 s[20:21], 0
	s_and_saveexec_b64 s[22:23], s[26:27]
; %bb.37:
	v_mov_b32_e32 v4, v13
	v_mov_b32_e32 v5, v12
	v_pk_mul_f32 v[4:5], v[4:5], 4.0 op_sel_hi:[1,0]
	s_mov_b64 s[20:21], exec
	v_mov_b32_e32 v12, v5
	v_mov_b32_e32 v13, v4
; %bb.38:
	s_or_b64 exec, exec, s[22:23]
.LBB227_39:
	s_andn2_saveexec_b64 s[2:3], s[2:3]
; %bb.40:
	v_mov_b32_e32 v4, v13
	v_mov_b32_e32 v5, v12
	s_mov_b32 s22, 0x3e800000
	v_pk_mul_f32 v[4:5], v[4:5], s[22:23] op_sel_hi:[1,0]
	s_andn2_b64 s[20:21], s[20:21], exec
	v_mov_b32_e32 v13, v4
	v_mov_b32_e32 v12, v5
; %bb.41:
	s_or_b64 exec, exec, s[2:3]
	v_max_f32_e64 v4, |v13|, |v13|
	v_max_f32_e64 v5, |v12|, |v12|
	v_max_f32_e32 v10, v5, v4
	v_cvt_f64_f32_e32 v[4:5], v10
	v_frexp_exp_i32_f64_e32 v4, v[4:5]
	v_sub_u32_e32 v5, 0, v4
	v_ldexp_f32 v11, |v12|, v5
	v_ldexp_f32 v5, |v13|, v5
	v_mul_f32_e32 v5, v5, v5
	v_fmac_f32_e32 v5, v11, v11
	v_sqrt_f32_e32 v5, v5
	s_mov_b32 s2, 0x7f800000
	v_cmp_neq_f32_e64 s[2:3], s2, v10
	v_cmp_le_f32_e32 vcc, 0, v12
	v_ldexp_f32 v4, v5, v4
	v_mov_b32_e32 v5, 0x7f800000
	v_cndmask_b32_e64 v4, v5, v4, s[2:3]
                                        ; implicit-def: $vgpr10
                                        ; implicit-def: $vgpr5
	s_and_saveexec_b64 s[2:3], vcc
	s_xor_b64 s[22:23], exec, s[2:3]
	s_cbranch_execz .LBB227_43
; %bb.42:
	v_add_f32_e32 v4, v12, v4
	v_mul_f32_e32 v4, 0.5, v4
	s_mov_b32 s2, 0xf800000
	v_mul_f32_e32 v5, 0x4f800000, v4
	v_cmp_gt_f32_e32 vcc, s2, v4
	s_nop 1
	v_cndmask_b32_e32 v4, v4, v5, vcc
	v_sqrt_f32_e32 v5, v4
	s_nop 0
	v_add_u32_e32 v10, -1, v5
	v_fma_f32 v11, -v10, v5, v4
	v_cmp_ge_f32_e64 s[2:3], 0, v11
	v_add_u32_e32 v11, 1, v5
	s_nop 0
	v_cndmask_b32_e64 v10, v5, v10, s[2:3]
	v_fma_f32 v5, -v11, v5, v4
	v_cmp_lt_f32_e64 s[2:3], 0, v5
	s_nop 1
	v_cndmask_b32_e64 v5, v10, v11, s[2:3]
	v_mul_f32_e32 v10, 0x37800000, v5
	v_cndmask_b32_e32 v5, v5, v10, vcc
	v_mov_b32_e32 v10, 0x260
	v_cmp_class_f32_e32 vcc, v4, v10
	s_nop 1
	v_cndmask_b32_e32 v5, v5, v4, vcc
	v_add_f32_e32 v4, v5, v5
	v_div_scale_f32 v10, s[2:3], v4, v4, v13
	v_rcp_f32_e32 v11, v10
	s_nop 0
	v_fma_f32 v12, -v10, v11, 1.0
	v_fmac_f32_e32 v11, v12, v11
	v_div_scale_f32 v12, vcc, v13, v4, v13
	v_mul_f32_e32 v14, v12, v11
	v_fma_f32 v15, -v10, v14, v12
	v_fmac_f32_e32 v14, v15, v11
	v_fma_f32 v10, -v10, v14, v12
	v_div_fmas_f32 v10, v10, v11, v14
	v_div_fixup_f32 v10, v10, v4, v13
                                        ; implicit-def: $vgpr4
                                        ; implicit-def: $vgpr12
	s_andn2_saveexec_b64 s[22:23], s[22:23]
	s_cbranch_execz .LBB227_45
	s_branch .LBB227_44
.LBB227_43:
	s_andn2_saveexec_b64 s[22:23], s[22:23]
	s_cbranch_execz .LBB227_45
.LBB227_44:
	v_sub_f32_e32 v4, v4, v12
	v_mul_f32_e32 v4, 0.5, v4
	s_mov_b32 s2, 0xf800000
	v_mul_f32_e32 v5, 0x4f800000, v4
	v_cmp_gt_f32_e32 vcc, s2, v4
	s_nop 1
	v_cndmask_b32_e32 v4, v4, v5, vcc
	v_sqrt_f32_e32 v5, v4
	s_nop 0
	v_add_u32_e32 v10, -1, v5
	v_fma_f32 v11, -v10, v5, v4
	v_cmp_ge_f32_e64 s[2:3], 0, v11
	v_add_u32_e32 v11, 1, v5
	s_nop 0
	v_cndmask_b32_e64 v10, v5, v10, s[2:3]
	v_fma_f32 v5, -v11, v5, v4
	v_cmp_lt_f32_e64 s[2:3], 0, v5
	s_nop 1
	v_cndmask_b32_e64 v5, v10, v11, s[2:3]
	v_mul_f32_e32 v10, 0x37800000, v5
	v_cndmask_b32_e32 v5, v5, v10, vcc
	v_mov_b32_e32 v10, 0x260
	v_cmp_class_f32_e32 vcc, v4, v10
	v_and_b32_e32 v10, 0x7fffffff, v13
	s_nop 0
	v_cndmask_b32_e32 v4, v5, v4, vcc
	v_add_f32_e32 v5, v4, v4
	v_div_scale_f32 v11, s[2:3], v5, v5, v10
	v_rcp_f32_e32 v12, v11
	v_div_scale_f32 v10, vcc, v10, v5, v10
	s_brev_b32 s2, -2
	v_fma_f32 v14, -v11, v12, 1.0
	v_fmac_f32_e32 v12, v14, v12
	v_mul_f32_e32 v14, v10, v12
	v_fma_f32 v15, -v11, v14, v10
	v_fmac_f32_e32 v14, v15, v12
	v_fma_f32 v10, -v11, v14, v10
	v_div_fmas_f32 v10, v10, v12, v14
	v_div_fixup_f32 v5, v10, v5, |v13|
	v_bfi_b32 v10, s2, v4, v13
.LBB227_45:
	s_or_b64 exec, exec, s[22:23]
                                        ; implicit-def: $vgpr13
	s_and_saveexec_b64 s[2:3], s[0:1]
	s_xor_b64 s[0:1], exec, s[2:3]
	s_cbranch_execz .LBB227_47
; %bb.46:
	v_mul_f32_e32 v4, 0.5, v5
	v_mul_f32_e32 v11, 0.5, v10
	v_cndmask_b32_e64 v4, v5, v4, s[20:21]
	v_cndmask_b32_e64 v13, v10, v11, s[20:21]
                                        ; implicit-def: $vgpr5
                                        ; implicit-def: $vgpr10
	s_andn2_saveexec_b64 s[0:1], s[0:1]
	s_cbranch_execnz .LBB227_48
	s_branch .LBB227_49
.LBB227_47:
	s_andn2_saveexec_b64 s[0:1], s[0:1]
.LBB227_48:
	v_add_f32_e32 v4, v5, v5
	v_add_f32_e32 v13, v10, v10
.LBB227_49:
	s_or_b64 exec, exec, s[0:1]
.LBB227_50:
	s_andn2_saveexec_b64 s[0:1], s[18:19]
	s_cbranch_execz .LBB227_56
; %bb.51:
	v_sub_f32_e32 v5, v13, v13
	v_cmp_lt_i32_e32 vcc, -1, v12
	s_brev_b32 s7, -2
	v_and_b32_e32 v4, 0x7fffffff, v5
	s_and_saveexec_b64 s[2:3], vcc
	s_xor_b64 s[2:3], exec, s[2:3]
; %bb.52:
	v_bfi_b32 v13, s7, v5, v13
	v_mov_b32_e32 v4, v12
; %bb.53:
	s_andn2_saveexec_b64 s[2:3], s[2:3]
; %bb.54:
	v_bfi_b32 v13, s7, v12, v13
; %bb.55:
	s_or_b64 exec, exec, s[2:3]
.LBB227_56:
	s_or_b64 exec, exec, s[0:1]
.LBB227_57:
	s_andn2_saveexec_b64 s[0:1], s[16:17]
	s_cbranch_execz .LBB227_59
; %bb.58:
	v_sub_f32_e32 v4, v13, v13
	v_div_scale_f32 v5, vcc, v4, v4, v4
	v_rcp_f32_e32 v10, v5
	s_nop 0
	v_fma_f32 v11, -v5, v10, 1.0
	v_fmac_f32_e32 v10, v11, v10
	v_mul_f32_e32 v11, v5, v10
	v_fma_f32 v13, -v5, v11, v5
	v_fmac_f32_e32 v11, v13, v10
	v_fma_f32 v5, -v5, v11, v5
	v_div_fmas_f32 v5, v5, v10, v11
	v_div_fixup_f32 v13, v5, v4, v4
	v_mov_b32_e32 v4, v12
.LBB227_59:
	s_or_b64 exec, exec, s[0:1]
.LBB227_60:
	s_or_b64 exec, exec, s[14:15]
.LBB227_61:
	s_or_b64 exec, exec, s[12:13]
	s_waitcnt vmcnt(0)
	v_cmp_neq_f32_e32 vcc, 0, v6
	v_cmp_neq_f32_e64 s[0:1], 0, v7
	v_mov_b32_e32 v12, 0
	s_or_b64 s[0:1], vcc, s[0:1]
	v_mov_b32_e32 v10, 0
	v_mov_b32_e32 v11, v7
	s_and_saveexec_b64 s[12:13], s[0:1]
	s_cbranch_execz .LBB227_91
; %bb.62:
	v_mov_b32_e32 v10, 0x7f800000
	v_cmp_neq_f32_e64 s[0:1], |v7|, v10
	v_mov_b32_e32 v11, v7
	s_and_saveexec_b64 s[14:15], s[0:1]
	s_cbranch_execz .LBB227_90
; %bb.63:
	v_cmp_o_f32_e32 vcc, v6, v6
	s_and_saveexec_b64 s[0:1], vcc
	s_xor_b64 s[16:17], exec, s[0:1]
	s_cbranch_execz .LBB227_87
; %bb.64:
	s_mov_b32 s0, 0x7f800000
	v_cmp_neq_f32_e64 s[0:1], |v6|, s0
	s_and_saveexec_b64 s[2:3], s[0:1]
	s_xor_b64 s[18:19], exec, s[2:3]
	s_cbranch_execz .LBB227_80
; %bb.65:
	v_max_f32_e64 v5, |v7|, |v7|
	v_max_f32_e64 v10, |v6|, |v6|
	v_max_f32_e32 v5, v10, v5
	s_mov_b32 s0, 0x7ed413cb
	v_cmp_nle_f32_e64 s[0:1], s0, v5
                                        ; implicit-def: $sgpr20_sgpr21
                                        ; implicit-def: $vgpr11
	s_and_saveexec_b64 s[2:3], s[0:1]
	s_xor_b64 s[2:3], exec, s[2:3]
	s_cbranch_execz .LBB227_69
; %bb.66:
	s_mov_b32 s7, 0x1000000
	v_cmp_le_f32_e64 s[20:21], |v6|, s7
	v_cmp_le_f32_e64 s[22:23], |v7|, s7
	s_and_b64 s[26:27], s[20:21], s[22:23]
	s_mov_b64 s[20:21], 0
	v_mov_b32_e32 v11, v6
	v_mov_b32_e32 v10, v7
	s_and_saveexec_b64 s[22:23], s[26:27]
; %bb.67:
	v_mov_b32_e32 v10, v7
	v_mov_b32_e32 v11, v6
	s_mov_b64 s[20:21], exec
	v_pk_mul_f32 v[10:11], v[10:11], 4.0 op_sel_hi:[1,0]
; %bb.68:
	s_or_b64 exec, exec, s[22:23]
.LBB227_69:
	s_andn2_saveexec_b64 s[2:3], s[2:3]
; %bb.70:
	v_mov_b32_e32 v10, v7
	v_mov_b32_e32 v11, v6
	s_mov_b32 s22, 0x3e800000
	v_pk_mul_f32 v[10:11], v[10:11], s[22:23] op_sel_hi:[1,0]
	s_andn2_b64 s[20:21], s[20:21], exec
; %bb.71:
	s_or_b64 exec, exec, s[2:3]
	v_max_f32_e64 v5, |v10|, |v10|
	v_max_f32_e64 v14, |v11|, |v11|
	v_max_f32_e32 v5, v14, v5
	v_cvt_f64_f32_e32 v[14:15], v5
	v_frexp_exp_i32_f64_e32 v14, v[14:15]
	v_sub_u32_e32 v15, 0, v14
	v_ldexp_f32 v16, |v11|, v15
	v_ldexp_f32 v15, |v10|, v15
	v_mul_f32_e32 v15, v15, v15
	v_fmac_f32_e32 v15, v16, v16
	v_sqrt_f32_e32 v15, v15
	s_mov_b32 s2, 0x7f800000
	v_cmp_neq_f32_e64 s[2:3], s2, v5
	v_cmp_le_f32_e32 vcc, 0, v11
	v_ldexp_f32 v14, v15, v14
	v_mov_b32_e32 v15, 0x7f800000
	v_cndmask_b32_e64 v15, v15, v14, s[2:3]
                                        ; implicit-def: $vgpr14
                                        ; implicit-def: $vgpr5
	s_and_saveexec_b64 s[2:3], vcc
	s_xor_b64 s[22:23], exec, s[2:3]
	s_cbranch_execz .LBB227_75
; %bb.72:
	v_add_f32_e32 v5, v11, v15
	v_mul_f32_e32 v5, 0.5, v5
	s_mov_b32 s2, 0xf800000
	v_mul_f32_e32 v11, 0x4f800000, v5
	v_cmp_gt_f32_e32 vcc, s2, v5
	s_nop 1
	v_cndmask_b32_e32 v5, v5, v11, vcc
	v_sqrt_f32_e32 v11, v5
	s_nop 0
	v_add_u32_e32 v14, -1, v11
	v_fma_f32 v15, -v14, v11, v5
	v_cmp_ge_f32_e64 s[2:3], 0, v15
	v_add_u32_e32 v15, 1, v11
	s_nop 0
	v_cndmask_b32_e64 v14, v11, v14, s[2:3]
	v_fma_f32 v11, -v15, v11, v5
	v_cmp_lt_f32_e64 s[2:3], 0, v11
	s_nop 1
	v_cndmask_b32_e64 v11, v14, v15, s[2:3]
	v_mul_f32_e32 v14, 0x37800000, v11
	v_cndmask_b32_e32 v11, v11, v14, vcc
	v_mov_b32_e32 v14, 0x260
	v_cmp_class_f32_e32 vcc, v5, v14
	s_nop 1
	v_cndmask_b32_e32 v5, v11, v5, vcc
	v_add_f32_e32 v11, v5, v5
	v_div_scale_f32 v14, s[2:3], v11, v11, v10
	v_rcp_f32_e32 v15, v14
	s_nop 0
	v_fma_f32 v16, -v14, v15, 1.0
	v_fmac_f32_e32 v15, v16, v15
	v_div_scale_f32 v16, vcc, v10, v11, v10
	v_mul_f32_e32 v17, v16, v15
	v_fma_f32 v18, -v14, v17, v16
	v_fmac_f32_e32 v17, v18, v15
	v_fma_f32 v14, -v14, v17, v16
	v_div_fmas_f32 v14, v14, v15, v17
	v_div_fixup_f32 v14, v14, v11, v10
                                        ; implicit-def: $vgpr15
                                        ; implicit-def: $vgpr11
	s_andn2_saveexec_b64 s[22:23], s[22:23]
	s_cbranch_execnz .LBB227_76
.LBB227_73:
	s_or_b64 exec, exec, s[22:23]
	s_and_saveexec_b64 s[2:3], s[0:1]
	s_xor_b64 s[0:1], exec, s[2:3]
	s_cbranch_execz .LBB227_77
.LBB227_74:
	v_mul_f32_e32 v10, 0.5, v5
	v_mul_f32_e32 v11, 0.5, v14
	v_cndmask_b32_e64 v10, v5, v10, s[20:21]
	v_cndmask_b32_e64 v11, v14, v11, s[20:21]
                                        ; implicit-def: $vgpr5
                                        ; implicit-def: $vgpr14
	s_andn2_saveexec_b64 s[0:1], s[0:1]
	s_cbranch_execnz .LBB227_78
	s_branch .LBB227_79
.LBB227_75:
	s_andn2_saveexec_b64 s[22:23], s[22:23]
	s_cbranch_execz .LBB227_73
.LBB227_76:
	v_sub_f32_e32 v5, v15, v11
	v_mul_f32_e32 v5, 0.5, v5
	s_mov_b32 s2, 0xf800000
	v_mul_f32_e32 v11, 0x4f800000, v5
	v_cmp_gt_f32_e32 vcc, s2, v5
	s_nop 1
	v_cndmask_b32_e32 v5, v5, v11, vcc
	v_sqrt_f32_e32 v11, v5
	s_nop 0
	v_add_u32_e32 v14, -1, v11
	v_fma_f32 v15, -v14, v11, v5
	v_cmp_ge_f32_e64 s[2:3], 0, v15
	v_add_u32_e32 v15, 1, v11
	s_nop 0
	v_cndmask_b32_e64 v14, v11, v14, s[2:3]
	v_fma_f32 v11, -v15, v11, v5
	v_cmp_lt_f32_e64 s[2:3], 0, v11
	s_nop 1
	v_cndmask_b32_e64 v11, v14, v15, s[2:3]
	v_mul_f32_e32 v14, 0x37800000, v11
	v_cndmask_b32_e32 v11, v11, v14, vcc
	v_mov_b32_e32 v14, 0x260
	v_cmp_class_f32_e32 vcc, v5, v14
	v_and_b32_e32 v14, 0x7fffffff, v10
	s_nop 0
	v_cndmask_b32_e32 v11, v11, v5, vcc
	v_add_f32_e32 v5, v11, v11
	v_div_scale_f32 v15, s[2:3], v5, v5, v14
	v_rcp_f32_e32 v16, v15
	v_div_scale_f32 v14, vcc, v14, v5, v14
	s_brev_b32 s2, -2
	v_fma_f32 v17, -v15, v16, 1.0
	v_fmac_f32_e32 v16, v17, v16
	v_mul_f32_e32 v17, v14, v16
	v_fma_f32 v18, -v15, v17, v14
	v_fmac_f32_e32 v17, v18, v16
	v_fma_f32 v14, -v15, v17, v14
	v_div_fmas_f32 v14, v14, v16, v17
	v_div_fixup_f32 v5, v14, v5, |v10|
	v_bfi_b32 v14, s2, v11, v10
	s_or_b64 exec, exec, s[22:23]
	s_and_saveexec_b64 s[2:3], s[0:1]
	s_xor_b64 s[0:1], exec, s[2:3]
	s_cbranch_execnz .LBB227_74
.LBB227_77:
	s_andn2_saveexec_b64 s[0:1], s[0:1]
.LBB227_78:
	v_add_f32_e32 v10, v5, v5
	v_add_f32_e32 v11, v14, v14
.LBB227_79:
	s_or_b64 exec, exec, s[0:1]
.LBB227_80:
	s_andn2_saveexec_b64 s[0:1], s[18:19]
	s_cbranch_execz .LBB227_86
; %bb.81:
	v_sub_f32_e32 v5, v7, v7
	v_cmp_lt_i32_e32 vcc, -1, v6
	s_brev_b32 s7, -2
	v_and_b32_e32 v10, 0x7fffffff, v5
	s_and_saveexec_b64 s[2:3], vcc
	s_xor_b64 s[2:3], exec, s[2:3]
; %bb.82:
	v_bfi_b32 v11, s7, v5, v7
	v_mov_b32_e32 v10, v6
; %bb.83:
	s_andn2_saveexec_b64 s[2:3], s[2:3]
; %bb.84:
	v_bfi_b32 v11, s7, v6, v7
; %bb.85:
	s_or_b64 exec, exec, s[2:3]
.LBB227_86:
	s_or_b64 exec, exec, s[0:1]
.LBB227_87:
	s_andn2_saveexec_b64 s[0:1], s[16:17]
	s_cbranch_execz .LBB227_89
; %bb.88:
	v_sub_f32_e32 v5, v7, v7
	v_div_scale_f32 v7, vcc, v5, v5, v5
	v_rcp_f32_e32 v10, v7
	s_nop 0
	v_fma_f32 v11, -v7, v10, 1.0
	v_fmac_f32_e32 v10, v11, v10
	v_mul_f32_e32 v11, v7, v10
	v_fma_f32 v14, -v7, v11, v7
	v_fmac_f32_e32 v11, v14, v10
	v_fma_f32 v7, -v7, v11, v7
	v_div_fmas_f32 v7, v7, v10, v11
	v_div_fixup_f32 v11, v7, v5, v5
	v_mov_b32_e32 v10, v6
.LBB227_89:
	s_or_b64 exec, exec, s[0:1]
.LBB227_90:
	s_or_b64 exec, exec, s[14:15]
.LBB227_91:
	s_or_b64 exec, exec, s[12:13]
	v_cmp_neq_f32_e32 vcc, 0, v8
	v_cmp_neq_f32_e64 s[0:1], 0, v9
	s_or_b64 s[0:1], vcc, s[0:1]
	s_and_saveexec_b64 s[12:13], s[0:1]
	s_cbranch_execz .LBB227_121
; %bb.92:
	v_mov_b32_e32 v12, 0x7f800000
	v_cmp_neq_f32_e64 s[0:1], |v9|, v12
	s_and_saveexec_b64 s[14:15], s[0:1]
	s_cbranch_execz .LBB227_120
; %bb.93:
	v_cmp_o_f32_e32 vcc, v8, v8
	s_and_saveexec_b64 s[0:1], vcc
	s_xor_b64 s[16:17], exec, s[0:1]
	s_cbranch_execz .LBB227_117
; %bb.94:
	s_mov_b32 s0, 0x7f800000
	v_cmp_neq_f32_e64 s[0:1], |v8|, s0
	s_and_saveexec_b64 s[2:3], s[0:1]
	s_xor_b64 s[18:19], exec, s[2:3]
	s_cbranch_execz .LBB227_110
; %bb.95:
	v_max_f32_e64 v5, |v9|, |v9|
	v_max_f32_e64 v6, |v8|, |v8|
	v_max_f32_e32 v5, v6, v5
	s_mov_b32 s0, 0x7ed413cb
	v_cmp_nle_f32_e64 s[0:1], s0, v5
                                        ; implicit-def: $sgpr20_sgpr21
	s_and_saveexec_b64 s[2:3], s[0:1]
	s_xor_b64 s[2:3], exec, s[2:3]
	s_cbranch_execz .LBB227_99
; %bb.96:
	s_mov_b32 s7, 0x1000000
	v_cmp_le_f32_e64 s[20:21], |v8|, s7
	v_cmp_le_f32_e64 s[22:23], |v9|, s7
	s_and_b64 s[26:27], s[20:21], s[22:23]
	s_mov_b64 s[20:21], 0
	s_and_saveexec_b64 s[22:23], s[26:27]
; %bb.97:
	v_mov_b32_e32 v6, v9
	v_mov_b32_e32 v7, v8
	v_pk_mul_f32 v[6:7], v[6:7], 4.0 op_sel_hi:[1,0]
	s_mov_b64 s[20:21], exec
	v_mov_b32_e32 v8, v7
	v_mov_b32_e32 v9, v6
; %bb.98:
	s_or_b64 exec, exec, s[22:23]
.LBB227_99:
	s_andn2_saveexec_b64 s[2:3], s[2:3]
; %bb.100:
	v_mov_b32_e32 v6, v9
	v_mov_b32_e32 v7, v8
	s_mov_b32 s22, 0x3e800000
	v_pk_mul_f32 v[6:7], v[6:7], s[22:23] op_sel_hi:[1,0]
	s_andn2_b64 s[20:21], s[20:21], exec
	v_mov_b32_e32 v9, v6
	v_mov_b32_e32 v8, v7
; %bb.101:
	s_or_b64 exec, exec, s[2:3]
	v_max_f32_e64 v5, |v9|, |v9|
	v_max_f32_e64 v6, |v8|, |v8|
	v_max_f32_e32 v5, v6, v5
	v_cvt_f64_f32_e32 v[6:7], v5
	v_frexp_exp_i32_f64_e32 v6, v[6:7]
	v_sub_u32_e32 v7, 0, v6
	v_ldexp_f32 v12, |v8|, v7
	v_ldexp_f32 v7, |v9|, v7
	v_mul_f32_e32 v7, v7, v7
	v_fmac_f32_e32 v7, v12, v12
	v_sqrt_f32_e32 v7, v7
	s_mov_b32 s2, 0x7f800000
	v_cmp_neq_f32_e64 s[2:3], s2, v5
	v_cmp_le_f32_e32 vcc, 0, v8
	v_ldexp_f32 v6, v7, v6
	v_mov_b32_e32 v7, 0x7f800000
	v_cndmask_b32_e64 v7, v7, v6, s[2:3]
                                        ; implicit-def: $vgpr6
                                        ; implicit-def: $vgpr5
	s_and_saveexec_b64 s[2:3], vcc
	s_xor_b64 s[22:23], exec, s[2:3]
	s_cbranch_execz .LBB227_103
; %bb.102:
	v_add_f32_e32 v5, v8, v7
	v_mul_f32_e32 v5, 0.5, v5
	s_mov_b32 s2, 0xf800000
	v_mul_f32_e32 v6, 0x4f800000, v5
	v_cmp_gt_f32_e32 vcc, s2, v5
	s_nop 1
	v_cndmask_b32_e32 v5, v5, v6, vcc
	v_sqrt_f32_e32 v6, v5
	s_nop 0
	v_add_u32_e32 v7, -1, v6
	v_fma_f32 v8, -v7, v6, v5
	v_cmp_ge_f32_e64 s[2:3], 0, v8
	v_add_u32_e32 v8, 1, v6
	s_nop 0
	v_cndmask_b32_e64 v7, v6, v7, s[2:3]
	v_fma_f32 v6, -v8, v6, v5
	v_cmp_lt_f32_e64 s[2:3], 0, v6
	s_nop 1
	v_cndmask_b32_e64 v6, v7, v8, s[2:3]
	v_mul_f32_e32 v7, 0x37800000, v6
	v_cndmask_b32_e32 v6, v6, v7, vcc
	v_mov_b32_e32 v7, 0x260
	v_cmp_class_f32_e32 vcc, v5, v7
	s_nop 1
	v_cndmask_b32_e32 v5, v6, v5, vcc
	v_add_f32_e32 v6, v5, v5
	v_div_scale_f32 v7, s[2:3], v6, v6, v9
	v_rcp_f32_e32 v8, v7
	s_nop 0
	v_fma_f32 v12, -v7, v8, 1.0
	v_fmac_f32_e32 v8, v12, v8
	v_div_scale_f32 v12, vcc, v9, v6, v9
	v_mul_f32_e32 v14, v12, v8
	v_fma_f32 v15, -v7, v14, v12
	v_fmac_f32_e32 v14, v15, v8
	v_fma_f32 v7, -v7, v14, v12
	v_div_fmas_f32 v7, v7, v8, v14
	v_div_fixup_f32 v6, v7, v6, v9
                                        ; implicit-def: $vgpr7
                                        ; implicit-def: $vgpr8
	s_andn2_saveexec_b64 s[22:23], s[22:23]
	s_cbranch_execz .LBB227_105
	s_branch .LBB227_104
.LBB227_103:
	s_andn2_saveexec_b64 s[22:23], s[22:23]
	s_cbranch_execz .LBB227_105
.LBB227_104:
	v_sub_f32_e32 v5, v7, v8
	v_mul_f32_e32 v5, 0.5, v5
	s_mov_b32 s2, 0xf800000
	v_mul_f32_e32 v6, 0x4f800000, v5
	v_cmp_gt_f32_e32 vcc, s2, v5
	s_nop 1
	v_cndmask_b32_e32 v5, v5, v6, vcc
	v_sqrt_f32_e32 v6, v5
	s_nop 0
	v_add_u32_e32 v7, -1, v6
	v_fma_f32 v8, -v7, v6, v5
	v_cmp_ge_f32_e64 s[2:3], 0, v8
	v_add_u32_e32 v8, 1, v6
	s_nop 0
	v_cndmask_b32_e64 v7, v6, v7, s[2:3]
	v_fma_f32 v6, -v8, v6, v5
	v_cmp_lt_f32_e64 s[2:3], 0, v6
	s_nop 1
	v_cndmask_b32_e64 v6, v7, v8, s[2:3]
	v_mul_f32_e32 v7, 0x37800000, v6
	v_cndmask_b32_e32 v6, v6, v7, vcc
	v_mov_b32_e32 v7, 0x260
	v_cmp_class_f32_e32 vcc, v5, v7
	v_and_b32_e32 v7, 0x7fffffff, v9
	s_nop 0
	v_cndmask_b32_e32 v6, v6, v5, vcc
	v_add_f32_e32 v5, v6, v6
	v_div_scale_f32 v8, s[2:3], v5, v5, v7
	v_rcp_f32_e32 v12, v8
	v_div_scale_f32 v7, vcc, v7, v5, v7
	s_brev_b32 s2, -2
	v_fma_f32 v14, -v8, v12, 1.0
	v_fmac_f32_e32 v12, v14, v12
	v_mul_f32_e32 v14, v7, v12
	v_fma_f32 v15, -v8, v14, v7
	v_fmac_f32_e32 v14, v15, v12
	v_fma_f32 v7, -v8, v14, v7
	v_div_fmas_f32 v7, v7, v12, v14
	v_div_fixup_f32 v5, v7, v5, |v9|
	v_bfi_b32 v6, s2, v6, v9
.LBB227_105:
	s_or_b64 exec, exec, s[22:23]
                                        ; implicit-def: $vgpr9
	s_and_saveexec_b64 s[2:3], s[0:1]
	s_xor_b64 s[0:1], exec, s[2:3]
	s_cbranch_execz .LBB227_107
; %bb.106:
	v_mul_f32_e32 v7, 0.5, v5
	v_mul_f32_e32 v8, 0.5, v6
	v_cndmask_b32_e64 v12, v5, v7, s[20:21]
	v_cndmask_b32_e64 v9, v6, v8, s[20:21]
                                        ; implicit-def: $vgpr5
                                        ; implicit-def: $vgpr6
	s_andn2_saveexec_b64 s[0:1], s[0:1]
	s_cbranch_execnz .LBB227_108
	s_branch .LBB227_109
.LBB227_107:
	s_andn2_saveexec_b64 s[0:1], s[0:1]
.LBB227_108:
	v_add_f32_e32 v12, v5, v5
	v_add_f32_e32 v9, v6, v6
.LBB227_109:
	s_or_b64 exec, exec, s[0:1]
.LBB227_110:
	s_andn2_saveexec_b64 s[0:1], s[18:19]
	s_cbranch_execz .LBB227_116
; %bb.111:
	v_sub_f32_e32 v5, v9, v9
	v_cmp_lt_i32_e32 vcc, -1, v8
	s_brev_b32 s7, -2
	v_and_b32_e32 v12, 0x7fffffff, v5
	s_and_saveexec_b64 s[2:3], vcc
	s_xor_b64 s[2:3], exec, s[2:3]
; %bb.112:
	v_bfi_b32 v9, s7, v5, v9
	v_mov_b32_e32 v12, v8
; %bb.113:
	s_andn2_saveexec_b64 s[2:3], s[2:3]
; %bb.114:
	v_bfi_b32 v9, s7, v8, v9
; %bb.115:
	s_or_b64 exec, exec, s[2:3]
.LBB227_116:
	s_or_b64 exec, exec, s[0:1]
.LBB227_117:
	s_andn2_saveexec_b64 s[0:1], s[16:17]
	s_cbranch_execz .LBB227_119
; %bb.118:
	v_sub_f32_e32 v5, v9, v9
	v_div_scale_f32 v6, vcc, v5, v5, v5
	v_rcp_f32_e32 v7, v6
	s_nop 0
	v_fma_f32 v9, -v6, v7, 1.0
	v_fmac_f32_e32 v7, v9, v7
	v_mul_f32_e32 v9, v6, v7
	v_fma_f32 v12, -v6, v9, v6
	v_fmac_f32_e32 v9, v12, v7
	v_fma_f32 v6, -v6, v9, v6
	v_div_fmas_f32 v6, v6, v7, v9
	v_div_fixup_f32 v9, v6, v5, v5
	v_mov_b32_e32 v12, v8
.LBB227_119:
	s_or_b64 exec, exec, s[0:1]
.LBB227_120:
	s_or_b64 exec, exec, s[14:15]
.LBB227_121:
	s_or_b64 exec, exec, s[12:13]
	s_add_u32 s0, s8, s4
	s_addc_u32 s1, s9, s5
	v_mov_b32_e32 v5, v13
	v_mov_b32_e32 v13, v9
	global_store_dwordx4 v1, v[2:5], s[0:1]
	global_store_dwordx4 v1, v[10:13], s[0:1] offset:16
	s_mov_b64 s[0:1], 0
.LBB227_122:
	s_and_b64 vcc, exec, s[0:1]
	s_cbranch_vccz .LBB227_267
; %bb.123:
	v_mov_b32_e32 v12, 0
	v_mov_b32_e32 v13, v12
	v_cmp_gt_i32_e64 s[0:1], s24, v0
	v_or_b32_e32 v2, s6, v0
	v_mov_b32_e32 v1, v0
	v_mov_b64_e32 v[10:11], v[12:13]
	s_and_saveexec_b64 s[2:3], s[0:1]
	s_cbranch_execz .LBB227_125
; %bb.124:
	v_mov_b32_e32 v3, v12
	v_lshl_add_u64 v[4:5], v[2:3], 3, s[10:11]
	global_load_dwordx2 v[10:11], v[4:5], off
	v_or_b32_e32 v1, 0x100, v0
.LBB227_125:
	s_or_b64 exec, exec, s[2:3]
	v_cmp_gt_i32_e32 vcc, s24, v1
	s_and_saveexec_b64 s[2:3], vcc
	s_cbranch_execz .LBB227_127
; %bb.126:
	v_add_u32_e32 v4, s6, v1
	v_mov_b32_e32 v5, 0
	v_lshl_add_u64 v[4:5], v[4:5], 3, s[10:11]
	global_load_dwordx2 v[12:13], v[4:5], off
	v_add_u32_e32 v1, 0x100, v1
.LBB227_127:
	s_or_b64 exec, exec, s[2:3]
	v_mov_b32_e32 v4, 0
	v_mov_b32_e32 v5, v4
	v_cmp_gt_i32_e32 vcc, s24, v1
	v_mov_b64_e32 v[8:9], v[4:5]
	s_and_saveexec_b64 s[2:3], vcc
	s_cbranch_execz .LBB227_129
; %bb.128:
	v_add_u32_e32 v6, s6, v1
	v_mov_b32_e32 v7, v4
	v_lshl_add_u64 v[6:7], v[6:7], 3, s[10:11]
	global_load_dwordx2 v[8:9], v[6:7], off
	v_add_u32_e32 v1, 0x100, v1
.LBB227_129:
	s_or_b64 exec, exec, s[2:3]
	v_cmp_gt_i32_e32 vcc, s24, v1
	s_and_saveexec_b64 s[2:3], vcc
	s_cbranch_execz .LBB227_131
; %bb.130:
	v_add_u32_e32 v4, s6, v1
	v_mov_b32_e32 v5, 0
	v_lshl_add_u64 v[4:5], v[4:5], 3, s[10:11]
	global_load_dwordx2 v[4:5], v[4:5], off
.LBB227_131:
	s_or_b64 exec, exec, s[2:3]
	v_mov_b32_e32 v7, 0
	v_mov_b32_e32 v6, 0
	s_and_saveexec_b64 s[10:11], s[0:1]
	s_cbranch_execz .LBB227_163
; %bb.132:
	s_waitcnt vmcnt(0)
	v_cmp_neq_f32_e32 vcc, 0, v10
	v_cmp_neq_f32_e64 s[2:3], 0, v11
	v_mov_b32_e32 v6, 0
	s_or_b64 s[2:3], vcc, s[2:3]
	s_and_saveexec_b64 s[12:13], s[2:3]
	s_cbranch_execz .LBB227_162
; %bb.133:
	v_mov_b32_e32 v6, 0x7f800000
	v_cmp_neq_f32_e64 s[2:3], |v11|, v6
	s_and_saveexec_b64 s[14:15], s[2:3]
	s_cbranch_execz .LBB227_161
; %bb.134:
	v_cmp_o_f32_e32 vcc, v10, v10
                                        ; implicit-def: $vgpr6
	s_and_saveexec_b64 s[2:3], vcc
	s_xor_b64 s[16:17], exec, s[2:3]
	s_cbranch_execz .LBB227_158
; %bb.135:
	s_mov_b32 s2, 0x7f800000
	v_cmp_neq_f32_e64 s[2:3], |v10|, s2
                                        ; implicit-def: $vgpr6
	s_and_saveexec_b64 s[4:5], s[2:3]
	s_xor_b64 s[18:19], exec, s[4:5]
	s_cbranch_execz .LBB227_151
; %bb.136:
	v_max_f32_e64 v1, |v10|, |v10|
	v_max_f32_e64 v3, |v11|, |v11|
	v_max_f32_e32 v1, v3, v1
	s_mov_b32 s2, 0x7ed413cb
	v_cmp_nle_f32_e64 s[2:3], s2, v1
                                        ; implicit-def: $sgpr20_sgpr21
	s_and_saveexec_b64 s[4:5], s[2:3]
	s_xor_b64 s[4:5], exec, s[4:5]
	s_cbranch_execz .LBB227_140
; %bb.137:
	s_mov_b32 s7, 0x1000000
	v_cmp_le_f32_e64 s[20:21], |v10|, s7
	v_cmp_le_f32_e64 s[22:23], |v11|, s7
	s_and_b64 s[26:27], s[22:23], s[20:21]
	s_mov_b64 s[20:21], 0
	s_and_saveexec_b64 s[22:23], s[26:27]
; %bb.138:
	s_mov_b64 s[20:21], exec
	v_pk_mul_f32 v[10:11], v[10:11], 4.0 op_sel_hi:[1,0]
; %bb.139:
	s_or_b64 exec, exec, s[22:23]
.LBB227_140:
	s_andn2_saveexec_b64 s[4:5], s[4:5]
; %bb.141:
	s_mov_b32 s22, 0x3e800000
	v_pk_mul_f32 v[10:11], v[10:11], s[22:23] op_sel_hi:[1,0]
	s_andn2_b64 s[20:21], s[20:21], exec
; %bb.142:
	s_or_b64 exec, exec, s[4:5]
	v_max_f32_e64 v1, |v11|, |v11|
	v_max_f32_e64 v3, |v10|, |v10|
	v_max_f32_e32 v1, v3, v1
	v_cvt_f64_f32_e32 v[6:7], v1
	v_frexp_exp_i32_f64_e32 v3, v[6:7]
	v_sub_u32_e32 v6, 0, v3
	v_ldexp_f32 v7, |v10|, v6
	v_ldexp_f32 v6, |v11|, v6
	v_mul_f32_e32 v6, v6, v6
	v_fmac_f32_e32 v6, v7, v7
	v_sqrt_f32_e32 v6, v6
	s_mov_b32 s4, 0x7f800000
	v_cmp_neq_f32_e64 s[4:5], s4, v1
	v_cmp_le_f32_e32 vcc, 0, v10
	v_ldexp_f32 v3, v6, v3
	v_mov_b32_e32 v6, 0x7f800000
	v_cndmask_b32_e64 v1, v6, v3, s[4:5]
                                        ; implicit-def: $vgpr14_vgpr15
	s_and_saveexec_b64 s[4:5], vcc
	s_xor_b64 s[22:23], exec, s[4:5]
	s_cbranch_execz .LBB227_144
; %bb.143:
	v_add_f32_e32 v1, v10, v1
	v_mul_f32_e32 v1, 0.5, v1
	s_mov_b32 s4, 0xf800000
	v_mul_f32_e32 v3, 0x4f800000, v1
	v_cmp_gt_f32_e32 vcc, s4, v1
	s_nop 1
	v_cndmask_b32_e32 v1, v1, v3, vcc
	v_sqrt_f32_e32 v3, v1
	s_nop 0
	v_add_u32_e32 v6, -1, v3
	v_fma_f32 v7, -v6, v3, v1
	v_cmp_ge_f32_e64 s[4:5], 0, v7
	v_add_u32_e32 v7, 1, v3
	s_nop 0
	v_cndmask_b32_e64 v6, v3, v6, s[4:5]
	v_fma_f32 v3, -v7, v3, v1
	v_cmp_lt_f32_e64 s[4:5], 0, v3
	s_nop 1
	v_cndmask_b32_e64 v3, v6, v7, s[4:5]
	v_mul_f32_e32 v6, 0x37800000, v3
	v_cndmask_b32_e32 v3, v3, v6, vcc
	v_mov_b32_e32 v6, 0x260
	v_cmp_class_f32_e32 vcc, v1, v6
	s_nop 1
	v_cndmask_b32_e32 v14, v3, v1, vcc
	v_add_f32_e32 v1, v14, v14
	v_div_scale_f32 v3, s[4:5], v1, v1, v11
	v_rcp_f32_e32 v6, v3
	s_nop 0
	v_fma_f32 v7, -v3, v6, 1.0
	v_fmac_f32_e32 v6, v7, v6
	v_div_scale_f32 v7, vcc, v11, v1, v11
	v_mul_f32_e32 v10, v7, v6
	v_fma_f32 v15, -v3, v10, v7
	v_fmac_f32_e32 v10, v15, v6
	v_fma_f32 v3, -v3, v10, v7
	v_div_fmas_f32 v3, v3, v6, v10
	v_div_fixup_f32 v15, v3, v1, v11
                                        ; implicit-def: $vgpr1
                                        ; implicit-def: $vgpr10_vgpr11
	s_andn2_saveexec_b64 s[22:23], s[22:23]
	s_cbranch_execz .LBB227_146
	s_branch .LBB227_145
.LBB227_144:
	s_andn2_saveexec_b64 s[22:23], s[22:23]
	s_cbranch_execz .LBB227_146
.LBB227_145:
	v_sub_f32_e32 v1, v1, v10
	v_mul_f32_e32 v1, 0.5, v1
	s_mov_b32 s4, 0xf800000
	v_mul_f32_e32 v3, 0x4f800000, v1
	v_cmp_gt_f32_e32 vcc, s4, v1
	s_nop 1
	v_cndmask_b32_e32 v1, v1, v3, vcc
	v_sqrt_f32_e32 v3, v1
	s_nop 0
	v_add_u32_e32 v6, -1, v3
	v_fma_f32 v7, -v6, v3, v1
	v_cmp_ge_f32_e64 s[4:5], 0, v7
	v_add_u32_e32 v7, 1, v3
	s_nop 0
	v_cndmask_b32_e64 v6, v3, v6, s[4:5]
	v_fma_f32 v3, -v7, v3, v1
	v_cmp_lt_f32_e64 s[4:5], 0, v3
	s_nop 1
	v_cndmask_b32_e64 v3, v6, v7, s[4:5]
	v_mul_f32_e32 v6, 0x37800000, v3
	v_cndmask_b32_e32 v3, v3, v6, vcc
	v_mov_b32_e32 v6, 0x260
	v_cmp_class_f32_e32 vcc, v1, v6
	v_and_b32_e32 v6, 0x7fffffff, v11
	s_nop 0
	v_cndmask_b32_e32 v1, v3, v1, vcc
	v_add_f32_e32 v3, v1, v1
	v_div_scale_f32 v7, s[4:5], v3, v3, v6
	v_rcp_f32_e32 v10, v7
	v_div_scale_f32 v6, vcc, v6, v3, v6
	s_brev_b32 s4, -2
	v_fma_f32 v14, -v7, v10, 1.0
	v_fmac_f32_e32 v10, v14, v10
	v_mul_f32_e32 v14, v6, v10
	v_fma_f32 v15, -v7, v14, v6
	v_fmac_f32_e32 v14, v15, v10
	v_fma_f32 v6, -v7, v14, v6
	v_div_fmas_f32 v6, v6, v10, v14
	v_div_fixup_f32 v14, v6, v3, |v11|
	v_bfi_b32 v15, s4, v1, v11
.LBB227_146:
	s_or_b64 exec, exec, s[22:23]
                                        ; implicit-def: $vgpr11
                                        ; implicit-def: $vgpr6
	s_and_saveexec_b64 s[4:5], s[2:3]
	s_xor_b64 s[2:3], exec, s[4:5]
	s_cbranch_execz .LBB227_148
; %bb.147:
	v_pk_mul_f32 v[6:7], v[14:15], 0.5 op_sel_hi:[1,0]
	s_nop 0
	v_cndmask_b32_e64 v6, v14, v6, s[20:21]
	v_cndmask_b32_e64 v11, v15, v7, s[20:21]
                                        ; implicit-def: $vgpr14_vgpr15
	s_andn2_saveexec_b64 s[2:3], s[2:3]
	s_cbranch_execnz .LBB227_149
	s_branch .LBB227_150
.LBB227_148:
	s_andn2_saveexec_b64 s[2:3], s[2:3]
.LBB227_149:
	v_pk_add_f32 v[10:11], v[14:15], v[14:15]
	s_nop 0
	v_mov_b32_e32 v6, v10
.LBB227_150:
	s_or_b64 exec, exec, s[2:3]
.LBB227_151:
	s_andn2_saveexec_b64 s[2:3], s[18:19]
	s_cbranch_execz .LBB227_157
; %bb.152:
	v_sub_f32_e32 v1, v11, v11
	v_cmp_lt_i32_e32 vcc, -1, v10
	s_brev_b32 s7, -2
	v_and_b32_e32 v6, 0x7fffffff, v1
	s_and_saveexec_b64 s[4:5], vcc
	s_xor_b64 s[4:5], exec, s[4:5]
; %bb.153:
	v_bfi_b32 v11, s7, v1, v11
	v_mov_b32_e32 v6, v10
; %bb.154:
	s_andn2_saveexec_b64 s[4:5], s[4:5]
; %bb.155:
	v_bfi_b32 v11, s7, v10, v11
; %bb.156:
	s_or_b64 exec, exec, s[4:5]
.LBB227_157:
	s_or_b64 exec, exec, s[2:3]
.LBB227_158:
	s_andn2_saveexec_b64 s[2:3], s[16:17]
	s_cbranch_execz .LBB227_160
; %bb.159:
	v_sub_f32_e32 v1, v11, v11
	v_div_scale_f32 v3, vcc, v1, v1, v1
	v_rcp_f32_e32 v6, v3
	s_nop 0
	v_fma_f32 v7, -v3, v6, 1.0
	v_fmac_f32_e32 v6, v7, v6
	v_mul_f32_e32 v7, v3, v6
	v_fma_f32 v11, -v3, v7, v3
	v_fmac_f32_e32 v7, v11, v6
	v_fma_f32 v3, -v3, v7, v3
	v_div_fmas_f32 v3, v3, v6, v7
	v_div_fixup_f32 v11, v3, v1, v1
	v_mov_b32_e32 v6, v10
.LBB227_160:
	s_or_b64 exec, exec, s[2:3]
.LBB227_161:
	s_or_b64 exec, exec, s[14:15]
.LBB227_162:
	s_or_b64 exec, exec, s[12:13]
	v_mov_b32_e32 v7, v11
.LBB227_163:
	s_or_b64 exec, exec, s[10:11]
	v_or_b32_e32 v1, 0x100, v0
	v_cmp_gt_i32_e32 vcc, s24, v1
	s_waitcnt vmcnt(0)
	v_mov_b32_e32 v11, 0
	v_mov_b32_e32 v10, 0
	s_and_saveexec_b64 s[10:11], vcc
	s_cbranch_execz .LBB227_195
; %bb.164:
	v_cmp_neq_f32_e32 vcc, 0, v12
	v_cmp_neq_f32_e64 s[2:3], 0, v13
	v_mov_b32_e32 v10, 0
	s_or_b64 s[2:3], vcc, s[2:3]
	s_and_saveexec_b64 s[12:13], s[2:3]
	s_cbranch_execz .LBB227_194
; %bb.165:
	v_mov_b32_e32 v10, 0x7f800000
	v_cmp_neq_f32_e64 s[2:3], |v13|, v10
	s_and_saveexec_b64 s[14:15], s[2:3]
	s_cbranch_execz .LBB227_193
; %bb.166:
	v_cmp_o_f32_e32 vcc, v12, v12
                                        ; implicit-def: $vgpr10
	s_and_saveexec_b64 s[2:3], vcc
	s_xor_b64 s[16:17], exec, s[2:3]
	s_cbranch_execz .LBB227_190
; %bb.167:
	s_mov_b32 s2, 0x7f800000
	v_cmp_neq_f32_e64 s[2:3], |v12|, s2
                                        ; implicit-def: $vgpr10
	s_and_saveexec_b64 s[4:5], s[2:3]
	s_xor_b64 s[18:19], exec, s[4:5]
	s_cbranch_execz .LBB227_183
; %bb.168:
	v_max_f32_e64 v3, |v12|, |v12|
	v_max_f32_e64 v10, |v13|, |v13|
	v_max_f32_e32 v3, v10, v3
	s_mov_b32 s2, 0x7ed413cb
	v_cmp_nle_f32_e64 s[2:3], s2, v3
                                        ; implicit-def: $sgpr20_sgpr21
	s_and_saveexec_b64 s[4:5], s[2:3]
	s_xor_b64 s[4:5], exec, s[4:5]
	s_cbranch_execz .LBB227_172
; %bb.169:
	s_mov_b32 s7, 0x1000000
	v_cmp_le_f32_e64 s[20:21], |v12|, s7
	v_cmp_le_f32_e64 s[22:23], |v13|, s7
	s_and_b64 s[26:27], s[22:23], s[20:21]
	s_mov_b64 s[20:21], 0
	s_and_saveexec_b64 s[22:23], s[26:27]
; %bb.170:
	s_mov_b64 s[20:21], exec
	v_pk_mul_f32 v[12:13], v[12:13], 4.0 op_sel_hi:[1,0]
; %bb.171:
	s_or_b64 exec, exec, s[22:23]
.LBB227_172:
	s_andn2_saveexec_b64 s[4:5], s[4:5]
; %bb.173:
	s_mov_b32 s22, 0x3e800000
	v_pk_mul_f32 v[12:13], v[12:13], s[22:23] op_sel_hi:[1,0]
	s_andn2_b64 s[20:21], s[20:21], exec
; %bb.174:
	s_or_b64 exec, exec, s[4:5]
	v_max_f32_e64 v3, |v13|, |v13|
	v_max_f32_e64 v10, |v12|, |v12|
	v_max_f32_e32 v3, v10, v3
	v_cvt_f64_f32_e32 v[10:11], v3
	v_frexp_exp_i32_f64_e32 v10, v[10:11]
	v_sub_u32_e32 v11, 0, v10
	v_ldexp_f32 v14, |v12|, v11
	v_ldexp_f32 v11, |v13|, v11
	v_mul_f32_e32 v11, v11, v11
	v_fmac_f32_e32 v11, v14, v14
	v_sqrt_f32_e32 v11, v11
	s_mov_b32 s4, 0x7f800000
	v_cmp_neq_f32_e64 s[4:5], s4, v3
	v_cmp_le_f32_e32 vcc, 0, v12
	v_ldexp_f32 v10, v11, v10
	v_mov_b32_e32 v11, 0x7f800000
	v_cndmask_b32_e64 v3, v11, v10, s[4:5]
                                        ; implicit-def: $vgpr14_vgpr15
	s_and_saveexec_b64 s[4:5], vcc
	s_xor_b64 s[22:23], exec, s[4:5]
	s_cbranch_execz .LBB227_176
; %bb.175:
	v_add_f32_e32 v3, v12, v3
	v_mul_f32_e32 v3, 0.5, v3
	s_mov_b32 s4, 0xf800000
	v_mul_f32_e32 v10, 0x4f800000, v3
	v_cmp_gt_f32_e32 vcc, s4, v3
	s_nop 1
	v_cndmask_b32_e32 v3, v3, v10, vcc
	v_sqrt_f32_e32 v10, v3
	s_nop 0
	v_add_u32_e32 v11, -1, v10
	v_fma_f32 v12, -v11, v10, v3
	v_cmp_ge_f32_e64 s[4:5], 0, v12
	v_add_u32_e32 v12, 1, v10
	s_nop 0
	v_cndmask_b32_e64 v11, v10, v11, s[4:5]
	v_fma_f32 v10, -v12, v10, v3
	v_cmp_lt_f32_e64 s[4:5], 0, v10
	s_nop 1
	v_cndmask_b32_e64 v10, v11, v12, s[4:5]
	v_mul_f32_e32 v11, 0x37800000, v10
	v_cndmask_b32_e32 v10, v10, v11, vcc
	v_mov_b32_e32 v11, 0x260
	v_cmp_class_f32_e32 vcc, v3, v11
	s_nop 1
	v_cndmask_b32_e32 v14, v10, v3, vcc
	v_add_f32_e32 v3, v14, v14
	v_div_scale_f32 v10, s[4:5], v3, v3, v13
	v_rcp_f32_e32 v11, v10
	s_nop 0
	v_fma_f32 v12, -v10, v11, 1.0
	v_fmac_f32_e32 v11, v12, v11
	v_div_scale_f32 v12, vcc, v13, v3, v13
	v_mul_f32_e32 v15, v12, v11
	v_fma_f32 v16, -v10, v15, v12
	v_fmac_f32_e32 v15, v16, v11
	v_fma_f32 v10, -v10, v15, v12
	v_div_fmas_f32 v10, v10, v11, v15
	v_div_fixup_f32 v15, v10, v3, v13
                                        ; implicit-def: $vgpr3
                                        ; implicit-def: $vgpr12_vgpr13
	s_andn2_saveexec_b64 s[22:23], s[22:23]
	s_cbranch_execz .LBB227_178
	s_branch .LBB227_177
.LBB227_176:
	s_andn2_saveexec_b64 s[22:23], s[22:23]
	s_cbranch_execz .LBB227_178
.LBB227_177:
	v_sub_f32_e32 v3, v3, v12
	v_mul_f32_e32 v3, 0.5, v3
	s_mov_b32 s4, 0xf800000
	v_mul_f32_e32 v10, 0x4f800000, v3
	v_cmp_gt_f32_e32 vcc, s4, v3
	s_nop 1
	v_cndmask_b32_e32 v3, v3, v10, vcc
	v_sqrt_f32_e32 v10, v3
	s_nop 0
	v_add_u32_e32 v11, -1, v10
	v_fma_f32 v12, -v11, v10, v3
	v_cmp_ge_f32_e64 s[4:5], 0, v12
	v_add_u32_e32 v12, 1, v10
	s_nop 0
	v_cndmask_b32_e64 v11, v10, v11, s[4:5]
	v_fma_f32 v10, -v12, v10, v3
	v_cmp_lt_f32_e64 s[4:5], 0, v10
	s_nop 1
	v_cndmask_b32_e64 v10, v11, v12, s[4:5]
	v_mul_f32_e32 v11, 0x37800000, v10
	v_cndmask_b32_e32 v10, v10, v11, vcc
	v_mov_b32_e32 v11, 0x260
	v_cmp_class_f32_e32 vcc, v3, v11
	v_and_b32_e32 v11, 0x7fffffff, v13
	s_nop 0
	v_cndmask_b32_e32 v3, v10, v3, vcc
	v_add_f32_e32 v10, v3, v3
	v_div_scale_f32 v12, s[4:5], v10, v10, v11
	v_rcp_f32_e32 v14, v12
	v_div_scale_f32 v11, vcc, v11, v10, v11
	s_brev_b32 s4, -2
	v_fma_f32 v15, -v12, v14, 1.0
	v_fmac_f32_e32 v14, v15, v14
	v_mul_f32_e32 v15, v11, v14
	v_fma_f32 v16, -v12, v15, v11
	v_fmac_f32_e32 v15, v16, v14
	v_fma_f32 v11, -v12, v15, v11
	v_div_fmas_f32 v11, v11, v14, v15
	v_div_fixup_f32 v14, v11, v10, |v13|
	v_bfi_b32 v15, s4, v3, v13
.LBB227_178:
	s_or_b64 exec, exec, s[22:23]
                                        ; implicit-def: $vgpr13
                                        ; implicit-def: $vgpr10
	s_and_saveexec_b64 s[4:5], s[2:3]
	s_xor_b64 s[2:3], exec, s[4:5]
	s_cbranch_execz .LBB227_180
; %bb.179:
	v_pk_mul_f32 v[10:11], v[14:15], 0.5 op_sel_hi:[1,0]
	s_nop 0
	v_cndmask_b32_e64 v10, v14, v10, s[20:21]
	v_cndmask_b32_e64 v13, v15, v11, s[20:21]
                                        ; implicit-def: $vgpr14_vgpr15
	s_andn2_saveexec_b64 s[2:3], s[2:3]
	s_cbranch_execnz .LBB227_181
	s_branch .LBB227_182
.LBB227_180:
	s_andn2_saveexec_b64 s[2:3], s[2:3]
.LBB227_181:
	v_pk_add_f32 v[12:13], v[14:15], v[14:15]
	s_nop 0
	v_mov_b32_e32 v10, v12
.LBB227_182:
	s_or_b64 exec, exec, s[2:3]
.LBB227_183:
	s_andn2_saveexec_b64 s[2:3], s[18:19]
	s_cbranch_execz .LBB227_189
; %bb.184:
	v_sub_f32_e32 v3, v13, v13
	v_cmp_lt_i32_e32 vcc, -1, v12
	s_brev_b32 s7, -2
	v_and_b32_e32 v10, 0x7fffffff, v3
	s_and_saveexec_b64 s[4:5], vcc
	s_xor_b64 s[4:5], exec, s[4:5]
; %bb.185:
	v_bfi_b32 v13, s7, v3, v13
	v_mov_b32_e32 v10, v12
; %bb.186:
	s_andn2_saveexec_b64 s[4:5], s[4:5]
; %bb.187:
	v_bfi_b32 v13, s7, v12, v13
; %bb.188:
	s_or_b64 exec, exec, s[4:5]
.LBB227_189:
	s_or_b64 exec, exec, s[2:3]
.LBB227_190:
	s_andn2_saveexec_b64 s[2:3], s[16:17]
	s_cbranch_execz .LBB227_192
; %bb.191:
	v_sub_f32_e32 v3, v13, v13
	v_div_scale_f32 v10, vcc, v3, v3, v3
	v_rcp_f32_e32 v11, v10
	s_nop 0
	v_fma_f32 v13, -v10, v11, 1.0
	v_fmac_f32_e32 v11, v13, v11
	v_mul_f32_e32 v13, v10, v11
	v_fma_f32 v14, -v10, v13, v10
	v_fmac_f32_e32 v13, v14, v11
	v_fma_f32 v10, -v10, v13, v10
	v_div_fmas_f32 v10, v10, v11, v13
	v_div_fixup_f32 v13, v10, v3, v3
	v_mov_b32_e32 v10, v12
.LBB227_192:
	s_or_b64 exec, exec, s[2:3]
.LBB227_193:
	s_or_b64 exec, exec, s[14:15]
.LBB227_194:
	s_or_b64 exec, exec, s[12:13]
	v_mov_b32_e32 v11, v13
.LBB227_195:
	s_or_b64 exec, exec, s[10:11]
	v_or_b32_e32 v3, 0x200, v0
	v_cmp_gt_i32_e32 vcc, s24, v3
	v_mov_b32_e32 v13, 0
	v_mov_b32_e32 v12, 0
	s_and_saveexec_b64 s[10:11], vcc
	s_cbranch_execz .LBB227_227
; %bb.196:
	v_cmp_neq_f32_e32 vcc, 0, v8
	v_cmp_neq_f32_e64 s[2:3], 0, v9
	v_mov_b32_e32 v12, 0
	s_or_b64 s[2:3], vcc, s[2:3]
	s_and_saveexec_b64 s[12:13], s[2:3]
	s_cbranch_execz .LBB227_226
; %bb.197:
	v_mov_b32_e32 v12, 0x7f800000
	v_cmp_neq_f32_e64 s[2:3], |v9|, v12
	s_and_saveexec_b64 s[14:15], s[2:3]
	s_cbranch_execz .LBB227_225
; %bb.198:
	v_cmp_o_f32_e32 vcc, v8, v8
                                        ; implicit-def: $vgpr12
	s_and_saveexec_b64 s[2:3], vcc
	s_xor_b64 s[16:17], exec, s[2:3]
	s_cbranch_execz .LBB227_222
; %bb.199:
	s_mov_b32 s2, 0x7f800000
	v_cmp_neq_f32_e64 s[2:3], |v8|, s2
                                        ; implicit-def: $vgpr12
	s_and_saveexec_b64 s[4:5], s[2:3]
	s_xor_b64 s[18:19], exec, s[4:5]
	s_cbranch_execz .LBB227_215
; %bb.200:
	v_max_f32_e64 v3, |v8|, |v8|
	v_max_f32_e64 v12, |v9|, |v9|
	v_max_f32_e32 v3, v12, v3
	s_mov_b32 s2, 0x7ed413cb
	v_cmp_nle_f32_e64 s[2:3], s2, v3
                                        ; implicit-def: $sgpr20_sgpr21
	s_and_saveexec_b64 s[4:5], s[2:3]
	s_xor_b64 s[4:5], exec, s[4:5]
	s_cbranch_execz .LBB227_204
; %bb.201:
	s_mov_b32 s7, 0x1000000
	v_cmp_le_f32_e64 s[20:21], |v8|, s7
	v_cmp_le_f32_e64 s[22:23], |v9|, s7
	s_and_b64 s[26:27], s[22:23], s[20:21]
	s_mov_b64 s[20:21], 0
	s_and_saveexec_b64 s[22:23], s[26:27]
; %bb.202:
	s_mov_b64 s[20:21], exec
	v_pk_mul_f32 v[8:9], v[8:9], 4.0 op_sel_hi:[1,0]
; %bb.203:
	s_or_b64 exec, exec, s[22:23]
.LBB227_204:
	s_andn2_saveexec_b64 s[4:5], s[4:5]
; %bb.205:
	s_mov_b32 s22, 0x3e800000
	v_pk_mul_f32 v[8:9], v[8:9], s[22:23] op_sel_hi:[1,0]
	s_andn2_b64 s[20:21], s[20:21], exec
; %bb.206:
	s_or_b64 exec, exec, s[4:5]
	v_max_f32_e64 v3, |v9|, |v9|
	v_max_f32_e64 v12, |v8|, |v8|
	v_max_f32_e32 v3, v12, v3
	v_cvt_f64_f32_e32 v[12:13], v3
	v_frexp_exp_i32_f64_e32 v12, v[12:13]
	v_sub_u32_e32 v13, 0, v12
	v_ldexp_f32 v14, |v8|, v13
	v_ldexp_f32 v13, |v9|, v13
	v_mul_f32_e32 v13, v13, v13
	v_fmac_f32_e32 v13, v14, v14
	v_sqrt_f32_e32 v13, v13
	s_mov_b32 s4, 0x7f800000
	v_cmp_neq_f32_e64 s[4:5], s4, v3
	v_cmp_le_f32_e32 vcc, 0, v8
	v_ldexp_f32 v12, v13, v12
	v_mov_b32_e32 v13, 0x7f800000
	v_cndmask_b32_e64 v3, v13, v12, s[4:5]
                                        ; implicit-def: $vgpr14_vgpr15
	s_and_saveexec_b64 s[4:5], vcc
	s_xor_b64 s[22:23], exec, s[4:5]
	s_cbranch_execz .LBB227_208
; %bb.207:
	v_add_f32_e32 v3, v8, v3
	v_mul_f32_e32 v3, 0.5, v3
	s_mov_b32 s4, 0xf800000
	v_mul_f32_e32 v8, 0x4f800000, v3
	v_cmp_gt_f32_e32 vcc, s4, v3
	s_nop 1
	v_cndmask_b32_e32 v3, v3, v8, vcc
	v_sqrt_f32_e32 v8, v3
	s_nop 0
	v_add_u32_e32 v12, -1, v8
	v_fma_f32 v13, -v12, v8, v3
	v_cmp_ge_f32_e64 s[4:5], 0, v13
	v_add_u32_e32 v13, 1, v8
	s_nop 0
	v_cndmask_b32_e64 v12, v8, v12, s[4:5]
	v_fma_f32 v8, -v13, v8, v3
	v_cmp_lt_f32_e64 s[4:5], 0, v8
	s_nop 1
	v_cndmask_b32_e64 v8, v12, v13, s[4:5]
	v_mul_f32_e32 v12, 0x37800000, v8
	v_cndmask_b32_e32 v8, v8, v12, vcc
	v_mov_b32_e32 v12, 0x260
	v_cmp_class_f32_e32 vcc, v3, v12
	s_nop 1
	v_cndmask_b32_e32 v14, v8, v3, vcc
	v_add_f32_e32 v3, v14, v14
	v_div_scale_f32 v8, s[4:5], v3, v3, v9
	v_rcp_f32_e32 v12, v8
	s_nop 0
	v_fma_f32 v13, -v8, v12, 1.0
	v_fmac_f32_e32 v12, v13, v12
	v_div_scale_f32 v13, vcc, v9, v3, v9
	v_mul_f32_e32 v15, v13, v12
	v_fma_f32 v16, -v8, v15, v13
	v_fmac_f32_e32 v15, v16, v12
	v_fma_f32 v8, -v8, v15, v13
	v_div_fmas_f32 v8, v8, v12, v15
	v_div_fixup_f32 v15, v8, v3, v9
                                        ; implicit-def: $vgpr3
                                        ; implicit-def: $vgpr8_vgpr9
	s_andn2_saveexec_b64 s[22:23], s[22:23]
	s_cbranch_execz .LBB227_210
	s_branch .LBB227_209
.LBB227_208:
	s_andn2_saveexec_b64 s[22:23], s[22:23]
	s_cbranch_execz .LBB227_210
.LBB227_209:
	v_sub_f32_e32 v3, v3, v8
	v_mul_f32_e32 v3, 0.5, v3
	s_mov_b32 s4, 0xf800000
	v_mul_f32_e32 v8, 0x4f800000, v3
	v_cmp_gt_f32_e32 vcc, s4, v3
	s_nop 1
	v_cndmask_b32_e32 v3, v3, v8, vcc
	v_sqrt_f32_e32 v8, v3
	s_nop 0
	v_add_u32_e32 v12, -1, v8
	v_fma_f32 v13, -v12, v8, v3
	v_cmp_ge_f32_e64 s[4:5], 0, v13
	v_add_u32_e32 v13, 1, v8
	s_nop 0
	v_cndmask_b32_e64 v12, v8, v12, s[4:5]
	v_fma_f32 v8, -v13, v8, v3
	v_cmp_lt_f32_e64 s[4:5], 0, v8
	s_nop 1
	v_cndmask_b32_e64 v8, v12, v13, s[4:5]
	v_mul_f32_e32 v12, 0x37800000, v8
	v_cndmask_b32_e32 v8, v8, v12, vcc
	v_mov_b32_e32 v12, 0x260
	v_cmp_class_f32_e32 vcc, v3, v12
	v_and_b32_e32 v12, 0x7fffffff, v9
	s_nop 0
	v_cndmask_b32_e32 v3, v8, v3, vcc
	v_add_f32_e32 v8, v3, v3
	v_div_scale_f32 v13, s[4:5], v8, v8, v12
	v_rcp_f32_e32 v14, v13
	v_div_scale_f32 v12, vcc, v12, v8, v12
	s_brev_b32 s4, -2
	v_fma_f32 v15, -v13, v14, 1.0
	v_fmac_f32_e32 v14, v15, v14
	v_mul_f32_e32 v15, v12, v14
	v_fma_f32 v16, -v13, v15, v12
	v_fmac_f32_e32 v15, v16, v14
	v_fma_f32 v12, -v13, v15, v12
	v_div_fmas_f32 v12, v12, v14, v15
	v_div_fixup_f32 v14, v12, v8, |v9|
	v_bfi_b32 v15, s4, v3, v9
.LBB227_210:
	s_or_b64 exec, exec, s[22:23]
                                        ; implicit-def: $vgpr9
                                        ; implicit-def: $vgpr12
	s_and_saveexec_b64 s[4:5], s[2:3]
	s_xor_b64 s[2:3], exec, s[4:5]
	s_cbranch_execz .LBB227_212
; %bb.211:
	v_pk_mul_f32 v[8:9], v[14:15], 0.5 op_sel_hi:[1,0]
	s_nop 0
	v_cndmask_b32_e64 v12, v14, v8, s[20:21]
	v_cndmask_b32_e64 v9, v15, v9, s[20:21]
                                        ; implicit-def: $vgpr14_vgpr15
	s_andn2_saveexec_b64 s[2:3], s[2:3]
	s_cbranch_execnz .LBB227_213
	s_branch .LBB227_214
.LBB227_212:
	s_andn2_saveexec_b64 s[2:3], s[2:3]
.LBB227_213:
	v_pk_add_f32 v[8:9], v[14:15], v[14:15]
	s_nop 0
	v_mov_b32_e32 v12, v8
.LBB227_214:
	s_or_b64 exec, exec, s[2:3]
.LBB227_215:
	s_andn2_saveexec_b64 s[2:3], s[18:19]
	s_cbranch_execz .LBB227_221
; %bb.216:
	v_sub_f32_e32 v3, v9, v9
	v_cmp_lt_i32_e32 vcc, -1, v8
	s_brev_b32 s7, -2
	v_and_b32_e32 v12, 0x7fffffff, v3
	s_and_saveexec_b64 s[4:5], vcc
	s_xor_b64 s[4:5], exec, s[4:5]
; %bb.217:
	v_bfi_b32 v9, s7, v3, v9
	v_mov_b32_e32 v12, v8
; %bb.218:
	s_andn2_saveexec_b64 s[4:5], s[4:5]
; %bb.219:
	v_bfi_b32 v9, s7, v8, v9
; %bb.220:
	s_or_b64 exec, exec, s[4:5]
.LBB227_221:
	s_or_b64 exec, exec, s[2:3]
.LBB227_222:
	s_andn2_saveexec_b64 s[2:3], s[16:17]
	s_cbranch_execz .LBB227_224
; %bb.223:
	v_sub_f32_e32 v3, v9, v9
	v_div_scale_f32 v9, vcc, v3, v3, v3
	v_rcp_f32_e32 v12, v9
	s_nop 0
	v_fma_f32 v13, -v9, v12, 1.0
	v_fmac_f32_e32 v12, v13, v12
	v_mul_f32_e32 v13, v9, v12
	v_fma_f32 v14, -v9, v13, v9
	v_fmac_f32_e32 v13, v14, v12
	v_fma_f32 v9, -v9, v13, v9
	v_div_fmas_f32 v9, v9, v12, v13
	v_div_fixup_f32 v9, v9, v3, v3
	v_mov_b32_e32 v12, v8
.LBB227_224:
	s_or_b64 exec, exec, s[2:3]
.LBB227_225:
	s_or_b64 exec, exec, s[14:15]
.LBB227_226:
	s_or_b64 exec, exec, s[12:13]
	v_mov_b32_e32 v13, v9
.LBB227_227:
	s_or_b64 exec, exec, s[10:11]
	v_or_b32_e32 v3, 0x300, v0
	v_cmp_gt_i32_e32 vcc, s24, v3
	v_mov_b32_e32 v9, 0
	v_mov_b32_e32 v8, 0
	s_and_saveexec_b64 s[10:11], vcc
	s_cbranch_execz .LBB227_240
; %bb.228:
	v_cmp_neq_f32_e32 vcc, 0, v4
	v_cmp_neq_f32_e64 s[2:3], 0, v5
	v_mov_b32_e32 v8, 0
	s_or_b64 s[2:3], vcc, s[2:3]
	s_and_saveexec_b64 s[12:13], s[2:3]
	s_cbranch_execz .LBB227_262
; %bb.229:
	v_mov_b32_e32 v8, 0x7f800000
	v_cmp_neq_f32_e64 s[2:3], |v5|, v8
	s_and_saveexec_b64 s[14:15], s[2:3]
	s_cbranch_execz .LBB227_261
; %bb.230:
	v_cmp_o_f32_e32 vcc, v4, v4
                                        ; implicit-def: $vgpr8
	s_and_saveexec_b64 s[2:3], vcc
	s_xor_b64 s[16:17], exec, s[2:3]
	s_cbranch_execz .LBB227_258
; %bb.231:
	s_mov_b32 s2, 0x7f800000
	v_cmp_neq_f32_e64 s[2:3], |v4|, s2
                                        ; implicit-def: $vgpr8
	s_and_saveexec_b64 s[4:5], s[2:3]
	s_xor_b64 s[18:19], exec, s[4:5]
	s_cbranch_execz .LBB227_251
; %bb.232:
	v_max_f32_e64 v3, |v4|, |v4|
	v_max_f32_e64 v8, |v5|, |v5|
	v_max_f32_e32 v3, v8, v3
	s_mov_b32 s2, 0x7ed413cb
	v_cmp_nle_f32_e64 s[2:3], s2, v3
                                        ; implicit-def: $sgpr20_sgpr21
	s_and_saveexec_b64 s[4:5], s[2:3]
	s_xor_b64 s[4:5], exec, s[4:5]
	s_cbranch_execz .LBB227_236
; %bb.233:
	s_mov_b32 s7, 0x1000000
	v_cmp_le_f32_e64 s[20:21], |v4|, s7
	v_cmp_le_f32_e64 s[22:23], |v5|, s7
	s_and_b64 s[26:27], s[22:23], s[20:21]
	s_mov_b64 s[20:21], 0
	s_and_saveexec_b64 s[22:23], s[26:27]
; %bb.234:
	s_mov_b64 s[20:21], exec
	v_pk_mul_f32 v[4:5], v[4:5], 4.0 op_sel_hi:[1,0]
; %bb.235:
	s_or_b64 exec, exec, s[22:23]
.LBB227_236:
	s_andn2_saveexec_b64 s[4:5], s[4:5]
; %bb.237:
	s_mov_b32 s22, 0x3e800000
	v_pk_mul_f32 v[4:5], v[4:5], s[22:23] op_sel_hi:[1,0]
	s_andn2_b64 s[20:21], s[20:21], exec
; %bb.238:
	s_or_b64 exec, exec, s[4:5]
	v_max_f32_e64 v3, |v5|, |v5|
	v_max_f32_e64 v8, |v4|, |v4|
	v_max_f32_e32 v3, v8, v3
	v_cvt_f64_f32_e32 v[8:9], v3
	v_frexp_exp_i32_f64_e32 v8, v[8:9]
	v_sub_u32_e32 v9, 0, v8
	v_ldexp_f32 v14, |v4|, v9
	v_ldexp_f32 v9, |v5|, v9
	v_mul_f32_e32 v9, v9, v9
	v_fmac_f32_e32 v9, v14, v14
	v_sqrt_f32_e32 v9, v9
	s_mov_b32 s4, 0x7f800000
	v_cmp_neq_f32_e64 s[4:5], s4, v3
	v_cmp_le_f32_e32 vcc, 0, v4
	v_ldexp_f32 v8, v9, v8
	v_mov_b32_e32 v9, 0x7f800000
	v_cndmask_b32_e64 v3, v9, v8, s[4:5]
                                        ; implicit-def: $vgpr14_vgpr15
	s_and_saveexec_b64 s[4:5], vcc
	s_xor_b64 s[22:23], exec, s[4:5]
	s_cbranch_execz .LBB227_244
; %bb.239:
	v_add_f32_e32 v3, v4, v3
	v_mul_f32_e32 v3, 0.5, v3
	s_mov_b32 s4, 0xf800000
	v_mul_f32_e32 v4, 0x4f800000, v3
	v_cmp_gt_f32_e32 vcc, s4, v3
	s_nop 1
	v_cndmask_b32_e32 v3, v3, v4, vcc
	v_sqrt_f32_e32 v4, v3
	s_nop 0
	v_add_u32_e32 v8, -1, v4
	v_fma_f32 v9, -v8, v4, v3
	v_cmp_ge_f32_e64 s[4:5], 0, v9
	v_add_u32_e32 v9, 1, v4
	s_nop 0
	v_cndmask_b32_e64 v8, v4, v8, s[4:5]
	v_fma_f32 v4, -v9, v4, v3
	v_cmp_lt_f32_e64 s[4:5], 0, v4
	s_nop 1
	v_cndmask_b32_e64 v4, v8, v9, s[4:5]
	v_mul_f32_e32 v8, 0x37800000, v4
	v_cndmask_b32_e32 v4, v4, v8, vcc
	v_mov_b32_e32 v8, 0x260
	v_cmp_class_f32_e32 vcc, v3, v8
	s_nop 1
	v_cndmask_b32_e32 v14, v4, v3, vcc
	v_add_f32_e32 v3, v14, v14
	v_div_scale_f32 v4, s[4:5], v3, v3, v5
	v_rcp_f32_e32 v8, v4
	s_nop 0
	v_fma_f32 v9, -v4, v8, 1.0
	v_fmac_f32_e32 v8, v9, v8
	v_div_scale_f32 v9, vcc, v5, v3, v5
	v_mul_f32_e32 v15, v9, v8
	v_fma_f32 v16, -v4, v15, v9
	v_fmac_f32_e32 v15, v16, v8
	v_fma_f32 v4, -v4, v15, v9
	v_div_fmas_f32 v4, v4, v8, v15
	v_div_fixup_f32 v15, v4, v3, v5
                                        ; implicit-def: $vgpr3
                                        ; implicit-def: $vgpr4_vgpr5
	s_andn2_saveexec_b64 s[22:23], s[22:23]
	s_cbranch_execz .LBB227_246
	s_branch .LBB227_245
.LBB227_240:
	s_or_b64 exec, exec, s[10:11]
	s_and_saveexec_b64 s[2:3], s[0:1]
	s_xor_b64 s[0:1], exec, s[2:3]
	s_cbranch_execz .LBB227_263
.LBB227_241:
	v_mov_b32_e32 v3, 0
	v_lshl_add_u64 v[2:3], v[2:3], 3, s[8:9]
	v_mov_b32_e32 v0, v1
	global_store_dwordx2 v[2:3], v[6:7], off
	s_or_b64 exec, exec, s[0:1]
	v_cmp_gt_i32_e32 vcc, s24, v0
	s_and_saveexec_b64 s[0:1], vcc
	s_cbranch_execnz .LBB227_264
.LBB227_242:
	s_or_b64 exec, exec, s[0:1]
	v_cmp_gt_i32_e32 vcc, s24, v0
	s_and_saveexec_b64 s[0:1], vcc
	s_cbranch_execz .LBB227_265
.LBB227_243:
	v_add_u32_e32 v2, 0x100, v0
	v_add_u32_e32 v0, s6, v0
	v_mov_b32_e32 v1, 0
	v_lshl_add_u64 v[0:1], v[0:1], 3, s[8:9]
	global_store_dwordx2 v[0:1], v[12:13], off
	v_mov_b32_e32 v0, v2
	s_or_b64 exec, exec, s[0:1]
	v_cmp_gt_i32_e32 vcc, s24, v0
	s_and_saveexec_b64 s[0:1], vcc
	s_cbranch_execnz .LBB227_266
	s_branch .LBB227_267
.LBB227_244:
	s_andn2_saveexec_b64 s[22:23], s[22:23]
	s_cbranch_execz .LBB227_246
.LBB227_245:
	v_sub_f32_e32 v3, v3, v4
	v_mul_f32_e32 v3, 0.5, v3
	s_mov_b32 s4, 0xf800000
	v_mul_f32_e32 v4, 0x4f800000, v3
	v_cmp_gt_f32_e32 vcc, s4, v3
	s_nop 1
	v_cndmask_b32_e32 v3, v3, v4, vcc
	v_sqrt_f32_e32 v4, v3
	s_nop 0
	v_add_u32_e32 v8, -1, v4
	v_fma_f32 v9, -v8, v4, v3
	v_cmp_ge_f32_e64 s[4:5], 0, v9
	v_add_u32_e32 v9, 1, v4
	s_nop 0
	v_cndmask_b32_e64 v8, v4, v8, s[4:5]
	v_fma_f32 v4, -v9, v4, v3
	v_cmp_lt_f32_e64 s[4:5], 0, v4
	s_nop 1
	v_cndmask_b32_e64 v4, v8, v9, s[4:5]
	v_mul_f32_e32 v8, 0x37800000, v4
	v_cndmask_b32_e32 v4, v4, v8, vcc
	v_mov_b32_e32 v8, 0x260
	v_cmp_class_f32_e32 vcc, v3, v8
	v_and_b32_e32 v8, 0x7fffffff, v5
	s_nop 0
	v_cndmask_b32_e32 v3, v4, v3, vcc
	v_add_f32_e32 v4, v3, v3
	v_div_scale_f32 v9, s[4:5], v4, v4, v8
	v_rcp_f32_e32 v14, v9
	v_div_scale_f32 v8, vcc, v8, v4, v8
	s_brev_b32 s4, -2
	v_fma_f32 v15, -v9, v14, 1.0
	v_fmac_f32_e32 v14, v15, v14
	v_mul_f32_e32 v15, v8, v14
	v_fma_f32 v16, -v9, v15, v8
	v_fmac_f32_e32 v15, v16, v14
	v_fma_f32 v8, -v9, v15, v8
	v_div_fmas_f32 v8, v8, v14, v15
	v_div_fixup_f32 v14, v8, v4, |v5|
	v_bfi_b32 v15, s4, v3, v5
.LBB227_246:
	s_or_b64 exec, exec, s[22:23]
                                        ; implicit-def: $vgpr5
                                        ; implicit-def: $vgpr8
	s_and_saveexec_b64 s[4:5], s[2:3]
	s_xor_b64 s[2:3], exec, s[4:5]
	s_cbranch_execz .LBB227_248
; %bb.247:
	v_pk_mul_f32 v[4:5], v[14:15], 0.5 op_sel_hi:[1,0]
	s_nop 0
	v_cndmask_b32_e64 v8, v14, v4, s[20:21]
	v_cndmask_b32_e64 v5, v15, v5, s[20:21]
                                        ; implicit-def: $vgpr14_vgpr15
	s_andn2_saveexec_b64 s[2:3], s[2:3]
	s_cbranch_execnz .LBB227_249
	s_branch .LBB227_250
.LBB227_248:
	s_andn2_saveexec_b64 s[2:3], s[2:3]
.LBB227_249:
	v_pk_add_f32 v[4:5], v[14:15], v[14:15]
	s_nop 0
	v_mov_b32_e32 v8, v4
.LBB227_250:
	s_or_b64 exec, exec, s[2:3]
.LBB227_251:
	s_andn2_saveexec_b64 s[2:3], s[18:19]
	s_cbranch_execz .LBB227_257
; %bb.252:
	v_sub_f32_e32 v3, v5, v5
	v_cmp_lt_i32_e32 vcc, -1, v4
	s_brev_b32 s7, -2
	v_and_b32_e32 v8, 0x7fffffff, v3
	s_and_saveexec_b64 s[4:5], vcc
	s_xor_b64 s[4:5], exec, s[4:5]
; %bb.253:
	v_bfi_b32 v5, s7, v3, v5
	v_mov_b32_e32 v8, v4
; %bb.254:
	s_andn2_saveexec_b64 s[4:5], s[4:5]
; %bb.255:
	v_bfi_b32 v5, s7, v4, v5
; %bb.256:
	s_or_b64 exec, exec, s[4:5]
.LBB227_257:
	s_or_b64 exec, exec, s[2:3]
.LBB227_258:
	s_andn2_saveexec_b64 s[2:3], s[16:17]
	s_cbranch_execz .LBB227_260
; %bb.259:
	v_sub_f32_e32 v3, v5, v5
	v_div_scale_f32 v5, vcc, v3, v3, v3
	v_rcp_f32_e32 v8, v5
	s_nop 0
	v_fma_f32 v9, -v5, v8, 1.0
	v_fmac_f32_e32 v8, v9, v8
	v_mul_f32_e32 v9, v5, v8
	v_fma_f32 v14, -v5, v9, v5
	v_fmac_f32_e32 v9, v14, v8
	v_fma_f32 v5, -v5, v9, v5
	v_div_fmas_f32 v5, v5, v8, v9
	v_div_fixup_f32 v5, v5, v3, v3
	v_mov_b32_e32 v8, v4
.LBB227_260:
	s_or_b64 exec, exec, s[2:3]
.LBB227_261:
	s_or_b64 exec, exec, s[14:15]
.LBB227_262:
	s_or_b64 exec, exec, s[12:13]
	v_mov_b32_e32 v9, v5
	s_or_b64 exec, exec, s[10:11]
	s_and_saveexec_b64 s[2:3], s[0:1]
	s_xor_b64 s[0:1], exec, s[2:3]
	s_cbranch_execnz .LBB227_241
.LBB227_263:
	s_or_b64 exec, exec, s[0:1]
	v_cmp_gt_i32_e32 vcc, s24, v0
	s_and_saveexec_b64 s[0:1], vcc
	s_cbranch_execz .LBB227_242
.LBB227_264:
	v_add_u32_e32 v2, 0x100, v0
	v_add_u32_e32 v0, s6, v0
	v_mov_b32_e32 v1, 0
	v_lshl_add_u64 v[0:1], v[0:1], 3, s[8:9]
	global_store_dwordx2 v[0:1], v[10:11], off
	v_mov_b32_e32 v0, v2
	s_or_b64 exec, exec, s[0:1]
	v_cmp_gt_i32_e32 vcc, s24, v0
	s_and_saveexec_b64 s[0:1], vcc
	s_cbranch_execnz .LBB227_243
.LBB227_265:
	s_or_b64 exec, exec, s[0:1]
	v_cmp_gt_i32_e32 vcc, s24, v0
	s_and_saveexec_b64 s[0:1], vcc
	s_cbranch_execz .LBB227_267
.LBB227_266:
	v_add_u32_e32 v0, s6, v0
	v_mov_b32_e32 v1, 0
	v_lshl_add_u64 v[0:1], v[0:1], 3, s[8:9]
	global_store_dwordx2 v[0:1], v[8:9], off
.LBB227_267:
	s_endpgm
	.section	.rodata,"a",@progbits
	.p2align	6, 0x0
	.amdhsa_kernel _ZN2at6native29vectorized_elementwise_kernelILi8EZZZNS0_16sqrt_kernel_cudaERNS_18TensorIteratorBaseEENKUlvE_clEvENKUlvE0_clEvEUlN3c107complexIfEEE_St5arrayIPcLm2EEEEviT0_T1_
		.amdhsa_group_segment_fixed_size 0
		.amdhsa_private_segment_fixed_size 0
		.amdhsa_kernarg_size 24
		.amdhsa_user_sgpr_count 2
		.amdhsa_user_sgpr_dispatch_ptr 0
		.amdhsa_user_sgpr_queue_ptr 0
		.amdhsa_user_sgpr_kernarg_segment_ptr 1
		.amdhsa_user_sgpr_dispatch_id 0
		.amdhsa_user_sgpr_kernarg_preload_length 0
		.amdhsa_user_sgpr_kernarg_preload_offset 0
		.amdhsa_user_sgpr_private_segment_size 0
		.amdhsa_uses_dynamic_stack 0
		.amdhsa_enable_private_segment 0
		.amdhsa_system_sgpr_workgroup_id_x 1
		.amdhsa_system_sgpr_workgroup_id_y 0
		.amdhsa_system_sgpr_workgroup_id_z 0
		.amdhsa_system_sgpr_workgroup_info 0
		.amdhsa_system_vgpr_workitem_id 0
		.amdhsa_next_free_vgpr 19
		.amdhsa_next_free_sgpr 28
		.amdhsa_accum_offset 20
		.amdhsa_reserve_vcc 1
		.amdhsa_float_round_mode_32 0
		.amdhsa_float_round_mode_16_64 0
		.amdhsa_float_denorm_mode_32 3
		.amdhsa_float_denorm_mode_16_64 3
		.amdhsa_dx10_clamp 1
		.amdhsa_ieee_mode 1
		.amdhsa_fp16_overflow 0
		.amdhsa_tg_split 0
		.amdhsa_exception_fp_ieee_invalid_op 0
		.amdhsa_exception_fp_denorm_src 0
		.amdhsa_exception_fp_ieee_div_zero 0
		.amdhsa_exception_fp_ieee_overflow 0
		.amdhsa_exception_fp_ieee_underflow 0
		.amdhsa_exception_fp_ieee_inexact 0
		.amdhsa_exception_int_div_zero 0
	.end_amdhsa_kernel
	.section	.text._ZN2at6native29vectorized_elementwise_kernelILi8EZZZNS0_16sqrt_kernel_cudaERNS_18TensorIteratorBaseEENKUlvE_clEvENKUlvE0_clEvEUlN3c107complexIfEEE_St5arrayIPcLm2EEEEviT0_T1_,"axG",@progbits,_ZN2at6native29vectorized_elementwise_kernelILi8EZZZNS0_16sqrt_kernel_cudaERNS_18TensorIteratorBaseEENKUlvE_clEvENKUlvE0_clEvEUlN3c107complexIfEEE_St5arrayIPcLm2EEEEviT0_T1_,comdat
.Lfunc_end227:
	.size	_ZN2at6native29vectorized_elementwise_kernelILi8EZZZNS0_16sqrt_kernel_cudaERNS_18TensorIteratorBaseEENKUlvE_clEvENKUlvE0_clEvEUlN3c107complexIfEEE_St5arrayIPcLm2EEEEviT0_T1_, .Lfunc_end227-_ZN2at6native29vectorized_elementwise_kernelILi8EZZZNS0_16sqrt_kernel_cudaERNS_18TensorIteratorBaseEENKUlvE_clEvENKUlvE0_clEvEUlN3c107complexIfEEE_St5arrayIPcLm2EEEEviT0_T1_
                                        ; -- End function
	.set _ZN2at6native29vectorized_elementwise_kernelILi8EZZZNS0_16sqrt_kernel_cudaERNS_18TensorIteratorBaseEENKUlvE_clEvENKUlvE0_clEvEUlN3c107complexIfEEE_St5arrayIPcLm2EEEEviT0_T1_.num_vgpr, 19
	.set _ZN2at6native29vectorized_elementwise_kernelILi8EZZZNS0_16sqrt_kernel_cudaERNS_18TensorIteratorBaseEENKUlvE_clEvENKUlvE0_clEvEUlN3c107complexIfEEE_St5arrayIPcLm2EEEEviT0_T1_.num_agpr, 0
	.set _ZN2at6native29vectorized_elementwise_kernelILi8EZZZNS0_16sqrt_kernel_cudaERNS_18TensorIteratorBaseEENKUlvE_clEvENKUlvE0_clEvEUlN3c107complexIfEEE_St5arrayIPcLm2EEEEviT0_T1_.numbered_sgpr, 28
	.set _ZN2at6native29vectorized_elementwise_kernelILi8EZZZNS0_16sqrt_kernel_cudaERNS_18TensorIteratorBaseEENKUlvE_clEvENKUlvE0_clEvEUlN3c107complexIfEEE_St5arrayIPcLm2EEEEviT0_T1_.num_named_barrier, 0
	.set _ZN2at6native29vectorized_elementwise_kernelILi8EZZZNS0_16sqrt_kernel_cudaERNS_18TensorIteratorBaseEENKUlvE_clEvENKUlvE0_clEvEUlN3c107complexIfEEE_St5arrayIPcLm2EEEEviT0_T1_.private_seg_size, 0
	.set _ZN2at6native29vectorized_elementwise_kernelILi8EZZZNS0_16sqrt_kernel_cudaERNS_18TensorIteratorBaseEENKUlvE_clEvENKUlvE0_clEvEUlN3c107complexIfEEE_St5arrayIPcLm2EEEEviT0_T1_.uses_vcc, 1
	.set _ZN2at6native29vectorized_elementwise_kernelILi8EZZZNS0_16sqrt_kernel_cudaERNS_18TensorIteratorBaseEENKUlvE_clEvENKUlvE0_clEvEUlN3c107complexIfEEE_St5arrayIPcLm2EEEEviT0_T1_.uses_flat_scratch, 0
	.set _ZN2at6native29vectorized_elementwise_kernelILi8EZZZNS0_16sqrt_kernel_cudaERNS_18TensorIteratorBaseEENKUlvE_clEvENKUlvE0_clEvEUlN3c107complexIfEEE_St5arrayIPcLm2EEEEviT0_T1_.has_dyn_sized_stack, 0
	.set _ZN2at6native29vectorized_elementwise_kernelILi8EZZZNS0_16sqrt_kernel_cudaERNS_18TensorIteratorBaseEENKUlvE_clEvENKUlvE0_clEvEUlN3c107complexIfEEE_St5arrayIPcLm2EEEEviT0_T1_.has_recursion, 0
	.set _ZN2at6native29vectorized_elementwise_kernelILi8EZZZNS0_16sqrt_kernel_cudaERNS_18TensorIteratorBaseEENKUlvE_clEvENKUlvE0_clEvEUlN3c107complexIfEEE_St5arrayIPcLm2EEEEviT0_T1_.has_indirect_call, 0
	.section	.AMDGPU.csdata,"",@progbits
; Kernel info:
; codeLenInByte = 9320
; TotalNumSgprs: 34
; NumVgprs: 19
; NumAgprs: 0
; TotalNumVgprs: 19
; ScratchSize: 0
; MemoryBound: 0
; FloatMode: 240
; IeeeMode: 1
; LDSByteSize: 0 bytes/workgroup (compile time only)
; SGPRBlocks: 4
; VGPRBlocks: 2
; NumSGPRsForWavesPerEU: 34
; NumVGPRsForWavesPerEU: 19
; AccumOffset: 20
; Occupancy: 8
; WaveLimiterHint : 0
; COMPUTE_PGM_RSRC2:SCRATCH_EN: 0
; COMPUTE_PGM_RSRC2:USER_SGPR: 2
; COMPUTE_PGM_RSRC2:TRAP_HANDLER: 0
; COMPUTE_PGM_RSRC2:TGID_X_EN: 1
; COMPUTE_PGM_RSRC2:TGID_Y_EN: 0
; COMPUTE_PGM_RSRC2:TGID_Z_EN: 0
; COMPUTE_PGM_RSRC2:TIDIG_COMP_CNT: 0
; COMPUTE_PGM_RSRC3_GFX90A:ACCUM_OFFSET: 4
; COMPUTE_PGM_RSRC3_GFX90A:TG_SPLIT: 0
	.section	.text._ZN2at6native29vectorized_elementwise_kernelILi4EZZZNS0_16sqrt_kernel_cudaERNS_18TensorIteratorBaseEENKUlvE_clEvENKUlvE0_clEvEUlN3c107complexIfEEE_St5arrayIPcLm2EEEEviT0_T1_,"axG",@progbits,_ZN2at6native29vectorized_elementwise_kernelILi4EZZZNS0_16sqrt_kernel_cudaERNS_18TensorIteratorBaseEENKUlvE_clEvENKUlvE0_clEvEUlN3c107complexIfEEE_St5arrayIPcLm2EEEEviT0_T1_,comdat
	.globl	_ZN2at6native29vectorized_elementwise_kernelILi4EZZZNS0_16sqrt_kernel_cudaERNS_18TensorIteratorBaseEENKUlvE_clEvENKUlvE0_clEvEUlN3c107complexIfEEE_St5arrayIPcLm2EEEEviT0_T1_ ; -- Begin function _ZN2at6native29vectorized_elementwise_kernelILi4EZZZNS0_16sqrt_kernel_cudaERNS_18TensorIteratorBaseEENKUlvE_clEvENKUlvE0_clEvEUlN3c107complexIfEEE_St5arrayIPcLm2EEEEviT0_T1_
	.p2align	8
	.type	_ZN2at6native29vectorized_elementwise_kernelILi4EZZZNS0_16sqrt_kernel_cudaERNS_18TensorIteratorBaseEENKUlvE_clEvENKUlvE0_clEvEUlN3c107complexIfEEE_St5arrayIPcLm2EEEEviT0_T1_,@function
_ZN2at6native29vectorized_elementwise_kernelILi4EZZZNS0_16sqrt_kernel_cudaERNS_18TensorIteratorBaseEENKUlvE_clEvENKUlvE0_clEvEUlN3c107complexIfEEE_St5arrayIPcLm2EEEEviT0_T1_: ; @_ZN2at6native29vectorized_elementwise_kernelILi4EZZZNS0_16sqrt_kernel_cudaERNS_18TensorIteratorBaseEENKUlvE_clEvENKUlvE0_clEvEUlN3c107complexIfEEE_St5arrayIPcLm2EEEEviT0_T1_
; %bb.0:
	s_load_dword s3, s[0:1], 0x0
	s_load_dwordx4 s[8:11], s[0:1], 0x8
	s_lshl_b32 s6, s2, 10
	s_mov_b64 s[0:1], -1
	s_waitcnt lgkmcnt(0)
	s_sub_i32 s24, s3, s6
	s_cmpk_gt_i32 s24, 0x3ff
	s_cbranch_scc0 .LBB228_122
; %bb.1:
	s_ashr_i32 s7, s6, 31
	s_lshl_b64 s[4:5], s[6:7], 3
	s_add_u32 s0, s10, s4
	s_addc_u32 s1, s11, s5
	v_lshlrev_b32_e32 v1, 5, v0
	global_load_dwordx4 v[10:13], v1, s[0:1]
	global_load_dwordx4 v[6:9], v1, s[0:1] offset:16
	v_mov_b32_e32 v4, 0
	v_mov_b32_e32 v2, 0
	s_waitcnt vmcnt(1)
	v_cmp_neq_f32_e32 vcc, 0, v10
	v_cmp_neq_f32_e64 s[0:1], 0, v11
	s_or_b64 s[0:1], vcc, s[0:1]
	v_mov_b32_e32 v3, v11
	s_and_saveexec_b64 s[12:13], s[0:1]
	s_cbranch_execz .LBB228_31
; %bb.2:
	v_mov_b32_e32 v2, 0x7f800000
	v_cmp_neq_f32_e64 s[0:1], |v11|, v2
	v_mov_b32_e32 v3, v11
	s_and_saveexec_b64 s[14:15], s[0:1]
	s_cbranch_execz .LBB228_30
; %bb.3:
	v_cmp_o_f32_e32 vcc, v10, v10
	s_and_saveexec_b64 s[0:1], vcc
	s_xor_b64 s[16:17], exec, s[0:1]
	s_cbranch_execz .LBB228_27
; %bb.4:
	s_mov_b32 s0, 0x7f800000
	v_cmp_neq_f32_e64 s[0:1], |v10|, s0
	s_and_saveexec_b64 s[2:3], s[0:1]
	s_xor_b64 s[18:19], exec, s[2:3]
	s_cbranch_execz .LBB228_20
; %bb.5:
	v_max_f32_e64 v2, |v11|, |v11|
	v_max_f32_e64 v3, |v10|, |v10|
	v_max_f32_e32 v2, v3, v2
	s_mov_b32 s0, 0x7ed413cb
	v_cmp_nle_f32_e64 s[0:1], s0, v2
                                        ; implicit-def: $sgpr20_sgpr21
                                        ; implicit-def: $vgpr3
	s_and_saveexec_b64 s[2:3], s[0:1]
	s_xor_b64 s[2:3], exec, s[2:3]
	s_cbranch_execz .LBB228_9
; %bb.6:
	s_mov_b32 s7, 0x1000000
	v_cmp_le_f32_e64 s[20:21], |v10|, s7
	v_cmp_le_f32_e64 s[22:23], |v11|, s7
	s_and_b64 s[26:27], s[20:21], s[22:23]
	s_mov_b64 s[20:21], 0
	v_mov_b32_e32 v3, v10
	v_mov_b32_e32 v2, v11
	s_and_saveexec_b64 s[22:23], s[26:27]
; %bb.7:
	v_mov_b32_e32 v2, v11
	v_mov_b32_e32 v3, v10
	s_mov_b64 s[20:21], exec
	v_pk_mul_f32 v[2:3], v[2:3], 4.0 op_sel_hi:[1,0]
; %bb.8:
	s_or_b64 exec, exec, s[22:23]
.LBB228_9:
	s_andn2_saveexec_b64 s[2:3], s[2:3]
; %bb.10:
	v_mov_b32_e32 v2, v11
	v_mov_b32_e32 v3, v10
	s_mov_b32 s22, 0x3e800000
	v_pk_mul_f32 v[2:3], v[2:3], s[22:23] op_sel_hi:[1,0]
	s_andn2_b64 s[20:21], s[20:21], exec
; %bb.11:
	s_or_b64 exec, exec, s[2:3]
	v_max_f32_e64 v5, |v2|, |v2|
	v_max_f32_e64 v14, |v3|, |v3|
	v_max_f32_e32 v5, v14, v5
	v_cvt_f64_f32_e32 v[14:15], v5
	v_frexp_exp_i32_f64_e32 v14, v[14:15]
	v_sub_u32_e32 v15, 0, v14
	v_ldexp_f32 v16, |v3|, v15
	v_ldexp_f32 v15, |v2|, v15
	v_mul_f32_e32 v15, v15, v15
	v_fmac_f32_e32 v15, v16, v16
	v_sqrt_f32_e32 v15, v15
	s_mov_b32 s2, 0x7f800000
	v_cmp_neq_f32_e64 s[2:3], s2, v5
	v_cmp_le_f32_e32 vcc, 0, v3
	v_ldexp_f32 v14, v15, v14
	v_mov_b32_e32 v15, 0x7f800000
	v_cndmask_b32_e64 v15, v15, v14, s[2:3]
                                        ; implicit-def: $vgpr14
                                        ; implicit-def: $vgpr5
	s_and_saveexec_b64 s[2:3], vcc
	s_xor_b64 s[22:23], exec, s[2:3]
	s_cbranch_execz .LBB228_15
; %bb.12:
	v_add_f32_e32 v3, v3, v15
	v_mul_f32_e32 v3, 0.5, v3
	s_mov_b32 s2, 0xf800000
	v_mul_f32_e32 v5, 0x4f800000, v3
	v_cmp_gt_f32_e32 vcc, s2, v3
	s_nop 1
	v_cndmask_b32_e32 v3, v3, v5, vcc
	v_sqrt_f32_e32 v5, v3
	s_nop 0
	v_add_u32_e32 v14, -1, v5
	v_fma_f32 v15, -v14, v5, v3
	v_cmp_ge_f32_e64 s[2:3], 0, v15
	v_add_u32_e32 v15, 1, v5
	s_nop 0
	v_cndmask_b32_e64 v14, v5, v14, s[2:3]
	v_fma_f32 v5, -v15, v5, v3
	v_cmp_lt_f32_e64 s[2:3], 0, v5
	s_nop 1
	v_cndmask_b32_e64 v5, v14, v15, s[2:3]
	v_mul_f32_e32 v14, 0x37800000, v5
	v_cndmask_b32_e32 v5, v5, v14, vcc
	v_mov_b32_e32 v14, 0x260
	v_cmp_class_f32_e32 vcc, v3, v14
	s_nop 1
	v_cndmask_b32_e32 v5, v5, v3, vcc
	v_add_f32_e32 v3, v5, v5
	v_div_scale_f32 v14, s[2:3], v3, v3, v2
	v_rcp_f32_e32 v15, v14
	s_nop 0
	v_fma_f32 v16, -v14, v15, 1.0
	v_fmac_f32_e32 v15, v16, v15
	v_div_scale_f32 v16, vcc, v2, v3, v2
	v_mul_f32_e32 v17, v16, v15
	v_fma_f32 v18, -v14, v17, v16
	v_fmac_f32_e32 v17, v18, v15
	v_fma_f32 v14, -v14, v17, v16
	v_div_fmas_f32 v14, v14, v15, v17
	v_div_fixup_f32 v14, v14, v3, v2
                                        ; implicit-def: $vgpr15
                                        ; implicit-def: $vgpr3
	s_andn2_saveexec_b64 s[22:23], s[22:23]
	s_cbranch_execnz .LBB228_16
.LBB228_13:
	s_or_b64 exec, exec, s[22:23]
	s_and_saveexec_b64 s[2:3], s[0:1]
	s_xor_b64 s[0:1], exec, s[2:3]
	s_cbranch_execz .LBB228_17
.LBB228_14:
	v_mul_f32_e32 v2, 0.5, v5
	v_mul_f32_e32 v3, 0.5, v14
	v_cndmask_b32_e64 v2, v5, v2, s[20:21]
	v_cndmask_b32_e64 v3, v14, v3, s[20:21]
                                        ; implicit-def: $vgpr5
                                        ; implicit-def: $vgpr14
	s_andn2_saveexec_b64 s[0:1], s[0:1]
	s_cbranch_execnz .LBB228_18
	s_branch .LBB228_19
.LBB228_15:
	s_andn2_saveexec_b64 s[22:23], s[22:23]
	s_cbranch_execz .LBB228_13
.LBB228_16:
	v_sub_f32_e32 v3, v15, v3
	v_mul_f32_e32 v3, 0.5, v3
	s_mov_b32 s2, 0xf800000
	v_mul_f32_e32 v5, 0x4f800000, v3
	v_cmp_gt_f32_e32 vcc, s2, v3
	s_nop 1
	v_cndmask_b32_e32 v3, v3, v5, vcc
	v_sqrt_f32_e32 v5, v3
	s_nop 0
	v_add_u32_e32 v14, -1, v5
	v_fma_f32 v15, -v14, v5, v3
	v_cmp_ge_f32_e64 s[2:3], 0, v15
	v_add_u32_e32 v15, 1, v5
	s_nop 0
	v_cndmask_b32_e64 v14, v5, v14, s[2:3]
	v_fma_f32 v5, -v15, v5, v3
	v_cmp_lt_f32_e64 s[2:3], 0, v5
	s_nop 1
	v_cndmask_b32_e64 v5, v14, v15, s[2:3]
	v_mul_f32_e32 v14, 0x37800000, v5
	v_cndmask_b32_e32 v5, v5, v14, vcc
	v_mov_b32_e32 v14, 0x260
	v_cmp_class_f32_e32 vcc, v3, v14
	v_and_b32_e32 v14, 0x7fffffff, v2
	s_nop 0
	v_cndmask_b32_e32 v3, v5, v3, vcc
	v_add_f32_e32 v5, v3, v3
	v_div_scale_f32 v15, s[2:3], v5, v5, v14
	v_rcp_f32_e32 v16, v15
	v_div_scale_f32 v14, vcc, v14, v5, v14
	s_brev_b32 s2, -2
	v_fma_f32 v17, -v15, v16, 1.0
	v_fmac_f32_e32 v16, v17, v16
	v_mul_f32_e32 v17, v14, v16
	v_fma_f32 v18, -v15, v17, v14
	v_fmac_f32_e32 v17, v18, v16
	v_fma_f32 v14, -v15, v17, v14
	v_div_fmas_f32 v14, v14, v16, v17
	v_div_fixup_f32 v5, v14, v5, |v2|
	v_bfi_b32 v14, s2, v3, v2
	s_or_b64 exec, exec, s[22:23]
	s_and_saveexec_b64 s[2:3], s[0:1]
	s_xor_b64 s[0:1], exec, s[2:3]
	s_cbranch_execnz .LBB228_14
.LBB228_17:
	s_andn2_saveexec_b64 s[0:1], s[0:1]
.LBB228_18:
	v_add_f32_e32 v2, v5, v5
	v_add_f32_e32 v3, v14, v14
.LBB228_19:
	s_or_b64 exec, exec, s[0:1]
.LBB228_20:
	s_andn2_saveexec_b64 s[0:1], s[18:19]
	s_cbranch_execz .LBB228_26
; %bb.21:
	v_sub_f32_e32 v3, v11, v11
	v_cmp_lt_i32_e32 vcc, -1, v10
	s_brev_b32 s7, -2
	v_and_b32_e32 v2, 0x7fffffff, v3
	s_and_saveexec_b64 s[2:3], vcc
	s_xor_b64 s[2:3], exec, s[2:3]
; %bb.22:
	v_bfi_b32 v3, s7, v3, v11
	v_mov_b32_e32 v2, v10
; %bb.23:
	s_andn2_saveexec_b64 s[2:3], s[2:3]
; %bb.24:
	v_bfi_b32 v3, s7, v10, v11
; %bb.25:
	s_or_b64 exec, exec, s[2:3]
.LBB228_26:
	s_or_b64 exec, exec, s[0:1]
.LBB228_27:
	s_andn2_saveexec_b64 s[0:1], s[16:17]
	s_cbranch_execz .LBB228_29
; %bb.28:
	v_sub_f32_e32 v2, v11, v11
	v_div_scale_f32 v3, vcc, v2, v2, v2
	v_rcp_f32_e32 v5, v3
	s_nop 0
	v_fma_f32 v11, -v3, v5, 1.0
	v_fmac_f32_e32 v5, v11, v5
	v_mul_f32_e32 v11, v3, v5
	v_fma_f32 v14, -v3, v11, v3
	v_fmac_f32_e32 v11, v14, v5
	v_fma_f32 v3, -v3, v11, v3
	v_div_fmas_f32 v3, v3, v5, v11
	v_div_fixup_f32 v3, v3, v2, v2
	v_mov_b32_e32 v2, v10
.LBB228_29:
	s_or_b64 exec, exec, s[0:1]
.LBB228_30:
	s_or_b64 exec, exec, s[14:15]
.LBB228_31:
	s_or_b64 exec, exec, s[12:13]
	v_cmp_neq_f32_e32 vcc, 0, v12
	v_cmp_neq_f32_e64 s[0:1], 0, v13
	s_or_b64 s[0:1], vcc, s[0:1]
	s_and_saveexec_b64 s[12:13], s[0:1]
	s_cbranch_execz .LBB228_61
; %bb.32:
	v_mov_b32_e32 v4, 0x7f800000
	v_cmp_neq_f32_e64 s[0:1], |v13|, v4
	s_and_saveexec_b64 s[14:15], s[0:1]
	s_cbranch_execz .LBB228_60
; %bb.33:
	v_cmp_o_f32_e32 vcc, v12, v12
	s_and_saveexec_b64 s[0:1], vcc
	s_xor_b64 s[16:17], exec, s[0:1]
	s_cbranch_execz .LBB228_57
; %bb.34:
	s_mov_b32 s0, 0x7f800000
	v_cmp_neq_f32_e64 s[0:1], |v12|, s0
	s_and_saveexec_b64 s[2:3], s[0:1]
	s_xor_b64 s[18:19], exec, s[2:3]
	s_cbranch_execz .LBB228_50
; %bb.35:
	v_max_f32_e64 v4, |v13|, |v13|
	v_max_f32_e64 v5, |v12|, |v12|
	v_max_f32_e32 v4, v5, v4
	s_mov_b32 s0, 0x7ed413cb
	v_cmp_nle_f32_e64 s[0:1], s0, v4
                                        ; implicit-def: $sgpr20_sgpr21
	s_and_saveexec_b64 s[2:3], s[0:1]
	s_xor_b64 s[2:3], exec, s[2:3]
	s_cbranch_execz .LBB228_39
; %bb.36:
	s_mov_b32 s7, 0x1000000
	v_cmp_le_f32_e64 s[20:21], |v12|, s7
	v_cmp_le_f32_e64 s[22:23], |v13|, s7
	s_and_b64 s[26:27], s[20:21], s[22:23]
	s_mov_b64 s[20:21], 0
	s_and_saveexec_b64 s[22:23], s[26:27]
; %bb.37:
	v_mov_b32_e32 v4, v13
	v_mov_b32_e32 v5, v12
	v_pk_mul_f32 v[4:5], v[4:5], 4.0 op_sel_hi:[1,0]
	s_mov_b64 s[20:21], exec
	v_mov_b32_e32 v12, v5
	v_mov_b32_e32 v13, v4
; %bb.38:
	s_or_b64 exec, exec, s[22:23]
.LBB228_39:
	s_andn2_saveexec_b64 s[2:3], s[2:3]
; %bb.40:
	v_mov_b32_e32 v4, v13
	v_mov_b32_e32 v5, v12
	s_mov_b32 s22, 0x3e800000
	v_pk_mul_f32 v[4:5], v[4:5], s[22:23] op_sel_hi:[1,0]
	s_andn2_b64 s[20:21], s[20:21], exec
	v_mov_b32_e32 v13, v4
	v_mov_b32_e32 v12, v5
; %bb.41:
	s_or_b64 exec, exec, s[2:3]
	v_max_f32_e64 v4, |v13|, |v13|
	v_max_f32_e64 v5, |v12|, |v12|
	v_max_f32_e32 v10, v5, v4
	v_cvt_f64_f32_e32 v[4:5], v10
	v_frexp_exp_i32_f64_e32 v4, v[4:5]
	v_sub_u32_e32 v5, 0, v4
	v_ldexp_f32 v11, |v12|, v5
	v_ldexp_f32 v5, |v13|, v5
	v_mul_f32_e32 v5, v5, v5
	v_fmac_f32_e32 v5, v11, v11
	v_sqrt_f32_e32 v5, v5
	s_mov_b32 s2, 0x7f800000
	v_cmp_neq_f32_e64 s[2:3], s2, v10
	v_cmp_le_f32_e32 vcc, 0, v12
	v_ldexp_f32 v4, v5, v4
	v_mov_b32_e32 v5, 0x7f800000
	v_cndmask_b32_e64 v4, v5, v4, s[2:3]
                                        ; implicit-def: $vgpr10
                                        ; implicit-def: $vgpr5
	s_and_saveexec_b64 s[2:3], vcc
	s_xor_b64 s[22:23], exec, s[2:3]
	s_cbranch_execz .LBB228_43
; %bb.42:
	v_add_f32_e32 v4, v12, v4
	v_mul_f32_e32 v4, 0.5, v4
	s_mov_b32 s2, 0xf800000
	v_mul_f32_e32 v5, 0x4f800000, v4
	v_cmp_gt_f32_e32 vcc, s2, v4
	s_nop 1
	v_cndmask_b32_e32 v4, v4, v5, vcc
	v_sqrt_f32_e32 v5, v4
	s_nop 0
	v_add_u32_e32 v10, -1, v5
	v_fma_f32 v11, -v10, v5, v4
	v_cmp_ge_f32_e64 s[2:3], 0, v11
	v_add_u32_e32 v11, 1, v5
	s_nop 0
	v_cndmask_b32_e64 v10, v5, v10, s[2:3]
	v_fma_f32 v5, -v11, v5, v4
	v_cmp_lt_f32_e64 s[2:3], 0, v5
	s_nop 1
	v_cndmask_b32_e64 v5, v10, v11, s[2:3]
	v_mul_f32_e32 v10, 0x37800000, v5
	v_cndmask_b32_e32 v5, v5, v10, vcc
	v_mov_b32_e32 v10, 0x260
	v_cmp_class_f32_e32 vcc, v4, v10
	s_nop 1
	v_cndmask_b32_e32 v5, v5, v4, vcc
	v_add_f32_e32 v4, v5, v5
	v_div_scale_f32 v10, s[2:3], v4, v4, v13
	v_rcp_f32_e32 v11, v10
	s_nop 0
	v_fma_f32 v12, -v10, v11, 1.0
	v_fmac_f32_e32 v11, v12, v11
	v_div_scale_f32 v12, vcc, v13, v4, v13
	v_mul_f32_e32 v14, v12, v11
	v_fma_f32 v15, -v10, v14, v12
	v_fmac_f32_e32 v14, v15, v11
	v_fma_f32 v10, -v10, v14, v12
	v_div_fmas_f32 v10, v10, v11, v14
	v_div_fixup_f32 v10, v10, v4, v13
                                        ; implicit-def: $vgpr4
                                        ; implicit-def: $vgpr12
	s_andn2_saveexec_b64 s[22:23], s[22:23]
	s_cbranch_execz .LBB228_45
	s_branch .LBB228_44
.LBB228_43:
	s_andn2_saveexec_b64 s[22:23], s[22:23]
	s_cbranch_execz .LBB228_45
.LBB228_44:
	v_sub_f32_e32 v4, v4, v12
	v_mul_f32_e32 v4, 0.5, v4
	s_mov_b32 s2, 0xf800000
	v_mul_f32_e32 v5, 0x4f800000, v4
	v_cmp_gt_f32_e32 vcc, s2, v4
	s_nop 1
	v_cndmask_b32_e32 v4, v4, v5, vcc
	v_sqrt_f32_e32 v5, v4
	s_nop 0
	v_add_u32_e32 v10, -1, v5
	v_fma_f32 v11, -v10, v5, v4
	v_cmp_ge_f32_e64 s[2:3], 0, v11
	v_add_u32_e32 v11, 1, v5
	s_nop 0
	v_cndmask_b32_e64 v10, v5, v10, s[2:3]
	v_fma_f32 v5, -v11, v5, v4
	v_cmp_lt_f32_e64 s[2:3], 0, v5
	s_nop 1
	v_cndmask_b32_e64 v5, v10, v11, s[2:3]
	v_mul_f32_e32 v10, 0x37800000, v5
	v_cndmask_b32_e32 v5, v5, v10, vcc
	v_mov_b32_e32 v10, 0x260
	v_cmp_class_f32_e32 vcc, v4, v10
	v_and_b32_e32 v10, 0x7fffffff, v13
	s_nop 0
	v_cndmask_b32_e32 v4, v5, v4, vcc
	v_add_f32_e32 v5, v4, v4
	v_div_scale_f32 v11, s[2:3], v5, v5, v10
	v_rcp_f32_e32 v12, v11
	v_div_scale_f32 v10, vcc, v10, v5, v10
	s_brev_b32 s2, -2
	v_fma_f32 v14, -v11, v12, 1.0
	v_fmac_f32_e32 v12, v14, v12
	v_mul_f32_e32 v14, v10, v12
	v_fma_f32 v15, -v11, v14, v10
	v_fmac_f32_e32 v14, v15, v12
	v_fma_f32 v10, -v11, v14, v10
	v_div_fmas_f32 v10, v10, v12, v14
	v_div_fixup_f32 v5, v10, v5, |v13|
	v_bfi_b32 v10, s2, v4, v13
.LBB228_45:
	s_or_b64 exec, exec, s[22:23]
                                        ; implicit-def: $vgpr13
	s_and_saveexec_b64 s[2:3], s[0:1]
	s_xor_b64 s[0:1], exec, s[2:3]
	s_cbranch_execz .LBB228_47
; %bb.46:
	v_mul_f32_e32 v4, 0.5, v5
	v_mul_f32_e32 v11, 0.5, v10
	v_cndmask_b32_e64 v4, v5, v4, s[20:21]
	v_cndmask_b32_e64 v13, v10, v11, s[20:21]
                                        ; implicit-def: $vgpr5
                                        ; implicit-def: $vgpr10
	s_andn2_saveexec_b64 s[0:1], s[0:1]
	s_cbranch_execnz .LBB228_48
	s_branch .LBB228_49
.LBB228_47:
	s_andn2_saveexec_b64 s[0:1], s[0:1]
.LBB228_48:
	v_add_f32_e32 v4, v5, v5
	v_add_f32_e32 v13, v10, v10
.LBB228_49:
	s_or_b64 exec, exec, s[0:1]
.LBB228_50:
	s_andn2_saveexec_b64 s[0:1], s[18:19]
	s_cbranch_execz .LBB228_56
; %bb.51:
	v_sub_f32_e32 v5, v13, v13
	v_cmp_lt_i32_e32 vcc, -1, v12
	s_brev_b32 s7, -2
	v_and_b32_e32 v4, 0x7fffffff, v5
	s_and_saveexec_b64 s[2:3], vcc
	s_xor_b64 s[2:3], exec, s[2:3]
; %bb.52:
	v_bfi_b32 v13, s7, v5, v13
	v_mov_b32_e32 v4, v12
; %bb.53:
	s_andn2_saveexec_b64 s[2:3], s[2:3]
; %bb.54:
	v_bfi_b32 v13, s7, v12, v13
; %bb.55:
	s_or_b64 exec, exec, s[2:3]
.LBB228_56:
	s_or_b64 exec, exec, s[0:1]
.LBB228_57:
	s_andn2_saveexec_b64 s[0:1], s[16:17]
	s_cbranch_execz .LBB228_59
; %bb.58:
	v_sub_f32_e32 v4, v13, v13
	v_div_scale_f32 v5, vcc, v4, v4, v4
	v_rcp_f32_e32 v10, v5
	s_nop 0
	v_fma_f32 v11, -v5, v10, 1.0
	v_fmac_f32_e32 v10, v11, v10
	v_mul_f32_e32 v11, v5, v10
	v_fma_f32 v13, -v5, v11, v5
	v_fmac_f32_e32 v11, v13, v10
	v_fma_f32 v5, -v5, v11, v5
	v_div_fmas_f32 v5, v5, v10, v11
	v_div_fixup_f32 v13, v5, v4, v4
	v_mov_b32_e32 v4, v12
.LBB228_59:
	s_or_b64 exec, exec, s[0:1]
.LBB228_60:
	s_or_b64 exec, exec, s[14:15]
.LBB228_61:
	s_or_b64 exec, exec, s[12:13]
	s_waitcnt vmcnt(0)
	v_cmp_neq_f32_e32 vcc, 0, v6
	v_cmp_neq_f32_e64 s[0:1], 0, v7
	v_mov_b32_e32 v12, 0
	s_or_b64 s[0:1], vcc, s[0:1]
	v_mov_b32_e32 v10, 0
	v_mov_b32_e32 v11, v7
	s_and_saveexec_b64 s[12:13], s[0:1]
	s_cbranch_execz .LBB228_91
; %bb.62:
	v_mov_b32_e32 v10, 0x7f800000
	v_cmp_neq_f32_e64 s[0:1], |v7|, v10
	v_mov_b32_e32 v11, v7
	s_and_saveexec_b64 s[14:15], s[0:1]
	s_cbranch_execz .LBB228_90
; %bb.63:
	v_cmp_o_f32_e32 vcc, v6, v6
	s_and_saveexec_b64 s[0:1], vcc
	s_xor_b64 s[16:17], exec, s[0:1]
	s_cbranch_execz .LBB228_87
; %bb.64:
	s_mov_b32 s0, 0x7f800000
	v_cmp_neq_f32_e64 s[0:1], |v6|, s0
	s_and_saveexec_b64 s[2:3], s[0:1]
	s_xor_b64 s[18:19], exec, s[2:3]
	s_cbranch_execz .LBB228_80
; %bb.65:
	v_max_f32_e64 v5, |v7|, |v7|
	v_max_f32_e64 v10, |v6|, |v6|
	v_max_f32_e32 v5, v10, v5
	s_mov_b32 s0, 0x7ed413cb
	v_cmp_nle_f32_e64 s[0:1], s0, v5
                                        ; implicit-def: $sgpr20_sgpr21
                                        ; implicit-def: $vgpr11
	s_and_saveexec_b64 s[2:3], s[0:1]
	s_xor_b64 s[2:3], exec, s[2:3]
	s_cbranch_execz .LBB228_69
; %bb.66:
	s_mov_b32 s7, 0x1000000
	v_cmp_le_f32_e64 s[20:21], |v6|, s7
	v_cmp_le_f32_e64 s[22:23], |v7|, s7
	s_and_b64 s[26:27], s[20:21], s[22:23]
	s_mov_b64 s[20:21], 0
	v_mov_b32_e32 v11, v6
	v_mov_b32_e32 v10, v7
	s_and_saveexec_b64 s[22:23], s[26:27]
; %bb.67:
	v_mov_b32_e32 v10, v7
	v_mov_b32_e32 v11, v6
	s_mov_b64 s[20:21], exec
	v_pk_mul_f32 v[10:11], v[10:11], 4.0 op_sel_hi:[1,0]
; %bb.68:
	s_or_b64 exec, exec, s[22:23]
.LBB228_69:
	s_andn2_saveexec_b64 s[2:3], s[2:3]
; %bb.70:
	v_mov_b32_e32 v10, v7
	v_mov_b32_e32 v11, v6
	s_mov_b32 s22, 0x3e800000
	v_pk_mul_f32 v[10:11], v[10:11], s[22:23] op_sel_hi:[1,0]
	s_andn2_b64 s[20:21], s[20:21], exec
; %bb.71:
	s_or_b64 exec, exec, s[2:3]
	v_max_f32_e64 v5, |v10|, |v10|
	v_max_f32_e64 v14, |v11|, |v11|
	v_max_f32_e32 v5, v14, v5
	v_cvt_f64_f32_e32 v[14:15], v5
	v_frexp_exp_i32_f64_e32 v14, v[14:15]
	v_sub_u32_e32 v15, 0, v14
	v_ldexp_f32 v16, |v11|, v15
	v_ldexp_f32 v15, |v10|, v15
	v_mul_f32_e32 v15, v15, v15
	v_fmac_f32_e32 v15, v16, v16
	v_sqrt_f32_e32 v15, v15
	s_mov_b32 s2, 0x7f800000
	v_cmp_neq_f32_e64 s[2:3], s2, v5
	v_cmp_le_f32_e32 vcc, 0, v11
	v_ldexp_f32 v14, v15, v14
	v_mov_b32_e32 v15, 0x7f800000
	v_cndmask_b32_e64 v15, v15, v14, s[2:3]
                                        ; implicit-def: $vgpr14
                                        ; implicit-def: $vgpr5
	s_and_saveexec_b64 s[2:3], vcc
	s_xor_b64 s[22:23], exec, s[2:3]
	s_cbranch_execz .LBB228_75
; %bb.72:
	v_add_f32_e32 v5, v11, v15
	v_mul_f32_e32 v5, 0.5, v5
	s_mov_b32 s2, 0xf800000
	v_mul_f32_e32 v11, 0x4f800000, v5
	v_cmp_gt_f32_e32 vcc, s2, v5
	s_nop 1
	v_cndmask_b32_e32 v5, v5, v11, vcc
	v_sqrt_f32_e32 v11, v5
	s_nop 0
	v_add_u32_e32 v14, -1, v11
	v_fma_f32 v15, -v14, v11, v5
	v_cmp_ge_f32_e64 s[2:3], 0, v15
	v_add_u32_e32 v15, 1, v11
	s_nop 0
	v_cndmask_b32_e64 v14, v11, v14, s[2:3]
	v_fma_f32 v11, -v15, v11, v5
	v_cmp_lt_f32_e64 s[2:3], 0, v11
	s_nop 1
	v_cndmask_b32_e64 v11, v14, v15, s[2:3]
	v_mul_f32_e32 v14, 0x37800000, v11
	v_cndmask_b32_e32 v11, v11, v14, vcc
	v_mov_b32_e32 v14, 0x260
	v_cmp_class_f32_e32 vcc, v5, v14
	s_nop 1
	v_cndmask_b32_e32 v5, v11, v5, vcc
	v_add_f32_e32 v11, v5, v5
	v_div_scale_f32 v14, s[2:3], v11, v11, v10
	v_rcp_f32_e32 v15, v14
	s_nop 0
	v_fma_f32 v16, -v14, v15, 1.0
	v_fmac_f32_e32 v15, v16, v15
	v_div_scale_f32 v16, vcc, v10, v11, v10
	v_mul_f32_e32 v17, v16, v15
	v_fma_f32 v18, -v14, v17, v16
	v_fmac_f32_e32 v17, v18, v15
	v_fma_f32 v14, -v14, v17, v16
	v_div_fmas_f32 v14, v14, v15, v17
	v_div_fixup_f32 v14, v14, v11, v10
                                        ; implicit-def: $vgpr15
                                        ; implicit-def: $vgpr11
	s_andn2_saveexec_b64 s[22:23], s[22:23]
	s_cbranch_execnz .LBB228_76
.LBB228_73:
	s_or_b64 exec, exec, s[22:23]
	s_and_saveexec_b64 s[2:3], s[0:1]
	s_xor_b64 s[0:1], exec, s[2:3]
	s_cbranch_execz .LBB228_77
.LBB228_74:
	v_mul_f32_e32 v10, 0.5, v5
	v_mul_f32_e32 v11, 0.5, v14
	v_cndmask_b32_e64 v10, v5, v10, s[20:21]
	v_cndmask_b32_e64 v11, v14, v11, s[20:21]
                                        ; implicit-def: $vgpr5
                                        ; implicit-def: $vgpr14
	s_andn2_saveexec_b64 s[0:1], s[0:1]
	s_cbranch_execnz .LBB228_78
	s_branch .LBB228_79
.LBB228_75:
	s_andn2_saveexec_b64 s[22:23], s[22:23]
	s_cbranch_execz .LBB228_73
.LBB228_76:
	v_sub_f32_e32 v5, v15, v11
	v_mul_f32_e32 v5, 0.5, v5
	s_mov_b32 s2, 0xf800000
	v_mul_f32_e32 v11, 0x4f800000, v5
	v_cmp_gt_f32_e32 vcc, s2, v5
	s_nop 1
	v_cndmask_b32_e32 v5, v5, v11, vcc
	v_sqrt_f32_e32 v11, v5
	s_nop 0
	v_add_u32_e32 v14, -1, v11
	v_fma_f32 v15, -v14, v11, v5
	v_cmp_ge_f32_e64 s[2:3], 0, v15
	v_add_u32_e32 v15, 1, v11
	s_nop 0
	v_cndmask_b32_e64 v14, v11, v14, s[2:3]
	v_fma_f32 v11, -v15, v11, v5
	v_cmp_lt_f32_e64 s[2:3], 0, v11
	s_nop 1
	v_cndmask_b32_e64 v11, v14, v15, s[2:3]
	v_mul_f32_e32 v14, 0x37800000, v11
	v_cndmask_b32_e32 v11, v11, v14, vcc
	v_mov_b32_e32 v14, 0x260
	v_cmp_class_f32_e32 vcc, v5, v14
	v_and_b32_e32 v14, 0x7fffffff, v10
	s_nop 0
	v_cndmask_b32_e32 v11, v11, v5, vcc
	v_add_f32_e32 v5, v11, v11
	v_div_scale_f32 v15, s[2:3], v5, v5, v14
	v_rcp_f32_e32 v16, v15
	v_div_scale_f32 v14, vcc, v14, v5, v14
	s_brev_b32 s2, -2
	v_fma_f32 v17, -v15, v16, 1.0
	v_fmac_f32_e32 v16, v17, v16
	v_mul_f32_e32 v17, v14, v16
	v_fma_f32 v18, -v15, v17, v14
	v_fmac_f32_e32 v17, v18, v16
	v_fma_f32 v14, -v15, v17, v14
	v_div_fmas_f32 v14, v14, v16, v17
	v_div_fixup_f32 v5, v14, v5, |v10|
	v_bfi_b32 v14, s2, v11, v10
	s_or_b64 exec, exec, s[22:23]
	s_and_saveexec_b64 s[2:3], s[0:1]
	s_xor_b64 s[0:1], exec, s[2:3]
	s_cbranch_execnz .LBB228_74
.LBB228_77:
	s_andn2_saveexec_b64 s[0:1], s[0:1]
.LBB228_78:
	v_add_f32_e32 v10, v5, v5
	v_add_f32_e32 v11, v14, v14
.LBB228_79:
	s_or_b64 exec, exec, s[0:1]
.LBB228_80:
	s_andn2_saveexec_b64 s[0:1], s[18:19]
	s_cbranch_execz .LBB228_86
; %bb.81:
	v_sub_f32_e32 v5, v7, v7
	v_cmp_lt_i32_e32 vcc, -1, v6
	s_brev_b32 s7, -2
	v_and_b32_e32 v10, 0x7fffffff, v5
	s_and_saveexec_b64 s[2:3], vcc
	s_xor_b64 s[2:3], exec, s[2:3]
; %bb.82:
	v_bfi_b32 v11, s7, v5, v7
	v_mov_b32_e32 v10, v6
; %bb.83:
	s_andn2_saveexec_b64 s[2:3], s[2:3]
; %bb.84:
	v_bfi_b32 v11, s7, v6, v7
; %bb.85:
	s_or_b64 exec, exec, s[2:3]
.LBB228_86:
	s_or_b64 exec, exec, s[0:1]
.LBB228_87:
	s_andn2_saveexec_b64 s[0:1], s[16:17]
	s_cbranch_execz .LBB228_89
; %bb.88:
	v_sub_f32_e32 v5, v7, v7
	v_div_scale_f32 v7, vcc, v5, v5, v5
	v_rcp_f32_e32 v10, v7
	s_nop 0
	v_fma_f32 v11, -v7, v10, 1.0
	v_fmac_f32_e32 v10, v11, v10
	v_mul_f32_e32 v11, v7, v10
	v_fma_f32 v14, -v7, v11, v7
	v_fmac_f32_e32 v11, v14, v10
	v_fma_f32 v7, -v7, v11, v7
	v_div_fmas_f32 v7, v7, v10, v11
	v_div_fixup_f32 v11, v7, v5, v5
	v_mov_b32_e32 v10, v6
.LBB228_89:
	s_or_b64 exec, exec, s[0:1]
.LBB228_90:
	s_or_b64 exec, exec, s[14:15]
.LBB228_91:
	s_or_b64 exec, exec, s[12:13]
	v_cmp_neq_f32_e32 vcc, 0, v8
	v_cmp_neq_f32_e64 s[0:1], 0, v9
	s_or_b64 s[0:1], vcc, s[0:1]
	s_and_saveexec_b64 s[12:13], s[0:1]
	s_cbranch_execz .LBB228_121
; %bb.92:
	v_mov_b32_e32 v12, 0x7f800000
	v_cmp_neq_f32_e64 s[0:1], |v9|, v12
	s_and_saveexec_b64 s[14:15], s[0:1]
	s_cbranch_execz .LBB228_120
; %bb.93:
	v_cmp_o_f32_e32 vcc, v8, v8
	s_and_saveexec_b64 s[0:1], vcc
	s_xor_b64 s[16:17], exec, s[0:1]
	s_cbranch_execz .LBB228_117
; %bb.94:
	s_mov_b32 s0, 0x7f800000
	v_cmp_neq_f32_e64 s[0:1], |v8|, s0
	s_and_saveexec_b64 s[2:3], s[0:1]
	s_xor_b64 s[18:19], exec, s[2:3]
	s_cbranch_execz .LBB228_110
; %bb.95:
	v_max_f32_e64 v5, |v9|, |v9|
	v_max_f32_e64 v6, |v8|, |v8|
	v_max_f32_e32 v5, v6, v5
	s_mov_b32 s0, 0x7ed413cb
	v_cmp_nle_f32_e64 s[0:1], s0, v5
                                        ; implicit-def: $sgpr20_sgpr21
	s_and_saveexec_b64 s[2:3], s[0:1]
	s_xor_b64 s[2:3], exec, s[2:3]
	s_cbranch_execz .LBB228_99
; %bb.96:
	s_mov_b32 s7, 0x1000000
	v_cmp_le_f32_e64 s[20:21], |v8|, s7
	v_cmp_le_f32_e64 s[22:23], |v9|, s7
	s_and_b64 s[26:27], s[20:21], s[22:23]
	s_mov_b64 s[20:21], 0
	s_and_saveexec_b64 s[22:23], s[26:27]
; %bb.97:
	v_mov_b32_e32 v6, v9
	v_mov_b32_e32 v7, v8
	v_pk_mul_f32 v[6:7], v[6:7], 4.0 op_sel_hi:[1,0]
	s_mov_b64 s[20:21], exec
	v_mov_b32_e32 v8, v7
	v_mov_b32_e32 v9, v6
; %bb.98:
	s_or_b64 exec, exec, s[22:23]
.LBB228_99:
	s_andn2_saveexec_b64 s[2:3], s[2:3]
; %bb.100:
	v_mov_b32_e32 v6, v9
	v_mov_b32_e32 v7, v8
	s_mov_b32 s22, 0x3e800000
	v_pk_mul_f32 v[6:7], v[6:7], s[22:23] op_sel_hi:[1,0]
	s_andn2_b64 s[20:21], s[20:21], exec
	v_mov_b32_e32 v9, v6
	v_mov_b32_e32 v8, v7
; %bb.101:
	s_or_b64 exec, exec, s[2:3]
	v_max_f32_e64 v5, |v9|, |v9|
	v_max_f32_e64 v6, |v8|, |v8|
	v_max_f32_e32 v5, v6, v5
	v_cvt_f64_f32_e32 v[6:7], v5
	v_frexp_exp_i32_f64_e32 v6, v[6:7]
	v_sub_u32_e32 v7, 0, v6
	v_ldexp_f32 v12, |v8|, v7
	v_ldexp_f32 v7, |v9|, v7
	v_mul_f32_e32 v7, v7, v7
	v_fmac_f32_e32 v7, v12, v12
	v_sqrt_f32_e32 v7, v7
	s_mov_b32 s2, 0x7f800000
	v_cmp_neq_f32_e64 s[2:3], s2, v5
	v_cmp_le_f32_e32 vcc, 0, v8
	v_ldexp_f32 v6, v7, v6
	v_mov_b32_e32 v7, 0x7f800000
	v_cndmask_b32_e64 v7, v7, v6, s[2:3]
                                        ; implicit-def: $vgpr6
                                        ; implicit-def: $vgpr5
	s_and_saveexec_b64 s[2:3], vcc
	s_xor_b64 s[22:23], exec, s[2:3]
	s_cbranch_execz .LBB228_103
; %bb.102:
	v_add_f32_e32 v5, v8, v7
	v_mul_f32_e32 v5, 0.5, v5
	s_mov_b32 s2, 0xf800000
	v_mul_f32_e32 v6, 0x4f800000, v5
	v_cmp_gt_f32_e32 vcc, s2, v5
	s_nop 1
	v_cndmask_b32_e32 v5, v5, v6, vcc
	v_sqrt_f32_e32 v6, v5
	s_nop 0
	v_add_u32_e32 v7, -1, v6
	v_fma_f32 v8, -v7, v6, v5
	v_cmp_ge_f32_e64 s[2:3], 0, v8
	v_add_u32_e32 v8, 1, v6
	s_nop 0
	v_cndmask_b32_e64 v7, v6, v7, s[2:3]
	v_fma_f32 v6, -v8, v6, v5
	v_cmp_lt_f32_e64 s[2:3], 0, v6
	s_nop 1
	v_cndmask_b32_e64 v6, v7, v8, s[2:3]
	v_mul_f32_e32 v7, 0x37800000, v6
	v_cndmask_b32_e32 v6, v6, v7, vcc
	v_mov_b32_e32 v7, 0x260
	v_cmp_class_f32_e32 vcc, v5, v7
	s_nop 1
	v_cndmask_b32_e32 v5, v6, v5, vcc
	v_add_f32_e32 v6, v5, v5
	v_div_scale_f32 v7, s[2:3], v6, v6, v9
	v_rcp_f32_e32 v8, v7
	s_nop 0
	v_fma_f32 v12, -v7, v8, 1.0
	v_fmac_f32_e32 v8, v12, v8
	v_div_scale_f32 v12, vcc, v9, v6, v9
	v_mul_f32_e32 v14, v12, v8
	v_fma_f32 v15, -v7, v14, v12
	v_fmac_f32_e32 v14, v15, v8
	v_fma_f32 v7, -v7, v14, v12
	v_div_fmas_f32 v7, v7, v8, v14
	v_div_fixup_f32 v6, v7, v6, v9
                                        ; implicit-def: $vgpr7
                                        ; implicit-def: $vgpr8
	s_andn2_saveexec_b64 s[22:23], s[22:23]
	s_cbranch_execz .LBB228_105
	s_branch .LBB228_104
.LBB228_103:
	s_andn2_saveexec_b64 s[22:23], s[22:23]
	s_cbranch_execz .LBB228_105
.LBB228_104:
	v_sub_f32_e32 v5, v7, v8
	v_mul_f32_e32 v5, 0.5, v5
	s_mov_b32 s2, 0xf800000
	v_mul_f32_e32 v6, 0x4f800000, v5
	v_cmp_gt_f32_e32 vcc, s2, v5
	s_nop 1
	v_cndmask_b32_e32 v5, v5, v6, vcc
	v_sqrt_f32_e32 v6, v5
	s_nop 0
	v_add_u32_e32 v7, -1, v6
	v_fma_f32 v8, -v7, v6, v5
	v_cmp_ge_f32_e64 s[2:3], 0, v8
	v_add_u32_e32 v8, 1, v6
	s_nop 0
	v_cndmask_b32_e64 v7, v6, v7, s[2:3]
	v_fma_f32 v6, -v8, v6, v5
	v_cmp_lt_f32_e64 s[2:3], 0, v6
	s_nop 1
	v_cndmask_b32_e64 v6, v7, v8, s[2:3]
	v_mul_f32_e32 v7, 0x37800000, v6
	v_cndmask_b32_e32 v6, v6, v7, vcc
	v_mov_b32_e32 v7, 0x260
	v_cmp_class_f32_e32 vcc, v5, v7
	v_and_b32_e32 v7, 0x7fffffff, v9
	s_nop 0
	v_cndmask_b32_e32 v6, v6, v5, vcc
	v_add_f32_e32 v5, v6, v6
	v_div_scale_f32 v8, s[2:3], v5, v5, v7
	v_rcp_f32_e32 v12, v8
	v_div_scale_f32 v7, vcc, v7, v5, v7
	s_brev_b32 s2, -2
	v_fma_f32 v14, -v8, v12, 1.0
	v_fmac_f32_e32 v12, v14, v12
	v_mul_f32_e32 v14, v7, v12
	v_fma_f32 v15, -v8, v14, v7
	v_fmac_f32_e32 v14, v15, v12
	v_fma_f32 v7, -v8, v14, v7
	v_div_fmas_f32 v7, v7, v12, v14
	v_div_fixup_f32 v5, v7, v5, |v9|
	v_bfi_b32 v6, s2, v6, v9
.LBB228_105:
	s_or_b64 exec, exec, s[22:23]
                                        ; implicit-def: $vgpr9
	s_and_saveexec_b64 s[2:3], s[0:1]
	s_xor_b64 s[0:1], exec, s[2:3]
	s_cbranch_execz .LBB228_107
; %bb.106:
	v_mul_f32_e32 v7, 0.5, v5
	v_mul_f32_e32 v8, 0.5, v6
	v_cndmask_b32_e64 v12, v5, v7, s[20:21]
	v_cndmask_b32_e64 v9, v6, v8, s[20:21]
                                        ; implicit-def: $vgpr5
                                        ; implicit-def: $vgpr6
	s_andn2_saveexec_b64 s[0:1], s[0:1]
	s_cbranch_execnz .LBB228_108
	s_branch .LBB228_109
.LBB228_107:
	s_andn2_saveexec_b64 s[0:1], s[0:1]
.LBB228_108:
	v_add_f32_e32 v12, v5, v5
	v_add_f32_e32 v9, v6, v6
.LBB228_109:
	s_or_b64 exec, exec, s[0:1]
.LBB228_110:
	s_andn2_saveexec_b64 s[0:1], s[18:19]
	s_cbranch_execz .LBB228_116
; %bb.111:
	v_sub_f32_e32 v5, v9, v9
	v_cmp_lt_i32_e32 vcc, -1, v8
	s_brev_b32 s7, -2
	v_and_b32_e32 v12, 0x7fffffff, v5
	s_and_saveexec_b64 s[2:3], vcc
	s_xor_b64 s[2:3], exec, s[2:3]
; %bb.112:
	v_bfi_b32 v9, s7, v5, v9
	v_mov_b32_e32 v12, v8
; %bb.113:
	s_andn2_saveexec_b64 s[2:3], s[2:3]
; %bb.114:
	v_bfi_b32 v9, s7, v8, v9
; %bb.115:
	s_or_b64 exec, exec, s[2:3]
.LBB228_116:
	s_or_b64 exec, exec, s[0:1]
.LBB228_117:
	s_andn2_saveexec_b64 s[0:1], s[16:17]
	s_cbranch_execz .LBB228_119
; %bb.118:
	v_sub_f32_e32 v5, v9, v9
	v_div_scale_f32 v6, vcc, v5, v5, v5
	v_rcp_f32_e32 v7, v6
	s_nop 0
	v_fma_f32 v9, -v6, v7, 1.0
	v_fmac_f32_e32 v7, v9, v7
	v_mul_f32_e32 v9, v6, v7
	v_fma_f32 v12, -v6, v9, v6
	v_fmac_f32_e32 v9, v12, v7
	v_fma_f32 v6, -v6, v9, v6
	v_div_fmas_f32 v6, v6, v7, v9
	v_div_fixup_f32 v9, v6, v5, v5
	v_mov_b32_e32 v12, v8
.LBB228_119:
	s_or_b64 exec, exec, s[0:1]
.LBB228_120:
	s_or_b64 exec, exec, s[14:15]
.LBB228_121:
	s_or_b64 exec, exec, s[12:13]
	s_add_u32 s0, s8, s4
	s_addc_u32 s1, s9, s5
	v_mov_b32_e32 v5, v13
	v_mov_b32_e32 v13, v9
	global_store_dwordx4 v1, v[2:5], s[0:1]
	global_store_dwordx4 v1, v[10:13], s[0:1] offset:16
	s_mov_b64 s[0:1], 0
.LBB228_122:
	s_and_b64 vcc, exec, s[0:1]
	s_cbranch_vccz .LBB228_267
; %bb.123:
	v_mov_b32_e32 v12, 0
	v_mov_b32_e32 v13, v12
	v_cmp_gt_i32_e64 s[0:1], s24, v0
	v_or_b32_e32 v2, s6, v0
	v_mov_b32_e32 v1, v0
	v_mov_b64_e32 v[10:11], v[12:13]
	s_and_saveexec_b64 s[2:3], s[0:1]
	s_cbranch_execz .LBB228_125
; %bb.124:
	v_mov_b32_e32 v3, v12
	v_lshl_add_u64 v[4:5], v[2:3], 3, s[10:11]
	global_load_dwordx2 v[10:11], v[4:5], off
	v_or_b32_e32 v1, 0x100, v0
.LBB228_125:
	s_or_b64 exec, exec, s[2:3]
	v_cmp_gt_i32_e32 vcc, s24, v1
	s_and_saveexec_b64 s[2:3], vcc
	s_cbranch_execz .LBB228_127
; %bb.126:
	v_add_u32_e32 v4, s6, v1
	v_mov_b32_e32 v5, 0
	v_lshl_add_u64 v[4:5], v[4:5], 3, s[10:11]
	global_load_dwordx2 v[12:13], v[4:5], off
	v_add_u32_e32 v1, 0x100, v1
.LBB228_127:
	s_or_b64 exec, exec, s[2:3]
	v_mov_b32_e32 v4, 0
	v_mov_b32_e32 v5, v4
	v_cmp_gt_i32_e32 vcc, s24, v1
	v_mov_b64_e32 v[8:9], v[4:5]
	s_and_saveexec_b64 s[2:3], vcc
	s_cbranch_execz .LBB228_129
; %bb.128:
	v_add_u32_e32 v6, s6, v1
	v_mov_b32_e32 v7, v4
	v_lshl_add_u64 v[6:7], v[6:7], 3, s[10:11]
	global_load_dwordx2 v[8:9], v[6:7], off
	v_add_u32_e32 v1, 0x100, v1
.LBB228_129:
	s_or_b64 exec, exec, s[2:3]
	v_cmp_gt_i32_e32 vcc, s24, v1
	s_and_saveexec_b64 s[2:3], vcc
	s_cbranch_execz .LBB228_131
; %bb.130:
	v_add_u32_e32 v4, s6, v1
	v_mov_b32_e32 v5, 0
	v_lshl_add_u64 v[4:5], v[4:5], 3, s[10:11]
	global_load_dwordx2 v[4:5], v[4:5], off
.LBB228_131:
	s_or_b64 exec, exec, s[2:3]
	v_mov_b32_e32 v7, 0
	v_mov_b32_e32 v6, 0
	s_and_saveexec_b64 s[10:11], s[0:1]
	s_cbranch_execz .LBB228_163
; %bb.132:
	s_waitcnt vmcnt(0)
	v_cmp_neq_f32_e32 vcc, 0, v10
	v_cmp_neq_f32_e64 s[2:3], 0, v11
	v_mov_b32_e32 v6, 0
	s_or_b64 s[2:3], vcc, s[2:3]
	s_and_saveexec_b64 s[12:13], s[2:3]
	s_cbranch_execz .LBB228_162
; %bb.133:
	v_mov_b32_e32 v6, 0x7f800000
	v_cmp_neq_f32_e64 s[2:3], |v11|, v6
	s_and_saveexec_b64 s[14:15], s[2:3]
	s_cbranch_execz .LBB228_161
; %bb.134:
	v_cmp_o_f32_e32 vcc, v10, v10
                                        ; implicit-def: $vgpr6
	s_and_saveexec_b64 s[2:3], vcc
	s_xor_b64 s[16:17], exec, s[2:3]
	s_cbranch_execz .LBB228_158
; %bb.135:
	s_mov_b32 s2, 0x7f800000
	v_cmp_neq_f32_e64 s[2:3], |v10|, s2
                                        ; implicit-def: $vgpr6
	s_and_saveexec_b64 s[4:5], s[2:3]
	s_xor_b64 s[18:19], exec, s[4:5]
	s_cbranch_execz .LBB228_151
; %bb.136:
	v_max_f32_e64 v1, |v10|, |v10|
	v_max_f32_e64 v3, |v11|, |v11|
	v_max_f32_e32 v1, v3, v1
	s_mov_b32 s2, 0x7ed413cb
	v_cmp_nle_f32_e64 s[2:3], s2, v1
                                        ; implicit-def: $sgpr20_sgpr21
	s_and_saveexec_b64 s[4:5], s[2:3]
	s_xor_b64 s[4:5], exec, s[4:5]
	s_cbranch_execz .LBB228_140
; %bb.137:
	s_mov_b32 s7, 0x1000000
	v_cmp_le_f32_e64 s[20:21], |v10|, s7
	v_cmp_le_f32_e64 s[22:23], |v11|, s7
	s_and_b64 s[26:27], s[22:23], s[20:21]
	s_mov_b64 s[20:21], 0
	s_and_saveexec_b64 s[22:23], s[26:27]
; %bb.138:
	s_mov_b64 s[20:21], exec
	v_pk_mul_f32 v[10:11], v[10:11], 4.0 op_sel_hi:[1,0]
; %bb.139:
	s_or_b64 exec, exec, s[22:23]
.LBB228_140:
	s_andn2_saveexec_b64 s[4:5], s[4:5]
; %bb.141:
	s_mov_b32 s22, 0x3e800000
	v_pk_mul_f32 v[10:11], v[10:11], s[22:23] op_sel_hi:[1,0]
	s_andn2_b64 s[20:21], s[20:21], exec
; %bb.142:
	s_or_b64 exec, exec, s[4:5]
	v_max_f32_e64 v1, |v11|, |v11|
	v_max_f32_e64 v3, |v10|, |v10|
	v_max_f32_e32 v1, v3, v1
	v_cvt_f64_f32_e32 v[6:7], v1
	v_frexp_exp_i32_f64_e32 v3, v[6:7]
	v_sub_u32_e32 v6, 0, v3
	v_ldexp_f32 v7, |v10|, v6
	v_ldexp_f32 v6, |v11|, v6
	v_mul_f32_e32 v6, v6, v6
	v_fmac_f32_e32 v6, v7, v7
	v_sqrt_f32_e32 v6, v6
	s_mov_b32 s4, 0x7f800000
	v_cmp_neq_f32_e64 s[4:5], s4, v1
	v_cmp_le_f32_e32 vcc, 0, v10
	v_ldexp_f32 v3, v6, v3
	v_mov_b32_e32 v6, 0x7f800000
	v_cndmask_b32_e64 v1, v6, v3, s[4:5]
                                        ; implicit-def: $vgpr14_vgpr15
	s_and_saveexec_b64 s[4:5], vcc
	s_xor_b64 s[22:23], exec, s[4:5]
	s_cbranch_execz .LBB228_144
; %bb.143:
	v_add_f32_e32 v1, v10, v1
	v_mul_f32_e32 v1, 0.5, v1
	s_mov_b32 s4, 0xf800000
	v_mul_f32_e32 v3, 0x4f800000, v1
	v_cmp_gt_f32_e32 vcc, s4, v1
	s_nop 1
	v_cndmask_b32_e32 v1, v1, v3, vcc
	v_sqrt_f32_e32 v3, v1
	s_nop 0
	v_add_u32_e32 v6, -1, v3
	v_fma_f32 v7, -v6, v3, v1
	v_cmp_ge_f32_e64 s[4:5], 0, v7
	v_add_u32_e32 v7, 1, v3
	s_nop 0
	v_cndmask_b32_e64 v6, v3, v6, s[4:5]
	v_fma_f32 v3, -v7, v3, v1
	v_cmp_lt_f32_e64 s[4:5], 0, v3
	s_nop 1
	v_cndmask_b32_e64 v3, v6, v7, s[4:5]
	v_mul_f32_e32 v6, 0x37800000, v3
	v_cndmask_b32_e32 v3, v3, v6, vcc
	v_mov_b32_e32 v6, 0x260
	v_cmp_class_f32_e32 vcc, v1, v6
	s_nop 1
	v_cndmask_b32_e32 v14, v3, v1, vcc
	v_add_f32_e32 v1, v14, v14
	v_div_scale_f32 v3, s[4:5], v1, v1, v11
	v_rcp_f32_e32 v6, v3
	s_nop 0
	v_fma_f32 v7, -v3, v6, 1.0
	v_fmac_f32_e32 v6, v7, v6
	v_div_scale_f32 v7, vcc, v11, v1, v11
	v_mul_f32_e32 v10, v7, v6
	v_fma_f32 v15, -v3, v10, v7
	v_fmac_f32_e32 v10, v15, v6
	v_fma_f32 v3, -v3, v10, v7
	v_div_fmas_f32 v3, v3, v6, v10
	v_div_fixup_f32 v15, v3, v1, v11
                                        ; implicit-def: $vgpr1
                                        ; implicit-def: $vgpr10_vgpr11
	s_andn2_saveexec_b64 s[22:23], s[22:23]
	s_cbranch_execz .LBB228_146
	s_branch .LBB228_145
.LBB228_144:
	s_andn2_saveexec_b64 s[22:23], s[22:23]
	s_cbranch_execz .LBB228_146
.LBB228_145:
	v_sub_f32_e32 v1, v1, v10
	v_mul_f32_e32 v1, 0.5, v1
	s_mov_b32 s4, 0xf800000
	v_mul_f32_e32 v3, 0x4f800000, v1
	v_cmp_gt_f32_e32 vcc, s4, v1
	s_nop 1
	v_cndmask_b32_e32 v1, v1, v3, vcc
	v_sqrt_f32_e32 v3, v1
	s_nop 0
	v_add_u32_e32 v6, -1, v3
	v_fma_f32 v7, -v6, v3, v1
	v_cmp_ge_f32_e64 s[4:5], 0, v7
	v_add_u32_e32 v7, 1, v3
	s_nop 0
	v_cndmask_b32_e64 v6, v3, v6, s[4:5]
	v_fma_f32 v3, -v7, v3, v1
	v_cmp_lt_f32_e64 s[4:5], 0, v3
	s_nop 1
	v_cndmask_b32_e64 v3, v6, v7, s[4:5]
	v_mul_f32_e32 v6, 0x37800000, v3
	v_cndmask_b32_e32 v3, v3, v6, vcc
	v_mov_b32_e32 v6, 0x260
	v_cmp_class_f32_e32 vcc, v1, v6
	v_and_b32_e32 v6, 0x7fffffff, v11
	s_nop 0
	v_cndmask_b32_e32 v1, v3, v1, vcc
	v_add_f32_e32 v3, v1, v1
	v_div_scale_f32 v7, s[4:5], v3, v3, v6
	v_rcp_f32_e32 v10, v7
	v_div_scale_f32 v6, vcc, v6, v3, v6
	s_brev_b32 s4, -2
	v_fma_f32 v14, -v7, v10, 1.0
	v_fmac_f32_e32 v10, v14, v10
	v_mul_f32_e32 v14, v6, v10
	v_fma_f32 v15, -v7, v14, v6
	v_fmac_f32_e32 v14, v15, v10
	v_fma_f32 v6, -v7, v14, v6
	v_div_fmas_f32 v6, v6, v10, v14
	v_div_fixup_f32 v14, v6, v3, |v11|
	v_bfi_b32 v15, s4, v1, v11
.LBB228_146:
	s_or_b64 exec, exec, s[22:23]
                                        ; implicit-def: $vgpr11
                                        ; implicit-def: $vgpr6
	s_and_saveexec_b64 s[4:5], s[2:3]
	s_xor_b64 s[2:3], exec, s[4:5]
	s_cbranch_execz .LBB228_148
; %bb.147:
	v_pk_mul_f32 v[6:7], v[14:15], 0.5 op_sel_hi:[1,0]
	s_nop 0
	v_cndmask_b32_e64 v6, v14, v6, s[20:21]
	v_cndmask_b32_e64 v11, v15, v7, s[20:21]
                                        ; implicit-def: $vgpr14_vgpr15
	s_andn2_saveexec_b64 s[2:3], s[2:3]
	s_cbranch_execnz .LBB228_149
	s_branch .LBB228_150
.LBB228_148:
	s_andn2_saveexec_b64 s[2:3], s[2:3]
.LBB228_149:
	v_pk_add_f32 v[10:11], v[14:15], v[14:15]
	s_nop 0
	v_mov_b32_e32 v6, v10
.LBB228_150:
	s_or_b64 exec, exec, s[2:3]
.LBB228_151:
	s_andn2_saveexec_b64 s[2:3], s[18:19]
	s_cbranch_execz .LBB228_157
; %bb.152:
	v_sub_f32_e32 v1, v11, v11
	v_cmp_lt_i32_e32 vcc, -1, v10
	s_brev_b32 s7, -2
	v_and_b32_e32 v6, 0x7fffffff, v1
	s_and_saveexec_b64 s[4:5], vcc
	s_xor_b64 s[4:5], exec, s[4:5]
; %bb.153:
	v_bfi_b32 v11, s7, v1, v11
	v_mov_b32_e32 v6, v10
; %bb.154:
	s_andn2_saveexec_b64 s[4:5], s[4:5]
; %bb.155:
	v_bfi_b32 v11, s7, v10, v11
; %bb.156:
	s_or_b64 exec, exec, s[4:5]
.LBB228_157:
	s_or_b64 exec, exec, s[2:3]
.LBB228_158:
	s_andn2_saveexec_b64 s[2:3], s[16:17]
	s_cbranch_execz .LBB228_160
; %bb.159:
	v_sub_f32_e32 v1, v11, v11
	v_div_scale_f32 v3, vcc, v1, v1, v1
	v_rcp_f32_e32 v6, v3
	s_nop 0
	v_fma_f32 v7, -v3, v6, 1.0
	v_fmac_f32_e32 v6, v7, v6
	v_mul_f32_e32 v7, v3, v6
	v_fma_f32 v11, -v3, v7, v3
	v_fmac_f32_e32 v7, v11, v6
	v_fma_f32 v3, -v3, v7, v3
	v_div_fmas_f32 v3, v3, v6, v7
	v_div_fixup_f32 v11, v3, v1, v1
	v_mov_b32_e32 v6, v10
.LBB228_160:
	s_or_b64 exec, exec, s[2:3]
.LBB228_161:
	s_or_b64 exec, exec, s[14:15]
.LBB228_162:
	s_or_b64 exec, exec, s[12:13]
	v_mov_b32_e32 v7, v11
.LBB228_163:
	s_or_b64 exec, exec, s[10:11]
	v_or_b32_e32 v1, 0x100, v0
	v_cmp_gt_i32_e32 vcc, s24, v1
	s_waitcnt vmcnt(0)
	v_mov_b32_e32 v11, 0
	v_mov_b32_e32 v10, 0
	s_and_saveexec_b64 s[10:11], vcc
	s_cbranch_execz .LBB228_195
; %bb.164:
	v_cmp_neq_f32_e32 vcc, 0, v12
	v_cmp_neq_f32_e64 s[2:3], 0, v13
	v_mov_b32_e32 v10, 0
	s_or_b64 s[2:3], vcc, s[2:3]
	s_and_saveexec_b64 s[12:13], s[2:3]
	s_cbranch_execz .LBB228_194
; %bb.165:
	v_mov_b32_e32 v10, 0x7f800000
	v_cmp_neq_f32_e64 s[2:3], |v13|, v10
	s_and_saveexec_b64 s[14:15], s[2:3]
	s_cbranch_execz .LBB228_193
; %bb.166:
	v_cmp_o_f32_e32 vcc, v12, v12
                                        ; implicit-def: $vgpr10
	s_and_saveexec_b64 s[2:3], vcc
	s_xor_b64 s[16:17], exec, s[2:3]
	s_cbranch_execz .LBB228_190
; %bb.167:
	s_mov_b32 s2, 0x7f800000
	v_cmp_neq_f32_e64 s[2:3], |v12|, s2
                                        ; implicit-def: $vgpr10
	s_and_saveexec_b64 s[4:5], s[2:3]
	s_xor_b64 s[18:19], exec, s[4:5]
	s_cbranch_execz .LBB228_183
; %bb.168:
	v_max_f32_e64 v3, |v12|, |v12|
	v_max_f32_e64 v10, |v13|, |v13|
	v_max_f32_e32 v3, v10, v3
	s_mov_b32 s2, 0x7ed413cb
	v_cmp_nle_f32_e64 s[2:3], s2, v3
                                        ; implicit-def: $sgpr20_sgpr21
	s_and_saveexec_b64 s[4:5], s[2:3]
	s_xor_b64 s[4:5], exec, s[4:5]
	s_cbranch_execz .LBB228_172
; %bb.169:
	s_mov_b32 s7, 0x1000000
	v_cmp_le_f32_e64 s[20:21], |v12|, s7
	v_cmp_le_f32_e64 s[22:23], |v13|, s7
	s_and_b64 s[26:27], s[22:23], s[20:21]
	s_mov_b64 s[20:21], 0
	s_and_saveexec_b64 s[22:23], s[26:27]
; %bb.170:
	s_mov_b64 s[20:21], exec
	v_pk_mul_f32 v[12:13], v[12:13], 4.0 op_sel_hi:[1,0]
; %bb.171:
	s_or_b64 exec, exec, s[22:23]
.LBB228_172:
	s_andn2_saveexec_b64 s[4:5], s[4:5]
; %bb.173:
	s_mov_b32 s22, 0x3e800000
	v_pk_mul_f32 v[12:13], v[12:13], s[22:23] op_sel_hi:[1,0]
	s_andn2_b64 s[20:21], s[20:21], exec
; %bb.174:
	s_or_b64 exec, exec, s[4:5]
	v_max_f32_e64 v3, |v13|, |v13|
	v_max_f32_e64 v10, |v12|, |v12|
	v_max_f32_e32 v3, v10, v3
	v_cvt_f64_f32_e32 v[10:11], v3
	v_frexp_exp_i32_f64_e32 v10, v[10:11]
	v_sub_u32_e32 v11, 0, v10
	v_ldexp_f32 v14, |v12|, v11
	v_ldexp_f32 v11, |v13|, v11
	v_mul_f32_e32 v11, v11, v11
	v_fmac_f32_e32 v11, v14, v14
	v_sqrt_f32_e32 v11, v11
	s_mov_b32 s4, 0x7f800000
	v_cmp_neq_f32_e64 s[4:5], s4, v3
	v_cmp_le_f32_e32 vcc, 0, v12
	v_ldexp_f32 v10, v11, v10
	v_mov_b32_e32 v11, 0x7f800000
	v_cndmask_b32_e64 v3, v11, v10, s[4:5]
                                        ; implicit-def: $vgpr14_vgpr15
	s_and_saveexec_b64 s[4:5], vcc
	s_xor_b64 s[22:23], exec, s[4:5]
	s_cbranch_execz .LBB228_176
; %bb.175:
	v_add_f32_e32 v3, v12, v3
	v_mul_f32_e32 v3, 0.5, v3
	s_mov_b32 s4, 0xf800000
	v_mul_f32_e32 v10, 0x4f800000, v3
	v_cmp_gt_f32_e32 vcc, s4, v3
	s_nop 1
	v_cndmask_b32_e32 v3, v3, v10, vcc
	v_sqrt_f32_e32 v10, v3
	s_nop 0
	v_add_u32_e32 v11, -1, v10
	v_fma_f32 v12, -v11, v10, v3
	v_cmp_ge_f32_e64 s[4:5], 0, v12
	v_add_u32_e32 v12, 1, v10
	s_nop 0
	v_cndmask_b32_e64 v11, v10, v11, s[4:5]
	v_fma_f32 v10, -v12, v10, v3
	v_cmp_lt_f32_e64 s[4:5], 0, v10
	s_nop 1
	v_cndmask_b32_e64 v10, v11, v12, s[4:5]
	v_mul_f32_e32 v11, 0x37800000, v10
	v_cndmask_b32_e32 v10, v10, v11, vcc
	v_mov_b32_e32 v11, 0x260
	v_cmp_class_f32_e32 vcc, v3, v11
	s_nop 1
	v_cndmask_b32_e32 v14, v10, v3, vcc
	v_add_f32_e32 v3, v14, v14
	v_div_scale_f32 v10, s[4:5], v3, v3, v13
	v_rcp_f32_e32 v11, v10
	s_nop 0
	v_fma_f32 v12, -v10, v11, 1.0
	v_fmac_f32_e32 v11, v12, v11
	v_div_scale_f32 v12, vcc, v13, v3, v13
	v_mul_f32_e32 v15, v12, v11
	v_fma_f32 v16, -v10, v15, v12
	v_fmac_f32_e32 v15, v16, v11
	v_fma_f32 v10, -v10, v15, v12
	v_div_fmas_f32 v10, v10, v11, v15
	v_div_fixup_f32 v15, v10, v3, v13
                                        ; implicit-def: $vgpr3
                                        ; implicit-def: $vgpr12_vgpr13
	s_andn2_saveexec_b64 s[22:23], s[22:23]
	s_cbranch_execz .LBB228_178
	s_branch .LBB228_177
.LBB228_176:
	s_andn2_saveexec_b64 s[22:23], s[22:23]
	s_cbranch_execz .LBB228_178
.LBB228_177:
	v_sub_f32_e32 v3, v3, v12
	v_mul_f32_e32 v3, 0.5, v3
	s_mov_b32 s4, 0xf800000
	v_mul_f32_e32 v10, 0x4f800000, v3
	v_cmp_gt_f32_e32 vcc, s4, v3
	s_nop 1
	v_cndmask_b32_e32 v3, v3, v10, vcc
	v_sqrt_f32_e32 v10, v3
	s_nop 0
	v_add_u32_e32 v11, -1, v10
	v_fma_f32 v12, -v11, v10, v3
	v_cmp_ge_f32_e64 s[4:5], 0, v12
	v_add_u32_e32 v12, 1, v10
	s_nop 0
	v_cndmask_b32_e64 v11, v10, v11, s[4:5]
	v_fma_f32 v10, -v12, v10, v3
	v_cmp_lt_f32_e64 s[4:5], 0, v10
	s_nop 1
	v_cndmask_b32_e64 v10, v11, v12, s[4:5]
	v_mul_f32_e32 v11, 0x37800000, v10
	v_cndmask_b32_e32 v10, v10, v11, vcc
	v_mov_b32_e32 v11, 0x260
	v_cmp_class_f32_e32 vcc, v3, v11
	v_and_b32_e32 v11, 0x7fffffff, v13
	s_nop 0
	v_cndmask_b32_e32 v3, v10, v3, vcc
	v_add_f32_e32 v10, v3, v3
	v_div_scale_f32 v12, s[4:5], v10, v10, v11
	v_rcp_f32_e32 v14, v12
	v_div_scale_f32 v11, vcc, v11, v10, v11
	s_brev_b32 s4, -2
	v_fma_f32 v15, -v12, v14, 1.0
	v_fmac_f32_e32 v14, v15, v14
	v_mul_f32_e32 v15, v11, v14
	v_fma_f32 v16, -v12, v15, v11
	v_fmac_f32_e32 v15, v16, v14
	v_fma_f32 v11, -v12, v15, v11
	v_div_fmas_f32 v11, v11, v14, v15
	v_div_fixup_f32 v14, v11, v10, |v13|
	v_bfi_b32 v15, s4, v3, v13
.LBB228_178:
	s_or_b64 exec, exec, s[22:23]
                                        ; implicit-def: $vgpr13
                                        ; implicit-def: $vgpr10
	s_and_saveexec_b64 s[4:5], s[2:3]
	s_xor_b64 s[2:3], exec, s[4:5]
	s_cbranch_execz .LBB228_180
; %bb.179:
	v_pk_mul_f32 v[10:11], v[14:15], 0.5 op_sel_hi:[1,0]
	s_nop 0
	v_cndmask_b32_e64 v10, v14, v10, s[20:21]
	v_cndmask_b32_e64 v13, v15, v11, s[20:21]
                                        ; implicit-def: $vgpr14_vgpr15
	s_andn2_saveexec_b64 s[2:3], s[2:3]
	s_cbranch_execnz .LBB228_181
	s_branch .LBB228_182
.LBB228_180:
	s_andn2_saveexec_b64 s[2:3], s[2:3]
.LBB228_181:
	v_pk_add_f32 v[12:13], v[14:15], v[14:15]
	s_nop 0
	v_mov_b32_e32 v10, v12
.LBB228_182:
	s_or_b64 exec, exec, s[2:3]
.LBB228_183:
	s_andn2_saveexec_b64 s[2:3], s[18:19]
	s_cbranch_execz .LBB228_189
; %bb.184:
	v_sub_f32_e32 v3, v13, v13
	v_cmp_lt_i32_e32 vcc, -1, v12
	s_brev_b32 s7, -2
	v_and_b32_e32 v10, 0x7fffffff, v3
	s_and_saveexec_b64 s[4:5], vcc
	s_xor_b64 s[4:5], exec, s[4:5]
; %bb.185:
	v_bfi_b32 v13, s7, v3, v13
	v_mov_b32_e32 v10, v12
; %bb.186:
	s_andn2_saveexec_b64 s[4:5], s[4:5]
; %bb.187:
	v_bfi_b32 v13, s7, v12, v13
; %bb.188:
	s_or_b64 exec, exec, s[4:5]
.LBB228_189:
	s_or_b64 exec, exec, s[2:3]
.LBB228_190:
	s_andn2_saveexec_b64 s[2:3], s[16:17]
	s_cbranch_execz .LBB228_192
; %bb.191:
	v_sub_f32_e32 v3, v13, v13
	v_div_scale_f32 v10, vcc, v3, v3, v3
	v_rcp_f32_e32 v11, v10
	s_nop 0
	v_fma_f32 v13, -v10, v11, 1.0
	v_fmac_f32_e32 v11, v13, v11
	v_mul_f32_e32 v13, v10, v11
	v_fma_f32 v14, -v10, v13, v10
	v_fmac_f32_e32 v13, v14, v11
	v_fma_f32 v10, -v10, v13, v10
	v_div_fmas_f32 v10, v10, v11, v13
	v_div_fixup_f32 v13, v10, v3, v3
	v_mov_b32_e32 v10, v12
.LBB228_192:
	s_or_b64 exec, exec, s[2:3]
.LBB228_193:
	s_or_b64 exec, exec, s[14:15]
.LBB228_194:
	s_or_b64 exec, exec, s[12:13]
	v_mov_b32_e32 v11, v13
.LBB228_195:
	s_or_b64 exec, exec, s[10:11]
	v_or_b32_e32 v3, 0x200, v0
	v_cmp_gt_i32_e32 vcc, s24, v3
	v_mov_b32_e32 v13, 0
	v_mov_b32_e32 v12, 0
	s_and_saveexec_b64 s[10:11], vcc
	s_cbranch_execz .LBB228_227
; %bb.196:
	v_cmp_neq_f32_e32 vcc, 0, v8
	v_cmp_neq_f32_e64 s[2:3], 0, v9
	v_mov_b32_e32 v12, 0
	s_or_b64 s[2:3], vcc, s[2:3]
	s_and_saveexec_b64 s[12:13], s[2:3]
	s_cbranch_execz .LBB228_226
; %bb.197:
	v_mov_b32_e32 v12, 0x7f800000
	v_cmp_neq_f32_e64 s[2:3], |v9|, v12
	s_and_saveexec_b64 s[14:15], s[2:3]
	s_cbranch_execz .LBB228_225
; %bb.198:
	v_cmp_o_f32_e32 vcc, v8, v8
                                        ; implicit-def: $vgpr12
	s_and_saveexec_b64 s[2:3], vcc
	s_xor_b64 s[16:17], exec, s[2:3]
	s_cbranch_execz .LBB228_222
; %bb.199:
	s_mov_b32 s2, 0x7f800000
	v_cmp_neq_f32_e64 s[2:3], |v8|, s2
                                        ; implicit-def: $vgpr12
	s_and_saveexec_b64 s[4:5], s[2:3]
	s_xor_b64 s[18:19], exec, s[4:5]
	s_cbranch_execz .LBB228_215
; %bb.200:
	v_max_f32_e64 v3, |v8|, |v8|
	v_max_f32_e64 v12, |v9|, |v9|
	v_max_f32_e32 v3, v12, v3
	s_mov_b32 s2, 0x7ed413cb
	v_cmp_nle_f32_e64 s[2:3], s2, v3
                                        ; implicit-def: $sgpr20_sgpr21
	s_and_saveexec_b64 s[4:5], s[2:3]
	s_xor_b64 s[4:5], exec, s[4:5]
	s_cbranch_execz .LBB228_204
; %bb.201:
	s_mov_b32 s7, 0x1000000
	v_cmp_le_f32_e64 s[20:21], |v8|, s7
	v_cmp_le_f32_e64 s[22:23], |v9|, s7
	s_and_b64 s[26:27], s[22:23], s[20:21]
	s_mov_b64 s[20:21], 0
	s_and_saveexec_b64 s[22:23], s[26:27]
; %bb.202:
	s_mov_b64 s[20:21], exec
	v_pk_mul_f32 v[8:9], v[8:9], 4.0 op_sel_hi:[1,0]
; %bb.203:
	s_or_b64 exec, exec, s[22:23]
.LBB228_204:
	s_andn2_saveexec_b64 s[4:5], s[4:5]
; %bb.205:
	s_mov_b32 s22, 0x3e800000
	v_pk_mul_f32 v[8:9], v[8:9], s[22:23] op_sel_hi:[1,0]
	s_andn2_b64 s[20:21], s[20:21], exec
; %bb.206:
	s_or_b64 exec, exec, s[4:5]
	v_max_f32_e64 v3, |v9|, |v9|
	v_max_f32_e64 v12, |v8|, |v8|
	v_max_f32_e32 v3, v12, v3
	v_cvt_f64_f32_e32 v[12:13], v3
	v_frexp_exp_i32_f64_e32 v12, v[12:13]
	v_sub_u32_e32 v13, 0, v12
	v_ldexp_f32 v14, |v8|, v13
	v_ldexp_f32 v13, |v9|, v13
	v_mul_f32_e32 v13, v13, v13
	v_fmac_f32_e32 v13, v14, v14
	v_sqrt_f32_e32 v13, v13
	s_mov_b32 s4, 0x7f800000
	v_cmp_neq_f32_e64 s[4:5], s4, v3
	v_cmp_le_f32_e32 vcc, 0, v8
	v_ldexp_f32 v12, v13, v12
	v_mov_b32_e32 v13, 0x7f800000
	v_cndmask_b32_e64 v3, v13, v12, s[4:5]
                                        ; implicit-def: $vgpr14_vgpr15
	s_and_saveexec_b64 s[4:5], vcc
	s_xor_b64 s[22:23], exec, s[4:5]
	s_cbranch_execz .LBB228_208
; %bb.207:
	v_add_f32_e32 v3, v8, v3
	v_mul_f32_e32 v3, 0.5, v3
	s_mov_b32 s4, 0xf800000
	v_mul_f32_e32 v8, 0x4f800000, v3
	v_cmp_gt_f32_e32 vcc, s4, v3
	s_nop 1
	v_cndmask_b32_e32 v3, v3, v8, vcc
	v_sqrt_f32_e32 v8, v3
	s_nop 0
	v_add_u32_e32 v12, -1, v8
	v_fma_f32 v13, -v12, v8, v3
	v_cmp_ge_f32_e64 s[4:5], 0, v13
	v_add_u32_e32 v13, 1, v8
	s_nop 0
	v_cndmask_b32_e64 v12, v8, v12, s[4:5]
	v_fma_f32 v8, -v13, v8, v3
	v_cmp_lt_f32_e64 s[4:5], 0, v8
	s_nop 1
	v_cndmask_b32_e64 v8, v12, v13, s[4:5]
	v_mul_f32_e32 v12, 0x37800000, v8
	v_cndmask_b32_e32 v8, v8, v12, vcc
	v_mov_b32_e32 v12, 0x260
	v_cmp_class_f32_e32 vcc, v3, v12
	s_nop 1
	v_cndmask_b32_e32 v14, v8, v3, vcc
	v_add_f32_e32 v3, v14, v14
	v_div_scale_f32 v8, s[4:5], v3, v3, v9
	v_rcp_f32_e32 v12, v8
	s_nop 0
	v_fma_f32 v13, -v8, v12, 1.0
	v_fmac_f32_e32 v12, v13, v12
	v_div_scale_f32 v13, vcc, v9, v3, v9
	v_mul_f32_e32 v15, v13, v12
	v_fma_f32 v16, -v8, v15, v13
	v_fmac_f32_e32 v15, v16, v12
	v_fma_f32 v8, -v8, v15, v13
	v_div_fmas_f32 v8, v8, v12, v15
	v_div_fixup_f32 v15, v8, v3, v9
                                        ; implicit-def: $vgpr3
                                        ; implicit-def: $vgpr8_vgpr9
	s_andn2_saveexec_b64 s[22:23], s[22:23]
	s_cbranch_execz .LBB228_210
	s_branch .LBB228_209
.LBB228_208:
	s_andn2_saveexec_b64 s[22:23], s[22:23]
	s_cbranch_execz .LBB228_210
.LBB228_209:
	v_sub_f32_e32 v3, v3, v8
	v_mul_f32_e32 v3, 0.5, v3
	s_mov_b32 s4, 0xf800000
	v_mul_f32_e32 v8, 0x4f800000, v3
	v_cmp_gt_f32_e32 vcc, s4, v3
	s_nop 1
	v_cndmask_b32_e32 v3, v3, v8, vcc
	v_sqrt_f32_e32 v8, v3
	s_nop 0
	v_add_u32_e32 v12, -1, v8
	v_fma_f32 v13, -v12, v8, v3
	v_cmp_ge_f32_e64 s[4:5], 0, v13
	v_add_u32_e32 v13, 1, v8
	s_nop 0
	v_cndmask_b32_e64 v12, v8, v12, s[4:5]
	v_fma_f32 v8, -v13, v8, v3
	v_cmp_lt_f32_e64 s[4:5], 0, v8
	s_nop 1
	v_cndmask_b32_e64 v8, v12, v13, s[4:5]
	v_mul_f32_e32 v12, 0x37800000, v8
	v_cndmask_b32_e32 v8, v8, v12, vcc
	v_mov_b32_e32 v12, 0x260
	v_cmp_class_f32_e32 vcc, v3, v12
	v_and_b32_e32 v12, 0x7fffffff, v9
	s_nop 0
	v_cndmask_b32_e32 v3, v8, v3, vcc
	v_add_f32_e32 v8, v3, v3
	v_div_scale_f32 v13, s[4:5], v8, v8, v12
	v_rcp_f32_e32 v14, v13
	v_div_scale_f32 v12, vcc, v12, v8, v12
	s_brev_b32 s4, -2
	v_fma_f32 v15, -v13, v14, 1.0
	v_fmac_f32_e32 v14, v15, v14
	v_mul_f32_e32 v15, v12, v14
	v_fma_f32 v16, -v13, v15, v12
	v_fmac_f32_e32 v15, v16, v14
	v_fma_f32 v12, -v13, v15, v12
	v_div_fmas_f32 v12, v12, v14, v15
	v_div_fixup_f32 v14, v12, v8, |v9|
	v_bfi_b32 v15, s4, v3, v9
.LBB228_210:
	s_or_b64 exec, exec, s[22:23]
                                        ; implicit-def: $vgpr9
                                        ; implicit-def: $vgpr12
	s_and_saveexec_b64 s[4:5], s[2:3]
	s_xor_b64 s[2:3], exec, s[4:5]
	s_cbranch_execz .LBB228_212
; %bb.211:
	v_pk_mul_f32 v[8:9], v[14:15], 0.5 op_sel_hi:[1,0]
	s_nop 0
	v_cndmask_b32_e64 v12, v14, v8, s[20:21]
	v_cndmask_b32_e64 v9, v15, v9, s[20:21]
                                        ; implicit-def: $vgpr14_vgpr15
	s_andn2_saveexec_b64 s[2:3], s[2:3]
	s_cbranch_execnz .LBB228_213
	s_branch .LBB228_214
.LBB228_212:
	s_andn2_saveexec_b64 s[2:3], s[2:3]
.LBB228_213:
	v_pk_add_f32 v[8:9], v[14:15], v[14:15]
	s_nop 0
	v_mov_b32_e32 v12, v8
.LBB228_214:
	s_or_b64 exec, exec, s[2:3]
.LBB228_215:
	s_andn2_saveexec_b64 s[2:3], s[18:19]
	s_cbranch_execz .LBB228_221
; %bb.216:
	v_sub_f32_e32 v3, v9, v9
	v_cmp_lt_i32_e32 vcc, -1, v8
	s_brev_b32 s7, -2
	v_and_b32_e32 v12, 0x7fffffff, v3
	s_and_saveexec_b64 s[4:5], vcc
	s_xor_b64 s[4:5], exec, s[4:5]
; %bb.217:
	v_bfi_b32 v9, s7, v3, v9
	v_mov_b32_e32 v12, v8
; %bb.218:
	s_andn2_saveexec_b64 s[4:5], s[4:5]
; %bb.219:
	v_bfi_b32 v9, s7, v8, v9
; %bb.220:
	s_or_b64 exec, exec, s[4:5]
.LBB228_221:
	s_or_b64 exec, exec, s[2:3]
.LBB228_222:
	s_andn2_saveexec_b64 s[2:3], s[16:17]
	s_cbranch_execz .LBB228_224
; %bb.223:
	v_sub_f32_e32 v3, v9, v9
	v_div_scale_f32 v9, vcc, v3, v3, v3
	v_rcp_f32_e32 v12, v9
	s_nop 0
	v_fma_f32 v13, -v9, v12, 1.0
	v_fmac_f32_e32 v12, v13, v12
	v_mul_f32_e32 v13, v9, v12
	v_fma_f32 v14, -v9, v13, v9
	v_fmac_f32_e32 v13, v14, v12
	v_fma_f32 v9, -v9, v13, v9
	v_div_fmas_f32 v9, v9, v12, v13
	v_div_fixup_f32 v9, v9, v3, v3
	v_mov_b32_e32 v12, v8
.LBB228_224:
	s_or_b64 exec, exec, s[2:3]
.LBB228_225:
	s_or_b64 exec, exec, s[14:15]
.LBB228_226:
	s_or_b64 exec, exec, s[12:13]
	v_mov_b32_e32 v13, v9
.LBB228_227:
	s_or_b64 exec, exec, s[10:11]
	v_or_b32_e32 v3, 0x300, v0
	v_cmp_gt_i32_e32 vcc, s24, v3
	v_mov_b32_e32 v9, 0
	v_mov_b32_e32 v8, 0
	s_and_saveexec_b64 s[10:11], vcc
	s_cbranch_execz .LBB228_240
; %bb.228:
	v_cmp_neq_f32_e32 vcc, 0, v4
	v_cmp_neq_f32_e64 s[2:3], 0, v5
	v_mov_b32_e32 v8, 0
	s_or_b64 s[2:3], vcc, s[2:3]
	s_and_saveexec_b64 s[12:13], s[2:3]
	s_cbranch_execz .LBB228_262
; %bb.229:
	v_mov_b32_e32 v8, 0x7f800000
	v_cmp_neq_f32_e64 s[2:3], |v5|, v8
	s_and_saveexec_b64 s[14:15], s[2:3]
	s_cbranch_execz .LBB228_261
; %bb.230:
	v_cmp_o_f32_e32 vcc, v4, v4
                                        ; implicit-def: $vgpr8
	s_and_saveexec_b64 s[2:3], vcc
	s_xor_b64 s[16:17], exec, s[2:3]
	s_cbranch_execz .LBB228_258
; %bb.231:
	s_mov_b32 s2, 0x7f800000
	v_cmp_neq_f32_e64 s[2:3], |v4|, s2
                                        ; implicit-def: $vgpr8
	s_and_saveexec_b64 s[4:5], s[2:3]
	s_xor_b64 s[18:19], exec, s[4:5]
	s_cbranch_execz .LBB228_251
; %bb.232:
	v_max_f32_e64 v3, |v4|, |v4|
	v_max_f32_e64 v8, |v5|, |v5|
	v_max_f32_e32 v3, v8, v3
	s_mov_b32 s2, 0x7ed413cb
	v_cmp_nle_f32_e64 s[2:3], s2, v3
                                        ; implicit-def: $sgpr20_sgpr21
	s_and_saveexec_b64 s[4:5], s[2:3]
	s_xor_b64 s[4:5], exec, s[4:5]
	s_cbranch_execz .LBB228_236
; %bb.233:
	s_mov_b32 s7, 0x1000000
	v_cmp_le_f32_e64 s[20:21], |v4|, s7
	v_cmp_le_f32_e64 s[22:23], |v5|, s7
	s_and_b64 s[26:27], s[22:23], s[20:21]
	s_mov_b64 s[20:21], 0
	s_and_saveexec_b64 s[22:23], s[26:27]
; %bb.234:
	s_mov_b64 s[20:21], exec
	v_pk_mul_f32 v[4:5], v[4:5], 4.0 op_sel_hi:[1,0]
; %bb.235:
	s_or_b64 exec, exec, s[22:23]
.LBB228_236:
	s_andn2_saveexec_b64 s[4:5], s[4:5]
; %bb.237:
	s_mov_b32 s22, 0x3e800000
	v_pk_mul_f32 v[4:5], v[4:5], s[22:23] op_sel_hi:[1,0]
	s_andn2_b64 s[20:21], s[20:21], exec
; %bb.238:
	s_or_b64 exec, exec, s[4:5]
	v_max_f32_e64 v3, |v5|, |v5|
	v_max_f32_e64 v8, |v4|, |v4|
	v_max_f32_e32 v3, v8, v3
	v_cvt_f64_f32_e32 v[8:9], v3
	v_frexp_exp_i32_f64_e32 v8, v[8:9]
	v_sub_u32_e32 v9, 0, v8
	v_ldexp_f32 v14, |v4|, v9
	v_ldexp_f32 v9, |v5|, v9
	v_mul_f32_e32 v9, v9, v9
	v_fmac_f32_e32 v9, v14, v14
	v_sqrt_f32_e32 v9, v9
	s_mov_b32 s4, 0x7f800000
	v_cmp_neq_f32_e64 s[4:5], s4, v3
	v_cmp_le_f32_e32 vcc, 0, v4
	v_ldexp_f32 v8, v9, v8
	v_mov_b32_e32 v9, 0x7f800000
	v_cndmask_b32_e64 v3, v9, v8, s[4:5]
                                        ; implicit-def: $vgpr14_vgpr15
	s_and_saveexec_b64 s[4:5], vcc
	s_xor_b64 s[22:23], exec, s[4:5]
	s_cbranch_execz .LBB228_244
; %bb.239:
	v_add_f32_e32 v3, v4, v3
	v_mul_f32_e32 v3, 0.5, v3
	s_mov_b32 s4, 0xf800000
	v_mul_f32_e32 v4, 0x4f800000, v3
	v_cmp_gt_f32_e32 vcc, s4, v3
	s_nop 1
	v_cndmask_b32_e32 v3, v3, v4, vcc
	v_sqrt_f32_e32 v4, v3
	s_nop 0
	v_add_u32_e32 v8, -1, v4
	v_fma_f32 v9, -v8, v4, v3
	v_cmp_ge_f32_e64 s[4:5], 0, v9
	v_add_u32_e32 v9, 1, v4
	s_nop 0
	v_cndmask_b32_e64 v8, v4, v8, s[4:5]
	v_fma_f32 v4, -v9, v4, v3
	v_cmp_lt_f32_e64 s[4:5], 0, v4
	s_nop 1
	v_cndmask_b32_e64 v4, v8, v9, s[4:5]
	v_mul_f32_e32 v8, 0x37800000, v4
	v_cndmask_b32_e32 v4, v4, v8, vcc
	v_mov_b32_e32 v8, 0x260
	v_cmp_class_f32_e32 vcc, v3, v8
	s_nop 1
	v_cndmask_b32_e32 v14, v4, v3, vcc
	v_add_f32_e32 v3, v14, v14
	v_div_scale_f32 v4, s[4:5], v3, v3, v5
	v_rcp_f32_e32 v8, v4
	s_nop 0
	v_fma_f32 v9, -v4, v8, 1.0
	v_fmac_f32_e32 v8, v9, v8
	v_div_scale_f32 v9, vcc, v5, v3, v5
	v_mul_f32_e32 v15, v9, v8
	v_fma_f32 v16, -v4, v15, v9
	v_fmac_f32_e32 v15, v16, v8
	v_fma_f32 v4, -v4, v15, v9
	v_div_fmas_f32 v4, v4, v8, v15
	v_div_fixup_f32 v15, v4, v3, v5
                                        ; implicit-def: $vgpr3
                                        ; implicit-def: $vgpr4_vgpr5
	s_andn2_saveexec_b64 s[22:23], s[22:23]
	s_cbranch_execz .LBB228_246
	s_branch .LBB228_245
.LBB228_240:
	s_or_b64 exec, exec, s[10:11]
	s_and_saveexec_b64 s[2:3], s[0:1]
	s_xor_b64 s[0:1], exec, s[2:3]
	s_cbranch_execz .LBB228_263
.LBB228_241:
	v_mov_b32_e32 v3, 0
	v_lshl_add_u64 v[2:3], v[2:3], 3, s[8:9]
	v_mov_b32_e32 v0, v1
	global_store_dwordx2 v[2:3], v[6:7], off
	s_or_b64 exec, exec, s[0:1]
	v_cmp_gt_i32_e32 vcc, s24, v0
	s_and_saveexec_b64 s[0:1], vcc
	s_cbranch_execnz .LBB228_264
.LBB228_242:
	s_or_b64 exec, exec, s[0:1]
	v_cmp_gt_i32_e32 vcc, s24, v0
	s_and_saveexec_b64 s[0:1], vcc
	s_cbranch_execz .LBB228_265
.LBB228_243:
	v_add_u32_e32 v2, 0x100, v0
	v_add_u32_e32 v0, s6, v0
	v_mov_b32_e32 v1, 0
	v_lshl_add_u64 v[0:1], v[0:1], 3, s[8:9]
	global_store_dwordx2 v[0:1], v[12:13], off
	v_mov_b32_e32 v0, v2
	s_or_b64 exec, exec, s[0:1]
	v_cmp_gt_i32_e32 vcc, s24, v0
	s_and_saveexec_b64 s[0:1], vcc
	s_cbranch_execnz .LBB228_266
	s_branch .LBB228_267
.LBB228_244:
	s_andn2_saveexec_b64 s[22:23], s[22:23]
	s_cbranch_execz .LBB228_246
.LBB228_245:
	v_sub_f32_e32 v3, v3, v4
	v_mul_f32_e32 v3, 0.5, v3
	s_mov_b32 s4, 0xf800000
	v_mul_f32_e32 v4, 0x4f800000, v3
	v_cmp_gt_f32_e32 vcc, s4, v3
	s_nop 1
	v_cndmask_b32_e32 v3, v3, v4, vcc
	v_sqrt_f32_e32 v4, v3
	s_nop 0
	v_add_u32_e32 v8, -1, v4
	v_fma_f32 v9, -v8, v4, v3
	v_cmp_ge_f32_e64 s[4:5], 0, v9
	v_add_u32_e32 v9, 1, v4
	s_nop 0
	v_cndmask_b32_e64 v8, v4, v8, s[4:5]
	v_fma_f32 v4, -v9, v4, v3
	v_cmp_lt_f32_e64 s[4:5], 0, v4
	s_nop 1
	v_cndmask_b32_e64 v4, v8, v9, s[4:5]
	v_mul_f32_e32 v8, 0x37800000, v4
	v_cndmask_b32_e32 v4, v4, v8, vcc
	v_mov_b32_e32 v8, 0x260
	v_cmp_class_f32_e32 vcc, v3, v8
	v_and_b32_e32 v8, 0x7fffffff, v5
	s_nop 0
	v_cndmask_b32_e32 v3, v4, v3, vcc
	v_add_f32_e32 v4, v3, v3
	v_div_scale_f32 v9, s[4:5], v4, v4, v8
	v_rcp_f32_e32 v14, v9
	v_div_scale_f32 v8, vcc, v8, v4, v8
	s_brev_b32 s4, -2
	v_fma_f32 v15, -v9, v14, 1.0
	v_fmac_f32_e32 v14, v15, v14
	v_mul_f32_e32 v15, v8, v14
	v_fma_f32 v16, -v9, v15, v8
	v_fmac_f32_e32 v15, v16, v14
	v_fma_f32 v8, -v9, v15, v8
	v_div_fmas_f32 v8, v8, v14, v15
	v_div_fixup_f32 v14, v8, v4, |v5|
	v_bfi_b32 v15, s4, v3, v5
.LBB228_246:
	s_or_b64 exec, exec, s[22:23]
                                        ; implicit-def: $vgpr5
                                        ; implicit-def: $vgpr8
	s_and_saveexec_b64 s[4:5], s[2:3]
	s_xor_b64 s[2:3], exec, s[4:5]
	s_cbranch_execz .LBB228_248
; %bb.247:
	v_pk_mul_f32 v[4:5], v[14:15], 0.5 op_sel_hi:[1,0]
	s_nop 0
	v_cndmask_b32_e64 v8, v14, v4, s[20:21]
	v_cndmask_b32_e64 v5, v15, v5, s[20:21]
                                        ; implicit-def: $vgpr14_vgpr15
	s_andn2_saveexec_b64 s[2:3], s[2:3]
	s_cbranch_execnz .LBB228_249
	s_branch .LBB228_250
.LBB228_248:
	s_andn2_saveexec_b64 s[2:3], s[2:3]
.LBB228_249:
	v_pk_add_f32 v[4:5], v[14:15], v[14:15]
	s_nop 0
	v_mov_b32_e32 v8, v4
.LBB228_250:
	s_or_b64 exec, exec, s[2:3]
.LBB228_251:
	s_andn2_saveexec_b64 s[2:3], s[18:19]
	s_cbranch_execz .LBB228_257
; %bb.252:
	v_sub_f32_e32 v3, v5, v5
	v_cmp_lt_i32_e32 vcc, -1, v4
	s_brev_b32 s7, -2
	v_and_b32_e32 v8, 0x7fffffff, v3
	s_and_saveexec_b64 s[4:5], vcc
	s_xor_b64 s[4:5], exec, s[4:5]
; %bb.253:
	v_bfi_b32 v5, s7, v3, v5
	v_mov_b32_e32 v8, v4
; %bb.254:
	s_andn2_saveexec_b64 s[4:5], s[4:5]
; %bb.255:
	v_bfi_b32 v5, s7, v4, v5
; %bb.256:
	s_or_b64 exec, exec, s[4:5]
.LBB228_257:
	s_or_b64 exec, exec, s[2:3]
.LBB228_258:
	s_andn2_saveexec_b64 s[2:3], s[16:17]
	s_cbranch_execz .LBB228_260
; %bb.259:
	v_sub_f32_e32 v3, v5, v5
	v_div_scale_f32 v5, vcc, v3, v3, v3
	v_rcp_f32_e32 v8, v5
	s_nop 0
	v_fma_f32 v9, -v5, v8, 1.0
	v_fmac_f32_e32 v8, v9, v8
	v_mul_f32_e32 v9, v5, v8
	v_fma_f32 v14, -v5, v9, v5
	v_fmac_f32_e32 v9, v14, v8
	v_fma_f32 v5, -v5, v9, v5
	v_div_fmas_f32 v5, v5, v8, v9
	v_div_fixup_f32 v5, v5, v3, v3
	v_mov_b32_e32 v8, v4
.LBB228_260:
	s_or_b64 exec, exec, s[2:3]
.LBB228_261:
	s_or_b64 exec, exec, s[14:15]
.LBB228_262:
	s_or_b64 exec, exec, s[12:13]
	v_mov_b32_e32 v9, v5
	s_or_b64 exec, exec, s[10:11]
	s_and_saveexec_b64 s[2:3], s[0:1]
	s_xor_b64 s[0:1], exec, s[2:3]
	s_cbranch_execnz .LBB228_241
.LBB228_263:
	s_or_b64 exec, exec, s[0:1]
	v_cmp_gt_i32_e32 vcc, s24, v0
	s_and_saveexec_b64 s[0:1], vcc
	s_cbranch_execz .LBB228_242
.LBB228_264:
	v_add_u32_e32 v2, 0x100, v0
	v_add_u32_e32 v0, s6, v0
	v_mov_b32_e32 v1, 0
	v_lshl_add_u64 v[0:1], v[0:1], 3, s[8:9]
	global_store_dwordx2 v[0:1], v[10:11], off
	v_mov_b32_e32 v0, v2
	s_or_b64 exec, exec, s[0:1]
	v_cmp_gt_i32_e32 vcc, s24, v0
	s_and_saveexec_b64 s[0:1], vcc
	s_cbranch_execnz .LBB228_243
.LBB228_265:
	s_or_b64 exec, exec, s[0:1]
	v_cmp_gt_i32_e32 vcc, s24, v0
	s_and_saveexec_b64 s[0:1], vcc
	s_cbranch_execz .LBB228_267
.LBB228_266:
	v_add_u32_e32 v0, s6, v0
	v_mov_b32_e32 v1, 0
	v_lshl_add_u64 v[0:1], v[0:1], 3, s[8:9]
	global_store_dwordx2 v[0:1], v[8:9], off
.LBB228_267:
	s_endpgm
	.section	.rodata,"a",@progbits
	.p2align	6, 0x0
	.amdhsa_kernel _ZN2at6native29vectorized_elementwise_kernelILi4EZZZNS0_16sqrt_kernel_cudaERNS_18TensorIteratorBaseEENKUlvE_clEvENKUlvE0_clEvEUlN3c107complexIfEEE_St5arrayIPcLm2EEEEviT0_T1_
		.amdhsa_group_segment_fixed_size 0
		.amdhsa_private_segment_fixed_size 0
		.amdhsa_kernarg_size 24
		.amdhsa_user_sgpr_count 2
		.amdhsa_user_sgpr_dispatch_ptr 0
		.amdhsa_user_sgpr_queue_ptr 0
		.amdhsa_user_sgpr_kernarg_segment_ptr 1
		.amdhsa_user_sgpr_dispatch_id 0
		.amdhsa_user_sgpr_kernarg_preload_length 0
		.amdhsa_user_sgpr_kernarg_preload_offset 0
		.amdhsa_user_sgpr_private_segment_size 0
		.amdhsa_uses_dynamic_stack 0
		.amdhsa_enable_private_segment 0
		.amdhsa_system_sgpr_workgroup_id_x 1
		.amdhsa_system_sgpr_workgroup_id_y 0
		.amdhsa_system_sgpr_workgroup_id_z 0
		.amdhsa_system_sgpr_workgroup_info 0
		.amdhsa_system_vgpr_workitem_id 0
		.amdhsa_next_free_vgpr 19
		.amdhsa_next_free_sgpr 28
		.amdhsa_accum_offset 20
		.amdhsa_reserve_vcc 1
		.amdhsa_float_round_mode_32 0
		.amdhsa_float_round_mode_16_64 0
		.amdhsa_float_denorm_mode_32 3
		.amdhsa_float_denorm_mode_16_64 3
		.amdhsa_dx10_clamp 1
		.amdhsa_ieee_mode 1
		.amdhsa_fp16_overflow 0
		.amdhsa_tg_split 0
		.amdhsa_exception_fp_ieee_invalid_op 0
		.amdhsa_exception_fp_denorm_src 0
		.amdhsa_exception_fp_ieee_div_zero 0
		.amdhsa_exception_fp_ieee_overflow 0
		.amdhsa_exception_fp_ieee_underflow 0
		.amdhsa_exception_fp_ieee_inexact 0
		.amdhsa_exception_int_div_zero 0
	.end_amdhsa_kernel
	.section	.text._ZN2at6native29vectorized_elementwise_kernelILi4EZZZNS0_16sqrt_kernel_cudaERNS_18TensorIteratorBaseEENKUlvE_clEvENKUlvE0_clEvEUlN3c107complexIfEEE_St5arrayIPcLm2EEEEviT0_T1_,"axG",@progbits,_ZN2at6native29vectorized_elementwise_kernelILi4EZZZNS0_16sqrt_kernel_cudaERNS_18TensorIteratorBaseEENKUlvE_clEvENKUlvE0_clEvEUlN3c107complexIfEEE_St5arrayIPcLm2EEEEviT0_T1_,comdat
.Lfunc_end228:
	.size	_ZN2at6native29vectorized_elementwise_kernelILi4EZZZNS0_16sqrt_kernel_cudaERNS_18TensorIteratorBaseEENKUlvE_clEvENKUlvE0_clEvEUlN3c107complexIfEEE_St5arrayIPcLm2EEEEviT0_T1_, .Lfunc_end228-_ZN2at6native29vectorized_elementwise_kernelILi4EZZZNS0_16sqrt_kernel_cudaERNS_18TensorIteratorBaseEENKUlvE_clEvENKUlvE0_clEvEUlN3c107complexIfEEE_St5arrayIPcLm2EEEEviT0_T1_
                                        ; -- End function
	.set _ZN2at6native29vectorized_elementwise_kernelILi4EZZZNS0_16sqrt_kernel_cudaERNS_18TensorIteratorBaseEENKUlvE_clEvENKUlvE0_clEvEUlN3c107complexIfEEE_St5arrayIPcLm2EEEEviT0_T1_.num_vgpr, 19
	.set _ZN2at6native29vectorized_elementwise_kernelILi4EZZZNS0_16sqrt_kernel_cudaERNS_18TensorIteratorBaseEENKUlvE_clEvENKUlvE0_clEvEUlN3c107complexIfEEE_St5arrayIPcLm2EEEEviT0_T1_.num_agpr, 0
	.set _ZN2at6native29vectorized_elementwise_kernelILi4EZZZNS0_16sqrt_kernel_cudaERNS_18TensorIteratorBaseEENKUlvE_clEvENKUlvE0_clEvEUlN3c107complexIfEEE_St5arrayIPcLm2EEEEviT0_T1_.numbered_sgpr, 28
	.set _ZN2at6native29vectorized_elementwise_kernelILi4EZZZNS0_16sqrt_kernel_cudaERNS_18TensorIteratorBaseEENKUlvE_clEvENKUlvE0_clEvEUlN3c107complexIfEEE_St5arrayIPcLm2EEEEviT0_T1_.num_named_barrier, 0
	.set _ZN2at6native29vectorized_elementwise_kernelILi4EZZZNS0_16sqrt_kernel_cudaERNS_18TensorIteratorBaseEENKUlvE_clEvENKUlvE0_clEvEUlN3c107complexIfEEE_St5arrayIPcLm2EEEEviT0_T1_.private_seg_size, 0
	.set _ZN2at6native29vectorized_elementwise_kernelILi4EZZZNS0_16sqrt_kernel_cudaERNS_18TensorIteratorBaseEENKUlvE_clEvENKUlvE0_clEvEUlN3c107complexIfEEE_St5arrayIPcLm2EEEEviT0_T1_.uses_vcc, 1
	.set _ZN2at6native29vectorized_elementwise_kernelILi4EZZZNS0_16sqrt_kernel_cudaERNS_18TensorIteratorBaseEENKUlvE_clEvENKUlvE0_clEvEUlN3c107complexIfEEE_St5arrayIPcLm2EEEEviT0_T1_.uses_flat_scratch, 0
	.set _ZN2at6native29vectorized_elementwise_kernelILi4EZZZNS0_16sqrt_kernel_cudaERNS_18TensorIteratorBaseEENKUlvE_clEvENKUlvE0_clEvEUlN3c107complexIfEEE_St5arrayIPcLm2EEEEviT0_T1_.has_dyn_sized_stack, 0
	.set _ZN2at6native29vectorized_elementwise_kernelILi4EZZZNS0_16sqrt_kernel_cudaERNS_18TensorIteratorBaseEENKUlvE_clEvENKUlvE0_clEvEUlN3c107complexIfEEE_St5arrayIPcLm2EEEEviT0_T1_.has_recursion, 0
	.set _ZN2at6native29vectorized_elementwise_kernelILi4EZZZNS0_16sqrt_kernel_cudaERNS_18TensorIteratorBaseEENKUlvE_clEvENKUlvE0_clEvEUlN3c107complexIfEEE_St5arrayIPcLm2EEEEviT0_T1_.has_indirect_call, 0
	.section	.AMDGPU.csdata,"",@progbits
; Kernel info:
; codeLenInByte = 9320
; TotalNumSgprs: 34
; NumVgprs: 19
; NumAgprs: 0
; TotalNumVgprs: 19
; ScratchSize: 0
; MemoryBound: 0
; FloatMode: 240
; IeeeMode: 1
; LDSByteSize: 0 bytes/workgroup (compile time only)
; SGPRBlocks: 4
; VGPRBlocks: 2
; NumSGPRsForWavesPerEU: 34
; NumVGPRsForWavesPerEU: 19
; AccumOffset: 20
; Occupancy: 8
; WaveLimiterHint : 0
; COMPUTE_PGM_RSRC2:SCRATCH_EN: 0
; COMPUTE_PGM_RSRC2:USER_SGPR: 2
; COMPUTE_PGM_RSRC2:TRAP_HANDLER: 0
; COMPUTE_PGM_RSRC2:TGID_X_EN: 1
; COMPUTE_PGM_RSRC2:TGID_Y_EN: 0
; COMPUTE_PGM_RSRC2:TGID_Z_EN: 0
; COMPUTE_PGM_RSRC2:TIDIG_COMP_CNT: 0
; COMPUTE_PGM_RSRC3_GFX90A:ACCUM_OFFSET: 4
; COMPUTE_PGM_RSRC3_GFX90A:TG_SPLIT: 0
	.section	.text._ZN2at6native29vectorized_elementwise_kernelILi2EZZZNS0_16sqrt_kernel_cudaERNS_18TensorIteratorBaseEENKUlvE_clEvENKUlvE0_clEvEUlN3c107complexIfEEE_St5arrayIPcLm2EEEEviT0_T1_,"axG",@progbits,_ZN2at6native29vectorized_elementwise_kernelILi2EZZZNS0_16sqrt_kernel_cudaERNS_18TensorIteratorBaseEENKUlvE_clEvENKUlvE0_clEvEUlN3c107complexIfEEE_St5arrayIPcLm2EEEEviT0_T1_,comdat
	.globl	_ZN2at6native29vectorized_elementwise_kernelILi2EZZZNS0_16sqrt_kernel_cudaERNS_18TensorIteratorBaseEENKUlvE_clEvENKUlvE0_clEvEUlN3c107complexIfEEE_St5arrayIPcLm2EEEEviT0_T1_ ; -- Begin function _ZN2at6native29vectorized_elementwise_kernelILi2EZZZNS0_16sqrt_kernel_cudaERNS_18TensorIteratorBaseEENKUlvE_clEvENKUlvE0_clEvEUlN3c107complexIfEEE_St5arrayIPcLm2EEEEviT0_T1_
	.p2align	8
	.type	_ZN2at6native29vectorized_elementwise_kernelILi2EZZZNS0_16sqrt_kernel_cudaERNS_18TensorIteratorBaseEENKUlvE_clEvENKUlvE0_clEvEUlN3c107complexIfEEE_St5arrayIPcLm2EEEEviT0_T1_,@function
_ZN2at6native29vectorized_elementwise_kernelILi2EZZZNS0_16sqrt_kernel_cudaERNS_18TensorIteratorBaseEENKUlvE_clEvENKUlvE0_clEvEUlN3c107complexIfEEE_St5arrayIPcLm2EEEEviT0_T1_: ; @_ZN2at6native29vectorized_elementwise_kernelILi2EZZZNS0_16sqrt_kernel_cudaERNS_18TensorIteratorBaseEENKUlvE_clEvENKUlvE0_clEvEUlN3c107complexIfEEE_St5arrayIPcLm2EEEEviT0_T1_
; %bb.0:
	s_load_dword s3, s[0:1], 0x0
	s_load_dwordx4 s[8:11], s[0:1], 0x8
	s_lshl_b32 s6, s2, 10
	s_mov_b64 s[0:1], -1
	s_waitcnt lgkmcnt(0)
	s_sub_i32 s24, s3, s6
	s_cmpk_gt_i32 s24, 0x3ff
	s_cbranch_scc0 .LBB229_122
; %bb.1:
	s_ashr_i32 s7, s6, 31
	s_lshl_b64 s[4:5], s[6:7], 3
	s_add_u32 s0, s10, s4
	s_addc_u32 s1, s11, s5
	v_mov_b32_e32 v15, 0
	v_lshlrev_b32_e32 v14, 4, v0
	v_lshl_add_u64 v[6:7], s[0:1], 0, v[14:15]
	global_load_dwordx4 v[2:5], v14, s[0:1]
	v_add_co_u32_e32 v6, vcc, 0x1000, v6
	v_mov_b32_e32 v10, 0
	s_nop 0
	v_addc_co_u32_e32 v7, vcc, 0, v7, vcc
	global_load_dwordx4 v[6:9], v[6:7], off
	s_waitcnt vmcnt(1)
	v_cmp_neq_f32_e32 vcc, 0, v2
	v_cmp_neq_f32_e64 s[0:1], 0, v3
	s_or_b64 s[0:1], vcc, s[0:1]
	v_mov_b32_e32 v11, v3
	s_and_saveexec_b64 s[12:13], s[0:1]
	s_cbranch_execz .LBB229_31
; %bb.2:
	v_mov_b32_e32 v10, 0x7f800000
	v_cmp_neq_f32_e64 s[0:1], |v3|, v10
	v_mov_b32_e32 v11, v3
	s_and_saveexec_b64 s[14:15], s[0:1]
	s_cbranch_execz .LBB229_30
; %bb.3:
	v_cmp_o_f32_e32 vcc, v2, v2
                                        ; implicit-def: $vgpr11
	s_and_saveexec_b64 s[0:1], vcc
	s_xor_b64 s[16:17], exec, s[0:1]
	s_cbranch_execz .LBB229_27
; %bb.4:
	s_mov_b32 s0, 0x7f800000
	v_cmp_neq_f32_e64 s[0:1], |v2|, s0
                                        ; implicit-def: $vgpr11
	s_and_saveexec_b64 s[2:3], s[0:1]
	s_xor_b64 s[18:19], exec, s[2:3]
	s_cbranch_execz .LBB229_20
; %bb.5:
	v_max_f32_e64 v1, |v3|, |v3|
	v_max_f32_e64 v10, |v2|, |v2|
	v_max_f32_e32 v1, v10, v1
	s_mov_b32 s0, 0x7ed413cb
	v_cmp_nle_f32_e64 s[0:1], s0, v1
                                        ; implicit-def: $sgpr20_sgpr21
                                        ; implicit-def: $vgpr11
	s_and_saveexec_b64 s[2:3], s[0:1]
	s_xor_b64 s[2:3], exec, s[2:3]
	s_cbranch_execz .LBB229_9
; %bb.6:
	s_mov_b32 s7, 0x1000000
	v_cmp_le_f32_e64 s[20:21], |v2|, s7
	v_cmp_le_f32_e64 s[22:23], |v3|, s7
	s_and_b64 s[26:27], s[20:21], s[22:23]
	s_mov_b64 s[20:21], 0
	v_mov_b32_e32 v11, v2
	v_mov_b32_e32 v10, v3
	s_and_saveexec_b64 s[22:23], s[26:27]
; %bb.7:
	v_mov_b32_e32 v10, v3
	v_mov_b32_e32 v11, v2
	s_mov_b64 s[20:21], exec
	v_pk_mul_f32 v[10:11], v[10:11], 4.0 op_sel_hi:[1,0]
; %bb.8:
	s_or_b64 exec, exec, s[22:23]
.LBB229_9:
	s_andn2_saveexec_b64 s[2:3], s[2:3]
; %bb.10:
	v_mov_b32_e32 v10, v3
	v_mov_b32_e32 v11, v2
	s_mov_b32 s22, 0x3e800000
	v_pk_mul_f32 v[10:11], v[10:11], s[22:23] op_sel_hi:[1,0]
	s_andn2_b64 s[20:21], s[20:21], exec
; %bb.11:
	s_or_b64 exec, exec, s[2:3]
	v_max_f32_e64 v1, |v10|, |v10|
	v_max_f32_e64 v12, |v11|, |v11|
	v_max_f32_e32 v1, v12, v1
	v_cvt_f64_f32_e32 v[12:13], v1
	v_frexp_exp_i32_f64_e32 v12, v[12:13]
	v_sub_u32_e32 v13, 0, v12
	v_ldexp_f32 v16, |v11|, v13
	v_ldexp_f32 v13, |v10|, v13
	v_mul_f32_e32 v13, v13, v13
	v_fmac_f32_e32 v13, v16, v16
	v_sqrt_f32_e32 v13, v13
	s_mov_b32 s2, 0x7f800000
	v_cmp_neq_f32_e64 s[2:3], s2, v1
	v_cmp_le_f32_e32 vcc, 0, v11
	v_ldexp_f32 v12, v13, v12
	v_mov_b32_e32 v13, 0x7f800000
	v_cndmask_b32_e64 v13, v13, v12, s[2:3]
                                        ; implicit-def: $vgpr12
                                        ; implicit-def: $vgpr1
	s_and_saveexec_b64 s[2:3], vcc
	s_xor_b64 s[22:23], exec, s[2:3]
	s_cbranch_execz .LBB229_13
; %bb.12:
	v_add_f32_e32 v1, v11, v13
	v_mul_f32_e32 v1, 0.5, v1
	s_mov_b32 s2, 0xf800000
	v_mul_f32_e32 v11, 0x4f800000, v1
	v_cmp_gt_f32_e32 vcc, s2, v1
	s_nop 1
	v_cndmask_b32_e32 v1, v1, v11, vcc
	v_sqrt_f32_e32 v11, v1
	s_nop 0
	v_add_u32_e32 v12, -1, v11
	v_fma_f32 v13, -v12, v11, v1
	v_cmp_ge_f32_e64 s[2:3], 0, v13
	v_add_u32_e32 v13, 1, v11
	s_nop 0
	v_cndmask_b32_e64 v12, v11, v12, s[2:3]
	v_fma_f32 v11, -v13, v11, v1
	v_cmp_lt_f32_e64 s[2:3], 0, v11
	s_nop 1
	v_cndmask_b32_e64 v11, v12, v13, s[2:3]
	v_mul_f32_e32 v12, 0x37800000, v11
	v_cndmask_b32_e32 v11, v11, v12, vcc
	v_mov_b32_e32 v12, 0x260
	v_cmp_class_f32_e32 vcc, v1, v12
	s_nop 1
	v_cndmask_b32_e32 v1, v11, v1, vcc
	v_add_f32_e32 v11, v1, v1
	v_div_scale_f32 v12, s[2:3], v11, v11, v10
	v_rcp_f32_e32 v13, v12
	s_nop 0
	v_fma_f32 v16, -v12, v13, 1.0
	v_fmac_f32_e32 v13, v16, v13
	v_div_scale_f32 v16, vcc, v10, v11, v10
	v_mul_f32_e32 v17, v16, v13
	v_fma_f32 v18, -v12, v17, v16
	v_fmac_f32_e32 v17, v18, v13
	v_fma_f32 v12, -v12, v17, v16
	v_div_fmas_f32 v12, v12, v13, v17
	v_div_fixup_f32 v12, v12, v11, v10
                                        ; implicit-def: $vgpr13
                                        ; implicit-def: $vgpr11
	s_andn2_saveexec_b64 s[22:23], s[22:23]
	s_cbranch_execz .LBB229_15
	s_branch .LBB229_14
.LBB229_13:
	s_andn2_saveexec_b64 s[22:23], s[22:23]
	s_cbranch_execz .LBB229_15
.LBB229_14:
	v_sub_f32_e32 v1, v13, v11
	v_mul_f32_e32 v1, 0.5, v1
	s_mov_b32 s2, 0xf800000
	v_mul_f32_e32 v11, 0x4f800000, v1
	v_cmp_gt_f32_e32 vcc, s2, v1
	s_nop 1
	v_cndmask_b32_e32 v1, v1, v11, vcc
	v_sqrt_f32_e32 v11, v1
	s_nop 0
	v_add_u32_e32 v12, -1, v11
	v_fma_f32 v13, -v12, v11, v1
	v_cmp_ge_f32_e64 s[2:3], 0, v13
	v_add_u32_e32 v13, 1, v11
	s_nop 0
	v_cndmask_b32_e64 v12, v11, v12, s[2:3]
	v_fma_f32 v11, -v13, v11, v1
	v_cmp_lt_f32_e64 s[2:3], 0, v11
	s_nop 1
	v_cndmask_b32_e64 v11, v12, v13, s[2:3]
	v_mul_f32_e32 v12, 0x37800000, v11
	v_cndmask_b32_e32 v11, v11, v12, vcc
	v_mov_b32_e32 v12, 0x260
	v_cmp_class_f32_e32 vcc, v1, v12
	v_and_b32_e32 v12, 0x7fffffff, v10
	s_nop 0
	v_cndmask_b32_e32 v11, v11, v1, vcc
	v_add_f32_e32 v1, v11, v11
	v_div_scale_f32 v13, s[2:3], v1, v1, v12
	v_rcp_f32_e32 v16, v13
	v_div_scale_f32 v12, vcc, v12, v1, v12
	s_brev_b32 s2, -2
	v_fma_f32 v17, -v13, v16, 1.0
	v_fmac_f32_e32 v16, v17, v16
	v_mul_f32_e32 v17, v12, v16
	v_fma_f32 v18, -v13, v17, v12
	v_fmac_f32_e32 v17, v18, v16
	v_fma_f32 v12, -v13, v17, v12
	v_div_fmas_f32 v12, v12, v16, v17
	v_div_fixup_f32 v1, v12, v1, |v10|
	v_bfi_b32 v12, s2, v11, v10
.LBB229_15:
	s_or_b64 exec, exec, s[22:23]
                                        ; implicit-def: $vgpr11
	s_and_saveexec_b64 s[2:3], s[0:1]
	s_xor_b64 s[0:1], exec, s[2:3]
	s_cbranch_execz .LBB229_17
; %bb.16:
	v_mul_f32_e32 v10, 0.5, v1
	v_mul_f32_e32 v11, 0.5, v12
	v_cndmask_b32_e64 v10, v1, v10, s[20:21]
	v_cndmask_b32_e64 v11, v12, v11, s[20:21]
                                        ; implicit-def: $vgpr1
                                        ; implicit-def: $vgpr12
	s_andn2_saveexec_b64 s[0:1], s[0:1]
	s_cbranch_execnz .LBB229_18
	s_branch .LBB229_19
.LBB229_17:
	s_andn2_saveexec_b64 s[0:1], s[0:1]
.LBB229_18:
	v_add_f32_e32 v10, v1, v1
	v_add_f32_e32 v11, v12, v12
.LBB229_19:
	s_or_b64 exec, exec, s[0:1]
.LBB229_20:
	s_andn2_saveexec_b64 s[0:1], s[18:19]
	s_cbranch_execz .LBB229_26
; %bb.21:
	v_sub_f32_e32 v1, v3, v3
	v_cmp_lt_i32_e32 vcc, -1, v2
	s_brev_b32 s7, -2
	v_and_b32_e32 v10, 0x7fffffff, v1
	s_and_saveexec_b64 s[2:3], vcc
	s_xor_b64 s[2:3], exec, s[2:3]
; %bb.22:
	v_bfi_b32 v11, s7, v1, v3
	v_mov_b32_e32 v10, v2
; %bb.23:
	s_andn2_saveexec_b64 s[2:3], s[2:3]
; %bb.24:
	v_bfi_b32 v11, s7, v2, v3
; %bb.25:
	s_or_b64 exec, exec, s[2:3]
.LBB229_26:
	s_or_b64 exec, exec, s[0:1]
.LBB229_27:
	s_andn2_saveexec_b64 s[0:1], s[16:17]
	s_cbranch_execz .LBB229_29
; %bb.28:
	v_sub_f32_e32 v1, v3, v3
	v_div_scale_f32 v3, vcc, v1, v1, v1
	v_rcp_f32_e32 v10, v3
	s_nop 0
	v_fma_f32 v11, -v3, v10, 1.0
	v_fmac_f32_e32 v10, v11, v10
	v_mul_f32_e32 v11, v3, v10
	v_fma_f32 v12, -v3, v11, v3
	v_fmac_f32_e32 v11, v12, v10
	v_fma_f32 v3, -v3, v11, v3
	v_div_fmas_f32 v3, v3, v10, v11
	v_div_fixup_f32 v11, v3, v1, v1
	v_mov_b32_e32 v10, v2
.LBB229_29:
	s_or_b64 exec, exec, s[0:1]
.LBB229_30:
	s_or_b64 exec, exec, s[14:15]
.LBB229_31:
	s_or_b64 exec, exec, s[12:13]
	v_cmp_neq_f32_e32 vcc, 0, v4
	v_cmp_neq_f32_e64 s[0:1], 0, v5
	s_or_b64 s[0:1], vcc, s[0:1]
	s_and_saveexec_b64 s[12:13], s[0:1]
	s_cbranch_execz .LBB229_61
; %bb.32:
	v_mov_b32_e32 v15, 0x7f800000
	v_cmp_neq_f32_e64 s[0:1], |v5|, v15
	s_and_saveexec_b64 s[14:15], s[0:1]
	s_cbranch_execz .LBB229_60
; %bb.33:
	v_cmp_o_f32_e32 vcc, v4, v4
	s_and_saveexec_b64 s[0:1], vcc
	s_xor_b64 s[16:17], exec, s[0:1]
	s_cbranch_execz .LBB229_57
; %bb.34:
	s_mov_b32 s0, 0x7f800000
	v_cmp_neq_f32_e64 s[0:1], |v4|, s0
	s_and_saveexec_b64 s[2:3], s[0:1]
	s_xor_b64 s[18:19], exec, s[2:3]
	s_cbranch_execz .LBB229_50
; %bb.35:
	v_max_f32_e64 v1, |v5|, |v5|
	v_max_f32_e64 v2, |v4|, |v4|
	v_max_f32_e32 v1, v2, v1
	s_mov_b32 s0, 0x7ed413cb
	v_cmp_nle_f32_e64 s[0:1], s0, v1
                                        ; implicit-def: $sgpr20_sgpr21
	s_and_saveexec_b64 s[2:3], s[0:1]
	s_xor_b64 s[2:3], exec, s[2:3]
	s_cbranch_execz .LBB229_39
; %bb.36:
	s_mov_b32 s7, 0x1000000
	v_cmp_le_f32_e64 s[20:21], |v4|, s7
	v_cmp_le_f32_e64 s[22:23], |v5|, s7
	s_and_b64 s[26:27], s[20:21], s[22:23]
	s_mov_b64 s[20:21], 0
	s_and_saveexec_b64 s[22:23], s[26:27]
; %bb.37:
	v_mov_b32_e32 v2, v5
	v_mov_b32_e32 v3, v4
	v_pk_mul_f32 v[2:3], v[2:3], 4.0 op_sel_hi:[1,0]
	s_mov_b64 s[20:21], exec
	v_mov_b32_e32 v4, v3
	v_mov_b32_e32 v5, v2
; %bb.38:
	s_or_b64 exec, exec, s[22:23]
.LBB229_39:
	s_andn2_saveexec_b64 s[2:3], s[2:3]
; %bb.40:
	v_mov_b32_e32 v2, v5
	v_mov_b32_e32 v3, v4
	s_mov_b32 s22, 0x3e800000
	v_pk_mul_f32 v[2:3], v[2:3], s[22:23] op_sel_hi:[1,0]
	s_andn2_b64 s[20:21], s[20:21], exec
	v_mov_b32_e32 v5, v2
	v_mov_b32_e32 v4, v3
; %bb.41:
	s_or_b64 exec, exec, s[2:3]
	v_max_f32_e64 v1, |v5|, |v5|
	v_max_f32_e64 v2, |v4|, |v4|
	v_max_f32_e32 v1, v2, v1
	v_cvt_f64_f32_e32 v[2:3], v1
	v_frexp_exp_i32_f64_e32 v2, v[2:3]
	v_sub_u32_e32 v3, 0, v2
	v_ldexp_f32 v12, |v4|, v3
	v_ldexp_f32 v3, |v5|, v3
	v_mul_f32_e32 v3, v3, v3
	v_fmac_f32_e32 v3, v12, v12
	v_sqrt_f32_e32 v3, v3
	s_mov_b32 s2, 0x7f800000
	v_cmp_neq_f32_e64 s[2:3], s2, v1
	v_cmp_le_f32_e32 vcc, 0, v4
	v_ldexp_f32 v2, v3, v2
	v_mov_b32_e32 v3, 0x7f800000
	v_cndmask_b32_e64 v3, v3, v2, s[2:3]
                                        ; implicit-def: $vgpr2
                                        ; implicit-def: $vgpr1
	s_and_saveexec_b64 s[2:3], vcc
	s_xor_b64 s[22:23], exec, s[2:3]
	s_cbranch_execz .LBB229_43
; %bb.42:
	v_add_f32_e32 v1, v4, v3
	v_mul_f32_e32 v1, 0.5, v1
	s_mov_b32 s2, 0xf800000
	v_mul_f32_e32 v2, 0x4f800000, v1
	v_cmp_gt_f32_e32 vcc, s2, v1
	s_nop 1
	v_cndmask_b32_e32 v1, v1, v2, vcc
	v_sqrt_f32_e32 v2, v1
	s_nop 0
	v_add_u32_e32 v3, -1, v2
	v_fma_f32 v4, -v3, v2, v1
	v_cmp_ge_f32_e64 s[2:3], 0, v4
	v_add_u32_e32 v4, 1, v2
	s_nop 0
	v_cndmask_b32_e64 v3, v2, v3, s[2:3]
	v_fma_f32 v2, -v4, v2, v1
	v_cmp_lt_f32_e64 s[2:3], 0, v2
	s_nop 1
	v_cndmask_b32_e64 v2, v3, v4, s[2:3]
	v_mul_f32_e32 v3, 0x37800000, v2
	v_cndmask_b32_e32 v2, v2, v3, vcc
	v_mov_b32_e32 v3, 0x260
	v_cmp_class_f32_e32 vcc, v1, v3
	s_nop 1
	v_cndmask_b32_e32 v1, v2, v1, vcc
	v_add_f32_e32 v2, v1, v1
	v_div_scale_f32 v3, s[2:3], v2, v2, v5
	v_rcp_f32_e32 v4, v3
	s_nop 0
	v_fma_f32 v12, -v3, v4, 1.0
	v_fmac_f32_e32 v4, v12, v4
	v_div_scale_f32 v12, vcc, v5, v2, v5
	v_mul_f32_e32 v13, v12, v4
	v_fma_f32 v15, -v3, v13, v12
	v_fmac_f32_e32 v13, v15, v4
	v_fma_f32 v3, -v3, v13, v12
	v_div_fmas_f32 v3, v3, v4, v13
	v_div_fixup_f32 v2, v3, v2, v5
                                        ; implicit-def: $vgpr3
                                        ; implicit-def: $vgpr4
	s_andn2_saveexec_b64 s[22:23], s[22:23]
                                        ; implicit-def: $vgpr15
	s_cbranch_execz .LBB229_45
	s_branch .LBB229_44
.LBB229_43:
	s_andn2_saveexec_b64 s[22:23], s[22:23]
                                        ; implicit-def: $vgpr15
	s_cbranch_execz .LBB229_45
.LBB229_44:
	v_sub_f32_e32 v1, v3, v4
	v_mul_f32_e32 v1, 0.5, v1
	s_mov_b32 s2, 0xf800000
	v_mul_f32_e32 v2, 0x4f800000, v1
	v_cmp_gt_f32_e32 vcc, s2, v1
	s_nop 1
	v_cndmask_b32_e32 v1, v1, v2, vcc
	v_sqrt_f32_e32 v2, v1
	s_nop 0
	v_add_u32_e32 v3, -1, v2
	v_fma_f32 v4, -v3, v2, v1
	v_cmp_ge_f32_e64 s[2:3], 0, v4
	v_add_u32_e32 v4, 1, v2
	s_nop 0
	v_cndmask_b32_e64 v3, v2, v3, s[2:3]
	v_fma_f32 v2, -v4, v2, v1
	v_cmp_lt_f32_e64 s[2:3], 0, v2
	s_nop 1
	v_cndmask_b32_e64 v2, v3, v4, s[2:3]
	v_mul_f32_e32 v3, 0x37800000, v2
	v_cndmask_b32_e32 v2, v2, v3, vcc
	v_mov_b32_e32 v3, 0x260
	v_cmp_class_f32_e32 vcc, v1, v3
	v_and_b32_e32 v3, 0x7fffffff, v5
	s_nop 0
	v_cndmask_b32_e32 v2, v2, v1, vcc
	v_add_f32_e32 v1, v2, v2
	v_div_scale_f32 v4, s[2:3], v1, v1, v3
	v_rcp_f32_e32 v12, v4
	v_div_scale_f32 v3, vcc, v3, v1, v3
	s_brev_b32 s2, -2
	v_fma_f32 v13, -v4, v12, 1.0
	v_fmac_f32_e32 v12, v13, v12
	v_mul_f32_e32 v13, v3, v12
	v_fma_f32 v15, -v4, v13, v3
	v_fmac_f32_e32 v13, v15, v12
	v_fma_f32 v3, -v4, v13, v3
	v_div_fmas_f32 v3, v3, v12, v13
	v_div_fixup_f32 v1, v3, v1, |v5|
	v_bfi_b32 v2, s2, v2, v5
.LBB229_45:
	s_or_b64 exec, exec, s[22:23]
                                        ; implicit-def: $vgpr5
	s_and_saveexec_b64 s[2:3], s[0:1]
	s_xor_b64 s[0:1], exec, s[2:3]
	s_cbranch_execz .LBB229_47
; %bb.46:
	v_mul_f32_e32 v3, 0.5, v1
	v_mul_f32_e32 v4, 0.5, v2
	v_cndmask_b32_e64 v15, v1, v3, s[20:21]
	v_cndmask_b32_e64 v5, v2, v4, s[20:21]
                                        ; implicit-def: $vgpr1
                                        ; implicit-def: $vgpr2
	s_andn2_saveexec_b64 s[0:1], s[0:1]
	s_cbranch_execnz .LBB229_48
	s_branch .LBB229_49
.LBB229_47:
	s_andn2_saveexec_b64 s[0:1], s[0:1]
.LBB229_48:
	v_add_f32_e32 v15, v1, v1
	v_add_f32_e32 v5, v2, v2
.LBB229_49:
	s_or_b64 exec, exec, s[0:1]
.LBB229_50:
	s_andn2_saveexec_b64 s[0:1], s[18:19]
	s_cbranch_execz .LBB229_56
; %bb.51:
	v_sub_f32_e32 v1, v5, v5
	v_cmp_lt_i32_e32 vcc, -1, v4
	s_brev_b32 s7, -2
	v_and_b32_e32 v15, 0x7fffffff, v1
	s_and_saveexec_b64 s[2:3], vcc
	s_xor_b64 s[2:3], exec, s[2:3]
; %bb.52:
	v_bfi_b32 v5, s7, v1, v5
	v_mov_b32_e32 v15, v4
; %bb.53:
	s_andn2_saveexec_b64 s[2:3], s[2:3]
; %bb.54:
	v_bfi_b32 v5, s7, v4, v5
; %bb.55:
	s_or_b64 exec, exec, s[2:3]
.LBB229_56:
	s_or_b64 exec, exec, s[0:1]
.LBB229_57:
	s_andn2_saveexec_b64 s[0:1], s[16:17]
	s_cbranch_execz .LBB229_59
; %bb.58:
	v_sub_f32_e32 v1, v5, v5
	v_div_scale_f32 v2, vcc, v1, v1, v1
	v_rcp_f32_e32 v3, v2
	v_mov_b32_e32 v15, v4
	v_fma_f32 v5, -v2, v3, 1.0
	v_fmac_f32_e32 v3, v5, v3
	v_mul_f32_e32 v5, v2, v3
	v_fma_f32 v12, -v2, v5, v2
	v_fmac_f32_e32 v5, v12, v3
	v_fma_f32 v2, -v2, v5, v2
	v_div_fmas_f32 v2, v2, v3, v5
	v_div_fixup_f32 v5, v2, v1, v1
.LBB229_59:
	s_or_b64 exec, exec, s[0:1]
.LBB229_60:
	s_or_b64 exec, exec, s[14:15]
.LBB229_61:
	s_or_b64 exec, exec, s[12:13]
	s_waitcnt vmcnt(0)
	v_cmp_neq_f32_e32 vcc, 0, v6
	v_cmp_neq_f32_e64 s[0:1], 0, v7
	v_mov_b32_e32 v4, 0
	s_or_b64 s[0:1], vcc, s[0:1]
	v_mov_b32_e32 v2, 0
	v_mov_b32_e32 v3, v7
	s_and_saveexec_b64 s[12:13], s[0:1]
	s_cbranch_execz .LBB229_91
; %bb.62:
	v_mov_b32_e32 v2, 0x7f800000
	v_cmp_neq_f32_e64 s[0:1], |v7|, v2
	v_mov_b32_e32 v3, v7
	s_and_saveexec_b64 s[14:15], s[0:1]
	s_cbranch_execz .LBB229_90
; %bb.63:
	v_cmp_o_f32_e32 vcc, v6, v6
	s_and_saveexec_b64 s[0:1], vcc
	s_xor_b64 s[16:17], exec, s[0:1]
	s_cbranch_execz .LBB229_87
; %bb.64:
	s_mov_b32 s0, 0x7f800000
	v_cmp_neq_f32_e64 s[0:1], |v6|, s0
	s_and_saveexec_b64 s[2:3], s[0:1]
	s_xor_b64 s[18:19], exec, s[2:3]
	s_cbranch_execz .LBB229_80
; %bb.65:
	v_max_f32_e64 v1, |v7|, |v7|
	v_max_f32_e64 v2, |v6|, |v6|
	v_max_f32_e32 v1, v2, v1
	s_mov_b32 s0, 0x7ed413cb
	v_cmp_nle_f32_e64 s[0:1], s0, v1
                                        ; implicit-def: $sgpr20_sgpr21
                                        ; implicit-def: $vgpr3
	s_and_saveexec_b64 s[2:3], s[0:1]
	s_xor_b64 s[2:3], exec, s[2:3]
	s_cbranch_execz .LBB229_69
; %bb.66:
	s_mov_b32 s7, 0x1000000
	v_cmp_le_f32_e64 s[20:21], |v6|, s7
	v_cmp_le_f32_e64 s[22:23], |v7|, s7
	s_and_b64 s[26:27], s[20:21], s[22:23]
	s_mov_b64 s[20:21], 0
	v_mov_b32_e32 v3, v6
	v_mov_b32_e32 v2, v7
	s_and_saveexec_b64 s[22:23], s[26:27]
; %bb.67:
	v_mov_b32_e32 v2, v7
	v_mov_b32_e32 v3, v6
	s_mov_b64 s[20:21], exec
	v_pk_mul_f32 v[2:3], v[2:3], 4.0 op_sel_hi:[1,0]
; %bb.68:
	s_or_b64 exec, exec, s[22:23]
.LBB229_69:
	s_andn2_saveexec_b64 s[2:3], s[2:3]
; %bb.70:
	v_mov_b32_e32 v2, v7
	v_mov_b32_e32 v3, v6
	s_mov_b32 s22, 0x3e800000
	v_pk_mul_f32 v[2:3], v[2:3], s[22:23] op_sel_hi:[1,0]
	s_andn2_b64 s[20:21], s[20:21], exec
; %bb.71:
	s_or_b64 exec, exec, s[2:3]
	v_max_f32_e64 v1, |v2|, |v2|
	v_max_f32_e64 v12, |v3|, |v3|
	v_max_f32_e32 v1, v12, v1
	v_cvt_f64_f32_e32 v[12:13], v1
	v_frexp_exp_i32_f64_e32 v12, v[12:13]
	v_sub_u32_e32 v13, 0, v12
	v_ldexp_f32 v16, |v3|, v13
	v_ldexp_f32 v13, |v2|, v13
	v_mul_f32_e32 v13, v13, v13
	v_fmac_f32_e32 v13, v16, v16
	v_sqrt_f32_e32 v13, v13
	s_mov_b32 s2, 0x7f800000
	v_cmp_neq_f32_e64 s[2:3], s2, v1
	v_cmp_le_f32_e32 vcc, 0, v3
	v_ldexp_f32 v12, v13, v12
	v_mov_b32_e32 v13, 0x7f800000
	v_cndmask_b32_e64 v13, v13, v12, s[2:3]
                                        ; implicit-def: $vgpr12
                                        ; implicit-def: $vgpr1
	s_and_saveexec_b64 s[2:3], vcc
	s_xor_b64 s[22:23], exec, s[2:3]
	s_cbranch_execz .LBB229_75
; %bb.72:
	v_add_f32_e32 v1, v3, v13
	v_mul_f32_e32 v1, 0.5, v1
	s_mov_b32 s2, 0xf800000
	v_mul_f32_e32 v3, 0x4f800000, v1
	v_cmp_gt_f32_e32 vcc, s2, v1
	s_nop 1
	v_cndmask_b32_e32 v1, v1, v3, vcc
	v_sqrt_f32_e32 v3, v1
	s_nop 0
	v_add_u32_e32 v12, -1, v3
	v_fma_f32 v13, -v12, v3, v1
	v_cmp_ge_f32_e64 s[2:3], 0, v13
	v_add_u32_e32 v13, 1, v3
	s_nop 0
	v_cndmask_b32_e64 v12, v3, v12, s[2:3]
	v_fma_f32 v3, -v13, v3, v1
	v_cmp_lt_f32_e64 s[2:3], 0, v3
	s_nop 1
	v_cndmask_b32_e64 v3, v12, v13, s[2:3]
	v_mul_f32_e32 v12, 0x37800000, v3
	v_cndmask_b32_e32 v3, v3, v12, vcc
	v_mov_b32_e32 v12, 0x260
	v_cmp_class_f32_e32 vcc, v1, v12
	s_nop 1
	v_cndmask_b32_e32 v1, v3, v1, vcc
	v_add_f32_e32 v3, v1, v1
	v_div_scale_f32 v12, s[2:3], v3, v3, v2
	v_rcp_f32_e32 v13, v12
	s_nop 0
	v_fma_f32 v16, -v12, v13, 1.0
	v_fmac_f32_e32 v13, v16, v13
	v_div_scale_f32 v16, vcc, v2, v3, v2
	v_mul_f32_e32 v17, v16, v13
	v_fma_f32 v18, -v12, v17, v16
	v_fmac_f32_e32 v17, v18, v13
	v_fma_f32 v12, -v12, v17, v16
	v_div_fmas_f32 v12, v12, v13, v17
	v_div_fixup_f32 v12, v12, v3, v2
                                        ; implicit-def: $vgpr13
                                        ; implicit-def: $vgpr3
	s_andn2_saveexec_b64 s[22:23], s[22:23]
	s_cbranch_execnz .LBB229_76
.LBB229_73:
	s_or_b64 exec, exec, s[22:23]
	s_and_saveexec_b64 s[2:3], s[0:1]
	s_xor_b64 s[0:1], exec, s[2:3]
	s_cbranch_execz .LBB229_77
.LBB229_74:
	v_mul_f32_e32 v2, 0.5, v1
	v_mul_f32_e32 v3, 0.5, v12
	v_cndmask_b32_e64 v2, v1, v2, s[20:21]
	v_cndmask_b32_e64 v3, v12, v3, s[20:21]
                                        ; implicit-def: $vgpr1
                                        ; implicit-def: $vgpr12
	s_andn2_saveexec_b64 s[0:1], s[0:1]
	s_cbranch_execnz .LBB229_78
	s_branch .LBB229_79
.LBB229_75:
	s_andn2_saveexec_b64 s[22:23], s[22:23]
	s_cbranch_execz .LBB229_73
.LBB229_76:
	v_sub_f32_e32 v1, v13, v3
	v_mul_f32_e32 v1, 0.5, v1
	s_mov_b32 s2, 0xf800000
	v_mul_f32_e32 v3, 0x4f800000, v1
	v_cmp_gt_f32_e32 vcc, s2, v1
	s_nop 1
	v_cndmask_b32_e32 v1, v1, v3, vcc
	v_sqrt_f32_e32 v3, v1
	s_nop 0
	v_add_u32_e32 v12, -1, v3
	v_fma_f32 v13, -v12, v3, v1
	v_cmp_ge_f32_e64 s[2:3], 0, v13
	v_add_u32_e32 v13, 1, v3
	s_nop 0
	v_cndmask_b32_e64 v12, v3, v12, s[2:3]
	v_fma_f32 v3, -v13, v3, v1
	v_cmp_lt_f32_e64 s[2:3], 0, v3
	s_nop 1
	v_cndmask_b32_e64 v3, v12, v13, s[2:3]
	v_mul_f32_e32 v12, 0x37800000, v3
	v_cndmask_b32_e32 v3, v3, v12, vcc
	v_mov_b32_e32 v12, 0x260
	v_cmp_class_f32_e32 vcc, v1, v12
	v_and_b32_e32 v12, 0x7fffffff, v2
	s_nop 0
	v_cndmask_b32_e32 v3, v3, v1, vcc
	v_add_f32_e32 v1, v3, v3
	v_div_scale_f32 v13, s[2:3], v1, v1, v12
	v_rcp_f32_e32 v16, v13
	v_div_scale_f32 v12, vcc, v12, v1, v12
	s_brev_b32 s2, -2
	v_fma_f32 v17, -v13, v16, 1.0
	v_fmac_f32_e32 v16, v17, v16
	v_mul_f32_e32 v17, v12, v16
	v_fma_f32 v18, -v13, v17, v12
	v_fmac_f32_e32 v17, v18, v16
	v_fma_f32 v12, -v13, v17, v12
	v_div_fmas_f32 v12, v12, v16, v17
	v_div_fixup_f32 v1, v12, v1, |v2|
	v_bfi_b32 v12, s2, v3, v2
	s_or_b64 exec, exec, s[22:23]
	s_and_saveexec_b64 s[2:3], s[0:1]
	s_xor_b64 s[0:1], exec, s[2:3]
	s_cbranch_execnz .LBB229_74
.LBB229_77:
	s_andn2_saveexec_b64 s[0:1], s[0:1]
.LBB229_78:
	v_add_f32_e32 v2, v1, v1
	v_add_f32_e32 v3, v12, v12
.LBB229_79:
	s_or_b64 exec, exec, s[0:1]
.LBB229_80:
	s_andn2_saveexec_b64 s[0:1], s[18:19]
	s_cbranch_execz .LBB229_86
; %bb.81:
	v_sub_f32_e32 v1, v7, v7
	v_cmp_lt_i32_e32 vcc, -1, v6
	s_brev_b32 s7, -2
	v_and_b32_e32 v2, 0x7fffffff, v1
	s_and_saveexec_b64 s[2:3], vcc
	s_xor_b64 s[2:3], exec, s[2:3]
; %bb.82:
	v_bfi_b32 v3, s7, v1, v7
	v_mov_b32_e32 v2, v6
; %bb.83:
	s_andn2_saveexec_b64 s[2:3], s[2:3]
; %bb.84:
	v_bfi_b32 v3, s7, v6, v7
; %bb.85:
	s_or_b64 exec, exec, s[2:3]
.LBB229_86:
	s_or_b64 exec, exec, s[0:1]
.LBB229_87:
	s_andn2_saveexec_b64 s[0:1], s[16:17]
	s_cbranch_execz .LBB229_89
; %bb.88:
	v_sub_f32_e32 v1, v7, v7
	v_div_scale_f32 v2, vcc, v1, v1, v1
	v_rcp_f32_e32 v3, v2
	s_nop 0
	v_fma_f32 v7, -v2, v3, 1.0
	v_fmac_f32_e32 v3, v7, v3
	v_mul_f32_e32 v7, v2, v3
	v_fma_f32 v12, -v2, v7, v2
	v_fmac_f32_e32 v7, v12, v3
	v_fma_f32 v2, -v2, v7, v2
	v_div_fmas_f32 v2, v2, v3, v7
	v_div_fixup_f32 v3, v2, v1, v1
	v_mov_b32_e32 v2, v6
.LBB229_89:
	s_or_b64 exec, exec, s[0:1]
.LBB229_90:
	s_or_b64 exec, exec, s[14:15]
.LBB229_91:
	s_or_b64 exec, exec, s[12:13]
	v_cmp_neq_f32_e32 vcc, 0, v8
	v_cmp_neq_f32_e64 s[0:1], 0, v9
	s_or_b64 s[0:1], vcc, s[0:1]
	s_and_saveexec_b64 s[12:13], s[0:1]
	s_cbranch_execz .LBB229_121
; %bb.92:
	v_mov_b32_e32 v4, 0x7f800000
	v_cmp_neq_f32_e64 s[0:1], |v9|, v4
	s_and_saveexec_b64 s[14:15], s[0:1]
	s_cbranch_execz .LBB229_120
; %bb.93:
	v_cmp_o_f32_e32 vcc, v8, v8
	s_and_saveexec_b64 s[0:1], vcc
	s_xor_b64 s[16:17], exec, s[0:1]
	s_cbranch_execz .LBB229_117
; %bb.94:
	s_mov_b32 s0, 0x7f800000
	v_cmp_neq_f32_e64 s[0:1], |v8|, s0
	s_and_saveexec_b64 s[2:3], s[0:1]
	s_xor_b64 s[18:19], exec, s[2:3]
	s_cbranch_execz .LBB229_110
; %bb.95:
	v_max_f32_e64 v1, |v9|, |v9|
	v_max_f32_e64 v4, |v8|, |v8|
	v_max_f32_e32 v1, v4, v1
	s_mov_b32 s0, 0x7ed413cb
	v_cmp_nle_f32_e64 s[0:1], s0, v1
                                        ; implicit-def: $sgpr20_sgpr21
	s_and_saveexec_b64 s[2:3], s[0:1]
	s_xor_b64 s[2:3], exec, s[2:3]
	s_cbranch_execz .LBB229_99
; %bb.96:
	s_mov_b32 s7, 0x1000000
	v_cmp_le_f32_e64 s[20:21], |v8|, s7
	v_cmp_le_f32_e64 s[22:23], |v9|, s7
	s_and_b64 s[26:27], s[20:21], s[22:23]
	s_mov_b64 s[20:21], 0
	s_and_saveexec_b64 s[22:23], s[26:27]
; %bb.97:
	v_mov_b32_e32 v6, v9
	v_mov_b32_e32 v7, v8
	v_pk_mul_f32 v[6:7], v[6:7], 4.0 op_sel_hi:[1,0]
	s_mov_b64 s[20:21], exec
	v_mov_b32_e32 v8, v7
	v_mov_b32_e32 v9, v6
; %bb.98:
	s_or_b64 exec, exec, s[22:23]
.LBB229_99:
	s_andn2_saveexec_b64 s[2:3], s[2:3]
; %bb.100:
	v_mov_b32_e32 v6, v9
	v_mov_b32_e32 v7, v8
	s_mov_b32 s22, 0x3e800000
	v_pk_mul_f32 v[6:7], v[6:7], s[22:23] op_sel_hi:[1,0]
	s_andn2_b64 s[20:21], s[20:21], exec
	v_mov_b32_e32 v9, v6
	v_mov_b32_e32 v8, v7
; %bb.101:
	s_or_b64 exec, exec, s[2:3]
	v_max_f32_e64 v1, |v9|, |v9|
	v_max_f32_e64 v4, |v8|, |v8|
	v_max_f32_e32 v1, v4, v1
	v_cvt_f64_f32_e32 v[6:7], v1
	v_frexp_exp_i32_f64_e32 v4, v[6:7]
	v_sub_u32_e32 v6, 0, v4
	v_ldexp_f32 v7, |v8|, v6
	v_ldexp_f32 v6, |v9|, v6
	v_mul_f32_e32 v6, v6, v6
	v_fmac_f32_e32 v6, v7, v7
	v_sqrt_f32_e32 v6, v6
	s_mov_b32 s2, 0x7f800000
	v_cmp_neq_f32_e64 s[2:3], s2, v1
	v_cmp_le_f32_e32 vcc, 0, v8
	v_ldexp_f32 v4, v6, v4
	v_mov_b32_e32 v6, 0x7f800000
	v_cndmask_b32_e64 v4, v6, v4, s[2:3]
                                        ; implicit-def: $vgpr6
                                        ; implicit-def: $vgpr1
	s_and_saveexec_b64 s[2:3], vcc
	s_xor_b64 s[22:23], exec, s[2:3]
	s_cbranch_execz .LBB229_103
; %bb.102:
	v_add_f32_e32 v1, v8, v4
	v_mul_f32_e32 v1, 0.5, v1
	s_mov_b32 s2, 0xf800000
	v_mul_f32_e32 v4, 0x4f800000, v1
	v_cmp_gt_f32_e32 vcc, s2, v1
	s_nop 1
	v_cndmask_b32_e32 v1, v1, v4, vcc
	v_sqrt_f32_e32 v4, v1
	s_nop 0
	v_add_u32_e32 v6, -1, v4
	v_fma_f32 v7, -v6, v4, v1
	v_cmp_ge_f32_e64 s[2:3], 0, v7
	v_add_u32_e32 v7, 1, v4
	s_nop 0
	v_cndmask_b32_e64 v6, v4, v6, s[2:3]
	v_fma_f32 v4, -v7, v4, v1
	v_cmp_lt_f32_e64 s[2:3], 0, v4
	s_nop 1
	v_cndmask_b32_e64 v4, v6, v7, s[2:3]
	v_mul_f32_e32 v6, 0x37800000, v4
	v_cndmask_b32_e32 v4, v4, v6, vcc
	v_mov_b32_e32 v6, 0x260
	v_cmp_class_f32_e32 vcc, v1, v6
	s_nop 1
	v_cndmask_b32_e32 v1, v4, v1, vcc
	v_add_f32_e32 v4, v1, v1
	v_div_scale_f32 v6, s[2:3], v4, v4, v9
	v_rcp_f32_e32 v7, v6
	s_nop 0
	v_fma_f32 v8, -v6, v7, 1.0
	v_fmac_f32_e32 v7, v8, v7
	v_div_scale_f32 v8, vcc, v9, v4, v9
	v_mul_f32_e32 v12, v8, v7
	v_fma_f32 v13, -v6, v12, v8
	v_fmac_f32_e32 v12, v13, v7
	v_fma_f32 v6, -v6, v12, v8
	v_div_fmas_f32 v6, v6, v7, v12
	v_div_fixup_f32 v6, v6, v4, v9
                                        ; implicit-def: $vgpr4
                                        ; implicit-def: $vgpr8
	s_andn2_saveexec_b64 s[22:23], s[22:23]
	s_cbranch_execz .LBB229_105
	s_branch .LBB229_104
.LBB229_103:
	s_andn2_saveexec_b64 s[22:23], s[22:23]
	s_cbranch_execz .LBB229_105
.LBB229_104:
	v_sub_f32_e32 v1, v4, v8
	v_mul_f32_e32 v1, 0.5, v1
	s_mov_b32 s2, 0xf800000
	v_mul_f32_e32 v4, 0x4f800000, v1
	v_cmp_gt_f32_e32 vcc, s2, v1
	s_nop 1
	v_cndmask_b32_e32 v1, v1, v4, vcc
	v_sqrt_f32_e32 v4, v1
	s_nop 0
	v_add_u32_e32 v6, -1, v4
	v_fma_f32 v7, -v6, v4, v1
	v_cmp_ge_f32_e64 s[2:3], 0, v7
	v_add_u32_e32 v7, 1, v4
	s_nop 0
	v_cndmask_b32_e64 v6, v4, v6, s[2:3]
	v_fma_f32 v4, -v7, v4, v1
	v_cmp_lt_f32_e64 s[2:3], 0, v4
	s_nop 1
	v_cndmask_b32_e64 v4, v6, v7, s[2:3]
	v_mul_f32_e32 v6, 0x37800000, v4
	v_cndmask_b32_e32 v4, v4, v6, vcc
	v_mov_b32_e32 v6, 0x260
	v_cmp_class_f32_e32 vcc, v1, v6
	v_and_b32_e32 v6, 0x7fffffff, v9
	s_nop 0
	v_cndmask_b32_e32 v4, v4, v1, vcc
	v_add_f32_e32 v1, v4, v4
	v_div_scale_f32 v7, s[2:3], v1, v1, v6
	v_rcp_f32_e32 v8, v7
	v_div_scale_f32 v6, vcc, v6, v1, v6
	s_brev_b32 s2, -2
	v_fma_f32 v12, -v7, v8, 1.0
	v_fmac_f32_e32 v8, v12, v8
	v_mul_f32_e32 v12, v6, v8
	v_fma_f32 v13, -v7, v12, v6
	v_fmac_f32_e32 v12, v13, v8
	v_fma_f32 v6, -v7, v12, v6
	v_div_fmas_f32 v6, v6, v8, v12
	v_div_fixup_f32 v1, v6, v1, |v9|
	v_bfi_b32 v6, s2, v4, v9
.LBB229_105:
	s_or_b64 exec, exec, s[22:23]
                                        ; implicit-def: $vgpr9
	s_and_saveexec_b64 s[2:3], s[0:1]
	s_xor_b64 s[0:1], exec, s[2:3]
	s_cbranch_execz .LBB229_107
; %bb.106:
	v_mul_f32_e32 v4, 0.5, v1
	v_mul_f32_e32 v7, 0.5, v6
	v_cndmask_b32_e64 v4, v1, v4, s[20:21]
	v_cndmask_b32_e64 v9, v6, v7, s[20:21]
                                        ; implicit-def: $vgpr1
                                        ; implicit-def: $vgpr6
	s_andn2_saveexec_b64 s[0:1], s[0:1]
	s_cbranch_execnz .LBB229_108
	s_branch .LBB229_109
.LBB229_107:
	s_andn2_saveexec_b64 s[0:1], s[0:1]
.LBB229_108:
	v_add_f32_e32 v4, v1, v1
	v_add_f32_e32 v9, v6, v6
.LBB229_109:
	s_or_b64 exec, exec, s[0:1]
.LBB229_110:
	s_andn2_saveexec_b64 s[0:1], s[18:19]
	s_cbranch_execz .LBB229_116
; %bb.111:
	v_sub_f32_e32 v1, v9, v9
	v_cmp_lt_i32_e32 vcc, -1, v8
	s_brev_b32 s7, -2
	v_and_b32_e32 v4, 0x7fffffff, v1
	s_and_saveexec_b64 s[2:3], vcc
	s_xor_b64 s[2:3], exec, s[2:3]
; %bb.112:
	v_bfi_b32 v9, s7, v1, v9
	v_mov_b32_e32 v4, v8
; %bb.113:
	s_andn2_saveexec_b64 s[2:3], s[2:3]
; %bb.114:
	v_bfi_b32 v9, s7, v8, v9
; %bb.115:
	s_or_b64 exec, exec, s[2:3]
.LBB229_116:
	s_or_b64 exec, exec, s[0:1]
.LBB229_117:
	s_andn2_saveexec_b64 s[0:1], s[16:17]
	s_cbranch_execz .LBB229_119
; %bb.118:
	v_sub_f32_e32 v1, v9, v9
	v_div_scale_f32 v4, vcc, v1, v1, v1
	v_rcp_f32_e32 v6, v4
	s_nop 0
	v_fma_f32 v7, -v4, v6, 1.0
	v_fmac_f32_e32 v6, v7, v6
	v_mul_f32_e32 v7, v4, v6
	v_fma_f32 v9, -v4, v7, v4
	v_fmac_f32_e32 v7, v9, v6
	v_fma_f32 v4, -v4, v7, v4
	v_div_fmas_f32 v4, v4, v6, v7
	v_div_fixup_f32 v9, v4, v1, v1
	v_mov_b32_e32 v4, v8
.LBB229_119:
	s_or_b64 exec, exec, s[0:1]
.LBB229_120:
	s_or_b64 exec, exec, s[14:15]
.LBB229_121:
	s_or_b64 exec, exec, s[12:13]
	s_add_u32 s0, s8, s4
	s_addc_u32 s1, s9, s5
	v_mov_b32_e32 v7, 0
	v_mov_b32_e32 v6, v14
	v_lshl_add_u64 v[6:7], s[0:1], 0, v[6:7]
	v_mov_b32_e32 v12, v15
	v_mov_b32_e32 v13, v5
	v_add_co_u32_e32 v6, vcc, 0x1000, v6
	global_store_dwordx4 v14, v[10:13], s[0:1]
	v_mov_b32_e32 v5, v9
	v_addc_co_u32_e32 v7, vcc, 0, v7, vcc
	s_mov_b64 s[0:1], 0
	global_store_dwordx4 v[6:7], v[2:5], off
.LBB229_122:
	s_and_b64 vcc, exec, s[0:1]
	s_cbranch_vccz .LBB229_267
; %bb.123:
	v_mov_b32_e32 v12, 0
	v_mov_b32_e32 v13, v12
	v_cmp_gt_i32_e64 s[0:1], s24, v0
	v_or_b32_e32 v2, s6, v0
	v_mov_b32_e32 v1, v0
	v_mov_b64_e32 v[10:11], v[12:13]
	s_and_saveexec_b64 s[2:3], s[0:1]
	s_cbranch_execz .LBB229_125
; %bb.124:
	v_mov_b32_e32 v3, v12
	v_lshl_add_u64 v[4:5], v[2:3], 3, s[10:11]
	global_load_dwordx2 v[10:11], v[4:5], off
	v_or_b32_e32 v1, 0x100, v0
.LBB229_125:
	s_or_b64 exec, exec, s[2:3]
	v_cmp_gt_i32_e32 vcc, s24, v1
	s_and_saveexec_b64 s[2:3], vcc
	s_cbranch_execz .LBB229_127
; %bb.126:
	v_add_u32_e32 v4, s6, v1
	v_mov_b32_e32 v5, 0
	v_lshl_add_u64 v[4:5], v[4:5], 3, s[10:11]
	global_load_dwordx2 v[12:13], v[4:5], off
	v_add_u32_e32 v1, 0x100, v1
.LBB229_127:
	s_or_b64 exec, exec, s[2:3]
	v_mov_b32_e32 v4, 0
	v_mov_b32_e32 v5, v4
	v_cmp_gt_i32_e32 vcc, s24, v1
	v_mov_b64_e32 v[8:9], v[4:5]
	s_and_saveexec_b64 s[2:3], vcc
	s_cbranch_execz .LBB229_129
; %bb.128:
	v_add_u32_e32 v6, s6, v1
	v_mov_b32_e32 v7, v4
	v_lshl_add_u64 v[6:7], v[6:7], 3, s[10:11]
	global_load_dwordx2 v[8:9], v[6:7], off
	v_add_u32_e32 v1, 0x100, v1
.LBB229_129:
	s_or_b64 exec, exec, s[2:3]
	v_cmp_gt_i32_e32 vcc, s24, v1
	s_and_saveexec_b64 s[2:3], vcc
	s_cbranch_execz .LBB229_131
; %bb.130:
	v_add_u32_e32 v4, s6, v1
	v_mov_b32_e32 v5, 0
	v_lshl_add_u64 v[4:5], v[4:5], 3, s[10:11]
	global_load_dwordx2 v[4:5], v[4:5], off
.LBB229_131:
	s_or_b64 exec, exec, s[2:3]
	v_mov_b32_e32 v7, 0
	v_mov_b32_e32 v6, 0
	s_and_saveexec_b64 s[10:11], s[0:1]
	s_cbranch_execz .LBB229_163
; %bb.132:
	s_waitcnt vmcnt(0)
	v_cmp_neq_f32_e32 vcc, 0, v10
	v_cmp_neq_f32_e64 s[2:3], 0, v11
	v_mov_b32_e32 v6, 0
	s_or_b64 s[2:3], vcc, s[2:3]
	s_and_saveexec_b64 s[12:13], s[2:3]
	s_cbranch_execz .LBB229_162
; %bb.133:
	v_mov_b32_e32 v6, 0x7f800000
	v_cmp_neq_f32_e64 s[2:3], |v11|, v6
	s_and_saveexec_b64 s[14:15], s[2:3]
	s_cbranch_execz .LBB229_161
; %bb.134:
	v_cmp_o_f32_e32 vcc, v10, v10
                                        ; implicit-def: $vgpr6
	s_and_saveexec_b64 s[2:3], vcc
	s_xor_b64 s[16:17], exec, s[2:3]
	s_cbranch_execz .LBB229_158
; %bb.135:
	s_mov_b32 s2, 0x7f800000
	v_cmp_neq_f32_e64 s[2:3], |v10|, s2
                                        ; implicit-def: $vgpr6
	s_and_saveexec_b64 s[4:5], s[2:3]
	s_xor_b64 s[18:19], exec, s[4:5]
	s_cbranch_execz .LBB229_151
; %bb.136:
	v_max_f32_e64 v1, |v10|, |v10|
	v_max_f32_e64 v3, |v11|, |v11|
	v_max_f32_e32 v1, v3, v1
	s_mov_b32 s2, 0x7ed413cb
	v_cmp_nle_f32_e64 s[2:3], s2, v1
                                        ; implicit-def: $sgpr20_sgpr21
	s_and_saveexec_b64 s[4:5], s[2:3]
	s_xor_b64 s[4:5], exec, s[4:5]
	s_cbranch_execz .LBB229_140
; %bb.137:
	s_mov_b32 s7, 0x1000000
	v_cmp_le_f32_e64 s[20:21], |v10|, s7
	v_cmp_le_f32_e64 s[22:23], |v11|, s7
	s_and_b64 s[26:27], s[22:23], s[20:21]
	s_mov_b64 s[20:21], 0
	s_and_saveexec_b64 s[22:23], s[26:27]
; %bb.138:
	s_mov_b64 s[20:21], exec
	v_pk_mul_f32 v[10:11], v[10:11], 4.0 op_sel_hi:[1,0]
; %bb.139:
	s_or_b64 exec, exec, s[22:23]
.LBB229_140:
	s_andn2_saveexec_b64 s[4:5], s[4:5]
; %bb.141:
	s_mov_b32 s22, 0x3e800000
	v_pk_mul_f32 v[10:11], v[10:11], s[22:23] op_sel_hi:[1,0]
	s_andn2_b64 s[20:21], s[20:21], exec
; %bb.142:
	s_or_b64 exec, exec, s[4:5]
	v_max_f32_e64 v1, |v11|, |v11|
	v_max_f32_e64 v3, |v10|, |v10|
	v_max_f32_e32 v1, v3, v1
	v_cvt_f64_f32_e32 v[6:7], v1
	v_frexp_exp_i32_f64_e32 v3, v[6:7]
	v_sub_u32_e32 v6, 0, v3
	v_ldexp_f32 v7, |v10|, v6
	v_ldexp_f32 v6, |v11|, v6
	v_mul_f32_e32 v6, v6, v6
	v_fmac_f32_e32 v6, v7, v7
	v_sqrt_f32_e32 v6, v6
	s_mov_b32 s4, 0x7f800000
	v_cmp_neq_f32_e64 s[4:5], s4, v1
	v_cmp_le_f32_e32 vcc, 0, v10
	v_ldexp_f32 v3, v6, v3
	v_mov_b32_e32 v6, 0x7f800000
	v_cndmask_b32_e64 v1, v6, v3, s[4:5]
                                        ; implicit-def: $vgpr14_vgpr15
	s_and_saveexec_b64 s[4:5], vcc
	s_xor_b64 s[22:23], exec, s[4:5]
	s_cbranch_execz .LBB229_144
; %bb.143:
	v_add_f32_e32 v1, v10, v1
	v_mul_f32_e32 v1, 0.5, v1
	s_mov_b32 s4, 0xf800000
	v_mul_f32_e32 v3, 0x4f800000, v1
	v_cmp_gt_f32_e32 vcc, s4, v1
	s_nop 1
	v_cndmask_b32_e32 v1, v1, v3, vcc
	v_sqrt_f32_e32 v3, v1
	s_nop 0
	v_add_u32_e32 v6, -1, v3
	v_fma_f32 v7, -v6, v3, v1
	v_cmp_ge_f32_e64 s[4:5], 0, v7
	v_add_u32_e32 v7, 1, v3
	s_nop 0
	v_cndmask_b32_e64 v6, v3, v6, s[4:5]
	v_fma_f32 v3, -v7, v3, v1
	v_cmp_lt_f32_e64 s[4:5], 0, v3
	s_nop 1
	v_cndmask_b32_e64 v3, v6, v7, s[4:5]
	v_mul_f32_e32 v6, 0x37800000, v3
	v_cndmask_b32_e32 v3, v3, v6, vcc
	v_mov_b32_e32 v6, 0x260
	v_cmp_class_f32_e32 vcc, v1, v6
	s_nop 1
	v_cndmask_b32_e32 v14, v3, v1, vcc
	v_add_f32_e32 v1, v14, v14
	v_div_scale_f32 v3, s[4:5], v1, v1, v11
	v_rcp_f32_e32 v6, v3
	s_nop 0
	v_fma_f32 v7, -v3, v6, 1.0
	v_fmac_f32_e32 v6, v7, v6
	v_div_scale_f32 v7, vcc, v11, v1, v11
	v_mul_f32_e32 v10, v7, v6
	v_fma_f32 v15, -v3, v10, v7
	v_fmac_f32_e32 v10, v15, v6
	v_fma_f32 v3, -v3, v10, v7
	v_div_fmas_f32 v3, v3, v6, v10
	v_div_fixup_f32 v15, v3, v1, v11
                                        ; implicit-def: $vgpr1
                                        ; implicit-def: $vgpr10_vgpr11
	s_andn2_saveexec_b64 s[22:23], s[22:23]
	s_cbranch_execz .LBB229_146
	s_branch .LBB229_145
.LBB229_144:
	s_andn2_saveexec_b64 s[22:23], s[22:23]
	s_cbranch_execz .LBB229_146
.LBB229_145:
	v_sub_f32_e32 v1, v1, v10
	v_mul_f32_e32 v1, 0.5, v1
	s_mov_b32 s4, 0xf800000
	v_mul_f32_e32 v3, 0x4f800000, v1
	v_cmp_gt_f32_e32 vcc, s4, v1
	s_nop 1
	v_cndmask_b32_e32 v1, v1, v3, vcc
	v_sqrt_f32_e32 v3, v1
	s_nop 0
	v_add_u32_e32 v6, -1, v3
	v_fma_f32 v7, -v6, v3, v1
	v_cmp_ge_f32_e64 s[4:5], 0, v7
	v_add_u32_e32 v7, 1, v3
	s_nop 0
	v_cndmask_b32_e64 v6, v3, v6, s[4:5]
	v_fma_f32 v3, -v7, v3, v1
	v_cmp_lt_f32_e64 s[4:5], 0, v3
	s_nop 1
	v_cndmask_b32_e64 v3, v6, v7, s[4:5]
	v_mul_f32_e32 v6, 0x37800000, v3
	v_cndmask_b32_e32 v3, v3, v6, vcc
	v_mov_b32_e32 v6, 0x260
	v_cmp_class_f32_e32 vcc, v1, v6
	v_and_b32_e32 v6, 0x7fffffff, v11
	s_nop 0
	v_cndmask_b32_e32 v1, v3, v1, vcc
	v_add_f32_e32 v3, v1, v1
	v_div_scale_f32 v7, s[4:5], v3, v3, v6
	v_rcp_f32_e32 v10, v7
	v_div_scale_f32 v6, vcc, v6, v3, v6
	s_brev_b32 s4, -2
	v_fma_f32 v14, -v7, v10, 1.0
	v_fmac_f32_e32 v10, v14, v10
	v_mul_f32_e32 v14, v6, v10
	v_fma_f32 v15, -v7, v14, v6
	v_fmac_f32_e32 v14, v15, v10
	v_fma_f32 v6, -v7, v14, v6
	v_div_fmas_f32 v6, v6, v10, v14
	v_div_fixup_f32 v14, v6, v3, |v11|
	v_bfi_b32 v15, s4, v1, v11
.LBB229_146:
	s_or_b64 exec, exec, s[22:23]
                                        ; implicit-def: $vgpr11
                                        ; implicit-def: $vgpr6
	s_and_saveexec_b64 s[4:5], s[2:3]
	s_xor_b64 s[2:3], exec, s[4:5]
	s_cbranch_execz .LBB229_148
; %bb.147:
	v_pk_mul_f32 v[6:7], v[14:15], 0.5 op_sel_hi:[1,0]
	s_nop 0
	v_cndmask_b32_e64 v6, v14, v6, s[20:21]
	v_cndmask_b32_e64 v11, v15, v7, s[20:21]
                                        ; implicit-def: $vgpr14_vgpr15
	s_andn2_saveexec_b64 s[2:3], s[2:3]
	s_cbranch_execnz .LBB229_149
	s_branch .LBB229_150
.LBB229_148:
	s_andn2_saveexec_b64 s[2:3], s[2:3]
.LBB229_149:
	v_pk_add_f32 v[10:11], v[14:15], v[14:15]
	s_nop 0
	v_mov_b32_e32 v6, v10
.LBB229_150:
	s_or_b64 exec, exec, s[2:3]
.LBB229_151:
	s_andn2_saveexec_b64 s[2:3], s[18:19]
	s_cbranch_execz .LBB229_157
; %bb.152:
	v_sub_f32_e32 v1, v11, v11
	v_cmp_lt_i32_e32 vcc, -1, v10
	s_brev_b32 s7, -2
	v_and_b32_e32 v6, 0x7fffffff, v1
	s_and_saveexec_b64 s[4:5], vcc
	s_xor_b64 s[4:5], exec, s[4:5]
; %bb.153:
	v_bfi_b32 v11, s7, v1, v11
	v_mov_b32_e32 v6, v10
; %bb.154:
	s_andn2_saveexec_b64 s[4:5], s[4:5]
; %bb.155:
	v_bfi_b32 v11, s7, v10, v11
; %bb.156:
	s_or_b64 exec, exec, s[4:5]
.LBB229_157:
	s_or_b64 exec, exec, s[2:3]
.LBB229_158:
	s_andn2_saveexec_b64 s[2:3], s[16:17]
	s_cbranch_execz .LBB229_160
; %bb.159:
	v_sub_f32_e32 v1, v11, v11
	v_div_scale_f32 v3, vcc, v1, v1, v1
	v_rcp_f32_e32 v6, v3
	s_nop 0
	v_fma_f32 v7, -v3, v6, 1.0
	v_fmac_f32_e32 v6, v7, v6
	v_mul_f32_e32 v7, v3, v6
	v_fma_f32 v11, -v3, v7, v3
	v_fmac_f32_e32 v7, v11, v6
	v_fma_f32 v3, -v3, v7, v3
	v_div_fmas_f32 v3, v3, v6, v7
	v_div_fixup_f32 v11, v3, v1, v1
	v_mov_b32_e32 v6, v10
.LBB229_160:
	s_or_b64 exec, exec, s[2:3]
.LBB229_161:
	s_or_b64 exec, exec, s[14:15]
.LBB229_162:
	s_or_b64 exec, exec, s[12:13]
	v_mov_b32_e32 v7, v11
.LBB229_163:
	s_or_b64 exec, exec, s[10:11]
	v_or_b32_e32 v1, 0x100, v0
	v_cmp_gt_i32_e32 vcc, s24, v1
	s_waitcnt vmcnt(0)
	v_mov_b32_e32 v11, 0
	v_mov_b32_e32 v10, 0
	s_and_saveexec_b64 s[10:11], vcc
	s_cbranch_execz .LBB229_195
; %bb.164:
	v_cmp_neq_f32_e32 vcc, 0, v12
	v_cmp_neq_f32_e64 s[2:3], 0, v13
	v_mov_b32_e32 v10, 0
	s_or_b64 s[2:3], vcc, s[2:3]
	s_and_saveexec_b64 s[12:13], s[2:3]
	s_cbranch_execz .LBB229_194
; %bb.165:
	v_mov_b32_e32 v10, 0x7f800000
	v_cmp_neq_f32_e64 s[2:3], |v13|, v10
	s_and_saveexec_b64 s[14:15], s[2:3]
	s_cbranch_execz .LBB229_193
; %bb.166:
	v_cmp_o_f32_e32 vcc, v12, v12
                                        ; implicit-def: $vgpr10
	s_and_saveexec_b64 s[2:3], vcc
	s_xor_b64 s[16:17], exec, s[2:3]
	s_cbranch_execz .LBB229_190
; %bb.167:
	s_mov_b32 s2, 0x7f800000
	v_cmp_neq_f32_e64 s[2:3], |v12|, s2
                                        ; implicit-def: $vgpr10
	s_and_saveexec_b64 s[4:5], s[2:3]
	s_xor_b64 s[18:19], exec, s[4:5]
	s_cbranch_execz .LBB229_183
; %bb.168:
	v_max_f32_e64 v3, |v12|, |v12|
	v_max_f32_e64 v10, |v13|, |v13|
	v_max_f32_e32 v3, v10, v3
	s_mov_b32 s2, 0x7ed413cb
	v_cmp_nle_f32_e64 s[2:3], s2, v3
                                        ; implicit-def: $sgpr20_sgpr21
	s_and_saveexec_b64 s[4:5], s[2:3]
	s_xor_b64 s[4:5], exec, s[4:5]
	s_cbranch_execz .LBB229_172
; %bb.169:
	s_mov_b32 s7, 0x1000000
	v_cmp_le_f32_e64 s[20:21], |v12|, s7
	v_cmp_le_f32_e64 s[22:23], |v13|, s7
	s_and_b64 s[26:27], s[22:23], s[20:21]
	s_mov_b64 s[20:21], 0
	s_and_saveexec_b64 s[22:23], s[26:27]
; %bb.170:
	s_mov_b64 s[20:21], exec
	v_pk_mul_f32 v[12:13], v[12:13], 4.0 op_sel_hi:[1,0]
; %bb.171:
	s_or_b64 exec, exec, s[22:23]
.LBB229_172:
	s_andn2_saveexec_b64 s[4:5], s[4:5]
; %bb.173:
	s_mov_b32 s22, 0x3e800000
	v_pk_mul_f32 v[12:13], v[12:13], s[22:23] op_sel_hi:[1,0]
	s_andn2_b64 s[20:21], s[20:21], exec
; %bb.174:
	s_or_b64 exec, exec, s[4:5]
	v_max_f32_e64 v3, |v13|, |v13|
	v_max_f32_e64 v10, |v12|, |v12|
	v_max_f32_e32 v3, v10, v3
	v_cvt_f64_f32_e32 v[10:11], v3
	v_frexp_exp_i32_f64_e32 v10, v[10:11]
	v_sub_u32_e32 v11, 0, v10
	v_ldexp_f32 v14, |v12|, v11
	v_ldexp_f32 v11, |v13|, v11
	v_mul_f32_e32 v11, v11, v11
	v_fmac_f32_e32 v11, v14, v14
	v_sqrt_f32_e32 v11, v11
	s_mov_b32 s4, 0x7f800000
	v_cmp_neq_f32_e64 s[4:5], s4, v3
	v_cmp_le_f32_e32 vcc, 0, v12
	v_ldexp_f32 v10, v11, v10
	v_mov_b32_e32 v11, 0x7f800000
	v_cndmask_b32_e64 v3, v11, v10, s[4:5]
                                        ; implicit-def: $vgpr14_vgpr15
	s_and_saveexec_b64 s[4:5], vcc
	s_xor_b64 s[22:23], exec, s[4:5]
	s_cbranch_execz .LBB229_176
; %bb.175:
	v_add_f32_e32 v3, v12, v3
	v_mul_f32_e32 v3, 0.5, v3
	s_mov_b32 s4, 0xf800000
	v_mul_f32_e32 v10, 0x4f800000, v3
	v_cmp_gt_f32_e32 vcc, s4, v3
	s_nop 1
	v_cndmask_b32_e32 v3, v3, v10, vcc
	v_sqrt_f32_e32 v10, v3
	s_nop 0
	v_add_u32_e32 v11, -1, v10
	v_fma_f32 v12, -v11, v10, v3
	v_cmp_ge_f32_e64 s[4:5], 0, v12
	v_add_u32_e32 v12, 1, v10
	s_nop 0
	v_cndmask_b32_e64 v11, v10, v11, s[4:5]
	v_fma_f32 v10, -v12, v10, v3
	v_cmp_lt_f32_e64 s[4:5], 0, v10
	s_nop 1
	v_cndmask_b32_e64 v10, v11, v12, s[4:5]
	v_mul_f32_e32 v11, 0x37800000, v10
	v_cndmask_b32_e32 v10, v10, v11, vcc
	v_mov_b32_e32 v11, 0x260
	v_cmp_class_f32_e32 vcc, v3, v11
	s_nop 1
	v_cndmask_b32_e32 v14, v10, v3, vcc
	v_add_f32_e32 v3, v14, v14
	v_div_scale_f32 v10, s[4:5], v3, v3, v13
	v_rcp_f32_e32 v11, v10
	s_nop 0
	v_fma_f32 v12, -v10, v11, 1.0
	v_fmac_f32_e32 v11, v12, v11
	v_div_scale_f32 v12, vcc, v13, v3, v13
	v_mul_f32_e32 v15, v12, v11
	v_fma_f32 v16, -v10, v15, v12
	v_fmac_f32_e32 v15, v16, v11
	v_fma_f32 v10, -v10, v15, v12
	v_div_fmas_f32 v10, v10, v11, v15
	v_div_fixup_f32 v15, v10, v3, v13
                                        ; implicit-def: $vgpr3
                                        ; implicit-def: $vgpr12_vgpr13
	s_andn2_saveexec_b64 s[22:23], s[22:23]
	s_cbranch_execz .LBB229_178
	s_branch .LBB229_177
.LBB229_176:
	s_andn2_saveexec_b64 s[22:23], s[22:23]
	s_cbranch_execz .LBB229_178
.LBB229_177:
	v_sub_f32_e32 v3, v3, v12
	v_mul_f32_e32 v3, 0.5, v3
	s_mov_b32 s4, 0xf800000
	v_mul_f32_e32 v10, 0x4f800000, v3
	v_cmp_gt_f32_e32 vcc, s4, v3
	s_nop 1
	v_cndmask_b32_e32 v3, v3, v10, vcc
	v_sqrt_f32_e32 v10, v3
	s_nop 0
	v_add_u32_e32 v11, -1, v10
	v_fma_f32 v12, -v11, v10, v3
	v_cmp_ge_f32_e64 s[4:5], 0, v12
	v_add_u32_e32 v12, 1, v10
	s_nop 0
	v_cndmask_b32_e64 v11, v10, v11, s[4:5]
	v_fma_f32 v10, -v12, v10, v3
	v_cmp_lt_f32_e64 s[4:5], 0, v10
	s_nop 1
	v_cndmask_b32_e64 v10, v11, v12, s[4:5]
	v_mul_f32_e32 v11, 0x37800000, v10
	v_cndmask_b32_e32 v10, v10, v11, vcc
	v_mov_b32_e32 v11, 0x260
	v_cmp_class_f32_e32 vcc, v3, v11
	v_and_b32_e32 v11, 0x7fffffff, v13
	s_nop 0
	v_cndmask_b32_e32 v3, v10, v3, vcc
	v_add_f32_e32 v10, v3, v3
	v_div_scale_f32 v12, s[4:5], v10, v10, v11
	v_rcp_f32_e32 v14, v12
	v_div_scale_f32 v11, vcc, v11, v10, v11
	s_brev_b32 s4, -2
	v_fma_f32 v15, -v12, v14, 1.0
	v_fmac_f32_e32 v14, v15, v14
	v_mul_f32_e32 v15, v11, v14
	v_fma_f32 v16, -v12, v15, v11
	v_fmac_f32_e32 v15, v16, v14
	v_fma_f32 v11, -v12, v15, v11
	v_div_fmas_f32 v11, v11, v14, v15
	v_div_fixup_f32 v14, v11, v10, |v13|
	v_bfi_b32 v15, s4, v3, v13
.LBB229_178:
	s_or_b64 exec, exec, s[22:23]
                                        ; implicit-def: $vgpr13
                                        ; implicit-def: $vgpr10
	s_and_saveexec_b64 s[4:5], s[2:3]
	s_xor_b64 s[2:3], exec, s[4:5]
	s_cbranch_execz .LBB229_180
; %bb.179:
	v_pk_mul_f32 v[10:11], v[14:15], 0.5 op_sel_hi:[1,0]
	s_nop 0
	v_cndmask_b32_e64 v10, v14, v10, s[20:21]
	v_cndmask_b32_e64 v13, v15, v11, s[20:21]
                                        ; implicit-def: $vgpr14_vgpr15
	s_andn2_saveexec_b64 s[2:3], s[2:3]
	s_cbranch_execnz .LBB229_181
	s_branch .LBB229_182
.LBB229_180:
	s_andn2_saveexec_b64 s[2:3], s[2:3]
.LBB229_181:
	v_pk_add_f32 v[12:13], v[14:15], v[14:15]
	s_nop 0
	v_mov_b32_e32 v10, v12
.LBB229_182:
	s_or_b64 exec, exec, s[2:3]
.LBB229_183:
	s_andn2_saveexec_b64 s[2:3], s[18:19]
	s_cbranch_execz .LBB229_189
; %bb.184:
	v_sub_f32_e32 v3, v13, v13
	v_cmp_lt_i32_e32 vcc, -1, v12
	s_brev_b32 s7, -2
	v_and_b32_e32 v10, 0x7fffffff, v3
	s_and_saveexec_b64 s[4:5], vcc
	s_xor_b64 s[4:5], exec, s[4:5]
; %bb.185:
	v_bfi_b32 v13, s7, v3, v13
	v_mov_b32_e32 v10, v12
; %bb.186:
	s_andn2_saveexec_b64 s[4:5], s[4:5]
; %bb.187:
	v_bfi_b32 v13, s7, v12, v13
; %bb.188:
	s_or_b64 exec, exec, s[4:5]
.LBB229_189:
	s_or_b64 exec, exec, s[2:3]
.LBB229_190:
	s_andn2_saveexec_b64 s[2:3], s[16:17]
	s_cbranch_execz .LBB229_192
; %bb.191:
	v_sub_f32_e32 v3, v13, v13
	v_div_scale_f32 v10, vcc, v3, v3, v3
	v_rcp_f32_e32 v11, v10
	s_nop 0
	v_fma_f32 v13, -v10, v11, 1.0
	v_fmac_f32_e32 v11, v13, v11
	v_mul_f32_e32 v13, v10, v11
	v_fma_f32 v14, -v10, v13, v10
	v_fmac_f32_e32 v13, v14, v11
	v_fma_f32 v10, -v10, v13, v10
	v_div_fmas_f32 v10, v10, v11, v13
	v_div_fixup_f32 v13, v10, v3, v3
	v_mov_b32_e32 v10, v12
.LBB229_192:
	s_or_b64 exec, exec, s[2:3]
.LBB229_193:
	s_or_b64 exec, exec, s[14:15]
.LBB229_194:
	s_or_b64 exec, exec, s[12:13]
	v_mov_b32_e32 v11, v13
.LBB229_195:
	s_or_b64 exec, exec, s[10:11]
	v_or_b32_e32 v3, 0x200, v0
	v_cmp_gt_i32_e32 vcc, s24, v3
	v_mov_b32_e32 v13, 0
	v_mov_b32_e32 v12, 0
	s_and_saveexec_b64 s[10:11], vcc
	s_cbranch_execz .LBB229_227
; %bb.196:
	v_cmp_neq_f32_e32 vcc, 0, v8
	v_cmp_neq_f32_e64 s[2:3], 0, v9
	v_mov_b32_e32 v12, 0
	s_or_b64 s[2:3], vcc, s[2:3]
	s_and_saveexec_b64 s[12:13], s[2:3]
	s_cbranch_execz .LBB229_226
; %bb.197:
	v_mov_b32_e32 v12, 0x7f800000
	v_cmp_neq_f32_e64 s[2:3], |v9|, v12
	s_and_saveexec_b64 s[14:15], s[2:3]
	s_cbranch_execz .LBB229_225
; %bb.198:
	v_cmp_o_f32_e32 vcc, v8, v8
                                        ; implicit-def: $vgpr12
	s_and_saveexec_b64 s[2:3], vcc
	s_xor_b64 s[16:17], exec, s[2:3]
	s_cbranch_execz .LBB229_222
; %bb.199:
	s_mov_b32 s2, 0x7f800000
	v_cmp_neq_f32_e64 s[2:3], |v8|, s2
                                        ; implicit-def: $vgpr12
	s_and_saveexec_b64 s[4:5], s[2:3]
	s_xor_b64 s[18:19], exec, s[4:5]
	s_cbranch_execz .LBB229_215
; %bb.200:
	v_max_f32_e64 v3, |v8|, |v8|
	v_max_f32_e64 v12, |v9|, |v9|
	v_max_f32_e32 v3, v12, v3
	s_mov_b32 s2, 0x7ed413cb
	v_cmp_nle_f32_e64 s[2:3], s2, v3
                                        ; implicit-def: $sgpr20_sgpr21
	s_and_saveexec_b64 s[4:5], s[2:3]
	s_xor_b64 s[4:5], exec, s[4:5]
	s_cbranch_execz .LBB229_204
; %bb.201:
	s_mov_b32 s7, 0x1000000
	v_cmp_le_f32_e64 s[20:21], |v8|, s7
	v_cmp_le_f32_e64 s[22:23], |v9|, s7
	s_and_b64 s[26:27], s[22:23], s[20:21]
	s_mov_b64 s[20:21], 0
	s_and_saveexec_b64 s[22:23], s[26:27]
; %bb.202:
	s_mov_b64 s[20:21], exec
	v_pk_mul_f32 v[8:9], v[8:9], 4.0 op_sel_hi:[1,0]
; %bb.203:
	s_or_b64 exec, exec, s[22:23]
.LBB229_204:
	s_andn2_saveexec_b64 s[4:5], s[4:5]
; %bb.205:
	s_mov_b32 s22, 0x3e800000
	v_pk_mul_f32 v[8:9], v[8:9], s[22:23] op_sel_hi:[1,0]
	s_andn2_b64 s[20:21], s[20:21], exec
; %bb.206:
	s_or_b64 exec, exec, s[4:5]
	v_max_f32_e64 v3, |v9|, |v9|
	v_max_f32_e64 v12, |v8|, |v8|
	v_max_f32_e32 v3, v12, v3
	v_cvt_f64_f32_e32 v[12:13], v3
	v_frexp_exp_i32_f64_e32 v12, v[12:13]
	v_sub_u32_e32 v13, 0, v12
	v_ldexp_f32 v14, |v8|, v13
	v_ldexp_f32 v13, |v9|, v13
	v_mul_f32_e32 v13, v13, v13
	v_fmac_f32_e32 v13, v14, v14
	v_sqrt_f32_e32 v13, v13
	s_mov_b32 s4, 0x7f800000
	v_cmp_neq_f32_e64 s[4:5], s4, v3
	v_cmp_le_f32_e32 vcc, 0, v8
	v_ldexp_f32 v12, v13, v12
	v_mov_b32_e32 v13, 0x7f800000
	v_cndmask_b32_e64 v3, v13, v12, s[4:5]
                                        ; implicit-def: $vgpr14_vgpr15
	s_and_saveexec_b64 s[4:5], vcc
	s_xor_b64 s[22:23], exec, s[4:5]
	s_cbranch_execz .LBB229_208
; %bb.207:
	v_add_f32_e32 v3, v8, v3
	v_mul_f32_e32 v3, 0.5, v3
	s_mov_b32 s4, 0xf800000
	v_mul_f32_e32 v8, 0x4f800000, v3
	v_cmp_gt_f32_e32 vcc, s4, v3
	s_nop 1
	v_cndmask_b32_e32 v3, v3, v8, vcc
	v_sqrt_f32_e32 v8, v3
	s_nop 0
	v_add_u32_e32 v12, -1, v8
	v_fma_f32 v13, -v12, v8, v3
	v_cmp_ge_f32_e64 s[4:5], 0, v13
	v_add_u32_e32 v13, 1, v8
	s_nop 0
	v_cndmask_b32_e64 v12, v8, v12, s[4:5]
	v_fma_f32 v8, -v13, v8, v3
	v_cmp_lt_f32_e64 s[4:5], 0, v8
	s_nop 1
	v_cndmask_b32_e64 v8, v12, v13, s[4:5]
	v_mul_f32_e32 v12, 0x37800000, v8
	v_cndmask_b32_e32 v8, v8, v12, vcc
	v_mov_b32_e32 v12, 0x260
	v_cmp_class_f32_e32 vcc, v3, v12
	s_nop 1
	v_cndmask_b32_e32 v14, v8, v3, vcc
	v_add_f32_e32 v3, v14, v14
	v_div_scale_f32 v8, s[4:5], v3, v3, v9
	v_rcp_f32_e32 v12, v8
	s_nop 0
	v_fma_f32 v13, -v8, v12, 1.0
	v_fmac_f32_e32 v12, v13, v12
	v_div_scale_f32 v13, vcc, v9, v3, v9
	v_mul_f32_e32 v15, v13, v12
	v_fma_f32 v16, -v8, v15, v13
	v_fmac_f32_e32 v15, v16, v12
	v_fma_f32 v8, -v8, v15, v13
	v_div_fmas_f32 v8, v8, v12, v15
	v_div_fixup_f32 v15, v8, v3, v9
                                        ; implicit-def: $vgpr3
                                        ; implicit-def: $vgpr8_vgpr9
	s_andn2_saveexec_b64 s[22:23], s[22:23]
	s_cbranch_execz .LBB229_210
	s_branch .LBB229_209
.LBB229_208:
	s_andn2_saveexec_b64 s[22:23], s[22:23]
	s_cbranch_execz .LBB229_210
.LBB229_209:
	v_sub_f32_e32 v3, v3, v8
	v_mul_f32_e32 v3, 0.5, v3
	s_mov_b32 s4, 0xf800000
	v_mul_f32_e32 v8, 0x4f800000, v3
	v_cmp_gt_f32_e32 vcc, s4, v3
	s_nop 1
	v_cndmask_b32_e32 v3, v3, v8, vcc
	v_sqrt_f32_e32 v8, v3
	s_nop 0
	v_add_u32_e32 v12, -1, v8
	v_fma_f32 v13, -v12, v8, v3
	v_cmp_ge_f32_e64 s[4:5], 0, v13
	v_add_u32_e32 v13, 1, v8
	s_nop 0
	v_cndmask_b32_e64 v12, v8, v12, s[4:5]
	v_fma_f32 v8, -v13, v8, v3
	v_cmp_lt_f32_e64 s[4:5], 0, v8
	s_nop 1
	v_cndmask_b32_e64 v8, v12, v13, s[4:5]
	v_mul_f32_e32 v12, 0x37800000, v8
	v_cndmask_b32_e32 v8, v8, v12, vcc
	v_mov_b32_e32 v12, 0x260
	v_cmp_class_f32_e32 vcc, v3, v12
	v_and_b32_e32 v12, 0x7fffffff, v9
	s_nop 0
	v_cndmask_b32_e32 v3, v8, v3, vcc
	v_add_f32_e32 v8, v3, v3
	v_div_scale_f32 v13, s[4:5], v8, v8, v12
	v_rcp_f32_e32 v14, v13
	v_div_scale_f32 v12, vcc, v12, v8, v12
	s_brev_b32 s4, -2
	v_fma_f32 v15, -v13, v14, 1.0
	v_fmac_f32_e32 v14, v15, v14
	v_mul_f32_e32 v15, v12, v14
	v_fma_f32 v16, -v13, v15, v12
	v_fmac_f32_e32 v15, v16, v14
	v_fma_f32 v12, -v13, v15, v12
	v_div_fmas_f32 v12, v12, v14, v15
	v_div_fixup_f32 v14, v12, v8, |v9|
	v_bfi_b32 v15, s4, v3, v9
.LBB229_210:
	s_or_b64 exec, exec, s[22:23]
                                        ; implicit-def: $vgpr9
                                        ; implicit-def: $vgpr12
	s_and_saveexec_b64 s[4:5], s[2:3]
	s_xor_b64 s[2:3], exec, s[4:5]
	s_cbranch_execz .LBB229_212
; %bb.211:
	v_pk_mul_f32 v[8:9], v[14:15], 0.5 op_sel_hi:[1,0]
	s_nop 0
	v_cndmask_b32_e64 v12, v14, v8, s[20:21]
	v_cndmask_b32_e64 v9, v15, v9, s[20:21]
                                        ; implicit-def: $vgpr14_vgpr15
	s_andn2_saveexec_b64 s[2:3], s[2:3]
	s_cbranch_execnz .LBB229_213
	s_branch .LBB229_214
.LBB229_212:
	s_andn2_saveexec_b64 s[2:3], s[2:3]
.LBB229_213:
	v_pk_add_f32 v[8:9], v[14:15], v[14:15]
	s_nop 0
	v_mov_b32_e32 v12, v8
.LBB229_214:
	s_or_b64 exec, exec, s[2:3]
.LBB229_215:
	s_andn2_saveexec_b64 s[2:3], s[18:19]
	s_cbranch_execz .LBB229_221
; %bb.216:
	v_sub_f32_e32 v3, v9, v9
	v_cmp_lt_i32_e32 vcc, -1, v8
	s_brev_b32 s7, -2
	v_and_b32_e32 v12, 0x7fffffff, v3
	s_and_saveexec_b64 s[4:5], vcc
	s_xor_b64 s[4:5], exec, s[4:5]
; %bb.217:
	v_bfi_b32 v9, s7, v3, v9
	v_mov_b32_e32 v12, v8
; %bb.218:
	s_andn2_saveexec_b64 s[4:5], s[4:5]
; %bb.219:
	v_bfi_b32 v9, s7, v8, v9
; %bb.220:
	s_or_b64 exec, exec, s[4:5]
.LBB229_221:
	s_or_b64 exec, exec, s[2:3]
.LBB229_222:
	s_andn2_saveexec_b64 s[2:3], s[16:17]
	s_cbranch_execz .LBB229_224
; %bb.223:
	v_sub_f32_e32 v3, v9, v9
	v_div_scale_f32 v9, vcc, v3, v3, v3
	v_rcp_f32_e32 v12, v9
	s_nop 0
	v_fma_f32 v13, -v9, v12, 1.0
	v_fmac_f32_e32 v12, v13, v12
	v_mul_f32_e32 v13, v9, v12
	v_fma_f32 v14, -v9, v13, v9
	v_fmac_f32_e32 v13, v14, v12
	v_fma_f32 v9, -v9, v13, v9
	v_div_fmas_f32 v9, v9, v12, v13
	v_div_fixup_f32 v9, v9, v3, v3
	v_mov_b32_e32 v12, v8
.LBB229_224:
	s_or_b64 exec, exec, s[2:3]
.LBB229_225:
	s_or_b64 exec, exec, s[14:15]
.LBB229_226:
	s_or_b64 exec, exec, s[12:13]
	v_mov_b32_e32 v13, v9
.LBB229_227:
	s_or_b64 exec, exec, s[10:11]
	v_or_b32_e32 v3, 0x300, v0
	v_cmp_gt_i32_e32 vcc, s24, v3
	v_mov_b32_e32 v9, 0
	v_mov_b32_e32 v8, 0
	s_and_saveexec_b64 s[10:11], vcc
	s_cbranch_execz .LBB229_240
; %bb.228:
	v_cmp_neq_f32_e32 vcc, 0, v4
	v_cmp_neq_f32_e64 s[2:3], 0, v5
	v_mov_b32_e32 v8, 0
	s_or_b64 s[2:3], vcc, s[2:3]
	s_and_saveexec_b64 s[12:13], s[2:3]
	s_cbranch_execz .LBB229_262
; %bb.229:
	v_mov_b32_e32 v8, 0x7f800000
	v_cmp_neq_f32_e64 s[2:3], |v5|, v8
	s_and_saveexec_b64 s[14:15], s[2:3]
	s_cbranch_execz .LBB229_261
; %bb.230:
	v_cmp_o_f32_e32 vcc, v4, v4
                                        ; implicit-def: $vgpr8
	s_and_saveexec_b64 s[2:3], vcc
	s_xor_b64 s[16:17], exec, s[2:3]
	s_cbranch_execz .LBB229_258
; %bb.231:
	s_mov_b32 s2, 0x7f800000
	v_cmp_neq_f32_e64 s[2:3], |v4|, s2
                                        ; implicit-def: $vgpr8
	s_and_saveexec_b64 s[4:5], s[2:3]
	s_xor_b64 s[18:19], exec, s[4:5]
	s_cbranch_execz .LBB229_251
; %bb.232:
	v_max_f32_e64 v3, |v4|, |v4|
	v_max_f32_e64 v8, |v5|, |v5|
	v_max_f32_e32 v3, v8, v3
	s_mov_b32 s2, 0x7ed413cb
	v_cmp_nle_f32_e64 s[2:3], s2, v3
                                        ; implicit-def: $sgpr20_sgpr21
	s_and_saveexec_b64 s[4:5], s[2:3]
	s_xor_b64 s[4:5], exec, s[4:5]
	s_cbranch_execz .LBB229_236
; %bb.233:
	s_mov_b32 s7, 0x1000000
	v_cmp_le_f32_e64 s[20:21], |v4|, s7
	v_cmp_le_f32_e64 s[22:23], |v5|, s7
	s_and_b64 s[26:27], s[22:23], s[20:21]
	s_mov_b64 s[20:21], 0
	s_and_saveexec_b64 s[22:23], s[26:27]
; %bb.234:
	s_mov_b64 s[20:21], exec
	v_pk_mul_f32 v[4:5], v[4:5], 4.0 op_sel_hi:[1,0]
; %bb.235:
	s_or_b64 exec, exec, s[22:23]
.LBB229_236:
	s_andn2_saveexec_b64 s[4:5], s[4:5]
; %bb.237:
	s_mov_b32 s22, 0x3e800000
	v_pk_mul_f32 v[4:5], v[4:5], s[22:23] op_sel_hi:[1,0]
	s_andn2_b64 s[20:21], s[20:21], exec
; %bb.238:
	s_or_b64 exec, exec, s[4:5]
	v_max_f32_e64 v3, |v5|, |v5|
	v_max_f32_e64 v8, |v4|, |v4|
	v_max_f32_e32 v3, v8, v3
	v_cvt_f64_f32_e32 v[8:9], v3
	v_frexp_exp_i32_f64_e32 v8, v[8:9]
	v_sub_u32_e32 v9, 0, v8
	v_ldexp_f32 v14, |v4|, v9
	v_ldexp_f32 v9, |v5|, v9
	v_mul_f32_e32 v9, v9, v9
	v_fmac_f32_e32 v9, v14, v14
	v_sqrt_f32_e32 v9, v9
	s_mov_b32 s4, 0x7f800000
	v_cmp_neq_f32_e64 s[4:5], s4, v3
	v_cmp_le_f32_e32 vcc, 0, v4
	v_ldexp_f32 v8, v9, v8
	v_mov_b32_e32 v9, 0x7f800000
	v_cndmask_b32_e64 v3, v9, v8, s[4:5]
                                        ; implicit-def: $vgpr14_vgpr15
	s_and_saveexec_b64 s[4:5], vcc
	s_xor_b64 s[22:23], exec, s[4:5]
	s_cbranch_execz .LBB229_244
; %bb.239:
	v_add_f32_e32 v3, v4, v3
	v_mul_f32_e32 v3, 0.5, v3
	s_mov_b32 s4, 0xf800000
	v_mul_f32_e32 v4, 0x4f800000, v3
	v_cmp_gt_f32_e32 vcc, s4, v3
	s_nop 1
	v_cndmask_b32_e32 v3, v3, v4, vcc
	v_sqrt_f32_e32 v4, v3
	s_nop 0
	v_add_u32_e32 v8, -1, v4
	v_fma_f32 v9, -v8, v4, v3
	v_cmp_ge_f32_e64 s[4:5], 0, v9
	v_add_u32_e32 v9, 1, v4
	s_nop 0
	v_cndmask_b32_e64 v8, v4, v8, s[4:5]
	v_fma_f32 v4, -v9, v4, v3
	v_cmp_lt_f32_e64 s[4:5], 0, v4
	s_nop 1
	v_cndmask_b32_e64 v4, v8, v9, s[4:5]
	v_mul_f32_e32 v8, 0x37800000, v4
	v_cndmask_b32_e32 v4, v4, v8, vcc
	v_mov_b32_e32 v8, 0x260
	v_cmp_class_f32_e32 vcc, v3, v8
	s_nop 1
	v_cndmask_b32_e32 v14, v4, v3, vcc
	v_add_f32_e32 v3, v14, v14
	v_div_scale_f32 v4, s[4:5], v3, v3, v5
	v_rcp_f32_e32 v8, v4
	s_nop 0
	v_fma_f32 v9, -v4, v8, 1.0
	v_fmac_f32_e32 v8, v9, v8
	v_div_scale_f32 v9, vcc, v5, v3, v5
	v_mul_f32_e32 v15, v9, v8
	v_fma_f32 v16, -v4, v15, v9
	v_fmac_f32_e32 v15, v16, v8
	v_fma_f32 v4, -v4, v15, v9
	v_div_fmas_f32 v4, v4, v8, v15
	v_div_fixup_f32 v15, v4, v3, v5
                                        ; implicit-def: $vgpr3
                                        ; implicit-def: $vgpr4_vgpr5
	s_andn2_saveexec_b64 s[22:23], s[22:23]
	s_cbranch_execz .LBB229_246
	s_branch .LBB229_245
.LBB229_240:
	s_or_b64 exec, exec, s[10:11]
	s_and_saveexec_b64 s[2:3], s[0:1]
	s_xor_b64 s[0:1], exec, s[2:3]
	s_cbranch_execz .LBB229_263
.LBB229_241:
	v_mov_b32_e32 v3, 0
	v_lshl_add_u64 v[2:3], v[2:3], 3, s[8:9]
	v_mov_b32_e32 v0, v1
	global_store_dwordx2 v[2:3], v[6:7], off
	s_or_b64 exec, exec, s[0:1]
	v_cmp_gt_i32_e32 vcc, s24, v0
	s_and_saveexec_b64 s[0:1], vcc
	s_cbranch_execnz .LBB229_264
.LBB229_242:
	s_or_b64 exec, exec, s[0:1]
	v_cmp_gt_i32_e32 vcc, s24, v0
	s_and_saveexec_b64 s[0:1], vcc
	s_cbranch_execz .LBB229_265
.LBB229_243:
	v_add_u32_e32 v2, 0x100, v0
	v_add_u32_e32 v0, s6, v0
	v_mov_b32_e32 v1, 0
	v_lshl_add_u64 v[0:1], v[0:1], 3, s[8:9]
	global_store_dwordx2 v[0:1], v[12:13], off
	v_mov_b32_e32 v0, v2
	s_or_b64 exec, exec, s[0:1]
	v_cmp_gt_i32_e32 vcc, s24, v0
	s_and_saveexec_b64 s[0:1], vcc
	s_cbranch_execnz .LBB229_266
	s_branch .LBB229_267
.LBB229_244:
	s_andn2_saveexec_b64 s[22:23], s[22:23]
	s_cbranch_execz .LBB229_246
.LBB229_245:
	v_sub_f32_e32 v3, v3, v4
	v_mul_f32_e32 v3, 0.5, v3
	s_mov_b32 s4, 0xf800000
	v_mul_f32_e32 v4, 0x4f800000, v3
	v_cmp_gt_f32_e32 vcc, s4, v3
	s_nop 1
	v_cndmask_b32_e32 v3, v3, v4, vcc
	v_sqrt_f32_e32 v4, v3
	s_nop 0
	v_add_u32_e32 v8, -1, v4
	v_fma_f32 v9, -v8, v4, v3
	v_cmp_ge_f32_e64 s[4:5], 0, v9
	v_add_u32_e32 v9, 1, v4
	s_nop 0
	v_cndmask_b32_e64 v8, v4, v8, s[4:5]
	v_fma_f32 v4, -v9, v4, v3
	v_cmp_lt_f32_e64 s[4:5], 0, v4
	s_nop 1
	v_cndmask_b32_e64 v4, v8, v9, s[4:5]
	v_mul_f32_e32 v8, 0x37800000, v4
	v_cndmask_b32_e32 v4, v4, v8, vcc
	v_mov_b32_e32 v8, 0x260
	v_cmp_class_f32_e32 vcc, v3, v8
	v_and_b32_e32 v8, 0x7fffffff, v5
	s_nop 0
	v_cndmask_b32_e32 v3, v4, v3, vcc
	v_add_f32_e32 v4, v3, v3
	v_div_scale_f32 v9, s[4:5], v4, v4, v8
	v_rcp_f32_e32 v14, v9
	v_div_scale_f32 v8, vcc, v8, v4, v8
	s_brev_b32 s4, -2
	v_fma_f32 v15, -v9, v14, 1.0
	v_fmac_f32_e32 v14, v15, v14
	v_mul_f32_e32 v15, v8, v14
	v_fma_f32 v16, -v9, v15, v8
	v_fmac_f32_e32 v15, v16, v14
	v_fma_f32 v8, -v9, v15, v8
	v_div_fmas_f32 v8, v8, v14, v15
	v_div_fixup_f32 v14, v8, v4, |v5|
	v_bfi_b32 v15, s4, v3, v5
.LBB229_246:
	s_or_b64 exec, exec, s[22:23]
                                        ; implicit-def: $vgpr5
                                        ; implicit-def: $vgpr8
	s_and_saveexec_b64 s[4:5], s[2:3]
	s_xor_b64 s[2:3], exec, s[4:5]
	s_cbranch_execz .LBB229_248
; %bb.247:
	v_pk_mul_f32 v[4:5], v[14:15], 0.5 op_sel_hi:[1,0]
	s_nop 0
	v_cndmask_b32_e64 v8, v14, v4, s[20:21]
	v_cndmask_b32_e64 v5, v15, v5, s[20:21]
                                        ; implicit-def: $vgpr14_vgpr15
	s_andn2_saveexec_b64 s[2:3], s[2:3]
	s_cbranch_execnz .LBB229_249
	s_branch .LBB229_250
.LBB229_248:
	s_andn2_saveexec_b64 s[2:3], s[2:3]
.LBB229_249:
	v_pk_add_f32 v[4:5], v[14:15], v[14:15]
	s_nop 0
	v_mov_b32_e32 v8, v4
.LBB229_250:
	s_or_b64 exec, exec, s[2:3]
.LBB229_251:
	s_andn2_saveexec_b64 s[2:3], s[18:19]
	s_cbranch_execz .LBB229_257
; %bb.252:
	v_sub_f32_e32 v3, v5, v5
	v_cmp_lt_i32_e32 vcc, -1, v4
	s_brev_b32 s7, -2
	v_and_b32_e32 v8, 0x7fffffff, v3
	s_and_saveexec_b64 s[4:5], vcc
	s_xor_b64 s[4:5], exec, s[4:5]
; %bb.253:
	v_bfi_b32 v5, s7, v3, v5
	v_mov_b32_e32 v8, v4
; %bb.254:
	s_andn2_saveexec_b64 s[4:5], s[4:5]
; %bb.255:
	v_bfi_b32 v5, s7, v4, v5
; %bb.256:
	s_or_b64 exec, exec, s[4:5]
.LBB229_257:
	s_or_b64 exec, exec, s[2:3]
.LBB229_258:
	s_andn2_saveexec_b64 s[2:3], s[16:17]
	s_cbranch_execz .LBB229_260
; %bb.259:
	v_sub_f32_e32 v3, v5, v5
	v_div_scale_f32 v5, vcc, v3, v3, v3
	v_rcp_f32_e32 v8, v5
	s_nop 0
	v_fma_f32 v9, -v5, v8, 1.0
	v_fmac_f32_e32 v8, v9, v8
	v_mul_f32_e32 v9, v5, v8
	v_fma_f32 v14, -v5, v9, v5
	v_fmac_f32_e32 v9, v14, v8
	v_fma_f32 v5, -v5, v9, v5
	v_div_fmas_f32 v5, v5, v8, v9
	v_div_fixup_f32 v5, v5, v3, v3
	v_mov_b32_e32 v8, v4
.LBB229_260:
	s_or_b64 exec, exec, s[2:3]
.LBB229_261:
	s_or_b64 exec, exec, s[14:15]
.LBB229_262:
	s_or_b64 exec, exec, s[12:13]
	v_mov_b32_e32 v9, v5
	s_or_b64 exec, exec, s[10:11]
	s_and_saveexec_b64 s[2:3], s[0:1]
	s_xor_b64 s[0:1], exec, s[2:3]
	s_cbranch_execnz .LBB229_241
.LBB229_263:
	s_or_b64 exec, exec, s[0:1]
	v_cmp_gt_i32_e32 vcc, s24, v0
	s_and_saveexec_b64 s[0:1], vcc
	s_cbranch_execz .LBB229_242
.LBB229_264:
	v_add_u32_e32 v2, 0x100, v0
	v_add_u32_e32 v0, s6, v0
	v_mov_b32_e32 v1, 0
	v_lshl_add_u64 v[0:1], v[0:1], 3, s[8:9]
	global_store_dwordx2 v[0:1], v[10:11], off
	v_mov_b32_e32 v0, v2
	s_or_b64 exec, exec, s[0:1]
	v_cmp_gt_i32_e32 vcc, s24, v0
	s_and_saveexec_b64 s[0:1], vcc
	s_cbranch_execnz .LBB229_243
.LBB229_265:
	s_or_b64 exec, exec, s[0:1]
	v_cmp_gt_i32_e32 vcc, s24, v0
	s_and_saveexec_b64 s[0:1], vcc
	s_cbranch_execz .LBB229_267
.LBB229_266:
	v_add_u32_e32 v0, s6, v0
	v_mov_b32_e32 v1, 0
	v_lshl_add_u64 v[0:1], v[0:1], 3, s[8:9]
	global_store_dwordx2 v[0:1], v[8:9], off
.LBB229_267:
	s_endpgm
	.section	.rodata,"a",@progbits
	.p2align	6, 0x0
	.amdhsa_kernel _ZN2at6native29vectorized_elementwise_kernelILi2EZZZNS0_16sqrt_kernel_cudaERNS_18TensorIteratorBaseEENKUlvE_clEvENKUlvE0_clEvEUlN3c107complexIfEEE_St5arrayIPcLm2EEEEviT0_T1_
		.amdhsa_group_segment_fixed_size 0
		.amdhsa_private_segment_fixed_size 0
		.amdhsa_kernarg_size 24
		.amdhsa_user_sgpr_count 2
		.amdhsa_user_sgpr_dispatch_ptr 0
		.amdhsa_user_sgpr_queue_ptr 0
		.amdhsa_user_sgpr_kernarg_segment_ptr 1
		.amdhsa_user_sgpr_dispatch_id 0
		.amdhsa_user_sgpr_kernarg_preload_length 0
		.amdhsa_user_sgpr_kernarg_preload_offset 0
		.amdhsa_user_sgpr_private_segment_size 0
		.amdhsa_uses_dynamic_stack 0
		.amdhsa_enable_private_segment 0
		.amdhsa_system_sgpr_workgroup_id_x 1
		.amdhsa_system_sgpr_workgroup_id_y 0
		.amdhsa_system_sgpr_workgroup_id_z 0
		.amdhsa_system_sgpr_workgroup_info 0
		.amdhsa_system_vgpr_workitem_id 0
		.amdhsa_next_free_vgpr 19
		.amdhsa_next_free_sgpr 28
		.amdhsa_accum_offset 20
		.amdhsa_reserve_vcc 1
		.amdhsa_float_round_mode_32 0
		.amdhsa_float_round_mode_16_64 0
		.amdhsa_float_denorm_mode_32 3
		.amdhsa_float_denorm_mode_16_64 3
		.amdhsa_dx10_clamp 1
		.amdhsa_ieee_mode 1
		.amdhsa_fp16_overflow 0
		.amdhsa_tg_split 0
		.amdhsa_exception_fp_ieee_invalid_op 0
		.amdhsa_exception_fp_denorm_src 0
		.amdhsa_exception_fp_ieee_div_zero 0
		.amdhsa_exception_fp_ieee_overflow 0
		.amdhsa_exception_fp_ieee_underflow 0
		.amdhsa_exception_fp_ieee_inexact 0
		.amdhsa_exception_int_div_zero 0
	.end_amdhsa_kernel
	.section	.text._ZN2at6native29vectorized_elementwise_kernelILi2EZZZNS0_16sqrt_kernel_cudaERNS_18TensorIteratorBaseEENKUlvE_clEvENKUlvE0_clEvEUlN3c107complexIfEEE_St5arrayIPcLm2EEEEviT0_T1_,"axG",@progbits,_ZN2at6native29vectorized_elementwise_kernelILi2EZZZNS0_16sqrt_kernel_cudaERNS_18TensorIteratorBaseEENKUlvE_clEvENKUlvE0_clEvEUlN3c107complexIfEEE_St5arrayIPcLm2EEEEviT0_T1_,comdat
.Lfunc_end229:
	.size	_ZN2at6native29vectorized_elementwise_kernelILi2EZZZNS0_16sqrt_kernel_cudaERNS_18TensorIteratorBaseEENKUlvE_clEvENKUlvE0_clEvEUlN3c107complexIfEEE_St5arrayIPcLm2EEEEviT0_T1_, .Lfunc_end229-_ZN2at6native29vectorized_elementwise_kernelILi2EZZZNS0_16sqrt_kernel_cudaERNS_18TensorIteratorBaseEENKUlvE_clEvENKUlvE0_clEvEUlN3c107complexIfEEE_St5arrayIPcLm2EEEEviT0_T1_
                                        ; -- End function
	.set _ZN2at6native29vectorized_elementwise_kernelILi2EZZZNS0_16sqrt_kernel_cudaERNS_18TensorIteratorBaseEENKUlvE_clEvENKUlvE0_clEvEUlN3c107complexIfEEE_St5arrayIPcLm2EEEEviT0_T1_.num_vgpr, 19
	.set _ZN2at6native29vectorized_elementwise_kernelILi2EZZZNS0_16sqrt_kernel_cudaERNS_18TensorIteratorBaseEENKUlvE_clEvENKUlvE0_clEvEUlN3c107complexIfEEE_St5arrayIPcLm2EEEEviT0_T1_.num_agpr, 0
	.set _ZN2at6native29vectorized_elementwise_kernelILi2EZZZNS0_16sqrt_kernel_cudaERNS_18TensorIteratorBaseEENKUlvE_clEvENKUlvE0_clEvEUlN3c107complexIfEEE_St5arrayIPcLm2EEEEviT0_T1_.numbered_sgpr, 28
	.set _ZN2at6native29vectorized_elementwise_kernelILi2EZZZNS0_16sqrt_kernel_cudaERNS_18TensorIteratorBaseEENKUlvE_clEvENKUlvE0_clEvEUlN3c107complexIfEEE_St5arrayIPcLm2EEEEviT0_T1_.num_named_barrier, 0
	.set _ZN2at6native29vectorized_elementwise_kernelILi2EZZZNS0_16sqrt_kernel_cudaERNS_18TensorIteratorBaseEENKUlvE_clEvENKUlvE0_clEvEUlN3c107complexIfEEE_St5arrayIPcLm2EEEEviT0_T1_.private_seg_size, 0
	.set _ZN2at6native29vectorized_elementwise_kernelILi2EZZZNS0_16sqrt_kernel_cudaERNS_18TensorIteratorBaseEENKUlvE_clEvENKUlvE0_clEvEUlN3c107complexIfEEE_St5arrayIPcLm2EEEEviT0_T1_.uses_vcc, 1
	.set _ZN2at6native29vectorized_elementwise_kernelILi2EZZZNS0_16sqrt_kernel_cudaERNS_18TensorIteratorBaseEENKUlvE_clEvENKUlvE0_clEvEUlN3c107complexIfEEE_St5arrayIPcLm2EEEEviT0_T1_.uses_flat_scratch, 0
	.set _ZN2at6native29vectorized_elementwise_kernelILi2EZZZNS0_16sqrt_kernel_cudaERNS_18TensorIteratorBaseEENKUlvE_clEvENKUlvE0_clEvEUlN3c107complexIfEEE_St5arrayIPcLm2EEEEviT0_T1_.has_dyn_sized_stack, 0
	.set _ZN2at6native29vectorized_elementwise_kernelILi2EZZZNS0_16sqrt_kernel_cudaERNS_18TensorIteratorBaseEENKUlvE_clEvENKUlvE0_clEvEUlN3c107complexIfEEE_St5arrayIPcLm2EEEEviT0_T1_.has_recursion, 0
	.set _ZN2at6native29vectorized_elementwise_kernelILi2EZZZNS0_16sqrt_kernel_cudaERNS_18TensorIteratorBaseEENKUlvE_clEvENKUlvE0_clEvEUlN3c107complexIfEEE_St5arrayIPcLm2EEEEviT0_T1_.has_indirect_call, 0
	.section	.AMDGPU.csdata,"",@progbits
; Kernel info:
; codeLenInByte = 9360
; TotalNumSgprs: 34
; NumVgprs: 19
; NumAgprs: 0
; TotalNumVgprs: 19
; ScratchSize: 0
; MemoryBound: 0
; FloatMode: 240
; IeeeMode: 1
; LDSByteSize: 0 bytes/workgroup (compile time only)
; SGPRBlocks: 4
; VGPRBlocks: 2
; NumSGPRsForWavesPerEU: 34
; NumVGPRsForWavesPerEU: 19
; AccumOffset: 20
; Occupancy: 8
; WaveLimiterHint : 1
; COMPUTE_PGM_RSRC2:SCRATCH_EN: 0
; COMPUTE_PGM_RSRC2:USER_SGPR: 2
; COMPUTE_PGM_RSRC2:TRAP_HANDLER: 0
; COMPUTE_PGM_RSRC2:TGID_X_EN: 1
; COMPUTE_PGM_RSRC2:TGID_Y_EN: 0
; COMPUTE_PGM_RSRC2:TGID_Z_EN: 0
; COMPUTE_PGM_RSRC2:TIDIG_COMP_CNT: 0
; COMPUTE_PGM_RSRC3_GFX90A:ACCUM_OFFSET: 4
; COMPUTE_PGM_RSRC3_GFX90A:TG_SPLIT: 0
	.section	.text._ZN2at6native27unrolled_elementwise_kernelIZZZNS0_16sqrt_kernel_cudaERNS_18TensorIteratorBaseEENKUlvE_clEvENKUlvE0_clEvEUlN3c107complexIfEEE_St5arrayIPcLm2EELi4E23TrivialOffsetCalculatorILi1EjESE_NS0_6memory15LoadWithoutCastENSF_16StoreWithoutCastEEEviT_T0_T2_T3_T4_T5_,"axG",@progbits,_ZN2at6native27unrolled_elementwise_kernelIZZZNS0_16sqrt_kernel_cudaERNS_18TensorIteratorBaseEENKUlvE_clEvENKUlvE0_clEvEUlN3c107complexIfEEE_St5arrayIPcLm2EELi4E23TrivialOffsetCalculatorILi1EjESE_NS0_6memory15LoadWithoutCastENSF_16StoreWithoutCastEEEviT_T0_T2_T3_T4_T5_,comdat
	.globl	_ZN2at6native27unrolled_elementwise_kernelIZZZNS0_16sqrt_kernel_cudaERNS_18TensorIteratorBaseEENKUlvE_clEvENKUlvE0_clEvEUlN3c107complexIfEEE_St5arrayIPcLm2EELi4E23TrivialOffsetCalculatorILi1EjESE_NS0_6memory15LoadWithoutCastENSF_16StoreWithoutCastEEEviT_T0_T2_T3_T4_T5_ ; -- Begin function _ZN2at6native27unrolled_elementwise_kernelIZZZNS0_16sqrt_kernel_cudaERNS_18TensorIteratorBaseEENKUlvE_clEvENKUlvE0_clEvEUlN3c107complexIfEEE_St5arrayIPcLm2EELi4E23TrivialOffsetCalculatorILi1EjESE_NS0_6memory15LoadWithoutCastENSF_16StoreWithoutCastEEEviT_T0_T2_T3_T4_T5_
	.p2align	8
	.type	_ZN2at6native27unrolled_elementwise_kernelIZZZNS0_16sqrt_kernel_cudaERNS_18TensorIteratorBaseEENKUlvE_clEvENKUlvE0_clEvEUlN3c107complexIfEEE_St5arrayIPcLm2EELi4E23TrivialOffsetCalculatorILi1EjESE_NS0_6memory15LoadWithoutCastENSF_16StoreWithoutCastEEEviT_T0_T2_T3_T4_T5_,@function
_ZN2at6native27unrolled_elementwise_kernelIZZZNS0_16sqrt_kernel_cudaERNS_18TensorIteratorBaseEENKUlvE_clEvENKUlvE0_clEvEUlN3c107complexIfEEE_St5arrayIPcLm2EELi4E23TrivialOffsetCalculatorILi1EjESE_NS0_6memory15LoadWithoutCastENSF_16StoreWithoutCastEEEviT_T0_T2_T3_T4_T5_: ; @_ZN2at6native27unrolled_elementwise_kernelIZZZNS0_16sqrt_kernel_cudaERNS_18TensorIteratorBaseEENKUlvE_clEvENKUlvE0_clEvEUlN3c107complexIfEEE_St5arrayIPcLm2EELi4E23TrivialOffsetCalculatorILi1EjESE_NS0_6memory15LoadWithoutCastENSF_16StoreWithoutCastEEEviT_T0_T2_T3_T4_T5_
; %bb.0:
	s_load_dword s3, s[0:1], 0x0
	s_load_dwordx4 s[8:11], s[0:1], 0x8
	s_lshl_b32 s22, s2, 10
	v_mov_b32_e32 v12, 0
	v_mov_b32_e32 v13, v12
	s_waitcnt lgkmcnt(0)
	s_sub_i32 s23, s3, s22
	v_cmp_gt_i32_e64 s[0:1], s23, v0
	v_or_b32_e32 v2, s22, v0
	v_mov_b32_e32 v1, v0
	v_mov_b64_e32 v[10:11], v[12:13]
	s_and_saveexec_b64 s[2:3], s[0:1]
	s_cbranch_execz .LBB230_2
; %bb.1:
	v_mov_b32_e32 v3, v12
	v_lshl_add_u64 v[4:5], v[2:3], 3, s[10:11]
	global_load_dwordx2 v[10:11], v[4:5], off
	v_or_b32_e32 v1, 0x100, v0
.LBB230_2:
	s_or_b64 exec, exec, s[2:3]
	v_cmp_gt_i32_e32 vcc, s23, v1
	s_and_saveexec_b64 s[2:3], vcc
	s_cbranch_execz .LBB230_4
; %bb.3:
	v_add_u32_e32 v4, s22, v1
	v_mov_b32_e32 v5, 0
	v_lshl_add_u64 v[4:5], v[4:5], 3, s[10:11]
	global_load_dwordx2 v[12:13], v[4:5], off
	v_add_u32_e32 v1, 0x100, v1
.LBB230_4:
	s_or_b64 exec, exec, s[2:3]
	v_mov_b32_e32 v4, 0
	v_mov_b32_e32 v5, v4
	v_cmp_gt_i32_e32 vcc, s23, v1
	v_mov_b64_e32 v[8:9], v[4:5]
	s_and_saveexec_b64 s[2:3], vcc
	s_cbranch_execz .LBB230_6
; %bb.5:
	v_add_u32_e32 v6, s22, v1
	v_mov_b32_e32 v7, v4
	v_lshl_add_u64 v[6:7], v[6:7], 3, s[10:11]
	global_load_dwordx2 v[8:9], v[6:7], off
	v_add_u32_e32 v1, 0x100, v1
.LBB230_6:
	s_or_b64 exec, exec, s[2:3]
	v_cmp_gt_i32_e32 vcc, s23, v1
	s_and_saveexec_b64 s[2:3], vcc
	s_cbranch_execz .LBB230_8
; %bb.7:
	v_add_u32_e32 v4, s22, v1
	v_mov_b32_e32 v5, 0
	v_lshl_add_u64 v[4:5], v[4:5], 3, s[10:11]
	global_load_dwordx2 v[4:5], v[4:5], off
.LBB230_8:
	s_or_b64 exec, exec, s[2:3]
	v_mov_b32_e32 v7, 0
	v_mov_b32_e32 v6, 0
	s_and_saveexec_b64 s[6:7], s[0:1]
	s_cbranch_execz .LBB230_40
; %bb.9:
	s_waitcnt vmcnt(0)
	v_cmp_neq_f32_e32 vcc, 0, v10
	v_cmp_neq_f32_e64 s[2:3], 0, v11
	v_mov_b32_e32 v6, 0
	s_or_b64 s[2:3], vcc, s[2:3]
	s_and_saveexec_b64 s[10:11], s[2:3]
	s_cbranch_execz .LBB230_39
; %bb.10:
	v_mov_b32_e32 v6, 0x7f800000
	v_cmp_neq_f32_e64 s[2:3], |v11|, v6
	s_and_saveexec_b64 s[12:13], s[2:3]
	s_cbranch_execz .LBB230_38
; %bb.11:
	v_cmp_o_f32_e32 vcc, v10, v10
                                        ; implicit-def: $vgpr6
	s_and_saveexec_b64 s[2:3], vcc
	s_xor_b64 s[14:15], exec, s[2:3]
	s_cbranch_execz .LBB230_35
; %bb.12:
	s_mov_b32 s2, 0x7f800000
	v_cmp_neq_f32_e64 s[2:3], |v10|, s2
                                        ; implicit-def: $vgpr6
	s_and_saveexec_b64 s[4:5], s[2:3]
	s_xor_b64 s[16:17], exec, s[4:5]
	s_cbranch_execz .LBB230_28
; %bb.13:
	v_max_f32_e64 v1, |v10|, |v10|
	v_max_f32_e64 v3, |v11|, |v11|
	v_max_f32_e32 v1, v3, v1
	s_mov_b32 s2, 0x7ed413cb
	v_cmp_nle_f32_e64 s[2:3], s2, v1
                                        ; implicit-def: $sgpr18_sgpr19
	s_and_saveexec_b64 s[4:5], s[2:3]
	s_xor_b64 s[4:5], exec, s[4:5]
	s_cbranch_execz .LBB230_17
; %bb.14:
	s_mov_b32 s20, 0x1000000
	v_cmp_le_f32_e64 s[18:19], |v10|, s20
	v_cmp_le_f32_e64 s[20:21], |v11|, s20
	s_and_b64 s[24:25], s[20:21], s[18:19]
	s_mov_b64 s[18:19], 0
	s_and_saveexec_b64 s[20:21], s[24:25]
; %bb.15:
	s_mov_b64 s[18:19], exec
	v_pk_mul_f32 v[10:11], v[10:11], 4.0 op_sel_hi:[1,0]
; %bb.16:
	s_or_b64 exec, exec, s[20:21]
.LBB230_17:
	s_andn2_saveexec_b64 s[4:5], s[4:5]
; %bb.18:
	s_mov_b32 s20, 0x3e800000
	v_pk_mul_f32 v[10:11], v[10:11], s[20:21] op_sel_hi:[1,0]
	s_andn2_b64 s[18:19], s[18:19], exec
; %bb.19:
	s_or_b64 exec, exec, s[4:5]
	v_max_f32_e64 v1, |v11|, |v11|
	v_max_f32_e64 v3, |v10|, |v10|
	v_max_f32_e32 v1, v3, v1
	v_cvt_f64_f32_e32 v[6:7], v1
	v_frexp_exp_i32_f64_e32 v3, v[6:7]
	v_sub_u32_e32 v6, 0, v3
	v_ldexp_f32 v7, |v10|, v6
	v_ldexp_f32 v6, |v11|, v6
	v_mul_f32_e32 v6, v6, v6
	v_fmac_f32_e32 v6, v7, v7
	v_sqrt_f32_e32 v6, v6
	s_mov_b32 s4, 0x7f800000
	v_cmp_neq_f32_e64 s[4:5], s4, v1
	v_cmp_le_f32_e32 vcc, 0, v10
	v_ldexp_f32 v3, v6, v3
	v_mov_b32_e32 v6, 0x7f800000
	v_cndmask_b32_e64 v1, v6, v3, s[4:5]
                                        ; implicit-def: $vgpr14_vgpr15
	s_and_saveexec_b64 s[4:5], vcc
	s_xor_b64 s[20:21], exec, s[4:5]
	s_cbranch_execz .LBB230_21
; %bb.20:
	v_add_f32_e32 v1, v10, v1
	v_mul_f32_e32 v1, 0.5, v1
	s_mov_b32 s4, 0xf800000
	v_mul_f32_e32 v3, 0x4f800000, v1
	v_cmp_gt_f32_e32 vcc, s4, v1
	s_nop 1
	v_cndmask_b32_e32 v1, v1, v3, vcc
	v_sqrt_f32_e32 v3, v1
	s_nop 0
	v_add_u32_e32 v6, -1, v3
	v_fma_f32 v7, -v6, v3, v1
	v_cmp_ge_f32_e64 s[4:5], 0, v7
	v_add_u32_e32 v7, 1, v3
	s_nop 0
	v_cndmask_b32_e64 v6, v3, v6, s[4:5]
	v_fma_f32 v3, -v7, v3, v1
	v_cmp_lt_f32_e64 s[4:5], 0, v3
	s_nop 1
	v_cndmask_b32_e64 v3, v6, v7, s[4:5]
	v_mul_f32_e32 v6, 0x37800000, v3
	v_cndmask_b32_e32 v3, v3, v6, vcc
	v_mov_b32_e32 v6, 0x260
	v_cmp_class_f32_e32 vcc, v1, v6
	s_nop 1
	v_cndmask_b32_e32 v14, v3, v1, vcc
	v_add_f32_e32 v1, v14, v14
	v_div_scale_f32 v3, s[4:5], v1, v1, v11
	v_rcp_f32_e32 v6, v3
	s_nop 0
	v_fma_f32 v7, -v3, v6, 1.0
	v_fmac_f32_e32 v6, v7, v6
	v_div_scale_f32 v7, vcc, v11, v1, v11
	v_mul_f32_e32 v10, v7, v6
	v_fma_f32 v15, -v3, v10, v7
	v_fmac_f32_e32 v10, v15, v6
	v_fma_f32 v3, -v3, v10, v7
	v_div_fmas_f32 v3, v3, v6, v10
	v_div_fixup_f32 v15, v3, v1, v11
                                        ; implicit-def: $vgpr1
                                        ; implicit-def: $vgpr10_vgpr11
	s_andn2_saveexec_b64 s[20:21], s[20:21]
	s_cbranch_execz .LBB230_23
	s_branch .LBB230_22
.LBB230_21:
	s_andn2_saveexec_b64 s[20:21], s[20:21]
	s_cbranch_execz .LBB230_23
.LBB230_22:
	v_sub_f32_e32 v1, v1, v10
	v_mul_f32_e32 v1, 0.5, v1
	s_mov_b32 s4, 0xf800000
	v_mul_f32_e32 v3, 0x4f800000, v1
	v_cmp_gt_f32_e32 vcc, s4, v1
	s_nop 1
	v_cndmask_b32_e32 v1, v1, v3, vcc
	v_sqrt_f32_e32 v3, v1
	s_nop 0
	v_add_u32_e32 v6, -1, v3
	v_fma_f32 v7, -v6, v3, v1
	v_cmp_ge_f32_e64 s[4:5], 0, v7
	v_add_u32_e32 v7, 1, v3
	s_nop 0
	v_cndmask_b32_e64 v6, v3, v6, s[4:5]
	v_fma_f32 v3, -v7, v3, v1
	v_cmp_lt_f32_e64 s[4:5], 0, v3
	s_nop 1
	v_cndmask_b32_e64 v3, v6, v7, s[4:5]
	v_mul_f32_e32 v6, 0x37800000, v3
	v_cndmask_b32_e32 v3, v3, v6, vcc
	v_mov_b32_e32 v6, 0x260
	v_cmp_class_f32_e32 vcc, v1, v6
	v_and_b32_e32 v6, 0x7fffffff, v11
	s_nop 0
	v_cndmask_b32_e32 v1, v3, v1, vcc
	v_add_f32_e32 v3, v1, v1
	v_div_scale_f32 v7, s[4:5], v3, v3, v6
	v_rcp_f32_e32 v10, v7
	v_div_scale_f32 v6, vcc, v6, v3, v6
	s_brev_b32 s4, -2
	v_fma_f32 v14, -v7, v10, 1.0
	v_fmac_f32_e32 v10, v14, v10
	v_mul_f32_e32 v14, v6, v10
	v_fma_f32 v15, -v7, v14, v6
	v_fmac_f32_e32 v14, v15, v10
	v_fma_f32 v6, -v7, v14, v6
	v_div_fmas_f32 v6, v6, v10, v14
	v_div_fixup_f32 v14, v6, v3, |v11|
	v_bfi_b32 v15, s4, v1, v11
.LBB230_23:
	s_or_b64 exec, exec, s[20:21]
                                        ; implicit-def: $vgpr11
                                        ; implicit-def: $vgpr6
	s_and_saveexec_b64 s[4:5], s[2:3]
	s_xor_b64 s[2:3], exec, s[4:5]
	s_cbranch_execz .LBB230_25
; %bb.24:
	v_pk_mul_f32 v[6:7], v[14:15], 0.5 op_sel_hi:[1,0]
	s_nop 0
	v_cndmask_b32_e64 v6, v14, v6, s[18:19]
	v_cndmask_b32_e64 v11, v15, v7, s[18:19]
                                        ; implicit-def: $vgpr14_vgpr15
	s_andn2_saveexec_b64 s[2:3], s[2:3]
	s_cbranch_execnz .LBB230_26
	s_branch .LBB230_27
.LBB230_25:
	s_andn2_saveexec_b64 s[2:3], s[2:3]
.LBB230_26:
	v_pk_add_f32 v[10:11], v[14:15], v[14:15]
	s_nop 0
	v_mov_b32_e32 v6, v10
.LBB230_27:
	s_or_b64 exec, exec, s[2:3]
.LBB230_28:
	s_andn2_saveexec_b64 s[2:3], s[16:17]
	s_cbranch_execz .LBB230_34
; %bb.29:
	v_sub_f32_e32 v1, v11, v11
	v_cmp_lt_i32_e32 vcc, -1, v10
	s_brev_b32 s16, -2
	v_and_b32_e32 v6, 0x7fffffff, v1
	s_and_saveexec_b64 s[4:5], vcc
	s_xor_b64 s[4:5], exec, s[4:5]
; %bb.30:
	v_bfi_b32 v11, s16, v1, v11
	v_mov_b32_e32 v6, v10
; %bb.31:
	s_andn2_saveexec_b64 s[4:5], s[4:5]
; %bb.32:
	v_bfi_b32 v11, s16, v10, v11
; %bb.33:
	s_or_b64 exec, exec, s[4:5]
.LBB230_34:
	s_or_b64 exec, exec, s[2:3]
.LBB230_35:
	s_andn2_saveexec_b64 s[2:3], s[14:15]
	s_cbranch_execz .LBB230_37
; %bb.36:
	v_sub_f32_e32 v1, v11, v11
	v_div_scale_f32 v3, vcc, v1, v1, v1
	v_rcp_f32_e32 v6, v3
	s_nop 0
	v_fma_f32 v7, -v3, v6, 1.0
	v_fmac_f32_e32 v6, v7, v6
	v_mul_f32_e32 v7, v3, v6
	v_fma_f32 v11, -v3, v7, v3
	v_fmac_f32_e32 v7, v11, v6
	v_fma_f32 v3, -v3, v7, v3
	v_div_fmas_f32 v3, v3, v6, v7
	v_div_fixup_f32 v11, v3, v1, v1
	v_mov_b32_e32 v6, v10
.LBB230_37:
	s_or_b64 exec, exec, s[2:3]
.LBB230_38:
	s_or_b64 exec, exec, s[12:13]
.LBB230_39:
	s_or_b64 exec, exec, s[10:11]
	v_mov_b32_e32 v7, v11
.LBB230_40:
	s_or_b64 exec, exec, s[6:7]
	v_or_b32_e32 v1, 0x100, v0
	v_cmp_gt_i32_e32 vcc, s23, v1
	s_waitcnt vmcnt(0)
	v_mov_b32_e32 v11, 0
	v_mov_b32_e32 v10, 0
	s_and_saveexec_b64 s[6:7], vcc
	s_cbranch_execz .LBB230_72
; %bb.41:
	v_cmp_neq_f32_e32 vcc, 0, v12
	v_cmp_neq_f32_e64 s[2:3], 0, v13
	v_mov_b32_e32 v10, 0
	s_or_b64 s[2:3], vcc, s[2:3]
	s_and_saveexec_b64 s[10:11], s[2:3]
	s_cbranch_execz .LBB230_71
; %bb.42:
	v_mov_b32_e32 v10, 0x7f800000
	v_cmp_neq_f32_e64 s[2:3], |v13|, v10
	s_and_saveexec_b64 s[12:13], s[2:3]
	s_cbranch_execz .LBB230_70
; %bb.43:
	v_cmp_o_f32_e32 vcc, v12, v12
                                        ; implicit-def: $vgpr10
	s_and_saveexec_b64 s[2:3], vcc
	s_xor_b64 s[14:15], exec, s[2:3]
	s_cbranch_execz .LBB230_67
; %bb.44:
	s_mov_b32 s2, 0x7f800000
	v_cmp_neq_f32_e64 s[2:3], |v12|, s2
                                        ; implicit-def: $vgpr10
	s_and_saveexec_b64 s[4:5], s[2:3]
	s_xor_b64 s[16:17], exec, s[4:5]
	s_cbranch_execz .LBB230_60
; %bb.45:
	v_max_f32_e64 v3, |v12|, |v12|
	v_max_f32_e64 v10, |v13|, |v13|
	v_max_f32_e32 v3, v10, v3
	s_mov_b32 s2, 0x7ed413cb
	v_cmp_nle_f32_e64 s[2:3], s2, v3
                                        ; implicit-def: $sgpr18_sgpr19
	s_and_saveexec_b64 s[4:5], s[2:3]
	s_xor_b64 s[4:5], exec, s[4:5]
	s_cbranch_execz .LBB230_49
; %bb.46:
	s_mov_b32 s20, 0x1000000
	v_cmp_le_f32_e64 s[18:19], |v12|, s20
	v_cmp_le_f32_e64 s[20:21], |v13|, s20
	s_and_b64 s[24:25], s[20:21], s[18:19]
	s_mov_b64 s[18:19], 0
	s_and_saveexec_b64 s[20:21], s[24:25]
; %bb.47:
	s_mov_b64 s[18:19], exec
	v_pk_mul_f32 v[12:13], v[12:13], 4.0 op_sel_hi:[1,0]
; %bb.48:
	s_or_b64 exec, exec, s[20:21]
.LBB230_49:
	s_andn2_saveexec_b64 s[4:5], s[4:5]
; %bb.50:
	s_mov_b32 s20, 0x3e800000
	v_pk_mul_f32 v[12:13], v[12:13], s[20:21] op_sel_hi:[1,0]
	s_andn2_b64 s[18:19], s[18:19], exec
; %bb.51:
	s_or_b64 exec, exec, s[4:5]
	v_max_f32_e64 v3, |v13|, |v13|
	v_max_f32_e64 v10, |v12|, |v12|
	v_max_f32_e32 v3, v10, v3
	v_cvt_f64_f32_e32 v[10:11], v3
	v_frexp_exp_i32_f64_e32 v10, v[10:11]
	v_sub_u32_e32 v11, 0, v10
	v_ldexp_f32 v14, |v12|, v11
	v_ldexp_f32 v11, |v13|, v11
	v_mul_f32_e32 v11, v11, v11
	v_fmac_f32_e32 v11, v14, v14
	v_sqrt_f32_e32 v11, v11
	s_mov_b32 s4, 0x7f800000
	v_cmp_neq_f32_e64 s[4:5], s4, v3
	v_cmp_le_f32_e32 vcc, 0, v12
	v_ldexp_f32 v10, v11, v10
	v_mov_b32_e32 v11, 0x7f800000
	v_cndmask_b32_e64 v3, v11, v10, s[4:5]
                                        ; implicit-def: $vgpr14_vgpr15
	s_and_saveexec_b64 s[4:5], vcc
	s_xor_b64 s[20:21], exec, s[4:5]
	s_cbranch_execz .LBB230_53
; %bb.52:
	v_add_f32_e32 v3, v12, v3
	v_mul_f32_e32 v3, 0.5, v3
	s_mov_b32 s4, 0xf800000
	v_mul_f32_e32 v10, 0x4f800000, v3
	v_cmp_gt_f32_e32 vcc, s4, v3
	s_nop 1
	v_cndmask_b32_e32 v3, v3, v10, vcc
	v_sqrt_f32_e32 v10, v3
	s_nop 0
	v_add_u32_e32 v11, -1, v10
	v_fma_f32 v12, -v11, v10, v3
	v_cmp_ge_f32_e64 s[4:5], 0, v12
	v_add_u32_e32 v12, 1, v10
	s_nop 0
	v_cndmask_b32_e64 v11, v10, v11, s[4:5]
	v_fma_f32 v10, -v12, v10, v3
	v_cmp_lt_f32_e64 s[4:5], 0, v10
	s_nop 1
	v_cndmask_b32_e64 v10, v11, v12, s[4:5]
	v_mul_f32_e32 v11, 0x37800000, v10
	v_cndmask_b32_e32 v10, v10, v11, vcc
	v_mov_b32_e32 v11, 0x260
	v_cmp_class_f32_e32 vcc, v3, v11
	s_nop 1
	v_cndmask_b32_e32 v14, v10, v3, vcc
	v_add_f32_e32 v3, v14, v14
	v_div_scale_f32 v10, s[4:5], v3, v3, v13
	v_rcp_f32_e32 v11, v10
	s_nop 0
	v_fma_f32 v12, -v10, v11, 1.0
	v_fmac_f32_e32 v11, v12, v11
	v_div_scale_f32 v12, vcc, v13, v3, v13
	v_mul_f32_e32 v15, v12, v11
	v_fma_f32 v16, -v10, v15, v12
	v_fmac_f32_e32 v15, v16, v11
	v_fma_f32 v10, -v10, v15, v12
	v_div_fmas_f32 v10, v10, v11, v15
	v_div_fixup_f32 v15, v10, v3, v13
                                        ; implicit-def: $vgpr3
                                        ; implicit-def: $vgpr12_vgpr13
	s_andn2_saveexec_b64 s[20:21], s[20:21]
	s_cbranch_execz .LBB230_55
	s_branch .LBB230_54
.LBB230_53:
	s_andn2_saveexec_b64 s[20:21], s[20:21]
	s_cbranch_execz .LBB230_55
.LBB230_54:
	v_sub_f32_e32 v3, v3, v12
	v_mul_f32_e32 v3, 0.5, v3
	s_mov_b32 s4, 0xf800000
	v_mul_f32_e32 v10, 0x4f800000, v3
	v_cmp_gt_f32_e32 vcc, s4, v3
	s_nop 1
	v_cndmask_b32_e32 v3, v3, v10, vcc
	v_sqrt_f32_e32 v10, v3
	s_nop 0
	v_add_u32_e32 v11, -1, v10
	v_fma_f32 v12, -v11, v10, v3
	v_cmp_ge_f32_e64 s[4:5], 0, v12
	v_add_u32_e32 v12, 1, v10
	s_nop 0
	v_cndmask_b32_e64 v11, v10, v11, s[4:5]
	v_fma_f32 v10, -v12, v10, v3
	v_cmp_lt_f32_e64 s[4:5], 0, v10
	s_nop 1
	v_cndmask_b32_e64 v10, v11, v12, s[4:5]
	v_mul_f32_e32 v11, 0x37800000, v10
	v_cndmask_b32_e32 v10, v10, v11, vcc
	v_mov_b32_e32 v11, 0x260
	v_cmp_class_f32_e32 vcc, v3, v11
	v_and_b32_e32 v11, 0x7fffffff, v13
	s_nop 0
	v_cndmask_b32_e32 v3, v10, v3, vcc
	v_add_f32_e32 v10, v3, v3
	v_div_scale_f32 v12, s[4:5], v10, v10, v11
	v_rcp_f32_e32 v14, v12
	v_div_scale_f32 v11, vcc, v11, v10, v11
	s_brev_b32 s4, -2
	v_fma_f32 v15, -v12, v14, 1.0
	v_fmac_f32_e32 v14, v15, v14
	v_mul_f32_e32 v15, v11, v14
	v_fma_f32 v16, -v12, v15, v11
	v_fmac_f32_e32 v15, v16, v14
	v_fma_f32 v11, -v12, v15, v11
	v_div_fmas_f32 v11, v11, v14, v15
	v_div_fixup_f32 v14, v11, v10, |v13|
	v_bfi_b32 v15, s4, v3, v13
.LBB230_55:
	s_or_b64 exec, exec, s[20:21]
                                        ; implicit-def: $vgpr13
                                        ; implicit-def: $vgpr10
	s_and_saveexec_b64 s[4:5], s[2:3]
	s_xor_b64 s[2:3], exec, s[4:5]
	s_cbranch_execz .LBB230_57
; %bb.56:
	v_pk_mul_f32 v[10:11], v[14:15], 0.5 op_sel_hi:[1,0]
	s_nop 0
	v_cndmask_b32_e64 v10, v14, v10, s[18:19]
	v_cndmask_b32_e64 v13, v15, v11, s[18:19]
                                        ; implicit-def: $vgpr14_vgpr15
	s_andn2_saveexec_b64 s[2:3], s[2:3]
	s_cbranch_execnz .LBB230_58
	s_branch .LBB230_59
.LBB230_57:
	s_andn2_saveexec_b64 s[2:3], s[2:3]
.LBB230_58:
	v_pk_add_f32 v[12:13], v[14:15], v[14:15]
	s_nop 0
	v_mov_b32_e32 v10, v12
.LBB230_59:
	s_or_b64 exec, exec, s[2:3]
.LBB230_60:
	s_andn2_saveexec_b64 s[2:3], s[16:17]
	s_cbranch_execz .LBB230_66
; %bb.61:
	v_sub_f32_e32 v3, v13, v13
	v_cmp_lt_i32_e32 vcc, -1, v12
	s_brev_b32 s16, -2
	v_and_b32_e32 v10, 0x7fffffff, v3
	s_and_saveexec_b64 s[4:5], vcc
	s_xor_b64 s[4:5], exec, s[4:5]
; %bb.62:
	v_bfi_b32 v13, s16, v3, v13
	v_mov_b32_e32 v10, v12
; %bb.63:
	s_andn2_saveexec_b64 s[4:5], s[4:5]
; %bb.64:
	v_bfi_b32 v13, s16, v12, v13
; %bb.65:
	s_or_b64 exec, exec, s[4:5]
.LBB230_66:
	s_or_b64 exec, exec, s[2:3]
.LBB230_67:
	s_andn2_saveexec_b64 s[2:3], s[14:15]
	s_cbranch_execz .LBB230_69
; %bb.68:
	v_sub_f32_e32 v3, v13, v13
	v_div_scale_f32 v10, vcc, v3, v3, v3
	v_rcp_f32_e32 v11, v10
	s_nop 0
	v_fma_f32 v13, -v10, v11, 1.0
	v_fmac_f32_e32 v11, v13, v11
	v_mul_f32_e32 v13, v10, v11
	v_fma_f32 v14, -v10, v13, v10
	v_fmac_f32_e32 v13, v14, v11
	v_fma_f32 v10, -v10, v13, v10
	v_div_fmas_f32 v10, v10, v11, v13
	v_div_fixup_f32 v13, v10, v3, v3
	v_mov_b32_e32 v10, v12
.LBB230_69:
	s_or_b64 exec, exec, s[2:3]
.LBB230_70:
	s_or_b64 exec, exec, s[12:13]
.LBB230_71:
	s_or_b64 exec, exec, s[10:11]
	v_mov_b32_e32 v11, v13
.LBB230_72:
	s_or_b64 exec, exec, s[6:7]
	v_or_b32_e32 v3, 0x200, v0
	v_cmp_gt_i32_e32 vcc, s23, v3
	v_mov_b32_e32 v13, 0
	v_mov_b32_e32 v12, 0
	s_and_saveexec_b64 s[6:7], vcc
	s_cbranch_execz .LBB230_104
; %bb.73:
	v_cmp_neq_f32_e32 vcc, 0, v8
	v_cmp_neq_f32_e64 s[2:3], 0, v9
	v_mov_b32_e32 v12, 0
	s_or_b64 s[2:3], vcc, s[2:3]
	s_and_saveexec_b64 s[10:11], s[2:3]
	s_cbranch_execz .LBB230_103
; %bb.74:
	v_mov_b32_e32 v12, 0x7f800000
	v_cmp_neq_f32_e64 s[2:3], |v9|, v12
	s_and_saveexec_b64 s[12:13], s[2:3]
	s_cbranch_execz .LBB230_102
; %bb.75:
	v_cmp_o_f32_e32 vcc, v8, v8
                                        ; implicit-def: $vgpr12
	s_and_saveexec_b64 s[2:3], vcc
	s_xor_b64 s[14:15], exec, s[2:3]
	s_cbranch_execz .LBB230_99
; %bb.76:
	s_mov_b32 s2, 0x7f800000
	v_cmp_neq_f32_e64 s[2:3], |v8|, s2
                                        ; implicit-def: $vgpr12
	s_and_saveexec_b64 s[4:5], s[2:3]
	s_xor_b64 s[16:17], exec, s[4:5]
	s_cbranch_execz .LBB230_92
; %bb.77:
	v_max_f32_e64 v3, |v8|, |v8|
	v_max_f32_e64 v12, |v9|, |v9|
	v_max_f32_e32 v3, v12, v3
	s_mov_b32 s2, 0x7ed413cb
	v_cmp_nle_f32_e64 s[2:3], s2, v3
                                        ; implicit-def: $sgpr18_sgpr19
	s_and_saveexec_b64 s[4:5], s[2:3]
	s_xor_b64 s[4:5], exec, s[4:5]
	s_cbranch_execz .LBB230_81
; %bb.78:
	s_mov_b32 s20, 0x1000000
	v_cmp_le_f32_e64 s[18:19], |v8|, s20
	v_cmp_le_f32_e64 s[20:21], |v9|, s20
	s_and_b64 s[24:25], s[20:21], s[18:19]
	s_mov_b64 s[18:19], 0
	s_and_saveexec_b64 s[20:21], s[24:25]
; %bb.79:
	s_mov_b64 s[18:19], exec
	v_pk_mul_f32 v[8:9], v[8:9], 4.0 op_sel_hi:[1,0]
; %bb.80:
	s_or_b64 exec, exec, s[20:21]
.LBB230_81:
	s_andn2_saveexec_b64 s[4:5], s[4:5]
; %bb.82:
	s_mov_b32 s20, 0x3e800000
	v_pk_mul_f32 v[8:9], v[8:9], s[20:21] op_sel_hi:[1,0]
	s_andn2_b64 s[18:19], s[18:19], exec
; %bb.83:
	s_or_b64 exec, exec, s[4:5]
	v_max_f32_e64 v3, |v9|, |v9|
	v_max_f32_e64 v12, |v8|, |v8|
	v_max_f32_e32 v3, v12, v3
	v_cvt_f64_f32_e32 v[12:13], v3
	v_frexp_exp_i32_f64_e32 v12, v[12:13]
	v_sub_u32_e32 v13, 0, v12
	v_ldexp_f32 v14, |v8|, v13
	v_ldexp_f32 v13, |v9|, v13
	v_mul_f32_e32 v13, v13, v13
	v_fmac_f32_e32 v13, v14, v14
	v_sqrt_f32_e32 v13, v13
	s_mov_b32 s4, 0x7f800000
	v_cmp_neq_f32_e64 s[4:5], s4, v3
	v_cmp_le_f32_e32 vcc, 0, v8
	v_ldexp_f32 v12, v13, v12
	v_mov_b32_e32 v13, 0x7f800000
	v_cndmask_b32_e64 v3, v13, v12, s[4:5]
                                        ; implicit-def: $vgpr14_vgpr15
	s_and_saveexec_b64 s[4:5], vcc
	s_xor_b64 s[20:21], exec, s[4:5]
	s_cbranch_execz .LBB230_85
; %bb.84:
	v_add_f32_e32 v3, v8, v3
	v_mul_f32_e32 v3, 0.5, v3
	s_mov_b32 s4, 0xf800000
	v_mul_f32_e32 v8, 0x4f800000, v3
	v_cmp_gt_f32_e32 vcc, s4, v3
	s_nop 1
	v_cndmask_b32_e32 v3, v3, v8, vcc
	v_sqrt_f32_e32 v8, v3
	s_nop 0
	v_add_u32_e32 v12, -1, v8
	v_fma_f32 v13, -v12, v8, v3
	v_cmp_ge_f32_e64 s[4:5], 0, v13
	v_add_u32_e32 v13, 1, v8
	s_nop 0
	v_cndmask_b32_e64 v12, v8, v12, s[4:5]
	v_fma_f32 v8, -v13, v8, v3
	v_cmp_lt_f32_e64 s[4:5], 0, v8
	s_nop 1
	v_cndmask_b32_e64 v8, v12, v13, s[4:5]
	v_mul_f32_e32 v12, 0x37800000, v8
	v_cndmask_b32_e32 v8, v8, v12, vcc
	v_mov_b32_e32 v12, 0x260
	v_cmp_class_f32_e32 vcc, v3, v12
	s_nop 1
	v_cndmask_b32_e32 v14, v8, v3, vcc
	v_add_f32_e32 v3, v14, v14
	v_div_scale_f32 v8, s[4:5], v3, v3, v9
	v_rcp_f32_e32 v12, v8
	s_nop 0
	v_fma_f32 v13, -v8, v12, 1.0
	v_fmac_f32_e32 v12, v13, v12
	v_div_scale_f32 v13, vcc, v9, v3, v9
	v_mul_f32_e32 v15, v13, v12
	v_fma_f32 v16, -v8, v15, v13
	v_fmac_f32_e32 v15, v16, v12
	v_fma_f32 v8, -v8, v15, v13
	v_div_fmas_f32 v8, v8, v12, v15
	v_div_fixup_f32 v15, v8, v3, v9
                                        ; implicit-def: $vgpr3
                                        ; implicit-def: $vgpr8_vgpr9
	s_andn2_saveexec_b64 s[20:21], s[20:21]
	s_cbranch_execz .LBB230_87
	s_branch .LBB230_86
.LBB230_85:
	s_andn2_saveexec_b64 s[20:21], s[20:21]
	s_cbranch_execz .LBB230_87
.LBB230_86:
	v_sub_f32_e32 v3, v3, v8
	v_mul_f32_e32 v3, 0.5, v3
	s_mov_b32 s4, 0xf800000
	v_mul_f32_e32 v8, 0x4f800000, v3
	v_cmp_gt_f32_e32 vcc, s4, v3
	s_nop 1
	v_cndmask_b32_e32 v3, v3, v8, vcc
	v_sqrt_f32_e32 v8, v3
	s_nop 0
	v_add_u32_e32 v12, -1, v8
	v_fma_f32 v13, -v12, v8, v3
	v_cmp_ge_f32_e64 s[4:5], 0, v13
	v_add_u32_e32 v13, 1, v8
	s_nop 0
	v_cndmask_b32_e64 v12, v8, v12, s[4:5]
	v_fma_f32 v8, -v13, v8, v3
	v_cmp_lt_f32_e64 s[4:5], 0, v8
	s_nop 1
	v_cndmask_b32_e64 v8, v12, v13, s[4:5]
	v_mul_f32_e32 v12, 0x37800000, v8
	v_cndmask_b32_e32 v8, v8, v12, vcc
	v_mov_b32_e32 v12, 0x260
	v_cmp_class_f32_e32 vcc, v3, v12
	v_and_b32_e32 v12, 0x7fffffff, v9
	s_nop 0
	v_cndmask_b32_e32 v3, v8, v3, vcc
	v_add_f32_e32 v8, v3, v3
	v_div_scale_f32 v13, s[4:5], v8, v8, v12
	v_rcp_f32_e32 v14, v13
	v_div_scale_f32 v12, vcc, v12, v8, v12
	s_brev_b32 s4, -2
	v_fma_f32 v15, -v13, v14, 1.0
	v_fmac_f32_e32 v14, v15, v14
	v_mul_f32_e32 v15, v12, v14
	v_fma_f32 v16, -v13, v15, v12
	v_fmac_f32_e32 v15, v16, v14
	v_fma_f32 v12, -v13, v15, v12
	v_div_fmas_f32 v12, v12, v14, v15
	v_div_fixup_f32 v14, v12, v8, |v9|
	v_bfi_b32 v15, s4, v3, v9
.LBB230_87:
	s_or_b64 exec, exec, s[20:21]
                                        ; implicit-def: $vgpr9
                                        ; implicit-def: $vgpr12
	s_and_saveexec_b64 s[4:5], s[2:3]
	s_xor_b64 s[2:3], exec, s[4:5]
	s_cbranch_execz .LBB230_89
; %bb.88:
	v_pk_mul_f32 v[8:9], v[14:15], 0.5 op_sel_hi:[1,0]
	s_nop 0
	v_cndmask_b32_e64 v12, v14, v8, s[18:19]
	v_cndmask_b32_e64 v9, v15, v9, s[18:19]
                                        ; implicit-def: $vgpr14_vgpr15
	s_andn2_saveexec_b64 s[2:3], s[2:3]
	s_cbranch_execnz .LBB230_90
	s_branch .LBB230_91
.LBB230_89:
	s_andn2_saveexec_b64 s[2:3], s[2:3]
.LBB230_90:
	v_pk_add_f32 v[8:9], v[14:15], v[14:15]
	s_nop 0
	v_mov_b32_e32 v12, v8
.LBB230_91:
	s_or_b64 exec, exec, s[2:3]
.LBB230_92:
	s_andn2_saveexec_b64 s[2:3], s[16:17]
	s_cbranch_execz .LBB230_98
; %bb.93:
	v_sub_f32_e32 v3, v9, v9
	v_cmp_lt_i32_e32 vcc, -1, v8
	s_brev_b32 s16, -2
	v_and_b32_e32 v12, 0x7fffffff, v3
	s_and_saveexec_b64 s[4:5], vcc
	s_xor_b64 s[4:5], exec, s[4:5]
; %bb.94:
	v_bfi_b32 v9, s16, v3, v9
	v_mov_b32_e32 v12, v8
; %bb.95:
	s_andn2_saveexec_b64 s[4:5], s[4:5]
; %bb.96:
	v_bfi_b32 v9, s16, v8, v9
; %bb.97:
	s_or_b64 exec, exec, s[4:5]
.LBB230_98:
	s_or_b64 exec, exec, s[2:3]
.LBB230_99:
	s_andn2_saveexec_b64 s[2:3], s[14:15]
	s_cbranch_execz .LBB230_101
; %bb.100:
	v_sub_f32_e32 v3, v9, v9
	v_div_scale_f32 v9, vcc, v3, v3, v3
	v_rcp_f32_e32 v12, v9
	s_nop 0
	v_fma_f32 v13, -v9, v12, 1.0
	v_fmac_f32_e32 v12, v13, v12
	v_mul_f32_e32 v13, v9, v12
	v_fma_f32 v14, -v9, v13, v9
	v_fmac_f32_e32 v13, v14, v12
	v_fma_f32 v9, -v9, v13, v9
	v_div_fmas_f32 v9, v9, v12, v13
	v_div_fixup_f32 v9, v9, v3, v3
	v_mov_b32_e32 v12, v8
.LBB230_101:
	s_or_b64 exec, exec, s[2:3]
.LBB230_102:
	s_or_b64 exec, exec, s[12:13]
.LBB230_103:
	s_or_b64 exec, exec, s[10:11]
	v_mov_b32_e32 v13, v9
.LBB230_104:
	s_or_b64 exec, exec, s[6:7]
	v_or_b32_e32 v3, 0x300, v0
	v_cmp_gt_i32_e32 vcc, s23, v3
	v_mov_b32_e32 v9, 0
	v_mov_b32_e32 v8, 0
	s_and_saveexec_b64 s[6:7], vcc
	s_cbranch_execz .LBB230_117
; %bb.105:
	v_cmp_neq_f32_e32 vcc, 0, v4
	v_cmp_neq_f32_e64 s[2:3], 0, v5
	v_mov_b32_e32 v8, 0
	s_or_b64 s[2:3], vcc, s[2:3]
	s_and_saveexec_b64 s[10:11], s[2:3]
	s_cbranch_execz .LBB230_140
; %bb.106:
	v_mov_b32_e32 v8, 0x7f800000
	v_cmp_neq_f32_e64 s[2:3], |v5|, v8
	s_and_saveexec_b64 s[12:13], s[2:3]
	s_cbranch_execz .LBB230_139
; %bb.107:
	v_cmp_o_f32_e32 vcc, v4, v4
                                        ; implicit-def: $vgpr8
	s_and_saveexec_b64 s[2:3], vcc
	s_xor_b64 s[14:15], exec, s[2:3]
	s_cbranch_execz .LBB230_136
; %bb.108:
	s_mov_b32 s2, 0x7f800000
	v_cmp_neq_f32_e64 s[2:3], |v4|, s2
                                        ; implicit-def: $vgpr8
	s_and_saveexec_b64 s[4:5], s[2:3]
	s_xor_b64 s[16:17], exec, s[4:5]
	s_cbranch_execz .LBB230_129
; %bb.109:
	v_max_f32_e64 v3, |v4|, |v4|
	v_max_f32_e64 v8, |v5|, |v5|
	v_max_f32_e32 v3, v8, v3
	s_mov_b32 s2, 0x7ed413cb
	v_cmp_nle_f32_e64 s[2:3], s2, v3
                                        ; implicit-def: $sgpr18_sgpr19
	s_and_saveexec_b64 s[4:5], s[2:3]
	s_xor_b64 s[4:5], exec, s[4:5]
	s_cbranch_execz .LBB230_113
; %bb.110:
	s_mov_b32 s20, 0x1000000
	v_cmp_le_f32_e64 s[18:19], |v4|, s20
	v_cmp_le_f32_e64 s[20:21], |v5|, s20
	s_and_b64 s[24:25], s[20:21], s[18:19]
	s_mov_b64 s[18:19], 0
	s_and_saveexec_b64 s[20:21], s[24:25]
; %bb.111:
	s_mov_b64 s[18:19], exec
	v_pk_mul_f32 v[4:5], v[4:5], 4.0 op_sel_hi:[1,0]
; %bb.112:
	s_or_b64 exec, exec, s[20:21]
.LBB230_113:
	s_andn2_saveexec_b64 s[4:5], s[4:5]
; %bb.114:
	s_mov_b32 s20, 0x3e800000
	v_pk_mul_f32 v[4:5], v[4:5], s[20:21] op_sel_hi:[1,0]
	s_andn2_b64 s[18:19], s[18:19], exec
; %bb.115:
	s_or_b64 exec, exec, s[4:5]
	v_max_f32_e64 v3, |v5|, |v5|
	v_max_f32_e64 v8, |v4|, |v4|
	v_max_f32_e32 v3, v8, v3
	v_cvt_f64_f32_e32 v[8:9], v3
	v_frexp_exp_i32_f64_e32 v8, v[8:9]
	v_sub_u32_e32 v9, 0, v8
	v_ldexp_f32 v14, |v4|, v9
	v_ldexp_f32 v9, |v5|, v9
	v_mul_f32_e32 v9, v9, v9
	v_fmac_f32_e32 v9, v14, v14
	v_sqrt_f32_e32 v9, v9
	s_mov_b32 s4, 0x7f800000
	v_cmp_neq_f32_e64 s[4:5], s4, v3
	v_cmp_le_f32_e32 vcc, 0, v4
	v_ldexp_f32 v8, v9, v8
	v_mov_b32_e32 v9, 0x7f800000
	v_cndmask_b32_e64 v3, v9, v8, s[4:5]
                                        ; implicit-def: $vgpr14_vgpr15
	s_and_saveexec_b64 s[4:5], vcc
	s_xor_b64 s[20:21], exec, s[4:5]
	s_cbranch_execz .LBB230_122
; %bb.116:
	v_add_f32_e32 v3, v4, v3
	v_mul_f32_e32 v3, 0.5, v3
	s_mov_b32 s4, 0xf800000
	v_mul_f32_e32 v4, 0x4f800000, v3
	v_cmp_gt_f32_e32 vcc, s4, v3
	s_nop 1
	v_cndmask_b32_e32 v3, v3, v4, vcc
	v_sqrt_f32_e32 v4, v3
	s_nop 0
	v_add_u32_e32 v8, -1, v4
	v_fma_f32 v9, -v8, v4, v3
	v_cmp_ge_f32_e64 s[4:5], 0, v9
	v_add_u32_e32 v9, 1, v4
	s_nop 0
	v_cndmask_b32_e64 v8, v4, v8, s[4:5]
	v_fma_f32 v4, -v9, v4, v3
	v_cmp_lt_f32_e64 s[4:5], 0, v4
	s_nop 1
	v_cndmask_b32_e64 v4, v8, v9, s[4:5]
	v_mul_f32_e32 v8, 0x37800000, v4
	v_cndmask_b32_e32 v4, v4, v8, vcc
	v_mov_b32_e32 v8, 0x260
	v_cmp_class_f32_e32 vcc, v3, v8
	s_nop 1
	v_cndmask_b32_e32 v14, v4, v3, vcc
	v_add_f32_e32 v3, v14, v14
	v_div_scale_f32 v4, s[4:5], v3, v3, v5
	v_rcp_f32_e32 v8, v4
	s_nop 0
	v_fma_f32 v9, -v4, v8, 1.0
	v_fmac_f32_e32 v8, v9, v8
	v_div_scale_f32 v9, vcc, v5, v3, v5
	v_mul_f32_e32 v15, v9, v8
	v_fma_f32 v16, -v4, v15, v9
	v_fmac_f32_e32 v15, v16, v8
	v_fma_f32 v4, -v4, v15, v9
	v_div_fmas_f32 v4, v4, v8, v15
	v_div_fixup_f32 v15, v4, v3, v5
                                        ; implicit-def: $vgpr3
                                        ; implicit-def: $vgpr4_vgpr5
	s_andn2_saveexec_b64 s[20:21], s[20:21]
	s_cbranch_execz .LBB230_124
	s_branch .LBB230_123
.LBB230_117:
	s_or_b64 exec, exec, s[6:7]
	s_and_saveexec_b64 s[2:3], s[0:1]
	s_xor_b64 s[0:1], exec, s[2:3]
	s_cbranch_execz .LBB230_141
.LBB230_118:
	v_mov_b32_e32 v3, 0
	v_lshl_add_u64 v[2:3], v[2:3], 3, s[8:9]
	v_mov_b32_e32 v0, v1
	global_store_dwordx2 v[2:3], v[6:7], off
	s_or_b64 exec, exec, s[0:1]
	v_cmp_gt_i32_e32 vcc, s23, v0
	s_and_saveexec_b64 s[0:1], vcc
	s_cbranch_execnz .LBB230_142
.LBB230_119:
	s_or_b64 exec, exec, s[0:1]
	v_cmp_gt_i32_e32 vcc, s23, v0
	s_and_saveexec_b64 s[0:1], vcc
	s_cbranch_execz .LBB230_143
.LBB230_120:
	v_add_u32_e32 v2, s22, v0
	v_mov_b32_e32 v3, 0
	v_lshl_add_u64 v[2:3], v[2:3], 3, s[8:9]
	v_add_u32_e32 v0, 0x100, v0
	global_store_dwordx2 v[2:3], v[12:13], off
	s_or_b64 exec, exec, s[0:1]
	v_cmp_gt_i32_e32 vcc, s23, v0
	s_and_saveexec_b64 s[0:1], vcc
	s_cbranch_execnz .LBB230_144
.LBB230_121:
	s_endpgm
.LBB230_122:
	s_andn2_saveexec_b64 s[20:21], s[20:21]
	s_cbranch_execz .LBB230_124
.LBB230_123:
	v_sub_f32_e32 v3, v3, v4
	v_mul_f32_e32 v3, 0.5, v3
	s_mov_b32 s4, 0xf800000
	v_mul_f32_e32 v4, 0x4f800000, v3
	v_cmp_gt_f32_e32 vcc, s4, v3
	s_nop 1
	v_cndmask_b32_e32 v3, v3, v4, vcc
	v_sqrt_f32_e32 v4, v3
	s_nop 0
	v_add_u32_e32 v8, -1, v4
	v_fma_f32 v9, -v8, v4, v3
	v_cmp_ge_f32_e64 s[4:5], 0, v9
	v_add_u32_e32 v9, 1, v4
	s_nop 0
	v_cndmask_b32_e64 v8, v4, v8, s[4:5]
	v_fma_f32 v4, -v9, v4, v3
	v_cmp_lt_f32_e64 s[4:5], 0, v4
	s_nop 1
	v_cndmask_b32_e64 v4, v8, v9, s[4:5]
	v_mul_f32_e32 v8, 0x37800000, v4
	v_cndmask_b32_e32 v4, v4, v8, vcc
	v_mov_b32_e32 v8, 0x260
	v_cmp_class_f32_e32 vcc, v3, v8
	v_and_b32_e32 v8, 0x7fffffff, v5
	s_nop 0
	v_cndmask_b32_e32 v3, v4, v3, vcc
	v_add_f32_e32 v4, v3, v3
	v_div_scale_f32 v9, s[4:5], v4, v4, v8
	v_rcp_f32_e32 v14, v9
	v_div_scale_f32 v8, vcc, v8, v4, v8
	s_brev_b32 s4, -2
	v_fma_f32 v15, -v9, v14, 1.0
	v_fmac_f32_e32 v14, v15, v14
	v_mul_f32_e32 v15, v8, v14
	v_fma_f32 v16, -v9, v15, v8
	v_fmac_f32_e32 v15, v16, v14
	v_fma_f32 v8, -v9, v15, v8
	v_div_fmas_f32 v8, v8, v14, v15
	v_div_fixup_f32 v14, v8, v4, |v5|
	v_bfi_b32 v15, s4, v3, v5
.LBB230_124:
	s_or_b64 exec, exec, s[20:21]
                                        ; implicit-def: $vgpr5
                                        ; implicit-def: $vgpr8
	s_and_saveexec_b64 s[4:5], s[2:3]
	s_xor_b64 s[2:3], exec, s[4:5]
	s_cbranch_execz .LBB230_126
; %bb.125:
	v_pk_mul_f32 v[4:5], v[14:15], 0.5 op_sel_hi:[1,0]
	s_nop 0
	v_cndmask_b32_e64 v8, v14, v4, s[18:19]
	v_cndmask_b32_e64 v5, v15, v5, s[18:19]
                                        ; implicit-def: $vgpr14_vgpr15
	s_andn2_saveexec_b64 s[2:3], s[2:3]
	s_cbranch_execnz .LBB230_127
	s_branch .LBB230_128
.LBB230_126:
	s_andn2_saveexec_b64 s[2:3], s[2:3]
.LBB230_127:
	v_pk_add_f32 v[4:5], v[14:15], v[14:15]
	s_nop 0
	v_mov_b32_e32 v8, v4
.LBB230_128:
	s_or_b64 exec, exec, s[2:3]
.LBB230_129:
	s_andn2_saveexec_b64 s[2:3], s[16:17]
	s_cbranch_execz .LBB230_135
; %bb.130:
	v_sub_f32_e32 v3, v5, v5
	v_cmp_lt_i32_e32 vcc, -1, v4
	s_brev_b32 s16, -2
	v_and_b32_e32 v8, 0x7fffffff, v3
	s_and_saveexec_b64 s[4:5], vcc
	s_xor_b64 s[4:5], exec, s[4:5]
; %bb.131:
	v_bfi_b32 v5, s16, v3, v5
	v_mov_b32_e32 v8, v4
; %bb.132:
	s_andn2_saveexec_b64 s[4:5], s[4:5]
; %bb.133:
	v_bfi_b32 v5, s16, v4, v5
; %bb.134:
	s_or_b64 exec, exec, s[4:5]
.LBB230_135:
	s_or_b64 exec, exec, s[2:3]
.LBB230_136:
	s_andn2_saveexec_b64 s[2:3], s[14:15]
	s_cbranch_execz .LBB230_138
; %bb.137:
	v_sub_f32_e32 v3, v5, v5
	v_div_scale_f32 v5, vcc, v3, v3, v3
	v_rcp_f32_e32 v8, v5
	s_nop 0
	v_fma_f32 v9, -v5, v8, 1.0
	v_fmac_f32_e32 v8, v9, v8
	v_mul_f32_e32 v9, v5, v8
	v_fma_f32 v14, -v5, v9, v5
	v_fmac_f32_e32 v9, v14, v8
	v_fma_f32 v5, -v5, v9, v5
	v_div_fmas_f32 v5, v5, v8, v9
	v_div_fixup_f32 v5, v5, v3, v3
	v_mov_b32_e32 v8, v4
.LBB230_138:
	s_or_b64 exec, exec, s[2:3]
.LBB230_139:
	s_or_b64 exec, exec, s[12:13]
.LBB230_140:
	s_or_b64 exec, exec, s[10:11]
	v_mov_b32_e32 v9, v5
	s_or_b64 exec, exec, s[6:7]
	s_and_saveexec_b64 s[2:3], s[0:1]
	s_xor_b64 s[0:1], exec, s[2:3]
	s_cbranch_execnz .LBB230_118
.LBB230_141:
	s_or_b64 exec, exec, s[0:1]
	v_cmp_gt_i32_e32 vcc, s23, v0
	s_and_saveexec_b64 s[0:1], vcc
	s_cbranch_execz .LBB230_119
.LBB230_142:
	v_add_u32_e32 v2, s22, v0
	v_mov_b32_e32 v3, 0
	v_lshl_add_u64 v[2:3], v[2:3], 3, s[8:9]
	v_add_u32_e32 v0, 0x100, v0
	global_store_dwordx2 v[2:3], v[10:11], off
	s_or_b64 exec, exec, s[0:1]
	v_cmp_gt_i32_e32 vcc, s23, v0
	s_and_saveexec_b64 s[0:1], vcc
	s_cbranch_execnz .LBB230_120
.LBB230_143:
	s_or_b64 exec, exec, s[0:1]
	v_cmp_gt_i32_e32 vcc, s23, v0
	s_and_saveexec_b64 s[0:1], vcc
	s_cbranch_execz .LBB230_121
.LBB230_144:
	v_add_u32_e32 v0, s22, v0
	v_mov_b32_e32 v1, 0
	v_lshl_add_u64 v[0:1], v[0:1], 3, s[8:9]
	global_store_dwordx2 v[0:1], v[8:9], off
	s_endpgm
	.section	.rodata,"a",@progbits
	.p2align	6, 0x0
	.amdhsa_kernel _ZN2at6native27unrolled_elementwise_kernelIZZZNS0_16sqrt_kernel_cudaERNS_18TensorIteratorBaseEENKUlvE_clEvENKUlvE0_clEvEUlN3c107complexIfEEE_St5arrayIPcLm2EELi4E23TrivialOffsetCalculatorILi1EjESE_NS0_6memory15LoadWithoutCastENSF_16StoreWithoutCastEEEviT_T0_T2_T3_T4_T5_
		.amdhsa_group_segment_fixed_size 0
		.amdhsa_private_segment_fixed_size 0
		.amdhsa_kernarg_size 28
		.amdhsa_user_sgpr_count 2
		.amdhsa_user_sgpr_dispatch_ptr 0
		.amdhsa_user_sgpr_queue_ptr 0
		.amdhsa_user_sgpr_kernarg_segment_ptr 1
		.amdhsa_user_sgpr_dispatch_id 0
		.amdhsa_user_sgpr_kernarg_preload_length 0
		.amdhsa_user_sgpr_kernarg_preload_offset 0
		.amdhsa_user_sgpr_private_segment_size 0
		.amdhsa_uses_dynamic_stack 0
		.amdhsa_enable_private_segment 0
		.amdhsa_system_sgpr_workgroup_id_x 1
		.amdhsa_system_sgpr_workgroup_id_y 0
		.amdhsa_system_sgpr_workgroup_id_z 0
		.amdhsa_system_sgpr_workgroup_info 0
		.amdhsa_system_vgpr_workitem_id 0
		.amdhsa_next_free_vgpr 17
		.amdhsa_next_free_sgpr 26
		.amdhsa_accum_offset 20
		.amdhsa_reserve_vcc 1
		.amdhsa_float_round_mode_32 0
		.amdhsa_float_round_mode_16_64 0
		.amdhsa_float_denorm_mode_32 3
		.amdhsa_float_denorm_mode_16_64 3
		.amdhsa_dx10_clamp 1
		.amdhsa_ieee_mode 1
		.amdhsa_fp16_overflow 0
		.amdhsa_tg_split 0
		.amdhsa_exception_fp_ieee_invalid_op 0
		.amdhsa_exception_fp_denorm_src 0
		.amdhsa_exception_fp_ieee_div_zero 0
		.amdhsa_exception_fp_ieee_overflow 0
		.amdhsa_exception_fp_ieee_underflow 0
		.amdhsa_exception_fp_ieee_inexact 0
		.amdhsa_exception_int_div_zero 0
	.end_amdhsa_kernel
	.section	.text._ZN2at6native27unrolled_elementwise_kernelIZZZNS0_16sqrt_kernel_cudaERNS_18TensorIteratorBaseEENKUlvE_clEvENKUlvE0_clEvEUlN3c107complexIfEEE_St5arrayIPcLm2EELi4E23TrivialOffsetCalculatorILi1EjESE_NS0_6memory15LoadWithoutCastENSF_16StoreWithoutCastEEEviT_T0_T2_T3_T4_T5_,"axG",@progbits,_ZN2at6native27unrolled_elementwise_kernelIZZZNS0_16sqrt_kernel_cudaERNS_18TensorIteratorBaseEENKUlvE_clEvENKUlvE0_clEvEUlN3c107complexIfEEE_St5arrayIPcLm2EELi4E23TrivialOffsetCalculatorILi1EjESE_NS0_6memory15LoadWithoutCastENSF_16StoreWithoutCastEEEviT_T0_T2_T3_T4_T5_,comdat
.Lfunc_end230:
	.size	_ZN2at6native27unrolled_elementwise_kernelIZZZNS0_16sqrt_kernel_cudaERNS_18TensorIteratorBaseEENKUlvE_clEvENKUlvE0_clEvEUlN3c107complexIfEEE_St5arrayIPcLm2EELi4E23TrivialOffsetCalculatorILi1EjESE_NS0_6memory15LoadWithoutCastENSF_16StoreWithoutCastEEEviT_T0_T2_T3_T4_T5_, .Lfunc_end230-_ZN2at6native27unrolled_elementwise_kernelIZZZNS0_16sqrt_kernel_cudaERNS_18TensorIteratorBaseEENKUlvE_clEvENKUlvE0_clEvEUlN3c107complexIfEEE_St5arrayIPcLm2EELi4E23TrivialOffsetCalculatorILi1EjESE_NS0_6memory15LoadWithoutCastENSF_16StoreWithoutCastEEEviT_T0_T2_T3_T4_T5_
                                        ; -- End function
	.set _ZN2at6native27unrolled_elementwise_kernelIZZZNS0_16sqrt_kernel_cudaERNS_18TensorIteratorBaseEENKUlvE_clEvENKUlvE0_clEvEUlN3c107complexIfEEE_St5arrayIPcLm2EELi4E23TrivialOffsetCalculatorILi1EjESE_NS0_6memory15LoadWithoutCastENSF_16StoreWithoutCastEEEviT_T0_T2_T3_T4_T5_.num_vgpr, 17
	.set _ZN2at6native27unrolled_elementwise_kernelIZZZNS0_16sqrt_kernel_cudaERNS_18TensorIteratorBaseEENKUlvE_clEvENKUlvE0_clEvEUlN3c107complexIfEEE_St5arrayIPcLm2EELi4E23TrivialOffsetCalculatorILi1EjESE_NS0_6memory15LoadWithoutCastENSF_16StoreWithoutCastEEEviT_T0_T2_T3_T4_T5_.num_agpr, 0
	.set _ZN2at6native27unrolled_elementwise_kernelIZZZNS0_16sqrt_kernel_cudaERNS_18TensorIteratorBaseEENKUlvE_clEvENKUlvE0_clEvEUlN3c107complexIfEEE_St5arrayIPcLm2EELi4E23TrivialOffsetCalculatorILi1EjESE_NS0_6memory15LoadWithoutCastENSF_16StoreWithoutCastEEEviT_T0_T2_T3_T4_T5_.numbered_sgpr, 26
	.set _ZN2at6native27unrolled_elementwise_kernelIZZZNS0_16sqrt_kernel_cudaERNS_18TensorIteratorBaseEENKUlvE_clEvENKUlvE0_clEvEUlN3c107complexIfEEE_St5arrayIPcLm2EELi4E23TrivialOffsetCalculatorILi1EjESE_NS0_6memory15LoadWithoutCastENSF_16StoreWithoutCastEEEviT_T0_T2_T3_T4_T5_.num_named_barrier, 0
	.set _ZN2at6native27unrolled_elementwise_kernelIZZZNS0_16sqrt_kernel_cudaERNS_18TensorIteratorBaseEENKUlvE_clEvENKUlvE0_clEvEUlN3c107complexIfEEE_St5arrayIPcLm2EELi4E23TrivialOffsetCalculatorILi1EjESE_NS0_6memory15LoadWithoutCastENSF_16StoreWithoutCastEEEviT_T0_T2_T3_T4_T5_.private_seg_size, 0
	.set _ZN2at6native27unrolled_elementwise_kernelIZZZNS0_16sqrt_kernel_cudaERNS_18TensorIteratorBaseEENKUlvE_clEvENKUlvE0_clEvEUlN3c107complexIfEEE_St5arrayIPcLm2EELi4E23TrivialOffsetCalculatorILi1EjESE_NS0_6memory15LoadWithoutCastENSF_16StoreWithoutCastEEEviT_T0_T2_T3_T4_T5_.uses_vcc, 1
	.set _ZN2at6native27unrolled_elementwise_kernelIZZZNS0_16sqrt_kernel_cudaERNS_18TensorIteratorBaseEENKUlvE_clEvENKUlvE0_clEvEUlN3c107complexIfEEE_St5arrayIPcLm2EELi4E23TrivialOffsetCalculatorILi1EjESE_NS0_6memory15LoadWithoutCastENSF_16StoreWithoutCastEEEviT_T0_T2_T3_T4_T5_.uses_flat_scratch, 0
	.set _ZN2at6native27unrolled_elementwise_kernelIZZZNS0_16sqrt_kernel_cudaERNS_18TensorIteratorBaseEENKUlvE_clEvENKUlvE0_clEvEUlN3c107complexIfEEE_St5arrayIPcLm2EELi4E23TrivialOffsetCalculatorILi1EjESE_NS0_6memory15LoadWithoutCastENSF_16StoreWithoutCastEEEviT_T0_T2_T3_T4_T5_.has_dyn_sized_stack, 0
	.set _ZN2at6native27unrolled_elementwise_kernelIZZZNS0_16sqrt_kernel_cudaERNS_18TensorIteratorBaseEENKUlvE_clEvENKUlvE0_clEvEUlN3c107complexIfEEE_St5arrayIPcLm2EELi4E23TrivialOffsetCalculatorILi1EjESE_NS0_6memory15LoadWithoutCastENSF_16StoreWithoutCastEEEviT_T0_T2_T3_T4_T5_.has_recursion, 0
	.set _ZN2at6native27unrolled_elementwise_kernelIZZZNS0_16sqrt_kernel_cudaERNS_18TensorIteratorBaseEENKUlvE_clEvENKUlvE0_clEvEUlN3c107complexIfEEE_St5arrayIPcLm2EELi4E23TrivialOffsetCalculatorILi1EjESE_NS0_6memory15LoadWithoutCastENSF_16StoreWithoutCastEEEviT_T0_T2_T3_T4_T5_.has_indirect_call, 0
	.section	.AMDGPU.csdata,"",@progbits
; Kernel info:
; codeLenInByte = 4868
; TotalNumSgprs: 32
; NumVgprs: 17
; NumAgprs: 0
; TotalNumVgprs: 17
; ScratchSize: 0
; MemoryBound: 0
; FloatMode: 240
; IeeeMode: 1
; LDSByteSize: 0 bytes/workgroup (compile time only)
; SGPRBlocks: 3
; VGPRBlocks: 2
; NumSGPRsForWavesPerEU: 32
; NumVGPRsForWavesPerEU: 17
; AccumOffset: 20
; Occupancy: 8
; WaveLimiterHint : 0
; COMPUTE_PGM_RSRC2:SCRATCH_EN: 0
; COMPUTE_PGM_RSRC2:USER_SGPR: 2
; COMPUTE_PGM_RSRC2:TRAP_HANDLER: 0
; COMPUTE_PGM_RSRC2:TGID_X_EN: 1
; COMPUTE_PGM_RSRC2:TGID_Y_EN: 0
; COMPUTE_PGM_RSRC2:TGID_Z_EN: 0
; COMPUTE_PGM_RSRC2:TIDIG_COMP_CNT: 0
; COMPUTE_PGM_RSRC3_GFX90A:ACCUM_OFFSET: 4
; COMPUTE_PGM_RSRC3_GFX90A:TG_SPLIT: 0
	.section	.text._ZN2at6native32elementwise_kernel_manual_unrollILi128ELi4EZNS0_22gpu_kernel_impl_nocastIZZZNS0_16sqrt_kernel_cudaERNS_18TensorIteratorBaseEENKUlvE_clEvENKUlvE0_clEvEUlN3c107complexIfEEE_EEvS4_RKT_EUlibE_EEviT1_,"axG",@progbits,_ZN2at6native32elementwise_kernel_manual_unrollILi128ELi4EZNS0_22gpu_kernel_impl_nocastIZZZNS0_16sqrt_kernel_cudaERNS_18TensorIteratorBaseEENKUlvE_clEvENKUlvE0_clEvEUlN3c107complexIfEEE_EEvS4_RKT_EUlibE_EEviT1_,comdat
	.globl	_ZN2at6native32elementwise_kernel_manual_unrollILi128ELi4EZNS0_22gpu_kernel_impl_nocastIZZZNS0_16sqrt_kernel_cudaERNS_18TensorIteratorBaseEENKUlvE_clEvENKUlvE0_clEvEUlN3c107complexIfEEE_EEvS4_RKT_EUlibE_EEviT1_ ; -- Begin function _ZN2at6native32elementwise_kernel_manual_unrollILi128ELi4EZNS0_22gpu_kernel_impl_nocastIZZZNS0_16sqrt_kernel_cudaERNS_18TensorIteratorBaseEENKUlvE_clEvENKUlvE0_clEvEUlN3c107complexIfEEE_EEvS4_RKT_EUlibE_EEviT1_
	.p2align	8
	.type	_ZN2at6native32elementwise_kernel_manual_unrollILi128ELi4EZNS0_22gpu_kernel_impl_nocastIZZZNS0_16sqrt_kernel_cudaERNS_18TensorIteratorBaseEENKUlvE_clEvENKUlvE0_clEvEUlN3c107complexIfEEE_EEvS4_RKT_EUlibE_EEviT1_,@function
_ZN2at6native32elementwise_kernel_manual_unrollILi128ELi4EZNS0_22gpu_kernel_impl_nocastIZZZNS0_16sqrt_kernel_cudaERNS_18TensorIteratorBaseEENKUlvE_clEvENKUlvE0_clEvEUlN3c107complexIfEEE_EEvS4_RKT_EUlibE_EEviT1_: ; @_ZN2at6native32elementwise_kernel_manual_unrollILi128ELi4EZNS0_22gpu_kernel_impl_nocastIZZZNS0_16sqrt_kernel_cudaERNS_18TensorIteratorBaseEENKUlvE_clEvENKUlvE0_clEvEUlN3c107complexIfEEE_EEvS4_RKT_EUlibE_EEviT1_
; %bb.0:
	s_load_dword s55, s[0:1], 0x0
	s_load_dword s33, s[0:1], 0x8
	s_add_u32 s34, s0, 8
	s_addc_u32 s35, s1, 0
	v_lshl_or_b32 v6, s2, 9, v0
	v_or_b32_e32 v12, 0x180, v6
	s_waitcnt lgkmcnt(0)
	s_add_i32 s54, s33, -1
	s_cmp_gt_u32 s54, 1
	v_cmp_le_i32_e32 vcc, s55, v12
	s_cselect_b64 s[36:37], -1, 0
	s_mov_b64 s[24:25], 0
                                        ; implicit-def: $vgpr11
                                        ; implicit-def: $vgpr20_vgpr21
	s_and_saveexec_b64 s[0:1], vcc
	s_xor_b64 s[38:39], exec, s[0:1]
	s_cbranch_execz .LBB231_8
; %bb.1:
	s_load_dwordx4 s[24:27], s[34:35], 0x4
	s_load_dwordx2 s[40:41], s[34:35], 0x14
	s_load_dwordx4 s[20:23], s[34:35], 0xc4
	s_load_dwordx4 s[16:19], s[34:35], 0x148
	s_cmp_lg_u32 s33, 0
	s_cselect_b64 s[46:47], -1, 0
	s_add_u32 s44, s34, 0xc4
	s_addc_u32 s45, s35, 0
	s_min_u32 s56, s54, 15
	s_cmp_gt_u32 s33, 1
	s_cselect_b64 s[42:43], -1, 0
	v_cmp_gt_i32_e32 vcc, s55, v6
	s_and_saveexec_b64 s[48:49], vcc
	s_cbranch_execz .LBB231_15
; %bb.2:
	s_andn2_b64 vcc, exec, s[36:37]
	s_cbranch_vccnz .LBB231_23
; %bb.3:
	s_andn2_b64 vcc, exec, s[46:47]
	s_cbranch_vccnz .LBB231_86
; %bb.4:
	s_add_i32 s58, s56, 1
	s_cmp_eq_u32 s54, 2
	s_cbranch_scc1 .LBB231_88
; %bb.5:
	s_and_b32 s57, s58, 28
	s_mov_b32 s59, 0
	v_mov_b32_e32 v0, 0
	v_mov_b32_e32 v2, 0
	s_mov_b64 s[50:51], s[34:35]
	s_mov_b64 s[52:53], s[44:45]
	v_mov_b32_e32 v4, v6
.LBB231_6:                              ; =>This Inner Loop Header: Depth=1
	s_load_dwordx8 s[8:15], s[50:51], 0x4
	s_load_dwordx4 s[28:31], s[50:51], 0x24
	s_load_dwordx8 s[0:7], s[52:53], 0x0
	s_add_u32 s50, s50, 48
	s_addc_u32 s51, s51, 0
	s_waitcnt lgkmcnt(0)
	v_mul_hi_u32 v1, s9, v4
	v_add_u32_e32 v1, v4, v1
	v_lshrrev_b32_e32 v1, s10, v1
	v_mul_lo_u32 v3, v1, s8
	v_mul_hi_u32 v5, s12, v1
	v_sub_u32_e32 v3, v4, v3
	v_add_u32_e32 v4, v1, v5
	v_lshrrev_b32_e32 v4, s13, v4
	v_mul_lo_u32 v7, v4, s11
	v_mul_hi_u32 v8, s15, v4
	v_sub_u32_e32 v1, v1, v7
	v_add_u32_e32 v7, v4, v8
	v_mul_lo_u32 v5, v3, s1
	v_mul_lo_u32 v3, v3, s0
	;; [unrolled: 1-line block ×4, first 2 shown]
	v_lshrrev_b32_e32 v7, s28, v7
	v_add3_u32 v0, v3, v0, v1
	v_mul_hi_u32 v3, s30, v7
	v_add3_u32 v1, v5, v2, v8
	v_mul_lo_u32 v2, v7, s14
	v_add_u32_e32 v3, v7, v3
	v_sub_u32_e32 v2, v4, v2
	v_lshrrev_b32_e32 v4, s31, v3
	s_add_i32 s59, s59, 4
	v_mul_lo_u32 v3, v4, s29
	s_add_u32 s52, s52, 32
	v_sub_u32_e32 v3, v7, v3
	s_addc_u32 s53, s53, 0
	v_mul_lo_u32 v5, v2, s4
	v_mul_lo_u32 v2, v2, s5
	v_mul_lo_u32 v7, v3, s6
	v_mul_lo_u32 v3, v3, s7
	s_cmp_lg_u32 s57, s59
	v_add3_u32 v2, v2, v1, v3
	v_add3_u32 v0, v5, v0, v7
	s_cbranch_scc1 .LBB231_6
; %bb.7:
	v_mov_b32_e32 v1, v2
	s_branch .LBB231_89
.LBB231_8:
	s_andn2_saveexec_b64 s[26:27], s[38:39]
	s_cbranch_execz .LBB231_369
.LBB231_9:
	v_cndmask_b32_e64 v0, 0, 1, s[36:37]
	v_cmp_ne_u32_e64 s[0:1], 1, v0
	s_andn2_b64 vcc, exec, s[36:37]
	s_cbranch_vccnz .LBB231_22
; %bb.10:
	s_cmp_lg_u32 s33, 0
	s_mov_b32 s30, 0
	s_cbranch_scc0 .LBB231_25
; %bb.11:
	s_min_u32 s31, s54, 15
	s_add_i32 s31, s31, 1
	s_cmp_eq_u32 s54, 2
	s_cbranch_scc1 .LBB231_26
; %bb.12:
	s_and_b32 s30, s31, 28
	s_add_u32 s2, s34, 0xc4
	s_addc_u32 s3, s35, 0
	s_mov_b32 s36, 0
	v_mov_b32_e32 v0, 0
	v_mov_b32_e32 v8, 0
	s_mov_b64 s[28:29], s[34:35]
	v_mov_b32_e32 v2, v6
.LBB231_13:                             ; =>This Inner Loop Header: Depth=1
	s_load_dwordx8 s[12:19], s[28:29], 0x4
	s_load_dwordx4 s[20:23], s[28:29], 0x24
	s_load_dwordx8 s[4:11], s[2:3], 0x0
	s_add_u32 s28, s28, 48
	s_addc_u32 s29, s29, 0
	s_waitcnt lgkmcnt(0)
	v_mul_hi_u32 v1, s13, v2
	v_add_u32_e32 v1, v2, v1
	v_lshrrev_b32_e32 v1, s14, v1
	v_mul_lo_u32 v3, v1, s12
	v_mul_hi_u32 v4, s16, v1
	v_sub_u32_e32 v2, v2, v3
	v_add_u32_e32 v3, v1, v4
	v_lshrrev_b32_e32 v3, s17, v3
	v_mul_lo_u32 v5, v3, s15
	v_mul_hi_u32 v7, s19, v3
	v_sub_u32_e32 v1, v1, v5
	v_add_u32_e32 v5, v3, v7
	v_mul_lo_u32 v4, v2, s5
	v_mul_lo_u32 v2, v2, s4
	;; [unrolled: 1-line block ×4, first 2 shown]
	v_lshrrev_b32_e32 v5, s20, v5
	v_add3_u32 v0, v2, v0, v1
	v_add3_u32 v1, v4, v8, v7
	v_mul_lo_u32 v2, v5, s18
	v_mul_hi_u32 v4, s22, v5
	v_sub_u32_e32 v2, v3, v2
	v_add_u32_e32 v3, v5, v4
	v_mul_lo_u32 v4, v2, s8
	v_mul_lo_u32 v7, v2, s9
	v_lshrrev_b32_e32 v2, s23, v3
	s_add_i32 s36, s36, 4
	v_mul_lo_u32 v3, v2, s21
	s_add_u32 s2, s2, 32
	v_sub_u32_e32 v3, v5, v3
	s_addc_u32 s3, s3, 0
	v_mul_lo_u32 v5, v3, s10
	v_mul_lo_u32 v3, v3, s11
	s_cmp_lg_u32 s30, s36
	v_add3_u32 v8, v7, v1, v3
	v_add3_u32 v0, v4, v0, v5
	s_cbranch_scc1 .LBB231_13
; %bb.14:
	v_mov_b32_e32 v1, v8
	s_and_b32 s6, s31, 3
	s_cmp_eq_u32 s6, 0
	s_cbranch_scc0 .LBB231_27
	s_branch .LBB231_29
.LBB231_15:
	s_or_b64 exec, exec, s[48:49]
	v_cmp_gt_i32_e32 vcc, s55, v6
	s_and_saveexec_b64 s[48:49], vcc
	s_cbranch_execz .LBB231_259
.LBB231_16:
	s_andn2_b64 vcc, exec, s[36:37]
	s_cbranch_vccnz .LBB231_24
; %bb.17:
	s_andn2_b64 vcc, exec, s[46:47]
	s_cbranch_vccnz .LBB231_87
; %bb.18:
	s_add_i32 s58, s56, 1
	s_cmp_eq_u32 s54, 2
	s_cbranch_scc1 .LBB231_107
; %bb.19:
	s_and_b32 s57, s58, 28
	s_mov_b32 s59, 0
	v_mov_b32_e32 v0, 0
	v_mov_b32_e32 v2, 0
	s_mov_b64 s[50:51], s[34:35]
	s_mov_b64 s[52:53], s[44:45]
	v_mov_b32_e32 v4, v6
.LBB231_20:                             ; =>This Inner Loop Header: Depth=1
	s_load_dwordx8 s[8:15], s[50:51], 0x4
	s_load_dwordx4 s[28:31], s[50:51], 0x24
	s_load_dwordx8 s[0:7], s[52:53], 0x0
	s_add_u32 s50, s50, 48
	s_addc_u32 s51, s51, 0
	s_waitcnt lgkmcnt(0)
	v_mul_hi_u32 v1, s9, v4
	v_add_u32_e32 v1, v4, v1
	v_lshrrev_b32_e32 v1, s10, v1
	v_mul_lo_u32 v3, v1, s8
	v_mul_hi_u32 v5, s12, v1
	v_sub_u32_e32 v3, v4, v3
	v_add_u32_e32 v4, v1, v5
	v_lshrrev_b32_e32 v4, s13, v4
	v_mul_lo_u32 v7, v4, s11
	v_mul_hi_u32 v8, s15, v4
	v_sub_u32_e32 v1, v1, v7
	v_add_u32_e32 v7, v4, v8
	v_mul_lo_u32 v5, v3, s1
	v_mul_lo_u32 v3, v3, s0
	;; [unrolled: 1-line block ×4, first 2 shown]
	v_lshrrev_b32_e32 v7, s28, v7
	v_add3_u32 v0, v3, v0, v1
	v_mul_hi_u32 v3, s30, v7
	v_add3_u32 v1, v5, v2, v8
	v_mul_lo_u32 v2, v7, s14
	v_add_u32_e32 v3, v7, v3
	v_sub_u32_e32 v2, v4, v2
	v_lshrrev_b32_e32 v4, s31, v3
	s_add_i32 s59, s59, 4
	v_mul_lo_u32 v3, v4, s29
	s_add_u32 s52, s52, 32
	v_sub_u32_e32 v3, v7, v3
	s_addc_u32 s53, s53, 0
	v_mul_lo_u32 v5, v2, s4
	v_mul_lo_u32 v2, v2, s5
	;; [unrolled: 1-line block ×4, first 2 shown]
	s_cmp_eq_u32 s57, s59
	v_add3_u32 v2, v2, v1, v3
	v_add3_u32 v0, v5, v0, v7
	s_cbranch_scc0 .LBB231_20
; %bb.21:
	v_mov_b32_e32 v1, v2
	s_branch .LBB231_108
.LBB231_22:
                                        ; implicit-def: $vgpr8
                                        ; implicit-def: $vgpr0
	s_branch .LBB231_30
.LBB231_23:
                                        ; implicit-def: $vgpr2
                                        ; implicit-def: $vgpr0
	s_branch .LBB231_93
.LBB231_24:
                                        ; implicit-def: $vgpr2
                                        ; implicit-def: $vgpr0
	s_branch .LBB231_112
.LBB231_25:
	v_mov_b32_e32 v8, 0
	v_mov_b32_e32 v0, 0
	s_branch .LBB231_29
.LBB231_26:
	v_mov_b32_e32 v0, 0
                                        ; implicit-def: $vgpr8
	v_mov_b32_e32 v1, v0
	v_mov_b32_e32 v2, v6
	s_and_b32 s6, s31, 3
	s_cmp_eq_u32 s6, 0
	s_cbranch_scc1 .LBB231_29
.LBB231_27:
	s_lshl_b32 s2, s30, 3
	s_add_u32 s2, s34, s2
	s_addc_u32 s3, s35, 0
	s_add_u32 s2, s2, 0xc4
	s_addc_u32 s3, s3, 0
	s_mul_i32 s4, s30, 12
	s_add_u32 s4, s34, s4
	s_addc_u32 s5, s35, 0
.LBB231_28:                             ; =>This Inner Loop Header: Depth=1
	s_load_dwordx2 s[8:9], s[4:5], 0x4
	s_load_dword s7, s[4:5], 0xc
	s_load_dwordx2 s[10:11], s[2:3], 0x0
	v_mov_b32_e32 v4, v1
	s_add_u32 s4, s4, 12
	s_waitcnt lgkmcnt(0)
	v_mul_hi_u32 v1, s9, v2
	v_add_u32_e32 v1, v2, v1
	v_lshrrev_b32_e32 v1, s7, v1
	s_addc_u32 s5, s5, 0
	v_mul_lo_u32 v3, v1, s8
	s_add_u32 s2, s2, 8
	v_sub_u32_e32 v3, v2, v3
	s_addc_u32 s3, s3, 0
	s_add_i32 s6, s6, -1
	v_mov_b32_e32 v2, v1
	v_mad_u64_u32 v[8:9], s[8:9], v3, s11, v[4:5]
	v_mad_u64_u32 v[0:1], s[8:9], v3, s10, v[0:1]
	s_cmp_lg_u32 s6, 0
	v_mov_b32_e32 v1, v8
	s_cbranch_scc1 .LBB231_28
.LBB231_29:
	s_cbranch_execnz .LBB231_32
.LBB231_30:
	s_load_dwordx4 s[4:7], s[34:35], 0x4
	s_load_dwordx2 s[2:3], s[34:35], 0xc4
	s_cmp_lt_u32 s33, 2
	s_waitcnt lgkmcnt(0)
	v_mul_hi_u32 v0, s5, v6
	v_add_u32_e32 v0, v6, v0
	v_lshrrev_b32_e32 v1, s6, v0
	v_mul_lo_u32 v0, v1, s4
	v_sub_u32_e32 v0, v6, v0
	v_mul_lo_u32 v8, v0, s3
	v_mul_lo_u32 v0, v0, s2
	s_cbranch_scc1 .LBB231_32
; %bb.31:
	s_load_dwordx4 s[4:7], s[34:35], 0x10
	s_load_dwordx2 s[2:3], s[34:35], 0xcc
	s_waitcnt lgkmcnt(0)
	v_mul_hi_u32 v2, s5, v1
	v_add_u32_e32 v2, v1, v2
	v_lshrrev_b32_e32 v2, s6, v2
	v_mul_lo_u32 v2, v2, s4
	v_sub_u32_e32 v2, v1, v2
	v_mad_u64_u32 v[0:1], s[4:5], v2, s2, v[0:1]
	v_mad_u64_u32 v[8:9], s[2:3], v2, s3, v[8:9]
.LBB231_32:
	s_and_b64 vcc, exec, s[0:1]
	v_add_u32_e32 v4, 0x80, v6
	s_cbranch_vccnz .LBB231_38
; %bb.33:
	s_cmp_lg_u32 s33, 0
	s_mov_b32 s30, 0
	s_cbranch_scc0 .LBB231_39
; %bb.34:
	s_min_u32 s31, s54, 15
	s_add_i32 s31, s31, 1
	s_cmp_eq_u32 s54, 2
	s_cbranch_scc1 .LBB231_40
; %bb.35:
	s_and_b32 s30, s31, 28
	s_add_u32 s2, s34, 0xc4
	s_addc_u32 s3, s35, 0
	s_mov_b32 s36, 0
	v_mov_b32_e32 v2, 0
	v_mov_b32_e32 v18, 0
	s_mov_b64 s[28:29], s[34:35]
	v_mov_b32_e32 v5, v4
.LBB231_36:                             ; =>This Inner Loop Header: Depth=1
	s_load_dwordx8 s[12:19], s[28:29], 0x4
	s_load_dwordx4 s[20:23], s[28:29], 0x24
	s_load_dwordx8 s[4:11], s[2:3], 0x0
	s_add_u32 s28, s28, 48
	s_addc_u32 s29, s29, 0
	s_waitcnt lgkmcnt(0)
	v_mul_hi_u32 v1, s13, v5
	v_add_u32_e32 v1, v5, v1
	v_lshrrev_b32_e32 v1, s14, v1
	v_mul_lo_u32 v3, v1, s12
	v_mul_hi_u32 v7, s16, v1
	v_sub_u32_e32 v3, v5, v3
	v_add_u32_e32 v5, v1, v7
	v_lshrrev_b32_e32 v5, s17, v5
	v_mul_lo_u32 v9, v5, s15
	v_mul_hi_u32 v10, s19, v5
	v_sub_u32_e32 v1, v1, v9
	v_add_u32_e32 v9, v5, v10
	v_mul_lo_u32 v7, v3, s5
	v_mul_lo_u32 v3, v3, s4
	;; [unrolled: 1-line block ×4, first 2 shown]
	v_lshrrev_b32_e32 v9, s20, v9
	v_add3_u32 v1, v3, v2, v1
	v_add3_u32 v2, v7, v18, v10
	v_mul_lo_u32 v3, v9, s18
	v_mul_hi_u32 v7, s22, v9
	v_sub_u32_e32 v3, v5, v3
	v_add_u32_e32 v5, v9, v7
	v_lshrrev_b32_e32 v5, s23, v5
	s_add_i32 s36, s36, 4
	v_mul_lo_u32 v10, v5, s21
	s_add_u32 s2, s2, 32
	v_sub_u32_e32 v9, v9, v10
	s_addc_u32 s3, s3, 0
	v_mul_lo_u32 v7, v3, s8
	v_mul_lo_u32 v3, v3, s9
	;; [unrolled: 1-line block ×4, first 2 shown]
	s_cmp_lg_u32 s30, s36
	v_add3_u32 v18, v3, v2, v9
	v_add3_u32 v2, v7, v1, v10
	s_cbranch_scc1 .LBB231_36
; %bb.37:
	v_mov_b32_e32 v1, v18
	s_and_b32 s6, s31, 3
	s_cmp_eq_u32 s6, 0
	s_cbranch_scc0 .LBB231_41
	s_branch .LBB231_43
.LBB231_38:
                                        ; implicit-def: $vgpr18
                                        ; implicit-def: $vgpr2
	s_branch .LBB231_44
.LBB231_39:
	v_mov_b32_e32 v18, 0
	v_mov_b32_e32 v2, 0
	s_branch .LBB231_43
.LBB231_40:
	v_mov_b32_e32 v2, 0
                                        ; implicit-def: $vgpr18
	v_mov_b32_e32 v1, v2
	v_mov_b32_e32 v5, v4
	s_and_b32 s6, s31, 3
	s_cmp_eq_u32 s6, 0
	s_cbranch_scc1 .LBB231_43
.LBB231_41:
	s_lshl_b32 s2, s30, 3
	s_add_u32 s2, s34, s2
	s_addc_u32 s3, s35, 0
	s_add_u32 s2, s2, 0xc4
	s_addc_u32 s3, s3, 0
	s_mul_i32 s4, s30, 12
	s_add_u32 s4, s34, s4
	s_addc_u32 s5, s35, 0
.LBB231_42:                             ; =>This Inner Loop Header: Depth=1
	s_load_dwordx2 s[8:9], s[4:5], 0x4
	s_load_dword s7, s[4:5], 0xc
	s_load_dwordx2 s[10:11], s[2:3], 0x0
	v_mov_b32_e32 v10, v1
	s_add_u32 s4, s4, 12
	s_waitcnt lgkmcnt(0)
	v_mul_hi_u32 v1, s9, v5
	v_add_u32_e32 v1, v5, v1
	v_lshrrev_b32_e32 v1, s7, v1
	s_addc_u32 s5, s5, 0
	v_mul_lo_u32 v3, v1, s8
	s_add_u32 s2, s2, 8
	v_sub_u32_e32 v3, v5, v3
	s_addc_u32 s3, s3, 0
	s_add_i32 s6, s6, -1
	v_mad_u64_u32 v[18:19], s[8:9], v3, s11, v[10:11]
	s_cmp_lg_u32 s6, 0
	v_mov_b32_e32 v5, v1
	v_mad_u64_u32 v[2:3], s[8:9], v3, s10, v[2:3]
	v_mov_b32_e32 v1, v18
	s_cbranch_scc1 .LBB231_42
.LBB231_43:
	s_cbranch_execnz .LBB231_46
.LBB231_44:
	s_load_dwordx4 s[4:7], s[34:35], 0x4
	s_load_dwordx2 s[2:3], s[34:35], 0xc4
	s_cmp_lt_u32 s33, 2
	s_waitcnt lgkmcnt(0)
	v_mul_hi_u32 v1, s5, v4
	v_add_u32_e32 v1, v4, v1
	v_lshrrev_b32_e32 v1, s6, v1
	v_mul_lo_u32 v2, v1, s4
	v_sub_u32_e32 v2, v4, v2
	v_mul_lo_u32 v18, v2, s3
	v_mul_lo_u32 v2, v2, s2
	s_cbranch_scc1 .LBB231_46
; %bb.45:
	s_load_dwordx4 s[4:7], s[34:35], 0x10
	s_load_dwordx2 s[2:3], s[34:35], 0xcc
	s_waitcnt lgkmcnt(0)
	v_mul_hi_u32 v3, s5, v1
	v_add_u32_e32 v3, v1, v3
	v_lshrrev_b32_e32 v3, s6, v3
	v_mul_lo_u32 v3, v3, s4
	v_sub_u32_e32 v1, v1, v3
	v_mad_u64_u32 v[2:3], s[4:5], v1, s2, v[2:3]
	v_mad_u64_u32 v[18:19], s[2:3], v1, s3, v[18:19]
.LBB231_46:
	s_and_b64 vcc, exec, s[0:1]
	v_add_u32_e32 v3, 0x100, v6
	s_cbranch_vccnz .LBB231_52
; %bb.47:
	s_cmp_lg_u32 s33, 0
	s_mov_b32 s30, 0
	s_cbranch_scc0 .LBB231_53
; %bb.48:
	s_min_u32 s31, s54, 15
	s_add_i32 s31, s31, 1
	s_cmp_eq_u32 s54, 2
	s_cbranch_scc1 .LBB231_54
; %bb.49:
	s_and_b32 s30, s31, 28
	s_add_u32 s2, s34, 0xc4
	s_addc_u32 s3, s35, 0
	s_mov_b32 s36, 0
	v_mov_b32_e32 v4, 0
	v_mov_b32_e32 v16, 0
	s_mov_b64 s[28:29], s[34:35]
	v_mov_b32_e32 v6, v3
.LBB231_50:                             ; =>This Inner Loop Header: Depth=1
	s_load_dwordx8 s[12:19], s[28:29], 0x4
	s_load_dwordx4 s[20:23], s[28:29], 0x24
	s_load_dwordx8 s[4:11], s[2:3], 0x0
	s_add_u32 s28, s28, 48
	s_addc_u32 s29, s29, 0
	s_waitcnt lgkmcnt(0)
	v_mul_hi_u32 v1, s13, v6
	v_add_u32_e32 v1, v6, v1
	v_lshrrev_b32_e32 v1, s14, v1
	v_mul_lo_u32 v5, v1, s12
	v_mul_hi_u32 v7, s16, v1
	v_sub_u32_e32 v5, v6, v5
	v_add_u32_e32 v6, v1, v7
	v_lshrrev_b32_e32 v6, s17, v6
	v_mul_lo_u32 v9, v6, s15
	v_mul_hi_u32 v10, s19, v6
	v_sub_u32_e32 v1, v1, v9
	v_add_u32_e32 v9, v6, v10
	v_mul_lo_u32 v7, v5, s5
	v_mul_lo_u32 v5, v5, s4
	;; [unrolled: 1-line block ×4, first 2 shown]
	v_lshrrev_b32_e32 v9, s20, v9
	v_add3_u32 v1, v5, v4, v1
	v_add3_u32 v4, v7, v16, v10
	v_mul_lo_u32 v5, v9, s18
	v_mul_hi_u32 v7, s22, v9
	v_sub_u32_e32 v5, v6, v5
	v_add_u32_e32 v6, v9, v7
	v_lshrrev_b32_e32 v6, s23, v6
	s_add_i32 s36, s36, 4
	v_mul_lo_u32 v10, v6, s21
	s_add_u32 s2, s2, 32
	v_sub_u32_e32 v9, v9, v10
	s_addc_u32 s3, s3, 0
	v_mul_lo_u32 v7, v5, s8
	v_mul_lo_u32 v5, v5, s9
	;; [unrolled: 1-line block ×4, first 2 shown]
	s_cmp_lg_u32 s30, s36
	v_add3_u32 v16, v5, v4, v9
	v_add3_u32 v4, v7, v1, v10
	s_cbranch_scc1 .LBB231_50
; %bb.51:
	v_mov_b32_e32 v1, v16
	s_and_b32 s6, s31, 3
	s_cmp_eq_u32 s6, 0
	s_cbranch_scc0 .LBB231_55
	s_branch .LBB231_57
.LBB231_52:
                                        ; implicit-def: $vgpr16
                                        ; implicit-def: $vgpr4
	s_branch .LBB231_58
.LBB231_53:
	v_mov_b32_e32 v16, 0
	v_mov_b32_e32 v4, 0
	s_branch .LBB231_57
.LBB231_54:
	v_mov_b32_e32 v4, 0
                                        ; implicit-def: $vgpr16
	v_mov_b32_e32 v1, v4
	v_mov_b32_e32 v6, v3
	s_and_b32 s6, s31, 3
	s_cmp_eq_u32 s6, 0
	s_cbranch_scc1 .LBB231_57
.LBB231_55:
	s_lshl_b32 s2, s30, 3
	s_add_u32 s2, s34, s2
	s_addc_u32 s3, s35, 0
	s_add_u32 s2, s2, 0xc4
	s_addc_u32 s3, s3, 0
	s_mul_i32 s4, s30, 12
	s_add_u32 s4, s34, s4
	s_addc_u32 s5, s35, 0
.LBB231_56:                             ; =>This Inner Loop Header: Depth=1
	s_load_dwordx2 s[8:9], s[4:5], 0x4
	s_load_dword s7, s[4:5], 0xc
	s_load_dwordx2 s[10:11], s[2:3], 0x0
	v_mov_b32_e32 v10, v1
	s_add_u32 s4, s4, 12
	s_waitcnt lgkmcnt(0)
	v_mul_hi_u32 v1, s9, v6
	v_add_u32_e32 v1, v6, v1
	v_lshrrev_b32_e32 v1, s7, v1
	s_addc_u32 s5, s5, 0
	v_mul_lo_u32 v5, v1, s8
	s_add_u32 s2, s2, 8
	v_sub_u32_e32 v5, v6, v5
	s_addc_u32 s3, s3, 0
	s_add_i32 s6, s6, -1
	v_mad_u64_u32 v[16:17], s[8:9], v5, s11, v[10:11]
	s_cmp_lg_u32 s6, 0
	v_mov_b32_e32 v6, v1
	v_mad_u64_u32 v[4:5], s[8:9], v5, s10, v[4:5]
	v_mov_b32_e32 v1, v16
	s_cbranch_scc1 .LBB231_56
.LBB231_57:
	s_cbranch_execnz .LBB231_60
.LBB231_58:
	s_load_dwordx4 s[4:7], s[34:35], 0x4
	s_load_dwordx2 s[2:3], s[34:35], 0xc4
	s_cmp_lt_u32 s33, 2
	s_waitcnt lgkmcnt(0)
	v_mul_hi_u32 v1, s5, v3
	v_add_u32_e32 v1, v3, v1
	v_lshrrev_b32_e32 v1, s6, v1
	v_mul_lo_u32 v4, v1, s4
	v_sub_u32_e32 v3, v3, v4
	v_mul_lo_u32 v16, v3, s3
	v_mul_lo_u32 v4, v3, s2
	s_cbranch_scc1 .LBB231_60
; %bb.59:
	s_load_dwordx4 s[4:7], s[34:35], 0x10
	s_load_dwordx2 s[2:3], s[34:35], 0xcc
	s_waitcnt lgkmcnt(0)
	v_mul_hi_u32 v3, s5, v1
	v_add_u32_e32 v3, v1, v3
	v_lshrrev_b32_e32 v3, s6, v3
	v_mul_lo_u32 v3, v3, s4
	v_sub_u32_e32 v1, v1, v3
	v_mad_u64_u32 v[4:5], s[4:5], v1, s2, v[4:5]
	v_mad_u64_u32 v[16:17], s[2:3], v1, s3, v[16:17]
.LBB231_60:
	s_and_b64 vcc, exec, s[0:1]
	s_cbranch_vccnz .LBB231_66
; %bb.61:
	s_cmp_lg_u32 s33, 0
	s_mov_b32 s28, 0
	s_cbranch_scc0 .LBB231_67
; %bb.62:
	s_min_u32 s29, s54, 15
	s_add_i32 s29, s29, 1
	s_cmp_eq_u32 s54, 2
	s_cbranch_scc1 .LBB231_68
; %bb.63:
	s_and_b32 s28, s29, 28
	s_add_u32 s20, s34, 0xc4
	s_addc_u32 s21, s35, 0
	s_mov_b32 s30, 0
	v_mov_b32_e32 v6, 0
	v_mov_b32_e32 v10, 0
	s_mov_b64 s[22:23], s[34:35]
	v_mov_b32_e32 v3, v12
.LBB231_64:                             ; =>This Inner Loop Header: Depth=1
	s_load_dwordx8 s[8:15], s[22:23], 0x4
	s_load_dwordx4 s[16:19], s[22:23], 0x24
	s_load_dwordx8 s[0:7], s[20:21], 0x0
	s_add_u32 s22, s22, 48
	s_addc_u32 s23, s23, 0
	s_waitcnt lgkmcnt(0)
	v_mul_hi_u32 v1, s9, v3
	v_add_u32_e32 v1, v3, v1
	v_lshrrev_b32_e32 v1, s10, v1
	v_mul_lo_u32 v5, v1, s8
	v_mul_hi_u32 v7, s12, v1
	v_sub_u32_e32 v3, v3, v5
	v_add_u32_e32 v5, v1, v7
	v_lshrrev_b32_e32 v5, s13, v5
	v_mul_lo_u32 v9, v5, s11
	v_mul_hi_u32 v11, s15, v5
	v_sub_u32_e32 v1, v1, v9
	v_add_u32_e32 v9, v5, v11
	v_mul_lo_u32 v7, v3, s1
	v_mul_lo_u32 v3, v3, s0
	;; [unrolled: 1-line block ×4, first 2 shown]
	v_lshrrev_b32_e32 v9, s16, v9
	v_add3_u32 v1, v3, v6, v1
	v_add3_u32 v6, v7, v10, v11
	v_mul_lo_u32 v3, v9, s14
	v_mul_hi_u32 v7, s18, v9
	v_sub_u32_e32 v3, v5, v3
	v_add_u32_e32 v5, v9, v7
	v_mul_lo_u32 v7, v3, s4
	v_mul_lo_u32 v10, v3, s5
	v_lshrrev_b32_e32 v3, s19, v5
	s_add_i32 s30, s30, 4
	v_mul_lo_u32 v5, v3, s17
	s_add_u32 s20, s20, 32
	v_sub_u32_e32 v5, v9, v5
	s_addc_u32 s21, s21, 0
	v_mul_lo_u32 v9, v5, s6
	v_mul_lo_u32 v5, v5, s7
	s_cmp_lg_u32 s28, s30
	v_add3_u32 v10, v10, v6, v5
	v_add3_u32 v6, v7, v1, v9
	s_cbranch_scc1 .LBB231_64
; %bb.65:
	v_mov_b32_e32 v1, v10
	s_and_b32 s4, s29, 3
	s_cmp_eq_u32 s4, 0
	s_cbranch_scc0 .LBB231_69
	s_branch .LBB231_71
.LBB231_66:
                                        ; implicit-def: $vgpr10
                                        ; implicit-def: $vgpr6
	s_branch .LBB231_72
.LBB231_67:
	v_mov_b32_e32 v10, 0
	v_mov_b32_e32 v6, 0
	s_branch .LBB231_71
.LBB231_68:
	v_mov_b32_e32 v6, 0
                                        ; implicit-def: $vgpr10
	v_mov_b32_e32 v1, v6
	v_mov_b32_e32 v3, v12
	s_and_b32 s4, s29, 3
	s_cmp_eq_u32 s4, 0
	s_cbranch_scc1 .LBB231_71
.LBB231_69:
	s_lshl_b32 s0, s28, 3
	s_add_u32 s0, s34, s0
	s_addc_u32 s1, s35, 0
	s_add_u32 s0, s0, 0xc4
	s_addc_u32 s1, s1, 0
	s_mul_i32 s2, s28, 12
	s_add_u32 s2, s34, s2
	s_addc_u32 s3, s35, 0
.LBB231_70:                             ; =>This Inner Loop Header: Depth=1
	s_load_dwordx2 s[6:7], s[2:3], 0x4
	s_load_dword s5, s[2:3], 0xc
	s_load_dwordx2 s[8:9], s[0:1], 0x0
	v_mov_b32_e32 v10, v1
	s_add_u32 s2, s2, 12
	s_waitcnt lgkmcnt(0)
	v_mul_hi_u32 v1, s7, v3
	v_add_u32_e32 v1, v3, v1
	v_lshrrev_b32_e32 v1, s5, v1
	s_addc_u32 s3, s3, 0
	v_mul_lo_u32 v5, v1, s6
	s_add_u32 s0, s0, 8
	v_sub_u32_e32 v5, v3, v5
	s_addc_u32 s1, s1, 0
	s_add_i32 s4, s4, -1
	v_mad_u64_u32 v[10:11], s[6:7], v5, s9, v[10:11]
	s_cmp_lg_u32 s4, 0
	v_mov_b32_e32 v3, v1
	v_mad_u64_u32 v[6:7], s[6:7], v5, s8, v[6:7]
	v_mov_b32_e32 v1, v10
	s_cbranch_scc1 .LBB231_70
.LBB231_71:
	s_cbranch_execnz .LBB231_74
.LBB231_72:
	s_load_dwordx4 s[0:3], s[34:35], 0x4
	s_load_dwordx2 s[4:5], s[34:35], 0xc4
	s_cmp_lt_u32 s33, 2
	s_waitcnt lgkmcnt(0)
	v_mul_hi_u32 v1, s1, v12
	v_add_u32_e32 v1, v12, v1
	v_lshrrev_b32_e32 v1, s2, v1
	v_mul_lo_u32 v3, v1, s0
	v_sub_u32_e32 v3, v12, v3
	v_mul_lo_u32 v10, v3, s5
	v_mul_lo_u32 v6, v3, s4
	s_cbranch_scc1 .LBB231_74
; %bb.73:
	s_load_dwordx4 s[0:3], s[34:35], 0x10
	s_load_dwordx2 s[4:5], s[34:35], 0xcc
	s_waitcnt lgkmcnt(0)
	v_mul_hi_u32 v3, s1, v1
	v_add_u32_e32 v3, v1, v3
	v_lshrrev_b32_e32 v3, s2, v3
	v_mul_lo_u32 v3, v3, s0
	v_sub_u32_e32 v1, v1, v3
	v_mad_u64_u32 v[6:7], s[0:1], v1, s4, v[6:7]
	v_mad_u64_u32 v[10:11], s[0:1], v1, s5, v[10:11]
.LBB231_74:
	s_load_dwordx4 s[4:7], s[34:35], 0x148
	v_mov_b32_e32 v12, 0
	v_mov_b32_e32 v14, 0
	s_waitcnt lgkmcnt(0)
	global_load_dwordx2 v[8:9], v8, s[6:7]
	s_waitcnt vmcnt(0)
	v_cmp_neq_f32_e32 vcc, 0, v8
	v_cmp_neq_f32_e64 s[0:1], 0, v9
	s_or_b64 s[0:1], vcc, s[0:1]
	s_and_saveexec_b64 s[8:9], s[0:1]
	s_cbranch_execz .LBB231_144
; %bb.75:
	v_mov_b32_e32 v14, 0x7f800000
	v_cmp_neq_f32_e64 s[0:1], |v9|, v14
	s_and_saveexec_b64 s[10:11], s[0:1]
	s_cbranch_execz .LBB231_143
; %bb.76:
	v_cmp_o_f32_e32 vcc, v8, v8
                                        ; implicit-def: $vgpr14
	s_and_saveexec_b64 s[0:1], vcc
	s_xor_b64 s[12:13], exec, s[0:1]
	s_cbranch_execz .LBB231_140
; %bb.77:
	s_mov_b32 s0, 0x7f800000
	v_cmp_neq_f32_e64 s[0:1], |v8|, s0
                                        ; implicit-def: $vgpr14
	s_and_saveexec_b64 s[2:3], s[0:1]
	s_xor_b64 s[14:15], exec, s[2:3]
	s_cbranch_execz .LBB231_133
; %bb.78:
	v_max_f32_e64 v1, |v9|, |v9|
	v_max_f32_e64 v3, |v8|, |v8|
	v_max_f32_e32 v1, v3, v1
	s_mov_b32 s0, 0x7ed413cb
	v_cmp_nle_f32_e64 s[0:1], s0, v1
                                        ; implicit-def: $sgpr16_sgpr17
	s_and_saveexec_b64 s[2:3], s[0:1]
	s_xor_b64 s[2:3], exec, s[2:3]
	s_cbranch_execz .LBB231_82
; %bb.79:
	s_mov_b32 s18, 0x1000000
	v_cmp_le_f32_e64 s[16:17], |v8|, s18
	v_cmp_le_f32_e64 s[18:19], |v9|, s18
	s_and_b64 s[20:21], s[16:17], s[18:19]
	s_mov_b64 s[16:17], 0
	s_and_saveexec_b64 s[18:19], s[20:21]
; %bb.80:
	v_mov_b32_e32 v14, v9
	v_mov_b32_e32 v15, v8
	v_pk_mul_f32 v[14:15], v[14:15], 4.0 op_sel_hi:[1,0]
	s_mov_b64 s[16:17], exec
	v_mov_b32_e32 v8, v15
	v_mov_b32_e32 v9, v14
; %bb.81:
	s_or_b64 exec, exec, s[18:19]
.LBB231_82:
	s_andn2_saveexec_b64 s[2:3], s[2:3]
; %bb.83:
	v_mov_b32_e32 v14, v9
	v_mov_b32_e32 v15, v8
	s_mov_b32 s18, 0x3e800000
	v_pk_mul_f32 v[14:15], v[14:15], s[18:19] op_sel_hi:[1,0]
	s_andn2_b64 s[16:17], s[16:17], exec
	v_mov_b32_e32 v9, v14
	v_mov_b32_e32 v8, v15
; %bb.84:
	s_or_b64 exec, exec, s[2:3]
	v_max_f32_e64 v1, |v9|, |v9|
	v_max_f32_e64 v3, |v8|, |v8|
	v_max_f32_e32 v1, v3, v1
	v_cvt_f64_f32_e32 v[14:15], v1
	v_frexp_exp_i32_f64_e32 v3, v[14:15]
	v_sub_u32_e32 v5, 0, v3
	v_ldexp_f32 v7, |v8|, v5
	v_ldexp_f32 v5, |v9|, v5
	v_mul_f32_e32 v5, v5, v5
	v_fmac_f32_e32 v5, v7, v7
	v_sqrt_f32_e32 v5, v5
	s_mov_b32 s2, 0x7f800000
	v_cmp_neq_f32_e64 s[2:3], s2, v1
	v_cmp_le_f32_e32 vcc, 0, v8
	v_ldexp_f32 v3, v5, v3
	v_mov_b32_e32 v5, 0x7f800000
	v_cndmask_b32_e64 v5, v5, v3, s[2:3]
                                        ; implicit-def: $vgpr3
                                        ; implicit-def: $vgpr1
	s_and_saveexec_b64 s[2:3], vcc
	s_xor_b64 s[18:19], exec, s[2:3]
	s_cbranch_execz .LBB231_126
; %bb.85:
	v_add_f32_e32 v1, v8, v5
	v_mul_f32_e32 v1, 0.5, v1
	s_mov_b32 s2, 0xf800000
	v_mul_f32_e32 v3, 0x4f800000, v1
	v_cmp_gt_f32_e32 vcc, s2, v1
	s_nop 1
	v_cndmask_b32_e32 v1, v1, v3, vcc
	v_sqrt_f32_e32 v3, v1
	s_nop 0
	v_add_u32_e32 v5, -1, v3
	v_fma_f32 v7, -v5, v3, v1
	v_cmp_ge_f32_e64 s[2:3], 0, v7
	v_add_u32_e32 v7, 1, v3
	s_nop 0
	v_cndmask_b32_e64 v5, v3, v5, s[2:3]
	v_fma_f32 v3, -v7, v3, v1
	v_cmp_lt_f32_e64 s[2:3], 0, v3
	s_nop 1
	v_cndmask_b32_e64 v3, v5, v7, s[2:3]
	v_mul_f32_e32 v5, 0x37800000, v3
	v_cndmask_b32_e32 v3, v3, v5, vcc
	v_mov_b32_e32 v5, 0x260
	v_cmp_class_f32_e32 vcc, v1, v5
	s_nop 1
	v_cndmask_b32_e32 v1, v3, v1, vcc
	v_add_f32_e32 v3, v1, v1
	v_div_scale_f32 v5, s[2:3], v3, v3, v9
	v_rcp_f32_e32 v7, v5
	s_nop 0
	v_fma_f32 v8, -v5, v7, 1.0
	v_fmac_f32_e32 v7, v8, v7
	v_div_scale_f32 v8, vcc, v9, v3, v9
	v_mul_f32_e32 v11, v8, v7
	v_fma_f32 v13, -v5, v11, v8
	v_fmac_f32_e32 v11, v13, v7
	v_fma_f32 v5, -v5, v11, v8
	v_div_fmas_f32 v5, v5, v7, v11
	v_div_fixup_f32 v3, v5, v3, v9
                                        ; implicit-def: $vgpr5
                                        ; implicit-def: $vgpr8
	s_andn2_saveexec_b64 s[18:19], s[18:19]
	s_cbranch_execz .LBB231_128
	s_branch .LBB231_127
.LBB231_86:
	v_mov_b32_e32 v2, 0
	v_mov_b32_e32 v0, 0
	s_branch .LBB231_92
.LBB231_87:
	v_mov_b32_e32 v2, 0
	v_mov_b32_e32 v0, 0
	s_branch .LBB231_111
.LBB231_88:
	v_mov_b32_e32 v0, 0
	s_mov_b32 s57, 0
	v_mov_b32_e32 v1, v0
                                        ; implicit-def: $vgpr2
	v_mov_b32_e32 v4, v6
.LBB231_89:
	s_and_b32 s4, s58, 3
	s_cmp_eq_u32 s4, 0
	s_cbranch_scc1 .LBB231_92
; %bb.90:
	s_lshl_b32 s0, s57, 3
	s_add_u32 s0, s34, s0
	s_addc_u32 s1, s35, 0
	s_add_u32 s0, s0, 0xc4
	s_addc_u32 s1, s1, 0
	s_mul_i32 s2, s57, 12
	s_add_u32 s2, s34, s2
	s_addc_u32 s3, s35, 0
.LBB231_91:                             ; =>This Inner Loop Header: Depth=1
	s_load_dwordx2 s[6:7], s[2:3], 0x4
	s_load_dword s5, s[2:3], 0xc
	s_load_dwordx2 s[8:9], s[0:1], 0x0
	v_mov_b32_e32 v2, v1
	s_add_u32 s2, s2, 12
	s_waitcnt lgkmcnt(0)
	v_mul_hi_u32 v1, s7, v4
	v_add_u32_e32 v1, v4, v1
	v_lshrrev_b32_e32 v1, s5, v1
	s_addc_u32 s3, s3, 0
	v_mul_lo_u32 v3, v1, s6
	s_add_u32 s0, s0, 8
	v_sub_u32_e32 v5, v4, v3
	s_addc_u32 s1, s1, 0
	s_add_i32 s4, s4, -1
	v_mov_b32_e32 v4, v1
	v_mad_u64_u32 v[2:3], s[6:7], v5, s9, v[2:3]
	v_mad_u64_u32 v[0:1], s[6:7], v5, s8, v[0:1]
	s_cmp_lg_u32 s4, 0
	v_mov_b32_e32 v1, v2
	s_cbranch_scc1 .LBB231_91
.LBB231_92:
	s_cbranch_execnz .LBB231_95
.LBB231_93:
	s_waitcnt lgkmcnt(0)
	v_mul_hi_u32 v0, s25, v6
	v_add_u32_e32 v0, v6, v0
	v_lshrrev_b32_e32 v1, s26, v0
	v_mul_lo_u32 v0, v1, s24
	v_sub_u32_e32 v0, v6, v0
	v_mul_lo_u32 v2, v0, s21
	s_andn2_b64 vcc, exec, s[42:43]
	v_mul_lo_u32 v0, v0, s20
	s_cbranch_vccnz .LBB231_95
; %bb.94:
	v_mul_hi_u32 v3, s40, v1
	v_add_u32_e32 v3, v1, v3
	v_lshrrev_b32_e32 v3, s41, v3
	v_mul_lo_u32 v3, v3, s27
	v_sub_u32_e32 v3, v1, v3
	v_mad_u64_u32 v[0:1], s[0:1], v3, s22, v[0:1]
	v_mad_u64_u32 v[2:3], s[0:1], v3, s23, v[2:3]
.LBB231_95:
	s_waitcnt lgkmcnt(0)
	global_load_dwordx2 v[2:3], v2, s[18:19]
	v_mov_b32_e32 v4, 0
	s_waitcnt vmcnt(0)
	v_cmp_neq_f32_e32 vcc, 0, v2
	v_cmp_neq_f32_e64 s[0:1], 0, v3
	s_or_b64 s[0:1], vcc, s[0:1]
	s_and_saveexec_b64 s[4:5], s[0:1]
	s_cbranch_execz .LBB231_258
; %bb.96:
	v_mov_b32_e32 v4, 0x7f800000
	v_cmp_neq_f32_e64 s[0:1], |v3|, v4
	s_and_saveexec_b64 s[6:7], s[0:1]
	s_cbranch_execz .LBB231_257
; %bb.97:
	v_cmp_o_f32_e32 vcc, v2, v2
                                        ; implicit-def: $vgpr4
	s_and_saveexec_b64 s[0:1], vcc
	s_xor_b64 s[8:9], exec, s[0:1]
	s_cbranch_execz .LBB231_254
; %bb.98:
	s_mov_b32 s0, 0x7f800000
	v_cmp_neq_f32_e64 s[0:1], |v2|, s0
                                        ; implicit-def: $vgpr4
	s_and_saveexec_b64 s[2:3], s[0:1]
	s_xor_b64 s[10:11], exec, s[2:3]
	s_cbranch_execz .LBB231_247
; %bb.99:
	v_max_f32_e64 v1, |v3|, |v3|
	v_max_f32_e64 v4, |v2|, |v2|
	v_max_f32_e32 v1, v4, v1
	s_mov_b32 s0, 0x7ed413cb
	v_cmp_nle_f32_e64 s[0:1], s0, v1
                                        ; implicit-def: $sgpr12_sgpr13
	s_and_saveexec_b64 s[2:3], s[0:1]
	s_xor_b64 s[2:3], exec, s[2:3]
	s_cbranch_execz .LBB231_103
; %bb.100:
	s_mov_b32 s14, 0x1000000
	v_cmp_le_f32_e64 s[12:13], |v2|, s14
	v_cmp_le_f32_e64 s[14:15], |v3|, s14
	s_and_b64 s[28:29], s[12:13], s[14:15]
	s_mov_b64 s[12:13], 0
	s_and_saveexec_b64 s[14:15], s[28:29]
; %bb.101:
	v_mov_b32_e32 v4, v3
	v_mov_b32_e32 v5, v2
	v_pk_mul_f32 v[4:5], v[4:5], 4.0 op_sel_hi:[1,0]
	s_mov_b64 s[12:13], exec
	v_mov_b32_e32 v2, v5
	v_mov_b32_e32 v3, v4
; %bb.102:
	s_or_b64 exec, exec, s[14:15]
.LBB231_103:
	s_andn2_saveexec_b64 s[2:3], s[2:3]
; %bb.104:
	v_mov_b32_e32 v4, v3
	v_mov_b32_e32 v5, v2
	s_mov_b32 s14, 0x3e800000
	v_pk_mul_f32 v[4:5], v[4:5], s[14:15] op_sel_hi:[1,0]
	s_andn2_b64 s[12:13], s[12:13], exec
	v_mov_b32_e32 v3, v4
	v_mov_b32_e32 v2, v5
; %bb.105:
	s_or_b64 exec, exec, s[2:3]
	v_max_f32_e64 v1, |v3|, |v3|
	v_max_f32_e64 v4, |v2|, |v2|
	v_max_f32_e32 v1, v4, v1
	v_cvt_f64_f32_e32 v[4:5], v1
	v_frexp_exp_i32_f64_e32 v4, v[4:5]
	v_sub_u32_e32 v5, 0, v4
	v_ldexp_f32 v7, |v2|, v5
	v_ldexp_f32 v5, |v3|, v5
	v_mul_f32_e32 v5, v5, v5
	v_fmac_f32_e32 v5, v7, v7
	v_sqrt_f32_e32 v5, v5
	s_mov_b32 s2, 0x7f800000
	v_cmp_neq_f32_e64 s[2:3], s2, v1
	v_cmp_le_f32_e32 vcc, 0, v2
	v_ldexp_f32 v4, v5, v4
	v_mov_b32_e32 v5, 0x7f800000
	v_cndmask_b32_e64 v4, v5, v4, s[2:3]
                                        ; implicit-def: $vgpr5
                                        ; implicit-def: $vgpr1
	s_and_saveexec_b64 s[2:3], vcc
	s_xor_b64 s[14:15], exec, s[2:3]
	s_cbranch_execz .LBB231_236
; %bb.106:
	v_add_f32_e32 v1, v2, v4
	v_mul_f32_e32 v1, 0.5, v1
	s_mov_b32 s2, 0xf800000
	v_mul_f32_e32 v2, 0x4f800000, v1
	v_cmp_gt_f32_e32 vcc, s2, v1
	s_nop 1
	v_cndmask_b32_e32 v1, v1, v2, vcc
	v_sqrt_f32_e32 v2, v1
	s_nop 0
	v_add_u32_e32 v4, -1, v2
	v_fma_f32 v5, -v4, v2, v1
	v_cmp_ge_f32_e64 s[2:3], 0, v5
	v_add_u32_e32 v5, 1, v2
	s_nop 0
	v_cndmask_b32_e64 v4, v2, v4, s[2:3]
	v_fma_f32 v2, -v5, v2, v1
	v_cmp_lt_f32_e64 s[2:3], 0, v2
	s_nop 1
	v_cndmask_b32_e64 v2, v4, v5, s[2:3]
	v_mul_f32_e32 v4, 0x37800000, v2
	v_cndmask_b32_e32 v2, v2, v4, vcc
	v_mov_b32_e32 v4, 0x260
	v_cmp_class_f32_e32 vcc, v1, v4
	s_nop 1
	v_cndmask_b32_e32 v1, v2, v1, vcc
	v_add_f32_e32 v2, v1, v1
	v_div_scale_f32 v4, s[2:3], v2, v2, v3
	v_rcp_f32_e32 v5, v4
	s_nop 0
	v_fma_f32 v7, -v4, v5, 1.0
	v_fmac_f32_e32 v5, v7, v5
	v_div_scale_f32 v7, vcc, v3, v2, v3
	v_mul_f32_e32 v8, v7, v5
	v_fma_f32 v9, -v4, v8, v7
	v_fmac_f32_e32 v8, v9, v5
	v_fma_f32 v4, -v4, v8, v7
	v_div_fmas_f32 v4, v4, v5, v8
	v_div_fixup_f32 v5, v4, v2, v3
                                        ; implicit-def: $vgpr4
                                        ; implicit-def: $vgpr2
	s_andn2_saveexec_b64 s[14:15], s[14:15]
	s_cbranch_execz .LBB231_238
	s_branch .LBB231_237
.LBB231_107:
	v_mov_b32_e32 v0, 0
	s_mov_b32 s57, 0
	v_mov_b32_e32 v1, v0
                                        ; implicit-def: $vgpr2
	v_mov_b32_e32 v4, v6
.LBB231_108:
	s_and_b32 s4, s58, 3
	s_cmp_eq_u32 s4, 0
	s_cbranch_scc1 .LBB231_111
; %bb.109:
	s_lshl_b32 s0, s57, 3
	s_add_u32 s0, s34, s0
	s_addc_u32 s1, s35, 0
	s_add_u32 s0, s0, 0xc4
	s_addc_u32 s1, s1, 0
	s_mul_i32 s2, s57, 12
	s_add_u32 s2, s34, s2
	s_addc_u32 s3, s35, 0
.LBB231_110:                            ; =>This Inner Loop Header: Depth=1
	s_load_dwordx2 s[6:7], s[2:3], 0x4
	s_load_dword s5, s[2:3], 0xc
	s_load_dwordx2 s[8:9], s[0:1], 0x0
	v_mov_b32_e32 v2, v1
	s_add_u32 s2, s2, 12
	s_waitcnt lgkmcnt(0)
	v_mul_hi_u32 v1, s7, v4
	v_add_u32_e32 v1, v4, v1
	v_lshrrev_b32_e32 v1, s5, v1
	s_addc_u32 s3, s3, 0
	v_mul_lo_u32 v3, v1, s6
	s_add_u32 s0, s0, 8
	v_sub_u32_e32 v5, v4, v3
	s_addc_u32 s1, s1, 0
	s_add_i32 s4, s4, -1
	v_mov_b32_e32 v4, v1
	v_mad_u64_u32 v[2:3], s[6:7], v5, s9, v[2:3]
	v_mad_u64_u32 v[0:1], s[6:7], v5, s8, v[0:1]
	s_cmp_lg_u32 s4, 0
	v_mov_b32_e32 v1, v2
	s_cbranch_scc1 .LBB231_110
.LBB231_111:
	s_cbranch_execnz .LBB231_114
.LBB231_112:
	s_waitcnt lgkmcnt(0)
	v_mul_hi_u32 v0, s25, v6
	v_add_u32_e32 v0, v6, v0
	v_lshrrev_b32_e32 v1, s26, v0
	v_mul_lo_u32 v0, v1, s24
	v_sub_u32_e32 v0, v6, v0
	v_mul_lo_u32 v2, v0, s21
	s_andn2_b64 vcc, exec, s[42:43]
	v_mul_lo_u32 v0, v0, s20
	s_cbranch_vccnz .LBB231_114
; %bb.113:
	v_mul_hi_u32 v3, s40, v1
	v_add_u32_e32 v3, v1, v3
	v_lshrrev_b32_e32 v3, s41, v3
	v_mul_lo_u32 v3, v3, s27
	v_sub_u32_e32 v3, v1, v3
	v_mad_u64_u32 v[0:1], s[0:1], v3, s22, v[0:1]
	v_mad_u64_u32 v[2:3], s[0:1], v3, s23, v[2:3]
.LBB231_114:
	s_waitcnt lgkmcnt(0)
	global_load_dwordx2 v[2:3], v2, s[18:19]
	v_mov_b32_e32 v4, 0
	s_waitcnt vmcnt(0)
	v_cmp_neq_f32_e32 vcc, 0, v2
	v_cmp_neq_f32_e64 s[0:1], 0, v3
	s_or_b64 s[0:1], vcc, s[0:1]
	s_and_saveexec_b64 s[4:5], s[0:1]
	s_cbranch_execz .LBB231_274
; %bb.115:
	v_mov_b32_e32 v4, 0x7f800000
	v_cmp_neq_f32_e64 s[0:1], |v3|, v4
	s_and_saveexec_b64 s[6:7], s[0:1]
	s_cbranch_execz .LBB231_273
; %bb.116:
	v_cmp_o_f32_e32 vcc, v2, v2
                                        ; implicit-def: $vgpr4
	s_and_saveexec_b64 s[0:1], vcc
	s_xor_b64 s[8:9], exec, s[0:1]
	s_cbranch_execz .LBB231_270
; %bb.117:
	s_mov_b32 s0, 0x7f800000
	v_cmp_neq_f32_e64 s[0:1], |v2|, s0
                                        ; implicit-def: $vgpr4
	s_and_saveexec_b64 s[2:3], s[0:1]
	s_xor_b64 s[10:11], exec, s[2:3]
	s_cbranch_execz .LBB231_263
; %bb.118:
	v_max_f32_e64 v1, |v3|, |v3|
	v_max_f32_e64 v4, |v2|, |v2|
	v_max_f32_e32 v1, v4, v1
	s_mov_b32 s0, 0x7ed413cb
	v_cmp_nle_f32_e64 s[0:1], s0, v1
                                        ; implicit-def: $sgpr12_sgpr13
	s_and_saveexec_b64 s[2:3], s[0:1]
	s_xor_b64 s[2:3], exec, s[2:3]
	s_cbranch_execz .LBB231_122
; %bb.119:
	s_mov_b32 s14, 0x1000000
	v_cmp_le_f32_e64 s[12:13], |v2|, s14
	v_cmp_le_f32_e64 s[14:15], |v3|, s14
	s_and_b64 s[28:29], s[12:13], s[14:15]
	s_mov_b64 s[12:13], 0
	s_and_saveexec_b64 s[14:15], s[28:29]
; %bb.120:
	v_mov_b32_e32 v4, v3
	v_mov_b32_e32 v5, v2
	v_pk_mul_f32 v[4:5], v[4:5], 4.0 op_sel_hi:[1,0]
	s_mov_b64 s[12:13], exec
	v_mov_b32_e32 v2, v5
	v_mov_b32_e32 v3, v4
; %bb.121:
	s_or_b64 exec, exec, s[14:15]
.LBB231_122:
	s_andn2_saveexec_b64 s[2:3], s[2:3]
; %bb.123:
	v_mov_b32_e32 v4, v3
	v_mov_b32_e32 v5, v2
	s_mov_b32 s14, 0x3e800000
	v_pk_mul_f32 v[4:5], v[4:5], s[14:15] op_sel_hi:[1,0]
	s_andn2_b64 s[12:13], s[12:13], exec
	v_mov_b32_e32 v3, v4
	v_mov_b32_e32 v2, v5
; %bb.124:
	s_or_b64 exec, exec, s[2:3]
	v_max_f32_e64 v1, |v3|, |v3|
	v_max_f32_e64 v4, |v2|, |v2|
	v_max_f32_e32 v1, v4, v1
	v_cvt_f64_f32_e32 v[4:5], v1
	v_frexp_exp_i32_f64_e32 v4, v[4:5]
	v_sub_u32_e32 v5, 0, v4
	v_ldexp_f32 v7, |v2|, v5
	v_ldexp_f32 v5, |v3|, v5
	v_mul_f32_e32 v5, v5, v5
	v_fmac_f32_e32 v5, v7, v7
	v_sqrt_f32_e32 v5, v5
	s_mov_b32 s2, 0x7f800000
	v_cmp_neq_f32_e64 s[2:3], s2, v1
	v_cmp_le_f32_e32 vcc, 0, v2
	v_ldexp_f32 v4, v5, v4
	v_mov_b32_e32 v5, 0x7f800000
	v_cndmask_b32_e64 v4, v5, v4, s[2:3]
                                        ; implicit-def: $vgpr5
                                        ; implicit-def: $vgpr1
	s_and_saveexec_b64 s[2:3], vcc
	s_xor_b64 s[14:15], exec, s[2:3]
	s_cbranch_execz .LBB231_240
; %bb.125:
	v_add_f32_e32 v1, v2, v4
	v_mul_f32_e32 v1, 0.5, v1
	s_mov_b32 s2, 0xf800000
	v_mul_f32_e32 v2, 0x4f800000, v1
	v_cmp_gt_f32_e32 vcc, s2, v1
	s_nop 1
	v_cndmask_b32_e32 v1, v1, v2, vcc
	v_sqrt_f32_e32 v2, v1
	s_nop 0
	v_add_u32_e32 v4, -1, v2
	v_fma_f32 v5, -v4, v2, v1
	v_cmp_ge_f32_e64 s[2:3], 0, v5
	v_add_u32_e32 v5, 1, v2
	s_nop 0
	v_cndmask_b32_e64 v4, v2, v4, s[2:3]
	v_fma_f32 v2, -v5, v2, v1
	v_cmp_lt_f32_e64 s[2:3], 0, v2
	s_nop 1
	v_cndmask_b32_e64 v2, v4, v5, s[2:3]
	v_mul_f32_e32 v4, 0x37800000, v2
	v_cndmask_b32_e32 v2, v2, v4, vcc
	v_mov_b32_e32 v4, 0x260
	v_cmp_class_f32_e32 vcc, v1, v4
	s_nop 1
	v_cndmask_b32_e32 v1, v2, v1, vcc
	v_add_f32_e32 v2, v1, v1
	v_div_scale_f32 v4, s[2:3], v2, v2, v3
	v_rcp_f32_e32 v5, v4
	s_nop 0
	v_fma_f32 v7, -v4, v5, 1.0
	v_fmac_f32_e32 v5, v7, v5
	v_div_scale_f32 v7, vcc, v3, v2, v3
	v_mul_f32_e32 v8, v7, v5
	v_fma_f32 v9, -v4, v8, v7
	v_fmac_f32_e32 v8, v9, v5
	v_fma_f32 v4, -v4, v8, v7
	v_div_fmas_f32 v4, v4, v5, v8
	v_div_fixup_f32 v5, v4, v2, v3
                                        ; implicit-def: $vgpr4
                                        ; implicit-def: $vgpr2
	s_andn2_saveexec_b64 s[14:15], s[14:15]
	s_cbranch_execz .LBB231_242
	s_branch .LBB231_241
.LBB231_126:
	s_andn2_saveexec_b64 s[18:19], s[18:19]
	s_cbranch_execz .LBB231_128
.LBB231_127:
	v_sub_f32_e32 v1, v5, v8
	v_mul_f32_e32 v1, 0.5, v1
	s_mov_b32 s2, 0xf800000
	v_mul_f32_e32 v3, 0x4f800000, v1
	v_cmp_gt_f32_e32 vcc, s2, v1
	s_nop 1
	v_cndmask_b32_e32 v1, v1, v3, vcc
	v_sqrt_f32_e32 v3, v1
	s_nop 0
	v_add_u32_e32 v5, -1, v3
	v_fma_f32 v7, -v5, v3, v1
	v_cmp_ge_f32_e64 s[2:3], 0, v7
	v_add_u32_e32 v7, 1, v3
	s_nop 0
	v_cndmask_b32_e64 v5, v3, v5, s[2:3]
	v_fma_f32 v3, -v7, v3, v1
	v_cmp_lt_f32_e64 s[2:3], 0, v3
	s_nop 1
	v_cndmask_b32_e64 v3, v5, v7, s[2:3]
	v_mul_f32_e32 v5, 0x37800000, v3
	v_cndmask_b32_e32 v3, v3, v5, vcc
	v_mov_b32_e32 v5, 0x260
	v_cmp_class_f32_e32 vcc, v1, v5
	v_and_b32_e32 v5, 0x7fffffff, v9
	s_nop 0
	v_cndmask_b32_e32 v3, v3, v1, vcc
	v_add_f32_e32 v1, v3, v3
	v_div_scale_f32 v7, s[2:3], v1, v1, v5
	v_rcp_f32_e32 v8, v7
	v_div_scale_f32 v5, vcc, v5, v1, v5
	s_brev_b32 s2, -2
	v_fma_f32 v11, -v7, v8, 1.0
	v_fmac_f32_e32 v8, v11, v8
	v_mul_f32_e32 v11, v5, v8
	v_fma_f32 v13, -v7, v11, v5
	v_fmac_f32_e32 v11, v13, v8
	v_fma_f32 v5, -v7, v11, v5
	v_div_fmas_f32 v5, v5, v8, v11
	v_div_fixup_f32 v1, v5, v1, |v9|
	v_bfi_b32 v3, s2, v3, v9
.LBB231_128:
	s_or_b64 exec, exec, s[18:19]
                                        ; implicit-def: $vgpr9
                                        ; implicit-def: $vgpr14
	s_and_saveexec_b64 s[2:3], s[0:1]
	s_xor_b64 s[0:1], exec, s[2:3]
	s_cbranch_execz .LBB231_130
; %bb.129:
	v_mul_f32_e32 v5, 0.5, v1
	v_mul_f32_e32 v7, 0.5, v3
	v_cndmask_b32_e64 v14, v1, v5, s[16:17]
	v_cndmask_b32_e64 v9, v3, v7, s[16:17]
                                        ; implicit-def: $vgpr1
                                        ; implicit-def: $vgpr3
	s_andn2_saveexec_b64 s[0:1], s[0:1]
	s_cbranch_execnz .LBB231_131
	s_branch .LBB231_132
.LBB231_130:
	s_andn2_saveexec_b64 s[0:1], s[0:1]
.LBB231_131:
	v_add_f32_e32 v14, v1, v1
	v_add_f32_e32 v9, v3, v3
.LBB231_132:
	s_or_b64 exec, exec, s[0:1]
.LBB231_133:
	s_andn2_saveexec_b64 s[0:1], s[14:15]
	s_cbranch_execz .LBB231_139
; %bb.134:
	v_sub_f32_e32 v1, v9, v9
	v_cmp_lt_i32_e32 vcc, -1, v8
	s_brev_b32 s14, -2
	v_and_b32_e32 v14, 0x7fffffff, v1
	s_and_saveexec_b64 s[2:3], vcc
	s_xor_b64 s[2:3], exec, s[2:3]
; %bb.135:
	v_bfi_b32 v9, s14, v1, v9
	v_mov_b32_e32 v14, v8
; %bb.136:
	s_andn2_saveexec_b64 s[2:3], s[2:3]
; %bb.137:
	v_bfi_b32 v9, s14, v8, v9
; %bb.138:
	s_or_b64 exec, exec, s[2:3]
.LBB231_139:
	s_or_b64 exec, exec, s[0:1]
.LBB231_140:
	s_andn2_saveexec_b64 s[0:1], s[12:13]
	s_cbranch_execz .LBB231_142
; %bb.141:
	v_sub_f32_e32 v1, v9, v9
	v_div_scale_f32 v3, vcc, v1, v1, v1
	v_rcp_f32_e32 v5, v3
	v_mov_b32_e32 v14, v8
	v_fma_f32 v7, -v3, v5, 1.0
	v_fmac_f32_e32 v5, v7, v5
	v_mul_f32_e32 v7, v3, v5
	v_fma_f32 v9, -v3, v7, v3
	v_fmac_f32_e32 v7, v9, v5
	v_fma_f32 v3, -v3, v7, v3
	v_div_fmas_f32 v3, v3, v5, v7
	v_div_fixup_f32 v9, v3, v1, v1
.LBB231_142:
	s_or_b64 exec, exec, s[0:1]
.LBB231_143:
	s_or_b64 exec, exec, s[10:11]
.LBB231_144:
	s_or_b64 exec, exec, s[8:9]
	global_load_dwordx2 v[18:19], v18, s[6:7]
	s_waitcnt vmcnt(0)
	v_cmp_neq_f32_e32 vcc, 0, v18
	v_cmp_neq_f32_e64 s[0:1], 0, v19
	s_or_b64 s[0:1], vcc, s[0:1]
	s_and_saveexec_b64 s[8:9], s[0:1]
	s_cbranch_execz .LBB231_174
; %bb.145:
	v_mov_b32_e32 v12, 0x7f800000
	v_cmp_neq_f32_e64 s[0:1], |v19|, v12
	s_and_saveexec_b64 s[10:11], s[0:1]
	s_cbranch_execz .LBB231_173
; %bb.146:
	v_cmp_o_f32_e32 vcc, v18, v18
                                        ; implicit-def: $vgpr12
	s_and_saveexec_b64 s[0:1], vcc
	s_xor_b64 s[12:13], exec, s[0:1]
	s_cbranch_execz .LBB231_170
; %bb.147:
	s_mov_b32 s0, 0x7f800000
	v_cmp_neq_f32_e64 s[0:1], |v18|, s0
                                        ; implicit-def: $vgpr12
	s_and_saveexec_b64 s[2:3], s[0:1]
	s_xor_b64 s[14:15], exec, s[2:3]
	s_cbranch_execz .LBB231_163
; %bb.148:
	v_max_f32_e64 v1, |v19|, |v19|
	v_max_f32_e64 v3, |v18|, |v18|
	v_max_f32_e32 v1, v3, v1
	s_mov_b32 s0, 0x7ed413cb
	v_cmp_nle_f32_e64 s[0:1], s0, v1
                                        ; implicit-def: $sgpr16_sgpr17
	s_and_saveexec_b64 s[2:3], s[0:1]
	s_xor_b64 s[2:3], exec, s[2:3]
	s_cbranch_execz .LBB231_152
; %bb.149:
	s_mov_b32 s18, 0x1000000
	v_cmp_le_f32_e64 s[16:17], |v18|, s18
	v_cmp_le_f32_e64 s[18:19], |v19|, s18
	s_and_b64 s[20:21], s[16:17], s[18:19]
	s_mov_b64 s[16:17], 0
	s_and_saveexec_b64 s[18:19], s[20:21]
; %bb.150:
	v_mov_b32_e32 v12, v19
	v_mov_b32_e32 v13, v18
	v_pk_mul_f32 v[12:13], v[12:13], 4.0 op_sel_hi:[1,0]
	s_mov_b64 s[16:17], exec
	v_mov_b32_e32 v18, v13
	v_mov_b32_e32 v19, v12
; %bb.151:
	s_or_b64 exec, exec, s[18:19]
.LBB231_152:
	s_andn2_saveexec_b64 s[2:3], s[2:3]
; %bb.153:
	v_mov_b32_e32 v12, v19
	v_mov_b32_e32 v13, v18
	s_mov_b32 s18, 0x3e800000
	v_pk_mul_f32 v[12:13], v[12:13], s[18:19] op_sel_hi:[1,0]
	s_andn2_b64 s[16:17], s[16:17], exec
	v_mov_b32_e32 v19, v12
	v_mov_b32_e32 v18, v13
; %bb.154:
	s_or_b64 exec, exec, s[2:3]
	v_max_f32_e64 v1, |v19|, |v19|
	v_max_f32_e64 v3, |v18|, |v18|
	v_max_f32_e32 v1, v3, v1
	v_cvt_f64_f32_e32 v[12:13], v1
	v_frexp_exp_i32_f64_e32 v3, v[12:13]
	v_sub_u32_e32 v5, 0, v3
	v_ldexp_f32 v7, |v18|, v5
	v_ldexp_f32 v5, |v19|, v5
	v_mul_f32_e32 v5, v5, v5
	v_fmac_f32_e32 v5, v7, v7
	v_sqrt_f32_e32 v5, v5
	s_mov_b32 s2, 0x7f800000
	v_cmp_neq_f32_e64 s[2:3], s2, v1
	v_cmp_le_f32_e32 vcc, 0, v18
	v_ldexp_f32 v3, v5, v3
	v_mov_b32_e32 v5, 0x7f800000
	v_cndmask_b32_e64 v5, v5, v3, s[2:3]
                                        ; implicit-def: $vgpr3
                                        ; implicit-def: $vgpr1
	s_and_saveexec_b64 s[2:3], vcc
	s_xor_b64 s[18:19], exec, s[2:3]
	s_cbranch_execz .LBB231_156
; %bb.155:
	v_add_f32_e32 v1, v18, v5
	v_mul_f32_e32 v1, 0.5, v1
	s_mov_b32 s2, 0xf800000
	v_mul_f32_e32 v3, 0x4f800000, v1
	v_cmp_gt_f32_e32 vcc, s2, v1
	s_nop 1
	v_cndmask_b32_e32 v1, v1, v3, vcc
	v_sqrt_f32_e32 v3, v1
	s_nop 0
	v_add_u32_e32 v5, -1, v3
	v_fma_f32 v7, -v5, v3, v1
	v_cmp_ge_f32_e64 s[2:3], 0, v7
	v_add_u32_e32 v7, 1, v3
	s_nop 0
	v_cndmask_b32_e64 v5, v3, v5, s[2:3]
	v_fma_f32 v3, -v7, v3, v1
	v_cmp_lt_f32_e64 s[2:3], 0, v3
	s_nop 1
	v_cndmask_b32_e64 v3, v5, v7, s[2:3]
	v_mul_f32_e32 v5, 0x37800000, v3
	v_cndmask_b32_e32 v3, v3, v5, vcc
	v_mov_b32_e32 v5, 0x260
	v_cmp_class_f32_e32 vcc, v1, v5
	s_nop 1
	v_cndmask_b32_e32 v1, v3, v1, vcc
	v_add_f32_e32 v3, v1, v1
	v_div_scale_f32 v5, s[2:3], v3, v3, v19
	v_rcp_f32_e32 v7, v5
	s_nop 0
	v_fma_f32 v8, -v5, v7, 1.0
	v_fmac_f32_e32 v7, v8, v7
	v_div_scale_f32 v8, vcc, v19, v3, v19
	v_mul_f32_e32 v11, v8, v7
	v_fma_f32 v12, -v5, v11, v8
	v_fmac_f32_e32 v11, v12, v7
	v_fma_f32 v5, -v5, v11, v8
	v_div_fmas_f32 v5, v5, v7, v11
	v_div_fixup_f32 v3, v5, v3, v19
                                        ; implicit-def: $vgpr5
                                        ; implicit-def: $vgpr18
	s_andn2_saveexec_b64 s[18:19], s[18:19]
	s_cbranch_execz .LBB231_158
	s_branch .LBB231_157
.LBB231_156:
	s_andn2_saveexec_b64 s[18:19], s[18:19]
	s_cbranch_execz .LBB231_158
.LBB231_157:
	v_sub_f32_e32 v1, v5, v18
	v_mul_f32_e32 v1, 0.5, v1
	s_mov_b32 s2, 0xf800000
	v_mul_f32_e32 v3, 0x4f800000, v1
	v_cmp_gt_f32_e32 vcc, s2, v1
	s_nop 1
	v_cndmask_b32_e32 v1, v1, v3, vcc
	v_sqrt_f32_e32 v3, v1
	s_nop 0
	v_add_u32_e32 v5, -1, v3
	v_fma_f32 v7, -v5, v3, v1
	v_cmp_ge_f32_e64 s[2:3], 0, v7
	v_add_u32_e32 v7, 1, v3
	s_nop 0
	v_cndmask_b32_e64 v5, v3, v5, s[2:3]
	v_fma_f32 v3, -v7, v3, v1
	v_cmp_lt_f32_e64 s[2:3], 0, v3
	s_nop 1
	v_cndmask_b32_e64 v3, v5, v7, s[2:3]
	v_mul_f32_e32 v5, 0x37800000, v3
	v_cndmask_b32_e32 v3, v3, v5, vcc
	v_mov_b32_e32 v5, 0x260
	v_cmp_class_f32_e32 vcc, v1, v5
	v_and_b32_e32 v5, 0x7fffffff, v19
	s_nop 0
	v_cndmask_b32_e32 v3, v3, v1, vcc
	v_add_f32_e32 v1, v3, v3
	v_div_scale_f32 v7, s[2:3], v1, v1, v5
	v_rcp_f32_e32 v8, v7
	v_div_scale_f32 v5, vcc, v5, v1, v5
	s_brev_b32 s2, -2
	v_fma_f32 v11, -v7, v8, 1.0
	v_fmac_f32_e32 v8, v11, v8
	v_mul_f32_e32 v11, v5, v8
	v_fma_f32 v12, -v7, v11, v5
	v_fmac_f32_e32 v11, v12, v8
	v_fma_f32 v5, -v7, v11, v5
	v_div_fmas_f32 v5, v5, v8, v11
	v_div_fixup_f32 v1, v5, v1, |v19|
	v_bfi_b32 v3, s2, v3, v19
.LBB231_158:
	s_or_b64 exec, exec, s[18:19]
                                        ; implicit-def: $vgpr19
                                        ; implicit-def: $vgpr12
	s_and_saveexec_b64 s[2:3], s[0:1]
	s_xor_b64 s[0:1], exec, s[2:3]
	s_cbranch_execz .LBB231_160
; %bb.159:
	v_mul_f32_e32 v5, 0.5, v1
	v_mul_f32_e32 v7, 0.5, v3
	v_cndmask_b32_e64 v12, v1, v5, s[16:17]
	v_cndmask_b32_e64 v19, v3, v7, s[16:17]
                                        ; implicit-def: $vgpr1
                                        ; implicit-def: $vgpr3
	s_andn2_saveexec_b64 s[0:1], s[0:1]
	s_cbranch_execnz .LBB231_161
	s_branch .LBB231_162
.LBB231_160:
	s_andn2_saveexec_b64 s[0:1], s[0:1]
.LBB231_161:
	v_add_f32_e32 v12, v1, v1
	v_add_f32_e32 v19, v3, v3
.LBB231_162:
	s_or_b64 exec, exec, s[0:1]
.LBB231_163:
	s_andn2_saveexec_b64 s[0:1], s[14:15]
	s_cbranch_execz .LBB231_169
; %bb.164:
	v_sub_f32_e32 v1, v19, v19
	v_cmp_lt_i32_e32 vcc, -1, v18
	s_brev_b32 s14, -2
	v_and_b32_e32 v12, 0x7fffffff, v1
	s_and_saveexec_b64 s[2:3], vcc
	s_xor_b64 s[2:3], exec, s[2:3]
; %bb.165:
	v_bfi_b32 v19, s14, v1, v19
	v_mov_b32_e32 v12, v18
; %bb.166:
	s_andn2_saveexec_b64 s[2:3], s[2:3]
; %bb.167:
	v_bfi_b32 v19, s14, v18, v19
; %bb.168:
	s_or_b64 exec, exec, s[2:3]
.LBB231_169:
	s_or_b64 exec, exec, s[0:1]
.LBB231_170:
	s_andn2_saveexec_b64 s[0:1], s[12:13]
	s_cbranch_execz .LBB231_172
; %bb.171:
	v_sub_f32_e32 v1, v19, v19
	v_div_scale_f32 v3, vcc, v1, v1, v1
	v_rcp_f32_e32 v5, v3
	v_mov_b32_e32 v12, v18
	v_fma_f32 v7, -v3, v5, 1.0
	v_fmac_f32_e32 v5, v7, v5
	v_mul_f32_e32 v7, v3, v5
	v_fma_f32 v8, -v3, v7, v3
	v_fmac_f32_e32 v7, v8, v5
	v_fma_f32 v3, -v3, v7, v3
	v_div_fmas_f32 v3, v3, v5, v7
	v_div_fixup_f32 v19, v3, v1, v1
.LBB231_172:
	s_or_b64 exec, exec, s[0:1]
.LBB231_173:
	s_or_b64 exec, exec, s[10:11]
.LBB231_174:
	s_or_b64 exec, exec, s[8:9]
	global_load_dwordx2 v[16:17], v16, s[6:7]
	v_mov_b32_e32 v1, 0
	v_mov_b32_e32 v8, 0
	s_waitcnt vmcnt(0)
	v_cmp_neq_f32_e32 vcc, 0, v16
	v_cmp_neq_f32_e64 s[0:1], 0, v17
	s_or_b64 s[0:1], vcc, s[0:1]
	s_and_saveexec_b64 s[8:9], s[0:1]
	s_cbranch_execz .LBB231_204
; %bb.175:
	v_mov_b32_e32 v8, 0x7f800000
	v_cmp_neq_f32_e64 s[0:1], |v17|, v8
	s_and_saveexec_b64 s[10:11], s[0:1]
	s_cbranch_execz .LBB231_203
; %bb.176:
	v_cmp_o_f32_e32 vcc, v16, v16
                                        ; implicit-def: $vgpr8
	s_and_saveexec_b64 s[0:1], vcc
	s_xor_b64 s[12:13], exec, s[0:1]
	s_cbranch_execz .LBB231_200
; %bb.177:
	s_mov_b32 s0, 0x7f800000
	v_cmp_neq_f32_e64 s[0:1], |v16|, s0
                                        ; implicit-def: $vgpr8
	s_and_saveexec_b64 s[2:3], s[0:1]
	s_xor_b64 s[14:15], exec, s[2:3]
	s_cbranch_execz .LBB231_193
; %bb.178:
	v_max_f32_e64 v3, |v17|, |v17|
	v_max_f32_e64 v5, |v16|, |v16|
	v_max_f32_e32 v3, v5, v3
	s_mov_b32 s0, 0x7ed413cb
	v_cmp_nle_f32_e64 s[0:1], s0, v3
                                        ; implicit-def: $sgpr16_sgpr17
	s_and_saveexec_b64 s[2:3], s[0:1]
	s_xor_b64 s[2:3], exec, s[2:3]
	s_cbranch_execz .LBB231_182
; %bb.179:
	s_mov_b32 s18, 0x1000000
	v_cmp_le_f32_e64 s[16:17], |v16|, s18
	v_cmp_le_f32_e64 s[18:19], |v17|, s18
	s_and_b64 s[20:21], s[16:17], s[18:19]
	s_mov_b64 s[16:17], 0
	s_and_saveexec_b64 s[18:19], s[20:21]
; %bb.180:
	v_mov_b32_e32 v20, v17
	v_mov_b32_e32 v21, v16
	v_pk_mul_f32 v[20:21], v[20:21], 4.0 op_sel_hi:[1,0]
	s_mov_b64 s[16:17], exec
	v_mov_b32_e32 v16, v21
	v_mov_b32_e32 v17, v20
; %bb.181:
	s_or_b64 exec, exec, s[18:19]
.LBB231_182:
	s_andn2_saveexec_b64 s[2:3], s[2:3]
; %bb.183:
	v_mov_b32_e32 v20, v17
	v_mov_b32_e32 v21, v16
	s_mov_b32 s18, 0x3e800000
	v_pk_mul_f32 v[20:21], v[20:21], s[18:19] op_sel_hi:[1,0]
	s_andn2_b64 s[16:17], s[16:17], exec
	v_mov_b32_e32 v17, v20
	v_mov_b32_e32 v16, v21
; %bb.184:
	s_or_b64 exec, exec, s[2:3]
	v_max_f32_e64 v3, |v17|, |v17|
	v_max_f32_e64 v5, |v16|, |v16|
	v_max_f32_e32 v3, v5, v3
	v_cvt_f64_f32_e32 v[20:21], v3
	v_frexp_exp_i32_f64_e32 v5, v[20:21]
	v_sub_u32_e32 v7, 0, v5
	v_ldexp_f32 v8, |v16|, v7
	v_ldexp_f32 v7, |v17|, v7
	v_mul_f32_e32 v7, v7, v7
	v_fmac_f32_e32 v7, v8, v8
	v_sqrt_f32_e32 v7, v7
	s_mov_b32 s2, 0x7f800000
	v_cmp_neq_f32_e64 s[2:3], s2, v3
	v_cmp_le_f32_e32 vcc, 0, v16
	v_ldexp_f32 v5, v7, v5
	v_mov_b32_e32 v7, 0x7f800000
	v_cndmask_b32_e64 v7, v7, v5, s[2:3]
                                        ; implicit-def: $vgpr5
                                        ; implicit-def: $vgpr3
	s_and_saveexec_b64 s[2:3], vcc
	s_xor_b64 s[18:19], exec, s[2:3]
	s_cbranch_execz .LBB231_186
; %bb.185:
	v_add_f32_e32 v3, v16, v7
	v_mul_f32_e32 v3, 0.5, v3
	s_mov_b32 s2, 0xf800000
	v_mul_f32_e32 v5, 0x4f800000, v3
	v_cmp_gt_f32_e32 vcc, s2, v3
	s_nop 1
	v_cndmask_b32_e32 v3, v3, v5, vcc
	v_sqrt_f32_e32 v5, v3
	s_nop 0
	v_add_u32_e32 v7, -1, v5
	v_fma_f32 v8, -v7, v5, v3
	v_cmp_ge_f32_e64 s[2:3], 0, v8
	v_add_u32_e32 v8, 1, v5
	s_nop 0
	v_cndmask_b32_e64 v7, v5, v7, s[2:3]
	v_fma_f32 v5, -v8, v5, v3
	v_cmp_lt_f32_e64 s[2:3], 0, v5
	s_nop 1
	v_cndmask_b32_e64 v5, v7, v8, s[2:3]
	v_mul_f32_e32 v7, 0x37800000, v5
	v_cndmask_b32_e32 v5, v5, v7, vcc
	v_mov_b32_e32 v7, 0x260
	v_cmp_class_f32_e32 vcc, v3, v7
	s_nop 1
	v_cndmask_b32_e32 v3, v5, v3, vcc
	v_add_f32_e32 v5, v3, v3
	v_div_scale_f32 v7, s[2:3], v5, v5, v17
	v_rcp_f32_e32 v8, v7
	s_nop 0
	v_fma_f32 v11, -v7, v8, 1.0
	v_fmac_f32_e32 v8, v11, v8
	v_div_scale_f32 v11, vcc, v17, v5, v17
	v_mul_f32_e32 v13, v11, v8
	v_fma_f32 v15, -v7, v13, v11
	v_fmac_f32_e32 v13, v15, v8
	v_fma_f32 v7, -v7, v13, v11
	v_div_fmas_f32 v7, v7, v8, v13
	v_div_fixup_f32 v5, v7, v5, v17
                                        ; implicit-def: $vgpr7
                                        ; implicit-def: $vgpr16
	s_andn2_saveexec_b64 s[18:19], s[18:19]
	s_cbranch_execz .LBB231_188
	s_branch .LBB231_187
.LBB231_186:
	s_andn2_saveexec_b64 s[18:19], s[18:19]
	s_cbranch_execz .LBB231_188
.LBB231_187:
	v_sub_f32_e32 v3, v7, v16
	v_mul_f32_e32 v3, 0.5, v3
	s_mov_b32 s2, 0xf800000
	v_mul_f32_e32 v5, 0x4f800000, v3
	v_cmp_gt_f32_e32 vcc, s2, v3
	s_nop 1
	v_cndmask_b32_e32 v3, v3, v5, vcc
	v_sqrt_f32_e32 v5, v3
	s_nop 0
	v_add_u32_e32 v7, -1, v5
	v_fma_f32 v8, -v7, v5, v3
	v_cmp_ge_f32_e64 s[2:3], 0, v8
	v_add_u32_e32 v8, 1, v5
	s_nop 0
	v_cndmask_b32_e64 v7, v5, v7, s[2:3]
	v_fma_f32 v5, -v8, v5, v3
	v_cmp_lt_f32_e64 s[2:3], 0, v5
	s_nop 1
	v_cndmask_b32_e64 v5, v7, v8, s[2:3]
	v_mul_f32_e32 v7, 0x37800000, v5
	v_cndmask_b32_e32 v5, v5, v7, vcc
	v_mov_b32_e32 v7, 0x260
	v_cmp_class_f32_e32 vcc, v3, v7
	v_and_b32_e32 v7, 0x7fffffff, v17
	s_nop 0
	v_cndmask_b32_e32 v5, v5, v3, vcc
	v_add_f32_e32 v3, v5, v5
	v_div_scale_f32 v8, s[2:3], v3, v3, v7
	v_rcp_f32_e32 v11, v8
	v_div_scale_f32 v7, vcc, v7, v3, v7
	s_brev_b32 s2, -2
	v_fma_f32 v13, -v8, v11, 1.0
	v_fmac_f32_e32 v11, v13, v11
	v_mul_f32_e32 v13, v7, v11
	v_fma_f32 v15, -v8, v13, v7
	v_fmac_f32_e32 v13, v15, v11
	v_fma_f32 v7, -v8, v13, v7
	v_div_fmas_f32 v7, v7, v11, v13
	v_div_fixup_f32 v3, v7, v3, |v17|
	v_bfi_b32 v5, s2, v5, v17
.LBB231_188:
	s_or_b64 exec, exec, s[18:19]
                                        ; implicit-def: $vgpr17
                                        ; implicit-def: $vgpr8
	s_and_saveexec_b64 s[2:3], s[0:1]
	s_xor_b64 s[0:1], exec, s[2:3]
	s_cbranch_execz .LBB231_190
; %bb.189:
	v_mul_f32_e32 v7, 0.5, v3
	v_mul_f32_e32 v11, 0.5, v5
	v_cndmask_b32_e64 v8, v3, v7, s[16:17]
	v_cndmask_b32_e64 v17, v5, v11, s[16:17]
                                        ; implicit-def: $vgpr3
                                        ; implicit-def: $vgpr5
	s_andn2_saveexec_b64 s[0:1], s[0:1]
	s_cbranch_execnz .LBB231_191
	s_branch .LBB231_192
.LBB231_190:
	s_andn2_saveexec_b64 s[0:1], s[0:1]
.LBB231_191:
	v_add_f32_e32 v8, v3, v3
	v_add_f32_e32 v17, v5, v5
.LBB231_192:
	s_or_b64 exec, exec, s[0:1]
.LBB231_193:
	s_andn2_saveexec_b64 s[0:1], s[14:15]
	s_cbranch_execz .LBB231_199
; %bb.194:
	v_sub_f32_e32 v3, v17, v17
	v_cmp_lt_i32_e32 vcc, -1, v16
	s_brev_b32 s14, -2
	v_and_b32_e32 v8, 0x7fffffff, v3
	s_and_saveexec_b64 s[2:3], vcc
	s_xor_b64 s[2:3], exec, s[2:3]
; %bb.195:
	v_bfi_b32 v17, s14, v3, v17
	v_mov_b32_e32 v8, v16
; %bb.196:
	s_andn2_saveexec_b64 s[2:3], s[2:3]
; %bb.197:
	v_bfi_b32 v17, s14, v16, v17
; %bb.198:
	s_or_b64 exec, exec, s[2:3]
.LBB231_199:
	s_or_b64 exec, exec, s[0:1]
.LBB231_200:
	s_andn2_saveexec_b64 s[0:1], s[12:13]
	s_cbranch_execz .LBB231_202
; %bb.201:
	v_sub_f32_e32 v3, v17, v17
	v_div_scale_f32 v5, vcc, v3, v3, v3
	v_rcp_f32_e32 v7, v5
	s_nop 0
	v_fma_f32 v8, -v5, v7, 1.0
	v_fmac_f32_e32 v7, v8, v7
	v_mul_f32_e32 v8, v5, v7
	v_fma_f32 v11, -v5, v8, v5
	v_fmac_f32_e32 v8, v11, v7
	v_fma_f32 v5, -v5, v8, v5
	v_div_fmas_f32 v5, v5, v7, v8
	v_div_fixup_f32 v17, v5, v3, v3
	v_mov_b32_e32 v8, v16
.LBB231_202:
	s_or_b64 exec, exec, s[0:1]
.LBB231_203:
	s_or_b64 exec, exec, s[10:11]
.LBB231_204:
	s_or_b64 exec, exec, s[8:9]
	global_load_dwordx2 v[10:11], v10, s[6:7]
	s_waitcnt vmcnt(0)
	v_cmp_neq_f32_e32 vcc, 0, v10
	v_cmp_neq_f32_e64 s[0:1], 0, v11
	s_or_b64 s[0:1], vcc, s[0:1]
	s_and_saveexec_b64 s[6:7], s[0:1]
	s_cbranch_execz .LBB231_234
; %bb.205:
	v_mov_b32_e32 v1, 0x7f800000
	v_cmp_neq_f32_e64 s[0:1], |v11|, v1
	s_and_saveexec_b64 s[8:9], s[0:1]
	s_cbranch_execz .LBB231_233
; %bb.206:
	v_cmp_o_f32_e32 vcc, v10, v10
                                        ; implicit-def: $vgpr1
	s_and_saveexec_b64 s[0:1], vcc
	s_xor_b64 s[10:11], exec, s[0:1]
	s_cbranch_execz .LBB231_230
; %bb.207:
	s_mov_b32 s0, 0x7f800000
	v_cmp_neq_f32_e64 s[0:1], |v10|, s0
                                        ; implicit-def: $vgpr1
	s_and_saveexec_b64 s[2:3], s[0:1]
	s_xor_b64 s[12:13], exec, s[2:3]
	s_cbranch_execz .LBB231_223
; %bb.208:
	v_max_f32_e64 v1, |v11|, |v11|
	v_max_f32_e64 v3, |v10|, |v10|
	v_max_f32_e32 v1, v3, v1
	s_mov_b32 s0, 0x7ed413cb
	v_cmp_nle_f32_e64 s[0:1], s0, v1
                                        ; implicit-def: $sgpr14_sgpr15
	s_and_saveexec_b64 s[2:3], s[0:1]
	s_xor_b64 s[2:3], exec, s[2:3]
	s_cbranch_execz .LBB231_212
; %bb.209:
	s_mov_b32 s16, 0x1000000
	v_cmp_le_f32_e64 s[14:15], |v10|, s16
	v_cmp_le_f32_e64 s[16:17], |v11|, s16
	s_and_b64 s[18:19], s[14:15], s[16:17]
	s_mov_b64 s[14:15], 0
	s_and_saveexec_b64 s[16:17], s[18:19]
; %bb.210:
	v_mov_b32_e32 v20, v11
	v_mov_b32_e32 v21, v10
	v_pk_mul_f32 v[20:21], v[20:21], 4.0 op_sel_hi:[1,0]
	s_mov_b64 s[14:15], exec
	v_mov_b32_e32 v10, v21
	v_mov_b32_e32 v11, v20
; %bb.211:
	s_or_b64 exec, exec, s[16:17]
.LBB231_212:
	s_andn2_saveexec_b64 s[2:3], s[2:3]
; %bb.213:
	v_mov_b32_e32 v20, v11
	v_mov_b32_e32 v21, v10
	s_mov_b32 s16, 0x3e800000
	v_pk_mul_f32 v[20:21], v[20:21], s[16:17] op_sel_hi:[1,0]
	s_andn2_b64 s[14:15], s[14:15], exec
	v_mov_b32_e32 v11, v20
	v_mov_b32_e32 v10, v21
; %bb.214:
	s_or_b64 exec, exec, s[2:3]
	v_max_f32_e64 v1, |v11|, |v11|
	v_max_f32_e64 v3, |v10|, |v10|
	v_max_f32_e32 v1, v3, v1
	v_cvt_f64_f32_e32 v[20:21], v1
	v_frexp_exp_i32_f64_e32 v3, v[20:21]
	v_sub_u32_e32 v5, 0, v3
	v_ldexp_f32 v7, |v10|, v5
	v_ldexp_f32 v5, |v11|, v5
	v_mul_f32_e32 v5, v5, v5
	v_fmac_f32_e32 v5, v7, v7
	v_sqrt_f32_e32 v5, v5
	s_mov_b32 s2, 0x7f800000
	v_cmp_neq_f32_e64 s[2:3], s2, v1
	v_cmp_le_f32_e32 vcc, 0, v10
	v_ldexp_f32 v3, v5, v3
	v_mov_b32_e32 v5, 0x7f800000
	v_cndmask_b32_e64 v1, v5, v3, s[2:3]
                                        ; implicit-def: $vgpr5
                                        ; implicit-def: $vgpr3
	s_and_saveexec_b64 s[2:3], vcc
	s_xor_b64 s[16:17], exec, s[2:3]
	s_cbranch_execz .LBB231_216
; %bb.215:
	v_add_f32_e32 v1, v10, v1
	v_mul_f32_e32 v1, 0.5, v1
	s_mov_b32 s2, 0xf800000
	v_mul_f32_e32 v3, 0x4f800000, v1
	v_cmp_gt_f32_e32 vcc, s2, v1
	s_nop 1
	v_cndmask_b32_e32 v1, v1, v3, vcc
	v_sqrt_f32_e32 v3, v1
	s_nop 0
	v_add_u32_e32 v5, -1, v3
	v_fma_f32 v7, -v5, v3, v1
	v_cmp_ge_f32_e64 s[2:3], 0, v7
	v_add_u32_e32 v7, 1, v3
	s_nop 0
	v_cndmask_b32_e64 v5, v3, v5, s[2:3]
	v_fma_f32 v3, -v7, v3, v1
	v_cmp_lt_f32_e64 s[2:3], 0, v3
	s_nop 1
	v_cndmask_b32_e64 v3, v5, v7, s[2:3]
	v_mul_f32_e32 v5, 0x37800000, v3
	v_cndmask_b32_e32 v3, v3, v5, vcc
	v_mov_b32_e32 v5, 0x260
	v_cmp_class_f32_e32 vcc, v1, v5
	s_nop 1
	v_cndmask_b32_e32 v3, v3, v1, vcc
	v_add_f32_e32 v1, v3, v3
	v_div_scale_f32 v5, s[2:3], v1, v1, v11
	v_rcp_f32_e32 v7, v5
	s_nop 0
	v_fma_f32 v10, -v5, v7, 1.0
	v_fmac_f32_e32 v7, v10, v7
	v_div_scale_f32 v10, vcc, v11, v1, v11
	v_mul_f32_e32 v13, v10, v7
	v_fma_f32 v15, -v5, v13, v10
	v_fmac_f32_e32 v13, v15, v7
	v_fma_f32 v5, -v5, v13, v10
	v_div_fmas_f32 v5, v5, v7, v13
	v_div_fixup_f32 v5, v5, v1, v11
                                        ; implicit-def: $vgpr1
                                        ; implicit-def: $vgpr10
	s_andn2_saveexec_b64 s[16:17], s[16:17]
	s_cbranch_execz .LBB231_218
	s_branch .LBB231_217
.LBB231_216:
	s_andn2_saveexec_b64 s[16:17], s[16:17]
	s_cbranch_execz .LBB231_218
.LBB231_217:
	v_sub_f32_e32 v1, v1, v10
	v_mul_f32_e32 v1, 0.5, v1
	s_mov_b32 s2, 0xf800000
	v_mul_f32_e32 v3, 0x4f800000, v1
	v_cmp_gt_f32_e32 vcc, s2, v1
	s_nop 1
	v_cndmask_b32_e32 v1, v1, v3, vcc
	v_sqrt_f32_e32 v3, v1
	s_nop 0
	v_add_u32_e32 v5, -1, v3
	v_fma_f32 v7, -v5, v3, v1
	v_cmp_ge_f32_e64 s[2:3], 0, v7
	v_add_u32_e32 v7, 1, v3
	s_nop 0
	v_cndmask_b32_e64 v5, v3, v5, s[2:3]
	v_fma_f32 v3, -v7, v3, v1
	v_cmp_lt_f32_e64 s[2:3], 0, v3
	s_nop 1
	v_cndmask_b32_e64 v3, v5, v7, s[2:3]
	v_mul_f32_e32 v5, 0x37800000, v3
	v_cndmask_b32_e32 v3, v3, v5, vcc
	v_mov_b32_e32 v5, 0x260
	v_cmp_class_f32_e32 vcc, v1, v5
	v_and_b32_e32 v5, 0x7fffffff, v11
	s_nop 0
	v_cndmask_b32_e32 v1, v3, v1, vcc
	v_add_f32_e32 v3, v1, v1
	v_div_scale_f32 v7, s[2:3], v3, v3, v5
	v_rcp_f32_e32 v10, v7
	v_div_scale_f32 v5, vcc, v5, v3, v5
	s_brev_b32 s2, -2
	v_fma_f32 v13, -v7, v10, 1.0
	v_fmac_f32_e32 v10, v13, v10
	v_mul_f32_e32 v13, v5, v10
	v_fma_f32 v15, -v7, v13, v5
	v_fmac_f32_e32 v13, v15, v10
	v_fma_f32 v5, -v7, v13, v5
	v_div_fmas_f32 v5, v5, v10, v13
	v_div_fixup_f32 v3, v5, v3, |v11|
	v_bfi_b32 v5, s2, v1, v11
.LBB231_218:
	s_or_b64 exec, exec, s[16:17]
                                        ; implicit-def: $vgpr11
                                        ; implicit-def: $vgpr1
	s_and_saveexec_b64 s[2:3], s[0:1]
	s_xor_b64 s[0:1], exec, s[2:3]
	s_cbranch_execz .LBB231_220
; %bb.219:
	v_mul_f32_e32 v1, 0.5, v3
	v_mul_f32_e32 v7, 0.5, v5
	v_cndmask_b32_e64 v1, v3, v1, s[14:15]
	v_cndmask_b32_e64 v11, v5, v7, s[14:15]
                                        ; implicit-def: $vgpr3
                                        ; implicit-def: $vgpr5
	s_andn2_saveexec_b64 s[0:1], s[0:1]
	s_cbranch_execnz .LBB231_221
	s_branch .LBB231_222
.LBB231_220:
	s_andn2_saveexec_b64 s[0:1], s[0:1]
.LBB231_221:
	v_add_f32_e32 v1, v3, v3
	v_add_f32_e32 v11, v5, v5
.LBB231_222:
	s_or_b64 exec, exec, s[0:1]
.LBB231_223:
	s_andn2_saveexec_b64 s[0:1], s[12:13]
	s_cbranch_execz .LBB231_229
; %bb.224:
	v_sub_f32_e32 v3, v11, v11
	v_cmp_lt_i32_e32 vcc, -1, v10
	s_brev_b32 s12, -2
	v_and_b32_e32 v1, 0x7fffffff, v3
	s_and_saveexec_b64 s[2:3], vcc
	s_xor_b64 s[2:3], exec, s[2:3]
; %bb.225:
	v_bfi_b32 v11, s12, v3, v11
	v_mov_b32_e32 v1, v10
; %bb.226:
	s_andn2_saveexec_b64 s[2:3], s[2:3]
; %bb.227:
	v_bfi_b32 v11, s12, v10, v11
; %bb.228:
	s_or_b64 exec, exec, s[2:3]
.LBB231_229:
	s_or_b64 exec, exec, s[0:1]
.LBB231_230:
	s_andn2_saveexec_b64 s[0:1], s[10:11]
	s_cbranch_execz .LBB231_232
; %bb.231:
	v_sub_f32_e32 v1, v11, v11
	v_div_scale_f32 v3, vcc, v1, v1, v1
	v_rcp_f32_e32 v5, v3
	s_nop 0
	v_fma_f32 v7, -v3, v5, 1.0
	v_fmac_f32_e32 v5, v7, v5
	v_mul_f32_e32 v7, v3, v5
	v_fma_f32 v11, -v3, v7, v3
	v_fmac_f32_e32 v7, v11, v5
	v_fma_f32 v3, -v3, v7, v3
	v_div_fmas_f32 v3, v3, v5, v7
	v_div_fixup_f32 v11, v3, v1, v1
	v_mov_b32_e32 v1, v10
.LBB231_232:
	s_or_b64 exec, exec, s[0:1]
.LBB231_233:
	s_or_b64 exec, exec, s[8:9]
.LBB231_234:
	s_or_b64 exec, exec, s[6:7]
	v_mov_b32_e32 v7, 0
	v_lshl_add_u64 v[20:21], s[4:5], 0, v[6:7]
	v_mov_b32_e32 v15, v9
	v_mov_b32_e32 v13, v19
	v_mov_b32_e32 v9, v17
	s_or_b64 s[24:25], s[24:25], exec
	global_store_dwordx2 v0, v[14:15], s[4:5]
	global_store_dwordx2 v2, v[12:13], s[4:5]
	global_store_dwordx2 v4, v[8:9], s[4:5]
	global_store_dword v6, v1, s[4:5]
	s_or_b64 exec, exec, s[26:27]
	s_and_saveexec_b64 s[0:1], s[24:25]
	s_cbranch_execnz .LBB231_370
.LBB231_235:
	s_endpgm
.LBB231_236:
	s_andn2_saveexec_b64 s[14:15], s[14:15]
	s_cbranch_execz .LBB231_238
.LBB231_237:
	v_sub_f32_e32 v1, v4, v2
	v_mul_f32_e32 v1, 0.5, v1
	s_mov_b32 s2, 0xf800000
	v_mul_f32_e32 v2, 0x4f800000, v1
	v_cmp_gt_f32_e32 vcc, s2, v1
	s_nop 1
	v_cndmask_b32_e32 v1, v1, v2, vcc
	v_sqrt_f32_e32 v2, v1
	s_nop 0
	v_add_u32_e32 v4, -1, v2
	v_fma_f32 v5, -v4, v2, v1
	v_cmp_ge_f32_e64 s[2:3], 0, v5
	v_add_u32_e32 v5, 1, v2
	s_nop 0
	v_cndmask_b32_e64 v4, v2, v4, s[2:3]
	v_fma_f32 v2, -v5, v2, v1
	v_cmp_lt_f32_e64 s[2:3], 0, v2
	s_nop 1
	v_cndmask_b32_e64 v2, v4, v5, s[2:3]
	v_mul_f32_e32 v4, 0x37800000, v2
	v_cndmask_b32_e32 v2, v2, v4, vcc
	v_mov_b32_e32 v4, 0x260
	v_cmp_class_f32_e32 vcc, v1, v4
	v_and_b32_e32 v4, 0x7fffffff, v3
	s_nop 0
	v_cndmask_b32_e32 v2, v2, v1, vcc
	v_add_f32_e32 v1, v2, v2
	v_div_scale_f32 v5, s[2:3], v1, v1, v4
	v_rcp_f32_e32 v7, v5
	v_div_scale_f32 v4, vcc, v4, v1, v4
	s_brev_b32 s2, -2
	v_fma_f32 v8, -v5, v7, 1.0
	v_fmac_f32_e32 v7, v8, v7
	v_mul_f32_e32 v8, v4, v7
	v_fma_f32 v9, -v5, v8, v4
	v_fmac_f32_e32 v8, v9, v7
	v_fma_f32 v4, -v5, v8, v4
	v_div_fmas_f32 v4, v4, v7, v8
	v_div_fixup_f32 v1, v4, v1, |v3|
	v_bfi_b32 v5, s2, v2, v3
.LBB231_238:
	s_or_b64 exec, exec, s[14:15]
                                        ; implicit-def: $vgpr3
                                        ; implicit-def: $vgpr4
	s_and_saveexec_b64 s[2:3], s[0:1]
	s_xor_b64 s[0:1], exec, s[2:3]
	s_cbranch_execz .LBB231_244
; %bb.239:
	v_mul_f32_e32 v2, 0.5, v1
	v_mul_f32_e32 v3, 0.5, v5
	v_cndmask_b32_e64 v4, v1, v2, s[12:13]
	v_cndmask_b32_e64 v3, v5, v3, s[12:13]
                                        ; implicit-def: $vgpr1
                                        ; implicit-def: $vgpr5
	s_andn2_saveexec_b64 s[0:1], s[0:1]
	s_cbranch_execnz .LBB231_245
	s_branch .LBB231_246
.LBB231_240:
	s_andn2_saveexec_b64 s[14:15], s[14:15]
	s_cbranch_execz .LBB231_242
.LBB231_241:
	v_sub_f32_e32 v1, v4, v2
	v_mul_f32_e32 v1, 0.5, v1
	s_mov_b32 s2, 0xf800000
	v_mul_f32_e32 v2, 0x4f800000, v1
	v_cmp_gt_f32_e32 vcc, s2, v1
	s_nop 1
	v_cndmask_b32_e32 v1, v1, v2, vcc
	v_sqrt_f32_e32 v2, v1
	s_nop 0
	v_add_u32_e32 v4, -1, v2
	v_fma_f32 v5, -v4, v2, v1
	v_cmp_ge_f32_e64 s[2:3], 0, v5
	v_add_u32_e32 v5, 1, v2
	s_nop 0
	v_cndmask_b32_e64 v4, v2, v4, s[2:3]
	v_fma_f32 v2, -v5, v2, v1
	v_cmp_lt_f32_e64 s[2:3], 0, v2
	s_nop 1
	v_cndmask_b32_e64 v2, v4, v5, s[2:3]
	v_mul_f32_e32 v4, 0x37800000, v2
	v_cndmask_b32_e32 v2, v2, v4, vcc
	v_mov_b32_e32 v4, 0x260
	v_cmp_class_f32_e32 vcc, v1, v4
	v_and_b32_e32 v4, 0x7fffffff, v3
	s_nop 0
	v_cndmask_b32_e32 v2, v2, v1, vcc
	v_add_f32_e32 v1, v2, v2
	v_div_scale_f32 v5, s[2:3], v1, v1, v4
	v_rcp_f32_e32 v7, v5
	v_div_scale_f32 v4, vcc, v4, v1, v4
	s_brev_b32 s2, -2
	v_fma_f32 v8, -v5, v7, 1.0
	v_fmac_f32_e32 v7, v8, v7
	v_mul_f32_e32 v8, v4, v7
	v_fma_f32 v9, -v5, v8, v4
	v_fmac_f32_e32 v8, v9, v7
	v_fma_f32 v4, -v5, v8, v4
	v_div_fmas_f32 v4, v4, v7, v8
	v_div_fixup_f32 v1, v4, v1, |v3|
	v_bfi_b32 v5, s2, v2, v3
.LBB231_242:
	s_or_b64 exec, exec, s[14:15]
                                        ; implicit-def: $vgpr3
                                        ; implicit-def: $vgpr4
	s_and_saveexec_b64 s[2:3], s[0:1]
	s_xor_b64 s[0:1], exec, s[2:3]
	s_cbranch_execz .LBB231_260
; %bb.243:
	v_mul_f32_e32 v2, 0.5, v1
	v_mul_f32_e32 v3, 0.5, v5
	v_cndmask_b32_e64 v4, v1, v2, s[12:13]
	v_cndmask_b32_e64 v3, v5, v3, s[12:13]
                                        ; implicit-def: $vgpr1
                                        ; implicit-def: $vgpr5
	s_andn2_saveexec_b64 s[0:1], s[0:1]
	s_cbranch_execnz .LBB231_261
	s_branch .LBB231_262
.LBB231_244:
	s_andn2_saveexec_b64 s[0:1], s[0:1]
.LBB231_245:
	v_add_f32_e32 v4, v1, v1
	v_add_f32_e32 v3, v5, v5
.LBB231_246:
	s_or_b64 exec, exec, s[0:1]
.LBB231_247:
	s_andn2_saveexec_b64 s[0:1], s[10:11]
	s_cbranch_execz .LBB231_253
; %bb.248:
	v_sub_f32_e32 v1, v3, v3
	v_cmp_lt_i32_e32 vcc, -1, v2
	s_brev_b32 s10, -2
	v_and_b32_e32 v4, 0x7fffffff, v1
	s_and_saveexec_b64 s[2:3], vcc
	s_xor_b64 s[2:3], exec, s[2:3]
; %bb.249:
	v_bfi_b32 v3, s10, v1, v3
	v_mov_b32_e32 v4, v2
; %bb.250:
	s_andn2_saveexec_b64 s[2:3], s[2:3]
; %bb.251:
	v_bfi_b32 v3, s10, v2, v3
; %bb.252:
	s_or_b64 exec, exec, s[2:3]
.LBB231_253:
	s_or_b64 exec, exec, s[0:1]
.LBB231_254:
	s_andn2_saveexec_b64 s[0:1], s[8:9]
	s_cbranch_execz .LBB231_256
; %bb.255:
	v_sub_f32_e32 v1, v3, v3
	v_div_scale_f32 v3, vcc, v1, v1, v1
	v_rcp_f32_e32 v4, v3
	s_nop 0
	v_fma_f32 v5, -v3, v4, 1.0
	v_fmac_f32_e32 v4, v5, v4
	v_mul_f32_e32 v5, v3, v4
	v_fma_f32 v7, -v3, v5, v3
	v_fmac_f32_e32 v5, v7, v4
	v_fma_f32 v3, -v3, v5, v3
	v_div_fmas_f32 v3, v3, v4, v5
	v_div_fixup_f32 v3, v3, v1, v1
	v_mov_b32_e32 v4, v2
.LBB231_256:
	s_or_b64 exec, exec, s[0:1]
.LBB231_257:
	s_or_b64 exec, exec, s[6:7]
.LBB231_258:
	s_or_b64 exec, exec, s[4:5]
	v_mov_b32_e32 v5, v3
	v_add_u32_e32 v6, 0x80, v6
	global_store_dwordx2 v0, v[4:5], s[16:17]
	s_or_b64 exec, exec, s[48:49]
	v_cmp_gt_i32_e32 vcc, s55, v6
	s_and_saveexec_b64 s[48:49], vcc
	s_cbranch_execnz .LBB231_16
.LBB231_259:
	s_or_b64 exec, exec, s[48:49]
	v_cmp_gt_i32_e32 vcc, s55, v6
	s_and_saveexec_b64 s[48:49], vcc
	s_cbranch_execnz .LBB231_275
	s_branch .LBB231_321
.LBB231_260:
	s_andn2_saveexec_b64 s[0:1], s[0:1]
.LBB231_261:
	v_add_f32_e32 v4, v1, v1
	v_add_f32_e32 v3, v5, v5
.LBB231_262:
	s_or_b64 exec, exec, s[0:1]
.LBB231_263:
	s_andn2_saveexec_b64 s[0:1], s[10:11]
	s_cbranch_execz .LBB231_269
; %bb.264:
	v_sub_f32_e32 v1, v3, v3
	v_cmp_lt_i32_e32 vcc, -1, v2
	s_brev_b32 s10, -2
	v_and_b32_e32 v4, 0x7fffffff, v1
	s_and_saveexec_b64 s[2:3], vcc
	s_xor_b64 s[2:3], exec, s[2:3]
; %bb.265:
	v_bfi_b32 v3, s10, v1, v3
	v_mov_b32_e32 v4, v2
; %bb.266:
	s_andn2_saveexec_b64 s[2:3], s[2:3]
; %bb.267:
	v_bfi_b32 v3, s10, v2, v3
; %bb.268:
	s_or_b64 exec, exec, s[2:3]
.LBB231_269:
	s_or_b64 exec, exec, s[0:1]
.LBB231_270:
	s_andn2_saveexec_b64 s[0:1], s[8:9]
	s_cbranch_execz .LBB231_272
; %bb.271:
	v_sub_f32_e32 v1, v3, v3
	v_div_scale_f32 v3, vcc, v1, v1, v1
	v_rcp_f32_e32 v4, v3
	s_nop 0
	v_fma_f32 v5, -v3, v4, 1.0
	v_fmac_f32_e32 v4, v5, v4
	v_mul_f32_e32 v5, v3, v4
	v_fma_f32 v7, -v3, v5, v3
	v_fmac_f32_e32 v5, v7, v4
	v_fma_f32 v3, -v3, v5, v3
	v_div_fmas_f32 v3, v3, v4, v5
	v_div_fixup_f32 v3, v3, v1, v1
	v_mov_b32_e32 v4, v2
.LBB231_272:
	s_or_b64 exec, exec, s[0:1]
.LBB231_273:
	s_or_b64 exec, exec, s[6:7]
.LBB231_274:
	s_or_b64 exec, exec, s[4:5]
	v_mov_b32_e32 v5, v3
	v_add_u32_e32 v6, 0x80, v6
	global_store_dwordx2 v0, v[4:5], s[16:17]
	s_or_b64 exec, exec, s[48:49]
	v_cmp_gt_i32_e32 vcc, s55, v6
	s_and_saveexec_b64 s[48:49], vcc
	s_cbranch_execz .LBB231_321
.LBB231_275:
	s_andn2_b64 vcc, exec, s[36:37]
	s_cbranch_vccnz .LBB231_281
; %bb.276:
	s_andn2_b64 vcc, exec, s[46:47]
	s_cbranch_vccnz .LBB231_282
; %bb.277:
	s_add_i32 s58, s56, 1
	s_cmp_eq_u32 s54, 2
	s_cbranch_scc1 .LBB231_283
; %bb.278:
	s_and_b32 s57, s58, 28
	s_mov_b32 s59, 0
	v_mov_b32_e32 v0, 0
	v_mov_b32_e32 v2, 0
	s_mov_b64 s[50:51], s[34:35]
	s_mov_b64 s[52:53], s[44:45]
	v_mov_b32_e32 v4, v6
.LBB231_279:                            ; =>This Inner Loop Header: Depth=1
	s_load_dwordx8 s[8:15], s[50:51], 0x4
	s_load_dwordx4 s[28:31], s[50:51], 0x24
	s_load_dwordx8 s[0:7], s[52:53], 0x0
	s_add_u32 s50, s50, 48
	s_addc_u32 s51, s51, 0
	s_waitcnt lgkmcnt(0)
	v_mul_hi_u32 v1, s9, v4
	v_add_u32_e32 v1, v4, v1
	v_lshrrev_b32_e32 v1, s10, v1
	v_mul_lo_u32 v3, v1, s8
	v_mul_hi_u32 v5, s12, v1
	v_sub_u32_e32 v3, v4, v3
	v_add_u32_e32 v4, v1, v5
	v_lshrrev_b32_e32 v4, s13, v4
	v_mul_lo_u32 v7, v4, s11
	v_mul_hi_u32 v8, s15, v4
	v_sub_u32_e32 v1, v1, v7
	v_add_u32_e32 v7, v4, v8
	v_mul_lo_u32 v5, v3, s1
	v_mul_lo_u32 v3, v3, s0
	;; [unrolled: 1-line block ×4, first 2 shown]
	v_lshrrev_b32_e32 v7, s28, v7
	v_add3_u32 v0, v3, v0, v1
	v_mul_hi_u32 v3, s30, v7
	v_add3_u32 v1, v5, v2, v8
	v_mul_lo_u32 v2, v7, s14
	v_add_u32_e32 v3, v7, v3
	v_sub_u32_e32 v2, v4, v2
	v_lshrrev_b32_e32 v4, s31, v3
	s_add_i32 s59, s59, 4
	v_mul_lo_u32 v3, v4, s29
	s_add_u32 s52, s52, 32
	v_sub_u32_e32 v3, v7, v3
	s_addc_u32 s53, s53, 0
	v_mul_lo_u32 v5, v2, s4
	v_mul_lo_u32 v2, v2, s5
	;; [unrolled: 1-line block ×4, first 2 shown]
	s_cmp_eq_u32 s57, s59
	v_add3_u32 v2, v2, v1, v3
	v_add3_u32 v0, v5, v0, v7
	s_cbranch_scc0 .LBB231_279
; %bb.280:
	v_mov_b32_e32 v1, v2
	s_branch .LBB231_284
.LBB231_281:
                                        ; implicit-def: $vgpr2
                                        ; implicit-def: $vgpr0
	s_branch .LBB231_288
.LBB231_282:
	v_mov_b32_e32 v2, 0
	v_mov_b32_e32 v0, 0
	s_branch .LBB231_287
.LBB231_283:
	v_mov_b32_e32 v0, 0
	s_mov_b32 s57, 0
	v_mov_b32_e32 v1, v0
                                        ; implicit-def: $vgpr2
	v_mov_b32_e32 v4, v6
.LBB231_284:
	s_and_b32 s4, s58, 3
	s_cmp_eq_u32 s4, 0
	s_cbranch_scc1 .LBB231_287
; %bb.285:
	s_lshl_b32 s0, s57, 3
	s_add_u32 s0, s34, s0
	s_addc_u32 s1, s35, 0
	s_add_u32 s0, s0, 0xc4
	s_addc_u32 s1, s1, 0
	s_mul_i32 s2, s57, 12
	s_add_u32 s2, s34, s2
	s_addc_u32 s3, s35, 0
.LBB231_286:                            ; =>This Inner Loop Header: Depth=1
	s_load_dwordx2 s[6:7], s[2:3], 0x4
	s_load_dword s5, s[2:3], 0xc
	s_load_dwordx2 s[8:9], s[0:1], 0x0
	v_mov_b32_e32 v2, v1
	s_add_u32 s2, s2, 12
	s_waitcnt lgkmcnt(0)
	v_mul_hi_u32 v1, s7, v4
	v_add_u32_e32 v1, v4, v1
	v_lshrrev_b32_e32 v1, s5, v1
	s_addc_u32 s3, s3, 0
	v_mul_lo_u32 v3, v1, s6
	s_add_u32 s0, s0, 8
	v_sub_u32_e32 v5, v4, v3
	s_addc_u32 s1, s1, 0
	s_add_i32 s4, s4, -1
	v_mov_b32_e32 v4, v1
	v_mad_u64_u32 v[2:3], s[6:7], v5, s9, v[2:3]
	v_mad_u64_u32 v[0:1], s[6:7], v5, s8, v[0:1]
	s_cmp_lg_u32 s4, 0
	v_mov_b32_e32 v1, v2
	s_cbranch_scc1 .LBB231_286
.LBB231_287:
	s_cbranch_execnz .LBB231_290
.LBB231_288:
	s_waitcnt lgkmcnt(0)
	v_mul_hi_u32 v0, s25, v6
	v_add_u32_e32 v0, v6, v0
	v_lshrrev_b32_e32 v1, s26, v0
	v_mul_lo_u32 v0, v1, s24
	v_sub_u32_e32 v0, v6, v0
	v_mul_lo_u32 v2, v0, s21
	s_andn2_b64 vcc, exec, s[42:43]
	v_mul_lo_u32 v0, v0, s20
	s_cbranch_vccnz .LBB231_290
; %bb.289:
	v_mul_hi_u32 v3, s40, v1
	v_add_u32_e32 v3, v1, v3
	v_lshrrev_b32_e32 v3, s41, v3
	v_mul_lo_u32 v3, v3, s27
	v_sub_u32_e32 v3, v1, v3
	v_mad_u64_u32 v[0:1], s[0:1], v3, s22, v[0:1]
	v_mad_u64_u32 v[2:3], s[0:1], v3, s23, v[2:3]
.LBB231_290:
	s_waitcnt lgkmcnt(0)
	global_load_dwordx2 v[2:3], v2, s[18:19]
	v_mov_b32_e32 v4, 0
	s_waitcnt vmcnt(0)
	v_cmp_neq_f32_e32 vcc, 0, v2
	v_cmp_neq_f32_e64 s[0:1], 0, v3
	s_or_b64 s[0:1], vcc, s[0:1]
	s_and_saveexec_b64 s[4:5], s[0:1]
	s_cbranch_execz .LBB231_320
; %bb.291:
	v_mov_b32_e32 v4, 0x7f800000
	v_cmp_neq_f32_e64 s[0:1], |v3|, v4
	s_and_saveexec_b64 s[6:7], s[0:1]
	s_cbranch_execz .LBB231_319
; %bb.292:
	v_cmp_o_f32_e32 vcc, v2, v2
                                        ; implicit-def: $vgpr4
	s_and_saveexec_b64 s[0:1], vcc
	s_xor_b64 s[8:9], exec, s[0:1]
	s_cbranch_execz .LBB231_316
; %bb.293:
	s_mov_b32 s0, 0x7f800000
	v_cmp_neq_f32_e64 s[0:1], |v2|, s0
                                        ; implicit-def: $vgpr4
	s_and_saveexec_b64 s[2:3], s[0:1]
	s_xor_b64 s[10:11], exec, s[2:3]
	s_cbranch_execz .LBB231_309
; %bb.294:
	v_max_f32_e64 v1, |v3|, |v3|
	v_max_f32_e64 v4, |v2|, |v2|
	v_max_f32_e32 v1, v4, v1
	s_mov_b32 s0, 0x7ed413cb
	v_cmp_nle_f32_e64 s[0:1], s0, v1
                                        ; implicit-def: $sgpr12_sgpr13
	s_and_saveexec_b64 s[2:3], s[0:1]
	s_xor_b64 s[2:3], exec, s[2:3]
	s_cbranch_execz .LBB231_298
; %bb.295:
	s_mov_b32 s14, 0x1000000
	v_cmp_le_f32_e64 s[12:13], |v2|, s14
	v_cmp_le_f32_e64 s[14:15], |v3|, s14
	s_and_b64 s[28:29], s[12:13], s[14:15]
	s_mov_b64 s[12:13], 0
	s_and_saveexec_b64 s[14:15], s[28:29]
; %bb.296:
	v_mov_b32_e32 v4, v3
	v_mov_b32_e32 v5, v2
	v_pk_mul_f32 v[4:5], v[4:5], 4.0 op_sel_hi:[1,0]
	s_mov_b64 s[12:13], exec
	v_mov_b32_e32 v2, v5
	v_mov_b32_e32 v3, v4
; %bb.297:
	s_or_b64 exec, exec, s[14:15]
.LBB231_298:
	s_andn2_saveexec_b64 s[2:3], s[2:3]
; %bb.299:
	v_mov_b32_e32 v4, v3
	v_mov_b32_e32 v5, v2
	s_mov_b32 s14, 0x3e800000
	v_pk_mul_f32 v[4:5], v[4:5], s[14:15] op_sel_hi:[1,0]
	s_andn2_b64 s[12:13], s[12:13], exec
	v_mov_b32_e32 v3, v4
	v_mov_b32_e32 v2, v5
; %bb.300:
	s_or_b64 exec, exec, s[2:3]
	v_max_f32_e64 v1, |v3|, |v3|
	v_max_f32_e64 v4, |v2|, |v2|
	v_max_f32_e32 v1, v4, v1
	v_cvt_f64_f32_e32 v[4:5], v1
	v_frexp_exp_i32_f64_e32 v4, v[4:5]
	v_sub_u32_e32 v5, 0, v4
	v_ldexp_f32 v7, |v2|, v5
	v_ldexp_f32 v5, |v3|, v5
	v_mul_f32_e32 v5, v5, v5
	v_fmac_f32_e32 v5, v7, v7
	v_sqrt_f32_e32 v5, v5
	s_mov_b32 s2, 0x7f800000
	v_cmp_neq_f32_e64 s[2:3], s2, v1
	v_cmp_le_f32_e32 vcc, 0, v2
	v_ldexp_f32 v4, v5, v4
	v_mov_b32_e32 v5, 0x7f800000
	v_cndmask_b32_e64 v4, v5, v4, s[2:3]
                                        ; implicit-def: $vgpr5
                                        ; implicit-def: $vgpr1
	s_and_saveexec_b64 s[2:3], vcc
	s_xor_b64 s[14:15], exec, s[2:3]
	s_cbranch_execz .LBB231_302
; %bb.301:
	v_add_f32_e32 v1, v2, v4
	v_mul_f32_e32 v1, 0.5, v1
	s_mov_b32 s2, 0xf800000
	v_mul_f32_e32 v2, 0x4f800000, v1
	v_cmp_gt_f32_e32 vcc, s2, v1
	s_nop 1
	v_cndmask_b32_e32 v1, v1, v2, vcc
	v_sqrt_f32_e32 v2, v1
	s_nop 0
	v_add_u32_e32 v4, -1, v2
	v_fma_f32 v5, -v4, v2, v1
	v_cmp_ge_f32_e64 s[2:3], 0, v5
	v_add_u32_e32 v5, 1, v2
	s_nop 0
	v_cndmask_b32_e64 v4, v2, v4, s[2:3]
	v_fma_f32 v2, -v5, v2, v1
	v_cmp_lt_f32_e64 s[2:3], 0, v2
	s_nop 1
	v_cndmask_b32_e64 v2, v4, v5, s[2:3]
	v_mul_f32_e32 v4, 0x37800000, v2
	v_cndmask_b32_e32 v2, v2, v4, vcc
	v_mov_b32_e32 v4, 0x260
	v_cmp_class_f32_e32 vcc, v1, v4
	s_nop 1
	v_cndmask_b32_e32 v1, v2, v1, vcc
	v_add_f32_e32 v2, v1, v1
	v_div_scale_f32 v4, s[2:3], v2, v2, v3
	v_rcp_f32_e32 v5, v4
	s_nop 0
	v_fma_f32 v7, -v4, v5, 1.0
	v_fmac_f32_e32 v5, v7, v5
	v_div_scale_f32 v7, vcc, v3, v2, v3
	v_mul_f32_e32 v8, v7, v5
	v_fma_f32 v9, -v4, v8, v7
	v_fmac_f32_e32 v8, v9, v5
	v_fma_f32 v4, -v4, v8, v7
	v_div_fmas_f32 v4, v4, v5, v8
	v_div_fixup_f32 v5, v4, v2, v3
                                        ; implicit-def: $vgpr4
                                        ; implicit-def: $vgpr2
	s_andn2_saveexec_b64 s[14:15], s[14:15]
	s_cbranch_execz .LBB231_304
	s_branch .LBB231_303
.LBB231_302:
	s_andn2_saveexec_b64 s[14:15], s[14:15]
	s_cbranch_execz .LBB231_304
.LBB231_303:
	v_sub_f32_e32 v1, v4, v2
	v_mul_f32_e32 v1, 0.5, v1
	s_mov_b32 s2, 0xf800000
	v_mul_f32_e32 v2, 0x4f800000, v1
	v_cmp_gt_f32_e32 vcc, s2, v1
	s_nop 1
	v_cndmask_b32_e32 v1, v1, v2, vcc
	v_sqrt_f32_e32 v2, v1
	s_nop 0
	v_add_u32_e32 v4, -1, v2
	v_fma_f32 v5, -v4, v2, v1
	v_cmp_ge_f32_e64 s[2:3], 0, v5
	v_add_u32_e32 v5, 1, v2
	s_nop 0
	v_cndmask_b32_e64 v4, v2, v4, s[2:3]
	v_fma_f32 v2, -v5, v2, v1
	v_cmp_lt_f32_e64 s[2:3], 0, v2
	s_nop 1
	v_cndmask_b32_e64 v2, v4, v5, s[2:3]
	v_mul_f32_e32 v4, 0x37800000, v2
	v_cndmask_b32_e32 v2, v2, v4, vcc
	v_mov_b32_e32 v4, 0x260
	v_cmp_class_f32_e32 vcc, v1, v4
	v_and_b32_e32 v4, 0x7fffffff, v3
	s_nop 0
	v_cndmask_b32_e32 v2, v2, v1, vcc
	v_add_f32_e32 v1, v2, v2
	v_div_scale_f32 v5, s[2:3], v1, v1, v4
	v_rcp_f32_e32 v7, v5
	v_div_scale_f32 v4, vcc, v4, v1, v4
	s_brev_b32 s2, -2
	v_fma_f32 v8, -v5, v7, 1.0
	v_fmac_f32_e32 v7, v8, v7
	v_mul_f32_e32 v8, v4, v7
	v_fma_f32 v9, -v5, v8, v4
	v_fmac_f32_e32 v8, v9, v7
	v_fma_f32 v4, -v5, v8, v4
	v_div_fmas_f32 v4, v4, v7, v8
	v_div_fixup_f32 v1, v4, v1, |v3|
	v_bfi_b32 v5, s2, v2, v3
.LBB231_304:
	s_or_b64 exec, exec, s[14:15]
                                        ; implicit-def: $vgpr3
                                        ; implicit-def: $vgpr4
	s_and_saveexec_b64 s[2:3], s[0:1]
	s_xor_b64 s[0:1], exec, s[2:3]
	s_cbranch_execz .LBB231_306
; %bb.305:
	v_mul_f32_e32 v2, 0.5, v1
	v_mul_f32_e32 v3, 0.5, v5
	v_cndmask_b32_e64 v4, v1, v2, s[12:13]
	v_cndmask_b32_e64 v3, v5, v3, s[12:13]
                                        ; implicit-def: $vgpr1
                                        ; implicit-def: $vgpr5
	s_andn2_saveexec_b64 s[0:1], s[0:1]
	s_cbranch_execnz .LBB231_307
	s_branch .LBB231_308
.LBB231_306:
	s_andn2_saveexec_b64 s[0:1], s[0:1]
.LBB231_307:
	v_add_f32_e32 v4, v1, v1
	v_add_f32_e32 v3, v5, v5
.LBB231_308:
	s_or_b64 exec, exec, s[0:1]
.LBB231_309:
	s_andn2_saveexec_b64 s[0:1], s[10:11]
	s_cbranch_execz .LBB231_315
; %bb.310:
	v_sub_f32_e32 v1, v3, v3
	v_cmp_lt_i32_e32 vcc, -1, v2
	s_brev_b32 s10, -2
	v_and_b32_e32 v4, 0x7fffffff, v1
	s_and_saveexec_b64 s[2:3], vcc
	s_xor_b64 s[2:3], exec, s[2:3]
; %bb.311:
	v_bfi_b32 v3, s10, v1, v3
	v_mov_b32_e32 v4, v2
; %bb.312:
	s_andn2_saveexec_b64 s[2:3], s[2:3]
; %bb.313:
	v_bfi_b32 v3, s10, v2, v3
; %bb.314:
	s_or_b64 exec, exec, s[2:3]
.LBB231_315:
	s_or_b64 exec, exec, s[0:1]
.LBB231_316:
	s_andn2_saveexec_b64 s[0:1], s[8:9]
	s_cbranch_execz .LBB231_318
; %bb.317:
	v_sub_f32_e32 v1, v3, v3
	v_div_scale_f32 v3, vcc, v1, v1, v1
	v_rcp_f32_e32 v4, v3
	s_nop 0
	v_fma_f32 v5, -v3, v4, 1.0
	v_fmac_f32_e32 v4, v5, v4
	v_mul_f32_e32 v5, v3, v4
	v_fma_f32 v7, -v3, v5, v3
	v_fmac_f32_e32 v5, v7, v4
	v_fma_f32 v3, -v3, v5, v3
	v_div_fmas_f32 v3, v3, v4, v5
	v_div_fixup_f32 v3, v3, v1, v1
	v_mov_b32_e32 v4, v2
.LBB231_318:
	s_or_b64 exec, exec, s[0:1]
.LBB231_319:
	s_or_b64 exec, exec, s[6:7]
.LBB231_320:
	s_or_b64 exec, exec, s[4:5]
	v_mov_b32_e32 v5, v3
	v_add_u32_e32 v6, 0x80, v6
	global_store_dwordx2 v0, v[4:5], s[16:17]
.LBB231_321:
	s_or_b64 exec, exec, s[48:49]
	v_cmp_gt_i32_e32 vcc, s55, v6
	s_mov_b64 s[0:1], 0
                                        ; implicit-def: $vgpr11
                                        ; implicit-def: $vgpr20_vgpr21
	s_and_saveexec_b64 s[48:49], vcc
	s_cbranch_execz .LBB231_368
; %bb.322:
	s_andn2_b64 vcc, exec, s[36:37]
	s_cbranch_vccnz .LBB231_328
; %bb.323:
	s_andn2_b64 vcc, exec, s[46:47]
	s_cbranch_vccnz .LBB231_329
; %bb.324:
	s_add_i32 s56, s56, 1
	s_cmp_eq_u32 s54, 2
	s_cbranch_scc1 .LBB231_330
; %bb.325:
	s_and_b32 s50, s56, 28
	s_mov_b32 s51, 0
	v_mov_b32_e32 v0, 0
	v_mov_b32_e32 v2, 0
	s_mov_b64 s[46:47], s[34:35]
	v_mov_b32_e32 v4, v6
.LBB231_326:                            ; =>This Inner Loop Header: Depth=1
	s_load_dwordx8 s[8:15], s[46:47], 0x4
	s_load_dwordx4 s[28:31], s[46:47], 0x24
	s_load_dwordx8 s[0:7], s[44:45], 0x0
	s_add_u32 s46, s46, 48
	s_addc_u32 s47, s47, 0
	s_waitcnt lgkmcnt(0)
	v_mul_hi_u32 v1, s9, v4
	v_add_u32_e32 v1, v4, v1
	v_lshrrev_b32_e32 v1, s10, v1
	v_mul_lo_u32 v3, v1, s8
	v_mul_hi_u32 v5, s12, v1
	v_sub_u32_e32 v3, v4, v3
	v_add_u32_e32 v4, v1, v5
	v_lshrrev_b32_e32 v4, s13, v4
	v_mul_lo_u32 v7, v4, s11
	v_mul_hi_u32 v8, s15, v4
	v_sub_u32_e32 v1, v1, v7
	v_add_u32_e32 v7, v4, v8
	v_mul_lo_u32 v5, v3, s1
	v_mul_lo_u32 v3, v3, s0
	;; [unrolled: 1-line block ×4, first 2 shown]
	v_lshrrev_b32_e32 v7, s28, v7
	v_add3_u32 v0, v3, v0, v1
	v_mul_hi_u32 v3, s30, v7
	v_add3_u32 v1, v5, v2, v8
	v_mul_lo_u32 v2, v7, s14
	v_add_u32_e32 v3, v7, v3
	v_sub_u32_e32 v2, v4, v2
	v_lshrrev_b32_e32 v4, s31, v3
	s_add_i32 s51, s51, 4
	v_mul_lo_u32 v3, v4, s29
	s_add_u32 s44, s44, 32
	v_sub_u32_e32 v3, v7, v3
	s_addc_u32 s45, s45, 0
	v_mul_lo_u32 v5, v2, s4
	v_mul_lo_u32 v2, v2, s5
	;; [unrolled: 1-line block ×4, first 2 shown]
	s_cmp_eq_u32 s50, s51
	v_add3_u32 v2, v2, v1, v3
	v_add3_u32 v0, v5, v0, v7
	s_cbranch_scc0 .LBB231_326
; %bb.327:
	v_mov_b32_e32 v1, v2
	s_branch .LBB231_331
.LBB231_328:
                                        ; implicit-def: $vgpr2
                                        ; implicit-def: $vgpr0
	s_branch .LBB231_335
.LBB231_329:
	v_mov_b32_e32 v2, 0
	v_mov_b32_e32 v0, 0
	s_branch .LBB231_334
.LBB231_330:
	v_mov_b32_e32 v0, 0
	s_mov_b32 s50, 0
	v_mov_b32_e32 v1, v0
                                        ; implicit-def: $vgpr2
	v_mov_b32_e32 v4, v6
.LBB231_331:
	s_and_b32 s4, s56, 3
	s_cmp_eq_u32 s4, 0
	s_cbranch_scc1 .LBB231_334
; %bb.332:
	s_lshl_b32 s0, s50, 3
	s_add_u32 s0, s34, s0
	s_addc_u32 s1, s35, 0
	s_add_u32 s0, s0, 0xc4
	s_addc_u32 s1, s1, 0
	s_mul_i32 s2, s50, 12
	s_add_u32 s2, s34, s2
	s_addc_u32 s3, s35, 0
.LBB231_333:                            ; =>This Inner Loop Header: Depth=1
	s_load_dwordx2 s[6:7], s[2:3], 0x4
	s_load_dword s5, s[2:3], 0xc
	s_load_dwordx2 s[8:9], s[0:1], 0x0
	v_mov_b32_e32 v2, v1
	s_add_u32 s2, s2, 12
	s_waitcnt lgkmcnt(0)
	v_mul_hi_u32 v1, s7, v4
	v_add_u32_e32 v1, v4, v1
	v_lshrrev_b32_e32 v1, s5, v1
	s_addc_u32 s3, s3, 0
	v_mul_lo_u32 v3, v1, s6
	s_add_u32 s0, s0, 8
	v_sub_u32_e32 v5, v4, v3
	s_addc_u32 s1, s1, 0
	s_add_i32 s4, s4, -1
	v_mov_b32_e32 v4, v1
	v_mad_u64_u32 v[2:3], s[6:7], v5, s9, v[2:3]
	v_mad_u64_u32 v[0:1], s[6:7], v5, s8, v[0:1]
	s_cmp_lg_u32 s4, 0
	v_mov_b32_e32 v1, v2
	s_cbranch_scc1 .LBB231_333
.LBB231_334:
	s_cbranch_execnz .LBB231_337
.LBB231_335:
	s_waitcnt lgkmcnt(0)
	v_mul_hi_u32 v0, s25, v6
	v_add_u32_e32 v0, v6, v0
	v_lshrrev_b32_e32 v1, s26, v0
	v_mul_lo_u32 v0, v1, s24
	v_sub_u32_e32 v0, v6, v0
	v_mul_lo_u32 v2, v0, s21
	s_andn2_b64 vcc, exec, s[42:43]
	v_mul_lo_u32 v0, v0, s20
	s_cbranch_vccnz .LBB231_337
; %bb.336:
	v_mul_hi_u32 v3, s40, v1
	v_add_u32_e32 v3, v1, v3
	v_lshrrev_b32_e32 v3, s41, v3
	v_mul_lo_u32 v3, v3, s27
	v_sub_u32_e32 v3, v1, v3
	v_mad_u64_u32 v[0:1], s[0:1], v3, s22, v[0:1]
	v_mad_u64_u32 v[2:3], s[0:1], v3, s23, v[2:3]
.LBB231_337:
	s_waitcnt lgkmcnt(0)
	global_load_dwordx2 v[10:11], v2, s[18:19]
	v_mov_b32_e32 v1, 0
	v_mov_b32_e32 v2, 0
	s_waitcnt vmcnt(0)
	v_cmp_neq_f32_e32 vcc, 0, v10
	v_cmp_neq_f32_e64 s[0:1], 0, v11
	s_or_b64 s[0:1], vcc, s[0:1]
	s_and_saveexec_b64 s[4:5], s[0:1]
	s_cbranch_execz .LBB231_367
; %bb.338:
	v_mov_b32_e32 v2, 0x7f800000
	v_cmp_neq_f32_e64 s[0:1], |v11|, v2
	s_and_saveexec_b64 s[6:7], s[0:1]
	s_cbranch_execz .LBB231_366
; %bb.339:
	v_cmp_o_f32_e32 vcc, v10, v10
                                        ; implicit-def: $vgpr2
	s_and_saveexec_b64 s[0:1], vcc
	s_xor_b64 s[8:9], exec, s[0:1]
	s_cbranch_execz .LBB231_363
; %bb.340:
	s_mov_b32 s0, 0x7f800000
	v_cmp_neq_f32_e64 s[0:1], |v10|, s0
                                        ; implicit-def: $vgpr2
	s_and_saveexec_b64 s[2:3], s[0:1]
	s_xor_b64 s[10:11], exec, s[2:3]
	s_cbranch_execz .LBB231_356
; %bb.341:
	v_max_f32_e64 v2, |v11|, |v11|
	v_max_f32_e64 v3, |v10|, |v10|
	v_max_f32_e32 v2, v3, v2
	s_mov_b32 s0, 0x7ed413cb
	v_cmp_nle_f32_e64 s[0:1], s0, v2
                                        ; implicit-def: $sgpr12_sgpr13
	s_and_saveexec_b64 s[2:3], s[0:1]
	s_xor_b64 s[2:3], exec, s[2:3]
	s_cbranch_execz .LBB231_345
; %bb.342:
	s_mov_b32 s14, 0x1000000
	v_cmp_le_f32_e64 s[12:13], |v10|, s14
	v_cmp_le_f32_e64 s[14:15], |v11|, s14
	s_and_b64 s[18:19], s[12:13], s[14:15]
	s_mov_b64 s[12:13], 0
	s_and_saveexec_b64 s[14:15], s[18:19]
; %bb.343:
	v_mov_b32_e32 v2, v11
	v_mov_b32_e32 v3, v10
	v_pk_mul_f32 v[2:3], v[2:3], 4.0 op_sel_hi:[1,0]
	s_mov_b64 s[12:13], exec
	v_mov_b32_e32 v10, v3
	v_mov_b32_e32 v11, v2
; %bb.344:
	s_or_b64 exec, exec, s[14:15]
.LBB231_345:
	s_andn2_saveexec_b64 s[2:3], s[2:3]
; %bb.346:
	v_mov_b32_e32 v2, v11
	v_mov_b32_e32 v3, v10
	s_mov_b32 s14, 0x3e800000
	v_pk_mul_f32 v[2:3], v[2:3], s[14:15] op_sel_hi:[1,0]
	s_andn2_b64 s[12:13], s[12:13], exec
	v_mov_b32_e32 v11, v2
	v_mov_b32_e32 v10, v3
; %bb.347:
	s_or_b64 exec, exec, s[2:3]
	v_max_f32_e64 v2, |v11|, |v11|
	v_max_f32_e64 v3, |v10|, |v10|
	v_max_f32_e32 v4, v3, v2
	v_cvt_f64_f32_e32 v[2:3], v4
	v_frexp_exp_i32_f64_e32 v2, v[2:3]
	v_sub_u32_e32 v3, 0, v2
	v_ldexp_f32 v5, |v10|, v3
	v_ldexp_f32 v3, |v11|, v3
	v_mul_f32_e32 v3, v3, v3
	v_fmac_f32_e32 v3, v5, v5
	v_sqrt_f32_e32 v3, v3
	s_mov_b32 s2, 0x7f800000
	v_cmp_neq_f32_e64 s[2:3], s2, v4
	v_cmp_le_f32_e32 vcc, 0, v10
	v_ldexp_f32 v2, v3, v2
	v_mov_b32_e32 v3, 0x7f800000
	v_cndmask_b32_e64 v2, v3, v2, s[2:3]
                                        ; implicit-def: $vgpr4
                                        ; implicit-def: $vgpr3
	s_and_saveexec_b64 s[2:3], vcc
	s_xor_b64 s[14:15], exec, s[2:3]
	s_cbranch_execz .LBB231_349
; %bb.348:
	v_add_f32_e32 v2, v10, v2
	v_mul_f32_e32 v2, 0.5, v2
	s_mov_b32 s2, 0xf800000
	v_mul_f32_e32 v3, 0x4f800000, v2
	v_cmp_gt_f32_e32 vcc, s2, v2
	s_nop 1
	v_cndmask_b32_e32 v2, v2, v3, vcc
	v_sqrt_f32_e32 v3, v2
	s_nop 0
	v_add_u32_e32 v4, -1, v3
	v_fma_f32 v5, -v4, v3, v2
	v_cmp_ge_f32_e64 s[2:3], 0, v5
	v_add_u32_e32 v5, 1, v3
	s_nop 0
	v_cndmask_b32_e64 v4, v3, v4, s[2:3]
	v_fma_f32 v3, -v5, v3, v2
	v_cmp_lt_f32_e64 s[2:3], 0, v3
	s_nop 1
	v_cndmask_b32_e64 v3, v4, v5, s[2:3]
	v_mul_f32_e32 v4, 0x37800000, v3
	v_cndmask_b32_e32 v3, v3, v4, vcc
	v_mov_b32_e32 v4, 0x260
	v_cmp_class_f32_e32 vcc, v2, v4
	s_nop 1
	v_cndmask_b32_e32 v3, v3, v2, vcc
	v_add_f32_e32 v2, v3, v3
	v_div_scale_f32 v4, s[2:3], v2, v2, v11
	v_rcp_f32_e32 v5, v4
	s_nop 0
	v_fma_f32 v6, -v4, v5, 1.0
	v_fmac_f32_e32 v5, v6, v5
	v_div_scale_f32 v6, vcc, v11, v2, v11
	v_mul_f32_e32 v7, v6, v5
	v_fma_f32 v8, -v4, v7, v6
	v_fmac_f32_e32 v7, v8, v5
	v_fma_f32 v4, -v4, v7, v6
	v_div_fmas_f32 v4, v4, v5, v7
	v_div_fixup_f32 v4, v4, v2, v11
                                        ; implicit-def: $vgpr2
                                        ; implicit-def: $vgpr10
	s_andn2_saveexec_b64 s[14:15], s[14:15]
	s_cbranch_execz .LBB231_351
	s_branch .LBB231_350
.LBB231_349:
	s_andn2_saveexec_b64 s[14:15], s[14:15]
	s_cbranch_execz .LBB231_351
.LBB231_350:
	v_sub_f32_e32 v2, v2, v10
	v_mul_f32_e32 v2, 0.5, v2
	s_mov_b32 s2, 0xf800000
	v_mul_f32_e32 v3, 0x4f800000, v2
	v_cmp_gt_f32_e32 vcc, s2, v2
	s_nop 1
	v_cndmask_b32_e32 v2, v2, v3, vcc
	v_sqrt_f32_e32 v3, v2
	s_nop 0
	v_add_u32_e32 v4, -1, v3
	v_fma_f32 v5, -v4, v3, v2
	v_cmp_ge_f32_e64 s[2:3], 0, v5
	v_add_u32_e32 v5, 1, v3
	s_nop 0
	v_cndmask_b32_e64 v4, v3, v4, s[2:3]
	v_fma_f32 v3, -v5, v3, v2
	v_cmp_lt_f32_e64 s[2:3], 0, v3
	s_nop 1
	v_cndmask_b32_e64 v3, v4, v5, s[2:3]
	v_mul_f32_e32 v4, 0x37800000, v3
	v_cndmask_b32_e32 v3, v3, v4, vcc
	v_mov_b32_e32 v4, 0x260
	v_cmp_class_f32_e32 vcc, v2, v4
	v_and_b32_e32 v4, 0x7fffffff, v11
	s_nop 0
	v_cndmask_b32_e32 v2, v3, v2, vcc
	v_add_f32_e32 v3, v2, v2
	v_div_scale_f32 v5, s[2:3], v3, v3, v4
	v_rcp_f32_e32 v6, v5
	v_div_scale_f32 v4, vcc, v4, v3, v4
	s_brev_b32 s2, -2
	v_fma_f32 v7, -v5, v6, 1.0
	v_fmac_f32_e32 v6, v7, v6
	v_mul_f32_e32 v7, v4, v6
	v_fma_f32 v8, -v5, v7, v4
	v_fmac_f32_e32 v7, v8, v6
	v_fma_f32 v4, -v5, v7, v4
	v_div_fmas_f32 v4, v4, v6, v7
	v_div_fixup_f32 v3, v4, v3, |v11|
	v_bfi_b32 v4, s2, v2, v11
.LBB231_351:
	s_or_b64 exec, exec, s[14:15]
                                        ; implicit-def: $vgpr11
                                        ; implicit-def: $vgpr2
	s_and_saveexec_b64 s[2:3], s[0:1]
	s_xor_b64 s[0:1], exec, s[2:3]
	s_cbranch_execz .LBB231_353
; %bb.352:
	v_mul_f32_e32 v2, 0.5, v3
	v_mul_f32_e32 v5, 0.5, v4
	v_cndmask_b32_e64 v2, v3, v2, s[12:13]
	v_cndmask_b32_e64 v11, v4, v5, s[12:13]
                                        ; implicit-def: $vgpr3
                                        ; implicit-def: $vgpr4
	s_andn2_saveexec_b64 s[0:1], s[0:1]
	s_cbranch_execnz .LBB231_354
	s_branch .LBB231_355
.LBB231_353:
	s_andn2_saveexec_b64 s[0:1], s[0:1]
.LBB231_354:
	v_add_f32_e32 v2, v3, v3
	v_add_f32_e32 v11, v4, v4
.LBB231_355:
	s_or_b64 exec, exec, s[0:1]
.LBB231_356:
	s_andn2_saveexec_b64 s[0:1], s[10:11]
	s_cbranch_execz .LBB231_362
; %bb.357:
	v_sub_f32_e32 v3, v11, v11
	v_cmp_lt_i32_e32 vcc, -1, v10
	s_brev_b32 s10, -2
	v_and_b32_e32 v2, 0x7fffffff, v3
	s_and_saveexec_b64 s[2:3], vcc
	s_xor_b64 s[2:3], exec, s[2:3]
; %bb.358:
	v_bfi_b32 v11, s10, v3, v11
	v_mov_b32_e32 v2, v10
; %bb.359:
	s_andn2_saveexec_b64 s[2:3], s[2:3]
; %bb.360:
	v_bfi_b32 v11, s10, v10, v11
; %bb.361:
	s_or_b64 exec, exec, s[2:3]
.LBB231_362:
	s_or_b64 exec, exec, s[0:1]
.LBB231_363:
	s_andn2_saveexec_b64 s[0:1], s[8:9]
	s_cbranch_execz .LBB231_365
; %bb.364:
	v_sub_f32_e32 v2, v11, v11
	v_div_scale_f32 v3, vcc, v2, v2, v2
	v_rcp_f32_e32 v4, v3
	s_nop 0
	v_fma_f32 v5, -v3, v4, 1.0
	v_fmac_f32_e32 v4, v5, v4
	v_mul_f32_e32 v5, v3, v4
	v_fma_f32 v6, -v3, v5, v3
	v_fmac_f32_e32 v5, v6, v4
	v_fma_f32 v3, -v3, v5, v3
	v_div_fmas_f32 v3, v3, v4, v5
	v_div_fixup_f32 v11, v3, v2, v2
	v_mov_b32_e32 v2, v10
.LBB231_365:
	s_or_b64 exec, exec, s[0:1]
.LBB231_366:
	s_or_b64 exec, exec, s[6:7]
.LBB231_367:
	s_or_b64 exec, exec, s[4:5]
	s_mov_b64 s[0:1], exec
	v_lshl_add_u64 v[20:21], s[16:17], 0, v[0:1]
	global_store_dword v0, v2, s[16:17]
.LBB231_368:
	s_or_b64 exec, exec, s[48:49]
	s_waitcnt lgkmcnt(0)
	s_and_b64 s[24:25], s[0:1], exec
                                        ; implicit-def: $vgpr12
                                        ; implicit-def: $vgpr6
	s_andn2_saveexec_b64 s[26:27], s[38:39]
	s_cbranch_execnz .LBB231_9
.LBB231_369:
	s_or_b64 exec, exec, s[26:27]
	s_and_saveexec_b64 s[0:1], s[24:25]
	s_cbranch_execz .LBB231_235
.LBB231_370:
	global_store_dword v[20:21], v11, off offset:4
	s_endpgm
	.section	.rodata,"a",@progbits
	.p2align	6, 0x0
	.amdhsa_kernel _ZN2at6native32elementwise_kernel_manual_unrollILi128ELi4EZNS0_22gpu_kernel_impl_nocastIZZZNS0_16sqrt_kernel_cudaERNS_18TensorIteratorBaseEENKUlvE_clEvENKUlvE0_clEvEUlN3c107complexIfEEE_EEvS4_RKT_EUlibE_EEviT1_
		.amdhsa_group_segment_fixed_size 0
		.amdhsa_private_segment_fixed_size 0
		.amdhsa_kernarg_size 360
		.amdhsa_user_sgpr_count 2
		.amdhsa_user_sgpr_dispatch_ptr 0
		.amdhsa_user_sgpr_queue_ptr 0
		.amdhsa_user_sgpr_kernarg_segment_ptr 1
		.amdhsa_user_sgpr_dispatch_id 0
		.amdhsa_user_sgpr_kernarg_preload_length 0
		.amdhsa_user_sgpr_kernarg_preload_offset 0
		.amdhsa_user_sgpr_private_segment_size 0
		.amdhsa_uses_dynamic_stack 0
		.amdhsa_enable_private_segment 0
		.amdhsa_system_sgpr_workgroup_id_x 1
		.amdhsa_system_sgpr_workgroup_id_y 0
		.amdhsa_system_sgpr_workgroup_id_z 0
		.amdhsa_system_sgpr_workgroup_info 0
		.amdhsa_system_vgpr_workitem_id 0
		.amdhsa_next_free_vgpr 22
		.amdhsa_next_free_sgpr 60
		.amdhsa_accum_offset 24
		.amdhsa_reserve_vcc 1
		.amdhsa_float_round_mode_32 0
		.amdhsa_float_round_mode_16_64 0
		.amdhsa_float_denorm_mode_32 3
		.amdhsa_float_denorm_mode_16_64 3
		.amdhsa_dx10_clamp 1
		.amdhsa_ieee_mode 1
		.amdhsa_fp16_overflow 0
		.amdhsa_tg_split 0
		.amdhsa_exception_fp_ieee_invalid_op 0
		.amdhsa_exception_fp_denorm_src 0
		.amdhsa_exception_fp_ieee_div_zero 0
		.amdhsa_exception_fp_ieee_overflow 0
		.amdhsa_exception_fp_ieee_underflow 0
		.amdhsa_exception_fp_ieee_inexact 0
		.amdhsa_exception_int_div_zero 0
	.end_amdhsa_kernel
	.section	.text._ZN2at6native32elementwise_kernel_manual_unrollILi128ELi4EZNS0_22gpu_kernel_impl_nocastIZZZNS0_16sqrt_kernel_cudaERNS_18TensorIteratorBaseEENKUlvE_clEvENKUlvE0_clEvEUlN3c107complexIfEEE_EEvS4_RKT_EUlibE_EEviT1_,"axG",@progbits,_ZN2at6native32elementwise_kernel_manual_unrollILi128ELi4EZNS0_22gpu_kernel_impl_nocastIZZZNS0_16sqrt_kernel_cudaERNS_18TensorIteratorBaseEENKUlvE_clEvENKUlvE0_clEvEUlN3c107complexIfEEE_EEvS4_RKT_EUlibE_EEviT1_,comdat
.Lfunc_end231:
	.size	_ZN2at6native32elementwise_kernel_manual_unrollILi128ELi4EZNS0_22gpu_kernel_impl_nocastIZZZNS0_16sqrt_kernel_cudaERNS_18TensorIteratorBaseEENKUlvE_clEvENKUlvE0_clEvEUlN3c107complexIfEEE_EEvS4_RKT_EUlibE_EEviT1_, .Lfunc_end231-_ZN2at6native32elementwise_kernel_manual_unrollILi128ELi4EZNS0_22gpu_kernel_impl_nocastIZZZNS0_16sqrt_kernel_cudaERNS_18TensorIteratorBaseEENKUlvE_clEvENKUlvE0_clEvEUlN3c107complexIfEEE_EEvS4_RKT_EUlibE_EEviT1_
                                        ; -- End function
	.set _ZN2at6native32elementwise_kernel_manual_unrollILi128ELi4EZNS0_22gpu_kernel_impl_nocastIZZZNS0_16sqrt_kernel_cudaERNS_18TensorIteratorBaseEENKUlvE_clEvENKUlvE0_clEvEUlN3c107complexIfEEE_EEvS4_RKT_EUlibE_EEviT1_.num_vgpr, 22
	.set _ZN2at6native32elementwise_kernel_manual_unrollILi128ELi4EZNS0_22gpu_kernel_impl_nocastIZZZNS0_16sqrt_kernel_cudaERNS_18TensorIteratorBaseEENKUlvE_clEvENKUlvE0_clEvEUlN3c107complexIfEEE_EEvS4_RKT_EUlibE_EEviT1_.num_agpr, 0
	.set _ZN2at6native32elementwise_kernel_manual_unrollILi128ELi4EZNS0_22gpu_kernel_impl_nocastIZZZNS0_16sqrt_kernel_cudaERNS_18TensorIteratorBaseEENKUlvE_clEvENKUlvE0_clEvEUlN3c107complexIfEEE_EEvS4_RKT_EUlibE_EEviT1_.numbered_sgpr, 60
	.set _ZN2at6native32elementwise_kernel_manual_unrollILi128ELi4EZNS0_22gpu_kernel_impl_nocastIZZZNS0_16sqrt_kernel_cudaERNS_18TensorIteratorBaseEENKUlvE_clEvENKUlvE0_clEvEUlN3c107complexIfEEE_EEvS4_RKT_EUlibE_EEviT1_.num_named_barrier, 0
	.set _ZN2at6native32elementwise_kernel_manual_unrollILi128ELi4EZNS0_22gpu_kernel_impl_nocastIZZZNS0_16sqrt_kernel_cudaERNS_18TensorIteratorBaseEENKUlvE_clEvENKUlvE0_clEvEUlN3c107complexIfEEE_EEvS4_RKT_EUlibE_EEviT1_.private_seg_size, 0
	.set _ZN2at6native32elementwise_kernel_manual_unrollILi128ELi4EZNS0_22gpu_kernel_impl_nocastIZZZNS0_16sqrt_kernel_cudaERNS_18TensorIteratorBaseEENKUlvE_clEvENKUlvE0_clEvEUlN3c107complexIfEEE_EEvS4_RKT_EUlibE_EEviT1_.uses_vcc, 1
	.set _ZN2at6native32elementwise_kernel_manual_unrollILi128ELi4EZNS0_22gpu_kernel_impl_nocastIZZZNS0_16sqrt_kernel_cudaERNS_18TensorIteratorBaseEENKUlvE_clEvENKUlvE0_clEvEUlN3c107complexIfEEE_EEvS4_RKT_EUlibE_EEviT1_.uses_flat_scratch, 0
	.set _ZN2at6native32elementwise_kernel_manual_unrollILi128ELi4EZNS0_22gpu_kernel_impl_nocastIZZZNS0_16sqrt_kernel_cudaERNS_18TensorIteratorBaseEENKUlvE_clEvENKUlvE0_clEvEUlN3c107complexIfEEE_EEvS4_RKT_EUlibE_EEviT1_.has_dyn_sized_stack, 0
	.set _ZN2at6native32elementwise_kernel_manual_unrollILi128ELi4EZNS0_22gpu_kernel_impl_nocastIZZZNS0_16sqrt_kernel_cudaERNS_18TensorIteratorBaseEENKUlvE_clEvENKUlvE0_clEvEUlN3c107complexIfEEE_EEvS4_RKT_EUlibE_EEviT1_.has_recursion, 0
	.set _ZN2at6native32elementwise_kernel_manual_unrollILi128ELi4EZNS0_22gpu_kernel_impl_nocastIZZZNS0_16sqrt_kernel_cudaERNS_18TensorIteratorBaseEENKUlvE_clEvENKUlvE0_clEvEUlN3c107complexIfEEE_EEvS4_RKT_EUlibE_EEviT1_.has_indirect_call, 0
	.section	.AMDGPU.csdata,"",@progbits
; Kernel info:
; codeLenInByte = 14468
; TotalNumSgprs: 66
; NumVgprs: 22
; NumAgprs: 0
; TotalNumVgprs: 22
; ScratchSize: 0
; MemoryBound: 0
; FloatMode: 240
; IeeeMode: 1
; LDSByteSize: 0 bytes/workgroup (compile time only)
; SGPRBlocks: 8
; VGPRBlocks: 2
; NumSGPRsForWavesPerEU: 66
; NumVGPRsForWavesPerEU: 22
; AccumOffset: 24
; Occupancy: 8
; WaveLimiterHint : 1
; COMPUTE_PGM_RSRC2:SCRATCH_EN: 0
; COMPUTE_PGM_RSRC2:USER_SGPR: 2
; COMPUTE_PGM_RSRC2:TRAP_HANDLER: 0
; COMPUTE_PGM_RSRC2:TGID_X_EN: 1
; COMPUTE_PGM_RSRC2:TGID_Y_EN: 0
; COMPUTE_PGM_RSRC2:TGID_Z_EN: 0
; COMPUTE_PGM_RSRC2:TIDIG_COMP_CNT: 0
; COMPUTE_PGM_RSRC3_GFX90A:ACCUM_OFFSET: 5
; COMPUTE_PGM_RSRC3_GFX90A:TG_SPLIT: 0
	.section	.text._ZN2at6native32elementwise_kernel_manual_unrollILi128ELi4EZNS0_15gpu_kernel_implIZZZNS0_16sqrt_kernel_cudaERNS_18TensorIteratorBaseEENKUlvE_clEvENKUlvE0_clEvEUlN3c107complexIfEEE_EEvS4_RKT_EUlibE_EEviT1_,"axG",@progbits,_ZN2at6native32elementwise_kernel_manual_unrollILi128ELi4EZNS0_15gpu_kernel_implIZZZNS0_16sqrt_kernel_cudaERNS_18TensorIteratorBaseEENKUlvE_clEvENKUlvE0_clEvEUlN3c107complexIfEEE_EEvS4_RKT_EUlibE_EEviT1_,comdat
	.globl	_ZN2at6native32elementwise_kernel_manual_unrollILi128ELi4EZNS0_15gpu_kernel_implIZZZNS0_16sqrt_kernel_cudaERNS_18TensorIteratorBaseEENKUlvE_clEvENKUlvE0_clEvEUlN3c107complexIfEEE_EEvS4_RKT_EUlibE_EEviT1_ ; -- Begin function _ZN2at6native32elementwise_kernel_manual_unrollILi128ELi4EZNS0_15gpu_kernel_implIZZZNS0_16sqrt_kernel_cudaERNS_18TensorIteratorBaseEENKUlvE_clEvENKUlvE0_clEvEUlN3c107complexIfEEE_EEvS4_RKT_EUlibE_EEviT1_
	.p2align	8
	.type	_ZN2at6native32elementwise_kernel_manual_unrollILi128ELi4EZNS0_15gpu_kernel_implIZZZNS0_16sqrt_kernel_cudaERNS_18TensorIteratorBaseEENKUlvE_clEvENKUlvE0_clEvEUlN3c107complexIfEEE_EEvS4_RKT_EUlibE_EEviT1_,@function
_ZN2at6native32elementwise_kernel_manual_unrollILi128ELi4EZNS0_15gpu_kernel_implIZZZNS0_16sqrt_kernel_cudaERNS_18TensorIteratorBaseEENKUlvE_clEvENKUlvE0_clEvEUlN3c107complexIfEEE_EEvS4_RKT_EUlibE_EEviT1_: ; @_ZN2at6native32elementwise_kernel_manual_unrollILi128ELi4EZNS0_15gpu_kernel_implIZZZNS0_16sqrt_kernel_cudaERNS_18TensorIteratorBaseEENKUlvE_clEvENKUlvE0_clEvEUlN3c107complexIfEEE_EEvS4_RKT_EUlibE_EEviT1_
; %bb.0:
	v_mov_b32_e32 v1, 0
	global_load_ushort v1, v1, s[0:1] offset:33
	s_load_dwordx4 s[4:7], s[0:1], 0x8
	s_load_dwordx2 s[8:9], s[0:1], 0x18
	s_load_dword s45, s[0:1], 0x0
	v_lshl_or_b32 v12, s2, 9, v0
	v_or_b32_e32 v0, 0x180, v12
	s_mov_b64 s[10:11], 0
	s_mov_b64 s[14:15], 0
	s_waitcnt lgkmcnt(0)
	v_cmp_le_i32_e32 vcc, s45, v0
	s_waitcnt vmcnt(0)
	v_readfirstlane_b32 s33, v1
	s_and_b32 s0, 0xffff, s33
	s_lshr_b32 s44, s0, 8
	s_and_saveexec_b64 s[0:1], vcc
	s_xor_b64 s[12:13], exec, s[0:1]
	s_cbranch_execz .LBB232_1146
; %bb.1:
	v_cmp_gt_i32_e32 vcc, s45, v12
	s_mov_b64 s[2:3], -1
	s_mov_b64 s[22:23], 0
	s_mov_b64 s[16:17], 0
	s_and_saveexec_b64 s[18:19], vcc
	s_cbranch_execz .LBB232_281
; %bb.2:
	v_mul_lo_u32 v0, v12, s9
	v_ashrrev_i32_e32 v1, 31, v0
	s_and_b32 s20, 0xffff, s44
	s_cmp_lt_i32 s20, 11
	v_lshl_add_u64 v[2:3], s[6:7], 0, v[0:1]
	s_cbranch_scc1 .LBB232_9
; %bb.3:
	s_cmp_gt_i32 s20, 25
	s_cbranch_scc0 .LBB232_23
; %bb.4:
	s_cmp_gt_i32 s20, 28
	s_cbranch_scc0 .LBB232_24
	;; [unrolled: 3-line block ×4, first 2 shown]
; %bb.7:
	s_cmp_eq_u32 s20, 46
	s_mov_b64 s[2:3], 0
	s_cbranch_scc0 .LBB232_57
; %bb.8:
	global_load_dword v0, v[2:3], off
	s_mov_b64 s[0:1], -1
	s_waitcnt vmcnt(0)
	v_and_b32_e32 v1, 0xffff0000, v0
	v_lshlrev_b32_e32 v0, 16, v0
	s_branch .LBB232_59
.LBB232_9:
                                        ; implicit-def: $vgpr0_vgpr1
	s_mov_b64 s[0:1], 0
	s_and_b64 vcc, exec, s[2:3]
	s_cbranch_vccnz .LBB232_232
.LBB232_10:
	s_andn2_b64 vcc, exec, s[0:1]
	s_cbranch_vccnz .LBB232_279
.LBB232_11:
	s_waitcnt vmcnt(0)
	v_cmp_neq_f32_e32 vcc, 0, v0
	v_cmp_neq_f32_e64 s[0:1], 0, v1
	v_mov_b32_e32 v2, 0
	s_or_b64 s[0:1], vcc, s[0:1]
	s_and_saveexec_b64 s[14:15], s[0:1]
	s_cbranch_execz .LBB232_44
; %bb.12:
	v_mov_b32_e32 v2, 0x7f800000
	v_cmp_neq_f32_e64 s[0:1], |v1|, v2
	s_and_saveexec_b64 s[20:21], s[0:1]
	s_cbranch_execz .LBB232_43
; %bb.13:
	v_cmp_o_f32_e32 vcc, v0, v0
                                        ; implicit-def: $vgpr2
	s_and_saveexec_b64 s[0:1], vcc
	s_xor_b64 s[24:25], exec, s[0:1]
	s_cbranch_execz .LBB232_40
; %bb.14:
	s_mov_b32 s0, 0x7f800000
	v_cmp_neq_f32_e64 s[0:1], |v0|, s0
                                        ; implicit-def: $vgpr2
	s_and_saveexec_b64 s[2:3], s[0:1]
	s_xor_b64 s[26:27], exec, s[2:3]
	s_cbranch_execz .LBB232_33
; %bb.15:
	v_max_f32_e64 v2, |v1|, |v1|
	v_max_f32_e64 v3, |v0|, |v0|
	v_max_f32_e32 v2, v3, v2
	s_mov_b32 s0, 0x7ed413cb
	v_cmp_nle_f32_e64 s[0:1], s0, v2
                                        ; implicit-def: $sgpr28_sgpr29
	s_and_saveexec_b64 s[2:3], s[0:1]
	s_xor_b64 s[2:3], exec, s[2:3]
	s_cbranch_execz .LBB232_19
; %bb.16:
	s_mov_b32 s30, 0x1000000
	v_cmp_le_f32_e64 s[28:29], |v0|, s30
	v_cmp_le_f32_e64 s[30:31], |v1|, s30
	s_and_b64 s[34:35], s[28:29], s[30:31]
	s_mov_b64 s[28:29], 0
	s_and_saveexec_b64 s[30:31], s[34:35]
; %bb.17:
	s_mov_b64 s[28:29], exec
	v_pk_mul_f32 v[0:1], v[0:1], 4.0 op_sel_hi:[1,0]
; %bb.18:
	s_or_b64 exec, exec, s[30:31]
.LBB232_19:
	s_andn2_saveexec_b64 s[2:3], s[2:3]
; %bb.20:
	s_mov_b32 s30, 0x3e800000
	v_pk_mul_f32 v[0:1], v[0:1], s[30:31] op_sel_hi:[1,0]
	s_andn2_b64 s[28:29], s[28:29], exec
; %bb.21:
	s_or_b64 exec, exec, s[2:3]
	v_max_f32_e64 v2, |v1|, |v1|
	v_max_f32_e64 v3, |v0|, |v0|
	v_max_f32_e32 v4, v3, v2
	v_cvt_f64_f32_e32 v[2:3], v4
	v_frexp_exp_i32_f64_e32 v2, v[2:3]
	v_sub_u32_e32 v3, 0, v2
	v_ldexp_f32 v5, |v0|, v3
	v_ldexp_f32 v3, |v1|, v3
	v_mul_f32_e32 v3, v3, v3
	v_fmac_f32_e32 v3, v5, v5
	v_sqrt_f32_e32 v3, v3
	s_mov_b32 s2, 0x7f800000
	v_cmp_neq_f32_e64 s[2:3], s2, v4
	v_cmp_le_f32_e32 vcc, 0, v0
	v_ldexp_f32 v2, v3, v2
	v_mov_b32_e32 v3, 0x7f800000
	v_cndmask_b32_e64 v2, v3, v2, s[2:3]
                                        ; implicit-def: $vgpr4
                                        ; implicit-def: $vgpr3
	s_and_saveexec_b64 s[2:3], vcc
	s_xor_b64 s[30:31], exec, s[2:3]
	s_cbranch_execz .LBB232_26
; %bb.22:
	v_add_f32_e32 v0, v0, v2
	v_mul_f32_e32 v0, 0.5, v0
	s_mov_b32 s2, 0xf800000
	v_mul_f32_e32 v2, 0x4f800000, v0
	v_cmp_gt_f32_e32 vcc, s2, v0
	s_nop 1
	v_cndmask_b32_e32 v0, v0, v2, vcc
	v_sqrt_f32_e32 v2, v0
	s_nop 0
	v_add_u32_e32 v3, -1, v2
	v_fma_f32 v4, -v3, v2, v0
	v_cmp_ge_f32_e64 s[2:3], 0, v4
	v_add_u32_e32 v4, 1, v2
	s_nop 0
	v_cndmask_b32_e64 v3, v2, v3, s[2:3]
	v_fma_f32 v2, -v4, v2, v0
	v_cmp_lt_f32_e64 s[2:3], 0, v2
	s_nop 1
	v_cndmask_b32_e64 v2, v3, v4, s[2:3]
	v_mul_f32_e32 v3, 0x37800000, v2
	v_cndmask_b32_e32 v2, v2, v3, vcc
	v_mov_b32_e32 v3, 0x260
	v_cmp_class_f32_e32 vcc, v0, v3
	s_nop 1
	v_cndmask_b32_e32 v3, v2, v0, vcc
	v_add_f32_e32 v0, v3, v3
	v_div_scale_f32 v2, s[2:3], v0, v0, v1
	v_rcp_f32_e32 v4, v2
	s_nop 0
	v_fma_f32 v5, -v2, v4, 1.0
	v_fmac_f32_e32 v4, v5, v4
	v_div_scale_f32 v5, vcc, v1, v0, v1
	v_mul_f32_e32 v6, v5, v4
	v_fma_f32 v7, -v2, v6, v5
	v_fmac_f32_e32 v6, v7, v4
	v_fma_f32 v2, -v2, v6, v5
	v_div_fmas_f32 v2, v2, v4, v6
	v_div_fixup_f32 v4, v2, v0, v1
                                        ; implicit-def: $vgpr2
                                        ; implicit-def: $vgpr0_vgpr1
	s_andn2_saveexec_b64 s[30:31], s[30:31]
	s_cbranch_execz .LBB232_28
	s_branch .LBB232_27
.LBB232_23:
	s_mov_b64 s[0:1], 0
                                        ; implicit-def: $vgpr0_vgpr1
	s_and_b64 vcc, exec, s[2:3]
	s_cbranch_vccnz .LBB232_199
	s_branch .LBB232_231
.LBB232_24:
	s_mov_b64 s[0:1], 0
                                        ; implicit-def: $vgpr0_vgpr1
	s_branch .LBB232_178
.LBB232_25:
	s_mov_b64 s[0:1], 0
                                        ; implicit-def: $vgpr0_vgpr1
	s_branch .LBB232_173
.LBB232_26:
	s_andn2_saveexec_b64 s[30:31], s[30:31]
	s_cbranch_execz .LBB232_28
.LBB232_27:
	v_sub_f32_e32 v0, v2, v0
	v_mul_f32_e32 v0, 0.5, v0
	s_mov_b32 s2, 0xf800000
	v_mul_f32_e32 v2, 0x4f800000, v0
	v_cmp_gt_f32_e32 vcc, s2, v0
	s_nop 1
	v_cndmask_b32_e32 v0, v0, v2, vcc
	v_sqrt_f32_e32 v2, v0
	s_nop 0
	v_add_u32_e32 v3, -1, v2
	v_fma_f32 v4, -v3, v2, v0
	v_cmp_ge_f32_e64 s[2:3], 0, v4
	v_add_u32_e32 v4, 1, v2
	s_nop 0
	v_cndmask_b32_e64 v3, v2, v3, s[2:3]
	v_fma_f32 v2, -v4, v2, v0
	v_cmp_lt_f32_e64 s[2:3], 0, v2
	s_nop 1
	v_cndmask_b32_e64 v2, v3, v4, s[2:3]
	v_mul_f32_e32 v3, 0x37800000, v2
	v_cndmask_b32_e32 v2, v2, v3, vcc
	v_mov_b32_e32 v3, 0x260
	v_cmp_class_f32_e32 vcc, v0, v3
	v_and_b32_e32 v3, 0x7fffffff, v1
	s_nop 0
	v_cndmask_b32_e32 v0, v2, v0, vcc
	v_add_f32_e32 v2, v0, v0
	v_div_scale_f32 v4, s[2:3], v2, v2, v3
	v_rcp_f32_e32 v5, v4
	v_div_scale_f32 v3, vcc, v3, v2, v3
	s_brev_b32 s2, -2
	v_fma_f32 v6, -v4, v5, 1.0
	v_fmac_f32_e32 v5, v6, v5
	v_mul_f32_e32 v6, v3, v5
	v_fma_f32 v7, -v4, v6, v3
	v_fmac_f32_e32 v6, v7, v5
	v_fma_f32 v3, -v4, v6, v3
	v_div_fmas_f32 v3, v3, v5, v6
	v_div_fixup_f32 v3, v3, v2, |v1|
	v_bfi_b32 v4, s2, v0, v1
.LBB232_28:
	s_or_b64 exec, exec, s[30:31]
                                        ; implicit-def: $vgpr1
                                        ; implicit-def: $vgpr2
	s_and_saveexec_b64 s[2:3], s[0:1]
	s_xor_b64 s[0:1], exec, s[2:3]
	s_cbranch_execz .LBB232_30
; %bb.29:
	v_mul_f32_e32 v0, 0.5, v3
	v_mul_f32_e32 v1, 0.5, v4
	v_cndmask_b32_e64 v2, v3, v0, s[28:29]
	v_cndmask_b32_e64 v1, v4, v1, s[28:29]
                                        ; implicit-def: $vgpr3
                                        ; implicit-def: $vgpr4
	s_andn2_saveexec_b64 s[0:1], s[0:1]
	s_cbranch_execnz .LBB232_31
	s_branch .LBB232_32
.LBB232_30:
	s_andn2_saveexec_b64 s[0:1], s[0:1]
.LBB232_31:
	v_add_f32_e32 v2, v3, v3
	v_add_f32_e32 v1, v4, v4
.LBB232_32:
	s_or_b64 exec, exec, s[0:1]
.LBB232_33:
	s_andn2_saveexec_b64 s[0:1], s[26:27]
	s_cbranch_execz .LBB232_39
; %bb.34:
	v_sub_f32_e32 v3, v1, v1
	v_cmp_lt_i32_e32 vcc, -1, v0
	s_brev_b32 s26, -2
	v_and_b32_e32 v2, 0x7fffffff, v3
	s_and_saveexec_b64 s[2:3], vcc
	s_xor_b64 s[2:3], exec, s[2:3]
; %bb.35:
	v_bfi_b32 v1, s26, v3, v1
	v_mov_b32_e32 v2, v0
; %bb.36:
	s_andn2_saveexec_b64 s[2:3], s[2:3]
; %bb.37:
	v_bfi_b32 v1, s26, v0, v1
; %bb.38:
	s_or_b64 exec, exec, s[2:3]
.LBB232_39:
	s_or_b64 exec, exec, s[0:1]
.LBB232_40:
	s_andn2_saveexec_b64 s[0:1], s[24:25]
	s_cbranch_execz .LBB232_42
; %bb.41:
	v_sub_f32_e32 v1, v1, v1
	v_div_scale_f32 v2, vcc, v1, v1, v1
	v_rcp_f32_e32 v3, v2
	s_nop 0
	v_fma_f32 v4, -v2, v3, 1.0
	v_fmac_f32_e32 v3, v4, v3
	v_mul_f32_e32 v4, v2, v3
	v_fma_f32 v5, -v2, v4, v2
	v_fmac_f32_e32 v4, v5, v3
	v_fma_f32 v2, -v2, v4, v2
	v_div_fmas_f32 v2, v2, v3, v4
	v_div_fixup_f32 v1, v2, v1, v1
	v_mov_b32_e32 v2, v0
.LBB232_42:
	s_or_b64 exec, exec, s[0:1]
.LBB232_43:
	s_or_b64 exec, exec, s[20:21]
.LBB232_44:
	s_or_b64 exec, exec, s[14:15]
	v_mul_lo_u32 v4, v12, s8
	v_ashrrev_i32_e32 v5, 31, v4
	s_and_b32 s24, s33, 0xff
	s_cmp_lt_i32 s24, 11
	v_lshl_add_u64 v[4:5], s[4:5], 0, v[4:5]
	s_cbranch_scc1 .LBB232_51
; %bb.45:
	s_and_b32 s25, 0xffff, s24
	s_cmp_gt_i32 s25, 25
	s_cbranch_scc0 .LBB232_54
; %bb.46:
	s_cmp_gt_i32 s25, 28
	s_cbranch_scc0 .LBB232_55
; %bb.47:
	;; [unrolled: 3-line block ×4, first 2 shown]
	s_mov_b64 s[14:15], 0
	s_mov_b64 s[0:1], -1
	s_cmp_eq_u32 s25, 46
	s_mov_b64 s[2:3], 0
	s_cbranch_scc0 .LBB232_63
; %bb.50:
	s_movk_i32 s0, 0x7fff
	v_bfe_u32 v3, v1, 16, 1
	v_add3_u32 v3, v1, v3, s0
	v_bfe_u32 v0, v2, 16, 1
	v_and_b32_e32 v3, 0xffff0000, v3
	v_mov_b32_e32 v6, 0x7fc00000
	v_cmp_o_f32_e32 vcc, v1, v1
	v_add3_u32 v0, v2, v0, s0
	s_mov_b64 s[2:3], -1
	v_cndmask_b32_e32 v3, v6, v3, vcc
	v_cmp_o_f32_e32 vcc, v2, v2
	v_mov_b32_e32 v6, 0x7fc0
	s_mov_b64 s[0:1], 0
	v_cndmask_b32_sdwa v0, v6, v0, vcc dst_sel:DWORD dst_unused:UNUSED_PAD src0_sel:DWORD src1_sel:WORD_1
	v_or_b32_e32 v0, v3, v0
	global_store_dword v[4:5], v0, off
	s_branch .LBB232_63
.LBB232_51:
	s_mov_b64 s[0:1], 0
	s_mov_b64 s[2:3], 0
	s_cbranch_execnz .LBB232_132
.LBB232_52:
	s_andn2_b64 vcc, exec, s[2:3]
	s_cbranch_vccnz .LBB232_170
.LBB232_53:
	v_add_u32_e32 v12, 0x80, v12
	s_mov_b64 s[2:3], -1
	s_branch .LBB232_280
.LBB232_54:
	s_mov_b64 s[14:15], -1
	s_mov_b64 s[0:1], 0
	s_mov_b64 s[2:3], 0
	s_branch .LBB232_90
.LBB232_55:
	s_mov_b64 s[14:15], -1
	s_mov_b64 s[0:1], 0
	s_mov_b64 s[2:3], 0
	s_branch .LBB232_73
.LBB232_56:
	s_mov_b64 s[14:15], -1
	s_mov_b64 s[0:1], 0
	s_mov_b64 s[2:3], 0
	s_branch .LBB232_69
.LBB232_57:
	s_mov_b64 s[16:17], -1
.LBB232_58:
	s_mov_b64 s[0:1], 0
                                        ; implicit-def: $vgpr0_vgpr1
.LBB232_59:
	s_and_b64 vcc, exec, s[2:3]
	s_cbranch_vccz .LBB232_172
; %bb.60:
	s_cmp_eq_u32 s20, 44
	s_cbranch_scc0 .LBB232_171
; %bb.61:
	global_load_ubyte v0, v[2:3], off
	s_movk_i32 s2, 0xff
	v_mov_b32_e32 v4, 0x7f800001
	v_mov_b32_e32 v5, 0x400000
	v_mov_b32_e32 v1, 0
	s_mov_b64 s[0:1], -1
	s_mov_b64 s[16:17], 0
	s_waitcnt vmcnt(0)
	v_lshlrev_b32_e32 v6, 23, v0
	v_cmp_ne_u32_e32 vcc, s2, v0
	s_nop 1
	v_cndmask_b32_e32 v4, v4, v6, vcc
	v_cmp_ne_u32_e32 vcc, 0, v0
	s_nop 1
	v_cndmask_b32_e32 v0, v5, v4, vcc
	s_branch .LBB232_172
.LBB232_62:
	s_mov_b64 s[14:15], -1
	s_mov_b64 s[0:1], 0
	s_mov_b64 s[2:3], 0
.LBB232_63:
	s_and_b64 vcc, exec, s[14:15]
	s_cbranch_vccz .LBB232_68
; %bb.64:
	s_cmp_eq_u32 s25, 44
	s_mov_b64 s[0:1], -1
	s_cbranch_scc0 .LBB232_68
; %bb.65:
	v_bfe_u32 v0, v2, 23, 8
	s_movk_i32 s0, 0xff
	v_cmp_ne_u32_e32 vcc, s0, v0
	v_mov_b32_e32 v3, 0xff
	s_and_saveexec_b64 s[2:3], vcc
; %bb.66:
	s_mov_b32 s0, 0x3fffff
	v_and_b32_e32 v6, 0x400000, v2
	v_and_or_b32 v0, v2, s0, v0
	v_cmp_ne_u32_e32 vcc, 0, v6
	v_cmp_ne_u32_e64 s[0:1], 0, v0
	s_and_b64 s[0:1], vcc, s[0:1]
	v_lshrrev_b32_e32 v3, 23, v2
	v_cndmask_b32_e64 v0, 0, 1, s[0:1]
	v_add_u32_e32 v3, v3, v0
; %bb.67:
	s_or_b64 exec, exec, s[2:3]
	s_mov_b64 s[2:3], -1
	s_mov_b64 s[0:1], 0
	global_store_byte v[4:5], v3, off
.LBB232_68:
	s_mov_b64 s[14:15], 0
.LBB232_69:
	s_and_b64 vcc, exec, s[14:15]
	s_cbranch_vccz .LBB232_72
; %bb.70:
	s_cmp_eq_u32 s25, 29
	s_mov_b64 s[0:1], -1
	s_cbranch_scc0 .LBB232_72
; %bb.71:
	v_trunc_f32_e32 v0, v2
	v_mul_f32_e32 v3, 0x2f800000, v0
	v_floor_f32_e32 v3, v3
	v_fmamk_f32 v0, v3, 0xcf800000, v0
	v_cvt_u32_f32_e32 v7, v3
	v_cvt_u32_f32_e32 v6, v0
	s_mov_b64 s[2:3], -1
	s_mov_b64 s[0:1], 0
	s_mov_b64 s[14:15], 0
	global_store_dwordx2 v[4:5], v[6:7], off
	s_branch .LBB232_73
.LBB232_72:
	s_mov_b64 s[14:15], 0
.LBB232_73:
	s_and_b64 vcc, exec, s[14:15]
	s_cbranch_vccz .LBB232_89
; %bb.74:
	s_cmp_lt_i32 s25, 27
	s_mov_b64 s[2:3], -1
	s_cbranch_scc1 .LBB232_80
; %bb.75:
	v_cvt_u32_f32_e32 v0, v2
	s_cmp_gt_i32 s25, 27
	s_cbranch_scc0 .LBB232_77
; %bb.76:
	s_mov_b64 s[2:3], 0
	global_store_dword v[4:5], v0, off
.LBB232_77:
	s_andn2_b64 vcc, exec, s[2:3]
	s_cbranch_vccnz .LBB232_79
; %bb.78:
	global_store_short v[4:5], v0, off
.LBB232_79:
	s_mov_b64 s[2:3], 0
.LBB232_80:
	s_andn2_b64 vcc, exec, s[2:3]
	s_cbranch_vccnz .LBB232_88
; %bb.81:
	v_and_b32_e32 v0, 0x7fffffff, v2
	s_mov_b32 s2, 0x43800000
	v_cmp_gt_u32_e32 vcc, s2, v0
	v_mov_b32_e32 v3, 0x80
	s_and_saveexec_b64 s[2:3], vcc
	s_cbranch_execz .LBB232_87
; %bb.82:
	s_mov_b32 s14, 0x3bffffff
	v_cmp_lt_u32_e32 vcc, s14, v0
	s_mov_b64 s[14:15], 0
                                        ; implicit-def: $vgpr0
	s_and_saveexec_b64 s[20:21], vcc
	s_xor_b64 s[20:21], exec, s[20:21]
	s_cbranch_execz .LBB232_310
; %bb.83:
	v_bfe_u32 v0, v2, 20, 1
	s_mov_b32 s26, 0x487ffff
	v_add3_u32 v0, v2, v0, s26
	s_mov_b64 s[14:15], exec
	v_lshrrev_b32_e32 v0, 20, v0
	s_andn2_saveexec_b64 s[20:21], s[20:21]
	s_cbranch_execnz .LBB232_311
.LBB232_84:
	s_or_b64 exec, exec, s[20:21]
	v_mov_b32_e32 v3, 0
	s_and_saveexec_b64 s[20:21], s[14:15]
.LBB232_85:
	v_lshrrev_b32_e32 v3, 24, v2
	s_movk_i32 s14, 0x80
	v_and_or_b32 v3, v3, s14, v0
.LBB232_86:
	s_or_b64 exec, exec, s[20:21]
.LBB232_87:
	s_or_b64 exec, exec, s[2:3]
	global_store_byte v[4:5], v3, off
.LBB232_88:
	s_mov_b64 s[2:3], -1
.LBB232_89:
	s_mov_b64 s[14:15], 0
.LBB232_90:
	s_and_b64 vcc, exec, s[14:15]
	s_cbranch_vccz .LBB232_131
; %bb.91:
	s_cmp_gt_i32 s25, 22
	s_mov_b64 s[14:15], -1
	s_cbranch_scc0 .LBB232_123
; %bb.92:
	s_cmp_lt_i32 s25, 24
	s_mov_b64 s[2:3], -1
	s_cbranch_scc1 .LBB232_112
; %bb.93:
	s_cmp_gt_i32 s25, 24
	s_cbranch_scc0 .LBB232_101
; %bb.94:
	v_and_b32_e32 v0, 0x7fffffff, v2
	s_mov_b32 s2, 0x47800000
	v_cmp_gt_u32_e32 vcc, s2, v0
	v_mov_b32_e32 v3, 0x80
	s_and_saveexec_b64 s[2:3], vcc
	s_cbranch_execz .LBB232_100
; %bb.95:
	s_mov_b32 s14, 0x37ffffff
	v_cmp_lt_u32_e32 vcc, s14, v0
	s_mov_b64 s[14:15], 0
                                        ; implicit-def: $vgpr0
	s_and_saveexec_b64 s[20:21], vcc
	s_xor_b64 s[20:21], exec, s[20:21]
	s_cbranch_execz .LBB232_342
; %bb.96:
	v_bfe_u32 v0, v2, 21, 1
	s_mov_b32 s26, 0x88fffff
	v_add3_u32 v0, v2, v0, s26
	s_mov_b64 s[14:15], exec
	v_lshrrev_b32_e32 v0, 21, v0
	s_andn2_saveexec_b64 s[20:21], s[20:21]
	s_cbranch_execnz .LBB232_343
.LBB232_97:
	s_or_b64 exec, exec, s[20:21]
	v_mov_b32_e32 v3, 0
	s_and_saveexec_b64 s[20:21], s[14:15]
.LBB232_98:
	v_lshrrev_b32_e32 v3, 24, v2
	s_movk_i32 s14, 0x80
	v_and_or_b32 v3, v3, s14, v0
.LBB232_99:
	s_or_b64 exec, exec, s[20:21]
.LBB232_100:
	s_or_b64 exec, exec, s[2:3]
	s_mov_b64 s[2:3], 0
	global_store_byte v[4:5], v3, off
.LBB232_101:
	s_and_b64 vcc, exec, s[2:3]
	s_cbranch_vccz .LBB232_111
; %bb.102:
	v_and_b32_e32 v3, 0x7fffffff, v2
	s_mov_b32 s2, 0x43f00000
	v_cmp_gt_u32_e32 vcc, s2, v3
                                        ; implicit-def: $vgpr0
	s_and_saveexec_b64 s[2:3], vcc
	s_xor_b64 s[2:3], exec, s[2:3]
	s_cbranch_execz .LBB232_108
; %bb.103:
	s_mov_b32 s14, 0x3c7fffff
	v_cmp_lt_u32_e32 vcc, s14, v3
                                        ; implicit-def: $vgpr0
	s_and_saveexec_b64 s[14:15], vcc
	s_xor_b64 s[14:15], exec, s[14:15]
; %bb.104:
	v_bfe_u32 v0, v2, 20, 1
	s_mov_b32 s20, 0x407ffff
	v_add3_u32 v0, v2, v0, s20
	v_lshrrev_b32_e32 v3, 20, v0
	v_and_b32_e32 v0, 0xff00000, v0
	s_mov_b32 s20, 0x7f00000
	v_mov_b32_e32 v6, 0x7e
	v_cmp_ne_u32_e32 vcc, s20, v0
	s_nop 1
	v_cndmask_b32_e32 v0, v6, v3, vcc
; %bb.105:
	s_andn2_saveexec_b64 s[14:15], s[14:15]
; %bb.106:
	s_mov_b32 s20, 0x46800000
	v_add_f32_e64 v0, |v2|, s20
; %bb.107:
	s_or_b64 exec, exec, s[14:15]
                                        ; implicit-def: $vgpr3
.LBB232_108:
	s_andn2_saveexec_b64 s[2:3], s[2:3]
; %bb.109:
	s_mov_b32 s14, 0x7f800000
	v_mov_b32_e32 v0, 0x7e
	v_mov_b32_e32 v6, 0x7f
	v_cmp_lt_u32_e32 vcc, s14, v3
	s_nop 1
	v_cndmask_b32_e32 v0, v0, v6, vcc
; %bb.110:
	s_or_b64 exec, exec, s[2:3]
	v_lshrrev_b32_e32 v3, 24, v2
	s_movk_i32 s2, 0x80
	v_and_or_b32 v0, v3, s2, v0
	global_store_byte v[4:5], v0, off
.LBB232_111:
	s_mov_b64 s[2:3], 0
.LBB232_112:
	s_andn2_b64 vcc, exec, s[2:3]
	s_cbranch_vccnz .LBB232_122
; %bb.113:
	v_and_b32_e32 v3, 0x7fffffff, v2
	s_mov_b32 s2, 0x47800000
	v_cmp_gt_u32_e32 vcc, s2, v3
                                        ; implicit-def: $vgpr0
	s_and_saveexec_b64 s[2:3], vcc
	s_xor_b64 s[2:3], exec, s[2:3]
	s_cbranch_execz .LBB232_119
; %bb.114:
	s_mov_b32 s14, 0x387fffff
	v_cmp_lt_u32_e32 vcc, s14, v3
                                        ; implicit-def: $vgpr0
	s_and_saveexec_b64 s[14:15], vcc
	s_xor_b64 s[14:15], exec, s[14:15]
; %bb.115:
	v_bfe_u32 v0, v2, 21, 1
	s_mov_b32 s20, 0x80fffff
	v_add3_u32 v0, v2, v0, s20
	v_lshrrev_b32_e32 v0, 21, v0
; %bb.116:
	s_andn2_saveexec_b64 s[14:15], s[14:15]
; %bb.117:
	s_mov_b32 s20, 0x43000000
	v_add_f32_e64 v0, |v2|, s20
; %bb.118:
	s_or_b64 exec, exec, s[14:15]
                                        ; implicit-def: $vgpr3
.LBB232_119:
	s_andn2_saveexec_b64 s[2:3], s[2:3]
; %bb.120:
	s_mov_b32 s14, 0x7f800000
	v_mov_b32_e32 v0, 0x7c
	v_mov_b32_e32 v6, 0x7f
	v_cmp_lt_u32_e32 vcc, s14, v3
	s_nop 1
	v_cndmask_b32_e32 v0, v0, v6, vcc
; %bb.121:
	s_or_b64 exec, exec, s[2:3]
	v_lshrrev_b32_e32 v3, 24, v2
	s_movk_i32 s2, 0x80
	v_and_or_b32 v0, v3, s2, v0
	global_store_byte v[4:5], v0, off
.LBB232_122:
	s_mov_b64 s[14:15], 0
	s_mov_b64 s[2:3], -1
.LBB232_123:
	s_andn2_b64 vcc, exec, s[14:15]
	s_cbranch_vccnz .LBB232_131
; %bb.124:
	s_cmp_gt_i32 s25, 14
	s_mov_b64 s[14:15], -1
	s_cbranch_scc0 .LBB232_128
; %bb.125:
	s_cmp_eq_u32 s25, 15
	s_mov_b64 s[0:1], -1
	s_cbranch_scc0 .LBB232_127
; %bb.126:
	v_bfe_u32 v0, v2, 16, 1
	s_movk_i32 s0, 0x7fff
	v_add3_u32 v0, v2, v0, s0
	v_cmp_o_f32_e32 vcc, v2, v2
	v_mov_b32_e32 v3, 0x7fc0
	s_mov_b64 s[2:3], -1
	v_cndmask_b32_sdwa v0, v3, v0, vcc dst_sel:DWORD dst_unused:UNUSED_PAD src0_sel:DWORD src1_sel:WORD_1
	global_store_short v[4:5], v0, off
	s_mov_b64 s[0:1], 0
.LBB232_127:
	s_mov_b64 s[14:15], 0
.LBB232_128:
	s_and_b64 vcc, exec, s[14:15]
	s_cbranch_vccz .LBB232_131
; %bb.129:
	s_cmp_eq_u32 s25, 11
	s_mov_b64 s[0:1], -1
	s_cbranch_scc0 .LBB232_131
; %bb.130:
	v_cmp_neq_f32_e32 vcc, 0, v2
	v_cmp_neq_f32_e64 s[0:1], 0, v1
	s_or_b64 s[0:1], vcc, s[0:1]
	s_mov_b64 s[2:3], -1
	v_cndmask_b32_e64 v0, 0, 1, s[0:1]
	s_mov_b64 s[0:1], 0
	global_store_byte v[4:5], v0, off
.LBB232_131:
	s_branch .LBB232_52
.LBB232_132:
	s_and_b32 s14, 0xffff, s24
	s_cmp_lt_i32 s14, 5
	s_mov_b64 s[2:3], -1
	s_cbranch_scc1 .LBB232_153
; %bb.133:
	s_cmp_lt_i32 s14, 8
	s_cbranch_scc1 .LBB232_143
; %bb.134:
	s_cmp_lt_i32 s14, 9
	s_cbranch_scc1 .LBB232_140
; %bb.135:
	s_cmp_gt_i32 s14, 9
	s_cbranch_scc0 .LBB232_137
; %bb.136:
	v_cvt_f64_f32_e32 v[6:7], v2
	v_cvt_f64_f32_e32 v[8:9], v1
	global_store_dwordx4 v[4:5], v[6:9], off
	s_mov_b64 s[2:3], 0
.LBB232_137:
	s_andn2_b64 vcc, exec, s[2:3]
	s_cbranch_vccnz .LBB232_139
; %bb.138:
	v_mov_b32_e32 v3, v1
	global_store_dwordx2 v[4:5], v[2:3], off
.LBB232_139:
	s_mov_b64 s[2:3], 0
.LBB232_140:
	s_andn2_b64 vcc, exec, s[2:3]
	s_cbranch_vccnz .LBB232_142
; %bb.141:
	v_cvt_f16_f32_e32 v0, v2
	v_cvt_f16_f32_sdwa v1, v1 dst_sel:WORD_1 dst_unused:UNUSED_PAD src0_sel:DWORD
	s_nop 0
	v_or_b32_e32 v0, v1, v0
	global_store_dword v[4:5], v0, off
.LBB232_142:
	s_mov_b64 s[2:3], 0
.LBB232_143:
	s_andn2_b64 vcc, exec, s[2:3]
	s_cbranch_vccnz .LBB232_152
; %bb.144:
	s_cmp_lt_i32 s14, 6
	s_mov_b64 s[2:3], -1
	s_cbranch_scc1 .LBB232_150
; %bb.145:
	s_cmp_gt_i32 s14, 6
	s_cbranch_scc0 .LBB232_147
; %bb.146:
	v_cvt_f64_f32_e32 v[0:1], v2
	global_store_dwordx2 v[4:5], v[0:1], off
	s_mov_b64 s[2:3], 0
.LBB232_147:
	s_andn2_b64 vcc, exec, s[2:3]
	s_cbranch_vccnz .LBB232_149
; %bb.148:
	global_store_dword v[4:5], v2, off
.LBB232_149:
	s_mov_b64 s[2:3], 0
.LBB232_150:
	s_andn2_b64 vcc, exec, s[2:3]
	s_cbranch_vccnz .LBB232_152
; %bb.151:
	v_cvt_f16_f32_e32 v0, v2
	global_store_short v[4:5], v0, off
.LBB232_152:
	s_mov_b64 s[2:3], 0
.LBB232_153:
	s_andn2_b64 vcc, exec, s[2:3]
	s_cbranch_vccnz .LBB232_169
; %bb.154:
	s_cmp_lt_i32 s14, 2
	s_mov_b64 s[2:3], -1
	s_cbranch_scc1 .LBB232_164
; %bb.155:
	s_cmp_lt_i32 s14, 3
	s_cbranch_scc1 .LBB232_161
; %bb.156:
	s_cmp_gt_i32 s14, 3
	s_cbranch_scc0 .LBB232_158
; %bb.157:
	v_trunc_f32_e32 v0, v2
	s_mov_b32 s2, 0x2f800000
	v_mul_f32_e64 v1, |v0|, s2
	v_floor_f32_e32 v1, v1
	s_mov_b32 s2, 0xcf800000
	v_cvt_u32_f32_e32 v3, v1
	v_fma_f32 v1, v1, s2, |v0|
	v_cvt_u32_f32_e32 v1, v1
	v_ashrrev_i32_e32 v6, 31, v0
	v_xor_b32_e32 v3, v3, v6
	s_mov_b64 s[2:3], 0
	v_xor_b32_e32 v0, v1, v6
	v_sub_co_u32_e32 v0, vcc, v0, v6
	s_nop 1
	v_subb_co_u32_e32 v1, vcc, v3, v6, vcc
	global_store_dwordx2 v[4:5], v[0:1], off
.LBB232_158:
	s_andn2_b64 vcc, exec, s[2:3]
	s_cbranch_vccnz .LBB232_160
; %bb.159:
	v_cvt_i32_f32_e32 v0, v2
	global_store_dword v[4:5], v0, off
.LBB232_160:
	s_mov_b64 s[2:3], 0
.LBB232_161:
	s_andn2_b64 vcc, exec, s[2:3]
	s_cbranch_vccnz .LBB232_163
; %bb.162:
	v_cvt_i32_f32_e32 v0, v2
	global_store_short v[4:5], v0, off
.LBB232_163:
	s_mov_b64 s[2:3], 0
.LBB232_164:
	s_andn2_b64 vcc, exec, s[2:3]
	s_cbranch_vccnz .LBB232_169
; %bb.165:
	s_cmp_gt_i32 s14, 0
	s_mov_b64 s[2:3], -1
	s_cbranch_scc0 .LBB232_167
; %bb.166:
	v_cvt_i32_f32_e32 v0, v2
	s_mov_b64 s[2:3], 0
	global_store_byte v[4:5], v0, off
.LBB232_167:
	s_andn2_b64 vcc, exec, s[2:3]
	s_cbranch_vccnz .LBB232_169
; %bb.168:
	v_trunc_f32_e32 v0, v2
	s_mov_b32 s2, 0x2f800000
	v_mul_f32_e64 v1, |v0|, s2
	v_floor_f32_e32 v1, v1
	s_mov_b32 s2, 0xcf800000
	v_fma_f32 v1, v1, s2, |v0|
	v_cvt_u32_f32_e32 v1, v1
	v_ashrrev_i32_e32 v0, 31, v0
	v_xor_b32_e32 v1, v1, v0
	v_sub_u32_e32 v0, v1, v0
	global_store_byte v[4:5], v0, off
.LBB232_169:
	s_branch .LBB232_53
.LBB232_170:
	s_mov_b64 s[2:3], 0
                                        ; implicit-def: $vgpr12
	s_branch .LBB232_280
.LBB232_171:
	s_mov_b64 s[16:17], -1
                                        ; implicit-def: $vgpr0_vgpr1
.LBB232_172:
	s_mov_b64 s[2:3], 0
.LBB232_173:
	s_and_b64 vcc, exec, s[2:3]
	s_cbranch_vccz .LBB232_177
; %bb.174:
	s_cmp_eq_u32 s20, 29
	s_cbranch_scc0 .LBB232_176
; %bb.175:
	global_load_dwordx2 v[0:1], v[2:3], off
	s_mov_b64 s[0:1], -1
	s_mov_b64 s[16:17], 0
	s_mov_b64 s[2:3], 0
	s_waitcnt vmcnt(0)
	v_ffbh_u32_e32 v4, v1
	v_min_u32_e32 v4, 32, v4
	v_lshlrev_b64 v[0:1], v4, v[0:1]
	v_min_u32_e32 v0, 1, v0
	v_or_b32_e32 v0, v1, v0
	v_cvt_f32_u32_e32 v0, v0
	v_sub_u32_e32 v4, 32, v4
	v_mov_b32_e32 v1, 0
	v_ldexp_f32 v0, v0, v4
	s_branch .LBB232_178
.LBB232_176:
	s_mov_b64 s[16:17], -1
                                        ; implicit-def: $vgpr0_vgpr1
.LBB232_177:
	s_mov_b64 s[2:3], 0
.LBB232_178:
	s_and_b64 vcc, exec, s[2:3]
	s_cbranch_vccz .LBB232_198
; %bb.179:
	s_cmp_lt_i32 s20, 27
	s_cbranch_scc1 .LBB232_182
; %bb.180:
	s_cmp_gt_i32 s20, 27
	s_cbranch_scc0 .LBB232_183
; %bb.181:
	global_load_dword v0, v[2:3], off
	v_mov_b32_e32 v1, 0
	s_mov_b64 s[0:1], 0
	s_waitcnt vmcnt(0)
	v_cvt_f32_u32_e32 v0, v0
	s_branch .LBB232_184
.LBB232_182:
	s_mov_b64 s[0:1], -1
                                        ; implicit-def: $vgpr0_vgpr1
	s_branch .LBB232_187
.LBB232_183:
	s_mov_b64 s[0:1], -1
                                        ; implicit-def: $vgpr0_vgpr1
.LBB232_184:
	s_andn2_b64 vcc, exec, s[0:1]
	s_cbranch_vccnz .LBB232_186
; %bb.185:
	global_load_ushort v0, v[2:3], off
	v_mov_b32_e32 v1, 0
	s_waitcnt vmcnt(0)
	v_cvt_f32_u32_e32 v0, v0
.LBB232_186:
	s_mov_b64 s[0:1], 0
.LBB232_187:
	s_andn2_b64 vcc, exec, s[0:1]
	s_cbranch_vccnz .LBB232_197
; %bb.188:
	global_load_ubyte v4, v[2:3], off
	s_movk_i32 s0, 0x7f
	s_waitcnt vmcnt(0)
	v_cmp_lt_i16_e32 vcc, s0, v4
	s_mov_b64 s[0:1], 0
	s_and_saveexec_b64 s[2:3], vcc
	s_xor_b64 s[2:3], exec, s[2:3]
	s_cbranch_execz .LBB232_192
; %bb.189:
	s_movk_i32 s0, 0x80
	v_cmp_eq_u16_e32 vcc, s0, v4
	s_mov_b64 s[0:1], -1
	s_and_saveexec_b64 s[14:15], vcc
; %bb.190:
	s_xor_b64 s[0:1], exec, -1
; %bb.191:
	s_or_b64 exec, exec, s[14:15]
	s_and_b64 s[0:1], s[0:1], exec
.LBB232_192:
	s_or_saveexec_b64 s[2:3], s[2:3]
	v_mov_b32_e32 v0, 0x7f800001
	v_mov_b32_e32 v1, 0
	s_xor_b64 exec, exec, s[2:3]
; %bb.193:
	v_cmp_ne_u16_e32 vcc, 0, v4
	s_andn2_b64 s[0:1], s[0:1], exec
	s_and_b64 s[14:15], vcc, exec
	v_mov_b32_e32 v0, v1
	s_or_b64 s[0:1], s[0:1], s[14:15]
; %bb.194:
	s_or_b64 exec, exec, s[2:3]
	s_and_saveexec_b64 s[2:3], s[0:1]
	s_cbranch_execz .LBB232_196
; %bb.195:
	v_and_b32_e32 v1, 0xffff, v4
	v_lshlrev_b32_e32 v0, 24, v4
	v_and_b32_e32 v4, 7, v1
	v_ffbh_u32_e32 v6, v4
	v_min_u32_e32 v6, 32, v6
	v_subrev_u32_e32 v7, 28, v6
	v_bfe_u32 v5, v1, 3, 4
	v_lshlrev_b32_e32 v1, v7, v1
	v_sub_u32_e32 v6, 29, v6
	v_and_b32_e32 v1, 7, v1
	v_cmp_eq_u32_e32 vcc, 0, v5
	v_and_b32_e32 v0, 0x80000000, v0
	s_nop 0
	v_cndmask_b32_e32 v5, v5, v6, vcc
	v_cndmask_b32_e32 v1, v4, v1, vcc
	v_mov_b32_e32 v4, 0x3b800000
	v_lshlrev_b32_e32 v1, 20, v1
	v_lshl_add_u32 v4, v5, 23, v4
	v_or3_b32 v0, v0, v4, v1
	v_mov_b32_e32 v1, 0
.LBB232_196:
	s_or_b64 exec, exec, s[2:3]
.LBB232_197:
	s_mov_b64 s[0:1], -1
.LBB232_198:
	s_branch .LBB232_231
.LBB232_199:
	s_cmp_gt_i32 s20, 22
	s_cbranch_scc0 .LBB232_211
; %bb.200:
	s_cmp_lt_i32 s20, 24
	s_cbranch_scc1 .LBB232_212
; %bb.201:
	s_cmp_gt_i32 s20, 24
	s_cbranch_scc0 .LBB232_213
; %bb.202:
	global_load_ubyte v4, v[2:3], off
	s_movk_i32 s0, 0x7f
	s_waitcnt vmcnt(0)
	v_cmp_lt_i16_e32 vcc, s0, v4
	s_mov_b64 s[0:1], 0
	s_and_saveexec_b64 s[2:3], vcc
	s_xor_b64 s[2:3], exec, s[2:3]
	s_cbranch_execz .LBB232_206
; %bb.203:
	s_movk_i32 s0, 0x80
	v_cmp_eq_u16_e32 vcc, s0, v4
	s_mov_b64 s[0:1], -1
	s_and_saveexec_b64 s[14:15], vcc
; %bb.204:
	s_xor_b64 s[0:1], exec, -1
; %bb.205:
	s_or_b64 exec, exec, s[14:15]
	s_and_b64 s[0:1], s[0:1], exec
.LBB232_206:
	s_or_saveexec_b64 s[2:3], s[2:3]
	v_mov_b32_e32 v0, 0x7f800001
	v_mov_b32_e32 v1, 0
	s_xor_b64 exec, exec, s[2:3]
; %bb.207:
	v_cmp_ne_u16_e32 vcc, 0, v4
	s_andn2_b64 s[0:1], s[0:1], exec
	s_and_b64 s[14:15], vcc, exec
	v_mov_b32_e32 v0, v1
	s_or_b64 s[0:1], s[0:1], s[14:15]
; %bb.208:
	s_or_b64 exec, exec, s[2:3]
	s_and_saveexec_b64 s[2:3], s[0:1]
	s_cbranch_execz .LBB232_210
; %bb.209:
	v_and_b32_e32 v1, 0xffff, v4
	v_lshlrev_b32_e32 v0, 24, v4
	v_and_b32_e32 v4, 3, v1
	v_ffbh_u32_e32 v6, v4
	v_min_u32_e32 v6, 32, v6
	v_subrev_u32_e32 v7, 29, v6
	v_bfe_u32 v5, v1, 2, 5
	v_lshlrev_b32_e32 v1, v7, v1
	v_sub_u32_e32 v6, 30, v6
	v_and_b32_e32 v1, 3, v1
	v_cmp_eq_u32_e32 vcc, 0, v5
	v_and_b32_e32 v0, 0x80000000, v0
	s_nop 0
	v_cndmask_b32_e32 v5, v5, v6, vcc
	v_cndmask_b32_e32 v1, v4, v1, vcc
	v_mov_b32_e32 v4, 0x37800000
	v_lshlrev_b32_e32 v1, 21, v1
	v_lshl_add_u32 v4, v5, 23, v4
	v_or3_b32 v0, v0, v4, v1
	v_mov_b32_e32 v1, 0
.LBB232_210:
	s_or_b64 exec, exec, s[2:3]
	s_mov_b64 s[0:1], 0
	s_branch .LBB232_214
.LBB232_211:
	s_mov_b64 s[2:3], -1
                                        ; implicit-def: $vgpr0_vgpr1
	s_branch .LBB232_220
.LBB232_212:
	s_mov_b64 s[0:1], -1
                                        ; implicit-def: $vgpr0_vgpr1
	s_branch .LBB232_217
.LBB232_213:
	s_mov_b64 s[0:1], -1
                                        ; implicit-def: $vgpr0_vgpr1
.LBB232_214:
	s_and_b64 vcc, exec, s[0:1]
	s_cbranch_vccz .LBB232_216
; %bb.215:
	global_load_ubyte v0, v[2:3], off
	s_mov_b32 s0, 0x7f800000
	s_brev_b32 s1, 1
	s_waitcnt vmcnt(0)
	v_lshlrev_b32_e32 v0, 24, v0
	v_and_b32_e32 v1, 0x7f000000, v0
	v_ffbh_u32_e32 v4, v1
	v_min_u32_e32 v4, 32, v4
	v_sub_u32_e64 v4, v4, 4 clamp
	v_lshlrev_b32_e32 v6, v4, v1
	v_lshlrev_b32_e32 v4, 23, v4
	v_lshrrev_b32_e32 v6, 4, v6
	v_add_u32_e32 v5, 0x1000000, v1
	v_sub_u32_e32 v4, v6, v4
	v_ashrrev_i32_e32 v5, 8, v5
	v_add_u32_e32 v4, 0x3c000000, v4
	v_and_or_b32 v4, v5, s0, v4
	v_cmp_ne_u32_e32 vcc, 0, v1
	s_nop 1
	v_cndmask_b32_e32 v1, 0, v4, vcc
	v_and_or_b32 v0, v0, s1, v1
	v_mov_b32_e32 v1, 0
.LBB232_216:
	s_mov_b64 s[0:1], 0
.LBB232_217:
	s_andn2_b64 vcc, exec, s[0:1]
	s_cbranch_vccnz .LBB232_219
; %bb.218:
	global_load_ubyte v0, v[2:3], off
	s_movk_i32 s0, 0x7f00
	s_brev_b32 s1, 16
	s_brev_b32 s2, 1
	s_waitcnt vmcnt(0)
	v_lshlrev_b16_e32 v1, 8, v0
	v_lshlrev_b32_e32 v0, 25, v0
	v_lshrrev_b32_e32 v4, 4, v0
	v_and_or_b32 v5, v1, s0, 0.5
	v_or_b32_e32 v4, 0x70000000, v4
	v_add_f32_e32 v5, -0.5, v5
	v_mul_f32_e32 v4, 0x7800000, v4
	v_cmp_gt_u32_e32 vcc, s1, v0
	v_bfe_i32 v1, v1, 0, 16
	s_nop 0
	v_cndmask_b32_e32 v0, v4, v5, vcc
	v_and_or_b32 v0, v1, s2, v0
	v_mov_b32_e32 v1, 0
.LBB232_219:
	s_mov_b64 s[2:3], 0
	s_mov_b64 s[0:1], -1
.LBB232_220:
	s_andn2_b64 vcc, exec, s[2:3]
	s_cbranch_vccnz .LBB232_231
; %bb.221:
	s_cmp_gt_i32 s20, 14
	s_cbranch_scc0 .LBB232_224
; %bb.222:
	s_cmp_eq_u32 s20, 15
	s_cbranch_scc0 .LBB232_225
; %bb.223:
	global_load_ushort v0, v[2:3], off
	v_mov_b32_e32 v1, 0
	s_mov_b64 s[0:1], -1
	s_mov_b64 s[16:17], 0
	s_waitcnt vmcnt(0)
	v_lshlrev_b32_e32 v0, 16, v0
	s_branch .LBB232_226
.LBB232_224:
	s_mov_b64 s[2:3], -1
                                        ; implicit-def: $vgpr0_vgpr1
	s_branch .LBB232_227
.LBB232_225:
	s_mov_b64 s[16:17], -1
                                        ; implicit-def: $vgpr0_vgpr1
.LBB232_226:
	s_mov_b64 s[2:3], 0
.LBB232_227:
	s_and_b64 vcc, exec, s[2:3]
	s_cbranch_vccz .LBB232_231
; %bb.228:
	s_cmp_eq_u32 s20, 11
	s_cbranch_scc0 .LBB232_230
; %bb.229:
	global_load_ubyte v0, v[2:3], off
	v_mov_b32_e32 v1, 0
	s_mov_b64 s[0:1], -1
	s_mov_b64 s[16:17], 0
	s_waitcnt vmcnt(0)
	v_cmp_ne_u16_e32 vcc, 0, v0
	s_nop 1
	v_cndmask_b32_e64 v0, 0, 1.0, vcc
	s_branch .LBB232_231
.LBB232_230:
	s_mov_b64 s[16:17], -1
                                        ; implicit-def: $vgpr0_vgpr1
.LBB232_231:
	s_branch .LBB232_10
.LBB232_232:
	s_cmp_lt_i32 s20, 5
	s_cbranch_scc1 .LBB232_237
; %bb.233:
	s_cmp_lt_i32 s20, 8
	s_cbranch_scc1 .LBB232_238
; %bb.234:
	;; [unrolled: 3-line block ×3, first 2 shown]
	s_cmp_gt_i32 s20, 9
	s_cbranch_scc0 .LBB232_240
; %bb.236:
	global_load_dwordx4 v[4:7], v[2:3], off
	s_mov_b64 s[0:1], 0
	s_waitcnt vmcnt(0)
	v_cvt_f32_f64_e32 v1, v[6:7]
	v_cvt_f32_f64_e32 v0, v[4:5]
	s_branch .LBB232_241
.LBB232_237:
                                        ; implicit-def: $vgpr0_vgpr1
	s_branch .LBB232_259
.LBB232_238:
	s_mov_b64 s[0:1], -1
                                        ; implicit-def: $vgpr0_vgpr1
	s_branch .LBB232_247
.LBB232_239:
	s_mov_b64 s[0:1], -1
                                        ; implicit-def: $vgpr0_vgpr1
	s_branch .LBB232_244
.LBB232_240:
	s_mov_b64 s[0:1], -1
                                        ; implicit-def: $vgpr0_vgpr1
.LBB232_241:
	s_andn2_b64 vcc, exec, s[0:1]
	s_cbranch_vccnz .LBB232_243
; %bb.242:
	global_load_dwordx2 v[0:1], v[2:3], off
.LBB232_243:
	s_mov_b64 s[0:1], 0
.LBB232_244:
	s_andn2_b64 vcc, exec, s[0:1]
	s_cbranch_vccnz .LBB232_246
; %bb.245:
	global_load_dword v0, v[2:3], off
	s_waitcnt vmcnt(0)
	v_cvt_f32_f16_sdwa v1, v0 dst_sel:DWORD dst_unused:UNUSED_PAD src0_sel:WORD_1
	v_cvt_f32_f16_e32 v0, v0
.LBB232_246:
	s_mov_b64 s[0:1], 0
.LBB232_247:
	s_andn2_b64 vcc, exec, s[0:1]
	s_cbranch_vccnz .LBB232_258
; %bb.248:
	s_cmp_lt_i32 s20, 6
	s_cbranch_scc1 .LBB232_251
; %bb.249:
	s_cmp_gt_i32 s20, 6
	s_cbranch_scc0 .LBB232_252
; %bb.250:
	global_load_dwordx2 v[4:5], v[2:3], off
	s_waitcnt vmcnt(1)
	v_mov_b32_e32 v1, 0
	s_mov_b64 s[0:1], 0
	s_waitcnt vmcnt(0)
	v_cvt_f32_f64_e32 v0, v[4:5]
	s_branch .LBB232_253
.LBB232_251:
	s_mov_b64 s[0:1], -1
                                        ; implicit-def: $vgpr0_vgpr1
	s_branch .LBB232_256
.LBB232_252:
	s_mov_b64 s[0:1], -1
                                        ; implicit-def: $vgpr0_vgpr1
.LBB232_253:
	s_andn2_b64 vcc, exec, s[0:1]
	s_cbranch_vccnz .LBB232_255
; %bb.254:
	global_load_dword v0, v[2:3], off
	s_waitcnt vmcnt(1)
	v_mov_b32_e32 v1, 0
.LBB232_255:
	s_mov_b64 s[0:1], 0
.LBB232_256:
	s_andn2_b64 vcc, exec, s[0:1]
	s_cbranch_vccnz .LBB232_258
; %bb.257:
	global_load_ushort v0, v[2:3], off
	s_waitcnt vmcnt(1)
	v_mov_b32_e32 v1, 0
	s_waitcnt vmcnt(0)
	v_cvt_f32_f16_e32 v0, v0
.LBB232_258:
	s_cbranch_execnz .LBB232_278
.LBB232_259:
	s_cmp_lt_i32 s20, 2
	s_cbranch_scc1 .LBB232_263
; %bb.260:
	s_cmp_lt_i32 s20, 3
	s_cbranch_scc1 .LBB232_264
; %bb.261:
	s_cmp_gt_i32 s20, 3
	s_cbranch_scc0 .LBB232_265
; %bb.262:
	global_load_dwordx2 v[0:1], v[2:3], off
	s_mov_b64 s[0:1], 0
	s_waitcnt vmcnt(0)
	v_xor_b32_e32 v5, v0, v1
	v_ffbh_i32_e32 v4, v1
	v_ashrrev_i32_e32 v5, 31, v5
	v_add_u32_e32 v4, -1, v4
	v_add_u32_e32 v5, 32, v5
	v_min_u32_e32 v4, v4, v5
	v_lshlrev_b64 v[0:1], v4, v[0:1]
	v_min_u32_e32 v0, 1, v0
	v_or_b32_e32 v0, v1, v0
	v_cvt_f32_i32_e32 v0, v0
	v_sub_u32_e32 v4, 32, v4
	v_mov_b32_e32 v1, 0
	v_ldexp_f32 v0, v0, v4
	s_branch .LBB232_266
.LBB232_263:
	s_mov_b64 s[0:1], -1
                                        ; implicit-def: $vgpr0_vgpr1
	s_branch .LBB232_272
.LBB232_264:
	s_mov_b64 s[0:1], -1
                                        ; implicit-def: $vgpr0_vgpr1
	s_branch .LBB232_269
.LBB232_265:
	s_mov_b64 s[0:1], -1
                                        ; implicit-def: $vgpr0_vgpr1
.LBB232_266:
	s_andn2_b64 vcc, exec, s[0:1]
	s_cbranch_vccnz .LBB232_268
; %bb.267:
	global_load_dword v0, v[2:3], off
	s_waitcnt vmcnt(1)
	v_mov_b32_e32 v1, 0
	s_waitcnt vmcnt(0)
	v_cvt_f32_i32_e32 v0, v0
.LBB232_268:
	s_mov_b64 s[0:1], 0
.LBB232_269:
	s_andn2_b64 vcc, exec, s[0:1]
	s_cbranch_vccnz .LBB232_271
; %bb.270:
	global_load_sshort v0, v[2:3], off
	s_waitcnt vmcnt(1)
	v_mov_b32_e32 v1, 0
	s_waitcnt vmcnt(0)
	v_cvt_f32_i32_e32 v0, v0
.LBB232_271:
	s_mov_b64 s[0:1], 0
.LBB232_272:
	s_andn2_b64 vcc, exec, s[0:1]
	s_cbranch_vccnz .LBB232_278
; %bb.273:
	s_cmp_gt_i32 s20, 0
	s_cbranch_scc0 .LBB232_275
; %bb.274:
	global_load_sbyte v0, v[2:3], off
	s_waitcnt vmcnt(1)
	v_mov_b32_e32 v1, 0
	s_mov_b64 s[0:1], 0
	s_waitcnt vmcnt(0)
	v_cvt_f32_i32_e32 v0, v0
	s_branch .LBB232_276
.LBB232_275:
	s_mov_b64 s[0:1], -1
                                        ; implicit-def: $vgpr0_vgpr1
.LBB232_276:
	s_andn2_b64 vcc, exec, s[0:1]
	s_cbranch_vccnz .LBB232_278
; %bb.277:
	global_load_ubyte v0, v[2:3], off
	s_waitcnt vmcnt(1)
	v_mov_b32_e32 v1, 0
	s_waitcnt vmcnt(0)
	v_cvt_f32_ubyte0_e32 v0, v0
.LBB232_278:
	s_branch .LBB232_11
.LBB232_279:
	s_mov_b64 s[0:1], 0
                                        ; implicit-def: $vgpr12
	s_mov_b64 s[2:3], 0
.LBB232_280:
	s_and_b64 s[14:15], s[0:1], exec
	s_and_b64 s[16:17], s[16:17], exec
	s_orn2_b64 s[2:3], s[2:3], exec
.LBB232_281:
	s_or_b64 exec, exec, s[18:19]
	s_mov_b64 s[24:25], 0
	s_mov_b64 s[0:1], 0
                                        ; implicit-def: $vgpr2_vgpr3
                                        ; implicit-def: $vgpr0_vgpr1
	s_and_saveexec_b64 s[18:19], s[2:3]
	s_cbranch_execz .LBB232_290
; %bb.282:
	v_cmp_gt_i32_e32 vcc, s45, v12
	s_mov_b64 s[0:1], -1
	s_mov_b64 s[20:21], s[16:17]
	s_mov_b64 s[22:23], s[14:15]
	s_and_saveexec_b64 s[24:25], vcc
	s_cbranch_execz .LBB232_572
; %bb.283:
	s_waitcnt vmcnt(0)
	v_mul_lo_u32 v0, v12, s9
	v_ashrrev_i32_e32 v1, 31, v0
	s_and_b32 s26, 0xffff, s44
	s_cmp_lt_i32 s26, 11
	v_lshl_add_u64 v[2:3], s[6:7], 0, v[0:1]
	s_cbranch_scc1 .LBB232_293
; %bb.284:
	s_cmp_gt_i32 s26, 25
	s_cbranch_scc0 .LBB232_307
; %bb.285:
	s_cmp_gt_i32 s26, 28
	s_cbranch_scc0 .LBB232_308
	;; [unrolled: 3-line block ×4, first 2 shown]
; %bb.288:
	s_cmp_eq_u32 s26, 46
	s_mov_b64 s[2:3], 0
	s_cbranch_scc0 .LBB232_344
; %bb.289:
	global_load_dword v0, v[2:3], off
	s_mov_b64 s[20:21], 0
	s_waitcnt vmcnt(0)
	v_and_b32_e32 v1, 0xffff0000, v0
	v_lshlrev_b32_e32 v0, 16, v0
	s_branch .LBB232_345
.LBB232_290:
	s_or_b64 exec, exec, s[18:19]
	s_mov_b64 s[18:19], 0
	s_and_saveexec_b64 s[2:3], s[16:17]
	s_cbranch_execnz .LBB232_948
.LBB232_291:
	s_or_b64 exec, exec, s[2:3]
	s_and_saveexec_b64 s[2:3], s[22:23]
	s_xor_b64 s[2:3], exec, s[2:3]
	s_cbranch_execz .LBB232_949
.LBB232_292:
	global_load_ubyte v0, v[2:3], off
	s_waitcnt vmcnt(1)
	v_mov_b32_e32 v1, 0
	s_or_b64 s[0:1], s[0:1], exec
	s_waitcnt vmcnt(0)
	v_cmp_ne_u16_e32 vcc, 0, v0
	s_nop 1
	v_cndmask_b32_e64 v0, 0, 1.0, vcc
	s_or_b64 exec, exec, s[2:3]
	s_and_saveexec_b64 s[2:3], s[24:25]
	s_cbranch_execz .LBB232_995
	s_branch .LBB232_950
.LBB232_293:
	s_mov_b64 s[0:1], 0
                                        ; implicit-def: $vgpr0_vgpr1
	s_mov_b64 s[20:21], s[16:17]
	s_cbranch_execnz .LBB232_522
.LBB232_294:
	s_andn2_b64 vcc, exec, s[0:1]
	s_cbranch_vccnz .LBB232_570
.LBB232_295:
	s_waitcnt vmcnt(0)
	v_cmp_neq_f32_e32 vcc, 0, v0
	v_cmp_neq_f32_e64 s[0:1], 0, v1
	v_mov_b32_e32 v2, 0
	s_or_b64 s[0:1], vcc, s[0:1]
	s_and_saveexec_b64 s[22:23], s[0:1]
	s_cbranch_execz .LBB232_331
; %bb.296:
	v_mov_b32_e32 v2, 0x7f800000
	v_cmp_neq_f32_e64 s[0:1], |v1|, v2
	s_and_saveexec_b64 s[26:27], s[0:1]
	s_cbranch_execz .LBB232_330
; %bb.297:
	v_cmp_o_f32_e32 vcc, v0, v0
                                        ; implicit-def: $vgpr2
	s_and_saveexec_b64 s[0:1], vcc
	s_xor_b64 s[28:29], exec, s[0:1]
	s_cbranch_execz .LBB232_327
; %bb.298:
	s_mov_b32 s0, 0x7f800000
	v_cmp_neq_f32_e64 s[0:1], |v0|, s0
                                        ; implicit-def: $vgpr2
	s_and_saveexec_b64 s[2:3], s[0:1]
	s_xor_b64 s[30:31], exec, s[2:3]
	s_cbranch_execz .LBB232_320
; %bb.299:
	v_max_f32_e64 v2, |v1|, |v1|
	v_max_f32_e64 v3, |v0|, |v0|
	v_max_f32_e32 v2, v3, v2
	s_mov_b32 s0, 0x7ed413cb
	v_cmp_nle_f32_e64 s[0:1], s0, v2
                                        ; implicit-def: $sgpr34_sgpr35
	s_and_saveexec_b64 s[2:3], s[0:1]
	s_xor_b64 s[2:3], exec, s[2:3]
	s_cbranch_execz .LBB232_303
; %bb.300:
	s_mov_b32 s36, 0x1000000
	v_cmp_le_f32_e64 s[34:35], |v0|, s36
	v_cmp_le_f32_e64 s[36:37], |v1|, s36
	s_and_b64 s[38:39], s[34:35], s[36:37]
	s_mov_b64 s[34:35], 0
	s_and_saveexec_b64 s[36:37], s[38:39]
; %bb.301:
	s_mov_b64 s[34:35], exec
	v_pk_mul_f32 v[0:1], v[0:1], 4.0 op_sel_hi:[1,0]
; %bb.302:
	s_or_b64 exec, exec, s[36:37]
.LBB232_303:
	s_andn2_saveexec_b64 s[2:3], s[2:3]
; %bb.304:
	s_mov_b32 s36, 0x3e800000
	v_pk_mul_f32 v[0:1], v[0:1], s[36:37] op_sel_hi:[1,0]
	s_andn2_b64 s[34:35], s[34:35], exec
; %bb.305:
	s_or_b64 exec, exec, s[2:3]
	v_max_f32_e64 v2, |v1|, |v1|
	v_max_f32_e64 v3, |v0|, |v0|
	v_max_f32_e32 v4, v3, v2
	v_cvt_f64_f32_e32 v[2:3], v4
	v_frexp_exp_i32_f64_e32 v2, v[2:3]
	v_sub_u32_e32 v3, 0, v2
	v_ldexp_f32 v5, |v0|, v3
	v_ldexp_f32 v3, |v1|, v3
	v_mul_f32_e32 v3, v3, v3
	v_fmac_f32_e32 v3, v5, v5
	v_sqrt_f32_e32 v3, v3
	s_mov_b32 s2, 0x7f800000
	v_cmp_neq_f32_e64 s[2:3], s2, v4
	v_cmp_le_f32_e32 vcc, 0, v0
	v_ldexp_f32 v2, v3, v2
	v_mov_b32_e32 v3, 0x7f800000
	v_cndmask_b32_e64 v2, v3, v2, s[2:3]
                                        ; implicit-def: $vgpr4
                                        ; implicit-def: $vgpr3
	s_and_saveexec_b64 s[2:3], vcc
	s_xor_b64 s[36:37], exec, s[2:3]
	s_cbranch_execz .LBB232_313
; %bb.306:
	v_add_f32_e32 v0, v0, v2
	v_mul_f32_e32 v0, 0.5, v0
	s_mov_b32 s2, 0xf800000
	v_mul_f32_e32 v2, 0x4f800000, v0
	v_cmp_gt_f32_e32 vcc, s2, v0
	s_nop 1
	v_cndmask_b32_e32 v0, v0, v2, vcc
	v_sqrt_f32_e32 v2, v0
	s_nop 0
	v_add_u32_e32 v3, -1, v2
	v_fma_f32 v4, -v3, v2, v0
	v_cmp_ge_f32_e64 s[2:3], 0, v4
	v_add_u32_e32 v4, 1, v2
	s_nop 0
	v_cndmask_b32_e64 v3, v2, v3, s[2:3]
	v_fma_f32 v2, -v4, v2, v0
	v_cmp_lt_f32_e64 s[2:3], 0, v2
	s_nop 1
	v_cndmask_b32_e64 v2, v3, v4, s[2:3]
	v_mul_f32_e32 v3, 0x37800000, v2
	v_cndmask_b32_e32 v2, v2, v3, vcc
	v_mov_b32_e32 v3, 0x260
	v_cmp_class_f32_e32 vcc, v0, v3
	s_nop 1
	v_cndmask_b32_e32 v3, v2, v0, vcc
	v_add_f32_e32 v0, v3, v3
	v_div_scale_f32 v2, s[2:3], v0, v0, v1
	v_rcp_f32_e32 v4, v2
	s_nop 0
	v_fma_f32 v5, -v2, v4, 1.0
	v_fmac_f32_e32 v4, v5, v4
	v_div_scale_f32 v5, vcc, v1, v0, v1
	v_mul_f32_e32 v6, v5, v4
	v_fma_f32 v7, -v2, v6, v5
	v_fmac_f32_e32 v6, v7, v4
	v_fma_f32 v2, -v2, v6, v5
	v_div_fmas_f32 v2, v2, v4, v6
	v_div_fixup_f32 v4, v2, v0, v1
                                        ; implicit-def: $vgpr2
                                        ; implicit-def: $vgpr0_vgpr1
	s_andn2_saveexec_b64 s[36:37], s[36:37]
	s_cbranch_execz .LBB232_315
	s_branch .LBB232_314
.LBB232_307:
	s_mov_b64 s[2:3], -1
	s_mov_b64 s[0:1], 0
	s_mov_b64 s[20:21], s[16:17]
                                        ; implicit-def: $vgpr0_vgpr1
	s_branch .LBB232_488
.LBB232_308:
	s_mov_b64 s[2:3], -1
	s_mov_b64 s[0:1], 0
	s_mov_b64 s[20:21], s[16:17]
                                        ; implicit-def: $vgpr0_vgpr1
	s_branch .LBB232_467
.LBB232_309:
	s_mov_b64 s[2:3], -1
	s_mov_b64 s[0:1], 0
	s_mov_b64 s[20:21], s[16:17]
                                        ; implicit-def: $vgpr0_vgpr1
	s_branch .LBB232_462
.LBB232_310:
	s_andn2_saveexec_b64 s[20:21], s[20:21]
	s_cbranch_execz .LBB232_84
.LBB232_311:
	s_mov_b32 s26, 0x46000000
	v_add_f32_e64 v0, |v2|, s26
	v_and_b32_e32 v0, 0xff, v0
	v_cmp_ne_u32_e32 vcc, 0, v0
	s_andn2_b64 s[14:15], s[14:15], exec
	s_and_b64 s[26:27], vcc, exec
	s_or_b64 s[14:15], s[14:15], s[26:27]
	s_or_b64 exec, exec, s[20:21]
	v_mov_b32_e32 v3, 0
	s_and_saveexec_b64 s[20:21], s[14:15]
	s_cbranch_execnz .LBB232_85
	s_branch .LBB232_86
.LBB232_312:
	s_mov_b64 s[2:3], -1
	s_mov_b64 s[0:1], 0
	s_mov_b64 s[20:21], s[16:17]
                                        ; implicit-def: $vgpr0_vgpr1
	s_branch .LBB232_345
.LBB232_313:
	s_andn2_saveexec_b64 s[36:37], s[36:37]
	s_cbranch_execz .LBB232_315
.LBB232_314:
	v_sub_f32_e32 v0, v2, v0
	v_mul_f32_e32 v0, 0.5, v0
	s_mov_b32 s2, 0xf800000
	v_mul_f32_e32 v2, 0x4f800000, v0
	v_cmp_gt_f32_e32 vcc, s2, v0
	s_nop 1
	v_cndmask_b32_e32 v0, v0, v2, vcc
	v_sqrt_f32_e32 v2, v0
	s_nop 0
	v_add_u32_e32 v3, -1, v2
	v_fma_f32 v4, -v3, v2, v0
	v_cmp_ge_f32_e64 s[2:3], 0, v4
	v_add_u32_e32 v4, 1, v2
	s_nop 0
	v_cndmask_b32_e64 v3, v2, v3, s[2:3]
	v_fma_f32 v2, -v4, v2, v0
	v_cmp_lt_f32_e64 s[2:3], 0, v2
	s_nop 1
	v_cndmask_b32_e64 v2, v3, v4, s[2:3]
	v_mul_f32_e32 v3, 0x37800000, v2
	v_cndmask_b32_e32 v2, v2, v3, vcc
	v_mov_b32_e32 v3, 0x260
	v_cmp_class_f32_e32 vcc, v0, v3
	v_and_b32_e32 v3, 0x7fffffff, v1
	s_nop 0
	v_cndmask_b32_e32 v0, v2, v0, vcc
	v_add_f32_e32 v2, v0, v0
	v_div_scale_f32 v4, s[2:3], v2, v2, v3
	v_rcp_f32_e32 v5, v4
	v_div_scale_f32 v3, vcc, v3, v2, v3
	s_brev_b32 s2, -2
	v_fma_f32 v6, -v4, v5, 1.0
	v_fmac_f32_e32 v5, v6, v5
	v_mul_f32_e32 v6, v3, v5
	v_fma_f32 v7, -v4, v6, v3
	v_fmac_f32_e32 v6, v7, v5
	v_fma_f32 v3, -v4, v6, v3
	v_div_fmas_f32 v3, v3, v5, v6
	v_div_fixup_f32 v3, v3, v2, |v1|
	v_bfi_b32 v4, s2, v0, v1
.LBB232_315:
	s_or_b64 exec, exec, s[36:37]
                                        ; implicit-def: $vgpr1
                                        ; implicit-def: $vgpr2
	s_and_saveexec_b64 s[2:3], s[0:1]
	s_xor_b64 s[0:1], exec, s[2:3]
	s_cbranch_execz .LBB232_317
; %bb.316:
	v_mul_f32_e32 v0, 0.5, v3
	v_mul_f32_e32 v1, 0.5, v4
	v_cndmask_b32_e64 v2, v3, v0, s[34:35]
	v_cndmask_b32_e64 v1, v4, v1, s[34:35]
                                        ; implicit-def: $vgpr3
                                        ; implicit-def: $vgpr4
	s_andn2_saveexec_b64 s[0:1], s[0:1]
	s_cbranch_execnz .LBB232_318
	s_branch .LBB232_319
.LBB232_317:
	s_andn2_saveexec_b64 s[0:1], s[0:1]
.LBB232_318:
	v_add_f32_e32 v2, v3, v3
	v_add_f32_e32 v1, v4, v4
.LBB232_319:
	s_or_b64 exec, exec, s[0:1]
.LBB232_320:
	s_andn2_saveexec_b64 s[0:1], s[30:31]
	s_cbranch_execz .LBB232_326
; %bb.321:
	v_sub_f32_e32 v3, v1, v1
	v_cmp_lt_i32_e32 vcc, -1, v0
	s_brev_b32 s30, -2
	v_and_b32_e32 v2, 0x7fffffff, v3
	s_and_saveexec_b64 s[2:3], vcc
	s_xor_b64 s[2:3], exec, s[2:3]
; %bb.322:
	v_bfi_b32 v1, s30, v3, v1
	v_mov_b32_e32 v2, v0
; %bb.323:
	s_andn2_saveexec_b64 s[2:3], s[2:3]
; %bb.324:
	v_bfi_b32 v1, s30, v0, v1
; %bb.325:
	s_or_b64 exec, exec, s[2:3]
.LBB232_326:
	s_or_b64 exec, exec, s[0:1]
.LBB232_327:
	s_andn2_saveexec_b64 s[0:1], s[28:29]
	s_cbranch_execz .LBB232_329
; %bb.328:
	v_sub_f32_e32 v1, v1, v1
	v_div_scale_f32 v2, vcc, v1, v1, v1
	v_rcp_f32_e32 v3, v2
	s_nop 0
	v_fma_f32 v4, -v2, v3, 1.0
	v_fmac_f32_e32 v3, v4, v3
	v_mul_f32_e32 v4, v2, v3
	v_fma_f32 v5, -v2, v4, v2
	v_fmac_f32_e32 v4, v5, v3
	v_fma_f32 v2, -v2, v4, v2
	v_div_fmas_f32 v2, v2, v3, v4
	v_div_fixup_f32 v1, v2, v1, v1
	v_mov_b32_e32 v2, v0
.LBB232_329:
	s_or_b64 exec, exec, s[0:1]
.LBB232_330:
	s_or_b64 exec, exec, s[26:27]
.LBB232_331:
	s_or_b64 exec, exec, s[22:23]
	v_mul_lo_u32 v4, v12, s8
	v_ashrrev_i32_e32 v5, 31, v4
	s_and_b32 s28, s33, 0xff
	s_cmp_lt_i32 s28, 11
	v_lshl_add_u64 v[4:5], s[4:5], 0, v[4:5]
	s_cbranch_scc1 .LBB232_338
; %bb.332:
	s_and_b32 s29, 0xffff, s28
	s_cmp_gt_i32 s29, 25
	s_cbranch_scc0 .LBB232_339
; %bb.333:
	s_cmp_gt_i32 s29, 28
	s_cbranch_scc0 .LBB232_340
; %bb.334:
	;; [unrolled: 3-line block ×4, first 2 shown]
	s_mov_b64 s[22:23], 0
	s_mov_b64 s[0:1], -1
	s_cmp_eq_u32 s29, 46
	s_mov_b64 s[2:3], 0
	s_cbranch_scc0 .LBB232_349
; %bb.337:
	s_movk_i32 s0, 0x7fff
	v_bfe_u32 v3, v1, 16, 1
	v_add3_u32 v3, v1, v3, s0
	v_bfe_u32 v0, v2, 16, 1
	v_and_b32_e32 v3, 0xffff0000, v3
	v_mov_b32_e32 v6, 0x7fc00000
	v_cmp_o_f32_e32 vcc, v1, v1
	v_add3_u32 v0, v2, v0, s0
	s_mov_b64 s[2:3], -1
	v_cndmask_b32_e32 v3, v6, v3, vcc
	v_cmp_o_f32_e32 vcc, v2, v2
	v_mov_b32_e32 v6, 0x7fc0
	s_mov_b64 s[0:1], 0
	v_cndmask_b32_sdwa v0, v6, v0, vcc dst_sel:DWORD dst_unused:UNUSED_PAD src0_sel:DWORD src1_sel:WORD_1
	v_or_b32_e32 v0, v3, v0
	global_store_dword v[4:5], v0, off
	s_branch .LBB232_349
.LBB232_338:
	s_mov_b64 s[22:23], -1
	s_mov_b64 s[2:3], 0
	s_mov_b64 s[0:1], s[14:15]
	s_branch .LBB232_418
.LBB232_339:
	s_mov_b64 s[22:23], -1
	s_mov_b64 s[2:3], 0
	s_mov_b64 s[0:1], s[14:15]
	s_branch .LBB232_376
.LBB232_340:
	s_mov_b64 s[22:23], -1
	s_mov_b64 s[2:3], 0
	s_mov_b64 s[0:1], s[14:15]
	s_branch .LBB232_359
.LBB232_341:
	s_mov_b64 s[22:23], -1
	s_mov_b64 s[2:3], 0
	s_mov_b64 s[0:1], s[14:15]
	s_branch .LBB232_355
.LBB232_342:
	s_andn2_saveexec_b64 s[20:21], s[20:21]
	s_cbranch_execz .LBB232_97
.LBB232_343:
	s_mov_b32 s26, 0x42800000
	v_add_f32_e64 v0, |v2|, s26
	v_and_b32_e32 v0, 0xff, v0
	v_cmp_ne_u32_e32 vcc, 0, v0
	s_andn2_b64 s[14:15], s[14:15], exec
	s_and_b64 s[26:27], vcc, exec
	s_or_b64 s[14:15], s[14:15], s[26:27]
	s_or_b64 exec, exec, s[20:21]
	v_mov_b32_e32 v3, 0
	s_and_saveexec_b64 s[20:21], s[14:15]
	s_cbranch_execnz .LBB232_98
	s_branch .LBB232_99
.LBB232_344:
	s_mov_b64 s[20:21], -1
                                        ; implicit-def: $vgpr0_vgpr1
	s_mov_b64 s[0:1], 0
.LBB232_345:
	s_and_b64 vcc, exec, s[2:3]
	s_cbranch_vccz .LBB232_461
; %bb.346:
	s_cmp_eq_u32 s26, 44
	s_cbranch_scc0 .LBB232_460
; %bb.347:
	global_load_ubyte v0, v[2:3], off
	s_movk_i32 s2, 0xff
	v_mov_b32_e32 v4, 0x7f800001
	v_mov_b32_e32 v5, 0x400000
	;; [unrolled: 1-line block ×3, first 2 shown]
	s_mov_b64 s[0:1], -1
	s_mov_b64 s[20:21], 0
	s_waitcnt vmcnt(0)
	v_lshlrev_b32_e32 v6, 23, v0
	v_cmp_ne_u32_e32 vcc, s2, v0
	s_nop 1
	v_cndmask_b32_e32 v4, v4, v6, vcc
	v_cmp_ne_u32_e32 vcc, 0, v0
	s_nop 1
	v_cndmask_b32_e32 v0, v5, v4, vcc
	s_branch .LBB232_461
.LBB232_348:
	s_mov_b64 s[22:23], -1
	s_mov_b64 s[2:3], 0
	s_mov_b64 s[0:1], s[14:15]
.LBB232_349:
	s_and_b64 vcc, exec, s[22:23]
	s_cbranch_vccz .LBB232_354
; %bb.350:
	s_cmp_eq_u32 s29, 44
	s_mov_b64 s[0:1], -1
	s_cbranch_scc0 .LBB232_354
; %bb.351:
	v_bfe_u32 v0, v2, 23, 8
	s_movk_i32 s0, 0xff
	v_cmp_ne_u32_e32 vcc, s0, v0
	v_mov_b32_e32 v3, 0xff
	s_and_saveexec_b64 s[2:3], vcc
; %bb.352:
	s_mov_b32 s0, 0x3fffff
	v_and_b32_e32 v6, 0x400000, v2
	v_and_or_b32 v0, v2, s0, v0
	v_cmp_ne_u32_e32 vcc, 0, v6
	v_cmp_ne_u32_e64 s[0:1], 0, v0
	s_and_b64 s[0:1], vcc, s[0:1]
	v_lshrrev_b32_e32 v3, 23, v2
	v_cndmask_b32_e64 v0, 0, 1, s[0:1]
	v_add_u32_e32 v3, v3, v0
; %bb.353:
	s_or_b64 exec, exec, s[2:3]
	s_mov_b64 s[2:3], -1
	s_mov_b64 s[0:1], 0
	global_store_byte v[4:5], v3, off
.LBB232_354:
	s_mov_b64 s[22:23], 0
.LBB232_355:
	s_and_b64 vcc, exec, s[22:23]
	s_cbranch_vccz .LBB232_358
; %bb.356:
	s_cmp_eq_u32 s29, 29
	s_mov_b64 s[0:1], -1
	s_cbranch_scc0 .LBB232_358
; %bb.357:
	v_trunc_f32_e32 v0, v2
	v_mul_f32_e32 v3, 0x2f800000, v0
	v_floor_f32_e32 v3, v3
	v_fmamk_f32 v0, v3, 0xcf800000, v0
	v_cvt_u32_f32_e32 v7, v3
	v_cvt_u32_f32_e32 v6, v0
	s_mov_b64 s[2:3], -1
	s_mov_b64 s[0:1], 0
	s_mov_b64 s[22:23], 0
	global_store_dwordx2 v[4:5], v[6:7], off
	s_branch .LBB232_359
.LBB232_358:
	s_mov_b64 s[22:23], 0
.LBB232_359:
	s_and_b64 vcc, exec, s[22:23]
	s_cbranch_vccz .LBB232_375
; %bb.360:
	s_cmp_lt_i32 s29, 27
	s_mov_b64 s[2:3], -1
	s_cbranch_scc1 .LBB232_366
; %bb.361:
	v_cvt_u32_f32_e32 v0, v2
	s_cmp_gt_i32 s29, 27
	s_cbranch_scc0 .LBB232_363
; %bb.362:
	s_mov_b64 s[2:3], 0
	global_store_dword v[4:5], v0, off
.LBB232_363:
	s_andn2_b64 vcc, exec, s[2:3]
	s_cbranch_vccnz .LBB232_365
; %bb.364:
	global_store_short v[4:5], v0, off
.LBB232_365:
	s_mov_b64 s[2:3], 0
.LBB232_366:
	s_andn2_b64 vcc, exec, s[2:3]
	s_cbranch_vccnz .LBB232_374
; %bb.367:
	v_and_b32_e32 v0, 0x7fffffff, v2
	s_mov_b32 s2, 0x43800000
	v_cmp_gt_u32_e32 vcc, s2, v0
	v_mov_b32_e32 v3, 0x80
	s_and_saveexec_b64 s[2:3], vcc
	s_cbranch_execz .LBB232_373
; %bb.368:
	s_mov_b32 s22, 0x3bffffff
	v_cmp_lt_u32_e32 vcc, s22, v0
	s_mov_b64 s[22:23], 0
                                        ; implicit-def: $vgpr0
	s_and_saveexec_b64 s[26:27], vcc
	s_xor_b64 s[26:27], exec, s[26:27]
	s_cbranch_execz .LBB232_585
; %bb.369:
	v_bfe_u32 v0, v2, 20, 1
	s_mov_b32 s30, 0x487ffff
	v_add3_u32 v0, v2, v0, s30
	s_mov_b64 s[22:23], exec
	v_lshrrev_b32_e32 v0, 20, v0
	s_andn2_saveexec_b64 s[26:27], s[26:27]
	s_cbranch_execnz .LBB232_586
.LBB232_370:
	s_or_b64 exec, exec, s[26:27]
	v_mov_b32_e32 v3, 0
	s_and_saveexec_b64 s[26:27], s[22:23]
.LBB232_371:
	v_lshrrev_b32_e32 v3, 24, v2
	s_movk_i32 s22, 0x80
	v_and_or_b32 v3, v3, s22, v0
.LBB232_372:
	s_or_b64 exec, exec, s[26:27]
.LBB232_373:
	s_or_b64 exec, exec, s[2:3]
	global_store_byte v[4:5], v3, off
.LBB232_374:
	s_mov_b64 s[2:3], -1
.LBB232_375:
	s_mov_b64 s[22:23], 0
.LBB232_376:
	s_and_b64 vcc, exec, s[22:23]
	s_cbranch_vccz .LBB232_417
; %bb.377:
	s_cmp_gt_i32 s29, 22
	s_mov_b64 s[22:23], -1
	s_cbranch_scc0 .LBB232_409
; %bb.378:
	s_cmp_lt_i32 s29, 24
	s_mov_b64 s[2:3], -1
	s_cbranch_scc1 .LBB232_398
; %bb.379:
	s_cmp_gt_i32 s29, 24
	s_cbranch_scc0 .LBB232_387
; %bb.380:
	v_and_b32_e32 v0, 0x7fffffff, v2
	s_mov_b32 s2, 0x47800000
	v_cmp_gt_u32_e32 vcc, s2, v0
	v_mov_b32_e32 v3, 0x80
	s_and_saveexec_b64 s[2:3], vcc
	s_cbranch_execz .LBB232_386
; %bb.381:
	s_mov_b32 s22, 0x37ffffff
	v_cmp_lt_u32_e32 vcc, s22, v0
	s_mov_b64 s[22:23], 0
                                        ; implicit-def: $vgpr0
	s_and_saveexec_b64 s[26:27], vcc
	s_xor_b64 s[26:27], exec, s[26:27]
	s_cbranch_execz .LBB232_588
; %bb.382:
	v_bfe_u32 v0, v2, 21, 1
	s_mov_b32 s30, 0x88fffff
	v_add3_u32 v0, v2, v0, s30
	s_mov_b64 s[22:23], exec
	v_lshrrev_b32_e32 v0, 21, v0
	s_andn2_saveexec_b64 s[26:27], s[26:27]
	s_cbranch_execnz .LBB232_589
.LBB232_383:
	s_or_b64 exec, exec, s[26:27]
	v_mov_b32_e32 v3, 0
	s_and_saveexec_b64 s[26:27], s[22:23]
.LBB232_384:
	v_lshrrev_b32_e32 v3, 24, v2
	s_movk_i32 s22, 0x80
	v_and_or_b32 v3, v3, s22, v0
.LBB232_385:
	s_or_b64 exec, exec, s[26:27]
.LBB232_386:
	s_or_b64 exec, exec, s[2:3]
	s_mov_b64 s[2:3], 0
	global_store_byte v[4:5], v3, off
.LBB232_387:
	s_and_b64 vcc, exec, s[2:3]
	s_cbranch_vccz .LBB232_397
; %bb.388:
	v_and_b32_e32 v3, 0x7fffffff, v2
	s_mov_b32 s2, 0x43f00000
	v_cmp_gt_u32_e32 vcc, s2, v3
                                        ; implicit-def: $vgpr0
	s_and_saveexec_b64 s[2:3], vcc
	s_xor_b64 s[2:3], exec, s[2:3]
	s_cbranch_execz .LBB232_394
; %bb.389:
	s_mov_b32 s22, 0x3c7fffff
	v_cmp_lt_u32_e32 vcc, s22, v3
                                        ; implicit-def: $vgpr0
	s_and_saveexec_b64 s[22:23], vcc
	s_xor_b64 s[22:23], exec, s[22:23]
; %bb.390:
	v_bfe_u32 v0, v2, 20, 1
	s_mov_b32 s26, 0x407ffff
	v_add3_u32 v0, v2, v0, s26
	v_lshrrev_b32_e32 v3, 20, v0
	v_and_b32_e32 v0, 0xff00000, v0
	s_mov_b32 s26, 0x7f00000
	v_mov_b32_e32 v6, 0x7e
	v_cmp_ne_u32_e32 vcc, s26, v0
	s_nop 1
	v_cndmask_b32_e32 v0, v6, v3, vcc
; %bb.391:
	s_andn2_saveexec_b64 s[22:23], s[22:23]
; %bb.392:
	s_mov_b32 s26, 0x46800000
	v_add_f32_e64 v0, |v2|, s26
; %bb.393:
	s_or_b64 exec, exec, s[22:23]
                                        ; implicit-def: $vgpr3
.LBB232_394:
	s_andn2_saveexec_b64 s[2:3], s[2:3]
; %bb.395:
	s_mov_b32 s22, 0x7f800000
	v_mov_b32_e32 v0, 0x7e
	v_mov_b32_e32 v6, 0x7f
	v_cmp_lt_u32_e32 vcc, s22, v3
	s_nop 1
	v_cndmask_b32_e32 v0, v0, v6, vcc
; %bb.396:
	s_or_b64 exec, exec, s[2:3]
	v_lshrrev_b32_e32 v3, 24, v2
	s_movk_i32 s2, 0x80
	v_and_or_b32 v0, v3, s2, v0
	global_store_byte v[4:5], v0, off
.LBB232_397:
	s_mov_b64 s[2:3], 0
.LBB232_398:
	s_andn2_b64 vcc, exec, s[2:3]
	s_cbranch_vccnz .LBB232_408
; %bb.399:
	v_and_b32_e32 v3, 0x7fffffff, v2
	s_mov_b32 s2, 0x47800000
	v_cmp_gt_u32_e32 vcc, s2, v3
                                        ; implicit-def: $vgpr0
	s_and_saveexec_b64 s[2:3], vcc
	s_xor_b64 s[2:3], exec, s[2:3]
	s_cbranch_execz .LBB232_405
; %bb.400:
	s_mov_b32 s22, 0x387fffff
	v_cmp_lt_u32_e32 vcc, s22, v3
                                        ; implicit-def: $vgpr0
	s_and_saveexec_b64 s[22:23], vcc
	s_xor_b64 s[22:23], exec, s[22:23]
; %bb.401:
	v_bfe_u32 v0, v2, 21, 1
	s_mov_b32 s26, 0x80fffff
	v_add3_u32 v0, v2, v0, s26
	v_lshrrev_b32_e32 v0, 21, v0
; %bb.402:
	s_andn2_saveexec_b64 s[22:23], s[22:23]
; %bb.403:
	s_mov_b32 s26, 0x43000000
	v_add_f32_e64 v0, |v2|, s26
; %bb.404:
	s_or_b64 exec, exec, s[22:23]
                                        ; implicit-def: $vgpr3
.LBB232_405:
	s_andn2_saveexec_b64 s[2:3], s[2:3]
; %bb.406:
	s_mov_b32 s22, 0x7f800000
	v_mov_b32_e32 v0, 0x7c
	v_mov_b32_e32 v6, 0x7f
	v_cmp_lt_u32_e32 vcc, s22, v3
	s_nop 1
	v_cndmask_b32_e32 v0, v0, v6, vcc
; %bb.407:
	s_or_b64 exec, exec, s[2:3]
	v_lshrrev_b32_e32 v3, 24, v2
	s_movk_i32 s2, 0x80
	v_and_or_b32 v0, v3, s2, v0
	global_store_byte v[4:5], v0, off
.LBB232_408:
	s_mov_b64 s[22:23], 0
	s_mov_b64 s[2:3], -1
.LBB232_409:
	s_andn2_b64 vcc, exec, s[22:23]
	s_cbranch_vccnz .LBB232_417
; %bb.410:
	s_cmp_gt_i32 s29, 14
	s_mov_b64 s[22:23], -1
	s_cbranch_scc0 .LBB232_414
; %bb.411:
	s_cmp_eq_u32 s29, 15
	s_mov_b64 s[0:1], -1
	s_cbranch_scc0 .LBB232_413
; %bb.412:
	v_bfe_u32 v0, v2, 16, 1
	s_movk_i32 s0, 0x7fff
	v_add3_u32 v0, v2, v0, s0
	v_cmp_o_f32_e32 vcc, v2, v2
	v_mov_b32_e32 v3, 0x7fc0
	s_mov_b64 s[2:3], -1
	v_cndmask_b32_sdwa v0, v3, v0, vcc dst_sel:DWORD dst_unused:UNUSED_PAD src0_sel:DWORD src1_sel:WORD_1
	global_store_short v[4:5], v0, off
	s_mov_b64 s[0:1], 0
.LBB232_413:
	s_mov_b64 s[22:23], 0
.LBB232_414:
	s_and_b64 vcc, exec, s[22:23]
	s_cbranch_vccz .LBB232_417
; %bb.415:
	s_cmp_eq_u32 s29, 11
	s_mov_b64 s[0:1], -1
	s_cbranch_scc0 .LBB232_417
; %bb.416:
	v_cmp_neq_f32_e32 vcc, 0, v2
	v_cmp_neq_f32_e64 s[0:1], 0, v1
	s_or_b64 s[0:1], vcc, s[0:1]
	s_mov_b64 s[2:3], -1
	v_cndmask_b32_e64 v0, 0, 1, s[0:1]
	s_mov_b64 s[0:1], 0
	global_store_byte v[4:5], v0, off
.LBB232_417:
	s_mov_b64 s[22:23], 0
.LBB232_418:
	s_and_b64 vcc, exec, s[22:23]
	s_cbranch_vccz .LBB232_457
; %bb.419:
	s_and_b32 s22, 0xffff, s28
	s_cmp_lt_i32 s22, 5
	s_mov_b64 s[2:3], -1
	s_cbranch_scc1 .LBB232_440
; %bb.420:
	s_cmp_lt_i32 s22, 8
	s_cbranch_scc1 .LBB232_430
; %bb.421:
	s_cmp_lt_i32 s22, 9
	s_cbranch_scc1 .LBB232_427
; %bb.422:
	s_cmp_gt_i32 s22, 9
	s_cbranch_scc0 .LBB232_424
; %bb.423:
	v_cvt_f64_f32_e32 v[6:7], v2
	v_cvt_f64_f32_e32 v[8:9], v1
	s_mov_b64 s[2:3], 0
	global_store_dwordx4 v[4:5], v[6:9], off
.LBB232_424:
	s_andn2_b64 vcc, exec, s[2:3]
	s_cbranch_vccnz .LBB232_426
; %bb.425:
	v_mov_b32_e32 v3, v1
	global_store_dwordx2 v[4:5], v[2:3], off
.LBB232_426:
	s_mov_b64 s[2:3], 0
.LBB232_427:
	s_andn2_b64 vcc, exec, s[2:3]
	s_cbranch_vccnz .LBB232_429
; %bb.428:
	v_cvt_f16_f32_e32 v0, v2
	v_cvt_f16_f32_sdwa v1, v1 dst_sel:WORD_1 dst_unused:UNUSED_PAD src0_sel:DWORD
	s_nop 0
	v_or_b32_e32 v0, v1, v0
	global_store_dword v[4:5], v0, off
.LBB232_429:
	s_mov_b64 s[2:3], 0
.LBB232_430:
	s_andn2_b64 vcc, exec, s[2:3]
	s_cbranch_vccnz .LBB232_439
; %bb.431:
	s_cmp_lt_i32 s22, 6
	s_mov_b64 s[2:3], -1
	s_cbranch_scc1 .LBB232_437
; %bb.432:
	s_cmp_gt_i32 s22, 6
	s_cbranch_scc0 .LBB232_434
; %bb.433:
	v_cvt_f64_f32_e32 v[0:1], v2
	s_mov_b64 s[2:3], 0
	global_store_dwordx2 v[4:5], v[0:1], off
.LBB232_434:
	s_andn2_b64 vcc, exec, s[2:3]
	s_cbranch_vccnz .LBB232_436
; %bb.435:
	global_store_dword v[4:5], v2, off
.LBB232_436:
	s_mov_b64 s[2:3], 0
.LBB232_437:
	s_andn2_b64 vcc, exec, s[2:3]
	s_cbranch_vccnz .LBB232_439
; %bb.438:
	v_cvt_f16_f32_e32 v0, v2
	global_store_short v[4:5], v0, off
.LBB232_439:
	s_mov_b64 s[2:3], 0
.LBB232_440:
	s_andn2_b64 vcc, exec, s[2:3]
	s_cbranch_vccnz .LBB232_456
; %bb.441:
	s_cmp_lt_i32 s22, 2
	s_mov_b64 s[2:3], -1
	s_cbranch_scc1 .LBB232_451
; %bb.442:
	s_cmp_lt_i32 s22, 3
	s_cbranch_scc1 .LBB232_448
; %bb.443:
	s_cmp_gt_i32 s22, 3
	s_cbranch_scc0 .LBB232_445
; %bb.444:
	v_trunc_f32_e32 v0, v2
	s_mov_b32 s2, 0x2f800000
	v_mul_f32_e64 v1, |v0|, s2
	v_floor_f32_e32 v1, v1
	s_mov_b32 s2, 0xcf800000
	v_cvt_u32_f32_e32 v3, v1
	v_fma_f32 v1, v1, s2, |v0|
	v_cvt_u32_f32_e32 v1, v1
	v_ashrrev_i32_e32 v6, 31, v0
	v_xor_b32_e32 v3, v3, v6
	s_mov_b64 s[2:3], 0
	v_xor_b32_e32 v0, v1, v6
	v_sub_co_u32_e32 v0, vcc, v0, v6
	s_nop 1
	v_subb_co_u32_e32 v1, vcc, v3, v6, vcc
	global_store_dwordx2 v[4:5], v[0:1], off
.LBB232_445:
	s_andn2_b64 vcc, exec, s[2:3]
	s_cbranch_vccnz .LBB232_447
; %bb.446:
	v_cvt_i32_f32_e32 v0, v2
	global_store_dword v[4:5], v0, off
.LBB232_447:
	s_mov_b64 s[2:3], 0
.LBB232_448:
	s_andn2_b64 vcc, exec, s[2:3]
	s_cbranch_vccnz .LBB232_450
; %bb.449:
	v_cvt_i32_f32_e32 v0, v2
	global_store_short v[4:5], v0, off
.LBB232_450:
	s_mov_b64 s[2:3], 0
.LBB232_451:
	s_andn2_b64 vcc, exec, s[2:3]
	s_cbranch_vccnz .LBB232_456
; %bb.452:
	s_cmp_gt_i32 s22, 0
	s_mov_b64 s[2:3], -1
	s_cbranch_scc0 .LBB232_454
; %bb.453:
	v_cvt_i32_f32_e32 v0, v2
	s_mov_b64 s[2:3], 0
	global_store_byte v[4:5], v0, off
.LBB232_454:
	s_andn2_b64 vcc, exec, s[2:3]
	s_cbranch_vccnz .LBB232_456
; %bb.455:
	v_trunc_f32_e32 v0, v2
	s_mov_b32 s2, 0x2f800000
	v_mul_f32_e64 v1, |v0|, s2
	v_floor_f32_e32 v1, v1
	s_mov_b32 s2, 0xcf800000
	v_fma_f32 v1, v1, s2, |v0|
	v_cvt_u32_f32_e32 v1, v1
	v_ashrrev_i32_e32 v0, 31, v0
	v_xor_b32_e32 v1, v1, v0
	v_sub_u32_e32 v0, v1, v0
	global_store_byte v[4:5], v0, off
.LBB232_456:
	s_mov_b64 s[2:3], -1
.LBB232_457:
	s_andn2_b64 vcc, exec, s[2:3]
	s_cbranch_vccnz .LBB232_459
; %bb.458:
	v_add_u32_e32 v12, 0x80, v12
	s_mov_b64 s[2:3], -1
	s_branch .LBB232_571
.LBB232_459:
	s_mov_b64 s[2:3], 0
                                        ; implicit-def: $vgpr12
	s_branch .LBB232_571
.LBB232_460:
	s_mov_b64 s[20:21], -1
                                        ; implicit-def: $vgpr0_vgpr1
.LBB232_461:
	s_mov_b64 s[2:3], 0
.LBB232_462:
	s_and_b64 vcc, exec, s[2:3]
	s_cbranch_vccz .LBB232_466
; %bb.463:
	s_cmp_eq_u32 s26, 29
	s_cbranch_scc0 .LBB232_465
; %bb.464:
	global_load_dwordx2 v[0:1], v[2:3], off
	s_mov_b64 s[0:1], -1
	s_mov_b64 s[20:21], 0
	s_mov_b64 s[2:3], 0
	s_waitcnt vmcnt(0)
	v_ffbh_u32_e32 v4, v1
	v_min_u32_e32 v4, 32, v4
	v_lshlrev_b64 v[0:1], v4, v[0:1]
	v_min_u32_e32 v0, 1, v0
	v_or_b32_e32 v0, v1, v0
	v_cvt_f32_u32_e32 v0, v0
	v_sub_u32_e32 v4, 32, v4
	v_mov_b32_e32 v1, 0
	v_ldexp_f32 v0, v0, v4
	s_branch .LBB232_467
.LBB232_465:
	s_mov_b64 s[20:21], -1
                                        ; implicit-def: $vgpr0_vgpr1
.LBB232_466:
	s_mov_b64 s[2:3], 0
.LBB232_467:
	s_and_b64 vcc, exec, s[2:3]
	s_cbranch_vccz .LBB232_487
; %bb.468:
	s_cmp_lt_i32 s26, 27
	s_cbranch_scc1 .LBB232_471
; %bb.469:
	s_cmp_gt_i32 s26, 27
	s_cbranch_scc0 .LBB232_472
; %bb.470:
	global_load_dword v0, v[2:3], off
	v_mov_b32_e32 v1, 0
	s_mov_b64 s[0:1], 0
	s_waitcnt vmcnt(0)
	v_cvt_f32_u32_e32 v0, v0
	s_branch .LBB232_473
.LBB232_471:
	s_mov_b64 s[0:1], -1
                                        ; implicit-def: $vgpr0_vgpr1
	s_branch .LBB232_476
.LBB232_472:
	s_mov_b64 s[0:1], -1
                                        ; implicit-def: $vgpr0_vgpr1
.LBB232_473:
	s_andn2_b64 vcc, exec, s[0:1]
	s_cbranch_vccnz .LBB232_475
; %bb.474:
	global_load_ushort v0, v[2:3], off
	v_mov_b32_e32 v1, 0
	s_waitcnt vmcnt(0)
	v_cvt_f32_u32_e32 v0, v0
.LBB232_475:
	s_mov_b64 s[0:1], 0
.LBB232_476:
	s_andn2_b64 vcc, exec, s[0:1]
	s_cbranch_vccnz .LBB232_486
; %bb.477:
	global_load_ubyte v4, v[2:3], off
	s_movk_i32 s0, 0x7f
	s_waitcnt vmcnt(0)
	v_cmp_lt_i16_e32 vcc, s0, v4
	s_mov_b64 s[0:1], 0
	s_and_saveexec_b64 s[2:3], vcc
	s_xor_b64 s[2:3], exec, s[2:3]
	s_cbranch_execz .LBB232_481
; %bb.478:
	s_movk_i32 s0, 0x80
	v_cmp_eq_u16_e32 vcc, s0, v4
	s_mov_b64 s[0:1], -1
	s_and_saveexec_b64 s[22:23], vcc
; %bb.479:
	s_xor_b64 s[0:1], exec, -1
; %bb.480:
	s_or_b64 exec, exec, s[22:23]
	s_and_b64 s[0:1], s[0:1], exec
.LBB232_481:
	s_or_saveexec_b64 s[2:3], s[2:3]
	v_mov_b32_e32 v0, 0x7f800001
	v_mov_b32_e32 v1, 0
	s_xor_b64 exec, exec, s[2:3]
; %bb.482:
	v_cmp_ne_u16_e32 vcc, 0, v4
	s_andn2_b64 s[0:1], s[0:1], exec
	s_and_b64 s[22:23], vcc, exec
	v_mov_b32_e32 v0, v1
	s_or_b64 s[0:1], s[0:1], s[22:23]
; %bb.483:
	s_or_b64 exec, exec, s[2:3]
	s_and_saveexec_b64 s[2:3], s[0:1]
	s_cbranch_execz .LBB232_485
; %bb.484:
	v_and_b32_e32 v1, 0xffff, v4
	v_lshlrev_b32_e32 v0, 24, v4
	v_and_b32_e32 v4, 7, v1
	v_ffbh_u32_e32 v6, v4
	v_min_u32_e32 v6, 32, v6
	v_subrev_u32_e32 v7, 28, v6
	v_bfe_u32 v5, v1, 3, 4
	v_lshlrev_b32_e32 v1, v7, v1
	v_sub_u32_e32 v6, 29, v6
	v_and_b32_e32 v1, 7, v1
	v_cmp_eq_u32_e32 vcc, 0, v5
	v_and_b32_e32 v0, 0x80000000, v0
	s_nop 0
	v_cndmask_b32_e32 v5, v5, v6, vcc
	v_cndmask_b32_e32 v1, v4, v1, vcc
	v_mov_b32_e32 v4, 0x3b800000
	v_lshlrev_b32_e32 v1, 20, v1
	v_lshl_add_u32 v4, v5, 23, v4
	v_or3_b32 v0, v0, v4, v1
	v_mov_b32_e32 v1, 0
.LBB232_485:
	s_or_b64 exec, exec, s[2:3]
.LBB232_486:
	s_mov_b64 s[0:1], -1
.LBB232_487:
	s_mov_b64 s[2:3], 0
.LBB232_488:
	s_and_b64 vcc, exec, s[2:3]
	s_cbranch_vccz .LBB232_521
; %bb.489:
	s_cmp_gt_i32 s26, 22
	s_cbranch_scc0 .LBB232_501
; %bb.490:
	s_cmp_lt_i32 s26, 24
	s_cbranch_scc1 .LBB232_502
; %bb.491:
	s_cmp_gt_i32 s26, 24
	s_cbranch_scc0 .LBB232_503
; %bb.492:
	global_load_ubyte v4, v[2:3], off
	s_movk_i32 s0, 0x7f
	s_waitcnt vmcnt(0)
	v_cmp_lt_i16_e32 vcc, s0, v4
	s_mov_b64 s[0:1], 0
	s_and_saveexec_b64 s[2:3], vcc
	s_xor_b64 s[2:3], exec, s[2:3]
	s_cbranch_execz .LBB232_496
; %bb.493:
	s_movk_i32 s0, 0x80
	v_cmp_eq_u16_e32 vcc, s0, v4
	s_mov_b64 s[0:1], -1
	s_and_saveexec_b64 s[22:23], vcc
; %bb.494:
	s_xor_b64 s[0:1], exec, -1
; %bb.495:
	s_or_b64 exec, exec, s[22:23]
	s_and_b64 s[0:1], s[0:1], exec
.LBB232_496:
	s_or_saveexec_b64 s[2:3], s[2:3]
	v_mov_b32_e32 v0, 0x7f800001
	v_mov_b32_e32 v1, 0
	s_xor_b64 exec, exec, s[2:3]
; %bb.497:
	v_cmp_ne_u16_e32 vcc, 0, v4
	s_andn2_b64 s[0:1], s[0:1], exec
	s_and_b64 s[22:23], vcc, exec
	v_mov_b32_e32 v0, v1
	s_or_b64 s[0:1], s[0:1], s[22:23]
; %bb.498:
	s_or_b64 exec, exec, s[2:3]
	s_and_saveexec_b64 s[2:3], s[0:1]
	s_cbranch_execz .LBB232_500
; %bb.499:
	v_and_b32_e32 v1, 0xffff, v4
	v_lshlrev_b32_e32 v0, 24, v4
	v_and_b32_e32 v4, 3, v1
	v_ffbh_u32_e32 v6, v4
	v_min_u32_e32 v6, 32, v6
	v_subrev_u32_e32 v7, 29, v6
	v_bfe_u32 v5, v1, 2, 5
	v_lshlrev_b32_e32 v1, v7, v1
	v_sub_u32_e32 v6, 30, v6
	v_and_b32_e32 v1, 3, v1
	v_cmp_eq_u32_e32 vcc, 0, v5
	v_and_b32_e32 v0, 0x80000000, v0
	s_nop 0
	v_cndmask_b32_e32 v5, v5, v6, vcc
	v_cndmask_b32_e32 v1, v4, v1, vcc
	v_mov_b32_e32 v4, 0x37800000
	v_lshlrev_b32_e32 v1, 21, v1
	v_lshl_add_u32 v4, v5, 23, v4
	v_or3_b32 v0, v0, v4, v1
	v_mov_b32_e32 v1, 0
.LBB232_500:
	s_or_b64 exec, exec, s[2:3]
	s_mov_b64 s[0:1], 0
	s_branch .LBB232_504
.LBB232_501:
	s_mov_b64 s[2:3], -1
                                        ; implicit-def: $vgpr0_vgpr1
	s_branch .LBB232_510
.LBB232_502:
	s_mov_b64 s[0:1], -1
                                        ; implicit-def: $vgpr0_vgpr1
	s_branch .LBB232_507
.LBB232_503:
	s_mov_b64 s[0:1], -1
                                        ; implicit-def: $vgpr0_vgpr1
.LBB232_504:
	s_and_b64 vcc, exec, s[0:1]
	s_cbranch_vccz .LBB232_506
; %bb.505:
	global_load_ubyte v0, v[2:3], off
	s_mov_b32 s0, 0x7f800000
	s_brev_b32 s1, 1
	s_waitcnt vmcnt(0)
	v_lshlrev_b32_e32 v0, 24, v0
	v_and_b32_e32 v1, 0x7f000000, v0
	v_ffbh_u32_e32 v4, v1
	v_min_u32_e32 v4, 32, v4
	v_sub_u32_e64 v4, v4, 4 clamp
	v_lshlrev_b32_e32 v6, v4, v1
	v_lshlrev_b32_e32 v4, 23, v4
	v_lshrrev_b32_e32 v6, 4, v6
	v_add_u32_e32 v5, 0x1000000, v1
	v_sub_u32_e32 v4, v6, v4
	v_ashrrev_i32_e32 v5, 8, v5
	v_add_u32_e32 v4, 0x3c000000, v4
	v_and_or_b32 v4, v5, s0, v4
	v_cmp_ne_u32_e32 vcc, 0, v1
	s_nop 1
	v_cndmask_b32_e32 v1, 0, v4, vcc
	v_and_or_b32 v0, v0, s1, v1
	v_mov_b32_e32 v1, 0
.LBB232_506:
	s_mov_b64 s[0:1], 0
.LBB232_507:
	s_andn2_b64 vcc, exec, s[0:1]
	s_cbranch_vccnz .LBB232_509
; %bb.508:
	global_load_ubyte v0, v[2:3], off
	s_movk_i32 s0, 0x7f00
	s_brev_b32 s1, 16
	s_brev_b32 s2, 1
	s_waitcnt vmcnt(0)
	v_lshlrev_b16_e32 v1, 8, v0
	v_lshlrev_b32_e32 v0, 25, v0
	v_lshrrev_b32_e32 v4, 4, v0
	v_and_or_b32 v5, v1, s0, 0.5
	v_or_b32_e32 v4, 0x70000000, v4
	v_add_f32_e32 v5, -0.5, v5
	v_mul_f32_e32 v4, 0x7800000, v4
	v_cmp_gt_u32_e32 vcc, s1, v0
	v_bfe_i32 v1, v1, 0, 16
	s_nop 0
	v_cndmask_b32_e32 v0, v4, v5, vcc
	v_and_or_b32 v0, v1, s2, v0
	v_mov_b32_e32 v1, 0
.LBB232_509:
	s_mov_b64 s[2:3], 0
	s_mov_b64 s[0:1], -1
.LBB232_510:
	s_andn2_b64 vcc, exec, s[2:3]
	s_cbranch_vccnz .LBB232_521
; %bb.511:
	s_cmp_gt_i32 s26, 14
	s_cbranch_scc0 .LBB232_514
; %bb.512:
	s_cmp_eq_u32 s26, 15
	s_cbranch_scc0 .LBB232_515
; %bb.513:
	global_load_ushort v0, v[2:3], off
	v_mov_b32_e32 v1, 0
	s_mov_b64 s[0:1], -1
	s_mov_b64 s[20:21], 0
	s_waitcnt vmcnt(0)
	v_lshlrev_b32_e32 v0, 16, v0
	s_branch .LBB232_516
.LBB232_514:
	s_mov_b64 s[2:3], -1
                                        ; implicit-def: $vgpr0_vgpr1
	s_branch .LBB232_517
.LBB232_515:
	s_mov_b64 s[20:21], -1
                                        ; implicit-def: $vgpr0_vgpr1
.LBB232_516:
	s_mov_b64 s[2:3], 0
.LBB232_517:
	s_and_b64 vcc, exec, s[2:3]
	s_cbranch_vccz .LBB232_521
; %bb.518:
	s_cmp_eq_u32 s26, 11
	s_cbranch_scc0 .LBB232_520
; %bb.519:
	global_load_ubyte v0, v[2:3], off
	v_mov_b32_e32 v1, 0
	s_mov_b64 s[0:1], -1
	s_mov_b64 s[20:21], 0
	s_waitcnt vmcnt(0)
	v_cmp_ne_u16_e32 vcc, 0, v0
	s_nop 1
	v_cndmask_b32_e64 v0, 0, 1.0, vcc
	s_branch .LBB232_521
.LBB232_520:
	s_mov_b64 s[20:21], -1
                                        ; implicit-def: $vgpr0_vgpr1
.LBB232_521:
	s_branch .LBB232_294
.LBB232_522:
	s_cmp_lt_i32 s26, 5
	s_cbranch_scc1 .LBB232_527
; %bb.523:
	s_cmp_lt_i32 s26, 8
	s_cbranch_scc1 .LBB232_528
; %bb.524:
	;; [unrolled: 3-line block ×3, first 2 shown]
	s_cmp_gt_i32 s26, 9
	s_cbranch_scc0 .LBB232_530
; %bb.526:
	global_load_dwordx4 v[4:7], v[2:3], off
	s_mov_b64 s[0:1], 0
	s_waitcnt vmcnt(0)
	v_cvt_f32_f64_e32 v1, v[6:7]
	v_cvt_f32_f64_e32 v0, v[4:5]
	s_branch .LBB232_531
.LBB232_527:
	s_mov_b64 s[0:1], -1
                                        ; implicit-def: $vgpr0_vgpr1
	s_branch .LBB232_549
.LBB232_528:
	s_mov_b64 s[0:1], -1
                                        ; implicit-def: $vgpr0_vgpr1
	s_branch .LBB232_537
.LBB232_529:
	s_mov_b64 s[0:1], -1
                                        ; implicit-def: $vgpr0_vgpr1
	s_branch .LBB232_534
.LBB232_530:
	s_mov_b64 s[0:1], -1
                                        ; implicit-def: $vgpr0_vgpr1
.LBB232_531:
	s_andn2_b64 vcc, exec, s[0:1]
	s_cbranch_vccnz .LBB232_533
; %bb.532:
	global_load_dwordx2 v[0:1], v[2:3], off
.LBB232_533:
	s_mov_b64 s[0:1], 0
.LBB232_534:
	s_andn2_b64 vcc, exec, s[0:1]
	s_cbranch_vccnz .LBB232_536
; %bb.535:
	global_load_dword v0, v[2:3], off
	s_waitcnt vmcnt(0)
	v_cvt_f32_f16_sdwa v1, v0 dst_sel:DWORD dst_unused:UNUSED_PAD src0_sel:WORD_1
	v_cvt_f32_f16_e32 v0, v0
.LBB232_536:
	s_mov_b64 s[0:1], 0
.LBB232_537:
	s_andn2_b64 vcc, exec, s[0:1]
	s_cbranch_vccnz .LBB232_548
; %bb.538:
	s_cmp_lt_i32 s26, 6
	s_cbranch_scc1 .LBB232_541
; %bb.539:
	s_cmp_gt_i32 s26, 6
	s_cbranch_scc0 .LBB232_542
; %bb.540:
	global_load_dwordx2 v[4:5], v[2:3], off
	s_waitcnt vmcnt(1)
	v_mov_b32_e32 v1, 0
	s_mov_b64 s[0:1], 0
	s_waitcnt vmcnt(0)
	v_cvt_f32_f64_e32 v0, v[4:5]
	s_branch .LBB232_543
.LBB232_541:
	s_mov_b64 s[0:1], -1
                                        ; implicit-def: $vgpr0_vgpr1
	s_branch .LBB232_546
.LBB232_542:
	s_mov_b64 s[0:1], -1
                                        ; implicit-def: $vgpr0_vgpr1
.LBB232_543:
	s_andn2_b64 vcc, exec, s[0:1]
	s_cbranch_vccnz .LBB232_545
; %bb.544:
	global_load_dword v0, v[2:3], off
	s_waitcnt vmcnt(1)
	v_mov_b32_e32 v1, 0
.LBB232_545:
	s_mov_b64 s[0:1], 0
.LBB232_546:
	s_andn2_b64 vcc, exec, s[0:1]
	s_cbranch_vccnz .LBB232_548
; %bb.547:
	global_load_ushort v0, v[2:3], off
	s_waitcnt vmcnt(1)
	v_mov_b32_e32 v1, 0
	s_waitcnt vmcnt(0)
	v_cvt_f32_f16_e32 v0, v0
.LBB232_548:
	s_mov_b64 s[0:1], 0
.LBB232_549:
	s_andn2_b64 vcc, exec, s[0:1]
	s_cbranch_vccnz .LBB232_569
; %bb.550:
	s_cmp_lt_i32 s26, 2
	s_cbranch_scc1 .LBB232_554
; %bb.551:
	s_cmp_lt_i32 s26, 3
	s_cbranch_scc1 .LBB232_555
; %bb.552:
	s_cmp_gt_i32 s26, 3
	s_cbranch_scc0 .LBB232_556
; %bb.553:
	global_load_dwordx2 v[0:1], v[2:3], off
	s_mov_b64 s[0:1], 0
	s_waitcnt vmcnt(0)
	v_xor_b32_e32 v5, v0, v1
	v_ffbh_i32_e32 v4, v1
	v_ashrrev_i32_e32 v5, 31, v5
	v_add_u32_e32 v4, -1, v4
	v_add_u32_e32 v5, 32, v5
	v_min_u32_e32 v4, v4, v5
	v_lshlrev_b64 v[0:1], v4, v[0:1]
	v_min_u32_e32 v0, 1, v0
	v_or_b32_e32 v0, v1, v0
	v_cvt_f32_i32_e32 v0, v0
	v_sub_u32_e32 v4, 32, v4
	v_mov_b32_e32 v1, 0
	v_ldexp_f32 v0, v0, v4
	s_branch .LBB232_557
.LBB232_554:
	s_mov_b64 s[0:1], -1
                                        ; implicit-def: $vgpr0_vgpr1
	s_branch .LBB232_563
.LBB232_555:
	s_mov_b64 s[0:1], -1
                                        ; implicit-def: $vgpr0_vgpr1
	s_branch .LBB232_560
.LBB232_556:
	s_mov_b64 s[0:1], -1
                                        ; implicit-def: $vgpr0_vgpr1
.LBB232_557:
	s_andn2_b64 vcc, exec, s[0:1]
	s_cbranch_vccnz .LBB232_559
; %bb.558:
	global_load_dword v0, v[2:3], off
	s_waitcnt vmcnt(1)
	v_mov_b32_e32 v1, 0
	s_waitcnt vmcnt(0)
	v_cvt_f32_i32_e32 v0, v0
.LBB232_559:
	s_mov_b64 s[0:1], 0
.LBB232_560:
	s_andn2_b64 vcc, exec, s[0:1]
	s_cbranch_vccnz .LBB232_562
; %bb.561:
	global_load_sshort v0, v[2:3], off
	s_waitcnt vmcnt(1)
	v_mov_b32_e32 v1, 0
	s_waitcnt vmcnt(0)
	v_cvt_f32_i32_e32 v0, v0
.LBB232_562:
	s_mov_b64 s[0:1], 0
.LBB232_563:
	s_andn2_b64 vcc, exec, s[0:1]
	s_cbranch_vccnz .LBB232_569
; %bb.564:
	s_cmp_gt_i32 s26, 0
	s_cbranch_scc0 .LBB232_566
; %bb.565:
	global_load_sbyte v0, v[2:3], off
	s_waitcnt vmcnt(1)
	v_mov_b32_e32 v1, 0
	s_mov_b64 s[0:1], 0
	s_waitcnt vmcnt(0)
	v_cvt_f32_i32_e32 v0, v0
	s_branch .LBB232_567
.LBB232_566:
	s_mov_b64 s[0:1], -1
                                        ; implicit-def: $vgpr0_vgpr1
.LBB232_567:
	s_andn2_b64 vcc, exec, s[0:1]
	s_cbranch_vccnz .LBB232_569
; %bb.568:
	global_load_ubyte v0, v[2:3], off
	s_waitcnt vmcnt(1)
	v_mov_b32_e32 v1, 0
	s_waitcnt vmcnt(0)
	v_cvt_f32_ubyte0_e32 v0, v0
.LBB232_569:
	s_branch .LBB232_295
.LBB232_570:
	s_mov_b64 s[2:3], 0
                                        ; implicit-def: $vgpr12
	s_mov_b64 s[0:1], s[14:15]
.LBB232_571:
	s_andn2_b64 s[22:23], s[14:15], exec
	s_and_b64 s[0:1], s[0:1], exec
	s_or_b64 s[22:23], s[22:23], s[0:1]
	s_andn2_b64 s[0:1], s[16:17], exec
	s_and_b64 s[20:21], s[20:21], exec
	s_or_b64 s[20:21], s[0:1], s[20:21]
	s_orn2_b64 s[0:1], s[2:3], exec
.LBB232_572:
	s_or_b64 exec, exec, s[24:25]
	s_mov_b64 s[2:3], 0
	s_mov_b64 s[26:27], 0
	;; [unrolled: 1-line block ×3, first 2 shown]
                                        ; implicit-def: $vgpr2_vgpr3
                                        ; implicit-def: $vgpr0_vgpr1
	s_and_saveexec_b64 s[24:25], s[0:1]
	s_cbranch_execz .LBB232_947
; %bb.573:
	v_cmp_gt_i32_e32 vcc, s45, v12
	s_mov_b64 s[34:35], -1
	s_mov_b64 s[0:1], s[20:21]
	s_mov_b64 s[2:3], s[22:23]
	s_and_saveexec_b64 s[26:27], vcc
	s_cbranch_execz .LBB232_861
; %bb.574:
	s_waitcnt vmcnt(0)
	v_mul_lo_u32 v0, v12, s9
	v_ashrrev_i32_e32 v1, 31, v0
	s_and_b32 s34, 0xffff, s44
	s_cmp_lt_i32 s34, 11
	v_lshl_add_u64 v[2:3], s[6:7], 0, v[0:1]
	s_cbranch_scc1 .LBB232_581
; %bb.575:
	s_cmp_gt_i32 s34, 25
	s_cbranch_scc0 .LBB232_582
; %bb.576:
	s_cmp_gt_i32 s34, 28
	s_cbranch_scc0 .LBB232_583
	;; [unrolled: 3-line block ×4, first 2 shown]
; %bb.579:
	s_cmp_eq_u32 s34, 46
	s_mov_b64 s[2:3], 0
	s_cbranch_scc0 .LBB232_590
; %bb.580:
	global_load_dword v0, v[2:3], off
	s_mov_b64 s[0:1], -1
	s_waitcnt vmcnt(0)
	v_and_b32_e32 v1, 0xffff0000, v0
	v_lshlrev_b32_e32 v0, 16, v0
	s_branch .LBB232_591
.LBB232_581:
	s_mov_b64 s[2:3], -1
	s_mov_b64 s[0:1], 0
                                        ; implicit-def: $vgpr0_vgpr1
	s_mov_b64 s[28:29], s[20:21]
	s_branch .LBB232_656
.LBB232_582:
	s_mov_b64 s[2:3], -1
	s_mov_b64 s[0:1], 0
	s_mov_b64 s[28:29], s[20:21]
                                        ; implicit-def: $vgpr0_vgpr1
	s_branch .LBB232_622
.LBB232_583:
	s_mov_b64 s[2:3], -1
	s_mov_b64 s[0:1], 0
	s_mov_b64 s[28:29], s[20:21]
                                        ; implicit-def: $vgpr0_vgpr1
	s_branch .LBB232_601
.LBB232_584:
	s_mov_b64 s[2:3], -1
	s_mov_b64 s[0:1], 0
	s_mov_b64 s[28:29], s[20:21]
                                        ; implicit-def: $vgpr0_vgpr1
	s_branch .LBB232_596
.LBB232_585:
	s_andn2_saveexec_b64 s[26:27], s[26:27]
	s_cbranch_execz .LBB232_370
.LBB232_586:
	s_mov_b32 s30, 0x46000000
	v_add_f32_e64 v0, |v2|, s30
	v_and_b32_e32 v0, 0xff, v0
	v_cmp_ne_u32_e32 vcc, 0, v0
	s_andn2_b64 s[22:23], s[22:23], exec
	s_and_b64 s[30:31], vcc, exec
	s_or_b64 s[22:23], s[22:23], s[30:31]
	s_or_b64 exec, exec, s[26:27]
	v_mov_b32_e32 v3, 0
	s_and_saveexec_b64 s[26:27], s[22:23]
	s_cbranch_execnz .LBB232_371
	s_branch .LBB232_372
.LBB232_587:
	s_mov_b64 s[2:3], -1
	s_mov_b64 s[0:1], 0
	s_mov_b64 s[28:29], s[20:21]
                                        ; implicit-def: $vgpr0_vgpr1
	s_branch .LBB232_591
.LBB232_588:
	s_andn2_saveexec_b64 s[26:27], s[26:27]
	s_cbranch_execz .LBB232_383
.LBB232_589:
	s_mov_b32 s30, 0x42800000
	v_add_f32_e64 v0, |v2|, s30
	v_and_b32_e32 v0, 0xff, v0
	v_cmp_ne_u32_e32 vcc, 0, v0
	s_andn2_b64 s[22:23], s[22:23], exec
	s_and_b64 s[30:31], vcc, exec
	s_or_b64 s[22:23], s[22:23], s[30:31]
	s_or_b64 exec, exec, s[26:27]
	v_mov_b32_e32 v3, 0
	s_and_saveexec_b64 s[26:27], s[22:23]
	s_cbranch_execnz .LBB232_384
	s_branch .LBB232_385
.LBB232_590:
	s_mov_b64 s[28:29], -1
                                        ; implicit-def: $vgpr0_vgpr1
	s_mov_b64 s[0:1], 0
.LBB232_591:
	s_and_b64 vcc, exec, s[2:3]
	s_cbranch_vccz .LBB232_595
; %bb.592:
	s_cmp_eq_u32 s34, 44
	s_cbranch_scc0 .LBB232_594
; %bb.593:
	global_load_ubyte v0, v[2:3], off
	s_movk_i32 s2, 0xff
	v_mov_b32_e32 v4, 0x7f800001
	v_mov_b32_e32 v5, 0x400000
	;; [unrolled: 1-line block ×3, first 2 shown]
	s_mov_b64 s[0:1], -1
	s_mov_b64 s[28:29], 0
	s_waitcnt vmcnt(0)
	v_lshlrev_b32_e32 v6, 23, v0
	v_cmp_ne_u32_e32 vcc, s2, v0
	s_nop 1
	v_cndmask_b32_e32 v4, v4, v6, vcc
	v_cmp_ne_u32_e32 vcc, 0, v0
	s_nop 1
	v_cndmask_b32_e32 v0, v5, v4, vcc
	s_branch .LBB232_595
.LBB232_594:
	s_mov_b64 s[28:29], -1
                                        ; implicit-def: $vgpr0_vgpr1
.LBB232_595:
	s_mov_b64 s[2:3], 0
.LBB232_596:
	s_and_b64 vcc, exec, s[2:3]
	s_cbranch_vccz .LBB232_600
; %bb.597:
	s_cmp_eq_u32 s34, 29
	s_cbranch_scc0 .LBB232_599
; %bb.598:
	global_load_dwordx2 v[0:1], v[2:3], off
	s_mov_b64 s[0:1], -1
	s_mov_b64 s[28:29], 0
	s_mov_b64 s[2:3], 0
	s_waitcnt vmcnt(0)
	v_ffbh_u32_e32 v4, v1
	v_min_u32_e32 v4, 32, v4
	v_lshlrev_b64 v[0:1], v4, v[0:1]
	v_min_u32_e32 v0, 1, v0
	v_or_b32_e32 v0, v1, v0
	v_cvt_f32_u32_e32 v0, v0
	v_sub_u32_e32 v4, 32, v4
	v_mov_b32_e32 v1, 0
	v_ldexp_f32 v0, v0, v4
	s_branch .LBB232_601
.LBB232_599:
	s_mov_b64 s[28:29], -1
                                        ; implicit-def: $vgpr0_vgpr1
.LBB232_600:
	s_mov_b64 s[2:3], 0
.LBB232_601:
	s_and_b64 vcc, exec, s[2:3]
	s_cbranch_vccz .LBB232_621
; %bb.602:
	s_cmp_lt_i32 s34, 27
	s_cbranch_scc1 .LBB232_605
; %bb.603:
	s_cmp_gt_i32 s34, 27
	s_cbranch_scc0 .LBB232_606
; %bb.604:
	global_load_dword v0, v[2:3], off
	v_mov_b32_e32 v1, 0
	s_mov_b64 s[0:1], 0
	s_waitcnt vmcnt(0)
	v_cvt_f32_u32_e32 v0, v0
	s_branch .LBB232_607
.LBB232_605:
	s_mov_b64 s[0:1], -1
                                        ; implicit-def: $vgpr0_vgpr1
	s_branch .LBB232_610
.LBB232_606:
	s_mov_b64 s[0:1], -1
                                        ; implicit-def: $vgpr0_vgpr1
.LBB232_607:
	s_andn2_b64 vcc, exec, s[0:1]
	s_cbranch_vccnz .LBB232_609
; %bb.608:
	global_load_ushort v0, v[2:3], off
	v_mov_b32_e32 v1, 0
	s_waitcnt vmcnt(0)
	v_cvt_f32_u32_e32 v0, v0
.LBB232_609:
	s_mov_b64 s[0:1], 0
.LBB232_610:
	s_andn2_b64 vcc, exec, s[0:1]
	s_cbranch_vccnz .LBB232_620
; %bb.611:
	global_load_ubyte v4, v[2:3], off
	s_movk_i32 s0, 0x7f
	s_waitcnt vmcnt(0)
	v_cmp_lt_i16_e32 vcc, s0, v4
	s_mov_b64 s[0:1], 0
	s_and_saveexec_b64 s[2:3], vcc
	s_xor_b64 s[2:3], exec, s[2:3]
	s_cbranch_execz .LBB232_615
; %bb.612:
	s_movk_i32 s0, 0x80
	v_cmp_eq_u16_e32 vcc, s0, v4
	s_mov_b64 s[0:1], -1
	s_and_saveexec_b64 s[30:31], vcc
; %bb.613:
	s_xor_b64 s[0:1], exec, -1
; %bb.614:
	s_or_b64 exec, exec, s[30:31]
	s_and_b64 s[0:1], s[0:1], exec
.LBB232_615:
	s_or_saveexec_b64 s[2:3], s[2:3]
	v_mov_b32_e32 v0, 0x7f800001
	v_mov_b32_e32 v1, 0
	s_xor_b64 exec, exec, s[2:3]
; %bb.616:
	v_cmp_ne_u16_e32 vcc, 0, v4
	s_andn2_b64 s[0:1], s[0:1], exec
	s_and_b64 s[30:31], vcc, exec
	v_mov_b32_e32 v0, v1
	s_or_b64 s[0:1], s[0:1], s[30:31]
; %bb.617:
	s_or_b64 exec, exec, s[2:3]
	s_and_saveexec_b64 s[2:3], s[0:1]
	s_cbranch_execz .LBB232_619
; %bb.618:
	v_and_b32_e32 v1, 0xffff, v4
	v_lshlrev_b32_e32 v0, 24, v4
	v_and_b32_e32 v4, 7, v1
	v_ffbh_u32_e32 v6, v4
	v_min_u32_e32 v6, 32, v6
	v_subrev_u32_e32 v7, 28, v6
	v_bfe_u32 v5, v1, 3, 4
	v_lshlrev_b32_e32 v1, v7, v1
	v_sub_u32_e32 v6, 29, v6
	v_and_b32_e32 v1, 7, v1
	v_cmp_eq_u32_e32 vcc, 0, v5
	v_and_b32_e32 v0, 0x80000000, v0
	s_nop 0
	v_cndmask_b32_e32 v5, v5, v6, vcc
	v_cndmask_b32_e32 v1, v4, v1, vcc
	v_mov_b32_e32 v4, 0x3b800000
	v_lshlrev_b32_e32 v1, 20, v1
	v_lshl_add_u32 v4, v5, 23, v4
	v_or3_b32 v0, v0, v4, v1
	v_mov_b32_e32 v1, 0
.LBB232_619:
	s_or_b64 exec, exec, s[2:3]
.LBB232_620:
	s_mov_b64 s[0:1], -1
.LBB232_621:
	s_mov_b64 s[2:3], 0
.LBB232_622:
	s_and_b64 vcc, exec, s[2:3]
	s_cbranch_vccz .LBB232_655
; %bb.623:
	s_cmp_gt_i32 s34, 22
	s_cbranch_scc0 .LBB232_635
; %bb.624:
	s_cmp_lt_i32 s34, 24
	s_cbranch_scc1 .LBB232_636
; %bb.625:
	s_cmp_gt_i32 s34, 24
	s_cbranch_scc0 .LBB232_637
; %bb.626:
	global_load_ubyte v4, v[2:3], off
	s_movk_i32 s0, 0x7f
	s_waitcnt vmcnt(0)
	v_cmp_lt_i16_e32 vcc, s0, v4
	s_mov_b64 s[0:1], 0
	s_and_saveexec_b64 s[2:3], vcc
	s_xor_b64 s[2:3], exec, s[2:3]
	s_cbranch_execz .LBB232_630
; %bb.627:
	s_movk_i32 s0, 0x80
	v_cmp_eq_u16_e32 vcc, s0, v4
	s_mov_b64 s[0:1], -1
	s_and_saveexec_b64 s[30:31], vcc
; %bb.628:
	s_xor_b64 s[0:1], exec, -1
; %bb.629:
	s_or_b64 exec, exec, s[30:31]
	s_and_b64 s[0:1], s[0:1], exec
.LBB232_630:
	s_or_saveexec_b64 s[2:3], s[2:3]
	v_mov_b32_e32 v0, 0x7f800001
	v_mov_b32_e32 v1, 0
	s_xor_b64 exec, exec, s[2:3]
; %bb.631:
	v_cmp_ne_u16_e32 vcc, 0, v4
	s_andn2_b64 s[0:1], s[0:1], exec
	s_and_b64 s[30:31], vcc, exec
	v_mov_b32_e32 v0, v1
	s_or_b64 s[0:1], s[0:1], s[30:31]
; %bb.632:
	s_or_b64 exec, exec, s[2:3]
	s_and_saveexec_b64 s[2:3], s[0:1]
	s_cbranch_execz .LBB232_634
; %bb.633:
	v_and_b32_e32 v1, 0xffff, v4
	v_lshlrev_b32_e32 v0, 24, v4
	v_and_b32_e32 v4, 3, v1
	v_ffbh_u32_e32 v6, v4
	v_min_u32_e32 v6, 32, v6
	v_subrev_u32_e32 v7, 29, v6
	v_bfe_u32 v5, v1, 2, 5
	v_lshlrev_b32_e32 v1, v7, v1
	v_sub_u32_e32 v6, 30, v6
	v_and_b32_e32 v1, 3, v1
	v_cmp_eq_u32_e32 vcc, 0, v5
	v_and_b32_e32 v0, 0x80000000, v0
	s_nop 0
	v_cndmask_b32_e32 v5, v5, v6, vcc
	v_cndmask_b32_e32 v1, v4, v1, vcc
	v_mov_b32_e32 v4, 0x37800000
	v_lshlrev_b32_e32 v1, 21, v1
	v_lshl_add_u32 v4, v5, 23, v4
	v_or3_b32 v0, v0, v4, v1
	v_mov_b32_e32 v1, 0
.LBB232_634:
	s_or_b64 exec, exec, s[2:3]
	s_mov_b64 s[0:1], 0
	s_branch .LBB232_638
.LBB232_635:
	s_mov_b64 s[2:3], -1
                                        ; implicit-def: $vgpr0_vgpr1
	s_branch .LBB232_644
.LBB232_636:
	s_mov_b64 s[0:1], -1
                                        ; implicit-def: $vgpr0_vgpr1
	s_branch .LBB232_641
.LBB232_637:
	s_mov_b64 s[0:1], -1
                                        ; implicit-def: $vgpr0_vgpr1
.LBB232_638:
	s_and_b64 vcc, exec, s[0:1]
	s_cbranch_vccz .LBB232_640
; %bb.639:
	global_load_ubyte v0, v[2:3], off
	s_mov_b32 s0, 0x7f800000
	s_brev_b32 s1, 1
	s_waitcnt vmcnt(0)
	v_lshlrev_b32_e32 v0, 24, v0
	v_and_b32_e32 v1, 0x7f000000, v0
	v_ffbh_u32_e32 v4, v1
	v_min_u32_e32 v4, 32, v4
	v_sub_u32_e64 v4, v4, 4 clamp
	v_lshlrev_b32_e32 v6, v4, v1
	v_lshlrev_b32_e32 v4, 23, v4
	v_lshrrev_b32_e32 v6, 4, v6
	v_add_u32_e32 v5, 0x1000000, v1
	v_sub_u32_e32 v4, v6, v4
	v_ashrrev_i32_e32 v5, 8, v5
	v_add_u32_e32 v4, 0x3c000000, v4
	v_and_or_b32 v4, v5, s0, v4
	v_cmp_ne_u32_e32 vcc, 0, v1
	s_nop 1
	v_cndmask_b32_e32 v1, 0, v4, vcc
	v_and_or_b32 v0, v0, s1, v1
	v_mov_b32_e32 v1, 0
.LBB232_640:
	s_mov_b64 s[0:1], 0
.LBB232_641:
	s_andn2_b64 vcc, exec, s[0:1]
	s_cbranch_vccnz .LBB232_643
; %bb.642:
	global_load_ubyte v0, v[2:3], off
	s_movk_i32 s0, 0x7f00
	s_brev_b32 s1, 16
	s_brev_b32 s2, 1
	s_waitcnt vmcnt(0)
	v_lshlrev_b16_e32 v1, 8, v0
	v_lshlrev_b32_e32 v0, 25, v0
	v_lshrrev_b32_e32 v4, 4, v0
	v_and_or_b32 v5, v1, s0, 0.5
	v_or_b32_e32 v4, 0x70000000, v4
	v_add_f32_e32 v5, -0.5, v5
	v_mul_f32_e32 v4, 0x7800000, v4
	v_cmp_gt_u32_e32 vcc, s1, v0
	v_bfe_i32 v1, v1, 0, 16
	s_nop 0
	v_cndmask_b32_e32 v0, v4, v5, vcc
	v_and_or_b32 v0, v1, s2, v0
	v_mov_b32_e32 v1, 0
.LBB232_643:
	s_mov_b64 s[2:3], 0
	s_mov_b64 s[0:1], -1
.LBB232_644:
	s_andn2_b64 vcc, exec, s[2:3]
	s_cbranch_vccnz .LBB232_655
; %bb.645:
	s_cmp_gt_i32 s34, 14
	s_cbranch_scc0 .LBB232_648
; %bb.646:
	s_cmp_eq_u32 s34, 15
	s_cbranch_scc0 .LBB232_649
; %bb.647:
	global_load_ushort v0, v[2:3], off
	v_mov_b32_e32 v1, 0
	s_mov_b64 s[0:1], -1
	s_mov_b64 s[28:29], 0
	s_waitcnt vmcnt(0)
	v_lshlrev_b32_e32 v0, 16, v0
	s_branch .LBB232_650
.LBB232_648:
	s_mov_b64 s[2:3], -1
                                        ; implicit-def: $vgpr0_vgpr1
	s_branch .LBB232_651
.LBB232_649:
	s_mov_b64 s[28:29], -1
                                        ; implicit-def: $vgpr0_vgpr1
.LBB232_650:
	s_mov_b64 s[2:3], 0
.LBB232_651:
	s_and_b64 vcc, exec, s[2:3]
	s_cbranch_vccz .LBB232_655
; %bb.652:
	s_cmp_eq_u32 s34, 11
	s_cbranch_scc0 .LBB232_654
; %bb.653:
	global_load_ubyte v0, v[2:3], off
	v_mov_b32_e32 v1, 0
	s_mov_b64 s[0:1], -1
	s_mov_b64 s[28:29], 0
	s_waitcnt vmcnt(0)
	v_cmp_ne_u16_e32 vcc, 0, v0
	s_nop 1
	v_cndmask_b32_e64 v0, 0, 1.0, vcc
	s_branch .LBB232_655
.LBB232_654:
	s_mov_b64 s[28:29], -1
                                        ; implicit-def: $vgpr0_vgpr1
.LBB232_655:
	s_mov_b64 s[2:3], 0
.LBB232_656:
	s_and_b64 vcc, exec, s[2:3]
	s_cbranch_vccz .LBB232_705
; %bb.657:
	s_cmp_lt_i32 s34, 5
	s_cbranch_scc1 .LBB232_662
; %bb.658:
	s_cmp_lt_i32 s34, 8
	s_cbranch_scc1 .LBB232_663
	;; [unrolled: 3-line block ×3, first 2 shown]
; %bb.660:
	s_cmp_gt_i32 s34, 9
	s_cbranch_scc0 .LBB232_665
; %bb.661:
	global_load_dwordx4 v[4:7], v[2:3], off
	s_mov_b64 s[0:1], 0
	s_waitcnt vmcnt(0)
	v_cvt_f32_f64_e32 v1, v[6:7]
	v_cvt_f32_f64_e32 v0, v[4:5]
	s_branch .LBB232_666
.LBB232_662:
	s_mov_b64 s[0:1], -1
                                        ; implicit-def: $vgpr0_vgpr1
	s_branch .LBB232_684
.LBB232_663:
	s_mov_b64 s[0:1], -1
                                        ; implicit-def: $vgpr0_vgpr1
	s_branch .LBB232_672
.LBB232_664:
	s_mov_b64 s[0:1], -1
                                        ; implicit-def: $vgpr0_vgpr1
	s_branch .LBB232_669
.LBB232_665:
	s_mov_b64 s[0:1], -1
                                        ; implicit-def: $vgpr0_vgpr1
.LBB232_666:
	s_andn2_b64 vcc, exec, s[0:1]
	s_cbranch_vccnz .LBB232_668
; %bb.667:
	global_load_dwordx2 v[0:1], v[2:3], off
.LBB232_668:
	s_mov_b64 s[0:1], 0
.LBB232_669:
	s_andn2_b64 vcc, exec, s[0:1]
	s_cbranch_vccnz .LBB232_671
; %bb.670:
	global_load_dword v0, v[2:3], off
	s_waitcnt vmcnt(0)
	v_cvt_f32_f16_sdwa v1, v0 dst_sel:DWORD dst_unused:UNUSED_PAD src0_sel:WORD_1
	v_cvt_f32_f16_e32 v0, v0
.LBB232_671:
	s_mov_b64 s[0:1], 0
.LBB232_672:
	s_andn2_b64 vcc, exec, s[0:1]
	s_cbranch_vccnz .LBB232_683
; %bb.673:
	s_cmp_lt_i32 s34, 6
	s_cbranch_scc1 .LBB232_676
; %bb.674:
	s_cmp_gt_i32 s34, 6
	s_cbranch_scc0 .LBB232_677
; %bb.675:
	global_load_dwordx2 v[4:5], v[2:3], off
	s_waitcnt vmcnt(1)
	v_mov_b32_e32 v1, 0
	s_mov_b64 s[0:1], 0
	s_waitcnt vmcnt(0)
	v_cvt_f32_f64_e32 v0, v[4:5]
	s_branch .LBB232_678
.LBB232_676:
	s_mov_b64 s[0:1], -1
                                        ; implicit-def: $vgpr0_vgpr1
	s_branch .LBB232_681
.LBB232_677:
	s_mov_b64 s[0:1], -1
                                        ; implicit-def: $vgpr0_vgpr1
.LBB232_678:
	s_andn2_b64 vcc, exec, s[0:1]
	s_cbranch_vccnz .LBB232_680
; %bb.679:
	global_load_dword v0, v[2:3], off
	s_waitcnt vmcnt(1)
	v_mov_b32_e32 v1, 0
.LBB232_680:
	s_mov_b64 s[0:1], 0
.LBB232_681:
	s_andn2_b64 vcc, exec, s[0:1]
	s_cbranch_vccnz .LBB232_683
; %bb.682:
	global_load_ushort v0, v[2:3], off
	s_waitcnt vmcnt(1)
	v_mov_b32_e32 v1, 0
	s_waitcnt vmcnt(0)
	v_cvt_f32_f16_e32 v0, v0
.LBB232_683:
	s_mov_b64 s[0:1], 0
.LBB232_684:
	s_andn2_b64 vcc, exec, s[0:1]
	s_cbranch_vccnz .LBB232_704
; %bb.685:
	s_cmp_lt_i32 s34, 2
	s_cbranch_scc1 .LBB232_689
; %bb.686:
	s_cmp_lt_i32 s34, 3
	s_cbranch_scc1 .LBB232_690
; %bb.687:
	s_cmp_gt_i32 s34, 3
	s_cbranch_scc0 .LBB232_691
; %bb.688:
	global_load_dwordx2 v[0:1], v[2:3], off
	s_mov_b64 s[0:1], 0
	s_waitcnt vmcnt(0)
	v_xor_b32_e32 v5, v0, v1
	v_ffbh_i32_e32 v4, v1
	v_ashrrev_i32_e32 v5, 31, v5
	v_add_u32_e32 v4, -1, v4
	v_add_u32_e32 v5, 32, v5
	v_min_u32_e32 v4, v4, v5
	v_lshlrev_b64 v[0:1], v4, v[0:1]
	v_min_u32_e32 v0, 1, v0
	v_or_b32_e32 v0, v1, v0
	v_cvt_f32_i32_e32 v0, v0
	v_sub_u32_e32 v4, 32, v4
	v_mov_b32_e32 v1, 0
	v_ldexp_f32 v0, v0, v4
	s_branch .LBB232_692
.LBB232_689:
	s_mov_b64 s[0:1], -1
                                        ; implicit-def: $vgpr0_vgpr1
	s_branch .LBB232_698
.LBB232_690:
	s_mov_b64 s[0:1], -1
                                        ; implicit-def: $vgpr0_vgpr1
	s_branch .LBB232_695
.LBB232_691:
	s_mov_b64 s[0:1], -1
                                        ; implicit-def: $vgpr0_vgpr1
.LBB232_692:
	s_andn2_b64 vcc, exec, s[0:1]
	s_cbranch_vccnz .LBB232_694
; %bb.693:
	global_load_dword v0, v[2:3], off
	s_waitcnt vmcnt(1)
	v_mov_b32_e32 v1, 0
	s_waitcnt vmcnt(0)
	v_cvt_f32_i32_e32 v0, v0
.LBB232_694:
	s_mov_b64 s[0:1], 0
.LBB232_695:
	s_andn2_b64 vcc, exec, s[0:1]
	s_cbranch_vccnz .LBB232_697
; %bb.696:
	global_load_sshort v0, v[2:3], off
	s_waitcnt vmcnt(1)
	v_mov_b32_e32 v1, 0
	s_waitcnt vmcnt(0)
	v_cvt_f32_i32_e32 v0, v0
.LBB232_697:
	s_mov_b64 s[0:1], 0
.LBB232_698:
	s_andn2_b64 vcc, exec, s[0:1]
	s_cbranch_vccnz .LBB232_704
; %bb.699:
	s_cmp_gt_i32 s34, 0
	s_cbranch_scc0 .LBB232_701
; %bb.700:
	global_load_sbyte v0, v[2:3], off
	s_waitcnt vmcnt(1)
	v_mov_b32_e32 v1, 0
	s_mov_b64 s[0:1], 0
	s_waitcnt vmcnt(0)
	v_cvt_f32_i32_e32 v0, v0
	s_branch .LBB232_702
.LBB232_701:
	s_mov_b64 s[0:1], -1
                                        ; implicit-def: $vgpr0_vgpr1
.LBB232_702:
	s_andn2_b64 vcc, exec, s[0:1]
	s_cbranch_vccnz .LBB232_704
; %bb.703:
	global_load_ubyte v0, v[2:3], off
	s_waitcnt vmcnt(1)
	v_mov_b32_e32 v1, 0
	s_waitcnt vmcnt(0)
	v_cvt_f32_ubyte0_e32 v0, v0
.LBB232_704:
	s_mov_b64 s[0:1], -1
.LBB232_705:
	s_andn2_b64 vcc, exec, s[0:1]
	s_cbranch_vccnz .LBB232_718
; %bb.706:
	s_waitcnt vmcnt(0)
	v_cmp_neq_f32_e32 vcc, 0, v0
	v_cmp_neq_f32_e64 s[0:1], 0, v1
	v_mov_b32_e32 v2, 0
	s_or_b64 s[0:1], vcc, s[0:1]
	s_and_saveexec_b64 s[30:31], s[0:1]
	s_cbranch_execz .LBB232_737
; %bb.707:
	v_mov_b32_e32 v2, 0x7f800000
	v_cmp_neq_f32_e64 s[0:1], |v1|, v2
	s_and_saveexec_b64 s[34:35], s[0:1]
	s_cbranch_execz .LBB232_736
; %bb.708:
	v_cmp_o_f32_e32 vcc, v0, v0
                                        ; implicit-def: $vgpr2
	s_and_saveexec_b64 s[0:1], vcc
	s_xor_b64 s[36:37], exec, s[0:1]
	s_cbranch_execz .LBB232_733
; %bb.709:
	s_mov_b32 s0, 0x7f800000
	v_cmp_neq_f32_e64 s[0:1], |v0|, s0
                                        ; implicit-def: $vgpr2
	s_and_saveexec_b64 s[2:3], s[0:1]
	s_xor_b64 s[38:39], exec, s[2:3]
	s_cbranch_execz .LBB232_726
; %bb.710:
	v_max_f32_e64 v2, |v1|, |v1|
	v_max_f32_e64 v3, |v0|, |v0|
	v_max_f32_e32 v2, v3, v2
	s_mov_b32 s0, 0x7ed413cb
	v_cmp_nle_f32_e64 s[0:1], s0, v2
                                        ; implicit-def: $sgpr40_sgpr41
	s_and_saveexec_b64 s[2:3], s[0:1]
	s_xor_b64 s[2:3], exec, s[2:3]
	s_cbranch_execz .LBB232_714
; %bb.711:
	s_mov_b32 s42, 0x1000000
	v_cmp_le_f32_e64 s[40:41], |v0|, s42
	v_cmp_le_f32_e64 s[42:43], |v1|, s42
	s_and_b64 s[46:47], s[40:41], s[42:43]
	s_mov_b64 s[40:41], 0
	s_and_saveexec_b64 s[42:43], s[46:47]
; %bb.712:
	s_mov_b64 s[40:41], exec
	v_pk_mul_f32 v[0:1], v[0:1], 4.0 op_sel_hi:[1,0]
; %bb.713:
	s_or_b64 exec, exec, s[42:43]
.LBB232_714:
	s_andn2_saveexec_b64 s[2:3], s[2:3]
; %bb.715:
	s_mov_b32 s42, 0x3e800000
	v_pk_mul_f32 v[0:1], v[0:1], s[42:43] op_sel_hi:[1,0]
	s_andn2_b64 s[40:41], s[40:41], exec
; %bb.716:
	s_or_b64 exec, exec, s[2:3]
	v_max_f32_e64 v2, |v1|, |v1|
	v_max_f32_e64 v3, |v0|, |v0|
	v_max_f32_e32 v4, v3, v2
	v_cvt_f64_f32_e32 v[2:3], v4
	v_frexp_exp_i32_f64_e32 v2, v[2:3]
	v_sub_u32_e32 v3, 0, v2
	v_ldexp_f32 v5, |v0|, v3
	v_ldexp_f32 v3, |v1|, v3
	v_mul_f32_e32 v3, v3, v3
	v_fmac_f32_e32 v3, v5, v5
	v_sqrt_f32_e32 v3, v3
	s_mov_b32 s2, 0x7f800000
	v_cmp_neq_f32_e64 s[2:3], s2, v4
	v_cmp_le_f32_e32 vcc, 0, v0
	v_ldexp_f32 v2, v3, v2
	v_mov_b32_e32 v3, 0x7f800000
	v_cndmask_b32_e64 v2, v3, v2, s[2:3]
                                        ; implicit-def: $vgpr4
                                        ; implicit-def: $vgpr3
	s_and_saveexec_b64 s[2:3], vcc
	s_xor_b64 s[42:43], exec, s[2:3]
	s_cbranch_execz .LBB232_719
; %bb.717:
	v_add_f32_e32 v0, v0, v2
	v_mul_f32_e32 v0, 0.5, v0
	s_mov_b32 s2, 0xf800000
	v_mul_f32_e32 v2, 0x4f800000, v0
	v_cmp_gt_f32_e32 vcc, s2, v0
	s_nop 1
	v_cndmask_b32_e32 v0, v0, v2, vcc
	v_sqrt_f32_e32 v2, v0
	s_nop 0
	v_add_u32_e32 v3, -1, v2
	v_fma_f32 v4, -v3, v2, v0
	v_cmp_ge_f32_e64 s[2:3], 0, v4
	v_add_u32_e32 v4, 1, v2
	s_nop 0
	v_cndmask_b32_e64 v3, v2, v3, s[2:3]
	v_fma_f32 v2, -v4, v2, v0
	v_cmp_lt_f32_e64 s[2:3], 0, v2
	s_nop 1
	v_cndmask_b32_e64 v2, v3, v4, s[2:3]
	v_mul_f32_e32 v3, 0x37800000, v2
	v_cndmask_b32_e32 v2, v2, v3, vcc
	v_mov_b32_e32 v3, 0x260
	v_cmp_class_f32_e32 vcc, v0, v3
	s_nop 1
	v_cndmask_b32_e32 v3, v2, v0, vcc
	v_add_f32_e32 v0, v3, v3
	v_div_scale_f32 v2, s[2:3], v0, v0, v1
	v_rcp_f32_e32 v4, v2
	s_nop 0
	v_fma_f32 v5, -v2, v4, 1.0
	v_fmac_f32_e32 v4, v5, v4
	v_div_scale_f32 v5, vcc, v1, v0, v1
	v_mul_f32_e32 v6, v5, v4
	v_fma_f32 v7, -v2, v6, v5
	v_fmac_f32_e32 v6, v7, v4
	v_fma_f32 v2, -v2, v6, v5
	v_div_fmas_f32 v2, v2, v4, v6
	v_div_fixup_f32 v4, v2, v0, v1
                                        ; implicit-def: $vgpr2
                                        ; implicit-def: $vgpr0_vgpr1
	s_andn2_saveexec_b64 s[42:43], s[42:43]
	s_cbranch_execz .LBB232_721
	s_branch .LBB232_720
.LBB232_718:
	s_mov_b64 s[30:31], 0
                                        ; implicit-def: $vgpr12
	s_mov_b64 s[0:1], s[22:23]
	s_branch .LBB232_860
.LBB232_719:
	s_andn2_saveexec_b64 s[42:43], s[42:43]
	s_cbranch_execz .LBB232_721
.LBB232_720:
	v_sub_f32_e32 v0, v2, v0
	v_mul_f32_e32 v0, 0.5, v0
	s_mov_b32 s2, 0xf800000
	v_mul_f32_e32 v2, 0x4f800000, v0
	v_cmp_gt_f32_e32 vcc, s2, v0
	s_nop 1
	v_cndmask_b32_e32 v0, v0, v2, vcc
	v_sqrt_f32_e32 v2, v0
	s_nop 0
	v_add_u32_e32 v3, -1, v2
	v_fma_f32 v4, -v3, v2, v0
	v_cmp_ge_f32_e64 s[2:3], 0, v4
	v_add_u32_e32 v4, 1, v2
	s_nop 0
	v_cndmask_b32_e64 v3, v2, v3, s[2:3]
	v_fma_f32 v2, -v4, v2, v0
	v_cmp_lt_f32_e64 s[2:3], 0, v2
	s_nop 1
	v_cndmask_b32_e64 v2, v3, v4, s[2:3]
	v_mul_f32_e32 v3, 0x37800000, v2
	v_cndmask_b32_e32 v2, v2, v3, vcc
	v_mov_b32_e32 v3, 0x260
	v_cmp_class_f32_e32 vcc, v0, v3
	v_and_b32_e32 v3, 0x7fffffff, v1
	s_nop 0
	v_cndmask_b32_e32 v0, v2, v0, vcc
	v_add_f32_e32 v2, v0, v0
	v_div_scale_f32 v4, s[2:3], v2, v2, v3
	v_rcp_f32_e32 v5, v4
	v_div_scale_f32 v3, vcc, v3, v2, v3
	s_brev_b32 s2, -2
	v_fma_f32 v6, -v4, v5, 1.0
	v_fmac_f32_e32 v5, v6, v5
	v_mul_f32_e32 v6, v3, v5
	v_fma_f32 v7, -v4, v6, v3
	v_fmac_f32_e32 v6, v7, v5
	v_fma_f32 v3, -v4, v6, v3
	v_div_fmas_f32 v3, v3, v5, v6
	v_div_fixup_f32 v3, v3, v2, |v1|
	v_bfi_b32 v4, s2, v0, v1
.LBB232_721:
	s_or_b64 exec, exec, s[42:43]
                                        ; implicit-def: $vgpr1
                                        ; implicit-def: $vgpr2
	s_and_saveexec_b64 s[2:3], s[0:1]
	s_xor_b64 s[0:1], exec, s[2:3]
	s_cbranch_execz .LBB232_723
; %bb.722:
	v_mul_f32_e32 v0, 0.5, v3
	v_mul_f32_e32 v1, 0.5, v4
	v_cndmask_b32_e64 v2, v3, v0, s[40:41]
	v_cndmask_b32_e64 v1, v4, v1, s[40:41]
                                        ; implicit-def: $vgpr3
                                        ; implicit-def: $vgpr4
	s_andn2_saveexec_b64 s[0:1], s[0:1]
	s_cbranch_execnz .LBB232_724
	s_branch .LBB232_725
.LBB232_723:
	s_andn2_saveexec_b64 s[0:1], s[0:1]
.LBB232_724:
	v_add_f32_e32 v2, v3, v3
	v_add_f32_e32 v1, v4, v4
.LBB232_725:
	s_or_b64 exec, exec, s[0:1]
.LBB232_726:
	s_andn2_saveexec_b64 s[0:1], s[38:39]
	s_cbranch_execz .LBB232_732
; %bb.727:
	v_sub_f32_e32 v3, v1, v1
	v_cmp_lt_i32_e32 vcc, -1, v0
	s_brev_b32 s38, -2
	v_and_b32_e32 v2, 0x7fffffff, v3
	s_and_saveexec_b64 s[2:3], vcc
	s_xor_b64 s[2:3], exec, s[2:3]
; %bb.728:
	v_bfi_b32 v1, s38, v3, v1
	v_mov_b32_e32 v2, v0
; %bb.729:
	s_andn2_saveexec_b64 s[2:3], s[2:3]
; %bb.730:
	v_bfi_b32 v1, s38, v0, v1
; %bb.731:
	s_or_b64 exec, exec, s[2:3]
.LBB232_732:
	s_or_b64 exec, exec, s[0:1]
.LBB232_733:
	s_andn2_saveexec_b64 s[0:1], s[36:37]
	s_cbranch_execz .LBB232_735
; %bb.734:
	v_sub_f32_e32 v1, v1, v1
	v_div_scale_f32 v2, vcc, v1, v1, v1
	v_rcp_f32_e32 v3, v2
	s_nop 0
	v_fma_f32 v4, -v2, v3, 1.0
	v_fmac_f32_e32 v3, v4, v3
	v_mul_f32_e32 v4, v2, v3
	v_fma_f32 v5, -v2, v4, v2
	v_fmac_f32_e32 v4, v5, v3
	v_fma_f32 v2, -v2, v4, v2
	v_div_fmas_f32 v2, v2, v3, v4
	v_div_fixup_f32 v1, v2, v1, v1
	v_mov_b32_e32 v2, v0
.LBB232_735:
	s_or_b64 exec, exec, s[0:1]
.LBB232_736:
	s_or_b64 exec, exec, s[34:35]
.LBB232_737:
	s_or_b64 exec, exec, s[30:31]
	v_mul_lo_u32 v4, v12, s8
	v_ashrrev_i32_e32 v5, 31, v4
	s_and_b32 s36, s33, 0xff
	s_cmp_lt_i32 s36, 11
	v_lshl_add_u64 v[4:5], s[4:5], 0, v[4:5]
	s_cbranch_scc1 .LBB232_744
; %bb.738:
	s_and_b32 s37, 0xffff, s36
	s_cmp_gt_i32 s37, 25
	s_cbranch_scc0 .LBB232_745
; %bb.739:
	s_cmp_gt_i32 s37, 28
	s_cbranch_scc0 .LBB232_746
; %bb.740:
	s_cmp_gt_i32 s37, 43
	s_cbranch_scc0 .LBB232_747
; %bb.741:
	s_cmp_gt_i32 s37, 45
	s_cbranch_scc0 .LBB232_748
; %bb.742:
	s_mov_b64 s[30:31], 0
	s_mov_b64 s[0:1], -1
	s_cmp_eq_u32 s37, 46
	s_mov_b64 s[2:3], 0
	s_cbranch_scc0 .LBB232_749
; %bb.743:
	s_movk_i32 s0, 0x7fff
	v_bfe_u32 v3, v1, 16, 1
	v_add3_u32 v3, v1, v3, s0
	v_bfe_u32 v0, v2, 16, 1
	v_and_b32_e32 v3, 0xffff0000, v3
	v_mov_b32_e32 v6, 0x7fc00000
	v_cmp_o_f32_e32 vcc, v1, v1
	v_add3_u32 v0, v2, v0, s0
	s_mov_b64 s[2:3], -1
	v_cndmask_b32_e32 v3, v6, v3, vcc
	v_cmp_o_f32_e32 vcc, v2, v2
	v_mov_b32_e32 v6, 0x7fc0
	s_mov_b64 s[0:1], 0
	v_cndmask_b32_sdwa v0, v6, v0, vcc dst_sel:DWORD dst_unused:UNUSED_PAD src0_sel:DWORD src1_sel:WORD_1
	v_or_b32_e32 v0, v3, v0
	global_store_dword v[4:5], v0, off
	s_branch .LBB232_749
.LBB232_744:
	s_mov_b64 s[30:31], -1
	s_mov_b64 s[2:3], 0
	s_mov_b64 s[0:1], s[22:23]
	s_branch .LBB232_818
.LBB232_745:
	s_mov_b64 s[30:31], -1
	s_mov_b64 s[2:3], 0
	s_mov_b64 s[0:1], s[22:23]
	s_branch .LBB232_776
.LBB232_746:
	s_mov_b64 s[30:31], -1
	s_mov_b64 s[2:3], 0
	s_mov_b64 s[0:1], s[22:23]
	s_branch .LBB232_759
.LBB232_747:
	s_mov_b64 s[30:31], -1
	s_mov_b64 s[2:3], 0
	s_mov_b64 s[0:1], s[22:23]
	s_branch .LBB232_755
.LBB232_748:
	s_mov_b64 s[30:31], -1
	s_mov_b64 s[2:3], 0
	s_mov_b64 s[0:1], s[22:23]
.LBB232_749:
	s_and_b64 vcc, exec, s[30:31]
	s_cbranch_vccz .LBB232_754
; %bb.750:
	s_cmp_eq_u32 s37, 44
	s_mov_b64 s[0:1], -1
	s_cbranch_scc0 .LBB232_754
; %bb.751:
	v_bfe_u32 v0, v2, 23, 8
	s_movk_i32 s0, 0xff
	v_cmp_ne_u32_e32 vcc, s0, v0
	v_mov_b32_e32 v3, 0xff
	s_and_saveexec_b64 s[2:3], vcc
; %bb.752:
	s_mov_b32 s0, 0x3fffff
	v_and_b32_e32 v6, 0x400000, v2
	v_and_or_b32 v0, v2, s0, v0
	v_cmp_ne_u32_e32 vcc, 0, v6
	v_cmp_ne_u32_e64 s[0:1], 0, v0
	s_and_b64 s[0:1], vcc, s[0:1]
	v_lshrrev_b32_e32 v3, 23, v2
	v_cndmask_b32_e64 v0, 0, 1, s[0:1]
	v_add_u32_e32 v3, v3, v0
; %bb.753:
	s_or_b64 exec, exec, s[2:3]
	s_mov_b64 s[2:3], -1
	s_mov_b64 s[0:1], 0
	global_store_byte v[4:5], v3, off
.LBB232_754:
	s_mov_b64 s[30:31], 0
.LBB232_755:
	s_and_b64 vcc, exec, s[30:31]
	s_cbranch_vccz .LBB232_758
; %bb.756:
	s_cmp_eq_u32 s37, 29
	s_mov_b64 s[0:1], -1
	s_cbranch_scc0 .LBB232_758
; %bb.757:
	v_trunc_f32_e32 v0, v2
	v_mul_f32_e32 v3, 0x2f800000, v0
	v_floor_f32_e32 v3, v3
	v_fmamk_f32 v0, v3, 0xcf800000, v0
	v_cvt_u32_f32_e32 v7, v3
	v_cvt_u32_f32_e32 v6, v0
	s_mov_b64 s[2:3], -1
	s_mov_b64 s[0:1], 0
	s_mov_b64 s[30:31], 0
	global_store_dwordx2 v[4:5], v[6:7], off
	s_branch .LBB232_759
.LBB232_758:
	s_mov_b64 s[30:31], 0
.LBB232_759:
	s_and_b64 vcc, exec, s[30:31]
	s_cbranch_vccz .LBB232_775
; %bb.760:
	s_cmp_lt_i32 s37, 27
	s_mov_b64 s[2:3], -1
	s_cbranch_scc1 .LBB232_766
; %bb.761:
	v_cvt_u32_f32_e32 v0, v2
	s_cmp_gt_i32 s37, 27
	s_cbranch_scc0 .LBB232_763
; %bb.762:
	s_mov_b64 s[2:3], 0
	global_store_dword v[4:5], v0, off
.LBB232_763:
	s_andn2_b64 vcc, exec, s[2:3]
	s_cbranch_vccnz .LBB232_765
; %bb.764:
	global_store_short v[4:5], v0, off
.LBB232_765:
	s_mov_b64 s[2:3], 0
.LBB232_766:
	s_andn2_b64 vcc, exec, s[2:3]
	s_cbranch_vccnz .LBB232_774
; %bb.767:
	v_and_b32_e32 v0, 0x7fffffff, v2
	s_mov_b32 s2, 0x43800000
	v_cmp_gt_u32_e32 vcc, s2, v0
	v_mov_b32_e32 v3, 0x80
	s_and_saveexec_b64 s[2:3], vcc
	s_cbranch_execz .LBB232_773
; %bb.768:
	s_mov_b32 s30, 0x3bffffff
	v_cmp_lt_u32_e32 vcc, s30, v0
	s_mov_b64 s[30:31], 0
                                        ; implicit-def: $vgpr0
	s_and_saveexec_b64 s[34:35], vcc
	s_xor_b64 s[34:35], exec, s[34:35]
	s_cbranch_execz .LBB232_874
; %bb.769:
	v_bfe_u32 v0, v2, 20, 1
	s_mov_b32 s38, 0x487ffff
	v_add3_u32 v0, v2, v0, s38
	s_mov_b64 s[30:31], exec
	v_lshrrev_b32_e32 v0, 20, v0
	s_andn2_saveexec_b64 s[34:35], s[34:35]
	s_cbranch_execnz .LBB232_875
.LBB232_770:
	s_or_b64 exec, exec, s[34:35]
	v_mov_b32_e32 v3, 0
	s_and_saveexec_b64 s[34:35], s[30:31]
.LBB232_771:
	v_lshrrev_b32_e32 v3, 24, v2
	s_movk_i32 s30, 0x80
	v_and_or_b32 v3, v3, s30, v0
.LBB232_772:
	s_or_b64 exec, exec, s[34:35]
.LBB232_773:
	s_or_b64 exec, exec, s[2:3]
	global_store_byte v[4:5], v3, off
.LBB232_774:
	s_mov_b64 s[2:3], -1
.LBB232_775:
	s_mov_b64 s[30:31], 0
.LBB232_776:
	s_and_b64 vcc, exec, s[30:31]
	s_cbranch_vccz .LBB232_817
; %bb.777:
	s_cmp_gt_i32 s37, 22
	s_mov_b64 s[30:31], -1
	s_cbranch_scc0 .LBB232_809
; %bb.778:
	s_cmp_lt_i32 s37, 24
	s_mov_b64 s[2:3], -1
	s_cbranch_scc1 .LBB232_798
; %bb.779:
	s_cmp_gt_i32 s37, 24
	s_cbranch_scc0 .LBB232_787
; %bb.780:
	v_and_b32_e32 v0, 0x7fffffff, v2
	s_mov_b32 s2, 0x47800000
	v_cmp_gt_u32_e32 vcc, s2, v0
	v_mov_b32_e32 v3, 0x80
	s_and_saveexec_b64 s[2:3], vcc
	s_cbranch_execz .LBB232_786
; %bb.781:
	s_mov_b32 s30, 0x37ffffff
	v_cmp_lt_u32_e32 vcc, s30, v0
	s_mov_b64 s[30:31], 0
                                        ; implicit-def: $vgpr0
	s_and_saveexec_b64 s[34:35], vcc
	s_xor_b64 s[34:35], exec, s[34:35]
	s_cbranch_execz .LBB232_877
; %bb.782:
	v_bfe_u32 v0, v2, 21, 1
	s_mov_b32 s38, 0x88fffff
	v_add3_u32 v0, v2, v0, s38
	s_mov_b64 s[30:31], exec
	v_lshrrev_b32_e32 v0, 21, v0
	s_andn2_saveexec_b64 s[34:35], s[34:35]
	s_cbranch_execnz .LBB232_878
.LBB232_783:
	s_or_b64 exec, exec, s[34:35]
	v_mov_b32_e32 v3, 0
	s_and_saveexec_b64 s[34:35], s[30:31]
.LBB232_784:
	v_lshrrev_b32_e32 v3, 24, v2
	s_movk_i32 s30, 0x80
	v_and_or_b32 v3, v3, s30, v0
.LBB232_785:
	s_or_b64 exec, exec, s[34:35]
.LBB232_786:
	s_or_b64 exec, exec, s[2:3]
	s_mov_b64 s[2:3], 0
	global_store_byte v[4:5], v3, off
.LBB232_787:
	s_and_b64 vcc, exec, s[2:3]
	s_cbranch_vccz .LBB232_797
; %bb.788:
	v_and_b32_e32 v3, 0x7fffffff, v2
	s_mov_b32 s2, 0x43f00000
	v_cmp_gt_u32_e32 vcc, s2, v3
                                        ; implicit-def: $vgpr0
	s_and_saveexec_b64 s[2:3], vcc
	s_xor_b64 s[2:3], exec, s[2:3]
	s_cbranch_execz .LBB232_794
; %bb.789:
	s_mov_b32 s30, 0x3c7fffff
	v_cmp_lt_u32_e32 vcc, s30, v3
                                        ; implicit-def: $vgpr0
	s_and_saveexec_b64 s[30:31], vcc
	s_xor_b64 s[30:31], exec, s[30:31]
; %bb.790:
	v_bfe_u32 v0, v2, 20, 1
	s_mov_b32 s34, 0x407ffff
	v_add3_u32 v0, v2, v0, s34
	v_lshrrev_b32_e32 v3, 20, v0
	v_and_b32_e32 v0, 0xff00000, v0
	s_mov_b32 s34, 0x7f00000
	v_mov_b32_e32 v6, 0x7e
	v_cmp_ne_u32_e32 vcc, s34, v0
	s_nop 1
	v_cndmask_b32_e32 v0, v6, v3, vcc
; %bb.791:
	s_andn2_saveexec_b64 s[30:31], s[30:31]
; %bb.792:
	s_mov_b32 s34, 0x46800000
	v_add_f32_e64 v0, |v2|, s34
; %bb.793:
	s_or_b64 exec, exec, s[30:31]
                                        ; implicit-def: $vgpr3
.LBB232_794:
	s_andn2_saveexec_b64 s[2:3], s[2:3]
; %bb.795:
	s_mov_b32 s30, 0x7f800000
	v_mov_b32_e32 v0, 0x7e
	v_mov_b32_e32 v6, 0x7f
	v_cmp_lt_u32_e32 vcc, s30, v3
	s_nop 1
	v_cndmask_b32_e32 v0, v0, v6, vcc
; %bb.796:
	s_or_b64 exec, exec, s[2:3]
	v_lshrrev_b32_e32 v3, 24, v2
	s_movk_i32 s2, 0x80
	v_and_or_b32 v0, v3, s2, v0
	global_store_byte v[4:5], v0, off
.LBB232_797:
	s_mov_b64 s[2:3], 0
.LBB232_798:
	s_andn2_b64 vcc, exec, s[2:3]
	s_cbranch_vccnz .LBB232_808
; %bb.799:
	v_and_b32_e32 v3, 0x7fffffff, v2
	s_mov_b32 s2, 0x47800000
	v_cmp_gt_u32_e32 vcc, s2, v3
                                        ; implicit-def: $vgpr0
	s_and_saveexec_b64 s[2:3], vcc
	s_xor_b64 s[2:3], exec, s[2:3]
	s_cbranch_execz .LBB232_805
; %bb.800:
	s_mov_b32 s30, 0x387fffff
	v_cmp_lt_u32_e32 vcc, s30, v3
                                        ; implicit-def: $vgpr0
	s_and_saveexec_b64 s[30:31], vcc
	s_xor_b64 s[30:31], exec, s[30:31]
; %bb.801:
	v_bfe_u32 v0, v2, 21, 1
	s_mov_b32 s34, 0x80fffff
	v_add3_u32 v0, v2, v0, s34
	v_lshrrev_b32_e32 v0, 21, v0
; %bb.802:
	s_andn2_saveexec_b64 s[30:31], s[30:31]
; %bb.803:
	s_mov_b32 s34, 0x43000000
	v_add_f32_e64 v0, |v2|, s34
; %bb.804:
	s_or_b64 exec, exec, s[30:31]
                                        ; implicit-def: $vgpr3
.LBB232_805:
	s_andn2_saveexec_b64 s[2:3], s[2:3]
; %bb.806:
	s_mov_b32 s30, 0x7f800000
	v_mov_b32_e32 v0, 0x7c
	v_mov_b32_e32 v6, 0x7f
	v_cmp_lt_u32_e32 vcc, s30, v3
	s_nop 1
	v_cndmask_b32_e32 v0, v0, v6, vcc
; %bb.807:
	s_or_b64 exec, exec, s[2:3]
	v_lshrrev_b32_e32 v3, 24, v2
	s_movk_i32 s2, 0x80
	v_and_or_b32 v0, v3, s2, v0
	global_store_byte v[4:5], v0, off
.LBB232_808:
	s_mov_b64 s[30:31], 0
	s_mov_b64 s[2:3], -1
.LBB232_809:
	s_andn2_b64 vcc, exec, s[30:31]
	s_cbranch_vccnz .LBB232_817
; %bb.810:
	s_cmp_gt_i32 s37, 14
	s_mov_b64 s[30:31], -1
	s_cbranch_scc0 .LBB232_814
; %bb.811:
	s_cmp_eq_u32 s37, 15
	s_mov_b64 s[0:1], -1
	s_cbranch_scc0 .LBB232_813
; %bb.812:
	v_bfe_u32 v0, v2, 16, 1
	s_movk_i32 s0, 0x7fff
	v_add3_u32 v0, v2, v0, s0
	v_cmp_o_f32_e32 vcc, v2, v2
	v_mov_b32_e32 v3, 0x7fc0
	s_mov_b64 s[2:3], -1
	v_cndmask_b32_sdwa v0, v3, v0, vcc dst_sel:DWORD dst_unused:UNUSED_PAD src0_sel:DWORD src1_sel:WORD_1
	global_store_short v[4:5], v0, off
	s_mov_b64 s[0:1], 0
.LBB232_813:
	s_mov_b64 s[30:31], 0
.LBB232_814:
	s_and_b64 vcc, exec, s[30:31]
	s_cbranch_vccz .LBB232_817
; %bb.815:
	s_cmp_eq_u32 s37, 11
	s_mov_b64 s[0:1], -1
	s_cbranch_scc0 .LBB232_817
; %bb.816:
	v_cmp_neq_f32_e32 vcc, 0, v2
	v_cmp_neq_f32_e64 s[0:1], 0, v1
	s_or_b64 s[0:1], vcc, s[0:1]
	s_mov_b64 s[2:3], -1
	v_cndmask_b32_e64 v0, 0, 1, s[0:1]
	s_mov_b64 s[0:1], 0
	global_store_byte v[4:5], v0, off
.LBB232_817:
	s_mov_b64 s[30:31], 0
.LBB232_818:
	s_and_b64 vcc, exec, s[30:31]
	s_cbranch_vccz .LBB232_857
; %bb.819:
	s_and_b32 s30, 0xffff, s36
	s_cmp_lt_i32 s30, 5
	s_mov_b64 s[2:3], -1
	s_cbranch_scc1 .LBB232_840
; %bb.820:
	s_cmp_lt_i32 s30, 8
	s_cbranch_scc1 .LBB232_830
; %bb.821:
	s_cmp_lt_i32 s30, 9
	s_cbranch_scc1 .LBB232_827
; %bb.822:
	s_cmp_gt_i32 s30, 9
	s_cbranch_scc0 .LBB232_824
; %bb.823:
	v_cvt_f64_f32_e32 v[6:7], v2
	v_cvt_f64_f32_e32 v[8:9], v1
	s_mov_b64 s[2:3], 0
	global_store_dwordx4 v[4:5], v[6:9], off
.LBB232_824:
	s_andn2_b64 vcc, exec, s[2:3]
	s_cbranch_vccnz .LBB232_826
; %bb.825:
	v_mov_b32_e32 v3, v1
	global_store_dwordx2 v[4:5], v[2:3], off
.LBB232_826:
	s_mov_b64 s[2:3], 0
.LBB232_827:
	s_andn2_b64 vcc, exec, s[2:3]
	s_cbranch_vccnz .LBB232_829
; %bb.828:
	v_cvt_f16_f32_e32 v0, v2
	v_cvt_f16_f32_sdwa v1, v1 dst_sel:WORD_1 dst_unused:UNUSED_PAD src0_sel:DWORD
	s_nop 0
	v_or_b32_e32 v0, v1, v0
	global_store_dword v[4:5], v0, off
.LBB232_829:
	s_mov_b64 s[2:3], 0
.LBB232_830:
	s_andn2_b64 vcc, exec, s[2:3]
	s_cbranch_vccnz .LBB232_839
; %bb.831:
	s_cmp_lt_i32 s30, 6
	s_mov_b64 s[2:3], -1
	s_cbranch_scc1 .LBB232_837
; %bb.832:
	s_cmp_gt_i32 s30, 6
	s_cbranch_scc0 .LBB232_834
; %bb.833:
	v_cvt_f64_f32_e32 v[0:1], v2
	s_mov_b64 s[2:3], 0
	global_store_dwordx2 v[4:5], v[0:1], off
.LBB232_834:
	s_andn2_b64 vcc, exec, s[2:3]
	s_cbranch_vccnz .LBB232_836
; %bb.835:
	global_store_dword v[4:5], v2, off
.LBB232_836:
	s_mov_b64 s[2:3], 0
.LBB232_837:
	s_andn2_b64 vcc, exec, s[2:3]
	s_cbranch_vccnz .LBB232_839
; %bb.838:
	v_cvt_f16_f32_e32 v0, v2
	global_store_short v[4:5], v0, off
.LBB232_839:
	s_mov_b64 s[2:3], 0
.LBB232_840:
	s_andn2_b64 vcc, exec, s[2:3]
	s_cbranch_vccnz .LBB232_856
; %bb.841:
	s_cmp_lt_i32 s30, 2
	s_mov_b64 s[2:3], -1
	s_cbranch_scc1 .LBB232_851
; %bb.842:
	s_cmp_lt_i32 s30, 3
	s_cbranch_scc1 .LBB232_848
; %bb.843:
	s_cmp_gt_i32 s30, 3
	s_cbranch_scc0 .LBB232_845
; %bb.844:
	v_trunc_f32_e32 v0, v2
	s_mov_b32 s2, 0x2f800000
	v_mul_f32_e64 v1, |v0|, s2
	v_floor_f32_e32 v1, v1
	s_mov_b32 s2, 0xcf800000
	v_cvt_u32_f32_e32 v3, v1
	v_fma_f32 v1, v1, s2, |v0|
	v_cvt_u32_f32_e32 v1, v1
	v_ashrrev_i32_e32 v6, 31, v0
	v_xor_b32_e32 v3, v3, v6
	s_mov_b64 s[2:3], 0
	v_xor_b32_e32 v0, v1, v6
	v_sub_co_u32_e32 v0, vcc, v0, v6
	s_nop 1
	v_subb_co_u32_e32 v1, vcc, v3, v6, vcc
	global_store_dwordx2 v[4:5], v[0:1], off
.LBB232_845:
	s_andn2_b64 vcc, exec, s[2:3]
	s_cbranch_vccnz .LBB232_847
; %bb.846:
	v_cvt_i32_f32_e32 v0, v2
	global_store_dword v[4:5], v0, off
.LBB232_847:
	s_mov_b64 s[2:3], 0
.LBB232_848:
	s_andn2_b64 vcc, exec, s[2:3]
	s_cbranch_vccnz .LBB232_850
; %bb.849:
	v_cvt_i32_f32_e32 v0, v2
	global_store_short v[4:5], v0, off
.LBB232_850:
	s_mov_b64 s[2:3], 0
.LBB232_851:
	s_andn2_b64 vcc, exec, s[2:3]
	s_cbranch_vccnz .LBB232_856
; %bb.852:
	s_cmp_gt_i32 s30, 0
	s_mov_b64 s[2:3], -1
	s_cbranch_scc0 .LBB232_854
; %bb.853:
	v_cvt_i32_f32_e32 v0, v2
	s_mov_b64 s[2:3], 0
	global_store_byte v[4:5], v0, off
.LBB232_854:
	s_andn2_b64 vcc, exec, s[2:3]
	s_cbranch_vccnz .LBB232_856
; %bb.855:
	v_trunc_f32_e32 v0, v2
	s_mov_b32 s2, 0x2f800000
	v_mul_f32_e64 v1, |v0|, s2
	v_floor_f32_e32 v1, v1
	s_mov_b32 s2, 0xcf800000
	v_fma_f32 v1, v1, s2, |v0|
	v_cvt_u32_f32_e32 v1, v1
	v_ashrrev_i32_e32 v0, 31, v0
	v_xor_b32_e32 v1, v1, v0
	v_sub_u32_e32 v0, v1, v0
	global_store_byte v[4:5], v0, off
.LBB232_856:
	s_mov_b64 s[2:3], -1
.LBB232_857:
	s_andn2_b64 vcc, exec, s[2:3]
	s_cbranch_vccnz .LBB232_859
; %bb.858:
	v_add_u32_e32 v12, 0x80, v12
	s_mov_b64 s[30:31], -1
	s_branch .LBB232_860
.LBB232_859:
	s_mov_b64 s[30:31], 0
                                        ; implicit-def: $vgpr12
.LBB232_860:
	s_andn2_b64 s[2:3], s[22:23], exec
	s_and_b64 s[0:1], s[0:1], exec
	s_or_b64 s[2:3], s[2:3], s[0:1]
	s_andn2_b64 s[0:1], s[20:21], exec
	s_and_b64 s[28:29], s[28:29], exec
	s_or_b64 s[0:1], s[0:1], s[28:29]
	s_orn2_b64 s[34:35], s[30:31], exec
.LBB232_861:
	s_or_b64 exec, exec, s[26:27]
	s_mov_b64 s[30:31], 0
	s_mov_b64 s[36:37], 0
	;; [unrolled: 1-line block ×3, first 2 shown]
                                        ; implicit-def: $vgpr2_vgpr3
                                        ; implicit-def: $vgpr0_vgpr1
	s_and_saveexec_b64 s[26:27], s[34:35]
	s_cbranch_execz .LBB232_946
; %bb.862:
	v_cmp_gt_i32_e32 vcc, s45, v12
	s_mov_b64 s[34:35], 0
	s_mov_b64 s[38:39], s[0:1]
	;; [unrolled: 1-line block ×3, first 2 shown]
                                        ; implicit-def: $vgpr2_vgpr3
                                        ; implicit-def: $vgpr0_vgpr1
	s_and_saveexec_b64 s[28:29], vcc
	s_cbranch_execz .LBB232_945
; %bb.863:
	s_waitcnt vmcnt(0)
	v_mul_lo_u32 v0, v12, s9
	v_ashrrev_i32_e32 v1, 31, v0
	s_and_b32 s42, 0xffff, s44
	s_cmp_lt_i32 s42, 11
	v_lshl_add_u64 v[2:3], s[6:7], 0, v[0:1]
	s_cbranch_scc1 .LBB232_870
; %bb.864:
	s_cmp_gt_i32 s42, 25
	s_cbranch_scc0 .LBB232_871
; %bb.865:
	s_cmp_gt_i32 s42, 28
	s_cbranch_scc0 .LBB232_872
	;; [unrolled: 3-line block ×4, first 2 shown]
; %bb.868:
	s_cmp_eq_u32 s42, 46
	s_mov_b64 s[38:39], 0
	s_cbranch_scc0 .LBB232_879
; %bb.869:
	global_load_dword v0, v[2:3], off
	s_mov_b64 s[36:37], -1
	s_waitcnt vmcnt(0)
	v_and_b32_e32 v1, 0xffff0000, v0
	v_lshlrev_b32_e32 v0, 16, v0
	s_branch .LBB232_881
.LBB232_870:
	s_mov_b64 s[38:39], -1
                                        ; implicit-def: $vgpr0_vgpr1
	s_mov_b64 s[30:31], s[0:1]
	s_branch .LBB232_944
.LBB232_871:
	s_mov_b64 s[38:39], -1
	s_mov_b64 s[30:31], s[0:1]
                                        ; implicit-def: $vgpr0_vgpr1
	s_branch .LBB232_912
.LBB232_872:
	s_mov_b64 s[38:39], -1
	s_mov_b64 s[30:31], s[0:1]
                                        ; implicit-def: $vgpr0_vgpr1
	s_branch .LBB232_891
.LBB232_873:
	s_mov_b64 s[38:39], -1
	s_mov_b64 s[30:31], s[0:1]
                                        ; implicit-def: $vgpr0_vgpr1
	s_branch .LBB232_886
.LBB232_874:
	s_andn2_saveexec_b64 s[34:35], s[34:35]
	s_cbranch_execz .LBB232_770
.LBB232_875:
	s_mov_b32 s38, 0x46000000
	v_add_f32_e64 v0, |v2|, s38
	v_and_b32_e32 v0, 0xff, v0
	v_cmp_ne_u32_e32 vcc, 0, v0
	s_andn2_b64 s[30:31], s[30:31], exec
	s_and_b64 s[38:39], vcc, exec
	s_or_b64 s[30:31], s[30:31], s[38:39]
	s_or_b64 exec, exec, s[34:35]
	v_mov_b32_e32 v3, 0
	s_and_saveexec_b64 s[34:35], s[30:31]
	s_cbranch_execnz .LBB232_771
	s_branch .LBB232_772
.LBB232_876:
	s_mov_b64 s[38:39], -1
	s_mov_b64 s[30:31], s[0:1]
	s_branch .LBB232_880
.LBB232_877:
	s_andn2_saveexec_b64 s[34:35], s[34:35]
	s_cbranch_execz .LBB232_783
.LBB232_878:
	s_mov_b32 s38, 0x42800000
	v_add_f32_e64 v0, |v2|, s38
	v_and_b32_e32 v0, 0xff, v0
	v_cmp_ne_u32_e32 vcc, 0, v0
	s_andn2_b64 s[30:31], s[30:31], exec
	s_and_b64 s[38:39], vcc, exec
	s_or_b64 s[30:31], s[30:31], s[38:39]
	s_or_b64 exec, exec, s[34:35]
	v_mov_b32_e32 v3, 0
	s_and_saveexec_b64 s[34:35], s[30:31]
	s_cbranch_execnz .LBB232_784
	s_branch .LBB232_785
.LBB232_879:
	s_mov_b64 s[30:31], -1
.LBB232_880:
                                        ; implicit-def: $vgpr0_vgpr1
.LBB232_881:
	s_and_b64 vcc, exec, s[38:39]
	s_cbranch_vccz .LBB232_885
; %bb.882:
	s_cmp_eq_u32 s42, 44
	s_cbranch_scc0 .LBB232_884
; %bb.883:
	global_load_ubyte v0, v[2:3], off
	s_movk_i32 s36, 0xff
	v_mov_b32_e32 v4, 0x7f800001
	v_mov_b32_e32 v5, 0x400000
	;; [unrolled: 1-line block ×3, first 2 shown]
	s_mov_b64 s[30:31], 0
	s_waitcnt vmcnt(0)
	v_lshlrev_b32_e32 v6, 23, v0
	v_cmp_ne_u32_e32 vcc, s36, v0
	s_mov_b64 s[36:37], -1
	s_nop 0
	v_cndmask_b32_e32 v4, v4, v6, vcc
	v_cmp_ne_u32_e32 vcc, 0, v0
	s_nop 1
	v_cndmask_b32_e32 v0, v5, v4, vcc
	s_branch .LBB232_885
.LBB232_884:
	s_mov_b64 s[30:31], -1
                                        ; implicit-def: $vgpr0_vgpr1
.LBB232_885:
	s_mov_b64 s[38:39], 0
.LBB232_886:
	s_and_b64 vcc, exec, s[38:39]
	s_cbranch_vccz .LBB232_890
; %bb.887:
	s_cmp_eq_u32 s42, 29
	s_cbranch_scc0 .LBB232_889
; %bb.888:
	global_load_dwordx2 v[0:1], v[2:3], off
	s_mov_b64 s[30:31], 0
	s_mov_b64 s[36:37], -1
	s_mov_b64 s[38:39], 0
	s_waitcnt vmcnt(0)
	v_ffbh_u32_e32 v4, v1
	v_min_u32_e32 v4, 32, v4
	v_lshlrev_b64 v[0:1], v4, v[0:1]
	v_min_u32_e32 v0, 1, v0
	v_or_b32_e32 v0, v1, v0
	v_cvt_f32_u32_e32 v0, v0
	v_sub_u32_e32 v4, 32, v4
	v_mov_b32_e32 v1, 0
	v_ldexp_f32 v0, v0, v4
	s_branch .LBB232_891
.LBB232_889:
	s_mov_b64 s[30:31], -1
                                        ; implicit-def: $vgpr0_vgpr1
.LBB232_890:
	s_mov_b64 s[38:39], 0
.LBB232_891:
	s_and_b64 vcc, exec, s[38:39]
	s_cbranch_vccz .LBB232_911
; %bb.892:
	s_cmp_lt_i32 s42, 27
	s_cbranch_scc1 .LBB232_895
; %bb.893:
	s_cmp_gt_i32 s42, 27
	s_cbranch_scc0 .LBB232_896
; %bb.894:
	global_load_dword v0, v[2:3], off
	v_mov_b32_e32 v1, 0
	s_mov_b64 s[36:37], 0
	s_waitcnt vmcnt(0)
	v_cvt_f32_u32_e32 v0, v0
	s_branch .LBB232_897
.LBB232_895:
	s_mov_b64 s[36:37], -1
                                        ; implicit-def: $vgpr0_vgpr1
	s_branch .LBB232_900
.LBB232_896:
	s_mov_b64 s[36:37], -1
                                        ; implicit-def: $vgpr0_vgpr1
.LBB232_897:
	s_andn2_b64 vcc, exec, s[36:37]
	s_cbranch_vccnz .LBB232_899
; %bb.898:
	global_load_ushort v0, v[2:3], off
	v_mov_b32_e32 v1, 0
	s_waitcnt vmcnt(0)
	v_cvt_f32_u32_e32 v0, v0
.LBB232_899:
	s_mov_b64 s[36:37], 0
.LBB232_900:
	s_andn2_b64 vcc, exec, s[36:37]
	s_cbranch_vccnz .LBB232_910
; %bb.901:
	global_load_ubyte v4, v[2:3], off
	s_movk_i32 s36, 0x7f
	s_waitcnt vmcnt(0)
	v_cmp_lt_i16_e32 vcc, s36, v4
	s_mov_b64 s[36:37], 0
	s_and_saveexec_b64 s[38:39], vcc
	s_xor_b64 s[38:39], exec, s[38:39]
	s_cbranch_execz .LBB232_905
; %bb.902:
	s_movk_i32 s36, 0x80
	v_cmp_eq_u16_e32 vcc, s36, v4
	s_mov_b64 s[36:37], -1
	s_and_saveexec_b64 s[40:41], vcc
; %bb.903:
	s_xor_b64 s[36:37], exec, -1
; %bb.904:
	s_or_b64 exec, exec, s[40:41]
	s_and_b64 s[36:37], s[36:37], exec
.LBB232_905:
	s_or_saveexec_b64 s[38:39], s[38:39]
	v_mov_b32_e32 v0, 0x7f800001
	v_mov_b32_e32 v1, 0
	s_xor_b64 exec, exec, s[38:39]
; %bb.906:
	v_cmp_ne_u16_e32 vcc, 0, v4
	s_andn2_b64 s[36:37], s[36:37], exec
	s_and_b64 s[40:41], vcc, exec
	v_mov_b32_e32 v0, v1
	s_or_b64 s[36:37], s[36:37], s[40:41]
; %bb.907:
	s_or_b64 exec, exec, s[38:39]
	s_and_saveexec_b64 s[38:39], s[36:37]
	s_cbranch_execz .LBB232_909
; %bb.908:
	v_and_b32_e32 v1, 0xffff, v4
	v_lshlrev_b32_e32 v0, 24, v4
	v_and_b32_e32 v4, 7, v1
	v_ffbh_u32_e32 v6, v4
	v_min_u32_e32 v6, 32, v6
	v_subrev_u32_e32 v7, 28, v6
	v_bfe_u32 v5, v1, 3, 4
	v_lshlrev_b32_e32 v1, v7, v1
	v_sub_u32_e32 v6, 29, v6
	v_and_b32_e32 v1, 7, v1
	v_cmp_eq_u32_e32 vcc, 0, v5
	v_and_b32_e32 v0, 0x80000000, v0
	s_nop 0
	v_cndmask_b32_e32 v5, v5, v6, vcc
	v_cndmask_b32_e32 v1, v4, v1, vcc
	v_mov_b32_e32 v4, 0x3b800000
	v_lshlrev_b32_e32 v1, 20, v1
	v_lshl_add_u32 v4, v5, 23, v4
	v_or3_b32 v0, v0, v4, v1
	v_mov_b32_e32 v1, 0
.LBB232_909:
	s_or_b64 exec, exec, s[38:39]
.LBB232_910:
	s_mov_b64 s[36:37], -1
.LBB232_911:
	s_mov_b64 s[38:39], 0
.LBB232_912:
	s_and_b64 vcc, exec, s[38:39]
	s_cbranch_vccz .LBB232_943
; %bb.913:
	s_cmp_gt_i32 s42, 22
	s_cbranch_scc0 .LBB232_925
; %bb.914:
	s_cmp_lt_i32 s42, 24
	s_cbranch_scc1 .LBB232_926
; %bb.915:
	s_cmp_gt_i32 s42, 24
	s_cbranch_scc0 .LBB232_927
; %bb.916:
	global_load_ubyte v4, v[2:3], off
	s_movk_i32 s34, 0x7f
	s_waitcnt vmcnt(0)
	v_cmp_lt_i16_e32 vcc, s34, v4
	s_mov_b64 s[34:35], 0
	s_and_saveexec_b64 s[36:37], vcc
	s_xor_b64 s[36:37], exec, s[36:37]
	s_cbranch_execz .LBB232_920
; %bb.917:
	s_movk_i32 s34, 0x80
	v_cmp_eq_u16_e32 vcc, s34, v4
	s_mov_b64 s[34:35], -1
	s_and_saveexec_b64 s[38:39], vcc
; %bb.918:
	s_xor_b64 s[34:35], exec, -1
; %bb.919:
	s_or_b64 exec, exec, s[38:39]
	s_and_b64 s[34:35], s[34:35], exec
.LBB232_920:
	s_or_saveexec_b64 s[36:37], s[36:37]
	v_mov_b32_e32 v0, 0x7f800001
	v_mov_b32_e32 v1, 0
	s_xor_b64 exec, exec, s[36:37]
; %bb.921:
	v_cmp_ne_u16_e32 vcc, 0, v4
	s_andn2_b64 s[34:35], s[34:35], exec
	s_and_b64 s[38:39], vcc, exec
	v_mov_b32_e32 v0, v1
	s_or_b64 s[34:35], s[34:35], s[38:39]
; %bb.922:
	s_or_b64 exec, exec, s[36:37]
	s_and_saveexec_b64 s[36:37], s[34:35]
	s_cbranch_execz .LBB232_924
; %bb.923:
	v_and_b32_e32 v1, 0xffff, v4
	v_lshlrev_b32_e32 v0, 24, v4
	v_and_b32_e32 v4, 3, v1
	v_ffbh_u32_e32 v6, v4
	v_min_u32_e32 v6, 32, v6
	v_subrev_u32_e32 v7, 29, v6
	v_bfe_u32 v5, v1, 2, 5
	v_lshlrev_b32_e32 v1, v7, v1
	v_sub_u32_e32 v6, 30, v6
	v_and_b32_e32 v1, 3, v1
	v_cmp_eq_u32_e32 vcc, 0, v5
	v_and_b32_e32 v0, 0x80000000, v0
	s_nop 0
	v_cndmask_b32_e32 v5, v5, v6, vcc
	v_cndmask_b32_e32 v1, v4, v1, vcc
	v_mov_b32_e32 v4, 0x37800000
	v_lshlrev_b32_e32 v1, 21, v1
	v_lshl_add_u32 v4, v5, 23, v4
	v_or3_b32 v0, v0, v4, v1
	v_mov_b32_e32 v1, 0
.LBB232_924:
	s_or_b64 exec, exec, s[36:37]
	s_mov_b64 s[34:35], 0
	s_branch .LBB232_928
.LBB232_925:
	s_mov_b64 s[34:35], -1
                                        ; implicit-def: $vgpr0_vgpr1
	s_branch .LBB232_934
.LBB232_926:
	s_mov_b64 s[34:35], -1
                                        ; implicit-def: $vgpr0_vgpr1
	s_branch .LBB232_931
.LBB232_927:
	s_mov_b64 s[34:35], -1
                                        ; implicit-def: $vgpr0_vgpr1
.LBB232_928:
	s_and_b64 vcc, exec, s[34:35]
	s_cbranch_vccz .LBB232_930
; %bb.929:
	global_load_ubyte v0, v[2:3], off
	s_mov_b32 s34, 0x7f800000
	s_brev_b32 s35, 1
	s_waitcnt vmcnt(0)
	v_lshlrev_b32_e32 v0, 24, v0
	v_and_b32_e32 v1, 0x7f000000, v0
	v_ffbh_u32_e32 v4, v1
	v_min_u32_e32 v4, 32, v4
	v_sub_u32_e64 v4, v4, 4 clamp
	v_lshlrev_b32_e32 v6, v4, v1
	v_lshlrev_b32_e32 v4, 23, v4
	v_lshrrev_b32_e32 v6, 4, v6
	v_add_u32_e32 v5, 0x1000000, v1
	v_sub_u32_e32 v4, v6, v4
	v_ashrrev_i32_e32 v5, 8, v5
	v_add_u32_e32 v4, 0x3c000000, v4
	v_and_or_b32 v4, v5, s34, v4
	v_cmp_ne_u32_e32 vcc, 0, v1
	s_nop 1
	v_cndmask_b32_e32 v1, 0, v4, vcc
	v_and_or_b32 v0, v0, s35, v1
	v_mov_b32_e32 v1, 0
.LBB232_930:
	s_mov_b64 s[34:35], 0
.LBB232_931:
	s_andn2_b64 vcc, exec, s[34:35]
	s_cbranch_vccnz .LBB232_933
; %bb.932:
	global_load_ubyte v0, v[2:3], off
	s_movk_i32 s34, 0x7f00
	s_brev_b32 s35, 16
	s_brev_b32 s36, 1
	s_waitcnt vmcnt(0)
	v_lshlrev_b16_e32 v1, 8, v0
	v_lshlrev_b32_e32 v0, 25, v0
	v_lshrrev_b32_e32 v4, 4, v0
	v_and_or_b32 v5, v1, s34, 0.5
	v_or_b32_e32 v4, 0x70000000, v4
	v_add_f32_e32 v5, -0.5, v5
	v_mul_f32_e32 v4, 0x7800000, v4
	v_cmp_gt_u32_e32 vcc, s35, v0
	v_bfe_i32 v1, v1, 0, 16
	s_nop 0
	v_cndmask_b32_e32 v0, v4, v5, vcc
	v_and_or_b32 v0, v1, s36, v0
	v_mov_b32_e32 v1, 0
.LBB232_933:
	s_mov_b64 s[34:35], 0
	s_mov_b64 s[36:37], -1
.LBB232_934:
	s_andn2_b64 vcc, exec, s[34:35]
	s_mov_b64 s[34:35], 0
	s_cbranch_vccnz .LBB232_943
; %bb.935:
	s_cmp_gt_i32 s42, 14
	s_cbranch_scc0 .LBB232_938
; %bb.936:
	s_cmp_eq_u32 s42, 15
	s_cbranch_scc0 .LBB232_939
; %bb.937:
	global_load_ushort v0, v[2:3], off
	v_mov_b32_e32 v1, 0
	s_mov_b64 s[30:31], 0
	s_mov_b64 s[36:37], -1
	s_waitcnt vmcnt(0)
	v_lshlrev_b32_e32 v0, 16, v0
	s_branch .LBB232_940
.LBB232_938:
	s_mov_b64 s[38:39], -1
                                        ; implicit-def: $vgpr0_vgpr1
	s_branch .LBB232_941
.LBB232_939:
	s_mov_b64 s[30:31], -1
                                        ; implicit-def: $vgpr0_vgpr1
.LBB232_940:
	s_mov_b64 s[38:39], 0
.LBB232_941:
	s_and_b64 vcc, exec, s[38:39]
	s_cbranch_vccz .LBB232_943
; %bb.942:
	s_cmp_lg_u32 s42, 11
	s_cselect_b64 s[38:39], -1, 0
	s_andn2_b64 s[30:31], s[30:31], exec
	s_and_b64 s[38:39], s[38:39], exec
	s_mov_b64 s[34:35], -1
	s_or_b64 s[30:31], s[30:31], s[38:39]
.LBB232_943:
	s_mov_b64 s[38:39], 0
.LBB232_944:
	s_and_b64 s[40:41], s[36:37], exec
	s_and_b64 s[36:37], s[38:39], exec
	s_andn2_b64 s[38:39], s[0:1], exec
	s_and_b64 s[30:31], s[30:31], exec
	s_and_b64 s[34:35], s[34:35], exec
	s_or_b64 s[38:39], s[38:39], s[30:31]
.LBB232_945:
	s_or_b64 exec, exec, s[28:29]
	s_and_b64 s[30:31], s[34:35], exec
	s_andn2_b64 s[0:1], s[0:1], exec
	s_and_b64 s[34:35], s[38:39], exec
	s_and_b64 s[28:29], s[40:41], exec
	;; [unrolled: 1-line block ×3, first 2 shown]
	s_or_b64 s[0:1], s[0:1], s[34:35]
.LBB232_946:
	s_or_b64 exec, exec, s[26:27]
	s_andn2_b64 s[22:23], s[22:23], exec
	s_and_b64 s[2:3], s[2:3], exec
	s_andn2_b64 s[20:21], s[20:21], exec
	s_and_b64 s[0:1], s[0:1], exec
	s_or_b64 s[22:23], s[22:23], s[2:3]
	s_and_b64 s[28:29], s[28:29], exec
	s_and_b64 s[26:27], s[36:37], exec
	;; [unrolled: 1-line block ×3, first 2 shown]
	s_or_b64 s[20:21], s[20:21], s[0:1]
.LBB232_947:
	s_or_b64 exec, exec, s[24:25]
	s_andn2_b64 s[0:1], s[14:15], exec
	s_and_b64 s[14:15], s[22:23], exec
	s_and_b64 s[22:23], s[2:3], exec
	s_andn2_b64 s[2:3], s[16:17], exec
	s_and_b64 s[16:17], s[20:21], exec
	s_or_b64 s[14:15], s[0:1], s[14:15]
	s_and_b64 s[0:1], s[28:29], exec
	s_and_b64 s[24:25], s[26:27], exec
	s_or_b64 s[16:17], s[2:3], s[16:17]
	s_or_b64 exec, exec, s[18:19]
	s_mov_b64 s[18:19], 0
	s_and_saveexec_b64 s[2:3], s[16:17]
	s_cbranch_execz .LBB232_291
.LBB232_948:
	s_mov_b64 s[18:19], exec
	s_andn2_b64 s[22:23], s[22:23], exec
	s_trap 2
	s_or_b64 exec, exec, s[2:3]
	s_and_saveexec_b64 s[2:3], s[22:23]
	s_xor_b64 s[2:3], exec, s[2:3]
	s_cbranch_execnz .LBB232_292
.LBB232_949:
	s_or_b64 exec, exec, s[2:3]
	s_and_saveexec_b64 s[2:3], s[24:25]
	s_cbranch_execz .LBB232_995
.LBB232_950:
	s_sext_i32_i16 s16, s44
	s_cmp_lt_i32 s16, 5
	s_cbranch_scc1 .LBB232_955
; %bb.951:
	s_cmp_lt_i32 s16, 8
	s_cbranch_scc1 .LBB232_956
; %bb.952:
	;; [unrolled: 3-line block ×3, first 2 shown]
	s_cmp_gt_i32 s16, 9
	s_cbranch_scc0 .LBB232_958
; %bb.954:
	global_load_dwordx4 v[4:7], v[2:3], off
	s_mov_b64 s[16:17], 0
	s_waitcnt vmcnt(0)
	v_cvt_f32_f64_e32 v1, v[6:7]
	v_cvt_f32_f64_e32 v0, v[4:5]
	s_branch .LBB232_959
.LBB232_955:
                                        ; implicit-def: $vgpr0_vgpr1
	s_branch .LBB232_976
.LBB232_956:
                                        ; implicit-def: $vgpr0_vgpr1
	s_branch .LBB232_965
.LBB232_957:
	s_mov_b64 s[16:17], -1
                                        ; implicit-def: $vgpr0_vgpr1
	s_branch .LBB232_962
.LBB232_958:
	s_mov_b64 s[16:17], -1
                                        ; implicit-def: $vgpr0_vgpr1
.LBB232_959:
	s_andn2_b64 vcc, exec, s[16:17]
	s_cbranch_vccnz .LBB232_961
; %bb.960:
	global_load_dwordx2 v[0:1], v[2:3], off
.LBB232_961:
	s_mov_b64 s[16:17], 0
.LBB232_962:
	s_andn2_b64 vcc, exec, s[16:17]
	s_cbranch_vccnz .LBB232_964
; %bb.963:
	global_load_dword v0, v[2:3], off
	s_waitcnt vmcnt(0)
	v_cvt_f32_f16_sdwa v1, v0 dst_sel:DWORD dst_unused:UNUSED_PAD src0_sel:WORD_1
	v_cvt_f32_f16_e32 v0, v0
.LBB232_964:
	s_cbranch_execnz .LBB232_975
.LBB232_965:
	s_sext_i32_i16 s16, s44
	s_cmp_lt_i32 s16, 6
	s_cbranch_scc1 .LBB232_968
; %bb.966:
	s_cmp_gt_i32 s16, 6
	s_cbranch_scc0 .LBB232_969
; %bb.967:
	global_load_dwordx2 v[4:5], v[2:3], off
	s_waitcnt vmcnt(1)
	v_mov_b32_e32 v1, 0
	s_mov_b64 s[16:17], 0
	s_waitcnt vmcnt(0)
	v_cvt_f32_f64_e32 v0, v[4:5]
	s_branch .LBB232_970
.LBB232_968:
	s_mov_b64 s[16:17], -1
                                        ; implicit-def: $vgpr0_vgpr1
	s_branch .LBB232_973
.LBB232_969:
	s_mov_b64 s[16:17], -1
                                        ; implicit-def: $vgpr0_vgpr1
.LBB232_970:
	s_andn2_b64 vcc, exec, s[16:17]
	s_cbranch_vccnz .LBB232_972
; %bb.971:
	global_load_dword v0, v[2:3], off
	s_waitcnt vmcnt(1)
	v_mov_b32_e32 v1, 0
.LBB232_972:
	s_mov_b64 s[16:17], 0
.LBB232_973:
	s_andn2_b64 vcc, exec, s[16:17]
	s_cbranch_vccnz .LBB232_975
; %bb.974:
	global_load_ushort v0, v[2:3], off
	s_waitcnt vmcnt(1)
	v_mov_b32_e32 v1, 0
	s_waitcnt vmcnt(0)
	v_cvt_f32_f16_e32 v0, v0
.LBB232_975:
	s_cbranch_execnz .LBB232_994
.LBB232_976:
	s_sext_i32_i16 s16, s44
	s_cmp_lt_i32 s16, 2
	s_cbranch_scc1 .LBB232_980
; %bb.977:
	s_cmp_lt_i32 s16, 3
	s_cbranch_scc1 .LBB232_981
; %bb.978:
	s_cmp_gt_i32 s16, 3
	s_cbranch_scc0 .LBB232_982
; %bb.979:
	global_load_dwordx2 v[0:1], v[2:3], off
	s_mov_b64 s[16:17], 0
	s_waitcnt vmcnt(0)
	v_xor_b32_e32 v5, v0, v1
	v_ffbh_i32_e32 v4, v1
	v_ashrrev_i32_e32 v5, 31, v5
	v_add_u32_e32 v4, -1, v4
	v_add_u32_e32 v5, 32, v5
	v_min_u32_e32 v4, v4, v5
	v_lshlrev_b64 v[0:1], v4, v[0:1]
	v_min_u32_e32 v0, 1, v0
	v_or_b32_e32 v0, v1, v0
	v_cvt_f32_i32_e32 v0, v0
	v_sub_u32_e32 v4, 32, v4
	v_mov_b32_e32 v1, 0
	v_ldexp_f32 v0, v0, v4
	s_branch .LBB232_983
.LBB232_980:
                                        ; implicit-def: $vgpr0_vgpr1
	s_branch .LBB232_989
.LBB232_981:
	s_mov_b64 s[16:17], -1
                                        ; implicit-def: $vgpr0_vgpr1
	s_branch .LBB232_986
.LBB232_982:
	s_mov_b64 s[16:17], -1
                                        ; implicit-def: $vgpr0_vgpr1
.LBB232_983:
	s_andn2_b64 vcc, exec, s[16:17]
	s_cbranch_vccnz .LBB232_985
; %bb.984:
	global_load_dword v0, v[2:3], off
	s_waitcnt vmcnt(1)
	v_mov_b32_e32 v1, 0
	s_waitcnt vmcnt(0)
	v_cvt_f32_i32_e32 v0, v0
.LBB232_985:
	s_mov_b64 s[16:17], 0
.LBB232_986:
	s_andn2_b64 vcc, exec, s[16:17]
	s_cbranch_vccnz .LBB232_988
; %bb.987:
	global_load_sshort v0, v[2:3], off
	s_waitcnt vmcnt(1)
	v_mov_b32_e32 v1, 0
	s_waitcnt vmcnt(0)
	v_cvt_f32_i32_e32 v0, v0
.LBB232_988:
	s_cbranch_execnz .LBB232_994
.LBB232_989:
	s_sext_i32_i16 s16, s44
	s_cmp_gt_i32 s16, 0
	s_cbranch_scc0 .LBB232_991
; %bb.990:
	global_load_sbyte v0, v[2:3], off
	s_waitcnt vmcnt(1)
	v_mov_b32_e32 v1, 0
	s_mov_b64 s[16:17], 0
	s_waitcnt vmcnt(0)
	v_cvt_f32_i32_e32 v0, v0
	s_branch .LBB232_992
.LBB232_991:
	s_mov_b64 s[16:17], -1
                                        ; implicit-def: $vgpr0_vgpr1
.LBB232_992:
	s_andn2_b64 vcc, exec, s[16:17]
	s_cbranch_vccnz .LBB232_994
; %bb.993:
	global_load_ubyte v0, v[2:3], off
	s_waitcnt vmcnt(1)
	v_mov_b32_e32 v1, 0
	s_waitcnt vmcnt(0)
	v_cvt_f32_ubyte0_e32 v0, v0
.LBB232_994:
	s_or_b64 s[0:1], s[0:1], exec
.LBB232_995:
	s_or_b64 exec, exec, s[2:3]
	s_mov_b64 s[20:21], 0
	s_mov_b64 s[2:3], 0
                                        ; implicit-def: $sgpr26
                                        ; implicit-def: $vgpr4_vgpr5
                                        ; implicit-def: $vgpr2
	s_and_saveexec_b64 s[16:17], s[0:1]
	s_cbranch_execz .LBB232_1008
; %bb.996:
	s_waitcnt vmcnt(0)
	v_cmp_neq_f32_e32 vcc, 0, v0
	v_cmp_neq_f32_e64 s[0:1], 0, v1
	v_mov_b32_e32 v2, 0
	s_or_b64 s[0:1], vcc, s[0:1]
	s_and_saveexec_b64 s[20:21], s[0:1]
	s_cbranch_execz .LBB232_1029
; %bb.997:
	v_mov_b32_e32 v2, 0x7f800000
	v_cmp_neq_f32_e64 s[0:1], |v1|, v2
	s_and_saveexec_b64 s[22:23], s[0:1]
	s_cbranch_execz .LBB232_1028
; %bb.998:
	v_cmp_o_f32_e32 vcc, v0, v0
                                        ; implicit-def: $vgpr2
	s_and_saveexec_b64 s[0:1], vcc
	s_xor_b64 s[24:25], exec, s[0:1]
	s_cbranch_execz .LBB232_1025
; %bb.999:
	s_mov_b32 s0, 0x7f800000
	v_cmp_neq_f32_e64 s[0:1], |v0|, s0
                                        ; implicit-def: $vgpr2
	s_and_saveexec_b64 s[2:3], s[0:1]
	s_xor_b64 s[26:27], exec, s[2:3]
	s_cbranch_execz .LBB232_1018
; %bb.1000:
	v_max_f32_e64 v2, |v1|, |v1|
	v_max_f32_e64 v3, |v0|, |v0|
	v_max_f32_e32 v2, v3, v2
	s_mov_b32 s0, 0x7ed413cb
	v_cmp_nle_f32_e64 s[0:1], s0, v2
                                        ; implicit-def: $sgpr28_sgpr29
	s_and_saveexec_b64 s[2:3], s[0:1]
	s_xor_b64 s[2:3], exec, s[2:3]
	s_cbranch_execz .LBB232_1004
; %bb.1001:
	s_mov_b32 s30, 0x1000000
	v_cmp_le_f32_e64 s[28:29], |v0|, s30
	v_cmp_le_f32_e64 s[30:31], |v1|, s30
	s_and_b64 s[34:35], s[28:29], s[30:31]
	s_mov_b64 s[28:29], 0
	s_and_saveexec_b64 s[30:31], s[34:35]
; %bb.1002:
	s_mov_b64 s[28:29], exec
	v_pk_mul_f32 v[0:1], v[0:1], 4.0 op_sel_hi:[1,0]
; %bb.1003:
	s_or_b64 exec, exec, s[30:31]
.LBB232_1004:
	s_andn2_saveexec_b64 s[2:3], s[2:3]
; %bb.1005:
	s_mov_b32 s30, 0x3e800000
	v_pk_mul_f32 v[0:1], v[0:1], s[30:31] op_sel_hi:[1,0]
	s_andn2_b64 s[28:29], s[28:29], exec
; %bb.1006:
	s_or_b64 exec, exec, s[2:3]
	v_max_f32_e64 v2, |v1|, |v1|
	v_max_f32_e64 v3, |v0|, |v0|
	v_max_f32_e32 v4, v3, v2
	v_cvt_f64_f32_e32 v[2:3], v4
	v_frexp_exp_i32_f64_e32 v2, v[2:3]
	v_sub_u32_e32 v3, 0, v2
	v_ldexp_f32 v5, |v0|, v3
	v_ldexp_f32 v3, |v1|, v3
	v_mul_f32_e32 v3, v3, v3
	v_fmac_f32_e32 v3, v5, v5
	v_sqrt_f32_e32 v3, v3
	s_mov_b32 s2, 0x7f800000
	v_cmp_neq_f32_e64 s[2:3], s2, v4
	v_cmp_le_f32_e32 vcc, 0, v0
	v_ldexp_f32 v2, v3, v2
	v_mov_b32_e32 v3, 0x7f800000
	v_cndmask_b32_e64 v2, v3, v2, s[2:3]
                                        ; implicit-def: $vgpr4
                                        ; implicit-def: $vgpr3
	s_and_saveexec_b64 s[2:3], vcc
	s_xor_b64 s[30:31], exec, s[2:3]
	s_cbranch_execz .LBB232_1011
; %bb.1007:
	v_add_f32_e32 v0, v0, v2
	v_mul_f32_e32 v0, 0.5, v0
	s_mov_b32 s2, 0xf800000
	v_mul_f32_e32 v2, 0x4f800000, v0
	v_cmp_gt_f32_e32 vcc, s2, v0
	s_nop 1
	v_cndmask_b32_e32 v0, v0, v2, vcc
	v_sqrt_f32_e32 v2, v0
	s_nop 0
	v_add_u32_e32 v3, -1, v2
	v_fma_f32 v4, -v3, v2, v0
	v_cmp_ge_f32_e64 s[2:3], 0, v4
	v_add_u32_e32 v4, 1, v2
	s_nop 0
	v_cndmask_b32_e64 v3, v2, v3, s[2:3]
	v_fma_f32 v2, -v4, v2, v0
	v_cmp_lt_f32_e64 s[2:3], 0, v2
	s_nop 1
	v_cndmask_b32_e64 v2, v3, v4, s[2:3]
	v_mul_f32_e32 v3, 0x37800000, v2
	v_cndmask_b32_e32 v2, v2, v3, vcc
	v_mov_b32_e32 v3, 0x260
	v_cmp_class_f32_e32 vcc, v0, v3
	s_nop 1
	v_cndmask_b32_e32 v3, v2, v0, vcc
	v_add_f32_e32 v0, v3, v3
	v_div_scale_f32 v2, s[2:3], v0, v0, v1
	v_rcp_f32_e32 v4, v2
	s_nop 0
	v_fma_f32 v5, -v2, v4, 1.0
	v_fmac_f32_e32 v4, v5, v4
	v_div_scale_f32 v5, vcc, v1, v0, v1
	v_mul_f32_e32 v6, v5, v4
	v_fma_f32 v7, -v2, v6, v5
	v_fmac_f32_e32 v6, v7, v4
	v_fma_f32 v2, -v2, v6, v5
	v_div_fmas_f32 v2, v2, v4, v6
	v_div_fixup_f32 v4, v2, v0, v1
                                        ; implicit-def: $vgpr2
                                        ; implicit-def: $vgpr0_vgpr1
	s_andn2_saveexec_b64 s[30:31], s[30:31]
	s_cbranch_execz .LBB232_1013
	s_branch .LBB232_1012
.LBB232_1008:
	s_or_b64 exec, exec, s[16:17]
	s_and_saveexec_b64 s[0:1], s[14:15]
	s_cbranch_execnz .LBB232_1106
.LBB232_1009:
	s_or_b64 exec, exec, s[0:1]
	s_and_saveexec_b64 s[0:1], s[20:21]
	s_xor_b64 s[14:15], exec, s[0:1]
	s_cbranch_execz .LBB232_1107
.LBB232_1010:
	v_cmp_neq_f32_e32 vcc, 0, v2
	s_waitcnt vmcnt(0)
	v_cmp_neq_f32_e64 s[0:1], 0, v1
	s_or_b64 s[0:1], vcc, s[0:1]
	s_nop 0
	v_cndmask_b32_e64 v0, 0, 1, s[0:1]
	global_store_byte v[4:5], v0, off
	s_or_b64 exec, exec, s[14:15]
	s_and_saveexec_b64 s[0:1], s[2:3]
	s_xor_b64 s[0:1], exec, s[0:1]
	s_cbranch_execz .LBB232_1145
	s_branch .LBB232_1108
.LBB232_1011:
	s_andn2_saveexec_b64 s[30:31], s[30:31]
	s_cbranch_execz .LBB232_1013
.LBB232_1012:
	v_sub_f32_e32 v0, v2, v0
	v_mul_f32_e32 v0, 0.5, v0
	s_mov_b32 s2, 0xf800000
	v_mul_f32_e32 v2, 0x4f800000, v0
	v_cmp_gt_f32_e32 vcc, s2, v0
	s_nop 1
	v_cndmask_b32_e32 v0, v0, v2, vcc
	v_sqrt_f32_e32 v2, v0
	s_nop 0
	v_add_u32_e32 v3, -1, v2
	v_fma_f32 v4, -v3, v2, v0
	v_cmp_ge_f32_e64 s[2:3], 0, v4
	v_add_u32_e32 v4, 1, v2
	s_nop 0
	v_cndmask_b32_e64 v3, v2, v3, s[2:3]
	v_fma_f32 v2, -v4, v2, v0
	v_cmp_lt_f32_e64 s[2:3], 0, v2
	s_nop 1
	v_cndmask_b32_e64 v2, v3, v4, s[2:3]
	v_mul_f32_e32 v3, 0x37800000, v2
	v_cndmask_b32_e32 v2, v2, v3, vcc
	v_mov_b32_e32 v3, 0x260
	v_cmp_class_f32_e32 vcc, v0, v3
	v_and_b32_e32 v3, 0x7fffffff, v1
	s_nop 0
	v_cndmask_b32_e32 v0, v2, v0, vcc
	v_add_f32_e32 v2, v0, v0
	v_div_scale_f32 v4, s[2:3], v2, v2, v3
	v_rcp_f32_e32 v5, v4
	v_div_scale_f32 v3, vcc, v3, v2, v3
	s_brev_b32 s2, -2
	v_fma_f32 v6, -v4, v5, 1.0
	v_fmac_f32_e32 v5, v6, v5
	v_mul_f32_e32 v6, v3, v5
	v_fma_f32 v7, -v4, v6, v3
	v_fmac_f32_e32 v6, v7, v5
	v_fma_f32 v3, -v4, v6, v3
	v_div_fmas_f32 v3, v3, v5, v6
	v_div_fixup_f32 v3, v3, v2, |v1|
	v_bfi_b32 v4, s2, v0, v1
.LBB232_1013:
	s_or_b64 exec, exec, s[30:31]
                                        ; implicit-def: $vgpr1
                                        ; implicit-def: $vgpr2
	s_and_saveexec_b64 s[2:3], s[0:1]
	s_xor_b64 s[0:1], exec, s[2:3]
	s_cbranch_execz .LBB232_1015
; %bb.1014:
	v_mul_f32_e32 v0, 0.5, v3
	v_mul_f32_e32 v1, 0.5, v4
	v_cndmask_b32_e64 v2, v3, v0, s[28:29]
	v_cndmask_b32_e64 v1, v4, v1, s[28:29]
                                        ; implicit-def: $vgpr3
                                        ; implicit-def: $vgpr4
	s_andn2_saveexec_b64 s[0:1], s[0:1]
	s_cbranch_execnz .LBB232_1016
	s_branch .LBB232_1017
.LBB232_1015:
	s_andn2_saveexec_b64 s[0:1], s[0:1]
.LBB232_1016:
	v_add_f32_e32 v2, v3, v3
	v_add_f32_e32 v1, v4, v4
.LBB232_1017:
	s_or_b64 exec, exec, s[0:1]
.LBB232_1018:
	s_andn2_saveexec_b64 s[0:1], s[26:27]
	s_cbranch_execz .LBB232_1024
; %bb.1019:
	v_sub_f32_e32 v3, v1, v1
	v_cmp_lt_i32_e32 vcc, -1, v0
	s_brev_b32 s26, -2
	v_and_b32_e32 v2, 0x7fffffff, v3
	s_and_saveexec_b64 s[2:3], vcc
	s_xor_b64 s[2:3], exec, s[2:3]
; %bb.1020:
	v_bfi_b32 v1, s26, v3, v1
	v_mov_b32_e32 v2, v0
; %bb.1021:
	s_andn2_saveexec_b64 s[2:3], s[2:3]
; %bb.1022:
	v_bfi_b32 v1, s26, v0, v1
; %bb.1023:
	s_or_b64 exec, exec, s[2:3]
.LBB232_1024:
	s_or_b64 exec, exec, s[0:1]
.LBB232_1025:
	s_andn2_saveexec_b64 s[0:1], s[24:25]
	s_cbranch_execz .LBB232_1027
; %bb.1026:
	v_sub_f32_e32 v1, v1, v1
	v_div_scale_f32 v2, vcc, v1, v1, v1
	v_rcp_f32_e32 v3, v2
	s_nop 0
	v_fma_f32 v4, -v2, v3, 1.0
	v_fmac_f32_e32 v3, v4, v3
	v_mul_f32_e32 v4, v2, v3
	v_fma_f32 v5, -v2, v4, v2
	v_fmac_f32_e32 v4, v5, v3
	v_fma_f32 v2, -v2, v4, v2
	v_div_fmas_f32 v2, v2, v3, v4
	v_div_fixup_f32 v1, v2, v1, v1
	v_mov_b32_e32 v2, v0
.LBB232_1027:
	s_or_b64 exec, exec, s[0:1]
.LBB232_1028:
	s_or_b64 exec, exec, s[22:23]
.LBB232_1029:
	s_or_b64 exec, exec, s[20:21]
	v_mul_lo_u32 v4, v12, s8
	v_ashrrev_i32_e32 v5, 31, v4
	s_and_b32 s26, s33, 0xff
	s_cmp_lt_i32 s26, 11
	v_lshl_add_u64 v[4:5], s[4:5], 0, v[4:5]
	s_cbranch_scc1 .LBB232_1036
; %bb.1030:
	s_and_b32 s27, 0xffff, s26
	s_mov_b64 s[20:21], -1
	s_cmp_gt_i32 s27, 25
	s_mov_b64 s[0:1], s[14:15]
	s_cbranch_scc0 .LBB232_1064
; %bb.1031:
	s_mov_b64 s[2:3], -1
	s_cmp_gt_i32 s27, 28
	s_mov_b64 s[0:1], s[14:15]
	s_cbranch_scc0 .LBB232_1048
; %bb.1032:
	s_cmp_gt_i32 s27, 43
	s_mov_b64 s[0:1], s[14:15]
	s_cbranch_scc0 .LBB232_1044
; %bb.1033:
	;; [unrolled: 4-line block ×3, first 2 shown]
	s_cmp_eq_u32 s27, 46
	s_mov_b64 s[0:1], -1
	s_cbranch_scc0 .LBB232_1037
; %bb.1035:
	s_movk_i32 s0, 0x7fff
	v_bfe_u32 v3, v1, 16, 1
	v_add3_u32 v3, v1, v3, s0
	v_bfe_u32 v0, v2, 16, 1
	v_and_b32_e32 v3, 0xffff0000, v3
	v_mov_b32_e32 v6, 0x7fc00000
	v_cmp_o_f32_e32 vcc, v1, v1
	v_add3_u32 v0, v2, v0, s0
	s_mov_b64 s[0:1], 0
	v_cndmask_b32_e32 v3, v6, v3, vcc
	v_cmp_o_f32_e32 vcc, v2, v2
	v_mov_b32_e32 v6, 0x7fc0
	s_mov_b64 s[2:3], 0
	v_cndmask_b32_sdwa v0, v6, v0, vcc dst_sel:DWORD dst_unused:UNUSED_PAD src0_sel:DWORD src1_sel:WORD_1
	v_or_b32_e32 v0, v3, v0
	global_store_dword v[4:5], v0, off
	s_branch .LBB232_1038
.LBB232_1036:
	s_mov_b64 s[20:21], 0
	s_mov_b64 s[2:3], -1
	s_mov_b64 s[0:1], s[14:15]
	s_branch .LBB232_1105
.LBB232_1037:
	s_mov_b64 s[2:3], 0
.LBB232_1038:
	s_and_b64 vcc, exec, s[2:3]
	s_cbranch_vccz .LBB232_1043
; %bb.1039:
	s_cmp_eq_u32 s27, 44
	s_mov_b64 s[0:1], -1
	s_cbranch_scc0 .LBB232_1043
; %bb.1040:
	v_bfe_u32 v0, v2, 23, 8
	s_movk_i32 s0, 0xff
	v_cmp_ne_u32_e32 vcc, s0, v0
	v_mov_b32_e32 v3, 0xff
	s_and_saveexec_b64 s[2:3], vcc
; %bb.1041:
	s_mov_b32 s0, 0x3fffff
	v_and_b32_e32 v6, 0x400000, v2
	v_and_or_b32 v0, v2, s0, v0
	v_cmp_ne_u32_e32 vcc, 0, v6
	v_cmp_ne_u32_e64 s[0:1], 0, v0
	s_and_b64 s[0:1], vcc, s[0:1]
	v_lshrrev_b32_e32 v3, 23, v2
	v_cndmask_b32_e64 v0, 0, 1, s[0:1]
	v_add_u32_e32 v3, v3, v0
; %bb.1042:
	s_or_b64 exec, exec, s[2:3]
	s_mov_b64 s[0:1], 0
	global_store_byte v[4:5], v3, off
.LBB232_1043:
	s_mov_b64 s[2:3], 0
.LBB232_1044:
	s_and_b64 vcc, exec, s[2:3]
	s_cbranch_vccz .LBB232_1047
; %bb.1045:
	s_cmp_eq_u32 s27, 29
	s_mov_b64 s[0:1], -1
	s_cbranch_scc0 .LBB232_1047
; %bb.1046:
	v_trunc_f32_e32 v0, v2
	v_mul_f32_e32 v3, 0x2f800000, v0
	v_floor_f32_e32 v3, v3
	v_fmamk_f32 v0, v3, 0xcf800000, v0
	v_cvt_u32_f32_e32 v7, v3
	v_cvt_u32_f32_e32 v6, v0
	s_mov_b64 s[0:1], 0
	s_mov_b64 s[2:3], 0
	global_store_dwordx2 v[4:5], v[6:7], off
	s_branch .LBB232_1048
.LBB232_1047:
	s_mov_b64 s[2:3], 0
.LBB232_1048:
	s_and_b64 vcc, exec, s[2:3]
	s_cbranch_vccz .LBB232_1063
; %bb.1049:
	s_cmp_lt_i32 s27, 27
	s_mov_b64 s[2:3], -1
	s_cbranch_scc1 .LBB232_1055
; %bb.1050:
	v_cvt_u32_f32_e32 v0, v2
	s_cmp_gt_i32 s27, 27
	s_cbranch_scc0 .LBB232_1052
; %bb.1051:
	s_mov_b64 s[2:3], 0
	global_store_dword v[4:5], v0, off
.LBB232_1052:
	s_andn2_b64 vcc, exec, s[2:3]
	s_cbranch_vccnz .LBB232_1054
; %bb.1053:
	global_store_short v[4:5], v0, off
.LBB232_1054:
	s_mov_b64 s[2:3], 0
.LBB232_1055:
	s_andn2_b64 vcc, exec, s[2:3]
	s_cbranch_vccnz .LBB232_1063
; %bb.1056:
	v_and_b32_e32 v0, 0x7fffffff, v2
	s_mov_b32 s2, 0x43800000
	v_cmp_gt_u32_e32 vcc, s2, v0
	v_mov_b32_e32 v3, 0x80
	s_and_saveexec_b64 s[2:3], vcc
	s_cbranch_execz .LBB232_1062
; %bb.1057:
	s_mov_b32 s20, 0x3bffffff
	v_cmp_lt_u32_e32 vcc, s20, v0
	s_mov_b64 s[20:21], 0
                                        ; implicit-def: $vgpr0
	s_and_saveexec_b64 s[22:23], vcc
	s_xor_b64 s[22:23], exec, s[22:23]
	s_cbranch_execz .LBB232_1160
; %bb.1058:
	v_bfe_u32 v0, v2, 20, 1
	s_mov_b32 s24, 0x487ffff
	v_add3_u32 v0, v2, v0, s24
	s_mov_b64 s[20:21], exec
	v_lshrrev_b32_e32 v0, 20, v0
	s_andn2_saveexec_b64 s[22:23], s[22:23]
	s_cbranch_execnz .LBB232_1161
.LBB232_1059:
	s_or_b64 exec, exec, s[22:23]
	v_mov_b32_e32 v3, 0
	s_and_saveexec_b64 s[22:23], s[20:21]
.LBB232_1060:
	v_lshrrev_b32_e32 v3, 24, v2
	s_movk_i32 s20, 0x80
	v_and_or_b32 v3, v3, s20, v0
.LBB232_1061:
	s_or_b64 exec, exec, s[22:23]
.LBB232_1062:
	s_or_b64 exec, exec, s[2:3]
	global_store_byte v[4:5], v3, off
.LBB232_1063:
	s_mov_b64 s[20:21], 0
.LBB232_1064:
	s_mov_b64 s[2:3], 0
	s_and_b64 vcc, exec, s[20:21]
	s_cbranch_vccz .LBB232_1104
; %bb.1065:
	s_cmp_gt_i32 s27, 22
	s_mov_b64 s[20:21], -1
	s_cbranch_scc0 .LBB232_1097
; %bb.1066:
	s_cmp_lt_i32 s27, 24
	s_cbranch_scc1 .LBB232_1086
; %bb.1067:
	s_cmp_gt_i32 s27, 24
	s_cbranch_scc0 .LBB232_1075
; %bb.1068:
	v_and_b32_e32 v0, 0x7fffffff, v2
	s_mov_b32 s20, 0x47800000
	v_cmp_gt_u32_e32 vcc, s20, v0
	v_mov_b32_e32 v3, 0x80
	s_and_saveexec_b64 s[20:21], vcc
	s_cbranch_execz .LBB232_1074
; %bb.1069:
	s_mov_b32 s22, 0x37ffffff
	v_cmp_lt_u32_e32 vcc, s22, v0
	s_mov_b64 s[22:23], 0
                                        ; implicit-def: $vgpr0
	s_and_saveexec_b64 s[24:25], vcc
	s_xor_b64 s[24:25], exec, s[24:25]
	s_cbranch_execz .LBB232_1316
; %bb.1070:
	v_bfe_u32 v0, v2, 21, 1
	s_mov_b32 s28, 0x88fffff
	v_add3_u32 v0, v2, v0, s28
	s_mov_b64 s[22:23], exec
	v_lshrrev_b32_e32 v0, 21, v0
	s_andn2_saveexec_b64 s[24:25], s[24:25]
	s_cbranch_execnz .LBB232_1317
.LBB232_1071:
	s_or_b64 exec, exec, s[24:25]
	v_mov_b32_e32 v3, 0
	s_and_saveexec_b64 s[24:25], s[22:23]
.LBB232_1072:
	v_lshrrev_b32_e32 v3, 24, v2
	s_movk_i32 s22, 0x80
	v_and_or_b32 v3, v3, s22, v0
.LBB232_1073:
	s_or_b64 exec, exec, s[24:25]
.LBB232_1074:
	s_or_b64 exec, exec, s[20:21]
	s_mov_b64 s[20:21], 0
	global_store_byte v[4:5], v3, off
.LBB232_1075:
	s_and_b64 vcc, exec, s[20:21]
	s_cbranch_vccz .LBB232_1085
; %bb.1076:
	v_and_b32_e32 v3, 0x7fffffff, v2
	s_mov_b32 s20, 0x43f00000
	v_cmp_gt_u32_e32 vcc, s20, v3
                                        ; implicit-def: $vgpr0
	s_and_saveexec_b64 s[20:21], vcc
	s_xor_b64 s[20:21], exec, s[20:21]
	s_cbranch_execz .LBB232_1082
; %bb.1077:
	s_mov_b32 s22, 0x3c7fffff
	v_cmp_lt_u32_e32 vcc, s22, v3
                                        ; implicit-def: $vgpr0
	s_and_saveexec_b64 s[22:23], vcc
	s_xor_b64 s[22:23], exec, s[22:23]
; %bb.1078:
	v_bfe_u32 v0, v2, 20, 1
	s_mov_b32 s24, 0x407ffff
	v_add3_u32 v0, v2, v0, s24
	v_lshrrev_b32_e32 v3, 20, v0
	v_and_b32_e32 v0, 0xff00000, v0
	s_mov_b32 s24, 0x7f00000
	v_mov_b32_e32 v6, 0x7e
	v_cmp_ne_u32_e32 vcc, s24, v0
	s_nop 1
	v_cndmask_b32_e32 v0, v6, v3, vcc
; %bb.1079:
	s_andn2_saveexec_b64 s[22:23], s[22:23]
; %bb.1080:
	s_mov_b32 s24, 0x46800000
	v_add_f32_e64 v0, |v2|, s24
; %bb.1081:
	s_or_b64 exec, exec, s[22:23]
                                        ; implicit-def: $vgpr3
.LBB232_1082:
	s_andn2_saveexec_b64 s[20:21], s[20:21]
; %bb.1083:
	s_mov_b32 s22, 0x7f800000
	v_mov_b32_e32 v0, 0x7e
	v_mov_b32_e32 v6, 0x7f
	v_cmp_lt_u32_e32 vcc, s22, v3
	s_nop 1
	v_cndmask_b32_e32 v0, v0, v6, vcc
; %bb.1084:
	s_or_b64 exec, exec, s[20:21]
	v_lshrrev_b32_e32 v3, 24, v2
	s_movk_i32 s20, 0x80
	v_and_or_b32 v0, v3, s20, v0
	global_store_byte v[4:5], v0, off
.LBB232_1085:
	s_mov_b64 s[20:21], 0
.LBB232_1086:
	s_andn2_b64 vcc, exec, s[20:21]
	s_cbranch_vccnz .LBB232_1096
; %bb.1087:
	v_and_b32_e32 v3, 0x7fffffff, v2
	s_mov_b32 s20, 0x47800000
	v_cmp_gt_u32_e32 vcc, s20, v3
                                        ; implicit-def: $vgpr0
	s_and_saveexec_b64 s[20:21], vcc
	s_xor_b64 s[20:21], exec, s[20:21]
	s_cbranch_execz .LBB232_1093
; %bb.1088:
	s_mov_b32 s22, 0x387fffff
	v_cmp_lt_u32_e32 vcc, s22, v3
                                        ; implicit-def: $vgpr0
	s_and_saveexec_b64 s[22:23], vcc
	s_xor_b64 s[22:23], exec, s[22:23]
; %bb.1089:
	v_bfe_u32 v0, v2, 21, 1
	s_mov_b32 s24, 0x80fffff
	v_add3_u32 v0, v2, v0, s24
	v_lshrrev_b32_e32 v0, 21, v0
; %bb.1090:
	s_andn2_saveexec_b64 s[22:23], s[22:23]
; %bb.1091:
	s_mov_b32 s24, 0x43000000
	v_add_f32_e64 v0, |v2|, s24
; %bb.1092:
	s_or_b64 exec, exec, s[22:23]
                                        ; implicit-def: $vgpr3
.LBB232_1093:
	s_andn2_saveexec_b64 s[20:21], s[20:21]
; %bb.1094:
	s_mov_b32 s22, 0x7f800000
	v_mov_b32_e32 v0, 0x7c
	v_mov_b32_e32 v6, 0x7f
	v_cmp_lt_u32_e32 vcc, s22, v3
	s_nop 1
	v_cndmask_b32_e32 v0, v0, v6, vcc
; %bb.1095:
	s_or_b64 exec, exec, s[20:21]
	v_lshrrev_b32_e32 v3, 24, v2
	s_movk_i32 s20, 0x80
	v_and_or_b32 v0, v3, s20, v0
	global_store_byte v[4:5], v0, off
.LBB232_1096:
	s_mov_b64 s[20:21], 0
.LBB232_1097:
	s_andn2_b64 vcc, exec, s[20:21]
	s_mov_b64 s[20:21], 0
	s_cbranch_vccnz .LBB232_1105
; %bb.1098:
	s_cmp_gt_i32 s27, 14
	s_mov_b64 s[22:23], -1
	s_cbranch_scc0 .LBB232_1102
; %bb.1099:
	s_cmp_eq_u32 s27, 15
	s_mov_b64 s[0:1], -1
	s_cbranch_scc0 .LBB232_1101
; %bb.1100:
	v_bfe_u32 v0, v2, 16, 1
	s_movk_i32 s0, 0x7fff
	v_add3_u32 v0, v2, v0, s0
	v_cmp_o_f32_e32 vcc, v2, v2
	v_mov_b32_e32 v3, 0x7fc0
	s_mov_b64 s[0:1], 0
	v_cndmask_b32_sdwa v0, v3, v0, vcc dst_sel:DWORD dst_unused:UNUSED_PAD src0_sel:DWORD src1_sel:WORD_1
	global_store_short v[4:5], v0, off
.LBB232_1101:
	s_mov_b64 s[22:23], 0
.LBB232_1102:
	s_and_b64 vcc, exec, s[22:23]
	s_cbranch_vccz .LBB232_1105
; %bb.1103:
	s_cmp_lg_u32 s27, 11
	s_cselect_b64 s[22:23], -1, 0
	s_andn2_b64 s[0:1], s[0:1], exec
	s_and_b64 s[22:23], s[22:23], exec
	s_mov_b64 s[20:21], -1
	s_or_b64 s[0:1], s[0:1], s[22:23]
	s_branch .LBB232_1105
.LBB232_1104:
	s_mov_b64 s[20:21], 0
.LBB232_1105:
	s_andn2_b64 s[14:15], s[14:15], exec
	s_and_b64 s[0:1], s[0:1], exec
	s_and_b64 s[2:3], s[2:3], exec
	;; [unrolled: 1-line block ×3, first 2 shown]
	s_or_b64 s[14:15], s[14:15], s[0:1]
	s_or_b64 exec, exec, s[16:17]
	s_and_saveexec_b64 s[0:1], s[14:15]
	s_cbranch_execz .LBB232_1009
.LBB232_1106:
	s_or_b64 s[18:19], s[18:19], exec
	s_andn2_b64 s[20:21], s[20:21], exec
	s_trap 2
	s_or_b64 exec, exec, s[0:1]
	s_and_saveexec_b64 s[0:1], s[20:21]
	s_xor_b64 s[14:15], exec, s[0:1]
	s_cbranch_execnz .LBB232_1010
.LBB232_1107:
	s_or_b64 exec, exec, s[14:15]
	s_and_saveexec_b64 s[0:1], s[2:3]
	s_xor_b64 s[0:1], exec, s[0:1]
	s_cbranch_execz .LBB232_1145
.LBB232_1108:
	s_sext_i32_i16 s14, s26
	s_cmp_lt_i32 s14, 5
	s_mov_b64 s[2:3], -1
	s_cbranch_scc1 .LBB232_1129
; %bb.1109:
	s_cmp_lt_i32 s14, 8
	s_cbranch_scc1 .LBB232_1119
; %bb.1110:
	s_cmp_lt_i32 s14, 9
	s_cbranch_scc1 .LBB232_1116
; %bb.1111:
	s_cmp_gt_i32 s14, 9
	s_cbranch_scc0 .LBB232_1113
; %bb.1112:
	v_cvt_f64_f32_e32 v[6:7], v2
	s_waitcnt vmcnt(0)
	v_cvt_f64_f32_e32 v[8:9], v1
	s_mov_b64 s[2:3], 0
	global_store_dwordx4 v[4:5], v[6:9], off
.LBB232_1113:
	s_andn2_b64 vcc, exec, s[2:3]
	s_cbranch_vccnz .LBB232_1115
; %bb.1114:
	s_waitcnt vmcnt(0)
	v_mov_b32_e32 v3, v1
	global_store_dwordx2 v[4:5], v[2:3], off
.LBB232_1115:
	s_mov_b64 s[2:3], 0
.LBB232_1116:
	s_andn2_b64 vcc, exec, s[2:3]
	s_cbranch_vccnz .LBB232_1118
; %bb.1117:
	s_waitcnt vmcnt(0)
	v_cvt_f16_f32_e32 v0, v2
	v_cvt_f16_f32_sdwa v1, v1 dst_sel:WORD_1 dst_unused:UNUSED_PAD src0_sel:DWORD
	s_nop 0
	v_or_b32_e32 v0, v1, v0
	global_store_dword v[4:5], v0, off
.LBB232_1118:
	s_mov_b64 s[2:3], 0
.LBB232_1119:
	s_andn2_b64 vcc, exec, s[2:3]
	s_cbranch_vccnz .LBB232_1128
; %bb.1120:
	s_sext_i32_i16 s14, s26
	s_cmp_lt_i32 s14, 6
	s_mov_b64 s[2:3], -1
	s_cbranch_scc1 .LBB232_1126
; %bb.1121:
	s_cmp_gt_i32 s14, 6
	s_cbranch_scc0 .LBB232_1123
; %bb.1122:
	s_waitcnt vmcnt(0)
	v_cvt_f64_f32_e32 v[0:1], v2
	s_mov_b64 s[2:3], 0
	global_store_dwordx2 v[4:5], v[0:1], off
.LBB232_1123:
	s_andn2_b64 vcc, exec, s[2:3]
	s_cbranch_vccnz .LBB232_1125
; %bb.1124:
	global_store_dword v[4:5], v2, off
.LBB232_1125:
	s_mov_b64 s[2:3], 0
.LBB232_1126:
	s_andn2_b64 vcc, exec, s[2:3]
	s_cbranch_vccnz .LBB232_1128
; %bb.1127:
	s_waitcnt vmcnt(0)
	v_cvt_f16_f32_e32 v0, v2
	global_store_short v[4:5], v0, off
.LBB232_1128:
	s_mov_b64 s[2:3], 0
.LBB232_1129:
	s_andn2_b64 vcc, exec, s[2:3]
	s_cbranch_vccnz .LBB232_1145
; %bb.1130:
	s_sext_i32_i16 s14, s26
	s_cmp_lt_i32 s14, 2
	s_mov_b64 s[2:3], -1
	s_cbranch_scc1 .LBB232_1140
; %bb.1131:
	s_cmp_lt_i32 s14, 3
	s_cbranch_scc1 .LBB232_1137
; %bb.1132:
	s_cmp_gt_i32 s14, 3
	s_cbranch_scc0 .LBB232_1134
; %bb.1133:
	s_waitcnt vmcnt(0)
	v_trunc_f32_e32 v0, v2
	s_mov_b32 s2, 0x2f800000
	v_mul_f32_e64 v1, |v0|, s2
	v_floor_f32_e32 v1, v1
	s_mov_b32 s2, 0xcf800000
	v_cvt_u32_f32_e32 v3, v1
	v_fma_f32 v1, v1, s2, |v0|
	v_cvt_u32_f32_e32 v1, v1
	v_ashrrev_i32_e32 v6, 31, v0
	v_xor_b32_e32 v3, v3, v6
	s_mov_b64 s[2:3], 0
	v_xor_b32_e32 v0, v1, v6
	v_sub_co_u32_e32 v0, vcc, v0, v6
	s_nop 1
	v_subb_co_u32_e32 v1, vcc, v3, v6, vcc
	global_store_dwordx2 v[4:5], v[0:1], off
.LBB232_1134:
	s_andn2_b64 vcc, exec, s[2:3]
	s_cbranch_vccnz .LBB232_1136
; %bb.1135:
	s_waitcnt vmcnt(0)
	v_cvt_i32_f32_e32 v0, v2
	global_store_dword v[4:5], v0, off
.LBB232_1136:
	s_mov_b64 s[2:3], 0
.LBB232_1137:
	s_andn2_b64 vcc, exec, s[2:3]
	s_cbranch_vccnz .LBB232_1139
; %bb.1138:
	s_waitcnt vmcnt(0)
	v_cvt_i32_f32_e32 v0, v2
	global_store_short v[4:5], v0, off
.LBB232_1139:
	s_mov_b64 s[2:3], 0
.LBB232_1140:
	s_andn2_b64 vcc, exec, s[2:3]
	s_cbranch_vccnz .LBB232_1145
; %bb.1141:
	s_sext_i32_i16 s2, s26
	s_cmp_gt_i32 s2, 0
	s_mov_b64 s[2:3], -1
	s_cbranch_scc0 .LBB232_1143
; %bb.1142:
	s_waitcnt vmcnt(0)
	v_cvt_i32_f32_e32 v0, v2
	s_mov_b64 s[2:3], 0
	global_store_byte v[4:5], v0, off
.LBB232_1143:
	s_andn2_b64 vcc, exec, s[2:3]
	s_cbranch_vccnz .LBB232_1145
; %bb.1144:
	s_waitcnt vmcnt(0)
	v_trunc_f32_e32 v0, v2
	s_mov_b32 s2, 0x2f800000
	v_mul_f32_e64 v1, |v0|, s2
	v_floor_f32_e32 v1, v1
	s_mov_b32 s2, 0xcf800000
	v_fma_f32 v1, v1, s2, |v0|
	v_cvt_u32_f32_e32 v1, v1
	v_ashrrev_i32_e32 v0, 31, v0
	v_xor_b32_e32 v1, v1, v0
	v_sub_u32_e32 v0, v1, v0
	global_store_byte v[4:5], v0, off
.LBB232_1145:
	s_or_b64 exec, exec, s[0:1]
	s_and_b64 s[14:15], s[18:19], exec
                                        ; implicit-def: $vgpr12
.LBB232_1146:
	s_or_saveexec_b64 s[12:13], s[12:13]
	s_mov_b64 s[18:19], 0
                                        ; implicit-def: $sgpr20
                                        ; implicit-def: $vgpr0_vgpr1
                                        ; implicit-def: $vgpr9
                                        ; implicit-def: $vgpr6
	s_xor_b64 exec, exec, s[12:13]
	s_cbranch_execz .LBB232_1765
; %bb.1147:
	v_mul_lo_u32 v2, s9, v12
	v_ashrrev_i32_e32 v3, 31, v2
	s_and_b32 s28, 0xffff, s44
	s_cmp_lt_i32 s28, 11
	v_lshl_add_u64 v[4:5], s[6:7], 0, v[2:3]
	s_cbranch_scc1 .LBB232_1154
; %bb.1148:
	s_cmp_gt_i32 s28, 25
	s_mov_b64 s[2:3], 0
	s_cbranch_scc0 .LBB232_1156
; %bb.1149:
	s_cmp_gt_i32 s28, 28
	s_cbranch_scc0 .LBB232_1157
; %bb.1150:
	s_cmp_gt_i32 s28, 43
	;; [unrolled: 3-line block ×3, first 2 shown]
	s_cbranch_scc0 .LBB232_1159
; %bb.1152:
	s_cmp_eq_u32 s28, 46
	s_mov_b64 s[16:17], 0
	s_cbranch_scc0 .LBB232_1162
; %bb.1153:
	global_load_dword v0, v[4:5], off
	s_mov_b64 s[0:1], 0
	s_mov_b64 s[10:11], -1
	s_waitcnt vmcnt(0)
	v_and_b32_e32 v1, 0xffff0000, v0
	v_lshlrev_b32_e32 v0, 16, v0
	s_branch .LBB232_1164
.LBB232_1154:
                                        ; implicit-def: $vgpr0_vgpr1
	s_mov_b64 s[16:17], s[14:15]
	s_cbranch_execnz .LBB232_1227
.LBB232_1155:
	s_andn2_b64 vcc, exec, s[10:11]
	s_cbranch_vccz .LBB232_1272
	s_branch .LBB232_1762
.LBB232_1156:
	s_mov_b64 s[0:1], 0
                                        ; implicit-def: $vgpr0_vgpr1
	s_cbranch_execnz .LBB232_1194
	s_branch .LBB232_1223
.LBB232_1157:
	s_mov_b64 s[16:17], -1
	s_mov_b64 s[0:1], 0
                                        ; implicit-def: $vgpr0_vgpr1
	s_branch .LBB232_1173
.LBB232_1158:
	s_mov_b64 s[0:1], 0
                                        ; implicit-def: $vgpr0_vgpr1
	s_cbranch_execnz .LBB232_1169
	s_branch .LBB232_1172
.LBB232_1159:
	s_mov_b64 s[16:17], -1
	s_mov_b64 s[0:1], 0
	s_branch .LBB232_1163
.LBB232_1160:
	s_andn2_saveexec_b64 s[22:23], s[22:23]
	s_cbranch_execz .LBB232_1059
.LBB232_1161:
	s_mov_b32 s24, 0x46000000
	v_add_f32_e64 v0, |v2|, s24
	v_and_b32_e32 v0, 0xff, v0
	v_cmp_ne_u32_e32 vcc, 0, v0
	s_andn2_b64 s[20:21], s[20:21], exec
	s_and_b64 s[24:25], vcc, exec
	s_or_b64 s[20:21], s[20:21], s[24:25]
	s_or_b64 exec, exec, s[22:23]
	v_mov_b32_e32 v3, 0
	s_and_saveexec_b64 s[22:23], s[20:21]
	s_cbranch_execnz .LBB232_1060
	s_branch .LBB232_1061
.LBB232_1162:
	s_mov_b64 s[0:1], -1
.LBB232_1163:
                                        ; implicit-def: $vgpr0_vgpr1
.LBB232_1164:
	s_and_b64 vcc, exec, s[16:17]
	s_cbranch_vccz .LBB232_1167
; %bb.1165:
	s_cmp_eq_u32 s28, 44
	s_cbranch_scc0 .LBB232_1168
; %bb.1166:
	global_load_ubyte v0, v[4:5], off
	s_movk_i32 s10, 0xff
	v_mov_b32_e32 v3, 0x7f800001
	v_mov_b32_e32 v6, 0x400000
	s_waitcnt vmcnt(1)
	v_mov_b32_e32 v1, 0
	s_mov_b64 s[0:1], 0
	s_waitcnt vmcnt(0)
	v_lshlrev_b32_e32 v7, 23, v0
	v_cmp_ne_u32_e32 vcc, s10, v0
	s_mov_b64 s[10:11], -1
	s_nop 0
	v_cndmask_b32_e32 v3, v3, v7, vcc
	v_cmp_ne_u32_e32 vcc, 0, v0
	s_nop 1
	v_cndmask_b32_e32 v0, v6, v3, vcc
.LBB232_1167:
	s_branch .LBB232_1172
.LBB232_1168:
	s_mov_b64 s[0:1], -1
                                        ; implicit-def: $vgpr0_vgpr1
	s_branch .LBB232_1172
.LBB232_1169:
	s_cmp_eq_u32 s28, 29
	s_cbranch_scc0 .LBB232_1171
; %bb.1170:
	global_load_dwordx2 v[0:1], v[4:5], off
	s_mov_b64 s[0:1], 0
	s_mov_b64 s[10:11], -1
	s_mov_b64 s[16:17], 0
	s_waitcnt vmcnt(0)
	v_ffbh_u32_e32 v3, v1
	v_min_u32_e32 v3, 32, v3
	v_lshlrev_b64 v[0:1], v3, v[0:1]
	v_min_u32_e32 v0, 1, v0
	v_or_b32_e32 v0, v1, v0
	v_cvt_f32_u32_e32 v0, v0
	v_sub_u32_e32 v3, 32, v3
	v_mov_b32_e32 v1, 0
	v_ldexp_f32 v0, v0, v3
	s_branch .LBB232_1173
.LBB232_1171:
	s_mov_b64 s[0:1], -1
                                        ; implicit-def: $vgpr0_vgpr1
.LBB232_1172:
	s_mov_b64 s[16:17], 0
.LBB232_1173:
	s_and_b64 vcc, exec, s[16:17]
	s_cbranch_vccz .LBB232_1193
; %bb.1174:
	s_cmp_lt_i32 s28, 27
	s_cbranch_scc1 .LBB232_1177
; %bb.1175:
	s_cmp_gt_i32 s28, 27
	s_cbranch_scc0 .LBB232_1178
; %bb.1176:
	global_load_dword v0, v[4:5], off
	s_waitcnt vmcnt(1)
	v_mov_b32_e32 v1, 0
	s_mov_b64 s[10:11], 0
	s_waitcnt vmcnt(0)
	v_cvt_f32_u32_e32 v0, v0
	s_branch .LBB232_1179
.LBB232_1177:
	s_mov_b64 s[10:11], -1
                                        ; implicit-def: $vgpr0_vgpr1
	s_branch .LBB232_1182
.LBB232_1178:
	s_mov_b64 s[10:11], -1
                                        ; implicit-def: $vgpr0_vgpr1
.LBB232_1179:
	s_andn2_b64 vcc, exec, s[10:11]
	s_cbranch_vccnz .LBB232_1181
; %bb.1180:
	global_load_ushort v0, v[4:5], off
	s_waitcnt vmcnt(1)
	v_mov_b32_e32 v1, 0
	s_waitcnt vmcnt(0)
	v_cvt_f32_u32_e32 v0, v0
.LBB232_1181:
	s_mov_b64 s[10:11], 0
.LBB232_1182:
	s_andn2_b64 vcc, exec, s[10:11]
	s_cbranch_vccnz .LBB232_1192
; %bb.1183:
	global_load_ubyte v3, v[4:5], off
	s_movk_i32 s10, 0x7f
	s_waitcnt vmcnt(0)
	v_cmp_lt_i16_e32 vcc, s10, v3
	s_mov_b64 s[10:11], 0
	s_and_saveexec_b64 s[16:17], vcc
	s_xor_b64 s[16:17], exec, s[16:17]
	s_cbranch_execz .LBB232_1187
; %bb.1184:
	s_movk_i32 s10, 0x80
	v_cmp_eq_u16_e32 vcc, s10, v3
	s_mov_b64 s[10:11], -1
	s_and_saveexec_b64 s[18:19], vcc
; %bb.1185:
	s_xor_b64 s[10:11], exec, -1
; %bb.1186:
	s_or_b64 exec, exec, s[18:19]
	s_and_b64 s[10:11], s[10:11], exec
.LBB232_1187:
	s_or_saveexec_b64 s[16:17], s[16:17]
	v_mov_b32_e32 v0, 0x7f800001
	v_mov_b32_e32 v1, 0
	s_xor_b64 exec, exec, s[16:17]
; %bb.1188:
	v_cmp_ne_u16_e32 vcc, 0, v3
	s_andn2_b64 s[10:11], s[10:11], exec
	s_and_b64 s[18:19], vcc, exec
	v_mov_b32_e32 v0, v1
	s_or_b64 s[10:11], s[10:11], s[18:19]
; %bb.1189:
	s_or_b64 exec, exec, s[16:17]
	s_and_saveexec_b64 s[16:17], s[10:11]
	s_cbranch_execz .LBB232_1191
; %bb.1190:
	v_and_b32_e32 v1, 0xffff, v3
	v_lshlrev_b32_e32 v0, 24, v3
	v_and_b32_e32 v3, 7, v1
	v_ffbh_u32_e32 v7, v3
	v_min_u32_e32 v7, 32, v7
	v_subrev_u32_e32 v8, 28, v7
	v_bfe_u32 v6, v1, 3, 4
	v_lshlrev_b32_e32 v1, v8, v1
	v_sub_u32_e32 v7, 29, v7
	v_and_b32_e32 v1, 7, v1
	v_cmp_eq_u32_e32 vcc, 0, v6
	v_and_b32_e32 v0, 0x80000000, v0
	s_nop 0
	v_cndmask_b32_e32 v6, v6, v7, vcc
	v_cndmask_b32_e32 v1, v3, v1, vcc
	v_mov_b32_e32 v3, 0x3b800000
	v_lshlrev_b32_e32 v1, 20, v1
	v_lshl_add_u32 v3, v6, 23, v3
	v_or3_b32 v0, v0, v3, v1
	v_mov_b32_e32 v1, 0
.LBB232_1191:
	s_or_b64 exec, exec, s[16:17]
.LBB232_1192:
	s_mov_b64 s[10:11], -1
.LBB232_1193:
	s_branch .LBB232_1223
.LBB232_1194:
	s_cmp_gt_i32 s28, 22
	s_cbranch_scc0 .LBB232_1206
; %bb.1195:
	s_cmp_lt_i32 s28, 24
	s_cbranch_scc1 .LBB232_1207
; %bb.1196:
	s_cmp_gt_i32 s28, 24
	s_cbranch_scc0 .LBB232_1208
; %bb.1197:
	global_load_ubyte v3, v[4:5], off
	s_movk_i32 s2, 0x7f
	s_waitcnt vmcnt(0)
	v_cmp_lt_i16_e32 vcc, s2, v3
	s_mov_b64 s[2:3], 0
	s_and_saveexec_b64 s[10:11], vcc
	s_xor_b64 s[10:11], exec, s[10:11]
	s_cbranch_execz .LBB232_1201
; %bb.1198:
	s_movk_i32 s2, 0x80
	v_cmp_eq_u16_e32 vcc, s2, v3
	s_mov_b64 s[2:3], -1
	s_and_saveexec_b64 s[16:17], vcc
; %bb.1199:
	s_xor_b64 s[2:3], exec, -1
; %bb.1200:
	s_or_b64 exec, exec, s[16:17]
	s_and_b64 s[2:3], s[2:3], exec
.LBB232_1201:
	s_or_saveexec_b64 s[10:11], s[10:11]
	v_mov_b32_e32 v0, 0x7f800001
	v_mov_b32_e32 v1, 0
	s_xor_b64 exec, exec, s[10:11]
; %bb.1202:
	v_cmp_ne_u16_e32 vcc, 0, v3
	s_andn2_b64 s[2:3], s[2:3], exec
	s_and_b64 s[16:17], vcc, exec
	v_mov_b32_e32 v0, v1
	s_or_b64 s[2:3], s[2:3], s[16:17]
; %bb.1203:
	s_or_b64 exec, exec, s[10:11]
	s_and_saveexec_b64 s[10:11], s[2:3]
	s_cbranch_execz .LBB232_1205
; %bb.1204:
	v_and_b32_e32 v1, 0xffff, v3
	v_lshlrev_b32_e32 v0, 24, v3
	v_and_b32_e32 v3, 3, v1
	v_ffbh_u32_e32 v7, v3
	v_min_u32_e32 v7, 32, v7
	v_subrev_u32_e32 v8, 29, v7
	v_bfe_u32 v6, v1, 2, 5
	v_lshlrev_b32_e32 v1, v8, v1
	v_sub_u32_e32 v7, 30, v7
	v_and_b32_e32 v1, 3, v1
	v_cmp_eq_u32_e32 vcc, 0, v6
	v_and_b32_e32 v0, 0x80000000, v0
	s_nop 0
	v_cndmask_b32_e32 v6, v6, v7, vcc
	v_cndmask_b32_e32 v1, v3, v1, vcc
	v_mov_b32_e32 v3, 0x37800000
	v_lshlrev_b32_e32 v1, 21, v1
	v_lshl_add_u32 v3, v6, 23, v3
	v_or3_b32 v0, v0, v3, v1
	v_mov_b32_e32 v1, 0
.LBB232_1205:
	s_or_b64 exec, exec, s[10:11]
	s_mov_b64 s[2:3], 0
	s_branch .LBB232_1209
.LBB232_1206:
                                        ; implicit-def: $vgpr0_vgpr1
	s_mov_b64 s[2:3], 0
	s_branch .LBB232_1215
.LBB232_1207:
	s_mov_b64 s[2:3], -1
                                        ; implicit-def: $vgpr0_vgpr1
	s_branch .LBB232_1212
.LBB232_1208:
	s_mov_b64 s[2:3], -1
                                        ; implicit-def: $vgpr0_vgpr1
.LBB232_1209:
	s_and_b64 vcc, exec, s[2:3]
	s_cbranch_vccz .LBB232_1211
; %bb.1210:
	global_load_ubyte v0, v[4:5], off
	s_mov_b32 s2, 0x7f800000
	s_brev_b32 s3, 1
	s_waitcnt vmcnt(0)
	v_lshlrev_b32_e32 v0, 24, v0
	v_and_b32_e32 v1, 0x7f000000, v0
	v_ffbh_u32_e32 v3, v1
	v_min_u32_e32 v3, 32, v3
	v_sub_u32_e64 v3, v3, 4 clamp
	v_lshlrev_b32_e32 v7, v3, v1
	v_lshlrev_b32_e32 v3, 23, v3
	v_lshrrev_b32_e32 v7, 4, v7
	v_add_u32_e32 v6, 0x1000000, v1
	v_sub_u32_e32 v3, v7, v3
	v_ashrrev_i32_e32 v6, 8, v6
	v_add_u32_e32 v3, 0x3c000000, v3
	v_and_or_b32 v3, v6, s2, v3
	v_cmp_ne_u32_e32 vcc, 0, v1
	s_nop 1
	v_cndmask_b32_e32 v1, 0, v3, vcc
	v_and_or_b32 v0, v0, s3, v1
	v_mov_b32_e32 v1, 0
.LBB232_1211:
	s_mov_b64 s[2:3], 0
.LBB232_1212:
	s_andn2_b64 vcc, exec, s[2:3]
	s_cbranch_vccnz .LBB232_1214
; %bb.1213:
	global_load_ubyte v0, v[4:5], off
	s_movk_i32 s2, 0x7f00
	s_brev_b32 s3, 16
	s_brev_b32 s10, 1
	s_waitcnt vmcnt(0)
	v_lshlrev_b16_e32 v1, 8, v0
	v_lshlrev_b32_e32 v0, 25, v0
	v_lshrrev_b32_e32 v3, 4, v0
	v_and_or_b32 v6, v1, s2, 0.5
	v_or_b32_e32 v3, 0x70000000, v3
	v_add_f32_e32 v6, -0.5, v6
	v_mul_f32_e32 v3, 0x7800000, v3
	v_cmp_gt_u32_e32 vcc, s3, v0
	v_bfe_i32 v1, v1, 0, 16
	s_nop 0
	v_cndmask_b32_e32 v0, v3, v6, vcc
	v_and_or_b32 v0, v1, s10, v0
	v_mov_b32_e32 v1, 0
.LBB232_1214:
	s_mov_b64 s[10:11], -1
	s_mov_b64 s[2:3], 0
	s_cbranch_execnz .LBB232_1223
.LBB232_1215:
	s_cmp_gt_i32 s28, 14
	s_cbranch_scc0 .LBB232_1218
; %bb.1216:
	s_cmp_eq_u32 s28, 15
	s_cbranch_scc0 .LBB232_1219
; %bb.1217:
	global_load_ushort v0, v[4:5], off
	s_waitcnt vmcnt(1)
	v_mov_b32_e32 v1, 0
	s_mov_b64 s[0:1], 0
	s_mov_b64 s[10:11], -1
	s_waitcnt vmcnt(0)
	v_lshlrev_b32_e32 v0, 16, v0
	s_branch .LBB232_1220
.LBB232_1218:
	s_mov_b64 s[16:17], -1
                                        ; implicit-def: $vgpr0_vgpr1
	s_branch .LBB232_1221
.LBB232_1219:
	s_mov_b64 s[0:1], -1
                                        ; implicit-def: $vgpr0_vgpr1
.LBB232_1220:
	s_mov_b64 s[16:17], 0
.LBB232_1221:
	s_and_b64 vcc, exec, s[16:17]
	s_cbranch_vccz .LBB232_1223
; %bb.1222:
	s_cmp_lg_u32 s28, 11
	s_mov_b64 s[2:3], -1
	s_cselect_b64 s[0:1], -1, 0
.LBB232_1223:
	s_and_b64 vcc, exec, s[0:1]
	s_mov_b64 s[16:17], s[14:15]
	s_cbranch_vccnz .LBB232_1314
; %bb.1224:
	s_andn2_b64 vcc, exec, s[2:3]
	s_cbranch_vccnz .LBB232_1226
.LBB232_1225:
	global_load_ubyte v0, v[4:5], off
	s_waitcnt vmcnt(1)
	v_mov_b32_e32 v1, 0
	s_mov_b64 s[10:11], -1
	s_waitcnt vmcnt(0)
	v_cmp_ne_u16_e32 vcc, 0, v0
	s_nop 1
	v_cndmask_b32_e64 v0, 0, 1.0, vcc
.LBB232_1226:
	s_branch .LBB232_1155
.LBB232_1227:
	s_cmp_lt_i32 s28, 5
	s_cbranch_scc1 .LBB232_1232
; %bb.1228:
	s_cmp_lt_i32 s28, 8
	s_cbranch_scc1 .LBB232_1233
; %bb.1229:
	;; [unrolled: 3-line block ×3, first 2 shown]
	s_cmp_gt_i32 s28, 9
	s_cbranch_scc0 .LBB232_1235
; %bb.1231:
	global_load_dwordx4 v[6:9], v[4:5], off
	s_mov_b64 s[0:1], 0
	s_waitcnt vmcnt(0)
	v_cvt_f32_f64_e32 v1, v[8:9]
	v_cvt_f32_f64_e32 v0, v[6:7]
	s_branch .LBB232_1236
.LBB232_1232:
                                        ; implicit-def: $vgpr0_vgpr1
	s_branch .LBB232_1253
.LBB232_1233:
                                        ; implicit-def: $vgpr0_vgpr1
	s_branch .LBB232_1242
.LBB232_1234:
	s_mov_b64 s[0:1], -1
                                        ; implicit-def: $vgpr0_vgpr1
	s_branch .LBB232_1239
.LBB232_1235:
	s_mov_b64 s[0:1], -1
                                        ; implicit-def: $vgpr0_vgpr1
.LBB232_1236:
	s_andn2_b64 vcc, exec, s[0:1]
	s_cbranch_vccnz .LBB232_1238
; %bb.1237:
	global_load_dwordx2 v[0:1], v[4:5], off
.LBB232_1238:
	s_mov_b64 s[0:1], 0
.LBB232_1239:
	s_andn2_b64 vcc, exec, s[0:1]
	s_cbranch_vccnz .LBB232_1241
; %bb.1240:
	global_load_dword v0, v[4:5], off
	s_waitcnt vmcnt(0)
	v_cvt_f32_f16_sdwa v1, v0 dst_sel:DWORD dst_unused:UNUSED_PAD src0_sel:WORD_1
	v_cvt_f32_f16_e32 v0, v0
.LBB232_1241:
	s_cbranch_execnz .LBB232_1252
.LBB232_1242:
	s_cmp_lt_i32 s28, 6
	s_cbranch_scc1 .LBB232_1245
; %bb.1243:
	s_cmp_gt_i32 s28, 6
	s_cbranch_scc0 .LBB232_1246
; %bb.1244:
	global_load_dwordx2 v[6:7], v[4:5], off
	s_waitcnt vmcnt(1)
	v_mov_b32_e32 v1, 0
	s_mov_b64 s[0:1], 0
	s_waitcnt vmcnt(0)
	v_cvt_f32_f64_e32 v0, v[6:7]
	s_branch .LBB232_1247
.LBB232_1245:
	s_mov_b64 s[0:1], -1
                                        ; implicit-def: $vgpr0_vgpr1
	s_branch .LBB232_1250
.LBB232_1246:
	s_mov_b64 s[0:1], -1
                                        ; implicit-def: $vgpr0_vgpr1
.LBB232_1247:
	s_andn2_b64 vcc, exec, s[0:1]
	s_cbranch_vccnz .LBB232_1249
; %bb.1248:
	global_load_dword v0, v[4:5], off
	s_waitcnt vmcnt(1)
	v_mov_b32_e32 v1, 0
.LBB232_1249:
	s_mov_b64 s[0:1], 0
.LBB232_1250:
	s_andn2_b64 vcc, exec, s[0:1]
	s_cbranch_vccnz .LBB232_1252
; %bb.1251:
	global_load_ushort v0, v[4:5], off
	s_waitcnt vmcnt(1)
	v_mov_b32_e32 v1, 0
	s_waitcnt vmcnt(0)
	v_cvt_f32_f16_e32 v0, v0
.LBB232_1252:
	s_cbranch_execnz .LBB232_1271
.LBB232_1253:
	s_cmp_lt_i32 s28, 2
	s_cbranch_scc1 .LBB232_1257
; %bb.1254:
	s_cmp_lt_i32 s28, 3
	s_cbranch_scc1 .LBB232_1258
; %bb.1255:
	s_cmp_gt_i32 s28, 3
	s_cbranch_scc0 .LBB232_1259
; %bb.1256:
	global_load_dwordx2 v[0:1], v[4:5], off
	s_mov_b64 s[0:1], 0
	s_waitcnt vmcnt(0)
	v_xor_b32_e32 v6, v0, v1
	v_ffbh_i32_e32 v3, v1
	v_ashrrev_i32_e32 v6, 31, v6
	v_add_u32_e32 v3, -1, v3
	v_add_u32_e32 v6, 32, v6
	v_min_u32_e32 v3, v3, v6
	v_lshlrev_b64 v[0:1], v3, v[0:1]
	v_min_u32_e32 v0, 1, v0
	v_or_b32_e32 v0, v1, v0
	v_cvt_f32_i32_e32 v0, v0
	v_sub_u32_e32 v3, 32, v3
	v_mov_b32_e32 v1, 0
	v_ldexp_f32 v0, v0, v3
	s_branch .LBB232_1260
.LBB232_1257:
                                        ; implicit-def: $vgpr0_vgpr1
	s_branch .LBB232_1266
.LBB232_1258:
	s_mov_b64 s[0:1], -1
                                        ; implicit-def: $vgpr0_vgpr1
	s_branch .LBB232_1263
.LBB232_1259:
	s_mov_b64 s[0:1], -1
                                        ; implicit-def: $vgpr0_vgpr1
.LBB232_1260:
	s_andn2_b64 vcc, exec, s[0:1]
	s_cbranch_vccnz .LBB232_1262
; %bb.1261:
	global_load_dword v0, v[4:5], off
	s_waitcnt vmcnt(1)
	v_mov_b32_e32 v1, 0
	s_waitcnt vmcnt(0)
	v_cvt_f32_i32_e32 v0, v0
.LBB232_1262:
	s_mov_b64 s[0:1], 0
.LBB232_1263:
	s_andn2_b64 vcc, exec, s[0:1]
	s_cbranch_vccnz .LBB232_1265
; %bb.1264:
	global_load_sshort v0, v[4:5], off
	s_waitcnt vmcnt(1)
	v_mov_b32_e32 v1, 0
	s_waitcnt vmcnt(0)
	v_cvt_f32_i32_e32 v0, v0
.LBB232_1265:
	s_cbranch_execnz .LBB232_1271
.LBB232_1266:
	s_cmp_gt_i32 s28, 0
	s_cbranch_scc0 .LBB232_1268
; %bb.1267:
	global_load_sbyte v0, v[4:5], off
	s_waitcnt vmcnt(1)
	v_mov_b32_e32 v1, 0
	s_mov_b64 s[0:1], 0
	s_waitcnt vmcnt(0)
	v_cvt_f32_i32_e32 v0, v0
	s_branch .LBB232_1269
.LBB232_1268:
	s_mov_b64 s[0:1], -1
                                        ; implicit-def: $vgpr0_vgpr1
.LBB232_1269:
	s_andn2_b64 vcc, exec, s[0:1]
	s_cbranch_vccnz .LBB232_1271
; %bb.1270:
	global_load_ubyte v0, v[4:5], off
	s_waitcnt vmcnt(1)
	v_mov_b32_e32 v1, 0
	s_waitcnt vmcnt(0)
	v_cvt_f32_ubyte0_e32 v0, v0
.LBB232_1271:
.LBB232_1272:
	s_waitcnt vmcnt(0)
	v_cmp_neq_f32_e32 vcc, 0, v0
	v_cmp_neq_f32_e64 s[0:1], 0, v1
	v_mov_b32_e32 v4, 0
	s_or_b64 s[0:1], vcc, s[0:1]
	s_and_saveexec_b64 s[10:11], s[0:1]
	s_cbranch_execz .LBB232_1302
; %bb.1273:
	v_mov_b32_e32 v4, 0x7f800000
	v_cmp_neq_f32_e64 s[0:1], |v1|, v4
	s_and_saveexec_b64 s[18:19], s[0:1]
	s_cbranch_execz .LBB232_1301
; %bb.1274:
	v_cmp_o_f32_e32 vcc, v0, v0
                                        ; implicit-def: $vgpr4
	s_and_saveexec_b64 s[0:1], vcc
	s_xor_b64 s[20:21], exec, s[0:1]
	s_cbranch_execz .LBB232_1298
; %bb.1275:
	s_mov_b32 s0, 0x7f800000
	v_cmp_neq_f32_e64 s[0:1], |v0|, s0
                                        ; implicit-def: $vgpr4
	s_and_saveexec_b64 s[2:3], s[0:1]
	s_xor_b64 s[22:23], exec, s[2:3]
	s_cbranch_execz .LBB232_1291
; %bb.1276:
	v_max_f32_e64 v3, |v1|, |v1|
	v_max_f32_e64 v4, |v0|, |v0|
	v_max_f32_e32 v3, v4, v3
	s_mov_b32 s0, 0x7ed413cb
	v_cmp_nle_f32_e64 s[0:1], s0, v3
                                        ; implicit-def: $sgpr24_sgpr25
	s_and_saveexec_b64 s[2:3], s[0:1]
	s_xor_b64 s[2:3], exec, s[2:3]
	s_cbranch_execz .LBB232_1280
; %bb.1277:
	s_mov_b32 s26, 0x1000000
	v_cmp_le_f32_e64 s[24:25], |v0|, s26
	v_cmp_le_f32_e64 s[26:27], |v1|, s26
	s_and_b64 s[30:31], s[24:25], s[26:27]
	s_mov_b64 s[24:25], 0
	s_and_saveexec_b64 s[26:27], s[30:31]
; %bb.1278:
	s_mov_b64 s[24:25], exec
	v_pk_mul_f32 v[0:1], v[0:1], 4.0 op_sel_hi:[1,0]
; %bb.1279:
	s_or_b64 exec, exec, s[26:27]
.LBB232_1280:
	s_andn2_saveexec_b64 s[2:3], s[2:3]
; %bb.1281:
	s_mov_b32 s26, 0x3e800000
	v_pk_mul_f32 v[0:1], v[0:1], s[26:27] op_sel_hi:[1,0]
	s_andn2_b64 s[24:25], s[24:25], exec
; %bb.1282:
	s_or_b64 exec, exec, s[2:3]
	v_max_f32_e64 v3, |v1|, |v1|
	v_max_f32_e64 v4, |v0|, |v0|
	v_max_f32_e32 v3, v4, v3
	v_cvt_f64_f32_e32 v[4:5], v3
	v_frexp_exp_i32_f64_e32 v4, v[4:5]
	v_sub_u32_e32 v5, 0, v4
	v_ldexp_f32 v6, |v0|, v5
	v_ldexp_f32 v5, |v1|, v5
	v_mul_f32_e32 v5, v5, v5
	v_fmac_f32_e32 v5, v6, v6
	v_sqrt_f32_e32 v5, v5
	s_mov_b32 s2, 0x7f800000
	v_cmp_neq_f32_e64 s[2:3], s2, v3
	v_cmp_le_f32_e32 vcc, 0, v0
	v_ldexp_f32 v4, v5, v4
	v_mov_b32_e32 v5, 0x7f800000
	v_cndmask_b32_e64 v4, v5, v4, s[2:3]
                                        ; implicit-def: $vgpr5
                                        ; implicit-def: $vgpr3
	s_and_saveexec_b64 s[2:3], vcc
	s_xor_b64 s[26:27], exec, s[2:3]
	s_cbranch_execz .LBB232_1284
; %bb.1283:
	v_add_f32_e32 v0, v0, v4
	v_mul_f32_e32 v0, 0.5, v0
	s_mov_b32 s2, 0xf800000
	v_mul_f32_e32 v3, 0x4f800000, v0
	v_cmp_gt_f32_e32 vcc, s2, v0
	s_nop 1
	v_cndmask_b32_e32 v0, v0, v3, vcc
	v_sqrt_f32_e32 v3, v0
	s_nop 0
	v_add_u32_e32 v4, -1, v3
	v_fma_f32 v5, -v4, v3, v0
	v_cmp_ge_f32_e64 s[2:3], 0, v5
	v_add_u32_e32 v5, 1, v3
	s_nop 0
	v_cndmask_b32_e64 v4, v3, v4, s[2:3]
	v_fma_f32 v3, -v5, v3, v0
	v_cmp_lt_f32_e64 s[2:3], 0, v3
	s_nop 1
	v_cndmask_b32_e64 v3, v4, v5, s[2:3]
	v_mul_f32_e32 v4, 0x37800000, v3
	v_cndmask_b32_e32 v3, v3, v4, vcc
	v_mov_b32_e32 v4, 0x260
	v_cmp_class_f32_e32 vcc, v0, v4
	s_nop 1
	v_cndmask_b32_e32 v3, v3, v0, vcc
	v_add_f32_e32 v0, v3, v3
	v_div_scale_f32 v4, s[2:3], v0, v0, v1
	v_rcp_f32_e32 v5, v4
	s_nop 0
	v_fma_f32 v6, -v4, v5, 1.0
	v_fmac_f32_e32 v5, v6, v5
	v_div_scale_f32 v6, vcc, v1, v0, v1
	v_mul_f32_e32 v7, v6, v5
	v_fma_f32 v8, -v4, v7, v6
	v_fmac_f32_e32 v7, v8, v5
	v_fma_f32 v4, -v4, v7, v6
	v_div_fmas_f32 v4, v4, v5, v7
	v_div_fixup_f32 v5, v4, v0, v1
                                        ; implicit-def: $vgpr4
                                        ; implicit-def: $vgpr0_vgpr1
	s_andn2_saveexec_b64 s[26:27], s[26:27]
	s_cbranch_execz .LBB232_1286
	s_branch .LBB232_1285
.LBB232_1284:
	s_andn2_saveexec_b64 s[26:27], s[26:27]
	s_cbranch_execz .LBB232_1286
.LBB232_1285:
	v_sub_f32_e32 v0, v4, v0
	v_mul_f32_e32 v0, 0.5, v0
	s_mov_b32 s2, 0xf800000
	v_mul_f32_e32 v3, 0x4f800000, v0
	v_cmp_gt_f32_e32 vcc, s2, v0
	s_nop 1
	v_cndmask_b32_e32 v0, v0, v3, vcc
	v_sqrt_f32_e32 v3, v0
	s_nop 0
	v_add_u32_e32 v4, -1, v3
	v_fma_f32 v5, -v4, v3, v0
	v_cmp_ge_f32_e64 s[2:3], 0, v5
	v_add_u32_e32 v5, 1, v3
	s_nop 0
	v_cndmask_b32_e64 v4, v3, v4, s[2:3]
	v_fma_f32 v3, -v5, v3, v0
	v_cmp_lt_f32_e64 s[2:3], 0, v3
	s_nop 1
	v_cndmask_b32_e64 v3, v4, v5, s[2:3]
	v_mul_f32_e32 v4, 0x37800000, v3
	v_cndmask_b32_e32 v3, v3, v4, vcc
	v_mov_b32_e32 v4, 0x260
	v_cmp_class_f32_e32 vcc, v0, v4
	v_and_b32_e32 v4, 0x7fffffff, v1
	s_nop 0
	v_cndmask_b32_e32 v0, v3, v0, vcc
	v_add_f32_e32 v3, v0, v0
	v_div_scale_f32 v5, s[2:3], v3, v3, v4
	v_rcp_f32_e32 v6, v5
	v_div_scale_f32 v4, vcc, v4, v3, v4
	s_brev_b32 s2, -2
	v_fma_f32 v7, -v5, v6, 1.0
	v_fmac_f32_e32 v6, v7, v6
	v_mul_f32_e32 v7, v4, v6
	v_fma_f32 v8, -v5, v7, v4
	v_fmac_f32_e32 v7, v8, v6
	v_fma_f32 v4, -v5, v7, v4
	v_div_fmas_f32 v4, v4, v6, v7
	v_div_fixup_f32 v3, v4, v3, |v1|
	v_bfi_b32 v5, s2, v0, v1
.LBB232_1286:
	s_or_b64 exec, exec, s[26:27]
                                        ; implicit-def: $vgpr1
                                        ; implicit-def: $vgpr4
	s_and_saveexec_b64 s[2:3], s[0:1]
	s_xor_b64 s[0:1], exec, s[2:3]
	s_cbranch_execz .LBB232_1288
; %bb.1287:
	v_mul_f32_e32 v0, 0.5, v3
	v_mul_f32_e32 v1, 0.5, v5
	v_cndmask_b32_e64 v4, v3, v0, s[24:25]
	v_cndmask_b32_e64 v1, v5, v1, s[24:25]
                                        ; implicit-def: $vgpr3
                                        ; implicit-def: $vgpr5
	s_andn2_saveexec_b64 s[0:1], s[0:1]
	s_cbranch_execnz .LBB232_1289
	s_branch .LBB232_1290
.LBB232_1288:
	s_andn2_saveexec_b64 s[0:1], s[0:1]
.LBB232_1289:
	v_add_f32_e32 v4, v3, v3
	v_add_f32_e32 v1, v5, v5
.LBB232_1290:
	s_or_b64 exec, exec, s[0:1]
.LBB232_1291:
	s_andn2_saveexec_b64 s[0:1], s[22:23]
	s_cbranch_execz .LBB232_1297
; %bb.1292:
	v_sub_f32_e32 v3, v1, v1
	v_cmp_lt_i32_e32 vcc, -1, v0
	s_brev_b32 s22, -2
	v_and_b32_e32 v4, 0x7fffffff, v3
	s_and_saveexec_b64 s[2:3], vcc
	s_xor_b64 s[2:3], exec, s[2:3]
; %bb.1293:
	v_bfi_b32 v1, s22, v3, v1
	v_mov_b32_e32 v4, v0
; %bb.1294:
	s_andn2_saveexec_b64 s[2:3], s[2:3]
; %bb.1295:
	v_bfi_b32 v1, s22, v0, v1
; %bb.1296:
	s_or_b64 exec, exec, s[2:3]
.LBB232_1297:
	s_or_b64 exec, exec, s[0:1]
.LBB232_1298:
	s_andn2_saveexec_b64 s[0:1], s[20:21]
	s_cbranch_execz .LBB232_1300
; %bb.1299:
	v_sub_f32_e32 v1, v1, v1
	v_div_scale_f32 v3, vcc, v1, v1, v1
	v_rcp_f32_e32 v4, v3
	s_nop 0
	v_fma_f32 v5, -v3, v4, 1.0
	v_fmac_f32_e32 v4, v5, v4
	v_mul_f32_e32 v5, v3, v4
	v_fma_f32 v6, -v3, v5, v3
	v_fmac_f32_e32 v5, v6, v4
	v_fma_f32 v3, -v3, v5, v3
	v_div_fmas_f32 v3, v3, v4, v5
	v_div_fixup_f32 v1, v3, v1, v1
	v_mov_b32_e32 v4, v0
.LBB232_1300:
	s_or_b64 exec, exec, s[0:1]
.LBB232_1301:
	s_or_b64 exec, exec, s[18:19]
.LBB232_1302:
	s_or_b64 exec, exec, s[10:11]
	s_lshl_b32 s9, s9, 7
	v_add_u32_e32 v6, s9, v2
	v_ashrrev_i32_e32 v7, 31, v6
	s_cmp_lt_i32 s28, 11
	v_lshl_add_u64 v[8:9], s[6:7], 0, v[6:7]
	s_cbranch_scc1 .LBB232_1309
; %bb.1303:
	s_cmp_gt_i32 s28, 25
	s_mov_b64 s[2:3], 0
	s_cbranch_scc0 .LBB232_1311
; %bb.1304:
	s_cmp_gt_i32 s28, 28
	s_cbranch_scc0 .LBB232_1312
; %bb.1305:
	s_cmp_gt_i32 s28, 43
	;; [unrolled: 3-line block ×3, first 2 shown]
	s_cbranch_scc0 .LBB232_1315
; %bb.1307:
	s_cmp_eq_u32 s28, 46
	s_mov_b64 s[18:19], 0
	s_cbranch_scc0 .LBB232_1318
; %bb.1308:
	global_load_dword v0, v[8:9], off
	s_mov_b64 s[0:1], 0
	s_mov_b64 s[10:11], -1
	s_waitcnt vmcnt(0)
	v_and_b32_e32 v3, 0xffff0000, v0
	v_lshlrev_b32_e32 v2, 16, v0
	s_branch .LBB232_1319
.LBB232_1309:
	s_mov_b64 s[10:11], 0
                                        ; implicit-def: $vgpr2_vgpr3
	s_cbranch_execnz .LBB232_1384
.LBB232_1310:
	s_andn2_b64 vcc, exec, s[10:11]
	s_cbranch_vccnz .LBB232_1762
	s_branch .LBB232_1431
.LBB232_1311:
	s_mov_b64 s[10:11], 0
	s_mov_b64 s[0:1], 0
                                        ; implicit-def: $vgpr2_vgpr3
	s_cbranch_execnz .LBB232_1350
	s_branch .LBB232_1380
.LBB232_1312:
	s_mov_b64 s[18:19], -1
	s_mov_b64 s[10:11], 0
	s_mov_b64 s[0:1], 0
                                        ; implicit-def: $vgpr2_vgpr3
	s_branch .LBB232_1329
.LBB232_1313:
	s_mov_b64 s[18:19], -1
	s_mov_b64 s[10:11], 0
	s_mov_b64 s[0:1], 0
                                        ; implicit-def: $vgpr2_vgpr3
	s_branch .LBB232_1324
.LBB232_1314:
	s_or_b64 s[16:17], s[14:15], exec
	s_trap 2
	s_cbranch_execz .LBB232_1225
	s_branch .LBB232_1226
.LBB232_1315:
	s_mov_b64 s[18:19], -1
	s_mov_b64 s[10:11], 0
	s_mov_b64 s[0:1], 0
                                        ; implicit-def: $vgpr2_vgpr3
	s_branch .LBB232_1319
.LBB232_1316:
	s_andn2_saveexec_b64 s[24:25], s[24:25]
	s_cbranch_execz .LBB232_1071
.LBB232_1317:
	s_mov_b32 s28, 0x42800000
	v_add_f32_e64 v0, |v2|, s28
	v_and_b32_e32 v0, 0xff, v0
	v_cmp_ne_u32_e32 vcc, 0, v0
	s_andn2_b64 s[22:23], s[22:23], exec
	s_and_b64 s[28:29], vcc, exec
	s_or_b64 s[22:23], s[22:23], s[28:29]
	s_or_b64 exec, exec, s[24:25]
	v_mov_b32_e32 v3, 0
	s_and_saveexec_b64 s[24:25], s[22:23]
	s_cbranch_execnz .LBB232_1072
	s_branch .LBB232_1073
.LBB232_1318:
	s_mov_b64 s[0:1], -1
                                        ; implicit-def: $vgpr2_vgpr3
	s_mov_b64 s[10:11], 0
.LBB232_1319:
	s_and_b64 vcc, exec, s[18:19]
	s_cbranch_vccz .LBB232_1323
; %bb.1320:
	s_cmp_eq_u32 s28, 44
	s_cbranch_scc0 .LBB232_1322
; %bb.1321:
	global_load_ubyte v0, v[8:9], off
	s_movk_i32 s10, 0xff
	v_mov_b32_e32 v2, 0x7f800001
	v_mov_b32_e32 v5, 0x400000
	;; [unrolled: 1-line block ×3, first 2 shown]
	s_mov_b64 s[0:1], 0
	s_waitcnt vmcnt(0)
	v_lshlrev_b32_e32 v7, 23, v0
	v_cmp_ne_u32_e32 vcc, s10, v0
	s_mov_b64 s[10:11], -1
	s_nop 0
	v_cndmask_b32_e32 v2, v2, v7, vcc
	v_cmp_ne_u32_e32 vcc, 0, v0
	s_nop 1
	v_cndmask_b32_e32 v2, v5, v2, vcc
	s_branch .LBB232_1323
.LBB232_1322:
	s_mov_b64 s[0:1], -1
                                        ; implicit-def: $vgpr2_vgpr3
.LBB232_1323:
	s_mov_b64 s[18:19], 0
.LBB232_1324:
	s_and_b64 vcc, exec, s[18:19]
	s_cbranch_vccz .LBB232_1328
; %bb.1325:
	s_cmp_eq_u32 s28, 29
	s_cbranch_scc0 .LBB232_1327
; %bb.1326:
	global_load_dwordx2 v[2:3], v[8:9], off
	s_mov_b64 s[0:1], 0
	s_mov_b64 s[10:11], -1
	s_mov_b64 s[18:19], 0
	s_waitcnt vmcnt(0)
	v_ffbh_u32_e32 v0, v3
	v_min_u32_e32 v0, 32, v0
	v_lshlrev_b64 v[2:3], v0, v[2:3]
	v_min_u32_e32 v2, 1, v2
	v_or_b32_e32 v2, v3, v2
	v_cvt_f32_u32_e32 v2, v2
	v_sub_u32_e32 v0, 32, v0
	v_mov_b32_e32 v3, 0
	v_ldexp_f32 v2, v2, v0
	s_branch .LBB232_1329
.LBB232_1327:
	s_mov_b64 s[0:1], -1
                                        ; implicit-def: $vgpr2_vgpr3
.LBB232_1328:
	s_mov_b64 s[18:19], 0
.LBB232_1329:
	s_and_b64 vcc, exec, s[18:19]
	s_cbranch_vccz .LBB232_1349
; %bb.1330:
	s_cmp_lt_i32 s28, 27
	s_cbranch_scc1 .LBB232_1333
; %bb.1331:
	s_cmp_gt_i32 s28, 27
	s_cbranch_scc0 .LBB232_1334
; %bb.1332:
	global_load_dword v0, v[8:9], off
	v_mov_b32_e32 v3, 0
	s_mov_b64 s[10:11], 0
	s_waitcnt vmcnt(0)
	v_cvt_f32_u32_e32 v2, v0
	s_branch .LBB232_1335
.LBB232_1333:
	s_mov_b64 s[10:11], -1
                                        ; implicit-def: $vgpr2_vgpr3
	s_branch .LBB232_1338
.LBB232_1334:
	s_mov_b64 s[10:11], -1
                                        ; implicit-def: $vgpr2_vgpr3
.LBB232_1335:
	s_andn2_b64 vcc, exec, s[10:11]
	s_cbranch_vccnz .LBB232_1337
; %bb.1336:
	global_load_ushort v0, v[8:9], off
	v_mov_b32_e32 v3, 0
	s_waitcnt vmcnt(0)
	v_cvt_f32_u32_e32 v2, v0
.LBB232_1337:
	s_mov_b64 s[10:11], 0
.LBB232_1338:
	s_andn2_b64 vcc, exec, s[10:11]
	s_cbranch_vccnz .LBB232_1348
; %bb.1339:
	global_load_ubyte v0, v[8:9], off
	s_movk_i32 s10, 0x7f
	s_waitcnt vmcnt(0)
	v_cmp_lt_i16_e32 vcc, s10, v0
	s_mov_b64 s[10:11], 0
	s_and_saveexec_b64 s[18:19], vcc
	s_xor_b64 s[18:19], exec, s[18:19]
	s_cbranch_execz .LBB232_1343
; %bb.1340:
	s_movk_i32 s10, 0x80
	v_cmp_eq_u16_e32 vcc, s10, v0
	s_mov_b64 s[10:11], -1
	s_and_saveexec_b64 s[20:21], vcc
; %bb.1341:
	s_xor_b64 s[10:11], exec, -1
; %bb.1342:
	s_or_b64 exec, exec, s[20:21]
	s_and_b64 s[10:11], s[10:11], exec
.LBB232_1343:
	s_or_saveexec_b64 s[18:19], s[18:19]
	v_mov_b32_e32 v2, 0x7f800001
	v_mov_b32_e32 v3, 0
	s_xor_b64 exec, exec, s[18:19]
; %bb.1344:
	v_cmp_ne_u16_e32 vcc, 0, v0
	s_andn2_b64 s[10:11], s[10:11], exec
	s_and_b64 s[20:21], vcc, exec
	v_mov_b32_e32 v2, v3
	s_or_b64 s[10:11], s[10:11], s[20:21]
; %bb.1345:
	s_or_b64 exec, exec, s[18:19]
	s_and_saveexec_b64 s[18:19], s[10:11]
	s_cbranch_execz .LBB232_1347
; %bb.1346:
	v_lshlrev_b32_e32 v2, 24, v0
	v_and_b32_e32 v0, 0xffff, v0
	v_and_b32_e32 v3, 7, v0
	v_ffbh_u32_e32 v7, v3
	v_min_u32_e32 v7, 32, v7
	v_subrev_u32_e32 v10, 28, v7
	v_bfe_u32 v5, v0, 3, 4
	v_lshlrev_b32_e32 v0, v10, v0
	v_sub_u32_e32 v7, 29, v7
	v_and_b32_e32 v0, 7, v0
	v_cmp_eq_u32_e32 vcc, 0, v5
	v_and_b32_e32 v2, 0x80000000, v2
	s_nop 0
	v_cndmask_b32_e32 v5, v5, v7, vcc
	v_cndmask_b32_e32 v0, v3, v0, vcc
	v_mov_b32_e32 v3, 0x3b800000
	v_lshlrev_b32_e32 v0, 20, v0
	v_lshl_add_u32 v3, v5, 23, v3
	v_or3_b32 v2, v2, v3, v0
	v_mov_b32_e32 v3, 0
.LBB232_1347:
	s_or_b64 exec, exec, s[18:19]
.LBB232_1348:
	s_mov_b64 s[10:11], -1
.LBB232_1349:
	s_branch .LBB232_1380
.LBB232_1350:
	s_cmp_gt_i32 s28, 22
	s_cbranch_scc0 .LBB232_1362
; %bb.1351:
	s_cmp_lt_i32 s28, 24
	s_cbranch_scc1 .LBB232_1363
; %bb.1352:
	s_cmp_gt_i32 s28, 24
	s_cbranch_scc0 .LBB232_1364
; %bb.1353:
	global_load_ubyte v0, v[8:9], off
	s_movk_i32 s2, 0x7f
	s_waitcnt vmcnt(0)
	v_cmp_lt_i16_e32 vcc, s2, v0
	s_mov_b64 s[2:3], 0
	s_and_saveexec_b64 s[10:11], vcc
	s_xor_b64 s[10:11], exec, s[10:11]
	s_cbranch_execz .LBB232_1357
; %bb.1354:
	s_movk_i32 s2, 0x80
	v_cmp_eq_u16_e32 vcc, s2, v0
	s_mov_b64 s[2:3], -1
	s_and_saveexec_b64 s[18:19], vcc
; %bb.1355:
	s_xor_b64 s[2:3], exec, -1
; %bb.1356:
	s_or_b64 exec, exec, s[18:19]
	s_and_b64 s[2:3], s[2:3], exec
.LBB232_1357:
	s_or_saveexec_b64 s[10:11], s[10:11]
	v_mov_b32_e32 v2, 0x7f800001
	v_mov_b32_e32 v3, 0
	s_xor_b64 exec, exec, s[10:11]
; %bb.1358:
	v_cmp_ne_u16_e32 vcc, 0, v0
	s_andn2_b64 s[2:3], s[2:3], exec
	s_and_b64 s[18:19], vcc, exec
	v_mov_b32_e32 v2, v3
	s_or_b64 s[2:3], s[2:3], s[18:19]
; %bb.1359:
	s_or_b64 exec, exec, s[10:11]
	s_and_saveexec_b64 s[10:11], s[2:3]
	s_cbranch_execz .LBB232_1361
; %bb.1360:
	v_lshlrev_b32_e32 v2, 24, v0
	v_and_b32_e32 v0, 0xffff, v0
	v_and_b32_e32 v3, 3, v0
	v_ffbh_u32_e32 v7, v3
	v_min_u32_e32 v7, 32, v7
	v_subrev_u32_e32 v10, 29, v7
	v_bfe_u32 v5, v0, 2, 5
	v_lshlrev_b32_e32 v0, v10, v0
	v_sub_u32_e32 v7, 30, v7
	v_and_b32_e32 v0, 3, v0
	v_cmp_eq_u32_e32 vcc, 0, v5
	v_and_b32_e32 v2, 0x80000000, v2
	s_nop 0
	v_cndmask_b32_e32 v5, v5, v7, vcc
	v_cndmask_b32_e32 v0, v3, v0, vcc
	v_mov_b32_e32 v3, 0x37800000
	v_lshlrev_b32_e32 v0, 21, v0
	v_lshl_add_u32 v3, v5, 23, v3
	v_or3_b32 v2, v2, v3, v0
	v_mov_b32_e32 v3, 0
.LBB232_1361:
	s_or_b64 exec, exec, s[10:11]
	s_mov_b64 s[2:3], 0
	s_branch .LBB232_1365
.LBB232_1362:
	s_mov_b64 s[2:3], -1
                                        ; implicit-def: $vgpr2_vgpr3
	s_branch .LBB232_1371
.LBB232_1363:
	s_mov_b64 s[2:3], -1
                                        ; implicit-def: $vgpr2_vgpr3
	s_branch .LBB232_1368
.LBB232_1364:
	s_mov_b64 s[2:3], -1
                                        ; implicit-def: $vgpr2_vgpr3
.LBB232_1365:
	s_and_b64 vcc, exec, s[2:3]
	s_cbranch_vccz .LBB232_1367
; %bb.1366:
	global_load_ubyte v0, v[8:9], off
	s_mov_b32 s2, 0x7f800000
	s_brev_b32 s3, 1
	s_waitcnt vmcnt(0)
	v_lshlrev_b32_e32 v0, 24, v0
	v_and_b32_e32 v2, 0x7f000000, v0
	v_ffbh_u32_e32 v3, v2
	v_min_u32_e32 v3, 32, v3
	v_sub_u32_e64 v3, v3, 4 clamp
	v_lshlrev_b32_e32 v7, v3, v2
	v_lshlrev_b32_e32 v3, 23, v3
	v_lshrrev_b32_e32 v7, 4, v7
	v_add_u32_e32 v5, 0x1000000, v2
	v_sub_u32_e32 v3, v7, v3
	v_ashrrev_i32_e32 v5, 8, v5
	v_add_u32_e32 v3, 0x3c000000, v3
	v_and_or_b32 v3, v5, s2, v3
	v_cmp_ne_u32_e32 vcc, 0, v2
	s_nop 1
	v_cndmask_b32_e32 v2, 0, v3, vcc
	v_and_or_b32 v2, v0, s3, v2
	v_mov_b32_e32 v3, 0
.LBB232_1367:
	s_mov_b64 s[2:3], 0
.LBB232_1368:
	s_andn2_b64 vcc, exec, s[2:3]
	s_cbranch_vccnz .LBB232_1370
; %bb.1369:
	global_load_ubyte v0, v[8:9], off
	s_movk_i32 s2, 0x7f00
	s_brev_b32 s3, 16
	s_brev_b32 s10, 1
	s_waitcnt vmcnt(0)
	v_lshlrev_b16_e32 v2, 8, v0
	v_lshlrev_b32_e32 v0, 25, v0
	v_lshrrev_b32_e32 v3, 4, v0
	v_and_or_b32 v5, v2, s2, 0.5
	v_or_b32_e32 v3, 0x70000000, v3
	v_add_f32_e32 v5, -0.5, v5
	v_mul_f32_e32 v3, 0x7800000, v3
	v_cmp_gt_u32_e32 vcc, s3, v0
	v_bfe_i32 v2, v2, 0, 16
	s_nop 0
	v_cndmask_b32_e32 v0, v3, v5, vcc
	v_and_or_b32 v2, v2, s10, v0
	v_mov_b32_e32 v3, 0
.LBB232_1370:
	s_mov_b64 s[2:3], 0
	s_mov_b64 s[10:11], -1
.LBB232_1371:
	s_andn2_b64 vcc, exec, s[2:3]
	s_mov_b64 s[2:3], 0
	s_cbranch_vccnz .LBB232_1380
; %bb.1372:
	s_cmp_gt_i32 s28, 14
	s_cbranch_scc0 .LBB232_1375
; %bb.1373:
	s_cmp_eq_u32 s28, 15
	s_cbranch_scc0 .LBB232_1376
; %bb.1374:
	global_load_ushort v0, v[8:9], off
	v_mov_b32_e32 v3, 0
	s_mov_b64 s[0:1], 0
	s_mov_b64 s[10:11], -1
	s_waitcnt vmcnt(0)
	v_lshlrev_b32_e32 v2, 16, v0
	s_branch .LBB232_1377
.LBB232_1375:
	s_mov_b64 s[18:19], -1
                                        ; implicit-def: $vgpr2_vgpr3
	s_branch .LBB232_1378
.LBB232_1376:
	s_mov_b64 s[0:1], -1
                                        ; implicit-def: $vgpr2_vgpr3
.LBB232_1377:
	s_mov_b64 s[18:19], 0
.LBB232_1378:
	s_and_b64 vcc, exec, s[18:19]
	s_cbranch_vccz .LBB232_1380
; %bb.1379:
	s_cmp_lg_u32 s28, 11
	s_mov_b64 s[2:3], -1
	s_cselect_b64 s[0:1], -1, 0
.LBB232_1380:
	s_and_b64 vcc, exec, s[0:1]
	s_cbranch_vccnz .LBB232_1473
; %bb.1381:
	s_andn2_b64 vcc, exec, s[2:3]
	s_cbranch_vccnz .LBB232_1383
.LBB232_1382:
	global_load_ubyte v0, v[8:9], off
	v_mov_b32_e32 v3, 0
	s_mov_b64 s[10:11], -1
	s_waitcnt vmcnt(0)
	v_cmp_ne_u16_e32 vcc, 0, v0
	s_nop 1
	v_cndmask_b32_e64 v2, 0, 1.0, vcc
.LBB232_1383:
	s_branch .LBB232_1310
.LBB232_1384:
	s_cmp_lt_i32 s28, 5
	s_cbranch_scc1 .LBB232_1389
; %bb.1385:
	s_cmp_lt_i32 s28, 8
	s_cbranch_scc1 .LBB232_1390
; %bb.1386:
	;; [unrolled: 3-line block ×3, first 2 shown]
	s_cmp_gt_i32 s28, 9
	s_cbranch_scc0 .LBB232_1392
; %bb.1388:
	global_load_dwordx4 v[14:17], v[8:9], off
	s_mov_b64 s[0:1], 0
	s_waitcnt vmcnt(0)
	v_cvt_f32_f64_e32 v3, v[16:17]
	v_cvt_f32_f64_e32 v2, v[14:15]
	s_branch .LBB232_1393
.LBB232_1389:
                                        ; implicit-def: $vgpr2_vgpr3
	s_branch .LBB232_1411
.LBB232_1390:
	s_mov_b64 s[0:1], -1
                                        ; implicit-def: $vgpr2_vgpr3
	s_branch .LBB232_1399
.LBB232_1391:
	s_mov_b64 s[0:1], -1
                                        ; implicit-def: $vgpr2_vgpr3
	s_branch .LBB232_1396
.LBB232_1392:
	s_mov_b64 s[0:1], -1
                                        ; implicit-def: $vgpr2_vgpr3
.LBB232_1393:
	s_andn2_b64 vcc, exec, s[0:1]
	s_cbranch_vccnz .LBB232_1395
; %bb.1394:
	global_load_dwordx2 v[2:3], v[8:9], off
.LBB232_1395:
	s_mov_b64 s[0:1], 0
.LBB232_1396:
	s_andn2_b64 vcc, exec, s[0:1]
	s_cbranch_vccnz .LBB232_1398
; %bb.1397:
	global_load_dword v0, v[8:9], off
	s_waitcnt vmcnt(0)
	v_cvt_f32_f16_sdwa v3, v0 dst_sel:DWORD dst_unused:UNUSED_PAD src0_sel:WORD_1
	v_cvt_f32_f16_e32 v2, v0
.LBB232_1398:
	s_mov_b64 s[0:1], 0
.LBB232_1399:
	s_andn2_b64 vcc, exec, s[0:1]
	s_cbranch_vccnz .LBB232_1410
; %bb.1400:
	s_cmp_lt_i32 s28, 6
	s_cbranch_scc1 .LBB232_1403
; %bb.1401:
	s_cmp_gt_i32 s28, 6
	s_cbranch_scc0 .LBB232_1404
; %bb.1402:
	global_load_dwordx2 v[10:11], v[8:9], off
	s_waitcnt vmcnt(1)
	v_mov_b32_e32 v3, 0
	s_mov_b64 s[0:1], 0
	s_waitcnt vmcnt(0)
	v_cvt_f32_f64_e32 v2, v[10:11]
	s_branch .LBB232_1405
.LBB232_1403:
	s_mov_b64 s[0:1], -1
                                        ; implicit-def: $vgpr2_vgpr3
	s_branch .LBB232_1408
.LBB232_1404:
	s_mov_b64 s[0:1], -1
                                        ; implicit-def: $vgpr2_vgpr3
.LBB232_1405:
	s_andn2_b64 vcc, exec, s[0:1]
	s_cbranch_vccnz .LBB232_1407
; %bb.1406:
	global_load_dword v2, v[8:9], off
	s_waitcnt vmcnt(1)
	v_mov_b32_e32 v3, 0
.LBB232_1407:
	s_mov_b64 s[0:1], 0
.LBB232_1408:
	s_andn2_b64 vcc, exec, s[0:1]
	s_cbranch_vccnz .LBB232_1410
; %bb.1409:
	global_load_ushort v0, v[8:9], off
	s_waitcnt vmcnt(1)
	v_mov_b32_e32 v3, 0
	s_waitcnt vmcnt(0)
	v_cvt_f32_f16_e32 v2, v0
.LBB232_1410:
	s_cbranch_execnz .LBB232_1430
.LBB232_1411:
	s_cmp_lt_i32 s28, 2
	s_cbranch_scc1 .LBB232_1415
; %bb.1412:
	s_cmp_lt_i32 s28, 3
	s_cbranch_scc1 .LBB232_1416
; %bb.1413:
	s_cmp_gt_i32 s28, 3
	s_cbranch_scc0 .LBB232_1417
; %bb.1414:
	global_load_dwordx2 v[2:3], v[8:9], off
	s_mov_b64 s[0:1], 0
	s_waitcnt vmcnt(0)
	v_xor_b32_e32 v5, v2, v3
	v_ffbh_i32_e32 v0, v3
	v_ashrrev_i32_e32 v5, 31, v5
	v_add_u32_e32 v0, -1, v0
	v_add_u32_e32 v5, 32, v5
	v_min_u32_e32 v0, v0, v5
	v_lshlrev_b64 v[2:3], v0, v[2:3]
	v_min_u32_e32 v2, 1, v2
	v_or_b32_e32 v2, v3, v2
	v_cvt_f32_i32_e32 v2, v2
	v_sub_u32_e32 v0, 32, v0
	v_mov_b32_e32 v3, 0
	v_ldexp_f32 v2, v2, v0
	s_branch .LBB232_1418
.LBB232_1415:
	s_mov_b64 s[0:1], -1
                                        ; implicit-def: $vgpr2_vgpr3
	s_branch .LBB232_1424
.LBB232_1416:
	s_mov_b64 s[0:1], -1
                                        ; implicit-def: $vgpr2_vgpr3
	s_branch .LBB232_1421
.LBB232_1417:
	s_mov_b64 s[0:1], -1
                                        ; implicit-def: $vgpr2_vgpr3
.LBB232_1418:
	s_andn2_b64 vcc, exec, s[0:1]
	s_cbranch_vccnz .LBB232_1420
; %bb.1419:
	global_load_dword v0, v[8:9], off
	s_waitcnt vmcnt(1)
	v_mov_b32_e32 v3, 0
	s_waitcnt vmcnt(0)
	v_cvt_f32_i32_e32 v2, v0
.LBB232_1420:
	s_mov_b64 s[0:1], 0
.LBB232_1421:
	s_andn2_b64 vcc, exec, s[0:1]
	s_cbranch_vccnz .LBB232_1423
; %bb.1422:
	global_load_sshort v0, v[8:9], off
	s_waitcnt vmcnt(1)
	v_mov_b32_e32 v3, 0
	s_waitcnt vmcnt(0)
	v_cvt_f32_i32_e32 v2, v0
.LBB232_1423:
	s_mov_b64 s[0:1], 0
.LBB232_1424:
	s_andn2_b64 vcc, exec, s[0:1]
	s_cbranch_vccnz .LBB232_1430
; %bb.1425:
	s_cmp_gt_i32 s28, 0
	s_cbranch_scc0 .LBB232_1427
; %bb.1426:
	global_load_sbyte v0, v[8:9], off
	s_waitcnt vmcnt(1)
	v_mov_b32_e32 v3, 0
	s_mov_b64 s[0:1], 0
	s_waitcnt vmcnt(0)
	v_cvt_f32_i32_e32 v2, v0
	s_branch .LBB232_1428
.LBB232_1427:
	s_mov_b64 s[0:1], -1
                                        ; implicit-def: $vgpr2_vgpr3
.LBB232_1428:
	s_andn2_b64 vcc, exec, s[0:1]
	s_cbranch_vccnz .LBB232_1430
; %bb.1429:
	global_load_ubyte v0, v[8:9], off
	s_waitcnt vmcnt(1)
	v_mov_b32_e32 v3, 0
	s_waitcnt vmcnt(0)
	v_cvt_f32_ubyte0_e32 v2, v0
.LBB232_1430:
.LBB232_1431:
	s_waitcnt vmcnt(0)
	v_cmp_neq_f32_e32 vcc, 0, v2
	v_cmp_neq_f32_e64 s[0:1], 0, v3
	v_mov_b32_e32 v0, 0
	s_or_b64 s[0:1], vcc, s[0:1]
	s_and_saveexec_b64 s[10:11], s[0:1]
	s_cbranch_execz .LBB232_1461
; %bb.1432:
	v_mov_b32_e32 v0, 0x7f800000
	v_cmp_neq_f32_e64 s[0:1], |v3|, v0
	s_and_saveexec_b64 s[18:19], s[0:1]
	s_cbranch_execz .LBB232_1460
; %bb.1433:
	v_cmp_o_f32_e32 vcc, v2, v2
                                        ; implicit-def: $vgpr0
	s_and_saveexec_b64 s[0:1], vcc
	s_xor_b64 s[20:21], exec, s[0:1]
	s_cbranch_execz .LBB232_1457
; %bb.1434:
	s_mov_b32 s0, 0x7f800000
	v_cmp_neq_f32_e64 s[0:1], |v2|, s0
                                        ; implicit-def: $vgpr0
	s_and_saveexec_b64 s[2:3], s[0:1]
	s_xor_b64 s[22:23], exec, s[2:3]
	s_cbranch_execz .LBB232_1450
; %bb.1435:
	v_max_f32_e64 v0, |v3|, |v3|
	v_max_f32_e64 v5, |v2|, |v2|
	v_max_f32_e32 v0, v5, v0
	s_mov_b32 s0, 0x7ed413cb
	v_cmp_nle_f32_e64 s[0:1], s0, v0
                                        ; implicit-def: $sgpr24_sgpr25
	s_and_saveexec_b64 s[2:3], s[0:1]
	s_xor_b64 s[2:3], exec, s[2:3]
	s_cbranch_execz .LBB232_1439
; %bb.1436:
	s_mov_b32 s26, 0x1000000
	v_cmp_le_f32_e64 s[24:25], |v2|, s26
	v_cmp_le_f32_e64 s[26:27], |v3|, s26
	s_and_b64 s[30:31], s[24:25], s[26:27]
	s_mov_b64 s[24:25], 0
	s_and_saveexec_b64 s[26:27], s[30:31]
; %bb.1437:
	s_mov_b64 s[24:25], exec
	v_pk_mul_f32 v[2:3], v[2:3], 4.0 op_sel_hi:[1,0]
; %bb.1438:
	s_or_b64 exec, exec, s[26:27]
.LBB232_1439:
	s_andn2_saveexec_b64 s[2:3], s[2:3]
; %bb.1440:
	s_mov_b32 s26, 0x3e800000
	v_pk_mul_f32 v[2:3], v[2:3], s[26:27] op_sel_hi:[1,0]
	s_andn2_b64 s[24:25], s[24:25], exec
; %bb.1441:
	s_or_b64 exec, exec, s[2:3]
	v_max_f32_e64 v0, |v3|, |v3|
	v_max_f32_e64 v5, |v2|, |v2|
	v_max_f32_e32 v0, v5, v0
	v_cvt_f64_f32_e32 v[8:9], v0
	v_frexp_exp_i32_f64_e32 v5, v[8:9]
	v_sub_u32_e32 v7, 0, v5
	v_ldexp_f32 v8, |v2|, v7
	v_ldexp_f32 v7, |v3|, v7
	v_mul_f32_e32 v7, v7, v7
	v_fmac_f32_e32 v7, v8, v8
	v_sqrt_f32_e32 v7, v7
	s_mov_b32 s2, 0x7f800000
	v_cmp_neq_f32_e64 s[2:3], s2, v0
	v_cmp_le_f32_e32 vcc, 0, v2
	v_ldexp_f32 v5, v7, v5
	v_mov_b32_e32 v7, 0x7f800000
	v_cndmask_b32_e64 v0, v7, v5, s[2:3]
                                        ; implicit-def: $vgpr7
                                        ; implicit-def: $vgpr5
	s_and_saveexec_b64 s[2:3], vcc
	s_xor_b64 s[26:27], exec, s[2:3]
	s_cbranch_execz .LBB232_1443
; %bb.1442:
	v_add_f32_e32 v0, v2, v0
	v_mul_f32_e32 v0, 0.5, v0
	s_mov_b32 s2, 0xf800000
	v_mul_f32_e32 v2, 0x4f800000, v0
	v_cmp_gt_f32_e32 vcc, s2, v0
	s_nop 1
	v_cndmask_b32_e32 v0, v0, v2, vcc
	v_sqrt_f32_e32 v2, v0
	s_nop 0
	v_add_u32_e32 v5, -1, v2
	v_fma_f32 v7, -v5, v2, v0
	v_cmp_ge_f32_e64 s[2:3], 0, v7
	v_add_u32_e32 v7, 1, v2
	s_nop 0
	v_cndmask_b32_e64 v5, v2, v5, s[2:3]
	v_fma_f32 v2, -v7, v2, v0
	v_cmp_lt_f32_e64 s[2:3], 0, v2
	s_nop 1
	v_cndmask_b32_e64 v2, v5, v7, s[2:3]
	v_mul_f32_e32 v5, 0x37800000, v2
	v_cndmask_b32_e32 v2, v2, v5, vcc
	v_mov_b32_e32 v5, 0x260
	v_cmp_class_f32_e32 vcc, v0, v5
	s_nop 1
	v_cndmask_b32_e32 v5, v2, v0, vcc
	v_add_f32_e32 v0, v5, v5
	v_div_scale_f32 v2, s[2:3], v0, v0, v3
	v_rcp_f32_e32 v7, v2
	s_nop 0
	v_fma_f32 v8, -v2, v7, 1.0
	v_fmac_f32_e32 v7, v8, v7
	v_div_scale_f32 v8, vcc, v3, v0, v3
	v_mul_f32_e32 v9, v8, v7
	v_fma_f32 v10, -v2, v9, v8
	v_fmac_f32_e32 v9, v10, v7
	v_fma_f32 v2, -v2, v9, v8
	v_div_fmas_f32 v2, v2, v7, v9
	v_div_fixup_f32 v7, v2, v0, v3
                                        ; implicit-def: $vgpr0
                                        ; implicit-def: $vgpr2_vgpr3
	s_andn2_saveexec_b64 s[26:27], s[26:27]
	s_cbranch_execz .LBB232_1445
	s_branch .LBB232_1444
.LBB232_1443:
	s_andn2_saveexec_b64 s[26:27], s[26:27]
	s_cbranch_execz .LBB232_1445
.LBB232_1444:
	v_sub_f32_e32 v0, v0, v2
	v_mul_f32_e32 v0, 0.5, v0
	s_mov_b32 s2, 0xf800000
	v_mul_f32_e32 v2, 0x4f800000, v0
	v_cmp_gt_f32_e32 vcc, s2, v0
	s_nop 1
	v_cndmask_b32_e32 v0, v0, v2, vcc
	v_sqrt_f32_e32 v2, v0
	s_nop 0
	v_add_u32_e32 v5, -1, v2
	v_fma_f32 v7, -v5, v2, v0
	v_cmp_ge_f32_e64 s[2:3], 0, v7
	v_add_u32_e32 v7, 1, v2
	s_nop 0
	v_cndmask_b32_e64 v5, v2, v5, s[2:3]
	v_fma_f32 v2, -v7, v2, v0
	v_cmp_lt_f32_e64 s[2:3], 0, v2
	s_nop 1
	v_cndmask_b32_e64 v2, v5, v7, s[2:3]
	v_mul_f32_e32 v5, 0x37800000, v2
	v_cndmask_b32_e32 v2, v2, v5, vcc
	v_mov_b32_e32 v5, 0x260
	v_cmp_class_f32_e32 vcc, v0, v5
	v_and_b32_e32 v5, 0x7fffffff, v3
	s_nop 0
	v_cndmask_b32_e32 v0, v2, v0, vcc
	v_add_f32_e32 v2, v0, v0
	v_div_scale_f32 v7, s[2:3], v2, v2, v5
	v_rcp_f32_e32 v8, v7
	v_div_scale_f32 v5, vcc, v5, v2, v5
	s_brev_b32 s2, -2
	v_fma_f32 v9, -v7, v8, 1.0
	v_fmac_f32_e32 v8, v9, v8
	v_mul_f32_e32 v9, v5, v8
	v_fma_f32 v10, -v7, v9, v5
	v_fmac_f32_e32 v9, v10, v8
	v_fma_f32 v5, -v7, v9, v5
	v_div_fmas_f32 v5, v5, v8, v9
	v_div_fixup_f32 v5, v5, v2, |v3|
	v_bfi_b32 v7, s2, v0, v3
.LBB232_1445:
	s_or_b64 exec, exec, s[26:27]
                                        ; implicit-def: $vgpr3
                                        ; implicit-def: $vgpr0
	s_and_saveexec_b64 s[2:3], s[0:1]
	s_xor_b64 s[0:1], exec, s[2:3]
	s_cbranch_execz .LBB232_1447
; %bb.1446:
	v_mul_f32_e32 v0, 0.5, v5
	v_mul_f32_e32 v2, 0.5, v7
	v_cndmask_b32_e64 v0, v5, v0, s[24:25]
	v_cndmask_b32_e64 v3, v7, v2, s[24:25]
                                        ; implicit-def: $vgpr5
                                        ; implicit-def: $vgpr7
	s_andn2_saveexec_b64 s[0:1], s[0:1]
	s_cbranch_execnz .LBB232_1448
	s_branch .LBB232_1449
.LBB232_1447:
	s_andn2_saveexec_b64 s[0:1], s[0:1]
.LBB232_1448:
	v_add_f32_e32 v0, v5, v5
	v_add_f32_e32 v3, v7, v7
.LBB232_1449:
	s_or_b64 exec, exec, s[0:1]
.LBB232_1450:
	s_andn2_saveexec_b64 s[0:1], s[22:23]
	s_cbranch_execz .LBB232_1456
; %bb.1451:
	v_sub_f32_e32 v5, v3, v3
	v_cmp_lt_i32_e32 vcc, -1, v2
	s_brev_b32 s22, -2
	v_and_b32_e32 v0, 0x7fffffff, v5
	s_and_saveexec_b64 s[2:3], vcc
	s_xor_b64 s[2:3], exec, s[2:3]
; %bb.1452:
	v_bfi_b32 v3, s22, v5, v3
	v_mov_b32_e32 v0, v2
; %bb.1453:
	s_andn2_saveexec_b64 s[2:3], s[2:3]
; %bb.1454:
	v_bfi_b32 v3, s22, v2, v3
; %bb.1455:
	s_or_b64 exec, exec, s[2:3]
.LBB232_1456:
	s_or_b64 exec, exec, s[0:1]
.LBB232_1457:
	s_andn2_saveexec_b64 s[0:1], s[20:21]
	s_cbranch_execz .LBB232_1459
; %bb.1458:
	v_sub_f32_e32 v0, v3, v3
	v_div_scale_f32 v3, vcc, v0, v0, v0
	v_rcp_f32_e32 v5, v3
	s_nop 0
	v_fma_f32 v7, -v3, v5, 1.0
	v_fmac_f32_e32 v5, v7, v5
	v_mul_f32_e32 v7, v3, v5
	v_fma_f32 v8, -v3, v7, v3
	v_fmac_f32_e32 v7, v8, v5
	v_fma_f32 v3, -v3, v7, v3
	v_div_fmas_f32 v3, v3, v5, v7
	v_div_fixup_f32 v3, v3, v0, v0
	v_mov_b32_e32 v0, v2
.LBB232_1459:
	s_or_b64 exec, exec, s[0:1]
.LBB232_1460:
	s_or_b64 exec, exec, s[18:19]
.LBB232_1461:
	s_or_b64 exec, exec, s[10:11]
	v_add_u32_e32 v8, s9, v6
	v_ashrrev_i32_e32 v9, 31, v8
	s_cmp_lt_i32 s28, 11
	v_lshl_add_u64 v[10:11], s[6:7], 0, v[8:9]
	s_cbranch_scc1 .LBB232_1468
; %bb.1462:
	s_cmp_gt_i32 s28, 25
	s_mov_b64 s[2:3], 0
	s_cbranch_scc0 .LBB232_1470
; %bb.1463:
	s_cmp_gt_i32 s28, 28
	s_cbranch_scc0 .LBB232_1471
; %bb.1464:
	s_cmp_gt_i32 s28, 43
	;; [unrolled: 3-line block ×3, first 2 shown]
	s_cbranch_scc0 .LBB232_1474
; %bb.1466:
	s_cmp_eq_u32 s28, 46
	s_mov_b64 s[18:19], 0
	s_cbranch_scc0 .LBB232_1475
; %bb.1467:
	global_load_dword v2, v[10:11], off
	s_mov_b64 s[0:1], 0
	s_mov_b64 s[10:11], -1
	s_waitcnt vmcnt(0)
	v_and_b32_e32 v7, 0xffff0000, v2
	v_lshlrev_b32_e32 v6, 16, v2
	s_branch .LBB232_1476
.LBB232_1468:
	s_mov_b64 s[10:11], 0
                                        ; implicit-def: $vgpr6_vgpr7
	s_cbranch_execnz .LBB232_1542
.LBB232_1469:
	s_andn2_b64 vcc, exec, s[10:11]
	s_cbranch_vccnz .LBB232_1762
	s_branch .LBB232_1590
.LBB232_1470:
	s_mov_b64 s[18:19], -1
	s_mov_b64 s[10:11], 0
	s_mov_b64 s[0:1], 0
                                        ; implicit-def: $vgpr6_vgpr7
	s_branch .LBB232_1507
.LBB232_1471:
	s_mov_b64 s[18:19], -1
	s_mov_b64 s[10:11], 0
	s_mov_b64 s[0:1], 0
                                        ; implicit-def: $vgpr6_vgpr7
	s_branch .LBB232_1486
.LBB232_1472:
	s_mov_b64 s[18:19], -1
	s_mov_b64 s[10:11], 0
	s_mov_b64 s[0:1], 0
                                        ; implicit-def: $vgpr6_vgpr7
	s_branch .LBB232_1481
.LBB232_1473:
	s_trap 2
	s_or_b64 s[16:17], s[16:17], exec
	s_cbranch_execz .LBB232_1382
	s_branch .LBB232_1383
.LBB232_1474:
	s_mov_b64 s[18:19], -1
	s_mov_b64 s[10:11], 0
	s_mov_b64 s[0:1], 0
                                        ; implicit-def: $vgpr6_vgpr7
	s_branch .LBB232_1476
.LBB232_1475:
	s_mov_b64 s[0:1], -1
                                        ; implicit-def: $vgpr6_vgpr7
	s_mov_b64 s[10:11], 0
.LBB232_1476:
	s_and_b64 vcc, exec, s[18:19]
	s_cbranch_vccz .LBB232_1480
; %bb.1477:
	s_cmp_eq_u32 s28, 44
	s_cbranch_scc0 .LBB232_1479
; %bb.1478:
	global_load_ubyte v2, v[10:11], off
	s_movk_i32 s10, 0xff
	v_mov_b32_e32 v5, 0x7f800001
	v_mov_b32_e32 v6, 0x400000
	;; [unrolled: 1-line block ×3, first 2 shown]
	s_mov_b64 s[0:1], 0
	s_waitcnt vmcnt(0)
	v_lshlrev_b32_e32 v9, 23, v2
	v_cmp_ne_u32_e32 vcc, s10, v2
	s_mov_b64 s[10:11], -1
	s_nop 0
	v_cndmask_b32_e32 v5, v5, v9, vcc
	v_cmp_ne_u32_e32 vcc, 0, v2
	s_nop 1
	v_cndmask_b32_e32 v6, v6, v5, vcc
	s_branch .LBB232_1480
.LBB232_1479:
	s_mov_b64 s[0:1], -1
                                        ; implicit-def: $vgpr6_vgpr7
.LBB232_1480:
	s_mov_b64 s[18:19], 0
.LBB232_1481:
	s_and_b64 vcc, exec, s[18:19]
	s_cbranch_vccz .LBB232_1485
; %bb.1482:
	s_cmp_eq_u32 s28, 29
	s_cbranch_scc0 .LBB232_1484
; %bb.1483:
	global_load_dwordx2 v[6:7], v[10:11], off
	s_mov_b64 s[0:1], 0
	s_mov_b64 s[10:11], -1
	s_mov_b64 s[18:19], 0
	s_waitcnt vmcnt(0)
	v_ffbh_u32_e32 v2, v7
	v_min_u32_e32 v2, 32, v2
	v_lshlrev_b64 v[6:7], v2, v[6:7]
	v_min_u32_e32 v5, 1, v6
	v_or_b32_e32 v5, v7, v5
	v_cvt_f32_u32_e32 v5, v5
	v_sub_u32_e32 v2, 32, v2
	v_mov_b32_e32 v7, 0
	v_ldexp_f32 v6, v5, v2
	s_branch .LBB232_1486
.LBB232_1484:
	s_mov_b64 s[0:1], -1
                                        ; implicit-def: $vgpr6_vgpr7
.LBB232_1485:
	s_mov_b64 s[18:19], 0
.LBB232_1486:
	s_and_b64 vcc, exec, s[18:19]
	s_cbranch_vccz .LBB232_1506
; %bb.1487:
	s_cmp_lt_i32 s28, 27
	s_cbranch_scc1 .LBB232_1490
; %bb.1488:
	s_cmp_gt_i32 s28, 27
	s_cbranch_scc0 .LBB232_1491
; %bb.1489:
	global_load_dword v2, v[10:11], off
	v_mov_b32_e32 v7, 0
	s_mov_b64 s[10:11], 0
	s_waitcnt vmcnt(0)
	v_cvt_f32_u32_e32 v6, v2
	s_branch .LBB232_1492
.LBB232_1490:
	s_mov_b64 s[10:11], -1
                                        ; implicit-def: $vgpr6_vgpr7
	s_branch .LBB232_1495
.LBB232_1491:
	s_mov_b64 s[10:11], -1
                                        ; implicit-def: $vgpr6_vgpr7
.LBB232_1492:
	s_andn2_b64 vcc, exec, s[10:11]
	s_cbranch_vccnz .LBB232_1494
; %bb.1493:
	global_load_ushort v2, v[10:11], off
	v_mov_b32_e32 v7, 0
	s_waitcnt vmcnt(0)
	v_cvt_f32_u32_e32 v6, v2
.LBB232_1494:
	s_mov_b64 s[10:11], 0
.LBB232_1495:
	s_andn2_b64 vcc, exec, s[10:11]
	s_cbranch_vccnz .LBB232_1505
; %bb.1496:
	global_load_ubyte v2, v[10:11], off
	s_movk_i32 s10, 0x7f
	s_waitcnt vmcnt(0)
	v_cmp_lt_i16_e32 vcc, s10, v2
	s_mov_b64 s[10:11], 0
	s_and_saveexec_b64 s[18:19], vcc
	s_xor_b64 s[18:19], exec, s[18:19]
	s_cbranch_execz .LBB232_1500
; %bb.1497:
	s_movk_i32 s10, 0x80
	v_cmp_eq_u16_e32 vcc, s10, v2
	s_mov_b64 s[10:11], -1
	s_and_saveexec_b64 s[20:21], vcc
; %bb.1498:
	s_xor_b64 s[10:11], exec, -1
; %bb.1499:
	s_or_b64 exec, exec, s[20:21]
	s_and_b64 s[10:11], s[10:11], exec
.LBB232_1500:
	s_or_saveexec_b64 s[18:19], s[18:19]
	v_mov_b32_e32 v6, 0x7f800001
	v_mov_b32_e32 v7, 0
	s_xor_b64 exec, exec, s[18:19]
; %bb.1501:
	v_cmp_ne_u16_e32 vcc, 0, v2
	s_andn2_b64 s[10:11], s[10:11], exec
	s_and_b64 s[20:21], vcc, exec
	v_mov_b32_e32 v6, v7
	s_or_b64 s[10:11], s[10:11], s[20:21]
; %bb.1502:
	s_or_b64 exec, exec, s[18:19]
	s_and_saveexec_b64 s[18:19], s[10:11]
	s_cbranch_execz .LBB232_1504
; %bb.1503:
	v_lshlrev_b32_e32 v5, 24, v2
	v_and_b32_e32 v2, 0xffff, v2
	v_and_b32_e32 v6, 7, v2
	v_ffbh_u32_e32 v9, v6
	v_min_u32_e32 v9, 32, v9
	v_subrev_u32_e32 v13, 28, v9
	v_bfe_u32 v7, v2, 3, 4
	v_lshlrev_b32_e32 v2, v13, v2
	v_sub_u32_e32 v9, 29, v9
	v_and_b32_e32 v2, 7, v2
	v_cmp_eq_u32_e32 vcc, 0, v7
	v_and_b32_e32 v5, 0x80000000, v5
	s_nop 0
	v_cndmask_b32_e32 v7, v7, v9, vcc
	v_cndmask_b32_e32 v2, v6, v2, vcc
	v_mov_b32_e32 v6, 0x3b800000
	v_lshlrev_b32_e32 v2, 20, v2
	v_lshl_add_u32 v6, v7, 23, v6
	v_or3_b32 v6, v5, v6, v2
	v_mov_b32_e32 v7, 0
.LBB232_1504:
	s_or_b64 exec, exec, s[18:19]
.LBB232_1505:
	s_mov_b64 s[10:11], -1
.LBB232_1506:
	s_mov_b64 s[18:19], 0
.LBB232_1507:
	s_and_b64 vcc, exec, s[18:19]
	s_cbranch_vccz .LBB232_1538
; %bb.1508:
	s_cmp_gt_i32 s28, 22
	s_cbranch_scc0 .LBB232_1520
; %bb.1509:
	s_cmp_lt_i32 s28, 24
	s_cbranch_scc1 .LBB232_1521
; %bb.1510:
	s_cmp_gt_i32 s28, 24
	s_cbranch_scc0 .LBB232_1522
; %bb.1511:
	global_load_ubyte v2, v[10:11], off
	s_movk_i32 s2, 0x7f
	s_waitcnt vmcnt(0)
	v_cmp_lt_i16_e32 vcc, s2, v2
	s_mov_b64 s[2:3], 0
	s_and_saveexec_b64 s[10:11], vcc
	s_xor_b64 s[10:11], exec, s[10:11]
	s_cbranch_execz .LBB232_1515
; %bb.1512:
	s_movk_i32 s2, 0x80
	v_cmp_eq_u16_e32 vcc, s2, v2
	s_mov_b64 s[2:3], -1
	s_and_saveexec_b64 s[18:19], vcc
; %bb.1513:
	s_xor_b64 s[2:3], exec, -1
; %bb.1514:
	s_or_b64 exec, exec, s[18:19]
	s_and_b64 s[2:3], s[2:3], exec
.LBB232_1515:
	s_or_saveexec_b64 s[10:11], s[10:11]
	v_mov_b32_e32 v6, 0x7f800001
	v_mov_b32_e32 v7, 0
	s_xor_b64 exec, exec, s[10:11]
; %bb.1516:
	v_cmp_ne_u16_e32 vcc, 0, v2
	s_andn2_b64 s[2:3], s[2:3], exec
	s_and_b64 s[18:19], vcc, exec
	v_mov_b32_e32 v6, v7
	s_or_b64 s[2:3], s[2:3], s[18:19]
; %bb.1517:
	s_or_b64 exec, exec, s[10:11]
	s_and_saveexec_b64 s[10:11], s[2:3]
	s_cbranch_execz .LBB232_1519
; %bb.1518:
	v_lshlrev_b32_e32 v5, 24, v2
	v_and_b32_e32 v2, 0xffff, v2
	v_and_b32_e32 v6, 3, v2
	v_ffbh_u32_e32 v9, v6
	v_min_u32_e32 v9, 32, v9
	v_subrev_u32_e32 v13, 29, v9
	v_bfe_u32 v7, v2, 2, 5
	v_lshlrev_b32_e32 v2, v13, v2
	v_sub_u32_e32 v9, 30, v9
	v_and_b32_e32 v2, 3, v2
	v_cmp_eq_u32_e32 vcc, 0, v7
	v_and_b32_e32 v5, 0x80000000, v5
	s_nop 0
	v_cndmask_b32_e32 v7, v7, v9, vcc
	v_cndmask_b32_e32 v2, v6, v2, vcc
	v_mov_b32_e32 v6, 0x37800000
	v_lshlrev_b32_e32 v2, 21, v2
	v_lshl_add_u32 v6, v7, 23, v6
	v_or3_b32 v6, v5, v6, v2
	v_mov_b32_e32 v7, 0
.LBB232_1519:
	s_or_b64 exec, exec, s[10:11]
	s_mov_b64 s[2:3], 0
	s_branch .LBB232_1523
.LBB232_1520:
	s_mov_b64 s[2:3], -1
                                        ; implicit-def: $vgpr6_vgpr7
	s_branch .LBB232_1529
.LBB232_1521:
	s_mov_b64 s[2:3], -1
                                        ; implicit-def: $vgpr6_vgpr7
	s_branch .LBB232_1526
.LBB232_1522:
	s_mov_b64 s[2:3], -1
                                        ; implicit-def: $vgpr6_vgpr7
.LBB232_1523:
	s_and_b64 vcc, exec, s[2:3]
	s_cbranch_vccz .LBB232_1525
; %bb.1524:
	global_load_ubyte v2, v[10:11], off
	s_mov_b32 s2, 0x7f800000
	s_brev_b32 s3, 1
	s_waitcnt vmcnt(0)
	v_lshlrev_b32_e32 v2, 24, v2
	v_and_b32_e32 v5, 0x7f000000, v2
	v_ffbh_u32_e32 v6, v5
	v_min_u32_e32 v6, 32, v6
	v_sub_u32_e64 v6, v6, 4 clamp
	v_lshlrev_b32_e32 v9, v6, v5
	v_lshlrev_b32_e32 v6, 23, v6
	v_lshrrev_b32_e32 v9, 4, v9
	v_add_u32_e32 v7, 0x1000000, v5
	v_sub_u32_e32 v6, v9, v6
	v_ashrrev_i32_e32 v7, 8, v7
	v_add_u32_e32 v6, 0x3c000000, v6
	v_and_or_b32 v6, v7, s2, v6
	v_cmp_ne_u32_e32 vcc, 0, v5
	v_mov_b32_e32 v7, 0
	s_nop 0
	v_cndmask_b32_e32 v5, 0, v6, vcc
	v_and_or_b32 v6, v2, s3, v5
.LBB232_1525:
	s_mov_b64 s[2:3], 0
.LBB232_1526:
	s_andn2_b64 vcc, exec, s[2:3]
	s_cbranch_vccnz .LBB232_1528
; %bb.1527:
	global_load_ubyte v2, v[10:11], off
	s_movk_i32 s2, 0x7f00
	s_brev_b32 s3, 16
	s_brev_b32 s10, 1
	s_waitcnt vmcnt(0)
	v_lshlrev_b16_e32 v5, 8, v2
	v_lshlrev_b32_e32 v2, 25, v2
	v_lshrrev_b32_e32 v6, 4, v2
	v_and_or_b32 v7, v5, s2, 0.5
	v_or_b32_e32 v6, 0x70000000, v6
	v_add_f32_e32 v7, -0.5, v7
	v_mul_f32_e32 v6, 0x7800000, v6
	v_cmp_gt_u32_e32 vcc, s3, v2
	v_bfe_i32 v5, v5, 0, 16
	s_nop 0
	v_cndmask_b32_e32 v2, v6, v7, vcc
	v_and_or_b32 v6, v5, s10, v2
	v_mov_b32_e32 v7, 0
.LBB232_1528:
	s_mov_b64 s[2:3], 0
	s_mov_b64 s[10:11], -1
.LBB232_1529:
	s_andn2_b64 vcc, exec, s[2:3]
	s_mov_b64 s[2:3], 0
	s_cbranch_vccnz .LBB232_1538
; %bb.1530:
	s_cmp_gt_i32 s28, 14
	s_cbranch_scc0 .LBB232_1533
; %bb.1531:
	s_cmp_eq_u32 s28, 15
	s_cbranch_scc0 .LBB232_1534
; %bb.1532:
	global_load_ushort v2, v[10:11], off
	v_mov_b32_e32 v7, 0
	s_mov_b64 s[0:1], 0
	s_mov_b64 s[10:11], -1
	s_waitcnt vmcnt(0)
	v_lshlrev_b32_e32 v6, 16, v2
	s_branch .LBB232_1535
.LBB232_1533:
	s_mov_b64 s[18:19], -1
                                        ; implicit-def: $vgpr6_vgpr7
	s_branch .LBB232_1536
.LBB232_1534:
	s_mov_b64 s[0:1], -1
                                        ; implicit-def: $vgpr6_vgpr7
.LBB232_1535:
	s_mov_b64 s[18:19], 0
.LBB232_1536:
	s_and_b64 vcc, exec, s[18:19]
	s_cbranch_vccz .LBB232_1538
; %bb.1537:
	s_cmp_lg_u32 s28, 11
	s_mov_b64 s[2:3], -1
	s_cselect_b64 s[0:1], -1, 0
.LBB232_1538:
	s_and_b64 vcc, exec, s[0:1]
	s_cbranch_vccnz .LBB232_1631
; %bb.1539:
	s_andn2_b64 vcc, exec, s[2:3]
	s_cbranch_vccnz .LBB232_1541
.LBB232_1540:
	global_load_ubyte v2, v[10:11], off
	v_mov_b32_e32 v7, 0
	s_mov_b64 s[10:11], -1
	s_waitcnt vmcnt(0)
	v_cmp_ne_u16_e32 vcc, 0, v2
	s_nop 1
	v_cndmask_b32_e64 v6, 0, 1.0, vcc
.LBB232_1541:
	s_branch .LBB232_1469
.LBB232_1542:
	s_cmp_lt_i32 s28, 5
	s_cbranch_scc1 .LBB232_1547
; %bb.1543:
	s_cmp_lt_i32 s28, 8
	s_cbranch_scc1 .LBB232_1548
; %bb.1544:
	;; [unrolled: 3-line block ×3, first 2 shown]
	s_cmp_gt_i32 s28, 9
	s_cbranch_scc0 .LBB232_1550
; %bb.1546:
	global_load_dwordx4 v[14:17], v[10:11], off
	s_mov_b64 s[0:1], 0
	s_waitcnt vmcnt(0)
	v_cvt_f32_f64_e32 v7, v[16:17]
	v_cvt_f32_f64_e32 v6, v[14:15]
	s_branch .LBB232_1551
.LBB232_1547:
	s_mov_b64 s[0:1], -1
                                        ; implicit-def: $vgpr6_vgpr7
	s_branch .LBB232_1569
.LBB232_1548:
	s_mov_b64 s[0:1], -1
                                        ; implicit-def: $vgpr6_vgpr7
	s_branch .LBB232_1557
.LBB232_1549:
	s_mov_b64 s[0:1], -1
                                        ; implicit-def: $vgpr6_vgpr7
	s_branch .LBB232_1554
.LBB232_1550:
	s_mov_b64 s[0:1], -1
                                        ; implicit-def: $vgpr6_vgpr7
.LBB232_1551:
	s_andn2_b64 vcc, exec, s[0:1]
	s_cbranch_vccnz .LBB232_1553
; %bb.1552:
	global_load_dwordx2 v[6:7], v[10:11], off
.LBB232_1553:
	s_mov_b64 s[0:1], 0
.LBB232_1554:
	s_andn2_b64 vcc, exec, s[0:1]
	s_cbranch_vccnz .LBB232_1556
; %bb.1555:
	global_load_dword v2, v[10:11], off
	s_waitcnt vmcnt(0)
	v_cvt_f32_f16_sdwa v7, v2 dst_sel:DWORD dst_unused:UNUSED_PAD src0_sel:WORD_1
	v_cvt_f32_f16_e32 v6, v2
.LBB232_1556:
	s_mov_b64 s[0:1], 0
.LBB232_1557:
	s_andn2_b64 vcc, exec, s[0:1]
	s_cbranch_vccnz .LBB232_1568
; %bb.1558:
	s_cmp_lt_i32 s28, 6
	s_cbranch_scc1 .LBB232_1561
; %bb.1559:
	s_cmp_gt_i32 s28, 6
	s_cbranch_scc0 .LBB232_1562
; %bb.1560:
	global_load_dwordx2 v[14:15], v[10:11], off
	s_waitcnt vmcnt(1)
	v_mov_b32_e32 v7, 0
	s_mov_b64 s[0:1], 0
	s_waitcnt vmcnt(0)
	v_cvt_f32_f64_e32 v6, v[14:15]
	s_branch .LBB232_1563
.LBB232_1561:
	s_mov_b64 s[0:1], -1
                                        ; implicit-def: $vgpr6_vgpr7
	s_branch .LBB232_1566
.LBB232_1562:
	s_mov_b64 s[0:1], -1
                                        ; implicit-def: $vgpr6_vgpr7
.LBB232_1563:
	s_andn2_b64 vcc, exec, s[0:1]
	s_cbranch_vccnz .LBB232_1565
; %bb.1564:
	global_load_dword v6, v[10:11], off
	s_waitcnt vmcnt(1)
	v_mov_b32_e32 v7, 0
.LBB232_1565:
	s_mov_b64 s[0:1], 0
.LBB232_1566:
	s_andn2_b64 vcc, exec, s[0:1]
	s_cbranch_vccnz .LBB232_1568
; %bb.1567:
	global_load_ushort v2, v[10:11], off
	s_waitcnt vmcnt(1)
	v_mov_b32_e32 v7, 0
	s_waitcnt vmcnt(0)
	v_cvt_f32_f16_e32 v6, v2
.LBB232_1568:
	s_mov_b64 s[0:1], 0
.LBB232_1569:
	s_andn2_b64 vcc, exec, s[0:1]
	s_cbranch_vccnz .LBB232_1589
; %bb.1570:
	s_cmp_lt_i32 s28, 2
	s_cbranch_scc1 .LBB232_1574
; %bb.1571:
	s_cmp_lt_i32 s28, 3
	s_cbranch_scc1 .LBB232_1575
; %bb.1572:
	s_cmp_gt_i32 s28, 3
	s_cbranch_scc0 .LBB232_1576
; %bb.1573:
	global_load_dwordx2 v[6:7], v[10:11], off
	s_mov_b64 s[0:1], 0
	s_waitcnt vmcnt(0)
	v_xor_b32_e32 v5, v6, v7
	v_ffbh_i32_e32 v2, v7
	v_ashrrev_i32_e32 v5, 31, v5
	v_add_u32_e32 v2, -1, v2
	v_add_u32_e32 v5, 32, v5
	v_min_u32_e32 v2, v2, v5
	v_lshlrev_b64 v[6:7], v2, v[6:7]
	v_min_u32_e32 v5, 1, v6
	v_or_b32_e32 v5, v7, v5
	v_cvt_f32_i32_e32 v5, v5
	v_sub_u32_e32 v2, 32, v2
	v_mov_b32_e32 v7, 0
	v_ldexp_f32 v6, v5, v2
	s_branch .LBB232_1577
.LBB232_1574:
	s_mov_b64 s[0:1], -1
                                        ; implicit-def: $vgpr6_vgpr7
	s_branch .LBB232_1583
.LBB232_1575:
	s_mov_b64 s[0:1], -1
                                        ; implicit-def: $vgpr6_vgpr7
	s_branch .LBB232_1580
.LBB232_1576:
	s_mov_b64 s[0:1], -1
                                        ; implicit-def: $vgpr6_vgpr7
.LBB232_1577:
	s_andn2_b64 vcc, exec, s[0:1]
	s_cbranch_vccnz .LBB232_1579
; %bb.1578:
	global_load_dword v2, v[10:11], off
	s_waitcnt vmcnt(1)
	v_mov_b32_e32 v7, 0
	s_waitcnt vmcnt(0)
	v_cvt_f32_i32_e32 v6, v2
.LBB232_1579:
	s_mov_b64 s[0:1], 0
.LBB232_1580:
	s_andn2_b64 vcc, exec, s[0:1]
	s_cbranch_vccnz .LBB232_1582
; %bb.1581:
	global_load_sshort v2, v[10:11], off
	s_waitcnt vmcnt(1)
	v_mov_b32_e32 v7, 0
	s_waitcnt vmcnt(0)
	v_cvt_f32_i32_e32 v6, v2
.LBB232_1582:
	s_mov_b64 s[0:1], 0
.LBB232_1583:
	s_andn2_b64 vcc, exec, s[0:1]
	s_cbranch_vccnz .LBB232_1589
; %bb.1584:
	s_cmp_gt_i32 s28, 0
	s_cbranch_scc0 .LBB232_1586
; %bb.1585:
	global_load_sbyte v2, v[10:11], off
	s_waitcnt vmcnt(1)
	v_mov_b32_e32 v7, 0
	s_mov_b64 s[0:1], 0
	s_waitcnt vmcnt(0)
	v_cvt_f32_i32_e32 v6, v2
	s_branch .LBB232_1587
.LBB232_1586:
	s_mov_b64 s[0:1], -1
                                        ; implicit-def: $vgpr6_vgpr7
.LBB232_1587:
	s_andn2_b64 vcc, exec, s[0:1]
	s_cbranch_vccnz .LBB232_1589
; %bb.1588:
	global_load_ubyte v2, v[10:11], off
	s_waitcnt vmcnt(1)
	v_mov_b32_e32 v7, 0
	s_waitcnt vmcnt(0)
	v_cvt_f32_ubyte0_e32 v6, v2
.LBB232_1589:
.LBB232_1590:
	s_waitcnt vmcnt(0)
	v_cmp_neq_f32_e32 vcc, 0, v6
	v_cmp_neq_f32_e64 s[0:1], 0, v7
	v_mov_b32_e32 v2, 0
	s_or_b64 s[0:1], vcc, s[0:1]
	s_and_saveexec_b64 s[10:11], s[0:1]
	s_cbranch_execz .LBB232_1620
; %bb.1591:
	v_mov_b32_e32 v2, 0x7f800000
	v_cmp_neq_f32_e64 s[0:1], |v7|, v2
	s_and_saveexec_b64 s[18:19], s[0:1]
	s_cbranch_execz .LBB232_1619
; %bb.1592:
	v_cmp_o_f32_e32 vcc, v6, v6
                                        ; implicit-def: $vgpr2
	s_and_saveexec_b64 s[0:1], vcc
	s_xor_b64 s[20:21], exec, s[0:1]
	s_cbranch_execz .LBB232_1616
; %bb.1593:
	s_mov_b32 s0, 0x7f800000
	v_cmp_neq_f32_e64 s[0:1], |v6|, s0
                                        ; implicit-def: $vgpr2
	s_and_saveexec_b64 s[2:3], s[0:1]
	s_xor_b64 s[22:23], exec, s[2:3]
	s_cbranch_execz .LBB232_1609
; %bb.1594:
	v_max_f32_e64 v2, |v7|, |v7|
	v_max_f32_e64 v5, |v6|, |v6|
	v_max_f32_e32 v2, v5, v2
	s_mov_b32 s0, 0x7ed413cb
	v_cmp_nle_f32_e64 s[0:1], s0, v2
                                        ; implicit-def: $sgpr24_sgpr25
	s_and_saveexec_b64 s[2:3], s[0:1]
	s_xor_b64 s[2:3], exec, s[2:3]
	s_cbranch_execz .LBB232_1598
; %bb.1595:
	s_mov_b32 s26, 0x1000000
	v_cmp_le_f32_e64 s[24:25], |v6|, s26
	v_cmp_le_f32_e64 s[26:27], |v7|, s26
	s_and_b64 s[30:31], s[24:25], s[26:27]
	s_mov_b64 s[24:25], 0
	s_and_saveexec_b64 s[26:27], s[30:31]
; %bb.1596:
	s_mov_b64 s[24:25], exec
	v_pk_mul_f32 v[6:7], v[6:7], 4.0 op_sel_hi:[1,0]
; %bb.1597:
	s_or_b64 exec, exec, s[26:27]
.LBB232_1598:
	s_andn2_saveexec_b64 s[2:3], s[2:3]
; %bb.1599:
	s_mov_b32 s26, 0x3e800000
	v_pk_mul_f32 v[6:7], v[6:7], s[26:27] op_sel_hi:[1,0]
	s_andn2_b64 s[24:25], s[24:25], exec
; %bb.1600:
	s_or_b64 exec, exec, s[2:3]
	v_max_f32_e64 v2, |v7|, |v7|
	v_max_f32_e64 v5, |v6|, |v6|
	v_max_f32_e32 v2, v5, v2
	v_cvt_f64_f32_e32 v[10:11], v2
	v_frexp_exp_i32_f64_e32 v5, v[10:11]
	v_sub_u32_e32 v9, 0, v5
	v_ldexp_f32 v10, |v6|, v9
	v_ldexp_f32 v9, |v7|, v9
	v_mul_f32_e32 v9, v9, v9
	v_fmac_f32_e32 v9, v10, v10
	v_sqrt_f32_e32 v9, v9
	s_mov_b32 s2, 0x7f800000
	v_cmp_neq_f32_e64 s[2:3], s2, v2
	v_cmp_le_f32_e32 vcc, 0, v6
	v_ldexp_f32 v5, v9, v5
	v_mov_b32_e32 v9, 0x7f800000
	v_cndmask_b32_e64 v2, v9, v5, s[2:3]
                                        ; implicit-def: $vgpr9
                                        ; implicit-def: $vgpr5
	s_and_saveexec_b64 s[2:3], vcc
	s_xor_b64 s[26:27], exec, s[2:3]
	s_cbranch_execz .LBB232_1602
; %bb.1601:
	v_add_f32_e32 v2, v6, v2
	v_mul_f32_e32 v2, 0.5, v2
	s_mov_b32 s2, 0xf800000
	v_mul_f32_e32 v5, 0x4f800000, v2
	v_cmp_gt_f32_e32 vcc, s2, v2
	s_nop 1
	v_cndmask_b32_e32 v2, v2, v5, vcc
	v_sqrt_f32_e32 v5, v2
	s_nop 0
	v_add_u32_e32 v6, -1, v5
	v_fma_f32 v9, -v6, v5, v2
	v_cmp_ge_f32_e64 s[2:3], 0, v9
	v_add_u32_e32 v9, 1, v5
	s_nop 0
	v_cndmask_b32_e64 v6, v5, v6, s[2:3]
	v_fma_f32 v5, -v9, v5, v2
	v_cmp_lt_f32_e64 s[2:3], 0, v5
	s_nop 1
	v_cndmask_b32_e64 v5, v6, v9, s[2:3]
	v_mul_f32_e32 v6, 0x37800000, v5
	v_cndmask_b32_e32 v5, v5, v6, vcc
	v_mov_b32_e32 v6, 0x260
	v_cmp_class_f32_e32 vcc, v2, v6
	s_nop 1
	v_cndmask_b32_e32 v5, v5, v2, vcc
	v_add_f32_e32 v2, v5, v5
	v_div_scale_f32 v6, s[2:3], v2, v2, v7
	v_rcp_f32_e32 v9, v6
	s_nop 0
	v_fma_f32 v10, -v6, v9, 1.0
	v_fmac_f32_e32 v9, v10, v9
	v_div_scale_f32 v10, vcc, v7, v2, v7
	v_mul_f32_e32 v11, v10, v9
	v_fma_f32 v13, -v6, v11, v10
	v_fmac_f32_e32 v11, v13, v9
	v_fma_f32 v6, -v6, v11, v10
	v_div_fmas_f32 v6, v6, v9, v11
	v_div_fixup_f32 v9, v6, v2, v7
                                        ; implicit-def: $vgpr2
                                        ; implicit-def: $vgpr6_vgpr7
	s_andn2_saveexec_b64 s[26:27], s[26:27]
	s_cbranch_execz .LBB232_1604
	s_branch .LBB232_1603
.LBB232_1602:
	s_andn2_saveexec_b64 s[26:27], s[26:27]
	s_cbranch_execz .LBB232_1604
.LBB232_1603:
	v_sub_f32_e32 v2, v2, v6
	v_mul_f32_e32 v2, 0.5, v2
	s_mov_b32 s2, 0xf800000
	v_mul_f32_e32 v5, 0x4f800000, v2
	v_cmp_gt_f32_e32 vcc, s2, v2
	s_nop 1
	v_cndmask_b32_e32 v2, v2, v5, vcc
	v_sqrt_f32_e32 v5, v2
	s_nop 0
	v_add_u32_e32 v6, -1, v5
	v_fma_f32 v9, -v6, v5, v2
	v_cmp_ge_f32_e64 s[2:3], 0, v9
	v_add_u32_e32 v9, 1, v5
	s_nop 0
	v_cndmask_b32_e64 v6, v5, v6, s[2:3]
	v_fma_f32 v5, -v9, v5, v2
	v_cmp_lt_f32_e64 s[2:3], 0, v5
	s_nop 1
	v_cndmask_b32_e64 v5, v6, v9, s[2:3]
	v_mul_f32_e32 v6, 0x37800000, v5
	v_cndmask_b32_e32 v5, v5, v6, vcc
	v_mov_b32_e32 v6, 0x260
	v_cmp_class_f32_e32 vcc, v2, v6
	v_and_b32_e32 v6, 0x7fffffff, v7
	s_nop 0
	v_cndmask_b32_e32 v2, v5, v2, vcc
	v_add_f32_e32 v5, v2, v2
	v_div_scale_f32 v9, s[2:3], v5, v5, v6
	v_rcp_f32_e32 v10, v9
	v_div_scale_f32 v6, vcc, v6, v5, v6
	s_brev_b32 s2, -2
	v_fma_f32 v11, -v9, v10, 1.0
	v_fmac_f32_e32 v10, v11, v10
	v_mul_f32_e32 v11, v6, v10
	v_fma_f32 v13, -v9, v11, v6
	v_fmac_f32_e32 v11, v13, v10
	v_fma_f32 v6, -v9, v11, v6
	v_div_fmas_f32 v6, v6, v10, v11
	v_div_fixup_f32 v5, v6, v5, |v7|
	v_bfi_b32 v9, s2, v2, v7
.LBB232_1604:
	s_or_b64 exec, exec, s[26:27]
                                        ; implicit-def: $vgpr7
                                        ; implicit-def: $vgpr2
	s_and_saveexec_b64 s[2:3], s[0:1]
	s_xor_b64 s[0:1], exec, s[2:3]
	s_cbranch_execz .LBB232_1606
; %bb.1605:
	v_mul_f32_e32 v2, 0.5, v5
	v_mul_f32_e32 v6, 0.5, v9
	v_cndmask_b32_e64 v2, v5, v2, s[24:25]
	v_cndmask_b32_e64 v7, v9, v6, s[24:25]
                                        ; implicit-def: $vgpr5
                                        ; implicit-def: $vgpr9
	s_andn2_saveexec_b64 s[0:1], s[0:1]
	s_cbranch_execnz .LBB232_1607
	s_branch .LBB232_1608
.LBB232_1606:
	s_andn2_saveexec_b64 s[0:1], s[0:1]
.LBB232_1607:
	v_add_f32_e32 v2, v5, v5
	v_add_f32_e32 v7, v9, v9
.LBB232_1608:
	s_or_b64 exec, exec, s[0:1]
.LBB232_1609:
	s_andn2_saveexec_b64 s[0:1], s[22:23]
	s_cbranch_execz .LBB232_1615
; %bb.1610:
	v_sub_f32_e32 v5, v7, v7
	v_cmp_lt_i32_e32 vcc, -1, v6
	s_brev_b32 s22, -2
	v_and_b32_e32 v2, 0x7fffffff, v5
	s_and_saveexec_b64 s[2:3], vcc
	s_xor_b64 s[2:3], exec, s[2:3]
; %bb.1611:
	v_bfi_b32 v7, s22, v5, v7
	v_mov_b32_e32 v2, v6
; %bb.1612:
	s_andn2_saveexec_b64 s[2:3], s[2:3]
; %bb.1613:
	v_bfi_b32 v7, s22, v6, v7
; %bb.1614:
	s_or_b64 exec, exec, s[2:3]
.LBB232_1615:
	s_or_b64 exec, exec, s[0:1]
.LBB232_1616:
	s_andn2_saveexec_b64 s[0:1], s[20:21]
	s_cbranch_execz .LBB232_1618
; %bb.1617:
	v_sub_f32_e32 v2, v7, v7
	v_div_scale_f32 v5, vcc, v2, v2, v2
	v_rcp_f32_e32 v7, v5
	s_nop 0
	v_fma_f32 v9, -v5, v7, 1.0
	v_fmac_f32_e32 v7, v9, v7
	v_mul_f32_e32 v9, v5, v7
	v_fma_f32 v10, -v5, v9, v5
	v_fmac_f32_e32 v9, v10, v7
	v_fma_f32 v5, -v5, v9, v5
	v_div_fmas_f32 v5, v5, v7, v9
	v_div_fixup_f32 v7, v5, v2, v2
	v_mov_b32_e32 v2, v6
.LBB232_1618:
	s_or_b64 exec, exec, s[0:1]
.LBB232_1619:
	s_or_b64 exec, exec, s[18:19]
.LBB232_1620:
	s_or_b64 exec, exec, s[10:11]
	v_add_u32_e32 v8, s9, v8
	v_ashrrev_i32_e32 v9, 31, v8
	s_cmp_lt_i32 s28, 11
	v_lshl_add_u64 v[10:11], s[6:7], 0, v[8:9]
	s_cbranch_scc1 .LBB232_1627
; %bb.1621:
	s_cmp_gt_i32 s28, 25
	s_mov_b64 s[2:3], 0
	s_cbranch_scc0 .LBB232_1628
; %bb.1622:
	s_cmp_gt_i32 s28, 28
	s_cbranch_scc0 .LBB232_1629
; %bb.1623:
	s_cmp_gt_i32 s28, 43
	;; [unrolled: 3-line block ×3, first 2 shown]
	s_cbranch_scc0 .LBB232_1632
; %bb.1625:
	s_cmp_eq_u32 s28, 46
	s_mov_b64 s[10:11], 0
	s_cbranch_scc0 .LBB232_1633
; %bb.1626:
	global_load_dword v5, v[10:11], off
	s_mov_b64 s[0:1], 0
	s_mov_b64 s[6:7], -1
	s_waitcnt vmcnt(0)
	v_and_b32_e32 v9, 0xffff0000, v5
	v_lshlrev_b32_e32 v8, 16, v5
	s_branch .LBB232_1634
.LBB232_1627:
	s_mov_b64 s[0:1], -1
	s_mov_b64 s[6:7], 0
                                        ; implicit-def: $vgpr8_vgpr9
	s_branch .LBB232_1700
.LBB232_1628:
	s_mov_b64 s[10:11], -1
	s_mov_b64 s[6:7], 0
	s_mov_b64 s[0:1], 0
                                        ; implicit-def: $vgpr8_vgpr9
	s_branch .LBB232_1665
.LBB232_1629:
	s_mov_b64 s[10:11], -1
	s_mov_b64 s[6:7], 0
	s_mov_b64 s[0:1], 0
                                        ; implicit-def: $vgpr8_vgpr9
	s_branch .LBB232_1644
.LBB232_1630:
	s_mov_b64 s[10:11], -1
	s_mov_b64 s[6:7], 0
	s_mov_b64 s[0:1], 0
                                        ; implicit-def: $vgpr8_vgpr9
	s_branch .LBB232_1639
.LBB232_1631:
	s_trap 2
	s_or_b64 s[16:17], s[16:17], exec
	s_cbranch_execz .LBB232_1540
	s_branch .LBB232_1541
.LBB232_1632:
	s_mov_b64 s[10:11], -1
	s_mov_b64 s[6:7], 0
	s_mov_b64 s[0:1], 0
                                        ; implicit-def: $vgpr8_vgpr9
	s_branch .LBB232_1634
.LBB232_1633:
	s_mov_b64 s[0:1], -1
                                        ; implicit-def: $vgpr8_vgpr9
	s_mov_b64 s[6:7], 0
.LBB232_1634:
	s_and_b64 vcc, exec, s[10:11]
	s_cbranch_vccz .LBB232_1638
; %bb.1635:
	s_cmp_eq_u32 s28, 44
	s_cbranch_scc0 .LBB232_1637
; %bb.1636:
	global_load_ubyte v5, v[10:11], off
	s_movk_i32 s6, 0xff
	v_mov_b32_e32 v6, 0x7f800001
	v_mov_b32_e32 v8, 0x400000
	;; [unrolled: 1-line block ×3, first 2 shown]
	s_mov_b64 s[0:1], 0
	s_waitcnt vmcnt(0)
	v_lshlrev_b32_e32 v13, 23, v5
	v_cmp_ne_u32_e32 vcc, s6, v5
	s_mov_b64 s[6:7], -1
	s_nop 0
	v_cndmask_b32_e32 v6, v6, v13, vcc
	v_cmp_ne_u32_e32 vcc, 0, v5
	s_nop 1
	v_cndmask_b32_e32 v8, v8, v6, vcc
	s_branch .LBB232_1638
.LBB232_1637:
	s_mov_b64 s[0:1], -1
                                        ; implicit-def: $vgpr8_vgpr9
.LBB232_1638:
	s_mov_b64 s[10:11], 0
.LBB232_1639:
	s_and_b64 vcc, exec, s[10:11]
	s_cbranch_vccz .LBB232_1643
; %bb.1640:
	s_cmp_eq_u32 s28, 29
	s_cbranch_scc0 .LBB232_1642
; %bb.1641:
	global_load_dwordx2 v[8:9], v[10:11], off
	s_mov_b64 s[0:1], 0
	s_mov_b64 s[6:7], -1
	s_mov_b64 s[10:11], 0
	s_waitcnt vmcnt(0)
	v_ffbh_u32_e32 v5, v9
	v_min_u32_e32 v5, 32, v5
	v_lshlrev_b64 v[8:9], v5, v[8:9]
	v_min_u32_e32 v6, 1, v8
	v_or_b32_e32 v6, v9, v6
	v_cvt_f32_u32_e32 v6, v6
	v_sub_u32_e32 v5, 32, v5
	v_mov_b32_e32 v9, 0
	v_ldexp_f32 v8, v6, v5
	s_branch .LBB232_1644
.LBB232_1642:
	s_mov_b64 s[0:1], -1
                                        ; implicit-def: $vgpr8_vgpr9
.LBB232_1643:
	s_mov_b64 s[10:11], 0
.LBB232_1644:
	s_and_b64 vcc, exec, s[10:11]
	s_cbranch_vccz .LBB232_1664
; %bb.1645:
	s_cmp_lt_i32 s28, 27
	s_cbranch_scc1 .LBB232_1648
; %bb.1646:
	s_cmp_gt_i32 s28, 27
	s_cbranch_scc0 .LBB232_1649
; %bb.1647:
	global_load_dword v5, v[10:11], off
	v_mov_b32_e32 v9, 0
	s_mov_b64 s[6:7], 0
	s_waitcnt vmcnt(0)
	v_cvt_f32_u32_e32 v8, v5
	s_branch .LBB232_1650
.LBB232_1648:
	s_mov_b64 s[6:7], -1
                                        ; implicit-def: $vgpr8_vgpr9
	s_branch .LBB232_1653
.LBB232_1649:
	s_mov_b64 s[6:7], -1
                                        ; implicit-def: $vgpr8_vgpr9
.LBB232_1650:
	s_andn2_b64 vcc, exec, s[6:7]
	s_cbranch_vccnz .LBB232_1652
; %bb.1651:
	global_load_ushort v5, v[10:11], off
	v_mov_b32_e32 v9, 0
	s_waitcnt vmcnt(0)
	v_cvt_f32_u32_e32 v8, v5
.LBB232_1652:
	s_mov_b64 s[6:7], 0
.LBB232_1653:
	s_andn2_b64 vcc, exec, s[6:7]
	s_cbranch_vccnz .LBB232_1663
; %bb.1654:
	global_load_ubyte v5, v[10:11], off
	s_movk_i32 s6, 0x7f
	s_waitcnt vmcnt(0)
	v_cmp_lt_i16_e32 vcc, s6, v5
	s_mov_b64 s[6:7], 0
	s_and_saveexec_b64 s[10:11], vcc
	s_xor_b64 s[10:11], exec, s[10:11]
	s_cbranch_execz .LBB232_1658
; %bb.1655:
	s_movk_i32 s6, 0x80
	v_cmp_eq_u16_e32 vcc, s6, v5
	s_mov_b64 s[6:7], -1
	s_and_saveexec_b64 s[18:19], vcc
; %bb.1656:
	s_xor_b64 s[6:7], exec, -1
; %bb.1657:
	s_or_b64 exec, exec, s[18:19]
	s_and_b64 s[6:7], s[6:7], exec
.LBB232_1658:
	s_or_saveexec_b64 s[10:11], s[10:11]
	v_mov_b32_e32 v8, 0x7f800001
	v_mov_b32_e32 v9, 0
	s_xor_b64 exec, exec, s[10:11]
; %bb.1659:
	v_cmp_ne_u16_e32 vcc, 0, v5
	s_andn2_b64 s[6:7], s[6:7], exec
	s_and_b64 s[18:19], vcc, exec
	v_mov_b32_e32 v8, v9
	s_or_b64 s[6:7], s[6:7], s[18:19]
; %bb.1660:
	s_or_b64 exec, exec, s[10:11]
	s_and_saveexec_b64 s[10:11], s[6:7]
	s_cbranch_execz .LBB232_1662
; %bb.1661:
	v_lshlrev_b32_e32 v6, 24, v5
	v_and_b32_e32 v5, 0xffff, v5
	v_and_b32_e32 v8, 7, v5
	v_ffbh_u32_e32 v13, v8
	v_min_u32_e32 v13, 32, v13
	v_subrev_u32_e32 v14, 28, v13
	v_bfe_u32 v9, v5, 3, 4
	v_lshlrev_b32_e32 v5, v14, v5
	v_sub_u32_e32 v13, 29, v13
	v_and_b32_e32 v5, 7, v5
	v_cmp_eq_u32_e32 vcc, 0, v9
	v_and_b32_e32 v6, 0x80000000, v6
	s_nop 0
	v_cndmask_b32_e32 v9, v9, v13, vcc
	v_cndmask_b32_e32 v5, v8, v5, vcc
	v_mov_b32_e32 v8, 0x3b800000
	v_lshlrev_b32_e32 v5, 20, v5
	v_lshl_add_u32 v8, v9, 23, v8
	v_or3_b32 v8, v6, v8, v5
	v_mov_b32_e32 v9, 0
.LBB232_1662:
	s_or_b64 exec, exec, s[10:11]
.LBB232_1663:
	s_mov_b64 s[6:7], -1
.LBB232_1664:
	s_mov_b64 s[10:11], 0
.LBB232_1665:
	s_and_b64 vcc, exec, s[10:11]
	s_cbranch_vccz .LBB232_1696
; %bb.1666:
	s_cmp_gt_i32 s28, 22
	s_cbranch_scc0 .LBB232_1678
; %bb.1667:
	s_cmp_lt_i32 s28, 24
	s_cbranch_scc1 .LBB232_1679
; %bb.1668:
	s_cmp_gt_i32 s28, 24
	s_cbranch_scc0 .LBB232_1680
; %bb.1669:
	global_load_ubyte v5, v[10:11], off
	s_movk_i32 s2, 0x7f
	s_waitcnt vmcnt(0)
	v_cmp_lt_i16_e32 vcc, s2, v5
	s_mov_b64 s[2:3], 0
	s_and_saveexec_b64 s[6:7], vcc
	s_xor_b64 s[6:7], exec, s[6:7]
	s_cbranch_execz .LBB232_1673
; %bb.1670:
	s_movk_i32 s2, 0x80
	v_cmp_eq_u16_e32 vcc, s2, v5
	s_mov_b64 s[2:3], -1
	s_and_saveexec_b64 s[10:11], vcc
; %bb.1671:
	s_xor_b64 s[2:3], exec, -1
; %bb.1672:
	s_or_b64 exec, exec, s[10:11]
	s_and_b64 s[2:3], s[2:3], exec
.LBB232_1673:
	s_or_saveexec_b64 s[6:7], s[6:7]
	v_mov_b32_e32 v8, 0x7f800001
	v_mov_b32_e32 v9, 0
	s_xor_b64 exec, exec, s[6:7]
; %bb.1674:
	v_cmp_ne_u16_e32 vcc, 0, v5
	s_andn2_b64 s[2:3], s[2:3], exec
	s_and_b64 s[10:11], vcc, exec
	v_mov_b32_e32 v8, v9
	s_or_b64 s[2:3], s[2:3], s[10:11]
; %bb.1675:
	s_or_b64 exec, exec, s[6:7]
	s_and_saveexec_b64 s[6:7], s[2:3]
	s_cbranch_execz .LBB232_1677
; %bb.1676:
	v_lshlrev_b32_e32 v6, 24, v5
	v_and_b32_e32 v5, 0xffff, v5
	v_and_b32_e32 v8, 3, v5
	v_ffbh_u32_e32 v13, v8
	v_min_u32_e32 v13, 32, v13
	v_subrev_u32_e32 v14, 29, v13
	v_bfe_u32 v9, v5, 2, 5
	v_lshlrev_b32_e32 v5, v14, v5
	v_sub_u32_e32 v13, 30, v13
	v_and_b32_e32 v5, 3, v5
	v_cmp_eq_u32_e32 vcc, 0, v9
	v_and_b32_e32 v6, 0x80000000, v6
	s_nop 0
	v_cndmask_b32_e32 v9, v9, v13, vcc
	v_cndmask_b32_e32 v5, v8, v5, vcc
	v_mov_b32_e32 v8, 0x37800000
	v_lshlrev_b32_e32 v5, 21, v5
	v_lshl_add_u32 v8, v9, 23, v8
	v_or3_b32 v8, v6, v8, v5
	v_mov_b32_e32 v9, 0
.LBB232_1677:
	s_or_b64 exec, exec, s[6:7]
	s_mov_b64 s[2:3], 0
	s_branch .LBB232_1681
.LBB232_1678:
	s_mov_b64 s[2:3], -1
                                        ; implicit-def: $vgpr8_vgpr9
	s_branch .LBB232_1687
.LBB232_1679:
	s_mov_b64 s[2:3], -1
                                        ; implicit-def: $vgpr8_vgpr9
	s_branch .LBB232_1684
.LBB232_1680:
	s_mov_b64 s[2:3], -1
                                        ; implicit-def: $vgpr8_vgpr9
.LBB232_1681:
	s_and_b64 vcc, exec, s[2:3]
	s_cbranch_vccz .LBB232_1683
; %bb.1682:
	global_load_ubyte v5, v[10:11], off
	s_mov_b32 s2, 0x7f800000
	s_brev_b32 s3, 1
	s_waitcnt vmcnt(0)
	v_lshlrev_b32_e32 v5, 24, v5
	v_and_b32_e32 v6, 0x7f000000, v5
	v_ffbh_u32_e32 v8, v6
	v_min_u32_e32 v8, 32, v8
	v_sub_u32_e64 v8, v8, 4 clamp
	v_lshlrev_b32_e32 v13, v8, v6
	v_lshlrev_b32_e32 v8, 23, v8
	v_lshrrev_b32_e32 v13, 4, v13
	v_add_u32_e32 v9, 0x1000000, v6
	v_sub_u32_e32 v8, v13, v8
	v_ashrrev_i32_e32 v9, 8, v9
	v_add_u32_e32 v8, 0x3c000000, v8
	v_and_or_b32 v8, v9, s2, v8
	v_cmp_ne_u32_e32 vcc, 0, v6
	v_mov_b32_e32 v9, 0
	s_nop 0
	v_cndmask_b32_e32 v6, 0, v8, vcc
	v_and_or_b32 v8, v5, s3, v6
.LBB232_1683:
	s_mov_b64 s[2:3], 0
.LBB232_1684:
	s_andn2_b64 vcc, exec, s[2:3]
	s_cbranch_vccnz .LBB232_1686
; %bb.1685:
	global_load_ubyte v5, v[10:11], off
	s_movk_i32 s2, 0x7f00
	s_brev_b32 s3, 16
	s_brev_b32 s6, 1
	s_waitcnt vmcnt(0)
	v_lshlrev_b16_e32 v6, 8, v5
	v_lshlrev_b32_e32 v5, 25, v5
	v_lshrrev_b32_e32 v8, 4, v5
	v_and_or_b32 v9, v6, s2, 0.5
	v_or_b32_e32 v8, 0x70000000, v8
	v_add_f32_e32 v9, -0.5, v9
	v_mul_f32_e32 v8, 0x7800000, v8
	v_cmp_gt_u32_e32 vcc, s3, v5
	v_bfe_i32 v6, v6, 0, 16
	s_nop 0
	v_cndmask_b32_e32 v5, v8, v9, vcc
	v_and_or_b32 v8, v6, s6, v5
	v_mov_b32_e32 v9, 0
.LBB232_1686:
	s_mov_b64 s[2:3], 0
	s_mov_b64 s[6:7], -1
.LBB232_1687:
	s_andn2_b64 vcc, exec, s[2:3]
	s_mov_b64 s[2:3], 0
	s_cbranch_vccnz .LBB232_1696
; %bb.1688:
	s_cmp_gt_i32 s28, 14
	s_cbranch_scc0 .LBB232_1691
; %bb.1689:
	s_cmp_eq_u32 s28, 15
	s_cbranch_scc0 .LBB232_1692
; %bb.1690:
	global_load_ushort v5, v[10:11], off
	v_mov_b32_e32 v9, 0
	s_mov_b64 s[0:1], 0
	s_mov_b64 s[6:7], -1
	s_waitcnt vmcnt(0)
	v_lshlrev_b32_e32 v8, 16, v5
	s_branch .LBB232_1693
.LBB232_1691:
	s_mov_b64 s[10:11], -1
                                        ; implicit-def: $vgpr8_vgpr9
	s_branch .LBB232_1694
.LBB232_1692:
	s_mov_b64 s[0:1], -1
                                        ; implicit-def: $vgpr8_vgpr9
.LBB232_1693:
	s_mov_b64 s[10:11], 0
.LBB232_1694:
	s_and_b64 vcc, exec, s[10:11]
	s_cbranch_vccz .LBB232_1696
; %bb.1695:
	s_cmp_lg_u32 s28, 11
	s_mov_b64 s[2:3], -1
	s_cselect_b64 s[0:1], -1, 0
.LBB232_1696:
	s_and_b64 vcc, exec, s[0:1]
	s_cbranch_vccnz .LBB232_2261
; %bb.1697:
	s_andn2_b64 vcc, exec, s[2:3]
	s_cbranch_vccnz .LBB232_1699
.LBB232_1698:
	global_load_ubyte v5, v[10:11], off
	v_mov_b32_e32 v9, 0
	s_mov_b64 s[6:7], -1
	s_waitcnt vmcnt(0)
	v_cmp_ne_u16_e32 vcc, 0, v5
	s_nop 1
	v_cndmask_b32_e64 v8, 0, 1.0, vcc
.LBB232_1699:
	s_mov_b64 s[0:1], 0
.LBB232_1700:
	s_and_b64 vcc, exec, s[0:1]
	s_cbranch_vccz .LBB232_1749
; %bb.1701:
	s_cmp_lt_i32 s28, 5
	s_cbranch_scc1 .LBB232_1706
; %bb.1702:
	s_cmp_lt_i32 s28, 8
	s_cbranch_scc1 .LBB232_1707
	;; [unrolled: 3-line block ×3, first 2 shown]
; %bb.1704:
	s_cmp_gt_i32 s28, 9
	s_cbranch_scc0 .LBB232_1709
; %bb.1705:
	global_load_dwordx4 v[14:17], v[10:11], off
	s_mov_b64 s[0:1], 0
	s_waitcnt vmcnt(0)
	v_cvt_f32_f64_e32 v9, v[16:17]
	v_cvt_f32_f64_e32 v8, v[14:15]
	s_branch .LBB232_1710
.LBB232_1706:
	s_mov_b64 s[0:1], -1
                                        ; implicit-def: $vgpr8_vgpr9
	s_branch .LBB232_1728
.LBB232_1707:
	s_mov_b64 s[0:1], -1
                                        ; implicit-def: $vgpr8_vgpr9
	s_branch .LBB232_1716
.LBB232_1708:
	s_mov_b64 s[0:1], -1
                                        ; implicit-def: $vgpr8_vgpr9
	s_branch .LBB232_1713
.LBB232_1709:
	s_mov_b64 s[0:1], -1
                                        ; implicit-def: $vgpr8_vgpr9
.LBB232_1710:
	s_andn2_b64 vcc, exec, s[0:1]
	s_cbranch_vccnz .LBB232_1712
; %bb.1711:
	global_load_dwordx2 v[8:9], v[10:11], off
.LBB232_1712:
	s_mov_b64 s[0:1], 0
.LBB232_1713:
	s_andn2_b64 vcc, exec, s[0:1]
	s_cbranch_vccnz .LBB232_1715
; %bb.1714:
	global_load_dword v5, v[10:11], off
	s_waitcnt vmcnt(0)
	v_cvt_f32_f16_sdwa v9, v5 dst_sel:DWORD dst_unused:UNUSED_PAD src0_sel:WORD_1
	v_cvt_f32_f16_e32 v8, v5
.LBB232_1715:
	s_mov_b64 s[0:1], 0
.LBB232_1716:
	s_andn2_b64 vcc, exec, s[0:1]
	s_cbranch_vccnz .LBB232_1727
; %bb.1717:
	s_cmp_lt_i32 s28, 6
	s_cbranch_scc1 .LBB232_1720
; %bb.1718:
	s_cmp_gt_i32 s28, 6
	s_cbranch_scc0 .LBB232_1721
; %bb.1719:
	global_load_dwordx2 v[14:15], v[10:11], off
	s_waitcnt vmcnt(1)
	v_mov_b32_e32 v9, 0
	s_mov_b64 s[0:1], 0
	s_waitcnt vmcnt(0)
	v_cvt_f32_f64_e32 v8, v[14:15]
	s_branch .LBB232_1722
.LBB232_1720:
	s_mov_b64 s[0:1], -1
                                        ; implicit-def: $vgpr8_vgpr9
	s_branch .LBB232_1725
.LBB232_1721:
	s_mov_b64 s[0:1], -1
                                        ; implicit-def: $vgpr8_vgpr9
.LBB232_1722:
	s_andn2_b64 vcc, exec, s[0:1]
	s_cbranch_vccnz .LBB232_1724
; %bb.1723:
	global_load_dword v8, v[10:11], off
	s_waitcnt vmcnt(1)
	v_mov_b32_e32 v9, 0
.LBB232_1724:
	s_mov_b64 s[0:1], 0
.LBB232_1725:
	s_andn2_b64 vcc, exec, s[0:1]
	s_cbranch_vccnz .LBB232_1727
; %bb.1726:
	global_load_ushort v5, v[10:11], off
	s_waitcnt vmcnt(1)
	v_mov_b32_e32 v9, 0
	s_waitcnt vmcnt(0)
	v_cvt_f32_f16_e32 v8, v5
.LBB232_1727:
	s_mov_b64 s[0:1], 0
.LBB232_1728:
	s_andn2_b64 vcc, exec, s[0:1]
	s_cbranch_vccnz .LBB232_1748
; %bb.1729:
	s_cmp_lt_i32 s28, 2
	s_cbranch_scc1 .LBB232_1733
; %bb.1730:
	s_cmp_lt_i32 s28, 3
	s_cbranch_scc1 .LBB232_1734
; %bb.1731:
	s_cmp_gt_i32 s28, 3
	s_cbranch_scc0 .LBB232_1735
; %bb.1732:
	global_load_dwordx2 v[8:9], v[10:11], off
	s_mov_b64 s[0:1], 0
	s_waitcnt vmcnt(0)
	v_xor_b32_e32 v6, v8, v9
	v_ffbh_i32_e32 v5, v9
	v_ashrrev_i32_e32 v6, 31, v6
	v_add_u32_e32 v5, -1, v5
	v_add_u32_e32 v6, 32, v6
	v_min_u32_e32 v5, v5, v6
	v_lshlrev_b64 v[8:9], v5, v[8:9]
	v_min_u32_e32 v6, 1, v8
	v_or_b32_e32 v6, v9, v6
	v_cvt_f32_i32_e32 v6, v6
	v_sub_u32_e32 v5, 32, v5
	v_mov_b32_e32 v9, 0
	v_ldexp_f32 v8, v6, v5
	s_branch .LBB232_1736
.LBB232_1733:
	s_mov_b64 s[0:1], -1
                                        ; implicit-def: $vgpr8_vgpr9
	s_branch .LBB232_1742
.LBB232_1734:
	s_mov_b64 s[0:1], -1
                                        ; implicit-def: $vgpr8_vgpr9
	s_branch .LBB232_1739
.LBB232_1735:
	s_mov_b64 s[0:1], -1
                                        ; implicit-def: $vgpr8_vgpr9
.LBB232_1736:
	s_andn2_b64 vcc, exec, s[0:1]
	s_cbranch_vccnz .LBB232_1738
; %bb.1737:
	global_load_dword v5, v[10:11], off
	s_waitcnt vmcnt(1)
	v_mov_b32_e32 v9, 0
	s_waitcnt vmcnt(0)
	v_cvt_f32_i32_e32 v8, v5
.LBB232_1738:
	s_mov_b64 s[0:1], 0
.LBB232_1739:
	s_andn2_b64 vcc, exec, s[0:1]
	s_cbranch_vccnz .LBB232_1741
; %bb.1740:
	global_load_sshort v5, v[10:11], off
	s_waitcnt vmcnt(1)
	v_mov_b32_e32 v9, 0
	s_waitcnt vmcnt(0)
	v_cvt_f32_i32_e32 v8, v5
.LBB232_1741:
	s_mov_b64 s[0:1], 0
.LBB232_1742:
	s_andn2_b64 vcc, exec, s[0:1]
	s_cbranch_vccnz .LBB232_1748
; %bb.1743:
	s_cmp_gt_i32 s28, 0
	s_cbranch_scc0 .LBB232_1745
; %bb.1744:
	global_load_sbyte v5, v[10:11], off
	s_waitcnt vmcnt(1)
	v_mov_b32_e32 v9, 0
	s_mov_b64 s[0:1], 0
	s_waitcnt vmcnt(0)
	v_cvt_f32_i32_e32 v8, v5
	s_branch .LBB232_1746
.LBB232_1745:
	s_mov_b64 s[0:1], -1
                                        ; implicit-def: $vgpr8_vgpr9
.LBB232_1746:
	s_andn2_b64 vcc, exec, s[0:1]
	s_cbranch_vccnz .LBB232_1748
; %bb.1747:
	global_load_ubyte v5, v[10:11], off
	s_waitcnt vmcnt(1)
	v_mov_b32_e32 v9, 0
	s_waitcnt vmcnt(0)
	v_cvt_f32_ubyte0_e32 v8, v5
.LBB232_1748:
	s_mov_b64 s[6:7], -1
.LBB232_1749:
	s_andn2_b64 vcc, exec, s[6:7]
	s_cbranch_vccnz .LBB232_1762
; %bb.1750:
	s_waitcnt vmcnt(0)
	v_cmp_neq_f32_e32 vcc, 0, v8
	v_cmp_neq_f32_e64 s[0:1], 0, v9
	v_mov_b32_e32 v6, 0
	s_or_b64 s[0:1], vcc, s[0:1]
	s_and_saveexec_b64 s[6:7], s[0:1]
	s_cbranch_execz .LBB232_1826
; %bb.1751:
	v_mov_b32_e32 v6, 0x7f800000
	v_cmp_neq_f32_e64 s[0:1], |v9|, v6
	s_and_saveexec_b64 s[10:11], s[0:1]
	s_cbranch_execz .LBB232_1825
; %bb.1752:
	v_cmp_o_f32_e32 vcc, v8, v8
                                        ; implicit-def: $vgpr6
	s_and_saveexec_b64 s[0:1], vcc
	s_xor_b64 s[18:19], exec, s[0:1]
	s_cbranch_execz .LBB232_1822
; %bb.1753:
	s_mov_b32 s0, 0x7f800000
	v_cmp_neq_f32_e64 s[0:1], |v8|, s0
                                        ; implicit-def: $vgpr6
	s_and_saveexec_b64 s[2:3], s[0:1]
	s_xor_b64 s[20:21], exec, s[2:3]
	s_cbranch_execz .LBB232_1815
; %bb.1754:
	v_max_f32_e64 v5, |v9|, |v9|
	v_max_f32_e64 v6, |v8|, |v8|
	v_max_f32_e32 v5, v6, v5
	s_mov_b32 s0, 0x7ed413cb
	v_cmp_nle_f32_e64 s[0:1], s0, v5
                                        ; implicit-def: $sgpr22_sgpr23
	s_and_saveexec_b64 s[2:3], s[0:1]
	s_xor_b64 s[2:3], exec, s[2:3]
	s_cbranch_execz .LBB232_1758
; %bb.1755:
	s_mov_b32 s9, 0x1000000
	v_cmp_le_f32_e64 s[22:23], |v8|, s9
	v_cmp_le_f32_e64 s[24:25], |v9|, s9
	s_and_b64 s[26:27], s[22:23], s[24:25]
	s_mov_b64 s[22:23], 0
	s_and_saveexec_b64 s[24:25], s[26:27]
; %bb.1756:
	s_mov_b64 s[22:23], exec
	v_pk_mul_f32 v[8:9], v[8:9], 4.0 op_sel_hi:[1,0]
; %bb.1757:
	s_or_b64 exec, exec, s[24:25]
.LBB232_1758:
	s_andn2_saveexec_b64 s[2:3], s[2:3]
; %bb.1759:
	s_mov_b32 s24, 0x3e800000
	v_pk_mul_f32 v[8:9], v[8:9], s[24:25] op_sel_hi:[1,0]
	s_andn2_b64 s[22:23], s[22:23], exec
; %bb.1760:
	s_or_b64 exec, exec, s[2:3]
	v_max_f32_e64 v5, |v9|, |v9|
	v_max_f32_e64 v6, |v8|, |v8|
	v_max_f32_e32 v5, v6, v5
	v_cvt_f64_f32_e32 v[10:11], v5
	v_frexp_exp_i32_f64_e32 v6, v[10:11]
	v_sub_u32_e32 v10, 0, v6
	v_ldexp_f32 v11, |v8|, v10
	v_ldexp_f32 v10, |v9|, v10
	v_mul_f32_e32 v10, v10, v10
	v_fmac_f32_e32 v10, v11, v11
	v_sqrt_f32_e32 v10, v10
	s_mov_b32 s2, 0x7f800000
	v_cmp_neq_f32_e64 s[2:3], s2, v5
	v_cmp_le_f32_e32 vcc, 0, v8
	v_ldexp_f32 v6, v10, v6
	v_mov_b32_e32 v10, 0x7f800000
	v_cndmask_b32_e64 v6, v10, v6, s[2:3]
                                        ; implicit-def: $vgpr10
                                        ; implicit-def: $vgpr5
	s_and_saveexec_b64 s[2:3], vcc
	s_xor_b64 s[24:25], exec, s[2:3]
	s_cbranch_execz .LBB232_1808
; %bb.1761:
	v_add_f32_e32 v5, v8, v6
	v_mul_f32_e32 v5, 0.5, v5
	s_mov_b32 s2, 0xf800000
	v_mul_f32_e32 v6, 0x4f800000, v5
	v_cmp_gt_f32_e32 vcc, s2, v5
	s_nop 1
	v_cndmask_b32_e32 v5, v5, v6, vcc
	v_sqrt_f32_e32 v6, v5
	s_nop 0
	v_add_u32_e32 v8, -1, v6
	v_fma_f32 v10, -v8, v6, v5
	v_cmp_ge_f32_e64 s[2:3], 0, v10
	v_add_u32_e32 v10, 1, v6
	s_nop 0
	v_cndmask_b32_e64 v8, v6, v8, s[2:3]
	v_fma_f32 v6, -v10, v6, v5
	v_cmp_lt_f32_e64 s[2:3], 0, v6
	s_nop 1
	v_cndmask_b32_e64 v6, v8, v10, s[2:3]
	v_mul_f32_e32 v8, 0x37800000, v6
	v_cndmask_b32_e32 v6, v6, v8, vcc
	v_mov_b32_e32 v8, 0x260
	v_cmp_class_f32_e32 vcc, v5, v8
	s_nop 1
	v_cndmask_b32_e32 v5, v6, v5, vcc
	v_add_f32_e32 v6, v5, v5
	v_div_scale_f32 v8, s[2:3], v6, v6, v9
	v_rcp_f32_e32 v10, v8
	s_nop 0
	v_fma_f32 v11, -v8, v10, 1.0
	v_fmac_f32_e32 v10, v11, v10
	v_div_scale_f32 v11, vcc, v9, v6, v9
	v_mul_f32_e32 v13, v11, v10
	v_fma_f32 v14, -v8, v13, v11
	v_fmac_f32_e32 v13, v14, v10
	v_fma_f32 v8, -v8, v13, v11
	v_div_fmas_f32 v8, v8, v10, v13
	v_div_fixup_f32 v10, v8, v6, v9
                                        ; implicit-def: $vgpr6
                                        ; implicit-def: $vgpr8_vgpr9
	s_andn2_saveexec_b64 s[24:25], s[24:25]
	s_cbranch_execz .LBB232_1810
	s_branch .LBB232_1809
.LBB232_1762:
	s_mov_b64 s[0:1], 0
                                        ; implicit-def: $sgpr20
                                        ; implicit-def: $vgpr0_vgpr1
                                        ; implicit-def: $vgpr9
                                        ; implicit-def: $vgpr6
.LBB232_1763:
	s_mov_b64 s[2:3], 0
.LBB232_1764:
	s_and_b64 s[18:19], s[0:1], exec
	s_and_b64 s[10:11], s[2:3], exec
	s_andn2_b64 s[0:1], s[14:15], exec
	s_and_b64 s[2:3], s[16:17], exec
	s_or_b64 s[14:15], s[0:1], s[2:3]
.LBB232_1765:
	s_or_b64 exec, exec, s[12:13]
	s_and_saveexec_b64 s[0:1], s[14:15]
	s_cbranch_execz .LBB232_1768
; %bb.1766:
	; divergent unreachable
	s_or_b64 exec, exec, s[0:1]
	s_and_saveexec_b64 s[0:1], s[10:11]
	s_xor_b64 s[2:3], exec, s[0:1]
	s_cbranch_execnz .LBB232_1769
.LBB232_1767:
	s_or_b64 exec, exec, s[2:3]
	s_and_saveexec_b64 s[0:1], s[18:19]
	s_cbranch_execnz .LBB232_1770
	s_branch .LBB232_1807
.LBB232_1768:
	s_or_b64 exec, exec, s[0:1]
	s_and_saveexec_b64 s[0:1], s[10:11]
	s_xor_b64 s[2:3], exec, s[0:1]
	s_cbranch_execz .LBB232_1767
.LBB232_1769:
	s_waitcnt vmcnt(0)
	v_cmp_neq_f32_e32 vcc, 0, v6
	v_cmp_neq_f32_e64 s[0:1], 0, v9
	s_or_b64 s[0:1], vcc, s[0:1]
	s_nop 0
	v_cndmask_b32_e64 v2, 0, 1, s[0:1]
	global_store_byte v[0:1], v2, off
	s_or_b64 exec, exec, s[2:3]
	s_and_saveexec_b64 s[0:1], s[18:19]
	s_cbranch_execz .LBB232_1807
.LBB232_1770:
	s_sext_i32_i16 s2, s20
	s_cmp_lt_i32 s2, 5
	s_mov_b64 s[0:1], -1
	s_cbranch_scc1 .LBB232_1791
; %bb.1771:
	s_cmp_lt_i32 s2, 8
	s_cbranch_scc1 .LBB232_1781
; %bb.1772:
	s_cmp_lt_i32 s2, 9
	s_cbranch_scc1 .LBB232_1778
; %bb.1773:
	s_cmp_gt_i32 s2, 9
	s_cbranch_scc0 .LBB232_1775
; %bb.1774:
	s_waitcnt vmcnt(0)
	v_cvt_f64_f32_e32 v[2:3], v6
	v_cvt_f64_f32_e32 v[4:5], v9
	global_store_dwordx4 v[0:1], v[2:5], off
	s_mov_b64 s[0:1], 0
.LBB232_1775:
	s_andn2_b64 vcc, exec, s[0:1]
	s_cbranch_vccnz .LBB232_1777
; %bb.1776:
	s_waitcnt vmcnt(0)
	v_mov_b32_e32 v7, v9
	global_store_dwordx2 v[0:1], v[6:7], off
.LBB232_1777:
	s_mov_b64 s[0:1], 0
.LBB232_1778:
	s_andn2_b64 vcc, exec, s[0:1]
	s_cbranch_vccnz .LBB232_1780
; %bb.1779:
	s_waitcnt vmcnt(0)
	v_cvt_f16_f32_e32 v2, v6
	v_cvt_f16_f32_sdwa v3, v9 dst_sel:WORD_1 dst_unused:UNUSED_PAD src0_sel:DWORD
	s_nop 0
	v_or_b32_e32 v2, v3, v2
	global_store_dword v[0:1], v2, off
.LBB232_1780:
	s_mov_b64 s[0:1], 0
.LBB232_1781:
	s_andn2_b64 vcc, exec, s[0:1]
	s_cbranch_vccnz .LBB232_1790
; %bb.1782:
	s_sext_i32_i16 s2, s20
	s_cmp_lt_i32 s2, 6
	s_mov_b64 s[0:1], -1
	s_cbranch_scc1 .LBB232_1788
; %bb.1783:
	s_cmp_gt_i32 s2, 6
	s_cbranch_scc0 .LBB232_1785
; %bb.1784:
	s_waitcnt vmcnt(0)
	v_cvt_f64_f32_e32 v[2:3], v6
	global_store_dwordx2 v[0:1], v[2:3], off
	s_mov_b64 s[0:1], 0
.LBB232_1785:
	s_andn2_b64 vcc, exec, s[0:1]
	s_cbranch_vccnz .LBB232_1787
; %bb.1786:
	s_waitcnt vmcnt(0)
	global_store_dword v[0:1], v6, off
.LBB232_1787:
	s_mov_b64 s[0:1], 0
.LBB232_1788:
	s_andn2_b64 vcc, exec, s[0:1]
	s_cbranch_vccnz .LBB232_1790
; %bb.1789:
	s_waitcnt vmcnt(0)
	v_cvt_f16_f32_e32 v2, v6
	global_store_short v[0:1], v2, off
.LBB232_1790:
	s_mov_b64 s[0:1], 0
.LBB232_1791:
	s_andn2_b64 vcc, exec, s[0:1]
	s_cbranch_vccnz .LBB232_1807
; %bb.1792:
	s_sext_i32_i16 s2, s20
	s_cmp_lt_i32 s2, 2
	s_mov_b64 s[0:1], -1
	s_cbranch_scc1 .LBB232_1802
; %bb.1793:
	s_cmp_lt_i32 s2, 3
	s_cbranch_scc1 .LBB232_1799
; %bb.1794:
	s_cmp_gt_i32 s2, 3
	s_cbranch_scc0 .LBB232_1796
; %bb.1795:
	s_waitcnt vmcnt(0)
	v_trunc_f32_e32 v2, v6
	s_mov_b32 s0, 0x2f800000
	v_mul_f32_e64 v3, |v2|, s0
	v_floor_f32_e32 v3, v3
	s_mov_b32 s0, 0xcf800000
	v_cvt_u32_f32_e32 v4, v3
	v_fma_f32 v3, v3, s0, |v2|
	v_cvt_u32_f32_e32 v3, v3
	v_ashrrev_i32_e32 v5, 31, v2
	v_xor_b32_e32 v4, v4, v5
	s_mov_b64 s[0:1], 0
	v_xor_b32_e32 v2, v3, v5
	v_sub_co_u32_e32 v2, vcc, v2, v5
	s_nop 1
	v_subb_co_u32_e32 v3, vcc, v4, v5, vcc
	global_store_dwordx2 v[0:1], v[2:3], off
.LBB232_1796:
	s_andn2_b64 vcc, exec, s[0:1]
	s_cbranch_vccnz .LBB232_1798
; %bb.1797:
	s_waitcnt vmcnt(0)
	v_cvt_i32_f32_e32 v2, v6
	global_store_dword v[0:1], v2, off
.LBB232_1798:
	s_mov_b64 s[0:1], 0
.LBB232_1799:
	s_andn2_b64 vcc, exec, s[0:1]
	s_cbranch_vccnz .LBB232_1801
; %bb.1800:
	s_waitcnt vmcnt(0)
	v_cvt_i32_f32_e32 v2, v6
	global_store_short v[0:1], v2, off
.LBB232_1801:
	s_mov_b64 s[0:1], 0
.LBB232_1802:
	s_andn2_b64 vcc, exec, s[0:1]
	s_cbranch_vccnz .LBB232_1807
; %bb.1803:
	s_sext_i32_i16 s0, s20
	s_cmp_gt_i32 s0, 0
	s_mov_b64 s[0:1], -1
	s_cbranch_scc0 .LBB232_1805
; %bb.1804:
	s_waitcnt vmcnt(0)
	v_cvt_i32_f32_e32 v2, v6
	s_mov_b64 s[0:1], 0
	global_store_byte v[0:1], v2, off
.LBB232_1805:
	s_andn2_b64 vcc, exec, s[0:1]
	s_cbranch_vccnz .LBB232_1807
; %bb.1806:
	s_waitcnt vmcnt(0)
	v_trunc_f32_e32 v2, v6
	s_mov_b32 s0, 0x2f800000
	v_mul_f32_e64 v3, |v2|, s0
	v_floor_f32_e32 v3, v3
	s_mov_b32 s0, 0xcf800000
	v_fma_f32 v3, v3, s0, |v2|
	v_cvt_u32_f32_e32 v3, v3
	v_ashrrev_i32_e32 v2, 31, v2
	v_xor_b32_e32 v3, v3, v2
	v_sub_u32_e32 v2, v3, v2
	global_store_byte v[0:1], v2, off
	s_endpgm
.LBB232_1807:
	s_endpgm
.LBB232_1808:
	s_andn2_saveexec_b64 s[24:25], s[24:25]
	s_cbranch_execz .LBB232_1810
.LBB232_1809:
	v_sub_f32_e32 v5, v6, v8
	v_mul_f32_e32 v5, 0.5, v5
	s_mov_b32 s2, 0xf800000
	v_mul_f32_e32 v6, 0x4f800000, v5
	v_cmp_gt_f32_e32 vcc, s2, v5
	s_nop 1
	v_cndmask_b32_e32 v5, v5, v6, vcc
	v_sqrt_f32_e32 v6, v5
	s_nop 0
	v_add_u32_e32 v8, -1, v6
	v_fma_f32 v10, -v8, v6, v5
	v_cmp_ge_f32_e64 s[2:3], 0, v10
	v_add_u32_e32 v10, 1, v6
	s_nop 0
	v_cndmask_b32_e64 v8, v6, v8, s[2:3]
	v_fma_f32 v6, -v10, v6, v5
	v_cmp_lt_f32_e64 s[2:3], 0, v6
	s_nop 1
	v_cndmask_b32_e64 v6, v8, v10, s[2:3]
	v_mul_f32_e32 v8, 0x37800000, v6
	v_cndmask_b32_e32 v6, v6, v8, vcc
	v_mov_b32_e32 v8, 0x260
	v_cmp_class_f32_e32 vcc, v5, v8
	v_and_b32_e32 v8, 0x7fffffff, v9
	s_nop 0
	v_cndmask_b32_e32 v6, v6, v5, vcc
	v_add_f32_e32 v5, v6, v6
	v_div_scale_f32 v10, s[2:3], v5, v5, v8
	v_rcp_f32_e32 v11, v10
	v_div_scale_f32 v8, vcc, v8, v5, v8
	s_brev_b32 s2, -2
	v_fma_f32 v13, -v10, v11, 1.0
	v_fmac_f32_e32 v11, v13, v11
	v_mul_f32_e32 v13, v8, v11
	v_fma_f32 v14, -v10, v13, v8
	v_fmac_f32_e32 v13, v14, v11
	v_fma_f32 v8, -v10, v13, v8
	v_div_fmas_f32 v8, v8, v11, v13
	v_div_fixup_f32 v5, v8, v5, |v9|
	v_bfi_b32 v10, s2, v6, v9
.LBB232_1810:
	s_or_b64 exec, exec, s[24:25]
                                        ; implicit-def: $vgpr9
                                        ; implicit-def: $vgpr6
	s_and_saveexec_b64 s[2:3], s[0:1]
	s_xor_b64 s[0:1], exec, s[2:3]
	s_cbranch_execz .LBB232_1812
; %bb.1811:
	v_mul_f32_e32 v6, 0.5, v5
	v_mul_f32_e32 v8, 0.5, v10
	v_cndmask_b32_e64 v6, v5, v6, s[22:23]
	v_cndmask_b32_e64 v9, v10, v8, s[22:23]
                                        ; implicit-def: $vgpr5
                                        ; implicit-def: $vgpr10
	s_andn2_saveexec_b64 s[0:1], s[0:1]
	s_cbranch_execnz .LBB232_1813
	s_branch .LBB232_1814
.LBB232_1812:
	s_andn2_saveexec_b64 s[0:1], s[0:1]
.LBB232_1813:
	v_add_f32_e32 v6, v5, v5
	v_add_f32_e32 v9, v10, v10
.LBB232_1814:
	s_or_b64 exec, exec, s[0:1]
.LBB232_1815:
	s_andn2_saveexec_b64 s[0:1], s[20:21]
	s_cbranch_execz .LBB232_1821
; %bb.1816:
	v_sub_f32_e32 v5, v9, v9
	v_cmp_lt_i32_e32 vcc, -1, v8
	s_brev_b32 s9, -2
	v_and_b32_e32 v6, 0x7fffffff, v5
	s_and_saveexec_b64 s[2:3], vcc
	s_xor_b64 s[2:3], exec, s[2:3]
; %bb.1817:
	v_bfi_b32 v9, s9, v5, v9
	v_mov_b32_e32 v6, v8
; %bb.1818:
	s_andn2_saveexec_b64 s[2:3], s[2:3]
; %bb.1819:
	v_bfi_b32 v9, s9, v8, v9
; %bb.1820:
	s_or_b64 exec, exec, s[2:3]
.LBB232_1821:
	s_or_b64 exec, exec, s[0:1]
.LBB232_1822:
	s_andn2_saveexec_b64 s[0:1], s[18:19]
	s_cbranch_execz .LBB232_1824
; %bb.1823:
	v_sub_f32_e32 v5, v9, v9
	v_div_scale_f32 v6, vcc, v5, v5, v5
	v_rcp_f32_e32 v9, v6
	s_nop 0
	v_fma_f32 v10, -v6, v9, 1.0
	v_fmac_f32_e32 v9, v10, v9
	v_mul_f32_e32 v10, v6, v9
	v_fma_f32 v11, -v6, v10, v6
	v_fmac_f32_e32 v10, v11, v9
	v_fma_f32 v6, -v6, v10, v6
	v_div_fmas_f32 v6, v6, v9, v10
	v_div_fixup_f32 v9, v6, v5, v5
	v_mov_b32_e32 v6, v8
.LBB232_1824:
	s_or_b64 exec, exec, s[0:1]
.LBB232_1825:
	s_or_b64 exec, exec, s[10:11]
.LBB232_1826:
	s_or_b64 exec, exec, s[6:7]
	v_mul_lo_u32 v10, s8, v12
	v_ashrrev_i32_e32 v11, 31, v10
	s_and_b32 s20, s33, 0xff
	s_cmp_lt_i32 s20, 11
	v_lshl_add_u64 v[12:13], s[4:5], 0, v[10:11]
	s_cbranch_scc1 .LBB232_1904
; %bb.1827:
	s_and_b32 s9, 0xffff, s20
	s_mov_b64 s[10:11], -1
	s_mov_b64 s[2:3], 0
	s_cmp_gt_i32 s9, 25
	s_mov_b64 s[6:7], 0
	s_mov_b64 s[0:1], 0
	s_cbranch_scc0 .LBB232_1860
; %bb.1828:
	s_cmp_gt_i32 s9, 28
	s_cbranch_scc0 .LBB232_1843
; %bb.1829:
	s_cmp_gt_i32 s9, 43
	;; [unrolled: 3-line block ×3, first 2 shown]
	s_cbranch_scc0 .LBB232_1833
; %bb.1831:
	s_mov_b64 s[0:1], -1
	s_mov_b64 s[10:11], 0
	s_cmp_eq_u32 s9, 46
	s_cbranch_scc0 .LBB232_1833
; %bb.1832:
	s_movk_i32 s0, 0x7fff
	v_bfe_u32 v8, v1, 16, 1
	v_add3_u32 v8, v1, v8, s0
	v_bfe_u32 v5, v4, 16, 1
	v_and_b32_e32 v8, 0xffff0000, v8
	v_mov_b32_e32 v11, 0x7fc00000
	v_cmp_o_f32_e32 vcc, v1, v1
	v_add3_u32 v5, v4, v5, s0
	s_mov_b64 s[0:1], 0
	v_cndmask_b32_e32 v8, v11, v8, vcc
	v_cmp_o_f32_e32 vcc, v4, v4
	v_mov_b32_e32 v11, 0x7fc0
	s_mov_b64 s[6:7], -1
	v_cndmask_b32_sdwa v5, v11, v5, vcc dst_sel:DWORD dst_unused:UNUSED_PAD src0_sel:DWORD src1_sel:WORD_1
	v_or_b32_e32 v5, v8, v5
	global_store_dword v[12:13], v5, off
.LBB232_1833:
	s_and_b64 vcc, exec, s[10:11]
	s_cbranch_vccz .LBB232_1838
; %bb.1834:
	s_cmp_eq_u32 s9, 44
	s_mov_b64 s[0:1], -1
	s_cbranch_scc0 .LBB232_1838
; %bb.1835:
	v_bfe_u32 v5, v4, 23, 8
	s_movk_i32 s0, 0xff
	v_cmp_ne_u32_e32 vcc, s0, v5
	v_mov_b32_e32 v8, 0xff
	s_and_saveexec_b64 s[6:7], vcc
; %bb.1836:
	s_mov_b32 s0, 0x3fffff
	v_and_b32_e32 v11, 0x400000, v4
	v_and_or_b32 v5, v4, s0, v5
	v_cmp_ne_u32_e32 vcc, 0, v11
	v_cmp_ne_u32_e64 s[0:1], 0, v5
	s_and_b64 s[0:1], vcc, s[0:1]
	v_lshrrev_b32_e32 v8, 23, v4
	v_cndmask_b32_e64 v5, 0, 1, s[0:1]
	v_add_u32_e32 v8, v8, v5
; %bb.1837:
	s_or_b64 exec, exec, s[6:7]
	s_mov_b64 s[0:1], 0
	s_mov_b64 s[6:7], -1
	global_store_byte v[12:13], v8, off
.LBB232_1838:
	s_mov_b64 s[10:11], 0
.LBB232_1839:
	s_and_b64 vcc, exec, s[10:11]
	s_cbranch_vccz .LBB232_1842
; %bb.1840:
	s_cmp_eq_u32 s9, 29
	s_mov_b64 s[0:1], -1
	s_cbranch_scc0 .LBB232_1842
; %bb.1841:
	v_trunc_f32_e32 v5, v4
	v_mul_f32_e32 v8, 0x2f800000, v5
	v_floor_f32_e32 v8, v8
	v_fmamk_f32 v5, v8, 0xcf800000, v5
	v_cvt_u32_f32_e32 v15, v8
	v_cvt_u32_f32_e32 v14, v5
	s_mov_b64 s[0:1], 0
	s_mov_b64 s[6:7], -1
	global_store_dwordx2 v[12:13], v[14:15], off
.LBB232_1842:
	s_mov_b64 s[10:11], 0
.LBB232_1843:
	s_and_b64 vcc, exec, s[10:11]
	s_cbranch_vccz .LBB232_1859
; %bb.1844:
	s_cmp_lt_i32 s9, 27
	s_mov_b64 s[6:7], -1
	s_cbranch_scc1 .LBB232_1850
; %bb.1845:
	v_cvt_u32_f32_e32 v5, v4
	s_cmp_gt_i32 s9, 27
	s_cbranch_scc0 .LBB232_1847
; %bb.1846:
	s_mov_b64 s[6:7], 0
	global_store_dword v[12:13], v5, off
.LBB232_1847:
	s_andn2_b64 vcc, exec, s[6:7]
	s_cbranch_vccnz .LBB232_1849
; %bb.1848:
	global_store_short v[12:13], v5, off
.LBB232_1849:
	s_mov_b64 s[6:7], 0
.LBB232_1850:
	s_andn2_b64 vcc, exec, s[6:7]
	s_cbranch_vccnz .LBB232_1858
; %bb.1851:
	v_and_b32_e32 v5, 0x7fffffff, v4
	s_mov_b32 s6, 0x43800000
	v_cmp_gt_u32_e32 vcc, s6, v5
	v_mov_b32_e32 v8, 0x80
	s_and_saveexec_b64 s[6:7], vcc
	s_cbranch_execz .LBB232_1857
; %bb.1852:
	s_mov_b32 s10, 0x3bffffff
	v_cmp_lt_u32_e32 vcc, s10, v5
	s_mov_b64 s[10:11], 0
                                        ; implicit-def: $vgpr5
	s_and_saveexec_b64 s[18:19], vcc
	s_xor_b64 s[18:19], exec, s[18:19]
	s_cbranch_execz .LBB232_2262
; %bb.1853:
	v_bfe_u32 v5, v4, 20, 1
	s_mov_b32 s21, 0x487ffff
	v_add3_u32 v5, v4, v5, s21
	s_mov_b64 s[10:11], exec
	v_lshrrev_b32_e32 v5, 20, v5
	s_andn2_saveexec_b64 s[18:19], s[18:19]
	s_cbranch_execnz .LBB232_2263
.LBB232_1854:
	s_or_b64 exec, exec, s[18:19]
	v_mov_b32_e32 v8, 0
	s_and_saveexec_b64 s[18:19], s[10:11]
.LBB232_1855:
	v_lshrrev_b32_e32 v8, 24, v4
	s_movk_i32 s10, 0x80
	v_and_or_b32 v8, v8, s10, v5
.LBB232_1856:
	s_or_b64 exec, exec, s[18:19]
.LBB232_1857:
	s_or_b64 exec, exec, s[6:7]
	global_store_byte v[12:13], v8, off
.LBB232_1858:
	s_mov_b64 s[6:7], -1
.LBB232_1859:
	s_mov_b64 s[10:11], 0
.LBB232_1860:
	s_and_b64 vcc, exec, s[10:11]
	s_cbranch_vccz .LBB232_1900
; %bb.1861:
	s_cmp_gt_i32 s9, 22
	s_mov_b64 s[2:3], -1
	s_cbranch_scc0 .LBB232_1893
; %bb.1862:
	s_cmp_lt_i32 s9, 24
	s_cbranch_scc1 .LBB232_1882
; %bb.1863:
	s_cmp_gt_i32 s9, 24
	s_cbranch_scc0 .LBB232_1871
; %bb.1864:
	v_and_b32_e32 v5, 0x7fffffff, v4
	s_mov_b32 s2, 0x47800000
	v_cmp_gt_u32_e32 vcc, s2, v5
	v_mov_b32_e32 v8, 0x80
	s_and_saveexec_b64 s[2:3], vcc
	s_cbranch_execz .LBB232_1870
; %bb.1865:
	s_mov_b32 s6, 0x37ffffff
	v_cmp_lt_u32_e32 vcc, s6, v5
	s_mov_b64 s[6:7], 0
                                        ; implicit-def: $vgpr5
	s_and_saveexec_b64 s[10:11], vcc
	s_xor_b64 s[10:11], exec, s[10:11]
	s_cbranch_execz .LBB232_2265
; %bb.1866:
	v_bfe_u32 v5, v4, 21, 1
	s_mov_b32 s18, 0x88fffff
	v_add3_u32 v5, v4, v5, s18
	s_mov_b64 s[6:7], exec
	v_lshrrev_b32_e32 v5, 21, v5
	s_andn2_saveexec_b64 s[10:11], s[10:11]
	s_cbranch_execnz .LBB232_2266
.LBB232_1867:
	s_or_b64 exec, exec, s[10:11]
	v_mov_b32_e32 v8, 0
	s_and_saveexec_b64 s[10:11], s[6:7]
.LBB232_1868:
	v_lshrrev_b32_e32 v8, 24, v4
	s_movk_i32 s6, 0x80
	v_and_or_b32 v8, v8, s6, v5
.LBB232_1869:
	s_or_b64 exec, exec, s[10:11]
.LBB232_1870:
	s_or_b64 exec, exec, s[2:3]
	s_mov_b64 s[2:3], 0
	global_store_byte v[12:13], v8, off
.LBB232_1871:
	s_and_b64 vcc, exec, s[2:3]
	s_cbranch_vccz .LBB232_1881
; %bb.1872:
	v_and_b32_e32 v8, 0x7fffffff, v4
	s_mov_b32 s2, 0x43f00000
	v_cmp_gt_u32_e32 vcc, s2, v8
                                        ; implicit-def: $vgpr5
	s_and_saveexec_b64 s[2:3], vcc
	s_xor_b64 s[2:3], exec, s[2:3]
	s_cbranch_execz .LBB232_1878
; %bb.1873:
	s_mov_b32 s6, 0x3c7fffff
	v_cmp_lt_u32_e32 vcc, s6, v8
                                        ; implicit-def: $vgpr5
	s_and_saveexec_b64 s[6:7], vcc
	s_xor_b64 s[6:7], exec, s[6:7]
; %bb.1874:
	v_bfe_u32 v5, v4, 20, 1
	s_mov_b32 s10, 0x407ffff
	v_add3_u32 v5, v4, v5, s10
	v_lshrrev_b32_e32 v8, 20, v5
	v_and_b32_e32 v5, 0xff00000, v5
	s_mov_b32 s10, 0x7f00000
	v_mov_b32_e32 v11, 0x7e
	v_cmp_ne_u32_e32 vcc, s10, v5
	s_nop 1
	v_cndmask_b32_e32 v5, v11, v8, vcc
; %bb.1875:
	s_andn2_saveexec_b64 s[6:7], s[6:7]
; %bb.1876:
	s_mov_b32 s10, 0x46800000
	v_add_f32_e64 v5, |v4|, s10
; %bb.1877:
	s_or_b64 exec, exec, s[6:7]
                                        ; implicit-def: $vgpr8
.LBB232_1878:
	s_andn2_saveexec_b64 s[2:3], s[2:3]
; %bb.1879:
	s_mov_b32 s6, 0x7f800000
	v_mov_b32_e32 v5, 0x7e
	v_mov_b32_e32 v11, 0x7f
	v_cmp_lt_u32_e32 vcc, s6, v8
	s_nop 1
	v_cndmask_b32_e32 v5, v5, v11, vcc
; %bb.1880:
	s_or_b64 exec, exec, s[2:3]
	v_lshrrev_b32_e32 v8, 24, v4
	s_movk_i32 s2, 0x80
	v_and_or_b32 v5, v8, s2, v5
	global_store_byte v[12:13], v5, off
.LBB232_1881:
	s_mov_b64 s[2:3], 0
.LBB232_1882:
	s_andn2_b64 vcc, exec, s[2:3]
	s_cbranch_vccnz .LBB232_1892
; %bb.1883:
	v_and_b32_e32 v8, 0x7fffffff, v4
	s_mov_b32 s2, 0x47800000
	v_cmp_gt_u32_e32 vcc, s2, v8
                                        ; implicit-def: $vgpr5
	s_and_saveexec_b64 s[2:3], vcc
	s_xor_b64 s[2:3], exec, s[2:3]
	s_cbranch_execz .LBB232_1889
; %bb.1884:
	s_mov_b32 s6, 0x387fffff
	v_cmp_lt_u32_e32 vcc, s6, v8
                                        ; implicit-def: $vgpr5
	s_and_saveexec_b64 s[6:7], vcc
	s_xor_b64 s[6:7], exec, s[6:7]
; %bb.1885:
	v_bfe_u32 v5, v4, 21, 1
	s_mov_b32 s10, 0x80fffff
	v_add3_u32 v5, v4, v5, s10
	v_lshrrev_b32_e32 v5, 21, v5
; %bb.1886:
	s_andn2_saveexec_b64 s[6:7], s[6:7]
; %bb.1887:
	s_mov_b32 s10, 0x43000000
	v_add_f32_e64 v5, |v4|, s10
; %bb.1888:
	s_or_b64 exec, exec, s[6:7]
                                        ; implicit-def: $vgpr8
.LBB232_1889:
	s_andn2_saveexec_b64 s[2:3], s[2:3]
; %bb.1890:
	s_mov_b32 s6, 0x7f800000
	v_mov_b32_e32 v5, 0x7c
	v_mov_b32_e32 v11, 0x7f
	v_cmp_lt_u32_e32 vcc, s6, v8
	s_nop 1
	v_cndmask_b32_e32 v5, v5, v11, vcc
; %bb.1891:
	s_or_b64 exec, exec, s[2:3]
	v_lshrrev_b32_e32 v8, 24, v4
	s_movk_i32 s2, 0x80
	v_and_or_b32 v5, v8, s2, v5
	global_store_byte v[12:13], v5, off
.LBB232_1892:
	s_mov_b64 s[2:3], 0
	s_mov_b64 s[6:7], -1
.LBB232_1893:
	s_andn2_b64 vcc, exec, s[2:3]
	s_mov_b64 s[2:3], 0
	s_cbranch_vccnz .LBB232_1900
; %bb.1894:
	s_cmp_gt_i32 s9, 14
	s_mov_b64 s[10:11], -1
	s_cbranch_scc0 .LBB232_1898
; %bb.1895:
	s_cmp_eq_u32 s9, 15
	s_mov_b64 s[0:1], -1
	s_cbranch_scc0 .LBB232_1897
; %bb.1896:
	v_bfe_u32 v5, v4, 16, 1
	s_movk_i32 s0, 0x7fff
	v_add3_u32 v5, v4, v5, s0
	v_cmp_o_f32_e32 vcc, v4, v4
	v_mov_b32_e32 v8, 0x7fc0
	s_mov_b64 s[0:1], 0
	v_cndmask_b32_sdwa v5, v8, v5, vcc dst_sel:DWORD dst_unused:UNUSED_PAD src0_sel:DWORD src1_sel:WORD_1
	global_store_short v[12:13], v5, off
	s_mov_b64 s[6:7], -1
.LBB232_1897:
	s_mov_b64 s[10:11], 0
.LBB232_1898:
	s_and_b64 vcc, exec, s[10:11]
	s_cbranch_vccz .LBB232_1900
; %bb.1899:
	s_cmp_lg_u32 s9, 11
	s_mov_b64 s[2:3], -1
	s_cselect_b64 s[0:1], -1, 0
.LBB232_1900:
	s_and_b64 vcc, exec, s[0:1]
	s_cbranch_vccnz .LBB232_2264
; %bb.1901:
	s_andn2_b64 vcc, exec, s[2:3]
	s_cbranch_vccnz .LBB232_1903
.LBB232_1902:
	v_cmp_neq_f32_e32 vcc, 0, v4
	v_cmp_neq_f32_e64 s[0:1], 0, v1
	s_or_b64 s[0:1], vcc, s[0:1]
	s_mov_b64 s[6:7], -1
	v_cndmask_b32_e64 v5, 0, 1, s[0:1]
	global_store_byte v[12:13], v5, off
.LBB232_1903:
	s_mov_b64 s[0:1], 0
	s_branch .LBB232_1905
.LBB232_1904:
	s_mov_b64 s[0:1], -1
	s_mov_b64 s[6:7], 0
.LBB232_1905:
	s_and_b64 vcc, exec, s[0:1]
	s_cbranch_vccz .LBB232_1944
; %bb.1906:
	s_and_b32 s2, 0xffff, s20
	s_cmp_lt_i32 s2, 5
	s_mov_b64 s[0:1], -1
	s_cbranch_scc1 .LBB232_1927
; %bb.1907:
	s_cmp_lt_i32 s2, 8
	s_cbranch_scc1 .LBB232_1917
; %bb.1908:
	s_cmp_lt_i32 s2, 9
	s_cbranch_scc1 .LBB232_1914
; %bb.1909:
	s_cmp_gt_i32 s2, 9
	s_cbranch_scc0 .LBB232_1911
; %bb.1910:
	v_cvt_f64_f32_e32 v[14:15], v4
	v_cvt_f64_f32_e32 v[16:17], v1
	global_store_dwordx4 v[12:13], v[14:17], off
	s_mov_b64 s[0:1], 0
.LBB232_1911:
	s_andn2_b64 vcc, exec, s[0:1]
	s_cbranch_vccnz .LBB232_1913
; %bb.1912:
	v_mov_b32_e32 v5, v1
	global_store_dwordx2 v[12:13], v[4:5], off
.LBB232_1913:
	s_mov_b64 s[0:1], 0
.LBB232_1914:
	s_andn2_b64 vcc, exec, s[0:1]
	s_cbranch_vccnz .LBB232_1916
; %bb.1915:
	v_cvt_f16_f32_e32 v5, v4
	v_cvt_f16_f32_sdwa v1, v1 dst_sel:WORD_1 dst_unused:UNUSED_PAD src0_sel:DWORD
	s_nop 0
	v_or_b32_e32 v1, v1, v5
	global_store_dword v[12:13], v1, off
.LBB232_1916:
	s_mov_b64 s[0:1], 0
.LBB232_1917:
	s_andn2_b64 vcc, exec, s[0:1]
	s_cbranch_vccnz .LBB232_1926
; %bb.1918:
	s_cmp_lt_i32 s2, 6
	s_mov_b64 s[0:1], -1
	s_cbranch_scc1 .LBB232_1924
; %bb.1919:
	s_cmp_gt_i32 s2, 6
	s_cbranch_scc0 .LBB232_1921
; %bb.1920:
	v_cvt_f64_f32_e32 v[14:15], v4
	global_store_dwordx2 v[12:13], v[14:15], off
	s_mov_b64 s[0:1], 0
.LBB232_1921:
	s_andn2_b64 vcc, exec, s[0:1]
	s_cbranch_vccnz .LBB232_1923
; %bb.1922:
	global_store_dword v[12:13], v4, off
.LBB232_1923:
	s_mov_b64 s[0:1], 0
.LBB232_1924:
	s_andn2_b64 vcc, exec, s[0:1]
	s_cbranch_vccnz .LBB232_1926
; %bb.1925:
	v_cvt_f16_f32_e32 v1, v4
	global_store_short v[12:13], v1, off
.LBB232_1926:
	s_mov_b64 s[0:1], 0
.LBB232_1927:
	s_andn2_b64 vcc, exec, s[0:1]
	s_cbranch_vccnz .LBB232_1943
; %bb.1928:
	s_cmp_lt_i32 s2, 2
	s_mov_b64 s[0:1], -1
	s_cbranch_scc1 .LBB232_1938
; %bb.1929:
	s_cmp_lt_i32 s2, 3
	s_cbranch_scc1 .LBB232_1935
; %bb.1930:
	s_cmp_gt_i32 s2, 3
	s_cbranch_scc0 .LBB232_1932
; %bb.1931:
	v_trunc_f32_e32 v1, v4
	s_mov_b32 s0, 0x2f800000
	v_mul_f32_e64 v5, |v1|, s0
	v_floor_f32_e32 v5, v5
	s_mov_b32 s0, 0xcf800000
	v_cvt_u32_f32_e32 v8, v5
	v_fma_f32 v5, v5, s0, |v1|
	v_cvt_u32_f32_e32 v5, v5
	v_ashrrev_i32_e32 v1, 31, v1
	v_xor_b32_e32 v8, v8, v1
	s_mov_b64 s[0:1], 0
	v_xor_b32_e32 v5, v5, v1
	v_sub_co_u32_e32 v14, vcc, v5, v1
	s_nop 1
	v_subb_co_u32_e32 v15, vcc, v8, v1, vcc
	global_store_dwordx2 v[12:13], v[14:15], off
.LBB232_1932:
	s_andn2_b64 vcc, exec, s[0:1]
	s_cbranch_vccnz .LBB232_1934
; %bb.1933:
	v_cvt_i32_f32_e32 v1, v4
	global_store_dword v[12:13], v1, off
.LBB232_1934:
	s_mov_b64 s[0:1], 0
.LBB232_1935:
	s_andn2_b64 vcc, exec, s[0:1]
	s_cbranch_vccnz .LBB232_1937
; %bb.1936:
	v_cvt_i32_f32_e32 v1, v4
	global_store_short v[12:13], v1, off
.LBB232_1937:
	s_mov_b64 s[0:1], 0
.LBB232_1938:
	s_andn2_b64 vcc, exec, s[0:1]
	s_cbranch_vccnz .LBB232_1943
; %bb.1939:
	s_cmp_gt_i32 s2, 0
	s_mov_b64 s[0:1], -1
	s_cbranch_scc0 .LBB232_1941
; %bb.1940:
	v_cvt_i32_f32_e32 v1, v4
	s_mov_b64 s[0:1], 0
	global_store_byte v[12:13], v1, off
.LBB232_1941:
	s_andn2_b64 vcc, exec, s[0:1]
	s_cbranch_vccnz .LBB232_1943
; %bb.1942:
	v_trunc_f32_e32 v1, v4
	s_mov_b32 s0, 0x2f800000
	v_mul_f32_e64 v4, |v1|, s0
	v_floor_f32_e32 v4, v4
	s_mov_b32 s0, 0xcf800000
	v_fma_f32 v4, v4, s0, |v1|
	v_cvt_u32_f32_e32 v4, v4
	v_ashrrev_i32_e32 v1, 31, v1
	v_xor_b32_e32 v4, v4, v1
	v_sub_u32_e32 v1, v4, v1
	global_store_byte v[12:13], v1, off
.LBB232_1943:
	s_mov_b64 s[6:7], -1
.LBB232_1944:
	s_andn2_b64 vcc, exec, s[6:7]
	s_cbranch_vccnz .LBB232_2259
; %bb.1945:
	s_lshl_b32 s18, s8, 7
	v_add_u32_e32 v4, s18, v10
	v_ashrrev_i32_e32 v5, 31, v4
	s_cmp_lt_i32 s20, 11
	v_lshl_add_u64 v[10:11], s[4:5], 0, v[4:5]
	s_cbranch_scc1 .LBB232_2023
; %bb.1946:
	s_and_b32 s19, 0xffff, s20
	s_mov_b64 s[8:9], -1
	s_mov_b64 s[2:3], 0
	s_cmp_gt_i32 s19, 25
	s_mov_b64 s[6:7], 0
	s_mov_b64 s[0:1], 0
	s_cbranch_scc0 .LBB232_1979
; %bb.1947:
	s_cmp_gt_i32 s19, 28
	s_cbranch_scc0 .LBB232_1962
; %bb.1948:
	s_cmp_gt_i32 s19, 43
	;; [unrolled: 3-line block ×3, first 2 shown]
	s_cbranch_scc0 .LBB232_1952
; %bb.1950:
	s_mov_b64 s[0:1], -1
	s_mov_b64 s[8:9], 0
	s_cmp_eq_u32 s19, 46
	s_cbranch_scc0 .LBB232_1952
; %bb.1951:
	s_movk_i32 s0, 0x7fff
	v_bfe_u32 v5, v3, 16, 1
	v_add3_u32 v5, v3, v5, s0
	v_bfe_u32 v1, v0, 16, 1
	v_and_b32_e32 v5, 0xffff0000, v5
	v_mov_b32_e32 v8, 0x7fc00000
	v_cmp_o_f32_e32 vcc, v3, v3
	v_add3_u32 v1, v0, v1, s0
	s_mov_b64 s[0:1], 0
	v_cndmask_b32_e32 v5, v8, v5, vcc
	v_cmp_o_f32_e32 vcc, v0, v0
	v_mov_b32_e32 v8, 0x7fc0
	s_mov_b64 s[6:7], -1
	v_cndmask_b32_sdwa v1, v8, v1, vcc dst_sel:DWORD dst_unused:UNUSED_PAD src0_sel:DWORD src1_sel:WORD_1
	v_or_b32_e32 v1, v5, v1
	global_store_dword v[10:11], v1, off
.LBB232_1952:
	s_and_b64 vcc, exec, s[8:9]
	s_cbranch_vccz .LBB232_1957
; %bb.1953:
	s_cmp_eq_u32 s19, 44
	s_mov_b64 s[0:1], -1
	s_cbranch_scc0 .LBB232_1957
; %bb.1954:
	v_bfe_u32 v1, v0, 23, 8
	s_movk_i32 s0, 0xff
	v_cmp_ne_u32_e32 vcc, s0, v1
	v_mov_b32_e32 v5, 0xff
	s_and_saveexec_b64 s[6:7], vcc
; %bb.1955:
	s_mov_b32 s0, 0x3fffff
	v_and_b32_e32 v8, 0x400000, v0
	v_and_or_b32 v1, v0, s0, v1
	v_cmp_ne_u32_e32 vcc, 0, v8
	v_cmp_ne_u32_e64 s[0:1], 0, v1
	s_and_b64 s[0:1], vcc, s[0:1]
	v_lshrrev_b32_e32 v5, 23, v0
	v_cndmask_b32_e64 v1, 0, 1, s[0:1]
	v_add_u32_e32 v5, v5, v1
; %bb.1956:
	s_or_b64 exec, exec, s[6:7]
	s_mov_b64 s[0:1], 0
	s_mov_b64 s[6:7], -1
	global_store_byte v[10:11], v5, off
.LBB232_1957:
	s_mov_b64 s[8:9], 0
.LBB232_1958:
	s_and_b64 vcc, exec, s[8:9]
	s_cbranch_vccz .LBB232_1961
; %bb.1959:
	s_cmp_eq_u32 s19, 29
	s_mov_b64 s[0:1], -1
	s_cbranch_scc0 .LBB232_1961
; %bb.1960:
	v_trunc_f32_e32 v1, v0
	v_mul_f32_e32 v5, 0x2f800000, v1
	v_floor_f32_e32 v5, v5
	v_fmamk_f32 v1, v5, 0xcf800000, v1
	v_cvt_u32_f32_e32 v13, v5
	v_cvt_u32_f32_e32 v12, v1
	s_mov_b64 s[0:1], 0
	s_mov_b64 s[6:7], -1
	global_store_dwordx2 v[10:11], v[12:13], off
.LBB232_1961:
	s_mov_b64 s[8:9], 0
.LBB232_1962:
	s_and_b64 vcc, exec, s[8:9]
	s_cbranch_vccz .LBB232_1978
; %bb.1963:
	s_cmp_lt_i32 s19, 27
	s_mov_b64 s[6:7], -1
	s_cbranch_scc1 .LBB232_1969
; %bb.1964:
	v_cvt_u32_f32_e32 v1, v0
	s_cmp_gt_i32 s19, 27
	s_cbranch_scc0 .LBB232_1966
; %bb.1965:
	s_mov_b64 s[6:7], 0
	global_store_dword v[10:11], v1, off
.LBB232_1966:
	s_andn2_b64 vcc, exec, s[6:7]
	s_cbranch_vccnz .LBB232_1968
; %bb.1967:
	global_store_short v[10:11], v1, off
.LBB232_1968:
	s_mov_b64 s[6:7], 0
.LBB232_1969:
	s_andn2_b64 vcc, exec, s[6:7]
	s_cbranch_vccnz .LBB232_1977
; %bb.1970:
	v_and_b32_e32 v1, 0x7fffffff, v0
	s_mov_b32 s6, 0x43800000
	v_cmp_gt_u32_e32 vcc, s6, v1
	v_mov_b32_e32 v5, 0x80
	s_and_saveexec_b64 s[6:7], vcc
	s_cbranch_execz .LBB232_1976
; %bb.1971:
	s_mov_b32 s8, 0x3bffffff
	v_cmp_lt_u32_e32 vcc, s8, v1
	s_mov_b64 s[8:9], 0
                                        ; implicit-def: $vgpr1
	s_and_saveexec_b64 s[10:11], vcc
	s_xor_b64 s[10:11], exec, s[10:11]
	s_cbranch_execz .LBB232_2267
; %bb.1972:
	v_bfe_u32 v1, v0, 20, 1
	s_mov_b32 s21, 0x487ffff
	v_add3_u32 v1, v0, v1, s21
	s_mov_b64 s[8:9], exec
	v_lshrrev_b32_e32 v1, 20, v1
	s_andn2_saveexec_b64 s[10:11], s[10:11]
	s_cbranch_execnz .LBB232_2268
.LBB232_1973:
	s_or_b64 exec, exec, s[10:11]
	v_mov_b32_e32 v5, 0
	s_and_saveexec_b64 s[10:11], s[8:9]
.LBB232_1974:
	v_lshrrev_b32_e32 v5, 24, v0
	s_movk_i32 s8, 0x80
	v_and_or_b32 v5, v5, s8, v1
.LBB232_1975:
	s_or_b64 exec, exec, s[10:11]
.LBB232_1976:
	s_or_b64 exec, exec, s[6:7]
	global_store_byte v[10:11], v5, off
.LBB232_1977:
	s_mov_b64 s[6:7], -1
.LBB232_1978:
	s_mov_b64 s[8:9], 0
.LBB232_1979:
	s_and_b64 vcc, exec, s[8:9]
	s_cbranch_vccz .LBB232_2019
; %bb.1980:
	s_cmp_gt_i32 s19, 22
	s_mov_b64 s[2:3], -1
	s_cbranch_scc0 .LBB232_2012
; %bb.1981:
	s_cmp_lt_i32 s19, 24
	s_cbranch_scc1 .LBB232_2001
; %bb.1982:
	s_cmp_gt_i32 s19, 24
	s_cbranch_scc0 .LBB232_1990
; %bb.1983:
	v_and_b32_e32 v1, 0x7fffffff, v0
	s_mov_b32 s2, 0x47800000
	v_cmp_gt_u32_e32 vcc, s2, v1
	v_mov_b32_e32 v5, 0x80
	s_and_saveexec_b64 s[2:3], vcc
	s_cbranch_execz .LBB232_1989
; %bb.1984:
	s_mov_b32 s6, 0x37ffffff
	v_cmp_lt_u32_e32 vcc, s6, v1
	s_mov_b64 s[6:7], 0
                                        ; implicit-def: $vgpr1
	s_and_saveexec_b64 s[8:9], vcc
	s_xor_b64 s[8:9], exec, s[8:9]
	s_cbranch_execz .LBB232_2270
; %bb.1985:
	v_bfe_u32 v1, v0, 21, 1
	s_mov_b32 s10, 0x88fffff
	v_add3_u32 v1, v0, v1, s10
	s_mov_b64 s[6:7], exec
	v_lshrrev_b32_e32 v1, 21, v1
	s_andn2_saveexec_b64 s[8:9], s[8:9]
	s_cbranch_execnz .LBB232_2271
.LBB232_1986:
	s_or_b64 exec, exec, s[8:9]
	v_mov_b32_e32 v5, 0
	s_and_saveexec_b64 s[8:9], s[6:7]
.LBB232_1987:
	v_lshrrev_b32_e32 v5, 24, v0
	s_movk_i32 s6, 0x80
	v_and_or_b32 v5, v5, s6, v1
.LBB232_1988:
	s_or_b64 exec, exec, s[8:9]
.LBB232_1989:
	s_or_b64 exec, exec, s[2:3]
	s_mov_b64 s[2:3], 0
	global_store_byte v[10:11], v5, off
.LBB232_1990:
	s_and_b64 vcc, exec, s[2:3]
	s_cbranch_vccz .LBB232_2000
; %bb.1991:
	v_and_b32_e32 v5, 0x7fffffff, v0
	s_mov_b32 s2, 0x43f00000
	v_cmp_gt_u32_e32 vcc, s2, v5
                                        ; implicit-def: $vgpr1
	s_and_saveexec_b64 s[2:3], vcc
	s_xor_b64 s[2:3], exec, s[2:3]
	s_cbranch_execz .LBB232_1997
; %bb.1992:
	s_mov_b32 s6, 0x3c7fffff
	v_cmp_lt_u32_e32 vcc, s6, v5
                                        ; implicit-def: $vgpr1
	s_and_saveexec_b64 s[6:7], vcc
	s_xor_b64 s[6:7], exec, s[6:7]
; %bb.1993:
	v_bfe_u32 v1, v0, 20, 1
	s_mov_b32 s8, 0x407ffff
	v_add3_u32 v1, v0, v1, s8
	v_lshrrev_b32_e32 v5, 20, v1
	v_and_b32_e32 v1, 0xff00000, v1
	s_mov_b32 s8, 0x7f00000
	v_mov_b32_e32 v8, 0x7e
	v_cmp_ne_u32_e32 vcc, s8, v1
	s_nop 1
	v_cndmask_b32_e32 v1, v8, v5, vcc
; %bb.1994:
	s_andn2_saveexec_b64 s[6:7], s[6:7]
; %bb.1995:
	s_mov_b32 s8, 0x46800000
	v_add_f32_e64 v1, |v0|, s8
; %bb.1996:
	s_or_b64 exec, exec, s[6:7]
                                        ; implicit-def: $vgpr5
.LBB232_1997:
	s_andn2_saveexec_b64 s[2:3], s[2:3]
; %bb.1998:
	s_mov_b32 s6, 0x7f800000
	v_mov_b32_e32 v1, 0x7e
	v_mov_b32_e32 v8, 0x7f
	v_cmp_lt_u32_e32 vcc, s6, v5
	s_nop 1
	v_cndmask_b32_e32 v1, v1, v8, vcc
; %bb.1999:
	s_or_b64 exec, exec, s[2:3]
	v_lshrrev_b32_e32 v5, 24, v0
	s_movk_i32 s2, 0x80
	v_and_or_b32 v1, v5, s2, v1
	global_store_byte v[10:11], v1, off
.LBB232_2000:
	s_mov_b64 s[2:3], 0
.LBB232_2001:
	s_andn2_b64 vcc, exec, s[2:3]
	s_cbranch_vccnz .LBB232_2011
; %bb.2002:
	v_and_b32_e32 v5, 0x7fffffff, v0
	s_mov_b32 s2, 0x47800000
	v_cmp_gt_u32_e32 vcc, s2, v5
                                        ; implicit-def: $vgpr1
	s_and_saveexec_b64 s[2:3], vcc
	s_xor_b64 s[2:3], exec, s[2:3]
	s_cbranch_execz .LBB232_2008
; %bb.2003:
	s_mov_b32 s6, 0x387fffff
	v_cmp_lt_u32_e32 vcc, s6, v5
                                        ; implicit-def: $vgpr1
	s_and_saveexec_b64 s[6:7], vcc
	s_xor_b64 s[6:7], exec, s[6:7]
; %bb.2004:
	v_bfe_u32 v1, v0, 21, 1
	s_mov_b32 s8, 0x80fffff
	v_add3_u32 v1, v0, v1, s8
	v_lshrrev_b32_e32 v1, 21, v1
; %bb.2005:
	s_andn2_saveexec_b64 s[6:7], s[6:7]
; %bb.2006:
	s_mov_b32 s8, 0x43000000
	v_add_f32_e64 v1, |v0|, s8
; %bb.2007:
	s_or_b64 exec, exec, s[6:7]
                                        ; implicit-def: $vgpr5
.LBB232_2008:
	s_andn2_saveexec_b64 s[2:3], s[2:3]
; %bb.2009:
	s_mov_b32 s6, 0x7f800000
	v_mov_b32_e32 v1, 0x7c
	v_mov_b32_e32 v8, 0x7f
	v_cmp_lt_u32_e32 vcc, s6, v5
	s_nop 1
	v_cndmask_b32_e32 v1, v1, v8, vcc
; %bb.2010:
	s_or_b64 exec, exec, s[2:3]
	v_lshrrev_b32_e32 v5, 24, v0
	s_movk_i32 s2, 0x80
	v_and_or_b32 v1, v5, s2, v1
	global_store_byte v[10:11], v1, off
.LBB232_2011:
	s_mov_b64 s[2:3], 0
	s_mov_b64 s[6:7], -1
.LBB232_2012:
	s_andn2_b64 vcc, exec, s[2:3]
	s_mov_b64 s[2:3], 0
	s_cbranch_vccnz .LBB232_2019
; %bb.2013:
	s_cmp_gt_i32 s19, 14
	s_mov_b64 s[8:9], -1
	s_cbranch_scc0 .LBB232_2017
; %bb.2014:
	s_cmp_eq_u32 s19, 15
	s_mov_b64 s[0:1], -1
	s_cbranch_scc0 .LBB232_2016
; %bb.2015:
	v_bfe_u32 v1, v0, 16, 1
	s_movk_i32 s0, 0x7fff
	v_add3_u32 v1, v0, v1, s0
	v_cmp_o_f32_e32 vcc, v0, v0
	v_mov_b32_e32 v5, 0x7fc0
	s_mov_b64 s[0:1], 0
	v_cndmask_b32_sdwa v1, v5, v1, vcc dst_sel:DWORD dst_unused:UNUSED_PAD src0_sel:DWORD src1_sel:WORD_1
	global_store_short v[10:11], v1, off
	s_mov_b64 s[6:7], -1
.LBB232_2016:
	s_mov_b64 s[8:9], 0
.LBB232_2017:
	s_and_b64 vcc, exec, s[8:9]
	s_cbranch_vccz .LBB232_2019
; %bb.2018:
	s_cmp_lg_u32 s19, 11
	s_mov_b64 s[2:3], -1
	s_cselect_b64 s[0:1], -1, 0
.LBB232_2019:
	s_and_b64 vcc, exec, s[0:1]
	s_cbranch_vccnz .LBB232_2269
; %bb.2020:
	s_andn2_b64 vcc, exec, s[2:3]
	s_cbranch_vccnz .LBB232_2022
.LBB232_2021:
	v_cmp_neq_f32_e32 vcc, 0, v0
	v_cmp_neq_f32_e64 s[0:1], 0, v3
	s_or_b64 s[0:1], vcc, s[0:1]
	s_mov_b64 s[6:7], -1
	v_cndmask_b32_e64 v1, 0, 1, s[0:1]
	global_store_byte v[10:11], v1, off
.LBB232_2022:
	s_mov_b64 s[0:1], 0
	s_branch .LBB232_2024
.LBB232_2023:
	s_mov_b64 s[0:1], -1
	s_mov_b64 s[6:7], 0
.LBB232_2024:
	s_and_b64 vcc, exec, s[0:1]
	s_cbranch_vccz .LBB232_2063
; %bb.2025:
	s_and_b32 s2, 0xffff, s20
	s_cmp_lt_i32 s2, 5
	s_mov_b64 s[0:1], -1
	s_cbranch_scc1 .LBB232_2046
; %bb.2026:
	s_cmp_lt_i32 s2, 8
	s_cbranch_scc1 .LBB232_2036
; %bb.2027:
	s_cmp_lt_i32 s2, 9
	s_cbranch_scc1 .LBB232_2033
; %bb.2028:
	s_cmp_gt_i32 s2, 9
	s_cbranch_scc0 .LBB232_2030
; %bb.2029:
	v_cvt_f64_f32_e32 v[12:13], v0
	v_cvt_f64_f32_e32 v[14:15], v3
	global_store_dwordx4 v[10:11], v[12:15], off
	s_mov_b64 s[0:1], 0
.LBB232_2030:
	s_andn2_b64 vcc, exec, s[0:1]
	s_cbranch_vccnz .LBB232_2032
; %bb.2031:
	v_mov_b32_e32 v1, v3
	global_store_dwordx2 v[10:11], v[0:1], off
.LBB232_2032:
	s_mov_b64 s[0:1], 0
.LBB232_2033:
	s_andn2_b64 vcc, exec, s[0:1]
	s_cbranch_vccnz .LBB232_2035
; %bb.2034:
	v_cvt_f16_f32_e32 v1, v0
	v_cvt_f16_f32_sdwa v3, v3 dst_sel:WORD_1 dst_unused:UNUSED_PAD src0_sel:DWORD
	s_nop 0
	v_or_b32_e32 v1, v3, v1
	global_store_dword v[10:11], v1, off
.LBB232_2035:
	s_mov_b64 s[0:1], 0
.LBB232_2036:
	s_andn2_b64 vcc, exec, s[0:1]
	s_cbranch_vccnz .LBB232_2045
; %bb.2037:
	s_cmp_lt_i32 s2, 6
	s_mov_b64 s[0:1], -1
	s_cbranch_scc1 .LBB232_2043
; %bb.2038:
	s_cmp_gt_i32 s2, 6
	s_cbranch_scc0 .LBB232_2040
; %bb.2039:
	v_cvt_f64_f32_e32 v[12:13], v0
	global_store_dwordx2 v[10:11], v[12:13], off
	s_mov_b64 s[0:1], 0
.LBB232_2040:
	s_andn2_b64 vcc, exec, s[0:1]
	s_cbranch_vccnz .LBB232_2042
; %bb.2041:
	global_store_dword v[10:11], v0, off
.LBB232_2042:
	s_mov_b64 s[0:1], 0
.LBB232_2043:
	s_andn2_b64 vcc, exec, s[0:1]
	s_cbranch_vccnz .LBB232_2045
; %bb.2044:
	v_cvt_f16_f32_e32 v1, v0
	global_store_short v[10:11], v1, off
.LBB232_2045:
	s_mov_b64 s[0:1], 0
.LBB232_2046:
	s_andn2_b64 vcc, exec, s[0:1]
	s_cbranch_vccnz .LBB232_2062
; %bb.2047:
	s_cmp_lt_i32 s2, 2
	s_mov_b64 s[0:1], -1
	s_cbranch_scc1 .LBB232_2057
; %bb.2048:
	s_cmp_lt_i32 s2, 3
	s_cbranch_scc1 .LBB232_2054
; %bb.2049:
	s_cmp_gt_i32 s2, 3
	s_cbranch_scc0 .LBB232_2051
; %bb.2050:
	v_trunc_f32_e32 v1, v0
	s_mov_b32 s0, 0x2f800000
	v_mul_f32_e64 v3, |v1|, s0
	v_floor_f32_e32 v3, v3
	s_mov_b32 s0, 0xcf800000
	v_cvt_u32_f32_e32 v5, v3
	v_fma_f32 v3, v3, s0, |v1|
	v_cvt_u32_f32_e32 v3, v3
	v_ashrrev_i32_e32 v1, 31, v1
	v_xor_b32_e32 v5, v5, v1
	s_mov_b64 s[0:1], 0
	v_xor_b32_e32 v3, v3, v1
	v_sub_co_u32_e32 v12, vcc, v3, v1
	s_nop 1
	v_subb_co_u32_e32 v13, vcc, v5, v1, vcc
	global_store_dwordx2 v[10:11], v[12:13], off
.LBB232_2051:
	s_andn2_b64 vcc, exec, s[0:1]
	s_cbranch_vccnz .LBB232_2053
; %bb.2052:
	v_cvt_i32_f32_e32 v1, v0
	global_store_dword v[10:11], v1, off
.LBB232_2053:
	s_mov_b64 s[0:1], 0
.LBB232_2054:
	s_andn2_b64 vcc, exec, s[0:1]
	s_cbranch_vccnz .LBB232_2056
; %bb.2055:
	v_cvt_i32_f32_e32 v1, v0
	global_store_short v[10:11], v1, off
.LBB232_2056:
	s_mov_b64 s[0:1], 0
.LBB232_2057:
	s_andn2_b64 vcc, exec, s[0:1]
	s_cbranch_vccnz .LBB232_2062
; %bb.2058:
	s_cmp_gt_i32 s2, 0
	s_mov_b64 s[0:1], -1
	s_cbranch_scc0 .LBB232_2060
; %bb.2059:
	v_cvt_i32_f32_e32 v1, v0
	s_mov_b64 s[0:1], 0
	global_store_byte v[10:11], v1, off
.LBB232_2060:
	s_andn2_b64 vcc, exec, s[0:1]
	s_cbranch_vccnz .LBB232_2062
; %bb.2061:
	v_trunc_f32_e32 v0, v0
	s_mov_b32 s0, 0x2f800000
	v_mul_f32_e64 v1, |v0|, s0
	v_floor_f32_e32 v1, v1
	s_mov_b32 s0, 0xcf800000
	v_fma_f32 v1, v1, s0, |v0|
	v_cvt_u32_f32_e32 v1, v1
	v_ashrrev_i32_e32 v0, 31, v0
	v_xor_b32_e32 v1, v1, v0
	v_sub_u32_e32 v0, v1, v0
	global_store_byte v[10:11], v0, off
.LBB232_2062:
	s_mov_b64 s[6:7], -1
.LBB232_2063:
	s_andn2_b64 vcc, exec, s[6:7]
	s_cbranch_vccnz .LBB232_2259
; %bb.2064:
	v_add_u32_e32 v0, s18, v4
	v_ashrrev_i32_e32 v1, 31, v0
	s_cmp_lt_i32 s20, 11
	v_lshl_add_u64 v[4:5], s[4:5], 0, v[0:1]
	s_cbranch_scc1 .LBB232_2142
; %bb.2065:
	s_and_b32 s19, 0xffff, s20
	s_mov_b64 s[8:9], -1
	s_mov_b64 s[2:3], 0
	s_cmp_gt_i32 s19, 25
	s_mov_b64 s[6:7], 0
	s_mov_b64 s[0:1], 0
	s_cbranch_scc0 .LBB232_2098
; %bb.2066:
	s_cmp_gt_i32 s19, 28
	s_cbranch_scc0 .LBB232_2081
; %bb.2067:
	s_cmp_gt_i32 s19, 43
	;; [unrolled: 3-line block ×3, first 2 shown]
	s_cbranch_scc0 .LBB232_2071
; %bb.2069:
	s_mov_b64 s[0:1], -1
	s_mov_b64 s[8:9], 0
	s_cmp_eq_u32 s19, 46
	s_cbranch_scc0 .LBB232_2071
; %bb.2070:
	s_movk_i32 s0, 0x7fff
	v_bfe_u32 v3, v7, 16, 1
	v_add3_u32 v3, v7, v3, s0
	v_bfe_u32 v1, v2, 16, 1
	v_and_b32_e32 v3, 0xffff0000, v3
	v_mov_b32_e32 v8, 0x7fc00000
	v_cmp_o_f32_e32 vcc, v7, v7
	v_add3_u32 v1, v2, v1, s0
	s_mov_b64 s[0:1], 0
	v_cndmask_b32_e32 v3, v8, v3, vcc
	v_cmp_o_f32_e32 vcc, v2, v2
	v_mov_b32_e32 v8, 0x7fc0
	s_mov_b64 s[6:7], -1
	v_cndmask_b32_sdwa v1, v8, v1, vcc dst_sel:DWORD dst_unused:UNUSED_PAD src0_sel:DWORD src1_sel:WORD_1
	v_or_b32_e32 v1, v3, v1
	global_store_dword v[4:5], v1, off
.LBB232_2071:
	s_and_b64 vcc, exec, s[8:9]
	s_cbranch_vccz .LBB232_2076
; %bb.2072:
	s_cmp_eq_u32 s19, 44
	s_mov_b64 s[0:1], -1
	s_cbranch_scc0 .LBB232_2076
; %bb.2073:
	v_bfe_u32 v1, v2, 23, 8
	s_movk_i32 s0, 0xff
	v_cmp_ne_u32_e32 vcc, s0, v1
	v_mov_b32_e32 v3, 0xff
	s_and_saveexec_b64 s[6:7], vcc
; %bb.2074:
	s_mov_b32 s0, 0x3fffff
	v_and_b32_e32 v8, 0x400000, v2
	v_and_or_b32 v1, v2, s0, v1
	v_cmp_ne_u32_e32 vcc, 0, v8
	v_cmp_ne_u32_e64 s[0:1], 0, v1
	s_and_b64 s[0:1], vcc, s[0:1]
	v_lshrrev_b32_e32 v3, 23, v2
	v_cndmask_b32_e64 v1, 0, 1, s[0:1]
	v_add_u32_e32 v3, v3, v1
; %bb.2075:
	s_or_b64 exec, exec, s[6:7]
	s_mov_b64 s[0:1], 0
	s_mov_b64 s[6:7], -1
	global_store_byte v[4:5], v3, off
.LBB232_2076:
	s_mov_b64 s[8:9], 0
.LBB232_2077:
	s_and_b64 vcc, exec, s[8:9]
	s_cbranch_vccz .LBB232_2080
; %bb.2078:
	s_cmp_eq_u32 s19, 29
	s_mov_b64 s[0:1], -1
	s_cbranch_scc0 .LBB232_2080
; %bb.2079:
	v_trunc_f32_e32 v1, v2
	v_mul_f32_e32 v3, 0x2f800000, v1
	v_floor_f32_e32 v3, v3
	v_fmamk_f32 v1, v3, 0xcf800000, v1
	v_cvt_u32_f32_e32 v11, v3
	v_cvt_u32_f32_e32 v10, v1
	s_mov_b64 s[0:1], 0
	s_mov_b64 s[6:7], -1
	global_store_dwordx2 v[4:5], v[10:11], off
.LBB232_2080:
	s_mov_b64 s[8:9], 0
.LBB232_2081:
	s_and_b64 vcc, exec, s[8:9]
	s_cbranch_vccz .LBB232_2097
; %bb.2082:
	s_cmp_lt_i32 s19, 27
	s_mov_b64 s[6:7], -1
	s_cbranch_scc1 .LBB232_2088
; %bb.2083:
	v_cvt_u32_f32_e32 v1, v2
	s_cmp_gt_i32 s19, 27
	s_cbranch_scc0 .LBB232_2085
; %bb.2084:
	s_mov_b64 s[6:7], 0
	global_store_dword v[4:5], v1, off
.LBB232_2085:
	s_andn2_b64 vcc, exec, s[6:7]
	s_cbranch_vccnz .LBB232_2087
; %bb.2086:
	global_store_short v[4:5], v1, off
.LBB232_2087:
	s_mov_b64 s[6:7], 0
.LBB232_2088:
	s_andn2_b64 vcc, exec, s[6:7]
	s_cbranch_vccnz .LBB232_2096
; %bb.2089:
	v_and_b32_e32 v1, 0x7fffffff, v2
	s_mov_b32 s6, 0x43800000
	v_cmp_gt_u32_e32 vcc, s6, v1
	v_mov_b32_e32 v3, 0x80
	s_and_saveexec_b64 s[6:7], vcc
	s_cbranch_execz .LBB232_2095
; %bb.2090:
	s_mov_b32 s8, 0x3bffffff
	v_cmp_lt_u32_e32 vcc, s8, v1
	s_mov_b64 s[8:9], 0
                                        ; implicit-def: $vgpr1
	s_and_saveexec_b64 s[10:11], vcc
	s_xor_b64 s[10:11], exec, s[10:11]
	s_cbranch_execz .LBB232_2272
; %bb.2091:
	v_bfe_u32 v1, v2, 20, 1
	s_mov_b32 s21, 0x487ffff
	v_add3_u32 v1, v2, v1, s21
	s_mov_b64 s[8:9], exec
	v_lshrrev_b32_e32 v1, 20, v1
	s_andn2_saveexec_b64 s[10:11], s[10:11]
	s_cbranch_execnz .LBB232_2273
.LBB232_2092:
	s_or_b64 exec, exec, s[10:11]
	v_mov_b32_e32 v3, 0
	s_and_saveexec_b64 s[10:11], s[8:9]
.LBB232_2093:
	v_lshrrev_b32_e32 v3, 24, v2
	s_movk_i32 s8, 0x80
	v_and_or_b32 v3, v3, s8, v1
.LBB232_2094:
	s_or_b64 exec, exec, s[10:11]
.LBB232_2095:
	s_or_b64 exec, exec, s[6:7]
	global_store_byte v[4:5], v3, off
.LBB232_2096:
	s_mov_b64 s[6:7], -1
.LBB232_2097:
	s_mov_b64 s[8:9], 0
.LBB232_2098:
	s_and_b64 vcc, exec, s[8:9]
	s_cbranch_vccz .LBB232_2138
; %bb.2099:
	s_cmp_gt_i32 s19, 22
	s_mov_b64 s[2:3], -1
	s_cbranch_scc0 .LBB232_2131
; %bb.2100:
	s_cmp_lt_i32 s19, 24
	s_cbranch_scc1 .LBB232_2120
; %bb.2101:
	s_cmp_gt_i32 s19, 24
	s_cbranch_scc0 .LBB232_2109
; %bb.2102:
	v_and_b32_e32 v1, 0x7fffffff, v2
	s_mov_b32 s2, 0x47800000
	v_cmp_gt_u32_e32 vcc, s2, v1
	v_mov_b32_e32 v3, 0x80
	s_and_saveexec_b64 s[2:3], vcc
	s_cbranch_execz .LBB232_2108
; %bb.2103:
	s_mov_b32 s6, 0x37ffffff
	v_cmp_lt_u32_e32 vcc, s6, v1
	s_mov_b64 s[6:7], 0
                                        ; implicit-def: $vgpr1
	s_and_saveexec_b64 s[8:9], vcc
	s_xor_b64 s[8:9], exec, s[8:9]
	s_cbranch_execz .LBB232_2275
; %bb.2104:
	v_bfe_u32 v1, v2, 21, 1
	s_mov_b32 s10, 0x88fffff
	v_add3_u32 v1, v2, v1, s10
	s_mov_b64 s[6:7], exec
	v_lshrrev_b32_e32 v1, 21, v1
	s_andn2_saveexec_b64 s[8:9], s[8:9]
	s_cbranch_execnz .LBB232_2276
.LBB232_2105:
	s_or_b64 exec, exec, s[8:9]
	v_mov_b32_e32 v3, 0
	s_and_saveexec_b64 s[8:9], s[6:7]
.LBB232_2106:
	v_lshrrev_b32_e32 v3, 24, v2
	s_movk_i32 s6, 0x80
	v_and_or_b32 v3, v3, s6, v1
.LBB232_2107:
	s_or_b64 exec, exec, s[8:9]
.LBB232_2108:
	s_or_b64 exec, exec, s[2:3]
	s_mov_b64 s[2:3], 0
	global_store_byte v[4:5], v3, off
.LBB232_2109:
	s_and_b64 vcc, exec, s[2:3]
	s_cbranch_vccz .LBB232_2119
; %bb.2110:
	v_and_b32_e32 v3, 0x7fffffff, v2
	s_mov_b32 s2, 0x43f00000
	v_cmp_gt_u32_e32 vcc, s2, v3
                                        ; implicit-def: $vgpr1
	s_and_saveexec_b64 s[2:3], vcc
	s_xor_b64 s[2:3], exec, s[2:3]
	s_cbranch_execz .LBB232_2116
; %bb.2111:
	s_mov_b32 s6, 0x3c7fffff
	v_cmp_lt_u32_e32 vcc, s6, v3
                                        ; implicit-def: $vgpr1
	s_and_saveexec_b64 s[6:7], vcc
	s_xor_b64 s[6:7], exec, s[6:7]
; %bb.2112:
	v_bfe_u32 v1, v2, 20, 1
	s_mov_b32 s8, 0x407ffff
	v_add3_u32 v1, v2, v1, s8
	v_lshrrev_b32_e32 v3, 20, v1
	v_and_b32_e32 v1, 0xff00000, v1
	s_mov_b32 s8, 0x7f00000
	v_mov_b32_e32 v8, 0x7e
	v_cmp_ne_u32_e32 vcc, s8, v1
	s_nop 1
	v_cndmask_b32_e32 v1, v8, v3, vcc
; %bb.2113:
	s_andn2_saveexec_b64 s[6:7], s[6:7]
; %bb.2114:
	s_mov_b32 s8, 0x46800000
	v_add_f32_e64 v1, |v2|, s8
; %bb.2115:
	s_or_b64 exec, exec, s[6:7]
                                        ; implicit-def: $vgpr3
.LBB232_2116:
	s_andn2_saveexec_b64 s[2:3], s[2:3]
; %bb.2117:
	s_mov_b32 s6, 0x7f800000
	v_mov_b32_e32 v1, 0x7e
	v_mov_b32_e32 v8, 0x7f
	v_cmp_lt_u32_e32 vcc, s6, v3
	s_nop 1
	v_cndmask_b32_e32 v1, v1, v8, vcc
; %bb.2118:
	s_or_b64 exec, exec, s[2:3]
	v_lshrrev_b32_e32 v3, 24, v2
	s_movk_i32 s2, 0x80
	v_and_or_b32 v1, v3, s2, v1
	global_store_byte v[4:5], v1, off
.LBB232_2119:
	s_mov_b64 s[2:3], 0
.LBB232_2120:
	s_andn2_b64 vcc, exec, s[2:3]
	s_cbranch_vccnz .LBB232_2130
; %bb.2121:
	v_and_b32_e32 v3, 0x7fffffff, v2
	s_mov_b32 s2, 0x47800000
	v_cmp_gt_u32_e32 vcc, s2, v3
                                        ; implicit-def: $vgpr1
	s_and_saveexec_b64 s[2:3], vcc
	s_xor_b64 s[2:3], exec, s[2:3]
	s_cbranch_execz .LBB232_2127
; %bb.2122:
	s_mov_b32 s6, 0x387fffff
	v_cmp_lt_u32_e32 vcc, s6, v3
                                        ; implicit-def: $vgpr1
	s_and_saveexec_b64 s[6:7], vcc
	s_xor_b64 s[6:7], exec, s[6:7]
; %bb.2123:
	v_bfe_u32 v1, v2, 21, 1
	s_mov_b32 s8, 0x80fffff
	v_add3_u32 v1, v2, v1, s8
	v_lshrrev_b32_e32 v1, 21, v1
; %bb.2124:
	s_andn2_saveexec_b64 s[6:7], s[6:7]
; %bb.2125:
	s_mov_b32 s8, 0x43000000
	v_add_f32_e64 v1, |v2|, s8
; %bb.2126:
	s_or_b64 exec, exec, s[6:7]
                                        ; implicit-def: $vgpr3
.LBB232_2127:
	s_andn2_saveexec_b64 s[2:3], s[2:3]
; %bb.2128:
	s_mov_b32 s6, 0x7f800000
	v_mov_b32_e32 v1, 0x7c
	v_mov_b32_e32 v8, 0x7f
	v_cmp_lt_u32_e32 vcc, s6, v3
	s_nop 1
	v_cndmask_b32_e32 v1, v1, v8, vcc
; %bb.2129:
	s_or_b64 exec, exec, s[2:3]
	v_lshrrev_b32_e32 v3, 24, v2
	s_movk_i32 s2, 0x80
	v_and_or_b32 v1, v3, s2, v1
	global_store_byte v[4:5], v1, off
.LBB232_2130:
	s_mov_b64 s[2:3], 0
	s_mov_b64 s[6:7], -1
.LBB232_2131:
	s_andn2_b64 vcc, exec, s[2:3]
	s_mov_b64 s[2:3], 0
	s_cbranch_vccnz .LBB232_2138
; %bb.2132:
	s_cmp_gt_i32 s19, 14
	s_mov_b64 s[8:9], -1
	s_cbranch_scc0 .LBB232_2136
; %bb.2133:
	s_cmp_eq_u32 s19, 15
	s_mov_b64 s[0:1], -1
	s_cbranch_scc0 .LBB232_2135
; %bb.2134:
	v_bfe_u32 v1, v2, 16, 1
	s_movk_i32 s0, 0x7fff
	v_add3_u32 v1, v2, v1, s0
	v_cmp_o_f32_e32 vcc, v2, v2
	v_mov_b32_e32 v3, 0x7fc0
	s_mov_b64 s[0:1], 0
	v_cndmask_b32_sdwa v1, v3, v1, vcc dst_sel:DWORD dst_unused:UNUSED_PAD src0_sel:DWORD src1_sel:WORD_1
	global_store_short v[4:5], v1, off
	s_mov_b64 s[6:7], -1
.LBB232_2135:
	s_mov_b64 s[8:9], 0
.LBB232_2136:
	s_and_b64 vcc, exec, s[8:9]
	s_cbranch_vccz .LBB232_2138
; %bb.2137:
	s_cmp_lg_u32 s19, 11
	s_mov_b64 s[2:3], -1
	s_cselect_b64 s[0:1], -1, 0
.LBB232_2138:
	s_and_b64 vcc, exec, s[0:1]
	s_cbranch_vccnz .LBB232_2274
; %bb.2139:
	s_andn2_b64 vcc, exec, s[2:3]
	s_cbranch_vccnz .LBB232_2141
.LBB232_2140:
	v_cmp_neq_f32_e32 vcc, 0, v2
	v_cmp_neq_f32_e64 s[0:1], 0, v7
	s_or_b64 s[0:1], vcc, s[0:1]
	s_mov_b64 s[6:7], -1
	v_cndmask_b32_e64 v1, 0, 1, s[0:1]
	global_store_byte v[4:5], v1, off
.LBB232_2141:
	s_mov_b64 s[0:1], 0
	s_branch .LBB232_2143
.LBB232_2142:
	s_mov_b64 s[0:1], -1
	s_mov_b64 s[6:7], 0
.LBB232_2143:
	s_and_b64 vcc, exec, s[0:1]
	s_cbranch_vccz .LBB232_2182
; %bb.2144:
	s_and_b32 s2, 0xffff, s20
	s_cmp_lt_i32 s2, 5
	s_mov_b64 s[0:1], -1
	s_cbranch_scc1 .LBB232_2165
; %bb.2145:
	s_cmp_lt_i32 s2, 8
	s_cbranch_scc1 .LBB232_2155
; %bb.2146:
	s_cmp_lt_i32 s2, 9
	s_cbranch_scc1 .LBB232_2152
; %bb.2147:
	s_cmp_gt_i32 s2, 9
	s_cbranch_scc0 .LBB232_2149
; %bb.2148:
	v_cvt_f64_f32_e32 v[10:11], v2
	v_cvt_f64_f32_e32 v[12:13], v7
	global_store_dwordx4 v[4:5], v[10:13], off
	s_mov_b64 s[0:1], 0
.LBB232_2149:
	s_andn2_b64 vcc, exec, s[0:1]
	s_cbranch_vccnz .LBB232_2151
; %bb.2150:
	v_mov_b32_e32 v3, v7
	global_store_dwordx2 v[4:5], v[2:3], off
.LBB232_2151:
	s_mov_b64 s[0:1], 0
.LBB232_2152:
	s_andn2_b64 vcc, exec, s[0:1]
	s_cbranch_vccnz .LBB232_2154
; %bb.2153:
	v_cvt_f16_f32_e32 v1, v2
	v_cvt_f16_f32_sdwa v3, v7 dst_sel:WORD_1 dst_unused:UNUSED_PAD src0_sel:DWORD
	s_nop 0
	v_or_b32_e32 v1, v3, v1
	global_store_dword v[4:5], v1, off
.LBB232_2154:
	s_mov_b64 s[0:1], 0
.LBB232_2155:
	s_andn2_b64 vcc, exec, s[0:1]
	s_cbranch_vccnz .LBB232_2164
; %bb.2156:
	s_cmp_lt_i32 s2, 6
	s_mov_b64 s[0:1], -1
	s_cbranch_scc1 .LBB232_2162
; %bb.2157:
	s_cmp_gt_i32 s2, 6
	s_cbranch_scc0 .LBB232_2159
; %bb.2158:
	v_cvt_f64_f32_e32 v[10:11], v2
	global_store_dwordx2 v[4:5], v[10:11], off
	s_mov_b64 s[0:1], 0
.LBB232_2159:
	s_andn2_b64 vcc, exec, s[0:1]
	s_cbranch_vccnz .LBB232_2161
; %bb.2160:
	global_store_dword v[4:5], v2, off
.LBB232_2161:
	s_mov_b64 s[0:1], 0
.LBB232_2162:
	s_andn2_b64 vcc, exec, s[0:1]
	s_cbranch_vccnz .LBB232_2164
; %bb.2163:
	v_cvt_f16_f32_e32 v1, v2
	global_store_short v[4:5], v1, off
.LBB232_2164:
	s_mov_b64 s[0:1], 0
.LBB232_2165:
	s_andn2_b64 vcc, exec, s[0:1]
	s_cbranch_vccnz .LBB232_2181
; %bb.2166:
	s_cmp_lt_i32 s2, 2
	s_mov_b64 s[0:1], -1
	s_cbranch_scc1 .LBB232_2176
; %bb.2167:
	s_cmp_lt_i32 s2, 3
	s_cbranch_scc1 .LBB232_2173
; %bb.2168:
	s_cmp_gt_i32 s2, 3
	s_cbranch_scc0 .LBB232_2170
; %bb.2169:
	v_trunc_f32_e32 v1, v2
	s_mov_b32 s0, 0x2f800000
	v_mul_f32_e64 v3, |v1|, s0
	v_floor_f32_e32 v3, v3
	s_mov_b32 s0, 0xcf800000
	v_cvt_u32_f32_e32 v7, v3
	v_fma_f32 v3, v3, s0, |v1|
	v_cvt_u32_f32_e32 v3, v3
	v_ashrrev_i32_e32 v1, 31, v1
	v_xor_b32_e32 v7, v7, v1
	s_mov_b64 s[0:1], 0
	v_xor_b32_e32 v3, v3, v1
	v_sub_co_u32_e32 v10, vcc, v3, v1
	s_nop 1
	v_subb_co_u32_e32 v11, vcc, v7, v1, vcc
	global_store_dwordx2 v[4:5], v[10:11], off
.LBB232_2170:
	s_andn2_b64 vcc, exec, s[0:1]
	s_cbranch_vccnz .LBB232_2172
; %bb.2171:
	v_cvt_i32_f32_e32 v1, v2
	global_store_dword v[4:5], v1, off
.LBB232_2172:
	s_mov_b64 s[0:1], 0
.LBB232_2173:
	s_andn2_b64 vcc, exec, s[0:1]
	s_cbranch_vccnz .LBB232_2175
; %bb.2174:
	v_cvt_i32_f32_e32 v1, v2
	global_store_short v[4:5], v1, off
.LBB232_2175:
	s_mov_b64 s[0:1], 0
.LBB232_2176:
	s_andn2_b64 vcc, exec, s[0:1]
	s_cbranch_vccnz .LBB232_2181
; %bb.2177:
	s_cmp_gt_i32 s2, 0
	s_mov_b64 s[0:1], -1
	s_cbranch_scc0 .LBB232_2179
; %bb.2178:
	v_cvt_i32_f32_e32 v1, v2
	s_mov_b64 s[0:1], 0
	global_store_byte v[4:5], v1, off
.LBB232_2179:
	s_andn2_b64 vcc, exec, s[0:1]
	s_cbranch_vccnz .LBB232_2181
; %bb.2180:
	v_trunc_f32_e32 v1, v2
	s_mov_b32 s0, 0x2f800000
	v_mul_f32_e64 v2, |v1|, s0
	v_floor_f32_e32 v2, v2
	s_mov_b32 s0, 0xcf800000
	v_fma_f32 v2, v2, s0, |v1|
	v_cvt_u32_f32_e32 v2, v2
	v_ashrrev_i32_e32 v1, 31, v1
	v_xor_b32_e32 v2, v2, v1
	v_sub_u32_e32 v1, v2, v1
	global_store_byte v[4:5], v1, off
.LBB232_2181:
	s_mov_b64 s[6:7], -1
.LBB232_2182:
	s_andn2_b64 vcc, exec, s[6:7]
	s_cbranch_vccnz .LBB232_2259
; %bb.2183:
	v_add_u32_e32 v0, s18, v0
	v_ashrrev_i32_e32 v1, 31, v0
	s_cmp_lt_i32 s20, 11
	v_lshl_add_u64 v[0:1], s[4:5], 0, v[0:1]
	s_cbranch_scc1 .LBB232_2260
; %bb.2184:
	s_and_b32 s10, 0xffff, s20
	s_mov_b64 s[4:5], -1
	s_mov_b64 s[2:3], 0
	s_cmp_gt_i32 s10, 25
	s_mov_b64 s[0:1], 0
	s_cbranch_scc0 .LBB232_2217
; %bb.2185:
	s_cmp_gt_i32 s10, 28
	s_cbranch_scc0 .LBB232_2201
; %bb.2186:
	s_cmp_gt_i32 s10, 43
	;; [unrolled: 3-line block ×3, first 2 shown]
	s_cbranch_scc0 .LBB232_2191
; %bb.2188:
	s_cmp_eq_u32 s10, 46
	s_mov_b64 s[0:1], -1
	s_cbranch_scc0 .LBB232_2190
; %bb.2189:
	s_movk_i32 s0, 0x7fff
	v_bfe_u32 v3, v9, 16, 1
	v_add3_u32 v3, v9, v3, s0
	v_bfe_u32 v2, v6, 16, 1
	v_and_b32_e32 v3, 0xffff0000, v3
	v_mov_b32_e32 v4, 0x7fc00000
	v_cmp_o_f32_e32 vcc, v9, v9
	v_add3_u32 v2, v6, v2, s0
	s_mov_b64 s[0:1], 0
	v_cndmask_b32_e32 v3, v4, v3, vcc
	v_cmp_o_f32_e32 vcc, v6, v6
	v_mov_b32_e32 v4, 0x7fc0
	s_nop 0
	v_cndmask_b32_sdwa v2, v4, v2, vcc dst_sel:DWORD dst_unused:UNUSED_PAD src0_sel:DWORD src1_sel:WORD_1
	v_or_b32_e32 v2, v3, v2
	global_store_dword v[0:1], v2, off
.LBB232_2190:
	s_mov_b64 s[4:5], 0
.LBB232_2191:
	s_and_b64 vcc, exec, s[4:5]
	s_cbranch_vccz .LBB232_2196
; %bb.2192:
	s_cmp_eq_u32 s10, 44
	s_mov_b64 s[0:1], -1
	s_cbranch_scc0 .LBB232_2196
; %bb.2193:
	v_bfe_u32 v2, v6, 23, 8
	s_movk_i32 s0, 0xff
	v_cmp_ne_u32_e32 vcc, s0, v2
	v_mov_b32_e32 v3, 0xff
	s_and_saveexec_b64 s[4:5], vcc
; %bb.2194:
	s_mov_b32 s0, 0x3fffff
	v_and_b32_e32 v4, 0x400000, v6
	v_and_or_b32 v2, v6, s0, v2
	v_cmp_ne_u32_e32 vcc, 0, v4
	v_cmp_ne_u32_e64 s[0:1], 0, v2
	s_and_b64 s[0:1], vcc, s[0:1]
	v_lshrrev_b32_e32 v3, 23, v6
	v_cndmask_b32_e64 v2, 0, 1, s[0:1]
	v_add_u32_e32 v3, v3, v2
; %bb.2195:
	s_or_b64 exec, exec, s[4:5]
	s_mov_b64 s[0:1], 0
	global_store_byte v[0:1], v3, off
.LBB232_2196:
	s_mov_b64 s[4:5], 0
.LBB232_2197:
	s_and_b64 vcc, exec, s[4:5]
	s_cbranch_vccz .LBB232_2200
; %bb.2198:
	s_cmp_eq_u32 s10, 29
	s_mov_b64 s[0:1], -1
	s_cbranch_scc0 .LBB232_2200
; %bb.2199:
	v_trunc_f32_e32 v2, v6
	v_mul_f32_e32 v3, 0x2f800000, v2
	v_floor_f32_e32 v4, v3
	v_fmamk_f32 v2, v4, 0xcf800000, v2
	v_cvt_u32_f32_e32 v3, v4
	v_cvt_u32_f32_e32 v2, v2
	s_mov_b64 s[0:1], 0
	global_store_dwordx2 v[0:1], v[2:3], off
.LBB232_2200:
	s_mov_b64 s[4:5], 0
.LBB232_2201:
	s_and_b64 vcc, exec, s[4:5]
	s_cbranch_vccz .LBB232_2216
; %bb.2202:
	s_cmp_lt_i32 s10, 27
	s_mov_b64 s[4:5], -1
	s_cbranch_scc1 .LBB232_2208
; %bb.2203:
	v_cvt_u32_f32_e32 v2, v6
	s_cmp_gt_i32 s10, 27
	s_cbranch_scc0 .LBB232_2205
; %bb.2204:
	global_store_dword v[0:1], v2, off
	s_mov_b64 s[4:5], 0
.LBB232_2205:
	s_andn2_b64 vcc, exec, s[4:5]
	s_cbranch_vccnz .LBB232_2207
; %bb.2206:
	global_store_short v[0:1], v2, off
.LBB232_2207:
	s_mov_b64 s[4:5], 0
.LBB232_2208:
	s_andn2_b64 vcc, exec, s[4:5]
	s_cbranch_vccnz .LBB232_2216
; %bb.2209:
	v_and_b32_e32 v2, 0x7fffffff, v6
	s_mov_b32 s4, 0x43800000
	v_cmp_gt_u32_e32 vcc, s4, v2
	v_mov_b32_e32 v3, 0x80
	s_and_saveexec_b64 s[4:5], vcc
	s_cbranch_execz .LBB232_2215
; %bb.2210:
	s_mov_b32 s6, 0x3bffffff
	v_cmp_lt_u32_e32 vcc, s6, v2
	s_mov_b64 s[6:7], 0
                                        ; implicit-def: $vgpr2
	s_and_saveexec_b64 s[8:9], vcc
	s_xor_b64 s[8:9], exec, s[8:9]
	s_cbranch_execz .LBB232_2277
; %bb.2211:
	v_bfe_u32 v2, v6, 20, 1
	s_mov_b32 s11, 0x487ffff
	v_add3_u32 v2, v6, v2, s11
	s_mov_b64 s[6:7], exec
	v_lshrrev_b32_e32 v2, 20, v2
	s_andn2_saveexec_b64 s[8:9], s[8:9]
	s_cbranch_execnz .LBB232_2278
.LBB232_2212:
	s_or_b64 exec, exec, s[8:9]
	v_mov_b32_e32 v3, 0
	s_and_saveexec_b64 s[8:9], s[6:7]
.LBB232_2213:
	v_lshrrev_b32_e32 v3, 24, v6
	s_movk_i32 s6, 0x80
	v_and_or_b32 v3, v3, s6, v2
.LBB232_2214:
	s_or_b64 exec, exec, s[8:9]
.LBB232_2215:
	s_or_b64 exec, exec, s[4:5]
	global_store_byte v[0:1], v3, off
.LBB232_2216:
	s_mov_b64 s[4:5], 0
.LBB232_2217:
	s_and_b64 vcc, exec, s[4:5]
	s_cbranch_vccz .LBB232_2257
; %bb.2218:
	s_cmp_gt_i32 s10, 22
	s_mov_b64 s[2:3], -1
	s_cbranch_scc0 .LBB232_2250
; %bb.2219:
	s_cmp_lt_i32 s10, 24
	s_cbranch_scc1 .LBB232_2239
; %bb.2220:
	s_cmp_gt_i32 s10, 24
	s_cbranch_scc0 .LBB232_2228
; %bb.2221:
	v_and_b32_e32 v2, 0x7fffffff, v6
	s_mov_b32 s2, 0x47800000
	v_cmp_gt_u32_e32 vcc, s2, v2
	v_mov_b32_e32 v3, 0x80
	s_and_saveexec_b64 s[2:3], vcc
	s_cbranch_execz .LBB232_2227
; %bb.2222:
	s_mov_b32 s4, 0x37ffffff
	v_cmp_lt_u32_e32 vcc, s4, v2
	s_mov_b64 s[4:5], 0
                                        ; implicit-def: $vgpr2
	s_and_saveexec_b64 s[6:7], vcc
	s_xor_b64 s[6:7], exec, s[6:7]
	s_cbranch_execz .LBB232_2280
; %bb.2223:
	v_bfe_u32 v2, v6, 21, 1
	s_mov_b32 s8, 0x88fffff
	v_add3_u32 v2, v6, v2, s8
	s_mov_b64 s[4:5], exec
	v_lshrrev_b32_e32 v2, 21, v2
	s_andn2_saveexec_b64 s[6:7], s[6:7]
	s_cbranch_execnz .LBB232_2281
.LBB232_2224:
	s_or_b64 exec, exec, s[6:7]
	v_mov_b32_e32 v3, 0
	s_and_saveexec_b64 s[6:7], s[4:5]
.LBB232_2225:
	v_lshrrev_b32_e32 v3, 24, v6
	s_movk_i32 s4, 0x80
	v_and_or_b32 v3, v3, s4, v2
.LBB232_2226:
	s_or_b64 exec, exec, s[6:7]
.LBB232_2227:
	s_or_b64 exec, exec, s[2:3]
	s_mov_b64 s[2:3], 0
	global_store_byte v[0:1], v3, off
.LBB232_2228:
	s_and_b64 vcc, exec, s[2:3]
	s_cbranch_vccz .LBB232_2238
; %bb.2229:
	v_and_b32_e32 v3, 0x7fffffff, v6
	s_mov_b32 s2, 0x43f00000
	v_cmp_gt_u32_e32 vcc, s2, v3
                                        ; implicit-def: $vgpr2
	s_and_saveexec_b64 s[2:3], vcc
	s_xor_b64 s[2:3], exec, s[2:3]
	s_cbranch_execz .LBB232_2235
; %bb.2230:
	s_mov_b32 s4, 0x3c7fffff
	v_cmp_lt_u32_e32 vcc, s4, v3
                                        ; implicit-def: $vgpr2
	s_and_saveexec_b64 s[4:5], vcc
	s_xor_b64 s[4:5], exec, s[4:5]
; %bb.2231:
	v_bfe_u32 v2, v6, 20, 1
	s_mov_b32 s6, 0x407ffff
	v_add3_u32 v2, v6, v2, s6
	v_lshrrev_b32_e32 v3, 20, v2
	v_and_b32_e32 v2, 0xff00000, v2
	s_mov_b32 s6, 0x7f00000
	v_mov_b32_e32 v4, 0x7e
	v_cmp_ne_u32_e32 vcc, s6, v2
	s_nop 1
	v_cndmask_b32_e32 v2, v4, v3, vcc
; %bb.2232:
	s_andn2_saveexec_b64 s[4:5], s[4:5]
; %bb.2233:
	s_mov_b32 s6, 0x46800000
	v_add_f32_e64 v2, |v6|, s6
; %bb.2234:
	s_or_b64 exec, exec, s[4:5]
                                        ; implicit-def: $vgpr3
.LBB232_2235:
	s_andn2_saveexec_b64 s[2:3], s[2:3]
; %bb.2236:
	s_mov_b32 s4, 0x7f800000
	v_mov_b32_e32 v2, 0x7e
	v_mov_b32_e32 v4, 0x7f
	v_cmp_lt_u32_e32 vcc, s4, v3
	s_nop 1
	v_cndmask_b32_e32 v2, v2, v4, vcc
; %bb.2237:
	s_or_b64 exec, exec, s[2:3]
	v_lshrrev_b32_e32 v3, 24, v6
	s_movk_i32 s2, 0x80
	v_and_or_b32 v2, v3, s2, v2
	global_store_byte v[0:1], v2, off
.LBB232_2238:
	s_mov_b64 s[2:3], 0
.LBB232_2239:
	s_andn2_b64 vcc, exec, s[2:3]
	s_cbranch_vccnz .LBB232_2249
; %bb.2240:
	v_and_b32_e32 v3, 0x7fffffff, v6
	s_mov_b32 s2, 0x47800000
	v_cmp_gt_u32_e32 vcc, s2, v3
                                        ; implicit-def: $vgpr2
	s_and_saveexec_b64 s[2:3], vcc
	s_xor_b64 s[2:3], exec, s[2:3]
	s_cbranch_execz .LBB232_2246
; %bb.2241:
	s_mov_b32 s4, 0x387fffff
	v_cmp_lt_u32_e32 vcc, s4, v3
                                        ; implicit-def: $vgpr2
	s_and_saveexec_b64 s[4:5], vcc
	s_xor_b64 s[4:5], exec, s[4:5]
; %bb.2242:
	v_bfe_u32 v2, v6, 21, 1
	s_mov_b32 s6, 0x80fffff
	v_add3_u32 v2, v6, v2, s6
	v_lshrrev_b32_e32 v2, 21, v2
; %bb.2243:
	s_andn2_saveexec_b64 s[4:5], s[4:5]
; %bb.2244:
	s_mov_b32 s6, 0x43000000
	v_add_f32_e64 v2, |v6|, s6
; %bb.2245:
	s_or_b64 exec, exec, s[4:5]
                                        ; implicit-def: $vgpr3
.LBB232_2246:
	s_andn2_saveexec_b64 s[2:3], s[2:3]
; %bb.2247:
	s_mov_b32 s4, 0x7f800000
	v_mov_b32_e32 v2, 0x7c
	v_mov_b32_e32 v4, 0x7f
	v_cmp_lt_u32_e32 vcc, s4, v3
	s_nop 1
	v_cndmask_b32_e32 v2, v2, v4, vcc
; %bb.2248:
	s_or_b64 exec, exec, s[2:3]
	v_lshrrev_b32_e32 v3, 24, v6
	s_movk_i32 s2, 0x80
	v_and_or_b32 v2, v3, s2, v2
	global_store_byte v[0:1], v2, off
.LBB232_2249:
	s_mov_b64 s[2:3], 0
.LBB232_2250:
	s_andn2_b64 vcc, exec, s[2:3]
	s_mov_b64 s[2:3], 0
	s_cbranch_vccnz .LBB232_2257
; %bb.2251:
	s_cmp_gt_i32 s10, 14
	s_mov_b64 s[4:5], -1
	s_cbranch_scc0 .LBB232_2255
; %bb.2252:
	s_cmp_eq_u32 s10, 15
	s_mov_b64 s[0:1], -1
	s_cbranch_scc0 .LBB232_2254
; %bb.2253:
	v_bfe_u32 v2, v6, 16, 1
	s_movk_i32 s0, 0x7fff
	v_add3_u32 v2, v6, v2, s0
	v_cmp_o_f32_e32 vcc, v6, v6
	v_mov_b32_e32 v3, 0x7fc0
	s_mov_b64 s[0:1], 0
	v_cndmask_b32_sdwa v2, v3, v2, vcc dst_sel:DWORD dst_unused:UNUSED_PAD src0_sel:DWORD src1_sel:WORD_1
	global_store_short v[0:1], v2, off
.LBB232_2254:
	s_mov_b64 s[4:5], 0
.LBB232_2255:
	s_and_b64 vcc, exec, s[4:5]
	s_cbranch_vccz .LBB232_2257
; %bb.2256:
	s_cmp_lg_u32 s10, 11
	s_mov_b64 s[2:3], -1
	s_cselect_b64 s[0:1], -1, 0
.LBB232_2257:
	s_and_b64 vcc, exec, s[0:1]
	s_cbranch_vccnz .LBB232_2279
.LBB232_2258:
	s_mov_b64 s[0:1], 0
	s_branch .LBB232_1764
.LBB232_2259:
	s_mov_b64 s[0:1], 0
                                        ; implicit-def: $sgpr20
                                        ; implicit-def: $vgpr0_vgpr1
	s_branch .LBB232_1763
.LBB232_2260:
	s_mov_b64 s[2:3], 0
	s_mov_b64 s[0:1], -1
	s_branch .LBB232_1764
.LBB232_2261:
	s_trap 2
	s_or_b64 s[16:17], s[16:17], exec
	s_cbranch_execz .LBB232_1698
	s_branch .LBB232_1699
.LBB232_2262:
	s_andn2_saveexec_b64 s[18:19], s[18:19]
	s_cbranch_execz .LBB232_1854
.LBB232_2263:
	s_mov_b32 s21, 0x46000000
	v_add_f32_e64 v5, |v4|, s21
	v_and_b32_e32 v5, 0xff, v5
	v_cmp_ne_u32_e32 vcc, 0, v5
	s_andn2_b64 s[10:11], s[10:11], exec
	s_and_b64 s[22:23], vcc, exec
	s_or_b64 s[10:11], s[10:11], s[22:23]
	s_or_b64 exec, exec, s[18:19]
	v_mov_b32_e32 v8, 0
	s_and_saveexec_b64 s[18:19], s[10:11]
	s_cbranch_execnz .LBB232_1855
	s_branch .LBB232_1856
.LBB232_2264:
	s_trap 2
	s_or_b64 s[16:17], s[16:17], exec
	s_cbranch_execz .LBB232_1902
	s_branch .LBB232_1903
.LBB232_2265:
	s_andn2_saveexec_b64 s[10:11], s[10:11]
	s_cbranch_execz .LBB232_1867
.LBB232_2266:
	s_mov_b32 s18, 0x42800000
	v_add_f32_e64 v5, |v4|, s18
	v_and_b32_e32 v5, 0xff, v5
	v_cmp_ne_u32_e32 vcc, 0, v5
	s_andn2_b64 s[6:7], s[6:7], exec
	s_and_b64 s[18:19], vcc, exec
	s_or_b64 s[6:7], s[6:7], s[18:19]
	s_or_b64 exec, exec, s[10:11]
	v_mov_b32_e32 v8, 0
	s_and_saveexec_b64 s[10:11], s[6:7]
	s_cbranch_execnz .LBB232_1868
	s_branch .LBB232_1869
.LBB232_2267:
	s_andn2_saveexec_b64 s[10:11], s[10:11]
	s_cbranch_execz .LBB232_1973
.LBB232_2268:
	s_mov_b32 s21, 0x46000000
	v_add_f32_e64 v1, |v0|, s21
	v_and_b32_e32 v1, 0xff, v1
	v_cmp_ne_u32_e32 vcc, 0, v1
	s_andn2_b64 s[8:9], s[8:9], exec
	s_and_b64 s[22:23], vcc, exec
	s_or_b64 s[8:9], s[8:9], s[22:23]
	s_or_b64 exec, exec, s[10:11]
	v_mov_b32_e32 v5, 0
	s_and_saveexec_b64 s[10:11], s[8:9]
	s_cbranch_execnz .LBB232_1974
	s_branch .LBB232_1975
.LBB232_2269:
	s_trap 2
	s_or_b64 s[16:17], s[16:17], exec
	s_cbranch_execz .LBB232_2021
	s_branch .LBB232_2022
.LBB232_2270:
	s_andn2_saveexec_b64 s[8:9], s[8:9]
	s_cbranch_execz .LBB232_1986
.LBB232_2271:
	s_mov_b32 s10, 0x42800000
	v_add_f32_e64 v1, |v0|, s10
	v_and_b32_e32 v1, 0xff, v1
	v_cmp_ne_u32_e32 vcc, 0, v1
	s_andn2_b64 s[6:7], s[6:7], exec
	s_and_b64 s[10:11], vcc, exec
	s_or_b64 s[6:7], s[6:7], s[10:11]
	s_or_b64 exec, exec, s[8:9]
	v_mov_b32_e32 v5, 0
	s_and_saveexec_b64 s[8:9], s[6:7]
	s_cbranch_execnz .LBB232_1987
	s_branch .LBB232_1988
.LBB232_2272:
	s_andn2_saveexec_b64 s[10:11], s[10:11]
	s_cbranch_execz .LBB232_2092
.LBB232_2273:
	s_mov_b32 s21, 0x46000000
	v_add_f32_e64 v1, |v2|, s21
	v_and_b32_e32 v1, 0xff, v1
	v_cmp_ne_u32_e32 vcc, 0, v1
	s_andn2_b64 s[8:9], s[8:9], exec
	s_and_b64 s[22:23], vcc, exec
	s_or_b64 s[8:9], s[8:9], s[22:23]
	s_or_b64 exec, exec, s[10:11]
	v_mov_b32_e32 v3, 0
	s_and_saveexec_b64 s[10:11], s[8:9]
	s_cbranch_execnz .LBB232_2093
	s_branch .LBB232_2094
.LBB232_2274:
	s_trap 2
	s_or_b64 s[16:17], s[16:17], exec
	s_cbranch_execz .LBB232_2140
	s_branch .LBB232_2141
.LBB232_2275:
	s_andn2_saveexec_b64 s[8:9], s[8:9]
	s_cbranch_execz .LBB232_2105
.LBB232_2276:
	s_mov_b32 s10, 0x42800000
	v_add_f32_e64 v1, |v2|, s10
	v_and_b32_e32 v1, 0xff, v1
	v_cmp_ne_u32_e32 vcc, 0, v1
	s_andn2_b64 s[6:7], s[6:7], exec
	s_and_b64 s[10:11], vcc, exec
	s_or_b64 s[6:7], s[6:7], s[10:11]
	s_or_b64 exec, exec, s[8:9]
	v_mov_b32_e32 v3, 0
	s_and_saveexec_b64 s[8:9], s[6:7]
	s_cbranch_execnz .LBB232_2106
	s_branch .LBB232_2107
.LBB232_2277:
	s_andn2_saveexec_b64 s[8:9], s[8:9]
	s_cbranch_execz .LBB232_2212
.LBB232_2278:
	s_mov_b32 s11, 0x46000000
	v_add_f32_e64 v2, |v6|, s11
	v_and_b32_e32 v2, 0xff, v2
	v_cmp_ne_u32_e32 vcc, 0, v2
	s_andn2_b64 s[6:7], s[6:7], exec
	s_and_b64 s[18:19], vcc, exec
	s_or_b64 s[6:7], s[6:7], s[18:19]
	s_or_b64 exec, exec, s[8:9]
	v_mov_b32_e32 v3, 0
	s_and_saveexec_b64 s[8:9], s[6:7]
	s_cbranch_execnz .LBB232_2213
	s_branch .LBB232_2214
.LBB232_2279:
	s_mov_b64 s[2:3], 0
	s_or_b64 s[16:17], s[16:17], exec
	s_trap 2
	s_branch .LBB232_2258
.LBB232_2280:
	s_andn2_saveexec_b64 s[6:7], s[6:7]
	s_cbranch_execz .LBB232_2224
.LBB232_2281:
	s_mov_b32 s8, 0x42800000
	v_add_f32_e64 v2, |v6|, s8
	v_and_b32_e32 v2, 0xff, v2
	v_cmp_ne_u32_e32 vcc, 0, v2
	s_andn2_b64 s[4:5], s[4:5], exec
	s_and_b64 s[8:9], vcc, exec
	s_or_b64 s[4:5], s[4:5], s[8:9]
	s_or_b64 exec, exec, s[6:7]
	v_mov_b32_e32 v3, 0
	s_and_saveexec_b64 s[6:7], s[4:5]
	s_cbranch_execnz .LBB232_2225
	s_branch .LBB232_2226
	.section	.rodata,"a",@progbits
	.p2align	6, 0x0
	.amdhsa_kernel _ZN2at6native32elementwise_kernel_manual_unrollILi128ELi4EZNS0_15gpu_kernel_implIZZZNS0_16sqrt_kernel_cudaERNS_18TensorIteratorBaseEENKUlvE_clEvENKUlvE0_clEvEUlN3c107complexIfEEE_EEvS4_RKT_EUlibE_EEviT1_
		.amdhsa_group_segment_fixed_size 0
		.amdhsa_private_segment_fixed_size 0
		.amdhsa_kernarg_size 40
		.amdhsa_user_sgpr_count 2
		.amdhsa_user_sgpr_dispatch_ptr 0
		.amdhsa_user_sgpr_queue_ptr 0
		.amdhsa_user_sgpr_kernarg_segment_ptr 1
		.amdhsa_user_sgpr_dispatch_id 0
		.amdhsa_user_sgpr_kernarg_preload_length 0
		.amdhsa_user_sgpr_kernarg_preload_offset 0
		.amdhsa_user_sgpr_private_segment_size 0
		.amdhsa_uses_dynamic_stack 0
		.amdhsa_enable_private_segment 0
		.amdhsa_system_sgpr_workgroup_id_x 1
		.amdhsa_system_sgpr_workgroup_id_y 0
		.amdhsa_system_sgpr_workgroup_id_z 0
		.amdhsa_system_sgpr_workgroup_info 0
		.amdhsa_system_vgpr_workitem_id 0
		.amdhsa_next_free_vgpr 18
		.amdhsa_next_free_sgpr 48
		.amdhsa_accum_offset 20
		.amdhsa_reserve_vcc 1
		.amdhsa_float_round_mode_32 0
		.amdhsa_float_round_mode_16_64 0
		.amdhsa_float_denorm_mode_32 3
		.amdhsa_float_denorm_mode_16_64 3
		.amdhsa_dx10_clamp 1
		.amdhsa_ieee_mode 1
		.amdhsa_fp16_overflow 0
		.amdhsa_tg_split 0
		.amdhsa_exception_fp_ieee_invalid_op 0
		.amdhsa_exception_fp_denorm_src 0
		.amdhsa_exception_fp_ieee_div_zero 0
		.amdhsa_exception_fp_ieee_overflow 0
		.amdhsa_exception_fp_ieee_underflow 0
		.amdhsa_exception_fp_ieee_inexact 0
		.amdhsa_exception_int_div_zero 0
	.end_amdhsa_kernel
	.section	.text._ZN2at6native32elementwise_kernel_manual_unrollILi128ELi4EZNS0_15gpu_kernel_implIZZZNS0_16sqrt_kernel_cudaERNS_18TensorIteratorBaseEENKUlvE_clEvENKUlvE0_clEvEUlN3c107complexIfEEE_EEvS4_RKT_EUlibE_EEviT1_,"axG",@progbits,_ZN2at6native32elementwise_kernel_manual_unrollILi128ELi4EZNS0_15gpu_kernel_implIZZZNS0_16sqrt_kernel_cudaERNS_18TensorIteratorBaseEENKUlvE_clEvENKUlvE0_clEvEUlN3c107complexIfEEE_EEvS4_RKT_EUlibE_EEviT1_,comdat
.Lfunc_end232:
	.size	_ZN2at6native32elementwise_kernel_manual_unrollILi128ELi4EZNS0_15gpu_kernel_implIZZZNS0_16sqrt_kernel_cudaERNS_18TensorIteratorBaseEENKUlvE_clEvENKUlvE0_clEvEUlN3c107complexIfEEE_EEvS4_RKT_EUlibE_EEviT1_, .Lfunc_end232-_ZN2at6native32elementwise_kernel_manual_unrollILi128ELi4EZNS0_15gpu_kernel_implIZZZNS0_16sqrt_kernel_cudaERNS_18TensorIteratorBaseEENKUlvE_clEvENKUlvE0_clEvEUlN3c107complexIfEEE_EEvS4_RKT_EUlibE_EEviT1_
                                        ; -- End function
	.set _ZN2at6native32elementwise_kernel_manual_unrollILi128ELi4EZNS0_15gpu_kernel_implIZZZNS0_16sqrt_kernel_cudaERNS_18TensorIteratorBaseEENKUlvE_clEvENKUlvE0_clEvEUlN3c107complexIfEEE_EEvS4_RKT_EUlibE_EEviT1_.num_vgpr, 18
	.set _ZN2at6native32elementwise_kernel_manual_unrollILi128ELi4EZNS0_15gpu_kernel_implIZZZNS0_16sqrt_kernel_cudaERNS_18TensorIteratorBaseEENKUlvE_clEvENKUlvE0_clEvEUlN3c107complexIfEEE_EEvS4_RKT_EUlibE_EEviT1_.num_agpr, 0
	.set _ZN2at6native32elementwise_kernel_manual_unrollILi128ELi4EZNS0_15gpu_kernel_implIZZZNS0_16sqrt_kernel_cudaERNS_18TensorIteratorBaseEENKUlvE_clEvENKUlvE0_clEvEUlN3c107complexIfEEE_EEvS4_RKT_EUlibE_EEviT1_.numbered_sgpr, 48
	.set _ZN2at6native32elementwise_kernel_manual_unrollILi128ELi4EZNS0_15gpu_kernel_implIZZZNS0_16sqrt_kernel_cudaERNS_18TensorIteratorBaseEENKUlvE_clEvENKUlvE0_clEvEUlN3c107complexIfEEE_EEvS4_RKT_EUlibE_EEviT1_.num_named_barrier, 0
	.set _ZN2at6native32elementwise_kernel_manual_unrollILi128ELi4EZNS0_15gpu_kernel_implIZZZNS0_16sqrt_kernel_cudaERNS_18TensorIteratorBaseEENKUlvE_clEvENKUlvE0_clEvEUlN3c107complexIfEEE_EEvS4_RKT_EUlibE_EEviT1_.private_seg_size, 0
	.set _ZN2at6native32elementwise_kernel_manual_unrollILi128ELi4EZNS0_15gpu_kernel_implIZZZNS0_16sqrt_kernel_cudaERNS_18TensorIteratorBaseEENKUlvE_clEvENKUlvE0_clEvEUlN3c107complexIfEEE_EEvS4_RKT_EUlibE_EEviT1_.uses_vcc, 1
	.set _ZN2at6native32elementwise_kernel_manual_unrollILi128ELi4EZNS0_15gpu_kernel_implIZZZNS0_16sqrt_kernel_cudaERNS_18TensorIteratorBaseEENKUlvE_clEvENKUlvE0_clEvEUlN3c107complexIfEEE_EEvS4_RKT_EUlibE_EEviT1_.uses_flat_scratch, 0
	.set _ZN2at6native32elementwise_kernel_manual_unrollILi128ELi4EZNS0_15gpu_kernel_implIZZZNS0_16sqrt_kernel_cudaERNS_18TensorIteratorBaseEENKUlvE_clEvENKUlvE0_clEvEUlN3c107complexIfEEE_EEvS4_RKT_EUlibE_EEviT1_.has_dyn_sized_stack, 0
	.set _ZN2at6native32elementwise_kernel_manual_unrollILi128ELi4EZNS0_15gpu_kernel_implIZZZNS0_16sqrt_kernel_cudaERNS_18TensorIteratorBaseEENKUlvE_clEvENKUlvE0_clEvEUlN3c107complexIfEEE_EEvS4_RKT_EUlibE_EEviT1_.has_recursion, 0
	.set _ZN2at6native32elementwise_kernel_manual_unrollILi128ELi4EZNS0_15gpu_kernel_implIZZZNS0_16sqrt_kernel_cudaERNS_18TensorIteratorBaseEENKUlvE_clEvENKUlvE0_clEvEUlN3c107complexIfEEE_EEvS4_RKT_EUlibE_EEviT1_.has_indirect_call, 0
	.section	.AMDGPU.csdata,"",@progbits
; Kernel info:
; codeLenInByte = 41844
; TotalNumSgprs: 54
; NumVgprs: 18
; NumAgprs: 0
; TotalNumVgprs: 18
; ScratchSize: 0
; MemoryBound: 1
; FloatMode: 240
; IeeeMode: 1
; LDSByteSize: 0 bytes/workgroup (compile time only)
; SGPRBlocks: 6
; VGPRBlocks: 2
; NumSGPRsForWavesPerEU: 54
; NumVGPRsForWavesPerEU: 18
; AccumOffset: 20
; Occupancy: 8
; WaveLimiterHint : 0
; COMPUTE_PGM_RSRC2:SCRATCH_EN: 0
; COMPUTE_PGM_RSRC2:USER_SGPR: 2
; COMPUTE_PGM_RSRC2:TRAP_HANDLER: 0
; COMPUTE_PGM_RSRC2:TGID_X_EN: 1
; COMPUTE_PGM_RSRC2:TGID_Y_EN: 0
; COMPUTE_PGM_RSRC2:TGID_Z_EN: 0
; COMPUTE_PGM_RSRC2:TIDIG_COMP_CNT: 0
; COMPUTE_PGM_RSRC3_GFX90A:ACCUM_OFFSET: 4
; COMPUTE_PGM_RSRC3_GFX90A:TG_SPLIT: 0
	.section	.text._ZN2at6native32elementwise_kernel_manual_unrollILi128ELi4EZNS0_15gpu_kernel_implIZZZNS0_16sqrt_kernel_cudaERNS_18TensorIteratorBaseEENKUlvE_clEvENKUlvE0_clEvEUlN3c107complexIfEEE_EEvS4_RKT_EUlibE0_EEviT1_,"axG",@progbits,_ZN2at6native32elementwise_kernel_manual_unrollILi128ELi4EZNS0_15gpu_kernel_implIZZZNS0_16sqrt_kernel_cudaERNS_18TensorIteratorBaseEENKUlvE_clEvENKUlvE0_clEvEUlN3c107complexIfEEE_EEvS4_RKT_EUlibE0_EEviT1_,comdat
	.globl	_ZN2at6native32elementwise_kernel_manual_unrollILi128ELi4EZNS0_15gpu_kernel_implIZZZNS0_16sqrt_kernel_cudaERNS_18TensorIteratorBaseEENKUlvE_clEvENKUlvE0_clEvEUlN3c107complexIfEEE_EEvS4_RKT_EUlibE0_EEviT1_ ; -- Begin function _ZN2at6native32elementwise_kernel_manual_unrollILi128ELi4EZNS0_15gpu_kernel_implIZZZNS0_16sqrt_kernel_cudaERNS_18TensorIteratorBaseEENKUlvE_clEvENKUlvE0_clEvEUlN3c107complexIfEEE_EEvS4_RKT_EUlibE0_EEviT1_
	.p2align	8
	.type	_ZN2at6native32elementwise_kernel_manual_unrollILi128ELi4EZNS0_15gpu_kernel_implIZZZNS0_16sqrt_kernel_cudaERNS_18TensorIteratorBaseEENKUlvE_clEvENKUlvE0_clEvEUlN3c107complexIfEEE_EEvS4_RKT_EUlibE0_EEviT1_,@function
_ZN2at6native32elementwise_kernel_manual_unrollILi128ELi4EZNS0_15gpu_kernel_implIZZZNS0_16sqrt_kernel_cudaERNS_18TensorIteratorBaseEENKUlvE_clEvENKUlvE0_clEvEUlN3c107complexIfEEE_EEvS4_RKT_EUlibE0_EEviT1_: ; @_ZN2at6native32elementwise_kernel_manual_unrollILi128ELi4EZNS0_15gpu_kernel_implIZZZNS0_16sqrt_kernel_cudaERNS_18TensorIteratorBaseEENKUlvE_clEvENKUlvE0_clEvEUlN3c107complexIfEEE_EEvS4_RKT_EUlibE0_EEviT1_
; %bb.0:
	s_load_dword s70, s[0:1], 0x0
	s_load_dword s33, s[0:1], 0x8
	s_add_u32 s34, s0, 8
	s_addc_u32 s35, s1, 0
	v_lshl_or_b32 v12, s2, 9, v0
	v_or_b32_e32 v13, 0x180, v12
	s_waitcnt lgkmcnt(0)
	s_add_i32 s72, s33, -1
	s_cmp_gt_u32 s72, 1
	v_cmp_le_i32_e32 vcc, s70, v13
	s_cselect_b64 s[42:43], -1, 0
	s_mov_b64 s[40:41], 0
	s_mov_b64 s[24:25], 0
	s_and_saveexec_b64 s[2:3], vcc
	s_xor_b64 s[44:45], exec, s[2:3]
	s_cbranch_execz .LBB233_1210
; %bb.1:
	v_mov_b32_e32 v0, 0
	global_load_ushort v0, v0, s[34:35] offset:345
	s_load_dwordx4 s[28:31], s[34:35], 0x4
	s_load_dwordx2 s[46:47], s[34:35], 0x14
	s_load_dwordx4 s[24:27], s[34:35], 0xc4
	s_load_dwordx4 s[20:23], s[34:35], 0x148
	s_cmp_lg_u32 s33, 0
	s_cselect_b64 s[52:53], -1, 0
	s_add_u32 s50, s34, 0xc4
	s_addc_u32 s51, s35, 0
	s_min_u32 s75, s72, 15
	s_cmp_gt_u32 s33, 1
	s_cselect_b64 s[48:49], -1, 0
	v_cmp_gt_i32_e32 vcc, s70, v12
	s_mov_b64 s[4:5], -1
	s_mov_b64 s[62:63], 0
	s_mov_b64 s[56:57], 0
	;; [unrolled: 1-line block ×3, first 2 shown]
	s_waitcnt vmcnt(0)
	v_readfirstlane_b32 s73, v0
	s_and_b32 s2, 0xffff, s73
	s_lshr_b32 s74, s2, 8
	s_and_saveexec_b64 s[58:59], vcc
	s_cbranch_execz .LBB233_297
; %bb.2:
	s_andn2_b64 vcc, exec, s[42:43]
	s_cbranch_vccnz .LBB233_8
; %bb.3:
	s_andn2_b64 vcc, exec, s[52:53]
	s_cbranch_vccnz .LBB233_9
; %bb.4:
	s_add_i32 s57, s75, 1
	s_cmp_eq_u32 s72, 2
	s_cbranch_scc1 .LBB233_10
; %bb.5:
	s_and_b32 s56, s57, 28
	s_mov_b32 s60, 0
	v_mov_b32_e32 v2, 0
	v_mov_b32_e32 v0, 0
	s_mov_b64 s[2:3], s[34:35]
	s_mov_b64 s[54:55], s[50:51]
	v_mov_b32_e32 v4, v12
.LBB233_6:                              ; =>This Inner Loop Header: Depth=1
	s_load_dwordx8 s[12:19], s[2:3], 0x4
	s_load_dwordx4 s[36:39], s[2:3], 0x24
	s_load_dwordx8 s[4:11], s[54:55], 0x0
	s_add_u32 s2, s2, 48
	s_addc_u32 s3, s3, 0
	s_waitcnt lgkmcnt(0)
	v_mul_hi_u32 v1, s13, v4
	v_add_u32_e32 v1, v4, v1
	v_lshrrev_b32_e32 v1, s14, v1
	v_mul_lo_u32 v3, v1, s12
	v_mul_hi_u32 v5, s16, v1
	v_sub_u32_e32 v3, v4, v3
	v_add_u32_e32 v4, v1, v5
	v_lshrrev_b32_e32 v4, s17, v4
	v_mul_lo_u32 v6, v4, s15
	v_mul_hi_u32 v7, s19, v4
	v_sub_u32_e32 v1, v1, v6
	v_add_u32_e32 v6, v4, v7
	v_mul_lo_u32 v5, v3, s5
	v_mul_lo_u32 v3, v3, s4
	;; [unrolled: 1-line block ×4, first 2 shown]
	v_lshrrev_b32_e32 v6, s36, v6
	v_add3_u32 v1, v3, v2, v1
	v_mul_hi_u32 v3, s38, v6
	v_mul_lo_u32 v2, v6, s18
	v_add_u32_e32 v3, v6, v3
	v_sub_u32_e32 v2, v4, v2
	v_lshrrev_b32_e32 v4, s39, v3
	s_add_i32 s60, s60, 4
	v_mul_lo_u32 v3, v4, s37
	s_add_u32 s54, s54, 32
	v_sub_u32_e32 v3, v6, v3
	s_addc_u32 s55, s55, 0
	v_add3_u32 v0, v5, v0, v7
	v_mul_lo_u32 v5, v2, s8
	v_mul_lo_u32 v2, v2, s9
	;; [unrolled: 1-line block ×4, first 2 shown]
	s_cmp_lg_u32 s56, s60
	v_add3_u32 v0, v2, v0, v3
	v_add3_u32 v2, v5, v1, v6
	s_cbranch_scc1 .LBB233_6
; %bb.7:
	v_mov_b32_e32 v1, v0
	s_branch .LBB233_11
.LBB233_8:
                                        ; implicit-def: $vgpr0
                                        ; implicit-def: $vgpr2
	s_branch .LBB233_15
.LBB233_9:
	v_mov_b32_e32 v0, 0
	v_mov_b32_e32 v2, 0
	s_branch .LBB233_14
.LBB233_10:
	v_mov_b32_e32 v2, 0
	s_mov_b32 s56, 0
	v_mov_b32_e32 v1, v2
                                        ; implicit-def: $vgpr0
	v_mov_b32_e32 v4, v12
.LBB233_11:
	s_and_b32 s6, s57, 3
	s_cmp_eq_u32 s6, 0
	s_cbranch_scc1 .LBB233_14
; %bb.12:
	s_lshl_b32 s2, s56, 3
	s_add_u32 s2, s34, s2
	s_addc_u32 s3, s35, 0
	s_add_u32 s2, s2, 0xc4
	s_addc_u32 s3, s3, 0
	s_mul_i32 s4, s56, 12
	s_add_u32 s4, s34, s4
	s_addc_u32 s5, s35, 0
.LBB233_13:                             ; =>This Inner Loop Header: Depth=1
	s_load_dwordx2 s[8:9], s[4:5], 0x4
	s_load_dword s7, s[4:5], 0xc
	s_load_dwordx2 s[10:11], s[2:3], 0x0
	v_mov_b32_e32 v0, v1
	s_add_u32 s4, s4, 12
	s_waitcnt lgkmcnt(0)
	v_mul_hi_u32 v1, s9, v4
	v_add_u32_e32 v1, v4, v1
	v_lshrrev_b32_e32 v1, s7, v1
	s_addc_u32 s5, s5, 0
	v_mul_lo_u32 v3, v1, s8
	s_add_u32 s2, s2, 8
	v_sub_u32_e32 v3, v4, v3
	s_addc_u32 s3, s3, 0
	s_add_i32 s6, s6, -1
	v_mov_b32_e32 v4, v1
	v_mad_u64_u32 v[0:1], s[8:9], v3, s11, v[0:1]
	s_cmp_lg_u32 s6, 0
	v_mad_u64_u32 v[2:3], s[8:9], v3, s10, v[2:3]
	v_mov_b32_e32 v1, v0
	s_cbranch_scc1 .LBB233_13
.LBB233_14:
	s_cbranch_execnz .LBB233_17
.LBB233_15:
	s_waitcnt lgkmcnt(0)
	v_mul_hi_u32 v0, s29, v12
	v_add_u32_e32 v0, v12, v0
	v_lshrrev_b32_e32 v1, s30, v0
	v_mul_lo_u32 v0, v1, s28
	v_sub_u32_e32 v2, v12, v0
	v_mul_lo_u32 v0, v2, s25
	s_andn2_b64 vcc, exec, s[48:49]
	v_mul_lo_u32 v2, v2, s24
	s_cbranch_vccnz .LBB233_17
; %bb.16:
	v_mul_hi_u32 v3, s46, v1
	v_add_u32_e32 v3, v1, v3
	v_lshrrev_b32_e32 v3, s47, v3
	v_mul_lo_u32 v3, v3, s31
	v_sub_u32_e32 v1, v1, v3
	v_mad_u64_u32 v[2:3], s[2:3], v1, s26, v[2:3]
	v_mad_u64_u32 v[0:1], s[2:3], v1, s27, v[0:1]
.LBB233_17:
	v_mov_b32_e32 v1, 0
	s_and_b32 s10, 0xffff, s74
	s_cmp_lt_i32 s10, 11
	s_waitcnt lgkmcnt(0)
	v_lshl_add_u64 v[4:5], s[22:23], 0, v[0:1]
	s_cbranch_scc1 .LBB233_24
; %bb.18:
	s_cmp_gt_i32 s10, 25
	s_cbranch_scc0 .LBB233_38
; %bb.19:
	s_cmp_gt_i32 s10, 28
	s_cbranch_scc0 .LBB233_39
	;; [unrolled: 3-line block ×4, first 2 shown]
; %bb.22:
	s_cmp_eq_u32 s10, 46
	s_mov_b64 s[4:5], 0
	s_cbranch_scc0 .LBB233_72
; %bb.23:
	global_load_dword v0, v[4:5], off
	s_mov_b64 s[2:3], -1
	s_mov_b64 s[6:7], 0
	s_waitcnt vmcnt(0)
	v_and_b32_e32 v1, 0xffff0000, v0
	v_lshlrev_b32_e32 v0, 16, v0
	s_branch .LBB233_74
.LBB233_24:
	s_mov_b64 s[6:7], 0
                                        ; implicit-def: $vgpr0_vgpr1
	s_mov_b64 s[2:3], 0
	s_cbranch_execnz .LBB233_247
.LBB233_25:
	s_andn2_b64 vcc, exec, s[2:3]
	s_cbranch_vccnz .LBB233_294
.LBB233_26:
	s_waitcnt vmcnt(0)
	v_cmp_neq_f32_e32 vcc, 0, v0
	v_cmp_neq_f32_e64 s[2:3], 0, v1
	v_mov_b32_e32 v4, 0
	s_or_b64 s[2:3], vcc, s[2:3]
	s_and_saveexec_b64 s[8:9], s[2:3]
	s_cbranch_execz .LBB233_60
; %bb.27:
	v_mov_b32_e32 v4, 0x7f800000
	v_cmp_neq_f32_e64 s[2:3], |v1|, v4
	s_and_saveexec_b64 s[10:11], s[2:3]
	s_cbranch_execz .LBB233_59
; %bb.28:
	v_cmp_o_f32_e32 vcc, v0, v0
                                        ; implicit-def: $vgpr4
	s_and_saveexec_b64 s[2:3], vcc
	s_xor_b64 s[12:13], exec, s[2:3]
	s_cbranch_execz .LBB233_56
; %bb.29:
	s_mov_b32 s2, 0x7f800000
	v_cmp_neq_f32_e64 s[2:3], |v0|, s2
                                        ; implicit-def: $vgpr4
	s_and_saveexec_b64 s[4:5], s[2:3]
	s_xor_b64 s[14:15], exec, s[4:5]
	s_cbranch_execz .LBB233_49
; %bb.30:
	v_max_f32_e64 v3, |v1|, |v1|
	v_max_f32_e64 v4, |v0|, |v0|
	v_max_f32_e32 v3, v4, v3
	s_mov_b32 s2, 0x7ed413cb
	v_cmp_nle_f32_e64 s[2:3], s2, v3
                                        ; implicit-def: $sgpr16_sgpr17
	s_and_saveexec_b64 s[4:5], s[2:3]
	s_xor_b64 s[4:5], exec, s[4:5]
	s_cbranch_execz .LBB233_34
; %bb.31:
	s_mov_b32 s18, 0x1000000
	v_cmp_le_f32_e64 s[16:17], |v0|, s18
	v_cmp_le_f32_e64 s[18:19], |v1|, s18
	s_and_b64 s[36:37], s[16:17], s[18:19]
	s_mov_b64 s[16:17], 0
	s_and_saveexec_b64 s[18:19], s[36:37]
; %bb.32:
	s_mov_b64 s[16:17], exec
	v_pk_mul_f32 v[0:1], v[0:1], 4.0 op_sel_hi:[1,0]
; %bb.33:
	s_or_b64 exec, exec, s[18:19]
.LBB233_34:
	s_andn2_saveexec_b64 s[4:5], s[4:5]
; %bb.35:
	s_mov_b32 s18, 0x3e800000
	v_pk_mul_f32 v[0:1], v[0:1], s[18:19] op_sel_hi:[1,0]
	s_andn2_b64 s[16:17], s[16:17], exec
; %bb.36:
	s_or_b64 exec, exec, s[4:5]
	v_max_f32_e64 v3, |v1|, |v1|
	v_max_f32_e64 v4, |v0|, |v0|
	v_max_f32_e32 v3, v4, v3
	v_cvt_f64_f32_e32 v[4:5], v3
	v_frexp_exp_i32_f64_e32 v4, v[4:5]
	v_sub_u32_e32 v5, 0, v4
	v_ldexp_f32 v6, |v0|, v5
	v_ldexp_f32 v5, |v1|, v5
	v_mul_f32_e32 v5, v5, v5
	v_fmac_f32_e32 v5, v6, v6
	v_sqrt_f32_e32 v5, v5
	s_mov_b32 s4, 0x7f800000
	v_cmp_neq_f32_e64 s[4:5], s4, v3
	v_cmp_le_f32_e32 vcc, 0, v0
	v_ldexp_f32 v4, v5, v4
	v_mov_b32_e32 v5, 0x7f800000
	v_cndmask_b32_e64 v4, v5, v4, s[4:5]
                                        ; implicit-def: $vgpr5
                                        ; implicit-def: $vgpr3
	s_and_saveexec_b64 s[4:5], vcc
	s_xor_b64 s[18:19], exec, s[4:5]
	s_cbranch_execz .LBB233_42
; %bb.37:
	v_add_f32_e32 v0, v0, v4
	v_mul_f32_e32 v0, 0.5, v0
	s_mov_b32 s4, 0xf800000
	v_mul_f32_e32 v3, 0x4f800000, v0
	v_cmp_gt_f32_e32 vcc, s4, v0
	s_nop 1
	v_cndmask_b32_e32 v0, v0, v3, vcc
	v_sqrt_f32_e32 v3, v0
	s_nop 0
	v_add_u32_e32 v4, -1, v3
	v_fma_f32 v5, -v4, v3, v0
	v_cmp_ge_f32_e64 s[4:5], 0, v5
	v_add_u32_e32 v5, 1, v3
	s_nop 0
	v_cndmask_b32_e64 v4, v3, v4, s[4:5]
	v_fma_f32 v3, -v5, v3, v0
	v_cmp_lt_f32_e64 s[4:5], 0, v3
	s_nop 1
	v_cndmask_b32_e64 v3, v4, v5, s[4:5]
	v_mul_f32_e32 v4, 0x37800000, v3
	v_cndmask_b32_e32 v3, v3, v4, vcc
	v_mov_b32_e32 v4, 0x260
	v_cmp_class_f32_e32 vcc, v0, v4
	s_nop 1
	v_cndmask_b32_e32 v3, v3, v0, vcc
	v_add_f32_e32 v0, v3, v3
	v_div_scale_f32 v4, s[4:5], v0, v0, v1
	v_rcp_f32_e32 v5, v4
	s_nop 0
	v_fma_f32 v6, -v4, v5, 1.0
	v_fmac_f32_e32 v5, v6, v5
	v_div_scale_f32 v6, vcc, v1, v0, v1
	v_mul_f32_e32 v7, v6, v5
	v_fma_f32 v8, -v4, v7, v6
	v_fmac_f32_e32 v7, v8, v5
	v_fma_f32 v4, -v4, v7, v6
	v_div_fmas_f32 v4, v4, v5, v7
	v_div_fixup_f32 v5, v4, v0, v1
                                        ; implicit-def: $vgpr4
                                        ; implicit-def: $vgpr0_vgpr1
	s_andn2_saveexec_b64 s[18:19], s[18:19]
	s_cbranch_execz .LBB233_44
	s_branch .LBB233_43
.LBB233_38:
	s_mov_b64 s[6:7], 0
	s_mov_b64 s[2:3], 0
                                        ; implicit-def: $vgpr0_vgpr1
	s_cbranch_execnz .LBB233_214
	s_branch .LBB233_246
.LBB233_39:
	s_mov_b64 s[4:5], -1
	s_mov_b64 s[6:7], 0
	s_mov_b64 s[2:3], 0
                                        ; implicit-def: $vgpr0_vgpr1
	s_branch .LBB233_193
.LBB233_40:
	s_mov_b64 s[4:5], -1
	s_mov_b64 s[6:7], 0
	s_mov_b64 s[2:3], 0
                                        ; implicit-def: $vgpr0_vgpr1
	s_branch .LBB233_188
.LBB233_41:
	s_mov_b64 s[4:5], -1
	s_mov_b64 s[6:7], 0
	s_branch .LBB233_73
.LBB233_42:
	s_andn2_saveexec_b64 s[18:19], s[18:19]
	s_cbranch_execz .LBB233_44
.LBB233_43:
	v_sub_f32_e32 v0, v4, v0
	v_mul_f32_e32 v0, 0.5, v0
	s_mov_b32 s4, 0xf800000
	v_mul_f32_e32 v3, 0x4f800000, v0
	v_cmp_gt_f32_e32 vcc, s4, v0
	s_nop 1
	v_cndmask_b32_e32 v0, v0, v3, vcc
	v_sqrt_f32_e32 v3, v0
	s_nop 0
	v_add_u32_e32 v4, -1, v3
	v_fma_f32 v5, -v4, v3, v0
	v_cmp_ge_f32_e64 s[4:5], 0, v5
	v_add_u32_e32 v5, 1, v3
	s_nop 0
	v_cndmask_b32_e64 v4, v3, v4, s[4:5]
	v_fma_f32 v3, -v5, v3, v0
	v_cmp_lt_f32_e64 s[4:5], 0, v3
	s_nop 1
	v_cndmask_b32_e64 v3, v4, v5, s[4:5]
	v_mul_f32_e32 v4, 0x37800000, v3
	v_cndmask_b32_e32 v3, v3, v4, vcc
	v_mov_b32_e32 v4, 0x260
	v_cmp_class_f32_e32 vcc, v0, v4
	v_and_b32_e32 v4, 0x7fffffff, v1
	s_nop 0
	v_cndmask_b32_e32 v0, v3, v0, vcc
	v_add_f32_e32 v3, v0, v0
	v_div_scale_f32 v5, s[4:5], v3, v3, v4
	v_rcp_f32_e32 v6, v5
	v_div_scale_f32 v4, vcc, v4, v3, v4
	s_brev_b32 s4, -2
	v_fma_f32 v7, -v5, v6, 1.0
	v_fmac_f32_e32 v6, v7, v6
	v_mul_f32_e32 v7, v4, v6
	v_fma_f32 v8, -v5, v7, v4
	v_fmac_f32_e32 v7, v8, v6
	v_fma_f32 v4, -v5, v7, v4
	v_div_fmas_f32 v4, v4, v6, v7
	v_div_fixup_f32 v3, v4, v3, |v1|
	v_bfi_b32 v5, s4, v0, v1
.LBB233_44:
	s_or_b64 exec, exec, s[18:19]
                                        ; implicit-def: $vgpr1
                                        ; implicit-def: $vgpr4
	s_and_saveexec_b64 s[4:5], s[2:3]
	s_xor_b64 s[2:3], exec, s[4:5]
	s_cbranch_execz .LBB233_46
; %bb.45:
	v_mul_f32_e32 v0, 0.5, v3
	v_mul_f32_e32 v1, 0.5, v5
	v_cndmask_b32_e64 v4, v3, v0, s[16:17]
	v_cndmask_b32_e64 v1, v5, v1, s[16:17]
                                        ; implicit-def: $vgpr3
                                        ; implicit-def: $vgpr5
	s_andn2_saveexec_b64 s[2:3], s[2:3]
	s_cbranch_execnz .LBB233_47
	s_branch .LBB233_48
.LBB233_46:
	s_andn2_saveexec_b64 s[2:3], s[2:3]
.LBB233_47:
	v_add_f32_e32 v4, v3, v3
	v_add_f32_e32 v1, v5, v5
.LBB233_48:
	s_or_b64 exec, exec, s[2:3]
.LBB233_49:
	s_andn2_saveexec_b64 s[2:3], s[14:15]
	s_cbranch_execz .LBB233_55
; %bb.50:
	v_sub_f32_e32 v3, v1, v1
	v_cmp_lt_i32_e32 vcc, -1, v0
	s_brev_b32 s14, -2
	v_and_b32_e32 v4, 0x7fffffff, v3
	s_and_saveexec_b64 s[4:5], vcc
	s_xor_b64 s[4:5], exec, s[4:5]
; %bb.51:
	v_bfi_b32 v1, s14, v3, v1
	v_mov_b32_e32 v4, v0
; %bb.52:
	s_andn2_saveexec_b64 s[4:5], s[4:5]
; %bb.53:
	v_bfi_b32 v1, s14, v0, v1
; %bb.54:
	s_or_b64 exec, exec, s[4:5]
.LBB233_55:
	s_or_b64 exec, exec, s[2:3]
.LBB233_56:
	s_andn2_saveexec_b64 s[2:3], s[12:13]
	s_cbranch_execz .LBB233_58
; %bb.57:
	v_sub_f32_e32 v1, v1, v1
	v_div_scale_f32 v3, vcc, v1, v1, v1
	v_rcp_f32_e32 v4, v3
	s_nop 0
	v_fma_f32 v5, -v3, v4, 1.0
	v_fmac_f32_e32 v4, v5, v4
	v_mul_f32_e32 v5, v3, v4
	v_fma_f32 v6, -v3, v5, v3
	v_fmac_f32_e32 v5, v6, v4
	v_fma_f32 v3, -v3, v5, v3
	v_div_fmas_f32 v3, v3, v4, v5
	v_div_fixup_f32 v1, v3, v1, v1
	v_mov_b32_e32 v4, v0
.LBB233_58:
	s_or_b64 exec, exec, s[2:3]
.LBB233_59:
	s_or_b64 exec, exec, s[10:11]
.LBB233_60:
	s_or_b64 exec, exec, s[8:9]
	v_mov_b32_e32 v3, 0
	s_and_b32 s12, s73, 0xff
	s_cmp_lt_i32 s12, 11
	v_lshl_add_u64 v[2:3], s[20:21], 0, v[2:3]
	s_cbranch_scc1 .LBB233_67
; %bb.61:
	s_and_b32 s13, 0xffff, s12
	s_cmp_gt_i32 s13, 25
	s_cbranch_scc0 .LBB233_69
; %bb.62:
	s_cmp_gt_i32 s13, 28
	s_cbranch_scc0 .LBB233_70
; %bb.63:
	;; [unrolled: 3-line block ×4, first 2 shown]
	s_mov_b64 s[8:9], 0
	s_mov_b64 s[2:3], -1
	s_cmp_eq_u32 s13, 46
	s_mov_b64 s[4:5], 0
	s_cbranch_scc0 .LBB233_78
; %bb.66:
	s_movk_i32 s2, 0x7fff
	v_bfe_u32 v5, v1, 16, 1
	v_add3_u32 v5, v1, v5, s2
	v_bfe_u32 v0, v4, 16, 1
	v_and_b32_e32 v5, 0xffff0000, v5
	v_mov_b32_e32 v6, 0x7fc00000
	v_cmp_o_f32_e32 vcc, v1, v1
	v_add3_u32 v0, v4, v0, s2
	s_mov_b64 s[4:5], -1
	v_cndmask_b32_e32 v5, v6, v5, vcc
	v_cmp_o_f32_e32 vcc, v4, v4
	v_mov_b32_e32 v6, 0x7fc0
	s_mov_b64 s[2:3], 0
	v_cndmask_b32_sdwa v0, v6, v0, vcc dst_sel:DWORD dst_unused:UNUSED_PAD src0_sel:DWORD src1_sel:WORD_1
	v_or_b32_e32 v0, v5, v0
	global_store_dword v[2:3], v0, off
	s_branch .LBB233_78
.LBB233_67:
	s_mov_b64 s[2:3], 0
	s_mov_b64 s[4:5], 0
	s_cbranch_execnz .LBB233_147
.LBB233_68:
	s_andn2_b64 vcc, exec, s[4:5]
	s_cbranch_vccnz .LBB233_295
	s_branch .LBB233_185
.LBB233_69:
	s_mov_b64 s[8:9], -1
	s_mov_b64 s[2:3], 0
	s_mov_b64 s[4:5], 0
	s_branch .LBB233_105
.LBB233_70:
	s_mov_b64 s[8:9], -1
	s_mov_b64 s[2:3], 0
	s_mov_b64 s[4:5], 0
	s_branch .LBB233_88
.LBB233_71:
	s_mov_b64 s[8:9], -1
	s_mov_b64 s[2:3], 0
	s_mov_b64 s[4:5], 0
	s_branch .LBB233_84
.LBB233_72:
	s_mov_b64 s[6:7], -1
.LBB233_73:
	s_mov_b64 s[2:3], 0
                                        ; implicit-def: $vgpr0_vgpr1
.LBB233_74:
	s_and_b64 vcc, exec, s[4:5]
	s_cbranch_vccz .LBB233_187
; %bb.75:
	s_cmp_eq_u32 s10, 44
	s_cbranch_scc0 .LBB233_186
; %bb.76:
	global_load_ubyte v0, v[4:5], off
	s_movk_i32 s4, 0xff
	v_mov_b32_e32 v3, 0x7f800001
	v_mov_b32_e32 v6, 0x400000
	;; [unrolled: 1-line block ×3, first 2 shown]
	s_mov_b64 s[2:3], -1
	s_mov_b64 s[6:7], 0
	s_waitcnt vmcnt(0)
	v_lshlrev_b32_e32 v7, 23, v0
	v_cmp_ne_u32_e32 vcc, s4, v0
	s_nop 1
	v_cndmask_b32_e32 v3, v3, v7, vcc
	v_cmp_ne_u32_e32 vcc, 0, v0
	s_nop 1
	v_cndmask_b32_e32 v0, v6, v3, vcc
	s_branch .LBB233_187
.LBB233_77:
	s_mov_b64 s[8:9], -1
	s_mov_b64 s[2:3], 0
	s_mov_b64 s[4:5], 0
.LBB233_78:
	s_and_b64 vcc, exec, s[8:9]
	s_cbranch_vccz .LBB233_83
; %bb.79:
	s_cmp_eq_u32 s13, 44
	s_mov_b64 s[2:3], -1
	s_cbranch_scc0 .LBB233_83
; %bb.80:
	v_bfe_u32 v0, v4, 23, 8
	s_movk_i32 s2, 0xff
	v_cmp_ne_u32_e32 vcc, s2, v0
	v_mov_b32_e32 v5, 0xff
	s_and_saveexec_b64 s[4:5], vcc
; %bb.81:
	s_mov_b32 s2, 0x3fffff
	v_and_b32_e32 v6, 0x400000, v4
	v_and_or_b32 v0, v4, s2, v0
	v_cmp_ne_u32_e32 vcc, 0, v6
	v_cmp_ne_u32_e64 s[2:3], 0, v0
	s_and_b64 s[2:3], vcc, s[2:3]
	v_lshrrev_b32_e32 v5, 23, v4
	v_cndmask_b32_e64 v0, 0, 1, s[2:3]
	v_add_u32_e32 v5, v5, v0
; %bb.82:
	s_or_b64 exec, exec, s[4:5]
	s_mov_b64 s[4:5], -1
	s_mov_b64 s[2:3], 0
	global_store_byte v[2:3], v5, off
.LBB233_83:
	s_mov_b64 s[8:9], 0
.LBB233_84:
	s_and_b64 vcc, exec, s[8:9]
	s_cbranch_vccz .LBB233_87
; %bb.85:
	s_cmp_eq_u32 s13, 29
	s_mov_b64 s[2:3], -1
	s_cbranch_scc0 .LBB233_87
; %bb.86:
	v_trunc_f32_e32 v0, v4
	v_mul_f32_e32 v5, 0x2f800000, v0
	v_floor_f32_e32 v5, v5
	v_fmamk_f32 v0, v5, 0xcf800000, v0
	v_cvt_u32_f32_e32 v7, v5
	v_cvt_u32_f32_e32 v6, v0
	s_mov_b64 s[4:5], -1
	s_mov_b64 s[2:3], 0
	s_mov_b64 s[8:9], 0
	global_store_dwordx2 v[2:3], v[6:7], off
	s_branch .LBB233_88
.LBB233_87:
	s_mov_b64 s[8:9], 0
.LBB233_88:
	s_and_b64 vcc, exec, s[8:9]
	s_cbranch_vccz .LBB233_104
; %bb.89:
	s_cmp_lt_i32 s13, 27
	s_mov_b64 s[4:5], -1
	s_cbranch_scc1 .LBB233_95
; %bb.90:
	v_cvt_u32_f32_e32 v0, v4
	s_cmp_gt_i32 s13, 27
	s_cbranch_scc0 .LBB233_92
; %bb.91:
	s_mov_b64 s[4:5], 0
	global_store_dword v[2:3], v0, off
.LBB233_92:
	s_andn2_b64 vcc, exec, s[4:5]
	s_cbranch_vccnz .LBB233_94
; %bb.93:
	global_store_short v[2:3], v0, off
.LBB233_94:
	s_mov_b64 s[4:5], 0
.LBB233_95:
	s_andn2_b64 vcc, exec, s[4:5]
	s_cbranch_vccnz .LBB233_103
; %bb.96:
	v_and_b32_e32 v0, 0x7fffffff, v4
	s_mov_b32 s4, 0x43800000
	v_cmp_gt_u32_e32 vcc, s4, v0
	v_mov_b32_e32 v5, 0x80
	s_and_saveexec_b64 s[4:5], vcc
	s_cbranch_execz .LBB233_102
; %bb.97:
	s_mov_b32 s8, 0x3bffffff
	v_cmp_lt_u32_e32 vcc, s8, v0
	s_mov_b64 s[8:9], 0
                                        ; implicit-def: $vgpr0
	s_and_saveexec_b64 s[10:11], vcc
	s_xor_b64 s[10:11], exec, s[10:11]
	s_cbranch_execz .LBB233_341
; %bb.98:
	v_bfe_u32 v0, v4, 20, 1
	s_mov_b32 s14, 0x487ffff
	v_add3_u32 v0, v4, v0, s14
	s_mov_b64 s[8:9], exec
	v_lshrrev_b32_e32 v0, 20, v0
	s_andn2_saveexec_b64 s[10:11], s[10:11]
	s_cbranch_execnz .LBB233_342
.LBB233_99:
	s_or_b64 exec, exec, s[10:11]
	v_mov_b32_e32 v5, 0
	s_and_saveexec_b64 s[10:11], s[8:9]
.LBB233_100:
	v_lshrrev_b32_e32 v5, 24, v4
	s_movk_i32 s8, 0x80
	v_and_or_b32 v5, v5, s8, v0
.LBB233_101:
	s_or_b64 exec, exec, s[10:11]
.LBB233_102:
	s_or_b64 exec, exec, s[4:5]
	global_store_byte v[2:3], v5, off
.LBB233_103:
	s_mov_b64 s[4:5], -1
.LBB233_104:
	s_mov_b64 s[8:9], 0
.LBB233_105:
	s_and_b64 vcc, exec, s[8:9]
	s_cbranch_vccz .LBB233_146
; %bb.106:
	s_cmp_gt_i32 s13, 22
	s_mov_b64 s[8:9], -1
	s_cbranch_scc0 .LBB233_138
; %bb.107:
	s_cmp_lt_i32 s13, 24
	s_mov_b64 s[4:5], -1
	s_cbranch_scc1 .LBB233_127
; %bb.108:
	s_cmp_gt_i32 s13, 24
	s_cbranch_scc0 .LBB233_116
; %bb.109:
	v_and_b32_e32 v0, 0x7fffffff, v4
	s_mov_b32 s4, 0x47800000
	v_cmp_gt_u32_e32 vcc, s4, v0
	v_mov_b32_e32 v5, 0x80
	s_and_saveexec_b64 s[4:5], vcc
	s_cbranch_execz .LBB233_115
; %bb.110:
	s_mov_b32 s8, 0x37ffffff
	v_cmp_lt_u32_e32 vcc, s8, v0
	s_mov_b64 s[8:9], 0
                                        ; implicit-def: $vgpr0
	s_and_saveexec_b64 s[10:11], vcc
	s_xor_b64 s[10:11], exec, s[10:11]
	s_cbranch_execz .LBB233_373
; %bb.111:
	v_bfe_u32 v0, v4, 21, 1
	s_mov_b32 s14, 0x88fffff
	v_add3_u32 v0, v4, v0, s14
	s_mov_b64 s[8:9], exec
	v_lshrrev_b32_e32 v0, 21, v0
	s_andn2_saveexec_b64 s[10:11], s[10:11]
	s_cbranch_execnz .LBB233_374
.LBB233_112:
	s_or_b64 exec, exec, s[10:11]
	v_mov_b32_e32 v5, 0
	s_and_saveexec_b64 s[10:11], s[8:9]
.LBB233_113:
	v_lshrrev_b32_e32 v5, 24, v4
	s_movk_i32 s8, 0x80
	v_and_or_b32 v5, v5, s8, v0
.LBB233_114:
	s_or_b64 exec, exec, s[10:11]
.LBB233_115:
	s_or_b64 exec, exec, s[4:5]
	s_mov_b64 s[4:5], 0
	global_store_byte v[2:3], v5, off
.LBB233_116:
	s_and_b64 vcc, exec, s[4:5]
	s_cbranch_vccz .LBB233_126
; %bb.117:
	v_and_b32_e32 v5, 0x7fffffff, v4
	s_mov_b32 s4, 0x43f00000
	v_cmp_gt_u32_e32 vcc, s4, v5
                                        ; implicit-def: $vgpr0
	s_and_saveexec_b64 s[4:5], vcc
	s_xor_b64 s[4:5], exec, s[4:5]
	s_cbranch_execz .LBB233_123
; %bb.118:
	s_mov_b32 s8, 0x3c7fffff
	v_cmp_lt_u32_e32 vcc, s8, v5
                                        ; implicit-def: $vgpr0
	s_and_saveexec_b64 s[8:9], vcc
	s_xor_b64 s[8:9], exec, s[8:9]
; %bb.119:
	v_bfe_u32 v0, v4, 20, 1
	s_mov_b32 s10, 0x407ffff
	v_add3_u32 v0, v4, v0, s10
	v_lshrrev_b32_e32 v5, 20, v0
	v_and_b32_e32 v0, 0xff00000, v0
	s_mov_b32 s10, 0x7f00000
	v_mov_b32_e32 v6, 0x7e
	v_cmp_ne_u32_e32 vcc, s10, v0
	s_nop 1
	v_cndmask_b32_e32 v0, v6, v5, vcc
; %bb.120:
	s_andn2_saveexec_b64 s[8:9], s[8:9]
; %bb.121:
	s_mov_b32 s10, 0x46800000
	v_add_f32_e64 v0, |v4|, s10
; %bb.122:
	s_or_b64 exec, exec, s[8:9]
                                        ; implicit-def: $vgpr5
.LBB233_123:
	s_andn2_saveexec_b64 s[4:5], s[4:5]
; %bb.124:
	s_mov_b32 s8, 0x7f800000
	v_mov_b32_e32 v0, 0x7e
	v_mov_b32_e32 v6, 0x7f
	v_cmp_lt_u32_e32 vcc, s8, v5
	s_nop 1
	v_cndmask_b32_e32 v0, v0, v6, vcc
; %bb.125:
	s_or_b64 exec, exec, s[4:5]
	v_lshrrev_b32_e32 v5, 24, v4
	s_movk_i32 s4, 0x80
	v_and_or_b32 v0, v5, s4, v0
	global_store_byte v[2:3], v0, off
.LBB233_126:
	s_mov_b64 s[4:5], 0
.LBB233_127:
	s_andn2_b64 vcc, exec, s[4:5]
	s_cbranch_vccnz .LBB233_137
; %bb.128:
	v_and_b32_e32 v5, 0x7fffffff, v4
	s_mov_b32 s4, 0x47800000
	v_cmp_gt_u32_e32 vcc, s4, v5
                                        ; implicit-def: $vgpr0
	s_and_saveexec_b64 s[4:5], vcc
	s_xor_b64 s[4:5], exec, s[4:5]
	s_cbranch_execz .LBB233_134
; %bb.129:
	s_mov_b32 s8, 0x387fffff
	v_cmp_lt_u32_e32 vcc, s8, v5
                                        ; implicit-def: $vgpr0
	s_and_saveexec_b64 s[8:9], vcc
	s_xor_b64 s[8:9], exec, s[8:9]
; %bb.130:
	v_bfe_u32 v0, v4, 21, 1
	s_mov_b32 s10, 0x80fffff
	v_add3_u32 v0, v4, v0, s10
	v_lshrrev_b32_e32 v0, 21, v0
; %bb.131:
	s_andn2_saveexec_b64 s[8:9], s[8:9]
; %bb.132:
	s_mov_b32 s10, 0x43000000
	v_add_f32_e64 v0, |v4|, s10
; %bb.133:
	s_or_b64 exec, exec, s[8:9]
                                        ; implicit-def: $vgpr5
.LBB233_134:
	s_andn2_saveexec_b64 s[4:5], s[4:5]
; %bb.135:
	s_mov_b32 s8, 0x7f800000
	v_mov_b32_e32 v0, 0x7c
	v_mov_b32_e32 v6, 0x7f
	v_cmp_lt_u32_e32 vcc, s8, v5
	s_nop 1
	v_cndmask_b32_e32 v0, v0, v6, vcc
; %bb.136:
	s_or_b64 exec, exec, s[4:5]
	v_lshrrev_b32_e32 v5, 24, v4
	s_movk_i32 s4, 0x80
	v_and_or_b32 v0, v5, s4, v0
	global_store_byte v[2:3], v0, off
.LBB233_137:
	s_mov_b64 s[8:9], 0
	s_mov_b64 s[4:5], -1
.LBB233_138:
	s_andn2_b64 vcc, exec, s[8:9]
	s_cbranch_vccnz .LBB233_146
; %bb.139:
	s_cmp_gt_i32 s13, 14
	s_mov_b64 s[8:9], -1
	s_cbranch_scc0 .LBB233_143
; %bb.140:
	s_cmp_eq_u32 s13, 15
	s_mov_b64 s[2:3], -1
	s_cbranch_scc0 .LBB233_142
; %bb.141:
	v_bfe_u32 v0, v4, 16, 1
	s_movk_i32 s2, 0x7fff
	v_add3_u32 v0, v4, v0, s2
	v_cmp_o_f32_e32 vcc, v4, v4
	v_mov_b32_e32 v5, 0x7fc0
	s_mov_b64 s[4:5], -1
	v_cndmask_b32_sdwa v0, v5, v0, vcc dst_sel:DWORD dst_unused:UNUSED_PAD src0_sel:DWORD src1_sel:WORD_1
	global_store_short v[2:3], v0, off
	s_mov_b64 s[2:3], 0
.LBB233_142:
	s_mov_b64 s[8:9], 0
.LBB233_143:
	s_and_b64 vcc, exec, s[8:9]
	s_cbranch_vccz .LBB233_146
; %bb.144:
	s_cmp_eq_u32 s13, 11
	s_mov_b64 s[2:3], -1
	s_cbranch_scc0 .LBB233_146
; %bb.145:
	v_cmp_neq_f32_e32 vcc, 0, v4
	v_cmp_neq_f32_e64 s[2:3], 0, v1
	s_or_b64 s[2:3], vcc, s[2:3]
	s_mov_b64 s[4:5], -1
	v_cndmask_b32_e64 v0, 0, 1, s[2:3]
	s_mov_b64 s[2:3], 0
	global_store_byte v[2:3], v0, off
.LBB233_146:
	s_branch .LBB233_68
.LBB233_147:
	s_and_b32 s8, 0xffff, s12
	s_cmp_lt_i32 s8, 5
	s_mov_b64 s[4:5], -1
	s_cbranch_scc1 .LBB233_168
; %bb.148:
	s_cmp_lt_i32 s8, 8
	s_cbranch_scc1 .LBB233_158
; %bb.149:
	s_cmp_lt_i32 s8, 9
	s_cbranch_scc1 .LBB233_155
; %bb.150:
	s_cmp_gt_i32 s8, 9
	s_cbranch_scc0 .LBB233_152
; %bb.151:
	v_cvt_f64_f32_e32 v[6:7], v4
	v_cvt_f64_f32_e32 v[8:9], v1
	global_store_dwordx4 v[2:3], v[6:9], off
	s_mov_b64 s[4:5], 0
.LBB233_152:
	s_andn2_b64 vcc, exec, s[4:5]
	s_cbranch_vccnz .LBB233_154
; %bb.153:
	v_mov_b32_e32 v5, v1
	global_store_dwordx2 v[2:3], v[4:5], off
.LBB233_154:
	s_mov_b64 s[4:5], 0
.LBB233_155:
	s_andn2_b64 vcc, exec, s[4:5]
	s_cbranch_vccnz .LBB233_157
; %bb.156:
	v_cvt_f16_f32_e32 v0, v4
	v_cvt_f16_f32_sdwa v1, v1 dst_sel:WORD_1 dst_unused:UNUSED_PAD src0_sel:DWORD
	s_nop 0
	v_or_b32_e32 v0, v1, v0
	global_store_dword v[2:3], v0, off
.LBB233_157:
	s_mov_b64 s[4:5], 0
.LBB233_158:
	s_andn2_b64 vcc, exec, s[4:5]
	s_cbranch_vccnz .LBB233_167
; %bb.159:
	s_cmp_lt_i32 s8, 6
	s_mov_b64 s[4:5], -1
	s_cbranch_scc1 .LBB233_165
; %bb.160:
	s_cmp_gt_i32 s8, 6
	s_cbranch_scc0 .LBB233_162
; %bb.161:
	v_cvt_f64_f32_e32 v[0:1], v4
	global_store_dwordx2 v[2:3], v[0:1], off
	s_mov_b64 s[4:5], 0
.LBB233_162:
	s_andn2_b64 vcc, exec, s[4:5]
	s_cbranch_vccnz .LBB233_164
; %bb.163:
	global_store_dword v[2:3], v4, off
.LBB233_164:
	s_mov_b64 s[4:5], 0
.LBB233_165:
	s_andn2_b64 vcc, exec, s[4:5]
	s_cbranch_vccnz .LBB233_167
; %bb.166:
	v_cvt_f16_f32_e32 v0, v4
	global_store_short v[2:3], v0, off
.LBB233_167:
	s_mov_b64 s[4:5], 0
.LBB233_168:
	s_andn2_b64 vcc, exec, s[4:5]
	s_cbranch_vccnz .LBB233_184
; %bb.169:
	s_cmp_lt_i32 s8, 2
	s_mov_b64 s[4:5], -1
	s_cbranch_scc1 .LBB233_179
; %bb.170:
	s_cmp_lt_i32 s8, 3
	s_cbranch_scc1 .LBB233_176
; %bb.171:
	s_cmp_gt_i32 s8, 3
	s_cbranch_scc0 .LBB233_173
; %bb.172:
	v_trunc_f32_e32 v0, v4
	s_mov_b32 s4, 0x2f800000
	v_mul_f32_e64 v1, |v0|, s4
	v_floor_f32_e32 v1, v1
	s_mov_b32 s4, 0xcf800000
	v_cvt_u32_f32_e32 v5, v1
	v_fma_f32 v1, v1, s4, |v0|
	v_cvt_u32_f32_e32 v1, v1
	v_ashrrev_i32_e32 v6, 31, v0
	v_xor_b32_e32 v5, v5, v6
	s_mov_b64 s[4:5], 0
	v_xor_b32_e32 v0, v1, v6
	v_sub_co_u32_e32 v0, vcc, v0, v6
	s_nop 1
	v_subb_co_u32_e32 v1, vcc, v5, v6, vcc
	global_store_dwordx2 v[2:3], v[0:1], off
.LBB233_173:
	s_andn2_b64 vcc, exec, s[4:5]
	s_cbranch_vccnz .LBB233_175
; %bb.174:
	v_cvt_i32_f32_e32 v0, v4
	global_store_dword v[2:3], v0, off
.LBB233_175:
	s_mov_b64 s[4:5], 0
.LBB233_176:
	s_andn2_b64 vcc, exec, s[4:5]
	s_cbranch_vccnz .LBB233_178
; %bb.177:
	v_cvt_i32_f32_e32 v0, v4
	global_store_short v[2:3], v0, off
.LBB233_178:
	s_mov_b64 s[4:5], 0
.LBB233_179:
	s_andn2_b64 vcc, exec, s[4:5]
	s_cbranch_vccnz .LBB233_184
; %bb.180:
	s_cmp_gt_i32 s8, 0
	s_mov_b64 s[4:5], -1
	s_cbranch_scc0 .LBB233_182
; %bb.181:
	v_cvt_i32_f32_e32 v0, v4
	s_mov_b64 s[4:5], 0
	global_store_byte v[2:3], v0, off
.LBB233_182:
	s_andn2_b64 vcc, exec, s[4:5]
	s_cbranch_vccnz .LBB233_184
; %bb.183:
	v_trunc_f32_e32 v0, v4
	s_mov_b32 s4, 0x2f800000
	v_mul_f32_e64 v1, |v0|, s4
	v_floor_f32_e32 v1, v1
	s_mov_b32 s4, 0xcf800000
	v_fma_f32 v1, v1, s4, |v0|
	v_cvt_u32_f32_e32 v1, v1
	v_ashrrev_i32_e32 v0, 31, v0
	v_xor_b32_e32 v1, v1, v0
	v_sub_u32_e32 v0, v1, v0
	global_store_byte v[2:3], v0, off
.LBB233_184:
.LBB233_185:
	v_add_u32_e32 v12, 0x80, v12
	s_mov_b64 s[4:5], -1
	s_branch .LBB233_296
.LBB233_186:
	s_mov_b64 s[6:7], -1
                                        ; implicit-def: $vgpr0_vgpr1
.LBB233_187:
	s_mov_b64 s[4:5], 0
.LBB233_188:
	s_and_b64 vcc, exec, s[4:5]
	s_cbranch_vccz .LBB233_192
; %bb.189:
	s_cmp_eq_u32 s10, 29
	s_cbranch_scc0 .LBB233_191
; %bb.190:
	global_load_dwordx2 v[0:1], v[4:5], off
	s_mov_b64 s[2:3], -1
	s_mov_b64 s[6:7], 0
	s_mov_b64 s[4:5], 0
	s_waitcnt vmcnt(0)
	v_ffbh_u32_e32 v3, v1
	v_min_u32_e32 v3, 32, v3
	v_lshlrev_b64 v[0:1], v3, v[0:1]
	v_min_u32_e32 v0, 1, v0
	v_or_b32_e32 v0, v1, v0
	v_cvt_f32_u32_e32 v0, v0
	v_sub_u32_e32 v3, 32, v3
	v_mov_b32_e32 v1, 0
	v_ldexp_f32 v0, v0, v3
	s_branch .LBB233_193
.LBB233_191:
	s_mov_b64 s[6:7], -1
                                        ; implicit-def: $vgpr0_vgpr1
.LBB233_192:
	s_mov_b64 s[4:5], 0
.LBB233_193:
	s_and_b64 vcc, exec, s[4:5]
	s_cbranch_vccz .LBB233_213
; %bb.194:
	s_cmp_lt_i32 s10, 27
	s_cbranch_scc1 .LBB233_197
; %bb.195:
	s_cmp_gt_i32 s10, 27
	s_cbranch_scc0 .LBB233_198
; %bb.196:
	global_load_dword v0, v[4:5], off
	v_mov_b32_e32 v1, 0
	s_mov_b64 s[2:3], 0
	s_waitcnt vmcnt(0)
	v_cvt_f32_u32_e32 v0, v0
	s_branch .LBB233_199
.LBB233_197:
	s_mov_b64 s[2:3], -1
                                        ; implicit-def: $vgpr0_vgpr1
	s_branch .LBB233_202
.LBB233_198:
	s_mov_b64 s[2:3], -1
                                        ; implicit-def: $vgpr0_vgpr1
.LBB233_199:
	s_andn2_b64 vcc, exec, s[2:3]
	s_cbranch_vccnz .LBB233_201
; %bb.200:
	global_load_ushort v0, v[4:5], off
	v_mov_b32_e32 v1, 0
	s_waitcnt vmcnt(0)
	v_cvt_f32_u32_e32 v0, v0
.LBB233_201:
	s_mov_b64 s[2:3], 0
.LBB233_202:
	s_andn2_b64 vcc, exec, s[2:3]
	s_cbranch_vccnz .LBB233_212
; %bb.203:
	global_load_ubyte v3, v[4:5], off
	s_movk_i32 s2, 0x7f
	s_waitcnt vmcnt(0)
	v_cmp_lt_i16_e32 vcc, s2, v3
	s_mov_b64 s[2:3], 0
	s_and_saveexec_b64 s[4:5], vcc
	s_xor_b64 s[4:5], exec, s[4:5]
	s_cbranch_execz .LBB233_207
; %bb.204:
	s_movk_i32 s2, 0x80
	v_cmp_eq_u16_e32 vcc, s2, v3
	s_mov_b64 s[2:3], -1
	s_and_saveexec_b64 s[8:9], vcc
; %bb.205:
	s_xor_b64 s[2:3], exec, -1
; %bb.206:
	s_or_b64 exec, exec, s[8:9]
	s_and_b64 s[2:3], s[2:3], exec
.LBB233_207:
	s_or_saveexec_b64 s[4:5], s[4:5]
	v_mov_b32_e32 v0, 0x7f800001
	v_mov_b32_e32 v1, 0
	s_xor_b64 exec, exec, s[4:5]
; %bb.208:
	v_cmp_ne_u16_e32 vcc, 0, v3
	s_andn2_b64 s[2:3], s[2:3], exec
	s_and_b64 s[8:9], vcc, exec
	v_mov_b32_e32 v0, v1
	s_or_b64 s[2:3], s[2:3], s[8:9]
; %bb.209:
	s_or_b64 exec, exec, s[4:5]
	s_and_saveexec_b64 s[4:5], s[2:3]
	s_cbranch_execz .LBB233_211
; %bb.210:
	v_and_b32_e32 v1, 0xffff, v3
	v_lshlrev_b32_e32 v0, 24, v3
	v_and_b32_e32 v3, 7, v1
	v_ffbh_u32_e32 v7, v3
	v_min_u32_e32 v7, 32, v7
	v_subrev_u32_e32 v8, 28, v7
	v_bfe_u32 v6, v1, 3, 4
	v_lshlrev_b32_e32 v1, v8, v1
	v_sub_u32_e32 v7, 29, v7
	v_and_b32_e32 v1, 7, v1
	v_cmp_eq_u32_e32 vcc, 0, v6
	v_and_b32_e32 v0, 0x80000000, v0
	s_nop 0
	v_cndmask_b32_e32 v6, v6, v7, vcc
	v_cndmask_b32_e32 v1, v3, v1, vcc
	v_mov_b32_e32 v3, 0x3b800000
	v_lshlrev_b32_e32 v1, 20, v1
	v_lshl_add_u32 v3, v6, 23, v3
	v_or3_b32 v0, v0, v3, v1
	v_mov_b32_e32 v1, 0
.LBB233_211:
	s_or_b64 exec, exec, s[4:5]
.LBB233_212:
	s_mov_b64 s[2:3], -1
.LBB233_213:
	s_branch .LBB233_246
.LBB233_214:
	s_cmp_gt_i32 s10, 22
	s_cbranch_scc0 .LBB233_226
; %bb.215:
	s_cmp_lt_i32 s10, 24
	s_cbranch_scc1 .LBB233_227
; %bb.216:
	s_cmp_gt_i32 s10, 24
	s_cbranch_scc0 .LBB233_228
; %bb.217:
	global_load_ubyte v3, v[4:5], off
	s_movk_i32 s2, 0x7f
	s_waitcnt vmcnt(0)
	v_cmp_lt_i16_e32 vcc, s2, v3
	s_mov_b64 s[2:3], 0
	s_and_saveexec_b64 s[4:5], vcc
	s_xor_b64 s[4:5], exec, s[4:5]
	s_cbranch_execz .LBB233_221
; %bb.218:
	s_movk_i32 s2, 0x80
	v_cmp_eq_u16_e32 vcc, s2, v3
	s_mov_b64 s[2:3], -1
	s_and_saveexec_b64 s[8:9], vcc
; %bb.219:
	s_xor_b64 s[2:3], exec, -1
; %bb.220:
	s_or_b64 exec, exec, s[8:9]
	s_and_b64 s[2:3], s[2:3], exec
.LBB233_221:
	s_or_saveexec_b64 s[4:5], s[4:5]
	v_mov_b32_e32 v0, 0x7f800001
	v_mov_b32_e32 v1, 0
	s_xor_b64 exec, exec, s[4:5]
; %bb.222:
	v_cmp_ne_u16_e32 vcc, 0, v3
	s_andn2_b64 s[2:3], s[2:3], exec
	s_and_b64 s[8:9], vcc, exec
	v_mov_b32_e32 v0, v1
	s_or_b64 s[2:3], s[2:3], s[8:9]
; %bb.223:
	s_or_b64 exec, exec, s[4:5]
	s_and_saveexec_b64 s[4:5], s[2:3]
	s_cbranch_execz .LBB233_225
; %bb.224:
	v_and_b32_e32 v1, 0xffff, v3
	v_lshlrev_b32_e32 v0, 24, v3
	v_and_b32_e32 v3, 3, v1
	v_ffbh_u32_e32 v7, v3
	v_min_u32_e32 v7, 32, v7
	v_subrev_u32_e32 v8, 29, v7
	v_bfe_u32 v6, v1, 2, 5
	v_lshlrev_b32_e32 v1, v8, v1
	v_sub_u32_e32 v7, 30, v7
	v_and_b32_e32 v1, 3, v1
	v_cmp_eq_u32_e32 vcc, 0, v6
	v_and_b32_e32 v0, 0x80000000, v0
	s_nop 0
	v_cndmask_b32_e32 v6, v6, v7, vcc
	v_cndmask_b32_e32 v1, v3, v1, vcc
	v_mov_b32_e32 v3, 0x37800000
	v_lshlrev_b32_e32 v1, 21, v1
	v_lshl_add_u32 v3, v6, 23, v3
	v_or3_b32 v0, v0, v3, v1
	v_mov_b32_e32 v1, 0
.LBB233_225:
	s_or_b64 exec, exec, s[4:5]
	s_mov_b64 s[2:3], 0
	s_branch .LBB233_229
.LBB233_226:
	s_mov_b64 s[4:5], -1
                                        ; implicit-def: $vgpr0_vgpr1
	s_branch .LBB233_235
.LBB233_227:
	s_mov_b64 s[2:3], -1
                                        ; implicit-def: $vgpr0_vgpr1
	s_branch .LBB233_232
.LBB233_228:
	s_mov_b64 s[2:3], -1
                                        ; implicit-def: $vgpr0_vgpr1
.LBB233_229:
	s_and_b64 vcc, exec, s[2:3]
	s_cbranch_vccz .LBB233_231
; %bb.230:
	global_load_ubyte v0, v[4:5], off
	s_mov_b32 s2, 0x7f800000
	s_brev_b32 s3, 1
	s_waitcnt vmcnt(0)
	v_lshlrev_b32_e32 v0, 24, v0
	v_and_b32_e32 v1, 0x7f000000, v0
	v_ffbh_u32_e32 v3, v1
	v_min_u32_e32 v3, 32, v3
	v_sub_u32_e64 v3, v3, 4 clamp
	v_lshlrev_b32_e32 v7, v3, v1
	v_lshlrev_b32_e32 v3, 23, v3
	v_lshrrev_b32_e32 v7, 4, v7
	v_add_u32_e32 v6, 0x1000000, v1
	v_sub_u32_e32 v3, v7, v3
	v_ashrrev_i32_e32 v6, 8, v6
	v_add_u32_e32 v3, 0x3c000000, v3
	v_and_or_b32 v3, v6, s2, v3
	v_cmp_ne_u32_e32 vcc, 0, v1
	s_nop 1
	v_cndmask_b32_e32 v1, 0, v3, vcc
	v_and_or_b32 v0, v0, s3, v1
	v_mov_b32_e32 v1, 0
.LBB233_231:
	s_mov_b64 s[2:3], 0
.LBB233_232:
	s_andn2_b64 vcc, exec, s[2:3]
	s_cbranch_vccnz .LBB233_234
; %bb.233:
	global_load_ubyte v0, v[4:5], off
	s_movk_i32 s2, 0x7f00
	s_brev_b32 s3, 16
	s_brev_b32 s4, 1
	s_waitcnt vmcnt(0)
	v_lshlrev_b16_e32 v1, 8, v0
	v_lshlrev_b32_e32 v0, 25, v0
	v_lshrrev_b32_e32 v3, 4, v0
	v_and_or_b32 v6, v1, s2, 0.5
	v_or_b32_e32 v3, 0x70000000, v3
	v_add_f32_e32 v6, -0.5, v6
	v_mul_f32_e32 v3, 0x7800000, v3
	v_cmp_gt_u32_e32 vcc, s3, v0
	v_bfe_i32 v1, v1, 0, 16
	s_nop 0
	v_cndmask_b32_e32 v0, v3, v6, vcc
	v_and_or_b32 v0, v1, s4, v0
	v_mov_b32_e32 v1, 0
.LBB233_234:
	s_mov_b64 s[4:5], 0
	s_mov_b64 s[2:3], -1
.LBB233_235:
	s_andn2_b64 vcc, exec, s[4:5]
	s_cbranch_vccnz .LBB233_246
; %bb.236:
	s_cmp_gt_i32 s10, 14
	s_cbranch_scc0 .LBB233_239
; %bb.237:
	s_cmp_eq_u32 s10, 15
	s_cbranch_scc0 .LBB233_240
; %bb.238:
	global_load_ushort v0, v[4:5], off
	v_mov_b32_e32 v1, 0
	s_mov_b64 s[2:3], -1
	s_mov_b64 s[6:7], 0
	s_waitcnt vmcnt(0)
	v_lshlrev_b32_e32 v0, 16, v0
	s_branch .LBB233_241
.LBB233_239:
	s_mov_b64 s[4:5], -1
                                        ; implicit-def: $vgpr0_vgpr1
	s_branch .LBB233_242
.LBB233_240:
	s_mov_b64 s[6:7], -1
                                        ; implicit-def: $vgpr0_vgpr1
.LBB233_241:
	s_mov_b64 s[4:5], 0
.LBB233_242:
	s_and_b64 vcc, exec, s[4:5]
	s_cbranch_vccz .LBB233_246
; %bb.243:
	s_cmp_eq_u32 s10, 11
	s_cbranch_scc0 .LBB233_245
; %bb.244:
	global_load_ubyte v0, v[4:5], off
	v_mov_b32_e32 v1, 0
	s_mov_b64 s[2:3], -1
	s_mov_b64 s[6:7], 0
	s_waitcnt vmcnt(0)
	v_cmp_ne_u16_e32 vcc, 0, v0
	s_nop 1
	v_cndmask_b32_e64 v0, 0, 1.0, vcc
	s_branch .LBB233_246
.LBB233_245:
	s_mov_b64 s[6:7], -1
                                        ; implicit-def: $vgpr0_vgpr1
.LBB233_246:
	s_branch .LBB233_25
.LBB233_247:
	s_cmp_lt_i32 s10, 5
	s_cbranch_scc1 .LBB233_252
; %bb.248:
	s_cmp_lt_i32 s10, 8
	s_cbranch_scc1 .LBB233_253
; %bb.249:
	;; [unrolled: 3-line block ×3, first 2 shown]
	s_cmp_gt_i32 s10, 9
	s_cbranch_scc0 .LBB233_255
; %bb.251:
	global_load_dwordx4 v[6:9], v[4:5], off
	s_mov_b64 s[2:3], 0
	s_waitcnt vmcnt(0)
	v_cvt_f32_f64_e32 v1, v[8:9]
	v_cvt_f32_f64_e32 v0, v[6:7]
	s_branch .LBB233_256
.LBB233_252:
                                        ; implicit-def: $vgpr0_vgpr1
	s_branch .LBB233_274
.LBB233_253:
	s_mov_b64 s[2:3], -1
                                        ; implicit-def: $vgpr0_vgpr1
	s_branch .LBB233_262
.LBB233_254:
	s_mov_b64 s[2:3], -1
                                        ; implicit-def: $vgpr0_vgpr1
	s_branch .LBB233_259
.LBB233_255:
	s_mov_b64 s[2:3], -1
                                        ; implicit-def: $vgpr0_vgpr1
.LBB233_256:
	s_andn2_b64 vcc, exec, s[2:3]
	s_cbranch_vccnz .LBB233_258
; %bb.257:
	global_load_dwordx2 v[0:1], v[4:5], off
.LBB233_258:
	s_mov_b64 s[2:3], 0
.LBB233_259:
	s_andn2_b64 vcc, exec, s[2:3]
	s_cbranch_vccnz .LBB233_261
; %bb.260:
	global_load_dword v0, v[4:5], off
	s_waitcnt vmcnt(0)
	v_cvt_f32_f16_sdwa v1, v0 dst_sel:DWORD dst_unused:UNUSED_PAD src0_sel:WORD_1
	v_cvt_f32_f16_e32 v0, v0
.LBB233_261:
	s_mov_b64 s[2:3], 0
.LBB233_262:
	s_andn2_b64 vcc, exec, s[2:3]
	s_cbranch_vccnz .LBB233_273
; %bb.263:
	s_cmp_lt_i32 s10, 6
	s_cbranch_scc1 .LBB233_266
; %bb.264:
	s_cmp_gt_i32 s10, 6
	s_cbranch_scc0 .LBB233_267
; %bb.265:
	global_load_dwordx2 v[6:7], v[4:5], off
	s_waitcnt vmcnt(1)
	v_mov_b32_e32 v1, 0
	s_mov_b64 s[2:3], 0
	s_waitcnt vmcnt(0)
	v_cvt_f32_f64_e32 v0, v[6:7]
	s_branch .LBB233_268
.LBB233_266:
	s_mov_b64 s[2:3], -1
                                        ; implicit-def: $vgpr0_vgpr1
	s_branch .LBB233_271
.LBB233_267:
	s_mov_b64 s[2:3], -1
                                        ; implicit-def: $vgpr0_vgpr1
.LBB233_268:
	s_andn2_b64 vcc, exec, s[2:3]
	s_cbranch_vccnz .LBB233_270
; %bb.269:
	global_load_dword v0, v[4:5], off
	s_waitcnt vmcnt(1)
	v_mov_b32_e32 v1, 0
.LBB233_270:
	s_mov_b64 s[2:3], 0
.LBB233_271:
	s_andn2_b64 vcc, exec, s[2:3]
	s_cbranch_vccnz .LBB233_273
; %bb.272:
	global_load_ushort v0, v[4:5], off
	s_waitcnt vmcnt(1)
	v_mov_b32_e32 v1, 0
	s_waitcnt vmcnt(0)
	v_cvt_f32_f16_e32 v0, v0
.LBB233_273:
	s_cbranch_execnz .LBB233_293
.LBB233_274:
	s_cmp_lt_i32 s10, 2
	s_cbranch_scc1 .LBB233_278
; %bb.275:
	s_cmp_lt_i32 s10, 3
	s_cbranch_scc1 .LBB233_279
; %bb.276:
	s_cmp_gt_i32 s10, 3
	s_cbranch_scc0 .LBB233_280
; %bb.277:
	global_load_dwordx2 v[0:1], v[4:5], off
	s_mov_b64 s[2:3], 0
	s_waitcnt vmcnt(0)
	v_xor_b32_e32 v6, v0, v1
	v_ffbh_i32_e32 v3, v1
	v_ashrrev_i32_e32 v6, 31, v6
	v_add_u32_e32 v3, -1, v3
	v_add_u32_e32 v6, 32, v6
	v_min_u32_e32 v3, v3, v6
	v_lshlrev_b64 v[0:1], v3, v[0:1]
	v_min_u32_e32 v0, 1, v0
	v_or_b32_e32 v0, v1, v0
	v_cvt_f32_i32_e32 v0, v0
	v_sub_u32_e32 v3, 32, v3
	v_mov_b32_e32 v1, 0
	v_ldexp_f32 v0, v0, v3
	s_branch .LBB233_281
.LBB233_278:
	s_mov_b64 s[2:3], -1
                                        ; implicit-def: $vgpr0_vgpr1
	s_branch .LBB233_287
.LBB233_279:
	s_mov_b64 s[2:3], -1
                                        ; implicit-def: $vgpr0_vgpr1
	s_branch .LBB233_284
.LBB233_280:
	s_mov_b64 s[2:3], -1
                                        ; implicit-def: $vgpr0_vgpr1
.LBB233_281:
	s_andn2_b64 vcc, exec, s[2:3]
	s_cbranch_vccnz .LBB233_283
; %bb.282:
	global_load_dword v0, v[4:5], off
	s_waitcnt vmcnt(1)
	v_mov_b32_e32 v1, 0
	s_waitcnt vmcnt(0)
	v_cvt_f32_i32_e32 v0, v0
.LBB233_283:
	s_mov_b64 s[2:3], 0
.LBB233_284:
	s_andn2_b64 vcc, exec, s[2:3]
	s_cbranch_vccnz .LBB233_286
; %bb.285:
	global_load_sshort v0, v[4:5], off
	s_waitcnt vmcnt(1)
	v_mov_b32_e32 v1, 0
	s_waitcnt vmcnt(0)
	v_cvt_f32_i32_e32 v0, v0
.LBB233_286:
	s_mov_b64 s[2:3], 0
.LBB233_287:
	s_andn2_b64 vcc, exec, s[2:3]
	s_cbranch_vccnz .LBB233_293
; %bb.288:
	s_cmp_gt_i32 s10, 0
	s_cbranch_scc0 .LBB233_290
; %bb.289:
	global_load_sbyte v0, v[4:5], off
	s_waitcnt vmcnt(1)
	v_mov_b32_e32 v1, 0
	s_mov_b64 s[2:3], 0
	s_waitcnt vmcnt(0)
	v_cvt_f32_i32_e32 v0, v0
	s_branch .LBB233_291
.LBB233_290:
	s_mov_b64 s[2:3], -1
                                        ; implicit-def: $vgpr0_vgpr1
.LBB233_291:
	s_andn2_b64 vcc, exec, s[2:3]
	s_cbranch_vccnz .LBB233_293
; %bb.292:
	global_load_ubyte v0, v[4:5], off
	s_waitcnt vmcnt(1)
	v_mov_b32_e32 v1, 0
	s_waitcnt vmcnt(0)
	v_cvt_f32_ubyte0_e32 v0, v0
.LBB233_293:
	s_branch .LBB233_26
.LBB233_294:
	s_mov_b64 s[2:3], 0
.LBB233_295:
	s_mov_b64 s[4:5], 0
                                        ; implicit-def: $vgpr12
.LBB233_296:
	s_and_b64 s[54:55], s[2:3], exec
	s_and_b64 s[56:57], s[6:7], exec
	s_orn2_b64 s[4:5], s[4:5], exec
.LBB233_297:
	s_or_b64 exec, exec, s[58:59]
	s_mov_b64 s[8:9], 0
	s_mov_b64 s[2:3], 0
                                        ; implicit-def: $vgpr4_vgpr5
                                        ; implicit-def: $vgpr2
                                        ; implicit-def: $vgpr0_vgpr1
	s_and_saveexec_b64 s[58:59], s[4:5]
	s_cbranch_execz .LBB233_305
; %bb.298:
	v_cmp_gt_i32_e32 vcc, s70, v12
	s_mov_b64 s[2:3], -1
	s_mov_b64 s[60:61], s[56:57]
	s_mov_b64 s[62:63], s[54:55]
	s_and_saveexec_b64 s[64:65], vcc
	s_cbranch_execz .LBB233_604
; %bb.299:
	s_andn2_b64 vcc, exec, s[42:43]
	s_cbranch_vccnz .LBB233_308
; %bb.300:
	s_andn2_b64 vcc, exec, s[52:53]
	s_cbranch_vccnz .LBB233_309
; %bb.301:
	s_add_i32 s63, s75, 1
	s_cmp_eq_u32 s72, 2
	s_cbranch_scc1 .LBB233_310
; %bb.302:
	s_and_b32 s62, s63, 28
	s_mov_b32 s66, 0
	v_mov_b32_e32 v2, 0
	s_waitcnt vmcnt(0)
	v_mov_b32_e32 v0, 0
	s_mov_b64 s[2:3], s[34:35]
	s_mov_b64 s[60:61], s[50:51]
	v_mov_b32_e32 v4, v12
.LBB233_303:                            ; =>This Inner Loop Header: Depth=1
	s_load_dwordx8 s[12:19], s[2:3], 0x4
	s_load_dwordx4 s[36:39], s[2:3], 0x24
	s_load_dwordx8 s[4:11], s[60:61], 0x0
	s_add_u32 s2, s2, 48
	s_addc_u32 s3, s3, 0
	s_waitcnt lgkmcnt(0)
	v_mul_hi_u32 v1, s13, v4
	v_add_u32_e32 v1, v4, v1
	v_lshrrev_b32_e32 v1, s14, v1
	v_mul_lo_u32 v3, v1, s12
	v_mul_hi_u32 v5, s16, v1
	v_sub_u32_e32 v3, v4, v3
	v_add_u32_e32 v4, v1, v5
	v_lshrrev_b32_e32 v4, s17, v4
	v_mul_lo_u32 v6, v4, s15
	v_mul_hi_u32 v7, s19, v4
	v_sub_u32_e32 v1, v1, v6
	v_add_u32_e32 v6, v4, v7
	v_mul_lo_u32 v5, v3, s5
	v_mul_lo_u32 v3, v3, s4
	;; [unrolled: 1-line block ×4, first 2 shown]
	v_lshrrev_b32_e32 v6, s36, v6
	v_add3_u32 v1, v3, v2, v1
	v_mul_hi_u32 v3, s38, v6
	v_mul_lo_u32 v2, v6, s18
	v_add_u32_e32 v3, v6, v3
	v_sub_u32_e32 v2, v4, v2
	v_lshrrev_b32_e32 v4, s39, v3
	s_add_i32 s66, s66, 4
	v_mul_lo_u32 v3, v4, s37
	s_add_u32 s60, s60, 32
	v_sub_u32_e32 v3, v6, v3
	s_addc_u32 s61, s61, 0
	v_add3_u32 v0, v5, v0, v7
	v_mul_lo_u32 v5, v2, s8
	v_mul_lo_u32 v2, v2, s9
	;; [unrolled: 1-line block ×4, first 2 shown]
	s_cmp_eq_u32 s62, s66
	v_add3_u32 v0, v2, v0, v3
	v_add3_u32 v2, v5, v1, v6
	s_cbranch_scc0 .LBB233_303
; %bb.304:
	v_mov_b32_e32 v1, v0
	s_branch .LBB233_311
.LBB233_305:
	s_or_b64 exec, exec, s[58:59]
	s_mov_b64 s[6:7], 0
	s_and_saveexec_b64 s[4:5], s[56:57]
	s_cbranch_execnz .LBB233_1012
.LBB233_306:
	s_or_b64 exec, exec, s[4:5]
	s_and_saveexec_b64 s[4:5], s[62:63]
	s_xor_b64 s[4:5], exec, s[4:5]
	s_cbranch_execz .LBB233_1013
.LBB233_307:
	global_load_ubyte v0, v[4:5], off
	s_waitcnt vmcnt(1)
	v_mov_b32_e32 v1, 0
	s_or_b64 s[2:3], s[2:3], exec
	s_waitcnt vmcnt(0)
	v_cmp_ne_u16_e32 vcc, 0, v0
	s_nop 1
	v_cndmask_b32_e64 v0, 0, 1.0, vcc
	s_or_b64 exec, exec, s[4:5]
	s_and_saveexec_b64 s[4:5], s[8:9]
	s_cbranch_execz .LBB233_1059
	s_branch .LBB233_1014
.LBB233_308:
                                        ; implicit-def: $vgpr0
                                        ; implicit-def: $vgpr2
	s_andn2_b64 vcc, exec, s[2:3]
	s_cbranch_vccz .LBB233_315
	s_branch .LBB233_317
.LBB233_309:
	s_waitcnt vmcnt(0)
	v_mov_b32_e32 v0, 0
	v_mov_b32_e32 v2, 0
	s_branch .LBB233_314
.LBB233_310:
	v_mov_b32_e32 v2, 0
	s_mov_b32 s62, 0
	s_waitcnt vmcnt(0)
	v_mov_b32_e32 v1, v2
                                        ; implicit-def: $vgpr0
	v_mov_b32_e32 v4, v12
.LBB233_311:
	s_and_b32 s6, s63, 3
	s_cmp_eq_u32 s6, 0
	s_cbranch_scc1 .LBB233_314
; %bb.312:
	s_lshl_b32 s2, s62, 3
	s_add_u32 s2, s34, s2
	s_addc_u32 s3, s35, 0
	s_add_u32 s2, s2, 0xc4
	s_addc_u32 s3, s3, 0
	s_mul_i32 s4, s62, 12
	s_add_u32 s4, s34, s4
	s_addc_u32 s5, s35, 0
.LBB233_313:                            ; =>This Inner Loop Header: Depth=1
	s_load_dwordx2 s[8:9], s[4:5], 0x4
	s_load_dword s7, s[4:5], 0xc
	s_load_dwordx2 s[10:11], s[2:3], 0x0
	v_mov_b32_e32 v0, v1
	s_add_u32 s4, s4, 12
	s_waitcnt lgkmcnt(0)
	v_mul_hi_u32 v1, s9, v4
	v_add_u32_e32 v1, v4, v1
	v_lshrrev_b32_e32 v1, s7, v1
	s_addc_u32 s5, s5, 0
	v_mul_lo_u32 v3, v1, s8
	s_add_u32 s2, s2, 8
	v_sub_u32_e32 v3, v4, v3
	s_addc_u32 s3, s3, 0
	s_add_i32 s6, s6, -1
	v_mov_b32_e32 v4, v1
	v_mad_u64_u32 v[0:1], s[8:9], v3, s11, v[0:1]
	s_cmp_lg_u32 s6, 0
	v_mad_u64_u32 v[2:3], s[8:9], v3, s10, v[2:3]
	v_mov_b32_e32 v1, v0
	s_cbranch_scc1 .LBB233_313
.LBB233_314:
	s_cbranch_execnz .LBB233_317
.LBB233_315:
	s_waitcnt vmcnt(0) lgkmcnt(0)
	v_mul_hi_u32 v0, s29, v12
	v_add_u32_e32 v0, v12, v0
	v_lshrrev_b32_e32 v1, s30, v0
	v_mul_lo_u32 v0, v1, s28
	v_sub_u32_e32 v2, v12, v0
	v_mul_lo_u32 v0, v2, s25
	s_andn2_b64 vcc, exec, s[48:49]
	v_mul_lo_u32 v2, v2, s24
	s_cbranch_vccnz .LBB233_317
; %bb.316:
	v_mul_hi_u32 v3, s46, v1
	v_add_u32_e32 v3, v1, v3
	v_lshrrev_b32_e32 v3, s47, v3
	v_mul_lo_u32 v3, v3, s31
	v_sub_u32_e32 v1, v1, v3
	v_mad_u64_u32 v[2:3], s[2:3], v1, s26, v[2:3]
	v_mad_u64_u32 v[0:1], s[2:3], v1, s27, v[0:1]
.LBB233_317:
	s_waitcnt vmcnt(0)
	v_mov_b32_e32 v1, 0
	s_and_b32 s10, 0xffff, s74
	s_cmp_lt_i32 s10, 11
	s_waitcnt lgkmcnt(0)
	v_lshl_add_u64 v[4:5], s[22:23], 0, v[0:1]
	s_cbranch_scc1 .LBB233_324
; %bb.318:
	s_cmp_gt_i32 s10, 25
	s_cbranch_scc0 .LBB233_338
; %bb.319:
	s_cmp_gt_i32 s10, 28
	s_cbranch_scc0 .LBB233_339
	;; [unrolled: 3-line block ×4, first 2 shown]
; %bb.322:
	s_cmp_eq_u32 s10, 46
	s_mov_b64 s[4:5], 0
	s_cbranch_scc0 .LBB233_375
; %bb.323:
	global_load_dword v0, v[4:5], off
	s_mov_b64 s[2:3], -1
	s_mov_b64 s[6:7], 0
	s_waitcnt vmcnt(0)
	v_and_b32_e32 v1, 0xffff0000, v0
	v_lshlrev_b32_e32 v0, 16, v0
	s_branch .LBB233_376
.LBB233_324:
	s_mov_b64 s[2:3], 0
                                        ; implicit-def: $vgpr0_vgpr1
	s_mov_b64 s[6:7], s[56:57]
	s_cbranch_execnz .LBB233_553
.LBB233_325:
	s_andn2_b64 vcc, exec, s[2:3]
	s_cbranch_vccnz .LBB233_601
.LBB233_326:
	s_waitcnt vmcnt(0)
	v_cmp_neq_f32_e32 vcc, 0, v0
	v_cmp_neq_f32_e64 s[2:3], 0, v1
	v_mov_b32_e32 v4, 0
	s_or_b64 s[2:3], vcc, s[2:3]
	s_and_saveexec_b64 s[8:9], s[2:3]
	s_cbranch_execz .LBB233_362
; %bb.327:
	v_mov_b32_e32 v4, 0x7f800000
	v_cmp_neq_f32_e64 s[2:3], |v1|, v4
	s_and_saveexec_b64 s[10:11], s[2:3]
	s_cbranch_execz .LBB233_361
; %bb.328:
	v_cmp_o_f32_e32 vcc, v0, v0
                                        ; implicit-def: $vgpr4
	s_and_saveexec_b64 s[2:3], vcc
	s_xor_b64 s[12:13], exec, s[2:3]
	s_cbranch_execz .LBB233_358
; %bb.329:
	s_mov_b32 s2, 0x7f800000
	v_cmp_neq_f32_e64 s[2:3], |v0|, s2
                                        ; implicit-def: $vgpr4
	s_and_saveexec_b64 s[4:5], s[2:3]
	s_xor_b64 s[14:15], exec, s[4:5]
	s_cbranch_execz .LBB233_351
; %bb.330:
	v_max_f32_e64 v3, |v1|, |v1|
	v_max_f32_e64 v4, |v0|, |v0|
	v_max_f32_e32 v3, v4, v3
	s_mov_b32 s2, 0x7ed413cb
	v_cmp_nle_f32_e64 s[2:3], s2, v3
                                        ; implicit-def: $sgpr16_sgpr17
	s_and_saveexec_b64 s[4:5], s[2:3]
	s_xor_b64 s[4:5], exec, s[4:5]
	s_cbranch_execz .LBB233_334
; %bb.331:
	s_mov_b32 s18, 0x1000000
	v_cmp_le_f32_e64 s[16:17], |v0|, s18
	v_cmp_le_f32_e64 s[18:19], |v1|, s18
	s_and_b64 s[36:37], s[16:17], s[18:19]
	s_mov_b64 s[16:17], 0
	s_and_saveexec_b64 s[18:19], s[36:37]
; %bb.332:
	s_mov_b64 s[16:17], exec
	v_pk_mul_f32 v[0:1], v[0:1], 4.0 op_sel_hi:[1,0]
; %bb.333:
	s_or_b64 exec, exec, s[18:19]
.LBB233_334:
	s_andn2_saveexec_b64 s[4:5], s[4:5]
; %bb.335:
	s_mov_b32 s18, 0x3e800000
	v_pk_mul_f32 v[0:1], v[0:1], s[18:19] op_sel_hi:[1,0]
	s_andn2_b64 s[16:17], s[16:17], exec
; %bb.336:
	s_or_b64 exec, exec, s[4:5]
	v_max_f32_e64 v3, |v1|, |v1|
	v_max_f32_e64 v4, |v0|, |v0|
	v_max_f32_e32 v3, v4, v3
	v_cvt_f64_f32_e32 v[4:5], v3
	v_frexp_exp_i32_f64_e32 v4, v[4:5]
	v_sub_u32_e32 v5, 0, v4
	v_ldexp_f32 v6, |v0|, v5
	v_ldexp_f32 v5, |v1|, v5
	v_mul_f32_e32 v5, v5, v5
	v_fmac_f32_e32 v5, v6, v6
	v_sqrt_f32_e32 v5, v5
	s_mov_b32 s4, 0x7f800000
	v_cmp_neq_f32_e64 s[4:5], s4, v3
	v_cmp_le_f32_e32 vcc, 0, v0
	v_ldexp_f32 v4, v5, v4
	v_mov_b32_e32 v5, 0x7f800000
	v_cndmask_b32_e64 v4, v5, v4, s[4:5]
                                        ; implicit-def: $vgpr5
                                        ; implicit-def: $vgpr3
	s_and_saveexec_b64 s[4:5], vcc
	s_xor_b64 s[18:19], exec, s[4:5]
	s_cbranch_execz .LBB233_344
; %bb.337:
	v_add_f32_e32 v0, v0, v4
	v_mul_f32_e32 v0, 0.5, v0
	s_mov_b32 s4, 0xf800000
	v_mul_f32_e32 v3, 0x4f800000, v0
	v_cmp_gt_f32_e32 vcc, s4, v0
	s_nop 1
	v_cndmask_b32_e32 v0, v0, v3, vcc
	v_sqrt_f32_e32 v3, v0
	s_nop 0
	v_add_u32_e32 v4, -1, v3
	v_fma_f32 v5, -v4, v3, v0
	v_cmp_ge_f32_e64 s[4:5], 0, v5
	v_add_u32_e32 v5, 1, v3
	s_nop 0
	v_cndmask_b32_e64 v4, v3, v4, s[4:5]
	v_fma_f32 v3, -v5, v3, v0
	v_cmp_lt_f32_e64 s[4:5], 0, v3
	s_nop 1
	v_cndmask_b32_e64 v3, v4, v5, s[4:5]
	v_mul_f32_e32 v4, 0x37800000, v3
	v_cndmask_b32_e32 v3, v3, v4, vcc
	v_mov_b32_e32 v4, 0x260
	v_cmp_class_f32_e32 vcc, v0, v4
	s_nop 1
	v_cndmask_b32_e32 v3, v3, v0, vcc
	v_add_f32_e32 v0, v3, v3
	v_div_scale_f32 v4, s[4:5], v0, v0, v1
	v_rcp_f32_e32 v5, v4
	s_nop 0
	v_fma_f32 v6, -v4, v5, 1.0
	v_fmac_f32_e32 v5, v6, v5
	v_div_scale_f32 v6, vcc, v1, v0, v1
	v_mul_f32_e32 v7, v6, v5
	v_fma_f32 v8, -v4, v7, v6
	v_fmac_f32_e32 v7, v8, v5
	v_fma_f32 v4, -v4, v7, v6
	v_div_fmas_f32 v4, v4, v5, v7
	v_div_fixup_f32 v5, v4, v0, v1
                                        ; implicit-def: $vgpr4
                                        ; implicit-def: $vgpr0_vgpr1
	s_andn2_saveexec_b64 s[18:19], s[18:19]
	s_cbranch_execz .LBB233_346
	s_branch .LBB233_345
.LBB233_338:
	s_mov_b64 s[4:5], -1
	s_mov_b64 s[2:3], 0
	s_mov_b64 s[6:7], s[56:57]
                                        ; implicit-def: $vgpr0_vgpr1
	s_branch .LBB233_519
.LBB233_339:
	s_mov_b64 s[4:5], -1
	s_mov_b64 s[2:3], 0
	s_mov_b64 s[6:7], s[56:57]
                                        ; implicit-def: $vgpr0_vgpr1
	s_branch .LBB233_498
.LBB233_340:
	s_mov_b64 s[4:5], -1
	s_mov_b64 s[2:3], 0
	s_mov_b64 s[6:7], s[56:57]
                                        ; implicit-def: $vgpr0_vgpr1
	s_branch .LBB233_493
.LBB233_341:
	s_andn2_saveexec_b64 s[10:11], s[10:11]
	s_cbranch_execz .LBB233_99
.LBB233_342:
	s_mov_b32 s14, 0x46000000
	v_add_f32_e64 v0, |v4|, s14
	v_and_b32_e32 v0, 0xff, v0
	v_cmp_ne_u32_e32 vcc, 0, v0
	s_andn2_b64 s[8:9], s[8:9], exec
	s_and_b64 s[14:15], vcc, exec
	s_or_b64 s[8:9], s[8:9], s[14:15]
	s_or_b64 exec, exec, s[10:11]
	v_mov_b32_e32 v5, 0
	s_and_saveexec_b64 s[10:11], s[8:9]
	s_cbranch_execnz .LBB233_100
	s_branch .LBB233_101
.LBB233_343:
	s_mov_b64 s[4:5], -1
	s_mov_b64 s[2:3], 0
	s_mov_b64 s[6:7], s[56:57]
                                        ; implicit-def: $vgpr0_vgpr1
	s_branch .LBB233_376
.LBB233_344:
	s_andn2_saveexec_b64 s[18:19], s[18:19]
	s_cbranch_execz .LBB233_346
.LBB233_345:
	v_sub_f32_e32 v0, v4, v0
	v_mul_f32_e32 v0, 0.5, v0
	s_mov_b32 s4, 0xf800000
	v_mul_f32_e32 v3, 0x4f800000, v0
	v_cmp_gt_f32_e32 vcc, s4, v0
	s_nop 1
	v_cndmask_b32_e32 v0, v0, v3, vcc
	v_sqrt_f32_e32 v3, v0
	s_nop 0
	v_add_u32_e32 v4, -1, v3
	v_fma_f32 v5, -v4, v3, v0
	v_cmp_ge_f32_e64 s[4:5], 0, v5
	v_add_u32_e32 v5, 1, v3
	s_nop 0
	v_cndmask_b32_e64 v4, v3, v4, s[4:5]
	v_fma_f32 v3, -v5, v3, v0
	v_cmp_lt_f32_e64 s[4:5], 0, v3
	s_nop 1
	v_cndmask_b32_e64 v3, v4, v5, s[4:5]
	v_mul_f32_e32 v4, 0x37800000, v3
	v_cndmask_b32_e32 v3, v3, v4, vcc
	v_mov_b32_e32 v4, 0x260
	v_cmp_class_f32_e32 vcc, v0, v4
	v_and_b32_e32 v4, 0x7fffffff, v1
	s_nop 0
	v_cndmask_b32_e32 v0, v3, v0, vcc
	v_add_f32_e32 v3, v0, v0
	v_div_scale_f32 v5, s[4:5], v3, v3, v4
	v_rcp_f32_e32 v6, v5
	v_div_scale_f32 v4, vcc, v4, v3, v4
	s_brev_b32 s4, -2
	v_fma_f32 v7, -v5, v6, 1.0
	v_fmac_f32_e32 v6, v7, v6
	v_mul_f32_e32 v7, v4, v6
	v_fma_f32 v8, -v5, v7, v4
	v_fmac_f32_e32 v7, v8, v6
	v_fma_f32 v4, -v5, v7, v4
	v_div_fmas_f32 v4, v4, v6, v7
	v_div_fixup_f32 v3, v4, v3, |v1|
	v_bfi_b32 v5, s4, v0, v1
.LBB233_346:
	s_or_b64 exec, exec, s[18:19]
                                        ; implicit-def: $vgpr1
                                        ; implicit-def: $vgpr4
	s_and_saveexec_b64 s[4:5], s[2:3]
	s_xor_b64 s[2:3], exec, s[4:5]
	s_cbranch_execz .LBB233_348
; %bb.347:
	v_mul_f32_e32 v0, 0.5, v3
	v_mul_f32_e32 v1, 0.5, v5
	v_cndmask_b32_e64 v4, v3, v0, s[16:17]
	v_cndmask_b32_e64 v1, v5, v1, s[16:17]
                                        ; implicit-def: $vgpr3
                                        ; implicit-def: $vgpr5
	s_andn2_saveexec_b64 s[2:3], s[2:3]
	s_cbranch_execnz .LBB233_349
	s_branch .LBB233_350
.LBB233_348:
	s_andn2_saveexec_b64 s[2:3], s[2:3]
.LBB233_349:
	v_add_f32_e32 v4, v3, v3
	v_add_f32_e32 v1, v5, v5
.LBB233_350:
	s_or_b64 exec, exec, s[2:3]
.LBB233_351:
	s_andn2_saveexec_b64 s[2:3], s[14:15]
	s_cbranch_execz .LBB233_357
; %bb.352:
	v_sub_f32_e32 v3, v1, v1
	v_cmp_lt_i32_e32 vcc, -1, v0
	s_brev_b32 s14, -2
	v_and_b32_e32 v4, 0x7fffffff, v3
	s_and_saveexec_b64 s[4:5], vcc
	s_xor_b64 s[4:5], exec, s[4:5]
; %bb.353:
	v_bfi_b32 v1, s14, v3, v1
	v_mov_b32_e32 v4, v0
; %bb.354:
	s_andn2_saveexec_b64 s[4:5], s[4:5]
; %bb.355:
	v_bfi_b32 v1, s14, v0, v1
; %bb.356:
	s_or_b64 exec, exec, s[4:5]
.LBB233_357:
	s_or_b64 exec, exec, s[2:3]
.LBB233_358:
	s_andn2_saveexec_b64 s[2:3], s[12:13]
	s_cbranch_execz .LBB233_360
; %bb.359:
	v_sub_f32_e32 v1, v1, v1
	v_div_scale_f32 v3, vcc, v1, v1, v1
	v_rcp_f32_e32 v4, v3
	s_nop 0
	v_fma_f32 v5, -v3, v4, 1.0
	v_fmac_f32_e32 v4, v5, v4
	v_mul_f32_e32 v5, v3, v4
	v_fma_f32 v6, -v3, v5, v3
	v_fmac_f32_e32 v5, v6, v4
	v_fma_f32 v3, -v3, v5, v3
	v_div_fmas_f32 v3, v3, v4, v5
	v_div_fixup_f32 v1, v3, v1, v1
	v_mov_b32_e32 v4, v0
.LBB233_360:
	s_or_b64 exec, exec, s[2:3]
.LBB233_361:
	s_or_b64 exec, exec, s[10:11]
.LBB233_362:
	s_or_b64 exec, exec, s[8:9]
	v_mov_b32_e32 v3, 0
	s_and_b32 s12, s73, 0xff
	s_cmp_lt_i32 s12, 11
	v_lshl_add_u64 v[2:3], s[20:21], 0, v[2:3]
	s_cbranch_scc1 .LBB233_369
; %bb.363:
	s_and_b32 s13, 0xffff, s12
	s_cmp_gt_i32 s13, 25
	s_cbranch_scc0 .LBB233_370
; %bb.364:
	s_cmp_gt_i32 s13, 28
	s_cbranch_scc0 .LBB233_371
; %bb.365:
	;; [unrolled: 3-line block ×4, first 2 shown]
	s_mov_b64 s[8:9], 0
	s_mov_b64 s[2:3], -1
	s_cmp_eq_u32 s13, 46
	s_mov_b64 s[4:5], 0
	s_cbranch_scc0 .LBB233_380
; %bb.368:
	s_movk_i32 s2, 0x7fff
	v_bfe_u32 v5, v1, 16, 1
	v_add3_u32 v5, v1, v5, s2
	v_bfe_u32 v0, v4, 16, 1
	v_and_b32_e32 v5, 0xffff0000, v5
	v_mov_b32_e32 v6, 0x7fc00000
	v_cmp_o_f32_e32 vcc, v1, v1
	v_add3_u32 v0, v4, v0, s2
	s_mov_b64 s[4:5], -1
	v_cndmask_b32_e32 v5, v6, v5, vcc
	v_cmp_o_f32_e32 vcc, v4, v4
	v_mov_b32_e32 v6, 0x7fc0
	s_mov_b64 s[2:3], 0
	v_cndmask_b32_sdwa v0, v6, v0, vcc dst_sel:DWORD dst_unused:UNUSED_PAD src0_sel:DWORD src1_sel:WORD_1
	v_or_b32_e32 v0, v5, v0
	global_store_dword v[2:3], v0, off
	s_branch .LBB233_380
.LBB233_369:
	s_mov_b64 s[8:9], -1
	s_mov_b64 s[4:5], 0
	s_mov_b64 s[2:3], s[54:55]
	s_branch .LBB233_449
.LBB233_370:
	s_mov_b64 s[8:9], -1
	s_mov_b64 s[4:5], 0
	s_mov_b64 s[2:3], s[54:55]
	s_branch .LBB233_407
.LBB233_371:
	s_mov_b64 s[8:9], -1
	s_mov_b64 s[4:5], 0
	s_mov_b64 s[2:3], s[54:55]
	s_branch .LBB233_390
.LBB233_372:
	s_mov_b64 s[8:9], -1
	s_mov_b64 s[4:5], 0
	s_mov_b64 s[2:3], s[54:55]
	s_branch .LBB233_386
.LBB233_373:
	s_andn2_saveexec_b64 s[10:11], s[10:11]
	s_cbranch_execz .LBB233_112
.LBB233_374:
	s_mov_b32 s14, 0x42800000
	v_add_f32_e64 v0, |v4|, s14
	v_and_b32_e32 v0, 0xff, v0
	v_cmp_ne_u32_e32 vcc, 0, v0
	s_andn2_b64 s[8:9], s[8:9], exec
	s_and_b64 s[14:15], vcc, exec
	s_or_b64 s[8:9], s[8:9], s[14:15]
	s_or_b64 exec, exec, s[10:11]
	v_mov_b32_e32 v5, 0
	s_and_saveexec_b64 s[10:11], s[8:9]
	s_cbranch_execnz .LBB233_113
	s_branch .LBB233_114
.LBB233_375:
	s_mov_b64 s[6:7], -1
                                        ; implicit-def: $vgpr0_vgpr1
	s_mov_b64 s[2:3], 0
.LBB233_376:
	s_and_b64 vcc, exec, s[4:5]
	s_cbranch_vccz .LBB233_492
; %bb.377:
	s_cmp_eq_u32 s10, 44
	s_cbranch_scc0 .LBB233_491
; %bb.378:
	global_load_ubyte v0, v[4:5], off
	s_movk_i32 s4, 0xff
	v_mov_b32_e32 v3, 0x7f800001
	v_mov_b32_e32 v6, 0x400000
	;; [unrolled: 1-line block ×3, first 2 shown]
	s_mov_b64 s[2:3], -1
	s_mov_b64 s[6:7], 0
	s_waitcnt vmcnt(0)
	v_lshlrev_b32_e32 v7, 23, v0
	v_cmp_ne_u32_e32 vcc, s4, v0
	s_nop 1
	v_cndmask_b32_e32 v3, v3, v7, vcc
	v_cmp_ne_u32_e32 vcc, 0, v0
	s_nop 1
	v_cndmask_b32_e32 v0, v6, v3, vcc
	s_branch .LBB233_492
.LBB233_379:
	s_mov_b64 s[8:9], -1
	s_mov_b64 s[4:5], 0
	s_mov_b64 s[2:3], s[54:55]
.LBB233_380:
	s_and_b64 vcc, exec, s[8:9]
	s_cbranch_vccz .LBB233_385
; %bb.381:
	s_cmp_eq_u32 s13, 44
	s_mov_b64 s[2:3], -1
	s_cbranch_scc0 .LBB233_385
; %bb.382:
	v_bfe_u32 v0, v4, 23, 8
	s_movk_i32 s2, 0xff
	v_cmp_ne_u32_e32 vcc, s2, v0
	v_mov_b32_e32 v5, 0xff
	s_and_saveexec_b64 s[4:5], vcc
; %bb.383:
	s_mov_b32 s2, 0x3fffff
	v_and_b32_e32 v6, 0x400000, v4
	v_and_or_b32 v0, v4, s2, v0
	v_cmp_ne_u32_e32 vcc, 0, v6
	v_cmp_ne_u32_e64 s[2:3], 0, v0
	s_and_b64 s[2:3], vcc, s[2:3]
	v_lshrrev_b32_e32 v5, 23, v4
	v_cndmask_b32_e64 v0, 0, 1, s[2:3]
	v_add_u32_e32 v5, v5, v0
; %bb.384:
	s_or_b64 exec, exec, s[4:5]
	s_mov_b64 s[4:5], -1
	s_mov_b64 s[2:3], 0
	global_store_byte v[2:3], v5, off
.LBB233_385:
	s_mov_b64 s[8:9], 0
.LBB233_386:
	s_and_b64 vcc, exec, s[8:9]
	s_cbranch_vccz .LBB233_389
; %bb.387:
	s_cmp_eq_u32 s13, 29
	s_mov_b64 s[2:3], -1
	s_cbranch_scc0 .LBB233_389
; %bb.388:
	v_trunc_f32_e32 v0, v4
	v_mul_f32_e32 v5, 0x2f800000, v0
	v_floor_f32_e32 v5, v5
	v_fmamk_f32 v0, v5, 0xcf800000, v0
	v_cvt_u32_f32_e32 v7, v5
	v_cvt_u32_f32_e32 v6, v0
	s_mov_b64 s[4:5], -1
	s_mov_b64 s[2:3], 0
	s_mov_b64 s[8:9], 0
	global_store_dwordx2 v[2:3], v[6:7], off
	s_branch .LBB233_390
.LBB233_389:
	s_mov_b64 s[8:9], 0
.LBB233_390:
	s_and_b64 vcc, exec, s[8:9]
	s_cbranch_vccz .LBB233_406
; %bb.391:
	s_cmp_lt_i32 s13, 27
	s_mov_b64 s[4:5], -1
	s_cbranch_scc1 .LBB233_397
; %bb.392:
	v_cvt_u32_f32_e32 v0, v4
	s_cmp_gt_i32 s13, 27
	s_cbranch_scc0 .LBB233_394
; %bb.393:
	s_mov_b64 s[4:5], 0
	global_store_dword v[2:3], v0, off
.LBB233_394:
	s_andn2_b64 vcc, exec, s[4:5]
	s_cbranch_vccnz .LBB233_396
; %bb.395:
	global_store_short v[2:3], v0, off
.LBB233_396:
	s_mov_b64 s[4:5], 0
.LBB233_397:
	s_andn2_b64 vcc, exec, s[4:5]
	s_cbranch_vccnz .LBB233_405
; %bb.398:
	v_and_b32_e32 v0, 0x7fffffff, v4
	s_mov_b32 s4, 0x43800000
	v_cmp_gt_u32_e32 vcc, s4, v0
	v_mov_b32_e32 v5, 0x80
	s_and_saveexec_b64 s[4:5], vcc
	s_cbranch_execz .LBB233_404
; %bb.399:
	s_mov_b32 s8, 0x3bffffff
	v_cmp_lt_u32_e32 vcc, s8, v0
	s_mov_b64 s[8:9], 0
                                        ; implicit-def: $vgpr0
	s_and_saveexec_b64 s[10:11], vcc
	s_xor_b64 s[10:11], exec, s[10:11]
	s_cbranch_execz .LBB233_633
; %bb.400:
	v_bfe_u32 v0, v4, 20, 1
	s_mov_b32 s14, 0x487ffff
	v_add3_u32 v0, v4, v0, s14
	s_mov_b64 s[8:9], exec
	v_lshrrev_b32_e32 v0, 20, v0
	s_andn2_saveexec_b64 s[10:11], s[10:11]
	s_cbranch_execnz .LBB233_634
.LBB233_401:
	s_or_b64 exec, exec, s[10:11]
	v_mov_b32_e32 v5, 0
	s_and_saveexec_b64 s[10:11], s[8:9]
.LBB233_402:
	v_lshrrev_b32_e32 v5, 24, v4
	s_movk_i32 s8, 0x80
	v_and_or_b32 v5, v5, s8, v0
.LBB233_403:
	s_or_b64 exec, exec, s[10:11]
.LBB233_404:
	s_or_b64 exec, exec, s[4:5]
	global_store_byte v[2:3], v5, off
.LBB233_405:
	s_mov_b64 s[4:5], -1
.LBB233_406:
	s_mov_b64 s[8:9], 0
.LBB233_407:
	s_and_b64 vcc, exec, s[8:9]
	s_cbranch_vccz .LBB233_448
; %bb.408:
	s_cmp_gt_i32 s13, 22
	s_mov_b64 s[8:9], -1
	s_cbranch_scc0 .LBB233_440
; %bb.409:
	s_cmp_lt_i32 s13, 24
	s_mov_b64 s[4:5], -1
	s_cbranch_scc1 .LBB233_429
; %bb.410:
	s_cmp_gt_i32 s13, 24
	s_cbranch_scc0 .LBB233_418
; %bb.411:
	v_and_b32_e32 v0, 0x7fffffff, v4
	s_mov_b32 s4, 0x47800000
	v_cmp_gt_u32_e32 vcc, s4, v0
	v_mov_b32_e32 v5, 0x80
	s_and_saveexec_b64 s[4:5], vcc
	s_cbranch_execz .LBB233_417
; %bb.412:
	s_mov_b32 s8, 0x37ffffff
	v_cmp_lt_u32_e32 vcc, s8, v0
	s_mov_b64 s[8:9], 0
                                        ; implicit-def: $vgpr0
	s_and_saveexec_b64 s[10:11], vcc
	s_xor_b64 s[10:11], exec, s[10:11]
	s_cbranch_execz .LBB233_636
; %bb.413:
	v_bfe_u32 v0, v4, 21, 1
	s_mov_b32 s14, 0x88fffff
	v_add3_u32 v0, v4, v0, s14
	s_mov_b64 s[8:9], exec
	v_lshrrev_b32_e32 v0, 21, v0
	s_andn2_saveexec_b64 s[10:11], s[10:11]
	s_cbranch_execnz .LBB233_637
.LBB233_414:
	s_or_b64 exec, exec, s[10:11]
	v_mov_b32_e32 v5, 0
	s_and_saveexec_b64 s[10:11], s[8:9]
.LBB233_415:
	v_lshrrev_b32_e32 v5, 24, v4
	s_movk_i32 s8, 0x80
	v_and_or_b32 v5, v5, s8, v0
.LBB233_416:
	s_or_b64 exec, exec, s[10:11]
.LBB233_417:
	s_or_b64 exec, exec, s[4:5]
	s_mov_b64 s[4:5], 0
	global_store_byte v[2:3], v5, off
.LBB233_418:
	s_and_b64 vcc, exec, s[4:5]
	s_cbranch_vccz .LBB233_428
; %bb.419:
	v_and_b32_e32 v5, 0x7fffffff, v4
	s_mov_b32 s4, 0x43f00000
	v_cmp_gt_u32_e32 vcc, s4, v5
                                        ; implicit-def: $vgpr0
	s_and_saveexec_b64 s[4:5], vcc
	s_xor_b64 s[4:5], exec, s[4:5]
	s_cbranch_execz .LBB233_425
; %bb.420:
	s_mov_b32 s8, 0x3c7fffff
	v_cmp_lt_u32_e32 vcc, s8, v5
                                        ; implicit-def: $vgpr0
	s_and_saveexec_b64 s[8:9], vcc
	s_xor_b64 s[8:9], exec, s[8:9]
; %bb.421:
	v_bfe_u32 v0, v4, 20, 1
	s_mov_b32 s10, 0x407ffff
	v_add3_u32 v0, v4, v0, s10
	v_lshrrev_b32_e32 v5, 20, v0
	v_and_b32_e32 v0, 0xff00000, v0
	s_mov_b32 s10, 0x7f00000
	v_mov_b32_e32 v6, 0x7e
	v_cmp_ne_u32_e32 vcc, s10, v0
	s_nop 1
	v_cndmask_b32_e32 v0, v6, v5, vcc
; %bb.422:
	s_andn2_saveexec_b64 s[8:9], s[8:9]
; %bb.423:
	s_mov_b32 s10, 0x46800000
	v_add_f32_e64 v0, |v4|, s10
; %bb.424:
	s_or_b64 exec, exec, s[8:9]
                                        ; implicit-def: $vgpr5
.LBB233_425:
	s_andn2_saveexec_b64 s[4:5], s[4:5]
; %bb.426:
	s_mov_b32 s8, 0x7f800000
	v_mov_b32_e32 v0, 0x7e
	v_mov_b32_e32 v6, 0x7f
	v_cmp_lt_u32_e32 vcc, s8, v5
	s_nop 1
	v_cndmask_b32_e32 v0, v0, v6, vcc
; %bb.427:
	s_or_b64 exec, exec, s[4:5]
	v_lshrrev_b32_e32 v5, 24, v4
	s_movk_i32 s4, 0x80
	v_and_or_b32 v0, v5, s4, v0
	global_store_byte v[2:3], v0, off
.LBB233_428:
	s_mov_b64 s[4:5], 0
.LBB233_429:
	s_andn2_b64 vcc, exec, s[4:5]
	s_cbranch_vccnz .LBB233_439
; %bb.430:
	v_and_b32_e32 v5, 0x7fffffff, v4
	s_mov_b32 s4, 0x47800000
	v_cmp_gt_u32_e32 vcc, s4, v5
                                        ; implicit-def: $vgpr0
	s_and_saveexec_b64 s[4:5], vcc
	s_xor_b64 s[4:5], exec, s[4:5]
	s_cbranch_execz .LBB233_436
; %bb.431:
	s_mov_b32 s8, 0x387fffff
	v_cmp_lt_u32_e32 vcc, s8, v5
                                        ; implicit-def: $vgpr0
	s_and_saveexec_b64 s[8:9], vcc
	s_xor_b64 s[8:9], exec, s[8:9]
; %bb.432:
	v_bfe_u32 v0, v4, 21, 1
	s_mov_b32 s10, 0x80fffff
	v_add3_u32 v0, v4, v0, s10
	v_lshrrev_b32_e32 v0, 21, v0
; %bb.433:
	s_andn2_saveexec_b64 s[8:9], s[8:9]
; %bb.434:
	s_mov_b32 s10, 0x43000000
	v_add_f32_e64 v0, |v4|, s10
; %bb.435:
	s_or_b64 exec, exec, s[8:9]
                                        ; implicit-def: $vgpr5
.LBB233_436:
	s_andn2_saveexec_b64 s[4:5], s[4:5]
; %bb.437:
	s_mov_b32 s8, 0x7f800000
	v_mov_b32_e32 v0, 0x7c
	v_mov_b32_e32 v6, 0x7f
	v_cmp_lt_u32_e32 vcc, s8, v5
	s_nop 1
	v_cndmask_b32_e32 v0, v0, v6, vcc
; %bb.438:
	s_or_b64 exec, exec, s[4:5]
	v_lshrrev_b32_e32 v5, 24, v4
	s_movk_i32 s4, 0x80
	v_and_or_b32 v0, v5, s4, v0
	global_store_byte v[2:3], v0, off
.LBB233_439:
	s_mov_b64 s[8:9], 0
	s_mov_b64 s[4:5], -1
.LBB233_440:
	s_andn2_b64 vcc, exec, s[8:9]
	s_cbranch_vccnz .LBB233_448
; %bb.441:
	s_cmp_gt_i32 s13, 14
	s_mov_b64 s[8:9], -1
	s_cbranch_scc0 .LBB233_445
; %bb.442:
	s_cmp_eq_u32 s13, 15
	s_mov_b64 s[2:3], -1
	s_cbranch_scc0 .LBB233_444
; %bb.443:
	v_bfe_u32 v0, v4, 16, 1
	s_movk_i32 s2, 0x7fff
	v_add3_u32 v0, v4, v0, s2
	v_cmp_o_f32_e32 vcc, v4, v4
	v_mov_b32_e32 v5, 0x7fc0
	s_mov_b64 s[4:5], -1
	v_cndmask_b32_sdwa v0, v5, v0, vcc dst_sel:DWORD dst_unused:UNUSED_PAD src0_sel:DWORD src1_sel:WORD_1
	global_store_short v[2:3], v0, off
	s_mov_b64 s[2:3], 0
.LBB233_444:
	s_mov_b64 s[8:9], 0
.LBB233_445:
	s_and_b64 vcc, exec, s[8:9]
	s_cbranch_vccz .LBB233_448
; %bb.446:
	s_cmp_eq_u32 s13, 11
	s_mov_b64 s[2:3], -1
	s_cbranch_scc0 .LBB233_448
; %bb.447:
	v_cmp_neq_f32_e32 vcc, 0, v4
	v_cmp_neq_f32_e64 s[2:3], 0, v1
	s_or_b64 s[2:3], vcc, s[2:3]
	s_mov_b64 s[4:5], -1
	v_cndmask_b32_e64 v0, 0, 1, s[2:3]
	s_mov_b64 s[2:3], 0
	global_store_byte v[2:3], v0, off
.LBB233_448:
	s_mov_b64 s[8:9], 0
.LBB233_449:
	s_and_b64 vcc, exec, s[8:9]
	s_cbranch_vccz .LBB233_488
; %bb.450:
	s_and_b32 s8, 0xffff, s12
	s_cmp_lt_i32 s8, 5
	s_mov_b64 s[4:5], -1
	s_cbranch_scc1 .LBB233_471
; %bb.451:
	s_cmp_lt_i32 s8, 8
	s_cbranch_scc1 .LBB233_461
; %bb.452:
	s_cmp_lt_i32 s8, 9
	s_cbranch_scc1 .LBB233_458
; %bb.453:
	s_cmp_gt_i32 s8, 9
	s_cbranch_scc0 .LBB233_455
; %bb.454:
	v_cvt_f64_f32_e32 v[6:7], v4
	v_cvt_f64_f32_e32 v[8:9], v1
	s_mov_b64 s[4:5], 0
	global_store_dwordx4 v[2:3], v[6:9], off
.LBB233_455:
	s_andn2_b64 vcc, exec, s[4:5]
	s_cbranch_vccnz .LBB233_457
; %bb.456:
	v_mov_b32_e32 v5, v1
	global_store_dwordx2 v[2:3], v[4:5], off
.LBB233_457:
	s_mov_b64 s[4:5], 0
.LBB233_458:
	s_andn2_b64 vcc, exec, s[4:5]
	s_cbranch_vccnz .LBB233_460
; %bb.459:
	v_cvt_f16_f32_e32 v0, v4
	v_cvt_f16_f32_sdwa v1, v1 dst_sel:WORD_1 dst_unused:UNUSED_PAD src0_sel:DWORD
	s_nop 0
	v_or_b32_e32 v0, v1, v0
	global_store_dword v[2:3], v0, off
.LBB233_460:
	s_mov_b64 s[4:5], 0
.LBB233_461:
	s_andn2_b64 vcc, exec, s[4:5]
	s_cbranch_vccnz .LBB233_470
; %bb.462:
	s_cmp_lt_i32 s8, 6
	s_mov_b64 s[4:5], -1
	s_cbranch_scc1 .LBB233_468
; %bb.463:
	s_cmp_gt_i32 s8, 6
	s_cbranch_scc0 .LBB233_465
; %bb.464:
	v_cvt_f64_f32_e32 v[0:1], v4
	s_mov_b64 s[4:5], 0
	global_store_dwordx2 v[2:3], v[0:1], off
.LBB233_465:
	s_andn2_b64 vcc, exec, s[4:5]
	s_cbranch_vccnz .LBB233_467
; %bb.466:
	global_store_dword v[2:3], v4, off
.LBB233_467:
	s_mov_b64 s[4:5], 0
.LBB233_468:
	s_andn2_b64 vcc, exec, s[4:5]
	s_cbranch_vccnz .LBB233_470
; %bb.469:
	v_cvt_f16_f32_e32 v0, v4
	global_store_short v[2:3], v0, off
.LBB233_470:
	s_mov_b64 s[4:5], 0
.LBB233_471:
	s_andn2_b64 vcc, exec, s[4:5]
	s_cbranch_vccnz .LBB233_487
; %bb.472:
	s_cmp_lt_i32 s8, 2
	s_mov_b64 s[4:5], -1
	s_cbranch_scc1 .LBB233_482
; %bb.473:
	s_cmp_lt_i32 s8, 3
	s_cbranch_scc1 .LBB233_479
; %bb.474:
	s_cmp_gt_i32 s8, 3
	s_cbranch_scc0 .LBB233_476
; %bb.475:
	v_trunc_f32_e32 v0, v4
	s_mov_b32 s4, 0x2f800000
	v_mul_f32_e64 v1, |v0|, s4
	v_floor_f32_e32 v1, v1
	s_mov_b32 s4, 0xcf800000
	v_cvt_u32_f32_e32 v5, v1
	v_fma_f32 v1, v1, s4, |v0|
	v_cvt_u32_f32_e32 v1, v1
	v_ashrrev_i32_e32 v6, 31, v0
	v_xor_b32_e32 v5, v5, v6
	s_mov_b64 s[4:5], 0
	v_xor_b32_e32 v0, v1, v6
	v_sub_co_u32_e32 v0, vcc, v0, v6
	s_nop 1
	v_subb_co_u32_e32 v1, vcc, v5, v6, vcc
	global_store_dwordx2 v[2:3], v[0:1], off
.LBB233_476:
	s_andn2_b64 vcc, exec, s[4:5]
	s_cbranch_vccnz .LBB233_478
; %bb.477:
	v_cvt_i32_f32_e32 v0, v4
	global_store_dword v[2:3], v0, off
.LBB233_478:
	s_mov_b64 s[4:5], 0
.LBB233_479:
	s_andn2_b64 vcc, exec, s[4:5]
	s_cbranch_vccnz .LBB233_481
; %bb.480:
	v_cvt_i32_f32_e32 v0, v4
	global_store_short v[2:3], v0, off
.LBB233_481:
	s_mov_b64 s[4:5], 0
.LBB233_482:
	s_andn2_b64 vcc, exec, s[4:5]
	s_cbranch_vccnz .LBB233_487
; %bb.483:
	s_cmp_gt_i32 s8, 0
	s_mov_b64 s[4:5], -1
	s_cbranch_scc0 .LBB233_485
; %bb.484:
	v_cvt_i32_f32_e32 v0, v4
	s_mov_b64 s[4:5], 0
	global_store_byte v[2:3], v0, off
.LBB233_485:
	s_andn2_b64 vcc, exec, s[4:5]
	s_cbranch_vccnz .LBB233_487
; %bb.486:
	v_trunc_f32_e32 v0, v4
	s_mov_b32 s4, 0x2f800000
	v_mul_f32_e64 v1, |v0|, s4
	v_floor_f32_e32 v1, v1
	s_mov_b32 s4, 0xcf800000
	v_fma_f32 v1, v1, s4, |v0|
	v_cvt_u32_f32_e32 v1, v1
	v_ashrrev_i32_e32 v0, 31, v0
	v_xor_b32_e32 v1, v1, v0
	v_sub_u32_e32 v0, v1, v0
	global_store_byte v[2:3], v0, off
.LBB233_487:
	s_mov_b64 s[4:5], -1
.LBB233_488:
	s_andn2_b64 vcc, exec, s[4:5]
	s_cbranch_vccnz .LBB233_490
; %bb.489:
	v_add_u32_e32 v12, 0x80, v12
	s_mov_b64 s[4:5], -1
	s_branch .LBB233_603
.LBB233_490:
	s_mov_b64 s[4:5], 0
	s_branch .LBB233_602
.LBB233_491:
	s_mov_b64 s[6:7], -1
                                        ; implicit-def: $vgpr0_vgpr1
.LBB233_492:
	s_mov_b64 s[4:5], 0
.LBB233_493:
	s_and_b64 vcc, exec, s[4:5]
	s_cbranch_vccz .LBB233_497
; %bb.494:
	s_cmp_eq_u32 s10, 29
	s_cbranch_scc0 .LBB233_496
; %bb.495:
	global_load_dwordx2 v[0:1], v[4:5], off
	s_mov_b64 s[2:3], -1
	s_mov_b64 s[6:7], 0
	s_mov_b64 s[4:5], 0
	s_waitcnt vmcnt(0)
	v_ffbh_u32_e32 v3, v1
	v_min_u32_e32 v3, 32, v3
	v_lshlrev_b64 v[0:1], v3, v[0:1]
	v_min_u32_e32 v0, 1, v0
	v_or_b32_e32 v0, v1, v0
	v_cvt_f32_u32_e32 v0, v0
	v_sub_u32_e32 v3, 32, v3
	v_mov_b32_e32 v1, 0
	v_ldexp_f32 v0, v0, v3
	s_branch .LBB233_498
.LBB233_496:
	s_mov_b64 s[6:7], -1
                                        ; implicit-def: $vgpr0_vgpr1
.LBB233_497:
	s_mov_b64 s[4:5], 0
.LBB233_498:
	s_and_b64 vcc, exec, s[4:5]
	s_cbranch_vccz .LBB233_518
; %bb.499:
	s_cmp_lt_i32 s10, 27
	s_cbranch_scc1 .LBB233_502
; %bb.500:
	s_cmp_gt_i32 s10, 27
	s_cbranch_scc0 .LBB233_503
; %bb.501:
	global_load_dword v0, v[4:5], off
	v_mov_b32_e32 v1, 0
	s_mov_b64 s[2:3], 0
	s_waitcnt vmcnt(0)
	v_cvt_f32_u32_e32 v0, v0
	s_branch .LBB233_504
.LBB233_502:
	s_mov_b64 s[2:3], -1
                                        ; implicit-def: $vgpr0_vgpr1
	s_branch .LBB233_507
.LBB233_503:
	s_mov_b64 s[2:3], -1
                                        ; implicit-def: $vgpr0_vgpr1
.LBB233_504:
	s_andn2_b64 vcc, exec, s[2:3]
	s_cbranch_vccnz .LBB233_506
; %bb.505:
	global_load_ushort v0, v[4:5], off
	v_mov_b32_e32 v1, 0
	s_waitcnt vmcnt(0)
	v_cvt_f32_u32_e32 v0, v0
.LBB233_506:
	s_mov_b64 s[2:3], 0
.LBB233_507:
	s_andn2_b64 vcc, exec, s[2:3]
	s_cbranch_vccnz .LBB233_517
; %bb.508:
	global_load_ubyte v3, v[4:5], off
	s_movk_i32 s2, 0x7f
	s_waitcnt vmcnt(0)
	v_cmp_lt_i16_e32 vcc, s2, v3
	s_mov_b64 s[2:3], 0
	s_and_saveexec_b64 s[4:5], vcc
	s_xor_b64 s[4:5], exec, s[4:5]
	s_cbranch_execz .LBB233_512
; %bb.509:
	s_movk_i32 s2, 0x80
	v_cmp_eq_u16_e32 vcc, s2, v3
	s_mov_b64 s[2:3], -1
	s_and_saveexec_b64 s[8:9], vcc
; %bb.510:
	s_xor_b64 s[2:3], exec, -1
; %bb.511:
	s_or_b64 exec, exec, s[8:9]
	s_and_b64 s[2:3], s[2:3], exec
.LBB233_512:
	s_or_saveexec_b64 s[4:5], s[4:5]
	v_mov_b32_e32 v0, 0x7f800001
	v_mov_b32_e32 v1, 0
	s_xor_b64 exec, exec, s[4:5]
; %bb.513:
	v_cmp_ne_u16_e32 vcc, 0, v3
	s_andn2_b64 s[2:3], s[2:3], exec
	s_and_b64 s[8:9], vcc, exec
	v_mov_b32_e32 v0, v1
	s_or_b64 s[2:3], s[2:3], s[8:9]
; %bb.514:
	s_or_b64 exec, exec, s[4:5]
	s_and_saveexec_b64 s[4:5], s[2:3]
	s_cbranch_execz .LBB233_516
; %bb.515:
	v_and_b32_e32 v1, 0xffff, v3
	v_lshlrev_b32_e32 v0, 24, v3
	v_and_b32_e32 v3, 7, v1
	v_ffbh_u32_e32 v7, v3
	v_min_u32_e32 v7, 32, v7
	v_subrev_u32_e32 v8, 28, v7
	v_bfe_u32 v6, v1, 3, 4
	v_lshlrev_b32_e32 v1, v8, v1
	v_sub_u32_e32 v7, 29, v7
	v_and_b32_e32 v1, 7, v1
	v_cmp_eq_u32_e32 vcc, 0, v6
	v_and_b32_e32 v0, 0x80000000, v0
	s_nop 0
	v_cndmask_b32_e32 v6, v6, v7, vcc
	v_cndmask_b32_e32 v1, v3, v1, vcc
	v_mov_b32_e32 v3, 0x3b800000
	v_lshlrev_b32_e32 v1, 20, v1
	v_lshl_add_u32 v3, v6, 23, v3
	v_or3_b32 v0, v0, v3, v1
	v_mov_b32_e32 v1, 0
.LBB233_516:
	s_or_b64 exec, exec, s[4:5]
.LBB233_517:
	s_mov_b64 s[2:3], -1
.LBB233_518:
	s_mov_b64 s[4:5], 0
.LBB233_519:
	s_and_b64 vcc, exec, s[4:5]
	s_cbranch_vccz .LBB233_552
; %bb.520:
	s_cmp_gt_i32 s10, 22
	s_cbranch_scc0 .LBB233_532
; %bb.521:
	s_cmp_lt_i32 s10, 24
	s_cbranch_scc1 .LBB233_533
; %bb.522:
	s_cmp_gt_i32 s10, 24
	s_cbranch_scc0 .LBB233_534
; %bb.523:
	global_load_ubyte v3, v[4:5], off
	s_movk_i32 s2, 0x7f
	s_waitcnt vmcnt(0)
	v_cmp_lt_i16_e32 vcc, s2, v3
	s_mov_b64 s[2:3], 0
	s_and_saveexec_b64 s[4:5], vcc
	s_xor_b64 s[4:5], exec, s[4:5]
	s_cbranch_execz .LBB233_527
; %bb.524:
	s_movk_i32 s2, 0x80
	v_cmp_eq_u16_e32 vcc, s2, v3
	s_mov_b64 s[2:3], -1
	s_and_saveexec_b64 s[8:9], vcc
; %bb.525:
	s_xor_b64 s[2:3], exec, -1
; %bb.526:
	s_or_b64 exec, exec, s[8:9]
	s_and_b64 s[2:3], s[2:3], exec
.LBB233_527:
	s_or_saveexec_b64 s[4:5], s[4:5]
	v_mov_b32_e32 v0, 0x7f800001
	v_mov_b32_e32 v1, 0
	s_xor_b64 exec, exec, s[4:5]
; %bb.528:
	v_cmp_ne_u16_e32 vcc, 0, v3
	s_andn2_b64 s[2:3], s[2:3], exec
	s_and_b64 s[8:9], vcc, exec
	v_mov_b32_e32 v0, v1
	s_or_b64 s[2:3], s[2:3], s[8:9]
; %bb.529:
	s_or_b64 exec, exec, s[4:5]
	s_and_saveexec_b64 s[4:5], s[2:3]
	s_cbranch_execz .LBB233_531
; %bb.530:
	v_and_b32_e32 v1, 0xffff, v3
	v_lshlrev_b32_e32 v0, 24, v3
	v_and_b32_e32 v3, 3, v1
	v_ffbh_u32_e32 v7, v3
	v_min_u32_e32 v7, 32, v7
	v_subrev_u32_e32 v8, 29, v7
	v_bfe_u32 v6, v1, 2, 5
	v_lshlrev_b32_e32 v1, v8, v1
	v_sub_u32_e32 v7, 30, v7
	v_and_b32_e32 v1, 3, v1
	v_cmp_eq_u32_e32 vcc, 0, v6
	v_and_b32_e32 v0, 0x80000000, v0
	s_nop 0
	v_cndmask_b32_e32 v6, v6, v7, vcc
	v_cndmask_b32_e32 v1, v3, v1, vcc
	v_mov_b32_e32 v3, 0x37800000
	v_lshlrev_b32_e32 v1, 21, v1
	v_lshl_add_u32 v3, v6, 23, v3
	v_or3_b32 v0, v0, v3, v1
	v_mov_b32_e32 v1, 0
.LBB233_531:
	s_or_b64 exec, exec, s[4:5]
	s_mov_b64 s[2:3], 0
	s_branch .LBB233_535
.LBB233_532:
	s_mov_b64 s[4:5], -1
                                        ; implicit-def: $vgpr0_vgpr1
	s_branch .LBB233_541
.LBB233_533:
	s_mov_b64 s[2:3], -1
                                        ; implicit-def: $vgpr0_vgpr1
	s_branch .LBB233_538
.LBB233_534:
	s_mov_b64 s[2:3], -1
                                        ; implicit-def: $vgpr0_vgpr1
.LBB233_535:
	s_and_b64 vcc, exec, s[2:3]
	s_cbranch_vccz .LBB233_537
; %bb.536:
	global_load_ubyte v0, v[4:5], off
	s_mov_b32 s2, 0x7f800000
	s_brev_b32 s3, 1
	s_waitcnt vmcnt(0)
	v_lshlrev_b32_e32 v0, 24, v0
	v_and_b32_e32 v1, 0x7f000000, v0
	v_ffbh_u32_e32 v3, v1
	v_min_u32_e32 v3, 32, v3
	v_sub_u32_e64 v3, v3, 4 clamp
	v_lshlrev_b32_e32 v7, v3, v1
	v_lshlrev_b32_e32 v3, 23, v3
	v_lshrrev_b32_e32 v7, 4, v7
	v_add_u32_e32 v6, 0x1000000, v1
	v_sub_u32_e32 v3, v7, v3
	v_ashrrev_i32_e32 v6, 8, v6
	v_add_u32_e32 v3, 0x3c000000, v3
	v_and_or_b32 v3, v6, s2, v3
	v_cmp_ne_u32_e32 vcc, 0, v1
	s_nop 1
	v_cndmask_b32_e32 v1, 0, v3, vcc
	v_and_or_b32 v0, v0, s3, v1
	v_mov_b32_e32 v1, 0
.LBB233_537:
	s_mov_b64 s[2:3], 0
.LBB233_538:
	s_andn2_b64 vcc, exec, s[2:3]
	s_cbranch_vccnz .LBB233_540
; %bb.539:
	global_load_ubyte v0, v[4:5], off
	s_movk_i32 s2, 0x7f00
	s_brev_b32 s3, 16
	s_brev_b32 s4, 1
	s_waitcnt vmcnt(0)
	v_lshlrev_b16_e32 v1, 8, v0
	v_lshlrev_b32_e32 v0, 25, v0
	v_lshrrev_b32_e32 v3, 4, v0
	v_and_or_b32 v6, v1, s2, 0.5
	v_or_b32_e32 v3, 0x70000000, v3
	v_add_f32_e32 v6, -0.5, v6
	v_mul_f32_e32 v3, 0x7800000, v3
	v_cmp_gt_u32_e32 vcc, s3, v0
	v_bfe_i32 v1, v1, 0, 16
	s_nop 0
	v_cndmask_b32_e32 v0, v3, v6, vcc
	v_and_or_b32 v0, v1, s4, v0
	v_mov_b32_e32 v1, 0
.LBB233_540:
	s_mov_b64 s[4:5], 0
	s_mov_b64 s[2:3], -1
.LBB233_541:
	s_andn2_b64 vcc, exec, s[4:5]
	s_cbranch_vccnz .LBB233_552
; %bb.542:
	s_cmp_gt_i32 s10, 14
	s_cbranch_scc0 .LBB233_545
; %bb.543:
	s_cmp_eq_u32 s10, 15
	s_cbranch_scc0 .LBB233_546
; %bb.544:
	global_load_ushort v0, v[4:5], off
	v_mov_b32_e32 v1, 0
	s_mov_b64 s[2:3], -1
	s_mov_b64 s[6:7], 0
	s_waitcnt vmcnt(0)
	v_lshlrev_b32_e32 v0, 16, v0
	s_branch .LBB233_547
.LBB233_545:
	s_mov_b64 s[4:5], -1
                                        ; implicit-def: $vgpr0_vgpr1
	s_branch .LBB233_548
.LBB233_546:
	s_mov_b64 s[6:7], -1
                                        ; implicit-def: $vgpr0_vgpr1
.LBB233_547:
	s_mov_b64 s[4:5], 0
.LBB233_548:
	s_and_b64 vcc, exec, s[4:5]
	s_cbranch_vccz .LBB233_552
; %bb.549:
	s_cmp_eq_u32 s10, 11
	s_cbranch_scc0 .LBB233_551
; %bb.550:
	global_load_ubyte v0, v[4:5], off
	v_mov_b32_e32 v1, 0
	s_mov_b64 s[2:3], -1
	s_mov_b64 s[6:7], 0
	s_waitcnt vmcnt(0)
	v_cmp_ne_u16_e32 vcc, 0, v0
	s_nop 1
	v_cndmask_b32_e64 v0, 0, 1.0, vcc
	s_branch .LBB233_552
.LBB233_551:
	s_mov_b64 s[6:7], -1
                                        ; implicit-def: $vgpr0_vgpr1
.LBB233_552:
	s_branch .LBB233_325
.LBB233_553:
	s_cmp_lt_i32 s10, 5
	s_cbranch_scc1 .LBB233_558
; %bb.554:
	s_cmp_lt_i32 s10, 8
	s_cbranch_scc1 .LBB233_559
; %bb.555:
	;; [unrolled: 3-line block ×3, first 2 shown]
	s_cmp_gt_i32 s10, 9
	s_cbranch_scc0 .LBB233_561
; %bb.557:
	global_load_dwordx4 v[6:9], v[4:5], off
	s_mov_b64 s[2:3], 0
	s_waitcnt vmcnt(0)
	v_cvt_f32_f64_e32 v1, v[8:9]
	v_cvt_f32_f64_e32 v0, v[6:7]
	s_branch .LBB233_562
.LBB233_558:
	s_mov_b64 s[2:3], -1
                                        ; implicit-def: $vgpr0_vgpr1
	s_branch .LBB233_580
.LBB233_559:
	s_mov_b64 s[2:3], -1
                                        ; implicit-def: $vgpr0_vgpr1
	s_branch .LBB233_568
.LBB233_560:
	s_mov_b64 s[2:3], -1
                                        ; implicit-def: $vgpr0_vgpr1
	s_branch .LBB233_565
.LBB233_561:
	s_mov_b64 s[2:3], -1
                                        ; implicit-def: $vgpr0_vgpr1
.LBB233_562:
	s_andn2_b64 vcc, exec, s[2:3]
	s_cbranch_vccnz .LBB233_564
; %bb.563:
	global_load_dwordx2 v[0:1], v[4:5], off
.LBB233_564:
	s_mov_b64 s[2:3], 0
.LBB233_565:
	s_andn2_b64 vcc, exec, s[2:3]
	s_cbranch_vccnz .LBB233_567
; %bb.566:
	global_load_dword v0, v[4:5], off
	s_waitcnt vmcnt(0)
	v_cvt_f32_f16_sdwa v1, v0 dst_sel:DWORD dst_unused:UNUSED_PAD src0_sel:WORD_1
	v_cvt_f32_f16_e32 v0, v0
.LBB233_567:
	s_mov_b64 s[2:3], 0
.LBB233_568:
	s_andn2_b64 vcc, exec, s[2:3]
	s_cbranch_vccnz .LBB233_579
; %bb.569:
	s_cmp_lt_i32 s10, 6
	s_cbranch_scc1 .LBB233_572
; %bb.570:
	s_cmp_gt_i32 s10, 6
	s_cbranch_scc0 .LBB233_573
; %bb.571:
	global_load_dwordx2 v[6:7], v[4:5], off
	s_waitcnt vmcnt(1)
	v_mov_b32_e32 v1, 0
	s_mov_b64 s[2:3], 0
	s_waitcnt vmcnt(0)
	v_cvt_f32_f64_e32 v0, v[6:7]
	s_branch .LBB233_574
.LBB233_572:
	s_mov_b64 s[2:3], -1
                                        ; implicit-def: $vgpr0_vgpr1
	s_branch .LBB233_577
.LBB233_573:
	s_mov_b64 s[2:3], -1
                                        ; implicit-def: $vgpr0_vgpr1
.LBB233_574:
	s_andn2_b64 vcc, exec, s[2:3]
	s_cbranch_vccnz .LBB233_576
; %bb.575:
	global_load_dword v0, v[4:5], off
	s_waitcnt vmcnt(1)
	v_mov_b32_e32 v1, 0
.LBB233_576:
	s_mov_b64 s[2:3], 0
.LBB233_577:
	s_andn2_b64 vcc, exec, s[2:3]
	s_cbranch_vccnz .LBB233_579
; %bb.578:
	global_load_ushort v0, v[4:5], off
	s_waitcnt vmcnt(1)
	v_mov_b32_e32 v1, 0
	s_waitcnt vmcnt(0)
	v_cvt_f32_f16_e32 v0, v0
.LBB233_579:
	s_mov_b64 s[2:3], 0
.LBB233_580:
	s_andn2_b64 vcc, exec, s[2:3]
	s_cbranch_vccnz .LBB233_600
; %bb.581:
	s_cmp_lt_i32 s10, 2
	s_cbranch_scc1 .LBB233_585
; %bb.582:
	s_cmp_lt_i32 s10, 3
	s_cbranch_scc1 .LBB233_586
; %bb.583:
	s_cmp_gt_i32 s10, 3
	s_cbranch_scc0 .LBB233_587
; %bb.584:
	global_load_dwordx2 v[0:1], v[4:5], off
	s_mov_b64 s[2:3], 0
	s_waitcnt vmcnt(0)
	v_xor_b32_e32 v6, v0, v1
	v_ffbh_i32_e32 v3, v1
	v_ashrrev_i32_e32 v6, 31, v6
	v_add_u32_e32 v3, -1, v3
	v_add_u32_e32 v6, 32, v6
	v_min_u32_e32 v3, v3, v6
	v_lshlrev_b64 v[0:1], v3, v[0:1]
	v_min_u32_e32 v0, 1, v0
	v_or_b32_e32 v0, v1, v0
	v_cvt_f32_i32_e32 v0, v0
	v_sub_u32_e32 v3, 32, v3
	v_mov_b32_e32 v1, 0
	v_ldexp_f32 v0, v0, v3
	s_branch .LBB233_588
.LBB233_585:
	s_mov_b64 s[2:3], -1
                                        ; implicit-def: $vgpr0_vgpr1
	s_branch .LBB233_594
.LBB233_586:
	s_mov_b64 s[2:3], -1
                                        ; implicit-def: $vgpr0_vgpr1
	s_branch .LBB233_591
.LBB233_587:
	s_mov_b64 s[2:3], -1
                                        ; implicit-def: $vgpr0_vgpr1
.LBB233_588:
	s_andn2_b64 vcc, exec, s[2:3]
	s_cbranch_vccnz .LBB233_590
; %bb.589:
	global_load_dword v0, v[4:5], off
	s_waitcnt vmcnt(1)
	v_mov_b32_e32 v1, 0
	s_waitcnt vmcnt(0)
	v_cvt_f32_i32_e32 v0, v0
.LBB233_590:
	s_mov_b64 s[2:3], 0
.LBB233_591:
	s_andn2_b64 vcc, exec, s[2:3]
	s_cbranch_vccnz .LBB233_593
; %bb.592:
	global_load_sshort v0, v[4:5], off
	s_waitcnt vmcnt(1)
	v_mov_b32_e32 v1, 0
	s_waitcnt vmcnt(0)
	v_cvt_f32_i32_e32 v0, v0
.LBB233_593:
	s_mov_b64 s[2:3], 0
.LBB233_594:
	s_andn2_b64 vcc, exec, s[2:3]
	s_cbranch_vccnz .LBB233_600
; %bb.595:
	s_cmp_gt_i32 s10, 0
	s_cbranch_scc0 .LBB233_597
; %bb.596:
	global_load_sbyte v0, v[4:5], off
	s_waitcnt vmcnt(1)
	v_mov_b32_e32 v1, 0
	s_mov_b64 s[2:3], 0
	s_waitcnt vmcnt(0)
	v_cvt_f32_i32_e32 v0, v0
	s_branch .LBB233_598
.LBB233_597:
	s_mov_b64 s[2:3], -1
                                        ; implicit-def: $vgpr0_vgpr1
.LBB233_598:
	s_andn2_b64 vcc, exec, s[2:3]
	s_cbranch_vccnz .LBB233_600
; %bb.599:
	global_load_ubyte v0, v[4:5], off
	s_waitcnt vmcnt(1)
	v_mov_b32_e32 v1, 0
	s_waitcnt vmcnt(0)
	v_cvt_f32_ubyte0_e32 v0, v0
.LBB233_600:
	s_branch .LBB233_326
.LBB233_601:
	s_mov_b64 s[4:5], 0
	s_mov_b64 s[2:3], s[54:55]
.LBB233_602:
                                        ; implicit-def: $vgpr12
.LBB233_603:
	s_andn2_b64 s[8:9], s[54:55], exec
	s_and_b64 s[2:3], s[2:3], exec
	s_or_b64 s[62:63], s[8:9], s[2:3]
	s_andn2_b64 s[2:3], s[56:57], exec
	s_and_b64 s[6:7], s[6:7], exec
	s_or_b64 s[60:61], s[2:3], s[6:7]
	s_orn2_b64 s[2:3], s[4:5], exec
.LBB233_604:
	s_or_b64 exec, exec, s[64:65]
	s_mov_b64 s[4:5], 0
	s_mov_b64 s[6:7], 0
	;; [unrolled: 1-line block ×3, first 2 shown]
                                        ; implicit-def: $vgpr4_vgpr5
                                        ; implicit-def: $vgpr2
                                        ; implicit-def: $vgpr0_vgpr1
	s_and_saveexec_b64 s[64:65], s[2:3]
	s_cbranch_execz .LBB233_1011
; %bb.605:
	v_cmp_gt_i32_e32 vcc, s70, v12
	s_mov_b64 s[6:7], -1
	s_mov_b64 s[2:3], s[60:61]
	s_mov_b64 s[68:69], s[62:63]
	s_and_saveexec_b64 s[66:67], vcc
	s_cbranch_execz .LBB233_910
; %bb.606:
	s_andn2_b64 vcc, exec, s[42:43]
	s_cbranch_vccnz .LBB233_612
; %bb.607:
	s_andn2_b64 vcc, exec, s[52:53]
	s_cbranch_vccnz .LBB233_613
; %bb.608:
	s_add_i32 s76, s75, 1
	s_cmp_eq_u32 s72, 2
	s_cbranch_scc1 .LBB233_614
; %bb.609:
	s_and_b32 s71, s76, 28
	s_mov_b32 s77, 0
	v_mov_b32_e32 v2, 0
	s_waitcnt vmcnt(0)
	v_mov_b32_e32 v0, 0
	s_mov_b64 s[2:3], s[34:35]
	s_mov_b64 s[68:69], s[50:51]
	v_mov_b32_e32 v4, v12
.LBB233_610:                            ; =>This Inner Loop Header: Depth=1
	s_load_dwordx8 s[12:19], s[2:3], 0x4
	s_load_dwordx4 s[36:39], s[2:3], 0x24
	s_load_dwordx8 s[4:11], s[68:69], 0x0
	s_add_u32 s2, s2, 48
	s_addc_u32 s3, s3, 0
	s_waitcnt lgkmcnt(0)
	v_mul_hi_u32 v1, s13, v4
	v_add_u32_e32 v1, v4, v1
	v_lshrrev_b32_e32 v1, s14, v1
	v_mul_lo_u32 v3, v1, s12
	v_mul_hi_u32 v5, s16, v1
	v_sub_u32_e32 v3, v4, v3
	v_add_u32_e32 v4, v1, v5
	v_lshrrev_b32_e32 v4, s17, v4
	v_mul_lo_u32 v6, v4, s15
	v_mul_hi_u32 v7, s19, v4
	v_sub_u32_e32 v1, v1, v6
	v_add_u32_e32 v6, v4, v7
	v_mul_lo_u32 v5, v3, s5
	v_mul_lo_u32 v3, v3, s4
	;; [unrolled: 1-line block ×4, first 2 shown]
	v_lshrrev_b32_e32 v6, s36, v6
	v_add3_u32 v1, v3, v2, v1
	v_mul_hi_u32 v3, s38, v6
	v_mul_lo_u32 v2, v6, s18
	v_add_u32_e32 v3, v6, v3
	v_sub_u32_e32 v2, v4, v2
	v_lshrrev_b32_e32 v4, s39, v3
	s_add_i32 s77, s77, 4
	v_mul_lo_u32 v3, v4, s37
	s_add_u32 s68, s68, 32
	v_sub_u32_e32 v3, v6, v3
	s_addc_u32 s69, s69, 0
	v_add3_u32 v0, v5, v0, v7
	v_mul_lo_u32 v5, v2, s8
	v_mul_lo_u32 v2, v2, s9
	;; [unrolled: 1-line block ×4, first 2 shown]
	s_cmp_eq_u32 s71, s77
	v_add3_u32 v0, v2, v0, v3
	v_add3_u32 v2, v5, v1, v6
	s_cbranch_scc0 .LBB233_610
; %bb.611:
	v_mov_b32_e32 v1, v0
	s_branch .LBB233_615
.LBB233_612:
	s_mov_b64 s[2:3], -1
                                        ; implicit-def: $vgpr0
                                        ; implicit-def: $vgpr2
	s_branch .LBB233_619
.LBB233_613:
	s_waitcnt vmcnt(0)
	v_mov_b32_e32 v0, 0
	v_mov_b32_e32 v2, 0
	s_branch .LBB233_618
.LBB233_614:
	v_mov_b32_e32 v2, 0
	s_mov_b32 s71, 0
	s_waitcnt vmcnt(0)
	v_mov_b32_e32 v1, v2
                                        ; implicit-def: $vgpr0
	v_mov_b32_e32 v4, v12
.LBB233_615:
	s_and_b32 s6, s76, 3
	s_cmp_eq_u32 s6, 0
	s_cbranch_scc1 .LBB233_618
; %bb.616:
	s_lshl_b32 s2, s71, 3
	s_add_u32 s2, s34, s2
	s_addc_u32 s3, s35, 0
	s_add_u32 s2, s2, 0xc4
	s_addc_u32 s3, s3, 0
	s_mul_i32 s4, s71, 12
	s_add_u32 s4, s34, s4
	s_addc_u32 s5, s35, 0
.LBB233_617:                            ; =>This Inner Loop Header: Depth=1
	s_load_dwordx2 s[8:9], s[4:5], 0x4
	s_load_dword s7, s[4:5], 0xc
	s_load_dwordx2 s[10:11], s[2:3], 0x0
	v_mov_b32_e32 v0, v1
	s_add_u32 s4, s4, 12
	s_waitcnt lgkmcnt(0)
	v_mul_hi_u32 v1, s9, v4
	v_add_u32_e32 v1, v4, v1
	v_lshrrev_b32_e32 v1, s7, v1
	s_addc_u32 s5, s5, 0
	v_mul_lo_u32 v3, v1, s8
	s_add_u32 s2, s2, 8
	v_sub_u32_e32 v3, v4, v3
	s_addc_u32 s3, s3, 0
	s_add_i32 s6, s6, -1
	v_mov_b32_e32 v4, v1
	v_mad_u64_u32 v[0:1], s[8:9], v3, s11, v[0:1]
	s_cmp_lg_u32 s6, 0
	v_mad_u64_u32 v[2:3], s[8:9], v3, s10, v[2:3]
	v_mov_b32_e32 v1, v0
	s_cbranch_scc1 .LBB233_617
.LBB233_618:
	s_mov_b64 s[2:3], 0
.LBB233_619:
	s_andn2_b64 vcc, exec, s[2:3]
	s_cbranch_vccnz .LBB233_622
; %bb.620:
	s_waitcnt vmcnt(0) lgkmcnt(0)
	v_mul_hi_u32 v0, s29, v12
	v_add_u32_e32 v0, v12, v0
	v_lshrrev_b32_e32 v1, s30, v0
	v_mul_lo_u32 v0, v1, s28
	v_sub_u32_e32 v2, v12, v0
	v_mul_lo_u32 v0, v2, s25
	s_andn2_b64 vcc, exec, s[48:49]
	v_mul_lo_u32 v2, v2, s24
	s_cbranch_vccnz .LBB233_622
; %bb.621:
	v_mul_hi_u32 v3, s46, v1
	v_add_u32_e32 v3, v1, v3
	v_lshrrev_b32_e32 v3, s47, v3
	v_mul_lo_u32 v3, v3, s31
	v_sub_u32_e32 v1, v1, v3
	v_mad_u64_u32 v[2:3], s[2:3], v1, s26, v[2:3]
	v_mad_u64_u32 v[0:1], s[2:3], v1, s27, v[0:1]
.LBB233_622:
	s_waitcnt vmcnt(0)
	v_mov_b32_e32 v1, 0
	s_and_b32 s10, 0xffff, s74
	s_cmp_lt_i32 s10, 11
	s_waitcnt lgkmcnt(0)
	v_lshl_add_u64 v[4:5], s[22:23], 0, v[0:1]
	s_cbranch_scc1 .LBB233_629
; %bb.623:
	s_cmp_gt_i32 s10, 25
	s_cbranch_scc0 .LBB233_630
; %bb.624:
	s_cmp_gt_i32 s10, 28
	s_cbranch_scc0 .LBB233_631
	;; [unrolled: 3-line block ×4, first 2 shown]
; %bb.627:
	s_cmp_eq_u32 s10, 46
	s_mov_b64 s[4:5], 0
	s_cbranch_scc0 .LBB233_638
; %bb.628:
	global_load_dword v0, v[4:5], off
	s_mov_b64 s[2:3], -1
	s_mov_b64 s[6:7], 0
	s_waitcnt vmcnt(0)
	v_and_b32_e32 v1, 0xffff0000, v0
	v_lshlrev_b32_e32 v0, 16, v0
	s_branch .LBB233_639
.LBB233_629:
	s_mov_b64 s[4:5], -1
	s_mov_b64 s[2:3], 0
                                        ; implicit-def: $vgpr0_vgpr1
	s_mov_b64 s[6:7], s[60:61]
	s_branch .LBB233_704
.LBB233_630:
	s_mov_b64 s[4:5], -1
	s_mov_b64 s[2:3], 0
	s_mov_b64 s[6:7], s[60:61]
                                        ; implicit-def: $vgpr0_vgpr1
	s_branch .LBB233_670
.LBB233_631:
	s_mov_b64 s[4:5], -1
	s_mov_b64 s[2:3], 0
	s_mov_b64 s[6:7], s[60:61]
                                        ; implicit-def: $vgpr0_vgpr1
	s_branch .LBB233_649
.LBB233_632:
	s_mov_b64 s[4:5], -1
	s_mov_b64 s[2:3], 0
	s_mov_b64 s[6:7], s[60:61]
                                        ; implicit-def: $vgpr0_vgpr1
	s_branch .LBB233_644
.LBB233_633:
	s_andn2_saveexec_b64 s[10:11], s[10:11]
	s_cbranch_execz .LBB233_401
.LBB233_634:
	s_mov_b32 s14, 0x46000000
	v_add_f32_e64 v0, |v4|, s14
	v_and_b32_e32 v0, 0xff, v0
	v_cmp_ne_u32_e32 vcc, 0, v0
	s_andn2_b64 s[8:9], s[8:9], exec
	s_and_b64 s[14:15], vcc, exec
	s_or_b64 s[8:9], s[8:9], s[14:15]
	s_or_b64 exec, exec, s[10:11]
	v_mov_b32_e32 v5, 0
	s_and_saveexec_b64 s[10:11], s[8:9]
	s_cbranch_execnz .LBB233_402
	s_branch .LBB233_403
.LBB233_635:
	s_mov_b64 s[4:5], -1
	s_mov_b64 s[2:3], 0
	s_mov_b64 s[6:7], s[60:61]
                                        ; implicit-def: $vgpr0_vgpr1
	s_branch .LBB233_639
.LBB233_636:
	s_andn2_saveexec_b64 s[10:11], s[10:11]
	s_cbranch_execz .LBB233_414
.LBB233_637:
	s_mov_b32 s14, 0x42800000
	v_add_f32_e64 v0, |v4|, s14
	v_and_b32_e32 v0, 0xff, v0
	v_cmp_ne_u32_e32 vcc, 0, v0
	s_andn2_b64 s[8:9], s[8:9], exec
	s_and_b64 s[14:15], vcc, exec
	s_or_b64 s[8:9], s[8:9], s[14:15]
	s_or_b64 exec, exec, s[10:11]
	v_mov_b32_e32 v5, 0
	s_and_saveexec_b64 s[10:11], s[8:9]
	s_cbranch_execnz .LBB233_415
	s_branch .LBB233_416
.LBB233_638:
	s_mov_b64 s[6:7], -1
                                        ; implicit-def: $vgpr0_vgpr1
	s_mov_b64 s[2:3], 0
.LBB233_639:
	s_and_b64 vcc, exec, s[4:5]
	s_cbranch_vccz .LBB233_643
; %bb.640:
	s_cmp_eq_u32 s10, 44
	s_cbranch_scc0 .LBB233_642
; %bb.641:
	global_load_ubyte v0, v[4:5], off
	s_movk_i32 s4, 0xff
	v_mov_b32_e32 v3, 0x7f800001
	v_mov_b32_e32 v6, 0x400000
	;; [unrolled: 1-line block ×3, first 2 shown]
	s_mov_b64 s[2:3], -1
	s_mov_b64 s[6:7], 0
	s_waitcnt vmcnt(0)
	v_lshlrev_b32_e32 v7, 23, v0
	v_cmp_ne_u32_e32 vcc, s4, v0
	s_nop 1
	v_cndmask_b32_e32 v3, v3, v7, vcc
	v_cmp_ne_u32_e32 vcc, 0, v0
	s_nop 1
	v_cndmask_b32_e32 v0, v6, v3, vcc
	s_branch .LBB233_643
.LBB233_642:
	s_mov_b64 s[6:7], -1
                                        ; implicit-def: $vgpr0_vgpr1
.LBB233_643:
	s_mov_b64 s[4:5], 0
.LBB233_644:
	s_and_b64 vcc, exec, s[4:5]
	s_cbranch_vccz .LBB233_648
; %bb.645:
	s_cmp_eq_u32 s10, 29
	s_cbranch_scc0 .LBB233_647
; %bb.646:
	global_load_dwordx2 v[0:1], v[4:5], off
	s_mov_b64 s[2:3], -1
	s_mov_b64 s[6:7], 0
	s_mov_b64 s[4:5], 0
	s_waitcnt vmcnt(0)
	v_ffbh_u32_e32 v3, v1
	v_min_u32_e32 v3, 32, v3
	v_lshlrev_b64 v[0:1], v3, v[0:1]
	v_min_u32_e32 v0, 1, v0
	v_or_b32_e32 v0, v1, v0
	v_cvt_f32_u32_e32 v0, v0
	v_sub_u32_e32 v3, 32, v3
	v_mov_b32_e32 v1, 0
	v_ldexp_f32 v0, v0, v3
	s_branch .LBB233_649
.LBB233_647:
	s_mov_b64 s[6:7], -1
                                        ; implicit-def: $vgpr0_vgpr1
.LBB233_648:
	s_mov_b64 s[4:5], 0
.LBB233_649:
	s_and_b64 vcc, exec, s[4:5]
	s_cbranch_vccz .LBB233_669
; %bb.650:
	s_cmp_lt_i32 s10, 27
	s_cbranch_scc1 .LBB233_653
; %bb.651:
	s_cmp_gt_i32 s10, 27
	s_cbranch_scc0 .LBB233_654
; %bb.652:
	global_load_dword v0, v[4:5], off
	v_mov_b32_e32 v1, 0
	s_mov_b64 s[2:3], 0
	s_waitcnt vmcnt(0)
	v_cvt_f32_u32_e32 v0, v0
	s_branch .LBB233_655
.LBB233_653:
	s_mov_b64 s[2:3], -1
                                        ; implicit-def: $vgpr0_vgpr1
	s_branch .LBB233_658
.LBB233_654:
	s_mov_b64 s[2:3], -1
                                        ; implicit-def: $vgpr0_vgpr1
.LBB233_655:
	s_andn2_b64 vcc, exec, s[2:3]
	s_cbranch_vccnz .LBB233_657
; %bb.656:
	global_load_ushort v0, v[4:5], off
	v_mov_b32_e32 v1, 0
	s_waitcnt vmcnt(0)
	v_cvt_f32_u32_e32 v0, v0
.LBB233_657:
	s_mov_b64 s[2:3], 0
.LBB233_658:
	s_andn2_b64 vcc, exec, s[2:3]
	s_cbranch_vccnz .LBB233_668
; %bb.659:
	global_load_ubyte v3, v[4:5], off
	s_movk_i32 s2, 0x7f
	s_waitcnt vmcnt(0)
	v_cmp_lt_i16_e32 vcc, s2, v3
	s_mov_b64 s[2:3], 0
	s_and_saveexec_b64 s[4:5], vcc
	s_xor_b64 s[4:5], exec, s[4:5]
	s_cbranch_execz .LBB233_663
; %bb.660:
	s_movk_i32 s2, 0x80
	v_cmp_eq_u16_e32 vcc, s2, v3
	s_mov_b64 s[2:3], -1
	s_and_saveexec_b64 s[8:9], vcc
; %bb.661:
	s_xor_b64 s[2:3], exec, -1
; %bb.662:
	s_or_b64 exec, exec, s[8:9]
	s_and_b64 s[2:3], s[2:3], exec
.LBB233_663:
	s_or_saveexec_b64 s[4:5], s[4:5]
	v_mov_b32_e32 v0, 0x7f800001
	v_mov_b32_e32 v1, 0
	s_xor_b64 exec, exec, s[4:5]
; %bb.664:
	v_cmp_ne_u16_e32 vcc, 0, v3
	s_andn2_b64 s[2:3], s[2:3], exec
	s_and_b64 s[8:9], vcc, exec
	v_mov_b32_e32 v0, v1
	s_or_b64 s[2:3], s[2:3], s[8:9]
; %bb.665:
	s_or_b64 exec, exec, s[4:5]
	s_and_saveexec_b64 s[4:5], s[2:3]
	s_cbranch_execz .LBB233_667
; %bb.666:
	v_and_b32_e32 v1, 0xffff, v3
	v_lshlrev_b32_e32 v0, 24, v3
	v_and_b32_e32 v3, 7, v1
	v_ffbh_u32_e32 v7, v3
	v_min_u32_e32 v7, 32, v7
	v_subrev_u32_e32 v8, 28, v7
	v_bfe_u32 v6, v1, 3, 4
	v_lshlrev_b32_e32 v1, v8, v1
	v_sub_u32_e32 v7, 29, v7
	v_and_b32_e32 v1, 7, v1
	v_cmp_eq_u32_e32 vcc, 0, v6
	v_and_b32_e32 v0, 0x80000000, v0
	s_nop 0
	v_cndmask_b32_e32 v6, v6, v7, vcc
	v_cndmask_b32_e32 v1, v3, v1, vcc
	v_mov_b32_e32 v3, 0x3b800000
	v_lshlrev_b32_e32 v1, 20, v1
	v_lshl_add_u32 v3, v6, 23, v3
	v_or3_b32 v0, v0, v3, v1
	v_mov_b32_e32 v1, 0
.LBB233_667:
	s_or_b64 exec, exec, s[4:5]
.LBB233_668:
	s_mov_b64 s[2:3], -1
.LBB233_669:
	s_mov_b64 s[4:5], 0
.LBB233_670:
	s_and_b64 vcc, exec, s[4:5]
	s_cbranch_vccz .LBB233_703
; %bb.671:
	s_cmp_gt_i32 s10, 22
	s_cbranch_scc0 .LBB233_683
; %bb.672:
	s_cmp_lt_i32 s10, 24
	s_cbranch_scc1 .LBB233_684
; %bb.673:
	s_cmp_gt_i32 s10, 24
	s_cbranch_scc0 .LBB233_685
; %bb.674:
	global_load_ubyte v3, v[4:5], off
	s_movk_i32 s2, 0x7f
	s_waitcnt vmcnt(0)
	v_cmp_lt_i16_e32 vcc, s2, v3
	s_mov_b64 s[2:3], 0
	s_and_saveexec_b64 s[4:5], vcc
	s_xor_b64 s[4:5], exec, s[4:5]
	s_cbranch_execz .LBB233_678
; %bb.675:
	s_movk_i32 s2, 0x80
	v_cmp_eq_u16_e32 vcc, s2, v3
	s_mov_b64 s[2:3], -1
	s_and_saveexec_b64 s[8:9], vcc
; %bb.676:
	s_xor_b64 s[2:3], exec, -1
; %bb.677:
	s_or_b64 exec, exec, s[8:9]
	s_and_b64 s[2:3], s[2:3], exec
.LBB233_678:
	s_or_saveexec_b64 s[4:5], s[4:5]
	v_mov_b32_e32 v0, 0x7f800001
	v_mov_b32_e32 v1, 0
	s_xor_b64 exec, exec, s[4:5]
; %bb.679:
	v_cmp_ne_u16_e32 vcc, 0, v3
	s_andn2_b64 s[2:3], s[2:3], exec
	s_and_b64 s[8:9], vcc, exec
	v_mov_b32_e32 v0, v1
	s_or_b64 s[2:3], s[2:3], s[8:9]
; %bb.680:
	s_or_b64 exec, exec, s[4:5]
	s_and_saveexec_b64 s[4:5], s[2:3]
	s_cbranch_execz .LBB233_682
; %bb.681:
	v_and_b32_e32 v1, 0xffff, v3
	v_lshlrev_b32_e32 v0, 24, v3
	v_and_b32_e32 v3, 3, v1
	v_ffbh_u32_e32 v7, v3
	v_min_u32_e32 v7, 32, v7
	v_subrev_u32_e32 v8, 29, v7
	v_bfe_u32 v6, v1, 2, 5
	v_lshlrev_b32_e32 v1, v8, v1
	v_sub_u32_e32 v7, 30, v7
	v_and_b32_e32 v1, 3, v1
	v_cmp_eq_u32_e32 vcc, 0, v6
	v_and_b32_e32 v0, 0x80000000, v0
	s_nop 0
	v_cndmask_b32_e32 v6, v6, v7, vcc
	v_cndmask_b32_e32 v1, v3, v1, vcc
	v_mov_b32_e32 v3, 0x37800000
	v_lshlrev_b32_e32 v1, 21, v1
	v_lshl_add_u32 v3, v6, 23, v3
	v_or3_b32 v0, v0, v3, v1
	v_mov_b32_e32 v1, 0
.LBB233_682:
	s_or_b64 exec, exec, s[4:5]
	s_mov_b64 s[2:3], 0
	s_branch .LBB233_686
.LBB233_683:
	s_mov_b64 s[4:5], -1
                                        ; implicit-def: $vgpr0_vgpr1
	s_branch .LBB233_692
.LBB233_684:
	s_mov_b64 s[2:3], -1
                                        ; implicit-def: $vgpr0_vgpr1
	s_branch .LBB233_689
.LBB233_685:
	s_mov_b64 s[2:3], -1
                                        ; implicit-def: $vgpr0_vgpr1
.LBB233_686:
	s_and_b64 vcc, exec, s[2:3]
	s_cbranch_vccz .LBB233_688
; %bb.687:
	global_load_ubyte v0, v[4:5], off
	s_mov_b32 s2, 0x7f800000
	s_brev_b32 s3, 1
	s_waitcnt vmcnt(0)
	v_lshlrev_b32_e32 v0, 24, v0
	v_and_b32_e32 v1, 0x7f000000, v0
	v_ffbh_u32_e32 v3, v1
	v_min_u32_e32 v3, 32, v3
	v_sub_u32_e64 v3, v3, 4 clamp
	v_lshlrev_b32_e32 v7, v3, v1
	v_lshlrev_b32_e32 v3, 23, v3
	v_lshrrev_b32_e32 v7, 4, v7
	v_add_u32_e32 v6, 0x1000000, v1
	v_sub_u32_e32 v3, v7, v3
	v_ashrrev_i32_e32 v6, 8, v6
	v_add_u32_e32 v3, 0x3c000000, v3
	v_and_or_b32 v3, v6, s2, v3
	v_cmp_ne_u32_e32 vcc, 0, v1
	s_nop 1
	v_cndmask_b32_e32 v1, 0, v3, vcc
	v_and_or_b32 v0, v0, s3, v1
	v_mov_b32_e32 v1, 0
.LBB233_688:
	s_mov_b64 s[2:3], 0
.LBB233_689:
	s_andn2_b64 vcc, exec, s[2:3]
	s_cbranch_vccnz .LBB233_691
; %bb.690:
	global_load_ubyte v0, v[4:5], off
	s_movk_i32 s2, 0x7f00
	s_brev_b32 s3, 16
	s_brev_b32 s4, 1
	s_waitcnt vmcnt(0)
	v_lshlrev_b16_e32 v1, 8, v0
	v_lshlrev_b32_e32 v0, 25, v0
	v_lshrrev_b32_e32 v3, 4, v0
	v_and_or_b32 v6, v1, s2, 0.5
	v_or_b32_e32 v3, 0x70000000, v3
	v_add_f32_e32 v6, -0.5, v6
	v_mul_f32_e32 v3, 0x7800000, v3
	v_cmp_gt_u32_e32 vcc, s3, v0
	v_bfe_i32 v1, v1, 0, 16
	s_nop 0
	v_cndmask_b32_e32 v0, v3, v6, vcc
	v_and_or_b32 v0, v1, s4, v0
	v_mov_b32_e32 v1, 0
.LBB233_691:
	s_mov_b64 s[4:5], 0
	s_mov_b64 s[2:3], -1
.LBB233_692:
	s_andn2_b64 vcc, exec, s[4:5]
	s_cbranch_vccnz .LBB233_703
; %bb.693:
	s_cmp_gt_i32 s10, 14
	s_cbranch_scc0 .LBB233_696
; %bb.694:
	s_cmp_eq_u32 s10, 15
	s_cbranch_scc0 .LBB233_697
; %bb.695:
	global_load_ushort v0, v[4:5], off
	v_mov_b32_e32 v1, 0
	s_mov_b64 s[2:3], -1
	s_mov_b64 s[6:7], 0
	s_waitcnt vmcnt(0)
	v_lshlrev_b32_e32 v0, 16, v0
	s_branch .LBB233_698
.LBB233_696:
	s_mov_b64 s[4:5], -1
                                        ; implicit-def: $vgpr0_vgpr1
	s_branch .LBB233_699
.LBB233_697:
	s_mov_b64 s[6:7], -1
                                        ; implicit-def: $vgpr0_vgpr1
.LBB233_698:
	s_mov_b64 s[4:5], 0
.LBB233_699:
	s_and_b64 vcc, exec, s[4:5]
	s_cbranch_vccz .LBB233_703
; %bb.700:
	s_cmp_eq_u32 s10, 11
	s_cbranch_scc0 .LBB233_702
; %bb.701:
	global_load_ubyte v0, v[4:5], off
	v_mov_b32_e32 v1, 0
	s_mov_b64 s[2:3], -1
	s_mov_b64 s[6:7], 0
	s_waitcnt vmcnt(0)
	v_cmp_ne_u16_e32 vcc, 0, v0
	s_nop 1
	v_cndmask_b32_e64 v0, 0, 1.0, vcc
	s_branch .LBB233_703
.LBB233_702:
	s_mov_b64 s[6:7], -1
                                        ; implicit-def: $vgpr0_vgpr1
.LBB233_703:
	s_mov_b64 s[4:5], 0
.LBB233_704:
	s_and_b64 vcc, exec, s[4:5]
	s_cbranch_vccz .LBB233_753
; %bb.705:
	s_cmp_lt_i32 s10, 5
	s_cbranch_scc1 .LBB233_710
; %bb.706:
	s_cmp_lt_i32 s10, 8
	s_cbranch_scc1 .LBB233_711
	;; [unrolled: 3-line block ×3, first 2 shown]
; %bb.708:
	s_cmp_gt_i32 s10, 9
	s_cbranch_scc0 .LBB233_713
; %bb.709:
	global_load_dwordx4 v[6:9], v[4:5], off
	s_mov_b64 s[2:3], 0
	s_waitcnt vmcnt(0)
	v_cvt_f32_f64_e32 v1, v[8:9]
	v_cvt_f32_f64_e32 v0, v[6:7]
	s_branch .LBB233_714
.LBB233_710:
	s_mov_b64 s[2:3], -1
                                        ; implicit-def: $vgpr0_vgpr1
	s_branch .LBB233_732
.LBB233_711:
	s_mov_b64 s[2:3], -1
                                        ; implicit-def: $vgpr0_vgpr1
	s_branch .LBB233_720
.LBB233_712:
	s_mov_b64 s[2:3], -1
                                        ; implicit-def: $vgpr0_vgpr1
	s_branch .LBB233_717
.LBB233_713:
	s_mov_b64 s[2:3], -1
                                        ; implicit-def: $vgpr0_vgpr1
.LBB233_714:
	s_andn2_b64 vcc, exec, s[2:3]
	s_cbranch_vccnz .LBB233_716
; %bb.715:
	global_load_dwordx2 v[0:1], v[4:5], off
.LBB233_716:
	s_mov_b64 s[2:3], 0
.LBB233_717:
	s_andn2_b64 vcc, exec, s[2:3]
	s_cbranch_vccnz .LBB233_719
; %bb.718:
	global_load_dword v0, v[4:5], off
	s_waitcnt vmcnt(0)
	v_cvt_f32_f16_sdwa v1, v0 dst_sel:DWORD dst_unused:UNUSED_PAD src0_sel:WORD_1
	v_cvt_f32_f16_e32 v0, v0
.LBB233_719:
	s_mov_b64 s[2:3], 0
.LBB233_720:
	s_andn2_b64 vcc, exec, s[2:3]
	s_cbranch_vccnz .LBB233_731
; %bb.721:
	s_cmp_lt_i32 s10, 6
	s_cbranch_scc1 .LBB233_724
; %bb.722:
	s_cmp_gt_i32 s10, 6
	s_cbranch_scc0 .LBB233_725
; %bb.723:
	global_load_dwordx2 v[6:7], v[4:5], off
	s_waitcnt vmcnt(1)
	v_mov_b32_e32 v1, 0
	s_mov_b64 s[2:3], 0
	s_waitcnt vmcnt(0)
	v_cvt_f32_f64_e32 v0, v[6:7]
	s_branch .LBB233_726
.LBB233_724:
	s_mov_b64 s[2:3], -1
                                        ; implicit-def: $vgpr0_vgpr1
	s_branch .LBB233_729
.LBB233_725:
	s_mov_b64 s[2:3], -1
                                        ; implicit-def: $vgpr0_vgpr1
.LBB233_726:
	s_andn2_b64 vcc, exec, s[2:3]
	s_cbranch_vccnz .LBB233_728
; %bb.727:
	global_load_dword v0, v[4:5], off
	s_waitcnt vmcnt(1)
	v_mov_b32_e32 v1, 0
.LBB233_728:
	s_mov_b64 s[2:3], 0
.LBB233_729:
	s_andn2_b64 vcc, exec, s[2:3]
	s_cbranch_vccnz .LBB233_731
; %bb.730:
	global_load_ushort v0, v[4:5], off
	s_waitcnt vmcnt(1)
	v_mov_b32_e32 v1, 0
	s_waitcnt vmcnt(0)
	v_cvt_f32_f16_e32 v0, v0
.LBB233_731:
	s_mov_b64 s[2:3], 0
.LBB233_732:
	s_andn2_b64 vcc, exec, s[2:3]
	s_cbranch_vccnz .LBB233_752
; %bb.733:
	s_cmp_lt_i32 s10, 2
	s_cbranch_scc1 .LBB233_737
; %bb.734:
	s_cmp_lt_i32 s10, 3
	s_cbranch_scc1 .LBB233_738
; %bb.735:
	s_cmp_gt_i32 s10, 3
	s_cbranch_scc0 .LBB233_739
; %bb.736:
	global_load_dwordx2 v[0:1], v[4:5], off
	s_mov_b64 s[2:3], 0
	s_waitcnt vmcnt(0)
	v_xor_b32_e32 v6, v0, v1
	v_ffbh_i32_e32 v3, v1
	v_ashrrev_i32_e32 v6, 31, v6
	v_add_u32_e32 v3, -1, v3
	v_add_u32_e32 v6, 32, v6
	v_min_u32_e32 v3, v3, v6
	v_lshlrev_b64 v[0:1], v3, v[0:1]
	v_min_u32_e32 v0, 1, v0
	v_or_b32_e32 v0, v1, v0
	v_cvt_f32_i32_e32 v0, v0
	v_sub_u32_e32 v3, 32, v3
	v_mov_b32_e32 v1, 0
	v_ldexp_f32 v0, v0, v3
	s_branch .LBB233_740
.LBB233_737:
	s_mov_b64 s[2:3], -1
                                        ; implicit-def: $vgpr0_vgpr1
	s_branch .LBB233_746
.LBB233_738:
	s_mov_b64 s[2:3], -1
                                        ; implicit-def: $vgpr0_vgpr1
	s_branch .LBB233_743
.LBB233_739:
	s_mov_b64 s[2:3], -1
                                        ; implicit-def: $vgpr0_vgpr1
.LBB233_740:
	s_andn2_b64 vcc, exec, s[2:3]
	s_cbranch_vccnz .LBB233_742
; %bb.741:
	global_load_dword v0, v[4:5], off
	s_waitcnt vmcnt(1)
	v_mov_b32_e32 v1, 0
	s_waitcnt vmcnt(0)
	v_cvt_f32_i32_e32 v0, v0
.LBB233_742:
	s_mov_b64 s[2:3], 0
.LBB233_743:
	s_andn2_b64 vcc, exec, s[2:3]
	s_cbranch_vccnz .LBB233_745
; %bb.744:
	global_load_sshort v0, v[4:5], off
	s_waitcnt vmcnt(1)
	v_mov_b32_e32 v1, 0
	s_waitcnt vmcnt(0)
	v_cvt_f32_i32_e32 v0, v0
.LBB233_745:
	s_mov_b64 s[2:3], 0
.LBB233_746:
	s_andn2_b64 vcc, exec, s[2:3]
	s_cbranch_vccnz .LBB233_752
; %bb.747:
	s_cmp_gt_i32 s10, 0
	s_cbranch_scc0 .LBB233_749
; %bb.748:
	global_load_sbyte v0, v[4:5], off
	s_waitcnt vmcnt(1)
	v_mov_b32_e32 v1, 0
	s_mov_b64 s[2:3], 0
	s_waitcnt vmcnt(0)
	v_cvt_f32_i32_e32 v0, v0
	s_branch .LBB233_750
.LBB233_749:
	s_mov_b64 s[2:3], -1
                                        ; implicit-def: $vgpr0_vgpr1
.LBB233_750:
	s_andn2_b64 vcc, exec, s[2:3]
	s_cbranch_vccnz .LBB233_752
; %bb.751:
	global_load_ubyte v0, v[4:5], off
	s_waitcnt vmcnt(1)
	v_mov_b32_e32 v1, 0
	s_waitcnt vmcnt(0)
	v_cvt_f32_ubyte0_e32 v0, v0
.LBB233_752:
	s_mov_b64 s[2:3], -1
.LBB233_753:
	s_andn2_b64 vcc, exec, s[2:3]
	s_cbranch_vccnz .LBB233_766
; %bb.754:
	s_waitcnt vmcnt(0)
	v_cmp_neq_f32_e32 vcc, 0, v0
	v_cmp_neq_f32_e64 s[2:3], 0, v1
	v_mov_b32_e32 v4, 0
	s_or_b64 s[2:3], vcc, s[2:3]
	s_and_saveexec_b64 s[8:9], s[2:3]
	s_cbranch_execz .LBB233_785
; %bb.755:
	v_mov_b32_e32 v4, 0x7f800000
	v_cmp_neq_f32_e64 s[2:3], |v1|, v4
	s_and_saveexec_b64 s[10:11], s[2:3]
	s_cbranch_execz .LBB233_784
; %bb.756:
	v_cmp_o_f32_e32 vcc, v0, v0
                                        ; implicit-def: $vgpr4
	s_and_saveexec_b64 s[2:3], vcc
	s_xor_b64 s[12:13], exec, s[2:3]
	s_cbranch_execz .LBB233_781
; %bb.757:
	s_mov_b32 s2, 0x7f800000
	v_cmp_neq_f32_e64 s[2:3], |v0|, s2
                                        ; implicit-def: $vgpr4
	s_and_saveexec_b64 s[4:5], s[2:3]
	s_xor_b64 s[14:15], exec, s[4:5]
	s_cbranch_execz .LBB233_774
; %bb.758:
	v_max_f32_e64 v3, |v1|, |v1|
	v_max_f32_e64 v4, |v0|, |v0|
	v_max_f32_e32 v3, v4, v3
	s_mov_b32 s2, 0x7ed413cb
	v_cmp_nle_f32_e64 s[2:3], s2, v3
                                        ; implicit-def: $sgpr16_sgpr17
	s_and_saveexec_b64 s[4:5], s[2:3]
	s_xor_b64 s[4:5], exec, s[4:5]
	s_cbranch_execz .LBB233_762
; %bb.759:
	s_mov_b32 s18, 0x1000000
	v_cmp_le_f32_e64 s[16:17], |v0|, s18
	v_cmp_le_f32_e64 s[18:19], |v1|, s18
	s_and_b64 s[36:37], s[16:17], s[18:19]
	s_mov_b64 s[16:17], 0
	s_and_saveexec_b64 s[18:19], s[36:37]
; %bb.760:
	s_mov_b64 s[16:17], exec
	v_pk_mul_f32 v[0:1], v[0:1], 4.0 op_sel_hi:[1,0]
; %bb.761:
	s_or_b64 exec, exec, s[18:19]
.LBB233_762:
	s_andn2_saveexec_b64 s[4:5], s[4:5]
; %bb.763:
	s_mov_b32 s18, 0x3e800000
	v_pk_mul_f32 v[0:1], v[0:1], s[18:19] op_sel_hi:[1,0]
	s_andn2_b64 s[16:17], s[16:17], exec
; %bb.764:
	s_or_b64 exec, exec, s[4:5]
	v_max_f32_e64 v3, |v1|, |v1|
	v_max_f32_e64 v4, |v0|, |v0|
	v_max_f32_e32 v3, v4, v3
	v_cvt_f64_f32_e32 v[4:5], v3
	v_frexp_exp_i32_f64_e32 v4, v[4:5]
	v_sub_u32_e32 v5, 0, v4
	v_ldexp_f32 v6, |v0|, v5
	v_ldexp_f32 v5, |v1|, v5
	v_mul_f32_e32 v5, v5, v5
	v_fmac_f32_e32 v5, v6, v6
	v_sqrt_f32_e32 v5, v5
	s_mov_b32 s4, 0x7f800000
	v_cmp_neq_f32_e64 s[4:5], s4, v3
	v_cmp_le_f32_e32 vcc, 0, v0
	v_ldexp_f32 v4, v5, v4
	v_mov_b32_e32 v5, 0x7f800000
	v_cndmask_b32_e64 v4, v5, v4, s[4:5]
                                        ; implicit-def: $vgpr5
                                        ; implicit-def: $vgpr3
	s_and_saveexec_b64 s[4:5], vcc
	s_xor_b64 s[18:19], exec, s[4:5]
	s_cbranch_execz .LBB233_767
; %bb.765:
	v_add_f32_e32 v0, v0, v4
	v_mul_f32_e32 v0, 0.5, v0
	s_mov_b32 s4, 0xf800000
	v_mul_f32_e32 v3, 0x4f800000, v0
	v_cmp_gt_f32_e32 vcc, s4, v0
	s_nop 1
	v_cndmask_b32_e32 v0, v0, v3, vcc
	v_sqrt_f32_e32 v3, v0
	s_nop 0
	v_add_u32_e32 v4, -1, v3
	v_fma_f32 v5, -v4, v3, v0
	v_cmp_ge_f32_e64 s[4:5], 0, v5
	v_add_u32_e32 v5, 1, v3
	s_nop 0
	v_cndmask_b32_e64 v4, v3, v4, s[4:5]
	v_fma_f32 v3, -v5, v3, v0
	v_cmp_lt_f32_e64 s[4:5], 0, v3
	s_nop 1
	v_cndmask_b32_e64 v3, v4, v5, s[4:5]
	v_mul_f32_e32 v4, 0x37800000, v3
	v_cndmask_b32_e32 v3, v3, v4, vcc
	v_mov_b32_e32 v4, 0x260
	v_cmp_class_f32_e32 vcc, v0, v4
	s_nop 1
	v_cndmask_b32_e32 v3, v3, v0, vcc
	v_add_f32_e32 v0, v3, v3
	v_div_scale_f32 v4, s[4:5], v0, v0, v1
	v_rcp_f32_e32 v5, v4
	s_nop 0
	v_fma_f32 v6, -v4, v5, 1.0
	v_fmac_f32_e32 v5, v6, v5
	v_div_scale_f32 v6, vcc, v1, v0, v1
	v_mul_f32_e32 v7, v6, v5
	v_fma_f32 v8, -v4, v7, v6
	v_fmac_f32_e32 v7, v8, v5
	v_fma_f32 v4, -v4, v7, v6
	v_div_fmas_f32 v4, v4, v5, v7
	v_div_fixup_f32 v5, v4, v0, v1
                                        ; implicit-def: $vgpr4
                                        ; implicit-def: $vgpr0_vgpr1
	s_andn2_saveexec_b64 s[18:19], s[18:19]
	s_cbranch_execz .LBB233_769
	s_branch .LBB233_768
.LBB233_766:
	s_mov_b64 s[4:5], 0
	s_mov_b64 s[2:3], s[62:63]
	s_branch .LBB233_908
.LBB233_767:
	s_andn2_saveexec_b64 s[18:19], s[18:19]
	s_cbranch_execz .LBB233_769
.LBB233_768:
	v_sub_f32_e32 v0, v4, v0
	v_mul_f32_e32 v0, 0.5, v0
	s_mov_b32 s4, 0xf800000
	v_mul_f32_e32 v3, 0x4f800000, v0
	v_cmp_gt_f32_e32 vcc, s4, v0
	s_nop 1
	v_cndmask_b32_e32 v0, v0, v3, vcc
	v_sqrt_f32_e32 v3, v0
	s_nop 0
	v_add_u32_e32 v4, -1, v3
	v_fma_f32 v5, -v4, v3, v0
	v_cmp_ge_f32_e64 s[4:5], 0, v5
	v_add_u32_e32 v5, 1, v3
	s_nop 0
	v_cndmask_b32_e64 v4, v3, v4, s[4:5]
	v_fma_f32 v3, -v5, v3, v0
	v_cmp_lt_f32_e64 s[4:5], 0, v3
	s_nop 1
	v_cndmask_b32_e64 v3, v4, v5, s[4:5]
	v_mul_f32_e32 v4, 0x37800000, v3
	v_cndmask_b32_e32 v3, v3, v4, vcc
	v_mov_b32_e32 v4, 0x260
	v_cmp_class_f32_e32 vcc, v0, v4
	v_and_b32_e32 v4, 0x7fffffff, v1
	s_nop 0
	v_cndmask_b32_e32 v0, v3, v0, vcc
	v_add_f32_e32 v3, v0, v0
	v_div_scale_f32 v5, s[4:5], v3, v3, v4
	v_rcp_f32_e32 v6, v5
	v_div_scale_f32 v4, vcc, v4, v3, v4
	s_brev_b32 s4, -2
	v_fma_f32 v7, -v5, v6, 1.0
	v_fmac_f32_e32 v6, v7, v6
	v_mul_f32_e32 v7, v4, v6
	v_fma_f32 v8, -v5, v7, v4
	v_fmac_f32_e32 v7, v8, v6
	v_fma_f32 v4, -v5, v7, v4
	v_div_fmas_f32 v4, v4, v6, v7
	v_div_fixup_f32 v3, v4, v3, |v1|
	v_bfi_b32 v5, s4, v0, v1
.LBB233_769:
	s_or_b64 exec, exec, s[18:19]
                                        ; implicit-def: $vgpr1
                                        ; implicit-def: $vgpr4
	s_and_saveexec_b64 s[4:5], s[2:3]
	s_xor_b64 s[2:3], exec, s[4:5]
	s_cbranch_execz .LBB233_771
; %bb.770:
	v_mul_f32_e32 v0, 0.5, v3
	v_mul_f32_e32 v1, 0.5, v5
	v_cndmask_b32_e64 v4, v3, v0, s[16:17]
	v_cndmask_b32_e64 v1, v5, v1, s[16:17]
                                        ; implicit-def: $vgpr3
                                        ; implicit-def: $vgpr5
	s_andn2_saveexec_b64 s[2:3], s[2:3]
	s_cbranch_execnz .LBB233_772
	s_branch .LBB233_773
.LBB233_771:
	s_andn2_saveexec_b64 s[2:3], s[2:3]
.LBB233_772:
	v_add_f32_e32 v4, v3, v3
	v_add_f32_e32 v1, v5, v5
.LBB233_773:
	s_or_b64 exec, exec, s[2:3]
.LBB233_774:
	s_andn2_saveexec_b64 s[2:3], s[14:15]
	s_cbranch_execz .LBB233_780
; %bb.775:
	v_sub_f32_e32 v3, v1, v1
	v_cmp_lt_i32_e32 vcc, -1, v0
	s_brev_b32 s14, -2
	v_and_b32_e32 v4, 0x7fffffff, v3
	s_and_saveexec_b64 s[4:5], vcc
	s_xor_b64 s[4:5], exec, s[4:5]
; %bb.776:
	v_bfi_b32 v1, s14, v3, v1
	v_mov_b32_e32 v4, v0
; %bb.777:
	s_andn2_saveexec_b64 s[4:5], s[4:5]
; %bb.778:
	v_bfi_b32 v1, s14, v0, v1
; %bb.779:
	s_or_b64 exec, exec, s[4:5]
.LBB233_780:
	s_or_b64 exec, exec, s[2:3]
.LBB233_781:
	s_andn2_saveexec_b64 s[2:3], s[12:13]
	s_cbranch_execz .LBB233_783
; %bb.782:
	v_sub_f32_e32 v1, v1, v1
	v_div_scale_f32 v3, vcc, v1, v1, v1
	v_rcp_f32_e32 v4, v3
	s_nop 0
	v_fma_f32 v5, -v3, v4, 1.0
	v_fmac_f32_e32 v4, v5, v4
	v_mul_f32_e32 v5, v3, v4
	v_fma_f32 v6, -v3, v5, v3
	v_fmac_f32_e32 v5, v6, v4
	v_fma_f32 v3, -v3, v5, v3
	v_div_fmas_f32 v3, v3, v4, v5
	v_div_fixup_f32 v1, v3, v1, v1
	v_mov_b32_e32 v4, v0
.LBB233_783:
	s_or_b64 exec, exec, s[2:3]
.LBB233_784:
	s_or_b64 exec, exec, s[10:11]
.LBB233_785:
	s_or_b64 exec, exec, s[8:9]
	v_mov_b32_e32 v3, 0
	s_and_b32 s12, s73, 0xff
	s_cmp_lt_i32 s12, 11
	v_lshl_add_u64 v[2:3], s[20:21], 0, v[2:3]
	s_cbranch_scc1 .LBB233_792
; %bb.786:
	s_and_b32 s13, 0xffff, s12
	s_cmp_gt_i32 s13, 25
	s_cbranch_scc0 .LBB233_793
; %bb.787:
	s_cmp_gt_i32 s13, 28
	s_cbranch_scc0 .LBB233_794
; %bb.788:
	;; [unrolled: 3-line block ×4, first 2 shown]
	s_mov_b64 s[8:9], 0
	s_mov_b64 s[2:3], -1
	s_cmp_eq_u32 s13, 46
	s_mov_b64 s[4:5], 0
	s_cbranch_scc0 .LBB233_797
; %bb.791:
	s_movk_i32 s2, 0x7fff
	v_bfe_u32 v5, v1, 16, 1
	v_add3_u32 v5, v1, v5, s2
	v_bfe_u32 v0, v4, 16, 1
	v_and_b32_e32 v5, 0xffff0000, v5
	v_mov_b32_e32 v6, 0x7fc00000
	v_cmp_o_f32_e32 vcc, v1, v1
	v_add3_u32 v0, v4, v0, s2
	s_mov_b64 s[4:5], -1
	v_cndmask_b32_e32 v5, v6, v5, vcc
	v_cmp_o_f32_e32 vcc, v4, v4
	v_mov_b32_e32 v6, 0x7fc0
	s_mov_b64 s[2:3], 0
	v_cndmask_b32_sdwa v0, v6, v0, vcc dst_sel:DWORD dst_unused:UNUSED_PAD src0_sel:DWORD src1_sel:WORD_1
	v_or_b32_e32 v0, v5, v0
	global_store_dword v[2:3], v0, off
	s_branch .LBB233_797
.LBB233_792:
	s_mov_b64 s[8:9], -1
	s_mov_b64 s[4:5], 0
	s_mov_b64 s[2:3], s[62:63]
	s_branch .LBB233_866
.LBB233_793:
	s_mov_b64 s[8:9], -1
	s_mov_b64 s[4:5], 0
	s_mov_b64 s[2:3], s[62:63]
	s_branch .LBB233_824
.LBB233_794:
	s_mov_b64 s[8:9], -1
	s_mov_b64 s[4:5], 0
	s_mov_b64 s[2:3], s[62:63]
	s_branch .LBB233_807
.LBB233_795:
	s_mov_b64 s[8:9], -1
	s_mov_b64 s[4:5], 0
	s_mov_b64 s[2:3], s[62:63]
	s_branch .LBB233_803
.LBB233_796:
	s_mov_b64 s[8:9], -1
	s_mov_b64 s[4:5], 0
	s_mov_b64 s[2:3], s[62:63]
.LBB233_797:
	s_and_b64 vcc, exec, s[8:9]
	s_cbranch_vccz .LBB233_802
; %bb.798:
	s_cmp_eq_u32 s13, 44
	s_mov_b64 s[2:3], -1
	s_cbranch_scc0 .LBB233_802
; %bb.799:
	v_bfe_u32 v0, v4, 23, 8
	s_movk_i32 s2, 0xff
	v_cmp_ne_u32_e32 vcc, s2, v0
	v_mov_b32_e32 v5, 0xff
	s_and_saveexec_b64 s[4:5], vcc
; %bb.800:
	s_mov_b32 s2, 0x3fffff
	v_and_b32_e32 v6, 0x400000, v4
	v_and_or_b32 v0, v4, s2, v0
	v_cmp_ne_u32_e32 vcc, 0, v6
	v_cmp_ne_u32_e64 s[2:3], 0, v0
	s_and_b64 s[2:3], vcc, s[2:3]
	v_lshrrev_b32_e32 v5, 23, v4
	v_cndmask_b32_e64 v0, 0, 1, s[2:3]
	v_add_u32_e32 v5, v5, v0
; %bb.801:
	s_or_b64 exec, exec, s[4:5]
	s_mov_b64 s[4:5], -1
	s_mov_b64 s[2:3], 0
	global_store_byte v[2:3], v5, off
.LBB233_802:
	s_mov_b64 s[8:9], 0
.LBB233_803:
	s_and_b64 vcc, exec, s[8:9]
	s_cbranch_vccz .LBB233_806
; %bb.804:
	s_cmp_eq_u32 s13, 29
	s_mov_b64 s[2:3], -1
	s_cbranch_scc0 .LBB233_806
; %bb.805:
	v_trunc_f32_e32 v0, v4
	v_mul_f32_e32 v5, 0x2f800000, v0
	v_floor_f32_e32 v5, v5
	v_fmamk_f32 v0, v5, 0xcf800000, v0
	v_cvt_u32_f32_e32 v7, v5
	v_cvt_u32_f32_e32 v6, v0
	s_mov_b64 s[4:5], -1
	s_mov_b64 s[2:3], 0
	s_mov_b64 s[8:9], 0
	global_store_dwordx2 v[2:3], v[6:7], off
	s_branch .LBB233_807
.LBB233_806:
	s_mov_b64 s[8:9], 0
.LBB233_807:
	s_and_b64 vcc, exec, s[8:9]
	s_cbranch_vccz .LBB233_823
; %bb.808:
	s_cmp_lt_i32 s13, 27
	s_mov_b64 s[4:5], -1
	s_cbranch_scc1 .LBB233_814
; %bb.809:
	v_cvt_u32_f32_e32 v0, v4
	s_cmp_gt_i32 s13, 27
	s_cbranch_scc0 .LBB233_811
; %bb.810:
	s_mov_b64 s[4:5], 0
	global_store_dword v[2:3], v0, off
.LBB233_811:
	s_andn2_b64 vcc, exec, s[4:5]
	s_cbranch_vccnz .LBB233_813
; %bb.812:
	global_store_short v[2:3], v0, off
.LBB233_813:
	s_mov_b64 s[4:5], 0
.LBB233_814:
	s_andn2_b64 vcc, exec, s[4:5]
	s_cbranch_vccnz .LBB233_822
; %bb.815:
	v_and_b32_e32 v0, 0x7fffffff, v4
	s_mov_b32 s4, 0x43800000
	v_cmp_gt_u32_e32 vcc, s4, v0
	v_mov_b32_e32 v5, 0x80
	s_and_saveexec_b64 s[4:5], vcc
	s_cbranch_execz .LBB233_821
; %bb.816:
	s_mov_b32 s8, 0x3bffffff
	v_cmp_lt_u32_e32 vcc, s8, v0
	s_mov_b64 s[8:9], 0
                                        ; implicit-def: $vgpr0
	s_and_saveexec_b64 s[10:11], vcc
	s_xor_b64 s[10:11], exec, s[10:11]
	s_cbranch_execz .LBB233_939
; %bb.817:
	v_bfe_u32 v0, v4, 20, 1
	s_mov_b32 s14, 0x487ffff
	v_add3_u32 v0, v4, v0, s14
	s_mov_b64 s[8:9], exec
	v_lshrrev_b32_e32 v0, 20, v0
	s_andn2_saveexec_b64 s[10:11], s[10:11]
	s_cbranch_execnz .LBB233_940
.LBB233_818:
	s_or_b64 exec, exec, s[10:11]
	v_mov_b32_e32 v5, 0
	s_and_saveexec_b64 s[10:11], s[8:9]
.LBB233_819:
	v_lshrrev_b32_e32 v5, 24, v4
	s_movk_i32 s8, 0x80
	v_and_or_b32 v5, v5, s8, v0
.LBB233_820:
	s_or_b64 exec, exec, s[10:11]
.LBB233_821:
	s_or_b64 exec, exec, s[4:5]
	global_store_byte v[2:3], v5, off
.LBB233_822:
	s_mov_b64 s[4:5], -1
.LBB233_823:
	s_mov_b64 s[8:9], 0
.LBB233_824:
	s_and_b64 vcc, exec, s[8:9]
	s_cbranch_vccz .LBB233_865
; %bb.825:
	s_cmp_gt_i32 s13, 22
	s_mov_b64 s[8:9], -1
	s_cbranch_scc0 .LBB233_857
; %bb.826:
	s_cmp_lt_i32 s13, 24
	s_mov_b64 s[4:5], -1
	s_cbranch_scc1 .LBB233_846
; %bb.827:
	s_cmp_gt_i32 s13, 24
	s_cbranch_scc0 .LBB233_835
; %bb.828:
	v_and_b32_e32 v0, 0x7fffffff, v4
	s_mov_b32 s4, 0x47800000
	v_cmp_gt_u32_e32 vcc, s4, v0
	v_mov_b32_e32 v5, 0x80
	s_and_saveexec_b64 s[4:5], vcc
	s_cbranch_execz .LBB233_834
; %bb.829:
	s_mov_b32 s8, 0x37ffffff
	v_cmp_lt_u32_e32 vcc, s8, v0
	s_mov_b64 s[8:9], 0
                                        ; implicit-def: $vgpr0
	s_and_saveexec_b64 s[10:11], vcc
	s_xor_b64 s[10:11], exec, s[10:11]
	s_cbranch_execz .LBB233_942
; %bb.830:
	v_bfe_u32 v0, v4, 21, 1
	s_mov_b32 s14, 0x88fffff
	v_add3_u32 v0, v4, v0, s14
	s_mov_b64 s[8:9], exec
	v_lshrrev_b32_e32 v0, 21, v0
	s_andn2_saveexec_b64 s[10:11], s[10:11]
	s_cbranch_execnz .LBB233_943
.LBB233_831:
	s_or_b64 exec, exec, s[10:11]
	v_mov_b32_e32 v5, 0
	s_and_saveexec_b64 s[10:11], s[8:9]
.LBB233_832:
	v_lshrrev_b32_e32 v5, 24, v4
	s_movk_i32 s8, 0x80
	v_and_or_b32 v5, v5, s8, v0
.LBB233_833:
	s_or_b64 exec, exec, s[10:11]
.LBB233_834:
	s_or_b64 exec, exec, s[4:5]
	s_mov_b64 s[4:5], 0
	global_store_byte v[2:3], v5, off
.LBB233_835:
	s_and_b64 vcc, exec, s[4:5]
	s_cbranch_vccz .LBB233_845
; %bb.836:
	v_and_b32_e32 v5, 0x7fffffff, v4
	s_mov_b32 s4, 0x43f00000
	v_cmp_gt_u32_e32 vcc, s4, v5
                                        ; implicit-def: $vgpr0
	s_and_saveexec_b64 s[4:5], vcc
	s_xor_b64 s[4:5], exec, s[4:5]
	s_cbranch_execz .LBB233_842
; %bb.837:
	s_mov_b32 s8, 0x3c7fffff
	v_cmp_lt_u32_e32 vcc, s8, v5
                                        ; implicit-def: $vgpr0
	s_and_saveexec_b64 s[8:9], vcc
	s_xor_b64 s[8:9], exec, s[8:9]
; %bb.838:
	v_bfe_u32 v0, v4, 20, 1
	s_mov_b32 s10, 0x407ffff
	v_add3_u32 v0, v4, v0, s10
	v_lshrrev_b32_e32 v5, 20, v0
	v_and_b32_e32 v0, 0xff00000, v0
	s_mov_b32 s10, 0x7f00000
	v_mov_b32_e32 v6, 0x7e
	v_cmp_ne_u32_e32 vcc, s10, v0
	s_nop 1
	v_cndmask_b32_e32 v0, v6, v5, vcc
; %bb.839:
	s_andn2_saveexec_b64 s[8:9], s[8:9]
; %bb.840:
	s_mov_b32 s10, 0x46800000
	v_add_f32_e64 v0, |v4|, s10
; %bb.841:
	s_or_b64 exec, exec, s[8:9]
                                        ; implicit-def: $vgpr5
.LBB233_842:
	s_andn2_saveexec_b64 s[4:5], s[4:5]
; %bb.843:
	s_mov_b32 s8, 0x7f800000
	v_mov_b32_e32 v0, 0x7e
	v_mov_b32_e32 v6, 0x7f
	v_cmp_lt_u32_e32 vcc, s8, v5
	s_nop 1
	v_cndmask_b32_e32 v0, v0, v6, vcc
; %bb.844:
	s_or_b64 exec, exec, s[4:5]
	v_lshrrev_b32_e32 v5, 24, v4
	s_movk_i32 s4, 0x80
	v_and_or_b32 v0, v5, s4, v0
	global_store_byte v[2:3], v0, off
.LBB233_845:
	s_mov_b64 s[4:5], 0
.LBB233_846:
	s_andn2_b64 vcc, exec, s[4:5]
	s_cbranch_vccnz .LBB233_856
; %bb.847:
	v_and_b32_e32 v5, 0x7fffffff, v4
	s_mov_b32 s4, 0x47800000
	v_cmp_gt_u32_e32 vcc, s4, v5
                                        ; implicit-def: $vgpr0
	s_and_saveexec_b64 s[4:5], vcc
	s_xor_b64 s[4:5], exec, s[4:5]
	s_cbranch_execz .LBB233_853
; %bb.848:
	s_mov_b32 s8, 0x387fffff
	v_cmp_lt_u32_e32 vcc, s8, v5
                                        ; implicit-def: $vgpr0
	s_and_saveexec_b64 s[8:9], vcc
	s_xor_b64 s[8:9], exec, s[8:9]
; %bb.849:
	v_bfe_u32 v0, v4, 21, 1
	s_mov_b32 s10, 0x80fffff
	v_add3_u32 v0, v4, v0, s10
	v_lshrrev_b32_e32 v0, 21, v0
; %bb.850:
	s_andn2_saveexec_b64 s[8:9], s[8:9]
; %bb.851:
	s_mov_b32 s10, 0x43000000
	v_add_f32_e64 v0, |v4|, s10
; %bb.852:
	s_or_b64 exec, exec, s[8:9]
                                        ; implicit-def: $vgpr5
.LBB233_853:
	s_andn2_saveexec_b64 s[4:5], s[4:5]
; %bb.854:
	s_mov_b32 s8, 0x7f800000
	v_mov_b32_e32 v0, 0x7c
	v_mov_b32_e32 v6, 0x7f
	v_cmp_lt_u32_e32 vcc, s8, v5
	s_nop 1
	v_cndmask_b32_e32 v0, v0, v6, vcc
; %bb.855:
	s_or_b64 exec, exec, s[4:5]
	v_lshrrev_b32_e32 v5, 24, v4
	s_movk_i32 s4, 0x80
	v_and_or_b32 v0, v5, s4, v0
	global_store_byte v[2:3], v0, off
.LBB233_856:
	s_mov_b64 s[8:9], 0
	s_mov_b64 s[4:5], -1
.LBB233_857:
	s_andn2_b64 vcc, exec, s[8:9]
	s_cbranch_vccnz .LBB233_865
; %bb.858:
	s_cmp_gt_i32 s13, 14
	s_mov_b64 s[8:9], -1
	s_cbranch_scc0 .LBB233_862
; %bb.859:
	s_cmp_eq_u32 s13, 15
	s_mov_b64 s[2:3], -1
	s_cbranch_scc0 .LBB233_861
; %bb.860:
	v_bfe_u32 v0, v4, 16, 1
	s_movk_i32 s2, 0x7fff
	v_add3_u32 v0, v4, v0, s2
	v_cmp_o_f32_e32 vcc, v4, v4
	v_mov_b32_e32 v5, 0x7fc0
	s_mov_b64 s[4:5], -1
	v_cndmask_b32_sdwa v0, v5, v0, vcc dst_sel:DWORD dst_unused:UNUSED_PAD src0_sel:DWORD src1_sel:WORD_1
	global_store_short v[2:3], v0, off
	s_mov_b64 s[2:3], 0
.LBB233_861:
	s_mov_b64 s[8:9], 0
.LBB233_862:
	s_and_b64 vcc, exec, s[8:9]
	s_cbranch_vccz .LBB233_865
; %bb.863:
	s_cmp_eq_u32 s13, 11
	s_mov_b64 s[2:3], -1
	s_cbranch_scc0 .LBB233_865
; %bb.864:
	v_cmp_neq_f32_e32 vcc, 0, v4
	v_cmp_neq_f32_e64 s[2:3], 0, v1
	s_or_b64 s[2:3], vcc, s[2:3]
	s_mov_b64 s[4:5], -1
	v_cndmask_b32_e64 v0, 0, 1, s[2:3]
	s_mov_b64 s[2:3], 0
	global_store_byte v[2:3], v0, off
.LBB233_865:
	s_mov_b64 s[8:9], 0
.LBB233_866:
	s_and_b64 vcc, exec, s[8:9]
	s_cbranch_vccz .LBB233_905
; %bb.867:
	s_and_b32 s8, 0xffff, s12
	s_cmp_lt_i32 s8, 5
	s_mov_b64 s[4:5], -1
	s_cbranch_scc1 .LBB233_888
; %bb.868:
	s_cmp_lt_i32 s8, 8
	s_cbranch_scc1 .LBB233_878
; %bb.869:
	s_cmp_lt_i32 s8, 9
	s_cbranch_scc1 .LBB233_875
; %bb.870:
	s_cmp_gt_i32 s8, 9
	s_cbranch_scc0 .LBB233_872
; %bb.871:
	v_cvt_f64_f32_e32 v[6:7], v4
	v_cvt_f64_f32_e32 v[8:9], v1
	s_mov_b64 s[4:5], 0
	global_store_dwordx4 v[2:3], v[6:9], off
.LBB233_872:
	s_andn2_b64 vcc, exec, s[4:5]
	s_cbranch_vccnz .LBB233_874
; %bb.873:
	v_mov_b32_e32 v5, v1
	global_store_dwordx2 v[2:3], v[4:5], off
.LBB233_874:
	s_mov_b64 s[4:5], 0
.LBB233_875:
	s_andn2_b64 vcc, exec, s[4:5]
	s_cbranch_vccnz .LBB233_877
; %bb.876:
	v_cvt_f16_f32_e32 v0, v4
	v_cvt_f16_f32_sdwa v1, v1 dst_sel:WORD_1 dst_unused:UNUSED_PAD src0_sel:DWORD
	s_nop 0
	v_or_b32_e32 v0, v1, v0
	global_store_dword v[2:3], v0, off
.LBB233_877:
	s_mov_b64 s[4:5], 0
.LBB233_878:
	s_andn2_b64 vcc, exec, s[4:5]
	s_cbranch_vccnz .LBB233_887
; %bb.879:
	s_cmp_lt_i32 s8, 6
	s_mov_b64 s[4:5], -1
	s_cbranch_scc1 .LBB233_885
; %bb.880:
	s_cmp_gt_i32 s8, 6
	s_cbranch_scc0 .LBB233_882
; %bb.881:
	v_cvt_f64_f32_e32 v[0:1], v4
	s_mov_b64 s[4:5], 0
	global_store_dwordx2 v[2:3], v[0:1], off
.LBB233_882:
	s_andn2_b64 vcc, exec, s[4:5]
	s_cbranch_vccnz .LBB233_884
; %bb.883:
	global_store_dword v[2:3], v4, off
.LBB233_884:
	s_mov_b64 s[4:5], 0
.LBB233_885:
	s_andn2_b64 vcc, exec, s[4:5]
	s_cbranch_vccnz .LBB233_887
; %bb.886:
	v_cvt_f16_f32_e32 v0, v4
	global_store_short v[2:3], v0, off
.LBB233_887:
	s_mov_b64 s[4:5], 0
.LBB233_888:
	s_andn2_b64 vcc, exec, s[4:5]
	s_cbranch_vccnz .LBB233_904
; %bb.889:
	s_cmp_lt_i32 s8, 2
	s_mov_b64 s[4:5], -1
	s_cbranch_scc1 .LBB233_899
; %bb.890:
	s_cmp_lt_i32 s8, 3
	s_cbranch_scc1 .LBB233_896
; %bb.891:
	s_cmp_gt_i32 s8, 3
	s_cbranch_scc0 .LBB233_893
; %bb.892:
	v_trunc_f32_e32 v0, v4
	s_mov_b32 s4, 0x2f800000
	v_mul_f32_e64 v1, |v0|, s4
	v_floor_f32_e32 v1, v1
	s_mov_b32 s4, 0xcf800000
	v_cvt_u32_f32_e32 v5, v1
	v_fma_f32 v1, v1, s4, |v0|
	v_cvt_u32_f32_e32 v1, v1
	v_ashrrev_i32_e32 v6, 31, v0
	v_xor_b32_e32 v5, v5, v6
	s_mov_b64 s[4:5], 0
	v_xor_b32_e32 v0, v1, v6
	v_sub_co_u32_e32 v0, vcc, v0, v6
	s_nop 1
	v_subb_co_u32_e32 v1, vcc, v5, v6, vcc
	global_store_dwordx2 v[2:3], v[0:1], off
.LBB233_893:
	s_andn2_b64 vcc, exec, s[4:5]
	s_cbranch_vccnz .LBB233_895
; %bb.894:
	v_cvt_i32_f32_e32 v0, v4
	global_store_dword v[2:3], v0, off
.LBB233_895:
	s_mov_b64 s[4:5], 0
.LBB233_896:
	s_andn2_b64 vcc, exec, s[4:5]
	s_cbranch_vccnz .LBB233_898
; %bb.897:
	v_cvt_i32_f32_e32 v0, v4
	global_store_short v[2:3], v0, off
.LBB233_898:
	s_mov_b64 s[4:5], 0
.LBB233_899:
	s_andn2_b64 vcc, exec, s[4:5]
	s_cbranch_vccnz .LBB233_904
; %bb.900:
	s_cmp_gt_i32 s8, 0
	s_mov_b64 s[4:5], -1
	s_cbranch_scc0 .LBB233_902
; %bb.901:
	v_cvt_i32_f32_e32 v0, v4
	s_mov_b64 s[4:5], 0
	global_store_byte v[2:3], v0, off
.LBB233_902:
	s_andn2_b64 vcc, exec, s[4:5]
	s_cbranch_vccnz .LBB233_904
; %bb.903:
	v_trunc_f32_e32 v0, v4
	s_mov_b32 s4, 0x2f800000
	v_mul_f32_e64 v1, |v0|, s4
	v_floor_f32_e32 v1, v1
	s_mov_b32 s4, 0xcf800000
	v_fma_f32 v1, v1, s4, |v0|
	v_cvt_u32_f32_e32 v1, v1
	v_ashrrev_i32_e32 v0, 31, v0
	v_xor_b32_e32 v1, v1, v0
	v_sub_u32_e32 v0, v1, v0
	global_store_byte v[2:3], v0, off
.LBB233_904:
	s_mov_b64 s[4:5], -1
.LBB233_905:
	s_andn2_b64 vcc, exec, s[4:5]
	s_cbranch_vccnz .LBB233_907
; %bb.906:
	v_add_u32_e32 v12, 0x80, v12
	s_mov_b64 s[4:5], -1
	s_branch .LBB233_909
.LBB233_907:
	s_mov_b64 s[4:5], 0
.LBB233_908:
                                        ; implicit-def: $vgpr12
.LBB233_909:
	s_andn2_b64 s[8:9], s[62:63], exec
	s_and_b64 s[2:3], s[2:3], exec
	s_or_b64 s[68:69], s[8:9], s[2:3]
	s_andn2_b64 s[2:3], s[60:61], exec
	s_and_b64 s[6:7], s[6:7], exec
	s_or_b64 s[2:3], s[2:3], s[6:7]
	s_orn2_b64 s[6:7], s[4:5], exec
.LBB233_910:
	s_or_b64 exec, exec, s[66:67]
	s_mov_b64 s[4:5], 0
	s_mov_b64 s[10:11], 0
	;; [unrolled: 1-line block ×3, first 2 shown]
                                        ; implicit-def: $vgpr4_vgpr5
                                        ; implicit-def: $vgpr2
                                        ; implicit-def: $vgpr0_vgpr1
	s_and_saveexec_b64 s[66:67], s[6:7]
	s_cbranch_execz .LBB233_1010
; %bb.911:
	v_cmp_gt_i32_e32 vcc, s70, v12
	s_mov_b64 s[6:7], 0
	s_mov_b64 s[12:13], s[2:3]
                                        ; implicit-def: $vgpr4_vgpr5
                                        ; implicit-def: $vgpr2
                                        ; implicit-def: $vgpr0_vgpr1
	s_and_saveexec_b64 s[70:71], vcc
	s_cbranch_execz .LBB233_1009
; %bb.912:
	s_andn2_b64 vcc, exec, s[42:43]
	s_cbranch_vccnz .LBB233_918
; %bb.913:
	s_andn2_b64 vcc, exec, s[52:53]
	s_cbranch_vccnz .LBB233_919
; %bb.914:
	s_add_i32 s76, s75, 1
	s_cmp_eq_u32 s72, 2
	s_cbranch_scc1 .LBB233_920
; %bb.915:
	s_and_b32 s75, s76, 28
	s_mov_b32 s77, 0
	v_mov_b32_e32 v2, 0
	s_waitcnt vmcnt(0)
	v_mov_b32_e32 v0, 0
	s_mov_b64 s[52:53], s[34:35]
	v_mov_b32_e32 v4, v12
.LBB233_916:                            ; =>This Inner Loop Header: Depth=1
	s_load_dwordx8 s[12:19], s[52:53], 0x4
	s_load_dwordx4 s[36:39], s[52:53], 0x24
	s_load_dwordx8 s[4:11], s[50:51], 0x0
	s_add_u32 s52, s52, 48
	s_addc_u32 s53, s53, 0
	s_waitcnt lgkmcnt(0)
	v_mul_hi_u32 v1, s13, v4
	v_add_u32_e32 v1, v4, v1
	v_lshrrev_b32_e32 v1, s14, v1
	v_mul_lo_u32 v3, v1, s12
	v_mul_hi_u32 v5, s16, v1
	v_sub_u32_e32 v3, v4, v3
	v_add_u32_e32 v4, v1, v5
	v_lshrrev_b32_e32 v4, s17, v4
	v_mul_lo_u32 v6, v4, s15
	v_mul_hi_u32 v7, s19, v4
	v_sub_u32_e32 v1, v1, v6
	v_add_u32_e32 v6, v4, v7
	v_mul_lo_u32 v5, v3, s5
	v_mul_lo_u32 v3, v3, s4
	;; [unrolled: 1-line block ×4, first 2 shown]
	v_lshrrev_b32_e32 v6, s36, v6
	v_add3_u32 v1, v3, v2, v1
	v_mul_hi_u32 v3, s38, v6
	v_mul_lo_u32 v2, v6, s18
	v_add_u32_e32 v3, v6, v3
	v_sub_u32_e32 v2, v4, v2
	v_lshrrev_b32_e32 v4, s39, v3
	s_add_i32 s77, s77, 4
	v_mul_lo_u32 v3, v4, s37
	s_add_u32 s50, s50, 32
	v_sub_u32_e32 v3, v6, v3
	s_addc_u32 s51, s51, 0
	v_add3_u32 v0, v5, v0, v7
	v_mul_lo_u32 v5, v2, s8
	v_mul_lo_u32 v2, v2, s9
	;; [unrolled: 1-line block ×4, first 2 shown]
	s_cmp_eq_u32 s75, s77
	v_add3_u32 v0, v2, v0, v3
	v_add3_u32 v2, v5, v1, v6
	s_cbranch_scc0 .LBB233_916
; %bb.917:
	v_mov_b32_e32 v1, v0
	s_branch .LBB233_921
.LBB233_918:
	s_mov_b64 s[4:5], -1
                                        ; implicit-def: $vgpr0
                                        ; implicit-def: $vgpr2
	s_branch .LBB233_925
.LBB233_919:
	s_waitcnt vmcnt(0)
	v_mov_b32_e32 v0, 0
	v_mov_b32_e32 v2, 0
	s_branch .LBB233_924
.LBB233_920:
	v_mov_b32_e32 v2, 0
	s_mov_b32 s75, 0
	s_waitcnt vmcnt(0)
	v_mov_b32_e32 v1, v2
                                        ; implicit-def: $vgpr0
	v_mov_b32_e32 v4, v12
.LBB233_921:
	s_and_b32 s8, s76, 3
	s_cmp_eq_u32 s8, 0
	s_cbranch_scc1 .LBB233_924
; %bb.922:
	s_lshl_b32 s4, s75, 3
	s_add_u32 s4, s34, s4
	s_addc_u32 s5, s35, 0
	s_add_u32 s4, s4, 0xc4
	s_addc_u32 s5, s5, 0
	s_mul_i32 s6, s75, 12
	s_add_u32 s6, s34, s6
	s_addc_u32 s7, s35, 0
.LBB233_923:                            ; =>This Inner Loop Header: Depth=1
	s_load_dwordx2 s[10:11], s[6:7], 0x4
	s_load_dword s9, s[6:7], 0xc
	s_load_dwordx2 s[12:13], s[4:5], 0x0
	v_mov_b32_e32 v0, v1
	s_add_u32 s6, s6, 12
	s_waitcnt lgkmcnt(0)
	v_mul_hi_u32 v1, s11, v4
	v_add_u32_e32 v1, v4, v1
	v_lshrrev_b32_e32 v1, s9, v1
	s_addc_u32 s7, s7, 0
	v_mul_lo_u32 v3, v1, s10
	s_add_u32 s4, s4, 8
	v_sub_u32_e32 v3, v4, v3
	s_addc_u32 s5, s5, 0
	s_add_i32 s8, s8, -1
	v_mov_b32_e32 v4, v1
	v_mad_u64_u32 v[0:1], s[10:11], v3, s13, v[0:1]
	s_cmp_lg_u32 s8, 0
	v_mad_u64_u32 v[2:3], s[10:11], v3, s12, v[2:3]
	v_mov_b32_e32 v1, v0
	s_cbranch_scc1 .LBB233_923
.LBB233_924:
	s_mov_b64 s[4:5], 0
.LBB233_925:
	s_andn2_b64 vcc, exec, s[4:5]
	s_cbranch_vccnz .LBB233_928
; %bb.926:
	s_waitcnt vmcnt(0) lgkmcnt(0)
	v_mul_hi_u32 v0, s29, v12
	v_add_u32_e32 v0, v12, v0
	v_lshrrev_b32_e32 v1, s30, v0
	v_mul_lo_u32 v0, v1, s28
	v_sub_u32_e32 v2, v12, v0
	v_mul_lo_u32 v0, v2, s25
	s_andn2_b64 vcc, exec, s[48:49]
	v_mul_lo_u32 v2, v2, s24
	s_cbranch_vccnz .LBB233_928
; %bb.927:
	v_mul_hi_u32 v3, s46, v1
	v_add_u32_e32 v3, v1, v3
	v_lshrrev_b32_e32 v3, s47, v3
	v_mul_lo_u32 v3, v3, s31
	v_sub_u32_e32 v1, v1, v3
	v_mad_u64_u32 v[2:3], s[4:5], v1, s26, v[2:3]
	v_mad_u64_u32 v[0:1], s[4:5], v1, s27, v[0:1]
.LBB233_928:
	s_waitcnt vmcnt(0)
	v_mov_b32_e32 v1, 0
	s_and_b32 s14, 0xffff, s74
	s_cmp_lt_i32 s14, 11
	s_waitcnt lgkmcnt(0)
	v_lshl_add_u64 v[4:5], s[22:23], 0, v[0:1]
	s_cbranch_scc1 .LBB233_935
; %bb.929:
	s_cmp_gt_i32 s14, 25
	s_mov_b64 s[6:7], 0
	s_cbranch_scc0 .LBB233_936
; %bb.930:
	s_cmp_gt_i32 s14, 28
	s_cbranch_scc0 .LBB233_937
; %bb.931:
	s_cmp_gt_i32 s14, 43
	;; [unrolled: 3-line block ×3, first 2 shown]
	s_cbranch_scc0 .LBB233_941
; %bb.933:
	s_cmp_eq_u32 s14, 46
	s_mov_b64 s[10:11], 0
	s_cbranch_scc0 .LBB233_944
; %bb.934:
	global_load_dword v0, v[4:5], off
	s_mov_b64 s[4:5], 0
	s_mov_b64 s[8:9], -1
	s_waitcnt vmcnt(0)
	v_and_b32_e32 v1, 0xffff0000, v0
	v_lshlrev_b32_e32 v0, 16, v0
	s_branch .LBB233_945
.LBB233_935:
	s_mov_b64 s[10:11], -1
	s_mov_b64 s[8:9], 0
	s_mov_b64 s[6:7], 0
	;; [unrolled: 1-line block ×3, first 2 shown]
                                        ; implicit-def: $vgpr0_vgpr1
	s_branch .LBB233_1008
.LBB233_936:
	s_mov_b64 s[10:11], -1
	s_mov_b64 s[8:9], 0
	s_mov_b64 s[4:5], s[2:3]
                                        ; implicit-def: $vgpr0_vgpr1
	s_branch .LBB233_976
.LBB233_937:
	s_mov_b64 s[10:11], -1
	s_mov_b64 s[8:9], 0
	s_mov_b64 s[4:5], s[2:3]
                                        ; implicit-def: $vgpr0_vgpr1
	s_branch .LBB233_955
.LBB233_938:
	s_mov_b64 s[10:11], -1
	s_mov_b64 s[8:9], 0
	s_mov_b64 s[4:5], s[2:3]
                                        ; implicit-def: $vgpr0_vgpr1
	s_branch .LBB233_950
.LBB233_939:
	s_andn2_saveexec_b64 s[10:11], s[10:11]
	s_cbranch_execz .LBB233_818
.LBB233_940:
	s_mov_b32 s14, 0x46000000
	v_add_f32_e64 v0, |v4|, s14
	v_and_b32_e32 v0, 0xff, v0
	v_cmp_ne_u32_e32 vcc, 0, v0
	s_andn2_b64 s[8:9], s[8:9], exec
	s_and_b64 s[14:15], vcc, exec
	s_or_b64 s[8:9], s[8:9], s[14:15]
	s_or_b64 exec, exec, s[10:11]
	v_mov_b32_e32 v5, 0
	s_and_saveexec_b64 s[10:11], s[8:9]
	s_cbranch_execnz .LBB233_819
	s_branch .LBB233_820
.LBB233_941:
	s_mov_b64 s[10:11], -1
	s_mov_b64 s[8:9], 0
	s_mov_b64 s[4:5], s[2:3]
                                        ; implicit-def: $vgpr0_vgpr1
	s_branch .LBB233_945
.LBB233_942:
	s_andn2_saveexec_b64 s[10:11], s[10:11]
	s_cbranch_execz .LBB233_831
.LBB233_943:
	s_mov_b32 s14, 0x42800000
	v_add_f32_e64 v0, |v4|, s14
	v_and_b32_e32 v0, 0xff, v0
	v_cmp_ne_u32_e32 vcc, 0, v0
	s_andn2_b64 s[8:9], s[8:9], exec
	s_and_b64 s[14:15], vcc, exec
	s_or_b64 s[8:9], s[8:9], s[14:15]
	s_or_b64 exec, exec, s[10:11]
	v_mov_b32_e32 v5, 0
	s_and_saveexec_b64 s[10:11], s[8:9]
	s_cbranch_execnz .LBB233_832
	s_branch .LBB233_833
.LBB233_944:
	s_mov_b64 s[4:5], -1
                                        ; implicit-def: $vgpr0_vgpr1
	s_mov_b64 s[8:9], 0
.LBB233_945:
	s_and_b64 vcc, exec, s[10:11]
	s_cbranch_vccz .LBB233_949
; %bb.946:
	s_cmp_eq_u32 s14, 44
	s_cbranch_scc0 .LBB233_948
; %bb.947:
	global_load_ubyte v0, v[4:5], off
	s_movk_i32 s8, 0xff
	v_mov_b32_e32 v3, 0x7f800001
	v_mov_b32_e32 v6, 0x400000
	v_mov_b32_e32 v1, 0
	s_mov_b64 s[4:5], 0
	s_waitcnt vmcnt(0)
	v_lshlrev_b32_e32 v7, 23, v0
	v_cmp_ne_u32_e32 vcc, s8, v0
	s_mov_b64 s[8:9], -1
	s_nop 0
	v_cndmask_b32_e32 v3, v3, v7, vcc
	v_cmp_ne_u32_e32 vcc, 0, v0
	s_nop 1
	v_cndmask_b32_e32 v0, v6, v3, vcc
	s_branch .LBB233_949
.LBB233_948:
	s_mov_b64 s[4:5], -1
                                        ; implicit-def: $vgpr0_vgpr1
.LBB233_949:
	s_mov_b64 s[10:11], 0
.LBB233_950:
	s_and_b64 vcc, exec, s[10:11]
	s_cbranch_vccz .LBB233_954
; %bb.951:
	s_cmp_eq_u32 s14, 29
	s_cbranch_scc0 .LBB233_953
; %bb.952:
	global_load_dwordx2 v[0:1], v[4:5], off
	s_mov_b64 s[4:5], 0
	s_mov_b64 s[8:9], -1
	s_mov_b64 s[10:11], 0
	s_waitcnt vmcnt(0)
	v_ffbh_u32_e32 v3, v1
	v_min_u32_e32 v3, 32, v3
	v_lshlrev_b64 v[0:1], v3, v[0:1]
	v_min_u32_e32 v0, 1, v0
	v_or_b32_e32 v0, v1, v0
	v_cvt_f32_u32_e32 v0, v0
	v_sub_u32_e32 v3, 32, v3
	v_mov_b32_e32 v1, 0
	v_ldexp_f32 v0, v0, v3
	s_branch .LBB233_955
.LBB233_953:
	s_mov_b64 s[4:5], -1
                                        ; implicit-def: $vgpr0_vgpr1
.LBB233_954:
	s_mov_b64 s[10:11], 0
.LBB233_955:
	s_and_b64 vcc, exec, s[10:11]
	s_cbranch_vccz .LBB233_975
; %bb.956:
	s_cmp_lt_i32 s14, 27
	s_cbranch_scc1 .LBB233_959
; %bb.957:
	s_cmp_gt_i32 s14, 27
	s_cbranch_scc0 .LBB233_960
; %bb.958:
	global_load_dword v0, v[4:5], off
	v_mov_b32_e32 v1, 0
	s_mov_b64 s[8:9], 0
	s_waitcnt vmcnt(0)
	v_cvt_f32_u32_e32 v0, v0
	s_branch .LBB233_961
.LBB233_959:
	s_mov_b64 s[8:9], -1
                                        ; implicit-def: $vgpr0_vgpr1
	s_branch .LBB233_964
.LBB233_960:
	s_mov_b64 s[8:9], -1
                                        ; implicit-def: $vgpr0_vgpr1
.LBB233_961:
	s_andn2_b64 vcc, exec, s[8:9]
	s_cbranch_vccnz .LBB233_963
; %bb.962:
	global_load_ushort v0, v[4:5], off
	v_mov_b32_e32 v1, 0
	s_waitcnt vmcnt(0)
	v_cvt_f32_u32_e32 v0, v0
.LBB233_963:
	s_mov_b64 s[8:9], 0
.LBB233_964:
	s_andn2_b64 vcc, exec, s[8:9]
	s_cbranch_vccnz .LBB233_974
; %bb.965:
	global_load_ubyte v3, v[4:5], off
	s_movk_i32 s8, 0x7f
	s_waitcnt vmcnt(0)
	v_cmp_lt_i16_e32 vcc, s8, v3
	s_mov_b64 s[8:9], 0
	s_and_saveexec_b64 s[10:11], vcc
	s_xor_b64 s[10:11], exec, s[10:11]
	s_cbranch_execz .LBB233_969
; %bb.966:
	s_movk_i32 s8, 0x80
	v_cmp_eq_u16_e32 vcc, s8, v3
	s_mov_b64 s[8:9], -1
	s_and_saveexec_b64 s[12:13], vcc
; %bb.967:
	s_xor_b64 s[8:9], exec, -1
; %bb.968:
	s_or_b64 exec, exec, s[12:13]
	s_and_b64 s[8:9], s[8:9], exec
.LBB233_969:
	s_or_saveexec_b64 s[10:11], s[10:11]
	v_mov_b32_e32 v0, 0x7f800001
	v_mov_b32_e32 v1, 0
	s_xor_b64 exec, exec, s[10:11]
; %bb.970:
	v_cmp_ne_u16_e32 vcc, 0, v3
	s_andn2_b64 s[8:9], s[8:9], exec
	s_and_b64 s[12:13], vcc, exec
	v_mov_b32_e32 v0, v1
	s_or_b64 s[8:9], s[8:9], s[12:13]
; %bb.971:
	s_or_b64 exec, exec, s[10:11]
	s_and_saveexec_b64 s[10:11], s[8:9]
	s_cbranch_execz .LBB233_973
; %bb.972:
	v_and_b32_e32 v1, 0xffff, v3
	v_lshlrev_b32_e32 v0, 24, v3
	v_and_b32_e32 v3, 7, v1
	v_ffbh_u32_e32 v7, v3
	v_min_u32_e32 v7, 32, v7
	v_subrev_u32_e32 v8, 28, v7
	v_bfe_u32 v6, v1, 3, 4
	v_lshlrev_b32_e32 v1, v8, v1
	v_sub_u32_e32 v7, 29, v7
	v_and_b32_e32 v1, 7, v1
	v_cmp_eq_u32_e32 vcc, 0, v6
	v_and_b32_e32 v0, 0x80000000, v0
	s_nop 0
	v_cndmask_b32_e32 v6, v6, v7, vcc
	v_cndmask_b32_e32 v1, v3, v1, vcc
	v_mov_b32_e32 v3, 0x3b800000
	v_lshlrev_b32_e32 v1, 20, v1
	v_lshl_add_u32 v3, v6, 23, v3
	v_or3_b32 v0, v0, v3, v1
	v_mov_b32_e32 v1, 0
.LBB233_973:
	s_or_b64 exec, exec, s[10:11]
.LBB233_974:
	s_mov_b64 s[8:9], -1
.LBB233_975:
	s_mov_b64 s[10:11], 0
.LBB233_976:
	s_and_b64 vcc, exec, s[10:11]
	s_cbranch_vccz .LBB233_1007
; %bb.977:
	s_cmp_gt_i32 s14, 22
	s_cbranch_scc0 .LBB233_989
; %bb.978:
	s_cmp_lt_i32 s14, 24
	s_cbranch_scc1 .LBB233_990
; %bb.979:
	s_cmp_gt_i32 s14, 24
	s_cbranch_scc0 .LBB233_991
; %bb.980:
	global_load_ubyte v3, v[4:5], off
	s_movk_i32 s6, 0x7f
	s_waitcnt vmcnt(0)
	v_cmp_lt_i16_e32 vcc, s6, v3
	s_mov_b64 s[6:7], 0
	s_and_saveexec_b64 s[8:9], vcc
	s_xor_b64 s[8:9], exec, s[8:9]
	s_cbranch_execz .LBB233_984
; %bb.981:
	s_movk_i32 s6, 0x80
	v_cmp_eq_u16_e32 vcc, s6, v3
	s_mov_b64 s[6:7], -1
	s_and_saveexec_b64 s[10:11], vcc
; %bb.982:
	s_xor_b64 s[6:7], exec, -1
; %bb.983:
	s_or_b64 exec, exec, s[10:11]
	s_and_b64 s[6:7], s[6:7], exec
.LBB233_984:
	s_or_saveexec_b64 s[8:9], s[8:9]
	v_mov_b32_e32 v0, 0x7f800001
	v_mov_b32_e32 v1, 0
	s_xor_b64 exec, exec, s[8:9]
; %bb.985:
	v_cmp_ne_u16_e32 vcc, 0, v3
	s_andn2_b64 s[6:7], s[6:7], exec
	s_and_b64 s[10:11], vcc, exec
	v_mov_b32_e32 v0, v1
	s_or_b64 s[6:7], s[6:7], s[10:11]
; %bb.986:
	s_or_b64 exec, exec, s[8:9]
	s_and_saveexec_b64 s[8:9], s[6:7]
	s_cbranch_execz .LBB233_988
; %bb.987:
	v_and_b32_e32 v1, 0xffff, v3
	v_lshlrev_b32_e32 v0, 24, v3
	v_and_b32_e32 v3, 3, v1
	v_ffbh_u32_e32 v7, v3
	v_min_u32_e32 v7, 32, v7
	v_subrev_u32_e32 v8, 29, v7
	v_bfe_u32 v6, v1, 2, 5
	v_lshlrev_b32_e32 v1, v8, v1
	v_sub_u32_e32 v7, 30, v7
	v_and_b32_e32 v1, 3, v1
	v_cmp_eq_u32_e32 vcc, 0, v6
	v_and_b32_e32 v0, 0x80000000, v0
	s_nop 0
	v_cndmask_b32_e32 v6, v6, v7, vcc
	v_cndmask_b32_e32 v1, v3, v1, vcc
	v_mov_b32_e32 v3, 0x37800000
	v_lshlrev_b32_e32 v1, 21, v1
	v_lshl_add_u32 v3, v6, 23, v3
	v_or3_b32 v0, v0, v3, v1
	v_mov_b32_e32 v1, 0
.LBB233_988:
	s_or_b64 exec, exec, s[8:9]
	s_mov_b64 s[6:7], 0
	s_branch .LBB233_992
.LBB233_989:
	s_mov_b64 s[6:7], -1
                                        ; implicit-def: $vgpr0_vgpr1
	s_branch .LBB233_998
.LBB233_990:
	s_mov_b64 s[6:7], -1
                                        ; implicit-def: $vgpr0_vgpr1
	s_branch .LBB233_995
.LBB233_991:
	s_mov_b64 s[6:7], -1
                                        ; implicit-def: $vgpr0_vgpr1
.LBB233_992:
	s_and_b64 vcc, exec, s[6:7]
	s_cbranch_vccz .LBB233_994
; %bb.993:
	global_load_ubyte v0, v[4:5], off
	s_mov_b32 s6, 0x7f800000
	s_brev_b32 s7, 1
	s_waitcnt vmcnt(0)
	v_lshlrev_b32_e32 v0, 24, v0
	v_and_b32_e32 v1, 0x7f000000, v0
	v_ffbh_u32_e32 v3, v1
	v_min_u32_e32 v3, 32, v3
	v_sub_u32_e64 v3, v3, 4 clamp
	v_lshlrev_b32_e32 v7, v3, v1
	v_lshlrev_b32_e32 v3, 23, v3
	v_lshrrev_b32_e32 v7, 4, v7
	v_add_u32_e32 v6, 0x1000000, v1
	v_sub_u32_e32 v3, v7, v3
	v_ashrrev_i32_e32 v6, 8, v6
	v_add_u32_e32 v3, 0x3c000000, v3
	v_and_or_b32 v3, v6, s6, v3
	v_cmp_ne_u32_e32 vcc, 0, v1
	s_nop 1
	v_cndmask_b32_e32 v1, 0, v3, vcc
	v_and_or_b32 v0, v0, s7, v1
	v_mov_b32_e32 v1, 0
.LBB233_994:
	s_mov_b64 s[6:7], 0
.LBB233_995:
	s_andn2_b64 vcc, exec, s[6:7]
	s_cbranch_vccnz .LBB233_997
; %bb.996:
	global_load_ubyte v0, v[4:5], off
	s_movk_i32 s6, 0x7f00
	s_brev_b32 s7, 16
	s_brev_b32 s8, 1
	s_waitcnt vmcnt(0)
	v_lshlrev_b16_e32 v1, 8, v0
	v_lshlrev_b32_e32 v0, 25, v0
	v_lshrrev_b32_e32 v3, 4, v0
	v_and_or_b32 v6, v1, s6, 0.5
	v_or_b32_e32 v3, 0x70000000, v3
	v_add_f32_e32 v6, -0.5, v6
	v_mul_f32_e32 v3, 0x7800000, v3
	v_cmp_gt_u32_e32 vcc, s7, v0
	v_bfe_i32 v1, v1, 0, 16
	s_nop 0
	v_cndmask_b32_e32 v0, v3, v6, vcc
	v_and_or_b32 v0, v1, s8, v0
	v_mov_b32_e32 v1, 0
.LBB233_997:
	s_mov_b64 s[6:7], 0
	s_mov_b64 s[8:9], -1
.LBB233_998:
	s_andn2_b64 vcc, exec, s[6:7]
	s_mov_b64 s[6:7], 0
	s_cbranch_vccnz .LBB233_1007
; %bb.999:
	s_cmp_gt_i32 s14, 14
	s_cbranch_scc0 .LBB233_1002
; %bb.1000:
	s_cmp_eq_u32 s14, 15
	s_cbranch_scc0 .LBB233_1003
; %bb.1001:
	global_load_ushort v0, v[4:5], off
	v_mov_b32_e32 v1, 0
	s_mov_b64 s[4:5], 0
	s_mov_b64 s[8:9], -1
	s_waitcnt vmcnt(0)
	v_lshlrev_b32_e32 v0, 16, v0
	s_branch .LBB233_1004
.LBB233_1002:
	s_mov_b64 s[10:11], -1
                                        ; implicit-def: $vgpr0_vgpr1
	s_branch .LBB233_1005
.LBB233_1003:
	s_mov_b64 s[4:5], -1
                                        ; implicit-def: $vgpr0_vgpr1
.LBB233_1004:
	s_mov_b64 s[10:11], 0
.LBB233_1005:
	s_and_b64 vcc, exec, s[10:11]
	s_cbranch_vccz .LBB233_1007
; %bb.1006:
	s_cmp_lg_u32 s14, 11
	s_cselect_b64 s[10:11], -1, 0
	s_andn2_b64 s[4:5], s[4:5], exec
	s_and_b64 s[10:11], s[10:11], exec
	s_mov_b64 s[6:7], -1
	s_or_b64 s[4:5], s[4:5], s[10:11]
.LBB233_1007:
	s_mov_b64 s[10:11], 0
.LBB233_1008:
	s_andn2_b64 s[12:13], s[2:3], exec
	s_and_b64 s[4:5], s[4:5], exec
	s_and_b64 s[8:9], s[8:9], exec
	;; [unrolled: 1-line block ×4, first 2 shown]
	s_or_b64 s[12:13], s[12:13], s[4:5]
.LBB233_1009:
	s_or_b64 exec, exec, s[70:71]
	s_and_b64 s[4:5], s[6:7], exec
	s_andn2_b64 s[2:3], s[2:3], exec
	s_and_b64 s[6:7], s[12:13], exec
	s_and_b64 s[8:9], s[8:9], exec
	;; [unrolled: 1-line block ×3, first 2 shown]
	s_or_b64 s[2:3], s[2:3], s[6:7]
.LBB233_1010:
	s_or_b64 exec, exec, s[66:67]
	s_andn2_b64 s[6:7], s[62:63], exec
	s_and_b64 s[12:13], s[68:69], exec
	s_or_b64 s[62:63], s[6:7], s[12:13]
	s_and_b64 s[6:7], s[10:11], exec
	s_andn2_b64 s[10:11], s[60:61], exec
	s_and_b64 s[2:3], s[2:3], exec
	s_and_b64 s[8:9], s[8:9], exec
	;; [unrolled: 1-line block ×3, first 2 shown]
	s_or_b64 s[60:61], s[10:11], s[2:3]
.LBB233_1011:
	s_or_b64 exec, exec, s[64:65]
	s_andn2_b64 s[2:3], s[54:55], exec
	s_and_b64 s[10:11], s[62:63], exec
	s_or_b64 s[54:55], s[2:3], s[10:11]
	s_and_b64 s[2:3], s[8:9], exec
	s_and_b64 s[8:9], s[6:7], exec
	;; [unrolled: 1-line block ×3, first 2 shown]
	s_andn2_b64 s[4:5], s[56:57], exec
	s_and_b64 s[6:7], s[60:61], exec
	s_or_b64 s[56:57], s[4:5], s[6:7]
	s_or_b64 exec, exec, s[58:59]
	s_mov_b64 s[6:7], 0
	s_and_saveexec_b64 s[4:5], s[56:57]
	s_cbranch_execz .LBB233_306
.LBB233_1012:
	s_mov_b64 s[6:7], exec
	s_andn2_b64 s[62:63], s[62:63], exec
	s_trap 2
	s_or_b64 exec, exec, s[4:5]
	s_and_saveexec_b64 s[4:5], s[62:63]
	s_xor_b64 s[4:5], exec, s[4:5]
	s_cbranch_execnz .LBB233_307
.LBB233_1013:
	s_or_b64 exec, exec, s[4:5]
	s_and_saveexec_b64 s[4:5], s[8:9]
	s_cbranch_execz .LBB233_1059
.LBB233_1014:
	s_sext_i32_i16 s8, s74
	s_cmp_lt_i32 s8, 5
	s_cbranch_scc1 .LBB233_1019
; %bb.1015:
	s_cmp_lt_i32 s8, 8
	s_cbranch_scc1 .LBB233_1020
; %bb.1016:
	;; [unrolled: 3-line block ×3, first 2 shown]
	s_cmp_gt_i32 s8, 9
	s_cbranch_scc0 .LBB233_1022
; %bb.1018:
	global_load_dwordx4 v[6:9], v[4:5], off
	s_mov_b64 s[8:9], 0
	s_waitcnt vmcnt(0)
	v_cvt_f32_f64_e32 v1, v[8:9]
	v_cvt_f32_f64_e32 v0, v[6:7]
	s_branch .LBB233_1023
.LBB233_1019:
                                        ; implicit-def: $vgpr0_vgpr1
	s_branch .LBB233_1040
.LBB233_1020:
                                        ; implicit-def: $vgpr0_vgpr1
	s_branch .LBB233_1029
.LBB233_1021:
	s_mov_b64 s[8:9], -1
                                        ; implicit-def: $vgpr0_vgpr1
	s_branch .LBB233_1026
.LBB233_1022:
	s_mov_b64 s[8:9], -1
                                        ; implicit-def: $vgpr0_vgpr1
.LBB233_1023:
	s_andn2_b64 vcc, exec, s[8:9]
	s_cbranch_vccnz .LBB233_1025
; %bb.1024:
	global_load_dwordx2 v[0:1], v[4:5], off
.LBB233_1025:
	s_mov_b64 s[8:9], 0
.LBB233_1026:
	s_andn2_b64 vcc, exec, s[8:9]
	s_cbranch_vccnz .LBB233_1028
; %bb.1027:
	global_load_dword v0, v[4:5], off
	s_waitcnt vmcnt(0)
	v_cvt_f32_f16_sdwa v1, v0 dst_sel:DWORD dst_unused:UNUSED_PAD src0_sel:WORD_1
	v_cvt_f32_f16_e32 v0, v0
.LBB233_1028:
	s_cbranch_execnz .LBB233_1039
.LBB233_1029:
	s_sext_i32_i16 s8, s74
	s_cmp_lt_i32 s8, 6
	s_cbranch_scc1 .LBB233_1032
; %bb.1030:
	s_cmp_gt_i32 s8, 6
	s_cbranch_scc0 .LBB233_1033
; %bb.1031:
	global_load_dwordx2 v[6:7], v[4:5], off
	s_waitcnt vmcnt(1)
	v_mov_b32_e32 v1, 0
	s_mov_b64 s[8:9], 0
	s_waitcnt vmcnt(0)
	v_cvt_f32_f64_e32 v0, v[6:7]
	s_branch .LBB233_1034
.LBB233_1032:
	s_mov_b64 s[8:9], -1
                                        ; implicit-def: $vgpr0_vgpr1
	s_branch .LBB233_1037
.LBB233_1033:
	s_mov_b64 s[8:9], -1
                                        ; implicit-def: $vgpr0_vgpr1
.LBB233_1034:
	s_andn2_b64 vcc, exec, s[8:9]
	s_cbranch_vccnz .LBB233_1036
; %bb.1035:
	global_load_dword v0, v[4:5], off
	s_waitcnt vmcnt(1)
	v_mov_b32_e32 v1, 0
.LBB233_1036:
	s_mov_b64 s[8:9], 0
.LBB233_1037:
	s_andn2_b64 vcc, exec, s[8:9]
	s_cbranch_vccnz .LBB233_1039
; %bb.1038:
	global_load_ushort v0, v[4:5], off
	s_waitcnt vmcnt(1)
	v_mov_b32_e32 v1, 0
	s_waitcnt vmcnt(0)
	v_cvt_f32_f16_e32 v0, v0
.LBB233_1039:
	s_cbranch_execnz .LBB233_1058
.LBB233_1040:
	s_sext_i32_i16 s8, s74
	s_cmp_lt_i32 s8, 2
	s_cbranch_scc1 .LBB233_1044
; %bb.1041:
	s_cmp_lt_i32 s8, 3
	s_cbranch_scc1 .LBB233_1045
; %bb.1042:
	s_cmp_gt_i32 s8, 3
	s_cbranch_scc0 .LBB233_1046
; %bb.1043:
	global_load_dwordx2 v[0:1], v[4:5], off
	s_mov_b64 s[8:9], 0
	s_waitcnt vmcnt(0)
	v_xor_b32_e32 v6, v0, v1
	v_ffbh_i32_e32 v3, v1
	v_ashrrev_i32_e32 v6, 31, v6
	v_add_u32_e32 v3, -1, v3
	v_add_u32_e32 v6, 32, v6
	v_min_u32_e32 v3, v3, v6
	v_lshlrev_b64 v[0:1], v3, v[0:1]
	v_min_u32_e32 v0, 1, v0
	v_or_b32_e32 v0, v1, v0
	v_cvt_f32_i32_e32 v0, v0
	v_sub_u32_e32 v3, 32, v3
	v_mov_b32_e32 v1, 0
	v_ldexp_f32 v0, v0, v3
	s_branch .LBB233_1047
.LBB233_1044:
                                        ; implicit-def: $vgpr0_vgpr1
	s_branch .LBB233_1053
.LBB233_1045:
	s_mov_b64 s[8:9], -1
                                        ; implicit-def: $vgpr0_vgpr1
	s_branch .LBB233_1050
.LBB233_1046:
	s_mov_b64 s[8:9], -1
                                        ; implicit-def: $vgpr0_vgpr1
.LBB233_1047:
	s_andn2_b64 vcc, exec, s[8:9]
	s_cbranch_vccnz .LBB233_1049
; %bb.1048:
	global_load_dword v0, v[4:5], off
	s_waitcnt vmcnt(1)
	v_mov_b32_e32 v1, 0
	s_waitcnt vmcnt(0)
	v_cvt_f32_i32_e32 v0, v0
.LBB233_1049:
	s_mov_b64 s[8:9], 0
.LBB233_1050:
	s_andn2_b64 vcc, exec, s[8:9]
	s_cbranch_vccnz .LBB233_1052
; %bb.1051:
	global_load_sshort v0, v[4:5], off
	s_waitcnt vmcnt(1)
	v_mov_b32_e32 v1, 0
	s_waitcnt vmcnt(0)
	v_cvt_f32_i32_e32 v0, v0
.LBB233_1052:
	s_cbranch_execnz .LBB233_1058
.LBB233_1053:
	s_sext_i32_i16 s8, s74
	s_cmp_gt_i32 s8, 0
	s_cbranch_scc0 .LBB233_1055
; %bb.1054:
	global_load_sbyte v0, v[4:5], off
	s_waitcnt vmcnt(1)
	v_mov_b32_e32 v1, 0
	s_mov_b64 s[8:9], 0
	s_waitcnt vmcnt(0)
	v_cvt_f32_i32_e32 v0, v0
	s_branch .LBB233_1056
.LBB233_1055:
	s_mov_b64 s[8:9], -1
                                        ; implicit-def: $vgpr0_vgpr1
.LBB233_1056:
	s_andn2_b64 vcc, exec, s[8:9]
	s_cbranch_vccnz .LBB233_1058
; %bb.1057:
	global_load_ubyte v0, v[4:5], off
	s_waitcnt vmcnt(1)
	v_mov_b32_e32 v1, 0
	s_waitcnt vmcnt(0)
	v_cvt_f32_ubyte0_e32 v0, v0
.LBB233_1058:
	s_or_b64 s[2:3], s[2:3], exec
.LBB233_1059:
	s_or_b64 exec, exec, s[4:5]
	s_mov_b64 s[10:11], 0
	s_mov_b64 s[4:5], 0
                                        ; implicit-def: $sgpr16
                                        ; implicit-def: $vgpr6_vgpr7
                                        ; implicit-def: $vgpr4
	s_and_saveexec_b64 s[8:9], s[2:3]
	s_cbranch_execz .LBB233_1072
; %bb.1060:
	s_waitcnt vmcnt(0)
	v_cmp_neq_f32_e32 vcc, 0, v0
	v_cmp_neq_f32_e64 s[2:3], 0, v1
	v_mov_b32_e32 v4, 0
	s_or_b64 s[2:3], vcc, s[2:3]
	s_and_saveexec_b64 s[10:11], s[2:3]
	s_cbranch_execz .LBB233_1093
; %bb.1061:
	v_mov_b32_e32 v4, 0x7f800000
	v_cmp_neq_f32_e64 s[2:3], |v1|, v4
	s_and_saveexec_b64 s[12:13], s[2:3]
	s_cbranch_execz .LBB233_1092
; %bb.1062:
	v_cmp_o_f32_e32 vcc, v0, v0
                                        ; implicit-def: $vgpr4
	s_and_saveexec_b64 s[2:3], vcc
	s_xor_b64 s[14:15], exec, s[2:3]
	s_cbranch_execz .LBB233_1089
; %bb.1063:
	s_mov_b32 s2, 0x7f800000
	v_cmp_neq_f32_e64 s[2:3], |v0|, s2
                                        ; implicit-def: $vgpr4
	s_and_saveexec_b64 s[4:5], s[2:3]
	s_xor_b64 s[16:17], exec, s[4:5]
	s_cbranch_execz .LBB233_1082
; %bb.1064:
	v_max_f32_e64 v3, |v1|, |v1|
	v_max_f32_e64 v4, |v0|, |v0|
	v_max_f32_e32 v3, v4, v3
	s_mov_b32 s2, 0x7ed413cb
	v_cmp_nle_f32_e64 s[2:3], s2, v3
                                        ; implicit-def: $sgpr18_sgpr19
	s_and_saveexec_b64 s[4:5], s[2:3]
	s_xor_b64 s[4:5], exec, s[4:5]
	s_cbranch_execz .LBB233_1068
; %bb.1065:
	s_waitcnt lgkmcnt(0)
	s_mov_b32 s22, 0x1000000
	v_cmp_le_f32_e64 s[18:19], |v0|, s22
	v_cmp_le_f32_e64 s[22:23], |v1|, s22
	s_and_b64 s[24:25], s[18:19], s[22:23]
	s_mov_b64 s[18:19], 0
	s_and_saveexec_b64 s[22:23], s[24:25]
; %bb.1066:
	s_mov_b64 s[18:19], exec
	v_pk_mul_f32 v[0:1], v[0:1], 4.0 op_sel_hi:[1,0]
; %bb.1067:
	s_or_b64 exec, exec, s[22:23]
.LBB233_1068:
	s_andn2_saveexec_b64 s[4:5], s[4:5]
	s_cbranch_execz .LBB233_1070
; %bb.1069:
	s_waitcnt lgkmcnt(0)
	s_mov_b32 s22, 0x3e800000
	v_pk_mul_f32 v[0:1], v[0:1], s[22:23] op_sel_hi:[1,0]
	s_andn2_b64 s[18:19], s[18:19], exec
.LBB233_1070:
	s_or_b64 exec, exec, s[4:5]
	v_max_f32_e64 v3, |v1|, |v1|
	v_max_f32_e64 v4, |v0|, |v0|
	v_max_f32_e32 v3, v4, v3
	v_cvt_f64_f32_e32 v[4:5], v3
	v_frexp_exp_i32_f64_e32 v4, v[4:5]
	v_sub_u32_e32 v5, 0, v4
	v_ldexp_f32 v6, |v0|, v5
	v_ldexp_f32 v5, |v1|, v5
	v_mul_f32_e32 v5, v5, v5
	v_fmac_f32_e32 v5, v6, v6
	v_sqrt_f32_e32 v5, v5
	s_mov_b32 s4, 0x7f800000
	v_cmp_neq_f32_e64 s[4:5], s4, v3
	v_cmp_le_f32_e32 vcc, 0, v0
	v_ldexp_f32 v4, v5, v4
	v_mov_b32_e32 v5, 0x7f800000
	v_cndmask_b32_e64 v4, v5, v4, s[4:5]
                                        ; implicit-def: $vgpr5
                                        ; implicit-def: $vgpr3
	s_and_saveexec_b64 s[4:5], vcc
	s_waitcnt lgkmcnt(0)
	s_xor_b64 s[22:23], exec, s[4:5]
	s_cbranch_execz .LBB233_1075
; %bb.1071:
	v_add_f32_e32 v0, v0, v4
	v_mul_f32_e32 v0, 0.5, v0
	s_mov_b32 s4, 0xf800000
	v_mul_f32_e32 v3, 0x4f800000, v0
	v_cmp_gt_f32_e32 vcc, s4, v0
	s_nop 1
	v_cndmask_b32_e32 v0, v0, v3, vcc
	v_sqrt_f32_e32 v3, v0
	s_nop 0
	v_add_u32_e32 v4, -1, v3
	v_fma_f32 v5, -v4, v3, v0
	v_cmp_ge_f32_e64 s[4:5], 0, v5
	v_add_u32_e32 v5, 1, v3
	s_nop 0
	v_cndmask_b32_e64 v4, v3, v4, s[4:5]
	v_fma_f32 v3, -v5, v3, v0
	v_cmp_lt_f32_e64 s[4:5], 0, v3
	s_nop 1
	v_cndmask_b32_e64 v3, v4, v5, s[4:5]
	v_mul_f32_e32 v4, 0x37800000, v3
	v_cndmask_b32_e32 v3, v3, v4, vcc
	v_mov_b32_e32 v4, 0x260
	v_cmp_class_f32_e32 vcc, v0, v4
	s_nop 1
	v_cndmask_b32_e32 v3, v3, v0, vcc
	v_add_f32_e32 v0, v3, v3
	v_div_scale_f32 v4, s[4:5], v0, v0, v1
	v_rcp_f32_e32 v5, v4
	s_nop 0
	v_fma_f32 v6, -v4, v5, 1.0
	v_fmac_f32_e32 v5, v6, v5
	v_div_scale_f32 v6, vcc, v1, v0, v1
	v_mul_f32_e32 v7, v6, v5
	v_fma_f32 v8, -v4, v7, v6
	v_fmac_f32_e32 v7, v8, v5
	v_fma_f32 v4, -v4, v7, v6
	v_div_fmas_f32 v4, v4, v5, v7
	v_div_fixup_f32 v5, v4, v0, v1
                                        ; implicit-def: $vgpr4
                                        ; implicit-def: $vgpr0_vgpr1
	s_andn2_saveexec_b64 s[22:23], s[22:23]
	s_cbranch_execz .LBB233_1077
	s_branch .LBB233_1076
.LBB233_1072:
	s_or_b64 exec, exec, s[8:9]
	s_and_saveexec_b64 s[2:3], s[54:55]
	s_cbranch_execnz .LBB233_1170
.LBB233_1073:
	s_or_b64 exec, exec, s[2:3]
	s_and_saveexec_b64 s[2:3], s[10:11]
	s_xor_b64 s[8:9], exec, s[2:3]
	s_cbranch_execz .LBB233_1171
.LBB233_1074:
	v_cmp_neq_f32_e32 vcc, 0, v4
	s_waitcnt vmcnt(0)
	v_cmp_neq_f32_e64 s[2:3], 0, v1
	s_or_b64 s[2:3], vcc, s[2:3]
	s_nop 0
	v_cndmask_b32_e64 v0, 0, 1, s[2:3]
	global_store_byte v[6:7], v0, off
	s_or_b64 exec, exec, s[8:9]
	s_and_saveexec_b64 s[2:3], s[4:5]
	s_xor_b64 s[2:3], exec, s[2:3]
	s_cbranch_execz .LBB233_1209
	s_branch .LBB233_1172
.LBB233_1075:
	s_andn2_saveexec_b64 s[22:23], s[22:23]
	s_cbranch_execz .LBB233_1077
.LBB233_1076:
	v_sub_f32_e32 v0, v4, v0
	v_mul_f32_e32 v0, 0.5, v0
	s_mov_b32 s4, 0xf800000
	v_mul_f32_e32 v3, 0x4f800000, v0
	v_cmp_gt_f32_e32 vcc, s4, v0
	s_nop 1
	v_cndmask_b32_e32 v0, v0, v3, vcc
	v_sqrt_f32_e32 v3, v0
	s_nop 0
	v_add_u32_e32 v4, -1, v3
	v_fma_f32 v5, -v4, v3, v0
	v_cmp_ge_f32_e64 s[4:5], 0, v5
	v_add_u32_e32 v5, 1, v3
	s_nop 0
	v_cndmask_b32_e64 v4, v3, v4, s[4:5]
	v_fma_f32 v3, -v5, v3, v0
	v_cmp_lt_f32_e64 s[4:5], 0, v3
	s_nop 1
	v_cndmask_b32_e64 v3, v4, v5, s[4:5]
	v_mul_f32_e32 v4, 0x37800000, v3
	v_cndmask_b32_e32 v3, v3, v4, vcc
	v_mov_b32_e32 v4, 0x260
	v_cmp_class_f32_e32 vcc, v0, v4
	v_and_b32_e32 v4, 0x7fffffff, v1
	s_nop 0
	v_cndmask_b32_e32 v0, v3, v0, vcc
	v_add_f32_e32 v3, v0, v0
	v_div_scale_f32 v5, s[4:5], v3, v3, v4
	v_rcp_f32_e32 v6, v5
	v_div_scale_f32 v4, vcc, v4, v3, v4
	s_brev_b32 s4, -2
	v_fma_f32 v7, -v5, v6, 1.0
	v_fmac_f32_e32 v6, v7, v6
	v_mul_f32_e32 v7, v4, v6
	v_fma_f32 v8, -v5, v7, v4
	v_fmac_f32_e32 v7, v8, v6
	v_fma_f32 v4, -v5, v7, v4
	v_div_fmas_f32 v4, v4, v6, v7
	v_div_fixup_f32 v3, v4, v3, |v1|
	v_bfi_b32 v5, s4, v0, v1
.LBB233_1077:
	s_or_b64 exec, exec, s[22:23]
                                        ; implicit-def: $vgpr1
                                        ; implicit-def: $vgpr4
	s_and_saveexec_b64 s[4:5], s[2:3]
	s_xor_b64 s[2:3], exec, s[4:5]
	s_cbranch_execz .LBB233_1079
; %bb.1078:
	v_mul_f32_e32 v0, 0.5, v3
	v_mul_f32_e32 v1, 0.5, v5
	v_cndmask_b32_e64 v4, v3, v0, s[18:19]
	v_cndmask_b32_e64 v1, v5, v1, s[18:19]
                                        ; implicit-def: $vgpr3
                                        ; implicit-def: $vgpr5
	s_andn2_saveexec_b64 s[2:3], s[2:3]
	s_cbranch_execnz .LBB233_1080
	s_branch .LBB233_1081
.LBB233_1079:
	s_andn2_saveexec_b64 s[2:3], s[2:3]
.LBB233_1080:
	v_add_f32_e32 v4, v3, v3
	v_add_f32_e32 v1, v5, v5
.LBB233_1081:
	s_or_b64 exec, exec, s[2:3]
.LBB233_1082:
	s_andn2_saveexec_b64 s[2:3], s[16:17]
	s_cbranch_execz .LBB233_1088
; %bb.1083:
	v_sub_f32_e32 v3, v1, v1
	v_cmp_lt_i32_e32 vcc, -1, v0
	s_brev_b32 s16, -2
	v_and_b32_e32 v4, 0x7fffffff, v3
	s_and_saveexec_b64 s[4:5], vcc
	s_xor_b64 s[4:5], exec, s[4:5]
; %bb.1084:
	v_bfi_b32 v1, s16, v3, v1
	v_mov_b32_e32 v4, v0
; %bb.1085:
	s_andn2_saveexec_b64 s[4:5], s[4:5]
; %bb.1086:
	v_bfi_b32 v1, s16, v0, v1
; %bb.1087:
	s_or_b64 exec, exec, s[4:5]
.LBB233_1088:
	s_or_b64 exec, exec, s[2:3]
.LBB233_1089:
	s_andn2_saveexec_b64 s[2:3], s[14:15]
	s_cbranch_execz .LBB233_1091
; %bb.1090:
	v_sub_f32_e32 v1, v1, v1
	v_div_scale_f32 v3, vcc, v1, v1, v1
	v_rcp_f32_e32 v4, v3
	s_nop 0
	v_fma_f32 v5, -v3, v4, 1.0
	v_fmac_f32_e32 v4, v5, v4
	v_mul_f32_e32 v5, v3, v4
	v_fma_f32 v6, -v3, v5, v3
	v_fmac_f32_e32 v5, v6, v4
	v_fma_f32 v3, -v3, v5, v3
	v_div_fmas_f32 v3, v3, v4, v5
	v_div_fixup_f32 v1, v3, v1, v1
	v_mov_b32_e32 v4, v0
.LBB233_1091:
	s_or_b64 exec, exec, s[2:3]
.LBB233_1092:
	s_or_b64 exec, exec, s[12:13]
.LBB233_1093:
	s_or_b64 exec, exec, s[10:11]
	v_mov_b32_e32 v3, 0
	s_and_b32 s16, s73, 0xff
	s_cmp_lt_i32 s16, 11
	s_waitcnt lgkmcnt(0)
	v_lshl_add_u64 v[6:7], s[20:21], 0, v[2:3]
	s_cbranch_scc1 .LBB233_1100
; %bb.1094:
	s_and_b32 s17, 0xffff, s16
	s_mov_b64 s[10:11], -1
	s_cmp_gt_i32 s17, 25
	s_mov_b64 s[2:3], s[54:55]
	s_cbranch_scc0 .LBB233_1128
; %bb.1095:
	s_mov_b64 s[4:5], -1
	s_cmp_gt_i32 s17, 28
	s_mov_b64 s[2:3], s[54:55]
	s_cbranch_scc0 .LBB233_1112
; %bb.1096:
	s_cmp_gt_i32 s17, 43
	s_mov_b64 s[2:3], s[54:55]
	s_cbranch_scc0 .LBB233_1108
; %bb.1097:
	;; [unrolled: 4-line block ×3, first 2 shown]
	s_cmp_eq_u32 s17, 46
	s_mov_b64 s[2:3], -1
	s_cbranch_scc0 .LBB233_1101
; %bb.1099:
	s_movk_i32 s2, 0x7fff
	v_bfe_u32 v2, v1, 16, 1
	v_add3_u32 v2, v1, v2, s2
	v_bfe_u32 v0, v4, 16, 1
	v_and_b32_e32 v2, 0xffff0000, v2
	v_mov_b32_e32 v3, 0x7fc00000
	v_cmp_o_f32_e32 vcc, v1, v1
	v_add3_u32 v0, v4, v0, s2
	s_mov_b64 s[2:3], 0
	v_cndmask_b32_e32 v2, v3, v2, vcc
	v_cmp_o_f32_e32 vcc, v4, v4
	v_mov_b32_e32 v3, 0x7fc0
	s_mov_b64 s[4:5], 0
	v_cndmask_b32_sdwa v0, v3, v0, vcc dst_sel:DWORD dst_unused:UNUSED_PAD src0_sel:DWORD src1_sel:WORD_1
	v_or_b32_e32 v0, v2, v0
	global_store_dword v[6:7], v0, off
	s_branch .LBB233_1102
.LBB233_1100:
	s_mov_b64 s[10:11], 0
	s_mov_b64 s[4:5], -1
	s_mov_b64 s[2:3], s[54:55]
	s_branch .LBB233_1169
.LBB233_1101:
	s_mov_b64 s[4:5], 0
.LBB233_1102:
	s_and_b64 vcc, exec, s[4:5]
	s_cbranch_vccz .LBB233_1107
; %bb.1103:
	s_cmp_eq_u32 s17, 44
	s_mov_b64 s[2:3], -1
	s_cbranch_scc0 .LBB233_1107
; %bb.1104:
	v_bfe_u32 v0, v4, 23, 8
	s_movk_i32 s2, 0xff
	v_cmp_ne_u32_e32 vcc, s2, v0
	v_mov_b32_e32 v2, 0xff
	s_and_saveexec_b64 s[4:5], vcc
; %bb.1105:
	s_mov_b32 s2, 0x3fffff
	v_and_b32_e32 v3, 0x400000, v4
	v_and_or_b32 v0, v4, s2, v0
	v_cmp_ne_u32_e32 vcc, 0, v3
	v_cmp_ne_u32_e64 s[2:3], 0, v0
	s_and_b64 s[2:3], vcc, s[2:3]
	v_lshrrev_b32_e32 v2, 23, v4
	v_cndmask_b32_e64 v0, 0, 1, s[2:3]
	v_add_u32_e32 v2, v2, v0
; %bb.1106:
	s_or_b64 exec, exec, s[4:5]
	s_mov_b64 s[2:3], 0
	global_store_byte v[6:7], v2, off
.LBB233_1107:
	s_mov_b64 s[4:5], 0
.LBB233_1108:
	s_and_b64 vcc, exec, s[4:5]
	s_cbranch_vccz .LBB233_1111
; %bb.1109:
	s_cmp_eq_u32 s17, 29
	s_mov_b64 s[2:3], -1
	s_cbranch_scc0 .LBB233_1111
; %bb.1110:
	v_trunc_f32_e32 v0, v4
	v_mul_f32_e32 v2, 0x2f800000, v0
	v_floor_f32_e32 v2, v2
	v_fmamk_f32 v0, v2, 0xcf800000, v0
	v_cvt_u32_f32_e32 v3, v2
	v_cvt_u32_f32_e32 v2, v0
	s_mov_b64 s[2:3], 0
	s_mov_b64 s[4:5], 0
	global_store_dwordx2 v[6:7], v[2:3], off
	s_branch .LBB233_1112
.LBB233_1111:
	s_mov_b64 s[4:5], 0
.LBB233_1112:
	s_and_b64 vcc, exec, s[4:5]
	s_cbranch_vccz .LBB233_1127
; %bb.1113:
	s_cmp_lt_i32 s17, 27
	s_mov_b64 s[4:5], -1
	s_cbranch_scc1 .LBB233_1119
; %bb.1114:
	s_cmp_gt_i32 s17, 27
	s_cbranch_scc0 .LBB233_1116
; %bb.1115:
	v_cvt_u32_f32_e32 v0, v4
	s_mov_b64 s[4:5], 0
	global_store_dword v[6:7], v0, off
.LBB233_1116:
	s_andn2_b64 vcc, exec, s[4:5]
	s_cbranch_vccnz .LBB233_1118
; %bb.1117:
	v_cvt_u32_f32_e32 v0, v4
	global_store_short v[6:7], v0, off
.LBB233_1118:
	s_mov_b64 s[4:5], 0
.LBB233_1119:
	s_andn2_b64 vcc, exec, s[4:5]
	s_cbranch_vccnz .LBB233_1127
; %bb.1120:
	v_and_b32_e32 v0, 0x7fffffff, v4
	s_mov_b32 s4, 0x43800000
	v_cmp_gt_u32_e32 vcc, s4, v0
	v_mov_b32_e32 v2, 0x80
	s_and_saveexec_b64 s[4:5], vcc
	s_cbranch_execz .LBB233_1126
; %bb.1121:
	s_mov_b32 s10, 0x3bffffff
	v_cmp_lt_u32_e32 vcc, s10, v0
	s_mov_b64 s[10:11], 0
                                        ; implicit-def: $vgpr0
	s_and_saveexec_b64 s[12:13], vcc
	s_xor_b64 s[12:13], exec, s[12:13]
	s_cbranch_execz .LBB233_1280
; %bb.1122:
	v_bfe_u32 v0, v4, 20, 1
	s_mov_b32 s14, 0x487ffff
	v_add3_u32 v0, v4, v0, s14
	s_mov_b64 s[10:11], exec
	v_lshrrev_b32_e32 v0, 20, v0
	s_andn2_saveexec_b64 s[12:13], s[12:13]
	s_cbranch_execnz .LBB233_1281
.LBB233_1123:
	s_or_b64 exec, exec, s[12:13]
	v_mov_b32_e32 v2, 0
	s_and_saveexec_b64 s[12:13], s[10:11]
.LBB233_1124:
	v_lshrrev_b32_e32 v2, 24, v4
	s_movk_i32 s10, 0x80
	v_and_or_b32 v2, v2, s10, v0
.LBB233_1125:
	s_or_b64 exec, exec, s[12:13]
.LBB233_1126:
	s_or_b64 exec, exec, s[4:5]
	global_store_byte v[6:7], v2, off
.LBB233_1127:
	s_mov_b64 s[10:11], 0
.LBB233_1128:
	s_mov_b64 s[4:5], 0
	s_and_b64 vcc, exec, s[10:11]
	s_cbranch_vccz .LBB233_1168
; %bb.1129:
	s_cmp_gt_i32 s17, 22
	s_mov_b64 s[10:11], -1
	s_cbranch_scc0 .LBB233_1161
; %bb.1130:
	s_cmp_lt_i32 s17, 24
	s_cbranch_scc1 .LBB233_1150
; %bb.1131:
	s_cmp_gt_i32 s17, 24
	s_cbranch_scc0 .LBB233_1139
; %bb.1132:
	v_and_b32_e32 v0, 0x7fffffff, v4
	s_mov_b32 s10, 0x47800000
	v_cmp_gt_u32_e32 vcc, s10, v0
	v_mov_b32_e32 v2, 0x80
	s_and_saveexec_b64 s[10:11], vcc
	s_cbranch_execz .LBB233_1138
; %bb.1133:
	s_mov_b32 s12, 0x37ffffff
	v_cmp_lt_u32_e32 vcc, s12, v0
	s_mov_b64 s[12:13], 0
                                        ; implicit-def: $vgpr0
	s_and_saveexec_b64 s[14:15], vcc
	s_xor_b64 s[14:15], exec, s[14:15]
	s_cbranch_execz .LBB233_1435
; %bb.1134:
	v_bfe_u32 v0, v4, 21, 1
	s_mov_b32 s18, 0x88fffff
	v_add3_u32 v0, v4, v0, s18
	s_mov_b64 s[12:13], exec
	v_lshrrev_b32_e32 v0, 21, v0
	s_andn2_saveexec_b64 s[14:15], s[14:15]
	s_cbranch_execnz .LBB233_1436
.LBB233_1135:
	s_or_b64 exec, exec, s[14:15]
	v_mov_b32_e32 v2, 0
	s_and_saveexec_b64 s[14:15], s[12:13]
.LBB233_1136:
	v_lshrrev_b32_e32 v2, 24, v4
	s_movk_i32 s12, 0x80
	v_and_or_b32 v2, v2, s12, v0
.LBB233_1137:
	s_or_b64 exec, exec, s[14:15]
.LBB233_1138:
	s_or_b64 exec, exec, s[10:11]
	s_mov_b64 s[10:11], 0
	global_store_byte v[6:7], v2, off
.LBB233_1139:
	s_and_b64 vcc, exec, s[10:11]
	s_cbranch_vccz .LBB233_1149
; %bb.1140:
	v_and_b32_e32 v2, 0x7fffffff, v4
	s_mov_b32 s10, 0x43f00000
	v_cmp_gt_u32_e32 vcc, s10, v2
                                        ; implicit-def: $vgpr0
	s_and_saveexec_b64 s[10:11], vcc
	s_xor_b64 s[10:11], exec, s[10:11]
	s_cbranch_execz .LBB233_1146
; %bb.1141:
	s_mov_b32 s12, 0x3c7fffff
	v_cmp_lt_u32_e32 vcc, s12, v2
                                        ; implicit-def: $vgpr0
	s_and_saveexec_b64 s[12:13], vcc
	s_xor_b64 s[12:13], exec, s[12:13]
; %bb.1142:
	v_bfe_u32 v0, v4, 20, 1
	s_mov_b32 s14, 0x407ffff
	v_add3_u32 v0, v4, v0, s14
	v_lshrrev_b32_e32 v2, 20, v0
	v_and_b32_e32 v0, 0xff00000, v0
	s_mov_b32 s14, 0x7f00000
	v_mov_b32_e32 v3, 0x7e
	v_cmp_ne_u32_e32 vcc, s14, v0
	s_nop 1
	v_cndmask_b32_e32 v0, v3, v2, vcc
; %bb.1143:
	s_andn2_saveexec_b64 s[12:13], s[12:13]
; %bb.1144:
	s_mov_b32 s14, 0x46800000
	v_add_f32_e64 v0, |v4|, s14
; %bb.1145:
	s_or_b64 exec, exec, s[12:13]
                                        ; implicit-def: $vgpr2
.LBB233_1146:
	s_andn2_saveexec_b64 s[10:11], s[10:11]
; %bb.1147:
	s_mov_b32 s12, 0x7f800000
	v_mov_b32_e32 v0, 0x7e
	v_mov_b32_e32 v3, 0x7f
	v_cmp_lt_u32_e32 vcc, s12, v2
	s_nop 1
	v_cndmask_b32_e32 v0, v0, v3, vcc
; %bb.1148:
	s_or_b64 exec, exec, s[10:11]
	v_lshrrev_b32_e32 v2, 24, v4
	s_movk_i32 s10, 0x80
	v_and_or_b32 v0, v2, s10, v0
	global_store_byte v[6:7], v0, off
.LBB233_1149:
	s_mov_b64 s[10:11], 0
.LBB233_1150:
	s_andn2_b64 vcc, exec, s[10:11]
	s_cbranch_vccnz .LBB233_1160
; %bb.1151:
	v_and_b32_e32 v2, 0x7fffffff, v4
	s_mov_b32 s10, 0x47800000
	v_cmp_gt_u32_e32 vcc, s10, v2
                                        ; implicit-def: $vgpr0
	s_and_saveexec_b64 s[10:11], vcc
	s_xor_b64 s[10:11], exec, s[10:11]
	s_cbranch_execz .LBB233_1157
; %bb.1152:
	s_mov_b32 s12, 0x387fffff
	v_cmp_lt_u32_e32 vcc, s12, v2
                                        ; implicit-def: $vgpr0
	s_and_saveexec_b64 s[12:13], vcc
	s_xor_b64 s[12:13], exec, s[12:13]
; %bb.1153:
	v_bfe_u32 v0, v4, 21, 1
	s_mov_b32 s14, 0x80fffff
	v_add3_u32 v0, v4, v0, s14
	v_lshrrev_b32_e32 v0, 21, v0
; %bb.1154:
	s_andn2_saveexec_b64 s[12:13], s[12:13]
; %bb.1155:
	s_mov_b32 s14, 0x43000000
	v_add_f32_e64 v0, |v4|, s14
; %bb.1156:
	s_or_b64 exec, exec, s[12:13]
                                        ; implicit-def: $vgpr2
.LBB233_1157:
	s_andn2_saveexec_b64 s[10:11], s[10:11]
; %bb.1158:
	s_mov_b32 s12, 0x7f800000
	v_mov_b32_e32 v0, 0x7c
	v_mov_b32_e32 v3, 0x7f
	v_cmp_lt_u32_e32 vcc, s12, v2
	s_nop 1
	v_cndmask_b32_e32 v0, v0, v3, vcc
; %bb.1159:
	s_or_b64 exec, exec, s[10:11]
	v_lshrrev_b32_e32 v2, 24, v4
	s_movk_i32 s10, 0x80
	v_and_or_b32 v0, v2, s10, v0
	global_store_byte v[6:7], v0, off
.LBB233_1160:
	s_mov_b64 s[10:11], 0
.LBB233_1161:
	s_andn2_b64 vcc, exec, s[10:11]
	s_mov_b64 s[10:11], 0
	s_cbranch_vccnz .LBB233_1169
; %bb.1162:
	s_cmp_gt_i32 s17, 14
	s_mov_b64 s[12:13], -1
	s_cbranch_scc0 .LBB233_1166
; %bb.1163:
	s_cmp_eq_u32 s17, 15
	s_mov_b64 s[2:3], -1
	s_cbranch_scc0 .LBB233_1165
; %bb.1164:
	v_bfe_u32 v0, v4, 16, 1
	s_movk_i32 s2, 0x7fff
	v_add3_u32 v0, v4, v0, s2
	v_cmp_o_f32_e32 vcc, v4, v4
	v_mov_b32_e32 v2, 0x7fc0
	s_mov_b64 s[2:3], 0
	v_cndmask_b32_sdwa v0, v2, v0, vcc dst_sel:DWORD dst_unused:UNUSED_PAD src0_sel:DWORD src1_sel:WORD_1
	global_store_short v[6:7], v0, off
.LBB233_1165:
	s_mov_b64 s[12:13], 0
.LBB233_1166:
	s_and_b64 vcc, exec, s[12:13]
	s_cbranch_vccz .LBB233_1169
; %bb.1167:
	s_cmp_lg_u32 s17, 11
	s_cselect_b64 s[12:13], -1, 0
	s_andn2_b64 s[2:3], s[2:3], exec
	s_and_b64 s[12:13], s[12:13], exec
	s_mov_b64 s[10:11], -1
	s_or_b64 s[2:3], s[2:3], s[12:13]
	s_branch .LBB233_1169
.LBB233_1168:
	s_mov_b64 s[10:11], 0
.LBB233_1169:
	s_andn2_b64 s[12:13], s[54:55], exec
	s_and_b64 s[2:3], s[2:3], exec
	s_and_b64 s[4:5], s[4:5], exec
	;; [unrolled: 1-line block ×3, first 2 shown]
	s_or_b64 s[54:55], s[12:13], s[2:3]
	s_or_b64 exec, exec, s[8:9]
	s_and_saveexec_b64 s[2:3], s[54:55]
	s_cbranch_execz .LBB233_1073
.LBB233_1170:
	s_or_b64 s[6:7], s[6:7], exec
	s_andn2_b64 s[10:11], s[10:11], exec
	s_trap 2
	s_or_b64 exec, exec, s[2:3]
	s_and_saveexec_b64 s[2:3], s[10:11]
	s_xor_b64 s[8:9], exec, s[2:3]
	s_cbranch_execnz .LBB233_1074
.LBB233_1171:
	s_or_b64 exec, exec, s[8:9]
	s_and_saveexec_b64 s[2:3], s[4:5]
	s_xor_b64 s[2:3], exec, s[2:3]
	s_cbranch_execz .LBB233_1209
.LBB233_1172:
	s_sext_i32_i16 s8, s16
	s_cmp_lt_i32 s8, 5
	s_mov_b64 s[4:5], -1
	s_cbranch_scc1 .LBB233_1193
; %bb.1173:
	s_cmp_lt_i32 s8, 8
	s_cbranch_scc1 .LBB233_1183
; %bb.1174:
	s_cmp_lt_i32 s8, 9
	s_cbranch_scc1 .LBB233_1180
; %bb.1175:
	s_cmp_gt_i32 s8, 9
	s_cbranch_scc0 .LBB233_1177
; %bb.1176:
	v_cvt_f64_f32_e32 v[8:9], v4
	s_waitcnt vmcnt(0)
	v_cvt_f64_f32_e32 v[10:11], v1
	s_mov_b64 s[4:5], 0
	global_store_dwordx4 v[6:7], v[8:11], off
.LBB233_1177:
	s_andn2_b64 vcc, exec, s[4:5]
	s_cbranch_vccnz .LBB233_1179
; %bb.1178:
	s_waitcnt vmcnt(0)
	v_mov_b32_e32 v5, v1
	global_store_dwordx2 v[6:7], v[4:5], off
.LBB233_1179:
	s_mov_b64 s[4:5], 0
.LBB233_1180:
	s_andn2_b64 vcc, exec, s[4:5]
	s_cbranch_vccnz .LBB233_1182
; %bb.1181:
	s_waitcnt vmcnt(0)
	v_cvt_f16_f32_e32 v0, v4
	v_cvt_f16_f32_sdwa v1, v1 dst_sel:WORD_1 dst_unused:UNUSED_PAD src0_sel:DWORD
	s_nop 0
	v_or_b32_e32 v0, v1, v0
	global_store_dword v[6:7], v0, off
.LBB233_1182:
	s_mov_b64 s[4:5], 0
.LBB233_1183:
	s_andn2_b64 vcc, exec, s[4:5]
	s_cbranch_vccnz .LBB233_1192
; %bb.1184:
	s_sext_i32_i16 s8, s16
	s_cmp_lt_i32 s8, 6
	s_mov_b64 s[4:5], -1
	s_cbranch_scc1 .LBB233_1190
; %bb.1185:
	s_cmp_gt_i32 s8, 6
	s_cbranch_scc0 .LBB233_1187
; %bb.1186:
	s_waitcnt vmcnt(0)
	v_cvt_f64_f32_e32 v[0:1], v4
	s_mov_b64 s[4:5], 0
	global_store_dwordx2 v[6:7], v[0:1], off
.LBB233_1187:
	s_andn2_b64 vcc, exec, s[4:5]
	s_cbranch_vccnz .LBB233_1189
; %bb.1188:
	global_store_dword v[6:7], v4, off
.LBB233_1189:
	s_mov_b64 s[4:5], 0
.LBB233_1190:
	s_andn2_b64 vcc, exec, s[4:5]
	s_cbranch_vccnz .LBB233_1192
; %bb.1191:
	s_waitcnt vmcnt(0)
	v_cvt_f16_f32_e32 v0, v4
	global_store_short v[6:7], v0, off
.LBB233_1192:
	s_mov_b64 s[4:5], 0
.LBB233_1193:
	s_andn2_b64 vcc, exec, s[4:5]
	s_cbranch_vccnz .LBB233_1209
; %bb.1194:
	s_sext_i32_i16 s8, s16
	s_cmp_lt_i32 s8, 2
	s_mov_b64 s[4:5], -1
	s_cbranch_scc1 .LBB233_1204
; %bb.1195:
	s_cmp_lt_i32 s8, 3
	s_cbranch_scc1 .LBB233_1201
; %bb.1196:
	s_cmp_gt_i32 s8, 3
	s_cbranch_scc0 .LBB233_1198
; %bb.1197:
	s_waitcnt vmcnt(0)
	v_trunc_f32_e32 v0, v4
	s_mov_b32 s4, 0x2f800000
	v_mul_f32_e64 v1, |v0|, s4
	v_floor_f32_e32 v1, v1
	s_mov_b32 s4, 0xcf800000
	v_cvt_u32_f32_e32 v2, v1
	v_fma_f32 v1, v1, s4, |v0|
	v_cvt_u32_f32_e32 v1, v1
	v_ashrrev_i32_e32 v3, 31, v0
	v_xor_b32_e32 v2, v2, v3
	s_mov_b64 s[4:5], 0
	v_xor_b32_e32 v0, v1, v3
	v_sub_co_u32_e32 v0, vcc, v0, v3
	s_nop 1
	v_subb_co_u32_e32 v1, vcc, v2, v3, vcc
	global_store_dwordx2 v[6:7], v[0:1], off
.LBB233_1198:
	s_andn2_b64 vcc, exec, s[4:5]
	s_cbranch_vccnz .LBB233_1200
; %bb.1199:
	s_waitcnt vmcnt(0)
	v_cvt_i32_f32_e32 v0, v4
	global_store_dword v[6:7], v0, off
.LBB233_1200:
	s_mov_b64 s[4:5], 0
.LBB233_1201:
	s_andn2_b64 vcc, exec, s[4:5]
	s_cbranch_vccnz .LBB233_1203
; %bb.1202:
	s_waitcnt vmcnt(0)
	v_cvt_i32_f32_e32 v0, v4
	global_store_short v[6:7], v0, off
.LBB233_1203:
	s_mov_b64 s[4:5], 0
.LBB233_1204:
	s_andn2_b64 vcc, exec, s[4:5]
	s_cbranch_vccnz .LBB233_1209
; %bb.1205:
	s_sext_i32_i16 s4, s16
	s_cmp_gt_i32 s4, 0
	s_mov_b64 s[4:5], -1
	s_cbranch_scc0 .LBB233_1207
; %bb.1206:
	s_waitcnt vmcnt(0)
	v_cvt_i32_f32_e32 v0, v4
	s_mov_b64 s[4:5], 0
	global_store_byte v[6:7], v0, off
.LBB233_1207:
	s_andn2_b64 vcc, exec, s[4:5]
	s_cbranch_vccnz .LBB233_1209
; %bb.1208:
	s_waitcnt vmcnt(0)
	v_trunc_f32_e32 v0, v4
	s_mov_b32 s4, 0x2f800000
	v_mul_f32_e64 v1, |v0|, s4
	v_floor_f32_e32 v1, v1
	s_mov_b32 s4, 0xcf800000
	v_fma_f32 v1, v1, s4, |v0|
	v_cvt_u32_f32_e32 v1, v1
	v_ashrrev_i32_e32 v0, 31, v0
	v_xor_b32_e32 v1, v1, v0
	v_sub_u32_e32 v0, v1, v0
	global_store_byte v[6:7], v0, off
.LBB233_1209:
	s_or_b64 exec, exec, s[2:3]
	s_waitcnt lgkmcnt(0)
	s_and_b64 s[24:25], s[6:7], exec
                                        ; implicit-def: $vgpr13
                                        ; implicit-def: $vgpr12
.LBB233_1210:
	s_or_saveexec_b64 s[26:27], s[44:45]
	s_mov_b64 s[4:5], 0
                                        ; implicit-def: $vgpr0_vgpr1
                                        ; implicit-def: $sgpr14
                                        ; implicit-def: $vgpr17
                                        ; implicit-def: $vgpr14
	s_xor_b64 exec, exec, s[26:27]
	s_cbranch_execz .LBB233_1884
; %bb.1211:
	s_waitcnt vmcnt(0)
	v_cndmask_b32_e64 v0, 0, 1, s[42:43]
	v_cmp_ne_u32_e64 s[2:3], 1, v0
	s_andn2_b64 vcc, exec, s[42:43]
	s_cbranch_vccnz .LBB233_1217
; %bb.1212:
	s_cmp_lg_u32 s33, 0
	s_mov_b32 s36, 0
	s_cbranch_scc0 .LBB233_1218
; %bb.1213:
	s_min_u32 s37, s72, 15
	s_add_i32 s37, s37, 1
	s_cmp_eq_u32 s72, 2
	s_cbranch_scc1 .LBB233_1219
; %bb.1214:
	s_and_b32 s36, s37, 28
	s_add_u32 s28, s34, 0xc4
	s_addc_u32 s29, s35, 0
	s_mov_b32 s38, 0
	v_mov_b32_e32 v6, 0
	v_mov_b32_e32 v8, 0
	s_mov_b64 s[30:31], s[34:35]
	v_mov_b32_e32 v0, v12
.LBB233_1215:                           ; =>This Inner Loop Header: Depth=1
	s_load_dwordx8 s[12:19], s[30:31], 0x4
	s_load_dwordx4 s[20:23], s[30:31], 0x24
	s_load_dwordx8 s[4:11], s[28:29], 0x0
	s_add_u32 s30, s30, 48
	s_addc_u32 s31, s31, 0
	s_waitcnt lgkmcnt(0)
	v_mul_hi_u32 v1, s13, v0
	v_add_u32_e32 v1, v0, v1
	v_lshrrev_b32_e32 v1, s14, v1
	v_mul_lo_u32 v2, v1, s12
	v_mul_hi_u32 v3, s16, v1
	v_sub_u32_e32 v0, v0, v2
	v_add_u32_e32 v2, v1, v3
	v_lshrrev_b32_e32 v2, s17, v2
	v_mul_lo_u32 v4, v2, s15
	v_mul_hi_u32 v5, s19, v2
	v_sub_u32_e32 v1, v1, v4
	v_add_u32_e32 v4, v2, v5
	v_mul_lo_u32 v3, v0, s5
	v_mul_lo_u32 v0, v0, s4
	;; [unrolled: 1-line block ×4, first 2 shown]
	v_lshrrev_b32_e32 v4, s20, v4
	v_add3_u32 v1, v0, v6, v1
	v_add3_u32 v3, v3, v8, v5
	v_mul_lo_u32 v0, v4, s18
	v_mul_hi_u32 v5, s22, v4
	v_sub_u32_e32 v0, v2, v0
	v_add_u32_e32 v2, v4, v5
	v_mul_lo_u32 v5, v0, s8
	v_mul_lo_u32 v6, v0, s9
	v_lshrrev_b32_e32 v0, s23, v2
	s_add_i32 s38, s38, 4
	v_mul_lo_u32 v2, v0, s21
	s_add_u32 s28, s28, 32
	v_sub_u32_e32 v2, v4, v2
	s_addc_u32 s29, s29, 0
	v_mul_lo_u32 v4, v2, s10
	v_mul_lo_u32 v2, v2, s11
	s_cmp_lg_u32 s36, s38
	v_add3_u32 v8, v6, v3, v2
	v_add3_u32 v6, v5, v1, v4
	s_cbranch_scc1 .LBB233_1215
; %bb.1216:
	v_mov_b32_e32 v1, v8
	s_and_b32 s8, s37, 3
	s_cmp_eq_u32 s8, 0
	s_cbranch_scc0 .LBB233_1220
	s_branch .LBB233_1222
.LBB233_1217:
                                        ; implicit-def: $vgpr8
                                        ; implicit-def: $vgpr6
	s_branch .LBB233_1223
.LBB233_1218:
	v_mov_b32_e32 v8, 0
	v_mov_b32_e32 v6, 0
	s_branch .LBB233_1222
.LBB233_1219:
	v_mov_b32_e32 v6, 0
                                        ; implicit-def: $vgpr8
	v_mov_b32_e32 v1, v6
	v_mov_b32_e32 v0, v12
	s_and_b32 s8, s37, 3
	s_cmp_eq_u32 s8, 0
	s_cbranch_scc1 .LBB233_1222
.LBB233_1220:
	s_lshl_b32 s4, s36, 3
	s_add_u32 s4, s34, s4
	s_addc_u32 s5, s35, 0
	s_add_u32 s4, s4, 0xc4
	s_addc_u32 s5, s5, 0
	s_mul_i32 s6, s36, 12
	s_add_u32 s6, s34, s6
	s_addc_u32 s7, s35, 0
.LBB233_1221:                           ; =>This Inner Loop Header: Depth=1
	s_load_dwordx2 s[10:11], s[6:7], 0x4
	s_load_dword s9, s[6:7], 0xc
	s_load_dwordx2 s[12:13], s[4:5], 0x0
	v_mov_b32_e32 v2, v1
	s_add_u32 s6, s6, 12
	s_waitcnt lgkmcnt(0)
	v_mul_hi_u32 v1, s11, v0
	v_add_u32_e32 v1, v0, v1
	v_lshrrev_b32_e32 v1, s9, v1
	s_addc_u32 s7, s7, 0
	v_mul_lo_u32 v3, v1, s10
	s_add_u32 s4, s4, 8
	v_sub_u32_e32 v3, v0, v3
	s_addc_u32 s5, s5, 0
	s_add_i32 s8, s8, -1
	v_mad_u64_u32 v[8:9], s[10:11], v3, s13, v[2:3]
	s_cmp_lg_u32 s8, 0
	v_mov_b32_e32 v0, v1
	v_mad_u64_u32 v[6:7], s[10:11], v3, s12, v[6:7]
	v_mov_b32_e32 v1, v8
	s_cbranch_scc1 .LBB233_1221
.LBB233_1222:
	s_cbranch_execnz .LBB233_1225
.LBB233_1223:
	s_load_dwordx4 s[4:7], s[34:35], 0x4
	s_load_dwordx2 s[8:9], s[34:35], 0xc4
	s_cmp_lt_u32 s33, 2
	s_waitcnt lgkmcnt(0)
	v_mul_hi_u32 v0, s5, v12
	v_add_u32_e32 v0, v12, v0
	v_lshrrev_b32_e32 v0, s6, v0
	v_mul_lo_u32 v1, v0, s4
	v_sub_u32_e32 v1, v12, v1
	v_mul_lo_u32 v8, v1, s9
	v_mul_lo_u32 v6, v1, s8
	s_cbranch_scc1 .LBB233_1225
; %bb.1224:
	s_load_dwordx4 s[4:7], s[34:35], 0x10
	s_load_dwordx2 s[8:9], s[34:35], 0xcc
	s_waitcnt lgkmcnt(0)
	v_mul_hi_u32 v1, s5, v0
	v_add_u32_e32 v1, v0, v1
	v_lshrrev_b32_e32 v1, s6, v1
	v_mul_lo_u32 v1, v1, s4
	v_sub_u32_e32 v0, v0, v1
	v_mad_u64_u32 v[6:7], s[4:5], v0, s8, v[6:7]
	v_mad_u64_u32 v[8:9], s[4:5], v0, s9, v[8:9]
.LBB233_1225:
	s_and_b64 vcc, exec, s[2:3]
	v_add_u32_e32 v0, 0x80, v12
	s_cbranch_vccnz .LBB233_1231
; %bb.1226:
	s_cmp_lg_u32 s33, 0
	s_mov_b32 s36, 0
	s_cbranch_scc0 .LBB233_1232
; %bb.1227:
	s_min_u32 s37, s72, 15
	s_add_i32 s37, s37, 1
	s_cmp_eq_u32 s72, 2
	s_cbranch_scc1 .LBB233_1233
; %bb.1228:
	s_and_b32 s36, s37, 28
	s_add_u32 s28, s34, 0xc4
	s_addc_u32 s29, s35, 0
	s_mov_b32 s38, 0
	v_mov_b32_e32 v4, 0
	v_mov_b32_e32 v10, 0
	s_mov_b64 s[30:31], s[34:35]
	v_mov_b32_e32 v2, v0
.LBB233_1229:                           ; =>This Inner Loop Header: Depth=1
	s_load_dwordx8 s[12:19], s[30:31], 0x4
	s_load_dwordx4 s[20:23], s[30:31], 0x24
	s_load_dwordx8 s[4:11], s[28:29], 0x0
	s_add_u32 s30, s30, 48
	s_addc_u32 s31, s31, 0
	s_waitcnt lgkmcnt(0)
	v_mul_hi_u32 v1, s13, v2
	v_add_u32_e32 v1, v2, v1
	v_lshrrev_b32_e32 v1, s14, v1
	v_mul_lo_u32 v3, v1, s12
	v_mul_hi_u32 v5, s16, v1
	v_sub_u32_e32 v2, v2, v3
	v_add_u32_e32 v3, v1, v5
	v_lshrrev_b32_e32 v3, s17, v3
	v_mul_lo_u32 v7, v3, s15
	v_mul_hi_u32 v9, s19, v3
	v_sub_u32_e32 v1, v1, v7
	v_add_u32_e32 v7, v3, v9
	v_mul_lo_u32 v5, v2, s5
	v_mul_lo_u32 v2, v2, s4
	;; [unrolled: 1-line block ×4, first 2 shown]
	v_lshrrev_b32_e32 v7, s20, v7
	v_add3_u32 v1, v2, v4, v1
	v_add3_u32 v4, v5, v10, v9
	v_mul_lo_u32 v2, v7, s18
	v_mul_hi_u32 v5, s22, v7
	v_sub_u32_e32 v2, v3, v2
	v_add_u32_e32 v3, v7, v5
	v_mul_lo_u32 v5, v2, s8
	v_mul_lo_u32 v9, v2, s9
	v_lshrrev_b32_e32 v2, s23, v3
	s_add_i32 s38, s38, 4
	v_mul_lo_u32 v3, v2, s21
	s_add_u32 s28, s28, 32
	v_sub_u32_e32 v3, v7, v3
	s_addc_u32 s29, s29, 0
	v_mul_lo_u32 v7, v3, s10
	v_mul_lo_u32 v3, v3, s11
	s_cmp_lg_u32 s36, s38
	v_add3_u32 v10, v9, v4, v3
	v_add3_u32 v4, v5, v1, v7
	s_cbranch_scc1 .LBB233_1229
; %bb.1230:
	v_mov_b32_e32 v1, v10
	s_and_b32 s8, s37, 3
	s_cmp_eq_u32 s8, 0
	s_cbranch_scc0 .LBB233_1234
	s_branch .LBB233_1236
.LBB233_1231:
                                        ; implicit-def: $vgpr10
                                        ; implicit-def: $vgpr4
	s_branch .LBB233_1237
.LBB233_1232:
	v_mov_b32_e32 v10, 0
	v_mov_b32_e32 v4, 0
	s_branch .LBB233_1236
.LBB233_1233:
	v_mov_b32_e32 v4, 0
                                        ; implicit-def: $vgpr10
	v_mov_b32_e32 v1, v4
	v_mov_b32_e32 v2, v0
	s_and_b32 s8, s37, 3
	s_cmp_eq_u32 s8, 0
	s_cbranch_scc1 .LBB233_1236
.LBB233_1234:
	s_lshl_b32 s4, s36, 3
	s_add_u32 s4, s34, s4
	s_addc_u32 s5, s35, 0
	s_add_u32 s4, s4, 0xc4
	s_addc_u32 s5, s5, 0
	s_mul_i32 s6, s36, 12
	s_add_u32 s6, s34, s6
	s_addc_u32 s7, s35, 0
.LBB233_1235:                           ; =>This Inner Loop Header: Depth=1
	s_load_dwordx2 s[10:11], s[6:7], 0x4
	s_load_dword s9, s[6:7], 0xc
	s_load_dwordx2 s[12:13], s[4:5], 0x0
	v_mov_b32_e32 v10, v1
	s_add_u32 s6, s6, 12
	s_waitcnt lgkmcnt(0)
	v_mul_hi_u32 v1, s11, v2
	v_add_u32_e32 v1, v2, v1
	v_lshrrev_b32_e32 v1, s9, v1
	s_addc_u32 s7, s7, 0
	v_mul_lo_u32 v3, v1, s10
	s_add_u32 s4, s4, 8
	v_sub_u32_e32 v3, v2, v3
	s_addc_u32 s5, s5, 0
	s_add_i32 s8, s8, -1
	v_mad_u64_u32 v[10:11], s[10:11], v3, s13, v[10:11]
	s_cmp_lg_u32 s8, 0
	v_mov_b32_e32 v2, v1
	v_mad_u64_u32 v[4:5], s[10:11], v3, s12, v[4:5]
	v_mov_b32_e32 v1, v10
	s_cbranch_scc1 .LBB233_1235
.LBB233_1236:
	s_cbranch_execnz .LBB233_1239
.LBB233_1237:
	s_load_dwordx4 s[4:7], s[34:35], 0x4
	s_load_dwordx2 s[8:9], s[34:35], 0xc4
	s_cmp_lt_u32 s33, 2
	s_waitcnt lgkmcnt(0)
	v_mul_hi_u32 v1, s5, v0
	v_add_u32_e32 v1, v0, v1
	v_lshrrev_b32_e32 v1, s6, v1
	v_mul_lo_u32 v2, v1, s4
	v_sub_u32_e32 v0, v0, v2
	v_mul_lo_u32 v10, v0, s9
	v_mul_lo_u32 v4, v0, s8
	s_cbranch_scc1 .LBB233_1239
; %bb.1238:
	s_load_dwordx4 s[4:7], s[34:35], 0x10
	s_load_dwordx2 s[8:9], s[34:35], 0xcc
	s_waitcnt lgkmcnt(0)
	v_mul_hi_u32 v0, s5, v1
	v_add_u32_e32 v0, v1, v0
	v_lshrrev_b32_e32 v0, s6, v0
	v_mul_lo_u32 v0, v0, s4
	v_sub_u32_e32 v0, v1, v0
	v_mad_u64_u32 v[4:5], s[4:5], v0, s8, v[4:5]
	v_mad_u64_u32 v[10:11], s[4:5], v0, s9, v[10:11]
.LBB233_1239:
	s_and_b64 vcc, exec, s[2:3]
	v_add_u32_e32 v0, 0x100, v12
	s_cbranch_vccnz .LBB233_1245
; %bb.1240:
	s_cmp_lg_u32 s33, 0
	s_mov_b32 s36, 0
	s_cbranch_scc0 .LBB233_1246
; %bb.1241:
	s_min_u32 s37, s72, 15
	s_add_i32 s37, s37, 1
	s_cmp_eq_u32 s72, 2
	s_cbranch_scc1 .LBB233_1247
; %bb.1242:
	s_and_b32 s36, s37, 28
	s_add_u32 s28, s34, 0xc4
	s_addc_u32 s29, s35, 0
	s_mov_b32 s38, 0
	v_mov_b32_e32 v2, 0
	v_mov_b32_e32 v14, 0
	s_mov_b64 s[30:31], s[34:35]
	v_mov_b32_e32 v5, v0
.LBB233_1243:                           ; =>This Inner Loop Header: Depth=1
	s_load_dwordx8 s[12:19], s[30:31], 0x4
	s_load_dwordx4 s[20:23], s[30:31], 0x24
	s_load_dwordx8 s[4:11], s[28:29], 0x0
	s_add_u32 s30, s30, 48
	s_addc_u32 s31, s31, 0
	s_waitcnt lgkmcnt(0)
	v_mul_hi_u32 v1, s13, v5
	v_add_u32_e32 v1, v5, v1
	v_lshrrev_b32_e32 v1, s14, v1
	v_mul_lo_u32 v3, v1, s12
	v_mul_hi_u32 v7, s16, v1
	v_sub_u32_e32 v3, v5, v3
	v_add_u32_e32 v5, v1, v7
	v_lshrrev_b32_e32 v5, s17, v5
	v_mul_lo_u32 v9, v5, s15
	v_mul_hi_u32 v11, s19, v5
	v_sub_u32_e32 v1, v1, v9
	v_add_u32_e32 v9, v5, v11
	v_mul_lo_u32 v7, v3, s5
	v_mul_lo_u32 v3, v3, s4
	;; [unrolled: 1-line block ×4, first 2 shown]
	v_lshrrev_b32_e32 v9, s20, v9
	v_add3_u32 v1, v3, v2, v1
	v_add3_u32 v2, v7, v14, v11
	v_mul_lo_u32 v3, v9, s18
	v_mul_hi_u32 v7, s22, v9
	v_sub_u32_e32 v3, v5, v3
	v_add_u32_e32 v5, v9, v7
	v_lshrrev_b32_e32 v5, s23, v5
	s_add_i32 s38, s38, 4
	v_mul_lo_u32 v11, v5, s21
	s_add_u32 s28, s28, 32
	v_sub_u32_e32 v9, v9, v11
	s_addc_u32 s29, s29, 0
	v_mul_lo_u32 v7, v3, s8
	v_mul_lo_u32 v3, v3, s9
	;; [unrolled: 1-line block ×4, first 2 shown]
	s_cmp_lg_u32 s36, s38
	v_add3_u32 v14, v3, v2, v9
	v_add3_u32 v2, v7, v1, v11
	s_cbranch_scc1 .LBB233_1243
; %bb.1244:
	v_mov_b32_e32 v1, v14
	s_and_b32 s8, s37, 3
	s_cmp_eq_u32 s8, 0
	s_cbranch_scc0 .LBB233_1248
	s_branch .LBB233_1250
.LBB233_1245:
                                        ; implicit-def: $vgpr14
                                        ; implicit-def: $vgpr2
	s_branch .LBB233_1251
.LBB233_1246:
	v_mov_b32_e32 v14, 0
	v_mov_b32_e32 v2, 0
	s_branch .LBB233_1250
.LBB233_1247:
	v_mov_b32_e32 v2, 0
                                        ; implicit-def: $vgpr14
	v_mov_b32_e32 v1, v2
	v_mov_b32_e32 v5, v0
	s_and_b32 s8, s37, 3
	s_cmp_eq_u32 s8, 0
	s_cbranch_scc1 .LBB233_1250
.LBB233_1248:
	s_lshl_b32 s4, s36, 3
	s_add_u32 s4, s34, s4
	s_addc_u32 s5, s35, 0
	s_add_u32 s4, s4, 0xc4
	s_addc_u32 s5, s5, 0
	s_mul_i32 s6, s36, 12
	s_add_u32 s6, s34, s6
	s_addc_u32 s7, s35, 0
.LBB233_1249:                           ; =>This Inner Loop Header: Depth=1
	s_load_dwordx2 s[10:11], s[6:7], 0x4
	s_load_dword s9, s[6:7], 0xc
	s_load_dwordx2 s[12:13], s[4:5], 0x0
	v_mov_b32_e32 v12, v1
	s_add_u32 s6, s6, 12
	s_waitcnt lgkmcnt(0)
	v_mul_hi_u32 v1, s11, v5
	v_add_u32_e32 v1, v5, v1
	v_lshrrev_b32_e32 v1, s9, v1
	s_addc_u32 s7, s7, 0
	v_mul_lo_u32 v3, v1, s10
	s_add_u32 s4, s4, 8
	v_sub_u32_e32 v3, v5, v3
	s_addc_u32 s5, s5, 0
	s_add_i32 s8, s8, -1
	v_mad_u64_u32 v[14:15], s[10:11], v3, s13, v[12:13]
	s_cmp_lg_u32 s8, 0
	v_mov_b32_e32 v5, v1
	v_mad_u64_u32 v[2:3], s[10:11], v3, s12, v[2:3]
	v_mov_b32_e32 v1, v14
	s_cbranch_scc1 .LBB233_1249
.LBB233_1250:
	s_cbranch_execnz .LBB233_1253
.LBB233_1251:
	s_load_dwordx4 s[4:7], s[34:35], 0x4
	s_load_dwordx2 s[8:9], s[34:35], 0xc4
	s_cmp_lt_u32 s33, 2
	s_waitcnt lgkmcnt(0)
	v_mul_hi_u32 v1, s5, v0
	v_add_u32_e32 v1, v0, v1
	v_lshrrev_b32_e32 v1, s6, v1
	v_mul_lo_u32 v2, v1, s4
	v_sub_u32_e32 v0, v0, v2
	v_mul_lo_u32 v14, v0, s9
	v_mul_lo_u32 v2, v0, s8
	s_cbranch_scc1 .LBB233_1253
; %bb.1252:
	s_load_dwordx4 s[4:7], s[34:35], 0x10
	s_load_dwordx2 s[8:9], s[34:35], 0xcc
	s_waitcnt lgkmcnt(0)
	v_mul_hi_u32 v0, s5, v1
	v_add_u32_e32 v0, v1, v0
	v_lshrrev_b32_e32 v0, s6, v0
	v_mul_lo_u32 v0, v0, s4
	v_sub_u32_e32 v0, v1, v0
	v_mad_u64_u32 v[2:3], s[4:5], v0, s8, v[2:3]
	v_mad_u64_u32 v[14:15], s[4:5], v0, s9, v[14:15]
.LBB233_1253:
	s_and_b64 vcc, exec, s[2:3]
	s_cbranch_vccnz .LBB233_1259
; %bb.1254:
	s_cmp_lg_u32 s33, 0
	s_mov_b32 s30, 0
	s_cbranch_scc0 .LBB233_1260
; %bb.1255:
	s_min_u32 s31, s72, 15
	s_add_i32 s31, s31, 1
	s_cmp_eq_u32 s72, 2
	s_cbranch_scc1 .LBB233_1261
; %bb.1256:
	s_and_b32 s30, s31, 28
	s_add_u32 s2, s34, 0xc4
	s_addc_u32 s3, s35, 0
	s_mov_b32 s36, 0
	v_mov_b32_e32 v0, 0
	v_mov_b32_e32 v16, 0
	s_mov_b64 s[28:29], s[34:35]
	v_mov_b32_e32 v3, v13
.LBB233_1257:                           ; =>This Inner Loop Header: Depth=1
	s_load_dwordx8 s[12:19], s[28:29], 0x4
	s_load_dwordx4 s[20:23], s[28:29], 0x24
	s_load_dwordx8 s[4:11], s[2:3], 0x0
	s_add_u32 s28, s28, 48
	s_addc_u32 s29, s29, 0
	s_waitcnt lgkmcnt(0)
	v_mul_hi_u32 v1, s13, v3
	v_add_u32_e32 v1, v3, v1
	v_lshrrev_b32_e32 v1, s14, v1
	v_mul_lo_u32 v5, v1, s12
	v_mul_hi_u32 v7, s16, v1
	v_sub_u32_e32 v3, v3, v5
	v_add_u32_e32 v5, v1, v7
	v_lshrrev_b32_e32 v5, s17, v5
	v_mul_lo_u32 v9, v5, s15
	v_mul_hi_u32 v11, s19, v5
	v_sub_u32_e32 v1, v1, v9
	v_add_u32_e32 v9, v5, v11
	v_mul_lo_u32 v7, v3, s5
	v_mul_lo_u32 v3, v3, s4
	;; [unrolled: 1-line block ×4, first 2 shown]
	v_lshrrev_b32_e32 v9, s20, v9
	v_add3_u32 v0, v3, v0, v1
	v_add3_u32 v1, v7, v16, v11
	v_mul_lo_u32 v3, v9, s18
	v_mul_hi_u32 v7, s22, v9
	v_sub_u32_e32 v3, v5, v3
	v_add_u32_e32 v5, v9, v7
	v_mul_lo_u32 v7, v3, s8
	v_mul_lo_u32 v11, v3, s9
	v_lshrrev_b32_e32 v3, s23, v5
	s_add_i32 s36, s36, 4
	v_mul_lo_u32 v5, v3, s21
	s_add_u32 s2, s2, 32
	v_sub_u32_e32 v5, v9, v5
	s_addc_u32 s3, s3, 0
	v_mul_lo_u32 v9, v5, s10
	v_mul_lo_u32 v5, v5, s11
	s_cmp_lg_u32 s30, s36
	v_add3_u32 v16, v11, v1, v5
	v_add3_u32 v0, v7, v0, v9
	s_cbranch_scc1 .LBB233_1257
; %bb.1258:
	v_mov_b32_e32 v1, v16
	s_and_b32 s6, s31, 3
	s_cmp_eq_u32 s6, 0
	s_cbranch_scc0 .LBB233_1262
	s_branch .LBB233_1264
.LBB233_1259:
                                        ; implicit-def: $vgpr16
                                        ; implicit-def: $vgpr0
	s_branch .LBB233_1265
.LBB233_1260:
	v_mov_b32_e32 v16, 0
	v_mov_b32_e32 v0, 0
	s_branch .LBB233_1264
.LBB233_1261:
	v_mov_b32_e32 v0, 0
                                        ; implicit-def: $vgpr16
	v_mov_b32_e32 v1, v0
	v_mov_b32_e32 v3, v13
	s_and_b32 s6, s31, 3
	s_cmp_eq_u32 s6, 0
	s_cbranch_scc1 .LBB233_1264
.LBB233_1262:
	s_lshl_b32 s2, s30, 3
	s_add_u32 s2, s34, s2
	s_addc_u32 s3, s35, 0
	s_add_u32 s2, s2, 0xc4
	s_addc_u32 s3, s3, 0
	s_mul_i32 s4, s30, 12
	s_add_u32 s4, s34, s4
	s_addc_u32 s5, s35, 0
.LBB233_1263:                           ; =>This Inner Loop Header: Depth=1
	s_load_dwordx2 s[8:9], s[4:5], 0x4
	s_load_dword s7, s[4:5], 0xc
	s_load_dwordx2 s[10:11], s[2:3], 0x0
	v_mov_b32_e32 v12, v1
	s_add_u32 s4, s4, 12
	s_waitcnt lgkmcnt(0)
	v_mul_hi_u32 v1, s9, v3
	v_add_u32_e32 v1, v3, v1
	v_lshrrev_b32_e32 v1, s7, v1
	s_addc_u32 s5, s5, 0
	v_mul_lo_u32 v5, v1, s8
	s_add_u32 s2, s2, 8
	v_sub_u32_e32 v5, v3, v5
	s_addc_u32 s3, s3, 0
	s_add_i32 s6, s6, -1
	v_mov_b32_e32 v3, v1
	v_mad_u64_u32 v[16:17], s[8:9], v5, s11, v[12:13]
	v_mad_u64_u32 v[0:1], s[8:9], v5, s10, v[0:1]
	s_cmp_lg_u32 s6, 0
	v_mov_b32_e32 v1, v16
	s_cbranch_scc1 .LBB233_1263
.LBB233_1264:
	s_cbranch_execnz .LBB233_1267
.LBB233_1265:
	s_load_dwordx4 s[4:7], s[34:35], 0x4
	s_load_dwordx2 s[2:3], s[34:35], 0xc4
	s_cmp_lt_u32 s33, 2
	s_waitcnt lgkmcnt(0)
	v_mul_hi_u32 v0, s5, v13
	v_add_u32_e32 v0, v13, v0
	v_lshrrev_b32_e32 v1, s6, v0
	v_mul_lo_u32 v0, v1, s4
	v_sub_u32_e32 v0, v13, v0
	v_mul_lo_u32 v16, v0, s3
	v_mul_lo_u32 v0, v0, s2
	s_cbranch_scc1 .LBB233_1267
; %bb.1266:
	s_load_dwordx4 s[4:7], s[34:35], 0x10
	s_load_dwordx2 s[2:3], s[34:35], 0xcc
	s_waitcnt lgkmcnt(0)
	v_mul_hi_u32 v3, s5, v1
	v_add_u32_e32 v3, v1, v3
	v_lshrrev_b32_e32 v3, s6, v3
	v_mul_lo_u32 v3, v3, s4
	v_sub_u32_e32 v3, v1, v3
	v_mad_u64_u32 v[0:1], s[4:5], v3, s2, v[0:1]
	v_mad_u64_u32 v[16:17], s[2:3], v3, s3, v[16:17]
.LBB233_1267:
	s_load_dword s22, s[0:1], 0x160
	s_load_dwordx4 s[4:7], s[34:35], 0x148
	v_mov_b32_e32 v9, 0
	s_waitcnt lgkmcnt(0)
	s_bfe_u32 s14, s22, 0x80010
	s_cmp_lt_i32 s14, 11
	v_lshl_add_u64 v[12:13], s[6:7], 0, v[8:9]
	s_cbranch_scc1 .LBB233_1274
; %bb.1268:
	s_and_b32 s15, 0xffff, s14
	s_cmp_gt_i32 s15, 25
	s_mov_b64 s[2:3], 0
	s_cbranch_scc0 .LBB233_1276
; %bb.1269:
	s_cmp_gt_i32 s15, 28
	s_cbranch_scc0 .LBB233_1277
; %bb.1270:
	s_cmp_gt_i32 s15, 43
	;; [unrolled: 3-line block ×3, first 2 shown]
	s_cbranch_scc0 .LBB233_1279
; %bb.1272:
	s_cmp_eq_u32 s15, 46
	s_mov_b64 s[8:9], 0
	s_cbranch_scc0 .LBB233_1282
; %bb.1273:
	global_load_dword v1, v[12:13], off
	s_mov_b64 s[0:1], 0
	s_mov_b64 s[10:11], -1
	s_waitcnt vmcnt(0)
	v_and_b32_e32 v9, 0xffff0000, v1
	v_lshlrev_b32_e32 v8, 16, v1
	s_branch .LBB233_1283
.LBB233_1274:
	s_mov_b64 s[10:11], 0
                                        ; implicit-def: $vgpr8_vgpr9
	s_mov_b64 s[8:9], s[24:25]
	s_cbranch_execnz .LBB233_1346
.LBB233_1275:
	s_andn2_b64 vcc, exec, s[10:11]
	s_cbranch_vccz .LBB233_1391
	s_branch .LBB233_1881
.LBB233_1276:
	s_mov_b64 s[10:11], 0
	s_mov_b64 s[0:1], 0
                                        ; implicit-def: $vgpr8_vgpr9
	s_cbranch_execnz .LBB233_1313
	s_branch .LBB233_1342
.LBB233_1277:
	s_mov_b64 s[8:9], -1
	s_mov_b64 s[10:11], 0
	s_mov_b64 s[0:1], 0
                                        ; implicit-def: $vgpr8_vgpr9
	s_branch .LBB233_1292
.LBB233_1278:
	s_mov_b64 s[10:11], 0
	s_mov_b64 s[0:1], 0
                                        ; implicit-def: $vgpr8_vgpr9
	s_cbranch_execnz .LBB233_1288
	s_branch .LBB233_1291
.LBB233_1279:
	s_mov_b64 s[8:9], -1
	s_mov_b64 s[10:11], 0
	s_mov_b64 s[0:1], 0
                                        ; implicit-def: $vgpr8_vgpr9
	s_branch .LBB233_1283
.LBB233_1280:
	s_andn2_saveexec_b64 s[12:13], s[12:13]
	s_cbranch_execz .LBB233_1123
.LBB233_1281:
	s_mov_b32 s14, 0x46000000
	v_add_f32_e64 v0, |v4|, s14
	v_and_b32_e32 v0, 0xff, v0
	v_cmp_ne_u32_e32 vcc, 0, v0
	s_andn2_b64 s[10:11], s[10:11], exec
	s_and_b64 s[14:15], vcc, exec
	s_or_b64 s[10:11], s[10:11], s[14:15]
	s_or_b64 exec, exec, s[12:13]
	v_mov_b32_e32 v2, 0
	s_and_saveexec_b64 s[12:13], s[10:11]
	s_cbranch_execnz .LBB233_1124
	s_branch .LBB233_1125
.LBB233_1282:
	s_mov_b64 s[0:1], -1
                                        ; implicit-def: $vgpr8_vgpr9
	s_mov_b64 s[10:11], 0
.LBB233_1283:
	s_and_b64 vcc, exec, s[8:9]
	s_cbranch_vccz .LBB233_1286
; %bb.1284:
	s_cmp_eq_u32 s15, 44
	s_cbranch_scc0 .LBB233_1287
; %bb.1285:
	global_load_ubyte v1, v[12:13], off
	s_movk_i32 s8, 0xff
	v_mov_b32_e32 v3, 0x7f800001
	v_mov_b32_e32 v5, 0x400000
	;; [unrolled: 1-line block ×3, first 2 shown]
	s_mov_b64 s[0:1], 0
	s_mov_b64 s[10:11], -1
	s_waitcnt vmcnt(0)
	v_lshlrev_b32_e32 v7, 23, v1
	v_cmp_ne_u32_e32 vcc, s8, v1
	s_nop 1
	v_cndmask_b32_e32 v3, v3, v7, vcc
	v_cmp_ne_u32_e32 vcc, 0, v1
	s_nop 1
	v_cndmask_b32_e32 v8, v5, v3, vcc
.LBB233_1286:
	s_branch .LBB233_1291
.LBB233_1287:
	s_mov_b64 s[0:1], -1
                                        ; implicit-def: $vgpr8_vgpr9
	s_branch .LBB233_1291
.LBB233_1288:
	s_cmp_eq_u32 s15, 29
	s_cbranch_scc0 .LBB233_1290
; %bb.1289:
	global_load_dwordx2 v[8:9], v[12:13], off
	s_mov_b64 s[0:1], 0
	s_mov_b64 s[10:11], -1
	s_mov_b64 s[8:9], 0
	s_waitcnt vmcnt(0)
	v_ffbh_u32_e32 v1, v9
	v_min_u32_e32 v1, 32, v1
	v_lshlrev_b64 v[8:9], v1, v[8:9]
	v_min_u32_e32 v3, 1, v8
	v_or_b32_e32 v3, v9, v3
	v_cvt_f32_u32_e32 v3, v3
	v_sub_u32_e32 v1, 32, v1
	v_mov_b32_e32 v9, 0
	v_ldexp_f32 v8, v3, v1
	s_branch .LBB233_1292
.LBB233_1290:
	s_mov_b64 s[0:1], -1
                                        ; implicit-def: $vgpr8_vgpr9
.LBB233_1291:
	s_mov_b64 s[8:9], 0
.LBB233_1292:
	s_and_b64 vcc, exec, s[8:9]
	s_cbranch_vccz .LBB233_1312
; %bb.1293:
	s_cmp_lt_i32 s15, 27
	s_cbranch_scc1 .LBB233_1296
; %bb.1294:
	s_cmp_gt_i32 s15, 27
	s_cbranch_scc0 .LBB233_1297
; %bb.1295:
	global_load_dword v1, v[12:13], off
	v_mov_b32_e32 v9, 0
	s_mov_b64 s[8:9], 0
	s_waitcnt vmcnt(0)
	v_cvt_f32_u32_e32 v8, v1
	s_branch .LBB233_1298
.LBB233_1296:
	s_mov_b64 s[8:9], -1
                                        ; implicit-def: $vgpr8_vgpr9
	s_branch .LBB233_1301
.LBB233_1297:
	s_mov_b64 s[8:9], -1
                                        ; implicit-def: $vgpr8_vgpr9
.LBB233_1298:
	s_andn2_b64 vcc, exec, s[8:9]
	s_cbranch_vccnz .LBB233_1300
; %bb.1299:
	global_load_ushort v1, v[12:13], off
	v_mov_b32_e32 v9, 0
	s_waitcnt vmcnt(0)
	v_cvt_f32_u32_e32 v8, v1
.LBB233_1300:
	s_mov_b64 s[8:9], 0
.LBB233_1301:
	s_andn2_b64 vcc, exec, s[8:9]
	s_cbranch_vccnz .LBB233_1311
; %bb.1302:
	global_load_ubyte v1, v[12:13], off
	s_movk_i32 s8, 0x7f
	s_waitcnt vmcnt(0)
	v_cmp_lt_i16_e32 vcc, s8, v1
	s_mov_b64 s[8:9], 0
	s_and_saveexec_b64 s[10:11], vcc
	s_xor_b64 s[10:11], exec, s[10:11]
	s_cbranch_execz .LBB233_1306
; %bb.1303:
	s_movk_i32 s8, 0x80
	v_cmp_eq_u16_e32 vcc, s8, v1
	s_mov_b64 s[8:9], -1
	s_and_saveexec_b64 s[12:13], vcc
; %bb.1304:
	s_xor_b64 s[8:9], exec, -1
; %bb.1305:
	s_or_b64 exec, exec, s[12:13]
	s_and_b64 s[8:9], s[8:9], exec
.LBB233_1306:
	s_or_saveexec_b64 s[10:11], s[10:11]
	v_mov_b32_e32 v8, 0x7f800001
	v_mov_b32_e32 v9, 0
	s_xor_b64 exec, exec, s[10:11]
; %bb.1307:
	v_cmp_ne_u16_e32 vcc, 0, v1
	s_andn2_b64 s[8:9], s[8:9], exec
	s_and_b64 s[12:13], vcc, exec
	v_mov_b32_e32 v8, v9
	s_or_b64 s[8:9], s[8:9], s[12:13]
; %bb.1308:
	s_or_b64 exec, exec, s[10:11]
	s_and_saveexec_b64 s[10:11], s[8:9]
	s_cbranch_execz .LBB233_1310
; %bb.1309:
	v_lshlrev_b32_e32 v3, 24, v1
	v_and_b32_e32 v1, 0xffff, v1
	v_and_b32_e32 v5, 7, v1
	v_ffbh_u32_e32 v8, v5
	v_min_u32_e32 v8, 32, v8
	v_subrev_u32_e32 v9, 28, v8
	v_bfe_u32 v7, v1, 3, 4
	v_lshlrev_b32_e32 v1, v9, v1
	v_sub_u32_e32 v8, 29, v8
	v_and_b32_e32 v1, 7, v1
	v_cmp_eq_u32_e32 vcc, 0, v7
	v_and_b32_e32 v3, 0x80000000, v3
	v_mov_b32_e32 v9, 0
	v_cndmask_b32_e32 v7, v7, v8, vcc
	v_cndmask_b32_e32 v1, v5, v1, vcc
	v_mov_b32_e32 v5, 0x3b800000
	v_lshlrev_b32_e32 v1, 20, v1
	v_lshl_add_u32 v5, v7, 23, v5
	v_or3_b32 v8, v3, v5, v1
.LBB233_1310:
	s_or_b64 exec, exec, s[10:11]
.LBB233_1311:
	s_mov_b64 s[10:11], -1
.LBB233_1312:
	s_branch .LBB233_1342
.LBB233_1313:
	s_cmp_gt_i32 s15, 22
	s_cbranch_scc0 .LBB233_1325
; %bb.1314:
	s_cmp_lt_i32 s15, 24
	s_cbranch_scc1 .LBB233_1326
; %bb.1315:
	s_cmp_gt_i32 s15, 24
	s_cbranch_scc0 .LBB233_1327
; %bb.1316:
	global_load_ubyte v1, v[12:13], off
	s_movk_i32 s2, 0x7f
	s_waitcnt vmcnt(0)
	v_cmp_lt_i16_e32 vcc, s2, v1
	s_mov_b64 s[2:3], 0
	s_and_saveexec_b64 s[8:9], vcc
	s_xor_b64 s[8:9], exec, s[8:9]
	s_cbranch_execz .LBB233_1320
; %bb.1317:
	s_movk_i32 s2, 0x80
	v_cmp_eq_u16_e32 vcc, s2, v1
	s_mov_b64 s[2:3], -1
	s_and_saveexec_b64 s[10:11], vcc
; %bb.1318:
	s_xor_b64 s[2:3], exec, -1
; %bb.1319:
	s_or_b64 exec, exec, s[10:11]
	s_and_b64 s[2:3], s[2:3], exec
.LBB233_1320:
	s_or_saveexec_b64 s[8:9], s[8:9]
	v_mov_b32_e32 v8, 0x7f800001
	v_mov_b32_e32 v9, 0
	s_xor_b64 exec, exec, s[8:9]
; %bb.1321:
	v_cmp_ne_u16_e32 vcc, 0, v1
	s_andn2_b64 s[2:3], s[2:3], exec
	s_and_b64 s[10:11], vcc, exec
	v_mov_b32_e32 v8, v9
	s_or_b64 s[2:3], s[2:3], s[10:11]
; %bb.1322:
	s_or_b64 exec, exec, s[8:9]
	s_and_saveexec_b64 s[8:9], s[2:3]
	s_cbranch_execz .LBB233_1324
; %bb.1323:
	v_lshlrev_b32_e32 v3, 24, v1
	v_and_b32_e32 v1, 0xffff, v1
	v_and_b32_e32 v5, 3, v1
	v_ffbh_u32_e32 v8, v5
	v_min_u32_e32 v8, 32, v8
	v_subrev_u32_e32 v9, 29, v8
	v_bfe_u32 v7, v1, 2, 5
	v_lshlrev_b32_e32 v1, v9, v1
	v_sub_u32_e32 v8, 30, v8
	v_and_b32_e32 v1, 3, v1
	v_cmp_eq_u32_e32 vcc, 0, v7
	v_and_b32_e32 v3, 0x80000000, v3
	v_mov_b32_e32 v9, 0
	v_cndmask_b32_e32 v7, v7, v8, vcc
	v_cndmask_b32_e32 v1, v5, v1, vcc
	v_mov_b32_e32 v5, 0x37800000
	v_lshlrev_b32_e32 v1, 21, v1
	v_lshl_add_u32 v5, v7, 23, v5
	v_or3_b32 v8, v3, v5, v1
.LBB233_1324:
	s_or_b64 exec, exec, s[8:9]
	s_mov_b64 s[2:3], 0
	s_branch .LBB233_1328
.LBB233_1325:
                                        ; implicit-def: $vgpr8_vgpr9
	s_mov_b64 s[2:3], 0
	s_branch .LBB233_1334
.LBB233_1326:
	s_mov_b64 s[2:3], -1
                                        ; implicit-def: $vgpr8_vgpr9
	s_branch .LBB233_1331
.LBB233_1327:
	s_mov_b64 s[2:3], -1
                                        ; implicit-def: $vgpr8_vgpr9
.LBB233_1328:
	s_and_b64 vcc, exec, s[2:3]
	s_cbranch_vccz .LBB233_1330
; %bb.1329:
	global_load_ubyte v1, v[12:13], off
	s_mov_b32 s2, 0x7f800000
	s_brev_b32 s3, 1
	v_mov_b32_e32 v9, 0
	s_waitcnt vmcnt(0)
	v_lshlrev_b32_e32 v1, 24, v1
	v_and_b32_e32 v3, 0x7f000000, v1
	v_ffbh_u32_e32 v5, v3
	v_min_u32_e32 v5, 32, v5
	v_sub_u32_e64 v5, v5, 4 clamp
	v_lshlrev_b32_e32 v8, v5, v3
	v_lshlrev_b32_e32 v5, 23, v5
	v_lshrrev_b32_e32 v8, 4, v8
	v_add_u32_e32 v7, 0x1000000, v3
	v_sub_u32_e32 v5, v8, v5
	v_ashrrev_i32_e32 v7, 8, v7
	v_add_u32_e32 v5, 0x3c000000, v5
	v_and_or_b32 v5, v7, s2, v5
	v_cmp_ne_u32_e32 vcc, 0, v3
	s_nop 1
	v_cndmask_b32_e32 v3, 0, v5, vcc
	v_and_or_b32 v8, v1, s3, v3
.LBB233_1330:
	s_mov_b64 s[2:3], 0
.LBB233_1331:
	s_andn2_b64 vcc, exec, s[2:3]
	s_cbranch_vccnz .LBB233_1333
; %bb.1332:
	global_load_ubyte v1, v[12:13], off
	s_movk_i32 s2, 0x7f00
	s_brev_b32 s3, 16
	s_brev_b32 s8, 1
	v_mov_b32_e32 v9, 0
	s_waitcnt vmcnt(0)
	v_lshlrev_b16_e32 v3, 8, v1
	v_lshlrev_b32_e32 v1, 25, v1
	v_lshrrev_b32_e32 v5, 4, v1
	v_and_or_b32 v7, v3, s2, 0.5
	v_or_b32_e32 v5, 0x70000000, v5
	v_add_f32_e32 v7, -0.5, v7
	v_mul_f32_e32 v5, 0x7800000, v5
	v_cmp_gt_u32_e32 vcc, s3, v1
	v_bfe_i32 v3, v3, 0, 16
	s_nop 0
	v_cndmask_b32_e32 v1, v5, v7, vcc
	v_and_or_b32 v8, v3, s8, v1
.LBB233_1333:
	s_mov_b64 s[10:11], -1
	s_mov_b64 s[2:3], 0
	s_cbranch_execnz .LBB233_1342
.LBB233_1334:
	s_cmp_gt_i32 s15, 14
	s_cbranch_scc0 .LBB233_1337
; %bb.1335:
	s_cmp_eq_u32 s15, 15
	s_cbranch_scc0 .LBB233_1338
; %bb.1336:
	global_load_ushort v1, v[12:13], off
	v_mov_b32_e32 v9, 0
	s_mov_b64 s[0:1], 0
	s_mov_b64 s[10:11], -1
	s_waitcnt vmcnt(0)
	v_lshlrev_b32_e32 v8, 16, v1
	s_branch .LBB233_1339
.LBB233_1337:
	s_mov_b64 s[8:9], -1
                                        ; implicit-def: $vgpr8_vgpr9
	s_branch .LBB233_1340
.LBB233_1338:
	s_mov_b64 s[0:1], -1
                                        ; implicit-def: $vgpr8_vgpr9
.LBB233_1339:
	s_mov_b64 s[8:9], 0
.LBB233_1340:
	s_and_b64 vcc, exec, s[8:9]
	s_cbranch_vccz .LBB233_1342
; %bb.1341:
	s_cmp_lg_u32 s15, 11
	s_mov_b64 s[2:3], -1
	s_cselect_b64 s[0:1], -1, 0
.LBB233_1342:
	s_and_b64 vcc, exec, s[0:1]
	s_mov_b64 s[8:9], s[24:25]
	s_cbranch_vccnz .LBB233_1433
; %bb.1343:
	s_andn2_b64 vcc, exec, s[2:3]
	s_cbranch_vccnz .LBB233_1345
.LBB233_1344:
	global_load_ubyte v1, v[12:13], off
	v_mov_b32_e32 v9, 0
	s_mov_b64 s[10:11], -1
	s_waitcnt vmcnt(0)
	v_cmp_ne_u16_e32 vcc, 0, v1
	s_nop 1
	v_cndmask_b32_e64 v8, 0, 1.0, vcc
.LBB233_1345:
	s_branch .LBB233_1275
.LBB233_1346:
	s_and_b32 s2, 0xffff, s14
	s_cmp_lt_i32 s2, 5
	s_cbranch_scc1 .LBB233_1351
; %bb.1347:
	s_cmp_lt_i32 s2, 8
	s_cbranch_scc1 .LBB233_1352
; %bb.1348:
	;; [unrolled: 3-line block ×3, first 2 shown]
	s_cmp_gt_i32 s2, 9
	s_cbranch_scc0 .LBB233_1354
; %bb.1350:
	global_load_dwordx4 v[18:21], v[12:13], off
	s_mov_b64 s[0:1], 0
	s_waitcnt vmcnt(0)
	v_cvt_f32_f64_e32 v9, v[20:21]
	v_cvt_f32_f64_e32 v8, v[18:19]
	s_branch .LBB233_1355
.LBB233_1351:
                                        ; implicit-def: $vgpr8_vgpr9
	s_branch .LBB233_1372
.LBB233_1352:
                                        ; implicit-def: $vgpr8_vgpr9
	s_branch .LBB233_1361
.LBB233_1353:
	s_mov_b64 s[0:1], -1
                                        ; implicit-def: $vgpr8_vgpr9
	s_branch .LBB233_1358
.LBB233_1354:
	s_mov_b64 s[0:1], -1
                                        ; implicit-def: $vgpr8_vgpr9
.LBB233_1355:
	s_andn2_b64 vcc, exec, s[0:1]
	s_cbranch_vccnz .LBB233_1357
; %bb.1356:
	global_load_dwordx2 v[8:9], v[12:13], off
.LBB233_1357:
	s_mov_b64 s[0:1], 0
.LBB233_1358:
	s_andn2_b64 vcc, exec, s[0:1]
	s_cbranch_vccnz .LBB233_1360
; %bb.1359:
	global_load_dword v1, v[12:13], off
	s_waitcnt vmcnt(0)
	v_cvt_f32_f16_sdwa v9, v1 dst_sel:DWORD dst_unused:UNUSED_PAD src0_sel:WORD_1
	v_cvt_f32_f16_e32 v8, v1
.LBB233_1360:
	s_cbranch_execnz .LBB233_1371
.LBB233_1361:
	s_cmp_lt_i32 s2, 6
	s_cbranch_scc1 .LBB233_1364
; %bb.1362:
	s_cmp_gt_i32 s2, 6
	s_cbranch_scc0 .LBB233_1365
; %bb.1363:
	global_load_dwordx2 v[18:19], v[12:13], off
	s_waitcnt vmcnt(1)
	v_mov_b32_e32 v9, 0
	s_mov_b64 s[0:1], 0
	s_waitcnt vmcnt(0)
	v_cvt_f32_f64_e32 v8, v[18:19]
	s_branch .LBB233_1366
.LBB233_1364:
	s_mov_b64 s[0:1], -1
                                        ; implicit-def: $vgpr8_vgpr9
	s_branch .LBB233_1369
.LBB233_1365:
	s_mov_b64 s[0:1], -1
                                        ; implicit-def: $vgpr8_vgpr9
.LBB233_1366:
	s_andn2_b64 vcc, exec, s[0:1]
	s_cbranch_vccnz .LBB233_1368
; %bb.1367:
	global_load_dword v8, v[12:13], off
	s_waitcnt vmcnt(1)
	v_mov_b32_e32 v9, 0
.LBB233_1368:
	s_mov_b64 s[0:1], 0
.LBB233_1369:
	s_andn2_b64 vcc, exec, s[0:1]
	s_cbranch_vccnz .LBB233_1371
; %bb.1370:
	global_load_ushort v1, v[12:13], off
	s_waitcnt vmcnt(1)
	v_mov_b32_e32 v9, 0
	s_waitcnt vmcnt(0)
	v_cvt_f32_f16_e32 v8, v1
.LBB233_1371:
	s_cbranch_execnz .LBB233_1390
.LBB233_1372:
	s_cmp_lt_i32 s2, 2
	s_cbranch_scc1 .LBB233_1376
; %bb.1373:
	s_cmp_lt_i32 s2, 3
	s_cbranch_scc1 .LBB233_1377
; %bb.1374:
	s_cmp_gt_i32 s2, 3
	s_cbranch_scc0 .LBB233_1378
; %bb.1375:
	global_load_dwordx2 v[8:9], v[12:13], off
	s_mov_b64 s[0:1], 0
	s_waitcnt vmcnt(0)
	v_xor_b32_e32 v3, v8, v9
	v_ffbh_i32_e32 v1, v9
	v_ashrrev_i32_e32 v3, 31, v3
	v_add_u32_e32 v1, -1, v1
	v_add_u32_e32 v3, 32, v3
	v_min_u32_e32 v1, v1, v3
	v_lshlrev_b64 v[8:9], v1, v[8:9]
	v_min_u32_e32 v3, 1, v8
	v_or_b32_e32 v3, v9, v3
	v_cvt_f32_i32_e32 v3, v3
	v_sub_u32_e32 v1, 32, v1
	v_mov_b32_e32 v9, 0
	v_ldexp_f32 v8, v3, v1
	s_branch .LBB233_1379
.LBB233_1376:
                                        ; implicit-def: $vgpr8_vgpr9
	s_branch .LBB233_1385
.LBB233_1377:
	s_mov_b64 s[0:1], -1
                                        ; implicit-def: $vgpr8_vgpr9
	s_branch .LBB233_1382
.LBB233_1378:
	s_mov_b64 s[0:1], -1
                                        ; implicit-def: $vgpr8_vgpr9
.LBB233_1379:
	s_andn2_b64 vcc, exec, s[0:1]
	s_cbranch_vccnz .LBB233_1381
; %bb.1380:
	global_load_dword v1, v[12:13], off
	s_waitcnt vmcnt(1)
	v_mov_b32_e32 v9, 0
	s_waitcnt vmcnt(0)
	v_cvt_f32_i32_e32 v8, v1
.LBB233_1381:
	s_mov_b64 s[0:1], 0
.LBB233_1382:
	s_andn2_b64 vcc, exec, s[0:1]
	s_cbranch_vccnz .LBB233_1384
; %bb.1383:
	global_load_sshort v1, v[12:13], off
	s_waitcnt vmcnt(1)
	v_mov_b32_e32 v9, 0
	s_waitcnt vmcnt(0)
	v_cvt_f32_i32_e32 v8, v1
.LBB233_1384:
	s_cbranch_execnz .LBB233_1390
.LBB233_1385:
	s_cmp_gt_i32 s2, 0
	s_cbranch_scc0 .LBB233_1387
; %bb.1386:
	global_load_sbyte v1, v[12:13], off
	s_waitcnt vmcnt(1)
	v_mov_b32_e32 v9, 0
	s_mov_b64 s[0:1], 0
	s_waitcnt vmcnt(0)
	v_cvt_f32_i32_e32 v8, v1
	s_branch .LBB233_1388
.LBB233_1387:
	s_mov_b64 s[0:1], -1
                                        ; implicit-def: $vgpr8_vgpr9
.LBB233_1388:
	s_andn2_b64 vcc, exec, s[0:1]
	s_cbranch_vccnz .LBB233_1390
; %bb.1389:
	global_load_ubyte v1, v[12:13], off
	s_waitcnt vmcnt(1)
	v_mov_b32_e32 v9, 0
	s_waitcnt vmcnt(0)
	v_cvt_f32_ubyte0_e32 v8, v1
.LBB233_1390:
.LBB233_1391:
	s_waitcnt vmcnt(0)
	v_cmp_neq_f32_e32 vcc, 0, v8
	v_cmp_neq_f32_e64 s[0:1], 0, v9
	v_mov_b32_e32 v12, 0
	s_or_b64 s[0:1], vcc, s[0:1]
	s_and_saveexec_b64 s[10:11], s[0:1]
	s_cbranch_execz .LBB233_1421
; %bb.1392:
	v_mov_b32_e32 v12, 0x7f800000
	v_cmp_neq_f32_e64 s[0:1], |v9|, v12
	s_and_saveexec_b64 s[12:13], s[0:1]
	s_cbranch_execz .LBB233_1420
; %bb.1393:
	v_cmp_o_f32_e32 vcc, v8, v8
                                        ; implicit-def: $vgpr12
	s_and_saveexec_b64 s[0:1], vcc
	s_xor_b64 s[14:15], exec, s[0:1]
	s_cbranch_execz .LBB233_1417
; %bb.1394:
	s_mov_b32 s0, 0x7f800000
	v_cmp_neq_f32_e64 s[0:1], |v8|, s0
                                        ; implicit-def: $vgpr12
	s_and_saveexec_b64 s[2:3], s[0:1]
	s_xor_b64 s[16:17], exec, s[2:3]
	s_cbranch_execz .LBB233_1410
; %bb.1395:
	v_max_f32_e64 v1, |v9|, |v9|
	v_max_f32_e64 v3, |v8|, |v8|
	v_max_f32_e32 v1, v3, v1
	s_mov_b32 s0, 0x7ed413cb
	v_cmp_nle_f32_e64 s[0:1], s0, v1
                                        ; implicit-def: $sgpr18_sgpr19
	s_and_saveexec_b64 s[2:3], s[0:1]
	s_xor_b64 s[2:3], exec, s[2:3]
	s_cbranch_execz .LBB233_1399
; %bb.1396:
	s_mov_b32 s20, 0x1000000
	v_cmp_le_f32_e64 s[18:19], |v8|, s20
	v_cmp_le_f32_e64 s[20:21], |v9|, s20
	s_and_b64 s[28:29], s[18:19], s[20:21]
	s_mov_b64 s[18:19], 0
	s_and_saveexec_b64 s[20:21], s[28:29]
; %bb.1397:
	s_mov_b64 s[18:19], exec
	v_pk_mul_f32 v[8:9], v[8:9], 4.0 op_sel_hi:[1,0]
; %bb.1398:
	s_or_b64 exec, exec, s[20:21]
.LBB233_1399:
	s_andn2_saveexec_b64 s[2:3], s[2:3]
; %bb.1400:
	s_mov_b32 s20, 0x3e800000
	v_pk_mul_f32 v[8:9], v[8:9], s[20:21] op_sel_hi:[1,0]
	s_andn2_b64 s[18:19], s[18:19], exec
; %bb.1401:
	s_or_b64 exec, exec, s[2:3]
	v_max_f32_e64 v1, |v9|, |v9|
	v_max_f32_e64 v3, |v8|, |v8|
	v_max_f32_e32 v1, v3, v1
	v_cvt_f64_f32_e32 v[12:13], v1
	v_frexp_exp_i32_f64_e32 v3, v[12:13]
	v_sub_u32_e32 v5, 0, v3
	v_ldexp_f32 v7, |v8|, v5
	v_ldexp_f32 v5, |v9|, v5
	v_mul_f32_e32 v5, v5, v5
	v_fmac_f32_e32 v5, v7, v7
	v_sqrt_f32_e32 v5, v5
	s_mov_b32 s2, 0x7f800000
	v_cmp_neq_f32_e64 s[2:3], s2, v1
	v_cmp_le_f32_e32 vcc, 0, v8
	v_ldexp_f32 v3, v5, v3
	v_mov_b32_e32 v5, 0x7f800000
	v_cndmask_b32_e64 v5, v5, v3, s[2:3]
                                        ; implicit-def: $vgpr3
                                        ; implicit-def: $vgpr1
	s_and_saveexec_b64 s[2:3], vcc
	s_xor_b64 s[20:21], exec, s[2:3]
	s_cbranch_execz .LBB233_1403
; %bb.1402:
	v_add_f32_e32 v1, v8, v5
	v_mul_f32_e32 v1, 0.5, v1
	s_mov_b32 s2, 0xf800000
	v_mul_f32_e32 v3, 0x4f800000, v1
	v_cmp_gt_f32_e32 vcc, s2, v1
	s_nop 1
	v_cndmask_b32_e32 v1, v1, v3, vcc
	v_sqrt_f32_e32 v3, v1
	s_nop 0
	v_add_u32_e32 v5, -1, v3
	v_fma_f32 v7, -v5, v3, v1
	v_cmp_ge_f32_e64 s[2:3], 0, v7
	v_add_u32_e32 v7, 1, v3
	s_nop 0
	v_cndmask_b32_e64 v5, v3, v5, s[2:3]
	v_fma_f32 v3, -v7, v3, v1
	v_cmp_lt_f32_e64 s[2:3], 0, v3
	s_nop 1
	v_cndmask_b32_e64 v3, v5, v7, s[2:3]
	v_mul_f32_e32 v5, 0x37800000, v3
	v_cndmask_b32_e32 v3, v3, v5, vcc
	v_mov_b32_e32 v5, 0x260
	v_cmp_class_f32_e32 vcc, v1, v5
	s_nop 1
	v_cndmask_b32_e32 v1, v3, v1, vcc
	v_add_f32_e32 v3, v1, v1
	v_div_scale_f32 v5, s[2:3], v3, v3, v9
	v_rcp_f32_e32 v7, v5
	s_nop 0
	v_fma_f32 v8, -v5, v7, 1.0
	v_fmac_f32_e32 v7, v8, v7
	v_div_scale_f32 v8, vcc, v9, v3, v9
	v_mul_f32_e32 v11, v8, v7
	v_fma_f32 v12, -v5, v11, v8
	v_fmac_f32_e32 v11, v12, v7
	v_fma_f32 v5, -v5, v11, v8
	v_div_fmas_f32 v5, v5, v7, v11
	v_div_fixup_f32 v3, v5, v3, v9
                                        ; implicit-def: $vgpr5
                                        ; implicit-def: $vgpr8_vgpr9
	s_andn2_saveexec_b64 s[20:21], s[20:21]
	s_cbranch_execz .LBB233_1405
	s_branch .LBB233_1404
.LBB233_1403:
	s_andn2_saveexec_b64 s[20:21], s[20:21]
	s_cbranch_execz .LBB233_1405
.LBB233_1404:
	v_sub_f32_e32 v1, v5, v8
	v_mul_f32_e32 v1, 0.5, v1
	s_mov_b32 s2, 0xf800000
	v_mul_f32_e32 v3, 0x4f800000, v1
	v_cmp_gt_f32_e32 vcc, s2, v1
	s_nop 1
	v_cndmask_b32_e32 v1, v1, v3, vcc
	v_sqrt_f32_e32 v3, v1
	s_nop 0
	v_add_u32_e32 v5, -1, v3
	v_fma_f32 v7, -v5, v3, v1
	v_cmp_ge_f32_e64 s[2:3], 0, v7
	v_add_u32_e32 v7, 1, v3
	s_nop 0
	v_cndmask_b32_e64 v5, v3, v5, s[2:3]
	v_fma_f32 v3, -v7, v3, v1
	v_cmp_lt_f32_e64 s[2:3], 0, v3
	s_nop 1
	v_cndmask_b32_e64 v3, v5, v7, s[2:3]
	v_mul_f32_e32 v5, 0x37800000, v3
	v_cndmask_b32_e32 v3, v3, v5, vcc
	v_mov_b32_e32 v5, 0x260
	v_cmp_class_f32_e32 vcc, v1, v5
	v_and_b32_e32 v5, 0x7fffffff, v9
	s_nop 0
	v_cndmask_b32_e32 v3, v3, v1, vcc
	v_add_f32_e32 v1, v3, v3
	v_div_scale_f32 v7, s[2:3], v1, v1, v5
	v_rcp_f32_e32 v8, v7
	v_div_scale_f32 v5, vcc, v5, v1, v5
	s_brev_b32 s2, -2
	v_fma_f32 v11, -v7, v8, 1.0
	v_fmac_f32_e32 v8, v11, v8
	v_mul_f32_e32 v11, v5, v8
	v_fma_f32 v12, -v7, v11, v5
	v_fmac_f32_e32 v11, v12, v8
	v_fma_f32 v5, -v7, v11, v5
	v_div_fmas_f32 v5, v5, v8, v11
	v_div_fixup_f32 v1, v5, v1, |v9|
	v_bfi_b32 v3, s2, v3, v9
.LBB233_1405:
	s_or_b64 exec, exec, s[20:21]
                                        ; implicit-def: $vgpr9
                                        ; implicit-def: $vgpr12
	s_and_saveexec_b64 s[2:3], s[0:1]
	s_xor_b64 s[0:1], exec, s[2:3]
	s_cbranch_execz .LBB233_1407
; %bb.1406:
	v_mul_f32_e32 v5, 0.5, v1
	v_mul_f32_e32 v7, 0.5, v3
	v_cndmask_b32_e64 v12, v1, v5, s[18:19]
	v_cndmask_b32_e64 v9, v3, v7, s[18:19]
                                        ; implicit-def: $vgpr1
                                        ; implicit-def: $vgpr3
	s_andn2_saveexec_b64 s[0:1], s[0:1]
	s_cbranch_execnz .LBB233_1408
	s_branch .LBB233_1409
.LBB233_1407:
	s_andn2_saveexec_b64 s[0:1], s[0:1]
.LBB233_1408:
	v_add_f32_e32 v12, v1, v1
	v_add_f32_e32 v9, v3, v3
.LBB233_1409:
	s_or_b64 exec, exec, s[0:1]
.LBB233_1410:
	s_andn2_saveexec_b64 s[0:1], s[16:17]
	s_cbranch_execz .LBB233_1416
; %bb.1411:
	v_sub_f32_e32 v1, v9, v9
	v_cmp_lt_i32_e32 vcc, -1, v8
	s_brev_b32 s16, -2
	v_and_b32_e32 v12, 0x7fffffff, v1
	s_and_saveexec_b64 s[2:3], vcc
	s_xor_b64 s[2:3], exec, s[2:3]
; %bb.1412:
	v_bfi_b32 v9, s16, v1, v9
	v_mov_b32_e32 v12, v8
; %bb.1413:
	s_andn2_saveexec_b64 s[2:3], s[2:3]
; %bb.1414:
	v_bfi_b32 v9, s16, v8, v9
; %bb.1415:
	s_or_b64 exec, exec, s[2:3]
.LBB233_1416:
	s_or_b64 exec, exec, s[0:1]
.LBB233_1417:
	s_andn2_saveexec_b64 s[0:1], s[14:15]
	s_cbranch_execz .LBB233_1419
; %bb.1418:
	v_sub_f32_e32 v1, v9, v9
	v_div_scale_f32 v3, vcc, v1, v1, v1
	v_rcp_f32_e32 v5, v3
	v_mov_b32_e32 v12, v8
	v_fma_f32 v7, -v3, v5, 1.0
	v_fmac_f32_e32 v5, v7, v5
	v_mul_f32_e32 v7, v3, v5
	v_fma_f32 v9, -v3, v7, v3
	v_fmac_f32_e32 v7, v9, v5
	v_fma_f32 v3, -v3, v7, v3
	v_div_fmas_f32 v3, v3, v5, v7
	v_div_fixup_f32 v9, v3, v1, v1
.LBB233_1419:
	s_or_b64 exec, exec, s[0:1]
.LBB233_1420:
	s_or_b64 exec, exec, s[12:13]
.LBB233_1421:
	s_or_b64 exec, exec, s[10:11]
	s_lshr_b32 s0, s22, 16
	v_mov_b32_e32 v11, 0
	s_and_b32 s23, s0, 0xff
	s_cmp_lt_i32 s23, 11
	v_lshl_add_u64 v[18:19], s[6:7], 0, v[10:11]
	s_cbranch_scc1 .LBB233_1428
; %bb.1422:
	s_and_b32 s16, 0xffff, s23
	s_cmp_gt_i32 s16, 25
	s_mov_b64 s[2:3], 0
	s_cbranch_scc0 .LBB233_1430
; %bb.1423:
	s_cmp_gt_i32 s16, 28
	s_cbranch_scc0 .LBB233_1431
; %bb.1424:
	s_cmp_gt_i32 s16, 43
	;; [unrolled: 3-line block ×3, first 2 shown]
	s_cbranch_scc0 .LBB233_1434
; %bb.1426:
	s_cmp_eq_u32 s16, 46
	s_mov_b64 s[12:13], 0
	s_cbranch_scc0 .LBB233_1437
; %bb.1427:
	global_load_dword v1, v[18:19], off
	s_mov_b64 s[0:1], 0
	s_mov_b64 s[10:11], -1
	s_waitcnt vmcnt(0)
	v_and_b32_e32 v11, 0xffff0000, v1
	v_lshlrev_b32_e32 v10, 16, v1
	s_branch .LBB233_1438
.LBB233_1428:
	s_mov_b64 s[10:11], 0
                                        ; implicit-def: $vgpr10_vgpr11
	s_cbranch_execnz .LBB233_1503
.LBB233_1429:
	s_andn2_b64 vcc, exec, s[10:11]
	s_cbranch_vccnz .LBB233_1881
	s_branch .LBB233_1550
.LBB233_1430:
	s_mov_b64 s[10:11], 0
	s_mov_b64 s[0:1], 0
                                        ; implicit-def: $vgpr10_vgpr11
	s_cbranch_execnz .LBB233_1469
	s_branch .LBB233_1499
.LBB233_1431:
	s_mov_b64 s[12:13], -1
	s_mov_b64 s[10:11], 0
	s_mov_b64 s[0:1], 0
                                        ; implicit-def: $vgpr10_vgpr11
	s_branch .LBB233_1448
.LBB233_1432:
	s_mov_b64 s[12:13], -1
	s_mov_b64 s[10:11], 0
	s_mov_b64 s[0:1], 0
                                        ; implicit-def: $vgpr10_vgpr11
	s_branch .LBB233_1443
.LBB233_1433:
	s_or_b64 s[8:9], s[24:25], exec
	s_trap 2
	s_cbranch_execz .LBB233_1344
	s_branch .LBB233_1345
.LBB233_1434:
	s_mov_b64 s[12:13], -1
	s_mov_b64 s[10:11], 0
	s_mov_b64 s[0:1], 0
                                        ; implicit-def: $vgpr10_vgpr11
	s_branch .LBB233_1438
.LBB233_1435:
	s_andn2_saveexec_b64 s[14:15], s[14:15]
	s_cbranch_execz .LBB233_1135
.LBB233_1436:
	s_mov_b32 s18, 0x42800000
	v_add_f32_e64 v0, |v4|, s18
	v_and_b32_e32 v0, 0xff, v0
	v_cmp_ne_u32_e32 vcc, 0, v0
	s_andn2_b64 s[12:13], s[12:13], exec
	s_and_b64 s[18:19], vcc, exec
	s_or_b64 s[12:13], s[12:13], s[18:19]
	s_or_b64 exec, exec, s[14:15]
	v_mov_b32_e32 v2, 0
	s_and_saveexec_b64 s[14:15], s[12:13]
	s_cbranch_execnz .LBB233_1136
	s_branch .LBB233_1137
.LBB233_1437:
	s_mov_b64 s[0:1], -1
                                        ; implicit-def: $vgpr10_vgpr11
	s_mov_b64 s[10:11], 0
.LBB233_1438:
	s_and_b64 vcc, exec, s[12:13]
	s_cbranch_vccz .LBB233_1442
; %bb.1439:
	s_cmp_eq_u32 s16, 44
	s_cbranch_scc0 .LBB233_1441
; %bb.1440:
	global_load_ubyte v1, v[18:19], off
	s_movk_i32 s10, 0xff
	v_mov_b32_e32 v3, 0x7f800001
	v_mov_b32_e32 v5, 0x400000
	;; [unrolled: 1-line block ×3, first 2 shown]
	s_mov_b64 s[0:1], 0
	s_waitcnt vmcnt(0)
	v_lshlrev_b32_e32 v7, 23, v1
	v_cmp_ne_u32_e32 vcc, s10, v1
	s_mov_b64 s[10:11], -1
	s_nop 0
	v_cndmask_b32_e32 v3, v3, v7, vcc
	v_cmp_ne_u32_e32 vcc, 0, v1
	s_nop 1
	v_cndmask_b32_e32 v10, v5, v3, vcc
	s_branch .LBB233_1442
.LBB233_1441:
	s_mov_b64 s[0:1], -1
                                        ; implicit-def: $vgpr10_vgpr11
.LBB233_1442:
	s_mov_b64 s[12:13], 0
.LBB233_1443:
	s_and_b64 vcc, exec, s[12:13]
	s_cbranch_vccz .LBB233_1447
; %bb.1444:
	s_cmp_eq_u32 s16, 29
	s_cbranch_scc0 .LBB233_1446
; %bb.1445:
	global_load_dwordx2 v[10:11], v[18:19], off
	s_mov_b64 s[0:1], 0
	s_mov_b64 s[10:11], -1
	s_mov_b64 s[12:13], 0
	s_waitcnt vmcnt(0)
	v_ffbh_u32_e32 v1, v11
	v_min_u32_e32 v1, 32, v1
	v_lshlrev_b64 v[10:11], v1, v[10:11]
	v_min_u32_e32 v3, 1, v10
	v_or_b32_e32 v3, v11, v3
	v_cvt_f32_u32_e32 v3, v3
	v_sub_u32_e32 v1, 32, v1
	v_mov_b32_e32 v11, 0
	v_ldexp_f32 v10, v3, v1
	s_branch .LBB233_1448
.LBB233_1446:
	s_mov_b64 s[0:1], -1
                                        ; implicit-def: $vgpr10_vgpr11
.LBB233_1447:
	s_mov_b64 s[12:13], 0
.LBB233_1448:
	s_and_b64 vcc, exec, s[12:13]
	s_cbranch_vccz .LBB233_1468
; %bb.1449:
	s_cmp_lt_i32 s16, 27
	s_cbranch_scc1 .LBB233_1452
; %bb.1450:
	s_cmp_gt_i32 s16, 27
	s_cbranch_scc0 .LBB233_1453
; %bb.1451:
	global_load_dword v1, v[18:19], off
	v_mov_b32_e32 v11, 0
	s_mov_b64 s[10:11], 0
	s_waitcnt vmcnt(0)
	v_cvt_f32_u32_e32 v10, v1
	s_branch .LBB233_1454
.LBB233_1452:
	s_mov_b64 s[10:11], -1
                                        ; implicit-def: $vgpr10_vgpr11
	s_branch .LBB233_1457
.LBB233_1453:
	s_mov_b64 s[10:11], -1
                                        ; implicit-def: $vgpr10_vgpr11
.LBB233_1454:
	s_andn2_b64 vcc, exec, s[10:11]
	s_cbranch_vccnz .LBB233_1456
; %bb.1455:
	global_load_ushort v1, v[18:19], off
	v_mov_b32_e32 v11, 0
	s_waitcnt vmcnt(0)
	v_cvt_f32_u32_e32 v10, v1
.LBB233_1456:
	s_mov_b64 s[10:11], 0
.LBB233_1457:
	s_andn2_b64 vcc, exec, s[10:11]
	s_cbranch_vccnz .LBB233_1467
; %bb.1458:
	global_load_ubyte v1, v[18:19], off
	s_movk_i32 s10, 0x7f
	s_waitcnt vmcnt(0)
	v_cmp_lt_i16_e32 vcc, s10, v1
	s_mov_b64 s[10:11], 0
	s_and_saveexec_b64 s[12:13], vcc
	s_xor_b64 s[12:13], exec, s[12:13]
	s_cbranch_execz .LBB233_1462
; %bb.1459:
	s_movk_i32 s10, 0x80
	v_cmp_eq_u16_e32 vcc, s10, v1
	s_mov_b64 s[10:11], -1
	s_and_saveexec_b64 s[14:15], vcc
; %bb.1460:
	s_xor_b64 s[10:11], exec, -1
; %bb.1461:
	s_or_b64 exec, exec, s[14:15]
	s_and_b64 s[10:11], s[10:11], exec
.LBB233_1462:
	s_or_saveexec_b64 s[12:13], s[12:13]
	v_mov_b32_e32 v10, 0x7f800001
	v_mov_b32_e32 v11, 0
	s_xor_b64 exec, exec, s[12:13]
; %bb.1463:
	v_cmp_ne_u16_e32 vcc, 0, v1
	s_andn2_b64 s[10:11], s[10:11], exec
	s_and_b64 s[14:15], vcc, exec
	v_mov_b32_e32 v10, v11
	s_or_b64 s[10:11], s[10:11], s[14:15]
; %bb.1464:
	s_or_b64 exec, exec, s[12:13]
	s_and_saveexec_b64 s[12:13], s[10:11]
	s_cbranch_execz .LBB233_1466
; %bb.1465:
	v_lshlrev_b32_e32 v3, 24, v1
	v_and_b32_e32 v1, 0xffff, v1
	v_and_b32_e32 v5, 7, v1
	v_ffbh_u32_e32 v8, v5
	v_min_u32_e32 v8, 32, v8
	v_subrev_u32_e32 v10, 28, v8
	v_bfe_u32 v7, v1, 3, 4
	v_lshlrev_b32_e32 v1, v10, v1
	v_sub_u32_e32 v8, 29, v8
	v_and_b32_e32 v1, 7, v1
	v_cmp_eq_u32_e32 vcc, 0, v7
	v_and_b32_e32 v3, 0x80000000, v3
	v_mov_b32_e32 v11, 0
	v_cndmask_b32_e32 v7, v7, v8, vcc
	v_cndmask_b32_e32 v1, v5, v1, vcc
	v_mov_b32_e32 v5, 0x3b800000
	v_lshlrev_b32_e32 v1, 20, v1
	v_lshl_add_u32 v5, v7, 23, v5
	v_or3_b32 v10, v3, v5, v1
.LBB233_1466:
	s_or_b64 exec, exec, s[12:13]
.LBB233_1467:
	s_mov_b64 s[10:11], -1
.LBB233_1468:
	s_branch .LBB233_1499
.LBB233_1469:
	s_cmp_gt_i32 s16, 22
	s_cbranch_scc0 .LBB233_1481
; %bb.1470:
	s_cmp_lt_i32 s16, 24
	s_cbranch_scc1 .LBB233_1482
; %bb.1471:
	s_cmp_gt_i32 s16, 24
	s_cbranch_scc0 .LBB233_1483
; %bb.1472:
	global_load_ubyte v1, v[18:19], off
	s_movk_i32 s2, 0x7f
	s_waitcnt vmcnt(0)
	v_cmp_lt_i16_e32 vcc, s2, v1
	s_mov_b64 s[2:3], 0
	s_and_saveexec_b64 s[10:11], vcc
	s_xor_b64 s[10:11], exec, s[10:11]
	s_cbranch_execz .LBB233_1476
; %bb.1473:
	s_movk_i32 s2, 0x80
	v_cmp_eq_u16_e32 vcc, s2, v1
	s_mov_b64 s[2:3], -1
	s_and_saveexec_b64 s[12:13], vcc
; %bb.1474:
	s_xor_b64 s[2:3], exec, -1
; %bb.1475:
	s_or_b64 exec, exec, s[12:13]
	s_and_b64 s[2:3], s[2:3], exec
.LBB233_1476:
	s_or_saveexec_b64 s[10:11], s[10:11]
	v_mov_b32_e32 v10, 0x7f800001
	v_mov_b32_e32 v11, 0
	s_xor_b64 exec, exec, s[10:11]
; %bb.1477:
	v_cmp_ne_u16_e32 vcc, 0, v1
	s_andn2_b64 s[2:3], s[2:3], exec
	s_and_b64 s[12:13], vcc, exec
	v_mov_b32_e32 v10, v11
	s_or_b64 s[2:3], s[2:3], s[12:13]
; %bb.1478:
	s_or_b64 exec, exec, s[10:11]
	s_and_saveexec_b64 s[10:11], s[2:3]
	s_cbranch_execz .LBB233_1480
; %bb.1479:
	v_lshlrev_b32_e32 v3, 24, v1
	v_and_b32_e32 v1, 0xffff, v1
	v_and_b32_e32 v5, 3, v1
	v_ffbh_u32_e32 v8, v5
	v_min_u32_e32 v8, 32, v8
	v_subrev_u32_e32 v10, 29, v8
	v_bfe_u32 v7, v1, 2, 5
	v_lshlrev_b32_e32 v1, v10, v1
	v_sub_u32_e32 v8, 30, v8
	v_and_b32_e32 v1, 3, v1
	v_cmp_eq_u32_e32 vcc, 0, v7
	v_and_b32_e32 v3, 0x80000000, v3
	v_mov_b32_e32 v11, 0
	v_cndmask_b32_e32 v7, v7, v8, vcc
	v_cndmask_b32_e32 v1, v5, v1, vcc
	v_mov_b32_e32 v5, 0x37800000
	v_lshlrev_b32_e32 v1, 21, v1
	v_lshl_add_u32 v5, v7, 23, v5
	v_or3_b32 v10, v3, v5, v1
.LBB233_1480:
	s_or_b64 exec, exec, s[10:11]
	s_mov_b64 s[2:3], 0
	s_branch .LBB233_1484
.LBB233_1481:
	s_mov_b64 s[2:3], -1
                                        ; implicit-def: $vgpr10_vgpr11
	s_branch .LBB233_1490
.LBB233_1482:
	s_mov_b64 s[2:3], -1
                                        ; implicit-def: $vgpr10_vgpr11
	s_branch .LBB233_1487
.LBB233_1483:
	s_mov_b64 s[2:3], -1
                                        ; implicit-def: $vgpr10_vgpr11
.LBB233_1484:
	s_and_b64 vcc, exec, s[2:3]
	s_cbranch_vccz .LBB233_1486
; %bb.1485:
	global_load_ubyte v1, v[18:19], off
	s_mov_b32 s2, 0x7f800000
	s_brev_b32 s3, 1
	v_mov_b32_e32 v11, 0
	s_waitcnt vmcnt(0)
	v_lshlrev_b32_e32 v1, 24, v1
	v_and_b32_e32 v3, 0x7f000000, v1
	v_ffbh_u32_e32 v5, v3
	v_min_u32_e32 v5, 32, v5
	v_sub_u32_e64 v5, v5, 4 clamp
	v_lshlrev_b32_e32 v8, v5, v3
	v_lshlrev_b32_e32 v5, 23, v5
	v_lshrrev_b32_e32 v8, 4, v8
	v_add_u32_e32 v7, 0x1000000, v3
	v_sub_u32_e32 v5, v8, v5
	v_ashrrev_i32_e32 v7, 8, v7
	v_add_u32_e32 v5, 0x3c000000, v5
	v_and_or_b32 v5, v7, s2, v5
	v_cmp_ne_u32_e32 vcc, 0, v3
	s_nop 1
	v_cndmask_b32_e32 v3, 0, v5, vcc
	v_and_or_b32 v10, v1, s3, v3
.LBB233_1486:
	s_mov_b64 s[2:3], 0
.LBB233_1487:
	s_andn2_b64 vcc, exec, s[2:3]
	s_cbranch_vccnz .LBB233_1489
; %bb.1488:
	global_load_ubyte v1, v[18:19], off
	s_movk_i32 s2, 0x7f00
	s_brev_b32 s3, 16
	s_brev_b32 s10, 1
	v_mov_b32_e32 v11, 0
	s_waitcnt vmcnt(0)
	v_lshlrev_b16_e32 v3, 8, v1
	v_lshlrev_b32_e32 v1, 25, v1
	v_lshrrev_b32_e32 v5, 4, v1
	v_and_or_b32 v7, v3, s2, 0.5
	v_or_b32_e32 v5, 0x70000000, v5
	v_add_f32_e32 v7, -0.5, v7
	v_mul_f32_e32 v5, 0x7800000, v5
	v_cmp_gt_u32_e32 vcc, s3, v1
	v_bfe_i32 v3, v3, 0, 16
	s_nop 0
	v_cndmask_b32_e32 v1, v5, v7, vcc
	v_and_or_b32 v10, v3, s10, v1
.LBB233_1489:
	s_mov_b64 s[2:3], 0
	s_mov_b64 s[10:11], -1
.LBB233_1490:
	s_andn2_b64 vcc, exec, s[2:3]
	s_mov_b64 s[2:3], 0
	s_cbranch_vccnz .LBB233_1499
; %bb.1491:
	s_cmp_gt_i32 s16, 14
	s_cbranch_scc0 .LBB233_1494
; %bb.1492:
	s_cmp_eq_u32 s16, 15
	s_cbranch_scc0 .LBB233_1495
; %bb.1493:
	global_load_ushort v1, v[18:19], off
	v_mov_b32_e32 v11, 0
	s_mov_b64 s[0:1], 0
	s_mov_b64 s[10:11], -1
	s_waitcnt vmcnt(0)
	v_lshlrev_b32_e32 v10, 16, v1
	s_branch .LBB233_1496
.LBB233_1494:
	s_mov_b64 s[12:13], -1
                                        ; implicit-def: $vgpr10_vgpr11
	s_branch .LBB233_1497
.LBB233_1495:
	s_mov_b64 s[0:1], -1
                                        ; implicit-def: $vgpr10_vgpr11
.LBB233_1496:
	s_mov_b64 s[12:13], 0
.LBB233_1497:
	s_and_b64 vcc, exec, s[12:13]
	s_cbranch_vccz .LBB233_1499
; %bb.1498:
	s_cmp_lg_u32 s16, 11
	s_mov_b64 s[2:3], -1
	s_cselect_b64 s[0:1], -1, 0
.LBB233_1499:
	s_and_b64 vcc, exec, s[0:1]
	s_cbranch_vccnz .LBB233_1592
; %bb.1500:
	s_andn2_b64 vcc, exec, s[2:3]
	s_cbranch_vccnz .LBB233_1502
.LBB233_1501:
	global_load_ubyte v1, v[18:19], off
	v_mov_b32_e32 v11, 0
	s_mov_b64 s[10:11], -1
	s_waitcnt vmcnt(0)
	v_cmp_ne_u16_e32 vcc, 0, v1
	s_nop 1
	v_cndmask_b32_e64 v10, 0, 1.0, vcc
.LBB233_1502:
	s_branch .LBB233_1429
.LBB233_1503:
	s_and_b32 s2, 0xffff, s23
	s_cmp_lt_i32 s2, 5
	s_cbranch_scc1 .LBB233_1508
; %bb.1504:
	s_cmp_lt_i32 s2, 8
	s_cbranch_scc1 .LBB233_1509
; %bb.1505:
	;; [unrolled: 3-line block ×3, first 2 shown]
	s_cmp_gt_i32 s2, 9
	s_cbranch_scc0 .LBB233_1511
; %bb.1507:
	global_load_dwordx4 v[20:23], v[18:19], off
	s_mov_b64 s[0:1], 0
	s_waitcnt vmcnt(0)
	v_cvt_f32_f64_e32 v11, v[22:23]
	v_cvt_f32_f64_e32 v10, v[20:21]
	s_branch .LBB233_1512
.LBB233_1508:
                                        ; implicit-def: $vgpr10_vgpr11
	s_branch .LBB233_1530
.LBB233_1509:
	s_mov_b64 s[0:1], -1
                                        ; implicit-def: $vgpr10_vgpr11
	s_branch .LBB233_1518
.LBB233_1510:
	s_mov_b64 s[0:1], -1
                                        ; implicit-def: $vgpr10_vgpr11
	s_branch .LBB233_1515
.LBB233_1511:
	s_mov_b64 s[0:1], -1
                                        ; implicit-def: $vgpr10_vgpr11
.LBB233_1512:
	s_andn2_b64 vcc, exec, s[0:1]
	s_cbranch_vccnz .LBB233_1514
; %bb.1513:
	global_load_dwordx2 v[10:11], v[18:19], off
.LBB233_1514:
	s_mov_b64 s[0:1], 0
.LBB233_1515:
	s_andn2_b64 vcc, exec, s[0:1]
	s_cbranch_vccnz .LBB233_1517
; %bb.1516:
	global_load_dword v1, v[18:19], off
	s_waitcnt vmcnt(0)
	v_cvt_f32_f16_sdwa v11, v1 dst_sel:DWORD dst_unused:UNUSED_PAD src0_sel:WORD_1
	v_cvt_f32_f16_e32 v10, v1
.LBB233_1517:
	s_mov_b64 s[0:1], 0
.LBB233_1518:
	s_andn2_b64 vcc, exec, s[0:1]
	s_cbranch_vccnz .LBB233_1529
; %bb.1519:
	s_cmp_lt_i32 s2, 6
	s_cbranch_scc1 .LBB233_1522
; %bb.1520:
	s_cmp_gt_i32 s2, 6
	s_cbranch_scc0 .LBB233_1523
; %bb.1521:
	global_load_dwordx2 v[20:21], v[18:19], off
	s_waitcnt vmcnt(1)
	v_mov_b32_e32 v11, 0
	s_mov_b64 s[0:1], 0
	s_waitcnt vmcnt(0)
	v_cvt_f32_f64_e32 v10, v[20:21]
	s_branch .LBB233_1524
.LBB233_1522:
	s_mov_b64 s[0:1], -1
                                        ; implicit-def: $vgpr10_vgpr11
	s_branch .LBB233_1527
.LBB233_1523:
	s_mov_b64 s[0:1], -1
                                        ; implicit-def: $vgpr10_vgpr11
.LBB233_1524:
	s_andn2_b64 vcc, exec, s[0:1]
	s_cbranch_vccnz .LBB233_1526
; %bb.1525:
	global_load_dword v10, v[18:19], off
	s_waitcnt vmcnt(1)
	v_mov_b32_e32 v11, 0
.LBB233_1526:
	s_mov_b64 s[0:1], 0
.LBB233_1527:
	s_andn2_b64 vcc, exec, s[0:1]
	s_cbranch_vccnz .LBB233_1529
; %bb.1528:
	global_load_ushort v1, v[18:19], off
	s_waitcnt vmcnt(1)
	v_mov_b32_e32 v11, 0
	s_waitcnt vmcnt(0)
	v_cvt_f32_f16_e32 v10, v1
.LBB233_1529:
	s_cbranch_execnz .LBB233_1549
.LBB233_1530:
	s_cmp_lt_i32 s2, 2
	s_cbranch_scc1 .LBB233_1534
; %bb.1531:
	s_cmp_lt_i32 s2, 3
	s_cbranch_scc1 .LBB233_1535
; %bb.1532:
	s_cmp_gt_i32 s2, 3
	s_cbranch_scc0 .LBB233_1536
; %bb.1533:
	global_load_dwordx2 v[10:11], v[18:19], off
	s_mov_b64 s[0:1], 0
	s_waitcnt vmcnt(0)
	v_xor_b32_e32 v3, v10, v11
	v_ffbh_i32_e32 v1, v11
	v_ashrrev_i32_e32 v3, 31, v3
	v_add_u32_e32 v1, -1, v1
	v_add_u32_e32 v3, 32, v3
	v_min_u32_e32 v1, v1, v3
	v_lshlrev_b64 v[10:11], v1, v[10:11]
	v_min_u32_e32 v3, 1, v10
	v_or_b32_e32 v3, v11, v3
	v_cvt_f32_i32_e32 v3, v3
	v_sub_u32_e32 v1, 32, v1
	v_mov_b32_e32 v11, 0
	v_ldexp_f32 v10, v3, v1
	s_branch .LBB233_1537
.LBB233_1534:
	s_mov_b64 s[0:1], -1
                                        ; implicit-def: $vgpr10_vgpr11
	s_branch .LBB233_1543
.LBB233_1535:
	s_mov_b64 s[0:1], -1
                                        ; implicit-def: $vgpr10_vgpr11
	s_branch .LBB233_1540
.LBB233_1536:
	s_mov_b64 s[0:1], -1
                                        ; implicit-def: $vgpr10_vgpr11
.LBB233_1537:
	s_andn2_b64 vcc, exec, s[0:1]
	s_cbranch_vccnz .LBB233_1539
; %bb.1538:
	global_load_dword v1, v[18:19], off
	s_waitcnt vmcnt(1)
	v_mov_b32_e32 v11, 0
	s_waitcnt vmcnt(0)
	v_cvt_f32_i32_e32 v10, v1
.LBB233_1539:
	s_mov_b64 s[0:1], 0
.LBB233_1540:
	s_andn2_b64 vcc, exec, s[0:1]
	s_cbranch_vccnz .LBB233_1542
; %bb.1541:
	global_load_sshort v1, v[18:19], off
	s_waitcnt vmcnt(1)
	v_mov_b32_e32 v11, 0
	s_waitcnt vmcnt(0)
	v_cvt_f32_i32_e32 v10, v1
.LBB233_1542:
	s_mov_b64 s[0:1], 0
.LBB233_1543:
	s_andn2_b64 vcc, exec, s[0:1]
	s_cbranch_vccnz .LBB233_1549
; %bb.1544:
	s_cmp_gt_i32 s2, 0
	s_cbranch_scc0 .LBB233_1546
; %bb.1545:
	global_load_sbyte v1, v[18:19], off
	s_waitcnt vmcnt(1)
	v_mov_b32_e32 v11, 0
	s_mov_b64 s[0:1], 0
	s_waitcnt vmcnt(0)
	v_cvt_f32_i32_e32 v10, v1
	s_branch .LBB233_1547
.LBB233_1546:
	s_mov_b64 s[0:1], -1
                                        ; implicit-def: $vgpr10_vgpr11
.LBB233_1547:
	s_andn2_b64 vcc, exec, s[0:1]
	s_cbranch_vccnz .LBB233_1549
; %bb.1548:
	global_load_ubyte v1, v[18:19], off
	s_waitcnt vmcnt(1)
	v_mov_b32_e32 v11, 0
	s_waitcnt vmcnt(0)
	v_cvt_f32_ubyte0_e32 v10, v1
.LBB233_1549:
.LBB233_1550:
	s_waitcnt vmcnt(0)
	v_cmp_neq_f32_e32 vcc, 0, v10
	v_cmp_neq_f32_e64 s[0:1], 0, v11
	v_mov_b32_e32 v8, 0
	s_or_b64 s[0:1], vcc, s[0:1]
	s_and_saveexec_b64 s[10:11], s[0:1]
	s_cbranch_execz .LBB233_1580
; %bb.1551:
	v_mov_b32_e32 v8, 0x7f800000
	v_cmp_neq_f32_e64 s[0:1], |v11|, v8
	s_and_saveexec_b64 s[12:13], s[0:1]
	s_cbranch_execz .LBB233_1579
; %bb.1552:
	v_cmp_o_f32_e32 vcc, v10, v10
                                        ; implicit-def: $vgpr8
	s_and_saveexec_b64 s[0:1], vcc
	s_xor_b64 s[14:15], exec, s[0:1]
	s_cbranch_execz .LBB233_1576
; %bb.1553:
	s_mov_b32 s0, 0x7f800000
	v_cmp_neq_f32_e64 s[0:1], |v10|, s0
                                        ; implicit-def: $vgpr8
	s_and_saveexec_b64 s[2:3], s[0:1]
	s_xor_b64 s[16:17], exec, s[2:3]
	s_cbranch_execz .LBB233_1569
; %bb.1554:
	v_max_f32_e64 v1, |v11|, |v11|
	v_max_f32_e64 v3, |v10|, |v10|
	v_max_f32_e32 v1, v3, v1
	s_mov_b32 s0, 0x7ed413cb
	v_cmp_nle_f32_e64 s[0:1], s0, v1
                                        ; implicit-def: $sgpr18_sgpr19
	s_and_saveexec_b64 s[2:3], s[0:1]
	s_xor_b64 s[2:3], exec, s[2:3]
	s_cbranch_execz .LBB233_1558
; %bb.1555:
	s_mov_b32 s20, 0x1000000
	v_cmp_le_f32_e64 s[18:19], |v10|, s20
	v_cmp_le_f32_e64 s[20:21], |v11|, s20
	s_and_b64 s[28:29], s[18:19], s[20:21]
	s_mov_b64 s[18:19], 0
	s_and_saveexec_b64 s[20:21], s[28:29]
; %bb.1556:
	s_mov_b64 s[18:19], exec
	v_pk_mul_f32 v[10:11], v[10:11], 4.0 op_sel_hi:[1,0]
; %bb.1557:
	s_or_b64 exec, exec, s[20:21]
.LBB233_1558:
	s_andn2_saveexec_b64 s[2:3], s[2:3]
; %bb.1559:
	s_mov_b32 s20, 0x3e800000
	v_pk_mul_f32 v[10:11], v[10:11], s[20:21] op_sel_hi:[1,0]
	s_andn2_b64 s[18:19], s[18:19], exec
; %bb.1560:
	s_or_b64 exec, exec, s[2:3]
	v_max_f32_e64 v1, |v11|, |v11|
	v_max_f32_e64 v3, |v10|, |v10|
	v_max_f32_e32 v1, v3, v1
	v_cvt_f64_f32_e32 v[18:19], v1
	v_frexp_exp_i32_f64_e32 v3, v[18:19]
	v_sub_u32_e32 v5, 0, v3
	v_ldexp_f32 v7, |v10|, v5
	v_ldexp_f32 v5, |v11|, v5
	v_mul_f32_e32 v5, v5, v5
	v_fmac_f32_e32 v5, v7, v7
	v_sqrt_f32_e32 v5, v5
	s_mov_b32 s2, 0x7f800000
	v_cmp_neq_f32_e64 s[2:3], s2, v1
	v_cmp_le_f32_e32 vcc, 0, v10
	v_ldexp_f32 v3, v5, v3
	v_mov_b32_e32 v5, 0x7f800000
	v_cndmask_b32_e64 v5, v5, v3, s[2:3]
                                        ; implicit-def: $vgpr3
                                        ; implicit-def: $vgpr1
	s_and_saveexec_b64 s[2:3], vcc
	s_xor_b64 s[20:21], exec, s[2:3]
	s_cbranch_execz .LBB233_1562
; %bb.1561:
	v_add_f32_e32 v1, v10, v5
	v_mul_f32_e32 v1, 0.5, v1
	s_mov_b32 s2, 0xf800000
	v_mul_f32_e32 v3, 0x4f800000, v1
	v_cmp_gt_f32_e32 vcc, s2, v1
	s_nop 1
	v_cndmask_b32_e32 v1, v1, v3, vcc
	v_sqrt_f32_e32 v3, v1
	s_nop 0
	v_add_u32_e32 v5, -1, v3
	v_fma_f32 v7, -v5, v3, v1
	v_cmp_ge_f32_e64 s[2:3], 0, v7
	v_add_u32_e32 v7, 1, v3
	s_nop 0
	v_cndmask_b32_e64 v5, v3, v5, s[2:3]
	v_fma_f32 v3, -v7, v3, v1
	v_cmp_lt_f32_e64 s[2:3], 0, v3
	s_nop 1
	v_cndmask_b32_e64 v3, v5, v7, s[2:3]
	v_mul_f32_e32 v5, 0x37800000, v3
	v_cndmask_b32_e32 v3, v3, v5, vcc
	v_mov_b32_e32 v5, 0x260
	v_cmp_class_f32_e32 vcc, v1, v5
	s_nop 1
	v_cndmask_b32_e32 v1, v3, v1, vcc
	v_add_f32_e32 v3, v1, v1
	v_div_scale_f32 v5, s[2:3], v3, v3, v11
	v_rcp_f32_e32 v7, v5
	s_nop 0
	v_fma_f32 v8, -v5, v7, 1.0
	v_fmac_f32_e32 v7, v8, v7
	v_div_scale_f32 v8, vcc, v11, v3, v11
	v_mul_f32_e32 v10, v8, v7
	v_fma_f32 v13, -v5, v10, v8
	v_fmac_f32_e32 v10, v13, v7
	v_fma_f32 v5, -v5, v10, v8
	v_div_fmas_f32 v5, v5, v7, v10
	v_div_fixup_f32 v3, v5, v3, v11
                                        ; implicit-def: $vgpr5
                                        ; implicit-def: $vgpr10_vgpr11
	s_andn2_saveexec_b64 s[20:21], s[20:21]
	s_cbranch_execz .LBB233_1564
	s_branch .LBB233_1563
.LBB233_1562:
	s_andn2_saveexec_b64 s[20:21], s[20:21]
	s_cbranch_execz .LBB233_1564
.LBB233_1563:
	v_sub_f32_e32 v1, v5, v10
	v_mul_f32_e32 v1, 0.5, v1
	s_mov_b32 s2, 0xf800000
	v_mul_f32_e32 v3, 0x4f800000, v1
	v_cmp_gt_f32_e32 vcc, s2, v1
	s_nop 1
	v_cndmask_b32_e32 v1, v1, v3, vcc
	v_sqrt_f32_e32 v3, v1
	s_nop 0
	v_add_u32_e32 v5, -1, v3
	v_fma_f32 v7, -v5, v3, v1
	v_cmp_ge_f32_e64 s[2:3], 0, v7
	v_add_u32_e32 v7, 1, v3
	s_nop 0
	v_cndmask_b32_e64 v5, v3, v5, s[2:3]
	v_fma_f32 v3, -v7, v3, v1
	v_cmp_lt_f32_e64 s[2:3], 0, v3
	s_nop 1
	v_cndmask_b32_e64 v3, v5, v7, s[2:3]
	v_mul_f32_e32 v5, 0x37800000, v3
	v_cndmask_b32_e32 v3, v3, v5, vcc
	v_mov_b32_e32 v5, 0x260
	v_cmp_class_f32_e32 vcc, v1, v5
	v_and_b32_e32 v5, 0x7fffffff, v11
	s_nop 0
	v_cndmask_b32_e32 v3, v3, v1, vcc
	v_add_f32_e32 v1, v3, v3
	v_div_scale_f32 v7, s[2:3], v1, v1, v5
	v_rcp_f32_e32 v8, v7
	v_div_scale_f32 v5, vcc, v5, v1, v5
	s_brev_b32 s2, -2
	v_fma_f32 v10, -v7, v8, 1.0
	v_fmac_f32_e32 v8, v10, v8
	v_mul_f32_e32 v10, v5, v8
	v_fma_f32 v13, -v7, v10, v5
	v_fmac_f32_e32 v10, v13, v8
	v_fma_f32 v5, -v7, v10, v5
	v_div_fmas_f32 v5, v5, v8, v10
	v_div_fixup_f32 v1, v5, v1, |v11|
	v_bfi_b32 v3, s2, v3, v11
.LBB233_1564:
	s_or_b64 exec, exec, s[20:21]
                                        ; implicit-def: $vgpr11
                                        ; implicit-def: $vgpr8
	s_and_saveexec_b64 s[2:3], s[0:1]
	s_xor_b64 s[0:1], exec, s[2:3]
	s_cbranch_execz .LBB233_1566
; %bb.1565:
	v_mul_f32_e32 v5, 0.5, v1
	v_mul_f32_e32 v7, 0.5, v3
	v_cndmask_b32_e64 v8, v1, v5, s[18:19]
	v_cndmask_b32_e64 v11, v3, v7, s[18:19]
                                        ; implicit-def: $vgpr1
                                        ; implicit-def: $vgpr3
	s_andn2_saveexec_b64 s[0:1], s[0:1]
	s_cbranch_execnz .LBB233_1567
	s_branch .LBB233_1568
.LBB233_1566:
	s_andn2_saveexec_b64 s[0:1], s[0:1]
.LBB233_1567:
	v_add_f32_e32 v8, v1, v1
	v_add_f32_e32 v11, v3, v3
.LBB233_1568:
	s_or_b64 exec, exec, s[0:1]
.LBB233_1569:
	s_andn2_saveexec_b64 s[0:1], s[16:17]
	s_cbranch_execz .LBB233_1575
; %bb.1570:
	v_sub_f32_e32 v1, v11, v11
	v_cmp_lt_i32_e32 vcc, -1, v10
	s_brev_b32 s16, -2
	v_and_b32_e32 v8, 0x7fffffff, v1
	s_and_saveexec_b64 s[2:3], vcc
	s_xor_b64 s[2:3], exec, s[2:3]
; %bb.1571:
	v_bfi_b32 v11, s16, v1, v11
	v_mov_b32_e32 v8, v10
; %bb.1572:
	s_andn2_saveexec_b64 s[2:3], s[2:3]
; %bb.1573:
	v_bfi_b32 v11, s16, v10, v11
; %bb.1574:
	s_or_b64 exec, exec, s[2:3]
.LBB233_1575:
	s_or_b64 exec, exec, s[0:1]
.LBB233_1576:
	s_andn2_saveexec_b64 s[0:1], s[14:15]
	s_cbranch_execz .LBB233_1578
; %bb.1577:
	v_sub_f32_e32 v1, v11, v11
	v_div_scale_f32 v3, vcc, v1, v1, v1
	v_rcp_f32_e32 v5, v3
	s_nop 0
	v_fma_f32 v7, -v3, v5, 1.0
	v_fmac_f32_e32 v5, v7, v5
	v_mul_f32_e32 v7, v3, v5
	v_fma_f32 v8, -v3, v7, v3
	v_fmac_f32_e32 v7, v8, v5
	v_fma_f32 v3, -v3, v7, v3
	v_div_fmas_f32 v3, v3, v5, v7
	v_div_fixup_f32 v11, v3, v1, v1
	v_mov_b32_e32 v8, v10
.LBB233_1578:
	s_or_b64 exec, exec, s[0:1]
.LBB233_1579:
	s_or_b64 exec, exec, s[12:13]
.LBB233_1580:
	s_or_b64 exec, exec, s[10:11]
	v_mov_b32_e32 v15, 0
	s_cmp_lt_i32 s23, 11
	v_lshl_add_u64 v[18:19], s[6:7], 0, v[14:15]
	s_cbranch_scc1 .LBB233_1587
; %bb.1581:
	s_and_b32 s16, 0xffff, s23
	s_cmp_gt_i32 s16, 25
	s_mov_b64 s[2:3], 0
	s_cbranch_scc0 .LBB233_1589
; %bb.1582:
	s_cmp_gt_i32 s16, 28
	s_cbranch_scc0 .LBB233_1590
; %bb.1583:
	s_cmp_gt_i32 s16, 43
	;; [unrolled: 3-line block ×3, first 2 shown]
	s_cbranch_scc0 .LBB233_1593
; %bb.1585:
	s_cmp_eq_u32 s16, 46
	s_mov_b64 s[12:13], 0
	s_cbranch_scc0 .LBB233_1594
; %bb.1586:
	global_load_dword v1, v[18:19], off
	s_mov_b64 s[0:1], 0
	s_mov_b64 s[10:11], -1
	s_waitcnt vmcnt(0)
	v_and_b32_e32 v15, 0xffff0000, v1
	v_lshlrev_b32_e32 v14, 16, v1
	s_branch .LBB233_1595
.LBB233_1587:
	s_mov_b64 s[10:11], 0
                                        ; implicit-def: $vgpr14_vgpr15
	s_cbranch_execnz .LBB233_1661
.LBB233_1588:
	s_andn2_b64 vcc, exec, s[10:11]
	s_cbranch_vccnz .LBB233_1881
	s_branch .LBB233_1709
.LBB233_1589:
	s_mov_b64 s[12:13], -1
	s_mov_b64 s[10:11], 0
	s_mov_b64 s[0:1], 0
                                        ; implicit-def: $vgpr14_vgpr15
	s_branch .LBB233_1626
.LBB233_1590:
	s_mov_b64 s[12:13], -1
	s_mov_b64 s[10:11], 0
	s_mov_b64 s[0:1], 0
                                        ; implicit-def: $vgpr14_vgpr15
	s_branch .LBB233_1605
.LBB233_1591:
	s_mov_b64 s[12:13], -1
	s_mov_b64 s[10:11], 0
	s_mov_b64 s[0:1], 0
                                        ; implicit-def: $vgpr14_vgpr15
	s_branch .LBB233_1600
.LBB233_1592:
	s_trap 2
	s_or_b64 s[8:9], s[8:9], exec
	s_cbranch_execz .LBB233_1501
	s_branch .LBB233_1502
.LBB233_1593:
	s_mov_b64 s[12:13], -1
	s_mov_b64 s[10:11], 0
	s_mov_b64 s[0:1], 0
                                        ; implicit-def: $vgpr14_vgpr15
	s_branch .LBB233_1595
.LBB233_1594:
	s_mov_b64 s[0:1], -1
                                        ; implicit-def: $vgpr14_vgpr15
	s_mov_b64 s[10:11], 0
.LBB233_1595:
	s_and_b64 vcc, exec, s[12:13]
	s_cbranch_vccz .LBB233_1599
; %bb.1596:
	s_cmp_eq_u32 s16, 44
	s_cbranch_scc0 .LBB233_1598
; %bb.1597:
	global_load_ubyte v1, v[18:19], off
	s_movk_i32 s10, 0xff
	v_mov_b32_e32 v3, 0x7f800001
	v_mov_b32_e32 v5, 0x400000
	;; [unrolled: 1-line block ×3, first 2 shown]
	s_mov_b64 s[0:1], 0
	s_waitcnt vmcnt(0)
	v_lshlrev_b32_e32 v7, 23, v1
	v_cmp_ne_u32_e32 vcc, s10, v1
	s_mov_b64 s[10:11], -1
	s_nop 0
	v_cndmask_b32_e32 v3, v3, v7, vcc
	v_cmp_ne_u32_e32 vcc, 0, v1
	s_nop 1
	v_cndmask_b32_e32 v14, v5, v3, vcc
	s_branch .LBB233_1599
.LBB233_1598:
	s_mov_b64 s[0:1], -1
                                        ; implicit-def: $vgpr14_vgpr15
.LBB233_1599:
	s_mov_b64 s[12:13], 0
.LBB233_1600:
	s_and_b64 vcc, exec, s[12:13]
	s_cbranch_vccz .LBB233_1604
; %bb.1601:
	s_cmp_eq_u32 s16, 29
	s_cbranch_scc0 .LBB233_1603
; %bb.1602:
	global_load_dwordx2 v[14:15], v[18:19], off
	s_mov_b64 s[0:1], 0
	s_mov_b64 s[10:11], -1
	s_mov_b64 s[12:13], 0
	s_waitcnt vmcnt(0)
	v_ffbh_u32_e32 v1, v15
	v_min_u32_e32 v1, 32, v1
	v_lshlrev_b64 v[14:15], v1, v[14:15]
	v_min_u32_e32 v3, 1, v14
	v_or_b32_e32 v3, v15, v3
	v_cvt_f32_u32_e32 v3, v3
	v_sub_u32_e32 v1, 32, v1
	v_mov_b32_e32 v15, 0
	v_ldexp_f32 v14, v3, v1
	s_branch .LBB233_1605
.LBB233_1603:
	s_mov_b64 s[0:1], -1
                                        ; implicit-def: $vgpr14_vgpr15
.LBB233_1604:
	s_mov_b64 s[12:13], 0
.LBB233_1605:
	s_and_b64 vcc, exec, s[12:13]
	s_cbranch_vccz .LBB233_1625
; %bb.1606:
	s_cmp_lt_i32 s16, 27
	s_cbranch_scc1 .LBB233_1609
; %bb.1607:
	s_cmp_gt_i32 s16, 27
	s_cbranch_scc0 .LBB233_1610
; %bb.1608:
	global_load_dword v1, v[18:19], off
	v_mov_b32_e32 v15, 0
	s_mov_b64 s[10:11], 0
	s_waitcnt vmcnt(0)
	v_cvt_f32_u32_e32 v14, v1
	s_branch .LBB233_1611
.LBB233_1609:
	s_mov_b64 s[10:11], -1
                                        ; implicit-def: $vgpr14_vgpr15
	s_branch .LBB233_1614
.LBB233_1610:
	s_mov_b64 s[10:11], -1
                                        ; implicit-def: $vgpr14_vgpr15
.LBB233_1611:
	s_andn2_b64 vcc, exec, s[10:11]
	s_cbranch_vccnz .LBB233_1613
; %bb.1612:
	global_load_ushort v1, v[18:19], off
	v_mov_b32_e32 v15, 0
	s_waitcnt vmcnt(0)
	v_cvt_f32_u32_e32 v14, v1
.LBB233_1613:
	s_mov_b64 s[10:11], 0
.LBB233_1614:
	s_andn2_b64 vcc, exec, s[10:11]
	s_cbranch_vccnz .LBB233_1624
; %bb.1615:
	global_load_ubyte v1, v[18:19], off
	s_movk_i32 s10, 0x7f
	s_waitcnt vmcnt(0)
	v_cmp_lt_i16_e32 vcc, s10, v1
	s_mov_b64 s[10:11], 0
	s_and_saveexec_b64 s[12:13], vcc
	s_xor_b64 s[12:13], exec, s[12:13]
	s_cbranch_execz .LBB233_1619
; %bb.1616:
	s_movk_i32 s10, 0x80
	v_cmp_eq_u16_e32 vcc, s10, v1
	s_mov_b64 s[10:11], -1
	s_and_saveexec_b64 s[14:15], vcc
; %bb.1617:
	s_xor_b64 s[10:11], exec, -1
; %bb.1618:
	s_or_b64 exec, exec, s[14:15]
	s_and_b64 s[10:11], s[10:11], exec
.LBB233_1619:
	s_or_saveexec_b64 s[12:13], s[12:13]
	v_mov_b32_e32 v14, 0x7f800001
	v_mov_b32_e32 v15, 0
	s_xor_b64 exec, exec, s[12:13]
; %bb.1620:
	v_cmp_ne_u16_e32 vcc, 0, v1
	s_andn2_b64 s[10:11], s[10:11], exec
	s_and_b64 s[14:15], vcc, exec
	v_mov_b32_e32 v14, v15
	s_or_b64 s[10:11], s[10:11], s[14:15]
; %bb.1621:
	s_or_b64 exec, exec, s[12:13]
	s_and_saveexec_b64 s[12:13], s[10:11]
	s_cbranch_execz .LBB233_1623
; %bb.1622:
	v_lshlrev_b32_e32 v3, 24, v1
	v_and_b32_e32 v1, 0xffff, v1
	v_and_b32_e32 v5, 7, v1
	v_ffbh_u32_e32 v10, v5
	v_min_u32_e32 v10, 32, v10
	v_subrev_u32_e32 v13, 28, v10
	v_bfe_u32 v7, v1, 3, 4
	v_lshlrev_b32_e32 v1, v13, v1
	v_sub_u32_e32 v10, 29, v10
	v_and_b32_e32 v1, 7, v1
	v_cmp_eq_u32_e32 vcc, 0, v7
	v_and_b32_e32 v3, 0x80000000, v3
	v_mov_b32_e32 v15, 0
	v_cndmask_b32_e32 v7, v7, v10, vcc
	v_cndmask_b32_e32 v1, v5, v1, vcc
	v_mov_b32_e32 v5, 0x3b800000
	v_lshlrev_b32_e32 v1, 20, v1
	v_lshl_add_u32 v5, v7, 23, v5
	v_or3_b32 v14, v3, v5, v1
.LBB233_1623:
	s_or_b64 exec, exec, s[12:13]
.LBB233_1624:
	s_mov_b64 s[10:11], -1
.LBB233_1625:
	s_mov_b64 s[12:13], 0
.LBB233_1626:
	s_and_b64 vcc, exec, s[12:13]
	s_cbranch_vccz .LBB233_1657
; %bb.1627:
	s_cmp_gt_i32 s16, 22
	s_cbranch_scc0 .LBB233_1639
; %bb.1628:
	s_cmp_lt_i32 s16, 24
	s_cbranch_scc1 .LBB233_1640
; %bb.1629:
	s_cmp_gt_i32 s16, 24
	s_cbranch_scc0 .LBB233_1641
; %bb.1630:
	global_load_ubyte v1, v[18:19], off
	s_movk_i32 s2, 0x7f
	s_waitcnt vmcnt(0)
	v_cmp_lt_i16_e32 vcc, s2, v1
	s_mov_b64 s[2:3], 0
	s_and_saveexec_b64 s[10:11], vcc
	s_xor_b64 s[10:11], exec, s[10:11]
	s_cbranch_execz .LBB233_1634
; %bb.1631:
	s_movk_i32 s2, 0x80
	v_cmp_eq_u16_e32 vcc, s2, v1
	s_mov_b64 s[2:3], -1
	s_and_saveexec_b64 s[12:13], vcc
; %bb.1632:
	s_xor_b64 s[2:3], exec, -1
; %bb.1633:
	s_or_b64 exec, exec, s[12:13]
	s_and_b64 s[2:3], s[2:3], exec
.LBB233_1634:
	s_or_saveexec_b64 s[10:11], s[10:11]
	v_mov_b32_e32 v14, 0x7f800001
	v_mov_b32_e32 v15, 0
	s_xor_b64 exec, exec, s[10:11]
; %bb.1635:
	v_cmp_ne_u16_e32 vcc, 0, v1
	s_andn2_b64 s[2:3], s[2:3], exec
	s_and_b64 s[12:13], vcc, exec
	v_mov_b32_e32 v14, v15
	s_or_b64 s[2:3], s[2:3], s[12:13]
; %bb.1636:
	s_or_b64 exec, exec, s[10:11]
	s_and_saveexec_b64 s[10:11], s[2:3]
	s_cbranch_execz .LBB233_1638
; %bb.1637:
	v_lshlrev_b32_e32 v3, 24, v1
	v_and_b32_e32 v1, 0xffff, v1
	v_and_b32_e32 v5, 3, v1
	v_ffbh_u32_e32 v10, v5
	v_min_u32_e32 v10, 32, v10
	v_subrev_u32_e32 v13, 29, v10
	v_bfe_u32 v7, v1, 2, 5
	v_lshlrev_b32_e32 v1, v13, v1
	v_sub_u32_e32 v10, 30, v10
	v_and_b32_e32 v1, 3, v1
	v_cmp_eq_u32_e32 vcc, 0, v7
	v_and_b32_e32 v3, 0x80000000, v3
	v_mov_b32_e32 v15, 0
	v_cndmask_b32_e32 v7, v7, v10, vcc
	v_cndmask_b32_e32 v1, v5, v1, vcc
	v_mov_b32_e32 v5, 0x37800000
	v_lshlrev_b32_e32 v1, 21, v1
	v_lshl_add_u32 v5, v7, 23, v5
	v_or3_b32 v14, v3, v5, v1
.LBB233_1638:
	s_or_b64 exec, exec, s[10:11]
	s_mov_b64 s[2:3], 0
	s_branch .LBB233_1642
.LBB233_1639:
	s_mov_b64 s[2:3], -1
                                        ; implicit-def: $vgpr14_vgpr15
	s_branch .LBB233_1648
.LBB233_1640:
	s_mov_b64 s[2:3], -1
                                        ; implicit-def: $vgpr14_vgpr15
	s_branch .LBB233_1645
.LBB233_1641:
	s_mov_b64 s[2:3], -1
                                        ; implicit-def: $vgpr14_vgpr15
.LBB233_1642:
	s_and_b64 vcc, exec, s[2:3]
	s_cbranch_vccz .LBB233_1644
; %bb.1643:
	global_load_ubyte v1, v[18:19], off
	s_mov_b32 s2, 0x7f800000
	s_brev_b32 s3, 1
	v_mov_b32_e32 v15, 0
	s_waitcnt vmcnt(0)
	v_lshlrev_b32_e32 v1, 24, v1
	v_and_b32_e32 v3, 0x7f000000, v1
	v_ffbh_u32_e32 v5, v3
	v_min_u32_e32 v5, 32, v5
	v_sub_u32_e64 v5, v5, 4 clamp
	v_lshlrev_b32_e32 v10, v5, v3
	v_lshlrev_b32_e32 v5, 23, v5
	v_lshrrev_b32_e32 v10, 4, v10
	v_add_u32_e32 v7, 0x1000000, v3
	v_sub_u32_e32 v5, v10, v5
	v_ashrrev_i32_e32 v7, 8, v7
	v_add_u32_e32 v5, 0x3c000000, v5
	v_and_or_b32 v5, v7, s2, v5
	v_cmp_ne_u32_e32 vcc, 0, v3
	s_nop 1
	v_cndmask_b32_e32 v3, 0, v5, vcc
	v_and_or_b32 v14, v1, s3, v3
.LBB233_1644:
	s_mov_b64 s[2:3], 0
.LBB233_1645:
	s_andn2_b64 vcc, exec, s[2:3]
	s_cbranch_vccnz .LBB233_1647
; %bb.1646:
	global_load_ubyte v1, v[18:19], off
	s_movk_i32 s2, 0x7f00
	s_brev_b32 s3, 16
	s_brev_b32 s10, 1
	v_mov_b32_e32 v15, 0
	s_waitcnt vmcnt(0)
	v_lshlrev_b16_e32 v3, 8, v1
	v_lshlrev_b32_e32 v1, 25, v1
	v_lshrrev_b32_e32 v5, 4, v1
	v_and_or_b32 v7, v3, s2, 0.5
	v_or_b32_e32 v5, 0x70000000, v5
	v_add_f32_e32 v7, -0.5, v7
	v_mul_f32_e32 v5, 0x7800000, v5
	v_cmp_gt_u32_e32 vcc, s3, v1
	v_bfe_i32 v3, v3, 0, 16
	s_nop 0
	v_cndmask_b32_e32 v1, v5, v7, vcc
	v_and_or_b32 v14, v3, s10, v1
.LBB233_1647:
	s_mov_b64 s[2:3], 0
	s_mov_b64 s[10:11], -1
.LBB233_1648:
	s_andn2_b64 vcc, exec, s[2:3]
	s_mov_b64 s[2:3], 0
	s_cbranch_vccnz .LBB233_1657
; %bb.1649:
	s_cmp_gt_i32 s16, 14
	s_cbranch_scc0 .LBB233_1652
; %bb.1650:
	s_cmp_eq_u32 s16, 15
	s_cbranch_scc0 .LBB233_1653
; %bb.1651:
	global_load_ushort v1, v[18:19], off
	v_mov_b32_e32 v15, 0
	s_mov_b64 s[0:1], 0
	s_mov_b64 s[10:11], -1
	s_waitcnt vmcnt(0)
	v_lshlrev_b32_e32 v14, 16, v1
	s_branch .LBB233_1654
.LBB233_1652:
	s_mov_b64 s[12:13], -1
                                        ; implicit-def: $vgpr14_vgpr15
	s_branch .LBB233_1655
.LBB233_1653:
	s_mov_b64 s[0:1], -1
                                        ; implicit-def: $vgpr14_vgpr15
.LBB233_1654:
	s_mov_b64 s[12:13], 0
.LBB233_1655:
	s_and_b64 vcc, exec, s[12:13]
	s_cbranch_vccz .LBB233_1657
; %bb.1656:
	s_cmp_lg_u32 s16, 11
	s_mov_b64 s[2:3], -1
	s_cselect_b64 s[0:1], -1, 0
.LBB233_1657:
	s_and_b64 vcc, exec, s[0:1]
	s_cbranch_vccnz .LBB233_1750
; %bb.1658:
	s_andn2_b64 vcc, exec, s[2:3]
	s_cbranch_vccnz .LBB233_1660
.LBB233_1659:
	global_load_ubyte v1, v[18:19], off
	v_mov_b32_e32 v15, 0
	s_mov_b64 s[10:11], -1
	s_waitcnt vmcnt(0)
	v_cmp_ne_u16_e32 vcc, 0, v1
	s_nop 1
	v_cndmask_b32_e64 v14, 0, 1.0, vcc
.LBB233_1660:
	s_branch .LBB233_1588
.LBB233_1661:
	s_and_b32 s2, 0xffff, s23
	s_cmp_lt_i32 s2, 5
	s_cbranch_scc1 .LBB233_1666
; %bb.1662:
	s_cmp_lt_i32 s2, 8
	s_cbranch_scc1 .LBB233_1667
; %bb.1663:
	;; [unrolled: 3-line block ×3, first 2 shown]
	s_cmp_gt_i32 s2, 9
	s_cbranch_scc0 .LBB233_1669
; %bb.1665:
	global_load_dwordx4 v[20:23], v[18:19], off
	s_mov_b64 s[0:1], 0
	s_waitcnt vmcnt(0)
	v_cvt_f32_f64_e32 v15, v[22:23]
	v_cvt_f32_f64_e32 v14, v[20:21]
	s_branch .LBB233_1670
.LBB233_1666:
	s_mov_b64 s[0:1], -1
                                        ; implicit-def: $vgpr14_vgpr15
	s_branch .LBB233_1688
.LBB233_1667:
	s_mov_b64 s[0:1], -1
                                        ; implicit-def: $vgpr14_vgpr15
	s_branch .LBB233_1676
.LBB233_1668:
	s_mov_b64 s[0:1], -1
                                        ; implicit-def: $vgpr14_vgpr15
	s_branch .LBB233_1673
.LBB233_1669:
	s_mov_b64 s[0:1], -1
                                        ; implicit-def: $vgpr14_vgpr15
.LBB233_1670:
	s_andn2_b64 vcc, exec, s[0:1]
	s_cbranch_vccnz .LBB233_1672
; %bb.1671:
	global_load_dwordx2 v[14:15], v[18:19], off
.LBB233_1672:
	s_mov_b64 s[0:1], 0
.LBB233_1673:
	s_andn2_b64 vcc, exec, s[0:1]
	s_cbranch_vccnz .LBB233_1675
; %bb.1674:
	global_load_dword v1, v[18:19], off
	s_waitcnt vmcnt(0)
	v_cvt_f32_f16_sdwa v15, v1 dst_sel:DWORD dst_unused:UNUSED_PAD src0_sel:WORD_1
	v_cvt_f32_f16_e32 v14, v1
.LBB233_1675:
	s_mov_b64 s[0:1], 0
.LBB233_1676:
	s_andn2_b64 vcc, exec, s[0:1]
	s_cbranch_vccnz .LBB233_1687
; %bb.1677:
	s_cmp_lt_i32 s2, 6
	s_cbranch_scc1 .LBB233_1680
; %bb.1678:
	s_cmp_gt_i32 s2, 6
	s_cbranch_scc0 .LBB233_1681
; %bb.1679:
	global_load_dwordx2 v[20:21], v[18:19], off
	s_waitcnt vmcnt(1)
	v_mov_b32_e32 v15, 0
	s_mov_b64 s[0:1], 0
	s_waitcnt vmcnt(0)
	v_cvt_f32_f64_e32 v14, v[20:21]
	s_branch .LBB233_1682
.LBB233_1680:
	s_mov_b64 s[0:1], -1
                                        ; implicit-def: $vgpr14_vgpr15
	s_branch .LBB233_1685
.LBB233_1681:
	s_mov_b64 s[0:1], -1
                                        ; implicit-def: $vgpr14_vgpr15
.LBB233_1682:
	s_andn2_b64 vcc, exec, s[0:1]
	s_cbranch_vccnz .LBB233_1684
; %bb.1683:
	global_load_dword v14, v[18:19], off
	s_waitcnt vmcnt(1)
	v_mov_b32_e32 v15, 0
.LBB233_1684:
	s_mov_b64 s[0:1], 0
.LBB233_1685:
	s_andn2_b64 vcc, exec, s[0:1]
	s_cbranch_vccnz .LBB233_1687
; %bb.1686:
	global_load_ushort v1, v[18:19], off
	s_waitcnt vmcnt(1)
	v_mov_b32_e32 v15, 0
	s_waitcnt vmcnt(0)
	v_cvt_f32_f16_e32 v14, v1
.LBB233_1687:
	s_mov_b64 s[0:1], 0
.LBB233_1688:
	s_andn2_b64 vcc, exec, s[0:1]
	s_cbranch_vccnz .LBB233_1708
; %bb.1689:
	s_cmp_lt_i32 s2, 2
	s_cbranch_scc1 .LBB233_1693
; %bb.1690:
	s_cmp_lt_i32 s2, 3
	s_cbranch_scc1 .LBB233_1694
; %bb.1691:
	s_cmp_gt_i32 s2, 3
	s_cbranch_scc0 .LBB233_1695
; %bb.1692:
	global_load_dwordx2 v[14:15], v[18:19], off
	s_mov_b64 s[0:1], 0
	s_waitcnt vmcnt(0)
	v_xor_b32_e32 v3, v14, v15
	v_ffbh_i32_e32 v1, v15
	v_ashrrev_i32_e32 v3, 31, v3
	v_add_u32_e32 v1, -1, v1
	v_add_u32_e32 v3, 32, v3
	v_min_u32_e32 v1, v1, v3
	v_lshlrev_b64 v[14:15], v1, v[14:15]
	v_min_u32_e32 v3, 1, v14
	v_or_b32_e32 v3, v15, v3
	v_cvt_f32_i32_e32 v3, v3
	v_sub_u32_e32 v1, 32, v1
	v_mov_b32_e32 v15, 0
	v_ldexp_f32 v14, v3, v1
	s_branch .LBB233_1696
.LBB233_1693:
	s_mov_b64 s[0:1], -1
                                        ; implicit-def: $vgpr14_vgpr15
	s_branch .LBB233_1702
.LBB233_1694:
	s_mov_b64 s[0:1], -1
                                        ; implicit-def: $vgpr14_vgpr15
	s_branch .LBB233_1699
.LBB233_1695:
	s_mov_b64 s[0:1], -1
                                        ; implicit-def: $vgpr14_vgpr15
.LBB233_1696:
	s_andn2_b64 vcc, exec, s[0:1]
	s_cbranch_vccnz .LBB233_1698
; %bb.1697:
	global_load_dword v1, v[18:19], off
	s_waitcnt vmcnt(1)
	v_mov_b32_e32 v15, 0
	s_waitcnt vmcnt(0)
	v_cvt_f32_i32_e32 v14, v1
.LBB233_1698:
	s_mov_b64 s[0:1], 0
.LBB233_1699:
	s_andn2_b64 vcc, exec, s[0:1]
	s_cbranch_vccnz .LBB233_1701
; %bb.1700:
	global_load_sshort v1, v[18:19], off
	s_waitcnt vmcnt(1)
	v_mov_b32_e32 v15, 0
	s_waitcnt vmcnt(0)
	v_cvt_f32_i32_e32 v14, v1
.LBB233_1701:
	s_mov_b64 s[0:1], 0
.LBB233_1702:
	s_andn2_b64 vcc, exec, s[0:1]
	s_cbranch_vccnz .LBB233_1708
; %bb.1703:
	s_cmp_gt_i32 s2, 0
	s_cbranch_scc0 .LBB233_1705
; %bb.1704:
	global_load_sbyte v1, v[18:19], off
	s_waitcnt vmcnt(1)
	v_mov_b32_e32 v15, 0
	s_mov_b64 s[0:1], 0
	s_waitcnt vmcnt(0)
	v_cvt_f32_i32_e32 v14, v1
	s_branch .LBB233_1706
.LBB233_1705:
	s_mov_b64 s[0:1], -1
                                        ; implicit-def: $vgpr14_vgpr15
.LBB233_1706:
	s_andn2_b64 vcc, exec, s[0:1]
	s_cbranch_vccnz .LBB233_1708
; %bb.1707:
	global_load_ubyte v1, v[18:19], off
	s_waitcnt vmcnt(1)
	v_mov_b32_e32 v15, 0
	s_waitcnt vmcnt(0)
	v_cvt_f32_ubyte0_e32 v14, v1
.LBB233_1708:
.LBB233_1709:
	s_waitcnt vmcnt(0)
	v_cmp_neq_f32_e32 vcc, 0, v14
	v_cmp_neq_f32_e64 s[0:1], 0, v15
	v_mov_b32_e32 v10, 0
	s_or_b64 s[0:1], vcc, s[0:1]
	s_and_saveexec_b64 s[10:11], s[0:1]
	s_cbranch_execz .LBB233_1739
; %bb.1710:
	v_mov_b32_e32 v10, 0x7f800000
	v_cmp_neq_f32_e64 s[0:1], |v15|, v10
	s_and_saveexec_b64 s[12:13], s[0:1]
	s_cbranch_execz .LBB233_1738
; %bb.1711:
	v_cmp_o_f32_e32 vcc, v14, v14
                                        ; implicit-def: $vgpr10
	s_and_saveexec_b64 s[0:1], vcc
	s_xor_b64 s[14:15], exec, s[0:1]
	s_cbranch_execz .LBB233_1735
; %bb.1712:
	s_mov_b32 s0, 0x7f800000
	v_cmp_neq_f32_e64 s[0:1], |v14|, s0
                                        ; implicit-def: $vgpr10
	s_and_saveexec_b64 s[2:3], s[0:1]
	s_xor_b64 s[16:17], exec, s[2:3]
	s_cbranch_execz .LBB233_1728
; %bb.1713:
	v_max_f32_e64 v1, |v15|, |v15|
	v_max_f32_e64 v3, |v14|, |v14|
	v_max_f32_e32 v1, v3, v1
	s_mov_b32 s0, 0x7ed413cb
	v_cmp_nle_f32_e64 s[0:1], s0, v1
                                        ; implicit-def: $sgpr18_sgpr19
	s_and_saveexec_b64 s[2:3], s[0:1]
	s_xor_b64 s[2:3], exec, s[2:3]
	s_cbranch_execz .LBB233_1717
; %bb.1714:
	s_mov_b32 s20, 0x1000000
	v_cmp_le_f32_e64 s[18:19], |v14|, s20
	v_cmp_le_f32_e64 s[20:21], |v15|, s20
	s_and_b64 s[28:29], s[18:19], s[20:21]
	s_mov_b64 s[18:19], 0
	s_and_saveexec_b64 s[20:21], s[28:29]
; %bb.1715:
	s_mov_b64 s[18:19], exec
	v_pk_mul_f32 v[14:15], v[14:15], 4.0 op_sel_hi:[1,0]
; %bb.1716:
	s_or_b64 exec, exec, s[20:21]
.LBB233_1717:
	s_andn2_saveexec_b64 s[2:3], s[2:3]
; %bb.1718:
	s_mov_b32 s20, 0x3e800000
	v_pk_mul_f32 v[14:15], v[14:15], s[20:21] op_sel_hi:[1,0]
	s_andn2_b64 s[18:19], s[18:19], exec
; %bb.1719:
	s_or_b64 exec, exec, s[2:3]
	v_max_f32_e64 v1, |v15|, |v15|
	v_max_f32_e64 v3, |v14|, |v14|
	v_max_f32_e32 v1, v3, v1
	v_cvt_f64_f32_e32 v[18:19], v1
	v_frexp_exp_i32_f64_e32 v3, v[18:19]
	v_sub_u32_e32 v5, 0, v3
	v_ldexp_f32 v7, |v14|, v5
	v_ldexp_f32 v5, |v15|, v5
	v_mul_f32_e32 v5, v5, v5
	v_fmac_f32_e32 v5, v7, v7
	v_sqrt_f32_e32 v5, v5
	s_mov_b32 s2, 0x7f800000
	v_cmp_neq_f32_e64 s[2:3], s2, v1
	v_cmp_le_f32_e32 vcc, 0, v14
	v_ldexp_f32 v3, v5, v3
	v_mov_b32_e32 v5, 0x7f800000
	v_cndmask_b32_e64 v5, v5, v3, s[2:3]
                                        ; implicit-def: $vgpr3
                                        ; implicit-def: $vgpr1
	s_and_saveexec_b64 s[2:3], vcc
	s_xor_b64 s[20:21], exec, s[2:3]
	s_cbranch_execz .LBB233_1721
; %bb.1720:
	v_add_f32_e32 v1, v14, v5
	v_mul_f32_e32 v1, 0.5, v1
	s_mov_b32 s2, 0xf800000
	v_mul_f32_e32 v3, 0x4f800000, v1
	v_cmp_gt_f32_e32 vcc, s2, v1
	s_nop 1
	v_cndmask_b32_e32 v1, v1, v3, vcc
	v_sqrt_f32_e32 v3, v1
	s_nop 0
	v_add_u32_e32 v5, -1, v3
	v_fma_f32 v7, -v5, v3, v1
	v_cmp_ge_f32_e64 s[2:3], 0, v7
	v_add_u32_e32 v7, 1, v3
	s_nop 0
	v_cndmask_b32_e64 v5, v3, v5, s[2:3]
	v_fma_f32 v3, -v7, v3, v1
	v_cmp_lt_f32_e64 s[2:3], 0, v3
	s_nop 1
	v_cndmask_b32_e64 v3, v5, v7, s[2:3]
	v_mul_f32_e32 v5, 0x37800000, v3
	v_cndmask_b32_e32 v3, v3, v5, vcc
	v_mov_b32_e32 v5, 0x260
	v_cmp_class_f32_e32 vcc, v1, v5
	s_nop 1
	v_cndmask_b32_e32 v1, v3, v1, vcc
	v_add_f32_e32 v3, v1, v1
	v_div_scale_f32 v5, s[2:3], v3, v3, v15
	v_rcp_f32_e32 v7, v5
	s_nop 0
	v_fma_f32 v10, -v5, v7, 1.0
	v_fmac_f32_e32 v7, v10, v7
	v_div_scale_f32 v10, vcc, v15, v3, v15
	v_mul_f32_e32 v13, v10, v7
	v_fma_f32 v14, -v5, v13, v10
	v_fmac_f32_e32 v13, v14, v7
	v_fma_f32 v5, -v5, v13, v10
	v_div_fmas_f32 v5, v5, v7, v13
	v_div_fixup_f32 v3, v5, v3, v15
                                        ; implicit-def: $vgpr5
                                        ; implicit-def: $vgpr14_vgpr15
	s_andn2_saveexec_b64 s[20:21], s[20:21]
	s_cbranch_execz .LBB233_1723
	s_branch .LBB233_1722
.LBB233_1721:
	s_andn2_saveexec_b64 s[20:21], s[20:21]
	s_cbranch_execz .LBB233_1723
.LBB233_1722:
	v_sub_f32_e32 v1, v5, v14
	v_mul_f32_e32 v1, 0.5, v1
	s_mov_b32 s2, 0xf800000
	v_mul_f32_e32 v3, 0x4f800000, v1
	v_cmp_gt_f32_e32 vcc, s2, v1
	s_nop 1
	v_cndmask_b32_e32 v1, v1, v3, vcc
	v_sqrt_f32_e32 v3, v1
	s_nop 0
	v_add_u32_e32 v5, -1, v3
	v_fma_f32 v7, -v5, v3, v1
	v_cmp_ge_f32_e64 s[2:3], 0, v7
	v_add_u32_e32 v7, 1, v3
	s_nop 0
	v_cndmask_b32_e64 v5, v3, v5, s[2:3]
	v_fma_f32 v3, -v7, v3, v1
	v_cmp_lt_f32_e64 s[2:3], 0, v3
	s_nop 1
	v_cndmask_b32_e64 v3, v5, v7, s[2:3]
	v_mul_f32_e32 v5, 0x37800000, v3
	v_cndmask_b32_e32 v3, v3, v5, vcc
	v_mov_b32_e32 v5, 0x260
	v_cmp_class_f32_e32 vcc, v1, v5
	v_and_b32_e32 v5, 0x7fffffff, v15
	s_nop 0
	v_cndmask_b32_e32 v3, v3, v1, vcc
	v_add_f32_e32 v1, v3, v3
	v_div_scale_f32 v7, s[2:3], v1, v1, v5
	v_rcp_f32_e32 v10, v7
	v_div_scale_f32 v5, vcc, v5, v1, v5
	s_brev_b32 s2, -2
	v_fma_f32 v13, -v7, v10, 1.0
	v_fmac_f32_e32 v10, v13, v10
	v_mul_f32_e32 v13, v5, v10
	v_fma_f32 v14, -v7, v13, v5
	v_fmac_f32_e32 v13, v14, v10
	v_fma_f32 v5, -v7, v13, v5
	v_div_fmas_f32 v5, v5, v10, v13
	v_div_fixup_f32 v1, v5, v1, |v15|
	v_bfi_b32 v3, s2, v3, v15
.LBB233_1723:
	s_or_b64 exec, exec, s[20:21]
                                        ; implicit-def: $vgpr15
                                        ; implicit-def: $vgpr10
	s_and_saveexec_b64 s[2:3], s[0:1]
	s_xor_b64 s[0:1], exec, s[2:3]
	s_cbranch_execz .LBB233_1725
; %bb.1724:
	v_mul_f32_e32 v5, 0.5, v1
	v_mul_f32_e32 v7, 0.5, v3
	v_cndmask_b32_e64 v10, v1, v5, s[18:19]
	v_cndmask_b32_e64 v15, v3, v7, s[18:19]
                                        ; implicit-def: $vgpr1
                                        ; implicit-def: $vgpr3
	s_andn2_saveexec_b64 s[0:1], s[0:1]
	s_cbranch_execnz .LBB233_1726
	s_branch .LBB233_1727
.LBB233_1725:
	s_andn2_saveexec_b64 s[0:1], s[0:1]
.LBB233_1726:
	v_add_f32_e32 v10, v1, v1
	v_add_f32_e32 v15, v3, v3
.LBB233_1727:
	s_or_b64 exec, exec, s[0:1]
.LBB233_1728:
	s_andn2_saveexec_b64 s[0:1], s[16:17]
	s_cbranch_execz .LBB233_1734
; %bb.1729:
	v_sub_f32_e32 v1, v15, v15
	v_cmp_lt_i32_e32 vcc, -1, v14
	s_brev_b32 s16, -2
	v_and_b32_e32 v10, 0x7fffffff, v1
	s_and_saveexec_b64 s[2:3], vcc
	s_xor_b64 s[2:3], exec, s[2:3]
; %bb.1730:
	v_bfi_b32 v15, s16, v1, v15
	v_mov_b32_e32 v10, v14
; %bb.1731:
	s_andn2_saveexec_b64 s[2:3], s[2:3]
; %bb.1732:
	v_bfi_b32 v15, s16, v14, v15
; %bb.1733:
	s_or_b64 exec, exec, s[2:3]
.LBB233_1734:
	s_or_b64 exec, exec, s[0:1]
.LBB233_1735:
	s_andn2_saveexec_b64 s[0:1], s[14:15]
	s_cbranch_execz .LBB233_1737
; %bb.1736:
	v_sub_f32_e32 v1, v15, v15
	v_div_scale_f32 v3, vcc, v1, v1, v1
	v_rcp_f32_e32 v5, v3
	s_nop 0
	v_fma_f32 v7, -v3, v5, 1.0
	v_fmac_f32_e32 v5, v7, v5
	v_mul_f32_e32 v7, v3, v5
	v_fma_f32 v10, -v3, v7, v3
	v_fmac_f32_e32 v7, v10, v5
	v_fma_f32 v3, -v3, v7, v3
	v_div_fmas_f32 v3, v3, v5, v7
	v_div_fixup_f32 v15, v3, v1, v1
	v_mov_b32_e32 v10, v14
.LBB233_1737:
	s_or_b64 exec, exec, s[0:1]
.LBB233_1738:
	s_or_b64 exec, exec, s[12:13]
.LBB233_1739:
	s_or_b64 exec, exec, s[10:11]
	v_mov_b32_e32 v17, 0
	s_cmp_lt_i32 s23, 11
	v_lshl_add_u64 v[18:19], s[6:7], 0, v[16:17]
	s_cbranch_scc1 .LBB233_1746
; %bb.1740:
	s_and_b32 s14, 0xffff, s23
	s_cmp_gt_i32 s14, 25
	s_mov_b64 s[2:3], 0
	s_cbranch_scc0 .LBB233_1747
; %bb.1741:
	s_cmp_gt_i32 s14, 28
	s_cbranch_scc0 .LBB233_1748
; %bb.1742:
	s_cmp_gt_i32 s14, 43
	s_cbranch_scc0 .LBB233_1749
; %bb.1743:
	s_cmp_gt_i32 s14, 45
	s_cbranch_scc0 .LBB233_1751
; %bb.1744:
	s_cmp_eq_u32 s14, 46
	s_mov_b64 s[10:11], 0
	s_cbranch_scc0 .LBB233_1752
; %bb.1745:
	global_load_dword v1, v[18:19], off
	s_mov_b64 s[0:1], 0
	s_mov_b64 s[6:7], -1
	s_waitcnt vmcnt(0)
	v_and_b32_e32 v17, 0xffff0000, v1
	v_lshlrev_b32_e32 v16, 16, v1
	s_branch .LBB233_1753
.LBB233_1746:
	s_mov_b64 s[0:1], -1
	s_mov_b64 s[6:7], 0
                                        ; implicit-def: $vgpr16_vgpr17
	s_branch .LBB233_1819
.LBB233_1747:
	s_mov_b64 s[10:11], -1
	s_mov_b64 s[6:7], 0
	s_mov_b64 s[0:1], 0
                                        ; implicit-def: $vgpr16_vgpr17
	s_branch .LBB233_1784
.LBB233_1748:
	s_mov_b64 s[10:11], -1
	s_mov_b64 s[6:7], 0
	s_mov_b64 s[0:1], 0
                                        ; implicit-def: $vgpr16_vgpr17
	s_branch .LBB233_1763
.LBB233_1749:
	s_mov_b64 s[10:11], -1
	s_mov_b64 s[6:7], 0
	s_mov_b64 s[0:1], 0
                                        ; implicit-def: $vgpr16_vgpr17
	s_branch .LBB233_1758
.LBB233_1750:
	s_trap 2
	s_or_b64 s[8:9], s[8:9], exec
	s_cbranch_execz .LBB233_1659
	s_branch .LBB233_1660
.LBB233_1751:
	s_mov_b64 s[10:11], -1
	s_mov_b64 s[6:7], 0
	s_mov_b64 s[0:1], 0
                                        ; implicit-def: $vgpr16_vgpr17
	s_branch .LBB233_1753
.LBB233_1752:
	s_mov_b64 s[0:1], -1
                                        ; implicit-def: $vgpr16_vgpr17
	s_mov_b64 s[6:7], 0
.LBB233_1753:
	s_and_b64 vcc, exec, s[10:11]
	s_cbranch_vccz .LBB233_1757
; %bb.1754:
	s_cmp_eq_u32 s14, 44
	s_cbranch_scc0 .LBB233_1756
; %bb.1755:
	global_load_ubyte v1, v[18:19], off
	s_movk_i32 s6, 0xff
	v_mov_b32_e32 v3, 0x7f800001
	v_mov_b32_e32 v5, 0x400000
	;; [unrolled: 1-line block ×3, first 2 shown]
	s_mov_b64 s[0:1], 0
	s_waitcnt vmcnt(0)
	v_lshlrev_b32_e32 v7, 23, v1
	v_cmp_ne_u32_e32 vcc, s6, v1
	s_mov_b64 s[6:7], -1
	s_nop 0
	v_cndmask_b32_e32 v3, v3, v7, vcc
	v_cmp_ne_u32_e32 vcc, 0, v1
	s_nop 1
	v_cndmask_b32_e32 v16, v5, v3, vcc
	s_branch .LBB233_1757
.LBB233_1756:
	s_mov_b64 s[0:1], -1
                                        ; implicit-def: $vgpr16_vgpr17
.LBB233_1757:
	s_mov_b64 s[10:11], 0
.LBB233_1758:
	s_and_b64 vcc, exec, s[10:11]
	s_cbranch_vccz .LBB233_1762
; %bb.1759:
	s_cmp_eq_u32 s14, 29
	s_cbranch_scc0 .LBB233_1761
; %bb.1760:
	global_load_dwordx2 v[16:17], v[18:19], off
	s_mov_b64 s[0:1], 0
	s_mov_b64 s[6:7], -1
	s_mov_b64 s[10:11], 0
	s_waitcnt vmcnt(0)
	v_ffbh_u32_e32 v1, v17
	v_min_u32_e32 v1, 32, v1
	v_lshlrev_b64 v[16:17], v1, v[16:17]
	v_min_u32_e32 v3, 1, v16
	v_or_b32_e32 v3, v17, v3
	v_cvt_f32_u32_e32 v3, v3
	v_sub_u32_e32 v1, 32, v1
	v_mov_b32_e32 v17, 0
	v_ldexp_f32 v16, v3, v1
	s_branch .LBB233_1763
.LBB233_1761:
	s_mov_b64 s[0:1], -1
                                        ; implicit-def: $vgpr16_vgpr17
.LBB233_1762:
	s_mov_b64 s[10:11], 0
.LBB233_1763:
	s_and_b64 vcc, exec, s[10:11]
	s_cbranch_vccz .LBB233_1783
; %bb.1764:
	s_cmp_lt_i32 s14, 27
	s_cbranch_scc1 .LBB233_1767
; %bb.1765:
	s_cmp_gt_i32 s14, 27
	s_cbranch_scc0 .LBB233_1768
; %bb.1766:
	global_load_dword v1, v[18:19], off
	v_mov_b32_e32 v17, 0
	s_mov_b64 s[6:7], 0
	s_waitcnt vmcnt(0)
	v_cvt_f32_u32_e32 v16, v1
	s_branch .LBB233_1769
.LBB233_1767:
	s_mov_b64 s[6:7], -1
                                        ; implicit-def: $vgpr16_vgpr17
	s_branch .LBB233_1772
.LBB233_1768:
	s_mov_b64 s[6:7], -1
                                        ; implicit-def: $vgpr16_vgpr17
.LBB233_1769:
	s_andn2_b64 vcc, exec, s[6:7]
	s_cbranch_vccnz .LBB233_1771
; %bb.1770:
	global_load_ushort v1, v[18:19], off
	v_mov_b32_e32 v17, 0
	s_waitcnt vmcnt(0)
	v_cvt_f32_u32_e32 v16, v1
.LBB233_1771:
	s_mov_b64 s[6:7], 0
.LBB233_1772:
	s_andn2_b64 vcc, exec, s[6:7]
	s_cbranch_vccnz .LBB233_1782
; %bb.1773:
	global_load_ubyte v1, v[18:19], off
	s_movk_i32 s6, 0x7f
	s_waitcnt vmcnt(0)
	v_cmp_lt_i16_e32 vcc, s6, v1
	s_mov_b64 s[6:7], 0
	s_and_saveexec_b64 s[10:11], vcc
	s_xor_b64 s[10:11], exec, s[10:11]
	s_cbranch_execz .LBB233_1777
; %bb.1774:
	s_movk_i32 s6, 0x80
	v_cmp_eq_u16_e32 vcc, s6, v1
	s_mov_b64 s[6:7], -1
	s_and_saveexec_b64 s[12:13], vcc
; %bb.1775:
	s_xor_b64 s[6:7], exec, -1
; %bb.1776:
	s_or_b64 exec, exec, s[12:13]
	s_and_b64 s[6:7], s[6:7], exec
.LBB233_1777:
	s_or_saveexec_b64 s[10:11], s[10:11]
	v_mov_b32_e32 v16, 0x7f800001
	v_mov_b32_e32 v17, 0
	s_xor_b64 exec, exec, s[10:11]
; %bb.1778:
	v_cmp_ne_u16_e32 vcc, 0, v1
	s_andn2_b64 s[6:7], s[6:7], exec
	s_and_b64 s[12:13], vcc, exec
	v_mov_b32_e32 v16, v17
	s_or_b64 s[6:7], s[6:7], s[12:13]
; %bb.1779:
	s_or_b64 exec, exec, s[10:11]
	s_and_saveexec_b64 s[10:11], s[6:7]
	s_cbranch_execz .LBB233_1781
; %bb.1780:
	v_lshlrev_b32_e32 v3, 24, v1
	v_and_b32_e32 v1, 0xffff, v1
	v_and_b32_e32 v5, 7, v1
	v_ffbh_u32_e32 v13, v5
	v_min_u32_e32 v13, 32, v13
	v_subrev_u32_e32 v14, 28, v13
	v_bfe_u32 v7, v1, 3, 4
	v_lshlrev_b32_e32 v1, v14, v1
	v_sub_u32_e32 v13, 29, v13
	v_and_b32_e32 v1, 7, v1
	v_cmp_eq_u32_e32 vcc, 0, v7
	v_and_b32_e32 v3, 0x80000000, v3
	v_mov_b32_e32 v17, 0
	v_cndmask_b32_e32 v7, v7, v13, vcc
	v_cndmask_b32_e32 v1, v5, v1, vcc
	v_mov_b32_e32 v5, 0x3b800000
	v_lshlrev_b32_e32 v1, 20, v1
	v_lshl_add_u32 v5, v7, 23, v5
	v_or3_b32 v16, v3, v5, v1
.LBB233_1781:
	s_or_b64 exec, exec, s[10:11]
.LBB233_1782:
	s_mov_b64 s[6:7], -1
.LBB233_1783:
	s_mov_b64 s[10:11], 0
.LBB233_1784:
	s_and_b64 vcc, exec, s[10:11]
	s_cbranch_vccz .LBB233_1815
; %bb.1785:
	s_cmp_gt_i32 s14, 22
	s_cbranch_scc0 .LBB233_1797
; %bb.1786:
	s_cmp_lt_i32 s14, 24
	s_cbranch_scc1 .LBB233_1798
; %bb.1787:
	s_cmp_gt_i32 s14, 24
	s_cbranch_scc0 .LBB233_1799
; %bb.1788:
	global_load_ubyte v1, v[18:19], off
	s_movk_i32 s2, 0x7f
	s_waitcnt vmcnt(0)
	v_cmp_lt_i16_e32 vcc, s2, v1
	s_mov_b64 s[2:3], 0
	s_and_saveexec_b64 s[6:7], vcc
	s_xor_b64 s[6:7], exec, s[6:7]
	s_cbranch_execz .LBB233_1792
; %bb.1789:
	s_movk_i32 s2, 0x80
	v_cmp_eq_u16_e32 vcc, s2, v1
	s_mov_b64 s[2:3], -1
	s_and_saveexec_b64 s[10:11], vcc
; %bb.1790:
	s_xor_b64 s[2:3], exec, -1
; %bb.1791:
	s_or_b64 exec, exec, s[10:11]
	s_and_b64 s[2:3], s[2:3], exec
.LBB233_1792:
	s_or_saveexec_b64 s[6:7], s[6:7]
	v_mov_b32_e32 v16, 0x7f800001
	v_mov_b32_e32 v17, 0
	s_xor_b64 exec, exec, s[6:7]
; %bb.1793:
	v_cmp_ne_u16_e32 vcc, 0, v1
	s_andn2_b64 s[2:3], s[2:3], exec
	s_and_b64 s[10:11], vcc, exec
	v_mov_b32_e32 v16, v17
	s_or_b64 s[2:3], s[2:3], s[10:11]
; %bb.1794:
	s_or_b64 exec, exec, s[6:7]
	s_and_saveexec_b64 s[6:7], s[2:3]
	s_cbranch_execz .LBB233_1796
; %bb.1795:
	v_lshlrev_b32_e32 v3, 24, v1
	v_and_b32_e32 v1, 0xffff, v1
	v_and_b32_e32 v5, 3, v1
	v_ffbh_u32_e32 v13, v5
	v_min_u32_e32 v13, 32, v13
	v_subrev_u32_e32 v14, 29, v13
	v_bfe_u32 v7, v1, 2, 5
	v_lshlrev_b32_e32 v1, v14, v1
	v_sub_u32_e32 v13, 30, v13
	v_and_b32_e32 v1, 3, v1
	v_cmp_eq_u32_e32 vcc, 0, v7
	v_and_b32_e32 v3, 0x80000000, v3
	v_mov_b32_e32 v17, 0
	v_cndmask_b32_e32 v7, v7, v13, vcc
	v_cndmask_b32_e32 v1, v5, v1, vcc
	v_mov_b32_e32 v5, 0x37800000
	v_lshlrev_b32_e32 v1, 21, v1
	v_lshl_add_u32 v5, v7, 23, v5
	v_or3_b32 v16, v3, v5, v1
.LBB233_1796:
	s_or_b64 exec, exec, s[6:7]
	s_mov_b64 s[2:3], 0
	s_branch .LBB233_1800
.LBB233_1797:
	s_mov_b64 s[2:3], -1
                                        ; implicit-def: $vgpr16_vgpr17
	s_branch .LBB233_1806
.LBB233_1798:
	s_mov_b64 s[2:3], -1
                                        ; implicit-def: $vgpr16_vgpr17
	s_branch .LBB233_1803
.LBB233_1799:
	s_mov_b64 s[2:3], -1
                                        ; implicit-def: $vgpr16_vgpr17
.LBB233_1800:
	s_and_b64 vcc, exec, s[2:3]
	s_cbranch_vccz .LBB233_1802
; %bb.1801:
	global_load_ubyte v1, v[18:19], off
	s_mov_b32 s2, 0x7f800000
	s_brev_b32 s3, 1
	v_mov_b32_e32 v17, 0
	s_waitcnt vmcnt(0)
	v_lshlrev_b32_e32 v1, 24, v1
	v_and_b32_e32 v3, 0x7f000000, v1
	v_ffbh_u32_e32 v5, v3
	v_min_u32_e32 v5, 32, v5
	v_sub_u32_e64 v5, v5, 4 clamp
	v_lshlrev_b32_e32 v13, v5, v3
	v_lshlrev_b32_e32 v5, 23, v5
	v_lshrrev_b32_e32 v13, 4, v13
	v_add_u32_e32 v7, 0x1000000, v3
	v_sub_u32_e32 v5, v13, v5
	v_ashrrev_i32_e32 v7, 8, v7
	v_add_u32_e32 v5, 0x3c000000, v5
	v_and_or_b32 v5, v7, s2, v5
	v_cmp_ne_u32_e32 vcc, 0, v3
	s_nop 1
	v_cndmask_b32_e32 v3, 0, v5, vcc
	v_and_or_b32 v16, v1, s3, v3
.LBB233_1802:
	s_mov_b64 s[2:3], 0
.LBB233_1803:
	s_andn2_b64 vcc, exec, s[2:3]
	s_cbranch_vccnz .LBB233_1805
; %bb.1804:
	global_load_ubyte v1, v[18:19], off
	s_movk_i32 s2, 0x7f00
	s_brev_b32 s3, 16
	s_brev_b32 s6, 1
	v_mov_b32_e32 v17, 0
	s_waitcnt vmcnt(0)
	v_lshlrev_b16_e32 v3, 8, v1
	v_lshlrev_b32_e32 v1, 25, v1
	v_lshrrev_b32_e32 v5, 4, v1
	v_and_or_b32 v7, v3, s2, 0.5
	v_or_b32_e32 v5, 0x70000000, v5
	v_add_f32_e32 v7, -0.5, v7
	v_mul_f32_e32 v5, 0x7800000, v5
	v_cmp_gt_u32_e32 vcc, s3, v1
	v_bfe_i32 v3, v3, 0, 16
	s_nop 0
	v_cndmask_b32_e32 v1, v5, v7, vcc
	v_and_or_b32 v16, v3, s6, v1
.LBB233_1805:
	s_mov_b64 s[2:3], 0
	s_mov_b64 s[6:7], -1
.LBB233_1806:
	s_andn2_b64 vcc, exec, s[2:3]
	s_mov_b64 s[2:3], 0
	s_cbranch_vccnz .LBB233_1815
; %bb.1807:
	s_cmp_gt_i32 s14, 14
	s_cbranch_scc0 .LBB233_1810
; %bb.1808:
	s_cmp_eq_u32 s14, 15
	s_cbranch_scc0 .LBB233_1811
; %bb.1809:
	global_load_ushort v1, v[18:19], off
	v_mov_b32_e32 v17, 0
	s_mov_b64 s[0:1], 0
	s_mov_b64 s[6:7], -1
	s_waitcnt vmcnt(0)
	v_lshlrev_b32_e32 v16, 16, v1
	s_branch .LBB233_1812
.LBB233_1810:
	s_mov_b64 s[10:11], -1
                                        ; implicit-def: $vgpr16_vgpr17
	s_branch .LBB233_1813
.LBB233_1811:
	s_mov_b64 s[0:1], -1
                                        ; implicit-def: $vgpr16_vgpr17
.LBB233_1812:
	s_mov_b64 s[10:11], 0
.LBB233_1813:
	s_and_b64 vcc, exec, s[10:11]
	s_cbranch_vccz .LBB233_1815
; %bb.1814:
	s_cmp_lg_u32 s14, 11
	s_mov_b64 s[2:3], -1
	s_cselect_b64 s[0:1], -1, 0
.LBB233_1815:
	s_and_b64 vcc, exec, s[0:1]
	s_cbranch_vccnz .LBB233_2380
; %bb.1816:
	s_andn2_b64 vcc, exec, s[2:3]
	s_cbranch_vccnz .LBB233_1818
.LBB233_1817:
	global_load_ubyte v1, v[18:19], off
	v_mov_b32_e32 v17, 0
	s_mov_b64 s[6:7], -1
	s_waitcnt vmcnt(0)
	v_cmp_ne_u16_e32 vcc, 0, v1
	s_nop 1
	v_cndmask_b32_e64 v16, 0, 1.0, vcc
.LBB233_1818:
	s_mov_b64 s[0:1], 0
.LBB233_1819:
	s_and_b64 vcc, exec, s[0:1]
	s_cbranch_vccz .LBB233_1868
; %bb.1820:
	s_and_b32 s2, 0xffff, s23
	s_cmp_lt_i32 s2, 5
	s_cbranch_scc1 .LBB233_1825
; %bb.1821:
	s_cmp_lt_i32 s2, 8
	s_cbranch_scc1 .LBB233_1826
; %bb.1822:
	;; [unrolled: 3-line block ×3, first 2 shown]
	s_cmp_gt_i32 s2, 9
	s_cbranch_scc0 .LBB233_1828
; %bb.1824:
	global_load_dwordx4 v[20:23], v[18:19], off
	s_mov_b64 s[0:1], 0
	s_waitcnt vmcnt(0)
	v_cvt_f32_f64_e32 v17, v[22:23]
	v_cvt_f32_f64_e32 v16, v[20:21]
	s_branch .LBB233_1829
.LBB233_1825:
	s_mov_b64 s[0:1], -1
                                        ; implicit-def: $vgpr16_vgpr17
	s_branch .LBB233_1847
.LBB233_1826:
	s_mov_b64 s[0:1], -1
                                        ; implicit-def: $vgpr16_vgpr17
	s_branch .LBB233_1835
.LBB233_1827:
	s_mov_b64 s[0:1], -1
                                        ; implicit-def: $vgpr16_vgpr17
	s_branch .LBB233_1832
.LBB233_1828:
	s_mov_b64 s[0:1], -1
                                        ; implicit-def: $vgpr16_vgpr17
.LBB233_1829:
	s_andn2_b64 vcc, exec, s[0:1]
	s_cbranch_vccnz .LBB233_1831
; %bb.1830:
	global_load_dwordx2 v[16:17], v[18:19], off
.LBB233_1831:
	s_mov_b64 s[0:1], 0
.LBB233_1832:
	s_andn2_b64 vcc, exec, s[0:1]
	s_cbranch_vccnz .LBB233_1834
; %bb.1833:
	global_load_dword v1, v[18:19], off
	s_waitcnt vmcnt(0)
	v_cvt_f32_f16_sdwa v17, v1 dst_sel:DWORD dst_unused:UNUSED_PAD src0_sel:WORD_1
	v_cvt_f32_f16_e32 v16, v1
.LBB233_1834:
	s_mov_b64 s[0:1], 0
.LBB233_1835:
	s_andn2_b64 vcc, exec, s[0:1]
	s_cbranch_vccnz .LBB233_1846
; %bb.1836:
	s_cmp_lt_i32 s2, 6
	s_cbranch_scc1 .LBB233_1839
; %bb.1837:
	s_cmp_gt_i32 s2, 6
	s_cbranch_scc0 .LBB233_1840
; %bb.1838:
	global_load_dwordx2 v[20:21], v[18:19], off
	s_waitcnt vmcnt(1)
	v_mov_b32_e32 v17, 0
	s_mov_b64 s[0:1], 0
	s_waitcnt vmcnt(0)
	v_cvt_f32_f64_e32 v16, v[20:21]
	s_branch .LBB233_1841
.LBB233_1839:
	s_mov_b64 s[0:1], -1
                                        ; implicit-def: $vgpr16_vgpr17
	s_branch .LBB233_1844
.LBB233_1840:
	s_mov_b64 s[0:1], -1
                                        ; implicit-def: $vgpr16_vgpr17
.LBB233_1841:
	s_andn2_b64 vcc, exec, s[0:1]
	s_cbranch_vccnz .LBB233_1843
; %bb.1842:
	global_load_dword v16, v[18:19], off
	s_waitcnt vmcnt(1)
	v_mov_b32_e32 v17, 0
.LBB233_1843:
	s_mov_b64 s[0:1], 0
.LBB233_1844:
	s_andn2_b64 vcc, exec, s[0:1]
	s_cbranch_vccnz .LBB233_1846
; %bb.1845:
	global_load_ushort v1, v[18:19], off
	s_waitcnt vmcnt(1)
	v_mov_b32_e32 v17, 0
	s_waitcnt vmcnt(0)
	v_cvt_f32_f16_e32 v16, v1
.LBB233_1846:
	s_mov_b64 s[0:1], 0
.LBB233_1847:
	s_andn2_b64 vcc, exec, s[0:1]
	s_cbranch_vccnz .LBB233_1867
; %bb.1848:
	s_cmp_lt_i32 s2, 2
	s_cbranch_scc1 .LBB233_1852
; %bb.1849:
	s_cmp_lt_i32 s2, 3
	s_cbranch_scc1 .LBB233_1853
; %bb.1850:
	s_cmp_gt_i32 s2, 3
	s_cbranch_scc0 .LBB233_1854
; %bb.1851:
	global_load_dwordx2 v[16:17], v[18:19], off
	s_mov_b64 s[0:1], 0
	s_waitcnt vmcnt(0)
	v_xor_b32_e32 v3, v16, v17
	v_ffbh_i32_e32 v1, v17
	v_ashrrev_i32_e32 v3, 31, v3
	v_add_u32_e32 v1, -1, v1
	v_add_u32_e32 v3, 32, v3
	v_min_u32_e32 v1, v1, v3
	v_lshlrev_b64 v[16:17], v1, v[16:17]
	v_min_u32_e32 v3, 1, v16
	v_or_b32_e32 v3, v17, v3
	v_cvt_f32_i32_e32 v3, v3
	v_sub_u32_e32 v1, 32, v1
	v_mov_b32_e32 v17, 0
	v_ldexp_f32 v16, v3, v1
	s_branch .LBB233_1855
.LBB233_1852:
	s_mov_b64 s[0:1], -1
                                        ; implicit-def: $vgpr16_vgpr17
	s_branch .LBB233_1861
.LBB233_1853:
	s_mov_b64 s[0:1], -1
                                        ; implicit-def: $vgpr16_vgpr17
	s_branch .LBB233_1858
.LBB233_1854:
	s_mov_b64 s[0:1], -1
                                        ; implicit-def: $vgpr16_vgpr17
.LBB233_1855:
	s_andn2_b64 vcc, exec, s[0:1]
	s_cbranch_vccnz .LBB233_1857
; %bb.1856:
	global_load_dword v1, v[18:19], off
	s_waitcnt vmcnt(1)
	v_mov_b32_e32 v17, 0
	s_waitcnt vmcnt(0)
	v_cvt_f32_i32_e32 v16, v1
.LBB233_1857:
	s_mov_b64 s[0:1], 0
.LBB233_1858:
	s_andn2_b64 vcc, exec, s[0:1]
	s_cbranch_vccnz .LBB233_1860
; %bb.1859:
	global_load_sshort v1, v[18:19], off
	s_waitcnt vmcnt(1)
	v_mov_b32_e32 v17, 0
	s_waitcnt vmcnt(0)
	v_cvt_f32_i32_e32 v16, v1
.LBB233_1860:
	s_mov_b64 s[0:1], 0
.LBB233_1861:
	s_andn2_b64 vcc, exec, s[0:1]
	s_cbranch_vccnz .LBB233_1867
; %bb.1862:
	s_cmp_gt_i32 s2, 0
	s_cbranch_scc0 .LBB233_1864
; %bb.1863:
	global_load_sbyte v1, v[18:19], off
	s_waitcnt vmcnt(1)
	v_mov_b32_e32 v17, 0
	s_mov_b64 s[0:1], 0
	s_waitcnt vmcnt(0)
	v_cvt_f32_i32_e32 v16, v1
	s_branch .LBB233_1865
.LBB233_1864:
	s_mov_b64 s[0:1], -1
                                        ; implicit-def: $vgpr16_vgpr17
.LBB233_1865:
	s_andn2_b64 vcc, exec, s[0:1]
	s_cbranch_vccnz .LBB233_1867
; %bb.1866:
	global_load_ubyte v1, v[18:19], off
	s_waitcnt vmcnt(1)
	v_mov_b32_e32 v17, 0
	s_waitcnt vmcnt(0)
	v_cvt_f32_ubyte0_e32 v16, v1
.LBB233_1867:
	s_mov_b64 s[6:7], -1
.LBB233_1868:
	s_andn2_b64 vcc, exec, s[6:7]
	s_cbranch_vccnz .LBB233_1881
; %bb.1869:
	s_waitcnt vmcnt(0)
	v_cmp_neq_f32_e32 vcc, 0, v16
	v_cmp_neq_f32_e64 s[0:1], 0, v17
	v_mov_b32_e32 v14, 0
	s_or_b64 s[0:1], vcc, s[0:1]
	s_and_saveexec_b64 s[6:7], s[0:1]
	s_cbranch_execz .LBB233_1945
; %bb.1870:
	v_mov_b32_e32 v14, 0x7f800000
	v_cmp_neq_f32_e64 s[0:1], |v17|, v14
	s_and_saveexec_b64 s[10:11], s[0:1]
	s_cbranch_execz .LBB233_1944
; %bb.1871:
	v_cmp_o_f32_e32 vcc, v16, v16
                                        ; implicit-def: $vgpr14
	s_and_saveexec_b64 s[0:1], vcc
	s_xor_b64 s[12:13], exec, s[0:1]
	s_cbranch_execz .LBB233_1941
; %bb.1872:
	s_mov_b32 s0, 0x7f800000
	v_cmp_neq_f32_e64 s[0:1], |v16|, s0
                                        ; implicit-def: $vgpr14
	s_and_saveexec_b64 s[2:3], s[0:1]
	s_xor_b64 s[14:15], exec, s[2:3]
	s_cbranch_execz .LBB233_1934
; %bb.1873:
	v_max_f32_e64 v1, |v17|, |v17|
	v_max_f32_e64 v3, |v16|, |v16|
	v_max_f32_e32 v1, v3, v1
	s_mov_b32 s0, 0x7ed413cb
	v_cmp_nle_f32_e64 s[0:1], s0, v1
                                        ; implicit-def: $sgpr16_sgpr17
	s_and_saveexec_b64 s[2:3], s[0:1]
	s_xor_b64 s[2:3], exec, s[2:3]
	s_cbranch_execz .LBB233_1877
; %bb.1874:
	s_mov_b32 s18, 0x1000000
	v_cmp_le_f32_e64 s[16:17], |v16|, s18
	v_cmp_le_f32_e64 s[18:19], |v17|, s18
	s_and_b64 s[20:21], s[16:17], s[18:19]
	s_mov_b64 s[16:17], 0
	s_and_saveexec_b64 s[18:19], s[20:21]
; %bb.1875:
	s_mov_b64 s[16:17], exec
	v_pk_mul_f32 v[16:17], v[16:17], 4.0 op_sel_hi:[1,0]
; %bb.1876:
	s_or_b64 exec, exec, s[18:19]
.LBB233_1877:
	s_andn2_saveexec_b64 s[2:3], s[2:3]
; %bb.1878:
	s_mov_b32 s18, 0x3e800000
	v_pk_mul_f32 v[16:17], v[16:17], s[18:19] op_sel_hi:[1,0]
	s_andn2_b64 s[16:17], s[16:17], exec
; %bb.1879:
	s_or_b64 exec, exec, s[2:3]
	v_max_f32_e64 v1, |v17|, |v17|
	v_max_f32_e64 v3, |v16|, |v16|
	v_max_f32_e32 v1, v3, v1
	v_cvt_f64_f32_e32 v[18:19], v1
	v_frexp_exp_i32_f64_e32 v3, v[18:19]
	v_sub_u32_e32 v5, 0, v3
	v_ldexp_f32 v7, |v16|, v5
	v_ldexp_f32 v5, |v17|, v5
	v_mul_f32_e32 v5, v5, v5
	v_fmac_f32_e32 v5, v7, v7
	v_sqrt_f32_e32 v5, v5
	s_mov_b32 s2, 0x7f800000
	v_cmp_neq_f32_e64 s[2:3], s2, v1
	v_cmp_le_f32_e32 vcc, 0, v16
	v_ldexp_f32 v3, v5, v3
	v_mov_b32_e32 v5, 0x7f800000
	v_cndmask_b32_e64 v5, v5, v3, s[2:3]
                                        ; implicit-def: $vgpr3
                                        ; implicit-def: $vgpr1
	s_and_saveexec_b64 s[2:3], vcc
	s_xor_b64 s[18:19], exec, s[2:3]
	s_cbranch_execz .LBB233_1927
; %bb.1880:
	v_add_f32_e32 v1, v16, v5
	v_mul_f32_e32 v1, 0.5, v1
	s_mov_b32 s2, 0xf800000
	v_mul_f32_e32 v3, 0x4f800000, v1
	v_cmp_gt_f32_e32 vcc, s2, v1
	s_nop 1
	v_cndmask_b32_e32 v1, v1, v3, vcc
	v_sqrt_f32_e32 v3, v1
	s_nop 0
	v_add_u32_e32 v5, -1, v3
	v_fma_f32 v7, -v5, v3, v1
	v_cmp_ge_f32_e64 s[2:3], 0, v7
	v_add_u32_e32 v7, 1, v3
	s_nop 0
	v_cndmask_b32_e64 v5, v3, v5, s[2:3]
	v_fma_f32 v3, -v7, v3, v1
	v_cmp_lt_f32_e64 s[2:3], 0, v3
	s_nop 1
	v_cndmask_b32_e64 v3, v5, v7, s[2:3]
	v_mul_f32_e32 v5, 0x37800000, v3
	v_cndmask_b32_e32 v3, v3, v5, vcc
	v_mov_b32_e32 v5, 0x260
	v_cmp_class_f32_e32 vcc, v1, v5
	s_nop 1
	v_cndmask_b32_e32 v1, v3, v1, vcc
	v_add_f32_e32 v3, v1, v1
	v_div_scale_f32 v5, s[2:3], v3, v3, v17
	v_rcp_f32_e32 v7, v5
	s_nop 0
	v_fma_f32 v13, -v5, v7, 1.0
	v_fmac_f32_e32 v7, v13, v7
	v_div_scale_f32 v13, vcc, v17, v3, v17
	v_mul_f32_e32 v14, v13, v7
	v_fma_f32 v16, -v5, v14, v13
	v_fmac_f32_e32 v14, v16, v7
	v_fma_f32 v5, -v5, v14, v13
	v_div_fmas_f32 v5, v5, v7, v14
	v_div_fixup_f32 v3, v5, v3, v17
                                        ; implicit-def: $vgpr5
                                        ; implicit-def: $vgpr16_vgpr17
	s_andn2_saveexec_b64 s[18:19], s[18:19]
	s_cbranch_execz .LBB233_1929
	s_branch .LBB233_1928
.LBB233_1881:
	s_mov_b64 s[0:1], 0
                                        ; implicit-def: $vgpr0_vgpr1
                                        ; implicit-def: $sgpr14
                                        ; implicit-def: $vgpr17
                                        ; implicit-def: $vgpr14
.LBB233_1882:
	s_mov_b64 s[2:3], 0
.LBB233_1883:
	s_and_b64 s[4:5], s[0:1], exec
	s_and_b64 s[40:41], s[2:3], exec
	s_andn2_b64 s[0:1], s[24:25], exec
	s_and_b64 s[2:3], s[8:9], exec
	s_or_b64 s[24:25], s[0:1], s[2:3]
.LBB233_1884:
	s_or_b64 exec, exec, s[26:27]
	s_and_saveexec_b64 s[0:1], s[24:25]
	s_cbranch_execz .LBB233_1887
; %bb.1885:
	; divergent unreachable
	s_or_b64 exec, exec, s[0:1]
	s_and_saveexec_b64 s[0:1], s[40:41]
	s_xor_b64 s[2:3], exec, s[0:1]
	s_cbranch_execnz .LBB233_1888
.LBB233_1886:
	s_or_b64 exec, exec, s[2:3]
	s_and_saveexec_b64 s[0:1], s[4:5]
	s_cbranch_execnz .LBB233_1889
	s_branch .LBB233_1926
.LBB233_1887:
	s_or_b64 exec, exec, s[0:1]
	s_and_saveexec_b64 s[0:1], s[40:41]
	s_xor_b64 s[2:3], exec, s[0:1]
	s_cbranch_execz .LBB233_1886
.LBB233_1888:
	s_waitcnt vmcnt(0)
	v_cmp_neq_f32_e32 vcc, 0, v14
	v_cmp_neq_f32_e64 s[0:1], 0, v17
	s_or_b64 s[0:1], vcc, s[0:1]
	s_nop 0
	v_cndmask_b32_e64 v2, 0, 1, s[0:1]
	global_store_byte v[0:1], v2, off
	s_or_b64 exec, exec, s[2:3]
	s_and_saveexec_b64 s[0:1], s[4:5]
	s_cbranch_execz .LBB233_1926
.LBB233_1889:
	s_sext_i32_i16 s2, s14
	s_cmp_lt_i32 s2, 5
	s_mov_b64 s[0:1], -1
	s_cbranch_scc1 .LBB233_1910
; %bb.1890:
	s_cmp_lt_i32 s2, 8
	s_cbranch_scc1 .LBB233_1900
; %bb.1891:
	s_cmp_lt_i32 s2, 9
	s_cbranch_scc1 .LBB233_1897
; %bb.1892:
	s_cmp_gt_i32 s2, 9
	s_cbranch_scc0 .LBB233_1894
; %bb.1893:
	s_waitcnt vmcnt(0)
	v_cvt_f64_f32_e32 v[2:3], v14
	v_cvt_f64_f32_e32 v[4:5], v17
	global_store_dwordx4 v[0:1], v[2:5], off
	s_mov_b64 s[0:1], 0
.LBB233_1894:
	s_andn2_b64 vcc, exec, s[0:1]
	s_cbranch_vccnz .LBB233_1896
; %bb.1895:
	s_waitcnt vmcnt(0)
	v_mov_b32_e32 v15, v17
	global_store_dwordx2 v[0:1], v[14:15], off
.LBB233_1896:
	s_mov_b64 s[0:1], 0
.LBB233_1897:
	s_andn2_b64 vcc, exec, s[0:1]
	s_cbranch_vccnz .LBB233_1899
; %bb.1898:
	s_waitcnt vmcnt(0)
	v_cvt_f16_f32_e32 v2, v14
	v_cvt_f16_f32_sdwa v3, v17 dst_sel:WORD_1 dst_unused:UNUSED_PAD src0_sel:DWORD
	s_nop 0
	v_or_b32_e32 v2, v3, v2
	global_store_dword v[0:1], v2, off
.LBB233_1899:
	s_mov_b64 s[0:1], 0
.LBB233_1900:
	s_andn2_b64 vcc, exec, s[0:1]
	s_cbranch_vccnz .LBB233_1909
; %bb.1901:
	s_sext_i32_i16 s2, s14
	s_cmp_lt_i32 s2, 6
	s_mov_b64 s[0:1], -1
	s_cbranch_scc1 .LBB233_1907
; %bb.1902:
	s_cmp_gt_i32 s2, 6
	s_cbranch_scc0 .LBB233_1904
; %bb.1903:
	s_waitcnt vmcnt(0)
	v_cvt_f64_f32_e32 v[2:3], v14
	global_store_dwordx2 v[0:1], v[2:3], off
	s_mov_b64 s[0:1], 0
.LBB233_1904:
	s_andn2_b64 vcc, exec, s[0:1]
	s_cbranch_vccnz .LBB233_1906
; %bb.1905:
	s_waitcnt vmcnt(0)
	global_store_dword v[0:1], v14, off
.LBB233_1906:
	s_mov_b64 s[0:1], 0
.LBB233_1907:
	s_andn2_b64 vcc, exec, s[0:1]
	s_cbranch_vccnz .LBB233_1909
; %bb.1908:
	s_waitcnt vmcnt(0)
	v_cvt_f16_f32_e32 v2, v14
	global_store_short v[0:1], v2, off
.LBB233_1909:
	s_mov_b64 s[0:1], 0
.LBB233_1910:
	s_andn2_b64 vcc, exec, s[0:1]
	s_cbranch_vccnz .LBB233_1926
; %bb.1911:
	s_sext_i32_i16 s2, s14
	s_cmp_lt_i32 s2, 2
	s_mov_b64 s[0:1], -1
	s_cbranch_scc1 .LBB233_1921
; %bb.1912:
	s_cmp_lt_i32 s2, 3
	s_cbranch_scc1 .LBB233_1918
; %bb.1913:
	s_cmp_gt_i32 s2, 3
	s_cbranch_scc0 .LBB233_1915
; %bb.1914:
	s_waitcnt vmcnt(0)
	v_trunc_f32_e32 v2, v14
	s_mov_b32 s0, 0x2f800000
	v_mul_f32_e64 v3, |v2|, s0
	v_floor_f32_e32 v3, v3
	s_mov_b32 s0, 0xcf800000
	v_cvt_u32_f32_e32 v4, v3
	v_fma_f32 v3, v3, s0, |v2|
	v_cvt_u32_f32_e32 v3, v3
	v_ashrrev_i32_e32 v5, 31, v2
	v_xor_b32_e32 v4, v4, v5
	s_mov_b64 s[0:1], 0
	v_xor_b32_e32 v2, v3, v5
	v_sub_co_u32_e32 v2, vcc, v2, v5
	s_nop 1
	v_subb_co_u32_e32 v3, vcc, v4, v5, vcc
	global_store_dwordx2 v[0:1], v[2:3], off
.LBB233_1915:
	s_andn2_b64 vcc, exec, s[0:1]
	s_cbranch_vccnz .LBB233_1917
; %bb.1916:
	s_waitcnt vmcnt(0)
	v_cvt_i32_f32_e32 v2, v14
	global_store_dword v[0:1], v2, off
.LBB233_1917:
	s_mov_b64 s[0:1], 0
.LBB233_1918:
	s_andn2_b64 vcc, exec, s[0:1]
	s_cbranch_vccnz .LBB233_1920
; %bb.1919:
	s_waitcnt vmcnt(0)
	v_cvt_i32_f32_e32 v2, v14
	global_store_short v[0:1], v2, off
.LBB233_1920:
	s_mov_b64 s[0:1], 0
.LBB233_1921:
	s_andn2_b64 vcc, exec, s[0:1]
	s_cbranch_vccnz .LBB233_1926
; %bb.1922:
	s_sext_i32_i16 s0, s14
	s_cmp_gt_i32 s0, 0
	s_mov_b64 s[0:1], -1
	s_cbranch_scc0 .LBB233_1924
; %bb.1923:
	s_waitcnt vmcnt(0)
	v_cvt_i32_f32_e32 v2, v14
	s_mov_b64 s[0:1], 0
	global_store_byte v[0:1], v2, off
.LBB233_1924:
	s_andn2_b64 vcc, exec, s[0:1]
	s_cbranch_vccnz .LBB233_1926
; %bb.1925:
	s_waitcnt vmcnt(0)
	v_trunc_f32_e32 v2, v14
	s_mov_b32 s0, 0x2f800000
	v_mul_f32_e64 v3, |v2|, s0
	v_floor_f32_e32 v3, v3
	s_mov_b32 s0, 0xcf800000
	v_fma_f32 v3, v3, s0, |v2|
	v_cvt_u32_f32_e32 v3, v3
	v_ashrrev_i32_e32 v2, 31, v2
	v_xor_b32_e32 v3, v3, v2
	v_sub_u32_e32 v2, v3, v2
	global_store_byte v[0:1], v2, off
	s_endpgm
.LBB233_1926:
	s_endpgm
.LBB233_1927:
	s_andn2_saveexec_b64 s[18:19], s[18:19]
	s_cbranch_execz .LBB233_1929
.LBB233_1928:
	v_sub_f32_e32 v1, v5, v16
	v_mul_f32_e32 v1, 0.5, v1
	s_mov_b32 s2, 0xf800000
	v_mul_f32_e32 v3, 0x4f800000, v1
	v_cmp_gt_f32_e32 vcc, s2, v1
	s_nop 1
	v_cndmask_b32_e32 v1, v1, v3, vcc
	v_sqrt_f32_e32 v3, v1
	s_nop 0
	v_add_u32_e32 v5, -1, v3
	v_fma_f32 v7, -v5, v3, v1
	v_cmp_ge_f32_e64 s[2:3], 0, v7
	v_add_u32_e32 v7, 1, v3
	s_nop 0
	v_cndmask_b32_e64 v5, v3, v5, s[2:3]
	v_fma_f32 v3, -v7, v3, v1
	v_cmp_lt_f32_e64 s[2:3], 0, v3
	s_nop 1
	v_cndmask_b32_e64 v3, v5, v7, s[2:3]
	v_mul_f32_e32 v5, 0x37800000, v3
	v_cndmask_b32_e32 v3, v3, v5, vcc
	v_mov_b32_e32 v5, 0x260
	v_cmp_class_f32_e32 vcc, v1, v5
	v_and_b32_e32 v5, 0x7fffffff, v17
	s_nop 0
	v_cndmask_b32_e32 v3, v3, v1, vcc
	v_add_f32_e32 v1, v3, v3
	v_div_scale_f32 v7, s[2:3], v1, v1, v5
	v_rcp_f32_e32 v13, v7
	v_div_scale_f32 v5, vcc, v5, v1, v5
	s_brev_b32 s2, -2
	v_fma_f32 v14, -v7, v13, 1.0
	v_fmac_f32_e32 v13, v14, v13
	v_mul_f32_e32 v14, v5, v13
	v_fma_f32 v16, -v7, v14, v5
	v_fmac_f32_e32 v14, v16, v13
	v_fma_f32 v5, -v7, v14, v5
	v_div_fmas_f32 v5, v5, v13, v14
	v_div_fixup_f32 v1, v5, v1, |v17|
	v_bfi_b32 v3, s2, v3, v17
.LBB233_1929:
	s_or_b64 exec, exec, s[18:19]
                                        ; implicit-def: $vgpr17
                                        ; implicit-def: $vgpr14
	s_and_saveexec_b64 s[2:3], s[0:1]
	s_xor_b64 s[0:1], exec, s[2:3]
	s_cbranch_execz .LBB233_1931
; %bb.1930:
	v_mul_f32_e32 v5, 0.5, v1
	v_mul_f32_e32 v7, 0.5, v3
	v_cndmask_b32_e64 v14, v1, v5, s[16:17]
	v_cndmask_b32_e64 v17, v3, v7, s[16:17]
                                        ; implicit-def: $vgpr1
                                        ; implicit-def: $vgpr3
	s_andn2_saveexec_b64 s[0:1], s[0:1]
	s_cbranch_execnz .LBB233_1932
	s_branch .LBB233_1933
.LBB233_1931:
	s_andn2_saveexec_b64 s[0:1], s[0:1]
.LBB233_1932:
	v_add_f32_e32 v14, v1, v1
	v_add_f32_e32 v17, v3, v3
.LBB233_1933:
	s_or_b64 exec, exec, s[0:1]
.LBB233_1934:
	s_andn2_saveexec_b64 s[0:1], s[14:15]
	s_cbranch_execz .LBB233_1940
; %bb.1935:
	v_sub_f32_e32 v1, v17, v17
	v_cmp_lt_i32_e32 vcc, -1, v16
	s_brev_b32 s14, -2
	v_and_b32_e32 v14, 0x7fffffff, v1
	s_and_saveexec_b64 s[2:3], vcc
	s_xor_b64 s[2:3], exec, s[2:3]
; %bb.1936:
	v_bfi_b32 v17, s14, v1, v17
	v_mov_b32_e32 v14, v16
; %bb.1937:
	s_andn2_saveexec_b64 s[2:3], s[2:3]
; %bb.1938:
	v_bfi_b32 v17, s14, v16, v17
; %bb.1939:
	s_or_b64 exec, exec, s[2:3]
.LBB233_1940:
	s_or_b64 exec, exec, s[0:1]
.LBB233_1941:
	s_andn2_saveexec_b64 s[0:1], s[12:13]
	s_cbranch_execz .LBB233_1943
; %bb.1942:
	v_sub_f32_e32 v1, v17, v17
	v_div_scale_f32 v3, vcc, v1, v1, v1
	v_rcp_f32_e32 v5, v3
	v_mov_b32_e32 v14, v16
	v_fma_f32 v7, -v3, v5, 1.0
	v_fmac_f32_e32 v5, v7, v5
	v_mul_f32_e32 v7, v3, v5
	v_fma_f32 v13, -v3, v7, v3
	v_fmac_f32_e32 v7, v13, v5
	v_fma_f32 v3, -v3, v7, v3
	v_div_fmas_f32 v3, v3, v5, v7
	v_div_fixup_f32 v17, v3, v1, v1
.LBB233_1943:
	s_or_b64 exec, exec, s[0:1]
.LBB233_1944:
	s_or_b64 exec, exec, s[10:11]
.LBB233_1945:
	s_or_b64 exec, exec, s[6:7]
	s_bfe_u32 s14, s22, 0x80008
	v_mov_b32_e32 v7, 0
	s_cmp_lt_i32 s14, 11
	v_lshl_add_u64 v[6:7], s[4:5], 0, v[6:7]
	s_cbranch_scc1 .LBB233_2023
; %bb.1946:
	s_and_b32 s15, 0xffff, s14
	s_mov_b64 s[10:11], -1
	s_mov_b64 s[2:3], 0
	s_cmp_gt_i32 s15, 25
	s_mov_b64 s[6:7], 0
	s_mov_b64 s[0:1], 0
	s_cbranch_scc0 .LBB233_1979
; %bb.1947:
	s_cmp_gt_i32 s15, 28
	s_cbranch_scc0 .LBB233_1962
; %bb.1948:
	s_cmp_gt_i32 s15, 43
	;; [unrolled: 3-line block ×3, first 2 shown]
	s_cbranch_scc0 .LBB233_1952
; %bb.1950:
	s_mov_b64 s[0:1], -1
	s_mov_b64 s[10:11], 0
	s_cmp_eq_u32 s15, 46
	s_cbranch_scc0 .LBB233_1952
; %bb.1951:
	s_movk_i32 s0, 0x7fff
	v_bfe_u32 v3, v9, 16, 1
	v_add3_u32 v3, v9, v3, s0
	v_bfe_u32 v1, v12, 16, 1
	v_and_b32_e32 v3, 0xffff0000, v3
	v_mov_b32_e32 v5, 0x7fc00000
	v_cmp_o_f32_e32 vcc, v9, v9
	v_add3_u32 v1, v12, v1, s0
	s_mov_b64 s[0:1], 0
	v_cndmask_b32_e32 v3, v5, v3, vcc
	v_cmp_o_f32_e32 vcc, v12, v12
	v_mov_b32_e32 v5, 0x7fc0
	s_mov_b64 s[6:7], -1
	v_cndmask_b32_sdwa v1, v5, v1, vcc dst_sel:DWORD dst_unused:UNUSED_PAD src0_sel:DWORD src1_sel:WORD_1
	v_or_b32_e32 v1, v3, v1
	global_store_dword v[6:7], v1, off
.LBB233_1952:
	s_and_b64 vcc, exec, s[10:11]
	s_cbranch_vccz .LBB233_1957
; %bb.1953:
	s_cmp_eq_u32 s15, 44
	s_mov_b64 s[0:1], -1
	s_cbranch_scc0 .LBB233_1957
; %bb.1954:
	v_bfe_u32 v1, v12, 23, 8
	s_movk_i32 s0, 0xff
	v_cmp_ne_u32_e32 vcc, s0, v1
	v_mov_b32_e32 v3, 0xff
	s_and_saveexec_b64 s[6:7], vcc
; %bb.1955:
	s_mov_b32 s0, 0x3fffff
	v_and_b32_e32 v5, 0x400000, v12
	v_and_or_b32 v1, v12, s0, v1
	v_cmp_ne_u32_e32 vcc, 0, v5
	v_cmp_ne_u32_e64 s[0:1], 0, v1
	s_and_b64 s[0:1], vcc, s[0:1]
	v_lshrrev_b32_e32 v3, 23, v12
	v_cndmask_b32_e64 v1, 0, 1, s[0:1]
	v_add_u32_e32 v3, v3, v1
; %bb.1956:
	s_or_b64 exec, exec, s[6:7]
	s_mov_b64 s[0:1], 0
	s_mov_b64 s[6:7], -1
	global_store_byte v[6:7], v3, off
.LBB233_1957:
	s_mov_b64 s[10:11], 0
.LBB233_1958:
	s_and_b64 vcc, exec, s[10:11]
	s_cbranch_vccz .LBB233_1961
; %bb.1959:
	s_cmp_eq_u32 s15, 29
	s_mov_b64 s[0:1], -1
	s_cbranch_scc0 .LBB233_1961
; %bb.1960:
	v_trunc_f32_e32 v1, v12
	v_mul_f32_e32 v3, 0x2f800000, v1
	v_floor_f32_e32 v3, v3
	v_fmamk_f32 v1, v3, 0xcf800000, v1
	v_cvt_u32_f32_e32 v19, v3
	v_cvt_u32_f32_e32 v18, v1
	s_mov_b64 s[0:1], 0
	s_mov_b64 s[6:7], -1
	global_store_dwordx2 v[6:7], v[18:19], off
.LBB233_1961:
	s_mov_b64 s[10:11], 0
.LBB233_1962:
	s_and_b64 vcc, exec, s[10:11]
	s_cbranch_vccz .LBB233_1978
; %bb.1963:
	s_cmp_lt_i32 s15, 27
	s_mov_b64 s[6:7], -1
	s_cbranch_scc1 .LBB233_1969
; %bb.1964:
	v_cvt_u32_f32_e32 v1, v12
	s_cmp_gt_i32 s15, 27
	s_cbranch_scc0 .LBB233_1966
; %bb.1965:
	s_mov_b64 s[6:7], 0
	global_store_dword v[6:7], v1, off
.LBB233_1966:
	s_andn2_b64 vcc, exec, s[6:7]
	s_cbranch_vccnz .LBB233_1968
; %bb.1967:
	global_store_short v[6:7], v1, off
.LBB233_1968:
	s_mov_b64 s[6:7], 0
.LBB233_1969:
	s_andn2_b64 vcc, exec, s[6:7]
	s_cbranch_vccnz .LBB233_1977
; %bb.1970:
	v_and_b32_e32 v1, 0x7fffffff, v12
	s_mov_b32 s6, 0x43800000
	v_cmp_gt_u32_e32 vcc, s6, v1
	v_mov_b32_e32 v3, 0x80
	s_and_saveexec_b64 s[6:7], vcc
	s_cbranch_execz .LBB233_1976
; %bb.1971:
	s_mov_b32 s10, 0x3bffffff
	v_cmp_lt_u32_e32 vcc, s10, v1
	s_mov_b64 s[10:11], 0
                                        ; implicit-def: $vgpr1
	s_and_saveexec_b64 s[12:13], vcc
	s_xor_b64 s[12:13], exec, s[12:13]
	s_cbranch_execz .LBB233_2381
; %bb.1972:
	v_bfe_u32 v1, v12, 20, 1
	s_mov_b32 s16, 0x487ffff
	v_add3_u32 v1, v12, v1, s16
	s_mov_b64 s[10:11], exec
	v_lshrrev_b32_e32 v1, 20, v1
	s_andn2_saveexec_b64 s[12:13], s[12:13]
	s_cbranch_execnz .LBB233_2382
.LBB233_1973:
	s_or_b64 exec, exec, s[12:13]
	v_mov_b32_e32 v3, 0
	s_and_saveexec_b64 s[12:13], s[10:11]
.LBB233_1974:
	v_lshrrev_b32_e32 v3, 24, v12
	s_movk_i32 s10, 0x80
	v_and_or_b32 v3, v3, s10, v1
.LBB233_1975:
	s_or_b64 exec, exec, s[12:13]
.LBB233_1976:
	s_or_b64 exec, exec, s[6:7]
	global_store_byte v[6:7], v3, off
.LBB233_1977:
	s_mov_b64 s[6:7], -1
.LBB233_1978:
	s_mov_b64 s[10:11], 0
.LBB233_1979:
	s_and_b64 vcc, exec, s[10:11]
	s_cbranch_vccz .LBB233_2019
; %bb.1980:
	s_cmp_gt_i32 s15, 22
	s_mov_b64 s[2:3], -1
	s_cbranch_scc0 .LBB233_2012
; %bb.1981:
	s_cmp_lt_i32 s15, 24
	s_cbranch_scc1 .LBB233_2001
; %bb.1982:
	s_cmp_gt_i32 s15, 24
	s_cbranch_scc0 .LBB233_1990
; %bb.1983:
	v_and_b32_e32 v1, 0x7fffffff, v12
	s_mov_b32 s2, 0x47800000
	v_cmp_gt_u32_e32 vcc, s2, v1
	v_mov_b32_e32 v3, 0x80
	s_and_saveexec_b64 s[2:3], vcc
	s_cbranch_execz .LBB233_1989
; %bb.1984:
	s_mov_b32 s6, 0x37ffffff
	v_cmp_lt_u32_e32 vcc, s6, v1
	s_mov_b64 s[6:7], 0
                                        ; implicit-def: $vgpr1
	s_and_saveexec_b64 s[10:11], vcc
	s_xor_b64 s[10:11], exec, s[10:11]
	s_cbranch_execz .LBB233_2384
; %bb.1985:
	v_bfe_u32 v1, v12, 21, 1
	s_mov_b32 s12, 0x88fffff
	v_add3_u32 v1, v12, v1, s12
	s_mov_b64 s[6:7], exec
	v_lshrrev_b32_e32 v1, 21, v1
	s_andn2_saveexec_b64 s[10:11], s[10:11]
	s_cbranch_execnz .LBB233_2385
.LBB233_1986:
	s_or_b64 exec, exec, s[10:11]
	v_mov_b32_e32 v3, 0
	s_and_saveexec_b64 s[10:11], s[6:7]
.LBB233_1987:
	v_lshrrev_b32_e32 v3, 24, v12
	s_movk_i32 s6, 0x80
	v_and_or_b32 v3, v3, s6, v1
.LBB233_1988:
	s_or_b64 exec, exec, s[10:11]
.LBB233_1989:
	s_or_b64 exec, exec, s[2:3]
	s_mov_b64 s[2:3], 0
	global_store_byte v[6:7], v3, off
.LBB233_1990:
	s_and_b64 vcc, exec, s[2:3]
	s_cbranch_vccz .LBB233_2000
; %bb.1991:
	v_and_b32_e32 v3, 0x7fffffff, v12
	s_mov_b32 s2, 0x43f00000
	v_cmp_gt_u32_e32 vcc, s2, v3
                                        ; implicit-def: $vgpr1
	s_and_saveexec_b64 s[2:3], vcc
	s_xor_b64 s[2:3], exec, s[2:3]
	s_cbranch_execz .LBB233_1997
; %bb.1992:
	s_mov_b32 s6, 0x3c7fffff
	v_cmp_lt_u32_e32 vcc, s6, v3
                                        ; implicit-def: $vgpr1
	s_and_saveexec_b64 s[6:7], vcc
	s_xor_b64 s[6:7], exec, s[6:7]
; %bb.1993:
	v_bfe_u32 v1, v12, 20, 1
	s_mov_b32 s10, 0x407ffff
	v_add3_u32 v1, v12, v1, s10
	v_lshrrev_b32_e32 v3, 20, v1
	v_and_b32_e32 v1, 0xff00000, v1
	s_mov_b32 s10, 0x7f00000
	v_mov_b32_e32 v5, 0x7e
	v_cmp_ne_u32_e32 vcc, s10, v1
	s_nop 1
	v_cndmask_b32_e32 v1, v5, v3, vcc
; %bb.1994:
	s_andn2_saveexec_b64 s[6:7], s[6:7]
; %bb.1995:
	s_mov_b32 s10, 0x46800000
	v_add_f32_e64 v1, |v12|, s10
; %bb.1996:
	s_or_b64 exec, exec, s[6:7]
                                        ; implicit-def: $vgpr3
.LBB233_1997:
	s_andn2_saveexec_b64 s[2:3], s[2:3]
; %bb.1998:
	s_mov_b32 s6, 0x7f800000
	v_mov_b32_e32 v1, 0x7e
	v_mov_b32_e32 v5, 0x7f
	v_cmp_lt_u32_e32 vcc, s6, v3
	s_nop 1
	v_cndmask_b32_e32 v1, v1, v5, vcc
; %bb.1999:
	s_or_b64 exec, exec, s[2:3]
	v_lshrrev_b32_e32 v3, 24, v12
	s_movk_i32 s2, 0x80
	v_and_or_b32 v1, v3, s2, v1
	global_store_byte v[6:7], v1, off
.LBB233_2000:
	s_mov_b64 s[2:3], 0
.LBB233_2001:
	s_andn2_b64 vcc, exec, s[2:3]
	s_cbranch_vccnz .LBB233_2011
; %bb.2002:
	v_and_b32_e32 v3, 0x7fffffff, v12
	s_mov_b32 s2, 0x47800000
	v_cmp_gt_u32_e32 vcc, s2, v3
                                        ; implicit-def: $vgpr1
	s_and_saveexec_b64 s[2:3], vcc
	s_xor_b64 s[2:3], exec, s[2:3]
	s_cbranch_execz .LBB233_2008
; %bb.2003:
	s_mov_b32 s6, 0x387fffff
	v_cmp_lt_u32_e32 vcc, s6, v3
                                        ; implicit-def: $vgpr1
	s_and_saveexec_b64 s[6:7], vcc
	s_xor_b64 s[6:7], exec, s[6:7]
; %bb.2004:
	v_bfe_u32 v1, v12, 21, 1
	s_mov_b32 s10, 0x80fffff
	v_add3_u32 v1, v12, v1, s10
	v_lshrrev_b32_e32 v1, 21, v1
; %bb.2005:
	s_andn2_saveexec_b64 s[6:7], s[6:7]
; %bb.2006:
	s_mov_b32 s10, 0x43000000
	v_add_f32_e64 v1, |v12|, s10
; %bb.2007:
	s_or_b64 exec, exec, s[6:7]
                                        ; implicit-def: $vgpr3
.LBB233_2008:
	s_andn2_saveexec_b64 s[2:3], s[2:3]
; %bb.2009:
	s_mov_b32 s6, 0x7f800000
	v_mov_b32_e32 v1, 0x7c
	v_mov_b32_e32 v5, 0x7f
	v_cmp_lt_u32_e32 vcc, s6, v3
	s_nop 1
	v_cndmask_b32_e32 v1, v1, v5, vcc
; %bb.2010:
	s_or_b64 exec, exec, s[2:3]
	v_lshrrev_b32_e32 v3, 24, v12
	s_movk_i32 s2, 0x80
	v_and_or_b32 v1, v3, s2, v1
	global_store_byte v[6:7], v1, off
.LBB233_2011:
	s_mov_b64 s[2:3], 0
	s_mov_b64 s[6:7], -1
.LBB233_2012:
	s_andn2_b64 vcc, exec, s[2:3]
	s_mov_b64 s[2:3], 0
	s_cbranch_vccnz .LBB233_2019
; %bb.2013:
	s_cmp_gt_i32 s15, 14
	s_mov_b64 s[10:11], -1
	s_cbranch_scc0 .LBB233_2017
; %bb.2014:
	s_cmp_eq_u32 s15, 15
	s_mov_b64 s[0:1], -1
	s_cbranch_scc0 .LBB233_2016
; %bb.2015:
	v_bfe_u32 v1, v12, 16, 1
	s_movk_i32 s0, 0x7fff
	v_add3_u32 v1, v12, v1, s0
	v_cmp_o_f32_e32 vcc, v12, v12
	v_mov_b32_e32 v3, 0x7fc0
	s_mov_b64 s[0:1], 0
	v_cndmask_b32_sdwa v1, v3, v1, vcc dst_sel:DWORD dst_unused:UNUSED_PAD src0_sel:DWORD src1_sel:WORD_1
	global_store_short v[6:7], v1, off
	s_mov_b64 s[6:7], -1
.LBB233_2016:
	s_mov_b64 s[10:11], 0
.LBB233_2017:
	s_and_b64 vcc, exec, s[10:11]
	s_cbranch_vccz .LBB233_2019
; %bb.2018:
	s_cmp_lg_u32 s15, 11
	s_mov_b64 s[2:3], -1
	s_cselect_b64 s[0:1], -1, 0
.LBB233_2019:
	s_and_b64 vcc, exec, s[0:1]
	s_cbranch_vccnz .LBB233_2383
; %bb.2020:
	s_andn2_b64 vcc, exec, s[2:3]
	s_cbranch_vccnz .LBB233_2022
.LBB233_2021:
	v_cmp_neq_f32_e32 vcc, 0, v12
	v_cmp_neq_f32_e64 s[0:1], 0, v9
	s_or_b64 s[0:1], vcc, s[0:1]
	s_mov_b64 s[6:7], -1
	v_cndmask_b32_e64 v1, 0, 1, s[0:1]
	global_store_byte v[6:7], v1, off
.LBB233_2022:
	s_mov_b64 s[0:1], 0
	s_branch .LBB233_2024
.LBB233_2023:
	s_mov_b64 s[0:1], -1
	s_mov_b64 s[6:7], 0
.LBB233_2024:
	s_and_b64 vcc, exec, s[0:1]
	s_cbranch_vccz .LBB233_2063
; %bb.2025:
	s_and_b32 s2, 0xffff, s14
	s_cmp_lt_i32 s2, 5
	s_mov_b64 s[0:1], -1
	s_cbranch_scc1 .LBB233_2046
; %bb.2026:
	s_cmp_lt_i32 s2, 8
	s_cbranch_scc1 .LBB233_2036
; %bb.2027:
	s_cmp_lt_i32 s2, 9
	s_cbranch_scc1 .LBB233_2033
; %bb.2028:
	s_cmp_gt_i32 s2, 9
	s_cbranch_scc0 .LBB233_2030
; %bb.2029:
	v_cvt_f64_f32_e32 v[18:19], v12
	v_cvt_f64_f32_e32 v[20:21], v9
	global_store_dwordx4 v[6:7], v[18:21], off
	s_mov_b64 s[0:1], 0
.LBB233_2030:
	s_andn2_b64 vcc, exec, s[0:1]
	s_cbranch_vccnz .LBB233_2032
; %bb.2031:
	v_mov_b32_e32 v13, v9
	global_store_dwordx2 v[6:7], v[12:13], off
.LBB233_2032:
	s_mov_b64 s[0:1], 0
.LBB233_2033:
	s_andn2_b64 vcc, exec, s[0:1]
	s_cbranch_vccnz .LBB233_2035
; %bb.2034:
	v_cvt_f16_f32_e32 v1, v12
	v_cvt_f16_f32_sdwa v3, v9 dst_sel:WORD_1 dst_unused:UNUSED_PAD src0_sel:DWORD
	s_nop 0
	v_or_b32_e32 v1, v3, v1
	global_store_dword v[6:7], v1, off
.LBB233_2035:
	s_mov_b64 s[0:1], 0
.LBB233_2036:
	s_andn2_b64 vcc, exec, s[0:1]
	s_cbranch_vccnz .LBB233_2045
; %bb.2037:
	s_cmp_lt_i32 s2, 6
	s_mov_b64 s[0:1], -1
	s_cbranch_scc1 .LBB233_2043
; %bb.2038:
	s_cmp_gt_i32 s2, 6
	s_cbranch_scc0 .LBB233_2040
; %bb.2039:
	v_cvt_f64_f32_e32 v[18:19], v12
	global_store_dwordx2 v[6:7], v[18:19], off
	s_mov_b64 s[0:1], 0
.LBB233_2040:
	s_andn2_b64 vcc, exec, s[0:1]
	s_cbranch_vccnz .LBB233_2042
; %bb.2041:
	global_store_dword v[6:7], v12, off
.LBB233_2042:
	s_mov_b64 s[0:1], 0
.LBB233_2043:
	s_andn2_b64 vcc, exec, s[0:1]
	s_cbranch_vccnz .LBB233_2045
; %bb.2044:
	v_cvt_f16_f32_e32 v1, v12
	global_store_short v[6:7], v1, off
.LBB233_2045:
	s_mov_b64 s[0:1], 0
.LBB233_2046:
	s_andn2_b64 vcc, exec, s[0:1]
	s_cbranch_vccnz .LBB233_2062
; %bb.2047:
	s_cmp_lt_i32 s2, 2
	s_mov_b64 s[0:1], -1
	s_cbranch_scc1 .LBB233_2057
; %bb.2048:
	s_cmp_lt_i32 s2, 3
	s_cbranch_scc1 .LBB233_2054
; %bb.2049:
	s_cmp_gt_i32 s2, 3
	s_cbranch_scc0 .LBB233_2051
; %bb.2050:
	v_trunc_f32_e32 v1, v12
	s_mov_b32 s0, 0x2f800000
	v_mul_f32_e64 v3, |v1|, s0
	v_floor_f32_e32 v3, v3
	s_mov_b32 s0, 0xcf800000
	v_cvt_u32_f32_e32 v5, v3
	v_fma_f32 v3, v3, s0, |v1|
	v_cvt_u32_f32_e32 v3, v3
	v_ashrrev_i32_e32 v1, 31, v1
	v_xor_b32_e32 v5, v5, v1
	s_mov_b64 s[0:1], 0
	v_xor_b32_e32 v3, v3, v1
	v_sub_co_u32_e32 v18, vcc, v3, v1
	s_nop 1
	v_subb_co_u32_e32 v19, vcc, v5, v1, vcc
	global_store_dwordx2 v[6:7], v[18:19], off
.LBB233_2051:
	s_andn2_b64 vcc, exec, s[0:1]
	s_cbranch_vccnz .LBB233_2053
; %bb.2052:
	v_cvt_i32_f32_e32 v1, v12
	global_store_dword v[6:7], v1, off
.LBB233_2053:
	s_mov_b64 s[0:1], 0
.LBB233_2054:
	s_andn2_b64 vcc, exec, s[0:1]
	s_cbranch_vccnz .LBB233_2056
; %bb.2055:
	v_cvt_i32_f32_e32 v1, v12
	global_store_short v[6:7], v1, off
.LBB233_2056:
	s_mov_b64 s[0:1], 0
.LBB233_2057:
	s_andn2_b64 vcc, exec, s[0:1]
	s_cbranch_vccnz .LBB233_2062
; %bb.2058:
	s_cmp_gt_i32 s2, 0
	s_mov_b64 s[0:1], -1
	s_cbranch_scc0 .LBB233_2060
; %bb.2059:
	v_cvt_i32_f32_e32 v1, v12
	s_mov_b64 s[0:1], 0
	global_store_byte v[6:7], v1, off
.LBB233_2060:
	s_andn2_b64 vcc, exec, s[0:1]
	s_cbranch_vccnz .LBB233_2062
; %bb.2061:
	v_trunc_f32_e32 v1, v12
	s_mov_b32 s0, 0x2f800000
	v_mul_f32_e64 v3, |v1|, s0
	v_floor_f32_e32 v3, v3
	s_mov_b32 s0, 0xcf800000
	v_fma_f32 v3, v3, s0, |v1|
	v_cvt_u32_f32_e32 v3, v3
	v_ashrrev_i32_e32 v1, 31, v1
	v_xor_b32_e32 v3, v3, v1
	v_sub_u32_e32 v1, v3, v1
	global_store_byte v[6:7], v1, off
.LBB233_2062:
	s_mov_b64 s[6:7], -1
.LBB233_2063:
	s_andn2_b64 vcc, exec, s[6:7]
	s_cbranch_vccnz .LBB233_2378
; %bb.2064:
	s_lshr_b32 s0, s22, 8
	s_and_b32 s14, s0, 0xff
	v_mov_b32_e32 v5, 0
	s_cmp_lt_i32 s14, 11
	v_lshl_add_u64 v[4:5], s[4:5], 0, v[4:5]
	s_cbranch_scc1 .LBB233_2142
; %bb.2065:
	s_and_b32 s15, 0xffff, s14
	s_mov_b64 s[10:11], -1
	s_mov_b64 s[2:3], 0
	s_cmp_gt_i32 s15, 25
	s_mov_b64 s[6:7], 0
	s_mov_b64 s[0:1], 0
	s_cbranch_scc0 .LBB233_2098
; %bb.2066:
	s_cmp_gt_i32 s15, 28
	s_cbranch_scc0 .LBB233_2081
; %bb.2067:
	s_cmp_gt_i32 s15, 43
	s_cbranch_scc0 .LBB233_2077
; %bb.2068:
	s_cmp_gt_i32 s15, 45
	s_cbranch_scc0 .LBB233_2071
; %bb.2069:
	s_mov_b64 s[0:1], -1
	s_mov_b64 s[10:11], 0
	s_cmp_eq_u32 s15, 46
	s_cbranch_scc0 .LBB233_2071
; %bb.2070:
	s_movk_i32 s0, 0x7fff
	v_bfe_u32 v3, v11, 16, 1
	v_add3_u32 v3, v11, v3, s0
	v_bfe_u32 v1, v8, 16, 1
	v_and_b32_e32 v3, 0xffff0000, v3
	v_mov_b32_e32 v6, 0x7fc00000
	v_cmp_o_f32_e32 vcc, v11, v11
	v_add3_u32 v1, v8, v1, s0
	s_mov_b64 s[0:1], 0
	v_cndmask_b32_e32 v3, v6, v3, vcc
	v_cmp_o_f32_e32 vcc, v8, v8
	v_mov_b32_e32 v6, 0x7fc0
	s_mov_b64 s[6:7], -1
	v_cndmask_b32_sdwa v1, v6, v1, vcc dst_sel:DWORD dst_unused:UNUSED_PAD src0_sel:DWORD src1_sel:WORD_1
	v_or_b32_e32 v1, v3, v1
	global_store_dword v[4:5], v1, off
.LBB233_2071:
	s_and_b64 vcc, exec, s[10:11]
	s_cbranch_vccz .LBB233_2076
; %bb.2072:
	s_cmp_eq_u32 s15, 44
	s_mov_b64 s[0:1], -1
	s_cbranch_scc0 .LBB233_2076
; %bb.2073:
	v_bfe_u32 v1, v8, 23, 8
	s_movk_i32 s0, 0xff
	v_cmp_ne_u32_e32 vcc, s0, v1
	v_mov_b32_e32 v3, 0xff
	s_and_saveexec_b64 s[6:7], vcc
; %bb.2074:
	s_mov_b32 s0, 0x3fffff
	v_and_b32_e32 v6, 0x400000, v8
	v_and_or_b32 v1, v8, s0, v1
	v_cmp_ne_u32_e32 vcc, 0, v6
	v_cmp_ne_u32_e64 s[0:1], 0, v1
	s_and_b64 s[0:1], vcc, s[0:1]
	v_lshrrev_b32_e32 v3, 23, v8
	v_cndmask_b32_e64 v1, 0, 1, s[0:1]
	v_add_u32_e32 v3, v3, v1
; %bb.2075:
	s_or_b64 exec, exec, s[6:7]
	s_mov_b64 s[0:1], 0
	s_mov_b64 s[6:7], -1
	global_store_byte v[4:5], v3, off
.LBB233_2076:
	s_mov_b64 s[10:11], 0
.LBB233_2077:
	s_and_b64 vcc, exec, s[10:11]
	s_cbranch_vccz .LBB233_2080
; %bb.2078:
	s_cmp_eq_u32 s15, 29
	s_mov_b64 s[0:1], -1
	s_cbranch_scc0 .LBB233_2080
; %bb.2079:
	v_trunc_f32_e32 v1, v8
	v_mul_f32_e32 v3, 0x2f800000, v1
	v_floor_f32_e32 v3, v3
	v_fmamk_f32 v1, v3, 0xcf800000, v1
	v_cvt_u32_f32_e32 v7, v3
	v_cvt_u32_f32_e32 v6, v1
	s_mov_b64 s[0:1], 0
	s_mov_b64 s[6:7], -1
	global_store_dwordx2 v[4:5], v[6:7], off
.LBB233_2080:
	s_mov_b64 s[10:11], 0
.LBB233_2081:
	s_and_b64 vcc, exec, s[10:11]
	s_cbranch_vccz .LBB233_2097
; %bb.2082:
	s_cmp_lt_i32 s15, 27
	s_mov_b64 s[6:7], -1
	s_cbranch_scc1 .LBB233_2088
; %bb.2083:
	s_cmp_gt_i32 s15, 27
	s_cbranch_scc0 .LBB233_2085
; %bb.2084:
	v_cvt_u32_f32_e32 v1, v8
	s_mov_b64 s[6:7], 0
	global_store_dword v[4:5], v1, off
.LBB233_2085:
	s_andn2_b64 vcc, exec, s[6:7]
	s_cbranch_vccnz .LBB233_2087
; %bb.2086:
	v_cvt_u32_f32_e32 v1, v8
	global_store_short v[4:5], v1, off
.LBB233_2087:
	s_mov_b64 s[6:7], 0
.LBB233_2088:
	s_andn2_b64 vcc, exec, s[6:7]
	s_cbranch_vccnz .LBB233_2096
; %bb.2089:
	v_and_b32_e32 v1, 0x7fffffff, v8
	s_mov_b32 s6, 0x43800000
	v_cmp_gt_u32_e32 vcc, s6, v1
	v_mov_b32_e32 v3, 0x80
	s_and_saveexec_b64 s[6:7], vcc
	s_cbranch_execz .LBB233_2095
; %bb.2090:
	s_mov_b32 s10, 0x3bffffff
	v_cmp_lt_u32_e32 vcc, s10, v1
	s_mov_b64 s[10:11], 0
                                        ; implicit-def: $vgpr1
	s_and_saveexec_b64 s[12:13], vcc
	s_xor_b64 s[12:13], exec, s[12:13]
	s_cbranch_execz .LBB233_2386
; %bb.2091:
	v_bfe_u32 v1, v8, 20, 1
	s_mov_b32 s16, 0x487ffff
	v_add3_u32 v1, v8, v1, s16
	s_mov_b64 s[10:11], exec
	v_lshrrev_b32_e32 v1, 20, v1
	s_andn2_saveexec_b64 s[12:13], s[12:13]
	s_cbranch_execnz .LBB233_2387
.LBB233_2092:
	s_or_b64 exec, exec, s[12:13]
	v_mov_b32_e32 v3, 0
	s_and_saveexec_b64 s[12:13], s[10:11]
.LBB233_2093:
	v_lshrrev_b32_e32 v3, 24, v8
	s_movk_i32 s10, 0x80
	v_and_or_b32 v3, v3, s10, v1
.LBB233_2094:
	s_or_b64 exec, exec, s[12:13]
.LBB233_2095:
	s_or_b64 exec, exec, s[6:7]
	global_store_byte v[4:5], v3, off
.LBB233_2096:
	s_mov_b64 s[6:7], -1
.LBB233_2097:
	s_mov_b64 s[10:11], 0
.LBB233_2098:
	s_and_b64 vcc, exec, s[10:11]
	s_cbranch_vccz .LBB233_2138
; %bb.2099:
	s_cmp_gt_i32 s15, 22
	s_mov_b64 s[2:3], -1
	s_cbranch_scc0 .LBB233_2131
; %bb.2100:
	s_cmp_lt_i32 s15, 24
	s_cbranch_scc1 .LBB233_2120
; %bb.2101:
	s_cmp_gt_i32 s15, 24
	s_cbranch_scc0 .LBB233_2109
; %bb.2102:
	v_and_b32_e32 v1, 0x7fffffff, v8
	s_mov_b32 s2, 0x47800000
	v_cmp_gt_u32_e32 vcc, s2, v1
	v_mov_b32_e32 v3, 0x80
	s_and_saveexec_b64 s[2:3], vcc
	s_cbranch_execz .LBB233_2108
; %bb.2103:
	s_mov_b32 s6, 0x37ffffff
	v_cmp_lt_u32_e32 vcc, s6, v1
	s_mov_b64 s[6:7], 0
                                        ; implicit-def: $vgpr1
	s_and_saveexec_b64 s[10:11], vcc
	s_xor_b64 s[10:11], exec, s[10:11]
	s_cbranch_execz .LBB233_2389
; %bb.2104:
	v_bfe_u32 v1, v8, 21, 1
	s_mov_b32 s12, 0x88fffff
	v_add3_u32 v1, v8, v1, s12
	s_mov_b64 s[6:7], exec
	v_lshrrev_b32_e32 v1, 21, v1
	s_andn2_saveexec_b64 s[10:11], s[10:11]
	s_cbranch_execnz .LBB233_2390
.LBB233_2105:
	s_or_b64 exec, exec, s[10:11]
	v_mov_b32_e32 v3, 0
	s_and_saveexec_b64 s[10:11], s[6:7]
.LBB233_2106:
	v_lshrrev_b32_e32 v3, 24, v8
	s_movk_i32 s6, 0x80
	v_and_or_b32 v3, v3, s6, v1
.LBB233_2107:
	s_or_b64 exec, exec, s[10:11]
.LBB233_2108:
	s_or_b64 exec, exec, s[2:3]
	s_mov_b64 s[2:3], 0
	global_store_byte v[4:5], v3, off
.LBB233_2109:
	s_and_b64 vcc, exec, s[2:3]
	s_cbranch_vccz .LBB233_2119
; %bb.2110:
	v_and_b32_e32 v3, 0x7fffffff, v8
	s_mov_b32 s2, 0x43f00000
	v_cmp_gt_u32_e32 vcc, s2, v3
                                        ; implicit-def: $vgpr1
	s_and_saveexec_b64 s[2:3], vcc
	s_xor_b64 s[2:3], exec, s[2:3]
	s_cbranch_execz .LBB233_2116
; %bb.2111:
	s_mov_b32 s6, 0x3c7fffff
	v_cmp_lt_u32_e32 vcc, s6, v3
                                        ; implicit-def: $vgpr1
	s_and_saveexec_b64 s[6:7], vcc
	s_xor_b64 s[6:7], exec, s[6:7]
; %bb.2112:
	v_bfe_u32 v1, v8, 20, 1
	s_mov_b32 s10, 0x407ffff
	v_add3_u32 v1, v8, v1, s10
	v_lshrrev_b32_e32 v3, 20, v1
	v_and_b32_e32 v1, 0xff00000, v1
	s_mov_b32 s10, 0x7f00000
	v_mov_b32_e32 v6, 0x7e
	v_cmp_ne_u32_e32 vcc, s10, v1
	s_nop 1
	v_cndmask_b32_e32 v1, v6, v3, vcc
; %bb.2113:
	s_andn2_saveexec_b64 s[6:7], s[6:7]
; %bb.2114:
	s_mov_b32 s10, 0x46800000
	v_add_f32_e64 v1, |v8|, s10
; %bb.2115:
	s_or_b64 exec, exec, s[6:7]
                                        ; implicit-def: $vgpr3
.LBB233_2116:
	s_andn2_saveexec_b64 s[2:3], s[2:3]
; %bb.2117:
	s_mov_b32 s6, 0x7f800000
	v_mov_b32_e32 v1, 0x7e
	v_mov_b32_e32 v6, 0x7f
	v_cmp_lt_u32_e32 vcc, s6, v3
	s_nop 1
	v_cndmask_b32_e32 v1, v1, v6, vcc
; %bb.2118:
	s_or_b64 exec, exec, s[2:3]
	v_lshrrev_b32_e32 v3, 24, v8
	s_movk_i32 s2, 0x80
	v_and_or_b32 v1, v3, s2, v1
	global_store_byte v[4:5], v1, off
.LBB233_2119:
	s_mov_b64 s[2:3], 0
.LBB233_2120:
	s_andn2_b64 vcc, exec, s[2:3]
	s_cbranch_vccnz .LBB233_2130
; %bb.2121:
	v_and_b32_e32 v3, 0x7fffffff, v8
	s_mov_b32 s2, 0x47800000
	v_cmp_gt_u32_e32 vcc, s2, v3
                                        ; implicit-def: $vgpr1
	s_and_saveexec_b64 s[2:3], vcc
	s_xor_b64 s[2:3], exec, s[2:3]
	s_cbranch_execz .LBB233_2127
; %bb.2122:
	s_mov_b32 s6, 0x387fffff
	v_cmp_lt_u32_e32 vcc, s6, v3
                                        ; implicit-def: $vgpr1
	s_and_saveexec_b64 s[6:7], vcc
	s_xor_b64 s[6:7], exec, s[6:7]
; %bb.2123:
	v_bfe_u32 v1, v8, 21, 1
	s_mov_b32 s10, 0x80fffff
	v_add3_u32 v1, v8, v1, s10
	v_lshrrev_b32_e32 v1, 21, v1
; %bb.2124:
	s_andn2_saveexec_b64 s[6:7], s[6:7]
; %bb.2125:
	s_mov_b32 s10, 0x43000000
	v_add_f32_e64 v1, |v8|, s10
; %bb.2126:
	s_or_b64 exec, exec, s[6:7]
                                        ; implicit-def: $vgpr3
.LBB233_2127:
	s_andn2_saveexec_b64 s[2:3], s[2:3]
; %bb.2128:
	s_mov_b32 s6, 0x7f800000
	v_mov_b32_e32 v1, 0x7c
	v_mov_b32_e32 v6, 0x7f
	v_cmp_lt_u32_e32 vcc, s6, v3
	s_nop 1
	v_cndmask_b32_e32 v1, v1, v6, vcc
; %bb.2129:
	s_or_b64 exec, exec, s[2:3]
	v_lshrrev_b32_e32 v3, 24, v8
	s_movk_i32 s2, 0x80
	v_and_or_b32 v1, v3, s2, v1
	global_store_byte v[4:5], v1, off
.LBB233_2130:
	s_mov_b64 s[2:3], 0
	s_mov_b64 s[6:7], -1
.LBB233_2131:
	s_andn2_b64 vcc, exec, s[2:3]
	s_mov_b64 s[2:3], 0
	s_cbranch_vccnz .LBB233_2138
; %bb.2132:
	s_cmp_gt_i32 s15, 14
	s_mov_b64 s[10:11], -1
	s_cbranch_scc0 .LBB233_2136
; %bb.2133:
	s_cmp_eq_u32 s15, 15
	s_mov_b64 s[0:1], -1
	s_cbranch_scc0 .LBB233_2135
; %bb.2134:
	v_bfe_u32 v1, v8, 16, 1
	s_movk_i32 s0, 0x7fff
	v_add3_u32 v1, v8, v1, s0
	v_cmp_o_f32_e32 vcc, v8, v8
	v_mov_b32_e32 v3, 0x7fc0
	s_mov_b64 s[0:1], 0
	v_cndmask_b32_sdwa v1, v3, v1, vcc dst_sel:DWORD dst_unused:UNUSED_PAD src0_sel:DWORD src1_sel:WORD_1
	global_store_short v[4:5], v1, off
	s_mov_b64 s[6:7], -1
.LBB233_2135:
	s_mov_b64 s[10:11], 0
.LBB233_2136:
	s_and_b64 vcc, exec, s[10:11]
	s_cbranch_vccz .LBB233_2138
; %bb.2137:
	s_cmp_lg_u32 s15, 11
	s_mov_b64 s[2:3], -1
	s_cselect_b64 s[0:1], -1, 0
.LBB233_2138:
	s_and_b64 vcc, exec, s[0:1]
	s_cbranch_vccnz .LBB233_2388
; %bb.2139:
	s_andn2_b64 vcc, exec, s[2:3]
	s_cbranch_vccnz .LBB233_2141
.LBB233_2140:
	v_cmp_neq_f32_e32 vcc, 0, v8
	v_cmp_neq_f32_e64 s[0:1], 0, v11
	s_or_b64 s[0:1], vcc, s[0:1]
	s_mov_b64 s[6:7], -1
	v_cndmask_b32_e64 v1, 0, 1, s[0:1]
	global_store_byte v[4:5], v1, off
.LBB233_2141:
	s_mov_b64 s[0:1], 0
	s_branch .LBB233_2143
.LBB233_2142:
	s_mov_b64 s[0:1], -1
	s_mov_b64 s[6:7], 0
.LBB233_2143:
	s_and_b64 vcc, exec, s[0:1]
	s_cbranch_vccz .LBB233_2182
; %bb.2144:
	s_and_b32 s2, 0xffff, s14
	s_cmp_lt_i32 s2, 5
	s_mov_b64 s[0:1], -1
	s_cbranch_scc1 .LBB233_2165
; %bb.2145:
	s_cmp_lt_i32 s2, 8
	s_cbranch_scc1 .LBB233_2155
; %bb.2146:
	s_cmp_lt_i32 s2, 9
	s_cbranch_scc1 .LBB233_2152
; %bb.2147:
	s_cmp_gt_i32 s2, 9
	s_cbranch_scc0 .LBB233_2149
; %bb.2148:
	v_cvt_f64_f32_e32 v[18:19], v8
	v_cvt_f64_f32_e32 v[20:21], v11
	global_store_dwordx4 v[4:5], v[18:21], off
	s_mov_b64 s[0:1], 0
.LBB233_2149:
	s_andn2_b64 vcc, exec, s[0:1]
	s_cbranch_vccnz .LBB233_2151
; %bb.2150:
	v_mov_b32_e32 v9, v11
	global_store_dwordx2 v[4:5], v[8:9], off
.LBB233_2151:
	s_mov_b64 s[0:1], 0
.LBB233_2152:
	s_andn2_b64 vcc, exec, s[0:1]
	s_cbranch_vccnz .LBB233_2154
; %bb.2153:
	v_cvt_f16_f32_e32 v1, v8
	v_cvt_f16_f32_sdwa v3, v11 dst_sel:WORD_1 dst_unused:UNUSED_PAD src0_sel:DWORD
	s_nop 0
	v_or_b32_e32 v1, v3, v1
	global_store_dword v[4:5], v1, off
.LBB233_2154:
	s_mov_b64 s[0:1], 0
.LBB233_2155:
	s_andn2_b64 vcc, exec, s[0:1]
	s_cbranch_vccnz .LBB233_2164
; %bb.2156:
	s_cmp_lt_i32 s2, 6
	s_mov_b64 s[0:1], -1
	s_cbranch_scc1 .LBB233_2162
; %bb.2157:
	s_cmp_gt_i32 s2, 6
	s_cbranch_scc0 .LBB233_2159
; %bb.2158:
	v_cvt_f64_f32_e32 v[6:7], v8
	global_store_dwordx2 v[4:5], v[6:7], off
	s_mov_b64 s[0:1], 0
.LBB233_2159:
	s_andn2_b64 vcc, exec, s[0:1]
	s_cbranch_vccnz .LBB233_2161
; %bb.2160:
	global_store_dword v[4:5], v8, off
.LBB233_2161:
	s_mov_b64 s[0:1], 0
.LBB233_2162:
	s_andn2_b64 vcc, exec, s[0:1]
	s_cbranch_vccnz .LBB233_2164
; %bb.2163:
	v_cvt_f16_f32_e32 v1, v8
	global_store_short v[4:5], v1, off
.LBB233_2164:
	s_mov_b64 s[0:1], 0
.LBB233_2165:
	s_andn2_b64 vcc, exec, s[0:1]
	s_cbranch_vccnz .LBB233_2181
; %bb.2166:
	s_cmp_lt_i32 s2, 2
	s_mov_b64 s[0:1], -1
	s_cbranch_scc1 .LBB233_2176
; %bb.2167:
	s_cmp_lt_i32 s2, 3
	s_cbranch_scc1 .LBB233_2173
; %bb.2168:
	s_cmp_gt_i32 s2, 3
	s_cbranch_scc0 .LBB233_2170
; %bb.2169:
	v_trunc_f32_e32 v1, v8
	s_mov_b32 s0, 0x2f800000
	v_mul_f32_e64 v3, |v1|, s0
	v_floor_f32_e32 v3, v3
	s_mov_b32 s0, 0xcf800000
	v_cvt_u32_f32_e32 v6, v3
	v_fma_f32 v3, v3, s0, |v1|
	v_cvt_u32_f32_e32 v3, v3
	v_ashrrev_i32_e32 v1, 31, v1
	v_xor_b32_e32 v7, v6, v1
	s_mov_b64 s[0:1], 0
	v_xor_b32_e32 v3, v3, v1
	v_sub_co_u32_e32 v6, vcc, v3, v1
	s_nop 1
	v_subb_co_u32_e32 v7, vcc, v7, v1, vcc
	global_store_dwordx2 v[4:5], v[6:7], off
.LBB233_2170:
	s_andn2_b64 vcc, exec, s[0:1]
	s_cbranch_vccnz .LBB233_2172
; %bb.2171:
	v_cvt_i32_f32_e32 v1, v8
	global_store_dword v[4:5], v1, off
.LBB233_2172:
	s_mov_b64 s[0:1], 0
.LBB233_2173:
	s_andn2_b64 vcc, exec, s[0:1]
	s_cbranch_vccnz .LBB233_2175
; %bb.2174:
	v_cvt_i32_f32_e32 v1, v8
	global_store_short v[4:5], v1, off
.LBB233_2175:
	s_mov_b64 s[0:1], 0
.LBB233_2176:
	s_andn2_b64 vcc, exec, s[0:1]
	s_cbranch_vccnz .LBB233_2181
; %bb.2177:
	s_cmp_gt_i32 s2, 0
	s_mov_b64 s[0:1], -1
	s_cbranch_scc0 .LBB233_2179
; %bb.2178:
	v_cvt_i32_f32_e32 v1, v8
	s_mov_b64 s[0:1], 0
	global_store_byte v[4:5], v1, off
.LBB233_2179:
	s_andn2_b64 vcc, exec, s[0:1]
	s_cbranch_vccnz .LBB233_2181
; %bb.2180:
	v_trunc_f32_e32 v1, v8
	s_mov_b32 s0, 0x2f800000
	v_mul_f32_e64 v3, |v1|, s0
	v_floor_f32_e32 v3, v3
	s_mov_b32 s0, 0xcf800000
	v_fma_f32 v3, v3, s0, |v1|
	v_cvt_u32_f32_e32 v3, v3
	v_ashrrev_i32_e32 v1, 31, v1
	v_xor_b32_e32 v3, v3, v1
	v_sub_u32_e32 v1, v3, v1
	global_store_byte v[4:5], v1, off
.LBB233_2181:
	s_mov_b64 s[6:7], -1
.LBB233_2182:
	s_andn2_b64 vcc, exec, s[6:7]
	s_cbranch_vccnz .LBB233_2378
; %bb.2183:
	v_mov_b32_e32 v3, 0
	s_cmp_lt_i32 s14, 11
	v_lshl_add_u64 v[2:3], s[4:5], 0, v[2:3]
	s_cbranch_scc1 .LBB233_2261
; %bb.2184:
	s_and_b32 s15, 0xffff, s14
	s_mov_b64 s[10:11], -1
	s_mov_b64 s[2:3], 0
	s_cmp_gt_i32 s15, 25
	s_mov_b64 s[6:7], 0
	s_mov_b64 s[0:1], 0
	s_cbranch_scc0 .LBB233_2217
; %bb.2185:
	s_cmp_gt_i32 s15, 28
	s_cbranch_scc0 .LBB233_2200
; %bb.2186:
	s_cmp_gt_i32 s15, 43
	;; [unrolled: 3-line block ×3, first 2 shown]
	s_cbranch_scc0 .LBB233_2190
; %bb.2188:
	s_mov_b64 s[0:1], -1
	s_mov_b64 s[10:11], 0
	s_cmp_eq_u32 s15, 46
	s_cbranch_scc0 .LBB233_2190
; %bb.2189:
	s_movk_i32 s0, 0x7fff
	v_bfe_u32 v4, v15, 16, 1
	v_add3_u32 v4, v15, v4, s0
	v_bfe_u32 v1, v10, 16, 1
	v_and_b32_e32 v4, 0xffff0000, v4
	v_mov_b32_e32 v5, 0x7fc00000
	v_cmp_o_f32_e32 vcc, v15, v15
	v_add3_u32 v1, v10, v1, s0
	s_mov_b64 s[0:1], 0
	v_cndmask_b32_e32 v4, v5, v4, vcc
	v_cmp_o_f32_e32 vcc, v10, v10
	v_mov_b32_e32 v5, 0x7fc0
	s_mov_b64 s[6:7], -1
	v_cndmask_b32_sdwa v1, v5, v1, vcc dst_sel:DWORD dst_unused:UNUSED_PAD src0_sel:DWORD src1_sel:WORD_1
	v_or_b32_e32 v1, v4, v1
	global_store_dword v[2:3], v1, off
.LBB233_2190:
	s_and_b64 vcc, exec, s[10:11]
	s_cbranch_vccz .LBB233_2195
; %bb.2191:
	s_cmp_eq_u32 s15, 44
	s_mov_b64 s[0:1], -1
	s_cbranch_scc0 .LBB233_2195
; %bb.2192:
	v_bfe_u32 v1, v10, 23, 8
	s_movk_i32 s0, 0xff
	v_cmp_ne_u32_e32 vcc, s0, v1
	v_mov_b32_e32 v4, 0xff
	s_and_saveexec_b64 s[6:7], vcc
; %bb.2193:
	s_mov_b32 s0, 0x3fffff
	v_and_b32_e32 v5, 0x400000, v10
	v_and_or_b32 v1, v10, s0, v1
	v_cmp_ne_u32_e32 vcc, 0, v5
	v_cmp_ne_u32_e64 s[0:1], 0, v1
	s_and_b64 s[0:1], vcc, s[0:1]
	v_lshrrev_b32_e32 v4, 23, v10
	v_cndmask_b32_e64 v1, 0, 1, s[0:1]
	v_add_u32_e32 v4, v4, v1
; %bb.2194:
	s_or_b64 exec, exec, s[6:7]
	s_mov_b64 s[0:1], 0
	s_mov_b64 s[6:7], -1
	global_store_byte v[2:3], v4, off
.LBB233_2195:
	s_mov_b64 s[10:11], 0
.LBB233_2196:
	s_and_b64 vcc, exec, s[10:11]
	s_cbranch_vccz .LBB233_2199
; %bb.2197:
	s_cmp_eq_u32 s15, 29
	s_mov_b64 s[0:1], -1
	s_cbranch_scc0 .LBB233_2199
; %bb.2198:
	v_trunc_f32_e32 v1, v10
	v_mul_f32_e32 v4, 0x2f800000, v1
	v_floor_f32_e32 v4, v4
	v_fmamk_f32 v1, v4, 0xcf800000, v1
	v_cvt_u32_f32_e32 v5, v4
	v_cvt_u32_f32_e32 v4, v1
	s_mov_b64 s[0:1], 0
	s_mov_b64 s[6:7], -1
	global_store_dwordx2 v[2:3], v[4:5], off
.LBB233_2199:
	s_mov_b64 s[10:11], 0
.LBB233_2200:
	s_and_b64 vcc, exec, s[10:11]
	s_cbranch_vccz .LBB233_2216
; %bb.2201:
	s_cmp_lt_i32 s15, 27
	s_mov_b64 s[6:7], -1
	s_cbranch_scc1 .LBB233_2207
; %bb.2202:
	v_cvt_u32_f32_e32 v1, v10
	s_cmp_gt_i32 s15, 27
	s_cbranch_scc0 .LBB233_2204
; %bb.2203:
	s_mov_b64 s[6:7], 0
	global_store_dword v[2:3], v1, off
.LBB233_2204:
	s_andn2_b64 vcc, exec, s[6:7]
	s_cbranch_vccnz .LBB233_2206
; %bb.2205:
	global_store_short v[2:3], v1, off
.LBB233_2206:
	s_mov_b64 s[6:7], 0
.LBB233_2207:
	s_andn2_b64 vcc, exec, s[6:7]
	s_cbranch_vccnz .LBB233_2215
; %bb.2208:
	v_and_b32_e32 v1, 0x7fffffff, v10
	s_mov_b32 s6, 0x43800000
	v_cmp_gt_u32_e32 vcc, s6, v1
	v_mov_b32_e32 v4, 0x80
	s_and_saveexec_b64 s[6:7], vcc
	s_cbranch_execz .LBB233_2214
; %bb.2209:
	s_mov_b32 s10, 0x3bffffff
	v_cmp_lt_u32_e32 vcc, s10, v1
	s_mov_b64 s[10:11], 0
                                        ; implicit-def: $vgpr1
	s_and_saveexec_b64 s[12:13], vcc
	s_xor_b64 s[12:13], exec, s[12:13]
	s_cbranch_execz .LBB233_2391
; %bb.2210:
	v_bfe_u32 v1, v10, 20, 1
	s_mov_b32 s16, 0x487ffff
	v_add3_u32 v1, v10, v1, s16
	s_mov_b64 s[10:11], exec
	v_lshrrev_b32_e32 v1, 20, v1
	s_andn2_saveexec_b64 s[12:13], s[12:13]
	s_cbranch_execnz .LBB233_2392
.LBB233_2211:
	s_or_b64 exec, exec, s[12:13]
	v_mov_b32_e32 v4, 0
	s_and_saveexec_b64 s[12:13], s[10:11]
.LBB233_2212:
	v_lshrrev_b32_e32 v4, 24, v10
	s_movk_i32 s10, 0x80
	v_and_or_b32 v4, v4, s10, v1
.LBB233_2213:
	s_or_b64 exec, exec, s[12:13]
.LBB233_2214:
	s_or_b64 exec, exec, s[6:7]
	global_store_byte v[2:3], v4, off
.LBB233_2215:
	s_mov_b64 s[6:7], -1
.LBB233_2216:
	s_mov_b64 s[10:11], 0
.LBB233_2217:
	s_and_b64 vcc, exec, s[10:11]
	s_cbranch_vccz .LBB233_2257
; %bb.2218:
	s_cmp_gt_i32 s15, 22
	s_mov_b64 s[2:3], -1
	s_cbranch_scc0 .LBB233_2250
; %bb.2219:
	s_cmp_lt_i32 s15, 24
	s_cbranch_scc1 .LBB233_2239
; %bb.2220:
	s_cmp_gt_i32 s15, 24
	s_cbranch_scc0 .LBB233_2228
; %bb.2221:
	v_and_b32_e32 v1, 0x7fffffff, v10
	s_mov_b32 s2, 0x47800000
	v_cmp_gt_u32_e32 vcc, s2, v1
	v_mov_b32_e32 v4, 0x80
	s_and_saveexec_b64 s[2:3], vcc
	s_cbranch_execz .LBB233_2227
; %bb.2222:
	s_mov_b32 s6, 0x37ffffff
	v_cmp_lt_u32_e32 vcc, s6, v1
	s_mov_b64 s[6:7], 0
                                        ; implicit-def: $vgpr1
	s_and_saveexec_b64 s[10:11], vcc
	s_xor_b64 s[10:11], exec, s[10:11]
	s_cbranch_execz .LBB233_2394
; %bb.2223:
	v_bfe_u32 v1, v10, 21, 1
	s_mov_b32 s12, 0x88fffff
	v_add3_u32 v1, v10, v1, s12
	s_mov_b64 s[6:7], exec
	v_lshrrev_b32_e32 v1, 21, v1
	s_andn2_saveexec_b64 s[10:11], s[10:11]
	s_cbranch_execnz .LBB233_2395
.LBB233_2224:
	s_or_b64 exec, exec, s[10:11]
	v_mov_b32_e32 v4, 0
	s_and_saveexec_b64 s[10:11], s[6:7]
.LBB233_2225:
	v_lshrrev_b32_e32 v4, 24, v10
	s_movk_i32 s6, 0x80
	v_and_or_b32 v4, v4, s6, v1
.LBB233_2226:
	s_or_b64 exec, exec, s[10:11]
.LBB233_2227:
	s_or_b64 exec, exec, s[2:3]
	s_mov_b64 s[2:3], 0
	global_store_byte v[2:3], v4, off
.LBB233_2228:
	s_and_b64 vcc, exec, s[2:3]
	s_cbranch_vccz .LBB233_2238
; %bb.2229:
	v_and_b32_e32 v4, 0x7fffffff, v10
	s_mov_b32 s2, 0x43f00000
	v_cmp_gt_u32_e32 vcc, s2, v4
                                        ; implicit-def: $vgpr1
	s_and_saveexec_b64 s[2:3], vcc
	s_xor_b64 s[2:3], exec, s[2:3]
	s_cbranch_execz .LBB233_2235
; %bb.2230:
	s_mov_b32 s6, 0x3c7fffff
	v_cmp_lt_u32_e32 vcc, s6, v4
                                        ; implicit-def: $vgpr1
	s_and_saveexec_b64 s[6:7], vcc
	s_xor_b64 s[6:7], exec, s[6:7]
; %bb.2231:
	v_bfe_u32 v1, v10, 20, 1
	s_mov_b32 s10, 0x407ffff
	v_add3_u32 v1, v10, v1, s10
	v_lshrrev_b32_e32 v4, 20, v1
	v_and_b32_e32 v1, 0xff00000, v1
	s_mov_b32 s10, 0x7f00000
	v_mov_b32_e32 v5, 0x7e
	v_cmp_ne_u32_e32 vcc, s10, v1
	s_nop 1
	v_cndmask_b32_e32 v1, v5, v4, vcc
; %bb.2232:
	s_andn2_saveexec_b64 s[6:7], s[6:7]
; %bb.2233:
	s_mov_b32 s10, 0x46800000
	v_add_f32_e64 v1, |v10|, s10
; %bb.2234:
	s_or_b64 exec, exec, s[6:7]
                                        ; implicit-def: $vgpr4
.LBB233_2235:
	s_andn2_saveexec_b64 s[2:3], s[2:3]
; %bb.2236:
	s_mov_b32 s6, 0x7f800000
	v_mov_b32_e32 v1, 0x7e
	v_mov_b32_e32 v5, 0x7f
	v_cmp_lt_u32_e32 vcc, s6, v4
	s_nop 1
	v_cndmask_b32_e32 v1, v1, v5, vcc
; %bb.2237:
	s_or_b64 exec, exec, s[2:3]
	v_lshrrev_b32_e32 v4, 24, v10
	s_movk_i32 s2, 0x80
	v_and_or_b32 v1, v4, s2, v1
	global_store_byte v[2:3], v1, off
.LBB233_2238:
	s_mov_b64 s[2:3], 0
.LBB233_2239:
	s_andn2_b64 vcc, exec, s[2:3]
	s_cbranch_vccnz .LBB233_2249
; %bb.2240:
	v_and_b32_e32 v4, 0x7fffffff, v10
	s_mov_b32 s2, 0x47800000
	v_cmp_gt_u32_e32 vcc, s2, v4
                                        ; implicit-def: $vgpr1
	s_and_saveexec_b64 s[2:3], vcc
	s_xor_b64 s[2:3], exec, s[2:3]
	s_cbranch_execz .LBB233_2246
; %bb.2241:
	s_mov_b32 s6, 0x387fffff
	v_cmp_lt_u32_e32 vcc, s6, v4
                                        ; implicit-def: $vgpr1
	s_and_saveexec_b64 s[6:7], vcc
	s_xor_b64 s[6:7], exec, s[6:7]
; %bb.2242:
	v_bfe_u32 v1, v10, 21, 1
	s_mov_b32 s10, 0x80fffff
	v_add3_u32 v1, v10, v1, s10
	v_lshrrev_b32_e32 v1, 21, v1
; %bb.2243:
	s_andn2_saveexec_b64 s[6:7], s[6:7]
; %bb.2244:
	s_mov_b32 s10, 0x43000000
	v_add_f32_e64 v1, |v10|, s10
; %bb.2245:
	s_or_b64 exec, exec, s[6:7]
                                        ; implicit-def: $vgpr4
.LBB233_2246:
	s_andn2_saveexec_b64 s[2:3], s[2:3]
; %bb.2247:
	s_mov_b32 s6, 0x7f800000
	v_mov_b32_e32 v1, 0x7c
	v_mov_b32_e32 v5, 0x7f
	v_cmp_lt_u32_e32 vcc, s6, v4
	s_nop 1
	v_cndmask_b32_e32 v1, v1, v5, vcc
; %bb.2248:
	s_or_b64 exec, exec, s[2:3]
	v_lshrrev_b32_e32 v4, 24, v10
	s_movk_i32 s2, 0x80
	v_and_or_b32 v1, v4, s2, v1
	global_store_byte v[2:3], v1, off
.LBB233_2249:
	s_mov_b64 s[2:3], 0
	s_mov_b64 s[6:7], -1
.LBB233_2250:
	s_andn2_b64 vcc, exec, s[2:3]
	s_mov_b64 s[2:3], 0
	s_cbranch_vccnz .LBB233_2257
; %bb.2251:
	s_cmp_gt_i32 s15, 14
	s_mov_b64 s[10:11], -1
	s_cbranch_scc0 .LBB233_2255
; %bb.2252:
	s_cmp_eq_u32 s15, 15
	s_mov_b64 s[0:1], -1
	s_cbranch_scc0 .LBB233_2254
; %bb.2253:
	v_bfe_u32 v1, v10, 16, 1
	s_movk_i32 s0, 0x7fff
	v_add3_u32 v1, v10, v1, s0
	v_cmp_o_f32_e32 vcc, v10, v10
	v_mov_b32_e32 v4, 0x7fc0
	s_mov_b64 s[0:1], 0
	v_cndmask_b32_sdwa v1, v4, v1, vcc dst_sel:DWORD dst_unused:UNUSED_PAD src0_sel:DWORD src1_sel:WORD_1
	global_store_short v[2:3], v1, off
	s_mov_b64 s[6:7], -1
.LBB233_2254:
	s_mov_b64 s[10:11], 0
.LBB233_2255:
	s_and_b64 vcc, exec, s[10:11]
	s_cbranch_vccz .LBB233_2257
; %bb.2256:
	s_cmp_lg_u32 s15, 11
	s_mov_b64 s[2:3], -1
	s_cselect_b64 s[0:1], -1, 0
.LBB233_2257:
	s_and_b64 vcc, exec, s[0:1]
	s_cbranch_vccnz .LBB233_2393
; %bb.2258:
	s_andn2_b64 vcc, exec, s[2:3]
	s_cbranch_vccnz .LBB233_2260
.LBB233_2259:
	v_cmp_neq_f32_e32 vcc, 0, v10
	v_cmp_neq_f32_e64 s[0:1], 0, v15
	s_or_b64 s[0:1], vcc, s[0:1]
	s_mov_b64 s[6:7], -1
	v_cndmask_b32_e64 v1, 0, 1, s[0:1]
	global_store_byte v[2:3], v1, off
.LBB233_2260:
	s_mov_b64 s[0:1], 0
	s_branch .LBB233_2262
.LBB233_2261:
	s_mov_b64 s[0:1], -1
	s_mov_b64 s[6:7], 0
.LBB233_2262:
	s_and_b64 vcc, exec, s[0:1]
	s_cbranch_vccz .LBB233_2301
; %bb.2263:
	s_and_b32 s2, 0xffff, s14
	s_cmp_lt_i32 s2, 5
	s_mov_b64 s[0:1], -1
	s_cbranch_scc1 .LBB233_2284
; %bb.2264:
	s_cmp_lt_i32 s2, 8
	s_cbranch_scc1 .LBB233_2274
; %bb.2265:
	s_cmp_lt_i32 s2, 9
	s_cbranch_scc1 .LBB233_2271
; %bb.2266:
	s_cmp_gt_i32 s2, 9
	s_cbranch_scc0 .LBB233_2268
; %bb.2267:
	v_cvt_f64_f32_e32 v[4:5], v10
	v_cvt_f64_f32_e32 v[6:7], v15
	global_store_dwordx4 v[2:3], v[4:7], off
	s_mov_b64 s[0:1], 0
.LBB233_2268:
	s_andn2_b64 vcc, exec, s[0:1]
	s_cbranch_vccnz .LBB233_2270
; %bb.2269:
	v_mov_b32_e32 v11, v15
	global_store_dwordx2 v[2:3], v[10:11], off
.LBB233_2270:
	s_mov_b64 s[0:1], 0
.LBB233_2271:
	s_andn2_b64 vcc, exec, s[0:1]
	s_cbranch_vccnz .LBB233_2273
; %bb.2272:
	v_cvt_f16_f32_e32 v1, v10
	v_cvt_f16_f32_sdwa v4, v15 dst_sel:WORD_1 dst_unused:UNUSED_PAD src0_sel:DWORD
	s_nop 0
	v_or_b32_e32 v1, v4, v1
	global_store_dword v[2:3], v1, off
.LBB233_2273:
	s_mov_b64 s[0:1], 0
.LBB233_2274:
	s_andn2_b64 vcc, exec, s[0:1]
	s_cbranch_vccnz .LBB233_2283
; %bb.2275:
	s_cmp_lt_i32 s2, 6
	s_mov_b64 s[0:1], -1
	s_cbranch_scc1 .LBB233_2281
; %bb.2276:
	s_cmp_gt_i32 s2, 6
	s_cbranch_scc0 .LBB233_2278
; %bb.2277:
	v_cvt_f64_f32_e32 v[4:5], v10
	global_store_dwordx2 v[2:3], v[4:5], off
	s_mov_b64 s[0:1], 0
.LBB233_2278:
	s_andn2_b64 vcc, exec, s[0:1]
	s_cbranch_vccnz .LBB233_2280
; %bb.2279:
	global_store_dword v[2:3], v10, off
.LBB233_2280:
	s_mov_b64 s[0:1], 0
.LBB233_2281:
	s_andn2_b64 vcc, exec, s[0:1]
	s_cbranch_vccnz .LBB233_2283
; %bb.2282:
	v_cvt_f16_f32_e32 v1, v10
	global_store_short v[2:3], v1, off
.LBB233_2283:
	s_mov_b64 s[0:1], 0
.LBB233_2284:
	s_andn2_b64 vcc, exec, s[0:1]
	s_cbranch_vccnz .LBB233_2300
; %bb.2285:
	s_cmp_lt_i32 s2, 2
	s_mov_b64 s[0:1], -1
	s_cbranch_scc1 .LBB233_2295
; %bb.2286:
	s_cmp_lt_i32 s2, 3
	s_cbranch_scc1 .LBB233_2292
; %bb.2287:
	s_cmp_gt_i32 s2, 3
	s_cbranch_scc0 .LBB233_2289
; %bb.2288:
	v_trunc_f32_e32 v1, v10
	s_mov_b32 s0, 0x2f800000
	v_mul_f32_e64 v4, |v1|, s0
	v_floor_f32_e32 v4, v4
	s_mov_b32 s0, 0xcf800000
	v_cvt_u32_f32_e32 v5, v4
	v_fma_f32 v4, v4, s0, |v1|
	v_cvt_u32_f32_e32 v4, v4
	v_ashrrev_i32_e32 v1, 31, v1
	v_xor_b32_e32 v5, v5, v1
	s_mov_b64 s[0:1], 0
	v_xor_b32_e32 v4, v4, v1
	v_sub_co_u32_e32 v4, vcc, v4, v1
	s_nop 1
	v_subb_co_u32_e32 v5, vcc, v5, v1, vcc
	global_store_dwordx2 v[2:3], v[4:5], off
.LBB233_2289:
	s_andn2_b64 vcc, exec, s[0:1]
	s_cbranch_vccnz .LBB233_2291
; %bb.2290:
	v_cvt_i32_f32_e32 v1, v10
	global_store_dword v[2:3], v1, off
.LBB233_2291:
	s_mov_b64 s[0:1], 0
.LBB233_2292:
	s_andn2_b64 vcc, exec, s[0:1]
	s_cbranch_vccnz .LBB233_2294
; %bb.2293:
	v_cvt_i32_f32_e32 v1, v10
	global_store_short v[2:3], v1, off
.LBB233_2294:
	s_mov_b64 s[0:1], 0
.LBB233_2295:
	s_andn2_b64 vcc, exec, s[0:1]
	s_cbranch_vccnz .LBB233_2300
; %bb.2296:
	s_cmp_gt_i32 s2, 0
	s_mov_b64 s[0:1], -1
	s_cbranch_scc0 .LBB233_2298
; %bb.2297:
	v_cvt_i32_f32_e32 v1, v10
	s_mov_b64 s[0:1], 0
	global_store_byte v[2:3], v1, off
.LBB233_2298:
	s_andn2_b64 vcc, exec, s[0:1]
	s_cbranch_vccnz .LBB233_2300
; %bb.2299:
	v_trunc_f32_e32 v1, v10
	s_mov_b32 s0, 0x2f800000
	v_mul_f32_e64 v4, |v1|, s0
	v_floor_f32_e32 v4, v4
	s_mov_b32 s0, 0xcf800000
	v_fma_f32 v4, v4, s0, |v1|
	v_cvt_u32_f32_e32 v4, v4
	v_ashrrev_i32_e32 v1, 31, v1
	v_xor_b32_e32 v4, v4, v1
	v_sub_u32_e32 v1, v4, v1
	global_store_byte v[2:3], v1, off
.LBB233_2300:
	s_mov_b64 s[6:7], -1
.LBB233_2301:
	s_andn2_b64 vcc, exec, s[6:7]
	s_cbranch_vccnz .LBB233_2378
; %bb.2302:
	v_mov_b32_e32 v1, 0
	s_cmp_lt_i32 s14, 11
	v_lshl_add_u64 v[0:1], s[4:5], 0, v[0:1]
	s_cbranch_scc1 .LBB233_2379
; %bb.2303:
	s_and_b32 s12, 0xffff, s14
	s_mov_b64 s[4:5], -1
	s_mov_b64 s[2:3], 0
	s_cmp_gt_i32 s12, 25
	s_mov_b64 s[0:1], 0
	s_cbranch_scc0 .LBB233_2336
; %bb.2304:
	s_cmp_gt_i32 s12, 28
	s_cbranch_scc0 .LBB233_2320
; %bb.2305:
	s_cmp_gt_i32 s12, 43
	;; [unrolled: 3-line block ×3, first 2 shown]
	s_cbranch_scc0 .LBB233_2310
; %bb.2307:
	s_cmp_eq_u32 s12, 46
	s_mov_b64 s[0:1], -1
	s_cbranch_scc0 .LBB233_2309
; %bb.2308:
	s_movk_i32 s0, 0x7fff
	v_bfe_u32 v3, v17, 16, 1
	v_add3_u32 v3, v17, v3, s0
	v_bfe_u32 v2, v14, 16, 1
	v_and_b32_e32 v3, 0xffff0000, v3
	v_mov_b32_e32 v4, 0x7fc00000
	v_cmp_o_f32_e32 vcc, v17, v17
	v_add3_u32 v2, v14, v2, s0
	s_mov_b64 s[0:1], 0
	v_cndmask_b32_e32 v3, v4, v3, vcc
	v_cmp_o_f32_e32 vcc, v14, v14
	v_mov_b32_e32 v4, 0x7fc0
	s_nop 0
	v_cndmask_b32_sdwa v2, v4, v2, vcc dst_sel:DWORD dst_unused:UNUSED_PAD src0_sel:DWORD src1_sel:WORD_1
	v_or_b32_e32 v2, v3, v2
	global_store_dword v[0:1], v2, off
.LBB233_2309:
	s_mov_b64 s[4:5], 0
.LBB233_2310:
	s_and_b64 vcc, exec, s[4:5]
	s_cbranch_vccz .LBB233_2315
; %bb.2311:
	s_cmp_eq_u32 s12, 44
	s_mov_b64 s[0:1], -1
	s_cbranch_scc0 .LBB233_2315
; %bb.2312:
	v_bfe_u32 v2, v14, 23, 8
	s_movk_i32 s0, 0xff
	v_cmp_ne_u32_e32 vcc, s0, v2
	v_mov_b32_e32 v3, 0xff
	s_and_saveexec_b64 s[4:5], vcc
; %bb.2313:
	s_mov_b32 s0, 0x3fffff
	v_and_b32_e32 v4, 0x400000, v14
	v_and_or_b32 v2, v14, s0, v2
	v_cmp_ne_u32_e32 vcc, 0, v4
	v_cmp_ne_u32_e64 s[0:1], 0, v2
	s_and_b64 s[0:1], vcc, s[0:1]
	v_lshrrev_b32_e32 v3, 23, v14
	v_cndmask_b32_e64 v2, 0, 1, s[0:1]
	v_add_u32_e32 v3, v3, v2
; %bb.2314:
	s_or_b64 exec, exec, s[4:5]
	s_mov_b64 s[0:1], 0
	global_store_byte v[0:1], v3, off
.LBB233_2315:
	s_mov_b64 s[4:5], 0
.LBB233_2316:
	s_and_b64 vcc, exec, s[4:5]
	s_cbranch_vccz .LBB233_2319
; %bb.2317:
	s_cmp_eq_u32 s12, 29
	s_mov_b64 s[0:1], -1
	s_cbranch_scc0 .LBB233_2319
; %bb.2318:
	v_trunc_f32_e32 v2, v14
	v_mul_f32_e32 v3, 0x2f800000, v2
	v_floor_f32_e32 v4, v3
	v_fmamk_f32 v2, v4, 0xcf800000, v2
	v_cvt_u32_f32_e32 v3, v4
	v_cvt_u32_f32_e32 v2, v2
	s_mov_b64 s[0:1], 0
	global_store_dwordx2 v[0:1], v[2:3], off
.LBB233_2319:
	s_mov_b64 s[4:5], 0
.LBB233_2320:
	s_and_b64 vcc, exec, s[4:5]
	s_cbranch_vccz .LBB233_2335
; %bb.2321:
	s_cmp_lt_i32 s12, 27
	s_mov_b64 s[4:5], -1
	s_cbranch_scc1 .LBB233_2327
; %bb.2322:
	s_cmp_gt_i32 s12, 27
	s_cbranch_scc0 .LBB233_2324
; %bb.2323:
	v_cvt_u32_f32_e32 v2, v14
	s_mov_b64 s[4:5], 0
	global_store_dword v[0:1], v2, off
.LBB233_2324:
	s_andn2_b64 vcc, exec, s[4:5]
	s_cbranch_vccnz .LBB233_2326
; %bb.2325:
	v_cvt_u32_f32_e32 v2, v14
	global_store_short v[0:1], v2, off
.LBB233_2326:
	s_mov_b64 s[4:5], 0
.LBB233_2327:
	s_andn2_b64 vcc, exec, s[4:5]
	s_cbranch_vccnz .LBB233_2335
; %bb.2328:
	v_and_b32_e32 v2, 0x7fffffff, v14
	s_mov_b32 s4, 0x43800000
	v_cmp_gt_u32_e32 vcc, s4, v2
	v_mov_b32_e32 v3, 0x80
	s_and_saveexec_b64 s[4:5], vcc
	s_cbranch_execz .LBB233_2334
; %bb.2329:
	s_mov_b32 s6, 0x3bffffff
	v_cmp_lt_u32_e32 vcc, s6, v2
	s_mov_b64 s[6:7], 0
                                        ; implicit-def: $vgpr2
	s_and_saveexec_b64 s[10:11], vcc
	s_xor_b64 s[10:11], exec, s[10:11]
	s_cbranch_execz .LBB233_2396
; %bb.2330:
	v_bfe_u32 v2, v14, 20, 1
	s_mov_b32 s13, 0x487ffff
	v_add3_u32 v2, v14, v2, s13
	s_mov_b64 s[6:7], exec
	v_lshrrev_b32_e32 v2, 20, v2
	s_andn2_saveexec_b64 s[10:11], s[10:11]
	s_cbranch_execnz .LBB233_2397
.LBB233_2331:
	s_or_b64 exec, exec, s[10:11]
	v_mov_b32_e32 v3, 0
	s_and_saveexec_b64 s[10:11], s[6:7]
.LBB233_2332:
	v_lshrrev_b32_e32 v3, 24, v14
	s_movk_i32 s6, 0x80
	v_and_or_b32 v3, v3, s6, v2
.LBB233_2333:
	s_or_b64 exec, exec, s[10:11]
.LBB233_2334:
	s_or_b64 exec, exec, s[4:5]
	global_store_byte v[0:1], v3, off
.LBB233_2335:
	s_mov_b64 s[4:5], 0
.LBB233_2336:
	s_and_b64 vcc, exec, s[4:5]
	s_cbranch_vccz .LBB233_2376
; %bb.2337:
	s_cmp_gt_i32 s12, 22
	s_mov_b64 s[2:3], -1
	s_cbranch_scc0 .LBB233_2369
; %bb.2338:
	s_cmp_lt_i32 s12, 24
	s_cbranch_scc1 .LBB233_2358
; %bb.2339:
	s_cmp_gt_i32 s12, 24
	s_cbranch_scc0 .LBB233_2347
; %bb.2340:
	v_and_b32_e32 v2, 0x7fffffff, v14
	s_mov_b32 s2, 0x47800000
	v_cmp_gt_u32_e32 vcc, s2, v2
	v_mov_b32_e32 v3, 0x80
	s_and_saveexec_b64 s[2:3], vcc
	s_cbranch_execz .LBB233_2346
; %bb.2341:
	s_mov_b32 s4, 0x37ffffff
	v_cmp_lt_u32_e32 vcc, s4, v2
	s_mov_b64 s[4:5], 0
                                        ; implicit-def: $vgpr2
	s_and_saveexec_b64 s[6:7], vcc
	s_xor_b64 s[6:7], exec, s[6:7]
	s_cbranch_execz .LBB233_2399
; %bb.2342:
	v_bfe_u32 v2, v14, 21, 1
	s_mov_b32 s10, 0x88fffff
	v_add3_u32 v2, v14, v2, s10
	s_mov_b64 s[4:5], exec
	v_lshrrev_b32_e32 v2, 21, v2
	s_andn2_saveexec_b64 s[6:7], s[6:7]
	s_cbranch_execnz .LBB233_2400
.LBB233_2343:
	s_or_b64 exec, exec, s[6:7]
	v_mov_b32_e32 v3, 0
	s_and_saveexec_b64 s[6:7], s[4:5]
.LBB233_2344:
	v_lshrrev_b32_e32 v3, 24, v14
	s_movk_i32 s4, 0x80
	v_and_or_b32 v3, v3, s4, v2
.LBB233_2345:
	s_or_b64 exec, exec, s[6:7]
.LBB233_2346:
	s_or_b64 exec, exec, s[2:3]
	s_mov_b64 s[2:3], 0
	global_store_byte v[0:1], v3, off
.LBB233_2347:
	s_and_b64 vcc, exec, s[2:3]
	s_cbranch_vccz .LBB233_2357
; %bb.2348:
	v_and_b32_e32 v3, 0x7fffffff, v14
	s_mov_b32 s2, 0x43f00000
	v_cmp_gt_u32_e32 vcc, s2, v3
                                        ; implicit-def: $vgpr2
	s_and_saveexec_b64 s[2:3], vcc
	s_xor_b64 s[2:3], exec, s[2:3]
	s_cbranch_execz .LBB233_2354
; %bb.2349:
	s_mov_b32 s4, 0x3c7fffff
	v_cmp_lt_u32_e32 vcc, s4, v3
                                        ; implicit-def: $vgpr2
	s_and_saveexec_b64 s[4:5], vcc
	s_xor_b64 s[4:5], exec, s[4:5]
; %bb.2350:
	v_bfe_u32 v2, v14, 20, 1
	s_mov_b32 s6, 0x407ffff
	v_add3_u32 v2, v14, v2, s6
	v_lshrrev_b32_e32 v3, 20, v2
	v_and_b32_e32 v2, 0xff00000, v2
	s_mov_b32 s6, 0x7f00000
	v_mov_b32_e32 v4, 0x7e
	v_cmp_ne_u32_e32 vcc, s6, v2
	s_nop 1
	v_cndmask_b32_e32 v2, v4, v3, vcc
; %bb.2351:
	s_andn2_saveexec_b64 s[4:5], s[4:5]
; %bb.2352:
	s_mov_b32 s6, 0x46800000
	v_add_f32_e64 v2, |v14|, s6
; %bb.2353:
	s_or_b64 exec, exec, s[4:5]
                                        ; implicit-def: $vgpr3
.LBB233_2354:
	s_andn2_saveexec_b64 s[2:3], s[2:3]
; %bb.2355:
	s_mov_b32 s4, 0x7f800000
	v_mov_b32_e32 v2, 0x7e
	v_mov_b32_e32 v4, 0x7f
	v_cmp_lt_u32_e32 vcc, s4, v3
	s_nop 1
	v_cndmask_b32_e32 v2, v2, v4, vcc
; %bb.2356:
	s_or_b64 exec, exec, s[2:3]
	v_lshrrev_b32_e32 v3, 24, v14
	s_movk_i32 s2, 0x80
	v_and_or_b32 v2, v3, s2, v2
	global_store_byte v[0:1], v2, off
.LBB233_2357:
	s_mov_b64 s[2:3], 0
.LBB233_2358:
	s_andn2_b64 vcc, exec, s[2:3]
	s_cbranch_vccnz .LBB233_2368
; %bb.2359:
	v_and_b32_e32 v3, 0x7fffffff, v14
	s_mov_b32 s2, 0x47800000
	v_cmp_gt_u32_e32 vcc, s2, v3
                                        ; implicit-def: $vgpr2
	s_and_saveexec_b64 s[2:3], vcc
	s_xor_b64 s[2:3], exec, s[2:3]
	s_cbranch_execz .LBB233_2365
; %bb.2360:
	s_mov_b32 s4, 0x387fffff
	v_cmp_lt_u32_e32 vcc, s4, v3
                                        ; implicit-def: $vgpr2
	s_and_saveexec_b64 s[4:5], vcc
	s_xor_b64 s[4:5], exec, s[4:5]
; %bb.2361:
	v_bfe_u32 v2, v14, 21, 1
	s_mov_b32 s6, 0x80fffff
	v_add3_u32 v2, v14, v2, s6
	v_lshrrev_b32_e32 v2, 21, v2
; %bb.2362:
	s_andn2_saveexec_b64 s[4:5], s[4:5]
; %bb.2363:
	s_mov_b32 s6, 0x43000000
	v_add_f32_e64 v2, |v14|, s6
; %bb.2364:
	s_or_b64 exec, exec, s[4:5]
                                        ; implicit-def: $vgpr3
.LBB233_2365:
	s_andn2_saveexec_b64 s[2:3], s[2:3]
; %bb.2366:
	s_mov_b32 s4, 0x7f800000
	v_mov_b32_e32 v2, 0x7c
	v_mov_b32_e32 v4, 0x7f
	v_cmp_lt_u32_e32 vcc, s4, v3
	s_nop 1
	v_cndmask_b32_e32 v2, v2, v4, vcc
; %bb.2367:
	s_or_b64 exec, exec, s[2:3]
	v_lshrrev_b32_e32 v3, 24, v14
	s_movk_i32 s2, 0x80
	v_and_or_b32 v2, v3, s2, v2
	global_store_byte v[0:1], v2, off
.LBB233_2368:
	s_mov_b64 s[2:3], 0
.LBB233_2369:
	s_andn2_b64 vcc, exec, s[2:3]
	s_mov_b64 s[2:3], 0
	s_cbranch_vccnz .LBB233_2376
; %bb.2370:
	s_cmp_gt_i32 s12, 14
	s_mov_b64 s[4:5], -1
	s_cbranch_scc0 .LBB233_2374
; %bb.2371:
	s_cmp_eq_u32 s12, 15
	s_mov_b64 s[0:1], -1
	s_cbranch_scc0 .LBB233_2373
; %bb.2372:
	v_bfe_u32 v2, v14, 16, 1
	s_movk_i32 s0, 0x7fff
	v_add3_u32 v2, v14, v2, s0
	v_cmp_o_f32_e32 vcc, v14, v14
	v_mov_b32_e32 v3, 0x7fc0
	s_mov_b64 s[0:1], 0
	v_cndmask_b32_sdwa v2, v3, v2, vcc dst_sel:DWORD dst_unused:UNUSED_PAD src0_sel:DWORD src1_sel:WORD_1
	global_store_short v[0:1], v2, off
.LBB233_2373:
	s_mov_b64 s[4:5], 0
.LBB233_2374:
	s_and_b64 vcc, exec, s[4:5]
	s_cbranch_vccz .LBB233_2376
; %bb.2375:
	s_cmp_lg_u32 s12, 11
	s_mov_b64 s[2:3], -1
	s_cselect_b64 s[0:1], -1, 0
.LBB233_2376:
	s_and_b64 vcc, exec, s[0:1]
	s_cbranch_vccnz .LBB233_2398
.LBB233_2377:
	s_mov_b64 s[0:1], 0
	s_branch .LBB233_1883
.LBB233_2378:
	s_mov_b64 s[0:1], 0
                                        ; implicit-def: $vgpr0_vgpr1
                                        ; implicit-def: $sgpr14
	s_branch .LBB233_1882
.LBB233_2379:
	s_mov_b64 s[2:3], 0
	s_mov_b64 s[0:1], -1
	s_branch .LBB233_1883
.LBB233_2380:
	s_trap 2
	s_or_b64 s[8:9], s[8:9], exec
	s_cbranch_execz .LBB233_1817
	s_branch .LBB233_1818
.LBB233_2381:
	s_andn2_saveexec_b64 s[12:13], s[12:13]
	s_cbranch_execz .LBB233_1973
.LBB233_2382:
	s_mov_b32 s16, 0x46000000
	v_add_f32_e64 v1, |v12|, s16
	v_and_b32_e32 v1, 0xff, v1
	v_cmp_ne_u32_e32 vcc, 0, v1
	s_andn2_b64 s[10:11], s[10:11], exec
	s_and_b64 s[16:17], vcc, exec
	s_or_b64 s[10:11], s[10:11], s[16:17]
	s_or_b64 exec, exec, s[12:13]
	v_mov_b32_e32 v3, 0
	s_and_saveexec_b64 s[12:13], s[10:11]
	s_cbranch_execnz .LBB233_1974
	s_branch .LBB233_1975
.LBB233_2383:
	s_trap 2
	s_or_b64 s[8:9], s[8:9], exec
	s_cbranch_execz .LBB233_2021
	s_branch .LBB233_2022
.LBB233_2384:
	s_andn2_saveexec_b64 s[10:11], s[10:11]
	s_cbranch_execz .LBB233_1986
.LBB233_2385:
	s_mov_b32 s12, 0x42800000
	v_add_f32_e64 v1, |v12|, s12
	v_and_b32_e32 v1, 0xff, v1
	v_cmp_ne_u32_e32 vcc, 0, v1
	s_andn2_b64 s[6:7], s[6:7], exec
	s_and_b64 s[12:13], vcc, exec
	s_or_b64 s[6:7], s[6:7], s[12:13]
	s_or_b64 exec, exec, s[10:11]
	v_mov_b32_e32 v3, 0
	s_and_saveexec_b64 s[10:11], s[6:7]
	s_cbranch_execnz .LBB233_1987
	s_branch .LBB233_1988
.LBB233_2386:
	s_andn2_saveexec_b64 s[12:13], s[12:13]
	s_cbranch_execz .LBB233_2092
.LBB233_2387:
	s_mov_b32 s16, 0x46000000
	v_add_f32_e64 v1, |v8|, s16
	v_and_b32_e32 v1, 0xff, v1
	v_cmp_ne_u32_e32 vcc, 0, v1
	s_andn2_b64 s[10:11], s[10:11], exec
	s_and_b64 s[16:17], vcc, exec
	s_or_b64 s[10:11], s[10:11], s[16:17]
	s_or_b64 exec, exec, s[12:13]
	v_mov_b32_e32 v3, 0
	s_and_saveexec_b64 s[12:13], s[10:11]
	s_cbranch_execnz .LBB233_2093
	s_branch .LBB233_2094
.LBB233_2388:
	s_trap 2
	s_or_b64 s[8:9], s[8:9], exec
	s_cbranch_execz .LBB233_2140
	s_branch .LBB233_2141
.LBB233_2389:
	s_andn2_saveexec_b64 s[10:11], s[10:11]
	s_cbranch_execz .LBB233_2105
.LBB233_2390:
	s_mov_b32 s12, 0x42800000
	v_add_f32_e64 v1, |v8|, s12
	v_and_b32_e32 v1, 0xff, v1
	v_cmp_ne_u32_e32 vcc, 0, v1
	s_andn2_b64 s[6:7], s[6:7], exec
	s_and_b64 s[12:13], vcc, exec
	s_or_b64 s[6:7], s[6:7], s[12:13]
	s_or_b64 exec, exec, s[10:11]
	v_mov_b32_e32 v3, 0
	s_and_saveexec_b64 s[10:11], s[6:7]
	s_cbranch_execnz .LBB233_2106
	s_branch .LBB233_2107
.LBB233_2391:
	s_andn2_saveexec_b64 s[12:13], s[12:13]
	s_cbranch_execz .LBB233_2211
.LBB233_2392:
	s_mov_b32 s16, 0x46000000
	v_add_f32_e64 v1, |v10|, s16
	v_and_b32_e32 v1, 0xff, v1
	v_cmp_ne_u32_e32 vcc, 0, v1
	s_andn2_b64 s[10:11], s[10:11], exec
	s_and_b64 s[16:17], vcc, exec
	s_or_b64 s[10:11], s[10:11], s[16:17]
	s_or_b64 exec, exec, s[12:13]
	v_mov_b32_e32 v4, 0
	s_and_saveexec_b64 s[12:13], s[10:11]
	s_cbranch_execnz .LBB233_2212
	s_branch .LBB233_2213
.LBB233_2393:
	s_trap 2
	s_or_b64 s[8:9], s[8:9], exec
	s_cbranch_execz .LBB233_2259
	s_branch .LBB233_2260
.LBB233_2394:
	s_andn2_saveexec_b64 s[10:11], s[10:11]
	s_cbranch_execz .LBB233_2224
.LBB233_2395:
	s_mov_b32 s12, 0x42800000
	v_add_f32_e64 v1, |v10|, s12
	v_and_b32_e32 v1, 0xff, v1
	v_cmp_ne_u32_e32 vcc, 0, v1
	s_andn2_b64 s[6:7], s[6:7], exec
	s_and_b64 s[12:13], vcc, exec
	s_or_b64 s[6:7], s[6:7], s[12:13]
	s_or_b64 exec, exec, s[10:11]
	v_mov_b32_e32 v4, 0
	s_and_saveexec_b64 s[10:11], s[6:7]
	s_cbranch_execnz .LBB233_2225
	s_branch .LBB233_2226
.LBB233_2396:
	s_andn2_saveexec_b64 s[10:11], s[10:11]
	s_cbranch_execz .LBB233_2331
.LBB233_2397:
	s_mov_b32 s13, 0x46000000
	v_add_f32_e64 v2, |v14|, s13
	v_and_b32_e32 v2, 0xff, v2
	v_cmp_ne_u32_e32 vcc, 0, v2
	s_andn2_b64 s[6:7], s[6:7], exec
	s_and_b64 s[16:17], vcc, exec
	s_or_b64 s[6:7], s[6:7], s[16:17]
	s_or_b64 exec, exec, s[10:11]
	v_mov_b32_e32 v3, 0
	s_and_saveexec_b64 s[10:11], s[6:7]
	s_cbranch_execnz .LBB233_2332
	s_branch .LBB233_2333
.LBB233_2398:
	s_mov_b64 s[2:3], 0
	s_or_b64 s[8:9], s[8:9], exec
	s_trap 2
	s_branch .LBB233_2377
.LBB233_2399:
	s_andn2_saveexec_b64 s[6:7], s[6:7]
	s_cbranch_execz .LBB233_2343
.LBB233_2400:
	s_mov_b32 s10, 0x42800000
	v_add_f32_e64 v2, |v14|, s10
	v_and_b32_e32 v2, 0xff, v2
	v_cmp_ne_u32_e32 vcc, 0, v2
	s_andn2_b64 s[4:5], s[4:5], exec
	s_and_b64 s[10:11], vcc, exec
	s_or_b64 s[4:5], s[4:5], s[10:11]
	s_or_b64 exec, exec, s[6:7]
	v_mov_b32_e32 v3, 0
	s_and_saveexec_b64 s[6:7], s[4:5]
	s_cbranch_execnz .LBB233_2344
	s_branch .LBB233_2345
	.section	.rodata,"a",@progbits
	.p2align	6, 0x0
	.amdhsa_kernel _ZN2at6native32elementwise_kernel_manual_unrollILi128ELi4EZNS0_15gpu_kernel_implIZZZNS0_16sqrt_kernel_cudaERNS_18TensorIteratorBaseEENKUlvE_clEvENKUlvE0_clEvEUlN3c107complexIfEEE_EEvS4_RKT_EUlibE0_EEviT1_
		.amdhsa_group_segment_fixed_size 0
		.amdhsa_private_segment_fixed_size 0
		.amdhsa_kernarg_size 360
		.amdhsa_user_sgpr_count 2
		.amdhsa_user_sgpr_dispatch_ptr 0
		.amdhsa_user_sgpr_queue_ptr 0
		.amdhsa_user_sgpr_kernarg_segment_ptr 1
		.amdhsa_user_sgpr_dispatch_id 0
		.amdhsa_user_sgpr_kernarg_preload_length 0
		.amdhsa_user_sgpr_kernarg_preload_offset 0
		.amdhsa_user_sgpr_private_segment_size 0
		.amdhsa_uses_dynamic_stack 0
		.amdhsa_enable_private_segment 0
		.amdhsa_system_sgpr_workgroup_id_x 1
		.amdhsa_system_sgpr_workgroup_id_y 0
		.amdhsa_system_sgpr_workgroup_id_z 0
		.amdhsa_system_sgpr_workgroup_info 0
		.amdhsa_system_vgpr_workitem_id 0
		.amdhsa_next_free_vgpr 24
		.amdhsa_next_free_sgpr 78
		.amdhsa_accum_offset 24
		.amdhsa_reserve_vcc 1
		.amdhsa_float_round_mode_32 0
		.amdhsa_float_round_mode_16_64 0
		.amdhsa_float_denorm_mode_32 3
		.amdhsa_float_denorm_mode_16_64 3
		.amdhsa_dx10_clamp 1
		.amdhsa_ieee_mode 1
		.amdhsa_fp16_overflow 0
		.amdhsa_tg_split 0
		.amdhsa_exception_fp_ieee_invalid_op 0
		.amdhsa_exception_fp_denorm_src 0
		.amdhsa_exception_fp_ieee_div_zero 0
		.amdhsa_exception_fp_ieee_overflow 0
		.amdhsa_exception_fp_ieee_underflow 0
		.amdhsa_exception_fp_ieee_inexact 0
		.amdhsa_exception_int_div_zero 0
	.end_amdhsa_kernel
	.section	.text._ZN2at6native32elementwise_kernel_manual_unrollILi128ELi4EZNS0_15gpu_kernel_implIZZZNS0_16sqrt_kernel_cudaERNS_18TensorIteratorBaseEENKUlvE_clEvENKUlvE0_clEvEUlN3c107complexIfEEE_EEvS4_RKT_EUlibE0_EEviT1_,"axG",@progbits,_ZN2at6native32elementwise_kernel_manual_unrollILi128ELi4EZNS0_15gpu_kernel_implIZZZNS0_16sqrt_kernel_cudaERNS_18TensorIteratorBaseEENKUlvE_clEvENKUlvE0_clEvEUlN3c107complexIfEEE_EEvS4_RKT_EUlibE0_EEviT1_,comdat
.Lfunc_end233:
	.size	_ZN2at6native32elementwise_kernel_manual_unrollILi128ELi4EZNS0_15gpu_kernel_implIZZZNS0_16sqrt_kernel_cudaERNS_18TensorIteratorBaseEENKUlvE_clEvENKUlvE0_clEvEUlN3c107complexIfEEE_EEvS4_RKT_EUlibE0_EEviT1_, .Lfunc_end233-_ZN2at6native32elementwise_kernel_manual_unrollILi128ELi4EZNS0_15gpu_kernel_implIZZZNS0_16sqrt_kernel_cudaERNS_18TensorIteratorBaseEENKUlvE_clEvENKUlvE0_clEvEUlN3c107complexIfEEE_EEvS4_RKT_EUlibE0_EEviT1_
                                        ; -- End function
	.set _ZN2at6native32elementwise_kernel_manual_unrollILi128ELi4EZNS0_15gpu_kernel_implIZZZNS0_16sqrt_kernel_cudaERNS_18TensorIteratorBaseEENKUlvE_clEvENKUlvE0_clEvEUlN3c107complexIfEEE_EEvS4_RKT_EUlibE0_EEviT1_.num_vgpr, 24
	.set _ZN2at6native32elementwise_kernel_manual_unrollILi128ELi4EZNS0_15gpu_kernel_implIZZZNS0_16sqrt_kernel_cudaERNS_18TensorIteratorBaseEENKUlvE_clEvENKUlvE0_clEvEUlN3c107complexIfEEE_EEvS4_RKT_EUlibE0_EEviT1_.num_agpr, 0
	.set _ZN2at6native32elementwise_kernel_manual_unrollILi128ELi4EZNS0_15gpu_kernel_implIZZZNS0_16sqrt_kernel_cudaERNS_18TensorIteratorBaseEENKUlvE_clEvENKUlvE0_clEvEUlN3c107complexIfEEE_EEvS4_RKT_EUlibE0_EEviT1_.numbered_sgpr, 78
	.set _ZN2at6native32elementwise_kernel_manual_unrollILi128ELi4EZNS0_15gpu_kernel_implIZZZNS0_16sqrt_kernel_cudaERNS_18TensorIteratorBaseEENKUlvE_clEvENKUlvE0_clEvEUlN3c107complexIfEEE_EEvS4_RKT_EUlibE0_EEviT1_.num_named_barrier, 0
	.set _ZN2at6native32elementwise_kernel_manual_unrollILi128ELi4EZNS0_15gpu_kernel_implIZZZNS0_16sqrt_kernel_cudaERNS_18TensorIteratorBaseEENKUlvE_clEvENKUlvE0_clEvEUlN3c107complexIfEEE_EEvS4_RKT_EUlibE0_EEviT1_.private_seg_size, 0
	.set _ZN2at6native32elementwise_kernel_manual_unrollILi128ELi4EZNS0_15gpu_kernel_implIZZZNS0_16sqrt_kernel_cudaERNS_18TensorIteratorBaseEENKUlvE_clEvENKUlvE0_clEvEUlN3c107complexIfEEE_EEvS4_RKT_EUlibE0_EEviT1_.uses_vcc, 1
	.set _ZN2at6native32elementwise_kernel_manual_unrollILi128ELi4EZNS0_15gpu_kernel_implIZZZNS0_16sqrt_kernel_cudaERNS_18TensorIteratorBaseEENKUlvE_clEvENKUlvE0_clEvEUlN3c107complexIfEEE_EEvS4_RKT_EUlibE0_EEviT1_.uses_flat_scratch, 0
	.set _ZN2at6native32elementwise_kernel_manual_unrollILi128ELi4EZNS0_15gpu_kernel_implIZZZNS0_16sqrt_kernel_cudaERNS_18TensorIteratorBaseEENKUlvE_clEvENKUlvE0_clEvEUlN3c107complexIfEEE_EEvS4_RKT_EUlibE0_EEviT1_.has_dyn_sized_stack, 0
	.set _ZN2at6native32elementwise_kernel_manual_unrollILi128ELi4EZNS0_15gpu_kernel_implIZZZNS0_16sqrt_kernel_cudaERNS_18TensorIteratorBaseEENKUlvE_clEvENKUlvE0_clEvEUlN3c107complexIfEEE_EEvS4_RKT_EUlibE0_EEviT1_.has_recursion, 0
	.set _ZN2at6native32elementwise_kernel_manual_unrollILi128ELi4EZNS0_15gpu_kernel_implIZZZNS0_16sqrt_kernel_cudaERNS_18TensorIteratorBaseEENKUlvE_clEvENKUlvE0_clEvEUlN3c107complexIfEEE_EEvS4_RKT_EUlibE0_EEviT1_.has_indirect_call, 0
	.section	.AMDGPU.csdata,"",@progbits
; Kernel info:
; codeLenInByte = 47332
; TotalNumSgprs: 84
; NumVgprs: 24
; NumAgprs: 0
; TotalNumVgprs: 24
; ScratchSize: 0
; MemoryBound: 1
; FloatMode: 240
; IeeeMode: 1
; LDSByteSize: 0 bytes/workgroup (compile time only)
; SGPRBlocks: 10
; VGPRBlocks: 2
; NumSGPRsForWavesPerEU: 84
; NumVGPRsForWavesPerEU: 24
; AccumOffset: 24
; Occupancy: 8
; WaveLimiterHint : 1
; COMPUTE_PGM_RSRC2:SCRATCH_EN: 0
; COMPUTE_PGM_RSRC2:USER_SGPR: 2
; COMPUTE_PGM_RSRC2:TRAP_HANDLER: 0
; COMPUTE_PGM_RSRC2:TGID_X_EN: 1
; COMPUTE_PGM_RSRC2:TGID_Y_EN: 0
; COMPUTE_PGM_RSRC2:TGID_Z_EN: 0
; COMPUTE_PGM_RSRC2:TIDIG_COMP_CNT: 0
; COMPUTE_PGM_RSRC3_GFX90A:ACCUM_OFFSET: 5
; COMPUTE_PGM_RSRC3_GFX90A:TG_SPLIT: 0
	.section	.text._ZN2at6native29vectorized_elementwise_kernelILi16EZZZNS0_16sqrt_kernel_cudaERNS_18TensorIteratorBaseEENKUlvE_clEvENKUlvE1_clEvEUlN3c107complexINS6_4HalfEEEE_St5arrayIPcLm2EEEEviT0_T1_,"axG",@progbits,_ZN2at6native29vectorized_elementwise_kernelILi16EZZZNS0_16sqrt_kernel_cudaERNS_18TensorIteratorBaseEENKUlvE_clEvENKUlvE1_clEvEUlN3c107complexINS6_4HalfEEEE_St5arrayIPcLm2EEEEviT0_T1_,comdat
	.globl	_ZN2at6native29vectorized_elementwise_kernelILi16EZZZNS0_16sqrt_kernel_cudaERNS_18TensorIteratorBaseEENKUlvE_clEvENKUlvE1_clEvEUlN3c107complexINS6_4HalfEEEE_St5arrayIPcLm2EEEEviT0_T1_ ; -- Begin function _ZN2at6native29vectorized_elementwise_kernelILi16EZZZNS0_16sqrt_kernel_cudaERNS_18TensorIteratorBaseEENKUlvE_clEvENKUlvE1_clEvEUlN3c107complexINS6_4HalfEEEE_St5arrayIPcLm2EEEEviT0_T1_
	.p2align	8
	.type	_ZN2at6native29vectorized_elementwise_kernelILi16EZZZNS0_16sqrt_kernel_cudaERNS_18TensorIteratorBaseEENKUlvE_clEvENKUlvE1_clEvEUlN3c107complexINS6_4HalfEEEE_St5arrayIPcLm2EEEEviT0_T1_,@function
_ZN2at6native29vectorized_elementwise_kernelILi16EZZZNS0_16sqrt_kernel_cudaERNS_18TensorIteratorBaseEENKUlvE_clEvENKUlvE1_clEvEUlN3c107complexINS6_4HalfEEEE_St5arrayIPcLm2EEEEviT0_T1_: ; @_ZN2at6native29vectorized_elementwise_kernelILi16EZZZNS0_16sqrt_kernel_cudaERNS_18TensorIteratorBaseEENKUlvE_clEvENKUlvE1_clEvEUlN3c107complexINS6_4HalfEEEE_St5arrayIPcLm2EEEEviT0_T1_
; %bb.0:
	s_load_dword s3, s[0:1], 0x0
	s_load_dwordx4 s[8:11], s[0:1], 0x8
	s_lshl_b32 s6, s2, 10
	s_mov_b64 s[0:1], -1
	s_waitcnt lgkmcnt(0)
	s_sub_i32 s24, s3, s6
	s_cmpk_gt_i32 s24, 0x3ff
	s_cbranch_scc0 .LBB234_122
; %bb.1:
	s_ashr_i32 s7, s6, 31
	s_lshl_b64 s[4:5], s[6:7], 2
	s_add_u32 s0, s10, s4
	s_addc_u32 s1, s11, s5
	v_lshlrev_b32_e32 v1, 4, v0
	global_load_dwordx4 v[2:5], v1, s[0:1]
	v_mov_b32_e32 v10, 0
	v_mov_b32_e32 v7, 0
	;; [unrolled: 1-line block ×3, first 2 shown]
	s_waitcnt vmcnt(0)
	v_cvt_f32_f16_sdwa v8, v2 dst_sel:DWORD dst_unused:UNUSED_PAD src0_sel:WORD_1
	v_cmp_neq_f16_e32 vcc, 0, v2
	v_cmp_neq_f16_sdwa s[0:1], v2, v10 src0_sel:WORD_1 src1_sel:DWORD
	s_or_b64 s[0:1], vcc, s[0:1]
	s_and_saveexec_b64 s[12:13], s[0:1]
	s_cbranch_execz .LBB234_31
; %bb.2:
	v_mov_b32_e32 v9, 0x7f800000
	v_cmp_neq_f32_e64 s[0:1], |v8|, v9
	s_and_saveexec_b64 s[14:15], s[0:1]
	s_cbranch_execz .LBB234_30
; %bb.3:
	v_cvt_f32_f16_e32 v9, v2
	v_cmp_o_f16_e32 vcc, v2, v2
	s_and_saveexec_b64 s[0:1], vcc
	s_xor_b64 s[16:17], exec, s[0:1]
	s_cbranch_execz .LBB234_27
; %bb.4:
	s_mov_b32 s0, 0x7f800000
	v_cmp_neq_f32_e64 s[0:1], |v9|, s0
	s_and_saveexec_b64 s[2:3], s[0:1]
	s_xor_b64 s[18:19], exec, s[2:3]
	s_cbranch_execz .LBB234_20
; %bb.5:
	v_max_f32_e64 v6, |v8|, |v8|
	v_max_f32_e64 v11, |v9|, |v9|
	v_max_f32_e32 v6, v11, v6
	s_mov_b32 s0, 0x7ed413cb
	v_cmp_nle_f32_e64 s[0:1], s0, v6
                                        ; implicit-def: $sgpr20_sgpr21
	s_and_saveexec_b64 s[2:3], s[0:1]
	s_xor_b64 s[2:3], exec, s[2:3]
	s_cbranch_execz .LBB234_9
; %bb.6:
	s_mov_b32 s7, 0x1000000
	v_cmp_le_f32_e64 s[20:21], |v9|, s7
	v_cmp_le_f32_e64 s[22:23], |v8|, s7
	s_and_b64 s[26:27], s[20:21], s[22:23]
	s_mov_b64 s[20:21], 0
	s_and_saveexec_b64 s[22:23], s[26:27]
; %bb.7:
	s_mov_b64 s[20:21], exec
	v_pk_mul_f32 v[8:9], v[8:9], 4.0 op_sel_hi:[1,0]
; %bb.8:
	s_or_b64 exec, exec, s[22:23]
.LBB234_9:
	s_andn2_saveexec_b64 s[2:3], s[2:3]
; %bb.10:
	s_mov_b32 s22, 0x3e800000
	v_pk_mul_f32 v[8:9], v[8:9], s[22:23] op_sel_hi:[1,0]
	s_andn2_b64 s[20:21], s[20:21], exec
; %bb.11:
	s_or_b64 exec, exec, s[2:3]
	v_max_f32_e64 v6, |v8|, |v8|
	v_max_f32_e64 v11, |v9|, |v9|
	v_max_f32_e32 v6, v11, v6
	v_cvt_f64_f32_e32 v[12:13], v6
	v_frexp_exp_i32_f64_e32 v11, v[12:13]
	v_sub_u32_e32 v12, 0, v11
	v_ldexp_f32 v13, |v9|, v12
	v_ldexp_f32 v12, |v8|, v12
	v_mul_f32_e32 v12, v12, v12
	v_fmac_f32_e32 v12, v13, v13
	v_sqrt_f32_e32 v12, v12
	s_mov_b32 s2, 0x7f800000
	v_cmp_neq_f32_e64 s[2:3], s2, v6
	v_cmp_le_f32_e32 vcc, 0, v9
	v_ldexp_f32 v11, v12, v11
	v_mov_b32_e32 v12, 0x7f800000
	v_cndmask_b32_e64 v12, v12, v11, s[2:3]
                                        ; implicit-def: $vgpr11
                                        ; implicit-def: $vgpr6
	s_and_saveexec_b64 s[2:3], vcc
	s_xor_b64 s[22:23], exec, s[2:3]
	s_cbranch_execz .LBB234_13
; %bb.12:
	v_add_f32_e32 v6, v9, v12
	v_mul_f32_e32 v6, 0.5, v6
	s_mov_b32 s2, 0xf800000
	v_mul_f32_e32 v9, 0x4f800000, v6
	v_cmp_gt_f32_e32 vcc, s2, v6
	s_nop 1
	v_cndmask_b32_e32 v6, v6, v9, vcc
	v_sqrt_f32_e32 v9, v6
	s_nop 0
	v_add_u32_e32 v11, -1, v9
	v_fma_f32 v12, -v11, v9, v6
	v_cmp_ge_f32_e64 s[2:3], 0, v12
	v_add_u32_e32 v12, 1, v9
	s_nop 0
	v_cndmask_b32_e64 v11, v9, v11, s[2:3]
	v_fma_f32 v9, -v12, v9, v6
	v_cmp_lt_f32_e64 s[2:3], 0, v9
	s_nop 1
	v_cndmask_b32_e64 v9, v11, v12, s[2:3]
	v_mul_f32_e32 v11, 0x37800000, v9
	v_cndmask_b32_e32 v9, v9, v11, vcc
	v_mov_b32_e32 v11, 0x260
	v_cmp_class_f32_e32 vcc, v6, v11
	s_nop 1
	v_cndmask_b32_e32 v6, v9, v6, vcc
	v_add_f32_e32 v9, v6, v6
	v_div_scale_f32 v11, s[2:3], v9, v9, v8
	v_rcp_f32_e32 v12, v11
	s_nop 0
	v_fma_f32 v13, -v11, v12, 1.0
	v_fmac_f32_e32 v12, v13, v12
	v_div_scale_f32 v13, vcc, v8, v9, v8
	v_mul_f32_e32 v14, v13, v12
	v_fma_f32 v15, -v11, v14, v13
	v_fmac_f32_e32 v14, v15, v12
	v_fma_f32 v11, -v11, v14, v13
	v_div_fmas_f32 v11, v11, v12, v14
	v_div_fixup_f32 v11, v11, v9, v8
                                        ; implicit-def: $vgpr12
                                        ; implicit-def: $vgpr8_vgpr9
	s_andn2_saveexec_b64 s[22:23], s[22:23]
	s_cbranch_execz .LBB234_15
	s_branch .LBB234_14
.LBB234_13:
	s_andn2_saveexec_b64 s[22:23], s[22:23]
	s_cbranch_execz .LBB234_15
.LBB234_14:
	v_sub_f32_e32 v6, v12, v9
	v_mul_f32_e32 v6, 0.5, v6
	s_mov_b32 s2, 0xf800000
	v_mul_f32_e32 v9, 0x4f800000, v6
	v_cmp_gt_f32_e32 vcc, s2, v6
	s_nop 1
	v_cndmask_b32_e32 v6, v6, v9, vcc
	v_sqrt_f32_e32 v9, v6
	s_nop 0
	v_add_u32_e32 v11, -1, v9
	v_fma_f32 v12, -v11, v9, v6
	v_cmp_ge_f32_e64 s[2:3], 0, v12
	v_add_u32_e32 v12, 1, v9
	s_nop 0
	v_cndmask_b32_e64 v11, v9, v11, s[2:3]
	v_fma_f32 v9, -v12, v9, v6
	v_cmp_lt_f32_e64 s[2:3], 0, v9
	s_nop 1
	v_cndmask_b32_e64 v9, v11, v12, s[2:3]
	v_mul_f32_e32 v11, 0x37800000, v9
	v_cndmask_b32_e32 v9, v9, v11, vcc
	v_mov_b32_e32 v11, 0x260
	v_cmp_class_f32_e32 vcc, v6, v11
	v_and_b32_e32 v11, 0x7fffffff, v8
	s_nop 0
	v_cndmask_b32_e32 v9, v9, v6, vcc
	v_add_f32_e32 v6, v9, v9
	v_div_scale_f32 v12, s[2:3], v6, v6, v11
	v_rcp_f32_e32 v13, v12
	v_div_scale_f32 v11, vcc, v11, v6, v11
	s_brev_b32 s2, -2
	v_fma_f32 v14, -v12, v13, 1.0
	v_fmac_f32_e32 v13, v14, v13
	v_mul_f32_e32 v14, v11, v13
	v_fma_f32 v15, -v12, v14, v11
	v_fmac_f32_e32 v14, v15, v13
	v_fma_f32 v11, -v12, v14, v11
	v_div_fmas_f32 v11, v11, v13, v14
	v_div_fixup_f32 v6, v11, v6, |v8|
	v_bfi_b32 v11, s2, v9, v8
.LBB234_15:
	s_or_b64 exec, exec, s[22:23]
                                        ; implicit-def: $vgpr8
	s_and_saveexec_b64 s[2:3], s[0:1]
	s_xor_b64 s[0:1], exec, s[2:3]
	s_cbranch_execz .LBB234_17
; %bb.16:
	v_mul_f32_e32 v8, 0.5, v6
	v_mul_f32_e32 v12, 0.5, v11
	v_cndmask_b32_e64 v9, v6, v8, s[20:21]
	v_cndmask_b32_e64 v8, v11, v12, s[20:21]
                                        ; implicit-def: $vgpr6
                                        ; implicit-def: $vgpr11
	s_andn2_saveexec_b64 s[0:1], s[0:1]
	s_cbranch_execnz .LBB234_18
	s_branch .LBB234_19
.LBB234_17:
	s_andn2_saveexec_b64 s[0:1], s[0:1]
.LBB234_18:
	v_add_f32_e32 v9, v6, v6
	v_add_f32_e32 v8, v11, v11
.LBB234_19:
	s_or_b64 exec, exec, s[0:1]
.LBB234_20:
	s_andn2_saveexec_b64 s[0:1], s[18:19]
	s_cbranch_execz .LBB234_26
; %bb.21:
	v_and_b32_e32 v2, 0x8000, v2
	v_cmp_ne_u32_e32 vcc, 0, v2
	v_sub_f32_e32 v2, v8, v8
	s_and_saveexec_b64 s[2:3], vcc
	s_xor_b64 s[2:3], exec, s[2:3]
; %bb.22:
	s_brev_b32 s7, -2
	v_and_b32_e32 v2, 0x7fffffff, v2
	v_bfi_b32 v8, s7, v9, v8
	v_mov_b32_e32 v9, v2
                                        ; implicit-def: $vgpr2
; %bb.23:
	s_andn2_saveexec_b64 s[2:3], s[2:3]
; %bb.24:
	s_brev_b32 s7, -2
	v_bfi_b32 v8, s7, v2, v8
; %bb.25:
	s_or_b64 exec, exec, s[2:3]
.LBB234_26:
	s_or_b64 exec, exec, s[0:1]
.LBB234_27:
	s_andn2_saveexec_b64 s[0:1], s[16:17]
	s_cbranch_execz .LBB234_29
; %bb.28:
	v_sub_f32_e32 v2, v8, v8
	v_div_scale_f32 v6, vcc, v2, v2, v2
	v_rcp_f32_e32 v8, v6
	s_nop 0
	v_fma_f32 v11, -v6, v8, 1.0
	v_fmac_f32_e32 v8, v11, v8
	v_mul_f32_e32 v11, v6, v8
	v_fma_f32 v12, -v6, v11, v6
	v_fmac_f32_e32 v11, v12, v8
	v_fma_f32 v6, -v6, v11, v6
	v_div_fmas_f32 v6, v6, v8, v11
	v_div_fixup_f32 v8, v6, v2, v2
.LBB234_29:
	s_or_b64 exec, exec, s[0:1]
.LBB234_30:
	s_or_b64 exec, exec, s[14:15]
.LBB234_31:
	s_or_b64 exec, exec, s[12:13]
	v_cvt_f32_f16_sdwa v6, v3 dst_sel:DWORD dst_unused:UNUSED_PAD src0_sel:WORD_1
	v_cmp_neq_f16_e32 vcc, 0, v3
	v_cmp_neq_f16_sdwa s[0:1], v3, v10 src0_sel:WORD_1 src1_sel:DWORD
	s_or_b64 s[0:1], vcc, s[0:1]
	s_and_saveexec_b64 s[12:13], s[0:1]
	s_cbranch_execz .LBB234_61
; %bb.32:
	v_mov_b32_e32 v7, 0x7f800000
	v_cmp_neq_f32_e64 s[0:1], |v6|, v7
	s_and_saveexec_b64 s[14:15], s[0:1]
	s_cbranch_execz .LBB234_60
; %bb.33:
	v_cvt_f32_f16_e32 v7, v3
	v_cmp_o_f16_e32 vcc, v3, v3
	s_and_saveexec_b64 s[0:1], vcc
	s_xor_b64 s[16:17], exec, s[0:1]
	s_cbranch_execz .LBB234_57
; %bb.34:
	s_mov_b32 s0, 0x7f800000
	v_cmp_neq_f32_e64 s[0:1], |v7|, s0
	s_and_saveexec_b64 s[2:3], s[0:1]
	s_xor_b64 s[18:19], exec, s[2:3]
	s_cbranch_execz .LBB234_50
; %bb.35:
	v_max_f32_e64 v2, |v6|, |v6|
	v_max_f32_e64 v10, |v7|, |v7|
	v_max_f32_e32 v2, v10, v2
	s_mov_b32 s0, 0x7ed413cb
	v_cmp_nle_f32_e64 s[0:1], s0, v2
                                        ; implicit-def: $sgpr20_sgpr21
	s_and_saveexec_b64 s[2:3], s[0:1]
	s_xor_b64 s[2:3], exec, s[2:3]
	s_cbranch_execz .LBB234_39
; %bb.36:
	s_mov_b32 s7, 0x1000000
	v_cmp_le_f32_e64 s[20:21], |v7|, s7
	v_cmp_le_f32_e64 s[22:23], |v6|, s7
	s_and_b64 s[26:27], s[20:21], s[22:23]
	s_mov_b64 s[20:21], 0
	s_and_saveexec_b64 s[22:23], s[26:27]
; %bb.37:
	s_mov_b64 s[20:21], exec
	v_pk_mul_f32 v[6:7], v[6:7], 4.0 op_sel_hi:[1,0]
; %bb.38:
	s_or_b64 exec, exec, s[22:23]
.LBB234_39:
	s_andn2_saveexec_b64 s[2:3], s[2:3]
; %bb.40:
	s_mov_b32 s22, 0x3e800000
	v_pk_mul_f32 v[6:7], v[6:7], s[22:23] op_sel_hi:[1,0]
	s_andn2_b64 s[20:21], s[20:21], exec
; %bb.41:
	s_or_b64 exec, exec, s[2:3]
	v_max_f32_e64 v2, |v6|, |v6|
	v_max_f32_e64 v10, |v7|, |v7|
	v_max_f32_e32 v2, v10, v2
	v_cvt_f64_f32_e32 v[10:11], v2
	v_frexp_exp_i32_f64_e32 v10, v[10:11]
	v_sub_u32_e32 v11, 0, v10
	v_ldexp_f32 v12, |v7|, v11
	v_ldexp_f32 v11, |v6|, v11
	v_mul_f32_e32 v11, v11, v11
	v_fmac_f32_e32 v11, v12, v12
	v_sqrt_f32_e32 v11, v11
	s_mov_b32 s2, 0x7f800000
	v_cmp_neq_f32_e64 s[2:3], s2, v2
	v_cmp_le_f32_e32 vcc, 0, v7
	v_ldexp_f32 v10, v11, v10
	v_mov_b32_e32 v11, 0x7f800000
	v_cndmask_b32_e64 v11, v11, v10, s[2:3]
                                        ; implicit-def: $vgpr10
                                        ; implicit-def: $vgpr2
	s_and_saveexec_b64 s[2:3], vcc
	s_xor_b64 s[22:23], exec, s[2:3]
	s_cbranch_execz .LBB234_43
; %bb.42:
	v_add_f32_e32 v2, v7, v11
	v_mul_f32_e32 v2, 0.5, v2
	s_mov_b32 s2, 0xf800000
	v_mul_f32_e32 v7, 0x4f800000, v2
	v_cmp_gt_f32_e32 vcc, s2, v2
	s_nop 1
	v_cndmask_b32_e32 v2, v2, v7, vcc
	v_sqrt_f32_e32 v7, v2
	s_nop 0
	v_add_u32_e32 v10, -1, v7
	v_fma_f32 v11, -v10, v7, v2
	v_cmp_ge_f32_e64 s[2:3], 0, v11
	v_add_u32_e32 v11, 1, v7
	s_nop 0
	v_cndmask_b32_e64 v10, v7, v10, s[2:3]
	v_fma_f32 v7, -v11, v7, v2
	v_cmp_lt_f32_e64 s[2:3], 0, v7
	s_nop 1
	v_cndmask_b32_e64 v7, v10, v11, s[2:3]
	v_mul_f32_e32 v10, 0x37800000, v7
	v_cndmask_b32_e32 v7, v7, v10, vcc
	v_mov_b32_e32 v10, 0x260
	v_cmp_class_f32_e32 vcc, v2, v10
	s_nop 1
	v_cndmask_b32_e32 v2, v7, v2, vcc
	v_add_f32_e32 v7, v2, v2
	v_div_scale_f32 v10, s[2:3], v7, v7, v6
	v_rcp_f32_e32 v11, v10
	s_nop 0
	v_fma_f32 v12, -v10, v11, 1.0
	v_fmac_f32_e32 v11, v12, v11
	v_div_scale_f32 v12, vcc, v6, v7, v6
	v_mul_f32_e32 v13, v12, v11
	v_fma_f32 v14, -v10, v13, v12
	v_fmac_f32_e32 v13, v14, v11
	v_fma_f32 v10, -v10, v13, v12
	v_div_fmas_f32 v10, v10, v11, v13
	v_div_fixup_f32 v10, v10, v7, v6
                                        ; implicit-def: $vgpr11
                                        ; implicit-def: $vgpr6_vgpr7
	s_andn2_saveexec_b64 s[22:23], s[22:23]
	s_cbranch_execz .LBB234_45
	s_branch .LBB234_44
.LBB234_43:
	s_andn2_saveexec_b64 s[22:23], s[22:23]
	s_cbranch_execz .LBB234_45
.LBB234_44:
	v_sub_f32_e32 v2, v11, v7
	v_mul_f32_e32 v2, 0.5, v2
	s_mov_b32 s2, 0xf800000
	v_mul_f32_e32 v7, 0x4f800000, v2
	v_cmp_gt_f32_e32 vcc, s2, v2
	s_nop 1
	v_cndmask_b32_e32 v2, v2, v7, vcc
	v_sqrt_f32_e32 v7, v2
	s_nop 0
	v_add_u32_e32 v10, -1, v7
	v_fma_f32 v11, -v10, v7, v2
	v_cmp_ge_f32_e64 s[2:3], 0, v11
	v_add_u32_e32 v11, 1, v7
	s_nop 0
	v_cndmask_b32_e64 v10, v7, v10, s[2:3]
	v_fma_f32 v7, -v11, v7, v2
	v_cmp_lt_f32_e64 s[2:3], 0, v7
	s_nop 1
	v_cndmask_b32_e64 v7, v10, v11, s[2:3]
	v_mul_f32_e32 v10, 0x37800000, v7
	v_cndmask_b32_e32 v7, v7, v10, vcc
	v_mov_b32_e32 v10, 0x260
	v_cmp_class_f32_e32 vcc, v2, v10
	v_and_b32_e32 v10, 0x7fffffff, v6
	s_nop 0
	v_cndmask_b32_e32 v7, v7, v2, vcc
	v_add_f32_e32 v2, v7, v7
	v_div_scale_f32 v11, s[2:3], v2, v2, v10
	v_rcp_f32_e32 v12, v11
	v_div_scale_f32 v10, vcc, v10, v2, v10
	s_brev_b32 s2, -2
	v_fma_f32 v13, -v11, v12, 1.0
	v_fmac_f32_e32 v12, v13, v12
	v_mul_f32_e32 v13, v10, v12
	v_fma_f32 v14, -v11, v13, v10
	v_fmac_f32_e32 v13, v14, v12
	v_fma_f32 v10, -v11, v13, v10
	v_div_fmas_f32 v10, v10, v12, v13
	v_div_fixup_f32 v2, v10, v2, |v6|
	v_bfi_b32 v10, s2, v7, v6
.LBB234_45:
	s_or_b64 exec, exec, s[22:23]
                                        ; implicit-def: $vgpr6
	s_and_saveexec_b64 s[2:3], s[0:1]
	s_xor_b64 s[0:1], exec, s[2:3]
	s_cbranch_execz .LBB234_47
; %bb.46:
	v_mul_f32_e32 v6, 0.5, v2
	v_mul_f32_e32 v11, 0.5, v10
	v_cndmask_b32_e64 v7, v2, v6, s[20:21]
	v_cndmask_b32_e64 v6, v10, v11, s[20:21]
                                        ; implicit-def: $vgpr2
                                        ; implicit-def: $vgpr10
	s_andn2_saveexec_b64 s[0:1], s[0:1]
	s_cbranch_execnz .LBB234_48
	s_branch .LBB234_49
.LBB234_47:
	s_andn2_saveexec_b64 s[0:1], s[0:1]
.LBB234_48:
	v_add_f32_e32 v7, v2, v2
	v_add_f32_e32 v6, v10, v10
.LBB234_49:
	s_or_b64 exec, exec, s[0:1]
.LBB234_50:
	s_andn2_saveexec_b64 s[0:1], s[18:19]
	s_cbranch_execz .LBB234_56
; %bb.51:
	v_and_b32_e32 v2, 0x8000, v3
	v_cmp_ne_u32_e32 vcc, 0, v2
	v_sub_f32_e32 v2, v6, v6
	s_and_saveexec_b64 s[2:3], vcc
	s_xor_b64 s[2:3], exec, s[2:3]
; %bb.52:
	s_brev_b32 s7, -2
	v_and_b32_e32 v2, 0x7fffffff, v2
	v_bfi_b32 v6, s7, v7, v6
	v_mov_b32_e32 v7, v2
                                        ; implicit-def: $vgpr2
; %bb.53:
	s_andn2_saveexec_b64 s[2:3], s[2:3]
; %bb.54:
	s_brev_b32 s7, -2
	v_bfi_b32 v6, s7, v2, v6
; %bb.55:
	s_or_b64 exec, exec, s[2:3]
.LBB234_56:
	s_or_b64 exec, exec, s[0:1]
.LBB234_57:
	s_andn2_saveexec_b64 s[0:1], s[16:17]
	s_cbranch_execz .LBB234_59
; %bb.58:
	v_sub_f32_e32 v2, v6, v6
	v_div_scale_f32 v3, vcc, v2, v2, v2
	v_rcp_f32_e32 v6, v3
	s_nop 0
	v_fma_f32 v10, -v3, v6, 1.0
	v_fmac_f32_e32 v6, v10, v6
	v_mul_f32_e32 v10, v3, v6
	v_fma_f32 v11, -v3, v10, v3
	v_fmac_f32_e32 v10, v11, v6
	v_fma_f32 v3, -v3, v10, v3
	v_div_fmas_f32 v3, v3, v6, v10
	v_div_fixup_f32 v6, v3, v2, v2
.LBB234_59:
	s_or_b64 exec, exec, s[0:1]
.LBB234_60:
	s_or_b64 exec, exec, s[14:15]
.LBB234_61:
	s_or_b64 exec, exec, s[12:13]
	v_cvt_f32_f16_sdwa v10, v4 dst_sel:DWORD dst_unused:UNUSED_PAD src0_sel:WORD_1
	v_mov_b32_e32 v13, 0
	v_cmp_neq_f16_e32 vcc, 0, v4
	v_cmp_neq_f16_sdwa s[0:1], v4, v13 src0_sel:WORD_1 src1_sel:DWORD
	s_or_b64 s[0:1], vcc, s[0:1]
	v_mov_b32_e32 v11, 0
	s_and_saveexec_b64 s[12:13], s[0:1]
	s_cbranch_execz .LBB234_91
; %bb.62:
	v_mov_b32_e32 v11, 0x7f800000
	v_cmp_neq_f32_e64 s[0:1], |v10|, v11
	s_and_saveexec_b64 s[14:15], s[0:1]
	s_cbranch_execz .LBB234_90
; %bb.63:
	v_cvt_f32_f16_e32 v11, v4
	v_cmp_o_f16_e32 vcc, v4, v4
	s_and_saveexec_b64 s[0:1], vcc
	s_xor_b64 s[16:17], exec, s[0:1]
	s_cbranch_execz .LBB234_87
; %bb.64:
	s_mov_b32 s0, 0x7f800000
	v_cmp_neq_f32_e64 s[0:1], |v11|, s0
	s_and_saveexec_b64 s[2:3], s[0:1]
	s_xor_b64 s[18:19], exec, s[2:3]
	s_cbranch_execz .LBB234_80
; %bb.65:
	v_max_f32_e64 v2, |v10|, |v10|
	v_max_f32_e64 v3, |v11|, |v11|
	v_max_f32_e32 v2, v3, v2
	s_mov_b32 s0, 0x7ed413cb
	v_cmp_nle_f32_e64 s[0:1], s0, v2
                                        ; implicit-def: $sgpr20_sgpr21
	s_and_saveexec_b64 s[2:3], s[0:1]
	s_xor_b64 s[2:3], exec, s[2:3]
	s_cbranch_execz .LBB234_69
; %bb.66:
	s_mov_b32 s7, 0x1000000
	v_cmp_le_f32_e64 s[20:21], |v11|, s7
	v_cmp_le_f32_e64 s[22:23], |v10|, s7
	s_and_b64 s[26:27], s[20:21], s[22:23]
	s_mov_b64 s[20:21], 0
	s_and_saveexec_b64 s[22:23], s[26:27]
; %bb.67:
	s_mov_b64 s[20:21], exec
	v_pk_mul_f32 v[10:11], v[10:11], 4.0 op_sel_hi:[1,0]
; %bb.68:
	s_or_b64 exec, exec, s[22:23]
.LBB234_69:
	s_andn2_saveexec_b64 s[2:3], s[2:3]
; %bb.70:
	s_mov_b32 s22, 0x3e800000
	v_pk_mul_f32 v[10:11], v[10:11], s[22:23] op_sel_hi:[1,0]
	s_andn2_b64 s[20:21], s[20:21], exec
; %bb.71:
	s_or_b64 exec, exec, s[2:3]
	v_max_f32_e64 v2, |v10|, |v10|
	v_max_f32_e64 v3, |v11|, |v11|
	v_max_f32_e32 v12, v3, v2
	v_cvt_f64_f32_e32 v[2:3], v12
	v_frexp_exp_i32_f64_e32 v2, v[2:3]
	v_sub_u32_e32 v3, 0, v2
	v_ldexp_f32 v14, |v11|, v3
	v_ldexp_f32 v3, |v10|, v3
	v_mul_f32_e32 v3, v3, v3
	v_fmac_f32_e32 v3, v14, v14
	v_sqrt_f32_e32 v3, v3
	s_mov_b32 s2, 0x7f800000
	v_cmp_neq_f32_e64 s[2:3], s2, v12
	v_cmp_le_f32_e32 vcc, 0, v11
	v_ldexp_f32 v2, v3, v2
	v_mov_b32_e32 v3, 0x7f800000
	v_cndmask_b32_e64 v12, v3, v2, s[2:3]
                                        ; implicit-def: $vgpr3
                                        ; implicit-def: $vgpr2
	s_and_saveexec_b64 s[2:3], vcc
	s_xor_b64 s[22:23], exec, s[2:3]
	s_cbranch_execz .LBB234_73
; %bb.72:
	v_add_f32_e32 v2, v11, v12
	v_mul_f32_e32 v2, 0.5, v2
	s_mov_b32 s2, 0xf800000
	v_mul_f32_e32 v3, 0x4f800000, v2
	v_cmp_gt_f32_e32 vcc, s2, v2
	s_nop 1
	v_cndmask_b32_e32 v2, v2, v3, vcc
	v_sqrt_f32_e32 v3, v2
	s_nop 0
	v_add_u32_e32 v11, -1, v3
	v_fma_f32 v12, -v11, v3, v2
	v_cmp_ge_f32_e64 s[2:3], 0, v12
	v_add_u32_e32 v12, 1, v3
	s_nop 0
	v_cndmask_b32_e64 v11, v3, v11, s[2:3]
	v_fma_f32 v3, -v12, v3, v2
	v_cmp_lt_f32_e64 s[2:3], 0, v3
	s_nop 1
	v_cndmask_b32_e64 v3, v11, v12, s[2:3]
	v_mul_f32_e32 v11, 0x37800000, v3
	v_cndmask_b32_e32 v3, v3, v11, vcc
	v_mov_b32_e32 v11, 0x260
	v_cmp_class_f32_e32 vcc, v2, v11
	s_nop 1
	v_cndmask_b32_e32 v2, v3, v2, vcc
	v_add_f32_e32 v3, v2, v2
	v_div_scale_f32 v11, s[2:3], v3, v3, v10
	v_rcp_f32_e32 v12, v11
	s_nop 0
	v_fma_f32 v14, -v11, v12, 1.0
	v_fmac_f32_e32 v12, v14, v12
	v_div_scale_f32 v14, vcc, v10, v3, v10
	v_mul_f32_e32 v15, v14, v12
	v_fma_f32 v16, -v11, v15, v14
	v_fmac_f32_e32 v15, v16, v12
	v_fma_f32 v11, -v11, v15, v14
	v_div_fmas_f32 v11, v11, v12, v15
	v_div_fixup_f32 v3, v11, v3, v10
                                        ; implicit-def: $vgpr12
                                        ; implicit-def: $vgpr10_vgpr11
	s_andn2_saveexec_b64 s[22:23], s[22:23]
	s_cbranch_execz .LBB234_75
	s_branch .LBB234_74
.LBB234_73:
	s_andn2_saveexec_b64 s[22:23], s[22:23]
	s_cbranch_execz .LBB234_75
.LBB234_74:
	v_sub_f32_e32 v2, v12, v11
	v_mul_f32_e32 v2, 0.5, v2
	s_mov_b32 s2, 0xf800000
	v_mul_f32_e32 v3, 0x4f800000, v2
	v_cmp_gt_f32_e32 vcc, s2, v2
	s_nop 1
	v_cndmask_b32_e32 v2, v2, v3, vcc
	v_sqrt_f32_e32 v3, v2
	s_nop 0
	v_add_u32_e32 v11, -1, v3
	v_fma_f32 v12, -v11, v3, v2
	v_cmp_ge_f32_e64 s[2:3], 0, v12
	v_add_u32_e32 v12, 1, v3
	s_nop 0
	v_cndmask_b32_e64 v11, v3, v11, s[2:3]
	v_fma_f32 v3, -v12, v3, v2
	v_cmp_lt_f32_e64 s[2:3], 0, v3
	s_nop 1
	v_cndmask_b32_e64 v3, v11, v12, s[2:3]
	v_mul_f32_e32 v11, 0x37800000, v3
	v_cndmask_b32_e32 v3, v3, v11, vcc
	v_mov_b32_e32 v11, 0x260
	v_cmp_class_f32_e32 vcc, v2, v11
	v_and_b32_e32 v11, 0x7fffffff, v10
	s_nop 0
	v_cndmask_b32_e32 v3, v3, v2, vcc
	v_add_f32_e32 v2, v3, v3
	v_div_scale_f32 v12, s[2:3], v2, v2, v11
	v_rcp_f32_e32 v14, v12
	v_div_scale_f32 v11, vcc, v11, v2, v11
	s_brev_b32 s2, -2
	v_fma_f32 v15, -v12, v14, 1.0
	v_fmac_f32_e32 v14, v15, v14
	v_mul_f32_e32 v15, v11, v14
	v_fma_f32 v16, -v12, v15, v11
	v_fmac_f32_e32 v15, v16, v14
	v_fma_f32 v11, -v12, v15, v11
	v_div_fmas_f32 v11, v11, v14, v15
	v_div_fixup_f32 v2, v11, v2, |v10|
	v_bfi_b32 v3, s2, v3, v10
.LBB234_75:
	s_or_b64 exec, exec, s[22:23]
                                        ; implicit-def: $vgpr10
	s_and_saveexec_b64 s[2:3], s[0:1]
	s_xor_b64 s[0:1], exec, s[2:3]
	s_cbranch_execz .LBB234_77
; %bb.76:
	v_mul_f32_e32 v10, 0.5, v2
	v_mul_f32_e32 v12, 0.5, v3
	v_cndmask_b32_e64 v11, v2, v10, s[20:21]
	v_cndmask_b32_e64 v10, v3, v12, s[20:21]
                                        ; implicit-def: $vgpr2
                                        ; implicit-def: $vgpr3
	s_andn2_saveexec_b64 s[0:1], s[0:1]
	s_cbranch_execnz .LBB234_78
	s_branch .LBB234_79
.LBB234_77:
	s_andn2_saveexec_b64 s[0:1], s[0:1]
.LBB234_78:
	v_add_f32_e32 v11, v2, v2
	v_add_f32_e32 v10, v3, v3
.LBB234_79:
	s_or_b64 exec, exec, s[0:1]
.LBB234_80:
	s_andn2_saveexec_b64 s[0:1], s[18:19]
	s_cbranch_execz .LBB234_86
; %bb.81:
	v_and_b32_e32 v2, 0x8000, v4
	v_cmp_ne_u32_e32 vcc, 0, v2
	v_sub_f32_e32 v2, v10, v10
	s_and_saveexec_b64 s[2:3], vcc
	s_xor_b64 s[2:3], exec, s[2:3]
; %bb.82:
	s_brev_b32 s7, -2
	v_and_b32_e32 v2, 0x7fffffff, v2
	v_bfi_b32 v10, s7, v11, v10
	v_mov_b32_e32 v11, v2
                                        ; implicit-def: $vgpr2
; %bb.83:
	s_andn2_saveexec_b64 s[2:3], s[2:3]
; %bb.84:
	s_brev_b32 s7, -2
	v_bfi_b32 v10, s7, v2, v10
; %bb.85:
	s_or_b64 exec, exec, s[2:3]
.LBB234_86:
	s_or_b64 exec, exec, s[0:1]
.LBB234_87:
	s_andn2_saveexec_b64 s[0:1], s[16:17]
	s_cbranch_execz .LBB234_89
; %bb.88:
	v_sub_f32_e32 v2, v10, v10
	v_div_scale_f32 v3, vcc, v2, v2, v2
	v_rcp_f32_e32 v4, v3
	s_nop 0
	v_fma_f32 v10, -v3, v4, 1.0
	v_fmac_f32_e32 v4, v10, v4
	v_mul_f32_e32 v10, v3, v4
	v_fma_f32 v12, -v3, v10, v3
	v_fmac_f32_e32 v10, v12, v4
	v_fma_f32 v3, -v3, v10, v3
	v_div_fmas_f32 v3, v3, v4, v10
	v_div_fixup_f32 v10, v3, v2, v2
.LBB234_89:
	s_or_b64 exec, exec, s[0:1]
.LBB234_90:
	s_or_b64 exec, exec, s[14:15]
.LBB234_91:
	s_or_b64 exec, exec, s[12:13]
	v_cvt_f32_f16_sdwa v12, v5 dst_sel:DWORD dst_unused:UNUSED_PAD src0_sel:WORD_1
	v_cmp_neq_f16_e32 vcc, 0, v5
	v_cmp_neq_f16_sdwa s[0:1], v5, v13 src0_sel:WORD_1 src1_sel:DWORD
	s_or_b64 s[0:1], vcc, s[0:1]
	s_and_saveexec_b64 s[12:13], s[0:1]
	s_cbranch_execz .LBB234_121
; %bb.92:
	v_mov_b32_e32 v13, 0x7f800000
	v_cmp_neq_f32_e64 s[0:1], |v12|, v13
	s_and_saveexec_b64 s[14:15], s[0:1]
	s_cbranch_execz .LBB234_120
; %bb.93:
	v_cvt_f32_f16_e32 v13, v5
	v_cmp_o_f16_e32 vcc, v5, v5
	s_and_saveexec_b64 s[0:1], vcc
	s_xor_b64 s[16:17], exec, s[0:1]
	s_cbranch_execz .LBB234_117
; %bb.94:
	s_mov_b32 s0, 0x7f800000
	v_cmp_neq_f32_e64 s[0:1], |v13|, s0
	s_and_saveexec_b64 s[2:3], s[0:1]
	s_xor_b64 s[18:19], exec, s[2:3]
	s_cbranch_execz .LBB234_110
; %bb.95:
	v_max_f32_e64 v2, |v12|, |v12|
	v_max_f32_e64 v3, |v13|, |v13|
	v_max_f32_e32 v2, v3, v2
	s_mov_b32 s0, 0x7ed413cb
	v_cmp_nle_f32_e64 s[0:1], s0, v2
                                        ; implicit-def: $sgpr20_sgpr21
	s_and_saveexec_b64 s[2:3], s[0:1]
	s_xor_b64 s[2:3], exec, s[2:3]
	s_cbranch_execz .LBB234_99
; %bb.96:
	s_mov_b32 s7, 0x1000000
	v_cmp_le_f32_e64 s[20:21], |v13|, s7
	v_cmp_le_f32_e64 s[22:23], |v12|, s7
	s_and_b64 s[26:27], s[20:21], s[22:23]
	s_mov_b64 s[20:21], 0
	s_and_saveexec_b64 s[22:23], s[26:27]
; %bb.97:
	s_mov_b64 s[20:21], exec
	v_pk_mul_f32 v[12:13], v[12:13], 4.0 op_sel_hi:[1,0]
; %bb.98:
	s_or_b64 exec, exec, s[22:23]
.LBB234_99:
	s_andn2_saveexec_b64 s[2:3], s[2:3]
; %bb.100:
	s_mov_b32 s22, 0x3e800000
	v_pk_mul_f32 v[12:13], v[12:13], s[22:23] op_sel_hi:[1,0]
	s_andn2_b64 s[20:21], s[20:21], exec
; %bb.101:
	s_or_b64 exec, exec, s[2:3]
	v_max_f32_e64 v2, |v12|, |v12|
	v_max_f32_e64 v3, |v13|, |v13|
	v_max_f32_e32 v4, v3, v2
	v_cvt_f64_f32_e32 v[2:3], v4
	v_frexp_exp_i32_f64_e32 v2, v[2:3]
	v_sub_u32_e32 v3, 0, v2
	v_ldexp_f32 v5, |v13|, v3
	v_ldexp_f32 v3, |v12|, v3
	v_mul_f32_e32 v3, v3, v3
	v_fmac_f32_e32 v3, v5, v5
	v_sqrt_f32_e32 v3, v3
	s_mov_b32 s2, 0x7f800000
	v_cmp_neq_f32_e64 s[2:3], s2, v4
	v_cmp_le_f32_e32 vcc, 0, v13
	v_ldexp_f32 v2, v3, v2
	v_mov_b32_e32 v3, 0x7f800000
	v_cndmask_b32_e64 v4, v3, v2, s[2:3]
                                        ; implicit-def: $vgpr3
                                        ; implicit-def: $vgpr2
	s_and_saveexec_b64 s[2:3], vcc
	s_xor_b64 s[22:23], exec, s[2:3]
	s_cbranch_execz .LBB234_103
; %bb.102:
	v_add_f32_e32 v2, v13, v4
	v_mul_f32_e32 v2, 0.5, v2
	s_mov_b32 s2, 0xf800000
	v_mul_f32_e32 v3, 0x4f800000, v2
	v_cmp_gt_f32_e32 vcc, s2, v2
	s_nop 1
	v_cndmask_b32_e32 v2, v2, v3, vcc
	v_sqrt_f32_e32 v3, v2
	s_nop 0
	v_add_u32_e32 v4, -1, v3
	v_fma_f32 v5, -v4, v3, v2
	v_cmp_ge_f32_e64 s[2:3], 0, v5
	v_add_u32_e32 v5, 1, v3
	s_nop 0
	v_cndmask_b32_e64 v4, v3, v4, s[2:3]
	v_fma_f32 v3, -v5, v3, v2
	v_cmp_lt_f32_e64 s[2:3], 0, v3
	s_nop 1
	v_cndmask_b32_e64 v3, v4, v5, s[2:3]
	v_mul_f32_e32 v4, 0x37800000, v3
	v_cndmask_b32_e32 v3, v3, v4, vcc
	v_mov_b32_e32 v4, 0x260
	v_cmp_class_f32_e32 vcc, v2, v4
	s_nop 1
	v_cndmask_b32_e32 v2, v3, v2, vcc
	v_add_f32_e32 v3, v2, v2
	v_div_scale_f32 v4, s[2:3], v3, v3, v12
	v_rcp_f32_e32 v5, v4
	s_nop 0
	v_fma_f32 v13, -v4, v5, 1.0
	v_fmac_f32_e32 v5, v13, v5
	v_div_scale_f32 v13, vcc, v12, v3, v12
	v_mul_f32_e32 v14, v13, v5
	v_fma_f32 v15, -v4, v14, v13
	v_fmac_f32_e32 v14, v15, v5
	v_fma_f32 v4, -v4, v14, v13
	v_div_fmas_f32 v4, v4, v5, v14
	v_div_fixup_f32 v3, v4, v3, v12
                                        ; implicit-def: $vgpr4
                                        ; implicit-def: $vgpr12_vgpr13
	s_andn2_saveexec_b64 s[22:23], s[22:23]
	s_cbranch_execz .LBB234_105
	s_branch .LBB234_104
.LBB234_103:
	s_andn2_saveexec_b64 s[22:23], s[22:23]
	s_cbranch_execz .LBB234_105
.LBB234_104:
	v_sub_f32_e32 v2, v4, v13
	v_mul_f32_e32 v2, 0.5, v2
	s_mov_b32 s2, 0xf800000
	v_mul_f32_e32 v3, 0x4f800000, v2
	v_cmp_gt_f32_e32 vcc, s2, v2
	s_nop 1
	v_cndmask_b32_e32 v2, v2, v3, vcc
	v_sqrt_f32_e32 v3, v2
	s_nop 0
	v_add_u32_e32 v4, -1, v3
	v_fma_f32 v5, -v4, v3, v2
	v_cmp_ge_f32_e64 s[2:3], 0, v5
	v_add_u32_e32 v5, 1, v3
	s_nop 0
	v_cndmask_b32_e64 v4, v3, v4, s[2:3]
	v_fma_f32 v3, -v5, v3, v2
	v_cmp_lt_f32_e64 s[2:3], 0, v3
	s_nop 1
	v_cndmask_b32_e64 v3, v4, v5, s[2:3]
	v_mul_f32_e32 v4, 0x37800000, v3
	v_cndmask_b32_e32 v3, v3, v4, vcc
	v_mov_b32_e32 v4, 0x260
	v_cmp_class_f32_e32 vcc, v2, v4
	v_and_b32_e32 v4, 0x7fffffff, v12
	s_nop 0
	v_cndmask_b32_e32 v3, v3, v2, vcc
	v_add_f32_e32 v2, v3, v3
	v_div_scale_f32 v5, s[2:3], v2, v2, v4
	v_rcp_f32_e32 v13, v5
	v_div_scale_f32 v4, vcc, v4, v2, v4
	s_brev_b32 s2, -2
	v_fma_f32 v14, -v5, v13, 1.0
	v_fmac_f32_e32 v13, v14, v13
	v_mul_f32_e32 v14, v4, v13
	v_fma_f32 v15, -v5, v14, v4
	v_fmac_f32_e32 v14, v15, v13
	v_fma_f32 v4, -v5, v14, v4
	v_div_fmas_f32 v4, v4, v13, v14
	v_div_fixup_f32 v2, v4, v2, |v12|
	v_bfi_b32 v3, s2, v3, v12
.LBB234_105:
	s_or_b64 exec, exec, s[22:23]
                                        ; implicit-def: $vgpr12
	s_and_saveexec_b64 s[2:3], s[0:1]
	s_xor_b64 s[0:1], exec, s[2:3]
	s_cbranch_execz .LBB234_107
; %bb.106:
	v_mul_f32_e32 v4, 0.5, v2
	v_mul_f32_e32 v5, 0.5, v3
	v_cndmask_b32_e64 v13, v2, v4, s[20:21]
	v_cndmask_b32_e64 v12, v3, v5, s[20:21]
                                        ; implicit-def: $vgpr2
                                        ; implicit-def: $vgpr3
	s_andn2_saveexec_b64 s[0:1], s[0:1]
	s_cbranch_execnz .LBB234_108
	s_branch .LBB234_109
.LBB234_107:
	s_andn2_saveexec_b64 s[0:1], s[0:1]
.LBB234_108:
	v_add_f32_e32 v13, v2, v2
	v_add_f32_e32 v12, v3, v3
.LBB234_109:
	s_or_b64 exec, exec, s[0:1]
                                        ; implicit-def: $vgpr2_vgpr3_vgpr4_vgpr5
.LBB234_110:
	s_andn2_saveexec_b64 s[0:1], s[18:19]
	s_cbranch_execz .LBB234_116
; %bb.111:
	v_and_b32_e32 v2, 0x8000, v5
	v_cmp_ne_u32_e32 vcc, 0, v2
	v_sub_f32_e32 v2, v12, v12
	s_and_saveexec_b64 s[2:3], vcc
	s_xor_b64 s[2:3], exec, s[2:3]
; %bb.112:
	s_brev_b32 s7, -2
	v_and_b32_e32 v2, 0x7fffffff, v2
	v_bfi_b32 v12, s7, v13, v12
	v_mov_b32_e32 v13, v2
                                        ; implicit-def: $vgpr2
; %bb.113:
	s_andn2_saveexec_b64 s[2:3], s[2:3]
; %bb.114:
	s_brev_b32 s7, -2
	v_bfi_b32 v12, s7, v2, v12
; %bb.115:
	s_or_b64 exec, exec, s[2:3]
.LBB234_116:
	s_or_b64 exec, exec, s[0:1]
.LBB234_117:
	s_andn2_saveexec_b64 s[0:1], s[16:17]
	s_cbranch_execz .LBB234_119
; %bb.118:
	v_sub_f32_e32 v2, v12, v12
	v_div_scale_f32 v3, vcc, v2, v2, v2
	v_rcp_f32_e32 v4, v3
	s_nop 0
	v_fma_f32 v5, -v3, v4, 1.0
	v_fmac_f32_e32 v4, v5, v4
	v_mul_f32_e32 v5, v3, v4
	v_fma_f32 v12, -v3, v5, v3
	v_fmac_f32_e32 v5, v12, v4
	v_fma_f32 v3, -v3, v5, v3
	v_div_fmas_f32 v3, v3, v4, v5
	v_div_fixup_f32 v12, v3, v2, v2
.LBB234_119:
	s_or_b64 exec, exec, s[0:1]
.LBB234_120:
	s_or_b64 exec, exec, s[14:15]
.LBB234_121:
	s_or_b64 exec, exec, s[12:13]
	v_cvt_pk_f16_f32 v2, v8, v6
	v_cvt_pk_f16_f32 v4, v10, v12
	;; [unrolled: 1-line block ×3, first 2 shown]
	v_and_b32_e32 v3, 0xffff0000, v2
	v_lshlrev_b32_e32 v2, 16, v2
	v_cvt_pk_f16_f32 v10, v11, v13
	s_add_u32 s0, s8, s4
	v_or_b32_sdwa v3, v3, v5 dst_sel:DWORD dst_unused:UNUSED_PAD src0_sel:DWORD src1_sel:WORD_1
	v_or_b32_sdwa v2, v2, v5 dst_sel:DWORD dst_unused:UNUSED_PAD src0_sel:DWORD src1_sel:WORD_0
	v_and_b32_e32 v5, 0xffff0000, v4
	v_lshlrev_b32_e32 v4, 16, v4
	s_addc_u32 s1, s9, s5
	v_or_b32_sdwa v5, v5, v10 dst_sel:DWORD dst_unused:UNUSED_PAD src0_sel:DWORD src1_sel:WORD_1
	v_or_b32_sdwa v4, v4, v10 dst_sel:DWORD dst_unused:UNUSED_PAD src0_sel:DWORD src1_sel:WORD_0
	global_store_dwordx4 v1, v[2:5], s[0:1]
	s_mov_b64 s[0:1], 0
.LBB234_122:
	s_and_b64 vcc, exec, s[0:1]
	s_cbranch_vccz .LBB234_267
; %bb.123:
	v_cmp_gt_i32_e64 s[0:1], s24, v0
	v_mov_b32_e32 v1, 0
	v_or_b32_e32 v2, s6, v0
	v_mov_b32_e32 v5, 0
	v_mov_b32_e32 v3, 0
	;; [unrolled: 1-line block ×3, first 2 shown]
	s_and_saveexec_b64 s[2:3], s[0:1]
	s_cbranch_execz .LBB234_131
; %bb.124:
	v_mov_b32_e32 v3, 0
	v_lshl_add_u64 v[4:5], v[2:3], 2, s[10:11]
	global_load_dword v9, v[4:5], off
	v_or_b32_e32 v1, 0x100, v0
	v_cmp_gt_u32_e32 vcc, s24, v1
	v_mov_b32_e32 v5, v3
	v_mov_b32_e32 v1, v3
	s_and_saveexec_b64 s[4:5], vcc
	s_cbranch_execz .LBB234_130
; %bb.125:
	v_add_u32_e32 v4, s6, v0
	v_mov_b32_e32 v5, 0
	v_lshl_add_u64 v[6:7], v[4:5], 2, s[10:11]
	global_load_dword v3, v[6:7], off offset:1024
	v_or_b32_e32 v1, 0x200, v0
	v_cmp_gt_u32_e32 vcc, s24, v1
	v_mov_b32_e32 v1, v5
	s_and_saveexec_b64 s[10:11], vcc
	s_cbranch_execz .LBB234_129
; %bb.126:
	global_load_dword v5, v[6:7], off offset:2048
	v_or_b32_e32 v1, 0x300, v0
	v_cmp_gt_u32_e32 vcc, s24, v1
	v_mov_b32_e32 v1, 0
	s_and_saveexec_b64 s[12:13], vcc
	s_cbranch_execz .LBB234_128
; %bb.127:
	global_load_dword v1, v[6:7], off offset:3072
.LBB234_128:
	s_or_b64 exec, exec, s[12:13]
.LBB234_129:
	s_or_b64 exec, exec, s[10:11]
.LBB234_130:
	s_or_b64 exec, exec, s[4:5]
.LBB234_131:
	s_or_b64 exec, exec, s[2:3]
                                        ; implicit-def: $vgpr8
	s_and_saveexec_b64 s[10:11], s[0:1]
	s_cbranch_execz .LBB234_163
; %bb.132:
	s_waitcnt vmcnt(0)
	v_cvt_f32_f16_sdwa v6, v9 dst_sel:DWORD dst_unused:UNUSED_PAD src0_sel:WORD_1
	v_mov_b32_e32 v7, 0
	v_cmp_neq_f16_e32 vcc, 0, v9
	v_cmp_neq_f16_sdwa s[2:3], v9, v7 src0_sel:WORD_1 src1_sel:DWORD
	s_or_b64 s[2:3], vcc, s[2:3]
	s_and_saveexec_b64 s[12:13], s[2:3]
	s_cbranch_execz .LBB234_162
; %bb.133:
	v_mov_b32_e32 v7, 0x7f800000
	v_cmp_neq_f32_e64 s[2:3], |v6|, v7
	s_and_saveexec_b64 s[14:15], s[2:3]
	s_cbranch_execz .LBB234_161
; %bb.134:
	v_cvt_f32_f16_e32 v7, v9
	v_cmp_o_f16_e32 vcc, v9, v9
	s_and_saveexec_b64 s[2:3], vcc
	s_xor_b64 s[16:17], exec, s[2:3]
	s_cbranch_execz .LBB234_158
; %bb.135:
	s_mov_b32 s2, 0x7f800000
	v_cmp_neq_f32_e64 s[2:3], |v7|, s2
	s_and_saveexec_b64 s[4:5], s[2:3]
	s_xor_b64 s[18:19], exec, s[4:5]
	s_cbranch_execz .LBB234_151
; %bb.136:
	v_max_f32_e64 v4, |v6|, |v6|
	v_max_f32_e64 v8, |v7|, |v7|
	v_max_f32_e32 v4, v8, v4
	s_mov_b32 s2, 0x7ed413cb
	v_cmp_nle_f32_e64 s[2:3], s2, v4
                                        ; implicit-def: $sgpr20_sgpr21
	s_and_saveexec_b64 s[4:5], s[2:3]
	s_xor_b64 s[4:5], exec, s[4:5]
	s_cbranch_execz .LBB234_140
; %bb.137:
	s_mov_b32 s7, 0x1000000
	v_cmp_le_f32_e64 s[20:21], |v7|, s7
	v_cmp_le_f32_e64 s[22:23], |v6|, s7
	s_and_b64 s[26:27], s[20:21], s[22:23]
	s_mov_b64 s[20:21], 0
	s_and_saveexec_b64 s[22:23], s[26:27]
; %bb.138:
	s_mov_b64 s[20:21], exec
	v_pk_mul_f32 v[6:7], v[6:7], 4.0 op_sel_hi:[1,0]
; %bb.139:
	s_or_b64 exec, exec, s[22:23]
.LBB234_140:
	s_andn2_saveexec_b64 s[4:5], s[4:5]
; %bb.141:
	s_mov_b32 s22, 0x3e800000
	v_pk_mul_f32 v[6:7], v[6:7], s[22:23] op_sel_hi:[1,0]
	s_andn2_b64 s[20:21], s[20:21], exec
; %bb.142:
	s_or_b64 exec, exec, s[4:5]
	v_max_f32_e64 v4, |v6|, |v6|
	v_max_f32_e64 v8, |v7|, |v7|
	v_max_f32_e32 v4, v8, v4
	v_cvt_f64_f32_e32 v[8:9], v4
	v_frexp_exp_i32_f64_e32 v8, v[8:9]
	v_sub_u32_e32 v9, 0, v8
	v_ldexp_f32 v10, |v7|, v9
	v_ldexp_f32 v9, |v6|, v9
	v_mul_f32_e32 v9, v9, v9
	v_fmac_f32_e32 v9, v10, v10
	v_sqrt_f32_e32 v9, v9
	s_mov_b32 s4, 0x7f800000
	v_cmp_neq_f32_e64 s[4:5], s4, v4
	v_cmp_le_f32_e32 vcc, 0, v7
	v_ldexp_f32 v8, v9, v8
	v_mov_b32_e32 v9, 0x7f800000
	v_cndmask_b32_e64 v9, v9, v8, s[4:5]
                                        ; implicit-def: $vgpr8
                                        ; implicit-def: $vgpr4
	s_and_saveexec_b64 s[4:5], vcc
	s_xor_b64 s[22:23], exec, s[4:5]
	s_cbranch_execz .LBB234_144
; %bb.143:
	v_add_f32_e32 v4, v7, v9
	v_mul_f32_e32 v4, 0.5, v4
	s_mov_b32 s4, 0xf800000
	v_mul_f32_e32 v7, 0x4f800000, v4
	v_cmp_gt_f32_e32 vcc, s4, v4
	s_nop 1
	v_cndmask_b32_e32 v4, v4, v7, vcc
	v_sqrt_f32_e32 v7, v4
	s_nop 0
	v_add_u32_e32 v8, -1, v7
	v_fma_f32 v9, -v8, v7, v4
	v_cmp_ge_f32_e64 s[4:5], 0, v9
	v_add_u32_e32 v9, 1, v7
	s_nop 0
	v_cndmask_b32_e64 v8, v7, v8, s[4:5]
	v_fma_f32 v7, -v9, v7, v4
	v_cmp_lt_f32_e64 s[4:5], 0, v7
	s_nop 1
	v_cndmask_b32_e64 v7, v8, v9, s[4:5]
	v_mul_f32_e32 v8, 0x37800000, v7
	v_cndmask_b32_e32 v7, v7, v8, vcc
	v_mov_b32_e32 v8, 0x260
	v_cmp_class_f32_e32 vcc, v4, v8
	s_nop 1
	v_cndmask_b32_e32 v4, v7, v4, vcc
	v_add_f32_e32 v7, v4, v4
	v_div_scale_f32 v8, s[4:5], v7, v7, v6
	v_rcp_f32_e32 v9, v8
	s_nop 0
	v_fma_f32 v10, -v8, v9, 1.0
	v_fmac_f32_e32 v9, v10, v9
	v_div_scale_f32 v10, vcc, v6, v7, v6
	v_mul_f32_e32 v11, v10, v9
	v_fma_f32 v12, -v8, v11, v10
	v_fmac_f32_e32 v11, v12, v9
	v_fma_f32 v8, -v8, v11, v10
	v_div_fmas_f32 v8, v8, v9, v11
	v_div_fixup_f32 v8, v8, v7, v6
                                        ; implicit-def: $vgpr9
                                        ; implicit-def: $vgpr6_vgpr7
	s_andn2_saveexec_b64 s[22:23], s[22:23]
	s_cbranch_execz .LBB234_146
	s_branch .LBB234_145
.LBB234_144:
	s_andn2_saveexec_b64 s[22:23], s[22:23]
	s_cbranch_execz .LBB234_146
.LBB234_145:
	v_sub_f32_e32 v4, v9, v7
	v_mul_f32_e32 v4, 0.5, v4
	s_mov_b32 s4, 0xf800000
	v_mul_f32_e32 v7, 0x4f800000, v4
	v_cmp_gt_f32_e32 vcc, s4, v4
	s_nop 1
	v_cndmask_b32_e32 v4, v4, v7, vcc
	v_sqrt_f32_e32 v7, v4
	s_nop 0
	v_add_u32_e32 v8, -1, v7
	v_fma_f32 v9, -v8, v7, v4
	v_cmp_ge_f32_e64 s[4:5], 0, v9
	v_add_u32_e32 v9, 1, v7
	s_nop 0
	v_cndmask_b32_e64 v8, v7, v8, s[4:5]
	v_fma_f32 v7, -v9, v7, v4
	v_cmp_lt_f32_e64 s[4:5], 0, v7
	s_nop 1
	v_cndmask_b32_e64 v7, v8, v9, s[4:5]
	v_mul_f32_e32 v8, 0x37800000, v7
	v_cndmask_b32_e32 v7, v7, v8, vcc
	v_mov_b32_e32 v8, 0x260
	v_cmp_class_f32_e32 vcc, v4, v8
	v_and_b32_e32 v8, 0x7fffffff, v6
	s_nop 0
	v_cndmask_b32_e32 v7, v7, v4, vcc
	v_add_f32_e32 v4, v7, v7
	v_div_scale_f32 v9, s[4:5], v4, v4, v8
	v_rcp_f32_e32 v10, v9
	v_div_scale_f32 v8, vcc, v8, v4, v8
	s_brev_b32 s4, -2
	v_fma_f32 v11, -v9, v10, 1.0
	v_fmac_f32_e32 v10, v11, v10
	v_mul_f32_e32 v11, v8, v10
	v_fma_f32 v12, -v9, v11, v8
	v_fmac_f32_e32 v11, v12, v10
	v_fma_f32 v8, -v9, v11, v8
	v_div_fmas_f32 v8, v8, v10, v11
	v_div_fixup_f32 v4, v8, v4, |v6|
	v_bfi_b32 v8, s4, v7, v6
.LBB234_146:
	s_or_b64 exec, exec, s[22:23]
                                        ; implicit-def: $vgpr6
	s_and_saveexec_b64 s[4:5], s[2:3]
	s_xor_b64 s[2:3], exec, s[4:5]
	s_cbranch_execz .LBB234_148
; %bb.147:
	v_mul_f32_e32 v6, 0.5, v4
	v_mul_f32_e32 v9, 0.5, v8
	v_cndmask_b32_e64 v7, v4, v6, s[20:21]
	v_cndmask_b32_e64 v6, v8, v9, s[20:21]
                                        ; implicit-def: $vgpr4
                                        ; implicit-def: $vgpr8
	s_andn2_saveexec_b64 s[2:3], s[2:3]
	s_cbranch_execnz .LBB234_149
	s_branch .LBB234_150
.LBB234_148:
	s_andn2_saveexec_b64 s[2:3], s[2:3]
.LBB234_149:
	v_add_f32_e32 v7, v4, v4
	v_add_f32_e32 v6, v8, v8
.LBB234_150:
	s_or_b64 exec, exec, s[2:3]
                                        ; implicit-def: $vgpr9
.LBB234_151:
	s_andn2_saveexec_b64 s[2:3], s[18:19]
	s_cbranch_execz .LBB234_157
; %bb.152:
	v_and_b32_e32 v4, 0x8000, v9
	v_cmp_ne_u32_e32 vcc, 0, v4
	v_sub_f32_e32 v4, v6, v6
	s_and_saveexec_b64 s[4:5], vcc
	s_xor_b64 s[4:5], exec, s[4:5]
; %bb.153:
	s_brev_b32 s7, -2
	v_and_b32_e32 v4, 0x7fffffff, v4
	v_bfi_b32 v6, s7, v7, v6
	v_mov_b32_e32 v7, v4
                                        ; implicit-def: $vgpr4
; %bb.154:
	s_andn2_saveexec_b64 s[4:5], s[4:5]
; %bb.155:
	s_brev_b32 s7, -2
	v_bfi_b32 v6, s7, v4, v6
; %bb.156:
	s_or_b64 exec, exec, s[4:5]
.LBB234_157:
	s_or_b64 exec, exec, s[2:3]
.LBB234_158:
	s_andn2_saveexec_b64 s[2:3], s[16:17]
	s_cbranch_execz .LBB234_160
; %bb.159:
	v_sub_f32_e32 v4, v6, v6
	v_div_scale_f32 v6, vcc, v4, v4, v4
	v_rcp_f32_e32 v8, v6
	s_nop 0
	v_fma_f32 v9, -v6, v8, 1.0
	v_fmac_f32_e32 v8, v9, v8
	v_mul_f32_e32 v9, v6, v8
	v_fma_f32 v10, -v6, v9, v6
	v_fmac_f32_e32 v9, v10, v8
	v_fma_f32 v6, -v6, v9, v6
	v_div_fmas_f32 v6, v6, v8, v9
	v_div_fixup_f32 v6, v6, v4, v4
.LBB234_160:
	s_or_b64 exec, exec, s[2:3]
.LBB234_161:
	s_or_b64 exec, exec, s[14:15]
.LBB234_162:
	s_or_b64 exec, exec, s[12:13]
	v_cvt_f16_f32_e32 v4, v7
	v_cvt_f16_f32_sdwa v6, v6 dst_sel:WORD_1 dst_unused:UNUSED_PAD src0_sel:DWORD
	s_nop 0
	v_or_b32_e32 v8, v6, v4
.LBB234_163:
	s_or_b64 exec, exec, s[10:11]
	s_waitcnt vmcnt(0)
	v_or_b32_e32 v9, 0x100, v0
	v_cmp_gt_i32_e32 vcc, s24, v9
                                        ; implicit-def: $vgpr10
	s_and_saveexec_b64 s[10:11], vcc
	s_cbranch_execz .LBB234_195
; %bb.164:
	v_cvt_f32_f16_sdwa v6, v3 dst_sel:DWORD dst_unused:UNUSED_PAD src0_sel:WORD_1
	v_mov_b32_e32 v7, 0
	v_cmp_neq_f16_e32 vcc, 0, v3
	v_cmp_neq_f16_sdwa s[2:3], v3, v7 src0_sel:WORD_1 src1_sel:DWORD
	s_or_b64 s[2:3], vcc, s[2:3]
	s_and_saveexec_b64 s[12:13], s[2:3]
	s_cbranch_execz .LBB234_194
; %bb.165:
	v_mov_b32_e32 v7, 0x7f800000
	v_cmp_neq_f32_e64 s[2:3], |v6|, v7
	s_and_saveexec_b64 s[14:15], s[2:3]
	s_cbranch_execz .LBB234_193
; %bb.166:
	v_cvt_f32_f16_e32 v7, v3
	v_cmp_o_f16_e32 vcc, v3, v3
	s_and_saveexec_b64 s[2:3], vcc
	s_xor_b64 s[16:17], exec, s[2:3]
	s_cbranch_execz .LBB234_190
; %bb.167:
	s_mov_b32 s2, 0x7f800000
	v_cmp_neq_f32_e64 s[2:3], |v7|, s2
	s_and_saveexec_b64 s[4:5], s[2:3]
	s_xor_b64 s[18:19], exec, s[4:5]
	s_cbranch_execz .LBB234_183
; %bb.168:
	v_max_f32_e64 v3, |v6|, |v6|
	v_max_f32_e64 v4, |v7|, |v7|
	v_max_f32_e32 v3, v4, v3
	s_mov_b32 s2, 0x7ed413cb
	v_cmp_nle_f32_e64 s[2:3], s2, v3
                                        ; implicit-def: $sgpr20_sgpr21
	s_and_saveexec_b64 s[4:5], s[2:3]
	s_xor_b64 s[4:5], exec, s[4:5]
	s_cbranch_execz .LBB234_172
; %bb.169:
	s_mov_b32 s7, 0x1000000
	v_cmp_le_f32_e64 s[20:21], |v7|, s7
	v_cmp_le_f32_e64 s[22:23], |v6|, s7
	s_and_b64 s[26:27], s[20:21], s[22:23]
	s_mov_b64 s[20:21], 0
	s_and_saveexec_b64 s[22:23], s[26:27]
; %bb.170:
	s_mov_b64 s[20:21], exec
	v_pk_mul_f32 v[6:7], v[6:7], 4.0 op_sel_hi:[1,0]
; %bb.171:
	s_or_b64 exec, exec, s[22:23]
.LBB234_172:
	s_andn2_saveexec_b64 s[4:5], s[4:5]
; %bb.173:
	s_mov_b32 s22, 0x3e800000
	v_pk_mul_f32 v[6:7], v[6:7], s[22:23] op_sel_hi:[1,0]
	s_andn2_b64 s[20:21], s[20:21], exec
; %bb.174:
	s_or_b64 exec, exec, s[4:5]
	v_max_f32_e64 v3, |v6|, |v6|
	v_max_f32_e64 v4, |v7|, |v7|
	v_max_f32_e32 v3, v4, v3
	v_cvt_f64_f32_e32 v[10:11], v3
	v_frexp_exp_i32_f64_e32 v4, v[10:11]
	v_sub_u32_e32 v10, 0, v4
	v_ldexp_f32 v11, |v7|, v10
	v_ldexp_f32 v10, |v6|, v10
	v_mul_f32_e32 v10, v10, v10
	v_fmac_f32_e32 v10, v11, v11
	v_sqrt_f32_e32 v10, v10
	s_mov_b32 s4, 0x7f800000
	v_cmp_neq_f32_e64 s[4:5], s4, v3
	v_cmp_le_f32_e32 vcc, 0, v7
	v_ldexp_f32 v4, v10, v4
	v_mov_b32_e32 v10, 0x7f800000
	v_cndmask_b32_e64 v10, v10, v4, s[4:5]
                                        ; implicit-def: $vgpr4
                                        ; implicit-def: $vgpr3
	s_and_saveexec_b64 s[4:5], vcc
	s_xor_b64 s[22:23], exec, s[4:5]
	s_cbranch_execz .LBB234_176
; %bb.175:
	v_add_f32_e32 v3, v7, v10
	v_mul_f32_e32 v3, 0.5, v3
	s_mov_b32 s4, 0xf800000
	v_mul_f32_e32 v4, 0x4f800000, v3
	v_cmp_gt_f32_e32 vcc, s4, v3
	s_nop 1
	v_cndmask_b32_e32 v3, v3, v4, vcc
	v_sqrt_f32_e32 v4, v3
	s_nop 0
	v_add_u32_e32 v7, -1, v4
	v_fma_f32 v10, -v7, v4, v3
	v_cmp_ge_f32_e64 s[4:5], 0, v10
	v_add_u32_e32 v10, 1, v4
	s_nop 0
	v_cndmask_b32_e64 v7, v4, v7, s[4:5]
	v_fma_f32 v4, -v10, v4, v3
	v_cmp_lt_f32_e64 s[4:5], 0, v4
	s_nop 1
	v_cndmask_b32_e64 v4, v7, v10, s[4:5]
	v_mul_f32_e32 v7, 0x37800000, v4
	v_cndmask_b32_e32 v4, v4, v7, vcc
	v_mov_b32_e32 v7, 0x260
	v_cmp_class_f32_e32 vcc, v3, v7
	s_nop 1
	v_cndmask_b32_e32 v3, v4, v3, vcc
	v_add_f32_e32 v4, v3, v3
	v_div_scale_f32 v7, s[4:5], v4, v4, v6
	v_rcp_f32_e32 v10, v7
	s_nop 0
	v_fma_f32 v11, -v7, v10, 1.0
	v_fmac_f32_e32 v10, v11, v10
	v_div_scale_f32 v11, vcc, v6, v4, v6
	v_mul_f32_e32 v12, v11, v10
	v_fma_f32 v13, -v7, v12, v11
	v_fmac_f32_e32 v12, v13, v10
	v_fma_f32 v7, -v7, v12, v11
	v_div_fmas_f32 v7, v7, v10, v12
	v_div_fixup_f32 v4, v7, v4, v6
                                        ; implicit-def: $vgpr10
                                        ; implicit-def: $vgpr6_vgpr7
	s_andn2_saveexec_b64 s[22:23], s[22:23]
	s_cbranch_execz .LBB234_178
	s_branch .LBB234_177
.LBB234_176:
	s_andn2_saveexec_b64 s[22:23], s[22:23]
	s_cbranch_execz .LBB234_178
.LBB234_177:
	v_sub_f32_e32 v3, v10, v7
	v_mul_f32_e32 v3, 0.5, v3
	s_mov_b32 s4, 0xf800000
	v_mul_f32_e32 v4, 0x4f800000, v3
	v_cmp_gt_f32_e32 vcc, s4, v3
	s_nop 1
	v_cndmask_b32_e32 v3, v3, v4, vcc
	v_sqrt_f32_e32 v4, v3
	s_nop 0
	v_add_u32_e32 v7, -1, v4
	v_fma_f32 v10, -v7, v4, v3
	v_cmp_ge_f32_e64 s[4:5], 0, v10
	v_add_u32_e32 v10, 1, v4
	s_nop 0
	v_cndmask_b32_e64 v7, v4, v7, s[4:5]
	v_fma_f32 v4, -v10, v4, v3
	v_cmp_lt_f32_e64 s[4:5], 0, v4
	s_nop 1
	v_cndmask_b32_e64 v4, v7, v10, s[4:5]
	v_mul_f32_e32 v7, 0x37800000, v4
	v_cndmask_b32_e32 v4, v4, v7, vcc
	v_mov_b32_e32 v7, 0x260
	v_cmp_class_f32_e32 vcc, v3, v7
	v_and_b32_e32 v7, 0x7fffffff, v6
	s_nop 0
	v_cndmask_b32_e32 v4, v4, v3, vcc
	v_add_f32_e32 v3, v4, v4
	v_div_scale_f32 v10, s[4:5], v3, v3, v7
	v_rcp_f32_e32 v11, v10
	v_div_scale_f32 v7, vcc, v7, v3, v7
	s_brev_b32 s4, -2
	v_fma_f32 v12, -v10, v11, 1.0
	v_fmac_f32_e32 v11, v12, v11
	v_mul_f32_e32 v12, v7, v11
	v_fma_f32 v13, -v10, v12, v7
	v_fmac_f32_e32 v12, v13, v11
	v_fma_f32 v7, -v10, v12, v7
	v_div_fmas_f32 v7, v7, v11, v12
	v_div_fixup_f32 v3, v7, v3, |v6|
	v_bfi_b32 v4, s4, v4, v6
.LBB234_178:
	s_or_b64 exec, exec, s[22:23]
                                        ; implicit-def: $vgpr6
	s_and_saveexec_b64 s[4:5], s[2:3]
	s_xor_b64 s[2:3], exec, s[4:5]
	s_cbranch_execz .LBB234_180
; %bb.179:
	v_mul_f32_e32 v6, 0.5, v3
	v_mul_f32_e32 v10, 0.5, v4
	v_cndmask_b32_e64 v7, v3, v6, s[20:21]
	v_cndmask_b32_e64 v6, v4, v10, s[20:21]
                                        ; implicit-def: $vgpr3
                                        ; implicit-def: $vgpr4
	s_andn2_saveexec_b64 s[2:3], s[2:3]
	s_cbranch_execnz .LBB234_181
	s_branch .LBB234_182
.LBB234_180:
	s_andn2_saveexec_b64 s[2:3], s[2:3]
.LBB234_181:
	v_add_f32_e32 v7, v3, v3
	v_add_f32_e32 v6, v4, v4
.LBB234_182:
	s_or_b64 exec, exec, s[2:3]
.LBB234_183:
	s_andn2_saveexec_b64 s[2:3], s[18:19]
	s_cbranch_execz .LBB234_189
; %bb.184:
	v_and_b32_e32 v3, 0x8000, v3
	v_cmp_ne_u32_e32 vcc, 0, v3
	v_sub_f32_e32 v3, v6, v6
	s_and_saveexec_b64 s[4:5], vcc
	s_xor_b64 s[4:5], exec, s[4:5]
; %bb.185:
	s_brev_b32 s7, -2
	v_and_b32_e32 v3, 0x7fffffff, v3
	v_bfi_b32 v6, s7, v7, v6
	v_mov_b32_e32 v7, v3
                                        ; implicit-def: $vgpr3
; %bb.186:
	s_andn2_saveexec_b64 s[4:5], s[4:5]
; %bb.187:
	s_brev_b32 s7, -2
	v_bfi_b32 v6, s7, v3, v6
; %bb.188:
	s_or_b64 exec, exec, s[4:5]
.LBB234_189:
	s_or_b64 exec, exec, s[2:3]
.LBB234_190:
	s_andn2_saveexec_b64 s[2:3], s[16:17]
	s_cbranch_execz .LBB234_192
; %bb.191:
	v_sub_f32_e32 v3, v6, v6
	v_div_scale_f32 v4, vcc, v3, v3, v3
	v_rcp_f32_e32 v6, v4
	s_nop 0
	v_fma_f32 v10, -v4, v6, 1.0
	v_fmac_f32_e32 v6, v10, v6
	v_mul_f32_e32 v10, v4, v6
	v_fma_f32 v11, -v4, v10, v4
	v_fmac_f32_e32 v10, v11, v6
	v_fma_f32 v4, -v4, v10, v4
	v_div_fmas_f32 v4, v4, v6, v10
	v_div_fixup_f32 v6, v4, v3, v3
.LBB234_192:
	s_or_b64 exec, exec, s[2:3]
.LBB234_193:
	s_or_b64 exec, exec, s[14:15]
.LBB234_194:
	s_or_b64 exec, exec, s[12:13]
	v_cvt_f16_f32_e32 v3, v7
	v_cvt_f16_f32_sdwa v4, v6 dst_sel:WORD_1 dst_unused:UNUSED_PAD src0_sel:DWORD
	s_nop 0
	v_or_b32_e32 v10, v4, v3
.LBB234_195:
	s_or_b64 exec, exec, s[10:11]
	v_or_b32_e32 v3, 0x200, v0
	v_cmp_gt_i32_e32 vcc, s24, v3
                                        ; implicit-def: $vgpr6
	s_and_saveexec_b64 s[10:11], vcc
	s_cbranch_execz .LBB234_227
; %bb.196:
	v_cvt_f32_f16_sdwa v6, v5 dst_sel:DWORD dst_unused:UNUSED_PAD src0_sel:WORD_1
	v_mov_b32_e32 v7, 0
	v_cmp_neq_f16_e32 vcc, 0, v5
	v_cmp_neq_f16_sdwa s[2:3], v5, v7 src0_sel:WORD_1 src1_sel:DWORD
	s_or_b64 s[2:3], vcc, s[2:3]
	s_and_saveexec_b64 s[12:13], s[2:3]
	s_cbranch_execz .LBB234_226
; %bb.197:
	v_mov_b32_e32 v7, 0x7f800000
	v_cmp_neq_f32_e64 s[2:3], |v6|, v7
	s_and_saveexec_b64 s[14:15], s[2:3]
	s_cbranch_execz .LBB234_225
; %bb.198:
	v_cvt_f32_f16_e32 v7, v5
	v_cmp_o_f16_e32 vcc, v5, v5
	s_and_saveexec_b64 s[2:3], vcc
	s_xor_b64 s[16:17], exec, s[2:3]
	s_cbranch_execz .LBB234_222
; %bb.199:
	s_mov_b32 s2, 0x7f800000
	v_cmp_neq_f32_e64 s[2:3], |v7|, s2
	s_and_saveexec_b64 s[4:5], s[2:3]
	s_xor_b64 s[18:19], exec, s[4:5]
	s_cbranch_execz .LBB234_215
; %bb.200:
	v_max_f32_e64 v3, |v6|, |v6|
	v_max_f32_e64 v4, |v7|, |v7|
	v_max_f32_e32 v3, v4, v3
	s_mov_b32 s2, 0x7ed413cb
	v_cmp_nle_f32_e64 s[2:3], s2, v3
                                        ; implicit-def: $sgpr20_sgpr21
	s_and_saveexec_b64 s[4:5], s[2:3]
	s_xor_b64 s[4:5], exec, s[4:5]
	s_cbranch_execz .LBB234_204
; %bb.201:
	s_mov_b32 s7, 0x1000000
	v_cmp_le_f32_e64 s[20:21], |v7|, s7
	v_cmp_le_f32_e64 s[22:23], |v6|, s7
	s_and_b64 s[26:27], s[20:21], s[22:23]
	s_mov_b64 s[20:21], 0
	s_and_saveexec_b64 s[22:23], s[26:27]
; %bb.202:
	s_mov_b64 s[20:21], exec
	v_pk_mul_f32 v[6:7], v[6:7], 4.0 op_sel_hi:[1,0]
; %bb.203:
	s_or_b64 exec, exec, s[22:23]
.LBB234_204:
	s_andn2_saveexec_b64 s[4:5], s[4:5]
; %bb.205:
	s_mov_b32 s22, 0x3e800000
	v_pk_mul_f32 v[6:7], v[6:7], s[22:23] op_sel_hi:[1,0]
	s_andn2_b64 s[20:21], s[20:21], exec
; %bb.206:
	s_or_b64 exec, exec, s[4:5]
	v_max_f32_e64 v3, |v6|, |v6|
	v_max_f32_e64 v4, |v7|, |v7|
	v_max_f32_e32 v3, v4, v3
	v_cvt_f64_f32_e32 v[4:5], v3
	v_frexp_exp_i32_f64_e32 v4, v[4:5]
	v_sub_u32_e32 v5, 0, v4
	v_ldexp_f32 v11, |v7|, v5
	v_ldexp_f32 v5, |v6|, v5
	v_mul_f32_e32 v5, v5, v5
	v_fmac_f32_e32 v5, v11, v11
	v_sqrt_f32_e32 v5, v5
	s_mov_b32 s4, 0x7f800000
	v_cmp_neq_f32_e64 s[4:5], s4, v3
	v_cmp_le_f32_e32 vcc, 0, v7
	v_ldexp_f32 v4, v5, v4
	v_mov_b32_e32 v5, 0x7f800000
	v_cndmask_b32_e64 v5, v5, v4, s[4:5]
                                        ; implicit-def: $vgpr4
                                        ; implicit-def: $vgpr3
	s_and_saveexec_b64 s[4:5], vcc
	s_xor_b64 s[22:23], exec, s[4:5]
	s_cbranch_execz .LBB234_208
; %bb.207:
	v_add_f32_e32 v3, v7, v5
	v_mul_f32_e32 v3, 0.5, v3
	s_mov_b32 s4, 0xf800000
	v_mul_f32_e32 v4, 0x4f800000, v3
	v_cmp_gt_f32_e32 vcc, s4, v3
	s_nop 1
	v_cndmask_b32_e32 v3, v3, v4, vcc
	v_sqrt_f32_e32 v4, v3
	s_nop 0
	v_add_u32_e32 v5, -1, v4
	v_fma_f32 v7, -v5, v4, v3
	v_cmp_ge_f32_e64 s[4:5], 0, v7
	v_add_u32_e32 v7, 1, v4
	s_nop 0
	v_cndmask_b32_e64 v5, v4, v5, s[4:5]
	v_fma_f32 v4, -v7, v4, v3
	v_cmp_lt_f32_e64 s[4:5], 0, v4
	s_nop 1
	v_cndmask_b32_e64 v4, v5, v7, s[4:5]
	v_mul_f32_e32 v5, 0x37800000, v4
	v_cndmask_b32_e32 v4, v4, v5, vcc
	v_mov_b32_e32 v5, 0x260
	v_cmp_class_f32_e32 vcc, v3, v5
	s_nop 1
	v_cndmask_b32_e32 v3, v4, v3, vcc
	v_add_f32_e32 v4, v3, v3
	v_div_scale_f32 v5, s[4:5], v4, v4, v6
	v_rcp_f32_e32 v7, v5
	s_nop 0
	v_fma_f32 v11, -v5, v7, 1.0
	v_fmac_f32_e32 v7, v11, v7
	v_div_scale_f32 v11, vcc, v6, v4, v6
	v_mul_f32_e32 v12, v11, v7
	v_fma_f32 v13, -v5, v12, v11
	v_fmac_f32_e32 v12, v13, v7
	v_fma_f32 v5, -v5, v12, v11
	v_div_fmas_f32 v5, v5, v7, v12
	v_div_fixup_f32 v4, v5, v4, v6
                                        ; implicit-def: $vgpr5
                                        ; implicit-def: $vgpr6_vgpr7
	s_andn2_saveexec_b64 s[22:23], s[22:23]
	s_cbranch_execz .LBB234_210
	s_branch .LBB234_209
.LBB234_208:
	s_andn2_saveexec_b64 s[22:23], s[22:23]
	s_cbranch_execz .LBB234_210
.LBB234_209:
	v_sub_f32_e32 v3, v5, v7
	v_mul_f32_e32 v3, 0.5, v3
	s_mov_b32 s4, 0xf800000
	v_mul_f32_e32 v4, 0x4f800000, v3
	v_cmp_gt_f32_e32 vcc, s4, v3
	s_nop 1
	v_cndmask_b32_e32 v3, v3, v4, vcc
	v_sqrt_f32_e32 v4, v3
	s_nop 0
	v_add_u32_e32 v5, -1, v4
	v_fma_f32 v7, -v5, v4, v3
	v_cmp_ge_f32_e64 s[4:5], 0, v7
	v_add_u32_e32 v7, 1, v4
	s_nop 0
	v_cndmask_b32_e64 v5, v4, v5, s[4:5]
	v_fma_f32 v4, -v7, v4, v3
	v_cmp_lt_f32_e64 s[4:5], 0, v4
	s_nop 1
	v_cndmask_b32_e64 v4, v5, v7, s[4:5]
	v_mul_f32_e32 v5, 0x37800000, v4
	v_cndmask_b32_e32 v4, v4, v5, vcc
	v_mov_b32_e32 v5, 0x260
	v_cmp_class_f32_e32 vcc, v3, v5
	v_and_b32_e32 v5, 0x7fffffff, v6
	s_nop 0
	v_cndmask_b32_e32 v4, v4, v3, vcc
	v_add_f32_e32 v3, v4, v4
	v_div_scale_f32 v7, s[4:5], v3, v3, v5
	v_rcp_f32_e32 v11, v7
	v_div_scale_f32 v5, vcc, v5, v3, v5
	s_brev_b32 s4, -2
	v_fma_f32 v12, -v7, v11, 1.0
	v_fmac_f32_e32 v11, v12, v11
	v_mul_f32_e32 v12, v5, v11
	v_fma_f32 v13, -v7, v12, v5
	v_fmac_f32_e32 v12, v13, v11
	v_fma_f32 v5, -v7, v12, v5
	v_div_fmas_f32 v5, v5, v11, v12
	v_div_fixup_f32 v3, v5, v3, |v6|
	v_bfi_b32 v4, s4, v4, v6
.LBB234_210:
	s_or_b64 exec, exec, s[22:23]
                                        ; implicit-def: $vgpr6
	s_and_saveexec_b64 s[4:5], s[2:3]
	s_xor_b64 s[2:3], exec, s[4:5]
	s_cbranch_execz .LBB234_212
; %bb.211:
	v_mul_f32_e32 v5, 0.5, v3
	v_mul_f32_e32 v6, 0.5, v4
	v_cndmask_b32_e64 v7, v3, v5, s[20:21]
	v_cndmask_b32_e64 v6, v4, v6, s[20:21]
                                        ; implicit-def: $vgpr3
                                        ; implicit-def: $vgpr4
	s_andn2_saveexec_b64 s[2:3], s[2:3]
	s_cbranch_execnz .LBB234_213
	s_branch .LBB234_214
.LBB234_212:
	s_andn2_saveexec_b64 s[2:3], s[2:3]
.LBB234_213:
	v_add_f32_e32 v7, v3, v3
	v_add_f32_e32 v6, v4, v4
.LBB234_214:
	s_or_b64 exec, exec, s[2:3]
                                        ; implicit-def: $vgpr5
.LBB234_215:
	s_andn2_saveexec_b64 s[2:3], s[18:19]
	s_cbranch_execz .LBB234_221
; %bb.216:
	v_and_b32_e32 v3, 0x8000, v5
	v_cmp_ne_u32_e32 vcc, 0, v3
	v_sub_f32_e32 v3, v6, v6
	s_and_saveexec_b64 s[4:5], vcc
	s_xor_b64 s[4:5], exec, s[4:5]
; %bb.217:
	s_brev_b32 s7, -2
	v_and_b32_e32 v3, 0x7fffffff, v3
	v_bfi_b32 v6, s7, v7, v6
	v_mov_b32_e32 v7, v3
                                        ; implicit-def: $vgpr3
; %bb.218:
	s_andn2_saveexec_b64 s[4:5], s[4:5]
; %bb.219:
	s_brev_b32 s7, -2
	v_bfi_b32 v6, s7, v3, v6
; %bb.220:
	s_or_b64 exec, exec, s[4:5]
.LBB234_221:
	s_or_b64 exec, exec, s[2:3]
.LBB234_222:
	s_andn2_saveexec_b64 s[2:3], s[16:17]
	s_cbranch_execz .LBB234_224
; %bb.223:
	v_sub_f32_e32 v3, v6, v6
	v_div_scale_f32 v4, vcc, v3, v3, v3
	v_rcp_f32_e32 v5, v4
	s_nop 0
	v_fma_f32 v6, -v4, v5, 1.0
	v_fmac_f32_e32 v5, v6, v5
	v_mul_f32_e32 v6, v4, v5
	v_fma_f32 v11, -v4, v6, v4
	v_fmac_f32_e32 v6, v11, v5
	v_fma_f32 v4, -v4, v6, v4
	v_div_fmas_f32 v4, v4, v5, v6
	v_div_fixup_f32 v6, v4, v3, v3
.LBB234_224:
	s_or_b64 exec, exec, s[2:3]
.LBB234_225:
	s_or_b64 exec, exec, s[14:15]
.LBB234_226:
	s_or_b64 exec, exec, s[12:13]
	v_cvt_f16_f32_e32 v3, v7
	v_cvt_f16_f32_sdwa v4, v6 dst_sel:WORD_1 dst_unused:UNUSED_PAD src0_sel:DWORD
	s_nop 0
	v_or_b32_e32 v6, v4, v3
.LBB234_227:
	s_or_b64 exec, exec, s[10:11]
	v_or_b32_e32 v3, 0x300, v0
	v_cmp_gt_i32_e32 vcc, s24, v3
                                        ; implicit-def: $vgpr4
	s_and_saveexec_b64 s[10:11], vcc
	s_cbranch_execz .LBB234_240
; %bb.228:
	v_cvt_f32_f16_sdwa v4, v1 dst_sel:DWORD dst_unused:UNUSED_PAD src0_sel:WORD_1
	v_mov_b32_e32 v5, 0
	v_cmp_neq_f16_e32 vcc, 0, v1
	v_cmp_neq_f16_sdwa s[2:3], v1, v5 src0_sel:WORD_1 src1_sel:DWORD
	s_or_b64 s[2:3], vcc, s[2:3]
	s_and_saveexec_b64 s[12:13], s[2:3]
	s_cbranch_execz .LBB234_262
; %bb.229:
	v_mov_b32_e32 v5, 0x7f800000
	v_cmp_neq_f32_e64 s[2:3], |v4|, v5
	s_and_saveexec_b64 s[14:15], s[2:3]
	s_cbranch_execz .LBB234_261
; %bb.230:
	v_cvt_f32_f16_e32 v5, v1
	v_cmp_o_f16_e32 vcc, v1, v1
	s_and_saveexec_b64 s[2:3], vcc
	s_xor_b64 s[16:17], exec, s[2:3]
	s_cbranch_execz .LBB234_258
; %bb.231:
	s_mov_b32 s2, 0x7f800000
	v_cmp_neq_f32_e64 s[2:3], |v5|, s2
	s_and_saveexec_b64 s[4:5], s[2:3]
	s_xor_b64 s[18:19], exec, s[4:5]
	s_cbranch_execz .LBB234_251
; %bb.232:
	v_max_f32_e64 v1, |v4|, |v4|
	v_max_f32_e64 v3, |v5|, |v5|
	v_max_f32_e32 v1, v3, v1
	s_mov_b32 s2, 0x7ed413cb
	v_cmp_nle_f32_e64 s[2:3], s2, v1
                                        ; implicit-def: $sgpr20_sgpr21
	s_and_saveexec_b64 s[4:5], s[2:3]
	s_xor_b64 s[4:5], exec, s[4:5]
	s_cbranch_execz .LBB234_236
; %bb.233:
	s_mov_b32 s7, 0x1000000
	v_cmp_le_f32_e64 s[20:21], |v5|, s7
	v_cmp_le_f32_e64 s[22:23], |v4|, s7
	s_and_b64 s[26:27], s[20:21], s[22:23]
	s_mov_b64 s[20:21], 0
	s_and_saveexec_b64 s[22:23], s[26:27]
; %bb.234:
	s_mov_b64 s[20:21], exec
	v_pk_mul_f32 v[4:5], v[4:5], 4.0 op_sel_hi:[1,0]
; %bb.235:
	s_or_b64 exec, exec, s[22:23]
.LBB234_236:
	s_andn2_saveexec_b64 s[4:5], s[4:5]
; %bb.237:
	s_mov_b32 s22, 0x3e800000
	v_pk_mul_f32 v[4:5], v[4:5], s[22:23] op_sel_hi:[1,0]
	s_andn2_b64 s[20:21], s[20:21], exec
; %bb.238:
	s_or_b64 exec, exec, s[4:5]
	v_max_f32_e64 v1, |v4|, |v4|
	v_max_f32_e64 v3, |v5|, |v5|
	v_max_f32_e32 v1, v3, v1
	v_cvt_f64_f32_e32 v[12:13], v1
	v_frexp_exp_i32_f64_e32 v3, v[12:13]
	v_sub_u32_e32 v7, 0, v3
	v_ldexp_f32 v11, |v5|, v7
	v_ldexp_f32 v7, |v4|, v7
	v_mul_f32_e32 v7, v7, v7
	v_fmac_f32_e32 v7, v11, v11
	v_sqrt_f32_e32 v7, v7
	s_mov_b32 s4, 0x7f800000
	v_cmp_neq_f32_e64 s[4:5], s4, v1
	v_cmp_le_f32_e32 vcc, 0, v5
	v_ldexp_f32 v3, v7, v3
	v_mov_b32_e32 v7, 0x7f800000
	v_cndmask_b32_e64 v7, v7, v3, s[4:5]
                                        ; implicit-def: $vgpr3
                                        ; implicit-def: $vgpr1
	s_and_saveexec_b64 s[4:5], vcc
	s_xor_b64 s[22:23], exec, s[4:5]
	s_cbranch_execz .LBB234_244
; %bb.239:
	v_add_f32_e32 v1, v5, v7
	v_mul_f32_e32 v1, 0.5, v1
	s_mov_b32 s4, 0xf800000
	v_mul_f32_e32 v3, 0x4f800000, v1
	v_cmp_gt_f32_e32 vcc, s4, v1
	s_nop 1
	v_cndmask_b32_e32 v1, v1, v3, vcc
	v_sqrt_f32_e32 v3, v1
	s_nop 0
	v_add_u32_e32 v5, -1, v3
	v_fma_f32 v7, -v5, v3, v1
	v_cmp_ge_f32_e64 s[4:5], 0, v7
	v_add_u32_e32 v7, 1, v3
	s_nop 0
	v_cndmask_b32_e64 v5, v3, v5, s[4:5]
	v_fma_f32 v3, -v7, v3, v1
	v_cmp_lt_f32_e64 s[4:5], 0, v3
	s_nop 1
	v_cndmask_b32_e64 v3, v5, v7, s[4:5]
	v_mul_f32_e32 v5, 0x37800000, v3
	v_cndmask_b32_e32 v3, v3, v5, vcc
	v_mov_b32_e32 v5, 0x260
	v_cmp_class_f32_e32 vcc, v1, v5
	s_nop 1
	v_cndmask_b32_e32 v1, v3, v1, vcc
	v_add_f32_e32 v3, v1, v1
	v_div_scale_f32 v5, s[4:5], v3, v3, v4
	v_rcp_f32_e32 v7, v5
	s_nop 0
	v_fma_f32 v11, -v5, v7, 1.0
	v_fmac_f32_e32 v7, v11, v7
	v_div_scale_f32 v11, vcc, v4, v3, v4
	v_mul_f32_e32 v12, v11, v7
	v_fma_f32 v13, -v5, v12, v11
	v_fmac_f32_e32 v12, v13, v7
	v_fma_f32 v5, -v5, v12, v11
	v_div_fmas_f32 v5, v5, v7, v12
	v_div_fixup_f32 v3, v5, v3, v4
                                        ; implicit-def: $vgpr7
                                        ; implicit-def: $vgpr4_vgpr5
	s_andn2_saveexec_b64 s[22:23], s[22:23]
	s_cbranch_execz .LBB234_246
	s_branch .LBB234_245
.LBB234_240:
	s_or_b64 exec, exec, s[10:11]
	s_and_saveexec_b64 s[2:3], s[0:1]
	s_xor_b64 s[0:1], exec, s[2:3]
	s_cbranch_execz .LBB234_263
.LBB234_241:
	v_mov_b32_e32 v3, 0
	v_lshl_add_u64 v[0:1], v[2:3], 2, s[8:9]
	global_store_dword v[0:1], v8, off
	v_mov_b32_e32 v0, v9
	s_or_b64 exec, exec, s[0:1]
	v_cmp_gt_i32_e32 vcc, s24, v0
	s_and_saveexec_b64 s[0:1], vcc
	s_cbranch_execnz .LBB234_264
.LBB234_242:
	s_or_b64 exec, exec, s[0:1]
	v_cmp_gt_i32_e32 vcc, s24, v0
	s_and_saveexec_b64 s[0:1], vcc
	s_cbranch_execz .LBB234_265
.LBB234_243:
	v_add_u32_e32 v2, s6, v0
	v_mov_b32_e32 v3, 0
	v_lshl_add_u64 v[2:3], v[2:3], 2, s[8:9]
	v_add_u32_e32 v0, 0x100, v0
	global_store_dword v[2:3], v6, off
	s_or_b64 exec, exec, s[0:1]
	v_cmp_gt_i32_e32 vcc, s24, v0
	s_and_saveexec_b64 s[0:1], vcc
	s_cbranch_execnz .LBB234_266
	s_branch .LBB234_267
.LBB234_244:
	s_andn2_saveexec_b64 s[22:23], s[22:23]
	s_cbranch_execz .LBB234_246
.LBB234_245:
	v_sub_f32_e32 v1, v7, v5
	v_mul_f32_e32 v1, 0.5, v1
	s_mov_b32 s4, 0xf800000
	v_mul_f32_e32 v3, 0x4f800000, v1
	v_cmp_gt_f32_e32 vcc, s4, v1
	s_nop 1
	v_cndmask_b32_e32 v1, v1, v3, vcc
	v_sqrt_f32_e32 v3, v1
	s_nop 0
	v_add_u32_e32 v5, -1, v3
	v_fma_f32 v7, -v5, v3, v1
	v_cmp_ge_f32_e64 s[4:5], 0, v7
	v_add_u32_e32 v7, 1, v3
	s_nop 0
	v_cndmask_b32_e64 v5, v3, v5, s[4:5]
	v_fma_f32 v3, -v7, v3, v1
	v_cmp_lt_f32_e64 s[4:5], 0, v3
	s_nop 1
	v_cndmask_b32_e64 v3, v5, v7, s[4:5]
	v_mul_f32_e32 v5, 0x37800000, v3
	v_cndmask_b32_e32 v3, v3, v5, vcc
	v_mov_b32_e32 v5, 0x260
	v_cmp_class_f32_e32 vcc, v1, v5
	v_and_b32_e32 v5, 0x7fffffff, v4
	s_nop 0
	v_cndmask_b32_e32 v3, v3, v1, vcc
	v_add_f32_e32 v1, v3, v3
	v_div_scale_f32 v7, s[4:5], v1, v1, v5
	v_rcp_f32_e32 v11, v7
	v_div_scale_f32 v5, vcc, v5, v1, v5
	s_brev_b32 s4, -2
	v_fma_f32 v12, -v7, v11, 1.0
	v_fmac_f32_e32 v11, v12, v11
	v_mul_f32_e32 v12, v5, v11
	v_fma_f32 v13, -v7, v12, v5
	v_fmac_f32_e32 v12, v13, v11
	v_fma_f32 v5, -v7, v12, v5
	v_div_fmas_f32 v5, v5, v11, v12
	v_div_fixup_f32 v1, v5, v1, |v4|
	v_bfi_b32 v3, s4, v3, v4
.LBB234_246:
	s_or_b64 exec, exec, s[22:23]
                                        ; implicit-def: $vgpr4
	s_and_saveexec_b64 s[4:5], s[2:3]
	s_xor_b64 s[2:3], exec, s[4:5]
	s_cbranch_execz .LBB234_248
; %bb.247:
	v_mul_f32_e32 v4, 0.5, v1
	v_mul_f32_e32 v7, 0.5, v3
	v_cndmask_b32_e64 v5, v1, v4, s[20:21]
	v_cndmask_b32_e64 v4, v3, v7, s[20:21]
                                        ; implicit-def: $vgpr1
                                        ; implicit-def: $vgpr3
	s_andn2_saveexec_b64 s[2:3], s[2:3]
	s_cbranch_execnz .LBB234_249
	s_branch .LBB234_250
.LBB234_248:
	s_andn2_saveexec_b64 s[2:3], s[2:3]
.LBB234_249:
	v_add_f32_e32 v5, v1, v1
	v_add_f32_e32 v4, v3, v3
.LBB234_250:
	s_or_b64 exec, exec, s[2:3]
                                        ; implicit-def: $vgpr1
.LBB234_251:
	s_andn2_saveexec_b64 s[2:3], s[18:19]
	s_cbranch_execz .LBB234_257
; %bb.252:
	v_and_b32_e32 v1, 0x8000, v1
	v_cmp_ne_u32_e32 vcc, 0, v1
	v_sub_f32_e32 v1, v4, v4
	s_and_saveexec_b64 s[4:5], vcc
	s_xor_b64 s[4:5], exec, s[4:5]
; %bb.253:
	s_brev_b32 s7, -2
	v_and_b32_e32 v1, 0x7fffffff, v1
	v_bfi_b32 v4, s7, v5, v4
	v_mov_b32_e32 v5, v1
                                        ; implicit-def: $vgpr1
; %bb.254:
	s_andn2_saveexec_b64 s[4:5], s[4:5]
; %bb.255:
	s_brev_b32 s7, -2
	v_bfi_b32 v4, s7, v1, v4
; %bb.256:
	s_or_b64 exec, exec, s[4:5]
.LBB234_257:
	s_or_b64 exec, exec, s[2:3]
.LBB234_258:
	s_andn2_saveexec_b64 s[2:3], s[16:17]
	s_cbranch_execz .LBB234_260
; %bb.259:
	v_sub_f32_e32 v1, v4, v4
	v_div_scale_f32 v3, vcc, v1, v1, v1
	v_rcp_f32_e32 v4, v3
	s_nop 0
	v_fma_f32 v7, -v3, v4, 1.0
	v_fmac_f32_e32 v4, v7, v4
	v_mul_f32_e32 v7, v3, v4
	v_fma_f32 v11, -v3, v7, v3
	v_fmac_f32_e32 v7, v11, v4
	v_fma_f32 v3, -v3, v7, v3
	v_div_fmas_f32 v3, v3, v4, v7
	v_div_fixup_f32 v4, v3, v1, v1
.LBB234_260:
	s_or_b64 exec, exec, s[2:3]
.LBB234_261:
	s_or_b64 exec, exec, s[14:15]
.LBB234_262:
	s_or_b64 exec, exec, s[12:13]
	v_cvt_f16_f32_e32 v1, v5
	v_cvt_f16_f32_sdwa v3, v4 dst_sel:WORD_1 dst_unused:UNUSED_PAD src0_sel:DWORD
	s_nop 0
	v_or_b32_e32 v4, v3, v1
	s_or_b64 exec, exec, s[10:11]
	s_and_saveexec_b64 s[2:3], s[0:1]
	s_xor_b64 s[0:1], exec, s[2:3]
	s_cbranch_execnz .LBB234_241
.LBB234_263:
	s_or_b64 exec, exec, s[0:1]
	v_cmp_gt_i32_e32 vcc, s24, v0
	s_and_saveexec_b64 s[0:1], vcc
	s_cbranch_execz .LBB234_242
.LBB234_264:
	v_add_u32_e32 v2, s6, v0
	v_mov_b32_e32 v3, 0
	v_lshl_add_u64 v[2:3], v[2:3], 2, s[8:9]
	v_add_u32_e32 v0, 0x100, v0
	global_store_dword v[2:3], v10, off
	s_or_b64 exec, exec, s[0:1]
	v_cmp_gt_i32_e32 vcc, s24, v0
	s_and_saveexec_b64 s[0:1], vcc
	s_cbranch_execnz .LBB234_243
.LBB234_265:
	s_or_b64 exec, exec, s[0:1]
	v_cmp_gt_i32_e32 vcc, s24, v0
	s_and_saveexec_b64 s[0:1], vcc
	s_cbranch_execz .LBB234_267
.LBB234_266:
	v_add_u32_e32 v0, s6, v0
	v_mov_b32_e32 v1, 0
	v_lshl_add_u64 v[0:1], v[0:1], 2, s[8:9]
	global_store_dword v[0:1], v4, off
.LBB234_267:
	s_endpgm
	.section	.rodata,"a",@progbits
	.p2align	6, 0x0
	.amdhsa_kernel _ZN2at6native29vectorized_elementwise_kernelILi16EZZZNS0_16sqrt_kernel_cudaERNS_18TensorIteratorBaseEENKUlvE_clEvENKUlvE1_clEvEUlN3c107complexINS6_4HalfEEEE_St5arrayIPcLm2EEEEviT0_T1_
		.amdhsa_group_segment_fixed_size 0
		.amdhsa_private_segment_fixed_size 0
		.amdhsa_kernarg_size 24
		.amdhsa_user_sgpr_count 2
		.amdhsa_user_sgpr_dispatch_ptr 0
		.amdhsa_user_sgpr_queue_ptr 0
		.amdhsa_user_sgpr_kernarg_segment_ptr 1
		.amdhsa_user_sgpr_dispatch_id 0
		.amdhsa_user_sgpr_kernarg_preload_length 0
		.amdhsa_user_sgpr_kernarg_preload_offset 0
		.amdhsa_user_sgpr_private_segment_size 0
		.amdhsa_uses_dynamic_stack 0
		.amdhsa_enable_private_segment 0
		.amdhsa_system_sgpr_workgroup_id_x 1
		.amdhsa_system_sgpr_workgroup_id_y 0
		.amdhsa_system_sgpr_workgroup_id_z 0
		.amdhsa_system_sgpr_workgroup_info 0
		.amdhsa_system_vgpr_workitem_id 0
		.amdhsa_next_free_vgpr 17
		.amdhsa_next_free_sgpr 28
		.amdhsa_accum_offset 20
		.amdhsa_reserve_vcc 1
		.amdhsa_float_round_mode_32 0
		.amdhsa_float_round_mode_16_64 0
		.amdhsa_float_denorm_mode_32 3
		.amdhsa_float_denorm_mode_16_64 3
		.amdhsa_dx10_clamp 1
		.amdhsa_ieee_mode 1
		.amdhsa_fp16_overflow 0
		.amdhsa_tg_split 0
		.amdhsa_exception_fp_ieee_invalid_op 0
		.amdhsa_exception_fp_denorm_src 0
		.amdhsa_exception_fp_ieee_div_zero 0
		.amdhsa_exception_fp_ieee_overflow 0
		.amdhsa_exception_fp_ieee_underflow 0
		.amdhsa_exception_fp_ieee_inexact 0
		.amdhsa_exception_int_div_zero 0
	.end_amdhsa_kernel
	.section	.text._ZN2at6native29vectorized_elementwise_kernelILi16EZZZNS0_16sqrt_kernel_cudaERNS_18TensorIteratorBaseEENKUlvE_clEvENKUlvE1_clEvEUlN3c107complexINS6_4HalfEEEE_St5arrayIPcLm2EEEEviT0_T1_,"axG",@progbits,_ZN2at6native29vectorized_elementwise_kernelILi16EZZZNS0_16sqrt_kernel_cudaERNS_18TensorIteratorBaseEENKUlvE_clEvENKUlvE1_clEvEUlN3c107complexINS6_4HalfEEEE_St5arrayIPcLm2EEEEviT0_T1_,comdat
.Lfunc_end234:
	.size	_ZN2at6native29vectorized_elementwise_kernelILi16EZZZNS0_16sqrt_kernel_cudaERNS_18TensorIteratorBaseEENKUlvE_clEvENKUlvE1_clEvEUlN3c107complexINS6_4HalfEEEE_St5arrayIPcLm2EEEEviT0_T1_, .Lfunc_end234-_ZN2at6native29vectorized_elementwise_kernelILi16EZZZNS0_16sqrt_kernel_cudaERNS_18TensorIteratorBaseEENKUlvE_clEvENKUlvE1_clEvEUlN3c107complexINS6_4HalfEEEE_St5arrayIPcLm2EEEEviT0_T1_
                                        ; -- End function
	.set _ZN2at6native29vectorized_elementwise_kernelILi16EZZZNS0_16sqrt_kernel_cudaERNS_18TensorIteratorBaseEENKUlvE_clEvENKUlvE1_clEvEUlN3c107complexINS6_4HalfEEEE_St5arrayIPcLm2EEEEviT0_T1_.num_vgpr, 17
	.set _ZN2at6native29vectorized_elementwise_kernelILi16EZZZNS0_16sqrt_kernel_cudaERNS_18TensorIteratorBaseEENKUlvE_clEvENKUlvE1_clEvEUlN3c107complexINS6_4HalfEEEE_St5arrayIPcLm2EEEEviT0_T1_.num_agpr, 0
	.set _ZN2at6native29vectorized_elementwise_kernelILi16EZZZNS0_16sqrt_kernel_cudaERNS_18TensorIteratorBaseEENKUlvE_clEvENKUlvE1_clEvEUlN3c107complexINS6_4HalfEEEE_St5arrayIPcLm2EEEEviT0_T1_.numbered_sgpr, 28
	.set _ZN2at6native29vectorized_elementwise_kernelILi16EZZZNS0_16sqrt_kernel_cudaERNS_18TensorIteratorBaseEENKUlvE_clEvENKUlvE1_clEvEUlN3c107complexINS6_4HalfEEEE_St5arrayIPcLm2EEEEviT0_T1_.num_named_barrier, 0
	.set _ZN2at6native29vectorized_elementwise_kernelILi16EZZZNS0_16sqrt_kernel_cudaERNS_18TensorIteratorBaseEENKUlvE_clEvENKUlvE1_clEvEUlN3c107complexINS6_4HalfEEEE_St5arrayIPcLm2EEEEviT0_T1_.private_seg_size, 0
	.set _ZN2at6native29vectorized_elementwise_kernelILi16EZZZNS0_16sqrt_kernel_cudaERNS_18TensorIteratorBaseEENKUlvE_clEvENKUlvE1_clEvEUlN3c107complexINS6_4HalfEEEE_St5arrayIPcLm2EEEEviT0_T1_.uses_vcc, 1
	.set _ZN2at6native29vectorized_elementwise_kernelILi16EZZZNS0_16sqrt_kernel_cudaERNS_18TensorIteratorBaseEENKUlvE_clEvENKUlvE1_clEvEUlN3c107complexINS6_4HalfEEEE_St5arrayIPcLm2EEEEviT0_T1_.uses_flat_scratch, 0
	.set _ZN2at6native29vectorized_elementwise_kernelILi16EZZZNS0_16sqrt_kernel_cudaERNS_18TensorIteratorBaseEENKUlvE_clEvENKUlvE1_clEvEUlN3c107complexINS6_4HalfEEEE_St5arrayIPcLm2EEEEviT0_T1_.has_dyn_sized_stack, 0
	.set _ZN2at6native29vectorized_elementwise_kernelILi16EZZZNS0_16sqrt_kernel_cudaERNS_18TensorIteratorBaseEENKUlvE_clEvENKUlvE1_clEvEUlN3c107complexINS6_4HalfEEEE_St5arrayIPcLm2EEEEviT0_T1_.has_recursion, 0
	.set _ZN2at6native29vectorized_elementwise_kernelILi16EZZZNS0_16sqrt_kernel_cudaERNS_18TensorIteratorBaseEENKUlvE_clEvENKUlvE1_clEvEUlN3c107complexINS6_4HalfEEEE_St5arrayIPcLm2EEEEviT0_T1_.has_indirect_call, 0
	.section	.AMDGPU.csdata,"",@progbits
; Kernel info:
; codeLenInByte = 9340
; TotalNumSgprs: 34
; NumVgprs: 17
; NumAgprs: 0
; TotalNumVgprs: 17
; ScratchSize: 0
; MemoryBound: 0
; FloatMode: 240
; IeeeMode: 1
; LDSByteSize: 0 bytes/workgroup (compile time only)
; SGPRBlocks: 4
; VGPRBlocks: 2
; NumSGPRsForWavesPerEU: 34
; NumVGPRsForWavesPerEU: 17
; AccumOffset: 20
; Occupancy: 8
; WaveLimiterHint : 0
; COMPUTE_PGM_RSRC2:SCRATCH_EN: 0
; COMPUTE_PGM_RSRC2:USER_SGPR: 2
; COMPUTE_PGM_RSRC2:TRAP_HANDLER: 0
; COMPUTE_PGM_RSRC2:TGID_X_EN: 1
; COMPUTE_PGM_RSRC2:TGID_Y_EN: 0
; COMPUTE_PGM_RSRC2:TGID_Z_EN: 0
; COMPUTE_PGM_RSRC2:TIDIG_COMP_CNT: 0
; COMPUTE_PGM_RSRC3_GFX90A:ACCUM_OFFSET: 4
; COMPUTE_PGM_RSRC3_GFX90A:TG_SPLIT: 0
	.section	.text._ZN2at6native29vectorized_elementwise_kernelILi8EZZZNS0_16sqrt_kernel_cudaERNS_18TensorIteratorBaseEENKUlvE_clEvENKUlvE1_clEvEUlN3c107complexINS6_4HalfEEEE_St5arrayIPcLm2EEEEviT0_T1_,"axG",@progbits,_ZN2at6native29vectorized_elementwise_kernelILi8EZZZNS0_16sqrt_kernel_cudaERNS_18TensorIteratorBaseEENKUlvE_clEvENKUlvE1_clEvEUlN3c107complexINS6_4HalfEEEE_St5arrayIPcLm2EEEEviT0_T1_,comdat
	.globl	_ZN2at6native29vectorized_elementwise_kernelILi8EZZZNS0_16sqrt_kernel_cudaERNS_18TensorIteratorBaseEENKUlvE_clEvENKUlvE1_clEvEUlN3c107complexINS6_4HalfEEEE_St5arrayIPcLm2EEEEviT0_T1_ ; -- Begin function _ZN2at6native29vectorized_elementwise_kernelILi8EZZZNS0_16sqrt_kernel_cudaERNS_18TensorIteratorBaseEENKUlvE_clEvENKUlvE1_clEvEUlN3c107complexINS6_4HalfEEEE_St5arrayIPcLm2EEEEviT0_T1_
	.p2align	8
	.type	_ZN2at6native29vectorized_elementwise_kernelILi8EZZZNS0_16sqrt_kernel_cudaERNS_18TensorIteratorBaseEENKUlvE_clEvENKUlvE1_clEvEUlN3c107complexINS6_4HalfEEEE_St5arrayIPcLm2EEEEviT0_T1_,@function
_ZN2at6native29vectorized_elementwise_kernelILi8EZZZNS0_16sqrt_kernel_cudaERNS_18TensorIteratorBaseEENKUlvE_clEvENKUlvE1_clEvEUlN3c107complexINS6_4HalfEEEE_St5arrayIPcLm2EEEEviT0_T1_: ; @_ZN2at6native29vectorized_elementwise_kernelILi8EZZZNS0_16sqrt_kernel_cudaERNS_18TensorIteratorBaseEENKUlvE_clEvENKUlvE1_clEvEUlN3c107complexINS6_4HalfEEEE_St5arrayIPcLm2EEEEviT0_T1_
; %bb.0:
	s_load_dword s3, s[0:1], 0x0
	s_load_dwordx4 s[8:11], s[0:1], 0x8
	s_lshl_b32 s6, s2, 10
	s_mov_b64 s[0:1], -1
	s_waitcnt lgkmcnt(0)
	s_sub_i32 s24, s3, s6
	s_cmpk_gt_i32 s24, 0x3ff
	s_cbranch_scc0 .LBB235_122
; %bb.1:
	s_ashr_i32 s7, s6, 31
	s_lshl_b64 s[4:5], s[6:7], 2
	s_add_u32 s0, s10, s4
	s_addc_u32 s1, s11, s5
	v_lshlrev_b32_e32 v1, 4, v0
	global_load_dwordx4 v[2:5], v1, s[0:1]
	v_mov_b32_e32 v10, 0
	v_mov_b32_e32 v7, 0
	v_mov_b32_e32 v9, 0
	s_waitcnt vmcnt(0)
	v_cvt_f32_f16_sdwa v8, v2 dst_sel:DWORD dst_unused:UNUSED_PAD src0_sel:WORD_1
	v_cmp_neq_f16_e32 vcc, 0, v2
	v_cmp_neq_f16_sdwa s[0:1], v2, v10 src0_sel:WORD_1 src1_sel:DWORD
	s_or_b64 s[0:1], vcc, s[0:1]
	s_and_saveexec_b64 s[12:13], s[0:1]
	s_cbranch_execz .LBB235_31
; %bb.2:
	v_mov_b32_e32 v9, 0x7f800000
	v_cmp_neq_f32_e64 s[0:1], |v8|, v9
	s_and_saveexec_b64 s[14:15], s[0:1]
	s_cbranch_execz .LBB235_30
; %bb.3:
	v_cvt_f32_f16_e32 v9, v2
	v_cmp_o_f16_e32 vcc, v2, v2
	s_and_saveexec_b64 s[0:1], vcc
	s_xor_b64 s[16:17], exec, s[0:1]
	s_cbranch_execz .LBB235_27
; %bb.4:
	s_mov_b32 s0, 0x7f800000
	v_cmp_neq_f32_e64 s[0:1], |v9|, s0
	s_and_saveexec_b64 s[2:3], s[0:1]
	s_xor_b64 s[18:19], exec, s[2:3]
	s_cbranch_execz .LBB235_20
; %bb.5:
	v_max_f32_e64 v6, |v8|, |v8|
	v_max_f32_e64 v11, |v9|, |v9|
	v_max_f32_e32 v6, v11, v6
	s_mov_b32 s0, 0x7ed413cb
	v_cmp_nle_f32_e64 s[0:1], s0, v6
                                        ; implicit-def: $sgpr20_sgpr21
	s_and_saveexec_b64 s[2:3], s[0:1]
	s_xor_b64 s[2:3], exec, s[2:3]
	s_cbranch_execz .LBB235_9
; %bb.6:
	s_mov_b32 s7, 0x1000000
	v_cmp_le_f32_e64 s[20:21], |v9|, s7
	v_cmp_le_f32_e64 s[22:23], |v8|, s7
	s_and_b64 s[26:27], s[20:21], s[22:23]
	s_mov_b64 s[20:21], 0
	s_and_saveexec_b64 s[22:23], s[26:27]
; %bb.7:
	s_mov_b64 s[20:21], exec
	v_pk_mul_f32 v[8:9], v[8:9], 4.0 op_sel_hi:[1,0]
; %bb.8:
	s_or_b64 exec, exec, s[22:23]
.LBB235_9:
	s_andn2_saveexec_b64 s[2:3], s[2:3]
; %bb.10:
	s_mov_b32 s22, 0x3e800000
	v_pk_mul_f32 v[8:9], v[8:9], s[22:23] op_sel_hi:[1,0]
	s_andn2_b64 s[20:21], s[20:21], exec
; %bb.11:
	s_or_b64 exec, exec, s[2:3]
	v_max_f32_e64 v6, |v8|, |v8|
	v_max_f32_e64 v11, |v9|, |v9|
	v_max_f32_e32 v6, v11, v6
	v_cvt_f64_f32_e32 v[12:13], v6
	v_frexp_exp_i32_f64_e32 v11, v[12:13]
	v_sub_u32_e32 v12, 0, v11
	v_ldexp_f32 v13, |v9|, v12
	v_ldexp_f32 v12, |v8|, v12
	v_mul_f32_e32 v12, v12, v12
	v_fmac_f32_e32 v12, v13, v13
	v_sqrt_f32_e32 v12, v12
	s_mov_b32 s2, 0x7f800000
	v_cmp_neq_f32_e64 s[2:3], s2, v6
	v_cmp_le_f32_e32 vcc, 0, v9
	v_ldexp_f32 v11, v12, v11
	v_mov_b32_e32 v12, 0x7f800000
	v_cndmask_b32_e64 v12, v12, v11, s[2:3]
                                        ; implicit-def: $vgpr11
                                        ; implicit-def: $vgpr6
	s_and_saveexec_b64 s[2:3], vcc
	s_xor_b64 s[22:23], exec, s[2:3]
	s_cbranch_execz .LBB235_13
; %bb.12:
	v_add_f32_e32 v6, v9, v12
	v_mul_f32_e32 v6, 0.5, v6
	s_mov_b32 s2, 0xf800000
	v_mul_f32_e32 v9, 0x4f800000, v6
	v_cmp_gt_f32_e32 vcc, s2, v6
	s_nop 1
	v_cndmask_b32_e32 v6, v6, v9, vcc
	v_sqrt_f32_e32 v9, v6
	s_nop 0
	v_add_u32_e32 v11, -1, v9
	v_fma_f32 v12, -v11, v9, v6
	v_cmp_ge_f32_e64 s[2:3], 0, v12
	v_add_u32_e32 v12, 1, v9
	s_nop 0
	v_cndmask_b32_e64 v11, v9, v11, s[2:3]
	v_fma_f32 v9, -v12, v9, v6
	v_cmp_lt_f32_e64 s[2:3], 0, v9
	s_nop 1
	v_cndmask_b32_e64 v9, v11, v12, s[2:3]
	v_mul_f32_e32 v11, 0x37800000, v9
	v_cndmask_b32_e32 v9, v9, v11, vcc
	v_mov_b32_e32 v11, 0x260
	v_cmp_class_f32_e32 vcc, v6, v11
	s_nop 1
	v_cndmask_b32_e32 v6, v9, v6, vcc
	v_add_f32_e32 v9, v6, v6
	v_div_scale_f32 v11, s[2:3], v9, v9, v8
	v_rcp_f32_e32 v12, v11
	s_nop 0
	v_fma_f32 v13, -v11, v12, 1.0
	v_fmac_f32_e32 v12, v13, v12
	v_div_scale_f32 v13, vcc, v8, v9, v8
	v_mul_f32_e32 v14, v13, v12
	v_fma_f32 v15, -v11, v14, v13
	v_fmac_f32_e32 v14, v15, v12
	v_fma_f32 v11, -v11, v14, v13
	v_div_fmas_f32 v11, v11, v12, v14
	v_div_fixup_f32 v11, v11, v9, v8
                                        ; implicit-def: $vgpr12
                                        ; implicit-def: $vgpr8_vgpr9
	s_andn2_saveexec_b64 s[22:23], s[22:23]
	s_cbranch_execz .LBB235_15
	s_branch .LBB235_14
.LBB235_13:
	s_andn2_saveexec_b64 s[22:23], s[22:23]
	s_cbranch_execz .LBB235_15
.LBB235_14:
	v_sub_f32_e32 v6, v12, v9
	v_mul_f32_e32 v6, 0.5, v6
	s_mov_b32 s2, 0xf800000
	v_mul_f32_e32 v9, 0x4f800000, v6
	v_cmp_gt_f32_e32 vcc, s2, v6
	s_nop 1
	v_cndmask_b32_e32 v6, v6, v9, vcc
	v_sqrt_f32_e32 v9, v6
	s_nop 0
	v_add_u32_e32 v11, -1, v9
	v_fma_f32 v12, -v11, v9, v6
	v_cmp_ge_f32_e64 s[2:3], 0, v12
	v_add_u32_e32 v12, 1, v9
	s_nop 0
	v_cndmask_b32_e64 v11, v9, v11, s[2:3]
	v_fma_f32 v9, -v12, v9, v6
	v_cmp_lt_f32_e64 s[2:3], 0, v9
	s_nop 1
	v_cndmask_b32_e64 v9, v11, v12, s[2:3]
	v_mul_f32_e32 v11, 0x37800000, v9
	v_cndmask_b32_e32 v9, v9, v11, vcc
	v_mov_b32_e32 v11, 0x260
	v_cmp_class_f32_e32 vcc, v6, v11
	v_and_b32_e32 v11, 0x7fffffff, v8
	s_nop 0
	v_cndmask_b32_e32 v9, v9, v6, vcc
	v_add_f32_e32 v6, v9, v9
	v_div_scale_f32 v12, s[2:3], v6, v6, v11
	v_rcp_f32_e32 v13, v12
	v_div_scale_f32 v11, vcc, v11, v6, v11
	s_brev_b32 s2, -2
	v_fma_f32 v14, -v12, v13, 1.0
	v_fmac_f32_e32 v13, v14, v13
	v_mul_f32_e32 v14, v11, v13
	v_fma_f32 v15, -v12, v14, v11
	v_fmac_f32_e32 v14, v15, v13
	v_fma_f32 v11, -v12, v14, v11
	v_div_fmas_f32 v11, v11, v13, v14
	v_div_fixup_f32 v6, v11, v6, |v8|
	v_bfi_b32 v11, s2, v9, v8
.LBB235_15:
	s_or_b64 exec, exec, s[22:23]
                                        ; implicit-def: $vgpr8
	s_and_saveexec_b64 s[2:3], s[0:1]
	s_xor_b64 s[0:1], exec, s[2:3]
	s_cbranch_execz .LBB235_17
; %bb.16:
	v_mul_f32_e32 v8, 0.5, v6
	v_mul_f32_e32 v12, 0.5, v11
	v_cndmask_b32_e64 v9, v6, v8, s[20:21]
	v_cndmask_b32_e64 v8, v11, v12, s[20:21]
                                        ; implicit-def: $vgpr6
                                        ; implicit-def: $vgpr11
	s_andn2_saveexec_b64 s[0:1], s[0:1]
	s_cbranch_execnz .LBB235_18
	s_branch .LBB235_19
.LBB235_17:
	s_andn2_saveexec_b64 s[0:1], s[0:1]
.LBB235_18:
	v_add_f32_e32 v9, v6, v6
	v_add_f32_e32 v8, v11, v11
.LBB235_19:
	s_or_b64 exec, exec, s[0:1]
.LBB235_20:
	s_andn2_saveexec_b64 s[0:1], s[18:19]
	s_cbranch_execz .LBB235_26
; %bb.21:
	v_and_b32_e32 v2, 0x8000, v2
	v_cmp_ne_u32_e32 vcc, 0, v2
	v_sub_f32_e32 v2, v8, v8
	s_and_saveexec_b64 s[2:3], vcc
	s_xor_b64 s[2:3], exec, s[2:3]
; %bb.22:
	s_brev_b32 s7, -2
	v_and_b32_e32 v2, 0x7fffffff, v2
	v_bfi_b32 v8, s7, v9, v8
	v_mov_b32_e32 v9, v2
                                        ; implicit-def: $vgpr2
; %bb.23:
	s_andn2_saveexec_b64 s[2:3], s[2:3]
; %bb.24:
	s_brev_b32 s7, -2
	v_bfi_b32 v8, s7, v2, v8
; %bb.25:
	s_or_b64 exec, exec, s[2:3]
.LBB235_26:
	s_or_b64 exec, exec, s[0:1]
.LBB235_27:
	s_andn2_saveexec_b64 s[0:1], s[16:17]
	s_cbranch_execz .LBB235_29
; %bb.28:
	v_sub_f32_e32 v2, v8, v8
	v_div_scale_f32 v6, vcc, v2, v2, v2
	v_rcp_f32_e32 v8, v6
	s_nop 0
	v_fma_f32 v11, -v6, v8, 1.0
	v_fmac_f32_e32 v8, v11, v8
	v_mul_f32_e32 v11, v6, v8
	v_fma_f32 v12, -v6, v11, v6
	v_fmac_f32_e32 v11, v12, v8
	v_fma_f32 v6, -v6, v11, v6
	v_div_fmas_f32 v6, v6, v8, v11
	v_div_fixup_f32 v8, v6, v2, v2
.LBB235_29:
	s_or_b64 exec, exec, s[0:1]
.LBB235_30:
	s_or_b64 exec, exec, s[14:15]
.LBB235_31:
	s_or_b64 exec, exec, s[12:13]
	v_cvt_f32_f16_sdwa v6, v3 dst_sel:DWORD dst_unused:UNUSED_PAD src0_sel:WORD_1
	v_cmp_neq_f16_e32 vcc, 0, v3
	v_cmp_neq_f16_sdwa s[0:1], v3, v10 src0_sel:WORD_1 src1_sel:DWORD
	s_or_b64 s[0:1], vcc, s[0:1]
	s_and_saveexec_b64 s[12:13], s[0:1]
	s_cbranch_execz .LBB235_61
; %bb.32:
	v_mov_b32_e32 v7, 0x7f800000
	v_cmp_neq_f32_e64 s[0:1], |v6|, v7
	s_and_saveexec_b64 s[14:15], s[0:1]
	s_cbranch_execz .LBB235_60
; %bb.33:
	v_cvt_f32_f16_e32 v7, v3
	v_cmp_o_f16_e32 vcc, v3, v3
	s_and_saveexec_b64 s[0:1], vcc
	s_xor_b64 s[16:17], exec, s[0:1]
	s_cbranch_execz .LBB235_57
; %bb.34:
	s_mov_b32 s0, 0x7f800000
	v_cmp_neq_f32_e64 s[0:1], |v7|, s0
	s_and_saveexec_b64 s[2:3], s[0:1]
	s_xor_b64 s[18:19], exec, s[2:3]
	s_cbranch_execz .LBB235_50
; %bb.35:
	v_max_f32_e64 v2, |v6|, |v6|
	v_max_f32_e64 v10, |v7|, |v7|
	v_max_f32_e32 v2, v10, v2
	s_mov_b32 s0, 0x7ed413cb
	v_cmp_nle_f32_e64 s[0:1], s0, v2
                                        ; implicit-def: $sgpr20_sgpr21
	s_and_saveexec_b64 s[2:3], s[0:1]
	s_xor_b64 s[2:3], exec, s[2:3]
	s_cbranch_execz .LBB235_39
; %bb.36:
	s_mov_b32 s7, 0x1000000
	v_cmp_le_f32_e64 s[20:21], |v7|, s7
	v_cmp_le_f32_e64 s[22:23], |v6|, s7
	s_and_b64 s[26:27], s[20:21], s[22:23]
	s_mov_b64 s[20:21], 0
	s_and_saveexec_b64 s[22:23], s[26:27]
; %bb.37:
	s_mov_b64 s[20:21], exec
	v_pk_mul_f32 v[6:7], v[6:7], 4.0 op_sel_hi:[1,0]
; %bb.38:
	s_or_b64 exec, exec, s[22:23]
.LBB235_39:
	s_andn2_saveexec_b64 s[2:3], s[2:3]
; %bb.40:
	s_mov_b32 s22, 0x3e800000
	v_pk_mul_f32 v[6:7], v[6:7], s[22:23] op_sel_hi:[1,0]
	s_andn2_b64 s[20:21], s[20:21], exec
; %bb.41:
	s_or_b64 exec, exec, s[2:3]
	v_max_f32_e64 v2, |v6|, |v6|
	v_max_f32_e64 v10, |v7|, |v7|
	v_max_f32_e32 v2, v10, v2
	v_cvt_f64_f32_e32 v[10:11], v2
	v_frexp_exp_i32_f64_e32 v10, v[10:11]
	v_sub_u32_e32 v11, 0, v10
	v_ldexp_f32 v12, |v7|, v11
	v_ldexp_f32 v11, |v6|, v11
	v_mul_f32_e32 v11, v11, v11
	v_fmac_f32_e32 v11, v12, v12
	v_sqrt_f32_e32 v11, v11
	s_mov_b32 s2, 0x7f800000
	v_cmp_neq_f32_e64 s[2:3], s2, v2
	v_cmp_le_f32_e32 vcc, 0, v7
	v_ldexp_f32 v10, v11, v10
	v_mov_b32_e32 v11, 0x7f800000
	v_cndmask_b32_e64 v11, v11, v10, s[2:3]
                                        ; implicit-def: $vgpr10
                                        ; implicit-def: $vgpr2
	s_and_saveexec_b64 s[2:3], vcc
	s_xor_b64 s[22:23], exec, s[2:3]
	s_cbranch_execz .LBB235_43
; %bb.42:
	v_add_f32_e32 v2, v7, v11
	v_mul_f32_e32 v2, 0.5, v2
	s_mov_b32 s2, 0xf800000
	v_mul_f32_e32 v7, 0x4f800000, v2
	v_cmp_gt_f32_e32 vcc, s2, v2
	s_nop 1
	v_cndmask_b32_e32 v2, v2, v7, vcc
	v_sqrt_f32_e32 v7, v2
	s_nop 0
	v_add_u32_e32 v10, -1, v7
	v_fma_f32 v11, -v10, v7, v2
	v_cmp_ge_f32_e64 s[2:3], 0, v11
	v_add_u32_e32 v11, 1, v7
	s_nop 0
	v_cndmask_b32_e64 v10, v7, v10, s[2:3]
	v_fma_f32 v7, -v11, v7, v2
	v_cmp_lt_f32_e64 s[2:3], 0, v7
	s_nop 1
	v_cndmask_b32_e64 v7, v10, v11, s[2:3]
	v_mul_f32_e32 v10, 0x37800000, v7
	v_cndmask_b32_e32 v7, v7, v10, vcc
	v_mov_b32_e32 v10, 0x260
	v_cmp_class_f32_e32 vcc, v2, v10
	s_nop 1
	v_cndmask_b32_e32 v2, v7, v2, vcc
	v_add_f32_e32 v7, v2, v2
	v_div_scale_f32 v10, s[2:3], v7, v7, v6
	v_rcp_f32_e32 v11, v10
	s_nop 0
	v_fma_f32 v12, -v10, v11, 1.0
	v_fmac_f32_e32 v11, v12, v11
	v_div_scale_f32 v12, vcc, v6, v7, v6
	v_mul_f32_e32 v13, v12, v11
	v_fma_f32 v14, -v10, v13, v12
	v_fmac_f32_e32 v13, v14, v11
	v_fma_f32 v10, -v10, v13, v12
	v_div_fmas_f32 v10, v10, v11, v13
	v_div_fixup_f32 v10, v10, v7, v6
                                        ; implicit-def: $vgpr11
                                        ; implicit-def: $vgpr6_vgpr7
	s_andn2_saveexec_b64 s[22:23], s[22:23]
	s_cbranch_execz .LBB235_45
	s_branch .LBB235_44
.LBB235_43:
	s_andn2_saveexec_b64 s[22:23], s[22:23]
	s_cbranch_execz .LBB235_45
.LBB235_44:
	v_sub_f32_e32 v2, v11, v7
	v_mul_f32_e32 v2, 0.5, v2
	s_mov_b32 s2, 0xf800000
	v_mul_f32_e32 v7, 0x4f800000, v2
	v_cmp_gt_f32_e32 vcc, s2, v2
	s_nop 1
	v_cndmask_b32_e32 v2, v2, v7, vcc
	v_sqrt_f32_e32 v7, v2
	s_nop 0
	v_add_u32_e32 v10, -1, v7
	v_fma_f32 v11, -v10, v7, v2
	v_cmp_ge_f32_e64 s[2:3], 0, v11
	v_add_u32_e32 v11, 1, v7
	s_nop 0
	v_cndmask_b32_e64 v10, v7, v10, s[2:3]
	v_fma_f32 v7, -v11, v7, v2
	v_cmp_lt_f32_e64 s[2:3], 0, v7
	s_nop 1
	v_cndmask_b32_e64 v7, v10, v11, s[2:3]
	v_mul_f32_e32 v10, 0x37800000, v7
	v_cndmask_b32_e32 v7, v7, v10, vcc
	v_mov_b32_e32 v10, 0x260
	v_cmp_class_f32_e32 vcc, v2, v10
	v_and_b32_e32 v10, 0x7fffffff, v6
	s_nop 0
	v_cndmask_b32_e32 v7, v7, v2, vcc
	v_add_f32_e32 v2, v7, v7
	v_div_scale_f32 v11, s[2:3], v2, v2, v10
	v_rcp_f32_e32 v12, v11
	v_div_scale_f32 v10, vcc, v10, v2, v10
	s_brev_b32 s2, -2
	v_fma_f32 v13, -v11, v12, 1.0
	v_fmac_f32_e32 v12, v13, v12
	v_mul_f32_e32 v13, v10, v12
	v_fma_f32 v14, -v11, v13, v10
	v_fmac_f32_e32 v13, v14, v12
	v_fma_f32 v10, -v11, v13, v10
	v_div_fmas_f32 v10, v10, v12, v13
	v_div_fixup_f32 v2, v10, v2, |v6|
	v_bfi_b32 v10, s2, v7, v6
.LBB235_45:
	s_or_b64 exec, exec, s[22:23]
                                        ; implicit-def: $vgpr6
	s_and_saveexec_b64 s[2:3], s[0:1]
	s_xor_b64 s[0:1], exec, s[2:3]
	s_cbranch_execz .LBB235_47
; %bb.46:
	v_mul_f32_e32 v6, 0.5, v2
	v_mul_f32_e32 v11, 0.5, v10
	v_cndmask_b32_e64 v7, v2, v6, s[20:21]
	v_cndmask_b32_e64 v6, v10, v11, s[20:21]
                                        ; implicit-def: $vgpr2
                                        ; implicit-def: $vgpr10
	s_andn2_saveexec_b64 s[0:1], s[0:1]
	s_cbranch_execnz .LBB235_48
	s_branch .LBB235_49
.LBB235_47:
	s_andn2_saveexec_b64 s[0:1], s[0:1]
.LBB235_48:
	v_add_f32_e32 v7, v2, v2
	v_add_f32_e32 v6, v10, v10
.LBB235_49:
	s_or_b64 exec, exec, s[0:1]
.LBB235_50:
	s_andn2_saveexec_b64 s[0:1], s[18:19]
	s_cbranch_execz .LBB235_56
; %bb.51:
	v_and_b32_e32 v2, 0x8000, v3
	v_cmp_ne_u32_e32 vcc, 0, v2
	v_sub_f32_e32 v2, v6, v6
	s_and_saveexec_b64 s[2:3], vcc
	s_xor_b64 s[2:3], exec, s[2:3]
; %bb.52:
	s_brev_b32 s7, -2
	v_and_b32_e32 v2, 0x7fffffff, v2
	v_bfi_b32 v6, s7, v7, v6
	v_mov_b32_e32 v7, v2
                                        ; implicit-def: $vgpr2
; %bb.53:
	s_andn2_saveexec_b64 s[2:3], s[2:3]
; %bb.54:
	s_brev_b32 s7, -2
	v_bfi_b32 v6, s7, v2, v6
; %bb.55:
	s_or_b64 exec, exec, s[2:3]
.LBB235_56:
	s_or_b64 exec, exec, s[0:1]
.LBB235_57:
	s_andn2_saveexec_b64 s[0:1], s[16:17]
	s_cbranch_execz .LBB235_59
; %bb.58:
	v_sub_f32_e32 v2, v6, v6
	v_div_scale_f32 v3, vcc, v2, v2, v2
	v_rcp_f32_e32 v6, v3
	s_nop 0
	v_fma_f32 v10, -v3, v6, 1.0
	v_fmac_f32_e32 v6, v10, v6
	v_mul_f32_e32 v10, v3, v6
	v_fma_f32 v11, -v3, v10, v3
	v_fmac_f32_e32 v10, v11, v6
	v_fma_f32 v3, -v3, v10, v3
	v_div_fmas_f32 v3, v3, v6, v10
	v_div_fixup_f32 v6, v3, v2, v2
.LBB235_59:
	s_or_b64 exec, exec, s[0:1]
.LBB235_60:
	s_or_b64 exec, exec, s[14:15]
.LBB235_61:
	s_or_b64 exec, exec, s[12:13]
	v_cvt_f32_f16_sdwa v10, v4 dst_sel:DWORD dst_unused:UNUSED_PAD src0_sel:WORD_1
	v_mov_b32_e32 v13, 0
	v_cmp_neq_f16_e32 vcc, 0, v4
	v_cmp_neq_f16_sdwa s[0:1], v4, v13 src0_sel:WORD_1 src1_sel:DWORD
	s_or_b64 s[0:1], vcc, s[0:1]
	v_mov_b32_e32 v11, 0
	s_and_saveexec_b64 s[12:13], s[0:1]
	s_cbranch_execz .LBB235_91
; %bb.62:
	v_mov_b32_e32 v11, 0x7f800000
	v_cmp_neq_f32_e64 s[0:1], |v10|, v11
	s_and_saveexec_b64 s[14:15], s[0:1]
	s_cbranch_execz .LBB235_90
; %bb.63:
	v_cvt_f32_f16_e32 v11, v4
	v_cmp_o_f16_e32 vcc, v4, v4
	s_and_saveexec_b64 s[0:1], vcc
	s_xor_b64 s[16:17], exec, s[0:1]
	s_cbranch_execz .LBB235_87
; %bb.64:
	s_mov_b32 s0, 0x7f800000
	v_cmp_neq_f32_e64 s[0:1], |v11|, s0
	s_and_saveexec_b64 s[2:3], s[0:1]
	s_xor_b64 s[18:19], exec, s[2:3]
	s_cbranch_execz .LBB235_80
; %bb.65:
	v_max_f32_e64 v2, |v10|, |v10|
	v_max_f32_e64 v3, |v11|, |v11|
	v_max_f32_e32 v2, v3, v2
	s_mov_b32 s0, 0x7ed413cb
	v_cmp_nle_f32_e64 s[0:1], s0, v2
                                        ; implicit-def: $sgpr20_sgpr21
	s_and_saveexec_b64 s[2:3], s[0:1]
	s_xor_b64 s[2:3], exec, s[2:3]
	s_cbranch_execz .LBB235_69
; %bb.66:
	s_mov_b32 s7, 0x1000000
	v_cmp_le_f32_e64 s[20:21], |v11|, s7
	v_cmp_le_f32_e64 s[22:23], |v10|, s7
	s_and_b64 s[26:27], s[20:21], s[22:23]
	s_mov_b64 s[20:21], 0
	s_and_saveexec_b64 s[22:23], s[26:27]
; %bb.67:
	s_mov_b64 s[20:21], exec
	v_pk_mul_f32 v[10:11], v[10:11], 4.0 op_sel_hi:[1,0]
; %bb.68:
	s_or_b64 exec, exec, s[22:23]
.LBB235_69:
	s_andn2_saveexec_b64 s[2:3], s[2:3]
; %bb.70:
	s_mov_b32 s22, 0x3e800000
	v_pk_mul_f32 v[10:11], v[10:11], s[22:23] op_sel_hi:[1,0]
	s_andn2_b64 s[20:21], s[20:21], exec
; %bb.71:
	s_or_b64 exec, exec, s[2:3]
	v_max_f32_e64 v2, |v10|, |v10|
	v_max_f32_e64 v3, |v11|, |v11|
	v_max_f32_e32 v12, v3, v2
	v_cvt_f64_f32_e32 v[2:3], v12
	v_frexp_exp_i32_f64_e32 v2, v[2:3]
	v_sub_u32_e32 v3, 0, v2
	v_ldexp_f32 v14, |v11|, v3
	v_ldexp_f32 v3, |v10|, v3
	v_mul_f32_e32 v3, v3, v3
	v_fmac_f32_e32 v3, v14, v14
	v_sqrt_f32_e32 v3, v3
	s_mov_b32 s2, 0x7f800000
	v_cmp_neq_f32_e64 s[2:3], s2, v12
	v_cmp_le_f32_e32 vcc, 0, v11
	v_ldexp_f32 v2, v3, v2
	v_mov_b32_e32 v3, 0x7f800000
	v_cndmask_b32_e64 v12, v3, v2, s[2:3]
                                        ; implicit-def: $vgpr3
                                        ; implicit-def: $vgpr2
	s_and_saveexec_b64 s[2:3], vcc
	s_xor_b64 s[22:23], exec, s[2:3]
	s_cbranch_execz .LBB235_73
; %bb.72:
	v_add_f32_e32 v2, v11, v12
	v_mul_f32_e32 v2, 0.5, v2
	s_mov_b32 s2, 0xf800000
	v_mul_f32_e32 v3, 0x4f800000, v2
	v_cmp_gt_f32_e32 vcc, s2, v2
	s_nop 1
	v_cndmask_b32_e32 v2, v2, v3, vcc
	v_sqrt_f32_e32 v3, v2
	s_nop 0
	v_add_u32_e32 v11, -1, v3
	v_fma_f32 v12, -v11, v3, v2
	v_cmp_ge_f32_e64 s[2:3], 0, v12
	v_add_u32_e32 v12, 1, v3
	s_nop 0
	v_cndmask_b32_e64 v11, v3, v11, s[2:3]
	v_fma_f32 v3, -v12, v3, v2
	v_cmp_lt_f32_e64 s[2:3], 0, v3
	s_nop 1
	v_cndmask_b32_e64 v3, v11, v12, s[2:3]
	v_mul_f32_e32 v11, 0x37800000, v3
	v_cndmask_b32_e32 v3, v3, v11, vcc
	v_mov_b32_e32 v11, 0x260
	v_cmp_class_f32_e32 vcc, v2, v11
	s_nop 1
	v_cndmask_b32_e32 v2, v3, v2, vcc
	v_add_f32_e32 v3, v2, v2
	v_div_scale_f32 v11, s[2:3], v3, v3, v10
	v_rcp_f32_e32 v12, v11
	s_nop 0
	v_fma_f32 v14, -v11, v12, 1.0
	v_fmac_f32_e32 v12, v14, v12
	v_div_scale_f32 v14, vcc, v10, v3, v10
	v_mul_f32_e32 v15, v14, v12
	v_fma_f32 v16, -v11, v15, v14
	v_fmac_f32_e32 v15, v16, v12
	v_fma_f32 v11, -v11, v15, v14
	v_div_fmas_f32 v11, v11, v12, v15
	v_div_fixup_f32 v3, v11, v3, v10
                                        ; implicit-def: $vgpr12
                                        ; implicit-def: $vgpr10_vgpr11
	s_andn2_saveexec_b64 s[22:23], s[22:23]
	s_cbranch_execz .LBB235_75
	s_branch .LBB235_74
.LBB235_73:
	s_andn2_saveexec_b64 s[22:23], s[22:23]
	s_cbranch_execz .LBB235_75
.LBB235_74:
	v_sub_f32_e32 v2, v12, v11
	v_mul_f32_e32 v2, 0.5, v2
	s_mov_b32 s2, 0xf800000
	v_mul_f32_e32 v3, 0x4f800000, v2
	v_cmp_gt_f32_e32 vcc, s2, v2
	s_nop 1
	v_cndmask_b32_e32 v2, v2, v3, vcc
	v_sqrt_f32_e32 v3, v2
	s_nop 0
	v_add_u32_e32 v11, -1, v3
	v_fma_f32 v12, -v11, v3, v2
	v_cmp_ge_f32_e64 s[2:3], 0, v12
	v_add_u32_e32 v12, 1, v3
	s_nop 0
	v_cndmask_b32_e64 v11, v3, v11, s[2:3]
	v_fma_f32 v3, -v12, v3, v2
	v_cmp_lt_f32_e64 s[2:3], 0, v3
	s_nop 1
	v_cndmask_b32_e64 v3, v11, v12, s[2:3]
	v_mul_f32_e32 v11, 0x37800000, v3
	v_cndmask_b32_e32 v3, v3, v11, vcc
	v_mov_b32_e32 v11, 0x260
	v_cmp_class_f32_e32 vcc, v2, v11
	v_and_b32_e32 v11, 0x7fffffff, v10
	s_nop 0
	v_cndmask_b32_e32 v3, v3, v2, vcc
	v_add_f32_e32 v2, v3, v3
	v_div_scale_f32 v12, s[2:3], v2, v2, v11
	v_rcp_f32_e32 v14, v12
	v_div_scale_f32 v11, vcc, v11, v2, v11
	s_brev_b32 s2, -2
	v_fma_f32 v15, -v12, v14, 1.0
	v_fmac_f32_e32 v14, v15, v14
	v_mul_f32_e32 v15, v11, v14
	v_fma_f32 v16, -v12, v15, v11
	v_fmac_f32_e32 v15, v16, v14
	v_fma_f32 v11, -v12, v15, v11
	v_div_fmas_f32 v11, v11, v14, v15
	v_div_fixup_f32 v2, v11, v2, |v10|
	v_bfi_b32 v3, s2, v3, v10
.LBB235_75:
	s_or_b64 exec, exec, s[22:23]
                                        ; implicit-def: $vgpr10
	s_and_saveexec_b64 s[2:3], s[0:1]
	s_xor_b64 s[0:1], exec, s[2:3]
	s_cbranch_execz .LBB235_77
; %bb.76:
	v_mul_f32_e32 v10, 0.5, v2
	v_mul_f32_e32 v12, 0.5, v3
	v_cndmask_b32_e64 v11, v2, v10, s[20:21]
	v_cndmask_b32_e64 v10, v3, v12, s[20:21]
                                        ; implicit-def: $vgpr2
                                        ; implicit-def: $vgpr3
	s_andn2_saveexec_b64 s[0:1], s[0:1]
	s_cbranch_execnz .LBB235_78
	s_branch .LBB235_79
.LBB235_77:
	s_andn2_saveexec_b64 s[0:1], s[0:1]
.LBB235_78:
	v_add_f32_e32 v11, v2, v2
	v_add_f32_e32 v10, v3, v3
.LBB235_79:
	s_or_b64 exec, exec, s[0:1]
.LBB235_80:
	s_andn2_saveexec_b64 s[0:1], s[18:19]
	s_cbranch_execz .LBB235_86
; %bb.81:
	v_and_b32_e32 v2, 0x8000, v4
	v_cmp_ne_u32_e32 vcc, 0, v2
	v_sub_f32_e32 v2, v10, v10
	s_and_saveexec_b64 s[2:3], vcc
	s_xor_b64 s[2:3], exec, s[2:3]
; %bb.82:
	s_brev_b32 s7, -2
	v_and_b32_e32 v2, 0x7fffffff, v2
	v_bfi_b32 v10, s7, v11, v10
	v_mov_b32_e32 v11, v2
                                        ; implicit-def: $vgpr2
; %bb.83:
	s_andn2_saveexec_b64 s[2:3], s[2:3]
; %bb.84:
	s_brev_b32 s7, -2
	v_bfi_b32 v10, s7, v2, v10
; %bb.85:
	s_or_b64 exec, exec, s[2:3]
.LBB235_86:
	s_or_b64 exec, exec, s[0:1]
.LBB235_87:
	s_andn2_saveexec_b64 s[0:1], s[16:17]
	s_cbranch_execz .LBB235_89
; %bb.88:
	v_sub_f32_e32 v2, v10, v10
	v_div_scale_f32 v3, vcc, v2, v2, v2
	v_rcp_f32_e32 v4, v3
	s_nop 0
	v_fma_f32 v10, -v3, v4, 1.0
	v_fmac_f32_e32 v4, v10, v4
	v_mul_f32_e32 v10, v3, v4
	v_fma_f32 v12, -v3, v10, v3
	v_fmac_f32_e32 v10, v12, v4
	v_fma_f32 v3, -v3, v10, v3
	v_div_fmas_f32 v3, v3, v4, v10
	v_div_fixup_f32 v10, v3, v2, v2
.LBB235_89:
	s_or_b64 exec, exec, s[0:1]
.LBB235_90:
	s_or_b64 exec, exec, s[14:15]
.LBB235_91:
	s_or_b64 exec, exec, s[12:13]
	v_cvt_f32_f16_sdwa v12, v5 dst_sel:DWORD dst_unused:UNUSED_PAD src0_sel:WORD_1
	v_cmp_neq_f16_e32 vcc, 0, v5
	v_cmp_neq_f16_sdwa s[0:1], v5, v13 src0_sel:WORD_1 src1_sel:DWORD
	s_or_b64 s[0:1], vcc, s[0:1]
	s_and_saveexec_b64 s[12:13], s[0:1]
	s_cbranch_execz .LBB235_121
; %bb.92:
	v_mov_b32_e32 v13, 0x7f800000
	v_cmp_neq_f32_e64 s[0:1], |v12|, v13
	s_and_saveexec_b64 s[14:15], s[0:1]
	s_cbranch_execz .LBB235_120
; %bb.93:
	v_cvt_f32_f16_e32 v13, v5
	v_cmp_o_f16_e32 vcc, v5, v5
	s_and_saveexec_b64 s[0:1], vcc
	s_xor_b64 s[16:17], exec, s[0:1]
	s_cbranch_execz .LBB235_117
; %bb.94:
	s_mov_b32 s0, 0x7f800000
	v_cmp_neq_f32_e64 s[0:1], |v13|, s0
	s_and_saveexec_b64 s[2:3], s[0:1]
	s_xor_b64 s[18:19], exec, s[2:3]
	s_cbranch_execz .LBB235_110
; %bb.95:
	v_max_f32_e64 v2, |v12|, |v12|
	v_max_f32_e64 v3, |v13|, |v13|
	v_max_f32_e32 v2, v3, v2
	s_mov_b32 s0, 0x7ed413cb
	v_cmp_nle_f32_e64 s[0:1], s0, v2
                                        ; implicit-def: $sgpr20_sgpr21
	s_and_saveexec_b64 s[2:3], s[0:1]
	s_xor_b64 s[2:3], exec, s[2:3]
	s_cbranch_execz .LBB235_99
; %bb.96:
	s_mov_b32 s7, 0x1000000
	v_cmp_le_f32_e64 s[20:21], |v13|, s7
	v_cmp_le_f32_e64 s[22:23], |v12|, s7
	s_and_b64 s[26:27], s[20:21], s[22:23]
	s_mov_b64 s[20:21], 0
	s_and_saveexec_b64 s[22:23], s[26:27]
; %bb.97:
	s_mov_b64 s[20:21], exec
	v_pk_mul_f32 v[12:13], v[12:13], 4.0 op_sel_hi:[1,0]
; %bb.98:
	s_or_b64 exec, exec, s[22:23]
.LBB235_99:
	s_andn2_saveexec_b64 s[2:3], s[2:3]
; %bb.100:
	s_mov_b32 s22, 0x3e800000
	v_pk_mul_f32 v[12:13], v[12:13], s[22:23] op_sel_hi:[1,0]
	s_andn2_b64 s[20:21], s[20:21], exec
; %bb.101:
	s_or_b64 exec, exec, s[2:3]
	v_max_f32_e64 v2, |v12|, |v12|
	v_max_f32_e64 v3, |v13|, |v13|
	v_max_f32_e32 v4, v3, v2
	v_cvt_f64_f32_e32 v[2:3], v4
	v_frexp_exp_i32_f64_e32 v2, v[2:3]
	v_sub_u32_e32 v3, 0, v2
	v_ldexp_f32 v5, |v13|, v3
	v_ldexp_f32 v3, |v12|, v3
	v_mul_f32_e32 v3, v3, v3
	v_fmac_f32_e32 v3, v5, v5
	v_sqrt_f32_e32 v3, v3
	s_mov_b32 s2, 0x7f800000
	v_cmp_neq_f32_e64 s[2:3], s2, v4
	v_cmp_le_f32_e32 vcc, 0, v13
	v_ldexp_f32 v2, v3, v2
	v_mov_b32_e32 v3, 0x7f800000
	v_cndmask_b32_e64 v4, v3, v2, s[2:3]
                                        ; implicit-def: $vgpr3
                                        ; implicit-def: $vgpr2
	s_and_saveexec_b64 s[2:3], vcc
	s_xor_b64 s[22:23], exec, s[2:3]
	s_cbranch_execz .LBB235_103
; %bb.102:
	v_add_f32_e32 v2, v13, v4
	v_mul_f32_e32 v2, 0.5, v2
	s_mov_b32 s2, 0xf800000
	v_mul_f32_e32 v3, 0x4f800000, v2
	v_cmp_gt_f32_e32 vcc, s2, v2
	s_nop 1
	v_cndmask_b32_e32 v2, v2, v3, vcc
	v_sqrt_f32_e32 v3, v2
	s_nop 0
	v_add_u32_e32 v4, -1, v3
	v_fma_f32 v5, -v4, v3, v2
	v_cmp_ge_f32_e64 s[2:3], 0, v5
	v_add_u32_e32 v5, 1, v3
	s_nop 0
	v_cndmask_b32_e64 v4, v3, v4, s[2:3]
	v_fma_f32 v3, -v5, v3, v2
	v_cmp_lt_f32_e64 s[2:3], 0, v3
	s_nop 1
	v_cndmask_b32_e64 v3, v4, v5, s[2:3]
	v_mul_f32_e32 v4, 0x37800000, v3
	v_cndmask_b32_e32 v3, v3, v4, vcc
	v_mov_b32_e32 v4, 0x260
	v_cmp_class_f32_e32 vcc, v2, v4
	s_nop 1
	v_cndmask_b32_e32 v2, v3, v2, vcc
	v_add_f32_e32 v3, v2, v2
	v_div_scale_f32 v4, s[2:3], v3, v3, v12
	v_rcp_f32_e32 v5, v4
	s_nop 0
	v_fma_f32 v13, -v4, v5, 1.0
	v_fmac_f32_e32 v5, v13, v5
	v_div_scale_f32 v13, vcc, v12, v3, v12
	v_mul_f32_e32 v14, v13, v5
	v_fma_f32 v15, -v4, v14, v13
	v_fmac_f32_e32 v14, v15, v5
	v_fma_f32 v4, -v4, v14, v13
	v_div_fmas_f32 v4, v4, v5, v14
	v_div_fixup_f32 v3, v4, v3, v12
                                        ; implicit-def: $vgpr4
                                        ; implicit-def: $vgpr12_vgpr13
	s_andn2_saveexec_b64 s[22:23], s[22:23]
	s_cbranch_execz .LBB235_105
	s_branch .LBB235_104
.LBB235_103:
	s_andn2_saveexec_b64 s[22:23], s[22:23]
	s_cbranch_execz .LBB235_105
.LBB235_104:
	v_sub_f32_e32 v2, v4, v13
	v_mul_f32_e32 v2, 0.5, v2
	s_mov_b32 s2, 0xf800000
	v_mul_f32_e32 v3, 0x4f800000, v2
	v_cmp_gt_f32_e32 vcc, s2, v2
	s_nop 1
	v_cndmask_b32_e32 v2, v2, v3, vcc
	v_sqrt_f32_e32 v3, v2
	s_nop 0
	v_add_u32_e32 v4, -1, v3
	v_fma_f32 v5, -v4, v3, v2
	v_cmp_ge_f32_e64 s[2:3], 0, v5
	v_add_u32_e32 v5, 1, v3
	s_nop 0
	v_cndmask_b32_e64 v4, v3, v4, s[2:3]
	v_fma_f32 v3, -v5, v3, v2
	v_cmp_lt_f32_e64 s[2:3], 0, v3
	s_nop 1
	v_cndmask_b32_e64 v3, v4, v5, s[2:3]
	v_mul_f32_e32 v4, 0x37800000, v3
	v_cndmask_b32_e32 v3, v3, v4, vcc
	v_mov_b32_e32 v4, 0x260
	v_cmp_class_f32_e32 vcc, v2, v4
	v_and_b32_e32 v4, 0x7fffffff, v12
	s_nop 0
	v_cndmask_b32_e32 v3, v3, v2, vcc
	v_add_f32_e32 v2, v3, v3
	v_div_scale_f32 v5, s[2:3], v2, v2, v4
	v_rcp_f32_e32 v13, v5
	v_div_scale_f32 v4, vcc, v4, v2, v4
	s_brev_b32 s2, -2
	v_fma_f32 v14, -v5, v13, 1.0
	v_fmac_f32_e32 v13, v14, v13
	v_mul_f32_e32 v14, v4, v13
	v_fma_f32 v15, -v5, v14, v4
	v_fmac_f32_e32 v14, v15, v13
	v_fma_f32 v4, -v5, v14, v4
	v_div_fmas_f32 v4, v4, v13, v14
	v_div_fixup_f32 v2, v4, v2, |v12|
	v_bfi_b32 v3, s2, v3, v12
.LBB235_105:
	s_or_b64 exec, exec, s[22:23]
                                        ; implicit-def: $vgpr12
	s_and_saveexec_b64 s[2:3], s[0:1]
	s_xor_b64 s[0:1], exec, s[2:3]
	s_cbranch_execz .LBB235_107
; %bb.106:
	v_mul_f32_e32 v4, 0.5, v2
	v_mul_f32_e32 v5, 0.5, v3
	v_cndmask_b32_e64 v13, v2, v4, s[20:21]
	v_cndmask_b32_e64 v12, v3, v5, s[20:21]
                                        ; implicit-def: $vgpr2
                                        ; implicit-def: $vgpr3
	s_andn2_saveexec_b64 s[0:1], s[0:1]
	s_cbranch_execnz .LBB235_108
	s_branch .LBB235_109
.LBB235_107:
	s_andn2_saveexec_b64 s[0:1], s[0:1]
.LBB235_108:
	v_add_f32_e32 v13, v2, v2
	v_add_f32_e32 v12, v3, v3
.LBB235_109:
	s_or_b64 exec, exec, s[0:1]
                                        ; implicit-def: $vgpr2_vgpr3_vgpr4_vgpr5
.LBB235_110:
	s_andn2_saveexec_b64 s[0:1], s[18:19]
	s_cbranch_execz .LBB235_116
; %bb.111:
	v_and_b32_e32 v2, 0x8000, v5
	v_cmp_ne_u32_e32 vcc, 0, v2
	v_sub_f32_e32 v2, v12, v12
	s_and_saveexec_b64 s[2:3], vcc
	s_xor_b64 s[2:3], exec, s[2:3]
; %bb.112:
	s_brev_b32 s7, -2
	v_and_b32_e32 v2, 0x7fffffff, v2
	v_bfi_b32 v12, s7, v13, v12
	v_mov_b32_e32 v13, v2
                                        ; implicit-def: $vgpr2
; %bb.113:
	s_andn2_saveexec_b64 s[2:3], s[2:3]
; %bb.114:
	s_brev_b32 s7, -2
	v_bfi_b32 v12, s7, v2, v12
; %bb.115:
	s_or_b64 exec, exec, s[2:3]
.LBB235_116:
	s_or_b64 exec, exec, s[0:1]
.LBB235_117:
	s_andn2_saveexec_b64 s[0:1], s[16:17]
	s_cbranch_execz .LBB235_119
; %bb.118:
	v_sub_f32_e32 v2, v12, v12
	v_div_scale_f32 v3, vcc, v2, v2, v2
	v_rcp_f32_e32 v4, v3
	s_nop 0
	v_fma_f32 v5, -v3, v4, 1.0
	v_fmac_f32_e32 v4, v5, v4
	v_mul_f32_e32 v5, v3, v4
	v_fma_f32 v12, -v3, v5, v3
	v_fmac_f32_e32 v5, v12, v4
	v_fma_f32 v3, -v3, v5, v3
	v_div_fmas_f32 v3, v3, v4, v5
	v_div_fixup_f32 v12, v3, v2, v2
.LBB235_119:
	s_or_b64 exec, exec, s[0:1]
.LBB235_120:
	s_or_b64 exec, exec, s[14:15]
.LBB235_121:
	s_or_b64 exec, exec, s[12:13]
	v_cvt_pk_f16_f32 v2, v8, v6
	v_cvt_pk_f16_f32 v4, v10, v12
	;; [unrolled: 1-line block ×3, first 2 shown]
	v_and_b32_e32 v3, 0xffff0000, v2
	v_lshlrev_b32_e32 v2, 16, v2
	v_cvt_pk_f16_f32 v10, v11, v13
	s_add_u32 s0, s8, s4
	v_or_b32_sdwa v3, v3, v5 dst_sel:DWORD dst_unused:UNUSED_PAD src0_sel:DWORD src1_sel:WORD_1
	v_or_b32_sdwa v2, v2, v5 dst_sel:DWORD dst_unused:UNUSED_PAD src0_sel:DWORD src1_sel:WORD_0
	v_and_b32_e32 v5, 0xffff0000, v4
	v_lshlrev_b32_e32 v4, 16, v4
	s_addc_u32 s1, s9, s5
	v_or_b32_sdwa v5, v5, v10 dst_sel:DWORD dst_unused:UNUSED_PAD src0_sel:DWORD src1_sel:WORD_1
	v_or_b32_sdwa v4, v4, v10 dst_sel:DWORD dst_unused:UNUSED_PAD src0_sel:DWORD src1_sel:WORD_0
	global_store_dwordx4 v1, v[2:5], s[0:1]
	s_mov_b64 s[0:1], 0
.LBB235_122:
	s_and_b64 vcc, exec, s[0:1]
	s_cbranch_vccz .LBB235_267
; %bb.123:
	v_cmp_gt_i32_e64 s[0:1], s24, v0
	v_mov_b32_e32 v1, 0
	v_or_b32_e32 v2, s6, v0
	v_mov_b32_e32 v5, 0
	v_mov_b32_e32 v3, 0
	;; [unrolled: 1-line block ×3, first 2 shown]
	s_and_saveexec_b64 s[2:3], s[0:1]
	s_cbranch_execz .LBB235_131
; %bb.124:
	v_mov_b32_e32 v3, 0
	v_lshl_add_u64 v[4:5], v[2:3], 2, s[10:11]
	global_load_dword v9, v[4:5], off
	v_or_b32_e32 v1, 0x100, v0
	v_cmp_gt_u32_e32 vcc, s24, v1
	v_mov_b32_e32 v5, v3
	v_mov_b32_e32 v1, v3
	s_and_saveexec_b64 s[4:5], vcc
	s_cbranch_execz .LBB235_130
; %bb.125:
	v_add_u32_e32 v4, s6, v0
	v_mov_b32_e32 v5, 0
	v_lshl_add_u64 v[6:7], v[4:5], 2, s[10:11]
	global_load_dword v3, v[6:7], off offset:1024
	v_or_b32_e32 v1, 0x200, v0
	v_cmp_gt_u32_e32 vcc, s24, v1
	v_mov_b32_e32 v1, v5
	s_and_saveexec_b64 s[10:11], vcc
	s_cbranch_execz .LBB235_129
; %bb.126:
	global_load_dword v5, v[6:7], off offset:2048
	v_or_b32_e32 v1, 0x300, v0
	v_cmp_gt_u32_e32 vcc, s24, v1
	v_mov_b32_e32 v1, 0
	s_and_saveexec_b64 s[12:13], vcc
	s_cbranch_execz .LBB235_128
; %bb.127:
	global_load_dword v1, v[6:7], off offset:3072
.LBB235_128:
	s_or_b64 exec, exec, s[12:13]
.LBB235_129:
	s_or_b64 exec, exec, s[10:11]
.LBB235_130:
	s_or_b64 exec, exec, s[4:5]
.LBB235_131:
	s_or_b64 exec, exec, s[2:3]
                                        ; implicit-def: $vgpr8
	s_and_saveexec_b64 s[10:11], s[0:1]
	s_cbranch_execz .LBB235_163
; %bb.132:
	s_waitcnt vmcnt(0)
	v_cvt_f32_f16_sdwa v6, v9 dst_sel:DWORD dst_unused:UNUSED_PAD src0_sel:WORD_1
	v_mov_b32_e32 v7, 0
	v_cmp_neq_f16_e32 vcc, 0, v9
	v_cmp_neq_f16_sdwa s[2:3], v9, v7 src0_sel:WORD_1 src1_sel:DWORD
	s_or_b64 s[2:3], vcc, s[2:3]
	s_and_saveexec_b64 s[12:13], s[2:3]
	s_cbranch_execz .LBB235_162
; %bb.133:
	v_mov_b32_e32 v7, 0x7f800000
	v_cmp_neq_f32_e64 s[2:3], |v6|, v7
	s_and_saveexec_b64 s[14:15], s[2:3]
	s_cbranch_execz .LBB235_161
; %bb.134:
	v_cvt_f32_f16_e32 v7, v9
	v_cmp_o_f16_e32 vcc, v9, v9
	s_and_saveexec_b64 s[2:3], vcc
	s_xor_b64 s[16:17], exec, s[2:3]
	s_cbranch_execz .LBB235_158
; %bb.135:
	s_mov_b32 s2, 0x7f800000
	v_cmp_neq_f32_e64 s[2:3], |v7|, s2
	s_and_saveexec_b64 s[4:5], s[2:3]
	s_xor_b64 s[18:19], exec, s[4:5]
	s_cbranch_execz .LBB235_151
; %bb.136:
	v_max_f32_e64 v4, |v6|, |v6|
	v_max_f32_e64 v8, |v7|, |v7|
	v_max_f32_e32 v4, v8, v4
	s_mov_b32 s2, 0x7ed413cb
	v_cmp_nle_f32_e64 s[2:3], s2, v4
                                        ; implicit-def: $sgpr20_sgpr21
	s_and_saveexec_b64 s[4:5], s[2:3]
	s_xor_b64 s[4:5], exec, s[4:5]
	s_cbranch_execz .LBB235_140
; %bb.137:
	s_mov_b32 s7, 0x1000000
	v_cmp_le_f32_e64 s[20:21], |v7|, s7
	v_cmp_le_f32_e64 s[22:23], |v6|, s7
	s_and_b64 s[26:27], s[20:21], s[22:23]
	s_mov_b64 s[20:21], 0
	s_and_saveexec_b64 s[22:23], s[26:27]
; %bb.138:
	s_mov_b64 s[20:21], exec
	v_pk_mul_f32 v[6:7], v[6:7], 4.0 op_sel_hi:[1,0]
; %bb.139:
	s_or_b64 exec, exec, s[22:23]
.LBB235_140:
	s_andn2_saveexec_b64 s[4:5], s[4:5]
; %bb.141:
	s_mov_b32 s22, 0x3e800000
	v_pk_mul_f32 v[6:7], v[6:7], s[22:23] op_sel_hi:[1,0]
	s_andn2_b64 s[20:21], s[20:21], exec
; %bb.142:
	s_or_b64 exec, exec, s[4:5]
	v_max_f32_e64 v4, |v6|, |v6|
	v_max_f32_e64 v8, |v7|, |v7|
	v_max_f32_e32 v4, v8, v4
	v_cvt_f64_f32_e32 v[8:9], v4
	v_frexp_exp_i32_f64_e32 v8, v[8:9]
	v_sub_u32_e32 v9, 0, v8
	v_ldexp_f32 v10, |v7|, v9
	v_ldexp_f32 v9, |v6|, v9
	v_mul_f32_e32 v9, v9, v9
	v_fmac_f32_e32 v9, v10, v10
	v_sqrt_f32_e32 v9, v9
	s_mov_b32 s4, 0x7f800000
	v_cmp_neq_f32_e64 s[4:5], s4, v4
	v_cmp_le_f32_e32 vcc, 0, v7
	v_ldexp_f32 v8, v9, v8
	v_mov_b32_e32 v9, 0x7f800000
	v_cndmask_b32_e64 v9, v9, v8, s[4:5]
                                        ; implicit-def: $vgpr8
                                        ; implicit-def: $vgpr4
	s_and_saveexec_b64 s[4:5], vcc
	s_xor_b64 s[22:23], exec, s[4:5]
	s_cbranch_execz .LBB235_144
; %bb.143:
	v_add_f32_e32 v4, v7, v9
	v_mul_f32_e32 v4, 0.5, v4
	s_mov_b32 s4, 0xf800000
	v_mul_f32_e32 v7, 0x4f800000, v4
	v_cmp_gt_f32_e32 vcc, s4, v4
	s_nop 1
	v_cndmask_b32_e32 v4, v4, v7, vcc
	v_sqrt_f32_e32 v7, v4
	s_nop 0
	v_add_u32_e32 v8, -1, v7
	v_fma_f32 v9, -v8, v7, v4
	v_cmp_ge_f32_e64 s[4:5], 0, v9
	v_add_u32_e32 v9, 1, v7
	s_nop 0
	v_cndmask_b32_e64 v8, v7, v8, s[4:5]
	v_fma_f32 v7, -v9, v7, v4
	v_cmp_lt_f32_e64 s[4:5], 0, v7
	s_nop 1
	v_cndmask_b32_e64 v7, v8, v9, s[4:5]
	v_mul_f32_e32 v8, 0x37800000, v7
	v_cndmask_b32_e32 v7, v7, v8, vcc
	v_mov_b32_e32 v8, 0x260
	v_cmp_class_f32_e32 vcc, v4, v8
	s_nop 1
	v_cndmask_b32_e32 v4, v7, v4, vcc
	v_add_f32_e32 v7, v4, v4
	v_div_scale_f32 v8, s[4:5], v7, v7, v6
	v_rcp_f32_e32 v9, v8
	s_nop 0
	v_fma_f32 v10, -v8, v9, 1.0
	v_fmac_f32_e32 v9, v10, v9
	v_div_scale_f32 v10, vcc, v6, v7, v6
	v_mul_f32_e32 v11, v10, v9
	v_fma_f32 v12, -v8, v11, v10
	v_fmac_f32_e32 v11, v12, v9
	v_fma_f32 v8, -v8, v11, v10
	v_div_fmas_f32 v8, v8, v9, v11
	v_div_fixup_f32 v8, v8, v7, v6
                                        ; implicit-def: $vgpr9
                                        ; implicit-def: $vgpr6_vgpr7
	s_andn2_saveexec_b64 s[22:23], s[22:23]
	s_cbranch_execz .LBB235_146
	s_branch .LBB235_145
.LBB235_144:
	s_andn2_saveexec_b64 s[22:23], s[22:23]
	s_cbranch_execz .LBB235_146
.LBB235_145:
	v_sub_f32_e32 v4, v9, v7
	v_mul_f32_e32 v4, 0.5, v4
	s_mov_b32 s4, 0xf800000
	v_mul_f32_e32 v7, 0x4f800000, v4
	v_cmp_gt_f32_e32 vcc, s4, v4
	s_nop 1
	v_cndmask_b32_e32 v4, v4, v7, vcc
	v_sqrt_f32_e32 v7, v4
	s_nop 0
	v_add_u32_e32 v8, -1, v7
	v_fma_f32 v9, -v8, v7, v4
	v_cmp_ge_f32_e64 s[4:5], 0, v9
	v_add_u32_e32 v9, 1, v7
	s_nop 0
	v_cndmask_b32_e64 v8, v7, v8, s[4:5]
	v_fma_f32 v7, -v9, v7, v4
	v_cmp_lt_f32_e64 s[4:5], 0, v7
	s_nop 1
	v_cndmask_b32_e64 v7, v8, v9, s[4:5]
	v_mul_f32_e32 v8, 0x37800000, v7
	v_cndmask_b32_e32 v7, v7, v8, vcc
	v_mov_b32_e32 v8, 0x260
	v_cmp_class_f32_e32 vcc, v4, v8
	v_and_b32_e32 v8, 0x7fffffff, v6
	s_nop 0
	v_cndmask_b32_e32 v7, v7, v4, vcc
	v_add_f32_e32 v4, v7, v7
	v_div_scale_f32 v9, s[4:5], v4, v4, v8
	v_rcp_f32_e32 v10, v9
	v_div_scale_f32 v8, vcc, v8, v4, v8
	s_brev_b32 s4, -2
	v_fma_f32 v11, -v9, v10, 1.0
	v_fmac_f32_e32 v10, v11, v10
	v_mul_f32_e32 v11, v8, v10
	v_fma_f32 v12, -v9, v11, v8
	v_fmac_f32_e32 v11, v12, v10
	v_fma_f32 v8, -v9, v11, v8
	v_div_fmas_f32 v8, v8, v10, v11
	v_div_fixup_f32 v4, v8, v4, |v6|
	v_bfi_b32 v8, s4, v7, v6
.LBB235_146:
	s_or_b64 exec, exec, s[22:23]
                                        ; implicit-def: $vgpr6
	s_and_saveexec_b64 s[4:5], s[2:3]
	s_xor_b64 s[2:3], exec, s[4:5]
	s_cbranch_execz .LBB235_148
; %bb.147:
	v_mul_f32_e32 v6, 0.5, v4
	v_mul_f32_e32 v9, 0.5, v8
	v_cndmask_b32_e64 v7, v4, v6, s[20:21]
	v_cndmask_b32_e64 v6, v8, v9, s[20:21]
                                        ; implicit-def: $vgpr4
                                        ; implicit-def: $vgpr8
	s_andn2_saveexec_b64 s[2:3], s[2:3]
	s_cbranch_execnz .LBB235_149
	s_branch .LBB235_150
.LBB235_148:
	s_andn2_saveexec_b64 s[2:3], s[2:3]
.LBB235_149:
	v_add_f32_e32 v7, v4, v4
	v_add_f32_e32 v6, v8, v8
.LBB235_150:
	s_or_b64 exec, exec, s[2:3]
                                        ; implicit-def: $vgpr9
.LBB235_151:
	s_andn2_saveexec_b64 s[2:3], s[18:19]
	s_cbranch_execz .LBB235_157
; %bb.152:
	v_and_b32_e32 v4, 0x8000, v9
	v_cmp_ne_u32_e32 vcc, 0, v4
	v_sub_f32_e32 v4, v6, v6
	s_and_saveexec_b64 s[4:5], vcc
	s_xor_b64 s[4:5], exec, s[4:5]
; %bb.153:
	s_brev_b32 s7, -2
	v_and_b32_e32 v4, 0x7fffffff, v4
	v_bfi_b32 v6, s7, v7, v6
	v_mov_b32_e32 v7, v4
                                        ; implicit-def: $vgpr4
; %bb.154:
	s_andn2_saveexec_b64 s[4:5], s[4:5]
; %bb.155:
	s_brev_b32 s7, -2
	v_bfi_b32 v6, s7, v4, v6
; %bb.156:
	s_or_b64 exec, exec, s[4:5]
.LBB235_157:
	s_or_b64 exec, exec, s[2:3]
.LBB235_158:
	s_andn2_saveexec_b64 s[2:3], s[16:17]
	s_cbranch_execz .LBB235_160
; %bb.159:
	v_sub_f32_e32 v4, v6, v6
	v_div_scale_f32 v6, vcc, v4, v4, v4
	v_rcp_f32_e32 v8, v6
	s_nop 0
	v_fma_f32 v9, -v6, v8, 1.0
	v_fmac_f32_e32 v8, v9, v8
	v_mul_f32_e32 v9, v6, v8
	v_fma_f32 v10, -v6, v9, v6
	v_fmac_f32_e32 v9, v10, v8
	v_fma_f32 v6, -v6, v9, v6
	v_div_fmas_f32 v6, v6, v8, v9
	v_div_fixup_f32 v6, v6, v4, v4
.LBB235_160:
	s_or_b64 exec, exec, s[2:3]
.LBB235_161:
	s_or_b64 exec, exec, s[14:15]
.LBB235_162:
	s_or_b64 exec, exec, s[12:13]
	v_cvt_f16_f32_e32 v4, v7
	v_cvt_f16_f32_sdwa v6, v6 dst_sel:WORD_1 dst_unused:UNUSED_PAD src0_sel:DWORD
	s_nop 0
	v_or_b32_e32 v8, v6, v4
.LBB235_163:
	s_or_b64 exec, exec, s[10:11]
	s_waitcnt vmcnt(0)
	v_or_b32_e32 v9, 0x100, v0
	v_cmp_gt_i32_e32 vcc, s24, v9
                                        ; implicit-def: $vgpr10
	s_and_saveexec_b64 s[10:11], vcc
	s_cbranch_execz .LBB235_195
; %bb.164:
	v_cvt_f32_f16_sdwa v6, v3 dst_sel:DWORD dst_unused:UNUSED_PAD src0_sel:WORD_1
	v_mov_b32_e32 v7, 0
	v_cmp_neq_f16_e32 vcc, 0, v3
	v_cmp_neq_f16_sdwa s[2:3], v3, v7 src0_sel:WORD_1 src1_sel:DWORD
	s_or_b64 s[2:3], vcc, s[2:3]
	s_and_saveexec_b64 s[12:13], s[2:3]
	s_cbranch_execz .LBB235_194
; %bb.165:
	v_mov_b32_e32 v7, 0x7f800000
	v_cmp_neq_f32_e64 s[2:3], |v6|, v7
	s_and_saveexec_b64 s[14:15], s[2:3]
	s_cbranch_execz .LBB235_193
; %bb.166:
	v_cvt_f32_f16_e32 v7, v3
	v_cmp_o_f16_e32 vcc, v3, v3
	s_and_saveexec_b64 s[2:3], vcc
	s_xor_b64 s[16:17], exec, s[2:3]
	s_cbranch_execz .LBB235_190
; %bb.167:
	s_mov_b32 s2, 0x7f800000
	v_cmp_neq_f32_e64 s[2:3], |v7|, s2
	s_and_saveexec_b64 s[4:5], s[2:3]
	s_xor_b64 s[18:19], exec, s[4:5]
	s_cbranch_execz .LBB235_183
; %bb.168:
	v_max_f32_e64 v3, |v6|, |v6|
	v_max_f32_e64 v4, |v7|, |v7|
	v_max_f32_e32 v3, v4, v3
	s_mov_b32 s2, 0x7ed413cb
	v_cmp_nle_f32_e64 s[2:3], s2, v3
                                        ; implicit-def: $sgpr20_sgpr21
	s_and_saveexec_b64 s[4:5], s[2:3]
	s_xor_b64 s[4:5], exec, s[4:5]
	s_cbranch_execz .LBB235_172
; %bb.169:
	s_mov_b32 s7, 0x1000000
	v_cmp_le_f32_e64 s[20:21], |v7|, s7
	v_cmp_le_f32_e64 s[22:23], |v6|, s7
	s_and_b64 s[26:27], s[20:21], s[22:23]
	s_mov_b64 s[20:21], 0
	s_and_saveexec_b64 s[22:23], s[26:27]
; %bb.170:
	s_mov_b64 s[20:21], exec
	v_pk_mul_f32 v[6:7], v[6:7], 4.0 op_sel_hi:[1,0]
; %bb.171:
	s_or_b64 exec, exec, s[22:23]
.LBB235_172:
	s_andn2_saveexec_b64 s[4:5], s[4:5]
; %bb.173:
	s_mov_b32 s22, 0x3e800000
	v_pk_mul_f32 v[6:7], v[6:7], s[22:23] op_sel_hi:[1,0]
	s_andn2_b64 s[20:21], s[20:21], exec
; %bb.174:
	s_or_b64 exec, exec, s[4:5]
	v_max_f32_e64 v3, |v6|, |v6|
	v_max_f32_e64 v4, |v7|, |v7|
	v_max_f32_e32 v3, v4, v3
	v_cvt_f64_f32_e32 v[10:11], v3
	v_frexp_exp_i32_f64_e32 v4, v[10:11]
	v_sub_u32_e32 v10, 0, v4
	v_ldexp_f32 v11, |v7|, v10
	v_ldexp_f32 v10, |v6|, v10
	v_mul_f32_e32 v10, v10, v10
	v_fmac_f32_e32 v10, v11, v11
	v_sqrt_f32_e32 v10, v10
	s_mov_b32 s4, 0x7f800000
	v_cmp_neq_f32_e64 s[4:5], s4, v3
	v_cmp_le_f32_e32 vcc, 0, v7
	v_ldexp_f32 v4, v10, v4
	v_mov_b32_e32 v10, 0x7f800000
	v_cndmask_b32_e64 v10, v10, v4, s[4:5]
                                        ; implicit-def: $vgpr4
                                        ; implicit-def: $vgpr3
	s_and_saveexec_b64 s[4:5], vcc
	s_xor_b64 s[22:23], exec, s[4:5]
	s_cbranch_execz .LBB235_176
; %bb.175:
	v_add_f32_e32 v3, v7, v10
	v_mul_f32_e32 v3, 0.5, v3
	s_mov_b32 s4, 0xf800000
	v_mul_f32_e32 v4, 0x4f800000, v3
	v_cmp_gt_f32_e32 vcc, s4, v3
	s_nop 1
	v_cndmask_b32_e32 v3, v3, v4, vcc
	v_sqrt_f32_e32 v4, v3
	s_nop 0
	v_add_u32_e32 v7, -1, v4
	v_fma_f32 v10, -v7, v4, v3
	v_cmp_ge_f32_e64 s[4:5], 0, v10
	v_add_u32_e32 v10, 1, v4
	s_nop 0
	v_cndmask_b32_e64 v7, v4, v7, s[4:5]
	v_fma_f32 v4, -v10, v4, v3
	v_cmp_lt_f32_e64 s[4:5], 0, v4
	s_nop 1
	v_cndmask_b32_e64 v4, v7, v10, s[4:5]
	v_mul_f32_e32 v7, 0x37800000, v4
	v_cndmask_b32_e32 v4, v4, v7, vcc
	v_mov_b32_e32 v7, 0x260
	v_cmp_class_f32_e32 vcc, v3, v7
	s_nop 1
	v_cndmask_b32_e32 v3, v4, v3, vcc
	v_add_f32_e32 v4, v3, v3
	v_div_scale_f32 v7, s[4:5], v4, v4, v6
	v_rcp_f32_e32 v10, v7
	s_nop 0
	v_fma_f32 v11, -v7, v10, 1.0
	v_fmac_f32_e32 v10, v11, v10
	v_div_scale_f32 v11, vcc, v6, v4, v6
	v_mul_f32_e32 v12, v11, v10
	v_fma_f32 v13, -v7, v12, v11
	v_fmac_f32_e32 v12, v13, v10
	v_fma_f32 v7, -v7, v12, v11
	v_div_fmas_f32 v7, v7, v10, v12
	v_div_fixup_f32 v4, v7, v4, v6
                                        ; implicit-def: $vgpr10
                                        ; implicit-def: $vgpr6_vgpr7
	s_andn2_saveexec_b64 s[22:23], s[22:23]
	s_cbranch_execz .LBB235_178
	s_branch .LBB235_177
.LBB235_176:
	s_andn2_saveexec_b64 s[22:23], s[22:23]
	s_cbranch_execz .LBB235_178
.LBB235_177:
	v_sub_f32_e32 v3, v10, v7
	v_mul_f32_e32 v3, 0.5, v3
	s_mov_b32 s4, 0xf800000
	v_mul_f32_e32 v4, 0x4f800000, v3
	v_cmp_gt_f32_e32 vcc, s4, v3
	s_nop 1
	v_cndmask_b32_e32 v3, v3, v4, vcc
	v_sqrt_f32_e32 v4, v3
	s_nop 0
	v_add_u32_e32 v7, -1, v4
	v_fma_f32 v10, -v7, v4, v3
	v_cmp_ge_f32_e64 s[4:5], 0, v10
	v_add_u32_e32 v10, 1, v4
	s_nop 0
	v_cndmask_b32_e64 v7, v4, v7, s[4:5]
	v_fma_f32 v4, -v10, v4, v3
	v_cmp_lt_f32_e64 s[4:5], 0, v4
	s_nop 1
	v_cndmask_b32_e64 v4, v7, v10, s[4:5]
	v_mul_f32_e32 v7, 0x37800000, v4
	v_cndmask_b32_e32 v4, v4, v7, vcc
	v_mov_b32_e32 v7, 0x260
	v_cmp_class_f32_e32 vcc, v3, v7
	v_and_b32_e32 v7, 0x7fffffff, v6
	s_nop 0
	v_cndmask_b32_e32 v4, v4, v3, vcc
	v_add_f32_e32 v3, v4, v4
	v_div_scale_f32 v10, s[4:5], v3, v3, v7
	v_rcp_f32_e32 v11, v10
	v_div_scale_f32 v7, vcc, v7, v3, v7
	s_brev_b32 s4, -2
	v_fma_f32 v12, -v10, v11, 1.0
	v_fmac_f32_e32 v11, v12, v11
	v_mul_f32_e32 v12, v7, v11
	v_fma_f32 v13, -v10, v12, v7
	v_fmac_f32_e32 v12, v13, v11
	v_fma_f32 v7, -v10, v12, v7
	v_div_fmas_f32 v7, v7, v11, v12
	v_div_fixup_f32 v3, v7, v3, |v6|
	v_bfi_b32 v4, s4, v4, v6
.LBB235_178:
	s_or_b64 exec, exec, s[22:23]
                                        ; implicit-def: $vgpr6
	s_and_saveexec_b64 s[4:5], s[2:3]
	s_xor_b64 s[2:3], exec, s[4:5]
	s_cbranch_execz .LBB235_180
; %bb.179:
	v_mul_f32_e32 v6, 0.5, v3
	v_mul_f32_e32 v10, 0.5, v4
	v_cndmask_b32_e64 v7, v3, v6, s[20:21]
	v_cndmask_b32_e64 v6, v4, v10, s[20:21]
                                        ; implicit-def: $vgpr3
                                        ; implicit-def: $vgpr4
	s_andn2_saveexec_b64 s[2:3], s[2:3]
	s_cbranch_execnz .LBB235_181
	s_branch .LBB235_182
.LBB235_180:
	s_andn2_saveexec_b64 s[2:3], s[2:3]
.LBB235_181:
	v_add_f32_e32 v7, v3, v3
	v_add_f32_e32 v6, v4, v4
.LBB235_182:
	s_or_b64 exec, exec, s[2:3]
.LBB235_183:
	s_andn2_saveexec_b64 s[2:3], s[18:19]
	s_cbranch_execz .LBB235_189
; %bb.184:
	v_and_b32_e32 v3, 0x8000, v3
	v_cmp_ne_u32_e32 vcc, 0, v3
	v_sub_f32_e32 v3, v6, v6
	s_and_saveexec_b64 s[4:5], vcc
	s_xor_b64 s[4:5], exec, s[4:5]
; %bb.185:
	s_brev_b32 s7, -2
	v_and_b32_e32 v3, 0x7fffffff, v3
	v_bfi_b32 v6, s7, v7, v6
	v_mov_b32_e32 v7, v3
                                        ; implicit-def: $vgpr3
; %bb.186:
	s_andn2_saveexec_b64 s[4:5], s[4:5]
; %bb.187:
	s_brev_b32 s7, -2
	v_bfi_b32 v6, s7, v3, v6
; %bb.188:
	s_or_b64 exec, exec, s[4:5]
.LBB235_189:
	s_or_b64 exec, exec, s[2:3]
.LBB235_190:
	s_andn2_saveexec_b64 s[2:3], s[16:17]
	s_cbranch_execz .LBB235_192
; %bb.191:
	v_sub_f32_e32 v3, v6, v6
	v_div_scale_f32 v4, vcc, v3, v3, v3
	v_rcp_f32_e32 v6, v4
	s_nop 0
	v_fma_f32 v10, -v4, v6, 1.0
	v_fmac_f32_e32 v6, v10, v6
	v_mul_f32_e32 v10, v4, v6
	v_fma_f32 v11, -v4, v10, v4
	v_fmac_f32_e32 v10, v11, v6
	v_fma_f32 v4, -v4, v10, v4
	v_div_fmas_f32 v4, v4, v6, v10
	v_div_fixup_f32 v6, v4, v3, v3
.LBB235_192:
	s_or_b64 exec, exec, s[2:3]
.LBB235_193:
	s_or_b64 exec, exec, s[14:15]
.LBB235_194:
	s_or_b64 exec, exec, s[12:13]
	v_cvt_f16_f32_e32 v3, v7
	v_cvt_f16_f32_sdwa v4, v6 dst_sel:WORD_1 dst_unused:UNUSED_PAD src0_sel:DWORD
	s_nop 0
	v_or_b32_e32 v10, v4, v3
.LBB235_195:
	s_or_b64 exec, exec, s[10:11]
	v_or_b32_e32 v3, 0x200, v0
	v_cmp_gt_i32_e32 vcc, s24, v3
                                        ; implicit-def: $vgpr6
	s_and_saveexec_b64 s[10:11], vcc
	s_cbranch_execz .LBB235_227
; %bb.196:
	v_cvt_f32_f16_sdwa v6, v5 dst_sel:DWORD dst_unused:UNUSED_PAD src0_sel:WORD_1
	v_mov_b32_e32 v7, 0
	v_cmp_neq_f16_e32 vcc, 0, v5
	v_cmp_neq_f16_sdwa s[2:3], v5, v7 src0_sel:WORD_1 src1_sel:DWORD
	s_or_b64 s[2:3], vcc, s[2:3]
	s_and_saveexec_b64 s[12:13], s[2:3]
	s_cbranch_execz .LBB235_226
; %bb.197:
	v_mov_b32_e32 v7, 0x7f800000
	v_cmp_neq_f32_e64 s[2:3], |v6|, v7
	s_and_saveexec_b64 s[14:15], s[2:3]
	s_cbranch_execz .LBB235_225
; %bb.198:
	v_cvt_f32_f16_e32 v7, v5
	v_cmp_o_f16_e32 vcc, v5, v5
	s_and_saveexec_b64 s[2:3], vcc
	s_xor_b64 s[16:17], exec, s[2:3]
	s_cbranch_execz .LBB235_222
; %bb.199:
	s_mov_b32 s2, 0x7f800000
	v_cmp_neq_f32_e64 s[2:3], |v7|, s2
	s_and_saveexec_b64 s[4:5], s[2:3]
	s_xor_b64 s[18:19], exec, s[4:5]
	s_cbranch_execz .LBB235_215
; %bb.200:
	v_max_f32_e64 v3, |v6|, |v6|
	v_max_f32_e64 v4, |v7|, |v7|
	v_max_f32_e32 v3, v4, v3
	s_mov_b32 s2, 0x7ed413cb
	v_cmp_nle_f32_e64 s[2:3], s2, v3
                                        ; implicit-def: $sgpr20_sgpr21
	s_and_saveexec_b64 s[4:5], s[2:3]
	s_xor_b64 s[4:5], exec, s[4:5]
	s_cbranch_execz .LBB235_204
; %bb.201:
	s_mov_b32 s7, 0x1000000
	v_cmp_le_f32_e64 s[20:21], |v7|, s7
	v_cmp_le_f32_e64 s[22:23], |v6|, s7
	s_and_b64 s[26:27], s[20:21], s[22:23]
	s_mov_b64 s[20:21], 0
	s_and_saveexec_b64 s[22:23], s[26:27]
; %bb.202:
	s_mov_b64 s[20:21], exec
	v_pk_mul_f32 v[6:7], v[6:7], 4.0 op_sel_hi:[1,0]
; %bb.203:
	s_or_b64 exec, exec, s[22:23]
.LBB235_204:
	s_andn2_saveexec_b64 s[4:5], s[4:5]
; %bb.205:
	s_mov_b32 s22, 0x3e800000
	v_pk_mul_f32 v[6:7], v[6:7], s[22:23] op_sel_hi:[1,0]
	s_andn2_b64 s[20:21], s[20:21], exec
; %bb.206:
	s_or_b64 exec, exec, s[4:5]
	v_max_f32_e64 v3, |v6|, |v6|
	v_max_f32_e64 v4, |v7|, |v7|
	v_max_f32_e32 v3, v4, v3
	v_cvt_f64_f32_e32 v[4:5], v3
	v_frexp_exp_i32_f64_e32 v4, v[4:5]
	v_sub_u32_e32 v5, 0, v4
	v_ldexp_f32 v11, |v7|, v5
	v_ldexp_f32 v5, |v6|, v5
	v_mul_f32_e32 v5, v5, v5
	v_fmac_f32_e32 v5, v11, v11
	v_sqrt_f32_e32 v5, v5
	s_mov_b32 s4, 0x7f800000
	v_cmp_neq_f32_e64 s[4:5], s4, v3
	v_cmp_le_f32_e32 vcc, 0, v7
	v_ldexp_f32 v4, v5, v4
	v_mov_b32_e32 v5, 0x7f800000
	v_cndmask_b32_e64 v5, v5, v4, s[4:5]
                                        ; implicit-def: $vgpr4
                                        ; implicit-def: $vgpr3
	s_and_saveexec_b64 s[4:5], vcc
	s_xor_b64 s[22:23], exec, s[4:5]
	s_cbranch_execz .LBB235_208
; %bb.207:
	v_add_f32_e32 v3, v7, v5
	v_mul_f32_e32 v3, 0.5, v3
	s_mov_b32 s4, 0xf800000
	v_mul_f32_e32 v4, 0x4f800000, v3
	v_cmp_gt_f32_e32 vcc, s4, v3
	s_nop 1
	v_cndmask_b32_e32 v3, v3, v4, vcc
	v_sqrt_f32_e32 v4, v3
	s_nop 0
	v_add_u32_e32 v5, -1, v4
	v_fma_f32 v7, -v5, v4, v3
	v_cmp_ge_f32_e64 s[4:5], 0, v7
	v_add_u32_e32 v7, 1, v4
	s_nop 0
	v_cndmask_b32_e64 v5, v4, v5, s[4:5]
	v_fma_f32 v4, -v7, v4, v3
	v_cmp_lt_f32_e64 s[4:5], 0, v4
	s_nop 1
	v_cndmask_b32_e64 v4, v5, v7, s[4:5]
	v_mul_f32_e32 v5, 0x37800000, v4
	v_cndmask_b32_e32 v4, v4, v5, vcc
	v_mov_b32_e32 v5, 0x260
	v_cmp_class_f32_e32 vcc, v3, v5
	s_nop 1
	v_cndmask_b32_e32 v3, v4, v3, vcc
	v_add_f32_e32 v4, v3, v3
	v_div_scale_f32 v5, s[4:5], v4, v4, v6
	v_rcp_f32_e32 v7, v5
	s_nop 0
	v_fma_f32 v11, -v5, v7, 1.0
	v_fmac_f32_e32 v7, v11, v7
	v_div_scale_f32 v11, vcc, v6, v4, v6
	v_mul_f32_e32 v12, v11, v7
	v_fma_f32 v13, -v5, v12, v11
	v_fmac_f32_e32 v12, v13, v7
	v_fma_f32 v5, -v5, v12, v11
	v_div_fmas_f32 v5, v5, v7, v12
	v_div_fixup_f32 v4, v5, v4, v6
                                        ; implicit-def: $vgpr5
                                        ; implicit-def: $vgpr6_vgpr7
	s_andn2_saveexec_b64 s[22:23], s[22:23]
	s_cbranch_execz .LBB235_210
	s_branch .LBB235_209
.LBB235_208:
	s_andn2_saveexec_b64 s[22:23], s[22:23]
	s_cbranch_execz .LBB235_210
.LBB235_209:
	v_sub_f32_e32 v3, v5, v7
	v_mul_f32_e32 v3, 0.5, v3
	s_mov_b32 s4, 0xf800000
	v_mul_f32_e32 v4, 0x4f800000, v3
	v_cmp_gt_f32_e32 vcc, s4, v3
	s_nop 1
	v_cndmask_b32_e32 v3, v3, v4, vcc
	v_sqrt_f32_e32 v4, v3
	s_nop 0
	v_add_u32_e32 v5, -1, v4
	v_fma_f32 v7, -v5, v4, v3
	v_cmp_ge_f32_e64 s[4:5], 0, v7
	v_add_u32_e32 v7, 1, v4
	s_nop 0
	v_cndmask_b32_e64 v5, v4, v5, s[4:5]
	v_fma_f32 v4, -v7, v4, v3
	v_cmp_lt_f32_e64 s[4:5], 0, v4
	s_nop 1
	v_cndmask_b32_e64 v4, v5, v7, s[4:5]
	v_mul_f32_e32 v5, 0x37800000, v4
	v_cndmask_b32_e32 v4, v4, v5, vcc
	v_mov_b32_e32 v5, 0x260
	v_cmp_class_f32_e32 vcc, v3, v5
	v_and_b32_e32 v5, 0x7fffffff, v6
	s_nop 0
	v_cndmask_b32_e32 v4, v4, v3, vcc
	v_add_f32_e32 v3, v4, v4
	v_div_scale_f32 v7, s[4:5], v3, v3, v5
	v_rcp_f32_e32 v11, v7
	v_div_scale_f32 v5, vcc, v5, v3, v5
	s_brev_b32 s4, -2
	v_fma_f32 v12, -v7, v11, 1.0
	v_fmac_f32_e32 v11, v12, v11
	v_mul_f32_e32 v12, v5, v11
	v_fma_f32 v13, -v7, v12, v5
	v_fmac_f32_e32 v12, v13, v11
	v_fma_f32 v5, -v7, v12, v5
	v_div_fmas_f32 v5, v5, v11, v12
	v_div_fixup_f32 v3, v5, v3, |v6|
	v_bfi_b32 v4, s4, v4, v6
.LBB235_210:
	s_or_b64 exec, exec, s[22:23]
                                        ; implicit-def: $vgpr6
	s_and_saveexec_b64 s[4:5], s[2:3]
	s_xor_b64 s[2:3], exec, s[4:5]
	s_cbranch_execz .LBB235_212
; %bb.211:
	v_mul_f32_e32 v5, 0.5, v3
	v_mul_f32_e32 v6, 0.5, v4
	v_cndmask_b32_e64 v7, v3, v5, s[20:21]
	v_cndmask_b32_e64 v6, v4, v6, s[20:21]
                                        ; implicit-def: $vgpr3
                                        ; implicit-def: $vgpr4
	s_andn2_saveexec_b64 s[2:3], s[2:3]
	s_cbranch_execnz .LBB235_213
	s_branch .LBB235_214
.LBB235_212:
	s_andn2_saveexec_b64 s[2:3], s[2:3]
.LBB235_213:
	v_add_f32_e32 v7, v3, v3
	v_add_f32_e32 v6, v4, v4
.LBB235_214:
	s_or_b64 exec, exec, s[2:3]
                                        ; implicit-def: $vgpr5
.LBB235_215:
	s_andn2_saveexec_b64 s[2:3], s[18:19]
	s_cbranch_execz .LBB235_221
; %bb.216:
	v_and_b32_e32 v3, 0x8000, v5
	v_cmp_ne_u32_e32 vcc, 0, v3
	v_sub_f32_e32 v3, v6, v6
	s_and_saveexec_b64 s[4:5], vcc
	s_xor_b64 s[4:5], exec, s[4:5]
; %bb.217:
	s_brev_b32 s7, -2
	v_and_b32_e32 v3, 0x7fffffff, v3
	v_bfi_b32 v6, s7, v7, v6
	v_mov_b32_e32 v7, v3
                                        ; implicit-def: $vgpr3
; %bb.218:
	s_andn2_saveexec_b64 s[4:5], s[4:5]
; %bb.219:
	s_brev_b32 s7, -2
	v_bfi_b32 v6, s7, v3, v6
; %bb.220:
	s_or_b64 exec, exec, s[4:5]
.LBB235_221:
	s_or_b64 exec, exec, s[2:3]
.LBB235_222:
	s_andn2_saveexec_b64 s[2:3], s[16:17]
	s_cbranch_execz .LBB235_224
; %bb.223:
	v_sub_f32_e32 v3, v6, v6
	v_div_scale_f32 v4, vcc, v3, v3, v3
	v_rcp_f32_e32 v5, v4
	s_nop 0
	v_fma_f32 v6, -v4, v5, 1.0
	v_fmac_f32_e32 v5, v6, v5
	v_mul_f32_e32 v6, v4, v5
	v_fma_f32 v11, -v4, v6, v4
	v_fmac_f32_e32 v6, v11, v5
	v_fma_f32 v4, -v4, v6, v4
	v_div_fmas_f32 v4, v4, v5, v6
	v_div_fixup_f32 v6, v4, v3, v3
.LBB235_224:
	s_or_b64 exec, exec, s[2:3]
.LBB235_225:
	s_or_b64 exec, exec, s[14:15]
.LBB235_226:
	s_or_b64 exec, exec, s[12:13]
	v_cvt_f16_f32_e32 v3, v7
	v_cvt_f16_f32_sdwa v4, v6 dst_sel:WORD_1 dst_unused:UNUSED_PAD src0_sel:DWORD
	s_nop 0
	v_or_b32_e32 v6, v4, v3
.LBB235_227:
	s_or_b64 exec, exec, s[10:11]
	v_or_b32_e32 v3, 0x300, v0
	v_cmp_gt_i32_e32 vcc, s24, v3
                                        ; implicit-def: $vgpr4
	s_and_saveexec_b64 s[10:11], vcc
	s_cbranch_execz .LBB235_240
; %bb.228:
	v_cvt_f32_f16_sdwa v4, v1 dst_sel:DWORD dst_unused:UNUSED_PAD src0_sel:WORD_1
	v_mov_b32_e32 v5, 0
	v_cmp_neq_f16_e32 vcc, 0, v1
	v_cmp_neq_f16_sdwa s[2:3], v1, v5 src0_sel:WORD_1 src1_sel:DWORD
	s_or_b64 s[2:3], vcc, s[2:3]
	s_and_saveexec_b64 s[12:13], s[2:3]
	s_cbranch_execz .LBB235_262
; %bb.229:
	v_mov_b32_e32 v5, 0x7f800000
	v_cmp_neq_f32_e64 s[2:3], |v4|, v5
	s_and_saveexec_b64 s[14:15], s[2:3]
	s_cbranch_execz .LBB235_261
; %bb.230:
	v_cvt_f32_f16_e32 v5, v1
	v_cmp_o_f16_e32 vcc, v1, v1
	s_and_saveexec_b64 s[2:3], vcc
	s_xor_b64 s[16:17], exec, s[2:3]
	s_cbranch_execz .LBB235_258
; %bb.231:
	s_mov_b32 s2, 0x7f800000
	v_cmp_neq_f32_e64 s[2:3], |v5|, s2
	s_and_saveexec_b64 s[4:5], s[2:3]
	s_xor_b64 s[18:19], exec, s[4:5]
	s_cbranch_execz .LBB235_251
; %bb.232:
	v_max_f32_e64 v1, |v4|, |v4|
	v_max_f32_e64 v3, |v5|, |v5|
	v_max_f32_e32 v1, v3, v1
	s_mov_b32 s2, 0x7ed413cb
	v_cmp_nle_f32_e64 s[2:3], s2, v1
                                        ; implicit-def: $sgpr20_sgpr21
	s_and_saveexec_b64 s[4:5], s[2:3]
	s_xor_b64 s[4:5], exec, s[4:5]
	s_cbranch_execz .LBB235_236
; %bb.233:
	s_mov_b32 s7, 0x1000000
	v_cmp_le_f32_e64 s[20:21], |v5|, s7
	v_cmp_le_f32_e64 s[22:23], |v4|, s7
	s_and_b64 s[26:27], s[20:21], s[22:23]
	s_mov_b64 s[20:21], 0
	s_and_saveexec_b64 s[22:23], s[26:27]
; %bb.234:
	s_mov_b64 s[20:21], exec
	v_pk_mul_f32 v[4:5], v[4:5], 4.0 op_sel_hi:[1,0]
; %bb.235:
	s_or_b64 exec, exec, s[22:23]
.LBB235_236:
	s_andn2_saveexec_b64 s[4:5], s[4:5]
; %bb.237:
	s_mov_b32 s22, 0x3e800000
	v_pk_mul_f32 v[4:5], v[4:5], s[22:23] op_sel_hi:[1,0]
	s_andn2_b64 s[20:21], s[20:21], exec
; %bb.238:
	s_or_b64 exec, exec, s[4:5]
	v_max_f32_e64 v1, |v4|, |v4|
	v_max_f32_e64 v3, |v5|, |v5|
	v_max_f32_e32 v1, v3, v1
	v_cvt_f64_f32_e32 v[12:13], v1
	v_frexp_exp_i32_f64_e32 v3, v[12:13]
	v_sub_u32_e32 v7, 0, v3
	v_ldexp_f32 v11, |v5|, v7
	v_ldexp_f32 v7, |v4|, v7
	v_mul_f32_e32 v7, v7, v7
	v_fmac_f32_e32 v7, v11, v11
	v_sqrt_f32_e32 v7, v7
	s_mov_b32 s4, 0x7f800000
	v_cmp_neq_f32_e64 s[4:5], s4, v1
	v_cmp_le_f32_e32 vcc, 0, v5
	v_ldexp_f32 v3, v7, v3
	v_mov_b32_e32 v7, 0x7f800000
	v_cndmask_b32_e64 v7, v7, v3, s[4:5]
                                        ; implicit-def: $vgpr3
                                        ; implicit-def: $vgpr1
	s_and_saveexec_b64 s[4:5], vcc
	s_xor_b64 s[22:23], exec, s[4:5]
	s_cbranch_execz .LBB235_244
; %bb.239:
	v_add_f32_e32 v1, v5, v7
	v_mul_f32_e32 v1, 0.5, v1
	s_mov_b32 s4, 0xf800000
	v_mul_f32_e32 v3, 0x4f800000, v1
	v_cmp_gt_f32_e32 vcc, s4, v1
	s_nop 1
	v_cndmask_b32_e32 v1, v1, v3, vcc
	v_sqrt_f32_e32 v3, v1
	s_nop 0
	v_add_u32_e32 v5, -1, v3
	v_fma_f32 v7, -v5, v3, v1
	v_cmp_ge_f32_e64 s[4:5], 0, v7
	v_add_u32_e32 v7, 1, v3
	s_nop 0
	v_cndmask_b32_e64 v5, v3, v5, s[4:5]
	v_fma_f32 v3, -v7, v3, v1
	v_cmp_lt_f32_e64 s[4:5], 0, v3
	s_nop 1
	v_cndmask_b32_e64 v3, v5, v7, s[4:5]
	v_mul_f32_e32 v5, 0x37800000, v3
	v_cndmask_b32_e32 v3, v3, v5, vcc
	v_mov_b32_e32 v5, 0x260
	v_cmp_class_f32_e32 vcc, v1, v5
	s_nop 1
	v_cndmask_b32_e32 v1, v3, v1, vcc
	v_add_f32_e32 v3, v1, v1
	v_div_scale_f32 v5, s[4:5], v3, v3, v4
	v_rcp_f32_e32 v7, v5
	s_nop 0
	v_fma_f32 v11, -v5, v7, 1.0
	v_fmac_f32_e32 v7, v11, v7
	v_div_scale_f32 v11, vcc, v4, v3, v4
	v_mul_f32_e32 v12, v11, v7
	v_fma_f32 v13, -v5, v12, v11
	v_fmac_f32_e32 v12, v13, v7
	v_fma_f32 v5, -v5, v12, v11
	v_div_fmas_f32 v5, v5, v7, v12
	v_div_fixup_f32 v3, v5, v3, v4
                                        ; implicit-def: $vgpr7
                                        ; implicit-def: $vgpr4_vgpr5
	s_andn2_saveexec_b64 s[22:23], s[22:23]
	s_cbranch_execz .LBB235_246
	s_branch .LBB235_245
.LBB235_240:
	s_or_b64 exec, exec, s[10:11]
	s_and_saveexec_b64 s[2:3], s[0:1]
	s_xor_b64 s[0:1], exec, s[2:3]
	s_cbranch_execz .LBB235_263
.LBB235_241:
	v_mov_b32_e32 v3, 0
	v_lshl_add_u64 v[0:1], v[2:3], 2, s[8:9]
	global_store_dword v[0:1], v8, off
	v_mov_b32_e32 v0, v9
	s_or_b64 exec, exec, s[0:1]
	v_cmp_gt_i32_e32 vcc, s24, v0
	s_and_saveexec_b64 s[0:1], vcc
	s_cbranch_execnz .LBB235_264
.LBB235_242:
	s_or_b64 exec, exec, s[0:1]
	v_cmp_gt_i32_e32 vcc, s24, v0
	s_and_saveexec_b64 s[0:1], vcc
	s_cbranch_execz .LBB235_265
.LBB235_243:
	v_add_u32_e32 v2, s6, v0
	v_mov_b32_e32 v3, 0
	v_lshl_add_u64 v[2:3], v[2:3], 2, s[8:9]
	v_add_u32_e32 v0, 0x100, v0
	global_store_dword v[2:3], v6, off
	s_or_b64 exec, exec, s[0:1]
	v_cmp_gt_i32_e32 vcc, s24, v0
	s_and_saveexec_b64 s[0:1], vcc
	s_cbranch_execnz .LBB235_266
	s_branch .LBB235_267
.LBB235_244:
	s_andn2_saveexec_b64 s[22:23], s[22:23]
	s_cbranch_execz .LBB235_246
.LBB235_245:
	v_sub_f32_e32 v1, v7, v5
	v_mul_f32_e32 v1, 0.5, v1
	s_mov_b32 s4, 0xf800000
	v_mul_f32_e32 v3, 0x4f800000, v1
	v_cmp_gt_f32_e32 vcc, s4, v1
	s_nop 1
	v_cndmask_b32_e32 v1, v1, v3, vcc
	v_sqrt_f32_e32 v3, v1
	s_nop 0
	v_add_u32_e32 v5, -1, v3
	v_fma_f32 v7, -v5, v3, v1
	v_cmp_ge_f32_e64 s[4:5], 0, v7
	v_add_u32_e32 v7, 1, v3
	s_nop 0
	v_cndmask_b32_e64 v5, v3, v5, s[4:5]
	v_fma_f32 v3, -v7, v3, v1
	v_cmp_lt_f32_e64 s[4:5], 0, v3
	s_nop 1
	v_cndmask_b32_e64 v3, v5, v7, s[4:5]
	v_mul_f32_e32 v5, 0x37800000, v3
	v_cndmask_b32_e32 v3, v3, v5, vcc
	v_mov_b32_e32 v5, 0x260
	v_cmp_class_f32_e32 vcc, v1, v5
	v_and_b32_e32 v5, 0x7fffffff, v4
	s_nop 0
	v_cndmask_b32_e32 v3, v3, v1, vcc
	v_add_f32_e32 v1, v3, v3
	v_div_scale_f32 v7, s[4:5], v1, v1, v5
	v_rcp_f32_e32 v11, v7
	v_div_scale_f32 v5, vcc, v5, v1, v5
	s_brev_b32 s4, -2
	v_fma_f32 v12, -v7, v11, 1.0
	v_fmac_f32_e32 v11, v12, v11
	v_mul_f32_e32 v12, v5, v11
	v_fma_f32 v13, -v7, v12, v5
	v_fmac_f32_e32 v12, v13, v11
	v_fma_f32 v5, -v7, v12, v5
	v_div_fmas_f32 v5, v5, v11, v12
	v_div_fixup_f32 v1, v5, v1, |v4|
	v_bfi_b32 v3, s4, v3, v4
.LBB235_246:
	s_or_b64 exec, exec, s[22:23]
                                        ; implicit-def: $vgpr4
	s_and_saveexec_b64 s[4:5], s[2:3]
	s_xor_b64 s[2:3], exec, s[4:5]
	s_cbranch_execz .LBB235_248
; %bb.247:
	v_mul_f32_e32 v4, 0.5, v1
	v_mul_f32_e32 v7, 0.5, v3
	v_cndmask_b32_e64 v5, v1, v4, s[20:21]
	v_cndmask_b32_e64 v4, v3, v7, s[20:21]
                                        ; implicit-def: $vgpr1
                                        ; implicit-def: $vgpr3
	s_andn2_saveexec_b64 s[2:3], s[2:3]
	s_cbranch_execnz .LBB235_249
	s_branch .LBB235_250
.LBB235_248:
	s_andn2_saveexec_b64 s[2:3], s[2:3]
.LBB235_249:
	v_add_f32_e32 v5, v1, v1
	v_add_f32_e32 v4, v3, v3
.LBB235_250:
	s_or_b64 exec, exec, s[2:3]
                                        ; implicit-def: $vgpr1
.LBB235_251:
	s_andn2_saveexec_b64 s[2:3], s[18:19]
	s_cbranch_execz .LBB235_257
; %bb.252:
	v_and_b32_e32 v1, 0x8000, v1
	v_cmp_ne_u32_e32 vcc, 0, v1
	v_sub_f32_e32 v1, v4, v4
	s_and_saveexec_b64 s[4:5], vcc
	s_xor_b64 s[4:5], exec, s[4:5]
; %bb.253:
	s_brev_b32 s7, -2
	v_and_b32_e32 v1, 0x7fffffff, v1
	v_bfi_b32 v4, s7, v5, v4
	v_mov_b32_e32 v5, v1
                                        ; implicit-def: $vgpr1
; %bb.254:
	s_andn2_saveexec_b64 s[4:5], s[4:5]
; %bb.255:
	s_brev_b32 s7, -2
	v_bfi_b32 v4, s7, v1, v4
; %bb.256:
	s_or_b64 exec, exec, s[4:5]
.LBB235_257:
	s_or_b64 exec, exec, s[2:3]
.LBB235_258:
	s_andn2_saveexec_b64 s[2:3], s[16:17]
	s_cbranch_execz .LBB235_260
; %bb.259:
	v_sub_f32_e32 v1, v4, v4
	v_div_scale_f32 v3, vcc, v1, v1, v1
	v_rcp_f32_e32 v4, v3
	s_nop 0
	v_fma_f32 v7, -v3, v4, 1.0
	v_fmac_f32_e32 v4, v7, v4
	v_mul_f32_e32 v7, v3, v4
	v_fma_f32 v11, -v3, v7, v3
	v_fmac_f32_e32 v7, v11, v4
	v_fma_f32 v3, -v3, v7, v3
	v_div_fmas_f32 v3, v3, v4, v7
	v_div_fixup_f32 v4, v3, v1, v1
.LBB235_260:
	s_or_b64 exec, exec, s[2:3]
.LBB235_261:
	s_or_b64 exec, exec, s[14:15]
.LBB235_262:
	s_or_b64 exec, exec, s[12:13]
	v_cvt_f16_f32_e32 v1, v5
	v_cvt_f16_f32_sdwa v3, v4 dst_sel:WORD_1 dst_unused:UNUSED_PAD src0_sel:DWORD
	s_nop 0
	v_or_b32_e32 v4, v3, v1
	s_or_b64 exec, exec, s[10:11]
	s_and_saveexec_b64 s[2:3], s[0:1]
	s_xor_b64 s[0:1], exec, s[2:3]
	s_cbranch_execnz .LBB235_241
.LBB235_263:
	s_or_b64 exec, exec, s[0:1]
	v_cmp_gt_i32_e32 vcc, s24, v0
	s_and_saveexec_b64 s[0:1], vcc
	s_cbranch_execz .LBB235_242
.LBB235_264:
	v_add_u32_e32 v2, s6, v0
	v_mov_b32_e32 v3, 0
	v_lshl_add_u64 v[2:3], v[2:3], 2, s[8:9]
	v_add_u32_e32 v0, 0x100, v0
	global_store_dword v[2:3], v10, off
	s_or_b64 exec, exec, s[0:1]
	v_cmp_gt_i32_e32 vcc, s24, v0
	s_and_saveexec_b64 s[0:1], vcc
	s_cbranch_execnz .LBB235_243
.LBB235_265:
	s_or_b64 exec, exec, s[0:1]
	v_cmp_gt_i32_e32 vcc, s24, v0
	s_and_saveexec_b64 s[0:1], vcc
	s_cbranch_execz .LBB235_267
.LBB235_266:
	v_add_u32_e32 v0, s6, v0
	v_mov_b32_e32 v1, 0
	v_lshl_add_u64 v[0:1], v[0:1], 2, s[8:9]
	global_store_dword v[0:1], v4, off
.LBB235_267:
	s_endpgm
	.section	.rodata,"a",@progbits
	.p2align	6, 0x0
	.amdhsa_kernel _ZN2at6native29vectorized_elementwise_kernelILi8EZZZNS0_16sqrt_kernel_cudaERNS_18TensorIteratorBaseEENKUlvE_clEvENKUlvE1_clEvEUlN3c107complexINS6_4HalfEEEE_St5arrayIPcLm2EEEEviT0_T1_
		.amdhsa_group_segment_fixed_size 0
		.amdhsa_private_segment_fixed_size 0
		.amdhsa_kernarg_size 24
		.amdhsa_user_sgpr_count 2
		.amdhsa_user_sgpr_dispatch_ptr 0
		.amdhsa_user_sgpr_queue_ptr 0
		.amdhsa_user_sgpr_kernarg_segment_ptr 1
		.amdhsa_user_sgpr_dispatch_id 0
		.amdhsa_user_sgpr_kernarg_preload_length 0
		.amdhsa_user_sgpr_kernarg_preload_offset 0
		.amdhsa_user_sgpr_private_segment_size 0
		.amdhsa_uses_dynamic_stack 0
		.amdhsa_enable_private_segment 0
		.amdhsa_system_sgpr_workgroup_id_x 1
		.amdhsa_system_sgpr_workgroup_id_y 0
		.amdhsa_system_sgpr_workgroup_id_z 0
		.amdhsa_system_sgpr_workgroup_info 0
		.amdhsa_system_vgpr_workitem_id 0
		.amdhsa_next_free_vgpr 17
		.amdhsa_next_free_sgpr 28
		.amdhsa_accum_offset 20
		.amdhsa_reserve_vcc 1
		.amdhsa_float_round_mode_32 0
		.amdhsa_float_round_mode_16_64 0
		.amdhsa_float_denorm_mode_32 3
		.amdhsa_float_denorm_mode_16_64 3
		.amdhsa_dx10_clamp 1
		.amdhsa_ieee_mode 1
		.amdhsa_fp16_overflow 0
		.amdhsa_tg_split 0
		.amdhsa_exception_fp_ieee_invalid_op 0
		.amdhsa_exception_fp_denorm_src 0
		.amdhsa_exception_fp_ieee_div_zero 0
		.amdhsa_exception_fp_ieee_overflow 0
		.amdhsa_exception_fp_ieee_underflow 0
		.amdhsa_exception_fp_ieee_inexact 0
		.amdhsa_exception_int_div_zero 0
	.end_amdhsa_kernel
	.section	.text._ZN2at6native29vectorized_elementwise_kernelILi8EZZZNS0_16sqrt_kernel_cudaERNS_18TensorIteratorBaseEENKUlvE_clEvENKUlvE1_clEvEUlN3c107complexINS6_4HalfEEEE_St5arrayIPcLm2EEEEviT0_T1_,"axG",@progbits,_ZN2at6native29vectorized_elementwise_kernelILi8EZZZNS0_16sqrt_kernel_cudaERNS_18TensorIteratorBaseEENKUlvE_clEvENKUlvE1_clEvEUlN3c107complexINS6_4HalfEEEE_St5arrayIPcLm2EEEEviT0_T1_,comdat
.Lfunc_end235:
	.size	_ZN2at6native29vectorized_elementwise_kernelILi8EZZZNS0_16sqrt_kernel_cudaERNS_18TensorIteratorBaseEENKUlvE_clEvENKUlvE1_clEvEUlN3c107complexINS6_4HalfEEEE_St5arrayIPcLm2EEEEviT0_T1_, .Lfunc_end235-_ZN2at6native29vectorized_elementwise_kernelILi8EZZZNS0_16sqrt_kernel_cudaERNS_18TensorIteratorBaseEENKUlvE_clEvENKUlvE1_clEvEUlN3c107complexINS6_4HalfEEEE_St5arrayIPcLm2EEEEviT0_T1_
                                        ; -- End function
	.set _ZN2at6native29vectorized_elementwise_kernelILi8EZZZNS0_16sqrt_kernel_cudaERNS_18TensorIteratorBaseEENKUlvE_clEvENKUlvE1_clEvEUlN3c107complexINS6_4HalfEEEE_St5arrayIPcLm2EEEEviT0_T1_.num_vgpr, 17
	.set _ZN2at6native29vectorized_elementwise_kernelILi8EZZZNS0_16sqrt_kernel_cudaERNS_18TensorIteratorBaseEENKUlvE_clEvENKUlvE1_clEvEUlN3c107complexINS6_4HalfEEEE_St5arrayIPcLm2EEEEviT0_T1_.num_agpr, 0
	.set _ZN2at6native29vectorized_elementwise_kernelILi8EZZZNS0_16sqrt_kernel_cudaERNS_18TensorIteratorBaseEENKUlvE_clEvENKUlvE1_clEvEUlN3c107complexINS6_4HalfEEEE_St5arrayIPcLm2EEEEviT0_T1_.numbered_sgpr, 28
	.set _ZN2at6native29vectorized_elementwise_kernelILi8EZZZNS0_16sqrt_kernel_cudaERNS_18TensorIteratorBaseEENKUlvE_clEvENKUlvE1_clEvEUlN3c107complexINS6_4HalfEEEE_St5arrayIPcLm2EEEEviT0_T1_.num_named_barrier, 0
	.set _ZN2at6native29vectorized_elementwise_kernelILi8EZZZNS0_16sqrt_kernel_cudaERNS_18TensorIteratorBaseEENKUlvE_clEvENKUlvE1_clEvEUlN3c107complexINS6_4HalfEEEE_St5arrayIPcLm2EEEEviT0_T1_.private_seg_size, 0
	.set _ZN2at6native29vectorized_elementwise_kernelILi8EZZZNS0_16sqrt_kernel_cudaERNS_18TensorIteratorBaseEENKUlvE_clEvENKUlvE1_clEvEUlN3c107complexINS6_4HalfEEEE_St5arrayIPcLm2EEEEviT0_T1_.uses_vcc, 1
	.set _ZN2at6native29vectorized_elementwise_kernelILi8EZZZNS0_16sqrt_kernel_cudaERNS_18TensorIteratorBaseEENKUlvE_clEvENKUlvE1_clEvEUlN3c107complexINS6_4HalfEEEE_St5arrayIPcLm2EEEEviT0_T1_.uses_flat_scratch, 0
	.set _ZN2at6native29vectorized_elementwise_kernelILi8EZZZNS0_16sqrt_kernel_cudaERNS_18TensorIteratorBaseEENKUlvE_clEvENKUlvE1_clEvEUlN3c107complexINS6_4HalfEEEE_St5arrayIPcLm2EEEEviT0_T1_.has_dyn_sized_stack, 0
	.set _ZN2at6native29vectorized_elementwise_kernelILi8EZZZNS0_16sqrt_kernel_cudaERNS_18TensorIteratorBaseEENKUlvE_clEvENKUlvE1_clEvEUlN3c107complexINS6_4HalfEEEE_St5arrayIPcLm2EEEEviT0_T1_.has_recursion, 0
	.set _ZN2at6native29vectorized_elementwise_kernelILi8EZZZNS0_16sqrt_kernel_cudaERNS_18TensorIteratorBaseEENKUlvE_clEvENKUlvE1_clEvEUlN3c107complexINS6_4HalfEEEE_St5arrayIPcLm2EEEEviT0_T1_.has_indirect_call, 0
	.section	.AMDGPU.csdata,"",@progbits
; Kernel info:
; codeLenInByte = 9340
; TotalNumSgprs: 34
; NumVgprs: 17
; NumAgprs: 0
; TotalNumVgprs: 17
; ScratchSize: 0
; MemoryBound: 0
; FloatMode: 240
; IeeeMode: 1
; LDSByteSize: 0 bytes/workgroup (compile time only)
; SGPRBlocks: 4
; VGPRBlocks: 2
; NumSGPRsForWavesPerEU: 34
; NumVGPRsForWavesPerEU: 17
; AccumOffset: 20
; Occupancy: 8
; WaveLimiterHint : 0
; COMPUTE_PGM_RSRC2:SCRATCH_EN: 0
; COMPUTE_PGM_RSRC2:USER_SGPR: 2
; COMPUTE_PGM_RSRC2:TRAP_HANDLER: 0
; COMPUTE_PGM_RSRC2:TGID_X_EN: 1
; COMPUTE_PGM_RSRC2:TGID_Y_EN: 0
; COMPUTE_PGM_RSRC2:TGID_Z_EN: 0
; COMPUTE_PGM_RSRC2:TIDIG_COMP_CNT: 0
; COMPUTE_PGM_RSRC3_GFX90A:ACCUM_OFFSET: 4
; COMPUTE_PGM_RSRC3_GFX90A:TG_SPLIT: 0
	.section	.text._ZN2at6native29vectorized_elementwise_kernelILi4EZZZNS0_16sqrt_kernel_cudaERNS_18TensorIteratorBaseEENKUlvE_clEvENKUlvE1_clEvEUlN3c107complexINS6_4HalfEEEE_St5arrayIPcLm2EEEEviT0_T1_,"axG",@progbits,_ZN2at6native29vectorized_elementwise_kernelILi4EZZZNS0_16sqrt_kernel_cudaERNS_18TensorIteratorBaseEENKUlvE_clEvENKUlvE1_clEvEUlN3c107complexINS6_4HalfEEEE_St5arrayIPcLm2EEEEviT0_T1_,comdat
	.globl	_ZN2at6native29vectorized_elementwise_kernelILi4EZZZNS0_16sqrt_kernel_cudaERNS_18TensorIteratorBaseEENKUlvE_clEvENKUlvE1_clEvEUlN3c107complexINS6_4HalfEEEE_St5arrayIPcLm2EEEEviT0_T1_ ; -- Begin function _ZN2at6native29vectorized_elementwise_kernelILi4EZZZNS0_16sqrt_kernel_cudaERNS_18TensorIteratorBaseEENKUlvE_clEvENKUlvE1_clEvEUlN3c107complexINS6_4HalfEEEE_St5arrayIPcLm2EEEEviT0_T1_
	.p2align	8
	.type	_ZN2at6native29vectorized_elementwise_kernelILi4EZZZNS0_16sqrt_kernel_cudaERNS_18TensorIteratorBaseEENKUlvE_clEvENKUlvE1_clEvEUlN3c107complexINS6_4HalfEEEE_St5arrayIPcLm2EEEEviT0_T1_,@function
_ZN2at6native29vectorized_elementwise_kernelILi4EZZZNS0_16sqrt_kernel_cudaERNS_18TensorIteratorBaseEENKUlvE_clEvENKUlvE1_clEvEUlN3c107complexINS6_4HalfEEEE_St5arrayIPcLm2EEEEviT0_T1_: ; @_ZN2at6native29vectorized_elementwise_kernelILi4EZZZNS0_16sqrt_kernel_cudaERNS_18TensorIteratorBaseEENKUlvE_clEvENKUlvE1_clEvEUlN3c107complexINS6_4HalfEEEE_St5arrayIPcLm2EEEEviT0_T1_
; %bb.0:
	s_load_dword s3, s[0:1], 0x0
	s_load_dwordx4 s[8:11], s[0:1], 0x8
	s_lshl_b32 s6, s2, 10
	s_mov_b64 s[0:1], -1
	s_waitcnt lgkmcnt(0)
	s_sub_i32 s24, s3, s6
	s_cmpk_gt_i32 s24, 0x3ff
	s_cbranch_scc0 .LBB236_122
; %bb.1:
	s_ashr_i32 s7, s6, 31
	s_lshl_b64 s[4:5], s[6:7], 2
	s_add_u32 s0, s10, s4
	s_addc_u32 s1, s11, s5
	v_lshlrev_b32_e32 v1, 4, v0
	global_load_dwordx4 v[2:5], v1, s[0:1]
	v_mov_b32_e32 v10, 0
	v_mov_b32_e32 v7, 0
	;; [unrolled: 1-line block ×3, first 2 shown]
	s_waitcnt vmcnt(0)
	v_cvt_f32_f16_sdwa v8, v2 dst_sel:DWORD dst_unused:UNUSED_PAD src0_sel:WORD_1
	v_cmp_neq_f16_e32 vcc, 0, v2
	v_cmp_neq_f16_sdwa s[0:1], v2, v10 src0_sel:WORD_1 src1_sel:DWORD
	s_or_b64 s[0:1], vcc, s[0:1]
	s_and_saveexec_b64 s[12:13], s[0:1]
	s_cbranch_execz .LBB236_31
; %bb.2:
	v_mov_b32_e32 v9, 0x7f800000
	v_cmp_neq_f32_e64 s[0:1], |v8|, v9
	s_and_saveexec_b64 s[14:15], s[0:1]
	s_cbranch_execz .LBB236_30
; %bb.3:
	v_cvt_f32_f16_e32 v9, v2
	v_cmp_o_f16_e32 vcc, v2, v2
	s_and_saveexec_b64 s[0:1], vcc
	s_xor_b64 s[16:17], exec, s[0:1]
	s_cbranch_execz .LBB236_27
; %bb.4:
	s_mov_b32 s0, 0x7f800000
	v_cmp_neq_f32_e64 s[0:1], |v9|, s0
	s_and_saveexec_b64 s[2:3], s[0:1]
	s_xor_b64 s[18:19], exec, s[2:3]
	s_cbranch_execz .LBB236_20
; %bb.5:
	v_max_f32_e64 v6, |v8|, |v8|
	v_max_f32_e64 v11, |v9|, |v9|
	v_max_f32_e32 v6, v11, v6
	s_mov_b32 s0, 0x7ed413cb
	v_cmp_nle_f32_e64 s[0:1], s0, v6
                                        ; implicit-def: $sgpr20_sgpr21
	s_and_saveexec_b64 s[2:3], s[0:1]
	s_xor_b64 s[2:3], exec, s[2:3]
	s_cbranch_execz .LBB236_9
; %bb.6:
	s_mov_b32 s7, 0x1000000
	v_cmp_le_f32_e64 s[20:21], |v9|, s7
	v_cmp_le_f32_e64 s[22:23], |v8|, s7
	s_and_b64 s[26:27], s[20:21], s[22:23]
	s_mov_b64 s[20:21], 0
	s_and_saveexec_b64 s[22:23], s[26:27]
; %bb.7:
	s_mov_b64 s[20:21], exec
	v_pk_mul_f32 v[8:9], v[8:9], 4.0 op_sel_hi:[1,0]
; %bb.8:
	s_or_b64 exec, exec, s[22:23]
.LBB236_9:
	s_andn2_saveexec_b64 s[2:3], s[2:3]
; %bb.10:
	s_mov_b32 s22, 0x3e800000
	v_pk_mul_f32 v[8:9], v[8:9], s[22:23] op_sel_hi:[1,0]
	s_andn2_b64 s[20:21], s[20:21], exec
; %bb.11:
	s_or_b64 exec, exec, s[2:3]
	v_max_f32_e64 v6, |v8|, |v8|
	v_max_f32_e64 v11, |v9|, |v9|
	v_max_f32_e32 v6, v11, v6
	v_cvt_f64_f32_e32 v[12:13], v6
	v_frexp_exp_i32_f64_e32 v11, v[12:13]
	v_sub_u32_e32 v12, 0, v11
	v_ldexp_f32 v13, |v9|, v12
	v_ldexp_f32 v12, |v8|, v12
	v_mul_f32_e32 v12, v12, v12
	v_fmac_f32_e32 v12, v13, v13
	v_sqrt_f32_e32 v12, v12
	s_mov_b32 s2, 0x7f800000
	v_cmp_neq_f32_e64 s[2:3], s2, v6
	v_cmp_le_f32_e32 vcc, 0, v9
	v_ldexp_f32 v11, v12, v11
	v_mov_b32_e32 v12, 0x7f800000
	v_cndmask_b32_e64 v12, v12, v11, s[2:3]
                                        ; implicit-def: $vgpr11
                                        ; implicit-def: $vgpr6
	s_and_saveexec_b64 s[2:3], vcc
	s_xor_b64 s[22:23], exec, s[2:3]
	s_cbranch_execz .LBB236_13
; %bb.12:
	v_add_f32_e32 v6, v9, v12
	v_mul_f32_e32 v6, 0.5, v6
	s_mov_b32 s2, 0xf800000
	v_mul_f32_e32 v9, 0x4f800000, v6
	v_cmp_gt_f32_e32 vcc, s2, v6
	s_nop 1
	v_cndmask_b32_e32 v6, v6, v9, vcc
	v_sqrt_f32_e32 v9, v6
	s_nop 0
	v_add_u32_e32 v11, -1, v9
	v_fma_f32 v12, -v11, v9, v6
	v_cmp_ge_f32_e64 s[2:3], 0, v12
	v_add_u32_e32 v12, 1, v9
	s_nop 0
	v_cndmask_b32_e64 v11, v9, v11, s[2:3]
	v_fma_f32 v9, -v12, v9, v6
	v_cmp_lt_f32_e64 s[2:3], 0, v9
	s_nop 1
	v_cndmask_b32_e64 v9, v11, v12, s[2:3]
	v_mul_f32_e32 v11, 0x37800000, v9
	v_cndmask_b32_e32 v9, v9, v11, vcc
	v_mov_b32_e32 v11, 0x260
	v_cmp_class_f32_e32 vcc, v6, v11
	s_nop 1
	v_cndmask_b32_e32 v6, v9, v6, vcc
	v_add_f32_e32 v9, v6, v6
	v_div_scale_f32 v11, s[2:3], v9, v9, v8
	v_rcp_f32_e32 v12, v11
	s_nop 0
	v_fma_f32 v13, -v11, v12, 1.0
	v_fmac_f32_e32 v12, v13, v12
	v_div_scale_f32 v13, vcc, v8, v9, v8
	v_mul_f32_e32 v14, v13, v12
	v_fma_f32 v15, -v11, v14, v13
	v_fmac_f32_e32 v14, v15, v12
	v_fma_f32 v11, -v11, v14, v13
	v_div_fmas_f32 v11, v11, v12, v14
	v_div_fixup_f32 v11, v11, v9, v8
                                        ; implicit-def: $vgpr12
                                        ; implicit-def: $vgpr8_vgpr9
	s_andn2_saveexec_b64 s[22:23], s[22:23]
	s_cbranch_execz .LBB236_15
	s_branch .LBB236_14
.LBB236_13:
	s_andn2_saveexec_b64 s[22:23], s[22:23]
	s_cbranch_execz .LBB236_15
.LBB236_14:
	v_sub_f32_e32 v6, v12, v9
	v_mul_f32_e32 v6, 0.5, v6
	s_mov_b32 s2, 0xf800000
	v_mul_f32_e32 v9, 0x4f800000, v6
	v_cmp_gt_f32_e32 vcc, s2, v6
	s_nop 1
	v_cndmask_b32_e32 v6, v6, v9, vcc
	v_sqrt_f32_e32 v9, v6
	s_nop 0
	v_add_u32_e32 v11, -1, v9
	v_fma_f32 v12, -v11, v9, v6
	v_cmp_ge_f32_e64 s[2:3], 0, v12
	v_add_u32_e32 v12, 1, v9
	s_nop 0
	v_cndmask_b32_e64 v11, v9, v11, s[2:3]
	v_fma_f32 v9, -v12, v9, v6
	v_cmp_lt_f32_e64 s[2:3], 0, v9
	s_nop 1
	v_cndmask_b32_e64 v9, v11, v12, s[2:3]
	v_mul_f32_e32 v11, 0x37800000, v9
	v_cndmask_b32_e32 v9, v9, v11, vcc
	v_mov_b32_e32 v11, 0x260
	v_cmp_class_f32_e32 vcc, v6, v11
	v_and_b32_e32 v11, 0x7fffffff, v8
	s_nop 0
	v_cndmask_b32_e32 v9, v9, v6, vcc
	v_add_f32_e32 v6, v9, v9
	v_div_scale_f32 v12, s[2:3], v6, v6, v11
	v_rcp_f32_e32 v13, v12
	v_div_scale_f32 v11, vcc, v11, v6, v11
	s_brev_b32 s2, -2
	v_fma_f32 v14, -v12, v13, 1.0
	v_fmac_f32_e32 v13, v14, v13
	v_mul_f32_e32 v14, v11, v13
	v_fma_f32 v15, -v12, v14, v11
	v_fmac_f32_e32 v14, v15, v13
	v_fma_f32 v11, -v12, v14, v11
	v_div_fmas_f32 v11, v11, v13, v14
	v_div_fixup_f32 v6, v11, v6, |v8|
	v_bfi_b32 v11, s2, v9, v8
.LBB236_15:
	s_or_b64 exec, exec, s[22:23]
                                        ; implicit-def: $vgpr8
	s_and_saveexec_b64 s[2:3], s[0:1]
	s_xor_b64 s[0:1], exec, s[2:3]
	s_cbranch_execz .LBB236_17
; %bb.16:
	v_mul_f32_e32 v8, 0.5, v6
	v_mul_f32_e32 v12, 0.5, v11
	v_cndmask_b32_e64 v9, v6, v8, s[20:21]
	v_cndmask_b32_e64 v8, v11, v12, s[20:21]
                                        ; implicit-def: $vgpr6
                                        ; implicit-def: $vgpr11
	s_andn2_saveexec_b64 s[0:1], s[0:1]
	s_cbranch_execnz .LBB236_18
	s_branch .LBB236_19
.LBB236_17:
	s_andn2_saveexec_b64 s[0:1], s[0:1]
.LBB236_18:
	v_add_f32_e32 v9, v6, v6
	v_add_f32_e32 v8, v11, v11
.LBB236_19:
	s_or_b64 exec, exec, s[0:1]
.LBB236_20:
	s_andn2_saveexec_b64 s[0:1], s[18:19]
	s_cbranch_execz .LBB236_26
; %bb.21:
	v_and_b32_e32 v2, 0x8000, v2
	v_cmp_ne_u32_e32 vcc, 0, v2
	v_sub_f32_e32 v2, v8, v8
	s_and_saveexec_b64 s[2:3], vcc
	s_xor_b64 s[2:3], exec, s[2:3]
; %bb.22:
	s_brev_b32 s7, -2
	v_and_b32_e32 v2, 0x7fffffff, v2
	v_bfi_b32 v8, s7, v9, v8
	v_mov_b32_e32 v9, v2
                                        ; implicit-def: $vgpr2
; %bb.23:
	s_andn2_saveexec_b64 s[2:3], s[2:3]
; %bb.24:
	s_brev_b32 s7, -2
	v_bfi_b32 v8, s7, v2, v8
; %bb.25:
	s_or_b64 exec, exec, s[2:3]
.LBB236_26:
	s_or_b64 exec, exec, s[0:1]
.LBB236_27:
	s_andn2_saveexec_b64 s[0:1], s[16:17]
	s_cbranch_execz .LBB236_29
; %bb.28:
	v_sub_f32_e32 v2, v8, v8
	v_div_scale_f32 v6, vcc, v2, v2, v2
	v_rcp_f32_e32 v8, v6
	s_nop 0
	v_fma_f32 v11, -v6, v8, 1.0
	v_fmac_f32_e32 v8, v11, v8
	v_mul_f32_e32 v11, v6, v8
	v_fma_f32 v12, -v6, v11, v6
	v_fmac_f32_e32 v11, v12, v8
	v_fma_f32 v6, -v6, v11, v6
	v_div_fmas_f32 v6, v6, v8, v11
	v_div_fixup_f32 v8, v6, v2, v2
.LBB236_29:
	s_or_b64 exec, exec, s[0:1]
.LBB236_30:
	s_or_b64 exec, exec, s[14:15]
.LBB236_31:
	s_or_b64 exec, exec, s[12:13]
	v_cvt_f32_f16_sdwa v6, v3 dst_sel:DWORD dst_unused:UNUSED_PAD src0_sel:WORD_1
	v_cmp_neq_f16_e32 vcc, 0, v3
	v_cmp_neq_f16_sdwa s[0:1], v3, v10 src0_sel:WORD_1 src1_sel:DWORD
	s_or_b64 s[0:1], vcc, s[0:1]
	s_and_saveexec_b64 s[12:13], s[0:1]
	s_cbranch_execz .LBB236_61
; %bb.32:
	v_mov_b32_e32 v7, 0x7f800000
	v_cmp_neq_f32_e64 s[0:1], |v6|, v7
	s_and_saveexec_b64 s[14:15], s[0:1]
	s_cbranch_execz .LBB236_60
; %bb.33:
	v_cvt_f32_f16_e32 v7, v3
	v_cmp_o_f16_e32 vcc, v3, v3
	s_and_saveexec_b64 s[0:1], vcc
	s_xor_b64 s[16:17], exec, s[0:1]
	s_cbranch_execz .LBB236_57
; %bb.34:
	s_mov_b32 s0, 0x7f800000
	v_cmp_neq_f32_e64 s[0:1], |v7|, s0
	s_and_saveexec_b64 s[2:3], s[0:1]
	s_xor_b64 s[18:19], exec, s[2:3]
	s_cbranch_execz .LBB236_50
; %bb.35:
	v_max_f32_e64 v2, |v6|, |v6|
	v_max_f32_e64 v10, |v7|, |v7|
	v_max_f32_e32 v2, v10, v2
	s_mov_b32 s0, 0x7ed413cb
	v_cmp_nle_f32_e64 s[0:1], s0, v2
                                        ; implicit-def: $sgpr20_sgpr21
	s_and_saveexec_b64 s[2:3], s[0:1]
	s_xor_b64 s[2:3], exec, s[2:3]
	s_cbranch_execz .LBB236_39
; %bb.36:
	s_mov_b32 s7, 0x1000000
	v_cmp_le_f32_e64 s[20:21], |v7|, s7
	v_cmp_le_f32_e64 s[22:23], |v6|, s7
	s_and_b64 s[26:27], s[20:21], s[22:23]
	s_mov_b64 s[20:21], 0
	s_and_saveexec_b64 s[22:23], s[26:27]
; %bb.37:
	s_mov_b64 s[20:21], exec
	v_pk_mul_f32 v[6:7], v[6:7], 4.0 op_sel_hi:[1,0]
; %bb.38:
	s_or_b64 exec, exec, s[22:23]
.LBB236_39:
	s_andn2_saveexec_b64 s[2:3], s[2:3]
; %bb.40:
	s_mov_b32 s22, 0x3e800000
	v_pk_mul_f32 v[6:7], v[6:7], s[22:23] op_sel_hi:[1,0]
	s_andn2_b64 s[20:21], s[20:21], exec
; %bb.41:
	s_or_b64 exec, exec, s[2:3]
	v_max_f32_e64 v2, |v6|, |v6|
	v_max_f32_e64 v10, |v7|, |v7|
	v_max_f32_e32 v2, v10, v2
	v_cvt_f64_f32_e32 v[10:11], v2
	v_frexp_exp_i32_f64_e32 v10, v[10:11]
	v_sub_u32_e32 v11, 0, v10
	v_ldexp_f32 v12, |v7|, v11
	v_ldexp_f32 v11, |v6|, v11
	v_mul_f32_e32 v11, v11, v11
	v_fmac_f32_e32 v11, v12, v12
	v_sqrt_f32_e32 v11, v11
	s_mov_b32 s2, 0x7f800000
	v_cmp_neq_f32_e64 s[2:3], s2, v2
	v_cmp_le_f32_e32 vcc, 0, v7
	v_ldexp_f32 v10, v11, v10
	v_mov_b32_e32 v11, 0x7f800000
	v_cndmask_b32_e64 v11, v11, v10, s[2:3]
                                        ; implicit-def: $vgpr10
                                        ; implicit-def: $vgpr2
	s_and_saveexec_b64 s[2:3], vcc
	s_xor_b64 s[22:23], exec, s[2:3]
	s_cbranch_execz .LBB236_43
; %bb.42:
	v_add_f32_e32 v2, v7, v11
	v_mul_f32_e32 v2, 0.5, v2
	s_mov_b32 s2, 0xf800000
	v_mul_f32_e32 v7, 0x4f800000, v2
	v_cmp_gt_f32_e32 vcc, s2, v2
	s_nop 1
	v_cndmask_b32_e32 v2, v2, v7, vcc
	v_sqrt_f32_e32 v7, v2
	s_nop 0
	v_add_u32_e32 v10, -1, v7
	v_fma_f32 v11, -v10, v7, v2
	v_cmp_ge_f32_e64 s[2:3], 0, v11
	v_add_u32_e32 v11, 1, v7
	s_nop 0
	v_cndmask_b32_e64 v10, v7, v10, s[2:3]
	v_fma_f32 v7, -v11, v7, v2
	v_cmp_lt_f32_e64 s[2:3], 0, v7
	s_nop 1
	v_cndmask_b32_e64 v7, v10, v11, s[2:3]
	v_mul_f32_e32 v10, 0x37800000, v7
	v_cndmask_b32_e32 v7, v7, v10, vcc
	v_mov_b32_e32 v10, 0x260
	v_cmp_class_f32_e32 vcc, v2, v10
	s_nop 1
	v_cndmask_b32_e32 v2, v7, v2, vcc
	v_add_f32_e32 v7, v2, v2
	v_div_scale_f32 v10, s[2:3], v7, v7, v6
	v_rcp_f32_e32 v11, v10
	s_nop 0
	v_fma_f32 v12, -v10, v11, 1.0
	v_fmac_f32_e32 v11, v12, v11
	v_div_scale_f32 v12, vcc, v6, v7, v6
	v_mul_f32_e32 v13, v12, v11
	v_fma_f32 v14, -v10, v13, v12
	v_fmac_f32_e32 v13, v14, v11
	v_fma_f32 v10, -v10, v13, v12
	v_div_fmas_f32 v10, v10, v11, v13
	v_div_fixup_f32 v10, v10, v7, v6
                                        ; implicit-def: $vgpr11
                                        ; implicit-def: $vgpr6_vgpr7
	s_andn2_saveexec_b64 s[22:23], s[22:23]
	s_cbranch_execz .LBB236_45
	s_branch .LBB236_44
.LBB236_43:
	s_andn2_saveexec_b64 s[22:23], s[22:23]
	s_cbranch_execz .LBB236_45
.LBB236_44:
	v_sub_f32_e32 v2, v11, v7
	v_mul_f32_e32 v2, 0.5, v2
	s_mov_b32 s2, 0xf800000
	v_mul_f32_e32 v7, 0x4f800000, v2
	v_cmp_gt_f32_e32 vcc, s2, v2
	s_nop 1
	v_cndmask_b32_e32 v2, v2, v7, vcc
	v_sqrt_f32_e32 v7, v2
	s_nop 0
	v_add_u32_e32 v10, -1, v7
	v_fma_f32 v11, -v10, v7, v2
	v_cmp_ge_f32_e64 s[2:3], 0, v11
	v_add_u32_e32 v11, 1, v7
	s_nop 0
	v_cndmask_b32_e64 v10, v7, v10, s[2:3]
	v_fma_f32 v7, -v11, v7, v2
	v_cmp_lt_f32_e64 s[2:3], 0, v7
	s_nop 1
	v_cndmask_b32_e64 v7, v10, v11, s[2:3]
	v_mul_f32_e32 v10, 0x37800000, v7
	v_cndmask_b32_e32 v7, v7, v10, vcc
	v_mov_b32_e32 v10, 0x260
	v_cmp_class_f32_e32 vcc, v2, v10
	v_and_b32_e32 v10, 0x7fffffff, v6
	s_nop 0
	v_cndmask_b32_e32 v7, v7, v2, vcc
	v_add_f32_e32 v2, v7, v7
	v_div_scale_f32 v11, s[2:3], v2, v2, v10
	v_rcp_f32_e32 v12, v11
	v_div_scale_f32 v10, vcc, v10, v2, v10
	s_brev_b32 s2, -2
	v_fma_f32 v13, -v11, v12, 1.0
	v_fmac_f32_e32 v12, v13, v12
	v_mul_f32_e32 v13, v10, v12
	v_fma_f32 v14, -v11, v13, v10
	v_fmac_f32_e32 v13, v14, v12
	v_fma_f32 v10, -v11, v13, v10
	v_div_fmas_f32 v10, v10, v12, v13
	v_div_fixup_f32 v2, v10, v2, |v6|
	v_bfi_b32 v10, s2, v7, v6
.LBB236_45:
	s_or_b64 exec, exec, s[22:23]
                                        ; implicit-def: $vgpr6
	s_and_saveexec_b64 s[2:3], s[0:1]
	s_xor_b64 s[0:1], exec, s[2:3]
	s_cbranch_execz .LBB236_47
; %bb.46:
	v_mul_f32_e32 v6, 0.5, v2
	v_mul_f32_e32 v11, 0.5, v10
	v_cndmask_b32_e64 v7, v2, v6, s[20:21]
	v_cndmask_b32_e64 v6, v10, v11, s[20:21]
                                        ; implicit-def: $vgpr2
                                        ; implicit-def: $vgpr10
	s_andn2_saveexec_b64 s[0:1], s[0:1]
	s_cbranch_execnz .LBB236_48
	s_branch .LBB236_49
.LBB236_47:
	s_andn2_saveexec_b64 s[0:1], s[0:1]
.LBB236_48:
	v_add_f32_e32 v7, v2, v2
	v_add_f32_e32 v6, v10, v10
.LBB236_49:
	s_or_b64 exec, exec, s[0:1]
.LBB236_50:
	s_andn2_saveexec_b64 s[0:1], s[18:19]
	s_cbranch_execz .LBB236_56
; %bb.51:
	v_and_b32_e32 v2, 0x8000, v3
	v_cmp_ne_u32_e32 vcc, 0, v2
	v_sub_f32_e32 v2, v6, v6
	s_and_saveexec_b64 s[2:3], vcc
	s_xor_b64 s[2:3], exec, s[2:3]
; %bb.52:
	s_brev_b32 s7, -2
	v_and_b32_e32 v2, 0x7fffffff, v2
	v_bfi_b32 v6, s7, v7, v6
	v_mov_b32_e32 v7, v2
                                        ; implicit-def: $vgpr2
; %bb.53:
	s_andn2_saveexec_b64 s[2:3], s[2:3]
; %bb.54:
	s_brev_b32 s7, -2
	v_bfi_b32 v6, s7, v2, v6
; %bb.55:
	s_or_b64 exec, exec, s[2:3]
.LBB236_56:
	s_or_b64 exec, exec, s[0:1]
.LBB236_57:
	s_andn2_saveexec_b64 s[0:1], s[16:17]
	s_cbranch_execz .LBB236_59
; %bb.58:
	v_sub_f32_e32 v2, v6, v6
	v_div_scale_f32 v3, vcc, v2, v2, v2
	v_rcp_f32_e32 v6, v3
	s_nop 0
	v_fma_f32 v10, -v3, v6, 1.0
	v_fmac_f32_e32 v6, v10, v6
	v_mul_f32_e32 v10, v3, v6
	v_fma_f32 v11, -v3, v10, v3
	v_fmac_f32_e32 v10, v11, v6
	v_fma_f32 v3, -v3, v10, v3
	v_div_fmas_f32 v3, v3, v6, v10
	v_div_fixup_f32 v6, v3, v2, v2
.LBB236_59:
	s_or_b64 exec, exec, s[0:1]
.LBB236_60:
	s_or_b64 exec, exec, s[14:15]
.LBB236_61:
	s_or_b64 exec, exec, s[12:13]
	v_cvt_f32_f16_sdwa v10, v4 dst_sel:DWORD dst_unused:UNUSED_PAD src0_sel:WORD_1
	v_mov_b32_e32 v13, 0
	v_cmp_neq_f16_e32 vcc, 0, v4
	v_cmp_neq_f16_sdwa s[0:1], v4, v13 src0_sel:WORD_1 src1_sel:DWORD
	s_or_b64 s[0:1], vcc, s[0:1]
	v_mov_b32_e32 v11, 0
	s_and_saveexec_b64 s[12:13], s[0:1]
	s_cbranch_execz .LBB236_91
; %bb.62:
	v_mov_b32_e32 v11, 0x7f800000
	v_cmp_neq_f32_e64 s[0:1], |v10|, v11
	s_and_saveexec_b64 s[14:15], s[0:1]
	s_cbranch_execz .LBB236_90
; %bb.63:
	v_cvt_f32_f16_e32 v11, v4
	v_cmp_o_f16_e32 vcc, v4, v4
	s_and_saveexec_b64 s[0:1], vcc
	s_xor_b64 s[16:17], exec, s[0:1]
	s_cbranch_execz .LBB236_87
; %bb.64:
	s_mov_b32 s0, 0x7f800000
	v_cmp_neq_f32_e64 s[0:1], |v11|, s0
	s_and_saveexec_b64 s[2:3], s[0:1]
	s_xor_b64 s[18:19], exec, s[2:3]
	s_cbranch_execz .LBB236_80
; %bb.65:
	v_max_f32_e64 v2, |v10|, |v10|
	v_max_f32_e64 v3, |v11|, |v11|
	v_max_f32_e32 v2, v3, v2
	s_mov_b32 s0, 0x7ed413cb
	v_cmp_nle_f32_e64 s[0:1], s0, v2
                                        ; implicit-def: $sgpr20_sgpr21
	s_and_saveexec_b64 s[2:3], s[0:1]
	s_xor_b64 s[2:3], exec, s[2:3]
	s_cbranch_execz .LBB236_69
; %bb.66:
	s_mov_b32 s7, 0x1000000
	v_cmp_le_f32_e64 s[20:21], |v11|, s7
	v_cmp_le_f32_e64 s[22:23], |v10|, s7
	s_and_b64 s[26:27], s[20:21], s[22:23]
	s_mov_b64 s[20:21], 0
	s_and_saveexec_b64 s[22:23], s[26:27]
; %bb.67:
	s_mov_b64 s[20:21], exec
	v_pk_mul_f32 v[10:11], v[10:11], 4.0 op_sel_hi:[1,0]
; %bb.68:
	s_or_b64 exec, exec, s[22:23]
.LBB236_69:
	s_andn2_saveexec_b64 s[2:3], s[2:3]
; %bb.70:
	s_mov_b32 s22, 0x3e800000
	v_pk_mul_f32 v[10:11], v[10:11], s[22:23] op_sel_hi:[1,0]
	s_andn2_b64 s[20:21], s[20:21], exec
; %bb.71:
	s_or_b64 exec, exec, s[2:3]
	v_max_f32_e64 v2, |v10|, |v10|
	v_max_f32_e64 v3, |v11|, |v11|
	v_max_f32_e32 v12, v3, v2
	v_cvt_f64_f32_e32 v[2:3], v12
	v_frexp_exp_i32_f64_e32 v2, v[2:3]
	v_sub_u32_e32 v3, 0, v2
	v_ldexp_f32 v14, |v11|, v3
	v_ldexp_f32 v3, |v10|, v3
	v_mul_f32_e32 v3, v3, v3
	v_fmac_f32_e32 v3, v14, v14
	v_sqrt_f32_e32 v3, v3
	s_mov_b32 s2, 0x7f800000
	v_cmp_neq_f32_e64 s[2:3], s2, v12
	v_cmp_le_f32_e32 vcc, 0, v11
	v_ldexp_f32 v2, v3, v2
	v_mov_b32_e32 v3, 0x7f800000
	v_cndmask_b32_e64 v12, v3, v2, s[2:3]
                                        ; implicit-def: $vgpr3
                                        ; implicit-def: $vgpr2
	s_and_saveexec_b64 s[2:3], vcc
	s_xor_b64 s[22:23], exec, s[2:3]
	s_cbranch_execz .LBB236_73
; %bb.72:
	v_add_f32_e32 v2, v11, v12
	v_mul_f32_e32 v2, 0.5, v2
	s_mov_b32 s2, 0xf800000
	v_mul_f32_e32 v3, 0x4f800000, v2
	v_cmp_gt_f32_e32 vcc, s2, v2
	s_nop 1
	v_cndmask_b32_e32 v2, v2, v3, vcc
	v_sqrt_f32_e32 v3, v2
	s_nop 0
	v_add_u32_e32 v11, -1, v3
	v_fma_f32 v12, -v11, v3, v2
	v_cmp_ge_f32_e64 s[2:3], 0, v12
	v_add_u32_e32 v12, 1, v3
	s_nop 0
	v_cndmask_b32_e64 v11, v3, v11, s[2:3]
	v_fma_f32 v3, -v12, v3, v2
	v_cmp_lt_f32_e64 s[2:3], 0, v3
	s_nop 1
	v_cndmask_b32_e64 v3, v11, v12, s[2:3]
	v_mul_f32_e32 v11, 0x37800000, v3
	v_cndmask_b32_e32 v3, v3, v11, vcc
	v_mov_b32_e32 v11, 0x260
	v_cmp_class_f32_e32 vcc, v2, v11
	s_nop 1
	v_cndmask_b32_e32 v2, v3, v2, vcc
	v_add_f32_e32 v3, v2, v2
	v_div_scale_f32 v11, s[2:3], v3, v3, v10
	v_rcp_f32_e32 v12, v11
	s_nop 0
	v_fma_f32 v14, -v11, v12, 1.0
	v_fmac_f32_e32 v12, v14, v12
	v_div_scale_f32 v14, vcc, v10, v3, v10
	v_mul_f32_e32 v15, v14, v12
	v_fma_f32 v16, -v11, v15, v14
	v_fmac_f32_e32 v15, v16, v12
	v_fma_f32 v11, -v11, v15, v14
	v_div_fmas_f32 v11, v11, v12, v15
	v_div_fixup_f32 v3, v11, v3, v10
                                        ; implicit-def: $vgpr12
                                        ; implicit-def: $vgpr10_vgpr11
	s_andn2_saveexec_b64 s[22:23], s[22:23]
	s_cbranch_execz .LBB236_75
	s_branch .LBB236_74
.LBB236_73:
	s_andn2_saveexec_b64 s[22:23], s[22:23]
	s_cbranch_execz .LBB236_75
.LBB236_74:
	v_sub_f32_e32 v2, v12, v11
	v_mul_f32_e32 v2, 0.5, v2
	s_mov_b32 s2, 0xf800000
	v_mul_f32_e32 v3, 0x4f800000, v2
	v_cmp_gt_f32_e32 vcc, s2, v2
	s_nop 1
	v_cndmask_b32_e32 v2, v2, v3, vcc
	v_sqrt_f32_e32 v3, v2
	s_nop 0
	v_add_u32_e32 v11, -1, v3
	v_fma_f32 v12, -v11, v3, v2
	v_cmp_ge_f32_e64 s[2:3], 0, v12
	v_add_u32_e32 v12, 1, v3
	s_nop 0
	v_cndmask_b32_e64 v11, v3, v11, s[2:3]
	v_fma_f32 v3, -v12, v3, v2
	v_cmp_lt_f32_e64 s[2:3], 0, v3
	s_nop 1
	v_cndmask_b32_e64 v3, v11, v12, s[2:3]
	v_mul_f32_e32 v11, 0x37800000, v3
	v_cndmask_b32_e32 v3, v3, v11, vcc
	v_mov_b32_e32 v11, 0x260
	v_cmp_class_f32_e32 vcc, v2, v11
	v_and_b32_e32 v11, 0x7fffffff, v10
	s_nop 0
	v_cndmask_b32_e32 v3, v3, v2, vcc
	v_add_f32_e32 v2, v3, v3
	v_div_scale_f32 v12, s[2:3], v2, v2, v11
	v_rcp_f32_e32 v14, v12
	v_div_scale_f32 v11, vcc, v11, v2, v11
	s_brev_b32 s2, -2
	v_fma_f32 v15, -v12, v14, 1.0
	v_fmac_f32_e32 v14, v15, v14
	v_mul_f32_e32 v15, v11, v14
	v_fma_f32 v16, -v12, v15, v11
	v_fmac_f32_e32 v15, v16, v14
	v_fma_f32 v11, -v12, v15, v11
	v_div_fmas_f32 v11, v11, v14, v15
	v_div_fixup_f32 v2, v11, v2, |v10|
	v_bfi_b32 v3, s2, v3, v10
.LBB236_75:
	s_or_b64 exec, exec, s[22:23]
                                        ; implicit-def: $vgpr10
	s_and_saveexec_b64 s[2:3], s[0:1]
	s_xor_b64 s[0:1], exec, s[2:3]
	s_cbranch_execz .LBB236_77
; %bb.76:
	v_mul_f32_e32 v10, 0.5, v2
	v_mul_f32_e32 v12, 0.5, v3
	v_cndmask_b32_e64 v11, v2, v10, s[20:21]
	v_cndmask_b32_e64 v10, v3, v12, s[20:21]
                                        ; implicit-def: $vgpr2
                                        ; implicit-def: $vgpr3
	s_andn2_saveexec_b64 s[0:1], s[0:1]
	s_cbranch_execnz .LBB236_78
	s_branch .LBB236_79
.LBB236_77:
	s_andn2_saveexec_b64 s[0:1], s[0:1]
.LBB236_78:
	v_add_f32_e32 v11, v2, v2
	v_add_f32_e32 v10, v3, v3
.LBB236_79:
	s_or_b64 exec, exec, s[0:1]
.LBB236_80:
	s_andn2_saveexec_b64 s[0:1], s[18:19]
	s_cbranch_execz .LBB236_86
; %bb.81:
	v_and_b32_e32 v2, 0x8000, v4
	v_cmp_ne_u32_e32 vcc, 0, v2
	v_sub_f32_e32 v2, v10, v10
	s_and_saveexec_b64 s[2:3], vcc
	s_xor_b64 s[2:3], exec, s[2:3]
; %bb.82:
	s_brev_b32 s7, -2
	v_and_b32_e32 v2, 0x7fffffff, v2
	v_bfi_b32 v10, s7, v11, v10
	v_mov_b32_e32 v11, v2
                                        ; implicit-def: $vgpr2
; %bb.83:
	s_andn2_saveexec_b64 s[2:3], s[2:3]
; %bb.84:
	s_brev_b32 s7, -2
	v_bfi_b32 v10, s7, v2, v10
; %bb.85:
	s_or_b64 exec, exec, s[2:3]
.LBB236_86:
	s_or_b64 exec, exec, s[0:1]
.LBB236_87:
	s_andn2_saveexec_b64 s[0:1], s[16:17]
	s_cbranch_execz .LBB236_89
; %bb.88:
	v_sub_f32_e32 v2, v10, v10
	v_div_scale_f32 v3, vcc, v2, v2, v2
	v_rcp_f32_e32 v4, v3
	s_nop 0
	v_fma_f32 v10, -v3, v4, 1.0
	v_fmac_f32_e32 v4, v10, v4
	v_mul_f32_e32 v10, v3, v4
	v_fma_f32 v12, -v3, v10, v3
	v_fmac_f32_e32 v10, v12, v4
	v_fma_f32 v3, -v3, v10, v3
	v_div_fmas_f32 v3, v3, v4, v10
	v_div_fixup_f32 v10, v3, v2, v2
.LBB236_89:
	s_or_b64 exec, exec, s[0:1]
.LBB236_90:
	s_or_b64 exec, exec, s[14:15]
.LBB236_91:
	s_or_b64 exec, exec, s[12:13]
	v_cvt_f32_f16_sdwa v12, v5 dst_sel:DWORD dst_unused:UNUSED_PAD src0_sel:WORD_1
	v_cmp_neq_f16_e32 vcc, 0, v5
	v_cmp_neq_f16_sdwa s[0:1], v5, v13 src0_sel:WORD_1 src1_sel:DWORD
	s_or_b64 s[0:1], vcc, s[0:1]
	s_and_saveexec_b64 s[12:13], s[0:1]
	s_cbranch_execz .LBB236_121
; %bb.92:
	v_mov_b32_e32 v13, 0x7f800000
	v_cmp_neq_f32_e64 s[0:1], |v12|, v13
	s_and_saveexec_b64 s[14:15], s[0:1]
	s_cbranch_execz .LBB236_120
; %bb.93:
	v_cvt_f32_f16_e32 v13, v5
	v_cmp_o_f16_e32 vcc, v5, v5
	s_and_saveexec_b64 s[0:1], vcc
	s_xor_b64 s[16:17], exec, s[0:1]
	s_cbranch_execz .LBB236_117
; %bb.94:
	s_mov_b32 s0, 0x7f800000
	v_cmp_neq_f32_e64 s[0:1], |v13|, s0
	s_and_saveexec_b64 s[2:3], s[0:1]
	s_xor_b64 s[18:19], exec, s[2:3]
	s_cbranch_execz .LBB236_110
; %bb.95:
	v_max_f32_e64 v2, |v12|, |v12|
	v_max_f32_e64 v3, |v13|, |v13|
	v_max_f32_e32 v2, v3, v2
	s_mov_b32 s0, 0x7ed413cb
	v_cmp_nle_f32_e64 s[0:1], s0, v2
                                        ; implicit-def: $sgpr20_sgpr21
	s_and_saveexec_b64 s[2:3], s[0:1]
	s_xor_b64 s[2:3], exec, s[2:3]
	s_cbranch_execz .LBB236_99
; %bb.96:
	s_mov_b32 s7, 0x1000000
	v_cmp_le_f32_e64 s[20:21], |v13|, s7
	v_cmp_le_f32_e64 s[22:23], |v12|, s7
	s_and_b64 s[26:27], s[20:21], s[22:23]
	s_mov_b64 s[20:21], 0
	s_and_saveexec_b64 s[22:23], s[26:27]
; %bb.97:
	s_mov_b64 s[20:21], exec
	v_pk_mul_f32 v[12:13], v[12:13], 4.0 op_sel_hi:[1,0]
; %bb.98:
	s_or_b64 exec, exec, s[22:23]
.LBB236_99:
	s_andn2_saveexec_b64 s[2:3], s[2:3]
; %bb.100:
	s_mov_b32 s22, 0x3e800000
	v_pk_mul_f32 v[12:13], v[12:13], s[22:23] op_sel_hi:[1,0]
	s_andn2_b64 s[20:21], s[20:21], exec
; %bb.101:
	s_or_b64 exec, exec, s[2:3]
	v_max_f32_e64 v2, |v12|, |v12|
	v_max_f32_e64 v3, |v13|, |v13|
	v_max_f32_e32 v4, v3, v2
	v_cvt_f64_f32_e32 v[2:3], v4
	v_frexp_exp_i32_f64_e32 v2, v[2:3]
	v_sub_u32_e32 v3, 0, v2
	v_ldexp_f32 v5, |v13|, v3
	v_ldexp_f32 v3, |v12|, v3
	v_mul_f32_e32 v3, v3, v3
	v_fmac_f32_e32 v3, v5, v5
	v_sqrt_f32_e32 v3, v3
	s_mov_b32 s2, 0x7f800000
	v_cmp_neq_f32_e64 s[2:3], s2, v4
	v_cmp_le_f32_e32 vcc, 0, v13
	v_ldexp_f32 v2, v3, v2
	v_mov_b32_e32 v3, 0x7f800000
	v_cndmask_b32_e64 v4, v3, v2, s[2:3]
                                        ; implicit-def: $vgpr3
                                        ; implicit-def: $vgpr2
	s_and_saveexec_b64 s[2:3], vcc
	s_xor_b64 s[22:23], exec, s[2:3]
	s_cbranch_execz .LBB236_103
; %bb.102:
	v_add_f32_e32 v2, v13, v4
	v_mul_f32_e32 v2, 0.5, v2
	s_mov_b32 s2, 0xf800000
	v_mul_f32_e32 v3, 0x4f800000, v2
	v_cmp_gt_f32_e32 vcc, s2, v2
	s_nop 1
	v_cndmask_b32_e32 v2, v2, v3, vcc
	v_sqrt_f32_e32 v3, v2
	s_nop 0
	v_add_u32_e32 v4, -1, v3
	v_fma_f32 v5, -v4, v3, v2
	v_cmp_ge_f32_e64 s[2:3], 0, v5
	v_add_u32_e32 v5, 1, v3
	s_nop 0
	v_cndmask_b32_e64 v4, v3, v4, s[2:3]
	v_fma_f32 v3, -v5, v3, v2
	v_cmp_lt_f32_e64 s[2:3], 0, v3
	s_nop 1
	v_cndmask_b32_e64 v3, v4, v5, s[2:3]
	v_mul_f32_e32 v4, 0x37800000, v3
	v_cndmask_b32_e32 v3, v3, v4, vcc
	v_mov_b32_e32 v4, 0x260
	v_cmp_class_f32_e32 vcc, v2, v4
	s_nop 1
	v_cndmask_b32_e32 v2, v3, v2, vcc
	v_add_f32_e32 v3, v2, v2
	v_div_scale_f32 v4, s[2:3], v3, v3, v12
	v_rcp_f32_e32 v5, v4
	s_nop 0
	v_fma_f32 v13, -v4, v5, 1.0
	v_fmac_f32_e32 v5, v13, v5
	v_div_scale_f32 v13, vcc, v12, v3, v12
	v_mul_f32_e32 v14, v13, v5
	v_fma_f32 v15, -v4, v14, v13
	v_fmac_f32_e32 v14, v15, v5
	v_fma_f32 v4, -v4, v14, v13
	v_div_fmas_f32 v4, v4, v5, v14
	v_div_fixup_f32 v3, v4, v3, v12
                                        ; implicit-def: $vgpr4
                                        ; implicit-def: $vgpr12_vgpr13
	s_andn2_saveexec_b64 s[22:23], s[22:23]
	s_cbranch_execz .LBB236_105
	s_branch .LBB236_104
.LBB236_103:
	s_andn2_saveexec_b64 s[22:23], s[22:23]
	s_cbranch_execz .LBB236_105
.LBB236_104:
	v_sub_f32_e32 v2, v4, v13
	v_mul_f32_e32 v2, 0.5, v2
	s_mov_b32 s2, 0xf800000
	v_mul_f32_e32 v3, 0x4f800000, v2
	v_cmp_gt_f32_e32 vcc, s2, v2
	s_nop 1
	v_cndmask_b32_e32 v2, v2, v3, vcc
	v_sqrt_f32_e32 v3, v2
	s_nop 0
	v_add_u32_e32 v4, -1, v3
	v_fma_f32 v5, -v4, v3, v2
	v_cmp_ge_f32_e64 s[2:3], 0, v5
	v_add_u32_e32 v5, 1, v3
	s_nop 0
	v_cndmask_b32_e64 v4, v3, v4, s[2:3]
	v_fma_f32 v3, -v5, v3, v2
	v_cmp_lt_f32_e64 s[2:3], 0, v3
	s_nop 1
	v_cndmask_b32_e64 v3, v4, v5, s[2:3]
	v_mul_f32_e32 v4, 0x37800000, v3
	v_cndmask_b32_e32 v3, v3, v4, vcc
	v_mov_b32_e32 v4, 0x260
	v_cmp_class_f32_e32 vcc, v2, v4
	v_and_b32_e32 v4, 0x7fffffff, v12
	s_nop 0
	v_cndmask_b32_e32 v3, v3, v2, vcc
	v_add_f32_e32 v2, v3, v3
	v_div_scale_f32 v5, s[2:3], v2, v2, v4
	v_rcp_f32_e32 v13, v5
	v_div_scale_f32 v4, vcc, v4, v2, v4
	s_brev_b32 s2, -2
	v_fma_f32 v14, -v5, v13, 1.0
	v_fmac_f32_e32 v13, v14, v13
	v_mul_f32_e32 v14, v4, v13
	v_fma_f32 v15, -v5, v14, v4
	v_fmac_f32_e32 v14, v15, v13
	v_fma_f32 v4, -v5, v14, v4
	v_div_fmas_f32 v4, v4, v13, v14
	v_div_fixup_f32 v2, v4, v2, |v12|
	v_bfi_b32 v3, s2, v3, v12
.LBB236_105:
	s_or_b64 exec, exec, s[22:23]
                                        ; implicit-def: $vgpr12
	s_and_saveexec_b64 s[2:3], s[0:1]
	s_xor_b64 s[0:1], exec, s[2:3]
	s_cbranch_execz .LBB236_107
; %bb.106:
	v_mul_f32_e32 v4, 0.5, v2
	v_mul_f32_e32 v5, 0.5, v3
	v_cndmask_b32_e64 v13, v2, v4, s[20:21]
	v_cndmask_b32_e64 v12, v3, v5, s[20:21]
                                        ; implicit-def: $vgpr2
                                        ; implicit-def: $vgpr3
	s_andn2_saveexec_b64 s[0:1], s[0:1]
	s_cbranch_execnz .LBB236_108
	s_branch .LBB236_109
.LBB236_107:
	s_andn2_saveexec_b64 s[0:1], s[0:1]
.LBB236_108:
	v_add_f32_e32 v13, v2, v2
	v_add_f32_e32 v12, v3, v3
.LBB236_109:
	s_or_b64 exec, exec, s[0:1]
                                        ; implicit-def: $vgpr2_vgpr3_vgpr4_vgpr5
.LBB236_110:
	s_andn2_saveexec_b64 s[0:1], s[18:19]
	s_cbranch_execz .LBB236_116
; %bb.111:
	v_and_b32_e32 v2, 0x8000, v5
	v_cmp_ne_u32_e32 vcc, 0, v2
	v_sub_f32_e32 v2, v12, v12
	s_and_saveexec_b64 s[2:3], vcc
	s_xor_b64 s[2:3], exec, s[2:3]
; %bb.112:
	s_brev_b32 s7, -2
	v_and_b32_e32 v2, 0x7fffffff, v2
	v_bfi_b32 v12, s7, v13, v12
	v_mov_b32_e32 v13, v2
                                        ; implicit-def: $vgpr2
; %bb.113:
	s_andn2_saveexec_b64 s[2:3], s[2:3]
; %bb.114:
	s_brev_b32 s7, -2
	v_bfi_b32 v12, s7, v2, v12
; %bb.115:
	s_or_b64 exec, exec, s[2:3]
.LBB236_116:
	s_or_b64 exec, exec, s[0:1]
.LBB236_117:
	s_andn2_saveexec_b64 s[0:1], s[16:17]
	s_cbranch_execz .LBB236_119
; %bb.118:
	v_sub_f32_e32 v2, v12, v12
	v_div_scale_f32 v3, vcc, v2, v2, v2
	v_rcp_f32_e32 v4, v3
	s_nop 0
	v_fma_f32 v5, -v3, v4, 1.0
	v_fmac_f32_e32 v4, v5, v4
	v_mul_f32_e32 v5, v3, v4
	v_fma_f32 v12, -v3, v5, v3
	v_fmac_f32_e32 v5, v12, v4
	v_fma_f32 v3, -v3, v5, v3
	v_div_fmas_f32 v3, v3, v4, v5
	v_div_fixup_f32 v12, v3, v2, v2
.LBB236_119:
	s_or_b64 exec, exec, s[0:1]
.LBB236_120:
	s_or_b64 exec, exec, s[14:15]
.LBB236_121:
	s_or_b64 exec, exec, s[12:13]
	v_cvt_pk_f16_f32 v2, v8, v6
	v_cvt_pk_f16_f32 v4, v10, v12
	;; [unrolled: 1-line block ×3, first 2 shown]
	v_and_b32_e32 v3, 0xffff0000, v2
	v_lshlrev_b32_e32 v2, 16, v2
	v_cvt_pk_f16_f32 v10, v11, v13
	s_add_u32 s0, s8, s4
	v_or_b32_sdwa v3, v3, v5 dst_sel:DWORD dst_unused:UNUSED_PAD src0_sel:DWORD src1_sel:WORD_1
	v_or_b32_sdwa v2, v2, v5 dst_sel:DWORD dst_unused:UNUSED_PAD src0_sel:DWORD src1_sel:WORD_0
	v_and_b32_e32 v5, 0xffff0000, v4
	v_lshlrev_b32_e32 v4, 16, v4
	s_addc_u32 s1, s9, s5
	v_or_b32_sdwa v5, v5, v10 dst_sel:DWORD dst_unused:UNUSED_PAD src0_sel:DWORD src1_sel:WORD_1
	v_or_b32_sdwa v4, v4, v10 dst_sel:DWORD dst_unused:UNUSED_PAD src0_sel:DWORD src1_sel:WORD_0
	global_store_dwordx4 v1, v[2:5], s[0:1]
	s_mov_b64 s[0:1], 0
.LBB236_122:
	s_and_b64 vcc, exec, s[0:1]
	s_cbranch_vccz .LBB236_267
; %bb.123:
	v_cmp_gt_i32_e64 s[0:1], s24, v0
	v_mov_b32_e32 v1, 0
	v_or_b32_e32 v2, s6, v0
	v_mov_b32_e32 v5, 0
	v_mov_b32_e32 v3, 0
	;; [unrolled: 1-line block ×3, first 2 shown]
	s_and_saveexec_b64 s[2:3], s[0:1]
	s_cbranch_execz .LBB236_131
; %bb.124:
	v_mov_b32_e32 v3, 0
	v_lshl_add_u64 v[4:5], v[2:3], 2, s[10:11]
	global_load_dword v9, v[4:5], off
	v_or_b32_e32 v1, 0x100, v0
	v_cmp_gt_u32_e32 vcc, s24, v1
	v_mov_b32_e32 v5, v3
	v_mov_b32_e32 v1, v3
	s_and_saveexec_b64 s[4:5], vcc
	s_cbranch_execz .LBB236_130
; %bb.125:
	v_add_u32_e32 v4, s6, v0
	v_mov_b32_e32 v5, 0
	v_lshl_add_u64 v[6:7], v[4:5], 2, s[10:11]
	global_load_dword v3, v[6:7], off offset:1024
	v_or_b32_e32 v1, 0x200, v0
	v_cmp_gt_u32_e32 vcc, s24, v1
	v_mov_b32_e32 v1, v5
	s_and_saveexec_b64 s[10:11], vcc
	s_cbranch_execz .LBB236_129
; %bb.126:
	global_load_dword v5, v[6:7], off offset:2048
	v_or_b32_e32 v1, 0x300, v0
	v_cmp_gt_u32_e32 vcc, s24, v1
	v_mov_b32_e32 v1, 0
	s_and_saveexec_b64 s[12:13], vcc
	s_cbranch_execz .LBB236_128
; %bb.127:
	global_load_dword v1, v[6:7], off offset:3072
.LBB236_128:
	s_or_b64 exec, exec, s[12:13]
.LBB236_129:
	s_or_b64 exec, exec, s[10:11]
.LBB236_130:
	s_or_b64 exec, exec, s[4:5]
.LBB236_131:
	s_or_b64 exec, exec, s[2:3]
                                        ; implicit-def: $vgpr8
	s_and_saveexec_b64 s[10:11], s[0:1]
	s_cbranch_execz .LBB236_163
; %bb.132:
	s_waitcnt vmcnt(0)
	v_cvt_f32_f16_sdwa v6, v9 dst_sel:DWORD dst_unused:UNUSED_PAD src0_sel:WORD_1
	v_mov_b32_e32 v7, 0
	v_cmp_neq_f16_e32 vcc, 0, v9
	v_cmp_neq_f16_sdwa s[2:3], v9, v7 src0_sel:WORD_1 src1_sel:DWORD
	s_or_b64 s[2:3], vcc, s[2:3]
	s_and_saveexec_b64 s[12:13], s[2:3]
	s_cbranch_execz .LBB236_162
; %bb.133:
	v_mov_b32_e32 v7, 0x7f800000
	v_cmp_neq_f32_e64 s[2:3], |v6|, v7
	s_and_saveexec_b64 s[14:15], s[2:3]
	s_cbranch_execz .LBB236_161
; %bb.134:
	v_cvt_f32_f16_e32 v7, v9
	v_cmp_o_f16_e32 vcc, v9, v9
	s_and_saveexec_b64 s[2:3], vcc
	s_xor_b64 s[16:17], exec, s[2:3]
	s_cbranch_execz .LBB236_158
; %bb.135:
	s_mov_b32 s2, 0x7f800000
	v_cmp_neq_f32_e64 s[2:3], |v7|, s2
	s_and_saveexec_b64 s[4:5], s[2:3]
	s_xor_b64 s[18:19], exec, s[4:5]
	s_cbranch_execz .LBB236_151
; %bb.136:
	v_max_f32_e64 v4, |v6|, |v6|
	v_max_f32_e64 v8, |v7|, |v7|
	v_max_f32_e32 v4, v8, v4
	s_mov_b32 s2, 0x7ed413cb
	v_cmp_nle_f32_e64 s[2:3], s2, v4
                                        ; implicit-def: $sgpr20_sgpr21
	s_and_saveexec_b64 s[4:5], s[2:3]
	s_xor_b64 s[4:5], exec, s[4:5]
	s_cbranch_execz .LBB236_140
; %bb.137:
	s_mov_b32 s7, 0x1000000
	v_cmp_le_f32_e64 s[20:21], |v7|, s7
	v_cmp_le_f32_e64 s[22:23], |v6|, s7
	s_and_b64 s[26:27], s[20:21], s[22:23]
	s_mov_b64 s[20:21], 0
	s_and_saveexec_b64 s[22:23], s[26:27]
; %bb.138:
	s_mov_b64 s[20:21], exec
	v_pk_mul_f32 v[6:7], v[6:7], 4.0 op_sel_hi:[1,0]
; %bb.139:
	s_or_b64 exec, exec, s[22:23]
.LBB236_140:
	s_andn2_saveexec_b64 s[4:5], s[4:5]
; %bb.141:
	s_mov_b32 s22, 0x3e800000
	v_pk_mul_f32 v[6:7], v[6:7], s[22:23] op_sel_hi:[1,0]
	s_andn2_b64 s[20:21], s[20:21], exec
; %bb.142:
	s_or_b64 exec, exec, s[4:5]
	v_max_f32_e64 v4, |v6|, |v6|
	v_max_f32_e64 v8, |v7|, |v7|
	v_max_f32_e32 v4, v8, v4
	v_cvt_f64_f32_e32 v[8:9], v4
	v_frexp_exp_i32_f64_e32 v8, v[8:9]
	v_sub_u32_e32 v9, 0, v8
	v_ldexp_f32 v10, |v7|, v9
	v_ldexp_f32 v9, |v6|, v9
	v_mul_f32_e32 v9, v9, v9
	v_fmac_f32_e32 v9, v10, v10
	v_sqrt_f32_e32 v9, v9
	s_mov_b32 s4, 0x7f800000
	v_cmp_neq_f32_e64 s[4:5], s4, v4
	v_cmp_le_f32_e32 vcc, 0, v7
	v_ldexp_f32 v8, v9, v8
	v_mov_b32_e32 v9, 0x7f800000
	v_cndmask_b32_e64 v9, v9, v8, s[4:5]
                                        ; implicit-def: $vgpr8
                                        ; implicit-def: $vgpr4
	s_and_saveexec_b64 s[4:5], vcc
	s_xor_b64 s[22:23], exec, s[4:5]
	s_cbranch_execz .LBB236_144
; %bb.143:
	v_add_f32_e32 v4, v7, v9
	v_mul_f32_e32 v4, 0.5, v4
	s_mov_b32 s4, 0xf800000
	v_mul_f32_e32 v7, 0x4f800000, v4
	v_cmp_gt_f32_e32 vcc, s4, v4
	s_nop 1
	v_cndmask_b32_e32 v4, v4, v7, vcc
	v_sqrt_f32_e32 v7, v4
	s_nop 0
	v_add_u32_e32 v8, -1, v7
	v_fma_f32 v9, -v8, v7, v4
	v_cmp_ge_f32_e64 s[4:5], 0, v9
	v_add_u32_e32 v9, 1, v7
	s_nop 0
	v_cndmask_b32_e64 v8, v7, v8, s[4:5]
	v_fma_f32 v7, -v9, v7, v4
	v_cmp_lt_f32_e64 s[4:5], 0, v7
	s_nop 1
	v_cndmask_b32_e64 v7, v8, v9, s[4:5]
	v_mul_f32_e32 v8, 0x37800000, v7
	v_cndmask_b32_e32 v7, v7, v8, vcc
	v_mov_b32_e32 v8, 0x260
	v_cmp_class_f32_e32 vcc, v4, v8
	s_nop 1
	v_cndmask_b32_e32 v4, v7, v4, vcc
	v_add_f32_e32 v7, v4, v4
	v_div_scale_f32 v8, s[4:5], v7, v7, v6
	v_rcp_f32_e32 v9, v8
	s_nop 0
	v_fma_f32 v10, -v8, v9, 1.0
	v_fmac_f32_e32 v9, v10, v9
	v_div_scale_f32 v10, vcc, v6, v7, v6
	v_mul_f32_e32 v11, v10, v9
	v_fma_f32 v12, -v8, v11, v10
	v_fmac_f32_e32 v11, v12, v9
	v_fma_f32 v8, -v8, v11, v10
	v_div_fmas_f32 v8, v8, v9, v11
	v_div_fixup_f32 v8, v8, v7, v6
                                        ; implicit-def: $vgpr9
                                        ; implicit-def: $vgpr6_vgpr7
	s_andn2_saveexec_b64 s[22:23], s[22:23]
	s_cbranch_execz .LBB236_146
	s_branch .LBB236_145
.LBB236_144:
	s_andn2_saveexec_b64 s[22:23], s[22:23]
	s_cbranch_execz .LBB236_146
.LBB236_145:
	v_sub_f32_e32 v4, v9, v7
	v_mul_f32_e32 v4, 0.5, v4
	s_mov_b32 s4, 0xf800000
	v_mul_f32_e32 v7, 0x4f800000, v4
	v_cmp_gt_f32_e32 vcc, s4, v4
	s_nop 1
	v_cndmask_b32_e32 v4, v4, v7, vcc
	v_sqrt_f32_e32 v7, v4
	s_nop 0
	v_add_u32_e32 v8, -1, v7
	v_fma_f32 v9, -v8, v7, v4
	v_cmp_ge_f32_e64 s[4:5], 0, v9
	v_add_u32_e32 v9, 1, v7
	s_nop 0
	v_cndmask_b32_e64 v8, v7, v8, s[4:5]
	v_fma_f32 v7, -v9, v7, v4
	v_cmp_lt_f32_e64 s[4:5], 0, v7
	s_nop 1
	v_cndmask_b32_e64 v7, v8, v9, s[4:5]
	v_mul_f32_e32 v8, 0x37800000, v7
	v_cndmask_b32_e32 v7, v7, v8, vcc
	v_mov_b32_e32 v8, 0x260
	v_cmp_class_f32_e32 vcc, v4, v8
	v_and_b32_e32 v8, 0x7fffffff, v6
	s_nop 0
	v_cndmask_b32_e32 v7, v7, v4, vcc
	v_add_f32_e32 v4, v7, v7
	v_div_scale_f32 v9, s[4:5], v4, v4, v8
	v_rcp_f32_e32 v10, v9
	v_div_scale_f32 v8, vcc, v8, v4, v8
	s_brev_b32 s4, -2
	v_fma_f32 v11, -v9, v10, 1.0
	v_fmac_f32_e32 v10, v11, v10
	v_mul_f32_e32 v11, v8, v10
	v_fma_f32 v12, -v9, v11, v8
	v_fmac_f32_e32 v11, v12, v10
	v_fma_f32 v8, -v9, v11, v8
	v_div_fmas_f32 v8, v8, v10, v11
	v_div_fixup_f32 v4, v8, v4, |v6|
	v_bfi_b32 v8, s4, v7, v6
.LBB236_146:
	s_or_b64 exec, exec, s[22:23]
                                        ; implicit-def: $vgpr6
	s_and_saveexec_b64 s[4:5], s[2:3]
	s_xor_b64 s[2:3], exec, s[4:5]
	s_cbranch_execz .LBB236_148
; %bb.147:
	v_mul_f32_e32 v6, 0.5, v4
	v_mul_f32_e32 v9, 0.5, v8
	v_cndmask_b32_e64 v7, v4, v6, s[20:21]
	v_cndmask_b32_e64 v6, v8, v9, s[20:21]
                                        ; implicit-def: $vgpr4
                                        ; implicit-def: $vgpr8
	s_andn2_saveexec_b64 s[2:3], s[2:3]
	s_cbranch_execnz .LBB236_149
	s_branch .LBB236_150
.LBB236_148:
	s_andn2_saveexec_b64 s[2:3], s[2:3]
.LBB236_149:
	v_add_f32_e32 v7, v4, v4
	v_add_f32_e32 v6, v8, v8
.LBB236_150:
	s_or_b64 exec, exec, s[2:3]
                                        ; implicit-def: $vgpr9
.LBB236_151:
	s_andn2_saveexec_b64 s[2:3], s[18:19]
	s_cbranch_execz .LBB236_157
; %bb.152:
	v_and_b32_e32 v4, 0x8000, v9
	v_cmp_ne_u32_e32 vcc, 0, v4
	v_sub_f32_e32 v4, v6, v6
	s_and_saveexec_b64 s[4:5], vcc
	s_xor_b64 s[4:5], exec, s[4:5]
; %bb.153:
	s_brev_b32 s7, -2
	v_and_b32_e32 v4, 0x7fffffff, v4
	v_bfi_b32 v6, s7, v7, v6
	v_mov_b32_e32 v7, v4
                                        ; implicit-def: $vgpr4
; %bb.154:
	s_andn2_saveexec_b64 s[4:5], s[4:5]
; %bb.155:
	s_brev_b32 s7, -2
	v_bfi_b32 v6, s7, v4, v6
; %bb.156:
	s_or_b64 exec, exec, s[4:5]
.LBB236_157:
	s_or_b64 exec, exec, s[2:3]
.LBB236_158:
	s_andn2_saveexec_b64 s[2:3], s[16:17]
	s_cbranch_execz .LBB236_160
; %bb.159:
	v_sub_f32_e32 v4, v6, v6
	v_div_scale_f32 v6, vcc, v4, v4, v4
	v_rcp_f32_e32 v8, v6
	s_nop 0
	v_fma_f32 v9, -v6, v8, 1.0
	v_fmac_f32_e32 v8, v9, v8
	v_mul_f32_e32 v9, v6, v8
	v_fma_f32 v10, -v6, v9, v6
	v_fmac_f32_e32 v9, v10, v8
	v_fma_f32 v6, -v6, v9, v6
	v_div_fmas_f32 v6, v6, v8, v9
	v_div_fixup_f32 v6, v6, v4, v4
.LBB236_160:
	s_or_b64 exec, exec, s[2:3]
.LBB236_161:
	s_or_b64 exec, exec, s[14:15]
.LBB236_162:
	s_or_b64 exec, exec, s[12:13]
	v_cvt_f16_f32_e32 v4, v7
	v_cvt_f16_f32_sdwa v6, v6 dst_sel:WORD_1 dst_unused:UNUSED_PAD src0_sel:DWORD
	s_nop 0
	v_or_b32_e32 v8, v6, v4
.LBB236_163:
	s_or_b64 exec, exec, s[10:11]
	s_waitcnt vmcnt(0)
	v_or_b32_e32 v9, 0x100, v0
	v_cmp_gt_i32_e32 vcc, s24, v9
                                        ; implicit-def: $vgpr10
	s_and_saveexec_b64 s[10:11], vcc
	s_cbranch_execz .LBB236_195
; %bb.164:
	v_cvt_f32_f16_sdwa v6, v3 dst_sel:DWORD dst_unused:UNUSED_PAD src0_sel:WORD_1
	v_mov_b32_e32 v7, 0
	v_cmp_neq_f16_e32 vcc, 0, v3
	v_cmp_neq_f16_sdwa s[2:3], v3, v7 src0_sel:WORD_1 src1_sel:DWORD
	s_or_b64 s[2:3], vcc, s[2:3]
	s_and_saveexec_b64 s[12:13], s[2:3]
	s_cbranch_execz .LBB236_194
; %bb.165:
	v_mov_b32_e32 v7, 0x7f800000
	v_cmp_neq_f32_e64 s[2:3], |v6|, v7
	s_and_saveexec_b64 s[14:15], s[2:3]
	s_cbranch_execz .LBB236_193
; %bb.166:
	v_cvt_f32_f16_e32 v7, v3
	v_cmp_o_f16_e32 vcc, v3, v3
	s_and_saveexec_b64 s[2:3], vcc
	s_xor_b64 s[16:17], exec, s[2:3]
	s_cbranch_execz .LBB236_190
; %bb.167:
	s_mov_b32 s2, 0x7f800000
	v_cmp_neq_f32_e64 s[2:3], |v7|, s2
	s_and_saveexec_b64 s[4:5], s[2:3]
	s_xor_b64 s[18:19], exec, s[4:5]
	s_cbranch_execz .LBB236_183
; %bb.168:
	v_max_f32_e64 v3, |v6|, |v6|
	v_max_f32_e64 v4, |v7|, |v7|
	v_max_f32_e32 v3, v4, v3
	s_mov_b32 s2, 0x7ed413cb
	v_cmp_nle_f32_e64 s[2:3], s2, v3
                                        ; implicit-def: $sgpr20_sgpr21
	s_and_saveexec_b64 s[4:5], s[2:3]
	s_xor_b64 s[4:5], exec, s[4:5]
	s_cbranch_execz .LBB236_172
; %bb.169:
	s_mov_b32 s7, 0x1000000
	v_cmp_le_f32_e64 s[20:21], |v7|, s7
	v_cmp_le_f32_e64 s[22:23], |v6|, s7
	s_and_b64 s[26:27], s[20:21], s[22:23]
	s_mov_b64 s[20:21], 0
	s_and_saveexec_b64 s[22:23], s[26:27]
; %bb.170:
	s_mov_b64 s[20:21], exec
	v_pk_mul_f32 v[6:7], v[6:7], 4.0 op_sel_hi:[1,0]
; %bb.171:
	s_or_b64 exec, exec, s[22:23]
.LBB236_172:
	s_andn2_saveexec_b64 s[4:5], s[4:5]
; %bb.173:
	s_mov_b32 s22, 0x3e800000
	v_pk_mul_f32 v[6:7], v[6:7], s[22:23] op_sel_hi:[1,0]
	s_andn2_b64 s[20:21], s[20:21], exec
; %bb.174:
	s_or_b64 exec, exec, s[4:5]
	v_max_f32_e64 v3, |v6|, |v6|
	v_max_f32_e64 v4, |v7|, |v7|
	v_max_f32_e32 v3, v4, v3
	v_cvt_f64_f32_e32 v[10:11], v3
	v_frexp_exp_i32_f64_e32 v4, v[10:11]
	v_sub_u32_e32 v10, 0, v4
	v_ldexp_f32 v11, |v7|, v10
	v_ldexp_f32 v10, |v6|, v10
	v_mul_f32_e32 v10, v10, v10
	v_fmac_f32_e32 v10, v11, v11
	v_sqrt_f32_e32 v10, v10
	s_mov_b32 s4, 0x7f800000
	v_cmp_neq_f32_e64 s[4:5], s4, v3
	v_cmp_le_f32_e32 vcc, 0, v7
	v_ldexp_f32 v4, v10, v4
	v_mov_b32_e32 v10, 0x7f800000
	v_cndmask_b32_e64 v10, v10, v4, s[4:5]
                                        ; implicit-def: $vgpr4
                                        ; implicit-def: $vgpr3
	s_and_saveexec_b64 s[4:5], vcc
	s_xor_b64 s[22:23], exec, s[4:5]
	s_cbranch_execz .LBB236_176
; %bb.175:
	v_add_f32_e32 v3, v7, v10
	v_mul_f32_e32 v3, 0.5, v3
	s_mov_b32 s4, 0xf800000
	v_mul_f32_e32 v4, 0x4f800000, v3
	v_cmp_gt_f32_e32 vcc, s4, v3
	s_nop 1
	v_cndmask_b32_e32 v3, v3, v4, vcc
	v_sqrt_f32_e32 v4, v3
	s_nop 0
	v_add_u32_e32 v7, -1, v4
	v_fma_f32 v10, -v7, v4, v3
	v_cmp_ge_f32_e64 s[4:5], 0, v10
	v_add_u32_e32 v10, 1, v4
	s_nop 0
	v_cndmask_b32_e64 v7, v4, v7, s[4:5]
	v_fma_f32 v4, -v10, v4, v3
	v_cmp_lt_f32_e64 s[4:5], 0, v4
	s_nop 1
	v_cndmask_b32_e64 v4, v7, v10, s[4:5]
	v_mul_f32_e32 v7, 0x37800000, v4
	v_cndmask_b32_e32 v4, v4, v7, vcc
	v_mov_b32_e32 v7, 0x260
	v_cmp_class_f32_e32 vcc, v3, v7
	s_nop 1
	v_cndmask_b32_e32 v3, v4, v3, vcc
	v_add_f32_e32 v4, v3, v3
	v_div_scale_f32 v7, s[4:5], v4, v4, v6
	v_rcp_f32_e32 v10, v7
	s_nop 0
	v_fma_f32 v11, -v7, v10, 1.0
	v_fmac_f32_e32 v10, v11, v10
	v_div_scale_f32 v11, vcc, v6, v4, v6
	v_mul_f32_e32 v12, v11, v10
	v_fma_f32 v13, -v7, v12, v11
	v_fmac_f32_e32 v12, v13, v10
	v_fma_f32 v7, -v7, v12, v11
	v_div_fmas_f32 v7, v7, v10, v12
	v_div_fixup_f32 v4, v7, v4, v6
                                        ; implicit-def: $vgpr10
                                        ; implicit-def: $vgpr6_vgpr7
	s_andn2_saveexec_b64 s[22:23], s[22:23]
	s_cbranch_execz .LBB236_178
	s_branch .LBB236_177
.LBB236_176:
	s_andn2_saveexec_b64 s[22:23], s[22:23]
	s_cbranch_execz .LBB236_178
.LBB236_177:
	v_sub_f32_e32 v3, v10, v7
	v_mul_f32_e32 v3, 0.5, v3
	s_mov_b32 s4, 0xf800000
	v_mul_f32_e32 v4, 0x4f800000, v3
	v_cmp_gt_f32_e32 vcc, s4, v3
	s_nop 1
	v_cndmask_b32_e32 v3, v3, v4, vcc
	v_sqrt_f32_e32 v4, v3
	s_nop 0
	v_add_u32_e32 v7, -1, v4
	v_fma_f32 v10, -v7, v4, v3
	v_cmp_ge_f32_e64 s[4:5], 0, v10
	v_add_u32_e32 v10, 1, v4
	s_nop 0
	v_cndmask_b32_e64 v7, v4, v7, s[4:5]
	v_fma_f32 v4, -v10, v4, v3
	v_cmp_lt_f32_e64 s[4:5], 0, v4
	s_nop 1
	v_cndmask_b32_e64 v4, v7, v10, s[4:5]
	v_mul_f32_e32 v7, 0x37800000, v4
	v_cndmask_b32_e32 v4, v4, v7, vcc
	v_mov_b32_e32 v7, 0x260
	v_cmp_class_f32_e32 vcc, v3, v7
	v_and_b32_e32 v7, 0x7fffffff, v6
	s_nop 0
	v_cndmask_b32_e32 v4, v4, v3, vcc
	v_add_f32_e32 v3, v4, v4
	v_div_scale_f32 v10, s[4:5], v3, v3, v7
	v_rcp_f32_e32 v11, v10
	v_div_scale_f32 v7, vcc, v7, v3, v7
	s_brev_b32 s4, -2
	v_fma_f32 v12, -v10, v11, 1.0
	v_fmac_f32_e32 v11, v12, v11
	v_mul_f32_e32 v12, v7, v11
	v_fma_f32 v13, -v10, v12, v7
	v_fmac_f32_e32 v12, v13, v11
	v_fma_f32 v7, -v10, v12, v7
	v_div_fmas_f32 v7, v7, v11, v12
	v_div_fixup_f32 v3, v7, v3, |v6|
	v_bfi_b32 v4, s4, v4, v6
.LBB236_178:
	s_or_b64 exec, exec, s[22:23]
                                        ; implicit-def: $vgpr6
	s_and_saveexec_b64 s[4:5], s[2:3]
	s_xor_b64 s[2:3], exec, s[4:5]
	s_cbranch_execz .LBB236_180
; %bb.179:
	v_mul_f32_e32 v6, 0.5, v3
	v_mul_f32_e32 v10, 0.5, v4
	v_cndmask_b32_e64 v7, v3, v6, s[20:21]
	v_cndmask_b32_e64 v6, v4, v10, s[20:21]
                                        ; implicit-def: $vgpr3
                                        ; implicit-def: $vgpr4
	s_andn2_saveexec_b64 s[2:3], s[2:3]
	s_cbranch_execnz .LBB236_181
	s_branch .LBB236_182
.LBB236_180:
	s_andn2_saveexec_b64 s[2:3], s[2:3]
.LBB236_181:
	v_add_f32_e32 v7, v3, v3
	v_add_f32_e32 v6, v4, v4
.LBB236_182:
	s_or_b64 exec, exec, s[2:3]
.LBB236_183:
	s_andn2_saveexec_b64 s[2:3], s[18:19]
	s_cbranch_execz .LBB236_189
; %bb.184:
	v_and_b32_e32 v3, 0x8000, v3
	v_cmp_ne_u32_e32 vcc, 0, v3
	v_sub_f32_e32 v3, v6, v6
	s_and_saveexec_b64 s[4:5], vcc
	s_xor_b64 s[4:5], exec, s[4:5]
; %bb.185:
	s_brev_b32 s7, -2
	v_and_b32_e32 v3, 0x7fffffff, v3
	v_bfi_b32 v6, s7, v7, v6
	v_mov_b32_e32 v7, v3
                                        ; implicit-def: $vgpr3
; %bb.186:
	s_andn2_saveexec_b64 s[4:5], s[4:5]
; %bb.187:
	s_brev_b32 s7, -2
	v_bfi_b32 v6, s7, v3, v6
; %bb.188:
	s_or_b64 exec, exec, s[4:5]
.LBB236_189:
	s_or_b64 exec, exec, s[2:3]
.LBB236_190:
	s_andn2_saveexec_b64 s[2:3], s[16:17]
	s_cbranch_execz .LBB236_192
; %bb.191:
	v_sub_f32_e32 v3, v6, v6
	v_div_scale_f32 v4, vcc, v3, v3, v3
	v_rcp_f32_e32 v6, v4
	s_nop 0
	v_fma_f32 v10, -v4, v6, 1.0
	v_fmac_f32_e32 v6, v10, v6
	v_mul_f32_e32 v10, v4, v6
	v_fma_f32 v11, -v4, v10, v4
	v_fmac_f32_e32 v10, v11, v6
	v_fma_f32 v4, -v4, v10, v4
	v_div_fmas_f32 v4, v4, v6, v10
	v_div_fixup_f32 v6, v4, v3, v3
.LBB236_192:
	s_or_b64 exec, exec, s[2:3]
.LBB236_193:
	s_or_b64 exec, exec, s[14:15]
.LBB236_194:
	s_or_b64 exec, exec, s[12:13]
	v_cvt_f16_f32_e32 v3, v7
	v_cvt_f16_f32_sdwa v4, v6 dst_sel:WORD_1 dst_unused:UNUSED_PAD src0_sel:DWORD
	s_nop 0
	v_or_b32_e32 v10, v4, v3
.LBB236_195:
	s_or_b64 exec, exec, s[10:11]
	v_or_b32_e32 v3, 0x200, v0
	v_cmp_gt_i32_e32 vcc, s24, v3
                                        ; implicit-def: $vgpr6
	s_and_saveexec_b64 s[10:11], vcc
	s_cbranch_execz .LBB236_227
; %bb.196:
	v_cvt_f32_f16_sdwa v6, v5 dst_sel:DWORD dst_unused:UNUSED_PAD src0_sel:WORD_1
	v_mov_b32_e32 v7, 0
	v_cmp_neq_f16_e32 vcc, 0, v5
	v_cmp_neq_f16_sdwa s[2:3], v5, v7 src0_sel:WORD_1 src1_sel:DWORD
	s_or_b64 s[2:3], vcc, s[2:3]
	s_and_saveexec_b64 s[12:13], s[2:3]
	s_cbranch_execz .LBB236_226
; %bb.197:
	v_mov_b32_e32 v7, 0x7f800000
	v_cmp_neq_f32_e64 s[2:3], |v6|, v7
	s_and_saveexec_b64 s[14:15], s[2:3]
	s_cbranch_execz .LBB236_225
; %bb.198:
	v_cvt_f32_f16_e32 v7, v5
	v_cmp_o_f16_e32 vcc, v5, v5
	s_and_saveexec_b64 s[2:3], vcc
	s_xor_b64 s[16:17], exec, s[2:3]
	s_cbranch_execz .LBB236_222
; %bb.199:
	s_mov_b32 s2, 0x7f800000
	v_cmp_neq_f32_e64 s[2:3], |v7|, s2
	s_and_saveexec_b64 s[4:5], s[2:3]
	s_xor_b64 s[18:19], exec, s[4:5]
	s_cbranch_execz .LBB236_215
; %bb.200:
	v_max_f32_e64 v3, |v6|, |v6|
	v_max_f32_e64 v4, |v7|, |v7|
	v_max_f32_e32 v3, v4, v3
	s_mov_b32 s2, 0x7ed413cb
	v_cmp_nle_f32_e64 s[2:3], s2, v3
                                        ; implicit-def: $sgpr20_sgpr21
	s_and_saveexec_b64 s[4:5], s[2:3]
	s_xor_b64 s[4:5], exec, s[4:5]
	s_cbranch_execz .LBB236_204
; %bb.201:
	s_mov_b32 s7, 0x1000000
	v_cmp_le_f32_e64 s[20:21], |v7|, s7
	v_cmp_le_f32_e64 s[22:23], |v6|, s7
	s_and_b64 s[26:27], s[20:21], s[22:23]
	s_mov_b64 s[20:21], 0
	s_and_saveexec_b64 s[22:23], s[26:27]
; %bb.202:
	s_mov_b64 s[20:21], exec
	v_pk_mul_f32 v[6:7], v[6:7], 4.0 op_sel_hi:[1,0]
; %bb.203:
	s_or_b64 exec, exec, s[22:23]
.LBB236_204:
	s_andn2_saveexec_b64 s[4:5], s[4:5]
; %bb.205:
	s_mov_b32 s22, 0x3e800000
	v_pk_mul_f32 v[6:7], v[6:7], s[22:23] op_sel_hi:[1,0]
	s_andn2_b64 s[20:21], s[20:21], exec
; %bb.206:
	s_or_b64 exec, exec, s[4:5]
	v_max_f32_e64 v3, |v6|, |v6|
	v_max_f32_e64 v4, |v7|, |v7|
	v_max_f32_e32 v3, v4, v3
	v_cvt_f64_f32_e32 v[4:5], v3
	v_frexp_exp_i32_f64_e32 v4, v[4:5]
	v_sub_u32_e32 v5, 0, v4
	v_ldexp_f32 v11, |v7|, v5
	v_ldexp_f32 v5, |v6|, v5
	v_mul_f32_e32 v5, v5, v5
	v_fmac_f32_e32 v5, v11, v11
	v_sqrt_f32_e32 v5, v5
	s_mov_b32 s4, 0x7f800000
	v_cmp_neq_f32_e64 s[4:5], s4, v3
	v_cmp_le_f32_e32 vcc, 0, v7
	v_ldexp_f32 v4, v5, v4
	v_mov_b32_e32 v5, 0x7f800000
	v_cndmask_b32_e64 v5, v5, v4, s[4:5]
                                        ; implicit-def: $vgpr4
                                        ; implicit-def: $vgpr3
	s_and_saveexec_b64 s[4:5], vcc
	s_xor_b64 s[22:23], exec, s[4:5]
	s_cbranch_execz .LBB236_208
; %bb.207:
	v_add_f32_e32 v3, v7, v5
	v_mul_f32_e32 v3, 0.5, v3
	s_mov_b32 s4, 0xf800000
	v_mul_f32_e32 v4, 0x4f800000, v3
	v_cmp_gt_f32_e32 vcc, s4, v3
	s_nop 1
	v_cndmask_b32_e32 v3, v3, v4, vcc
	v_sqrt_f32_e32 v4, v3
	s_nop 0
	v_add_u32_e32 v5, -1, v4
	v_fma_f32 v7, -v5, v4, v3
	v_cmp_ge_f32_e64 s[4:5], 0, v7
	v_add_u32_e32 v7, 1, v4
	s_nop 0
	v_cndmask_b32_e64 v5, v4, v5, s[4:5]
	v_fma_f32 v4, -v7, v4, v3
	v_cmp_lt_f32_e64 s[4:5], 0, v4
	s_nop 1
	v_cndmask_b32_e64 v4, v5, v7, s[4:5]
	v_mul_f32_e32 v5, 0x37800000, v4
	v_cndmask_b32_e32 v4, v4, v5, vcc
	v_mov_b32_e32 v5, 0x260
	v_cmp_class_f32_e32 vcc, v3, v5
	s_nop 1
	v_cndmask_b32_e32 v3, v4, v3, vcc
	v_add_f32_e32 v4, v3, v3
	v_div_scale_f32 v5, s[4:5], v4, v4, v6
	v_rcp_f32_e32 v7, v5
	s_nop 0
	v_fma_f32 v11, -v5, v7, 1.0
	v_fmac_f32_e32 v7, v11, v7
	v_div_scale_f32 v11, vcc, v6, v4, v6
	v_mul_f32_e32 v12, v11, v7
	v_fma_f32 v13, -v5, v12, v11
	v_fmac_f32_e32 v12, v13, v7
	v_fma_f32 v5, -v5, v12, v11
	v_div_fmas_f32 v5, v5, v7, v12
	v_div_fixup_f32 v4, v5, v4, v6
                                        ; implicit-def: $vgpr5
                                        ; implicit-def: $vgpr6_vgpr7
	s_andn2_saveexec_b64 s[22:23], s[22:23]
	s_cbranch_execz .LBB236_210
	s_branch .LBB236_209
.LBB236_208:
	s_andn2_saveexec_b64 s[22:23], s[22:23]
	s_cbranch_execz .LBB236_210
.LBB236_209:
	v_sub_f32_e32 v3, v5, v7
	v_mul_f32_e32 v3, 0.5, v3
	s_mov_b32 s4, 0xf800000
	v_mul_f32_e32 v4, 0x4f800000, v3
	v_cmp_gt_f32_e32 vcc, s4, v3
	s_nop 1
	v_cndmask_b32_e32 v3, v3, v4, vcc
	v_sqrt_f32_e32 v4, v3
	s_nop 0
	v_add_u32_e32 v5, -1, v4
	v_fma_f32 v7, -v5, v4, v3
	v_cmp_ge_f32_e64 s[4:5], 0, v7
	v_add_u32_e32 v7, 1, v4
	s_nop 0
	v_cndmask_b32_e64 v5, v4, v5, s[4:5]
	v_fma_f32 v4, -v7, v4, v3
	v_cmp_lt_f32_e64 s[4:5], 0, v4
	s_nop 1
	v_cndmask_b32_e64 v4, v5, v7, s[4:5]
	v_mul_f32_e32 v5, 0x37800000, v4
	v_cndmask_b32_e32 v4, v4, v5, vcc
	v_mov_b32_e32 v5, 0x260
	v_cmp_class_f32_e32 vcc, v3, v5
	v_and_b32_e32 v5, 0x7fffffff, v6
	s_nop 0
	v_cndmask_b32_e32 v4, v4, v3, vcc
	v_add_f32_e32 v3, v4, v4
	v_div_scale_f32 v7, s[4:5], v3, v3, v5
	v_rcp_f32_e32 v11, v7
	v_div_scale_f32 v5, vcc, v5, v3, v5
	s_brev_b32 s4, -2
	v_fma_f32 v12, -v7, v11, 1.0
	v_fmac_f32_e32 v11, v12, v11
	v_mul_f32_e32 v12, v5, v11
	v_fma_f32 v13, -v7, v12, v5
	v_fmac_f32_e32 v12, v13, v11
	v_fma_f32 v5, -v7, v12, v5
	v_div_fmas_f32 v5, v5, v11, v12
	v_div_fixup_f32 v3, v5, v3, |v6|
	v_bfi_b32 v4, s4, v4, v6
.LBB236_210:
	s_or_b64 exec, exec, s[22:23]
                                        ; implicit-def: $vgpr6
	s_and_saveexec_b64 s[4:5], s[2:3]
	s_xor_b64 s[2:3], exec, s[4:5]
	s_cbranch_execz .LBB236_212
; %bb.211:
	v_mul_f32_e32 v5, 0.5, v3
	v_mul_f32_e32 v6, 0.5, v4
	v_cndmask_b32_e64 v7, v3, v5, s[20:21]
	v_cndmask_b32_e64 v6, v4, v6, s[20:21]
                                        ; implicit-def: $vgpr3
                                        ; implicit-def: $vgpr4
	s_andn2_saveexec_b64 s[2:3], s[2:3]
	s_cbranch_execnz .LBB236_213
	s_branch .LBB236_214
.LBB236_212:
	s_andn2_saveexec_b64 s[2:3], s[2:3]
.LBB236_213:
	v_add_f32_e32 v7, v3, v3
	v_add_f32_e32 v6, v4, v4
.LBB236_214:
	s_or_b64 exec, exec, s[2:3]
                                        ; implicit-def: $vgpr5
.LBB236_215:
	s_andn2_saveexec_b64 s[2:3], s[18:19]
	s_cbranch_execz .LBB236_221
; %bb.216:
	v_and_b32_e32 v3, 0x8000, v5
	v_cmp_ne_u32_e32 vcc, 0, v3
	v_sub_f32_e32 v3, v6, v6
	s_and_saveexec_b64 s[4:5], vcc
	s_xor_b64 s[4:5], exec, s[4:5]
; %bb.217:
	s_brev_b32 s7, -2
	v_and_b32_e32 v3, 0x7fffffff, v3
	v_bfi_b32 v6, s7, v7, v6
	v_mov_b32_e32 v7, v3
                                        ; implicit-def: $vgpr3
; %bb.218:
	s_andn2_saveexec_b64 s[4:5], s[4:5]
; %bb.219:
	s_brev_b32 s7, -2
	v_bfi_b32 v6, s7, v3, v6
; %bb.220:
	s_or_b64 exec, exec, s[4:5]
.LBB236_221:
	s_or_b64 exec, exec, s[2:3]
.LBB236_222:
	s_andn2_saveexec_b64 s[2:3], s[16:17]
	s_cbranch_execz .LBB236_224
; %bb.223:
	v_sub_f32_e32 v3, v6, v6
	v_div_scale_f32 v4, vcc, v3, v3, v3
	v_rcp_f32_e32 v5, v4
	s_nop 0
	v_fma_f32 v6, -v4, v5, 1.0
	v_fmac_f32_e32 v5, v6, v5
	v_mul_f32_e32 v6, v4, v5
	v_fma_f32 v11, -v4, v6, v4
	v_fmac_f32_e32 v6, v11, v5
	v_fma_f32 v4, -v4, v6, v4
	v_div_fmas_f32 v4, v4, v5, v6
	v_div_fixup_f32 v6, v4, v3, v3
.LBB236_224:
	s_or_b64 exec, exec, s[2:3]
.LBB236_225:
	s_or_b64 exec, exec, s[14:15]
.LBB236_226:
	s_or_b64 exec, exec, s[12:13]
	v_cvt_f16_f32_e32 v3, v7
	v_cvt_f16_f32_sdwa v4, v6 dst_sel:WORD_1 dst_unused:UNUSED_PAD src0_sel:DWORD
	s_nop 0
	v_or_b32_e32 v6, v4, v3
.LBB236_227:
	s_or_b64 exec, exec, s[10:11]
	v_or_b32_e32 v3, 0x300, v0
	v_cmp_gt_i32_e32 vcc, s24, v3
                                        ; implicit-def: $vgpr4
	s_and_saveexec_b64 s[10:11], vcc
	s_cbranch_execz .LBB236_240
; %bb.228:
	v_cvt_f32_f16_sdwa v4, v1 dst_sel:DWORD dst_unused:UNUSED_PAD src0_sel:WORD_1
	v_mov_b32_e32 v5, 0
	v_cmp_neq_f16_e32 vcc, 0, v1
	v_cmp_neq_f16_sdwa s[2:3], v1, v5 src0_sel:WORD_1 src1_sel:DWORD
	s_or_b64 s[2:3], vcc, s[2:3]
	s_and_saveexec_b64 s[12:13], s[2:3]
	s_cbranch_execz .LBB236_262
; %bb.229:
	v_mov_b32_e32 v5, 0x7f800000
	v_cmp_neq_f32_e64 s[2:3], |v4|, v5
	s_and_saveexec_b64 s[14:15], s[2:3]
	s_cbranch_execz .LBB236_261
; %bb.230:
	v_cvt_f32_f16_e32 v5, v1
	v_cmp_o_f16_e32 vcc, v1, v1
	s_and_saveexec_b64 s[2:3], vcc
	s_xor_b64 s[16:17], exec, s[2:3]
	s_cbranch_execz .LBB236_258
; %bb.231:
	s_mov_b32 s2, 0x7f800000
	v_cmp_neq_f32_e64 s[2:3], |v5|, s2
	s_and_saveexec_b64 s[4:5], s[2:3]
	s_xor_b64 s[18:19], exec, s[4:5]
	s_cbranch_execz .LBB236_251
; %bb.232:
	v_max_f32_e64 v1, |v4|, |v4|
	v_max_f32_e64 v3, |v5|, |v5|
	v_max_f32_e32 v1, v3, v1
	s_mov_b32 s2, 0x7ed413cb
	v_cmp_nle_f32_e64 s[2:3], s2, v1
                                        ; implicit-def: $sgpr20_sgpr21
	s_and_saveexec_b64 s[4:5], s[2:3]
	s_xor_b64 s[4:5], exec, s[4:5]
	s_cbranch_execz .LBB236_236
; %bb.233:
	s_mov_b32 s7, 0x1000000
	v_cmp_le_f32_e64 s[20:21], |v5|, s7
	v_cmp_le_f32_e64 s[22:23], |v4|, s7
	s_and_b64 s[26:27], s[20:21], s[22:23]
	s_mov_b64 s[20:21], 0
	s_and_saveexec_b64 s[22:23], s[26:27]
; %bb.234:
	s_mov_b64 s[20:21], exec
	v_pk_mul_f32 v[4:5], v[4:5], 4.0 op_sel_hi:[1,0]
; %bb.235:
	s_or_b64 exec, exec, s[22:23]
.LBB236_236:
	s_andn2_saveexec_b64 s[4:5], s[4:5]
; %bb.237:
	s_mov_b32 s22, 0x3e800000
	v_pk_mul_f32 v[4:5], v[4:5], s[22:23] op_sel_hi:[1,0]
	s_andn2_b64 s[20:21], s[20:21], exec
; %bb.238:
	s_or_b64 exec, exec, s[4:5]
	v_max_f32_e64 v1, |v4|, |v4|
	v_max_f32_e64 v3, |v5|, |v5|
	v_max_f32_e32 v1, v3, v1
	v_cvt_f64_f32_e32 v[12:13], v1
	v_frexp_exp_i32_f64_e32 v3, v[12:13]
	v_sub_u32_e32 v7, 0, v3
	v_ldexp_f32 v11, |v5|, v7
	v_ldexp_f32 v7, |v4|, v7
	v_mul_f32_e32 v7, v7, v7
	v_fmac_f32_e32 v7, v11, v11
	v_sqrt_f32_e32 v7, v7
	s_mov_b32 s4, 0x7f800000
	v_cmp_neq_f32_e64 s[4:5], s4, v1
	v_cmp_le_f32_e32 vcc, 0, v5
	v_ldexp_f32 v3, v7, v3
	v_mov_b32_e32 v7, 0x7f800000
	v_cndmask_b32_e64 v7, v7, v3, s[4:5]
                                        ; implicit-def: $vgpr3
                                        ; implicit-def: $vgpr1
	s_and_saveexec_b64 s[4:5], vcc
	s_xor_b64 s[22:23], exec, s[4:5]
	s_cbranch_execz .LBB236_244
; %bb.239:
	v_add_f32_e32 v1, v5, v7
	v_mul_f32_e32 v1, 0.5, v1
	s_mov_b32 s4, 0xf800000
	v_mul_f32_e32 v3, 0x4f800000, v1
	v_cmp_gt_f32_e32 vcc, s4, v1
	s_nop 1
	v_cndmask_b32_e32 v1, v1, v3, vcc
	v_sqrt_f32_e32 v3, v1
	s_nop 0
	v_add_u32_e32 v5, -1, v3
	v_fma_f32 v7, -v5, v3, v1
	v_cmp_ge_f32_e64 s[4:5], 0, v7
	v_add_u32_e32 v7, 1, v3
	s_nop 0
	v_cndmask_b32_e64 v5, v3, v5, s[4:5]
	v_fma_f32 v3, -v7, v3, v1
	v_cmp_lt_f32_e64 s[4:5], 0, v3
	s_nop 1
	v_cndmask_b32_e64 v3, v5, v7, s[4:5]
	v_mul_f32_e32 v5, 0x37800000, v3
	v_cndmask_b32_e32 v3, v3, v5, vcc
	v_mov_b32_e32 v5, 0x260
	v_cmp_class_f32_e32 vcc, v1, v5
	s_nop 1
	v_cndmask_b32_e32 v1, v3, v1, vcc
	v_add_f32_e32 v3, v1, v1
	v_div_scale_f32 v5, s[4:5], v3, v3, v4
	v_rcp_f32_e32 v7, v5
	s_nop 0
	v_fma_f32 v11, -v5, v7, 1.0
	v_fmac_f32_e32 v7, v11, v7
	v_div_scale_f32 v11, vcc, v4, v3, v4
	v_mul_f32_e32 v12, v11, v7
	v_fma_f32 v13, -v5, v12, v11
	v_fmac_f32_e32 v12, v13, v7
	v_fma_f32 v5, -v5, v12, v11
	v_div_fmas_f32 v5, v5, v7, v12
	v_div_fixup_f32 v3, v5, v3, v4
                                        ; implicit-def: $vgpr7
                                        ; implicit-def: $vgpr4_vgpr5
	s_andn2_saveexec_b64 s[22:23], s[22:23]
	s_cbranch_execz .LBB236_246
	s_branch .LBB236_245
.LBB236_240:
	s_or_b64 exec, exec, s[10:11]
	s_and_saveexec_b64 s[2:3], s[0:1]
	s_xor_b64 s[0:1], exec, s[2:3]
	s_cbranch_execz .LBB236_263
.LBB236_241:
	v_mov_b32_e32 v3, 0
	v_lshl_add_u64 v[0:1], v[2:3], 2, s[8:9]
	global_store_dword v[0:1], v8, off
	v_mov_b32_e32 v0, v9
	s_or_b64 exec, exec, s[0:1]
	v_cmp_gt_i32_e32 vcc, s24, v0
	s_and_saveexec_b64 s[0:1], vcc
	s_cbranch_execnz .LBB236_264
.LBB236_242:
	s_or_b64 exec, exec, s[0:1]
	v_cmp_gt_i32_e32 vcc, s24, v0
	s_and_saveexec_b64 s[0:1], vcc
	s_cbranch_execz .LBB236_265
.LBB236_243:
	v_add_u32_e32 v2, s6, v0
	v_mov_b32_e32 v3, 0
	v_lshl_add_u64 v[2:3], v[2:3], 2, s[8:9]
	v_add_u32_e32 v0, 0x100, v0
	global_store_dword v[2:3], v6, off
	s_or_b64 exec, exec, s[0:1]
	v_cmp_gt_i32_e32 vcc, s24, v0
	s_and_saveexec_b64 s[0:1], vcc
	s_cbranch_execnz .LBB236_266
	s_branch .LBB236_267
.LBB236_244:
	s_andn2_saveexec_b64 s[22:23], s[22:23]
	s_cbranch_execz .LBB236_246
.LBB236_245:
	v_sub_f32_e32 v1, v7, v5
	v_mul_f32_e32 v1, 0.5, v1
	s_mov_b32 s4, 0xf800000
	v_mul_f32_e32 v3, 0x4f800000, v1
	v_cmp_gt_f32_e32 vcc, s4, v1
	s_nop 1
	v_cndmask_b32_e32 v1, v1, v3, vcc
	v_sqrt_f32_e32 v3, v1
	s_nop 0
	v_add_u32_e32 v5, -1, v3
	v_fma_f32 v7, -v5, v3, v1
	v_cmp_ge_f32_e64 s[4:5], 0, v7
	v_add_u32_e32 v7, 1, v3
	s_nop 0
	v_cndmask_b32_e64 v5, v3, v5, s[4:5]
	v_fma_f32 v3, -v7, v3, v1
	v_cmp_lt_f32_e64 s[4:5], 0, v3
	s_nop 1
	v_cndmask_b32_e64 v3, v5, v7, s[4:5]
	v_mul_f32_e32 v5, 0x37800000, v3
	v_cndmask_b32_e32 v3, v3, v5, vcc
	v_mov_b32_e32 v5, 0x260
	v_cmp_class_f32_e32 vcc, v1, v5
	v_and_b32_e32 v5, 0x7fffffff, v4
	s_nop 0
	v_cndmask_b32_e32 v3, v3, v1, vcc
	v_add_f32_e32 v1, v3, v3
	v_div_scale_f32 v7, s[4:5], v1, v1, v5
	v_rcp_f32_e32 v11, v7
	v_div_scale_f32 v5, vcc, v5, v1, v5
	s_brev_b32 s4, -2
	v_fma_f32 v12, -v7, v11, 1.0
	v_fmac_f32_e32 v11, v12, v11
	v_mul_f32_e32 v12, v5, v11
	v_fma_f32 v13, -v7, v12, v5
	v_fmac_f32_e32 v12, v13, v11
	v_fma_f32 v5, -v7, v12, v5
	v_div_fmas_f32 v5, v5, v11, v12
	v_div_fixup_f32 v1, v5, v1, |v4|
	v_bfi_b32 v3, s4, v3, v4
.LBB236_246:
	s_or_b64 exec, exec, s[22:23]
                                        ; implicit-def: $vgpr4
	s_and_saveexec_b64 s[4:5], s[2:3]
	s_xor_b64 s[2:3], exec, s[4:5]
	s_cbranch_execz .LBB236_248
; %bb.247:
	v_mul_f32_e32 v4, 0.5, v1
	v_mul_f32_e32 v7, 0.5, v3
	v_cndmask_b32_e64 v5, v1, v4, s[20:21]
	v_cndmask_b32_e64 v4, v3, v7, s[20:21]
                                        ; implicit-def: $vgpr1
                                        ; implicit-def: $vgpr3
	s_andn2_saveexec_b64 s[2:3], s[2:3]
	s_cbranch_execnz .LBB236_249
	s_branch .LBB236_250
.LBB236_248:
	s_andn2_saveexec_b64 s[2:3], s[2:3]
.LBB236_249:
	v_add_f32_e32 v5, v1, v1
	v_add_f32_e32 v4, v3, v3
.LBB236_250:
	s_or_b64 exec, exec, s[2:3]
                                        ; implicit-def: $vgpr1
.LBB236_251:
	s_andn2_saveexec_b64 s[2:3], s[18:19]
	s_cbranch_execz .LBB236_257
; %bb.252:
	v_and_b32_e32 v1, 0x8000, v1
	v_cmp_ne_u32_e32 vcc, 0, v1
	v_sub_f32_e32 v1, v4, v4
	s_and_saveexec_b64 s[4:5], vcc
	s_xor_b64 s[4:5], exec, s[4:5]
; %bb.253:
	s_brev_b32 s7, -2
	v_and_b32_e32 v1, 0x7fffffff, v1
	v_bfi_b32 v4, s7, v5, v4
	v_mov_b32_e32 v5, v1
                                        ; implicit-def: $vgpr1
; %bb.254:
	s_andn2_saveexec_b64 s[4:5], s[4:5]
; %bb.255:
	s_brev_b32 s7, -2
	v_bfi_b32 v4, s7, v1, v4
; %bb.256:
	s_or_b64 exec, exec, s[4:5]
.LBB236_257:
	s_or_b64 exec, exec, s[2:3]
.LBB236_258:
	s_andn2_saveexec_b64 s[2:3], s[16:17]
	s_cbranch_execz .LBB236_260
; %bb.259:
	v_sub_f32_e32 v1, v4, v4
	v_div_scale_f32 v3, vcc, v1, v1, v1
	v_rcp_f32_e32 v4, v3
	s_nop 0
	v_fma_f32 v7, -v3, v4, 1.0
	v_fmac_f32_e32 v4, v7, v4
	v_mul_f32_e32 v7, v3, v4
	v_fma_f32 v11, -v3, v7, v3
	v_fmac_f32_e32 v7, v11, v4
	v_fma_f32 v3, -v3, v7, v3
	v_div_fmas_f32 v3, v3, v4, v7
	v_div_fixup_f32 v4, v3, v1, v1
.LBB236_260:
	s_or_b64 exec, exec, s[2:3]
.LBB236_261:
	s_or_b64 exec, exec, s[14:15]
.LBB236_262:
	s_or_b64 exec, exec, s[12:13]
	v_cvt_f16_f32_e32 v1, v5
	v_cvt_f16_f32_sdwa v3, v4 dst_sel:WORD_1 dst_unused:UNUSED_PAD src0_sel:DWORD
	s_nop 0
	v_or_b32_e32 v4, v3, v1
	s_or_b64 exec, exec, s[10:11]
	s_and_saveexec_b64 s[2:3], s[0:1]
	s_xor_b64 s[0:1], exec, s[2:3]
	s_cbranch_execnz .LBB236_241
.LBB236_263:
	s_or_b64 exec, exec, s[0:1]
	v_cmp_gt_i32_e32 vcc, s24, v0
	s_and_saveexec_b64 s[0:1], vcc
	s_cbranch_execz .LBB236_242
.LBB236_264:
	v_add_u32_e32 v2, s6, v0
	v_mov_b32_e32 v3, 0
	v_lshl_add_u64 v[2:3], v[2:3], 2, s[8:9]
	v_add_u32_e32 v0, 0x100, v0
	global_store_dword v[2:3], v10, off
	s_or_b64 exec, exec, s[0:1]
	v_cmp_gt_i32_e32 vcc, s24, v0
	s_and_saveexec_b64 s[0:1], vcc
	s_cbranch_execnz .LBB236_243
.LBB236_265:
	s_or_b64 exec, exec, s[0:1]
	v_cmp_gt_i32_e32 vcc, s24, v0
	s_and_saveexec_b64 s[0:1], vcc
	s_cbranch_execz .LBB236_267
.LBB236_266:
	v_add_u32_e32 v0, s6, v0
	v_mov_b32_e32 v1, 0
	v_lshl_add_u64 v[0:1], v[0:1], 2, s[8:9]
	global_store_dword v[0:1], v4, off
.LBB236_267:
	s_endpgm
	.section	.rodata,"a",@progbits
	.p2align	6, 0x0
	.amdhsa_kernel _ZN2at6native29vectorized_elementwise_kernelILi4EZZZNS0_16sqrt_kernel_cudaERNS_18TensorIteratorBaseEENKUlvE_clEvENKUlvE1_clEvEUlN3c107complexINS6_4HalfEEEE_St5arrayIPcLm2EEEEviT0_T1_
		.amdhsa_group_segment_fixed_size 0
		.amdhsa_private_segment_fixed_size 0
		.amdhsa_kernarg_size 24
		.amdhsa_user_sgpr_count 2
		.amdhsa_user_sgpr_dispatch_ptr 0
		.amdhsa_user_sgpr_queue_ptr 0
		.amdhsa_user_sgpr_kernarg_segment_ptr 1
		.amdhsa_user_sgpr_dispatch_id 0
		.amdhsa_user_sgpr_kernarg_preload_length 0
		.amdhsa_user_sgpr_kernarg_preload_offset 0
		.amdhsa_user_sgpr_private_segment_size 0
		.amdhsa_uses_dynamic_stack 0
		.amdhsa_enable_private_segment 0
		.amdhsa_system_sgpr_workgroup_id_x 1
		.amdhsa_system_sgpr_workgroup_id_y 0
		.amdhsa_system_sgpr_workgroup_id_z 0
		.amdhsa_system_sgpr_workgroup_info 0
		.amdhsa_system_vgpr_workitem_id 0
		.amdhsa_next_free_vgpr 17
		.amdhsa_next_free_sgpr 28
		.amdhsa_accum_offset 20
		.amdhsa_reserve_vcc 1
		.amdhsa_float_round_mode_32 0
		.amdhsa_float_round_mode_16_64 0
		.amdhsa_float_denorm_mode_32 3
		.amdhsa_float_denorm_mode_16_64 3
		.amdhsa_dx10_clamp 1
		.amdhsa_ieee_mode 1
		.amdhsa_fp16_overflow 0
		.amdhsa_tg_split 0
		.amdhsa_exception_fp_ieee_invalid_op 0
		.amdhsa_exception_fp_denorm_src 0
		.amdhsa_exception_fp_ieee_div_zero 0
		.amdhsa_exception_fp_ieee_overflow 0
		.amdhsa_exception_fp_ieee_underflow 0
		.amdhsa_exception_fp_ieee_inexact 0
		.amdhsa_exception_int_div_zero 0
	.end_amdhsa_kernel
	.section	.text._ZN2at6native29vectorized_elementwise_kernelILi4EZZZNS0_16sqrt_kernel_cudaERNS_18TensorIteratorBaseEENKUlvE_clEvENKUlvE1_clEvEUlN3c107complexINS6_4HalfEEEE_St5arrayIPcLm2EEEEviT0_T1_,"axG",@progbits,_ZN2at6native29vectorized_elementwise_kernelILi4EZZZNS0_16sqrt_kernel_cudaERNS_18TensorIteratorBaseEENKUlvE_clEvENKUlvE1_clEvEUlN3c107complexINS6_4HalfEEEE_St5arrayIPcLm2EEEEviT0_T1_,comdat
.Lfunc_end236:
	.size	_ZN2at6native29vectorized_elementwise_kernelILi4EZZZNS0_16sqrt_kernel_cudaERNS_18TensorIteratorBaseEENKUlvE_clEvENKUlvE1_clEvEUlN3c107complexINS6_4HalfEEEE_St5arrayIPcLm2EEEEviT0_T1_, .Lfunc_end236-_ZN2at6native29vectorized_elementwise_kernelILi4EZZZNS0_16sqrt_kernel_cudaERNS_18TensorIteratorBaseEENKUlvE_clEvENKUlvE1_clEvEUlN3c107complexINS6_4HalfEEEE_St5arrayIPcLm2EEEEviT0_T1_
                                        ; -- End function
	.set _ZN2at6native29vectorized_elementwise_kernelILi4EZZZNS0_16sqrt_kernel_cudaERNS_18TensorIteratorBaseEENKUlvE_clEvENKUlvE1_clEvEUlN3c107complexINS6_4HalfEEEE_St5arrayIPcLm2EEEEviT0_T1_.num_vgpr, 17
	.set _ZN2at6native29vectorized_elementwise_kernelILi4EZZZNS0_16sqrt_kernel_cudaERNS_18TensorIteratorBaseEENKUlvE_clEvENKUlvE1_clEvEUlN3c107complexINS6_4HalfEEEE_St5arrayIPcLm2EEEEviT0_T1_.num_agpr, 0
	.set _ZN2at6native29vectorized_elementwise_kernelILi4EZZZNS0_16sqrt_kernel_cudaERNS_18TensorIteratorBaseEENKUlvE_clEvENKUlvE1_clEvEUlN3c107complexINS6_4HalfEEEE_St5arrayIPcLm2EEEEviT0_T1_.numbered_sgpr, 28
	.set _ZN2at6native29vectorized_elementwise_kernelILi4EZZZNS0_16sqrt_kernel_cudaERNS_18TensorIteratorBaseEENKUlvE_clEvENKUlvE1_clEvEUlN3c107complexINS6_4HalfEEEE_St5arrayIPcLm2EEEEviT0_T1_.num_named_barrier, 0
	.set _ZN2at6native29vectorized_elementwise_kernelILi4EZZZNS0_16sqrt_kernel_cudaERNS_18TensorIteratorBaseEENKUlvE_clEvENKUlvE1_clEvEUlN3c107complexINS6_4HalfEEEE_St5arrayIPcLm2EEEEviT0_T1_.private_seg_size, 0
	.set _ZN2at6native29vectorized_elementwise_kernelILi4EZZZNS0_16sqrt_kernel_cudaERNS_18TensorIteratorBaseEENKUlvE_clEvENKUlvE1_clEvEUlN3c107complexINS6_4HalfEEEE_St5arrayIPcLm2EEEEviT0_T1_.uses_vcc, 1
	.set _ZN2at6native29vectorized_elementwise_kernelILi4EZZZNS0_16sqrt_kernel_cudaERNS_18TensorIteratorBaseEENKUlvE_clEvENKUlvE1_clEvEUlN3c107complexINS6_4HalfEEEE_St5arrayIPcLm2EEEEviT0_T1_.uses_flat_scratch, 0
	.set _ZN2at6native29vectorized_elementwise_kernelILi4EZZZNS0_16sqrt_kernel_cudaERNS_18TensorIteratorBaseEENKUlvE_clEvENKUlvE1_clEvEUlN3c107complexINS6_4HalfEEEE_St5arrayIPcLm2EEEEviT0_T1_.has_dyn_sized_stack, 0
	.set _ZN2at6native29vectorized_elementwise_kernelILi4EZZZNS0_16sqrt_kernel_cudaERNS_18TensorIteratorBaseEENKUlvE_clEvENKUlvE1_clEvEUlN3c107complexINS6_4HalfEEEE_St5arrayIPcLm2EEEEviT0_T1_.has_recursion, 0
	.set _ZN2at6native29vectorized_elementwise_kernelILi4EZZZNS0_16sqrt_kernel_cudaERNS_18TensorIteratorBaseEENKUlvE_clEvENKUlvE1_clEvEUlN3c107complexINS6_4HalfEEEE_St5arrayIPcLm2EEEEviT0_T1_.has_indirect_call, 0
	.section	.AMDGPU.csdata,"",@progbits
; Kernel info:
; codeLenInByte = 9340
; TotalNumSgprs: 34
; NumVgprs: 17
; NumAgprs: 0
; TotalNumVgprs: 17
; ScratchSize: 0
; MemoryBound: 0
; FloatMode: 240
; IeeeMode: 1
; LDSByteSize: 0 bytes/workgroup (compile time only)
; SGPRBlocks: 4
; VGPRBlocks: 2
; NumSGPRsForWavesPerEU: 34
; NumVGPRsForWavesPerEU: 17
; AccumOffset: 20
; Occupancy: 8
; WaveLimiterHint : 0
; COMPUTE_PGM_RSRC2:SCRATCH_EN: 0
; COMPUTE_PGM_RSRC2:USER_SGPR: 2
; COMPUTE_PGM_RSRC2:TRAP_HANDLER: 0
; COMPUTE_PGM_RSRC2:TGID_X_EN: 1
; COMPUTE_PGM_RSRC2:TGID_Y_EN: 0
; COMPUTE_PGM_RSRC2:TGID_Z_EN: 0
; COMPUTE_PGM_RSRC2:TIDIG_COMP_CNT: 0
; COMPUTE_PGM_RSRC3_GFX90A:ACCUM_OFFSET: 4
; COMPUTE_PGM_RSRC3_GFX90A:TG_SPLIT: 0
	.section	.text._ZN2at6native29vectorized_elementwise_kernelILi2EZZZNS0_16sqrt_kernel_cudaERNS_18TensorIteratorBaseEENKUlvE_clEvENKUlvE1_clEvEUlN3c107complexINS6_4HalfEEEE_St5arrayIPcLm2EEEEviT0_T1_,"axG",@progbits,_ZN2at6native29vectorized_elementwise_kernelILi2EZZZNS0_16sqrt_kernel_cudaERNS_18TensorIteratorBaseEENKUlvE_clEvENKUlvE1_clEvEUlN3c107complexINS6_4HalfEEEE_St5arrayIPcLm2EEEEviT0_T1_,comdat
	.globl	_ZN2at6native29vectorized_elementwise_kernelILi2EZZZNS0_16sqrt_kernel_cudaERNS_18TensorIteratorBaseEENKUlvE_clEvENKUlvE1_clEvEUlN3c107complexINS6_4HalfEEEE_St5arrayIPcLm2EEEEviT0_T1_ ; -- Begin function _ZN2at6native29vectorized_elementwise_kernelILi2EZZZNS0_16sqrt_kernel_cudaERNS_18TensorIteratorBaseEENKUlvE_clEvENKUlvE1_clEvEUlN3c107complexINS6_4HalfEEEE_St5arrayIPcLm2EEEEviT0_T1_
	.p2align	8
	.type	_ZN2at6native29vectorized_elementwise_kernelILi2EZZZNS0_16sqrt_kernel_cudaERNS_18TensorIteratorBaseEENKUlvE_clEvENKUlvE1_clEvEUlN3c107complexINS6_4HalfEEEE_St5arrayIPcLm2EEEEviT0_T1_,@function
_ZN2at6native29vectorized_elementwise_kernelILi2EZZZNS0_16sqrt_kernel_cudaERNS_18TensorIteratorBaseEENKUlvE_clEvENKUlvE1_clEvEUlN3c107complexINS6_4HalfEEEE_St5arrayIPcLm2EEEEviT0_T1_: ; @_ZN2at6native29vectorized_elementwise_kernelILi2EZZZNS0_16sqrt_kernel_cudaERNS_18TensorIteratorBaseEENKUlvE_clEvENKUlvE1_clEvEUlN3c107complexINS6_4HalfEEEE_St5arrayIPcLm2EEEEviT0_T1_
; %bb.0:
	s_load_dword s3, s[0:1], 0x0
	s_load_dwordx4 s[8:11], s[0:1], 0x8
	s_lshl_b32 s6, s2, 10
	s_mov_b64 s[0:1], -1
	s_waitcnt lgkmcnt(0)
	s_sub_i32 s24, s3, s6
	s_cmpk_gt_i32 s24, 0x3ff
	s_cbranch_scc0 .LBB237_122
; %bb.1:
	s_ashr_i32 s7, s6, 31
	s_lshl_b64 s[4:5], s[6:7], 2
	s_add_u32 s0, s10, s4
	s_addc_u32 s1, s11, s5
	v_lshlrev_b32_e32 v1, 3, v0
	global_load_dwordx2 v[8:9], v1, s[0:1]
	global_load_dwordx2 v[6:7], v1, s[0:1] offset:2048
	v_mov_b32_e32 v10, 0
	v_mov_b32_e32 v3, 0
	;; [unrolled: 1-line block ×3, first 2 shown]
	s_waitcnt vmcnt(1)
	v_cvt_f32_f16_sdwa v4, v8 dst_sel:DWORD dst_unused:UNUSED_PAD src0_sel:WORD_1
	v_cmp_neq_f16_e32 vcc, 0, v8
	v_cmp_neq_f16_sdwa s[0:1], v8, v10 src0_sel:WORD_1 src1_sel:DWORD
	s_or_b64 s[0:1], vcc, s[0:1]
	s_and_saveexec_b64 s[12:13], s[0:1]
	s_cbranch_execz .LBB237_31
; %bb.2:
	v_mov_b32_e32 v5, 0x7f800000
	v_cmp_neq_f32_e64 s[0:1], |v4|, v5
	s_and_saveexec_b64 s[14:15], s[0:1]
	s_cbranch_execz .LBB237_30
; %bb.3:
	v_cvt_f32_f16_e32 v5, v8
	v_cmp_o_f16_e32 vcc, v8, v8
	s_and_saveexec_b64 s[0:1], vcc
	s_xor_b64 s[16:17], exec, s[0:1]
	s_cbranch_execz .LBB237_27
; %bb.4:
	s_mov_b32 s0, 0x7f800000
	v_cmp_neq_f32_e64 s[0:1], |v5|, s0
	s_and_saveexec_b64 s[2:3], s[0:1]
	s_xor_b64 s[18:19], exec, s[2:3]
	s_cbranch_execz .LBB237_20
; %bb.5:
	v_max_f32_e64 v2, |v4|, |v4|
	v_max_f32_e64 v11, |v5|, |v5|
	v_max_f32_e32 v2, v11, v2
	s_mov_b32 s0, 0x7ed413cb
	v_cmp_nle_f32_e64 s[0:1], s0, v2
                                        ; implicit-def: $sgpr20_sgpr21
	s_and_saveexec_b64 s[2:3], s[0:1]
	s_xor_b64 s[2:3], exec, s[2:3]
	s_cbranch_execz .LBB237_9
; %bb.6:
	s_mov_b32 s7, 0x1000000
	v_cmp_le_f32_e64 s[20:21], |v5|, s7
	v_cmp_le_f32_e64 s[22:23], |v4|, s7
	s_and_b64 s[26:27], s[20:21], s[22:23]
	s_mov_b64 s[20:21], 0
	s_and_saveexec_b64 s[22:23], s[26:27]
; %bb.7:
	s_mov_b64 s[20:21], exec
	v_pk_mul_f32 v[4:5], v[4:5], 4.0 op_sel_hi:[1,0]
; %bb.8:
	s_or_b64 exec, exec, s[22:23]
.LBB237_9:
	s_andn2_saveexec_b64 s[2:3], s[2:3]
; %bb.10:
	s_mov_b32 s22, 0x3e800000
	v_pk_mul_f32 v[4:5], v[4:5], s[22:23] op_sel_hi:[1,0]
	s_andn2_b64 s[20:21], s[20:21], exec
; %bb.11:
	s_or_b64 exec, exec, s[2:3]
	v_max_f32_e64 v2, |v4|, |v4|
	v_max_f32_e64 v11, |v5|, |v5|
	v_max_f32_e32 v2, v11, v2
	v_cvt_f64_f32_e32 v[12:13], v2
	v_frexp_exp_i32_f64_e32 v11, v[12:13]
	v_sub_u32_e32 v12, 0, v11
	v_ldexp_f32 v13, |v5|, v12
	v_ldexp_f32 v12, |v4|, v12
	v_mul_f32_e32 v12, v12, v12
	v_fmac_f32_e32 v12, v13, v13
	v_sqrt_f32_e32 v12, v12
	s_mov_b32 s2, 0x7f800000
	v_cmp_neq_f32_e64 s[2:3], s2, v2
	v_cmp_le_f32_e32 vcc, 0, v5
	v_ldexp_f32 v11, v12, v11
	v_mov_b32_e32 v12, 0x7f800000
	v_cndmask_b32_e64 v12, v12, v11, s[2:3]
                                        ; implicit-def: $vgpr11
                                        ; implicit-def: $vgpr2
	s_and_saveexec_b64 s[2:3], vcc
	s_xor_b64 s[22:23], exec, s[2:3]
	s_cbranch_execz .LBB237_13
; %bb.12:
	v_add_f32_e32 v2, v5, v12
	v_mul_f32_e32 v2, 0.5, v2
	s_mov_b32 s2, 0xf800000
	v_mul_f32_e32 v5, 0x4f800000, v2
	v_cmp_gt_f32_e32 vcc, s2, v2
	s_nop 1
	v_cndmask_b32_e32 v2, v2, v5, vcc
	v_sqrt_f32_e32 v5, v2
	s_nop 0
	v_add_u32_e32 v11, -1, v5
	v_fma_f32 v12, -v11, v5, v2
	v_cmp_ge_f32_e64 s[2:3], 0, v12
	v_add_u32_e32 v12, 1, v5
	s_nop 0
	v_cndmask_b32_e64 v11, v5, v11, s[2:3]
	v_fma_f32 v5, -v12, v5, v2
	v_cmp_lt_f32_e64 s[2:3], 0, v5
	s_nop 1
	v_cndmask_b32_e64 v5, v11, v12, s[2:3]
	v_mul_f32_e32 v11, 0x37800000, v5
	v_cndmask_b32_e32 v5, v5, v11, vcc
	v_mov_b32_e32 v11, 0x260
	v_cmp_class_f32_e32 vcc, v2, v11
	s_nop 1
	v_cndmask_b32_e32 v2, v5, v2, vcc
	v_add_f32_e32 v5, v2, v2
	v_div_scale_f32 v11, s[2:3], v5, v5, v4
	v_rcp_f32_e32 v12, v11
	s_nop 0
	v_fma_f32 v13, -v11, v12, 1.0
	v_fmac_f32_e32 v12, v13, v12
	v_div_scale_f32 v13, vcc, v4, v5, v4
	v_mul_f32_e32 v14, v13, v12
	v_fma_f32 v15, -v11, v14, v13
	v_fmac_f32_e32 v14, v15, v12
	v_fma_f32 v11, -v11, v14, v13
	v_div_fmas_f32 v11, v11, v12, v14
	v_div_fixup_f32 v11, v11, v5, v4
                                        ; implicit-def: $vgpr12
                                        ; implicit-def: $vgpr4_vgpr5
	s_andn2_saveexec_b64 s[22:23], s[22:23]
	s_cbranch_execz .LBB237_15
	s_branch .LBB237_14
.LBB237_13:
	s_andn2_saveexec_b64 s[22:23], s[22:23]
	s_cbranch_execz .LBB237_15
.LBB237_14:
	v_sub_f32_e32 v2, v12, v5
	v_mul_f32_e32 v2, 0.5, v2
	s_mov_b32 s2, 0xf800000
	v_mul_f32_e32 v5, 0x4f800000, v2
	v_cmp_gt_f32_e32 vcc, s2, v2
	s_nop 1
	v_cndmask_b32_e32 v2, v2, v5, vcc
	v_sqrt_f32_e32 v5, v2
	s_nop 0
	v_add_u32_e32 v11, -1, v5
	v_fma_f32 v12, -v11, v5, v2
	v_cmp_ge_f32_e64 s[2:3], 0, v12
	v_add_u32_e32 v12, 1, v5
	s_nop 0
	v_cndmask_b32_e64 v11, v5, v11, s[2:3]
	v_fma_f32 v5, -v12, v5, v2
	v_cmp_lt_f32_e64 s[2:3], 0, v5
	s_nop 1
	v_cndmask_b32_e64 v5, v11, v12, s[2:3]
	v_mul_f32_e32 v11, 0x37800000, v5
	v_cndmask_b32_e32 v5, v5, v11, vcc
	v_mov_b32_e32 v11, 0x260
	v_cmp_class_f32_e32 vcc, v2, v11
	v_and_b32_e32 v11, 0x7fffffff, v4
	s_nop 0
	v_cndmask_b32_e32 v5, v5, v2, vcc
	v_add_f32_e32 v2, v5, v5
	v_div_scale_f32 v12, s[2:3], v2, v2, v11
	v_rcp_f32_e32 v13, v12
	v_div_scale_f32 v11, vcc, v11, v2, v11
	s_brev_b32 s2, -2
	v_fma_f32 v14, -v12, v13, 1.0
	v_fmac_f32_e32 v13, v14, v13
	v_mul_f32_e32 v14, v11, v13
	v_fma_f32 v15, -v12, v14, v11
	v_fmac_f32_e32 v14, v15, v13
	v_fma_f32 v11, -v12, v14, v11
	v_div_fmas_f32 v11, v11, v13, v14
	v_div_fixup_f32 v2, v11, v2, |v4|
	v_bfi_b32 v11, s2, v5, v4
.LBB237_15:
	s_or_b64 exec, exec, s[22:23]
                                        ; implicit-def: $vgpr4
	s_and_saveexec_b64 s[2:3], s[0:1]
	s_xor_b64 s[0:1], exec, s[2:3]
	s_cbranch_execz .LBB237_17
; %bb.16:
	v_mul_f32_e32 v4, 0.5, v2
	v_mul_f32_e32 v12, 0.5, v11
	v_cndmask_b32_e64 v5, v2, v4, s[20:21]
	v_cndmask_b32_e64 v4, v11, v12, s[20:21]
                                        ; implicit-def: $vgpr2
                                        ; implicit-def: $vgpr11
	s_andn2_saveexec_b64 s[0:1], s[0:1]
	s_cbranch_execnz .LBB237_18
	s_branch .LBB237_19
.LBB237_17:
	s_andn2_saveexec_b64 s[0:1], s[0:1]
.LBB237_18:
	v_add_f32_e32 v5, v2, v2
	v_add_f32_e32 v4, v11, v11
.LBB237_19:
	s_or_b64 exec, exec, s[0:1]
.LBB237_20:
	s_andn2_saveexec_b64 s[0:1], s[18:19]
	s_cbranch_execz .LBB237_26
; %bb.21:
	v_and_b32_e32 v2, 0x8000, v8
	v_cmp_ne_u32_e32 vcc, 0, v2
	v_sub_f32_e32 v2, v4, v4
	s_and_saveexec_b64 s[2:3], vcc
	s_xor_b64 s[2:3], exec, s[2:3]
; %bb.22:
	s_brev_b32 s7, -2
	v_and_b32_e32 v2, 0x7fffffff, v2
	v_bfi_b32 v4, s7, v5, v4
	v_mov_b32_e32 v5, v2
                                        ; implicit-def: $vgpr2
; %bb.23:
	s_andn2_saveexec_b64 s[2:3], s[2:3]
; %bb.24:
	s_brev_b32 s7, -2
	v_bfi_b32 v4, s7, v2, v4
; %bb.25:
	s_or_b64 exec, exec, s[2:3]
.LBB237_26:
	s_or_b64 exec, exec, s[0:1]
.LBB237_27:
	s_andn2_saveexec_b64 s[0:1], s[16:17]
	s_cbranch_execz .LBB237_29
; %bb.28:
	v_sub_f32_e32 v2, v4, v4
	v_div_scale_f32 v4, vcc, v2, v2, v2
	v_rcp_f32_e32 v8, v4
	s_nop 0
	v_fma_f32 v11, -v4, v8, 1.0
	v_fmac_f32_e32 v8, v11, v8
	v_mul_f32_e32 v11, v4, v8
	v_fma_f32 v12, -v4, v11, v4
	v_fmac_f32_e32 v11, v12, v8
	v_fma_f32 v4, -v4, v11, v4
	v_div_fmas_f32 v4, v4, v8, v11
	v_div_fixup_f32 v4, v4, v2, v2
.LBB237_29:
	s_or_b64 exec, exec, s[0:1]
.LBB237_30:
	s_or_b64 exec, exec, s[14:15]
.LBB237_31:
	s_or_b64 exec, exec, s[12:13]
	v_cvt_f32_f16_sdwa v2, v9 dst_sel:DWORD dst_unused:UNUSED_PAD src0_sel:WORD_1
	v_cmp_neq_f16_e32 vcc, 0, v9
	v_cmp_neq_f16_sdwa s[0:1], v9, v10 src0_sel:WORD_1 src1_sel:DWORD
	s_or_b64 s[0:1], vcc, s[0:1]
	s_and_saveexec_b64 s[12:13], s[0:1]
	s_cbranch_execz .LBB237_61
; %bb.32:
	v_mov_b32_e32 v3, 0x7f800000
	v_cmp_neq_f32_e64 s[0:1], |v2|, v3
	s_and_saveexec_b64 s[14:15], s[0:1]
	s_cbranch_execz .LBB237_60
; %bb.33:
	v_cvt_f32_f16_e32 v3, v9
	v_cmp_o_f16_e32 vcc, v9, v9
	s_and_saveexec_b64 s[0:1], vcc
	s_xor_b64 s[16:17], exec, s[0:1]
	s_cbranch_execz .LBB237_57
; %bb.34:
	s_mov_b32 s0, 0x7f800000
	v_cmp_neq_f32_e64 s[0:1], |v3|, s0
	s_and_saveexec_b64 s[2:3], s[0:1]
	s_xor_b64 s[18:19], exec, s[2:3]
	s_cbranch_execz .LBB237_50
; %bb.35:
	v_max_f32_e64 v8, |v2|, |v2|
	v_max_f32_e64 v9, |v3|, |v3|
	v_max_f32_e32 v8, v9, v8
	s_mov_b32 s0, 0x7ed413cb
	v_cmp_nle_f32_e64 s[0:1], s0, v8
                                        ; implicit-def: $sgpr20_sgpr21
	s_and_saveexec_b64 s[2:3], s[0:1]
	s_xor_b64 s[2:3], exec, s[2:3]
	s_cbranch_execz .LBB237_39
; %bb.36:
	s_mov_b32 s7, 0x1000000
	v_cmp_le_f32_e64 s[20:21], |v3|, s7
	v_cmp_le_f32_e64 s[22:23], |v2|, s7
	s_and_b64 s[26:27], s[20:21], s[22:23]
	s_mov_b64 s[20:21], 0
	s_and_saveexec_b64 s[22:23], s[26:27]
; %bb.37:
	s_mov_b64 s[20:21], exec
	v_pk_mul_f32 v[2:3], v[2:3], 4.0 op_sel_hi:[1,0]
; %bb.38:
	s_or_b64 exec, exec, s[22:23]
.LBB237_39:
	s_andn2_saveexec_b64 s[2:3], s[2:3]
; %bb.40:
	s_mov_b32 s22, 0x3e800000
	v_pk_mul_f32 v[2:3], v[2:3], s[22:23] op_sel_hi:[1,0]
	s_andn2_b64 s[20:21], s[20:21], exec
; %bb.41:
	s_or_b64 exec, exec, s[2:3]
	v_max_f32_e64 v8, |v2|, |v2|
	v_max_f32_e64 v9, |v3|, |v3|
	v_max_f32_e32 v10, v9, v8
	v_cvt_f64_f32_e32 v[8:9], v10
	v_frexp_exp_i32_f64_e32 v8, v[8:9]
	v_sub_u32_e32 v9, 0, v8
	v_ldexp_f32 v11, |v3|, v9
	v_ldexp_f32 v9, |v2|, v9
	v_mul_f32_e32 v9, v9, v9
	v_fmac_f32_e32 v9, v11, v11
	v_sqrt_f32_e32 v9, v9
	s_mov_b32 s2, 0x7f800000
	v_cmp_neq_f32_e64 s[2:3], s2, v10
	v_cmp_le_f32_e32 vcc, 0, v3
	v_ldexp_f32 v8, v9, v8
	v_mov_b32_e32 v9, 0x7f800000
	v_cndmask_b32_e64 v10, v9, v8, s[2:3]
                                        ; implicit-def: $vgpr9
                                        ; implicit-def: $vgpr8
	s_and_saveexec_b64 s[2:3], vcc
	s_xor_b64 s[22:23], exec, s[2:3]
	s_cbranch_execz .LBB237_43
; %bb.42:
	v_add_f32_e32 v3, v3, v10
	v_mul_f32_e32 v3, 0.5, v3
	s_mov_b32 s2, 0xf800000
	v_mul_f32_e32 v8, 0x4f800000, v3
	v_cmp_gt_f32_e32 vcc, s2, v3
	s_nop 1
	v_cndmask_b32_e32 v3, v3, v8, vcc
	v_sqrt_f32_e32 v8, v3
	s_nop 0
	v_add_u32_e32 v9, -1, v8
	v_fma_f32 v10, -v9, v8, v3
	v_cmp_ge_f32_e64 s[2:3], 0, v10
	v_add_u32_e32 v10, 1, v8
	s_nop 0
	v_cndmask_b32_e64 v9, v8, v9, s[2:3]
	v_fma_f32 v8, -v10, v8, v3
	v_cmp_lt_f32_e64 s[2:3], 0, v8
	s_nop 1
	v_cndmask_b32_e64 v8, v9, v10, s[2:3]
	v_mul_f32_e32 v9, 0x37800000, v8
	v_cndmask_b32_e32 v8, v8, v9, vcc
	v_mov_b32_e32 v9, 0x260
	v_cmp_class_f32_e32 vcc, v3, v9
	s_nop 1
	v_cndmask_b32_e32 v8, v8, v3, vcc
	v_add_f32_e32 v3, v8, v8
	v_div_scale_f32 v9, s[2:3], v3, v3, v2
	v_rcp_f32_e32 v10, v9
	s_nop 0
	v_fma_f32 v11, -v9, v10, 1.0
	v_fmac_f32_e32 v10, v11, v10
	v_div_scale_f32 v11, vcc, v2, v3, v2
	v_mul_f32_e32 v12, v11, v10
	v_fma_f32 v13, -v9, v12, v11
	v_fmac_f32_e32 v12, v13, v10
	v_fma_f32 v9, -v9, v12, v11
	v_div_fmas_f32 v9, v9, v10, v12
	v_div_fixup_f32 v9, v9, v3, v2
                                        ; implicit-def: $vgpr10
                                        ; implicit-def: $vgpr2_vgpr3
	s_andn2_saveexec_b64 s[22:23], s[22:23]
	s_cbranch_execz .LBB237_45
	s_branch .LBB237_44
.LBB237_43:
	s_andn2_saveexec_b64 s[22:23], s[22:23]
	s_cbranch_execz .LBB237_45
.LBB237_44:
	v_sub_f32_e32 v3, v10, v3
	v_mul_f32_e32 v3, 0.5, v3
	s_mov_b32 s2, 0xf800000
	v_mul_f32_e32 v8, 0x4f800000, v3
	v_cmp_gt_f32_e32 vcc, s2, v3
	s_nop 1
	v_cndmask_b32_e32 v3, v3, v8, vcc
	v_sqrt_f32_e32 v8, v3
	s_nop 0
	v_add_u32_e32 v9, -1, v8
	v_fma_f32 v10, -v9, v8, v3
	v_cmp_ge_f32_e64 s[2:3], 0, v10
	v_add_u32_e32 v10, 1, v8
	s_nop 0
	v_cndmask_b32_e64 v9, v8, v9, s[2:3]
	v_fma_f32 v8, -v10, v8, v3
	v_cmp_lt_f32_e64 s[2:3], 0, v8
	s_nop 1
	v_cndmask_b32_e64 v8, v9, v10, s[2:3]
	v_mul_f32_e32 v9, 0x37800000, v8
	v_cndmask_b32_e32 v8, v8, v9, vcc
	v_mov_b32_e32 v9, 0x260
	v_cmp_class_f32_e32 vcc, v3, v9
	v_and_b32_e32 v9, 0x7fffffff, v2
	s_nop 0
	v_cndmask_b32_e32 v3, v8, v3, vcc
	v_add_f32_e32 v8, v3, v3
	v_div_scale_f32 v10, s[2:3], v8, v8, v9
	v_rcp_f32_e32 v11, v10
	v_div_scale_f32 v9, vcc, v9, v8, v9
	s_brev_b32 s2, -2
	v_fma_f32 v12, -v10, v11, 1.0
	v_fmac_f32_e32 v11, v12, v11
	v_mul_f32_e32 v12, v9, v11
	v_fma_f32 v13, -v10, v12, v9
	v_fmac_f32_e32 v12, v13, v11
	v_fma_f32 v9, -v10, v12, v9
	v_div_fmas_f32 v9, v9, v11, v12
	v_div_fixup_f32 v8, v9, v8, |v2|
	v_bfi_b32 v9, s2, v3, v2
.LBB237_45:
	s_or_b64 exec, exec, s[22:23]
                                        ; implicit-def: $vgpr2
	s_and_saveexec_b64 s[2:3], s[0:1]
	s_xor_b64 s[0:1], exec, s[2:3]
	s_cbranch_execz .LBB237_47
; %bb.46:
	v_mul_f32_e32 v2, 0.5, v8
	v_mul_f32_e32 v10, 0.5, v9
	v_cndmask_b32_e64 v3, v8, v2, s[20:21]
	v_cndmask_b32_e64 v2, v9, v10, s[20:21]
                                        ; implicit-def: $vgpr8
                                        ; implicit-def: $vgpr9
	s_andn2_saveexec_b64 s[0:1], s[0:1]
	s_cbranch_execnz .LBB237_48
	s_branch .LBB237_49
.LBB237_47:
	s_andn2_saveexec_b64 s[0:1], s[0:1]
.LBB237_48:
	v_add_f32_e32 v3, v8, v8
	v_add_f32_e32 v2, v9, v9
.LBB237_49:
	s_or_b64 exec, exec, s[0:1]
                                        ; implicit-def: $vgpr8_vgpr9
.LBB237_50:
	s_andn2_saveexec_b64 s[0:1], s[18:19]
	s_cbranch_execz .LBB237_56
; %bb.51:
	v_and_b32_e32 v8, 0x8000, v9
	v_cmp_ne_u32_e32 vcc, 0, v8
	v_sub_f32_e32 v8, v2, v2
	s_and_saveexec_b64 s[2:3], vcc
	s_xor_b64 s[2:3], exec, s[2:3]
; %bb.52:
	s_brev_b32 s7, -2
	v_and_b32_e32 v8, 0x7fffffff, v8
	v_bfi_b32 v2, s7, v3, v2
	v_mov_b32_e32 v3, v8
                                        ; implicit-def: $vgpr8
; %bb.53:
	s_andn2_saveexec_b64 s[2:3], s[2:3]
; %bb.54:
	s_brev_b32 s7, -2
	v_bfi_b32 v2, s7, v8, v2
; %bb.55:
	s_or_b64 exec, exec, s[2:3]
.LBB237_56:
	s_or_b64 exec, exec, s[0:1]
.LBB237_57:
	s_andn2_saveexec_b64 s[0:1], s[16:17]
	s_cbranch_execz .LBB237_59
; %bb.58:
	v_sub_f32_e32 v2, v2, v2
	v_div_scale_f32 v8, vcc, v2, v2, v2
	v_rcp_f32_e32 v9, v8
	s_nop 0
	v_fma_f32 v10, -v8, v9, 1.0
	v_fmac_f32_e32 v9, v10, v9
	v_mul_f32_e32 v10, v8, v9
	v_fma_f32 v11, -v8, v10, v8
	v_fmac_f32_e32 v10, v11, v9
	v_fma_f32 v8, -v8, v10, v8
	v_div_fmas_f32 v8, v8, v9, v10
	v_div_fixup_f32 v2, v8, v2, v2
.LBB237_59:
	s_or_b64 exec, exec, s[0:1]
.LBB237_60:
	s_or_b64 exec, exec, s[14:15]
.LBB237_61:
	s_or_b64 exec, exec, s[12:13]
	s_waitcnt vmcnt(0)
	v_cvt_f32_f16_sdwa v10, v6 dst_sel:DWORD dst_unused:UNUSED_PAD src0_sel:WORD_1
	v_mov_b32_e32 v9, 0
	v_cmp_neq_f16_e32 vcc, 0, v6
	v_cmp_neq_f16_sdwa s[0:1], v6, v9 src0_sel:WORD_1 src1_sel:DWORD
	s_or_b64 s[0:1], vcc, s[0:1]
	v_mov_b32_e32 v11, 0
	s_and_saveexec_b64 s[12:13], s[0:1]
	s_cbranch_execz .LBB237_91
; %bb.62:
	v_mov_b32_e32 v11, 0x7f800000
	v_cmp_neq_f32_e64 s[0:1], |v10|, v11
	s_and_saveexec_b64 s[14:15], s[0:1]
	s_cbranch_execz .LBB237_90
; %bb.63:
	v_cvt_f32_f16_e32 v11, v6
	v_cmp_o_f16_e32 vcc, v6, v6
	s_and_saveexec_b64 s[0:1], vcc
	s_xor_b64 s[16:17], exec, s[0:1]
	s_cbranch_execz .LBB237_87
; %bb.64:
	s_mov_b32 s0, 0x7f800000
	v_cmp_neq_f32_e64 s[0:1], |v11|, s0
	s_and_saveexec_b64 s[2:3], s[0:1]
	s_xor_b64 s[18:19], exec, s[2:3]
	s_cbranch_execz .LBB237_80
; %bb.65:
	v_max_f32_e64 v8, |v10|, |v10|
	v_max_f32_e64 v12, |v11|, |v11|
	v_max_f32_e32 v8, v12, v8
	s_mov_b32 s0, 0x7ed413cb
	v_cmp_nle_f32_e64 s[0:1], s0, v8
                                        ; implicit-def: $sgpr20_sgpr21
	s_and_saveexec_b64 s[2:3], s[0:1]
	s_xor_b64 s[2:3], exec, s[2:3]
	s_cbranch_execz .LBB237_69
; %bb.66:
	s_mov_b32 s7, 0x1000000
	v_cmp_le_f32_e64 s[20:21], |v11|, s7
	v_cmp_le_f32_e64 s[22:23], |v10|, s7
	s_and_b64 s[26:27], s[20:21], s[22:23]
	s_mov_b64 s[20:21], 0
	s_and_saveexec_b64 s[22:23], s[26:27]
; %bb.67:
	s_mov_b64 s[20:21], exec
	v_pk_mul_f32 v[10:11], v[10:11], 4.0 op_sel_hi:[1,0]
; %bb.68:
	s_or_b64 exec, exec, s[22:23]
.LBB237_69:
	s_andn2_saveexec_b64 s[2:3], s[2:3]
; %bb.70:
	s_mov_b32 s22, 0x3e800000
	v_pk_mul_f32 v[10:11], v[10:11], s[22:23] op_sel_hi:[1,0]
	s_andn2_b64 s[20:21], s[20:21], exec
; %bb.71:
	s_or_b64 exec, exec, s[2:3]
	v_max_f32_e64 v8, |v10|, |v10|
	v_max_f32_e64 v12, |v11|, |v11|
	v_max_f32_e32 v8, v12, v8
	v_cvt_f64_f32_e32 v[12:13], v8
	v_frexp_exp_i32_f64_e32 v12, v[12:13]
	v_sub_u32_e32 v13, 0, v12
	v_ldexp_f32 v14, |v11|, v13
	v_ldexp_f32 v13, |v10|, v13
	v_mul_f32_e32 v13, v13, v13
	v_fmac_f32_e32 v13, v14, v14
	v_sqrt_f32_e32 v13, v13
	s_mov_b32 s2, 0x7f800000
	v_cmp_neq_f32_e64 s[2:3], s2, v8
	v_cmp_le_f32_e32 vcc, 0, v11
	v_ldexp_f32 v12, v13, v12
	v_mov_b32_e32 v13, 0x7f800000
	v_cndmask_b32_e64 v13, v13, v12, s[2:3]
                                        ; implicit-def: $vgpr12
                                        ; implicit-def: $vgpr8
	s_and_saveexec_b64 s[2:3], vcc
	s_xor_b64 s[22:23], exec, s[2:3]
	s_cbranch_execz .LBB237_73
; %bb.72:
	v_add_f32_e32 v8, v11, v13
	v_mul_f32_e32 v8, 0.5, v8
	s_mov_b32 s2, 0xf800000
	v_mul_f32_e32 v11, 0x4f800000, v8
	v_cmp_gt_f32_e32 vcc, s2, v8
	s_nop 1
	v_cndmask_b32_e32 v8, v8, v11, vcc
	v_sqrt_f32_e32 v11, v8
	s_nop 0
	v_add_u32_e32 v12, -1, v11
	v_fma_f32 v13, -v12, v11, v8
	v_cmp_ge_f32_e64 s[2:3], 0, v13
	v_add_u32_e32 v13, 1, v11
	s_nop 0
	v_cndmask_b32_e64 v12, v11, v12, s[2:3]
	v_fma_f32 v11, -v13, v11, v8
	v_cmp_lt_f32_e64 s[2:3], 0, v11
	s_nop 1
	v_cndmask_b32_e64 v11, v12, v13, s[2:3]
	v_mul_f32_e32 v12, 0x37800000, v11
	v_cndmask_b32_e32 v11, v11, v12, vcc
	v_mov_b32_e32 v12, 0x260
	v_cmp_class_f32_e32 vcc, v8, v12
	s_nop 1
	v_cndmask_b32_e32 v8, v11, v8, vcc
	v_add_f32_e32 v11, v8, v8
	v_div_scale_f32 v12, s[2:3], v11, v11, v10
	v_rcp_f32_e32 v13, v12
	s_nop 0
	v_fma_f32 v14, -v12, v13, 1.0
	v_fmac_f32_e32 v13, v14, v13
	v_div_scale_f32 v14, vcc, v10, v11, v10
	v_mul_f32_e32 v15, v14, v13
	v_fma_f32 v16, -v12, v15, v14
	v_fmac_f32_e32 v15, v16, v13
	v_fma_f32 v12, -v12, v15, v14
	v_div_fmas_f32 v12, v12, v13, v15
	v_div_fixup_f32 v12, v12, v11, v10
                                        ; implicit-def: $vgpr13
                                        ; implicit-def: $vgpr10_vgpr11
	s_andn2_saveexec_b64 s[22:23], s[22:23]
	s_cbranch_execz .LBB237_75
	s_branch .LBB237_74
.LBB237_73:
	s_andn2_saveexec_b64 s[22:23], s[22:23]
	s_cbranch_execz .LBB237_75
.LBB237_74:
	v_sub_f32_e32 v8, v13, v11
	v_mul_f32_e32 v8, 0.5, v8
	s_mov_b32 s2, 0xf800000
	v_mul_f32_e32 v11, 0x4f800000, v8
	v_cmp_gt_f32_e32 vcc, s2, v8
	s_nop 1
	v_cndmask_b32_e32 v8, v8, v11, vcc
	v_sqrt_f32_e32 v11, v8
	s_nop 0
	v_add_u32_e32 v12, -1, v11
	v_fma_f32 v13, -v12, v11, v8
	v_cmp_ge_f32_e64 s[2:3], 0, v13
	v_add_u32_e32 v13, 1, v11
	s_nop 0
	v_cndmask_b32_e64 v12, v11, v12, s[2:3]
	v_fma_f32 v11, -v13, v11, v8
	v_cmp_lt_f32_e64 s[2:3], 0, v11
	s_nop 1
	v_cndmask_b32_e64 v11, v12, v13, s[2:3]
	v_mul_f32_e32 v12, 0x37800000, v11
	v_cndmask_b32_e32 v11, v11, v12, vcc
	v_mov_b32_e32 v12, 0x260
	v_cmp_class_f32_e32 vcc, v8, v12
	v_and_b32_e32 v12, 0x7fffffff, v10
	s_nop 0
	v_cndmask_b32_e32 v11, v11, v8, vcc
	v_add_f32_e32 v8, v11, v11
	v_div_scale_f32 v13, s[2:3], v8, v8, v12
	v_rcp_f32_e32 v14, v13
	v_div_scale_f32 v12, vcc, v12, v8, v12
	s_brev_b32 s2, -2
	v_fma_f32 v15, -v13, v14, 1.0
	v_fmac_f32_e32 v14, v15, v14
	v_mul_f32_e32 v15, v12, v14
	v_fma_f32 v16, -v13, v15, v12
	v_fmac_f32_e32 v15, v16, v14
	v_fma_f32 v12, -v13, v15, v12
	v_div_fmas_f32 v12, v12, v14, v15
	v_div_fixup_f32 v8, v12, v8, |v10|
	v_bfi_b32 v12, s2, v11, v10
.LBB237_75:
	s_or_b64 exec, exec, s[22:23]
                                        ; implicit-def: $vgpr10
	s_and_saveexec_b64 s[2:3], s[0:1]
	s_xor_b64 s[0:1], exec, s[2:3]
	s_cbranch_execz .LBB237_77
; %bb.76:
	v_mul_f32_e32 v10, 0.5, v8
	v_mul_f32_e32 v13, 0.5, v12
	v_cndmask_b32_e64 v11, v8, v10, s[20:21]
	v_cndmask_b32_e64 v10, v12, v13, s[20:21]
                                        ; implicit-def: $vgpr8
                                        ; implicit-def: $vgpr12
	s_andn2_saveexec_b64 s[0:1], s[0:1]
	s_cbranch_execnz .LBB237_78
	s_branch .LBB237_79
.LBB237_77:
	s_andn2_saveexec_b64 s[0:1], s[0:1]
.LBB237_78:
	v_add_f32_e32 v11, v8, v8
	v_add_f32_e32 v10, v12, v12
.LBB237_79:
	s_or_b64 exec, exec, s[0:1]
.LBB237_80:
	s_andn2_saveexec_b64 s[0:1], s[18:19]
	s_cbranch_execz .LBB237_86
; %bb.81:
	v_and_b32_e32 v6, 0x8000, v6
	v_cmp_ne_u32_e32 vcc, 0, v6
	v_sub_f32_e32 v6, v10, v10
	s_and_saveexec_b64 s[2:3], vcc
	s_xor_b64 s[2:3], exec, s[2:3]
; %bb.82:
	s_brev_b32 s7, -2
	v_and_b32_e32 v6, 0x7fffffff, v6
	v_bfi_b32 v10, s7, v11, v10
	v_mov_b32_e32 v11, v6
                                        ; implicit-def: $vgpr6
; %bb.83:
	s_andn2_saveexec_b64 s[2:3], s[2:3]
; %bb.84:
	s_brev_b32 s7, -2
	v_bfi_b32 v10, s7, v6, v10
; %bb.85:
	s_or_b64 exec, exec, s[2:3]
.LBB237_86:
	s_or_b64 exec, exec, s[0:1]
.LBB237_87:
	s_andn2_saveexec_b64 s[0:1], s[16:17]
	s_cbranch_execz .LBB237_89
; %bb.88:
	v_sub_f32_e32 v6, v10, v10
	v_div_scale_f32 v8, vcc, v6, v6, v6
	v_rcp_f32_e32 v10, v8
	s_nop 0
	v_fma_f32 v12, -v8, v10, 1.0
	v_fmac_f32_e32 v10, v12, v10
	v_mul_f32_e32 v12, v8, v10
	v_fma_f32 v13, -v8, v12, v8
	v_fmac_f32_e32 v12, v13, v10
	v_fma_f32 v8, -v8, v12, v8
	v_div_fmas_f32 v8, v8, v10, v12
	v_div_fixup_f32 v10, v8, v6, v6
.LBB237_89:
	s_or_b64 exec, exec, s[0:1]
.LBB237_90:
	s_or_b64 exec, exec, s[14:15]
.LBB237_91:
	s_or_b64 exec, exec, s[12:13]
	v_cvt_f32_f16_sdwa v8, v7 dst_sel:DWORD dst_unused:UNUSED_PAD src0_sel:WORD_1
	v_cmp_neq_f16_e32 vcc, 0, v7
	v_cmp_neq_f16_sdwa s[0:1], v7, v9 src0_sel:WORD_1 src1_sel:DWORD
	s_or_b64 s[0:1], vcc, s[0:1]
	s_and_saveexec_b64 s[12:13], s[0:1]
	s_cbranch_execz .LBB237_121
; %bb.92:
	v_mov_b32_e32 v9, 0x7f800000
	v_cmp_neq_f32_e64 s[0:1], |v8|, v9
	s_and_saveexec_b64 s[14:15], s[0:1]
	s_cbranch_execz .LBB237_120
; %bb.93:
	v_cvt_f32_f16_e32 v9, v7
	v_cmp_o_f16_e32 vcc, v7, v7
	s_and_saveexec_b64 s[0:1], vcc
	s_xor_b64 s[16:17], exec, s[0:1]
	s_cbranch_execz .LBB237_117
; %bb.94:
	s_mov_b32 s0, 0x7f800000
	v_cmp_neq_f32_e64 s[0:1], |v9|, s0
	s_and_saveexec_b64 s[2:3], s[0:1]
	s_xor_b64 s[18:19], exec, s[2:3]
	s_cbranch_execz .LBB237_110
; %bb.95:
	v_max_f32_e64 v6, |v8|, |v8|
	v_max_f32_e64 v7, |v9|, |v9|
	v_max_f32_e32 v6, v7, v6
	s_mov_b32 s0, 0x7ed413cb
	v_cmp_nle_f32_e64 s[0:1], s0, v6
                                        ; implicit-def: $sgpr20_sgpr21
	s_and_saveexec_b64 s[2:3], s[0:1]
	s_xor_b64 s[2:3], exec, s[2:3]
	s_cbranch_execz .LBB237_99
; %bb.96:
	s_mov_b32 s7, 0x1000000
	v_cmp_le_f32_e64 s[20:21], |v9|, s7
	v_cmp_le_f32_e64 s[22:23], |v8|, s7
	s_and_b64 s[26:27], s[20:21], s[22:23]
	s_mov_b64 s[20:21], 0
	s_and_saveexec_b64 s[22:23], s[26:27]
; %bb.97:
	s_mov_b64 s[20:21], exec
	v_pk_mul_f32 v[8:9], v[8:9], 4.0 op_sel_hi:[1,0]
; %bb.98:
	s_or_b64 exec, exec, s[22:23]
.LBB237_99:
	s_andn2_saveexec_b64 s[2:3], s[2:3]
; %bb.100:
	s_mov_b32 s22, 0x3e800000
	v_pk_mul_f32 v[8:9], v[8:9], s[22:23] op_sel_hi:[1,0]
	s_andn2_b64 s[20:21], s[20:21], exec
; %bb.101:
	s_or_b64 exec, exec, s[2:3]
	v_max_f32_e64 v6, |v8|, |v8|
	v_max_f32_e64 v7, |v9|, |v9|
	v_max_f32_e32 v12, v7, v6
	v_cvt_f64_f32_e32 v[6:7], v12
	v_frexp_exp_i32_f64_e32 v6, v[6:7]
	v_sub_u32_e32 v7, 0, v6
	v_ldexp_f32 v13, |v9|, v7
	v_ldexp_f32 v7, |v8|, v7
	v_mul_f32_e32 v7, v7, v7
	v_fmac_f32_e32 v7, v13, v13
	v_sqrt_f32_e32 v7, v7
	s_mov_b32 s2, 0x7f800000
	v_cmp_neq_f32_e64 s[2:3], s2, v12
	v_cmp_le_f32_e32 vcc, 0, v9
	v_ldexp_f32 v6, v7, v6
	v_mov_b32_e32 v7, 0x7f800000
	v_cndmask_b32_e64 v12, v7, v6, s[2:3]
                                        ; implicit-def: $vgpr7
                                        ; implicit-def: $vgpr6
	s_and_saveexec_b64 s[2:3], vcc
	s_xor_b64 s[22:23], exec, s[2:3]
	s_cbranch_execz .LBB237_103
; %bb.102:
	v_add_f32_e32 v6, v9, v12
	v_mul_f32_e32 v6, 0.5, v6
	s_mov_b32 s2, 0xf800000
	v_mul_f32_e32 v7, 0x4f800000, v6
	v_cmp_gt_f32_e32 vcc, s2, v6
	s_nop 1
	v_cndmask_b32_e32 v6, v6, v7, vcc
	v_sqrt_f32_e32 v7, v6
	s_nop 0
	v_add_u32_e32 v9, -1, v7
	v_fma_f32 v12, -v9, v7, v6
	v_cmp_ge_f32_e64 s[2:3], 0, v12
	v_add_u32_e32 v12, 1, v7
	s_nop 0
	v_cndmask_b32_e64 v9, v7, v9, s[2:3]
	v_fma_f32 v7, -v12, v7, v6
	v_cmp_lt_f32_e64 s[2:3], 0, v7
	s_nop 1
	v_cndmask_b32_e64 v7, v9, v12, s[2:3]
	v_mul_f32_e32 v9, 0x37800000, v7
	v_cndmask_b32_e32 v7, v7, v9, vcc
	v_mov_b32_e32 v9, 0x260
	v_cmp_class_f32_e32 vcc, v6, v9
	s_nop 1
	v_cndmask_b32_e32 v6, v7, v6, vcc
	v_add_f32_e32 v7, v6, v6
	v_div_scale_f32 v9, s[2:3], v7, v7, v8
	v_rcp_f32_e32 v12, v9
	s_nop 0
	v_fma_f32 v13, -v9, v12, 1.0
	v_fmac_f32_e32 v12, v13, v12
	v_div_scale_f32 v13, vcc, v8, v7, v8
	v_mul_f32_e32 v14, v13, v12
	v_fma_f32 v15, -v9, v14, v13
	v_fmac_f32_e32 v14, v15, v12
	v_fma_f32 v9, -v9, v14, v13
	v_div_fmas_f32 v9, v9, v12, v14
	v_div_fixup_f32 v7, v9, v7, v8
                                        ; implicit-def: $vgpr12
                                        ; implicit-def: $vgpr8_vgpr9
	s_andn2_saveexec_b64 s[22:23], s[22:23]
	s_cbranch_execz .LBB237_105
	s_branch .LBB237_104
.LBB237_103:
	s_andn2_saveexec_b64 s[22:23], s[22:23]
	s_cbranch_execz .LBB237_105
.LBB237_104:
	v_sub_f32_e32 v6, v12, v9
	v_mul_f32_e32 v6, 0.5, v6
	s_mov_b32 s2, 0xf800000
	v_mul_f32_e32 v7, 0x4f800000, v6
	v_cmp_gt_f32_e32 vcc, s2, v6
	s_nop 1
	v_cndmask_b32_e32 v6, v6, v7, vcc
	v_sqrt_f32_e32 v7, v6
	s_nop 0
	v_add_u32_e32 v9, -1, v7
	v_fma_f32 v12, -v9, v7, v6
	v_cmp_ge_f32_e64 s[2:3], 0, v12
	v_add_u32_e32 v12, 1, v7
	s_nop 0
	v_cndmask_b32_e64 v9, v7, v9, s[2:3]
	v_fma_f32 v7, -v12, v7, v6
	v_cmp_lt_f32_e64 s[2:3], 0, v7
	s_nop 1
	v_cndmask_b32_e64 v7, v9, v12, s[2:3]
	v_mul_f32_e32 v9, 0x37800000, v7
	v_cndmask_b32_e32 v7, v7, v9, vcc
	v_mov_b32_e32 v9, 0x260
	v_cmp_class_f32_e32 vcc, v6, v9
	v_and_b32_e32 v9, 0x7fffffff, v8
	s_nop 0
	v_cndmask_b32_e32 v7, v7, v6, vcc
	v_add_f32_e32 v6, v7, v7
	v_div_scale_f32 v12, s[2:3], v6, v6, v9
	v_rcp_f32_e32 v13, v12
	v_div_scale_f32 v9, vcc, v9, v6, v9
	s_brev_b32 s2, -2
	v_fma_f32 v14, -v12, v13, 1.0
	v_fmac_f32_e32 v13, v14, v13
	v_mul_f32_e32 v14, v9, v13
	v_fma_f32 v15, -v12, v14, v9
	v_fmac_f32_e32 v14, v15, v13
	v_fma_f32 v9, -v12, v14, v9
	v_div_fmas_f32 v9, v9, v13, v14
	v_div_fixup_f32 v6, v9, v6, |v8|
	v_bfi_b32 v7, s2, v7, v8
.LBB237_105:
	s_or_b64 exec, exec, s[22:23]
                                        ; implicit-def: $vgpr8
	s_and_saveexec_b64 s[2:3], s[0:1]
	s_xor_b64 s[0:1], exec, s[2:3]
	s_cbranch_execz .LBB237_107
; %bb.106:
	v_mul_f32_e32 v8, 0.5, v6
	v_mul_f32_e32 v12, 0.5, v7
	v_cndmask_b32_e64 v9, v6, v8, s[20:21]
	v_cndmask_b32_e64 v8, v7, v12, s[20:21]
                                        ; implicit-def: $vgpr6
                                        ; implicit-def: $vgpr7
	s_andn2_saveexec_b64 s[0:1], s[0:1]
	s_cbranch_execnz .LBB237_108
	s_branch .LBB237_109
.LBB237_107:
	s_andn2_saveexec_b64 s[0:1], s[0:1]
.LBB237_108:
	v_add_f32_e32 v9, v6, v6
	v_add_f32_e32 v8, v7, v7
.LBB237_109:
	s_or_b64 exec, exec, s[0:1]
                                        ; implicit-def: $vgpr6_vgpr7
.LBB237_110:
	s_andn2_saveexec_b64 s[0:1], s[18:19]
	s_cbranch_execz .LBB237_116
; %bb.111:
	v_and_b32_e32 v6, 0x8000, v7
	v_cmp_ne_u32_e32 vcc, 0, v6
	v_sub_f32_e32 v6, v8, v8
	s_and_saveexec_b64 s[2:3], vcc
	s_xor_b64 s[2:3], exec, s[2:3]
; %bb.112:
	s_brev_b32 s7, -2
	v_and_b32_e32 v6, 0x7fffffff, v6
	v_bfi_b32 v8, s7, v9, v8
	v_mov_b32_e32 v9, v6
                                        ; implicit-def: $vgpr6
; %bb.113:
	s_andn2_saveexec_b64 s[2:3], s[2:3]
; %bb.114:
	s_brev_b32 s7, -2
	v_bfi_b32 v8, s7, v6, v8
; %bb.115:
	s_or_b64 exec, exec, s[2:3]
.LBB237_116:
	s_or_b64 exec, exec, s[0:1]
.LBB237_117:
	s_andn2_saveexec_b64 s[0:1], s[16:17]
	s_cbranch_execz .LBB237_119
; %bb.118:
	v_sub_f32_e32 v6, v8, v8
	v_div_scale_f32 v7, vcc, v6, v6, v6
	v_rcp_f32_e32 v8, v7
	s_nop 0
	v_fma_f32 v12, -v7, v8, 1.0
	v_fmac_f32_e32 v8, v12, v8
	v_mul_f32_e32 v12, v7, v8
	v_fma_f32 v13, -v7, v12, v7
	v_fmac_f32_e32 v12, v13, v8
	v_fma_f32 v7, -v7, v12, v7
	v_div_fmas_f32 v7, v7, v8, v12
	v_div_fixup_f32 v8, v7, v6, v6
.LBB237_119:
	s_or_b64 exec, exec, s[0:1]
.LBB237_120:
	s_or_b64 exec, exec, s[14:15]
.LBB237_121:
	s_or_b64 exec, exec, s[12:13]
	v_cvt_f16_f32_e32 v6, v11
	v_cvt_f16_f32_sdwa v7, v10 dst_sel:WORD_1 dst_unused:UNUSED_PAD src0_sel:DWORD
	v_cvt_f16_f32_sdwa v4, v4 dst_sel:WORD_1 dst_unused:UNUSED_PAD src0_sel:DWORD
	v_cvt_f16_f32_e32 v5, v5
	v_cvt_f16_f32_sdwa v2, v2 dst_sel:WORD_1 dst_unused:UNUSED_PAD src0_sel:DWORD
	v_cvt_f16_f32_e32 v3, v3
	v_or_b32_e32 v6, v7, v6
	v_cvt_f16_f32_e32 v7, v9
	v_cvt_f16_f32_sdwa v8, v8 dst_sel:WORD_1 dst_unused:UNUSED_PAD src0_sel:DWORD
	v_or_b32_e32 v4, v4, v5
	s_add_u32 s0, s8, s4
	v_or3_b32 v3, v2, v3, 0
	v_or3_b32 v2, 0, 0, v4
	s_addc_u32 s1, s9, s5
	v_or3_b32 v5, v8, v7, 0
	v_or3_b32 v4, 0, 0, v6
	global_store_dwordx2 v1, v[2:3], s[0:1]
	global_store_dwordx2 v1, v[4:5], s[0:1] offset:2048
	s_mov_b64 s[0:1], 0
.LBB237_122:
	s_and_b64 vcc, exec, s[0:1]
	s_cbranch_vccz .LBB237_267
; %bb.123:
	v_cmp_gt_i32_e64 s[0:1], s24, v0
	v_mov_b32_e32 v1, 0
	v_or_b32_e32 v2, s6, v0
	v_mov_b32_e32 v5, 0
	v_mov_b32_e32 v3, 0
	;; [unrolled: 1-line block ×3, first 2 shown]
	s_and_saveexec_b64 s[2:3], s[0:1]
	s_cbranch_execz .LBB237_131
; %bb.124:
	v_mov_b32_e32 v3, 0
	v_lshl_add_u64 v[4:5], v[2:3], 2, s[10:11]
	global_load_dword v9, v[4:5], off
	v_or_b32_e32 v1, 0x100, v0
	v_cmp_gt_u32_e32 vcc, s24, v1
	v_mov_b32_e32 v5, v3
	v_mov_b32_e32 v1, v3
	s_and_saveexec_b64 s[4:5], vcc
	s_cbranch_execz .LBB237_130
; %bb.125:
	v_add_u32_e32 v4, s6, v0
	v_mov_b32_e32 v5, 0
	v_lshl_add_u64 v[6:7], v[4:5], 2, s[10:11]
	global_load_dword v3, v[6:7], off offset:1024
	v_or_b32_e32 v1, 0x200, v0
	v_cmp_gt_u32_e32 vcc, s24, v1
	v_mov_b32_e32 v1, v5
	s_and_saveexec_b64 s[10:11], vcc
	s_cbranch_execz .LBB237_129
; %bb.126:
	global_load_dword v5, v[6:7], off offset:2048
	v_or_b32_e32 v1, 0x300, v0
	v_cmp_gt_u32_e32 vcc, s24, v1
	v_mov_b32_e32 v1, 0
	s_and_saveexec_b64 s[12:13], vcc
	s_cbranch_execz .LBB237_128
; %bb.127:
	global_load_dword v1, v[6:7], off offset:3072
.LBB237_128:
	s_or_b64 exec, exec, s[12:13]
.LBB237_129:
	s_or_b64 exec, exec, s[10:11]
.LBB237_130:
	s_or_b64 exec, exec, s[4:5]
.LBB237_131:
	s_or_b64 exec, exec, s[2:3]
                                        ; implicit-def: $vgpr8
	s_and_saveexec_b64 s[10:11], s[0:1]
	s_cbranch_execz .LBB237_163
; %bb.132:
	s_waitcnt vmcnt(0)
	v_cvt_f32_f16_sdwa v6, v9 dst_sel:DWORD dst_unused:UNUSED_PAD src0_sel:WORD_1
	v_mov_b32_e32 v7, 0
	v_cmp_neq_f16_e32 vcc, 0, v9
	v_cmp_neq_f16_sdwa s[2:3], v9, v7 src0_sel:WORD_1 src1_sel:DWORD
	s_or_b64 s[2:3], vcc, s[2:3]
	s_and_saveexec_b64 s[12:13], s[2:3]
	s_cbranch_execz .LBB237_162
; %bb.133:
	v_mov_b32_e32 v7, 0x7f800000
	v_cmp_neq_f32_e64 s[2:3], |v6|, v7
	s_and_saveexec_b64 s[14:15], s[2:3]
	s_cbranch_execz .LBB237_161
; %bb.134:
	v_cvt_f32_f16_e32 v7, v9
	v_cmp_o_f16_e32 vcc, v9, v9
	s_and_saveexec_b64 s[2:3], vcc
	s_xor_b64 s[16:17], exec, s[2:3]
	s_cbranch_execz .LBB237_158
; %bb.135:
	s_mov_b32 s2, 0x7f800000
	v_cmp_neq_f32_e64 s[2:3], |v7|, s2
	s_and_saveexec_b64 s[4:5], s[2:3]
	s_xor_b64 s[18:19], exec, s[4:5]
	s_cbranch_execz .LBB237_151
; %bb.136:
	v_max_f32_e64 v4, |v6|, |v6|
	v_max_f32_e64 v8, |v7|, |v7|
	v_max_f32_e32 v4, v8, v4
	s_mov_b32 s2, 0x7ed413cb
	v_cmp_nle_f32_e64 s[2:3], s2, v4
                                        ; implicit-def: $sgpr20_sgpr21
	s_and_saveexec_b64 s[4:5], s[2:3]
	s_xor_b64 s[4:5], exec, s[4:5]
	s_cbranch_execz .LBB237_140
; %bb.137:
	s_mov_b32 s7, 0x1000000
	v_cmp_le_f32_e64 s[20:21], |v7|, s7
	v_cmp_le_f32_e64 s[22:23], |v6|, s7
	s_and_b64 s[26:27], s[20:21], s[22:23]
	s_mov_b64 s[20:21], 0
	s_and_saveexec_b64 s[22:23], s[26:27]
; %bb.138:
	s_mov_b64 s[20:21], exec
	v_pk_mul_f32 v[6:7], v[6:7], 4.0 op_sel_hi:[1,0]
; %bb.139:
	s_or_b64 exec, exec, s[22:23]
.LBB237_140:
	s_andn2_saveexec_b64 s[4:5], s[4:5]
; %bb.141:
	s_mov_b32 s22, 0x3e800000
	v_pk_mul_f32 v[6:7], v[6:7], s[22:23] op_sel_hi:[1,0]
	s_andn2_b64 s[20:21], s[20:21], exec
; %bb.142:
	s_or_b64 exec, exec, s[4:5]
	v_max_f32_e64 v4, |v6|, |v6|
	v_max_f32_e64 v8, |v7|, |v7|
	v_max_f32_e32 v4, v8, v4
	v_cvt_f64_f32_e32 v[8:9], v4
	v_frexp_exp_i32_f64_e32 v8, v[8:9]
	v_sub_u32_e32 v9, 0, v8
	v_ldexp_f32 v10, |v7|, v9
	v_ldexp_f32 v9, |v6|, v9
	v_mul_f32_e32 v9, v9, v9
	v_fmac_f32_e32 v9, v10, v10
	v_sqrt_f32_e32 v9, v9
	s_mov_b32 s4, 0x7f800000
	v_cmp_neq_f32_e64 s[4:5], s4, v4
	v_cmp_le_f32_e32 vcc, 0, v7
	v_ldexp_f32 v8, v9, v8
	v_mov_b32_e32 v9, 0x7f800000
	v_cndmask_b32_e64 v9, v9, v8, s[4:5]
                                        ; implicit-def: $vgpr8
                                        ; implicit-def: $vgpr4
	s_and_saveexec_b64 s[4:5], vcc
	s_xor_b64 s[22:23], exec, s[4:5]
	s_cbranch_execz .LBB237_144
; %bb.143:
	v_add_f32_e32 v4, v7, v9
	v_mul_f32_e32 v4, 0.5, v4
	s_mov_b32 s4, 0xf800000
	v_mul_f32_e32 v7, 0x4f800000, v4
	v_cmp_gt_f32_e32 vcc, s4, v4
	s_nop 1
	v_cndmask_b32_e32 v4, v4, v7, vcc
	v_sqrt_f32_e32 v7, v4
	s_nop 0
	v_add_u32_e32 v8, -1, v7
	v_fma_f32 v9, -v8, v7, v4
	v_cmp_ge_f32_e64 s[4:5], 0, v9
	v_add_u32_e32 v9, 1, v7
	s_nop 0
	v_cndmask_b32_e64 v8, v7, v8, s[4:5]
	v_fma_f32 v7, -v9, v7, v4
	v_cmp_lt_f32_e64 s[4:5], 0, v7
	s_nop 1
	v_cndmask_b32_e64 v7, v8, v9, s[4:5]
	v_mul_f32_e32 v8, 0x37800000, v7
	v_cndmask_b32_e32 v7, v7, v8, vcc
	v_mov_b32_e32 v8, 0x260
	v_cmp_class_f32_e32 vcc, v4, v8
	s_nop 1
	v_cndmask_b32_e32 v4, v7, v4, vcc
	v_add_f32_e32 v7, v4, v4
	v_div_scale_f32 v8, s[4:5], v7, v7, v6
	v_rcp_f32_e32 v9, v8
	s_nop 0
	v_fma_f32 v10, -v8, v9, 1.0
	v_fmac_f32_e32 v9, v10, v9
	v_div_scale_f32 v10, vcc, v6, v7, v6
	v_mul_f32_e32 v11, v10, v9
	v_fma_f32 v12, -v8, v11, v10
	v_fmac_f32_e32 v11, v12, v9
	v_fma_f32 v8, -v8, v11, v10
	v_div_fmas_f32 v8, v8, v9, v11
	v_div_fixup_f32 v8, v8, v7, v6
                                        ; implicit-def: $vgpr9
                                        ; implicit-def: $vgpr6_vgpr7
	s_andn2_saveexec_b64 s[22:23], s[22:23]
	s_cbranch_execz .LBB237_146
	s_branch .LBB237_145
.LBB237_144:
	s_andn2_saveexec_b64 s[22:23], s[22:23]
	s_cbranch_execz .LBB237_146
.LBB237_145:
	v_sub_f32_e32 v4, v9, v7
	v_mul_f32_e32 v4, 0.5, v4
	s_mov_b32 s4, 0xf800000
	v_mul_f32_e32 v7, 0x4f800000, v4
	v_cmp_gt_f32_e32 vcc, s4, v4
	s_nop 1
	v_cndmask_b32_e32 v4, v4, v7, vcc
	v_sqrt_f32_e32 v7, v4
	s_nop 0
	v_add_u32_e32 v8, -1, v7
	v_fma_f32 v9, -v8, v7, v4
	v_cmp_ge_f32_e64 s[4:5], 0, v9
	v_add_u32_e32 v9, 1, v7
	s_nop 0
	v_cndmask_b32_e64 v8, v7, v8, s[4:5]
	v_fma_f32 v7, -v9, v7, v4
	v_cmp_lt_f32_e64 s[4:5], 0, v7
	s_nop 1
	v_cndmask_b32_e64 v7, v8, v9, s[4:5]
	v_mul_f32_e32 v8, 0x37800000, v7
	v_cndmask_b32_e32 v7, v7, v8, vcc
	v_mov_b32_e32 v8, 0x260
	v_cmp_class_f32_e32 vcc, v4, v8
	v_and_b32_e32 v8, 0x7fffffff, v6
	s_nop 0
	v_cndmask_b32_e32 v7, v7, v4, vcc
	v_add_f32_e32 v4, v7, v7
	v_div_scale_f32 v9, s[4:5], v4, v4, v8
	v_rcp_f32_e32 v10, v9
	v_div_scale_f32 v8, vcc, v8, v4, v8
	s_brev_b32 s4, -2
	v_fma_f32 v11, -v9, v10, 1.0
	v_fmac_f32_e32 v10, v11, v10
	v_mul_f32_e32 v11, v8, v10
	v_fma_f32 v12, -v9, v11, v8
	v_fmac_f32_e32 v11, v12, v10
	v_fma_f32 v8, -v9, v11, v8
	v_div_fmas_f32 v8, v8, v10, v11
	v_div_fixup_f32 v4, v8, v4, |v6|
	v_bfi_b32 v8, s4, v7, v6
.LBB237_146:
	s_or_b64 exec, exec, s[22:23]
                                        ; implicit-def: $vgpr6
	s_and_saveexec_b64 s[4:5], s[2:3]
	s_xor_b64 s[2:3], exec, s[4:5]
	s_cbranch_execz .LBB237_148
; %bb.147:
	v_mul_f32_e32 v6, 0.5, v4
	v_mul_f32_e32 v9, 0.5, v8
	v_cndmask_b32_e64 v7, v4, v6, s[20:21]
	v_cndmask_b32_e64 v6, v8, v9, s[20:21]
                                        ; implicit-def: $vgpr4
                                        ; implicit-def: $vgpr8
	s_andn2_saveexec_b64 s[2:3], s[2:3]
	s_cbranch_execnz .LBB237_149
	s_branch .LBB237_150
.LBB237_148:
	s_andn2_saveexec_b64 s[2:3], s[2:3]
.LBB237_149:
	v_add_f32_e32 v7, v4, v4
	v_add_f32_e32 v6, v8, v8
.LBB237_150:
	s_or_b64 exec, exec, s[2:3]
                                        ; implicit-def: $vgpr9
.LBB237_151:
	s_andn2_saveexec_b64 s[2:3], s[18:19]
	s_cbranch_execz .LBB237_157
; %bb.152:
	v_and_b32_e32 v4, 0x8000, v9
	v_cmp_ne_u32_e32 vcc, 0, v4
	v_sub_f32_e32 v4, v6, v6
	s_and_saveexec_b64 s[4:5], vcc
	s_xor_b64 s[4:5], exec, s[4:5]
; %bb.153:
	s_brev_b32 s7, -2
	v_and_b32_e32 v4, 0x7fffffff, v4
	v_bfi_b32 v6, s7, v7, v6
	v_mov_b32_e32 v7, v4
                                        ; implicit-def: $vgpr4
; %bb.154:
	s_andn2_saveexec_b64 s[4:5], s[4:5]
; %bb.155:
	s_brev_b32 s7, -2
	v_bfi_b32 v6, s7, v4, v6
; %bb.156:
	s_or_b64 exec, exec, s[4:5]
.LBB237_157:
	s_or_b64 exec, exec, s[2:3]
.LBB237_158:
	s_andn2_saveexec_b64 s[2:3], s[16:17]
	s_cbranch_execz .LBB237_160
; %bb.159:
	v_sub_f32_e32 v4, v6, v6
	v_div_scale_f32 v6, vcc, v4, v4, v4
	v_rcp_f32_e32 v8, v6
	s_nop 0
	v_fma_f32 v9, -v6, v8, 1.0
	v_fmac_f32_e32 v8, v9, v8
	v_mul_f32_e32 v9, v6, v8
	v_fma_f32 v10, -v6, v9, v6
	v_fmac_f32_e32 v9, v10, v8
	v_fma_f32 v6, -v6, v9, v6
	v_div_fmas_f32 v6, v6, v8, v9
	v_div_fixup_f32 v6, v6, v4, v4
.LBB237_160:
	s_or_b64 exec, exec, s[2:3]
.LBB237_161:
	s_or_b64 exec, exec, s[14:15]
.LBB237_162:
	s_or_b64 exec, exec, s[12:13]
	v_cvt_f16_f32_e32 v4, v7
	v_cvt_f16_f32_sdwa v6, v6 dst_sel:WORD_1 dst_unused:UNUSED_PAD src0_sel:DWORD
	s_nop 0
	v_or_b32_e32 v8, v6, v4
.LBB237_163:
	s_or_b64 exec, exec, s[10:11]
	s_waitcnt vmcnt(0)
	v_or_b32_e32 v9, 0x100, v0
	v_cmp_gt_i32_e32 vcc, s24, v9
                                        ; implicit-def: $vgpr10
	s_and_saveexec_b64 s[10:11], vcc
	s_cbranch_execz .LBB237_195
; %bb.164:
	v_cvt_f32_f16_sdwa v6, v3 dst_sel:DWORD dst_unused:UNUSED_PAD src0_sel:WORD_1
	v_mov_b32_e32 v7, 0
	v_cmp_neq_f16_e32 vcc, 0, v3
	v_cmp_neq_f16_sdwa s[2:3], v3, v7 src0_sel:WORD_1 src1_sel:DWORD
	s_or_b64 s[2:3], vcc, s[2:3]
	s_and_saveexec_b64 s[12:13], s[2:3]
	s_cbranch_execz .LBB237_194
; %bb.165:
	v_mov_b32_e32 v7, 0x7f800000
	v_cmp_neq_f32_e64 s[2:3], |v6|, v7
	s_and_saveexec_b64 s[14:15], s[2:3]
	s_cbranch_execz .LBB237_193
; %bb.166:
	v_cvt_f32_f16_e32 v7, v3
	v_cmp_o_f16_e32 vcc, v3, v3
	s_and_saveexec_b64 s[2:3], vcc
	s_xor_b64 s[16:17], exec, s[2:3]
	s_cbranch_execz .LBB237_190
; %bb.167:
	s_mov_b32 s2, 0x7f800000
	v_cmp_neq_f32_e64 s[2:3], |v7|, s2
	s_and_saveexec_b64 s[4:5], s[2:3]
	s_xor_b64 s[18:19], exec, s[4:5]
	s_cbranch_execz .LBB237_183
; %bb.168:
	v_max_f32_e64 v3, |v6|, |v6|
	v_max_f32_e64 v4, |v7|, |v7|
	v_max_f32_e32 v3, v4, v3
	s_mov_b32 s2, 0x7ed413cb
	v_cmp_nle_f32_e64 s[2:3], s2, v3
                                        ; implicit-def: $sgpr20_sgpr21
	s_and_saveexec_b64 s[4:5], s[2:3]
	s_xor_b64 s[4:5], exec, s[4:5]
	s_cbranch_execz .LBB237_172
; %bb.169:
	s_mov_b32 s7, 0x1000000
	v_cmp_le_f32_e64 s[20:21], |v7|, s7
	v_cmp_le_f32_e64 s[22:23], |v6|, s7
	s_and_b64 s[26:27], s[20:21], s[22:23]
	s_mov_b64 s[20:21], 0
	s_and_saveexec_b64 s[22:23], s[26:27]
; %bb.170:
	s_mov_b64 s[20:21], exec
	v_pk_mul_f32 v[6:7], v[6:7], 4.0 op_sel_hi:[1,0]
; %bb.171:
	s_or_b64 exec, exec, s[22:23]
.LBB237_172:
	s_andn2_saveexec_b64 s[4:5], s[4:5]
; %bb.173:
	s_mov_b32 s22, 0x3e800000
	v_pk_mul_f32 v[6:7], v[6:7], s[22:23] op_sel_hi:[1,0]
	s_andn2_b64 s[20:21], s[20:21], exec
; %bb.174:
	s_or_b64 exec, exec, s[4:5]
	v_max_f32_e64 v3, |v6|, |v6|
	v_max_f32_e64 v4, |v7|, |v7|
	v_max_f32_e32 v3, v4, v3
	v_cvt_f64_f32_e32 v[10:11], v3
	v_frexp_exp_i32_f64_e32 v4, v[10:11]
	v_sub_u32_e32 v10, 0, v4
	v_ldexp_f32 v11, |v7|, v10
	v_ldexp_f32 v10, |v6|, v10
	v_mul_f32_e32 v10, v10, v10
	v_fmac_f32_e32 v10, v11, v11
	v_sqrt_f32_e32 v10, v10
	s_mov_b32 s4, 0x7f800000
	v_cmp_neq_f32_e64 s[4:5], s4, v3
	v_cmp_le_f32_e32 vcc, 0, v7
	v_ldexp_f32 v4, v10, v4
	v_mov_b32_e32 v10, 0x7f800000
	v_cndmask_b32_e64 v10, v10, v4, s[4:5]
                                        ; implicit-def: $vgpr4
                                        ; implicit-def: $vgpr3
	s_and_saveexec_b64 s[4:5], vcc
	s_xor_b64 s[22:23], exec, s[4:5]
	s_cbranch_execz .LBB237_176
; %bb.175:
	v_add_f32_e32 v3, v7, v10
	v_mul_f32_e32 v3, 0.5, v3
	s_mov_b32 s4, 0xf800000
	v_mul_f32_e32 v4, 0x4f800000, v3
	v_cmp_gt_f32_e32 vcc, s4, v3
	s_nop 1
	v_cndmask_b32_e32 v3, v3, v4, vcc
	v_sqrt_f32_e32 v4, v3
	s_nop 0
	v_add_u32_e32 v7, -1, v4
	v_fma_f32 v10, -v7, v4, v3
	v_cmp_ge_f32_e64 s[4:5], 0, v10
	v_add_u32_e32 v10, 1, v4
	s_nop 0
	v_cndmask_b32_e64 v7, v4, v7, s[4:5]
	v_fma_f32 v4, -v10, v4, v3
	v_cmp_lt_f32_e64 s[4:5], 0, v4
	s_nop 1
	v_cndmask_b32_e64 v4, v7, v10, s[4:5]
	v_mul_f32_e32 v7, 0x37800000, v4
	v_cndmask_b32_e32 v4, v4, v7, vcc
	v_mov_b32_e32 v7, 0x260
	v_cmp_class_f32_e32 vcc, v3, v7
	s_nop 1
	v_cndmask_b32_e32 v3, v4, v3, vcc
	v_add_f32_e32 v4, v3, v3
	v_div_scale_f32 v7, s[4:5], v4, v4, v6
	v_rcp_f32_e32 v10, v7
	s_nop 0
	v_fma_f32 v11, -v7, v10, 1.0
	v_fmac_f32_e32 v10, v11, v10
	v_div_scale_f32 v11, vcc, v6, v4, v6
	v_mul_f32_e32 v12, v11, v10
	v_fma_f32 v13, -v7, v12, v11
	v_fmac_f32_e32 v12, v13, v10
	v_fma_f32 v7, -v7, v12, v11
	v_div_fmas_f32 v7, v7, v10, v12
	v_div_fixup_f32 v4, v7, v4, v6
                                        ; implicit-def: $vgpr10
                                        ; implicit-def: $vgpr6_vgpr7
	s_andn2_saveexec_b64 s[22:23], s[22:23]
	s_cbranch_execz .LBB237_178
	s_branch .LBB237_177
.LBB237_176:
	s_andn2_saveexec_b64 s[22:23], s[22:23]
	s_cbranch_execz .LBB237_178
.LBB237_177:
	v_sub_f32_e32 v3, v10, v7
	v_mul_f32_e32 v3, 0.5, v3
	s_mov_b32 s4, 0xf800000
	v_mul_f32_e32 v4, 0x4f800000, v3
	v_cmp_gt_f32_e32 vcc, s4, v3
	s_nop 1
	v_cndmask_b32_e32 v3, v3, v4, vcc
	v_sqrt_f32_e32 v4, v3
	s_nop 0
	v_add_u32_e32 v7, -1, v4
	v_fma_f32 v10, -v7, v4, v3
	v_cmp_ge_f32_e64 s[4:5], 0, v10
	v_add_u32_e32 v10, 1, v4
	s_nop 0
	v_cndmask_b32_e64 v7, v4, v7, s[4:5]
	v_fma_f32 v4, -v10, v4, v3
	v_cmp_lt_f32_e64 s[4:5], 0, v4
	s_nop 1
	v_cndmask_b32_e64 v4, v7, v10, s[4:5]
	v_mul_f32_e32 v7, 0x37800000, v4
	v_cndmask_b32_e32 v4, v4, v7, vcc
	v_mov_b32_e32 v7, 0x260
	v_cmp_class_f32_e32 vcc, v3, v7
	v_and_b32_e32 v7, 0x7fffffff, v6
	s_nop 0
	v_cndmask_b32_e32 v4, v4, v3, vcc
	v_add_f32_e32 v3, v4, v4
	v_div_scale_f32 v10, s[4:5], v3, v3, v7
	v_rcp_f32_e32 v11, v10
	v_div_scale_f32 v7, vcc, v7, v3, v7
	s_brev_b32 s4, -2
	v_fma_f32 v12, -v10, v11, 1.0
	v_fmac_f32_e32 v11, v12, v11
	v_mul_f32_e32 v12, v7, v11
	v_fma_f32 v13, -v10, v12, v7
	v_fmac_f32_e32 v12, v13, v11
	v_fma_f32 v7, -v10, v12, v7
	v_div_fmas_f32 v7, v7, v11, v12
	v_div_fixup_f32 v3, v7, v3, |v6|
	v_bfi_b32 v4, s4, v4, v6
.LBB237_178:
	s_or_b64 exec, exec, s[22:23]
                                        ; implicit-def: $vgpr6
	s_and_saveexec_b64 s[4:5], s[2:3]
	s_xor_b64 s[2:3], exec, s[4:5]
	s_cbranch_execz .LBB237_180
; %bb.179:
	v_mul_f32_e32 v6, 0.5, v3
	v_mul_f32_e32 v10, 0.5, v4
	v_cndmask_b32_e64 v7, v3, v6, s[20:21]
	v_cndmask_b32_e64 v6, v4, v10, s[20:21]
                                        ; implicit-def: $vgpr3
                                        ; implicit-def: $vgpr4
	s_andn2_saveexec_b64 s[2:3], s[2:3]
	s_cbranch_execnz .LBB237_181
	s_branch .LBB237_182
.LBB237_180:
	s_andn2_saveexec_b64 s[2:3], s[2:3]
.LBB237_181:
	v_add_f32_e32 v7, v3, v3
	v_add_f32_e32 v6, v4, v4
.LBB237_182:
	s_or_b64 exec, exec, s[2:3]
.LBB237_183:
	s_andn2_saveexec_b64 s[2:3], s[18:19]
	s_cbranch_execz .LBB237_189
; %bb.184:
	v_and_b32_e32 v3, 0x8000, v3
	v_cmp_ne_u32_e32 vcc, 0, v3
	v_sub_f32_e32 v3, v6, v6
	s_and_saveexec_b64 s[4:5], vcc
	s_xor_b64 s[4:5], exec, s[4:5]
; %bb.185:
	s_brev_b32 s7, -2
	v_and_b32_e32 v3, 0x7fffffff, v3
	v_bfi_b32 v6, s7, v7, v6
	v_mov_b32_e32 v7, v3
                                        ; implicit-def: $vgpr3
; %bb.186:
	s_andn2_saveexec_b64 s[4:5], s[4:5]
; %bb.187:
	s_brev_b32 s7, -2
	v_bfi_b32 v6, s7, v3, v6
; %bb.188:
	s_or_b64 exec, exec, s[4:5]
.LBB237_189:
	s_or_b64 exec, exec, s[2:3]
.LBB237_190:
	s_andn2_saveexec_b64 s[2:3], s[16:17]
	s_cbranch_execz .LBB237_192
; %bb.191:
	v_sub_f32_e32 v3, v6, v6
	v_div_scale_f32 v4, vcc, v3, v3, v3
	v_rcp_f32_e32 v6, v4
	s_nop 0
	v_fma_f32 v10, -v4, v6, 1.0
	v_fmac_f32_e32 v6, v10, v6
	v_mul_f32_e32 v10, v4, v6
	v_fma_f32 v11, -v4, v10, v4
	v_fmac_f32_e32 v10, v11, v6
	v_fma_f32 v4, -v4, v10, v4
	v_div_fmas_f32 v4, v4, v6, v10
	v_div_fixup_f32 v6, v4, v3, v3
.LBB237_192:
	s_or_b64 exec, exec, s[2:3]
.LBB237_193:
	s_or_b64 exec, exec, s[14:15]
.LBB237_194:
	s_or_b64 exec, exec, s[12:13]
	v_cvt_f16_f32_e32 v3, v7
	v_cvt_f16_f32_sdwa v4, v6 dst_sel:WORD_1 dst_unused:UNUSED_PAD src0_sel:DWORD
	s_nop 0
	v_or_b32_e32 v10, v4, v3
.LBB237_195:
	s_or_b64 exec, exec, s[10:11]
	v_or_b32_e32 v3, 0x200, v0
	v_cmp_gt_i32_e32 vcc, s24, v3
                                        ; implicit-def: $vgpr6
	s_and_saveexec_b64 s[10:11], vcc
	s_cbranch_execz .LBB237_227
; %bb.196:
	v_cvt_f32_f16_sdwa v6, v5 dst_sel:DWORD dst_unused:UNUSED_PAD src0_sel:WORD_1
	v_mov_b32_e32 v7, 0
	v_cmp_neq_f16_e32 vcc, 0, v5
	v_cmp_neq_f16_sdwa s[2:3], v5, v7 src0_sel:WORD_1 src1_sel:DWORD
	s_or_b64 s[2:3], vcc, s[2:3]
	s_and_saveexec_b64 s[12:13], s[2:3]
	s_cbranch_execz .LBB237_226
; %bb.197:
	v_mov_b32_e32 v7, 0x7f800000
	v_cmp_neq_f32_e64 s[2:3], |v6|, v7
	s_and_saveexec_b64 s[14:15], s[2:3]
	s_cbranch_execz .LBB237_225
; %bb.198:
	v_cvt_f32_f16_e32 v7, v5
	v_cmp_o_f16_e32 vcc, v5, v5
	s_and_saveexec_b64 s[2:3], vcc
	s_xor_b64 s[16:17], exec, s[2:3]
	s_cbranch_execz .LBB237_222
; %bb.199:
	s_mov_b32 s2, 0x7f800000
	v_cmp_neq_f32_e64 s[2:3], |v7|, s2
	s_and_saveexec_b64 s[4:5], s[2:3]
	s_xor_b64 s[18:19], exec, s[4:5]
	s_cbranch_execz .LBB237_215
; %bb.200:
	v_max_f32_e64 v3, |v6|, |v6|
	v_max_f32_e64 v4, |v7|, |v7|
	v_max_f32_e32 v3, v4, v3
	s_mov_b32 s2, 0x7ed413cb
	v_cmp_nle_f32_e64 s[2:3], s2, v3
                                        ; implicit-def: $sgpr20_sgpr21
	s_and_saveexec_b64 s[4:5], s[2:3]
	s_xor_b64 s[4:5], exec, s[4:5]
	s_cbranch_execz .LBB237_204
; %bb.201:
	s_mov_b32 s7, 0x1000000
	v_cmp_le_f32_e64 s[20:21], |v7|, s7
	v_cmp_le_f32_e64 s[22:23], |v6|, s7
	s_and_b64 s[26:27], s[20:21], s[22:23]
	s_mov_b64 s[20:21], 0
	s_and_saveexec_b64 s[22:23], s[26:27]
; %bb.202:
	s_mov_b64 s[20:21], exec
	v_pk_mul_f32 v[6:7], v[6:7], 4.0 op_sel_hi:[1,0]
; %bb.203:
	s_or_b64 exec, exec, s[22:23]
.LBB237_204:
	s_andn2_saveexec_b64 s[4:5], s[4:5]
; %bb.205:
	s_mov_b32 s22, 0x3e800000
	v_pk_mul_f32 v[6:7], v[6:7], s[22:23] op_sel_hi:[1,0]
	s_andn2_b64 s[20:21], s[20:21], exec
; %bb.206:
	s_or_b64 exec, exec, s[4:5]
	v_max_f32_e64 v3, |v6|, |v6|
	v_max_f32_e64 v4, |v7|, |v7|
	v_max_f32_e32 v3, v4, v3
	v_cvt_f64_f32_e32 v[4:5], v3
	v_frexp_exp_i32_f64_e32 v4, v[4:5]
	v_sub_u32_e32 v5, 0, v4
	v_ldexp_f32 v11, |v7|, v5
	v_ldexp_f32 v5, |v6|, v5
	v_mul_f32_e32 v5, v5, v5
	v_fmac_f32_e32 v5, v11, v11
	v_sqrt_f32_e32 v5, v5
	s_mov_b32 s4, 0x7f800000
	v_cmp_neq_f32_e64 s[4:5], s4, v3
	v_cmp_le_f32_e32 vcc, 0, v7
	v_ldexp_f32 v4, v5, v4
	v_mov_b32_e32 v5, 0x7f800000
	v_cndmask_b32_e64 v5, v5, v4, s[4:5]
                                        ; implicit-def: $vgpr4
                                        ; implicit-def: $vgpr3
	s_and_saveexec_b64 s[4:5], vcc
	s_xor_b64 s[22:23], exec, s[4:5]
	s_cbranch_execz .LBB237_208
; %bb.207:
	v_add_f32_e32 v3, v7, v5
	v_mul_f32_e32 v3, 0.5, v3
	s_mov_b32 s4, 0xf800000
	v_mul_f32_e32 v4, 0x4f800000, v3
	v_cmp_gt_f32_e32 vcc, s4, v3
	s_nop 1
	v_cndmask_b32_e32 v3, v3, v4, vcc
	v_sqrt_f32_e32 v4, v3
	s_nop 0
	v_add_u32_e32 v5, -1, v4
	v_fma_f32 v7, -v5, v4, v3
	v_cmp_ge_f32_e64 s[4:5], 0, v7
	v_add_u32_e32 v7, 1, v4
	s_nop 0
	v_cndmask_b32_e64 v5, v4, v5, s[4:5]
	v_fma_f32 v4, -v7, v4, v3
	v_cmp_lt_f32_e64 s[4:5], 0, v4
	s_nop 1
	v_cndmask_b32_e64 v4, v5, v7, s[4:5]
	v_mul_f32_e32 v5, 0x37800000, v4
	v_cndmask_b32_e32 v4, v4, v5, vcc
	v_mov_b32_e32 v5, 0x260
	v_cmp_class_f32_e32 vcc, v3, v5
	s_nop 1
	v_cndmask_b32_e32 v3, v4, v3, vcc
	v_add_f32_e32 v4, v3, v3
	v_div_scale_f32 v5, s[4:5], v4, v4, v6
	v_rcp_f32_e32 v7, v5
	s_nop 0
	v_fma_f32 v11, -v5, v7, 1.0
	v_fmac_f32_e32 v7, v11, v7
	v_div_scale_f32 v11, vcc, v6, v4, v6
	v_mul_f32_e32 v12, v11, v7
	v_fma_f32 v13, -v5, v12, v11
	v_fmac_f32_e32 v12, v13, v7
	v_fma_f32 v5, -v5, v12, v11
	v_div_fmas_f32 v5, v5, v7, v12
	v_div_fixup_f32 v4, v5, v4, v6
                                        ; implicit-def: $vgpr5
                                        ; implicit-def: $vgpr6_vgpr7
	s_andn2_saveexec_b64 s[22:23], s[22:23]
	s_cbranch_execz .LBB237_210
	s_branch .LBB237_209
.LBB237_208:
	s_andn2_saveexec_b64 s[22:23], s[22:23]
	s_cbranch_execz .LBB237_210
.LBB237_209:
	v_sub_f32_e32 v3, v5, v7
	v_mul_f32_e32 v3, 0.5, v3
	s_mov_b32 s4, 0xf800000
	v_mul_f32_e32 v4, 0x4f800000, v3
	v_cmp_gt_f32_e32 vcc, s4, v3
	s_nop 1
	v_cndmask_b32_e32 v3, v3, v4, vcc
	v_sqrt_f32_e32 v4, v3
	s_nop 0
	v_add_u32_e32 v5, -1, v4
	v_fma_f32 v7, -v5, v4, v3
	v_cmp_ge_f32_e64 s[4:5], 0, v7
	v_add_u32_e32 v7, 1, v4
	s_nop 0
	v_cndmask_b32_e64 v5, v4, v5, s[4:5]
	v_fma_f32 v4, -v7, v4, v3
	v_cmp_lt_f32_e64 s[4:5], 0, v4
	s_nop 1
	v_cndmask_b32_e64 v4, v5, v7, s[4:5]
	v_mul_f32_e32 v5, 0x37800000, v4
	v_cndmask_b32_e32 v4, v4, v5, vcc
	v_mov_b32_e32 v5, 0x260
	v_cmp_class_f32_e32 vcc, v3, v5
	v_and_b32_e32 v5, 0x7fffffff, v6
	s_nop 0
	v_cndmask_b32_e32 v4, v4, v3, vcc
	v_add_f32_e32 v3, v4, v4
	v_div_scale_f32 v7, s[4:5], v3, v3, v5
	v_rcp_f32_e32 v11, v7
	v_div_scale_f32 v5, vcc, v5, v3, v5
	s_brev_b32 s4, -2
	v_fma_f32 v12, -v7, v11, 1.0
	v_fmac_f32_e32 v11, v12, v11
	v_mul_f32_e32 v12, v5, v11
	v_fma_f32 v13, -v7, v12, v5
	v_fmac_f32_e32 v12, v13, v11
	v_fma_f32 v5, -v7, v12, v5
	v_div_fmas_f32 v5, v5, v11, v12
	v_div_fixup_f32 v3, v5, v3, |v6|
	v_bfi_b32 v4, s4, v4, v6
.LBB237_210:
	s_or_b64 exec, exec, s[22:23]
                                        ; implicit-def: $vgpr6
	s_and_saveexec_b64 s[4:5], s[2:3]
	s_xor_b64 s[2:3], exec, s[4:5]
	s_cbranch_execz .LBB237_212
; %bb.211:
	v_mul_f32_e32 v5, 0.5, v3
	v_mul_f32_e32 v6, 0.5, v4
	v_cndmask_b32_e64 v7, v3, v5, s[20:21]
	v_cndmask_b32_e64 v6, v4, v6, s[20:21]
                                        ; implicit-def: $vgpr3
                                        ; implicit-def: $vgpr4
	s_andn2_saveexec_b64 s[2:3], s[2:3]
	s_cbranch_execnz .LBB237_213
	s_branch .LBB237_214
.LBB237_212:
	s_andn2_saveexec_b64 s[2:3], s[2:3]
.LBB237_213:
	v_add_f32_e32 v7, v3, v3
	v_add_f32_e32 v6, v4, v4
.LBB237_214:
	s_or_b64 exec, exec, s[2:3]
                                        ; implicit-def: $vgpr5
.LBB237_215:
	s_andn2_saveexec_b64 s[2:3], s[18:19]
	s_cbranch_execz .LBB237_221
; %bb.216:
	v_and_b32_e32 v3, 0x8000, v5
	v_cmp_ne_u32_e32 vcc, 0, v3
	v_sub_f32_e32 v3, v6, v6
	s_and_saveexec_b64 s[4:5], vcc
	s_xor_b64 s[4:5], exec, s[4:5]
; %bb.217:
	s_brev_b32 s7, -2
	v_and_b32_e32 v3, 0x7fffffff, v3
	v_bfi_b32 v6, s7, v7, v6
	v_mov_b32_e32 v7, v3
                                        ; implicit-def: $vgpr3
; %bb.218:
	s_andn2_saveexec_b64 s[4:5], s[4:5]
; %bb.219:
	s_brev_b32 s7, -2
	v_bfi_b32 v6, s7, v3, v6
; %bb.220:
	s_or_b64 exec, exec, s[4:5]
.LBB237_221:
	s_or_b64 exec, exec, s[2:3]
.LBB237_222:
	s_andn2_saveexec_b64 s[2:3], s[16:17]
	s_cbranch_execz .LBB237_224
; %bb.223:
	v_sub_f32_e32 v3, v6, v6
	v_div_scale_f32 v4, vcc, v3, v3, v3
	v_rcp_f32_e32 v5, v4
	s_nop 0
	v_fma_f32 v6, -v4, v5, 1.0
	v_fmac_f32_e32 v5, v6, v5
	v_mul_f32_e32 v6, v4, v5
	v_fma_f32 v11, -v4, v6, v4
	v_fmac_f32_e32 v6, v11, v5
	v_fma_f32 v4, -v4, v6, v4
	v_div_fmas_f32 v4, v4, v5, v6
	v_div_fixup_f32 v6, v4, v3, v3
.LBB237_224:
	s_or_b64 exec, exec, s[2:3]
.LBB237_225:
	s_or_b64 exec, exec, s[14:15]
.LBB237_226:
	s_or_b64 exec, exec, s[12:13]
	v_cvt_f16_f32_e32 v3, v7
	v_cvt_f16_f32_sdwa v4, v6 dst_sel:WORD_1 dst_unused:UNUSED_PAD src0_sel:DWORD
	s_nop 0
	v_or_b32_e32 v6, v4, v3
.LBB237_227:
	s_or_b64 exec, exec, s[10:11]
	v_or_b32_e32 v3, 0x300, v0
	v_cmp_gt_i32_e32 vcc, s24, v3
                                        ; implicit-def: $vgpr4
	s_and_saveexec_b64 s[10:11], vcc
	s_cbranch_execz .LBB237_240
; %bb.228:
	v_cvt_f32_f16_sdwa v4, v1 dst_sel:DWORD dst_unused:UNUSED_PAD src0_sel:WORD_1
	v_mov_b32_e32 v5, 0
	v_cmp_neq_f16_e32 vcc, 0, v1
	v_cmp_neq_f16_sdwa s[2:3], v1, v5 src0_sel:WORD_1 src1_sel:DWORD
	s_or_b64 s[2:3], vcc, s[2:3]
	s_and_saveexec_b64 s[12:13], s[2:3]
	s_cbranch_execz .LBB237_262
; %bb.229:
	v_mov_b32_e32 v5, 0x7f800000
	v_cmp_neq_f32_e64 s[2:3], |v4|, v5
	s_and_saveexec_b64 s[14:15], s[2:3]
	s_cbranch_execz .LBB237_261
; %bb.230:
	v_cvt_f32_f16_e32 v5, v1
	v_cmp_o_f16_e32 vcc, v1, v1
	s_and_saveexec_b64 s[2:3], vcc
	s_xor_b64 s[16:17], exec, s[2:3]
	s_cbranch_execz .LBB237_258
; %bb.231:
	s_mov_b32 s2, 0x7f800000
	v_cmp_neq_f32_e64 s[2:3], |v5|, s2
	s_and_saveexec_b64 s[4:5], s[2:3]
	s_xor_b64 s[18:19], exec, s[4:5]
	s_cbranch_execz .LBB237_251
; %bb.232:
	v_max_f32_e64 v1, |v4|, |v4|
	v_max_f32_e64 v3, |v5|, |v5|
	v_max_f32_e32 v1, v3, v1
	s_mov_b32 s2, 0x7ed413cb
	v_cmp_nle_f32_e64 s[2:3], s2, v1
                                        ; implicit-def: $sgpr20_sgpr21
	s_and_saveexec_b64 s[4:5], s[2:3]
	s_xor_b64 s[4:5], exec, s[4:5]
	s_cbranch_execz .LBB237_236
; %bb.233:
	s_mov_b32 s7, 0x1000000
	v_cmp_le_f32_e64 s[20:21], |v5|, s7
	v_cmp_le_f32_e64 s[22:23], |v4|, s7
	s_and_b64 s[26:27], s[20:21], s[22:23]
	s_mov_b64 s[20:21], 0
	s_and_saveexec_b64 s[22:23], s[26:27]
; %bb.234:
	s_mov_b64 s[20:21], exec
	v_pk_mul_f32 v[4:5], v[4:5], 4.0 op_sel_hi:[1,0]
; %bb.235:
	s_or_b64 exec, exec, s[22:23]
.LBB237_236:
	s_andn2_saveexec_b64 s[4:5], s[4:5]
; %bb.237:
	s_mov_b32 s22, 0x3e800000
	v_pk_mul_f32 v[4:5], v[4:5], s[22:23] op_sel_hi:[1,0]
	s_andn2_b64 s[20:21], s[20:21], exec
; %bb.238:
	s_or_b64 exec, exec, s[4:5]
	v_max_f32_e64 v1, |v4|, |v4|
	v_max_f32_e64 v3, |v5|, |v5|
	v_max_f32_e32 v1, v3, v1
	v_cvt_f64_f32_e32 v[12:13], v1
	v_frexp_exp_i32_f64_e32 v3, v[12:13]
	v_sub_u32_e32 v7, 0, v3
	v_ldexp_f32 v11, |v5|, v7
	v_ldexp_f32 v7, |v4|, v7
	v_mul_f32_e32 v7, v7, v7
	v_fmac_f32_e32 v7, v11, v11
	v_sqrt_f32_e32 v7, v7
	s_mov_b32 s4, 0x7f800000
	v_cmp_neq_f32_e64 s[4:5], s4, v1
	v_cmp_le_f32_e32 vcc, 0, v5
	v_ldexp_f32 v3, v7, v3
	v_mov_b32_e32 v7, 0x7f800000
	v_cndmask_b32_e64 v7, v7, v3, s[4:5]
                                        ; implicit-def: $vgpr3
                                        ; implicit-def: $vgpr1
	s_and_saveexec_b64 s[4:5], vcc
	s_xor_b64 s[22:23], exec, s[4:5]
	s_cbranch_execz .LBB237_244
; %bb.239:
	v_add_f32_e32 v1, v5, v7
	v_mul_f32_e32 v1, 0.5, v1
	s_mov_b32 s4, 0xf800000
	v_mul_f32_e32 v3, 0x4f800000, v1
	v_cmp_gt_f32_e32 vcc, s4, v1
	s_nop 1
	v_cndmask_b32_e32 v1, v1, v3, vcc
	v_sqrt_f32_e32 v3, v1
	s_nop 0
	v_add_u32_e32 v5, -1, v3
	v_fma_f32 v7, -v5, v3, v1
	v_cmp_ge_f32_e64 s[4:5], 0, v7
	v_add_u32_e32 v7, 1, v3
	s_nop 0
	v_cndmask_b32_e64 v5, v3, v5, s[4:5]
	v_fma_f32 v3, -v7, v3, v1
	v_cmp_lt_f32_e64 s[4:5], 0, v3
	s_nop 1
	v_cndmask_b32_e64 v3, v5, v7, s[4:5]
	v_mul_f32_e32 v5, 0x37800000, v3
	v_cndmask_b32_e32 v3, v3, v5, vcc
	v_mov_b32_e32 v5, 0x260
	v_cmp_class_f32_e32 vcc, v1, v5
	s_nop 1
	v_cndmask_b32_e32 v1, v3, v1, vcc
	v_add_f32_e32 v3, v1, v1
	v_div_scale_f32 v5, s[4:5], v3, v3, v4
	v_rcp_f32_e32 v7, v5
	s_nop 0
	v_fma_f32 v11, -v5, v7, 1.0
	v_fmac_f32_e32 v7, v11, v7
	v_div_scale_f32 v11, vcc, v4, v3, v4
	v_mul_f32_e32 v12, v11, v7
	v_fma_f32 v13, -v5, v12, v11
	v_fmac_f32_e32 v12, v13, v7
	v_fma_f32 v5, -v5, v12, v11
	v_div_fmas_f32 v5, v5, v7, v12
	v_div_fixup_f32 v3, v5, v3, v4
                                        ; implicit-def: $vgpr7
                                        ; implicit-def: $vgpr4_vgpr5
	s_andn2_saveexec_b64 s[22:23], s[22:23]
	s_cbranch_execz .LBB237_246
	s_branch .LBB237_245
.LBB237_240:
	s_or_b64 exec, exec, s[10:11]
	s_and_saveexec_b64 s[2:3], s[0:1]
	s_xor_b64 s[0:1], exec, s[2:3]
	s_cbranch_execz .LBB237_263
.LBB237_241:
	v_mov_b32_e32 v3, 0
	v_lshl_add_u64 v[0:1], v[2:3], 2, s[8:9]
	global_store_dword v[0:1], v8, off
	v_mov_b32_e32 v0, v9
	s_or_b64 exec, exec, s[0:1]
	v_cmp_gt_i32_e32 vcc, s24, v0
	s_and_saveexec_b64 s[0:1], vcc
	s_cbranch_execnz .LBB237_264
.LBB237_242:
	s_or_b64 exec, exec, s[0:1]
	v_cmp_gt_i32_e32 vcc, s24, v0
	s_and_saveexec_b64 s[0:1], vcc
	s_cbranch_execz .LBB237_265
.LBB237_243:
	v_add_u32_e32 v2, s6, v0
	v_mov_b32_e32 v3, 0
	v_lshl_add_u64 v[2:3], v[2:3], 2, s[8:9]
	v_add_u32_e32 v0, 0x100, v0
	global_store_dword v[2:3], v6, off
	s_or_b64 exec, exec, s[0:1]
	v_cmp_gt_i32_e32 vcc, s24, v0
	s_and_saveexec_b64 s[0:1], vcc
	s_cbranch_execnz .LBB237_266
	s_branch .LBB237_267
.LBB237_244:
	s_andn2_saveexec_b64 s[22:23], s[22:23]
	s_cbranch_execz .LBB237_246
.LBB237_245:
	v_sub_f32_e32 v1, v7, v5
	v_mul_f32_e32 v1, 0.5, v1
	s_mov_b32 s4, 0xf800000
	v_mul_f32_e32 v3, 0x4f800000, v1
	v_cmp_gt_f32_e32 vcc, s4, v1
	s_nop 1
	v_cndmask_b32_e32 v1, v1, v3, vcc
	v_sqrt_f32_e32 v3, v1
	s_nop 0
	v_add_u32_e32 v5, -1, v3
	v_fma_f32 v7, -v5, v3, v1
	v_cmp_ge_f32_e64 s[4:5], 0, v7
	v_add_u32_e32 v7, 1, v3
	s_nop 0
	v_cndmask_b32_e64 v5, v3, v5, s[4:5]
	v_fma_f32 v3, -v7, v3, v1
	v_cmp_lt_f32_e64 s[4:5], 0, v3
	s_nop 1
	v_cndmask_b32_e64 v3, v5, v7, s[4:5]
	v_mul_f32_e32 v5, 0x37800000, v3
	v_cndmask_b32_e32 v3, v3, v5, vcc
	v_mov_b32_e32 v5, 0x260
	v_cmp_class_f32_e32 vcc, v1, v5
	v_and_b32_e32 v5, 0x7fffffff, v4
	s_nop 0
	v_cndmask_b32_e32 v3, v3, v1, vcc
	v_add_f32_e32 v1, v3, v3
	v_div_scale_f32 v7, s[4:5], v1, v1, v5
	v_rcp_f32_e32 v11, v7
	v_div_scale_f32 v5, vcc, v5, v1, v5
	s_brev_b32 s4, -2
	v_fma_f32 v12, -v7, v11, 1.0
	v_fmac_f32_e32 v11, v12, v11
	v_mul_f32_e32 v12, v5, v11
	v_fma_f32 v13, -v7, v12, v5
	v_fmac_f32_e32 v12, v13, v11
	v_fma_f32 v5, -v7, v12, v5
	v_div_fmas_f32 v5, v5, v11, v12
	v_div_fixup_f32 v1, v5, v1, |v4|
	v_bfi_b32 v3, s4, v3, v4
.LBB237_246:
	s_or_b64 exec, exec, s[22:23]
                                        ; implicit-def: $vgpr4
	s_and_saveexec_b64 s[4:5], s[2:3]
	s_xor_b64 s[2:3], exec, s[4:5]
	s_cbranch_execz .LBB237_248
; %bb.247:
	v_mul_f32_e32 v4, 0.5, v1
	v_mul_f32_e32 v7, 0.5, v3
	v_cndmask_b32_e64 v5, v1, v4, s[20:21]
	v_cndmask_b32_e64 v4, v3, v7, s[20:21]
                                        ; implicit-def: $vgpr1
                                        ; implicit-def: $vgpr3
	s_andn2_saveexec_b64 s[2:3], s[2:3]
	s_cbranch_execnz .LBB237_249
	s_branch .LBB237_250
.LBB237_248:
	s_andn2_saveexec_b64 s[2:3], s[2:3]
.LBB237_249:
	v_add_f32_e32 v5, v1, v1
	v_add_f32_e32 v4, v3, v3
.LBB237_250:
	s_or_b64 exec, exec, s[2:3]
                                        ; implicit-def: $vgpr1
.LBB237_251:
	s_andn2_saveexec_b64 s[2:3], s[18:19]
	s_cbranch_execz .LBB237_257
; %bb.252:
	v_and_b32_e32 v1, 0x8000, v1
	v_cmp_ne_u32_e32 vcc, 0, v1
	v_sub_f32_e32 v1, v4, v4
	s_and_saveexec_b64 s[4:5], vcc
	s_xor_b64 s[4:5], exec, s[4:5]
; %bb.253:
	s_brev_b32 s7, -2
	v_and_b32_e32 v1, 0x7fffffff, v1
	v_bfi_b32 v4, s7, v5, v4
	v_mov_b32_e32 v5, v1
                                        ; implicit-def: $vgpr1
; %bb.254:
	s_andn2_saveexec_b64 s[4:5], s[4:5]
; %bb.255:
	s_brev_b32 s7, -2
	v_bfi_b32 v4, s7, v1, v4
; %bb.256:
	s_or_b64 exec, exec, s[4:5]
.LBB237_257:
	s_or_b64 exec, exec, s[2:3]
.LBB237_258:
	s_andn2_saveexec_b64 s[2:3], s[16:17]
	s_cbranch_execz .LBB237_260
; %bb.259:
	v_sub_f32_e32 v1, v4, v4
	v_div_scale_f32 v3, vcc, v1, v1, v1
	v_rcp_f32_e32 v4, v3
	s_nop 0
	v_fma_f32 v7, -v3, v4, 1.0
	v_fmac_f32_e32 v4, v7, v4
	v_mul_f32_e32 v7, v3, v4
	v_fma_f32 v11, -v3, v7, v3
	v_fmac_f32_e32 v7, v11, v4
	v_fma_f32 v3, -v3, v7, v3
	v_div_fmas_f32 v3, v3, v4, v7
	v_div_fixup_f32 v4, v3, v1, v1
.LBB237_260:
	s_or_b64 exec, exec, s[2:3]
.LBB237_261:
	s_or_b64 exec, exec, s[14:15]
.LBB237_262:
	s_or_b64 exec, exec, s[12:13]
	v_cvt_f16_f32_e32 v1, v5
	v_cvt_f16_f32_sdwa v3, v4 dst_sel:WORD_1 dst_unused:UNUSED_PAD src0_sel:DWORD
	s_nop 0
	v_or_b32_e32 v4, v3, v1
	s_or_b64 exec, exec, s[10:11]
	s_and_saveexec_b64 s[2:3], s[0:1]
	s_xor_b64 s[0:1], exec, s[2:3]
	s_cbranch_execnz .LBB237_241
.LBB237_263:
	s_or_b64 exec, exec, s[0:1]
	v_cmp_gt_i32_e32 vcc, s24, v0
	s_and_saveexec_b64 s[0:1], vcc
	s_cbranch_execz .LBB237_242
.LBB237_264:
	v_add_u32_e32 v2, s6, v0
	v_mov_b32_e32 v3, 0
	v_lshl_add_u64 v[2:3], v[2:3], 2, s[8:9]
	v_add_u32_e32 v0, 0x100, v0
	global_store_dword v[2:3], v10, off
	s_or_b64 exec, exec, s[0:1]
	v_cmp_gt_i32_e32 vcc, s24, v0
	s_and_saveexec_b64 s[0:1], vcc
	s_cbranch_execnz .LBB237_243
.LBB237_265:
	s_or_b64 exec, exec, s[0:1]
	v_cmp_gt_i32_e32 vcc, s24, v0
	s_and_saveexec_b64 s[0:1], vcc
	s_cbranch_execz .LBB237_267
.LBB237_266:
	v_add_u32_e32 v0, s6, v0
	v_mov_b32_e32 v1, 0
	v_lshl_add_u64 v[0:1], v[0:1], 2, s[8:9]
	global_store_dword v[0:1], v4, off
.LBB237_267:
	s_endpgm
	.section	.rodata,"a",@progbits
	.p2align	6, 0x0
	.amdhsa_kernel _ZN2at6native29vectorized_elementwise_kernelILi2EZZZNS0_16sqrt_kernel_cudaERNS_18TensorIteratorBaseEENKUlvE_clEvENKUlvE1_clEvEUlN3c107complexINS6_4HalfEEEE_St5arrayIPcLm2EEEEviT0_T1_
		.amdhsa_group_segment_fixed_size 0
		.amdhsa_private_segment_fixed_size 0
		.amdhsa_kernarg_size 24
		.amdhsa_user_sgpr_count 2
		.amdhsa_user_sgpr_dispatch_ptr 0
		.amdhsa_user_sgpr_queue_ptr 0
		.amdhsa_user_sgpr_kernarg_segment_ptr 1
		.amdhsa_user_sgpr_dispatch_id 0
		.amdhsa_user_sgpr_kernarg_preload_length 0
		.amdhsa_user_sgpr_kernarg_preload_offset 0
		.amdhsa_user_sgpr_private_segment_size 0
		.amdhsa_uses_dynamic_stack 0
		.amdhsa_enable_private_segment 0
		.amdhsa_system_sgpr_workgroup_id_x 1
		.amdhsa_system_sgpr_workgroup_id_y 0
		.amdhsa_system_sgpr_workgroup_id_z 0
		.amdhsa_system_sgpr_workgroup_info 0
		.amdhsa_system_vgpr_workitem_id 0
		.amdhsa_next_free_vgpr 17
		.amdhsa_next_free_sgpr 28
		.amdhsa_accum_offset 20
		.amdhsa_reserve_vcc 1
		.amdhsa_float_round_mode_32 0
		.amdhsa_float_round_mode_16_64 0
		.amdhsa_float_denorm_mode_32 3
		.amdhsa_float_denorm_mode_16_64 3
		.amdhsa_dx10_clamp 1
		.amdhsa_ieee_mode 1
		.amdhsa_fp16_overflow 0
		.amdhsa_tg_split 0
		.amdhsa_exception_fp_ieee_invalid_op 0
		.amdhsa_exception_fp_denorm_src 0
		.amdhsa_exception_fp_ieee_div_zero 0
		.amdhsa_exception_fp_ieee_overflow 0
		.amdhsa_exception_fp_ieee_underflow 0
		.amdhsa_exception_fp_ieee_inexact 0
		.amdhsa_exception_int_div_zero 0
	.end_amdhsa_kernel
	.section	.text._ZN2at6native29vectorized_elementwise_kernelILi2EZZZNS0_16sqrt_kernel_cudaERNS_18TensorIteratorBaseEENKUlvE_clEvENKUlvE1_clEvEUlN3c107complexINS6_4HalfEEEE_St5arrayIPcLm2EEEEviT0_T1_,"axG",@progbits,_ZN2at6native29vectorized_elementwise_kernelILi2EZZZNS0_16sqrt_kernel_cudaERNS_18TensorIteratorBaseEENKUlvE_clEvENKUlvE1_clEvEUlN3c107complexINS6_4HalfEEEE_St5arrayIPcLm2EEEEviT0_T1_,comdat
.Lfunc_end237:
	.size	_ZN2at6native29vectorized_elementwise_kernelILi2EZZZNS0_16sqrt_kernel_cudaERNS_18TensorIteratorBaseEENKUlvE_clEvENKUlvE1_clEvEUlN3c107complexINS6_4HalfEEEE_St5arrayIPcLm2EEEEviT0_T1_, .Lfunc_end237-_ZN2at6native29vectorized_elementwise_kernelILi2EZZZNS0_16sqrt_kernel_cudaERNS_18TensorIteratorBaseEENKUlvE_clEvENKUlvE1_clEvEUlN3c107complexINS6_4HalfEEEE_St5arrayIPcLm2EEEEviT0_T1_
                                        ; -- End function
	.set _ZN2at6native29vectorized_elementwise_kernelILi2EZZZNS0_16sqrt_kernel_cudaERNS_18TensorIteratorBaseEENKUlvE_clEvENKUlvE1_clEvEUlN3c107complexINS6_4HalfEEEE_St5arrayIPcLm2EEEEviT0_T1_.num_vgpr, 17
	.set _ZN2at6native29vectorized_elementwise_kernelILi2EZZZNS0_16sqrt_kernel_cudaERNS_18TensorIteratorBaseEENKUlvE_clEvENKUlvE1_clEvEUlN3c107complexINS6_4HalfEEEE_St5arrayIPcLm2EEEEviT0_T1_.num_agpr, 0
	.set _ZN2at6native29vectorized_elementwise_kernelILi2EZZZNS0_16sqrt_kernel_cudaERNS_18TensorIteratorBaseEENKUlvE_clEvENKUlvE1_clEvEUlN3c107complexINS6_4HalfEEEE_St5arrayIPcLm2EEEEviT0_T1_.numbered_sgpr, 28
	.set _ZN2at6native29vectorized_elementwise_kernelILi2EZZZNS0_16sqrt_kernel_cudaERNS_18TensorIteratorBaseEENKUlvE_clEvENKUlvE1_clEvEUlN3c107complexINS6_4HalfEEEE_St5arrayIPcLm2EEEEviT0_T1_.num_named_barrier, 0
	.set _ZN2at6native29vectorized_elementwise_kernelILi2EZZZNS0_16sqrt_kernel_cudaERNS_18TensorIteratorBaseEENKUlvE_clEvENKUlvE1_clEvEUlN3c107complexINS6_4HalfEEEE_St5arrayIPcLm2EEEEviT0_T1_.private_seg_size, 0
	.set _ZN2at6native29vectorized_elementwise_kernelILi2EZZZNS0_16sqrt_kernel_cudaERNS_18TensorIteratorBaseEENKUlvE_clEvENKUlvE1_clEvEUlN3c107complexINS6_4HalfEEEE_St5arrayIPcLm2EEEEviT0_T1_.uses_vcc, 1
	.set _ZN2at6native29vectorized_elementwise_kernelILi2EZZZNS0_16sqrt_kernel_cudaERNS_18TensorIteratorBaseEENKUlvE_clEvENKUlvE1_clEvEUlN3c107complexINS6_4HalfEEEE_St5arrayIPcLm2EEEEviT0_T1_.uses_flat_scratch, 0
	.set _ZN2at6native29vectorized_elementwise_kernelILi2EZZZNS0_16sqrt_kernel_cudaERNS_18TensorIteratorBaseEENKUlvE_clEvENKUlvE1_clEvEUlN3c107complexINS6_4HalfEEEE_St5arrayIPcLm2EEEEviT0_T1_.has_dyn_sized_stack, 0
	.set _ZN2at6native29vectorized_elementwise_kernelILi2EZZZNS0_16sqrt_kernel_cudaERNS_18TensorIteratorBaseEENKUlvE_clEvENKUlvE1_clEvEUlN3c107complexINS6_4HalfEEEE_St5arrayIPcLm2EEEEviT0_T1_.has_recursion, 0
	.set _ZN2at6native29vectorized_elementwise_kernelILi2EZZZNS0_16sqrt_kernel_cudaERNS_18TensorIteratorBaseEENKUlvE_clEvENKUlvE1_clEvEUlN3c107complexINS6_4HalfEEEE_St5arrayIPcLm2EEEEviT0_T1_.has_indirect_call, 0
	.section	.AMDGPU.csdata,"",@progbits
; Kernel info:
; codeLenInByte = 9360
; TotalNumSgprs: 34
; NumVgprs: 17
; NumAgprs: 0
; TotalNumVgprs: 17
; ScratchSize: 0
; MemoryBound: 0
; FloatMode: 240
; IeeeMode: 1
; LDSByteSize: 0 bytes/workgroup (compile time only)
; SGPRBlocks: 4
; VGPRBlocks: 2
; NumSGPRsForWavesPerEU: 34
; NumVGPRsForWavesPerEU: 17
; AccumOffset: 20
; Occupancy: 8
; WaveLimiterHint : 1
; COMPUTE_PGM_RSRC2:SCRATCH_EN: 0
; COMPUTE_PGM_RSRC2:USER_SGPR: 2
; COMPUTE_PGM_RSRC2:TRAP_HANDLER: 0
; COMPUTE_PGM_RSRC2:TGID_X_EN: 1
; COMPUTE_PGM_RSRC2:TGID_Y_EN: 0
; COMPUTE_PGM_RSRC2:TGID_Z_EN: 0
; COMPUTE_PGM_RSRC2:TIDIG_COMP_CNT: 0
; COMPUTE_PGM_RSRC3_GFX90A:ACCUM_OFFSET: 4
; COMPUTE_PGM_RSRC3_GFX90A:TG_SPLIT: 0
	.section	.text._ZN2at6native27unrolled_elementwise_kernelIZZZNS0_16sqrt_kernel_cudaERNS_18TensorIteratorBaseEENKUlvE_clEvENKUlvE1_clEvEUlN3c107complexINS6_4HalfEEEE_St5arrayIPcLm2EELi4E23TrivialOffsetCalculatorILi1EjESF_NS0_6memory15LoadWithoutCastENSG_16StoreWithoutCastEEEviT_T0_T2_T3_T4_T5_,"axG",@progbits,_ZN2at6native27unrolled_elementwise_kernelIZZZNS0_16sqrt_kernel_cudaERNS_18TensorIteratorBaseEENKUlvE_clEvENKUlvE1_clEvEUlN3c107complexINS6_4HalfEEEE_St5arrayIPcLm2EELi4E23TrivialOffsetCalculatorILi1EjESF_NS0_6memory15LoadWithoutCastENSG_16StoreWithoutCastEEEviT_T0_T2_T3_T4_T5_,comdat
	.globl	_ZN2at6native27unrolled_elementwise_kernelIZZZNS0_16sqrt_kernel_cudaERNS_18TensorIteratorBaseEENKUlvE_clEvENKUlvE1_clEvEUlN3c107complexINS6_4HalfEEEE_St5arrayIPcLm2EELi4E23TrivialOffsetCalculatorILi1EjESF_NS0_6memory15LoadWithoutCastENSG_16StoreWithoutCastEEEviT_T0_T2_T3_T4_T5_ ; -- Begin function _ZN2at6native27unrolled_elementwise_kernelIZZZNS0_16sqrt_kernel_cudaERNS_18TensorIteratorBaseEENKUlvE_clEvENKUlvE1_clEvEUlN3c107complexINS6_4HalfEEEE_St5arrayIPcLm2EELi4E23TrivialOffsetCalculatorILi1EjESF_NS0_6memory15LoadWithoutCastENSG_16StoreWithoutCastEEEviT_T0_T2_T3_T4_T5_
	.p2align	8
	.type	_ZN2at6native27unrolled_elementwise_kernelIZZZNS0_16sqrt_kernel_cudaERNS_18TensorIteratorBaseEENKUlvE_clEvENKUlvE1_clEvEUlN3c107complexINS6_4HalfEEEE_St5arrayIPcLm2EELi4E23TrivialOffsetCalculatorILi1EjESF_NS0_6memory15LoadWithoutCastENSG_16StoreWithoutCastEEEviT_T0_T2_T3_T4_T5_,@function
_ZN2at6native27unrolled_elementwise_kernelIZZZNS0_16sqrt_kernel_cudaERNS_18TensorIteratorBaseEENKUlvE_clEvENKUlvE1_clEvEUlN3c107complexINS6_4HalfEEEE_St5arrayIPcLm2EELi4E23TrivialOffsetCalculatorILi1EjESF_NS0_6memory15LoadWithoutCastENSG_16StoreWithoutCastEEEviT_T0_T2_T3_T4_T5_: ; @_ZN2at6native27unrolled_elementwise_kernelIZZZNS0_16sqrt_kernel_cudaERNS_18TensorIteratorBaseEENKUlvE_clEvENKUlvE1_clEvEUlN3c107complexINS6_4HalfEEEE_St5arrayIPcLm2EELi4E23TrivialOffsetCalculatorILi1EjESF_NS0_6memory15LoadWithoutCastENSG_16StoreWithoutCastEEEviT_T0_T2_T3_T4_T5_
; %bb.0:
	s_load_dword s3, s[0:1], 0x0
	s_load_dwordx4 s[8:11], s[0:1], 0x8
	s_lshl_b32 s22, s2, 10
	v_mov_b32_e32 v5, 0
	v_or_b32_e32 v2, s22, v0
	s_waitcnt lgkmcnt(0)
	s_sub_i32 s23, s3, s22
	v_cmp_gt_i32_e64 s[0:1], s23, v0
	v_mov_b32_e32 v7, 0
	v_mov_b32_e32 v3, v5
	;; [unrolled: 1-line block ×3, first 2 shown]
	s_and_saveexec_b64 s[2:3], s[0:1]
	s_cbranch_execz .LBB238_8
; %bb.1:
	v_mov_b32_e32 v3, 0
	v_lshl_add_u64 v[4:5], v[2:3], 2, s[10:11]
	global_load_dword v10, v[4:5], off
	v_or_b32_e32 v1, 0x100, v0
	v_cmp_gt_u32_e32 vcc, s23, v1
	v_mov_b32_e32 v7, v3
	v_mov_b32_e32 v5, v3
	s_and_saveexec_b64 s[4:5], vcc
	s_cbranch_execz .LBB238_7
; %bb.2:
	v_add_u32_e32 v6, s22, v1
	v_mov_b32_e32 v7, 0
	v_lshl_add_u64 v[4:5], v[6:7], 2, s[10:11]
	global_load_dword v3, v[4:5], off
	v_or_b32_e32 v1, 0x200, v0
	v_cmp_gt_u32_e32 vcc, s23, v1
	v_mov_b32_e32 v5, v7
	s_and_saveexec_b64 s[6:7], vcc
	s_cbranch_execz .LBB238_6
; %bb.3:
	v_add_u32_e32 v4, s22, v1
	v_mov_b32_e32 v5, 0
	v_lshl_add_u64 v[6:7], v[4:5], 2, s[10:11]
	global_load_dword v7, v[6:7], off
	v_or_b32_e32 v1, 0x300, v0
	v_cmp_gt_u32_e32 vcc, s23, v1
	s_and_saveexec_b64 s[12:13], vcc
	s_cbranch_execz .LBB238_5
; %bb.4:
	v_add_u32_e32 v4, s22, v1
	v_mov_b32_e32 v5, 0
	v_lshl_add_u64 v[4:5], v[4:5], 2, s[10:11]
	global_load_dword v5, v[4:5], off
.LBB238_5:
	s_or_b64 exec, exec, s[12:13]
.LBB238_6:
	s_or_b64 exec, exec, s[6:7]
.LBB238_7:
	s_or_b64 exec, exec, s[4:5]
.LBB238_8:
	s_or_b64 exec, exec, s[2:3]
                                        ; implicit-def: $vgpr1
	s_and_saveexec_b64 s[6:7], s[0:1]
	s_cbranch_execz .LBB238_40
; %bb.9:
	s_waitcnt vmcnt(0)
	v_cvt_f32_f16_sdwa v8, v10 dst_sel:DWORD dst_unused:UNUSED_PAD src0_sel:WORD_1
	v_mov_b32_e32 v9, 0
	v_cmp_neq_f16_e32 vcc, 0, v10
	v_cmp_neq_f16_sdwa s[2:3], v10, v9 src0_sel:WORD_1 src1_sel:DWORD
	s_or_b64 s[2:3], vcc, s[2:3]
	s_and_saveexec_b64 s[10:11], s[2:3]
	s_cbranch_execz .LBB238_39
; %bb.10:
	v_mov_b32_e32 v9, 0x7f800000
	v_cmp_neq_f32_e64 s[2:3], |v8|, v9
	s_and_saveexec_b64 s[12:13], s[2:3]
	s_cbranch_execz .LBB238_38
; %bb.11:
	v_cvt_f32_f16_e32 v9, v10
	v_cmp_o_f16_e32 vcc, v10, v10
	s_and_saveexec_b64 s[2:3], vcc
	s_xor_b64 s[14:15], exec, s[2:3]
	s_cbranch_execz .LBB238_35
; %bb.12:
	s_mov_b32 s2, 0x7f800000
	v_cmp_neq_f32_e64 s[2:3], |v9|, s2
	s_and_saveexec_b64 s[4:5], s[2:3]
	s_xor_b64 s[16:17], exec, s[4:5]
	s_cbranch_execz .LBB238_28
; %bb.13:
	v_max_f32_e64 v1, |v8|, |v8|
	v_max_f32_e64 v4, |v9|, |v9|
	v_max_f32_e32 v1, v4, v1
	s_mov_b32 s2, 0x7ed413cb
	v_cmp_nle_f32_e64 s[2:3], s2, v1
                                        ; implicit-def: $sgpr18_sgpr19
	s_and_saveexec_b64 s[4:5], s[2:3]
	s_xor_b64 s[4:5], exec, s[4:5]
	s_cbranch_execz .LBB238_17
; %bb.14:
	s_mov_b32 s20, 0x1000000
	v_cmp_le_f32_e64 s[18:19], |v9|, s20
	v_cmp_le_f32_e64 s[20:21], |v8|, s20
	s_and_b64 s[24:25], s[18:19], s[20:21]
	s_mov_b64 s[18:19], 0
	s_and_saveexec_b64 s[20:21], s[24:25]
; %bb.15:
	s_mov_b64 s[18:19], exec
	v_pk_mul_f32 v[8:9], v[8:9], 4.0 op_sel_hi:[1,0]
; %bb.16:
	s_or_b64 exec, exec, s[20:21]
.LBB238_17:
	s_andn2_saveexec_b64 s[4:5], s[4:5]
; %bb.18:
	s_mov_b32 s20, 0x3e800000
	v_pk_mul_f32 v[8:9], v[8:9], s[20:21] op_sel_hi:[1,0]
	s_andn2_b64 s[18:19], s[18:19], exec
; %bb.19:
	s_or_b64 exec, exec, s[4:5]
	v_max_f32_e64 v1, |v8|, |v8|
	v_max_f32_e64 v4, |v9|, |v9|
	v_max_f32_e32 v1, v4, v1
	v_cvt_f64_f32_e32 v[10:11], v1
	v_frexp_exp_i32_f64_e32 v4, v[10:11]
	v_sub_u32_e32 v6, 0, v4
	v_ldexp_f32 v10, |v9|, v6
	v_ldexp_f32 v6, |v8|, v6
	v_mul_f32_e32 v6, v6, v6
	v_fmac_f32_e32 v6, v10, v10
	v_sqrt_f32_e32 v6, v6
	s_mov_b32 s4, 0x7f800000
	v_cmp_neq_f32_e64 s[4:5], s4, v1
	v_cmp_le_f32_e32 vcc, 0, v9
	v_ldexp_f32 v4, v6, v4
	v_mov_b32_e32 v6, 0x7f800000
	v_cndmask_b32_e64 v6, v6, v4, s[4:5]
                                        ; implicit-def: $vgpr4
                                        ; implicit-def: $vgpr1
	s_and_saveexec_b64 s[4:5], vcc
	s_xor_b64 s[20:21], exec, s[4:5]
	s_cbranch_execz .LBB238_21
; %bb.20:
	v_add_f32_e32 v1, v9, v6
	v_mul_f32_e32 v1, 0.5, v1
	s_mov_b32 s4, 0xf800000
	v_mul_f32_e32 v4, 0x4f800000, v1
	v_cmp_gt_f32_e32 vcc, s4, v1
	s_nop 1
	v_cndmask_b32_e32 v1, v1, v4, vcc
	v_sqrt_f32_e32 v4, v1
	s_nop 0
	v_add_u32_e32 v6, -1, v4
	v_fma_f32 v9, -v6, v4, v1
	v_cmp_ge_f32_e64 s[4:5], 0, v9
	v_add_u32_e32 v9, 1, v4
	s_nop 0
	v_cndmask_b32_e64 v6, v4, v6, s[4:5]
	v_fma_f32 v4, -v9, v4, v1
	v_cmp_lt_f32_e64 s[4:5], 0, v4
	s_nop 1
	v_cndmask_b32_e64 v4, v6, v9, s[4:5]
	v_mul_f32_e32 v6, 0x37800000, v4
	v_cndmask_b32_e32 v4, v4, v6, vcc
	v_mov_b32_e32 v6, 0x260
	v_cmp_class_f32_e32 vcc, v1, v6
	s_nop 1
	v_cndmask_b32_e32 v1, v4, v1, vcc
	v_add_f32_e32 v4, v1, v1
	v_div_scale_f32 v6, s[4:5], v4, v4, v8
	v_rcp_f32_e32 v9, v6
	s_nop 0
	v_fma_f32 v10, -v6, v9, 1.0
	v_fmac_f32_e32 v9, v10, v9
	v_div_scale_f32 v10, vcc, v8, v4, v8
	v_mul_f32_e32 v11, v10, v9
	v_fma_f32 v12, -v6, v11, v10
	v_fmac_f32_e32 v11, v12, v9
	v_fma_f32 v6, -v6, v11, v10
	v_div_fmas_f32 v6, v6, v9, v11
	v_div_fixup_f32 v4, v6, v4, v8
                                        ; implicit-def: $vgpr6
                                        ; implicit-def: $vgpr8_vgpr9
	s_andn2_saveexec_b64 s[20:21], s[20:21]
	s_cbranch_execz .LBB238_23
	s_branch .LBB238_22
.LBB238_21:
	s_andn2_saveexec_b64 s[20:21], s[20:21]
	s_cbranch_execz .LBB238_23
.LBB238_22:
	v_sub_f32_e32 v1, v6, v9
	v_mul_f32_e32 v1, 0.5, v1
	s_mov_b32 s4, 0xf800000
	v_mul_f32_e32 v4, 0x4f800000, v1
	v_cmp_gt_f32_e32 vcc, s4, v1
	s_nop 1
	v_cndmask_b32_e32 v1, v1, v4, vcc
	v_sqrt_f32_e32 v4, v1
	s_nop 0
	v_add_u32_e32 v6, -1, v4
	v_fma_f32 v9, -v6, v4, v1
	v_cmp_ge_f32_e64 s[4:5], 0, v9
	v_add_u32_e32 v9, 1, v4
	s_nop 0
	v_cndmask_b32_e64 v6, v4, v6, s[4:5]
	v_fma_f32 v4, -v9, v4, v1
	v_cmp_lt_f32_e64 s[4:5], 0, v4
	s_nop 1
	v_cndmask_b32_e64 v4, v6, v9, s[4:5]
	v_mul_f32_e32 v6, 0x37800000, v4
	v_cndmask_b32_e32 v4, v4, v6, vcc
	v_mov_b32_e32 v6, 0x260
	v_cmp_class_f32_e32 vcc, v1, v6
	v_and_b32_e32 v6, 0x7fffffff, v8
	s_nop 0
	v_cndmask_b32_e32 v4, v4, v1, vcc
	v_add_f32_e32 v1, v4, v4
	v_div_scale_f32 v9, s[4:5], v1, v1, v6
	v_rcp_f32_e32 v10, v9
	v_div_scale_f32 v6, vcc, v6, v1, v6
	s_brev_b32 s4, -2
	v_fma_f32 v11, -v9, v10, 1.0
	v_fmac_f32_e32 v10, v11, v10
	v_mul_f32_e32 v11, v6, v10
	v_fma_f32 v12, -v9, v11, v6
	v_fmac_f32_e32 v11, v12, v10
	v_fma_f32 v6, -v9, v11, v6
	v_div_fmas_f32 v6, v6, v10, v11
	v_div_fixup_f32 v1, v6, v1, |v8|
	v_bfi_b32 v4, s4, v4, v8
.LBB238_23:
	s_or_b64 exec, exec, s[20:21]
                                        ; implicit-def: $vgpr8
	s_and_saveexec_b64 s[4:5], s[2:3]
	s_xor_b64 s[2:3], exec, s[4:5]
	s_cbranch_execz .LBB238_25
; %bb.24:
	v_mul_f32_e32 v6, 0.5, v1
	v_mul_f32_e32 v8, 0.5, v4
	v_cndmask_b32_e64 v9, v1, v6, s[18:19]
	v_cndmask_b32_e64 v8, v4, v8, s[18:19]
                                        ; implicit-def: $vgpr1
                                        ; implicit-def: $vgpr4
	s_andn2_saveexec_b64 s[2:3], s[2:3]
	s_cbranch_execnz .LBB238_26
	s_branch .LBB238_27
.LBB238_25:
	s_andn2_saveexec_b64 s[2:3], s[2:3]
.LBB238_26:
	v_add_f32_e32 v9, v1, v1
	v_add_f32_e32 v8, v4, v4
.LBB238_27:
	s_or_b64 exec, exec, s[2:3]
                                        ; implicit-def: $vgpr10
.LBB238_28:
	s_andn2_saveexec_b64 s[2:3], s[16:17]
	s_cbranch_execz .LBB238_34
; %bb.29:
	v_and_b32_e32 v1, 0x8000, v10
	v_cmp_ne_u32_e32 vcc, 0, v1
	v_sub_f32_e32 v1, v8, v8
	s_and_saveexec_b64 s[4:5], vcc
	s_xor_b64 s[4:5], exec, s[4:5]
; %bb.30:
	s_brev_b32 s16, -2
	v_and_b32_e32 v1, 0x7fffffff, v1
	v_bfi_b32 v8, s16, v9, v8
	v_mov_b32_e32 v9, v1
                                        ; implicit-def: $vgpr1
; %bb.31:
	s_andn2_saveexec_b64 s[4:5], s[4:5]
; %bb.32:
	s_brev_b32 s16, -2
	v_bfi_b32 v8, s16, v1, v8
; %bb.33:
	s_or_b64 exec, exec, s[4:5]
.LBB238_34:
	s_or_b64 exec, exec, s[2:3]
.LBB238_35:
	s_andn2_saveexec_b64 s[2:3], s[14:15]
	s_cbranch_execz .LBB238_37
; %bb.36:
	v_sub_f32_e32 v1, v8, v8
	v_div_scale_f32 v4, vcc, v1, v1, v1
	v_rcp_f32_e32 v6, v4
	s_nop 0
	v_fma_f32 v8, -v4, v6, 1.0
	v_fmac_f32_e32 v6, v8, v6
	v_mul_f32_e32 v8, v4, v6
	v_fma_f32 v10, -v4, v8, v4
	v_fmac_f32_e32 v8, v10, v6
	v_fma_f32 v4, -v4, v8, v4
	v_div_fmas_f32 v4, v4, v6, v8
	v_div_fixup_f32 v8, v4, v1, v1
.LBB238_37:
	s_or_b64 exec, exec, s[2:3]
.LBB238_38:
	s_or_b64 exec, exec, s[12:13]
.LBB238_39:
	s_or_b64 exec, exec, s[10:11]
	v_cvt_f16_f32_e32 v1, v9
	v_cvt_f16_f32_sdwa v4, v8 dst_sel:WORD_1 dst_unused:UNUSED_PAD src0_sel:DWORD
	s_nop 0
	v_or_b32_e32 v1, v4, v1
.LBB238_40:
	s_or_b64 exec, exec, s[6:7]
	v_or_b32_e32 v4, 0x100, v0
	v_cmp_gt_i32_e32 vcc, s23, v4
                                        ; implicit-def: $vgpr10
	s_and_saveexec_b64 s[6:7], vcc
	s_cbranch_execz .LBB238_72
; %bb.41:
	s_waitcnt vmcnt(0)
	v_cvt_f32_f16_sdwa v8, v3 dst_sel:DWORD dst_unused:UNUSED_PAD src0_sel:WORD_1
	v_mov_b32_e32 v9, 0
	v_cmp_neq_f16_e32 vcc, 0, v3
	v_cmp_neq_f16_sdwa s[2:3], v3, v9 src0_sel:WORD_1 src1_sel:DWORD
	s_or_b64 s[2:3], vcc, s[2:3]
	s_and_saveexec_b64 s[10:11], s[2:3]
	s_cbranch_execz .LBB238_71
; %bb.42:
	v_mov_b32_e32 v9, 0x7f800000
	v_cmp_neq_f32_e64 s[2:3], |v8|, v9
	s_and_saveexec_b64 s[12:13], s[2:3]
	s_cbranch_execz .LBB238_70
; %bb.43:
	v_cvt_f32_f16_e32 v9, v3
	v_cmp_o_f16_e32 vcc, v3, v3
	s_and_saveexec_b64 s[2:3], vcc
	s_xor_b64 s[14:15], exec, s[2:3]
	s_cbranch_execz .LBB238_67
; %bb.44:
	s_mov_b32 s2, 0x7f800000
	v_cmp_neq_f32_e64 s[2:3], |v9|, s2
	s_and_saveexec_b64 s[4:5], s[2:3]
	s_xor_b64 s[16:17], exec, s[4:5]
	s_cbranch_execz .LBB238_60
; %bb.45:
	v_max_f32_e64 v3, |v8|, |v8|
	v_max_f32_e64 v6, |v9|, |v9|
	v_max_f32_e32 v3, v6, v3
	s_mov_b32 s2, 0x7ed413cb
	v_cmp_nle_f32_e64 s[2:3], s2, v3
                                        ; implicit-def: $sgpr18_sgpr19
	s_and_saveexec_b64 s[4:5], s[2:3]
	s_xor_b64 s[4:5], exec, s[4:5]
	s_cbranch_execz .LBB238_49
; %bb.46:
	s_mov_b32 s20, 0x1000000
	v_cmp_le_f32_e64 s[18:19], |v9|, s20
	v_cmp_le_f32_e64 s[20:21], |v8|, s20
	s_and_b64 s[24:25], s[18:19], s[20:21]
	s_mov_b64 s[18:19], 0
	s_and_saveexec_b64 s[20:21], s[24:25]
; %bb.47:
	s_mov_b64 s[18:19], exec
	v_pk_mul_f32 v[8:9], v[8:9], 4.0 op_sel_hi:[1,0]
; %bb.48:
	s_or_b64 exec, exec, s[20:21]
.LBB238_49:
	s_andn2_saveexec_b64 s[4:5], s[4:5]
; %bb.50:
	s_mov_b32 s20, 0x3e800000
	v_pk_mul_f32 v[8:9], v[8:9], s[20:21] op_sel_hi:[1,0]
	s_andn2_b64 s[18:19], s[18:19], exec
; %bb.51:
	s_or_b64 exec, exec, s[4:5]
	v_max_f32_e64 v3, |v8|, |v8|
	v_max_f32_e64 v6, |v9|, |v9|
	v_max_f32_e32 v3, v6, v3
	v_cvt_f64_f32_e32 v[10:11], v3
	v_frexp_exp_i32_f64_e32 v6, v[10:11]
	v_sub_u32_e32 v10, 0, v6
	v_ldexp_f32 v11, |v9|, v10
	v_ldexp_f32 v10, |v8|, v10
	v_mul_f32_e32 v10, v10, v10
	v_fmac_f32_e32 v10, v11, v11
	v_sqrt_f32_e32 v10, v10
	s_mov_b32 s4, 0x7f800000
	v_cmp_neq_f32_e64 s[4:5], s4, v3
	v_cmp_le_f32_e32 vcc, 0, v9
	v_ldexp_f32 v6, v10, v6
	v_mov_b32_e32 v10, 0x7f800000
	v_cndmask_b32_e64 v10, v10, v6, s[4:5]
                                        ; implicit-def: $vgpr6
                                        ; implicit-def: $vgpr3
	s_and_saveexec_b64 s[4:5], vcc
	s_xor_b64 s[20:21], exec, s[4:5]
	s_cbranch_execz .LBB238_53
; %bb.52:
	v_add_f32_e32 v3, v9, v10
	v_mul_f32_e32 v3, 0.5, v3
	s_mov_b32 s4, 0xf800000
	v_mul_f32_e32 v6, 0x4f800000, v3
	v_cmp_gt_f32_e32 vcc, s4, v3
	s_nop 1
	v_cndmask_b32_e32 v3, v3, v6, vcc
	v_sqrt_f32_e32 v6, v3
	s_nop 0
	v_add_u32_e32 v9, -1, v6
	v_fma_f32 v10, -v9, v6, v3
	v_cmp_ge_f32_e64 s[4:5], 0, v10
	v_add_u32_e32 v10, 1, v6
	s_nop 0
	v_cndmask_b32_e64 v9, v6, v9, s[4:5]
	v_fma_f32 v6, -v10, v6, v3
	v_cmp_lt_f32_e64 s[4:5], 0, v6
	s_nop 1
	v_cndmask_b32_e64 v6, v9, v10, s[4:5]
	v_mul_f32_e32 v9, 0x37800000, v6
	v_cndmask_b32_e32 v6, v6, v9, vcc
	v_mov_b32_e32 v9, 0x260
	v_cmp_class_f32_e32 vcc, v3, v9
	s_nop 1
	v_cndmask_b32_e32 v3, v6, v3, vcc
	v_add_f32_e32 v6, v3, v3
	v_div_scale_f32 v9, s[4:5], v6, v6, v8
	v_rcp_f32_e32 v10, v9
	s_nop 0
	v_fma_f32 v11, -v9, v10, 1.0
	v_fmac_f32_e32 v10, v11, v10
	v_div_scale_f32 v11, vcc, v8, v6, v8
	v_mul_f32_e32 v12, v11, v10
	v_fma_f32 v13, -v9, v12, v11
	v_fmac_f32_e32 v12, v13, v10
	v_fma_f32 v9, -v9, v12, v11
	v_div_fmas_f32 v9, v9, v10, v12
	v_div_fixup_f32 v6, v9, v6, v8
                                        ; implicit-def: $vgpr10
                                        ; implicit-def: $vgpr8_vgpr9
	s_andn2_saveexec_b64 s[20:21], s[20:21]
	s_cbranch_execz .LBB238_55
	s_branch .LBB238_54
.LBB238_53:
	s_andn2_saveexec_b64 s[20:21], s[20:21]
	s_cbranch_execz .LBB238_55
.LBB238_54:
	v_sub_f32_e32 v3, v10, v9
	v_mul_f32_e32 v3, 0.5, v3
	s_mov_b32 s4, 0xf800000
	v_mul_f32_e32 v6, 0x4f800000, v3
	v_cmp_gt_f32_e32 vcc, s4, v3
	s_nop 1
	v_cndmask_b32_e32 v3, v3, v6, vcc
	v_sqrt_f32_e32 v6, v3
	s_nop 0
	v_add_u32_e32 v9, -1, v6
	v_fma_f32 v10, -v9, v6, v3
	v_cmp_ge_f32_e64 s[4:5], 0, v10
	v_add_u32_e32 v10, 1, v6
	s_nop 0
	v_cndmask_b32_e64 v9, v6, v9, s[4:5]
	v_fma_f32 v6, -v10, v6, v3
	v_cmp_lt_f32_e64 s[4:5], 0, v6
	s_nop 1
	v_cndmask_b32_e64 v6, v9, v10, s[4:5]
	v_mul_f32_e32 v9, 0x37800000, v6
	v_cndmask_b32_e32 v6, v6, v9, vcc
	v_mov_b32_e32 v9, 0x260
	v_cmp_class_f32_e32 vcc, v3, v9
	v_and_b32_e32 v9, 0x7fffffff, v8
	s_nop 0
	v_cndmask_b32_e32 v6, v6, v3, vcc
	v_add_f32_e32 v3, v6, v6
	v_div_scale_f32 v10, s[4:5], v3, v3, v9
	v_rcp_f32_e32 v11, v10
	v_div_scale_f32 v9, vcc, v9, v3, v9
	s_brev_b32 s4, -2
	v_fma_f32 v12, -v10, v11, 1.0
	v_fmac_f32_e32 v11, v12, v11
	v_mul_f32_e32 v12, v9, v11
	v_fma_f32 v13, -v10, v12, v9
	v_fmac_f32_e32 v12, v13, v11
	v_fma_f32 v9, -v10, v12, v9
	v_div_fmas_f32 v9, v9, v11, v12
	v_div_fixup_f32 v3, v9, v3, |v8|
	v_bfi_b32 v6, s4, v6, v8
.LBB238_55:
	s_or_b64 exec, exec, s[20:21]
                                        ; implicit-def: $vgpr8
	s_and_saveexec_b64 s[4:5], s[2:3]
	s_xor_b64 s[2:3], exec, s[4:5]
	s_cbranch_execz .LBB238_57
; %bb.56:
	v_mul_f32_e32 v8, 0.5, v3
	v_mul_f32_e32 v10, 0.5, v6
	v_cndmask_b32_e64 v9, v3, v8, s[18:19]
	v_cndmask_b32_e64 v8, v6, v10, s[18:19]
                                        ; implicit-def: $vgpr3
                                        ; implicit-def: $vgpr6
	s_andn2_saveexec_b64 s[2:3], s[2:3]
	s_cbranch_execnz .LBB238_58
	s_branch .LBB238_59
.LBB238_57:
	s_andn2_saveexec_b64 s[2:3], s[2:3]
.LBB238_58:
	v_add_f32_e32 v9, v3, v3
	v_add_f32_e32 v8, v6, v6
.LBB238_59:
	s_or_b64 exec, exec, s[2:3]
.LBB238_60:
	s_andn2_saveexec_b64 s[2:3], s[16:17]
	s_cbranch_execz .LBB238_66
; %bb.61:
	v_and_b32_e32 v3, 0x8000, v3
	v_cmp_ne_u32_e32 vcc, 0, v3
	v_sub_f32_e32 v3, v8, v8
	s_and_saveexec_b64 s[4:5], vcc
	s_xor_b64 s[4:5], exec, s[4:5]
; %bb.62:
	s_brev_b32 s16, -2
	v_and_b32_e32 v3, 0x7fffffff, v3
	v_bfi_b32 v8, s16, v9, v8
	v_mov_b32_e32 v9, v3
                                        ; implicit-def: $vgpr3
; %bb.63:
	s_andn2_saveexec_b64 s[4:5], s[4:5]
; %bb.64:
	s_brev_b32 s16, -2
	v_bfi_b32 v8, s16, v3, v8
; %bb.65:
	s_or_b64 exec, exec, s[4:5]
.LBB238_66:
	s_or_b64 exec, exec, s[2:3]
.LBB238_67:
	s_andn2_saveexec_b64 s[2:3], s[14:15]
	s_cbranch_execz .LBB238_69
; %bb.68:
	v_sub_f32_e32 v3, v8, v8
	v_div_scale_f32 v6, vcc, v3, v3, v3
	v_rcp_f32_e32 v8, v6
	s_nop 0
	v_fma_f32 v10, -v6, v8, 1.0
	v_fmac_f32_e32 v8, v10, v8
	v_mul_f32_e32 v10, v6, v8
	v_fma_f32 v11, -v6, v10, v6
	v_fmac_f32_e32 v10, v11, v8
	v_fma_f32 v6, -v6, v10, v6
	v_div_fmas_f32 v6, v6, v8, v10
	v_div_fixup_f32 v8, v6, v3, v3
.LBB238_69:
	s_or_b64 exec, exec, s[2:3]
.LBB238_70:
	s_or_b64 exec, exec, s[12:13]
.LBB238_71:
	s_or_b64 exec, exec, s[10:11]
	v_cvt_f16_f32_e32 v3, v9
	v_cvt_f16_f32_sdwa v6, v8 dst_sel:WORD_1 dst_unused:UNUSED_PAD src0_sel:DWORD
	s_nop 0
	v_or_b32_e32 v10, v6, v3
.LBB238_72:
	s_or_b64 exec, exec, s[6:7]
	s_waitcnt vmcnt(0)
	v_or_b32_e32 v3, 0x200, v0
	v_cmp_gt_i32_e32 vcc, s23, v3
                                        ; implicit-def: $vgpr8
	s_and_saveexec_b64 s[6:7], vcc
	s_cbranch_execz .LBB238_104
; %bb.73:
	v_cvt_f32_f16_sdwa v8, v7 dst_sel:DWORD dst_unused:UNUSED_PAD src0_sel:WORD_1
	v_mov_b32_e32 v9, 0
	v_cmp_neq_f16_e32 vcc, 0, v7
	v_cmp_neq_f16_sdwa s[2:3], v7, v9 src0_sel:WORD_1 src1_sel:DWORD
	s_or_b64 s[2:3], vcc, s[2:3]
	s_and_saveexec_b64 s[10:11], s[2:3]
	s_cbranch_execz .LBB238_103
; %bb.74:
	v_mov_b32_e32 v9, 0x7f800000
	v_cmp_neq_f32_e64 s[2:3], |v8|, v9
	s_and_saveexec_b64 s[12:13], s[2:3]
	s_cbranch_execz .LBB238_102
; %bb.75:
	v_cvt_f32_f16_e32 v9, v7
	v_cmp_o_f16_e32 vcc, v7, v7
	s_and_saveexec_b64 s[2:3], vcc
	s_xor_b64 s[14:15], exec, s[2:3]
	s_cbranch_execz .LBB238_99
; %bb.76:
	s_mov_b32 s2, 0x7f800000
	v_cmp_neq_f32_e64 s[2:3], |v9|, s2
	s_and_saveexec_b64 s[4:5], s[2:3]
	s_xor_b64 s[16:17], exec, s[4:5]
	s_cbranch_execz .LBB238_92
; %bb.77:
	v_max_f32_e64 v3, |v8|, |v8|
	v_max_f32_e64 v6, |v9|, |v9|
	v_max_f32_e32 v3, v6, v3
	s_mov_b32 s2, 0x7ed413cb
	v_cmp_nle_f32_e64 s[2:3], s2, v3
                                        ; implicit-def: $sgpr18_sgpr19
	s_and_saveexec_b64 s[4:5], s[2:3]
	s_xor_b64 s[4:5], exec, s[4:5]
	s_cbranch_execz .LBB238_81
; %bb.78:
	s_mov_b32 s20, 0x1000000
	v_cmp_le_f32_e64 s[18:19], |v9|, s20
	v_cmp_le_f32_e64 s[20:21], |v8|, s20
	s_and_b64 s[24:25], s[18:19], s[20:21]
	s_mov_b64 s[18:19], 0
	s_and_saveexec_b64 s[20:21], s[24:25]
; %bb.79:
	s_mov_b64 s[18:19], exec
	v_pk_mul_f32 v[8:9], v[8:9], 4.0 op_sel_hi:[1,0]
; %bb.80:
	s_or_b64 exec, exec, s[20:21]
.LBB238_81:
	s_andn2_saveexec_b64 s[4:5], s[4:5]
; %bb.82:
	s_mov_b32 s20, 0x3e800000
	v_pk_mul_f32 v[8:9], v[8:9], s[20:21] op_sel_hi:[1,0]
	s_andn2_b64 s[18:19], s[18:19], exec
; %bb.83:
	s_or_b64 exec, exec, s[4:5]
	v_max_f32_e64 v3, |v8|, |v8|
	v_max_f32_e64 v6, |v9|, |v9|
	v_max_f32_e32 v3, v6, v3
	v_cvt_f64_f32_e32 v[6:7], v3
	v_frexp_exp_i32_f64_e32 v6, v[6:7]
	v_sub_u32_e32 v7, 0, v6
	v_ldexp_f32 v11, |v9|, v7
	v_ldexp_f32 v7, |v8|, v7
	v_mul_f32_e32 v7, v7, v7
	v_fmac_f32_e32 v7, v11, v11
	v_sqrt_f32_e32 v7, v7
	s_mov_b32 s4, 0x7f800000
	v_cmp_neq_f32_e64 s[4:5], s4, v3
	v_cmp_le_f32_e32 vcc, 0, v9
	v_ldexp_f32 v6, v7, v6
	v_mov_b32_e32 v7, 0x7f800000
	v_cndmask_b32_e64 v7, v7, v6, s[4:5]
                                        ; implicit-def: $vgpr6
                                        ; implicit-def: $vgpr3
	s_and_saveexec_b64 s[4:5], vcc
	s_xor_b64 s[20:21], exec, s[4:5]
	s_cbranch_execz .LBB238_85
; %bb.84:
	v_add_f32_e32 v3, v9, v7
	v_mul_f32_e32 v3, 0.5, v3
	s_mov_b32 s4, 0xf800000
	v_mul_f32_e32 v6, 0x4f800000, v3
	v_cmp_gt_f32_e32 vcc, s4, v3
	s_nop 1
	v_cndmask_b32_e32 v3, v3, v6, vcc
	v_sqrt_f32_e32 v6, v3
	s_nop 0
	v_add_u32_e32 v7, -1, v6
	v_fma_f32 v9, -v7, v6, v3
	v_cmp_ge_f32_e64 s[4:5], 0, v9
	v_add_u32_e32 v9, 1, v6
	s_nop 0
	v_cndmask_b32_e64 v7, v6, v7, s[4:5]
	v_fma_f32 v6, -v9, v6, v3
	v_cmp_lt_f32_e64 s[4:5], 0, v6
	s_nop 1
	v_cndmask_b32_e64 v6, v7, v9, s[4:5]
	v_mul_f32_e32 v7, 0x37800000, v6
	v_cndmask_b32_e32 v6, v6, v7, vcc
	v_mov_b32_e32 v7, 0x260
	v_cmp_class_f32_e32 vcc, v3, v7
	s_nop 1
	v_cndmask_b32_e32 v3, v6, v3, vcc
	v_add_f32_e32 v6, v3, v3
	v_div_scale_f32 v7, s[4:5], v6, v6, v8
	v_rcp_f32_e32 v9, v7
	s_nop 0
	v_fma_f32 v11, -v7, v9, 1.0
	v_fmac_f32_e32 v9, v11, v9
	v_div_scale_f32 v11, vcc, v8, v6, v8
	v_mul_f32_e32 v12, v11, v9
	v_fma_f32 v13, -v7, v12, v11
	v_fmac_f32_e32 v12, v13, v9
	v_fma_f32 v7, -v7, v12, v11
	v_div_fmas_f32 v7, v7, v9, v12
	v_div_fixup_f32 v6, v7, v6, v8
                                        ; implicit-def: $vgpr7
                                        ; implicit-def: $vgpr8_vgpr9
	s_andn2_saveexec_b64 s[20:21], s[20:21]
	s_cbranch_execz .LBB238_87
	s_branch .LBB238_86
.LBB238_85:
	s_andn2_saveexec_b64 s[20:21], s[20:21]
	s_cbranch_execz .LBB238_87
.LBB238_86:
	v_sub_f32_e32 v3, v7, v9
	v_mul_f32_e32 v3, 0.5, v3
	s_mov_b32 s4, 0xf800000
	v_mul_f32_e32 v6, 0x4f800000, v3
	v_cmp_gt_f32_e32 vcc, s4, v3
	s_nop 1
	v_cndmask_b32_e32 v3, v3, v6, vcc
	v_sqrt_f32_e32 v6, v3
	s_nop 0
	v_add_u32_e32 v7, -1, v6
	v_fma_f32 v9, -v7, v6, v3
	v_cmp_ge_f32_e64 s[4:5], 0, v9
	v_add_u32_e32 v9, 1, v6
	s_nop 0
	v_cndmask_b32_e64 v7, v6, v7, s[4:5]
	v_fma_f32 v6, -v9, v6, v3
	v_cmp_lt_f32_e64 s[4:5], 0, v6
	s_nop 1
	v_cndmask_b32_e64 v6, v7, v9, s[4:5]
	v_mul_f32_e32 v7, 0x37800000, v6
	v_cndmask_b32_e32 v6, v6, v7, vcc
	v_mov_b32_e32 v7, 0x260
	v_cmp_class_f32_e32 vcc, v3, v7
	v_and_b32_e32 v7, 0x7fffffff, v8
	s_nop 0
	v_cndmask_b32_e32 v6, v6, v3, vcc
	v_add_f32_e32 v3, v6, v6
	v_div_scale_f32 v9, s[4:5], v3, v3, v7
	v_rcp_f32_e32 v11, v9
	v_div_scale_f32 v7, vcc, v7, v3, v7
	s_brev_b32 s4, -2
	v_fma_f32 v12, -v9, v11, 1.0
	v_fmac_f32_e32 v11, v12, v11
	v_mul_f32_e32 v12, v7, v11
	v_fma_f32 v13, -v9, v12, v7
	v_fmac_f32_e32 v12, v13, v11
	v_fma_f32 v7, -v9, v12, v7
	v_div_fmas_f32 v7, v7, v11, v12
	v_div_fixup_f32 v3, v7, v3, |v8|
	v_bfi_b32 v6, s4, v6, v8
.LBB238_87:
	s_or_b64 exec, exec, s[20:21]
                                        ; implicit-def: $vgpr8
	s_and_saveexec_b64 s[4:5], s[2:3]
	s_xor_b64 s[2:3], exec, s[4:5]
	s_cbranch_execz .LBB238_89
; %bb.88:
	v_mul_f32_e32 v7, 0.5, v3
	v_mul_f32_e32 v8, 0.5, v6
	v_cndmask_b32_e64 v9, v3, v7, s[18:19]
	v_cndmask_b32_e64 v8, v6, v8, s[18:19]
                                        ; implicit-def: $vgpr3
                                        ; implicit-def: $vgpr6
	s_andn2_saveexec_b64 s[2:3], s[2:3]
	s_cbranch_execnz .LBB238_90
	s_branch .LBB238_91
.LBB238_89:
	s_andn2_saveexec_b64 s[2:3], s[2:3]
.LBB238_90:
	v_add_f32_e32 v9, v3, v3
	v_add_f32_e32 v8, v6, v6
.LBB238_91:
	s_or_b64 exec, exec, s[2:3]
                                        ; implicit-def: $vgpr7
.LBB238_92:
	s_andn2_saveexec_b64 s[2:3], s[16:17]
	s_cbranch_execz .LBB238_98
; %bb.93:
	v_and_b32_e32 v3, 0x8000, v7
	v_cmp_ne_u32_e32 vcc, 0, v3
	v_sub_f32_e32 v3, v8, v8
	s_and_saveexec_b64 s[4:5], vcc
	s_xor_b64 s[4:5], exec, s[4:5]
; %bb.94:
	s_brev_b32 s16, -2
	v_and_b32_e32 v3, 0x7fffffff, v3
	v_bfi_b32 v8, s16, v9, v8
	v_mov_b32_e32 v9, v3
                                        ; implicit-def: $vgpr3
; %bb.95:
	s_andn2_saveexec_b64 s[4:5], s[4:5]
; %bb.96:
	s_brev_b32 s16, -2
	v_bfi_b32 v8, s16, v3, v8
; %bb.97:
	s_or_b64 exec, exec, s[4:5]
.LBB238_98:
	s_or_b64 exec, exec, s[2:3]
.LBB238_99:
	s_andn2_saveexec_b64 s[2:3], s[14:15]
	s_cbranch_execz .LBB238_101
; %bb.100:
	v_sub_f32_e32 v3, v8, v8
	v_div_scale_f32 v6, vcc, v3, v3, v3
	v_rcp_f32_e32 v7, v6
	s_nop 0
	v_fma_f32 v8, -v6, v7, 1.0
	v_fmac_f32_e32 v7, v8, v7
	v_mul_f32_e32 v8, v6, v7
	v_fma_f32 v11, -v6, v8, v6
	v_fmac_f32_e32 v8, v11, v7
	v_fma_f32 v6, -v6, v8, v6
	v_div_fmas_f32 v6, v6, v7, v8
	v_div_fixup_f32 v8, v6, v3, v3
.LBB238_101:
	s_or_b64 exec, exec, s[2:3]
.LBB238_102:
	s_or_b64 exec, exec, s[12:13]
.LBB238_103:
	s_or_b64 exec, exec, s[10:11]
	v_cvt_f16_f32_e32 v3, v9
	v_cvt_f16_f32_sdwa v6, v8 dst_sel:WORD_1 dst_unused:UNUSED_PAD src0_sel:DWORD
	s_nop 0
	v_or_b32_e32 v8, v6, v3
.LBB238_104:
	s_or_b64 exec, exec, s[6:7]
	v_or_b32_e32 v3, 0x300, v0
	v_cmp_gt_i32_e32 vcc, s23, v3
                                        ; implicit-def: $vgpr6
	s_and_saveexec_b64 s[6:7], vcc
	s_cbranch_execz .LBB238_117
; %bb.105:
	v_cvt_f32_f16_sdwa v6, v5 dst_sel:DWORD dst_unused:UNUSED_PAD src0_sel:WORD_1
	v_mov_b32_e32 v7, 0
	v_cmp_neq_f16_e32 vcc, 0, v5
	v_cmp_neq_f16_sdwa s[2:3], v5, v7 src0_sel:WORD_1 src1_sel:DWORD
	s_or_b64 s[2:3], vcc, s[2:3]
	s_and_saveexec_b64 s[10:11], s[2:3]
	s_cbranch_execz .LBB238_140
; %bb.106:
	v_mov_b32_e32 v7, 0x7f800000
	v_cmp_neq_f32_e64 s[2:3], |v6|, v7
	s_and_saveexec_b64 s[12:13], s[2:3]
	s_cbranch_execz .LBB238_139
; %bb.107:
	v_cvt_f32_f16_e32 v7, v5
	v_cmp_o_f16_e32 vcc, v5, v5
	s_and_saveexec_b64 s[2:3], vcc
	s_xor_b64 s[14:15], exec, s[2:3]
	s_cbranch_execz .LBB238_136
; %bb.108:
	s_mov_b32 s2, 0x7f800000
	v_cmp_neq_f32_e64 s[2:3], |v7|, s2
	s_and_saveexec_b64 s[4:5], s[2:3]
	s_xor_b64 s[16:17], exec, s[4:5]
	s_cbranch_execz .LBB238_129
; %bb.109:
	v_max_f32_e64 v3, |v6|, |v6|
	v_max_f32_e64 v5, |v7|, |v7|
	v_max_f32_e32 v3, v5, v3
	s_mov_b32 s2, 0x7ed413cb
	v_cmp_nle_f32_e64 s[2:3], s2, v3
                                        ; implicit-def: $sgpr18_sgpr19
	s_and_saveexec_b64 s[4:5], s[2:3]
	s_xor_b64 s[4:5], exec, s[4:5]
	s_cbranch_execz .LBB238_113
; %bb.110:
	s_mov_b32 s20, 0x1000000
	v_cmp_le_f32_e64 s[18:19], |v7|, s20
	v_cmp_le_f32_e64 s[20:21], |v6|, s20
	s_and_b64 s[24:25], s[18:19], s[20:21]
	s_mov_b64 s[18:19], 0
	s_and_saveexec_b64 s[20:21], s[24:25]
; %bb.111:
	s_mov_b64 s[18:19], exec
	v_pk_mul_f32 v[6:7], v[6:7], 4.0 op_sel_hi:[1,0]
; %bb.112:
	s_or_b64 exec, exec, s[20:21]
.LBB238_113:
	s_andn2_saveexec_b64 s[4:5], s[4:5]
; %bb.114:
	s_mov_b32 s20, 0x3e800000
	v_pk_mul_f32 v[6:7], v[6:7], s[20:21] op_sel_hi:[1,0]
	s_andn2_b64 s[18:19], s[18:19], exec
; %bb.115:
	s_or_b64 exec, exec, s[4:5]
	v_max_f32_e64 v3, |v6|, |v6|
	v_max_f32_e64 v5, |v7|, |v7|
	v_max_f32_e32 v3, v5, v3
	v_cvt_f64_f32_e32 v[12:13], v3
	v_frexp_exp_i32_f64_e32 v5, v[12:13]
	v_sub_u32_e32 v9, 0, v5
	v_ldexp_f32 v11, |v7|, v9
	v_ldexp_f32 v9, |v6|, v9
	v_mul_f32_e32 v9, v9, v9
	v_fmac_f32_e32 v9, v11, v11
	v_sqrt_f32_e32 v9, v9
	s_mov_b32 s4, 0x7f800000
	v_cmp_neq_f32_e64 s[4:5], s4, v3
	v_cmp_le_f32_e32 vcc, 0, v7
	v_ldexp_f32 v5, v9, v5
	v_mov_b32_e32 v9, 0x7f800000
	v_cndmask_b32_e64 v9, v9, v5, s[4:5]
                                        ; implicit-def: $vgpr5
                                        ; implicit-def: $vgpr3
	s_and_saveexec_b64 s[4:5], vcc
	s_xor_b64 s[20:21], exec, s[4:5]
	s_cbranch_execz .LBB238_122
; %bb.116:
	v_add_f32_e32 v3, v7, v9
	v_mul_f32_e32 v3, 0.5, v3
	s_mov_b32 s4, 0xf800000
	v_mul_f32_e32 v5, 0x4f800000, v3
	v_cmp_gt_f32_e32 vcc, s4, v3
	s_nop 1
	v_cndmask_b32_e32 v3, v3, v5, vcc
	v_sqrt_f32_e32 v5, v3
	s_nop 0
	v_add_u32_e32 v7, -1, v5
	v_fma_f32 v9, -v7, v5, v3
	v_cmp_ge_f32_e64 s[4:5], 0, v9
	v_add_u32_e32 v9, 1, v5
	s_nop 0
	v_cndmask_b32_e64 v7, v5, v7, s[4:5]
	v_fma_f32 v5, -v9, v5, v3
	v_cmp_lt_f32_e64 s[4:5], 0, v5
	s_nop 1
	v_cndmask_b32_e64 v5, v7, v9, s[4:5]
	v_mul_f32_e32 v7, 0x37800000, v5
	v_cndmask_b32_e32 v5, v5, v7, vcc
	v_mov_b32_e32 v7, 0x260
	v_cmp_class_f32_e32 vcc, v3, v7
	s_nop 1
	v_cndmask_b32_e32 v3, v5, v3, vcc
	v_add_f32_e32 v5, v3, v3
	v_div_scale_f32 v7, s[4:5], v5, v5, v6
	v_rcp_f32_e32 v9, v7
	s_nop 0
	v_fma_f32 v11, -v7, v9, 1.0
	v_fmac_f32_e32 v9, v11, v9
	v_div_scale_f32 v11, vcc, v6, v5, v6
	v_mul_f32_e32 v12, v11, v9
	v_fma_f32 v13, -v7, v12, v11
	v_fmac_f32_e32 v12, v13, v9
	v_fma_f32 v7, -v7, v12, v11
	v_div_fmas_f32 v7, v7, v9, v12
	v_div_fixup_f32 v5, v7, v5, v6
                                        ; implicit-def: $vgpr9
                                        ; implicit-def: $vgpr6_vgpr7
	s_andn2_saveexec_b64 s[20:21], s[20:21]
	s_cbranch_execz .LBB238_124
	s_branch .LBB238_123
.LBB238_117:
	s_or_b64 exec, exec, s[6:7]
	s_and_saveexec_b64 s[2:3], s[0:1]
	s_xor_b64 s[0:1], exec, s[2:3]
	s_cbranch_execz .LBB238_141
.LBB238_118:
	v_mov_b32_e32 v3, 0
	v_lshl_add_u64 v[2:3], v[2:3], 2, s[8:9]
	v_mov_b32_e32 v0, v4
	global_store_dword v[2:3], v1, off
	s_or_b64 exec, exec, s[0:1]
	v_cmp_gt_i32_e32 vcc, s23, v0
	s_and_saveexec_b64 s[0:1], vcc
	s_cbranch_execnz .LBB238_142
.LBB238_119:
	s_or_b64 exec, exec, s[0:1]
	v_cmp_gt_i32_e32 vcc, s23, v0
	s_and_saveexec_b64 s[0:1], vcc
	s_cbranch_execz .LBB238_143
.LBB238_120:
	v_add_u32_e32 v2, 0x100, v0
	v_add_u32_e32 v0, s22, v0
	v_mov_b32_e32 v1, 0
	v_lshl_add_u64 v[0:1], v[0:1], 2, s[8:9]
	global_store_dword v[0:1], v8, off
	v_mov_b32_e32 v0, v2
	s_or_b64 exec, exec, s[0:1]
	v_cmp_gt_i32_e32 vcc, s23, v0
	s_and_saveexec_b64 s[0:1], vcc
	s_cbranch_execnz .LBB238_144
.LBB238_121:
	s_endpgm
.LBB238_122:
	s_andn2_saveexec_b64 s[20:21], s[20:21]
	s_cbranch_execz .LBB238_124
.LBB238_123:
	v_sub_f32_e32 v3, v9, v7
	v_mul_f32_e32 v3, 0.5, v3
	s_mov_b32 s4, 0xf800000
	v_mul_f32_e32 v5, 0x4f800000, v3
	v_cmp_gt_f32_e32 vcc, s4, v3
	s_nop 1
	v_cndmask_b32_e32 v3, v3, v5, vcc
	v_sqrt_f32_e32 v5, v3
	s_nop 0
	v_add_u32_e32 v7, -1, v5
	v_fma_f32 v9, -v7, v5, v3
	v_cmp_ge_f32_e64 s[4:5], 0, v9
	v_add_u32_e32 v9, 1, v5
	s_nop 0
	v_cndmask_b32_e64 v7, v5, v7, s[4:5]
	v_fma_f32 v5, -v9, v5, v3
	v_cmp_lt_f32_e64 s[4:5], 0, v5
	s_nop 1
	v_cndmask_b32_e64 v5, v7, v9, s[4:5]
	v_mul_f32_e32 v7, 0x37800000, v5
	v_cndmask_b32_e32 v5, v5, v7, vcc
	v_mov_b32_e32 v7, 0x260
	v_cmp_class_f32_e32 vcc, v3, v7
	v_and_b32_e32 v7, 0x7fffffff, v6
	s_nop 0
	v_cndmask_b32_e32 v5, v5, v3, vcc
	v_add_f32_e32 v3, v5, v5
	v_div_scale_f32 v9, s[4:5], v3, v3, v7
	v_rcp_f32_e32 v11, v9
	v_div_scale_f32 v7, vcc, v7, v3, v7
	s_brev_b32 s4, -2
	v_fma_f32 v12, -v9, v11, 1.0
	v_fmac_f32_e32 v11, v12, v11
	v_mul_f32_e32 v12, v7, v11
	v_fma_f32 v13, -v9, v12, v7
	v_fmac_f32_e32 v12, v13, v11
	v_fma_f32 v7, -v9, v12, v7
	v_div_fmas_f32 v7, v7, v11, v12
	v_div_fixup_f32 v3, v7, v3, |v6|
	v_bfi_b32 v5, s4, v5, v6
.LBB238_124:
	s_or_b64 exec, exec, s[20:21]
                                        ; implicit-def: $vgpr6
	s_and_saveexec_b64 s[4:5], s[2:3]
	s_xor_b64 s[2:3], exec, s[4:5]
	s_cbranch_execz .LBB238_126
; %bb.125:
	v_mul_f32_e32 v6, 0.5, v3
	v_mul_f32_e32 v9, 0.5, v5
	v_cndmask_b32_e64 v7, v3, v6, s[18:19]
	v_cndmask_b32_e64 v6, v5, v9, s[18:19]
                                        ; implicit-def: $vgpr3
                                        ; implicit-def: $vgpr5
	s_andn2_saveexec_b64 s[2:3], s[2:3]
	s_cbranch_execnz .LBB238_127
	s_branch .LBB238_128
.LBB238_126:
	s_andn2_saveexec_b64 s[2:3], s[2:3]
.LBB238_127:
	v_add_f32_e32 v7, v3, v3
	v_add_f32_e32 v6, v5, v5
.LBB238_128:
	s_or_b64 exec, exec, s[2:3]
                                        ; implicit-def: $vgpr5
.LBB238_129:
	s_andn2_saveexec_b64 s[2:3], s[16:17]
	s_cbranch_execz .LBB238_135
; %bb.130:
	v_and_b32_e32 v3, 0x8000, v5
	v_cmp_ne_u32_e32 vcc, 0, v3
	v_sub_f32_e32 v3, v6, v6
	s_and_saveexec_b64 s[4:5], vcc
	s_xor_b64 s[4:5], exec, s[4:5]
; %bb.131:
	s_brev_b32 s16, -2
	v_and_b32_e32 v3, 0x7fffffff, v3
	v_bfi_b32 v6, s16, v7, v6
	v_mov_b32_e32 v7, v3
                                        ; implicit-def: $vgpr3
; %bb.132:
	s_andn2_saveexec_b64 s[4:5], s[4:5]
; %bb.133:
	s_brev_b32 s16, -2
	v_bfi_b32 v6, s16, v3, v6
; %bb.134:
	s_or_b64 exec, exec, s[4:5]
.LBB238_135:
	s_or_b64 exec, exec, s[2:3]
.LBB238_136:
	s_andn2_saveexec_b64 s[2:3], s[14:15]
	s_cbranch_execz .LBB238_138
; %bb.137:
	v_sub_f32_e32 v3, v6, v6
	v_div_scale_f32 v5, vcc, v3, v3, v3
	v_rcp_f32_e32 v6, v5
	s_nop 0
	v_fma_f32 v9, -v5, v6, 1.0
	v_fmac_f32_e32 v6, v9, v6
	v_mul_f32_e32 v9, v5, v6
	v_fma_f32 v11, -v5, v9, v5
	v_fmac_f32_e32 v9, v11, v6
	v_fma_f32 v5, -v5, v9, v5
	v_div_fmas_f32 v5, v5, v6, v9
	v_div_fixup_f32 v6, v5, v3, v3
.LBB238_138:
	s_or_b64 exec, exec, s[2:3]
.LBB238_139:
	s_or_b64 exec, exec, s[12:13]
.LBB238_140:
	s_or_b64 exec, exec, s[10:11]
	v_cvt_f16_f32_e32 v3, v7
	v_cvt_f16_f32_sdwa v5, v6 dst_sel:WORD_1 dst_unused:UNUSED_PAD src0_sel:DWORD
	s_nop 0
	v_or_b32_e32 v6, v5, v3
	s_or_b64 exec, exec, s[6:7]
	s_and_saveexec_b64 s[2:3], s[0:1]
	s_xor_b64 s[0:1], exec, s[2:3]
	s_cbranch_execnz .LBB238_118
.LBB238_141:
	s_or_b64 exec, exec, s[0:1]
	v_cmp_gt_i32_e32 vcc, s23, v0
	s_and_saveexec_b64 s[0:1], vcc
	s_cbranch_execz .LBB238_119
.LBB238_142:
	v_add_u32_e32 v2, 0x100, v0
	v_add_u32_e32 v0, s22, v0
	v_mov_b32_e32 v1, 0
	v_lshl_add_u64 v[0:1], v[0:1], 2, s[8:9]
	global_store_dword v[0:1], v10, off
	v_mov_b32_e32 v0, v2
	s_or_b64 exec, exec, s[0:1]
	v_cmp_gt_i32_e32 vcc, s23, v0
	s_and_saveexec_b64 s[0:1], vcc
	s_cbranch_execnz .LBB238_120
.LBB238_143:
	s_or_b64 exec, exec, s[0:1]
	v_cmp_gt_i32_e32 vcc, s23, v0
	s_and_saveexec_b64 s[0:1], vcc
	s_cbranch_execz .LBB238_121
.LBB238_144:
	v_add_u32_e32 v0, s22, v0
	v_mov_b32_e32 v1, 0
	v_lshl_add_u64 v[0:1], v[0:1], 2, s[8:9]
	global_store_dword v[0:1], v6, off
	s_endpgm
	.section	.rodata,"a",@progbits
	.p2align	6, 0x0
	.amdhsa_kernel _ZN2at6native27unrolled_elementwise_kernelIZZZNS0_16sqrt_kernel_cudaERNS_18TensorIteratorBaseEENKUlvE_clEvENKUlvE1_clEvEUlN3c107complexINS6_4HalfEEEE_St5arrayIPcLm2EELi4E23TrivialOffsetCalculatorILi1EjESF_NS0_6memory15LoadWithoutCastENSG_16StoreWithoutCastEEEviT_T0_T2_T3_T4_T5_
		.amdhsa_group_segment_fixed_size 0
		.amdhsa_private_segment_fixed_size 0
		.amdhsa_kernarg_size 28
		.amdhsa_user_sgpr_count 2
		.amdhsa_user_sgpr_dispatch_ptr 0
		.amdhsa_user_sgpr_queue_ptr 0
		.amdhsa_user_sgpr_kernarg_segment_ptr 1
		.amdhsa_user_sgpr_dispatch_id 0
		.amdhsa_user_sgpr_kernarg_preload_length 0
		.amdhsa_user_sgpr_kernarg_preload_offset 0
		.amdhsa_user_sgpr_private_segment_size 0
		.amdhsa_uses_dynamic_stack 0
		.amdhsa_enable_private_segment 0
		.amdhsa_system_sgpr_workgroup_id_x 1
		.amdhsa_system_sgpr_workgroup_id_y 0
		.amdhsa_system_sgpr_workgroup_id_z 0
		.amdhsa_system_sgpr_workgroup_info 0
		.amdhsa_system_vgpr_workitem_id 0
		.amdhsa_next_free_vgpr 14
		.amdhsa_next_free_sgpr 26
		.amdhsa_accum_offset 16
		.amdhsa_reserve_vcc 1
		.amdhsa_float_round_mode_32 0
		.amdhsa_float_round_mode_16_64 0
		.amdhsa_float_denorm_mode_32 3
		.amdhsa_float_denorm_mode_16_64 3
		.amdhsa_dx10_clamp 1
		.amdhsa_ieee_mode 1
		.amdhsa_fp16_overflow 0
		.amdhsa_tg_split 0
		.amdhsa_exception_fp_ieee_invalid_op 0
		.amdhsa_exception_fp_denorm_src 0
		.amdhsa_exception_fp_ieee_div_zero 0
		.amdhsa_exception_fp_ieee_overflow 0
		.amdhsa_exception_fp_ieee_underflow 0
		.amdhsa_exception_fp_ieee_inexact 0
		.amdhsa_exception_int_div_zero 0
	.end_amdhsa_kernel
	.section	.text._ZN2at6native27unrolled_elementwise_kernelIZZZNS0_16sqrt_kernel_cudaERNS_18TensorIteratorBaseEENKUlvE_clEvENKUlvE1_clEvEUlN3c107complexINS6_4HalfEEEE_St5arrayIPcLm2EELi4E23TrivialOffsetCalculatorILi1EjESF_NS0_6memory15LoadWithoutCastENSG_16StoreWithoutCastEEEviT_T0_T2_T3_T4_T5_,"axG",@progbits,_ZN2at6native27unrolled_elementwise_kernelIZZZNS0_16sqrt_kernel_cudaERNS_18TensorIteratorBaseEENKUlvE_clEvENKUlvE1_clEvEUlN3c107complexINS6_4HalfEEEE_St5arrayIPcLm2EELi4E23TrivialOffsetCalculatorILi1EjESF_NS0_6memory15LoadWithoutCastENSG_16StoreWithoutCastEEEviT_T0_T2_T3_T4_T5_,comdat
.Lfunc_end238:
	.size	_ZN2at6native27unrolled_elementwise_kernelIZZZNS0_16sqrt_kernel_cudaERNS_18TensorIteratorBaseEENKUlvE_clEvENKUlvE1_clEvEUlN3c107complexINS6_4HalfEEEE_St5arrayIPcLm2EELi4E23TrivialOffsetCalculatorILi1EjESF_NS0_6memory15LoadWithoutCastENSG_16StoreWithoutCastEEEviT_T0_T2_T3_T4_T5_, .Lfunc_end238-_ZN2at6native27unrolled_elementwise_kernelIZZZNS0_16sqrt_kernel_cudaERNS_18TensorIteratorBaseEENKUlvE_clEvENKUlvE1_clEvEUlN3c107complexINS6_4HalfEEEE_St5arrayIPcLm2EELi4E23TrivialOffsetCalculatorILi1EjESF_NS0_6memory15LoadWithoutCastENSG_16StoreWithoutCastEEEviT_T0_T2_T3_T4_T5_
                                        ; -- End function
	.set _ZN2at6native27unrolled_elementwise_kernelIZZZNS0_16sqrt_kernel_cudaERNS_18TensorIteratorBaseEENKUlvE_clEvENKUlvE1_clEvEUlN3c107complexINS6_4HalfEEEE_St5arrayIPcLm2EELi4E23TrivialOffsetCalculatorILi1EjESF_NS0_6memory15LoadWithoutCastENSG_16StoreWithoutCastEEEviT_T0_T2_T3_T4_T5_.num_vgpr, 14
	.set _ZN2at6native27unrolled_elementwise_kernelIZZZNS0_16sqrt_kernel_cudaERNS_18TensorIteratorBaseEENKUlvE_clEvENKUlvE1_clEvEUlN3c107complexINS6_4HalfEEEE_St5arrayIPcLm2EELi4E23TrivialOffsetCalculatorILi1EjESF_NS0_6memory15LoadWithoutCastENSG_16StoreWithoutCastEEEviT_T0_T2_T3_T4_T5_.num_agpr, 0
	.set _ZN2at6native27unrolled_elementwise_kernelIZZZNS0_16sqrt_kernel_cudaERNS_18TensorIteratorBaseEENKUlvE_clEvENKUlvE1_clEvEUlN3c107complexINS6_4HalfEEEE_St5arrayIPcLm2EELi4E23TrivialOffsetCalculatorILi1EjESF_NS0_6memory15LoadWithoutCastENSG_16StoreWithoutCastEEEviT_T0_T2_T3_T4_T5_.numbered_sgpr, 26
	.set _ZN2at6native27unrolled_elementwise_kernelIZZZNS0_16sqrt_kernel_cudaERNS_18TensorIteratorBaseEENKUlvE_clEvENKUlvE1_clEvEUlN3c107complexINS6_4HalfEEEE_St5arrayIPcLm2EELi4E23TrivialOffsetCalculatorILi1EjESF_NS0_6memory15LoadWithoutCastENSG_16StoreWithoutCastEEEviT_T0_T2_T3_T4_T5_.num_named_barrier, 0
	.set _ZN2at6native27unrolled_elementwise_kernelIZZZNS0_16sqrt_kernel_cudaERNS_18TensorIteratorBaseEENKUlvE_clEvENKUlvE1_clEvEUlN3c107complexINS6_4HalfEEEE_St5arrayIPcLm2EELi4E23TrivialOffsetCalculatorILi1EjESF_NS0_6memory15LoadWithoutCastENSG_16StoreWithoutCastEEEviT_T0_T2_T3_T4_T5_.private_seg_size, 0
	.set _ZN2at6native27unrolled_elementwise_kernelIZZZNS0_16sqrt_kernel_cudaERNS_18TensorIteratorBaseEENKUlvE_clEvENKUlvE1_clEvEUlN3c107complexINS6_4HalfEEEE_St5arrayIPcLm2EELi4E23TrivialOffsetCalculatorILi1EjESF_NS0_6memory15LoadWithoutCastENSG_16StoreWithoutCastEEEviT_T0_T2_T3_T4_T5_.uses_vcc, 1
	.set _ZN2at6native27unrolled_elementwise_kernelIZZZNS0_16sqrt_kernel_cudaERNS_18TensorIteratorBaseEENKUlvE_clEvENKUlvE1_clEvEUlN3c107complexINS6_4HalfEEEE_St5arrayIPcLm2EELi4E23TrivialOffsetCalculatorILi1EjESF_NS0_6memory15LoadWithoutCastENSG_16StoreWithoutCastEEEviT_T0_T2_T3_T4_T5_.uses_flat_scratch, 0
	.set _ZN2at6native27unrolled_elementwise_kernelIZZZNS0_16sqrt_kernel_cudaERNS_18TensorIteratorBaseEENKUlvE_clEvENKUlvE1_clEvEUlN3c107complexINS6_4HalfEEEE_St5arrayIPcLm2EELi4E23TrivialOffsetCalculatorILi1EjESF_NS0_6memory15LoadWithoutCastENSG_16StoreWithoutCastEEEviT_T0_T2_T3_T4_T5_.has_dyn_sized_stack, 0
	.set _ZN2at6native27unrolled_elementwise_kernelIZZZNS0_16sqrt_kernel_cudaERNS_18TensorIteratorBaseEENKUlvE_clEvENKUlvE1_clEvEUlN3c107complexINS6_4HalfEEEE_St5arrayIPcLm2EELi4E23TrivialOffsetCalculatorILi1EjESF_NS0_6memory15LoadWithoutCastENSG_16StoreWithoutCastEEEviT_T0_T2_T3_T4_T5_.has_recursion, 0
	.set _ZN2at6native27unrolled_elementwise_kernelIZZZNS0_16sqrt_kernel_cudaERNS_18TensorIteratorBaseEENKUlvE_clEvENKUlvE1_clEvEUlN3c107complexINS6_4HalfEEEE_St5arrayIPcLm2EELi4E23TrivialOffsetCalculatorILi1EjESF_NS0_6memory15LoadWithoutCastENSG_16StoreWithoutCastEEEviT_T0_T2_T3_T4_T5_.has_indirect_call, 0
	.section	.AMDGPU.csdata,"",@progbits
; Kernel info:
; codeLenInByte = 4944
; TotalNumSgprs: 32
; NumVgprs: 14
; NumAgprs: 0
; TotalNumVgprs: 14
; ScratchSize: 0
; MemoryBound: 0
; FloatMode: 240
; IeeeMode: 1
; LDSByteSize: 0 bytes/workgroup (compile time only)
; SGPRBlocks: 3
; VGPRBlocks: 1
; NumSGPRsForWavesPerEU: 32
; NumVGPRsForWavesPerEU: 14
; AccumOffset: 16
; Occupancy: 8
; WaveLimiterHint : 0
; COMPUTE_PGM_RSRC2:SCRATCH_EN: 0
; COMPUTE_PGM_RSRC2:USER_SGPR: 2
; COMPUTE_PGM_RSRC2:TRAP_HANDLER: 0
; COMPUTE_PGM_RSRC2:TGID_X_EN: 1
; COMPUTE_PGM_RSRC2:TGID_Y_EN: 0
; COMPUTE_PGM_RSRC2:TGID_Z_EN: 0
; COMPUTE_PGM_RSRC2:TIDIG_COMP_CNT: 0
; COMPUTE_PGM_RSRC3_GFX90A:ACCUM_OFFSET: 3
; COMPUTE_PGM_RSRC3_GFX90A:TG_SPLIT: 0
	.section	.text._ZN2at6native32elementwise_kernel_manual_unrollILi128ELi4EZNS0_22gpu_kernel_impl_nocastIZZZNS0_16sqrt_kernel_cudaERNS_18TensorIteratorBaseEENKUlvE_clEvENKUlvE1_clEvEUlN3c107complexINS7_4HalfEEEE_EEvS4_RKT_EUlibE_EEviT1_,"axG",@progbits,_ZN2at6native32elementwise_kernel_manual_unrollILi128ELi4EZNS0_22gpu_kernel_impl_nocastIZZZNS0_16sqrt_kernel_cudaERNS_18TensorIteratorBaseEENKUlvE_clEvENKUlvE1_clEvEUlN3c107complexINS7_4HalfEEEE_EEvS4_RKT_EUlibE_EEviT1_,comdat
	.globl	_ZN2at6native32elementwise_kernel_manual_unrollILi128ELi4EZNS0_22gpu_kernel_impl_nocastIZZZNS0_16sqrt_kernel_cudaERNS_18TensorIteratorBaseEENKUlvE_clEvENKUlvE1_clEvEUlN3c107complexINS7_4HalfEEEE_EEvS4_RKT_EUlibE_EEviT1_ ; -- Begin function _ZN2at6native32elementwise_kernel_manual_unrollILi128ELi4EZNS0_22gpu_kernel_impl_nocastIZZZNS0_16sqrt_kernel_cudaERNS_18TensorIteratorBaseEENKUlvE_clEvENKUlvE1_clEvEUlN3c107complexINS7_4HalfEEEE_EEvS4_RKT_EUlibE_EEviT1_
	.p2align	8
	.type	_ZN2at6native32elementwise_kernel_manual_unrollILi128ELi4EZNS0_22gpu_kernel_impl_nocastIZZZNS0_16sqrt_kernel_cudaERNS_18TensorIteratorBaseEENKUlvE_clEvENKUlvE1_clEvEUlN3c107complexINS7_4HalfEEEE_EEvS4_RKT_EUlibE_EEviT1_,@function
_ZN2at6native32elementwise_kernel_manual_unrollILi128ELi4EZNS0_22gpu_kernel_impl_nocastIZZZNS0_16sqrt_kernel_cudaERNS_18TensorIteratorBaseEENKUlvE_clEvENKUlvE1_clEvEUlN3c107complexINS7_4HalfEEEE_EEvS4_RKT_EUlibE_EEviT1_: ; @_ZN2at6native32elementwise_kernel_manual_unrollILi128ELi4EZNS0_22gpu_kernel_impl_nocastIZZZNS0_16sqrt_kernel_cudaERNS_18TensorIteratorBaseEENKUlvE_clEvENKUlvE1_clEvEUlN3c107complexINS7_4HalfEEEE_EEvS4_RKT_EUlibE_EEviT1_
; %bb.0:
	s_load_dword s55, s[0:1], 0x0
	s_load_dword s33, s[0:1], 0x8
	s_add_u32 s34, s0, 8
	s_addc_u32 s35, s1, 0
	v_lshl_or_b32 v4, s2, 9, v0
	v_or_b32_e32 v16, 0x180, v4
	s_waitcnt lgkmcnt(0)
	s_add_i32 s54, s33, -1
	s_cmp_gt_u32 s54, 1
	v_cmp_le_i32_e32 vcc, s55, v16
	s_cselect_b64 s[36:37], -1, 0
	s_and_saveexec_b64 s[0:1], vcc
	s_xor_b64 s[38:39], exec, s[0:1]
	s_cbranch_execz .LBB239_8
; %bb.1:
	s_load_dwordx4 s[24:27], s[34:35], 0x4
	s_load_dwordx2 s[40:41], s[34:35], 0x14
	s_load_dwordx4 s[20:23], s[34:35], 0xc4
	s_load_dwordx4 s[16:19], s[34:35], 0x148
	s_cmp_lg_u32 s33, 0
	s_cselect_b64 s[46:47], -1, 0
	s_add_u32 s44, s34, 0xc4
	s_addc_u32 s45, s35, 0
	s_min_u32 s56, s54, 15
	s_cmp_gt_u32 s33, 1
	s_cselect_b64 s[42:43], -1, 0
	v_cmp_gt_i32_e32 vcc, s55, v4
	s_and_saveexec_b64 s[48:49], vcc
	s_cbranch_execz .LBB239_15
; %bb.2:
	s_andn2_b64 vcc, exec, s[36:37]
	s_cbranch_vccnz .LBB239_23
; %bb.3:
	s_andn2_b64 vcc, exec, s[46:47]
	s_cbranch_vccnz .LBB239_86
; %bb.4:
	s_add_i32 s58, s56, 1
	s_cmp_eq_u32 s54, 2
	s_cbranch_scc1 .LBB239_88
; %bb.5:
	s_and_b32 s57, s58, 28
	s_mov_b32 s59, 0
	v_mov_b32_e32 v0, 0
	v_mov_b32_e32 v2, 0
	s_mov_b64 s[50:51], s[34:35]
	s_mov_b64 s[52:53], s[44:45]
	v_mov_b32_e32 v5, v4
.LBB239_6:                              ; =>This Inner Loop Header: Depth=1
	s_load_dwordx8 s[8:15], s[50:51], 0x4
	s_load_dwordx4 s[28:31], s[50:51], 0x24
	s_load_dwordx8 s[0:7], s[52:53], 0x0
	s_add_u32 s50, s50, 48
	s_addc_u32 s51, s51, 0
	s_waitcnt lgkmcnt(0)
	v_mul_hi_u32 v1, s9, v5
	v_add_u32_e32 v1, v5, v1
	v_lshrrev_b32_e32 v1, s10, v1
	v_mul_lo_u32 v3, v1, s8
	v_mul_hi_u32 v6, s12, v1
	v_sub_u32_e32 v3, v5, v3
	v_add_u32_e32 v5, v1, v6
	v_lshrrev_b32_e32 v5, s13, v5
	v_mul_lo_u32 v7, v5, s11
	v_mul_hi_u32 v8, s15, v5
	v_sub_u32_e32 v1, v1, v7
	v_add_u32_e32 v7, v5, v8
	v_mul_lo_u32 v6, v3, s1
	v_mul_lo_u32 v3, v3, s0
	;; [unrolled: 1-line block ×4, first 2 shown]
	v_lshrrev_b32_e32 v7, s28, v7
	v_add3_u32 v0, v3, v0, v1
	v_mul_hi_u32 v3, s30, v7
	v_add3_u32 v1, v6, v2, v8
	v_mul_lo_u32 v2, v7, s14
	v_add_u32_e32 v3, v7, v3
	v_sub_u32_e32 v2, v5, v2
	v_lshrrev_b32_e32 v5, s31, v3
	s_add_i32 s59, s59, 4
	v_mul_lo_u32 v3, v5, s29
	s_add_u32 s52, s52, 32
	v_sub_u32_e32 v3, v7, v3
	s_addc_u32 s53, s53, 0
	v_mul_lo_u32 v6, v2, s4
	v_mul_lo_u32 v2, v2, s5
	;; [unrolled: 1-line block ×4, first 2 shown]
	s_cmp_lg_u32 s57, s59
	v_add3_u32 v2, v2, v1, v3
	v_add3_u32 v0, v6, v0, v7
	s_cbranch_scc1 .LBB239_6
; %bb.7:
	v_mov_b32_e32 v1, v2
	s_branch .LBB239_89
.LBB239_8:
	s_andn2_saveexec_b64 s[0:1], s[38:39]
	s_cbranch_execz .LBB239_303
.LBB239_9:
	v_cndmask_b32_e64 v0, 0, 1, s[36:37]
	v_cmp_ne_u32_e64 s[0:1], 1, v0
	s_andn2_b64 vcc, exec, s[36:37]
	s_cbranch_vccnz .LBB239_22
; %bb.10:
	s_cmp_lg_u32 s33, 0
	s_waitcnt lgkmcnt(0)
	s_mov_b32 s26, 0
	s_cbranch_scc0 .LBB239_25
; %bb.11:
	s_min_u32 s27, s54, 15
	s_add_i32 s27, s27, 1
	s_cmp_eq_u32 s54, 2
	s_cbranch_scc1 .LBB239_26
; %bb.12:
	s_and_b32 s26, s27, 28
	s_add_u32 s2, s34, 0xc4
	s_addc_u32 s3, s35, 0
	s_mov_b32 s28, 0
	v_mov_b32_e32 v0, 0
	v_mov_b32_e32 v8, 0
	s_mov_b64 s[24:25], s[34:35]
	v_mov_b32_e32 v2, v4
.LBB239_13:                             ; =>This Inner Loop Header: Depth=1
	s_load_dwordx8 s[12:19], s[24:25], 0x4
	s_load_dwordx4 s[20:23], s[24:25], 0x24
	s_load_dwordx8 s[4:11], s[2:3], 0x0
	s_add_u32 s24, s24, 48
	s_addc_u32 s25, s25, 0
	s_waitcnt lgkmcnt(0)
	v_mul_hi_u32 v1, s13, v2
	v_add_u32_e32 v1, v2, v1
	v_lshrrev_b32_e32 v1, s14, v1
	v_mul_lo_u32 v3, v1, s12
	v_mul_hi_u32 v5, s16, v1
	v_sub_u32_e32 v2, v2, v3
	v_add_u32_e32 v3, v1, v5
	v_lshrrev_b32_e32 v3, s17, v3
	v_mul_lo_u32 v6, v3, s15
	v_mul_hi_u32 v7, s19, v3
	v_sub_u32_e32 v1, v1, v6
	v_add_u32_e32 v6, v3, v7
	v_mul_lo_u32 v5, v2, s5
	v_mul_lo_u32 v2, v2, s4
	;; [unrolled: 1-line block ×4, first 2 shown]
	v_lshrrev_b32_e32 v6, s20, v6
	v_add3_u32 v0, v2, v0, v1
	v_add3_u32 v1, v5, v8, v7
	v_mul_lo_u32 v2, v6, s18
	v_mul_hi_u32 v5, s22, v6
	v_sub_u32_e32 v2, v3, v2
	v_add_u32_e32 v3, v6, v5
	v_mul_lo_u32 v5, v2, s8
	v_mul_lo_u32 v7, v2, s9
	v_lshrrev_b32_e32 v2, s23, v3
	s_add_i32 s28, s28, 4
	v_mul_lo_u32 v3, v2, s21
	s_add_u32 s2, s2, 32
	v_sub_u32_e32 v3, v6, v3
	s_addc_u32 s3, s3, 0
	v_mul_lo_u32 v6, v3, s10
	v_mul_lo_u32 v3, v3, s11
	s_cmp_lg_u32 s26, s28
	v_add3_u32 v8, v7, v1, v3
	v_add3_u32 v0, v5, v0, v6
	s_cbranch_scc1 .LBB239_13
; %bb.14:
	v_mov_b32_e32 v1, v8
	s_and_b32 s6, s27, 3
	s_cmp_eq_u32 s6, 0
	s_cbranch_scc0 .LBB239_27
	s_branch .LBB239_29
.LBB239_15:
	s_or_b64 exec, exec, s[48:49]
	v_cmp_gt_i32_e32 vcc, s55, v4
	s_and_saveexec_b64 s[48:49], vcc
	s_cbranch_execz .LBB239_258
.LBB239_16:
	s_andn2_b64 vcc, exec, s[36:37]
	s_cbranch_vccnz .LBB239_24
; %bb.17:
	s_andn2_b64 vcc, exec, s[46:47]
	s_cbranch_vccnz .LBB239_87
; %bb.18:
	s_add_i32 s58, s56, 1
	s_cmp_eq_u32 s54, 2
	s_cbranch_scc1 .LBB239_107
; %bb.19:
	s_and_b32 s57, s58, 28
	s_mov_b32 s59, 0
	v_mov_b32_e32 v0, 0
	v_mov_b32_e32 v2, 0
	s_mov_b64 s[50:51], s[34:35]
	s_mov_b64 s[52:53], s[44:45]
	v_mov_b32_e32 v5, v4
.LBB239_20:                             ; =>This Inner Loop Header: Depth=1
	s_load_dwordx8 s[8:15], s[50:51], 0x4
	s_load_dwordx4 s[28:31], s[50:51], 0x24
	s_load_dwordx8 s[0:7], s[52:53], 0x0
	s_add_u32 s50, s50, 48
	s_addc_u32 s51, s51, 0
	s_waitcnt lgkmcnt(0)
	v_mul_hi_u32 v1, s9, v5
	v_add_u32_e32 v1, v5, v1
	v_lshrrev_b32_e32 v1, s10, v1
	v_mul_lo_u32 v3, v1, s8
	v_mul_hi_u32 v6, s12, v1
	v_sub_u32_e32 v3, v5, v3
	v_add_u32_e32 v5, v1, v6
	v_lshrrev_b32_e32 v5, s13, v5
	v_mul_lo_u32 v7, v5, s11
	v_mul_hi_u32 v8, s15, v5
	v_sub_u32_e32 v1, v1, v7
	v_add_u32_e32 v7, v5, v8
	v_mul_lo_u32 v6, v3, s1
	v_mul_lo_u32 v3, v3, s0
	;; [unrolled: 1-line block ×4, first 2 shown]
	v_lshrrev_b32_e32 v7, s28, v7
	v_add3_u32 v0, v3, v0, v1
	v_mul_hi_u32 v3, s30, v7
	v_add3_u32 v1, v6, v2, v8
	v_mul_lo_u32 v2, v7, s14
	v_add_u32_e32 v3, v7, v3
	v_sub_u32_e32 v2, v5, v2
	v_lshrrev_b32_e32 v5, s31, v3
	s_add_i32 s59, s59, 4
	v_mul_lo_u32 v3, v5, s29
	s_add_u32 s52, s52, 32
	v_sub_u32_e32 v3, v7, v3
	s_addc_u32 s53, s53, 0
	v_mul_lo_u32 v6, v2, s4
	v_mul_lo_u32 v2, v2, s5
	;; [unrolled: 1-line block ×4, first 2 shown]
	s_cmp_eq_u32 s57, s59
	v_add3_u32 v2, v2, v1, v3
	v_add3_u32 v0, v6, v0, v7
	s_cbranch_scc0 .LBB239_20
; %bb.21:
	v_mov_b32_e32 v1, v2
	s_branch .LBB239_108
.LBB239_22:
                                        ; implicit-def: $vgpr8
                                        ; implicit-def: $vgpr0
	s_branch .LBB239_30
.LBB239_23:
                                        ; implicit-def: $vgpr2
                                        ; implicit-def: $vgpr0
	s_branch .LBB239_93
.LBB239_24:
                                        ; implicit-def: $vgpr2
                                        ; implicit-def: $vgpr0
	s_branch .LBB239_112
.LBB239_25:
	v_mov_b32_e32 v8, 0
	v_mov_b32_e32 v0, 0
	s_branch .LBB239_29
.LBB239_26:
	v_mov_b32_e32 v0, 0
                                        ; implicit-def: $vgpr8
	v_mov_b32_e32 v1, v0
	v_mov_b32_e32 v2, v4
	s_and_b32 s6, s27, 3
	s_cmp_eq_u32 s6, 0
	s_cbranch_scc1 .LBB239_29
.LBB239_27:
	s_lshl_b32 s2, s26, 3
	s_add_u32 s2, s34, s2
	s_addc_u32 s3, s35, 0
	s_add_u32 s2, s2, 0xc4
	s_addc_u32 s3, s3, 0
	s_mul_i32 s4, s26, 12
	s_add_u32 s4, s34, s4
	s_addc_u32 s5, s35, 0
.LBB239_28:                             ; =>This Inner Loop Header: Depth=1
	s_load_dwordx2 s[8:9], s[4:5], 0x4
	s_load_dword s7, s[4:5], 0xc
	s_load_dwordx2 s[10:11], s[2:3], 0x0
	v_mov_b32_e32 v6, v1
	s_add_u32 s4, s4, 12
	s_waitcnt lgkmcnt(0)
	v_mul_hi_u32 v1, s9, v2
	v_add_u32_e32 v1, v2, v1
	v_lshrrev_b32_e32 v1, s7, v1
	s_addc_u32 s5, s5, 0
	v_mul_lo_u32 v3, v1, s8
	s_add_u32 s2, s2, 8
	v_sub_u32_e32 v3, v2, v3
	s_addc_u32 s3, s3, 0
	s_add_i32 s6, s6, -1
	v_mov_b32_e32 v2, v1
	v_mad_u64_u32 v[8:9], s[8:9], v3, s11, v[6:7]
	v_mad_u64_u32 v[0:1], s[8:9], v3, s10, v[0:1]
	s_cmp_lg_u32 s6, 0
	v_mov_b32_e32 v1, v8
	s_cbranch_scc1 .LBB239_28
.LBB239_29:
	s_cbranch_execnz .LBB239_32
.LBB239_30:
	s_load_dwordx4 s[4:7], s[34:35], 0x4
	s_load_dwordx2 s[2:3], s[34:35], 0xc4
	s_cmp_lt_u32 s33, 2
	s_waitcnt lgkmcnt(0)
	v_mul_hi_u32 v0, s5, v4
	v_add_u32_e32 v0, v4, v0
	v_lshrrev_b32_e32 v1, s6, v0
	v_mul_lo_u32 v0, v1, s4
	v_sub_u32_e32 v0, v4, v0
	v_mul_lo_u32 v8, v0, s3
	v_mul_lo_u32 v0, v0, s2
	s_cbranch_scc1 .LBB239_32
; %bb.31:
	s_load_dwordx4 s[4:7], s[34:35], 0x10
	s_load_dwordx2 s[2:3], s[34:35], 0xcc
	s_waitcnt lgkmcnt(0)
	v_mul_hi_u32 v2, s5, v1
	v_add_u32_e32 v2, v1, v2
	v_lshrrev_b32_e32 v2, s6, v2
	v_mul_lo_u32 v2, v2, s4
	v_sub_u32_e32 v2, v1, v2
	v_mad_u64_u32 v[0:1], s[4:5], v2, s2, v[0:1]
	v_mad_u64_u32 v[8:9], s[2:3], v2, s3, v[8:9]
.LBB239_32:
	s_and_b64 vcc, exec, s[0:1]
	v_add_u32_e32 v5, 0x80, v4
	s_cbranch_vccnz .LBB239_38
; %bb.33:
	s_cmp_lg_u32 s33, 0
	s_waitcnt lgkmcnt(0)
	s_mov_b32 s26, 0
	s_cbranch_scc0 .LBB239_39
; %bb.34:
	s_min_u32 s27, s54, 15
	s_add_i32 s27, s27, 1
	s_cmp_eq_u32 s54, 2
	s_cbranch_scc1 .LBB239_40
; %bb.35:
	s_and_b32 s26, s27, 28
	s_add_u32 s2, s34, 0xc4
	s_addc_u32 s3, s35, 0
	s_mov_b32 s28, 0
	v_mov_b32_e32 v2, 0
	v_mov_b32_e32 v10, 0
	s_mov_b64 s[24:25], s[34:35]
	v_mov_b32_e32 v6, v5
.LBB239_36:                             ; =>This Inner Loop Header: Depth=1
	s_load_dwordx8 s[12:19], s[24:25], 0x4
	s_load_dwordx4 s[20:23], s[24:25], 0x24
	s_load_dwordx8 s[4:11], s[2:3], 0x0
	s_add_u32 s24, s24, 48
	s_addc_u32 s25, s25, 0
	s_waitcnt lgkmcnt(0)
	v_mul_hi_u32 v1, s13, v6
	v_add_u32_e32 v1, v6, v1
	v_lshrrev_b32_e32 v1, s14, v1
	v_mul_lo_u32 v3, v1, s12
	v_mul_hi_u32 v7, s16, v1
	v_sub_u32_e32 v3, v6, v3
	v_add_u32_e32 v6, v1, v7
	v_lshrrev_b32_e32 v6, s17, v6
	v_mul_lo_u32 v9, v6, s15
	v_mul_hi_u32 v11, s19, v6
	v_sub_u32_e32 v1, v1, v9
	v_add_u32_e32 v9, v6, v11
	v_mul_lo_u32 v7, v3, s5
	v_mul_lo_u32 v3, v3, s4
	;; [unrolled: 1-line block ×4, first 2 shown]
	v_lshrrev_b32_e32 v9, s20, v9
	v_add3_u32 v1, v3, v2, v1
	v_add3_u32 v2, v7, v10, v11
	v_mul_lo_u32 v3, v9, s18
	v_mul_hi_u32 v7, s22, v9
	v_sub_u32_e32 v3, v6, v3
	v_add_u32_e32 v6, v9, v7
	v_lshrrev_b32_e32 v6, s23, v6
	s_add_i32 s28, s28, 4
	v_mul_lo_u32 v10, v6, s21
	s_add_u32 s2, s2, 32
	v_sub_u32_e32 v9, v9, v10
	s_addc_u32 s3, s3, 0
	v_mul_lo_u32 v7, v3, s8
	v_mul_lo_u32 v3, v3, s9
	;; [unrolled: 1-line block ×4, first 2 shown]
	s_cmp_lg_u32 s26, s28
	v_add3_u32 v10, v3, v2, v9
	v_add3_u32 v2, v7, v1, v11
	s_cbranch_scc1 .LBB239_36
; %bb.37:
	v_mov_b32_e32 v1, v10
	s_and_b32 s6, s27, 3
	s_cmp_eq_u32 s6, 0
	s_cbranch_scc0 .LBB239_41
	s_branch .LBB239_43
.LBB239_38:
                                        ; implicit-def: $vgpr10
                                        ; implicit-def: $vgpr2
	s_branch .LBB239_44
.LBB239_39:
	v_mov_b32_e32 v10, 0
	v_mov_b32_e32 v2, 0
	s_branch .LBB239_43
.LBB239_40:
	v_mov_b32_e32 v2, 0
                                        ; implicit-def: $vgpr10
	v_mov_b32_e32 v1, v2
	v_mov_b32_e32 v6, v5
	s_and_b32 s6, s27, 3
	s_cmp_eq_u32 s6, 0
	s_cbranch_scc1 .LBB239_43
.LBB239_41:
	s_lshl_b32 s2, s26, 3
	s_add_u32 s2, s34, s2
	s_addc_u32 s3, s35, 0
	s_add_u32 s2, s2, 0xc4
	s_addc_u32 s3, s3, 0
	s_mul_i32 s4, s26, 12
	s_add_u32 s4, s34, s4
	s_addc_u32 s5, s35, 0
.LBB239_42:                             ; =>This Inner Loop Header: Depth=1
	s_load_dwordx2 s[8:9], s[4:5], 0x4
	s_load_dword s7, s[4:5], 0xc
	s_load_dwordx2 s[10:11], s[2:3], 0x0
	v_mov_b32_e32 v10, v1
	s_add_u32 s4, s4, 12
	s_waitcnt lgkmcnt(0)
	v_mul_hi_u32 v1, s9, v6
	v_add_u32_e32 v1, v6, v1
	v_lshrrev_b32_e32 v1, s7, v1
	s_addc_u32 s5, s5, 0
	v_mul_lo_u32 v3, v1, s8
	s_add_u32 s2, s2, 8
	v_sub_u32_e32 v3, v6, v3
	s_addc_u32 s3, s3, 0
	s_add_i32 s6, s6, -1
	v_mad_u64_u32 v[10:11], s[8:9], v3, s11, v[10:11]
	s_cmp_lg_u32 s6, 0
	v_mov_b32_e32 v6, v1
	v_mad_u64_u32 v[2:3], s[8:9], v3, s10, v[2:3]
	v_mov_b32_e32 v1, v10
	s_cbranch_scc1 .LBB239_42
.LBB239_43:
	s_cbranch_execnz .LBB239_46
.LBB239_44:
	s_load_dwordx4 s[4:7], s[34:35], 0x4
	s_load_dwordx2 s[2:3], s[34:35], 0xc4
	s_cmp_lt_u32 s33, 2
	s_waitcnt lgkmcnt(0)
	v_mul_hi_u32 v1, s5, v5
	v_add_u32_e32 v1, v5, v1
	v_lshrrev_b32_e32 v1, s6, v1
	v_mul_lo_u32 v2, v1, s4
	v_sub_u32_e32 v2, v5, v2
	v_mul_lo_u32 v10, v2, s3
	v_mul_lo_u32 v2, v2, s2
	s_cbranch_scc1 .LBB239_46
; %bb.45:
	s_load_dwordx4 s[4:7], s[34:35], 0x10
	s_load_dwordx2 s[2:3], s[34:35], 0xcc
	s_waitcnt lgkmcnt(0)
	v_mul_hi_u32 v3, s5, v1
	v_add_u32_e32 v3, v1, v3
	v_lshrrev_b32_e32 v3, s6, v3
	v_mul_lo_u32 v3, v3, s4
	v_sub_u32_e32 v1, v1, v3
	v_mad_u64_u32 v[2:3], s[4:5], v1, s2, v[2:3]
	v_mad_u64_u32 v[10:11], s[2:3], v1, s3, v[10:11]
.LBB239_46:
	s_and_b64 vcc, exec, s[0:1]
	v_add_u32_e32 v3, 0x100, v4
	s_cbranch_vccnz .LBB239_52
; %bb.47:
	s_cmp_lg_u32 s33, 0
	s_waitcnt lgkmcnt(0)
	s_mov_b32 s26, 0
	s_cbranch_scc0 .LBB239_53
; %bb.48:
	s_min_u32 s27, s54, 15
	s_add_i32 s27, s27, 1
	s_cmp_eq_u32 s54, 2
	s_cbranch_scc1 .LBB239_54
; %bb.49:
	s_and_b32 s26, s27, 28
	s_add_u32 s2, s34, 0xc4
	s_addc_u32 s3, s35, 0
	s_mov_b32 s28, 0
	v_mov_b32_e32 v4, 0
	v_mov_b32_e32 v14, 0
	s_mov_b64 s[24:25], s[34:35]
	v_mov_b32_e32 v6, v3
.LBB239_50:                             ; =>This Inner Loop Header: Depth=1
	s_load_dwordx8 s[12:19], s[24:25], 0x4
	s_load_dwordx4 s[20:23], s[24:25], 0x24
	s_load_dwordx8 s[4:11], s[2:3], 0x0
	s_add_u32 s24, s24, 48
	s_addc_u32 s25, s25, 0
	s_waitcnt lgkmcnt(0)
	v_mul_hi_u32 v1, s13, v6
	v_add_u32_e32 v1, v6, v1
	v_lshrrev_b32_e32 v1, s14, v1
	v_mul_lo_u32 v5, v1, s12
	v_mul_hi_u32 v7, s16, v1
	v_sub_u32_e32 v5, v6, v5
	v_add_u32_e32 v6, v1, v7
	v_lshrrev_b32_e32 v6, s17, v6
	v_mul_lo_u32 v9, v6, s15
	v_mul_hi_u32 v11, s19, v6
	v_sub_u32_e32 v1, v1, v9
	v_add_u32_e32 v9, v6, v11
	v_mul_lo_u32 v7, v5, s5
	v_mul_lo_u32 v5, v5, s4
	;; [unrolled: 1-line block ×4, first 2 shown]
	v_lshrrev_b32_e32 v9, s20, v9
	v_add3_u32 v1, v5, v4, v1
	v_add3_u32 v4, v7, v14, v11
	v_mul_lo_u32 v5, v9, s18
	v_mul_hi_u32 v7, s22, v9
	v_sub_u32_e32 v5, v6, v5
	v_add_u32_e32 v6, v9, v7
	v_lshrrev_b32_e32 v6, s23, v6
	s_add_i32 s28, s28, 4
	v_mul_lo_u32 v11, v6, s21
	s_add_u32 s2, s2, 32
	v_sub_u32_e32 v9, v9, v11
	s_addc_u32 s3, s3, 0
	v_mul_lo_u32 v7, v5, s8
	v_mul_lo_u32 v5, v5, s9
	v_mul_lo_u32 v11, v9, s10
	v_mul_lo_u32 v9, v9, s11
	s_cmp_lg_u32 s26, s28
	v_add3_u32 v14, v5, v4, v9
	v_add3_u32 v4, v7, v1, v11
	s_cbranch_scc1 .LBB239_50
; %bb.51:
	v_mov_b32_e32 v1, v14
	s_and_b32 s6, s27, 3
	s_cmp_eq_u32 s6, 0
	s_cbranch_scc0 .LBB239_55
	s_branch .LBB239_57
.LBB239_52:
                                        ; implicit-def: $vgpr14
                                        ; implicit-def: $vgpr4
	s_branch .LBB239_58
.LBB239_53:
	v_mov_b32_e32 v14, 0
	v_mov_b32_e32 v4, 0
	s_branch .LBB239_57
.LBB239_54:
	v_mov_b32_e32 v4, 0
                                        ; implicit-def: $vgpr14
	v_mov_b32_e32 v1, v4
	v_mov_b32_e32 v6, v3
	s_and_b32 s6, s27, 3
	s_cmp_eq_u32 s6, 0
	s_cbranch_scc1 .LBB239_57
.LBB239_55:
	s_lshl_b32 s2, s26, 3
	s_add_u32 s2, s34, s2
	s_addc_u32 s3, s35, 0
	s_add_u32 s2, s2, 0xc4
	s_addc_u32 s3, s3, 0
	s_mul_i32 s4, s26, 12
	s_add_u32 s4, s34, s4
	s_addc_u32 s5, s35, 0
.LBB239_56:                             ; =>This Inner Loop Header: Depth=1
	s_load_dwordx2 s[8:9], s[4:5], 0x4
	s_load_dword s7, s[4:5], 0xc
	s_load_dwordx2 s[10:11], s[2:3], 0x0
	v_mov_b32_e32 v12, v1
	s_add_u32 s4, s4, 12
	s_waitcnt lgkmcnt(0)
	v_mul_hi_u32 v1, s9, v6
	v_add_u32_e32 v1, v6, v1
	v_lshrrev_b32_e32 v1, s7, v1
	s_addc_u32 s5, s5, 0
	v_mul_lo_u32 v5, v1, s8
	s_add_u32 s2, s2, 8
	v_sub_u32_e32 v5, v6, v5
	s_addc_u32 s3, s3, 0
	s_add_i32 s6, s6, -1
	v_mad_u64_u32 v[14:15], s[8:9], v5, s11, v[12:13]
	s_cmp_lg_u32 s6, 0
	v_mov_b32_e32 v6, v1
	v_mad_u64_u32 v[4:5], s[8:9], v5, s10, v[4:5]
	v_mov_b32_e32 v1, v14
	s_cbranch_scc1 .LBB239_56
.LBB239_57:
	s_cbranch_execnz .LBB239_60
.LBB239_58:
	s_load_dwordx4 s[4:7], s[34:35], 0x4
	s_load_dwordx2 s[2:3], s[34:35], 0xc4
	s_cmp_lt_u32 s33, 2
	s_waitcnt lgkmcnt(0)
	v_mul_hi_u32 v1, s5, v3
	v_add_u32_e32 v1, v3, v1
	v_lshrrev_b32_e32 v1, s6, v1
	v_mul_lo_u32 v4, v1, s4
	v_sub_u32_e32 v3, v3, v4
	v_mul_lo_u32 v14, v3, s3
	v_mul_lo_u32 v4, v3, s2
	s_cbranch_scc1 .LBB239_60
; %bb.59:
	s_load_dwordx4 s[4:7], s[34:35], 0x10
	s_load_dwordx2 s[2:3], s[34:35], 0xcc
	s_waitcnt lgkmcnt(0)
	v_mul_hi_u32 v3, s5, v1
	v_add_u32_e32 v3, v1, v3
	v_lshrrev_b32_e32 v3, s6, v3
	v_mul_lo_u32 v3, v3, s4
	v_sub_u32_e32 v1, v1, v3
	v_mad_u64_u32 v[4:5], s[4:5], v1, s2, v[4:5]
	v_mad_u64_u32 v[14:15], s[2:3], v1, s3, v[14:15]
.LBB239_60:
	s_and_b64 vcc, exec, s[0:1]
	s_cbranch_vccnz .LBB239_66
; %bb.61:
	s_cmp_lg_u32 s33, 0
	s_waitcnt lgkmcnt(0)
	s_mov_b32 s24, 0
	s_cbranch_scc0 .LBB239_67
; %bb.62:
	s_min_u32 s25, s54, 15
	s_add_i32 s25, s25, 1
	s_cmp_eq_u32 s54, 2
	s_cbranch_scc1 .LBB239_68
; %bb.63:
	s_and_b32 s24, s25, 28
	s_add_u32 s20, s34, 0xc4
	s_addc_u32 s21, s35, 0
	s_mov_b32 s26, 0
	v_mov_b32_e32 v6, 0
	v_mov_b32_e32 v12, 0
	s_mov_b64 s[22:23], s[34:35]
	v_mov_b32_e32 v3, v16
.LBB239_64:                             ; =>This Inner Loop Header: Depth=1
	s_load_dwordx8 s[8:15], s[22:23], 0x4
	s_load_dwordx4 s[16:19], s[22:23], 0x24
	s_load_dwordx8 s[0:7], s[20:21], 0x0
	s_add_u32 s22, s22, 48
	s_addc_u32 s23, s23, 0
	s_waitcnt lgkmcnt(0)
	v_mul_hi_u32 v1, s9, v3
	v_add_u32_e32 v1, v3, v1
	v_lshrrev_b32_e32 v1, s10, v1
	v_mul_lo_u32 v5, v1, s8
	v_mul_hi_u32 v7, s12, v1
	v_sub_u32_e32 v3, v3, v5
	v_add_u32_e32 v5, v1, v7
	v_lshrrev_b32_e32 v5, s13, v5
	v_mul_lo_u32 v9, v5, s11
	v_mul_hi_u32 v11, s15, v5
	v_sub_u32_e32 v1, v1, v9
	v_add_u32_e32 v9, v5, v11
	v_mul_lo_u32 v7, v3, s1
	v_mul_lo_u32 v3, v3, s0
	;; [unrolled: 1-line block ×4, first 2 shown]
	v_lshrrev_b32_e32 v9, s16, v9
	v_add3_u32 v1, v3, v6, v1
	v_add3_u32 v6, v7, v12, v11
	v_mul_lo_u32 v3, v9, s14
	v_mul_hi_u32 v7, s18, v9
	v_sub_u32_e32 v3, v5, v3
	v_add_u32_e32 v5, v9, v7
	v_mul_lo_u32 v7, v3, s4
	v_mul_lo_u32 v11, v3, s5
	v_lshrrev_b32_e32 v3, s19, v5
	s_add_i32 s26, s26, 4
	v_mul_lo_u32 v5, v3, s17
	s_add_u32 s20, s20, 32
	v_sub_u32_e32 v5, v9, v5
	s_addc_u32 s21, s21, 0
	v_mul_lo_u32 v9, v5, s6
	v_mul_lo_u32 v5, v5, s7
	s_cmp_lg_u32 s24, s26
	v_add3_u32 v12, v11, v6, v5
	v_add3_u32 v6, v7, v1, v9
	s_cbranch_scc1 .LBB239_64
; %bb.65:
	v_mov_b32_e32 v1, v12
	s_and_b32 s4, s25, 3
	s_cmp_eq_u32 s4, 0
	s_cbranch_scc0 .LBB239_69
	s_branch .LBB239_71
.LBB239_66:
                                        ; implicit-def: $vgpr12
                                        ; implicit-def: $vgpr6
	s_branch .LBB239_72
.LBB239_67:
	v_mov_b32_e32 v12, 0
	v_mov_b32_e32 v6, 0
	s_branch .LBB239_71
.LBB239_68:
	v_mov_b32_e32 v6, 0
                                        ; implicit-def: $vgpr12
	v_mov_b32_e32 v1, v6
	v_mov_b32_e32 v3, v16
	s_and_b32 s4, s25, 3
	s_cmp_eq_u32 s4, 0
	s_cbranch_scc1 .LBB239_71
.LBB239_69:
	s_lshl_b32 s0, s24, 3
	s_add_u32 s0, s34, s0
	s_addc_u32 s1, s35, 0
	s_add_u32 s0, s0, 0xc4
	s_addc_u32 s1, s1, 0
	s_mul_i32 s2, s24, 12
	s_add_u32 s2, s34, s2
	s_addc_u32 s3, s35, 0
.LBB239_70:                             ; =>This Inner Loop Header: Depth=1
	s_load_dwordx2 s[6:7], s[2:3], 0x4
	s_load_dword s5, s[2:3], 0xc
	s_load_dwordx2 s[8:9], s[0:1], 0x0
	v_mov_b32_e32 v12, v1
	s_add_u32 s2, s2, 12
	s_waitcnt lgkmcnt(0)
	v_mul_hi_u32 v1, s7, v3
	v_add_u32_e32 v1, v3, v1
	v_lshrrev_b32_e32 v1, s5, v1
	s_addc_u32 s3, s3, 0
	v_mul_lo_u32 v5, v1, s6
	s_add_u32 s0, s0, 8
	v_sub_u32_e32 v5, v3, v5
	s_addc_u32 s1, s1, 0
	s_add_i32 s4, s4, -1
	v_mad_u64_u32 v[12:13], s[6:7], v5, s9, v[12:13]
	s_cmp_lg_u32 s4, 0
	v_mov_b32_e32 v3, v1
	v_mad_u64_u32 v[6:7], s[6:7], v5, s8, v[6:7]
	v_mov_b32_e32 v1, v12
	s_cbranch_scc1 .LBB239_70
.LBB239_71:
	s_cbranch_execnz .LBB239_74
.LBB239_72:
	s_load_dwordx4 s[0:3], s[34:35], 0x4
	s_load_dwordx2 s[4:5], s[34:35], 0xc4
	s_cmp_lt_u32 s33, 2
	s_waitcnt lgkmcnt(0)
	v_mul_hi_u32 v1, s1, v16
	v_add_u32_e32 v1, v16, v1
	v_lshrrev_b32_e32 v1, s2, v1
	v_mul_lo_u32 v3, v1, s0
	v_sub_u32_e32 v3, v16, v3
	v_mul_lo_u32 v12, v3, s5
	v_mul_lo_u32 v6, v3, s4
	s_cbranch_scc1 .LBB239_74
; %bb.73:
	s_load_dwordx4 s[0:3], s[34:35], 0x10
	s_load_dwordx2 s[4:5], s[34:35], 0xcc
	s_waitcnt lgkmcnt(0)
	v_mul_hi_u32 v3, s1, v1
	v_add_u32_e32 v3, v1, v3
	v_lshrrev_b32_e32 v3, s2, v3
	v_mul_lo_u32 v3, v3, s0
	v_sub_u32_e32 v1, v1, v3
	v_mad_u64_u32 v[6:7], s[0:1], v1, s4, v[6:7]
	v_mad_u64_u32 v[12:13], s[0:1], v1, s5, v[12:13]
.LBB239_74:
	s_load_dwordx4 s[4:7], s[34:35], 0x148
	v_mov_b32_e32 v11, 0
	v_mov_b32_e32 v9, 0
	s_waitcnt lgkmcnt(0)
	global_load_dword v1, v8, s[6:7]
	s_waitcnt vmcnt(0)
	v_cvt_f32_f16_sdwa v8, v1 dst_sel:DWORD dst_unused:UNUSED_PAD src0_sel:WORD_1
	v_cmp_neq_f16_e32 vcc, 0, v1
	v_cmp_neq_f16_sdwa s[0:1], v1, v11 src0_sel:WORD_1 src1_sel:DWORD
	s_or_b64 s[0:1], vcc, s[0:1]
	s_and_saveexec_b64 s[8:9], s[0:1]
	s_cbranch_execz .LBB239_144
; %bb.75:
	v_mov_b32_e32 v9, 0x7f800000
	v_cmp_neq_f32_e64 s[0:1], |v8|, v9
	s_and_saveexec_b64 s[10:11], s[0:1]
	s_cbranch_execz .LBB239_143
; %bb.76:
	v_cvt_f32_f16_e32 v9, v1
	v_cmp_o_f16_e32 vcc, v1, v1
	s_and_saveexec_b64 s[0:1], vcc
	s_xor_b64 s[12:13], exec, s[0:1]
	s_cbranch_execz .LBB239_140
; %bb.77:
	s_mov_b32 s0, 0x7f800000
	v_cmp_neq_f32_e64 s[0:1], |v9|, s0
	s_and_saveexec_b64 s[2:3], s[0:1]
	s_xor_b64 s[14:15], exec, s[2:3]
	s_cbranch_execz .LBB239_133
; %bb.78:
	v_max_f32_e64 v1, |v8|, |v8|
	v_max_f32_e64 v3, |v9|, |v9|
	v_max_f32_e32 v1, v3, v1
	s_mov_b32 s0, 0x7ed413cb
	v_cmp_nle_f32_e64 s[0:1], s0, v1
                                        ; implicit-def: $sgpr16_sgpr17
	s_and_saveexec_b64 s[2:3], s[0:1]
	s_xor_b64 s[2:3], exec, s[2:3]
	s_cbranch_execz .LBB239_82
; %bb.79:
	s_mov_b32 s18, 0x1000000
	v_cmp_le_f32_e64 s[16:17], |v9|, s18
	v_cmp_le_f32_e64 s[18:19], |v8|, s18
	s_and_b64 s[20:21], s[16:17], s[18:19]
	s_mov_b64 s[16:17], 0
	s_and_saveexec_b64 s[18:19], s[20:21]
; %bb.80:
	s_mov_b64 s[16:17], exec
	v_pk_mul_f32 v[8:9], v[8:9], 4.0 op_sel_hi:[1,0]
; %bb.81:
	s_or_b64 exec, exec, s[18:19]
.LBB239_82:
	s_andn2_saveexec_b64 s[2:3], s[2:3]
; %bb.83:
	s_mov_b32 s18, 0x3e800000
	v_pk_mul_f32 v[8:9], v[8:9], s[18:19] op_sel_hi:[1,0]
	s_andn2_b64 s[16:17], s[16:17], exec
; %bb.84:
	s_or_b64 exec, exec, s[2:3]
	v_max_f32_e64 v1, |v8|, |v8|
	v_max_f32_e64 v3, |v9|, |v9|
	v_max_f32_e32 v1, v3, v1
	v_cvt_f64_f32_e32 v[16:17], v1
	v_frexp_exp_i32_f64_e32 v3, v[16:17]
	v_sub_u32_e32 v5, 0, v3
	v_ldexp_f32 v7, |v9|, v5
	v_ldexp_f32 v5, |v8|, v5
	v_mul_f32_e32 v5, v5, v5
	v_fmac_f32_e32 v5, v7, v7
	v_sqrt_f32_e32 v5, v5
	s_mov_b32 s2, 0x7f800000
	v_cmp_neq_f32_e64 s[2:3], s2, v1
	v_cmp_le_f32_e32 vcc, 0, v9
	v_ldexp_f32 v3, v5, v3
	v_mov_b32_e32 v5, 0x7f800000
	v_cndmask_b32_e64 v5, v5, v3, s[2:3]
                                        ; implicit-def: $vgpr3
                                        ; implicit-def: $vgpr1
	s_and_saveexec_b64 s[2:3], vcc
	s_xor_b64 s[18:19], exec, s[2:3]
	s_cbranch_execz .LBB239_126
; %bb.85:
	v_add_f32_e32 v1, v9, v5
	v_mul_f32_e32 v1, 0.5, v1
	s_mov_b32 s2, 0xf800000
	v_mul_f32_e32 v3, 0x4f800000, v1
	v_cmp_gt_f32_e32 vcc, s2, v1
	s_nop 1
	v_cndmask_b32_e32 v1, v1, v3, vcc
	v_sqrt_f32_e32 v3, v1
	s_nop 0
	v_add_u32_e32 v5, -1, v3
	v_fma_f32 v7, -v5, v3, v1
	v_cmp_ge_f32_e64 s[2:3], 0, v7
	v_add_u32_e32 v7, 1, v3
	s_nop 0
	v_cndmask_b32_e64 v5, v3, v5, s[2:3]
	v_fma_f32 v3, -v7, v3, v1
	v_cmp_lt_f32_e64 s[2:3], 0, v3
	s_nop 1
	v_cndmask_b32_e64 v3, v5, v7, s[2:3]
	v_mul_f32_e32 v5, 0x37800000, v3
	v_cndmask_b32_e32 v3, v3, v5, vcc
	v_mov_b32_e32 v5, 0x260
	v_cmp_class_f32_e32 vcc, v1, v5
	s_nop 1
	v_cndmask_b32_e32 v1, v3, v1, vcc
	v_add_f32_e32 v3, v1, v1
	v_div_scale_f32 v5, s[2:3], v3, v3, v8
	v_rcp_f32_e32 v7, v5
	s_nop 0
	v_fma_f32 v9, -v5, v7, 1.0
	v_fmac_f32_e32 v7, v9, v7
	v_div_scale_f32 v9, vcc, v8, v3, v8
	v_mul_f32_e32 v13, v9, v7
	v_fma_f32 v15, -v5, v13, v9
	v_fmac_f32_e32 v13, v15, v7
	v_fma_f32 v5, -v5, v13, v9
	v_div_fmas_f32 v5, v5, v7, v13
	v_div_fixup_f32 v3, v5, v3, v8
                                        ; implicit-def: $vgpr5
                                        ; implicit-def: $vgpr8_vgpr9
	s_andn2_saveexec_b64 s[18:19], s[18:19]
	s_cbranch_execz .LBB239_128
	s_branch .LBB239_127
.LBB239_86:
	v_mov_b32_e32 v2, 0
	v_mov_b32_e32 v0, 0
	s_branch .LBB239_92
.LBB239_87:
	v_mov_b32_e32 v2, 0
	v_mov_b32_e32 v0, 0
	s_branch .LBB239_111
.LBB239_88:
	v_mov_b32_e32 v0, 0
	s_mov_b32 s57, 0
	v_mov_b32_e32 v1, v0
                                        ; implicit-def: $vgpr2
	v_mov_b32_e32 v5, v4
.LBB239_89:
	s_and_b32 s4, s58, 3
	s_cmp_eq_u32 s4, 0
	s_cbranch_scc1 .LBB239_92
; %bb.90:
	s_lshl_b32 s0, s57, 3
	s_add_u32 s0, s34, s0
	s_addc_u32 s1, s35, 0
	s_add_u32 s0, s0, 0xc4
	s_addc_u32 s1, s1, 0
	s_mul_i32 s2, s57, 12
	s_add_u32 s2, s34, s2
	s_addc_u32 s3, s35, 0
.LBB239_91:                             ; =>This Inner Loop Header: Depth=1
	s_load_dwordx2 s[6:7], s[2:3], 0x4
	s_load_dword s5, s[2:3], 0xc
	s_load_dwordx2 s[8:9], s[0:1], 0x0
	v_mov_b32_e32 v2, v1
	s_add_u32 s2, s2, 12
	s_waitcnt lgkmcnt(0)
	v_mul_hi_u32 v1, s7, v5
	v_add_u32_e32 v1, v5, v1
	v_lshrrev_b32_e32 v1, s5, v1
	s_addc_u32 s3, s3, 0
	v_mul_lo_u32 v3, v1, s6
	s_add_u32 s0, s0, 8
	v_sub_u32_e32 v6, v5, v3
	s_addc_u32 s1, s1, 0
	s_add_i32 s4, s4, -1
	v_mov_b32_e32 v5, v1
	v_mad_u64_u32 v[2:3], s[6:7], v6, s9, v[2:3]
	v_mad_u64_u32 v[0:1], s[6:7], v6, s8, v[0:1]
	s_cmp_lg_u32 s4, 0
	v_mov_b32_e32 v1, v2
	s_cbranch_scc1 .LBB239_91
.LBB239_92:
	s_cbranch_execnz .LBB239_95
.LBB239_93:
	s_waitcnt lgkmcnt(0)
	v_mul_hi_u32 v0, s25, v4
	v_add_u32_e32 v0, v4, v0
	v_lshrrev_b32_e32 v1, s26, v0
	v_mul_lo_u32 v0, v1, s24
	v_sub_u32_e32 v0, v4, v0
	v_mul_lo_u32 v2, v0, s21
	s_andn2_b64 vcc, exec, s[42:43]
	v_mul_lo_u32 v0, v0, s20
	s_cbranch_vccnz .LBB239_95
; %bb.94:
	v_mul_hi_u32 v3, s40, v1
	v_add_u32_e32 v3, v1, v3
	v_lshrrev_b32_e32 v3, s41, v3
	v_mul_lo_u32 v3, v3, s27
	v_sub_u32_e32 v3, v1, v3
	v_mad_u64_u32 v[0:1], s[0:1], v3, s22, v[0:1]
	v_mad_u64_u32 v[2:3], s[0:1], v3, s23, v[2:3]
.LBB239_95:
	s_waitcnt lgkmcnt(0)
	global_load_dword v1, v2, s[18:19]
	v_mov_b32_e32 v3, 0
	s_waitcnt vmcnt(0)
	v_cvt_f32_f16_sdwa v2, v1 dst_sel:DWORD dst_unused:UNUSED_PAD src0_sel:WORD_1
	v_cmp_neq_f16_e32 vcc, 0, v1
	v_cmp_neq_f16_sdwa s[0:1], v1, v3 src0_sel:WORD_1 src1_sel:DWORD
	s_or_b64 s[0:1], vcc, s[0:1]
	s_and_saveexec_b64 s[4:5], s[0:1]
	s_cbranch_execz .LBB239_257
; %bb.96:
	v_mov_b32_e32 v3, 0x7f800000
	v_cmp_neq_f32_e64 s[0:1], |v2|, v3
	s_and_saveexec_b64 s[6:7], s[0:1]
	s_cbranch_execz .LBB239_256
; %bb.97:
	v_cvt_f32_f16_e32 v3, v1
	v_cmp_o_f16_e32 vcc, v1, v1
	s_and_saveexec_b64 s[0:1], vcc
	s_xor_b64 s[8:9], exec, s[0:1]
	s_cbranch_execz .LBB239_253
; %bb.98:
	s_mov_b32 s0, 0x7f800000
	v_cmp_neq_f32_e64 s[0:1], |v3|, s0
	s_and_saveexec_b64 s[2:3], s[0:1]
	s_xor_b64 s[10:11], exec, s[2:3]
	s_cbranch_execz .LBB239_246
; %bb.99:
	v_max_f32_e64 v1, |v2|, |v2|
	v_max_f32_e64 v5, |v3|, |v3|
	v_max_f32_e32 v1, v5, v1
	s_mov_b32 s0, 0x7ed413cb
	v_cmp_nle_f32_e64 s[0:1], s0, v1
                                        ; implicit-def: $sgpr12_sgpr13
	s_and_saveexec_b64 s[2:3], s[0:1]
	s_xor_b64 s[2:3], exec, s[2:3]
	s_cbranch_execz .LBB239_103
; %bb.100:
	s_mov_b32 s14, 0x1000000
	v_cmp_le_f32_e64 s[12:13], |v3|, s14
	v_cmp_le_f32_e64 s[14:15], |v2|, s14
	s_and_b64 s[28:29], s[12:13], s[14:15]
	s_mov_b64 s[12:13], 0
	s_and_saveexec_b64 s[14:15], s[28:29]
; %bb.101:
	s_mov_b64 s[12:13], exec
	v_pk_mul_f32 v[2:3], v[2:3], 4.0 op_sel_hi:[1,0]
; %bb.102:
	s_or_b64 exec, exec, s[14:15]
.LBB239_103:
	s_andn2_saveexec_b64 s[2:3], s[2:3]
; %bb.104:
	s_mov_b32 s14, 0x3e800000
	v_pk_mul_f32 v[2:3], v[2:3], s[14:15] op_sel_hi:[1,0]
	s_andn2_b64 s[12:13], s[12:13], exec
; %bb.105:
	s_or_b64 exec, exec, s[2:3]
	v_max_f32_e64 v1, |v2|, |v2|
	v_max_f32_e64 v5, |v3|, |v3|
	v_max_f32_e32 v1, v5, v1
	v_cvt_f64_f32_e32 v[6:7], v1
	v_frexp_exp_i32_f64_e32 v5, v[6:7]
	v_sub_u32_e32 v6, 0, v5
	v_ldexp_f32 v7, |v3|, v6
	v_ldexp_f32 v6, |v2|, v6
	v_mul_f32_e32 v6, v6, v6
	v_fmac_f32_e32 v6, v7, v7
	v_sqrt_f32_e32 v6, v6
	s_mov_b32 s2, 0x7f800000
	v_cmp_neq_f32_e64 s[2:3], s2, v1
	v_cmp_le_f32_e32 vcc, 0, v3
	v_ldexp_f32 v5, v6, v5
	v_mov_b32_e32 v6, 0x7f800000
	v_cndmask_b32_e64 v6, v6, v5, s[2:3]
                                        ; implicit-def: $vgpr5
                                        ; implicit-def: $vgpr1
	s_and_saveexec_b64 s[2:3], vcc
	s_xor_b64 s[14:15], exec, s[2:3]
	s_cbranch_execz .LBB239_235
; %bb.106:
	v_add_f32_e32 v1, v3, v6
	v_mul_f32_e32 v1, 0.5, v1
	s_mov_b32 s2, 0xf800000
	v_mul_f32_e32 v3, 0x4f800000, v1
	v_cmp_gt_f32_e32 vcc, s2, v1
	s_nop 1
	v_cndmask_b32_e32 v1, v1, v3, vcc
	v_sqrt_f32_e32 v3, v1
	s_nop 0
	v_add_u32_e32 v5, -1, v3
	v_fma_f32 v6, -v5, v3, v1
	v_cmp_ge_f32_e64 s[2:3], 0, v6
	v_add_u32_e32 v6, 1, v3
	s_nop 0
	v_cndmask_b32_e64 v5, v3, v5, s[2:3]
	v_fma_f32 v3, -v6, v3, v1
	v_cmp_lt_f32_e64 s[2:3], 0, v3
	s_nop 1
	v_cndmask_b32_e64 v3, v5, v6, s[2:3]
	v_mul_f32_e32 v5, 0x37800000, v3
	v_cndmask_b32_e32 v3, v3, v5, vcc
	v_mov_b32_e32 v5, 0x260
	v_cmp_class_f32_e32 vcc, v1, v5
	s_nop 1
	v_cndmask_b32_e32 v1, v3, v1, vcc
	v_add_f32_e32 v3, v1, v1
	v_div_scale_f32 v5, s[2:3], v3, v3, v2
	v_rcp_f32_e32 v6, v5
	s_nop 0
	v_fma_f32 v7, -v5, v6, 1.0
	v_fmac_f32_e32 v6, v7, v6
	v_div_scale_f32 v7, vcc, v2, v3, v2
	v_mul_f32_e32 v8, v7, v6
	v_fma_f32 v9, -v5, v8, v7
	v_fmac_f32_e32 v8, v9, v6
	v_fma_f32 v5, -v5, v8, v7
	v_div_fmas_f32 v5, v5, v6, v8
	v_div_fixup_f32 v5, v5, v3, v2
                                        ; implicit-def: $vgpr6
                                        ; implicit-def: $vgpr2_vgpr3
	s_andn2_saveexec_b64 s[14:15], s[14:15]
	s_cbranch_execz .LBB239_237
	s_branch .LBB239_236
.LBB239_107:
	v_mov_b32_e32 v0, 0
	s_mov_b32 s57, 0
	v_mov_b32_e32 v1, v0
                                        ; implicit-def: $vgpr2
	v_mov_b32_e32 v5, v4
.LBB239_108:
	s_and_b32 s4, s58, 3
	s_cmp_eq_u32 s4, 0
	s_cbranch_scc1 .LBB239_111
; %bb.109:
	s_lshl_b32 s0, s57, 3
	s_add_u32 s0, s34, s0
	s_addc_u32 s1, s35, 0
	s_add_u32 s0, s0, 0xc4
	s_addc_u32 s1, s1, 0
	s_mul_i32 s2, s57, 12
	s_add_u32 s2, s34, s2
	s_addc_u32 s3, s35, 0
.LBB239_110:                            ; =>This Inner Loop Header: Depth=1
	s_load_dwordx2 s[6:7], s[2:3], 0x4
	s_load_dword s5, s[2:3], 0xc
	s_load_dwordx2 s[8:9], s[0:1], 0x0
	v_mov_b32_e32 v2, v1
	s_add_u32 s2, s2, 12
	s_waitcnt lgkmcnt(0)
	v_mul_hi_u32 v1, s7, v5
	v_add_u32_e32 v1, v5, v1
	v_lshrrev_b32_e32 v1, s5, v1
	s_addc_u32 s3, s3, 0
	v_mul_lo_u32 v3, v1, s6
	s_add_u32 s0, s0, 8
	v_sub_u32_e32 v6, v5, v3
	s_addc_u32 s1, s1, 0
	s_add_i32 s4, s4, -1
	v_mov_b32_e32 v5, v1
	v_mad_u64_u32 v[2:3], s[6:7], v6, s9, v[2:3]
	v_mad_u64_u32 v[0:1], s[6:7], v6, s8, v[0:1]
	s_cmp_lg_u32 s4, 0
	v_mov_b32_e32 v1, v2
	s_cbranch_scc1 .LBB239_110
.LBB239_111:
	s_cbranch_execnz .LBB239_114
.LBB239_112:
	s_waitcnt lgkmcnt(0)
	v_mul_hi_u32 v0, s25, v4
	v_add_u32_e32 v0, v4, v0
	v_lshrrev_b32_e32 v1, s26, v0
	v_mul_lo_u32 v0, v1, s24
	v_sub_u32_e32 v0, v4, v0
	v_mul_lo_u32 v2, v0, s21
	s_andn2_b64 vcc, exec, s[42:43]
	v_mul_lo_u32 v0, v0, s20
	s_cbranch_vccnz .LBB239_114
; %bb.113:
	v_mul_hi_u32 v3, s40, v1
	v_add_u32_e32 v3, v1, v3
	v_lshrrev_b32_e32 v3, s41, v3
	v_mul_lo_u32 v3, v3, s27
	v_sub_u32_e32 v3, v1, v3
	v_mad_u64_u32 v[0:1], s[0:1], v3, s22, v[0:1]
	v_mad_u64_u32 v[2:3], s[0:1], v3, s23, v[2:3]
.LBB239_114:
	s_waitcnt lgkmcnt(0)
	global_load_dword v1, v2, s[18:19]
	v_mov_b32_e32 v3, 0
	s_waitcnt vmcnt(0)
	v_cvt_f32_f16_sdwa v2, v1 dst_sel:DWORD dst_unused:UNUSED_PAD src0_sel:WORD_1
	v_cmp_neq_f16_e32 vcc, 0, v1
	v_cmp_neq_f16_sdwa s[0:1], v1, v3 src0_sel:WORD_1 src1_sel:DWORD
	s_or_b64 s[0:1], vcc, s[0:1]
	s_and_saveexec_b64 s[4:5], s[0:1]
	s_cbranch_execz .LBB239_300
; %bb.115:
	v_mov_b32_e32 v3, 0x7f800000
	v_cmp_neq_f32_e64 s[0:1], |v2|, v3
	s_and_saveexec_b64 s[6:7], s[0:1]
	s_cbranch_execz .LBB239_299
; %bb.116:
	v_cvt_f32_f16_e32 v3, v1
	v_cmp_o_f16_e32 vcc, v1, v1
	s_and_saveexec_b64 s[0:1], vcc
	s_xor_b64 s[8:9], exec, s[0:1]
	s_cbranch_execz .LBB239_296
; %bb.117:
	s_mov_b32 s0, 0x7f800000
	v_cmp_neq_f32_e64 s[0:1], |v3|, s0
	s_and_saveexec_b64 s[2:3], s[0:1]
	s_xor_b64 s[10:11], exec, s[2:3]
	s_cbranch_execz .LBB239_289
; %bb.118:
	v_max_f32_e64 v1, |v2|, |v2|
	v_max_f32_e64 v5, |v3|, |v3|
	v_max_f32_e32 v1, v5, v1
	s_mov_b32 s0, 0x7ed413cb
	v_cmp_nle_f32_e64 s[0:1], s0, v1
                                        ; implicit-def: $sgpr12_sgpr13
	s_and_saveexec_b64 s[2:3], s[0:1]
	s_xor_b64 s[2:3], exec, s[2:3]
	s_cbranch_execz .LBB239_122
; %bb.119:
	s_mov_b32 s14, 0x1000000
	v_cmp_le_f32_e64 s[12:13], |v3|, s14
	v_cmp_le_f32_e64 s[14:15], |v2|, s14
	s_and_b64 s[28:29], s[12:13], s[14:15]
	s_mov_b64 s[12:13], 0
	s_and_saveexec_b64 s[14:15], s[28:29]
; %bb.120:
	s_mov_b64 s[12:13], exec
	v_pk_mul_f32 v[2:3], v[2:3], 4.0 op_sel_hi:[1,0]
; %bb.121:
	s_or_b64 exec, exec, s[14:15]
.LBB239_122:
	s_andn2_saveexec_b64 s[2:3], s[2:3]
; %bb.123:
	s_mov_b32 s14, 0x3e800000
	v_pk_mul_f32 v[2:3], v[2:3], s[14:15] op_sel_hi:[1,0]
	s_andn2_b64 s[12:13], s[12:13], exec
; %bb.124:
	s_or_b64 exec, exec, s[2:3]
	v_max_f32_e64 v1, |v2|, |v2|
	v_max_f32_e64 v5, |v3|, |v3|
	v_max_f32_e32 v1, v5, v1
	v_cvt_f64_f32_e32 v[6:7], v1
	v_frexp_exp_i32_f64_e32 v5, v[6:7]
	v_sub_u32_e32 v6, 0, v5
	v_ldexp_f32 v7, |v3|, v6
	v_ldexp_f32 v6, |v2|, v6
	v_mul_f32_e32 v6, v6, v6
	v_fmac_f32_e32 v6, v7, v7
	v_sqrt_f32_e32 v6, v6
	s_mov_b32 s2, 0x7f800000
	v_cmp_neq_f32_e64 s[2:3], s2, v1
	v_cmp_le_f32_e32 vcc, 0, v3
	v_ldexp_f32 v5, v6, v5
	v_mov_b32_e32 v6, 0x7f800000
	v_cndmask_b32_e64 v6, v6, v5, s[2:3]
                                        ; implicit-def: $vgpr5
                                        ; implicit-def: $vgpr1
	s_and_saveexec_b64 s[2:3], vcc
	s_xor_b64 s[14:15], exec, s[2:3]
	s_cbranch_execz .LBB239_239
; %bb.125:
	v_add_f32_e32 v1, v3, v6
	v_mul_f32_e32 v1, 0.5, v1
	s_mov_b32 s2, 0xf800000
	v_mul_f32_e32 v3, 0x4f800000, v1
	v_cmp_gt_f32_e32 vcc, s2, v1
	s_nop 1
	v_cndmask_b32_e32 v1, v1, v3, vcc
	v_sqrt_f32_e32 v3, v1
	s_nop 0
	v_add_u32_e32 v5, -1, v3
	v_fma_f32 v6, -v5, v3, v1
	v_cmp_ge_f32_e64 s[2:3], 0, v6
	v_add_u32_e32 v6, 1, v3
	s_nop 0
	v_cndmask_b32_e64 v5, v3, v5, s[2:3]
	v_fma_f32 v3, -v6, v3, v1
	v_cmp_lt_f32_e64 s[2:3], 0, v3
	s_nop 1
	v_cndmask_b32_e64 v3, v5, v6, s[2:3]
	v_mul_f32_e32 v5, 0x37800000, v3
	v_cndmask_b32_e32 v3, v3, v5, vcc
	v_mov_b32_e32 v5, 0x260
	v_cmp_class_f32_e32 vcc, v1, v5
	s_nop 1
	v_cndmask_b32_e32 v1, v3, v1, vcc
	v_add_f32_e32 v3, v1, v1
	v_div_scale_f32 v5, s[2:3], v3, v3, v2
	v_rcp_f32_e32 v6, v5
	s_nop 0
	v_fma_f32 v7, -v5, v6, 1.0
	v_fmac_f32_e32 v6, v7, v6
	v_div_scale_f32 v7, vcc, v2, v3, v2
	v_mul_f32_e32 v8, v7, v6
	v_fma_f32 v9, -v5, v8, v7
	v_fmac_f32_e32 v8, v9, v6
	v_fma_f32 v5, -v5, v8, v7
	v_div_fmas_f32 v5, v5, v6, v8
	v_div_fixup_f32 v5, v5, v3, v2
                                        ; implicit-def: $vgpr6
                                        ; implicit-def: $vgpr2_vgpr3
	s_andn2_saveexec_b64 s[14:15], s[14:15]
	s_cbranch_execz .LBB239_241
	s_branch .LBB239_240
.LBB239_126:
	s_andn2_saveexec_b64 s[18:19], s[18:19]
	s_cbranch_execz .LBB239_128
.LBB239_127:
	v_sub_f32_e32 v1, v5, v9
	v_mul_f32_e32 v1, 0.5, v1
	s_mov_b32 s2, 0xf800000
	v_mul_f32_e32 v3, 0x4f800000, v1
	v_cmp_gt_f32_e32 vcc, s2, v1
	s_nop 1
	v_cndmask_b32_e32 v1, v1, v3, vcc
	v_sqrt_f32_e32 v3, v1
	s_nop 0
	v_add_u32_e32 v5, -1, v3
	v_fma_f32 v7, -v5, v3, v1
	v_cmp_ge_f32_e64 s[2:3], 0, v7
	v_add_u32_e32 v7, 1, v3
	s_nop 0
	v_cndmask_b32_e64 v5, v3, v5, s[2:3]
	v_fma_f32 v3, -v7, v3, v1
	v_cmp_lt_f32_e64 s[2:3], 0, v3
	s_nop 1
	v_cndmask_b32_e64 v3, v5, v7, s[2:3]
	v_mul_f32_e32 v5, 0x37800000, v3
	v_cndmask_b32_e32 v3, v3, v5, vcc
	v_mov_b32_e32 v5, 0x260
	v_cmp_class_f32_e32 vcc, v1, v5
	v_and_b32_e32 v5, 0x7fffffff, v8
	s_nop 0
	v_cndmask_b32_e32 v3, v3, v1, vcc
	v_add_f32_e32 v1, v3, v3
	v_div_scale_f32 v7, s[2:3], v1, v1, v5
	v_rcp_f32_e32 v9, v7
	v_div_scale_f32 v5, vcc, v5, v1, v5
	s_brev_b32 s2, -2
	v_fma_f32 v13, -v7, v9, 1.0
	v_fmac_f32_e32 v9, v13, v9
	v_mul_f32_e32 v13, v5, v9
	v_fma_f32 v15, -v7, v13, v5
	v_fmac_f32_e32 v13, v15, v9
	v_fma_f32 v5, -v7, v13, v5
	v_div_fmas_f32 v5, v5, v9, v13
	v_div_fixup_f32 v1, v5, v1, |v8|
	v_bfi_b32 v3, s2, v3, v8
.LBB239_128:
	s_or_b64 exec, exec, s[18:19]
                                        ; implicit-def: $vgpr8
	s_and_saveexec_b64 s[2:3], s[0:1]
	s_xor_b64 s[0:1], exec, s[2:3]
	s_cbranch_execz .LBB239_130
; %bb.129:
	v_mul_f32_e32 v5, 0.5, v1
	v_mul_f32_e32 v7, 0.5, v3
	v_cndmask_b32_e64 v9, v1, v5, s[16:17]
	v_cndmask_b32_e64 v8, v3, v7, s[16:17]
                                        ; implicit-def: $vgpr1
                                        ; implicit-def: $vgpr3
	s_andn2_saveexec_b64 s[0:1], s[0:1]
	s_cbranch_execnz .LBB239_131
	s_branch .LBB239_132
.LBB239_130:
	s_andn2_saveexec_b64 s[0:1], s[0:1]
.LBB239_131:
	v_add_f32_e32 v9, v1, v1
	v_add_f32_e32 v8, v3, v3
.LBB239_132:
	s_or_b64 exec, exec, s[0:1]
                                        ; implicit-def: $vgpr1
.LBB239_133:
	s_andn2_saveexec_b64 s[0:1], s[14:15]
	s_cbranch_execz .LBB239_139
; %bb.134:
	v_and_b32_e32 v1, 0x8000, v1
	v_cmp_ne_u32_e32 vcc, 0, v1
	v_sub_f32_e32 v1, v8, v8
	s_and_saveexec_b64 s[2:3], vcc
	s_xor_b64 s[2:3], exec, s[2:3]
; %bb.135:
	s_brev_b32 s14, -2
	v_and_b32_e32 v1, 0x7fffffff, v1
	v_bfi_b32 v8, s14, v9, v8
	v_mov_b32_e32 v9, v1
                                        ; implicit-def: $vgpr1
; %bb.136:
	s_andn2_saveexec_b64 s[2:3], s[2:3]
; %bb.137:
	s_brev_b32 s14, -2
	v_bfi_b32 v8, s14, v1, v8
; %bb.138:
	s_or_b64 exec, exec, s[2:3]
.LBB239_139:
	s_or_b64 exec, exec, s[0:1]
.LBB239_140:
	s_andn2_saveexec_b64 s[0:1], s[12:13]
	s_cbranch_execz .LBB239_142
; %bb.141:
	v_sub_f32_e32 v1, v8, v8
	v_div_scale_f32 v3, vcc, v1, v1, v1
	v_rcp_f32_e32 v5, v3
	s_nop 0
	v_fma_f32 v7, -v3, v5, 1.0
	v_fmac_f32_e32 v5, v7, v5
	v_mul_f32_e32 v7, v3, v5
	v_fma_f32 v8, -v3, v7, v3
	v_fmac_f32_e32 v7, v8, v5
	v_fma_f32 v3, -v3, v7, v3
	v_div_fmas_f32 v3, v3, v5, v7
	v_div_fixup_f32 v8, v3, v1, v1
.LBB239_142:
	s_or_b64 exec, exec, s[0:1]
.LBB239_143:
	s_or_b64 exec, exec, s[10:11]
.LBB239_144:
	s_or_b64 exec, exec, s[8:9]
	global_load_dword v1, v10, s[6:7]
	s_waitcnt vmcnt(0)
	v_cvt_f32_f16_sdwa v10, v1 dst_sel:DWORD dst_unused:UNUSED_PAD src0_sel:WORD_1
	v_cmp_neq_f16_e32 vcc, 0, v1
	v_cmp_neq_f16_sdwa s[0:1], v1, v11 src0_sel:WORD_1 src1_sel:DWORD
	s_or_b64 s[0:1], vcc, s[0:1]
	s_and_saveexec_b64 s[8:9], s[0:1]
	s_cbranch_execz .LBB239_174
; %bb.145:
	v_mov_b32_e32 v11, 0x7f800000
	v_cmp_neq_f32_e64 s[0:1], |v10|, v11
	s_and_saveexec_b64 s[10:11], s[0:1]
	s_cbranch_execz .LBB239_173
; %bb.146:
	v_cvt_f32_f16_e32 v11, v1
	v_cmp_o_f16_e32 vcc, v1, v1
	s_and_saveexec_b64 s[0:1], vcc
	s_xor_b64 s[12:13], exec, s[0:1]
	s_cbranch_execz .LBB239_170
; %bb.147:
	s_mov_b32 s0, 0x7f800000
	v_cmp_neq_f32_e64 s[0:1], |v11|, s0
	s_and_saveexec_b64 s[2:3], s[0:1]
	s_xor_b64 s[14:15], exec, s[2:3]
	s_cbranch_execz .LBB239_163
; %bb.148:
	v_max_f32_e64 v1, |v10|, |v10|
	v_max_f32_e64 v3, |v11|, |v11|
	v_max_f32_e32 v1, v3, v1
	s_mov_b32 s0, 0x7ed413cb
	v_cmp_nle_f32_e64 s[0:1], s0, v1
                                        ; implicit-def: $sgpr16_sgpr17
	s_and_saveexec_b64 s[2:3], s[0:1]
	s_xor_b64 s[2:3], exec, s[2:3]
	s_cbranch_execz .LBB239_152
; %bb.149:
	s_mov_b32 s18, 0x1000000
	v_cmp_le_f32_e64 s[16:17], |v11|, s18
	v_cmp_le_f32_e64 s[18:19], |v10|, s18
	s_and_b64 s[20:21], s[16:17], s[18:19]
	s_mov_b64 s[16:17], 0
	s_and_saveexec_b64 s[18:19], s[20:21]
; %bb.150:
	s_mov_b64 s[16:17], exec
	v_pk_mul_f32 v[10:11], v[10:11], 4.0 op_sel_hi:[1,0]
; %bb.151:
	s_or_b64 exec, exec, s[18:19]
.LBB239_152:
	s_andn2_saveexec_b64 s[2:3], s[2:3]
; %bb.153:
	s_mov_b32 s18, 0x3e800000
	v_pk_mul_f32 v[10:11], v[10:11], s[18:19] op_sel_hi:[1,0]
	s_andn2_b64 s[16:17], s[16:17], exec
; %bb.154:
	s_or_b64 exec, exec, s[2:3]
	v_max_f32_e64 v1, |v10|, |v10|
	v_max_f32_e64 v3, |v11|, |v11|
	v_max_f32_e32 v1, v3, v1
	v_cvt_f64_f32_e32 v[16:17], v1
	v_frexp_exp_i32_f64_e32 v3, v[16:17]
	v_sub_u32_e32 v5, 0, v3
	v_ldexp_f32 v7, |v11|, v5
	v_ldexp_f32 v5, |v10|, v5
	v_mul_f32_e32 v5, v5, v5
	v_fmac_f32_e32 v5, v7, v7
	v_sqrt_f32_e32 v5, v5
	s_mov_b32 s2, 0x7f800000
	v_cmp_neq_f32_e64 s[2:3], s2, v1
	v_cmp_le_f32_e32 vcc, 0, v11
	v_ldexp_f32 v3, v5, v3
	v_mov_b32_e32 v5, 0x7f800000
	v_cndmask_b32_e64 v5, v5, v3, s[2:3]
                                        ; implicit-def: $vgpr3
                                        ; implicit-def: $vgpr1
	s_and_saveexec_b64 s[2:3], vcc
	s_xor_b64 s[18:19], exec, s[2:3]
	s_cbranch_execz .LBB239_156
; %bb.155:
	v_add_f32_e32 v1, v11, v5
	v_mul_f32_e32 v1, 0.5, v1
	s_mov_b32 s2, 0xf800000
	v_mul_f32_e32 v3, 0x4f800000, v1
	v_cmp_gt_f32_e32 vcc, s2, v1
	s_nop 1
	v_cndmask_b32_e32 v1, v1, v3, vcc
	v_sqrt_f32_e32 v3, v1
	s_nop 0
	v_add_u32_e32 v5, -1, v3
	v_fma_f32 v7, -v5, v3, v1
	v_cmp_ge_f32_e64 s[2:3], 0, v7
	v_add_u32_e32 v7, 1, v3
	s_nop 0
	v_cndmask_b32_e64 v5, v3, v5, s[2:3]
	v_fma_f32 v3, -v7, v3, v1
	v_cmp_lt_f32_e64 s[2:3], 0, v3
	s_nop 1
	v_cndmask_b32_e64 v3, v5, v7, s[2:3]
	v_mul_f32_e32 v5, 0x37800000, v3
	v_cndmask_b32_e32 v3, v3, v5, vcc
	v_mov_b32_e32 v5, 0x260
	v_cmp_class_f32_e32 vcc, v1, v5
	s_nop 1
	v_cndmask_b32_e32 v1, v3, v1, vcc
	v_add_f32_e32 v3, v1, v1
	v_div_scale_f32 v5, s[2:3], v3, v3, v10
	v_rcp_f32_e32 v7, v5
	s_nop 0
	v_fma_f32 v11, -v5, v7, 1.0
	v_fmac_f32_e32 v7, v11, v7
	v_div_scale_f32 v11, vcc, v10, v3, v10
	v_mul_f32_e32 v13, v11, v7
	v_fma_f32 v15, -v5, v13, v11
	v_fmac_f32_e32 v13, v15, v7
	v_fma_f32 v5, -v5, v13, v11
	v_div_fmas_f32 v5, v5, v7, v13
	v_div_fixup_f32 v3, v5, v3, v10
                                        ; implicit-def: $vgpr5
                                        ; implicit-def: $vgpr10_vgpr11
	s_andn2_saveexec_b64 s[18:19], s[18:19]
	s_cbranch_execz .LBB239_158
	s_branch .LBB239_157
.LBB239_156:
	s_andn2_saveexec_b64 s[18:19], s[18:19]
	s_cbranch_execz .LBB239_158
.LBB239_157:
	v_sub_f32_e32 v1, v5, v11
	v_mul_f32_e32 v1, 0.5, v1
	s_mov_b32 s2, 0xf800000
	v_mul_f32_e32 v3, 0x4f800000, v1
	v_cmp_gt_f32_e32 vcc, s2, v1
	s_nop 1
	v_cndmask_b32_e32 v1, v1, v3, vcc
	v_sqrt_f32_e32 v3, v1
	s_nop 0
	v_add_u32_e32 v5, -1, v3
	v_fma_f32 v7, -v5, v3, v1
	v_cmp_ge_f32_e64 s[2:3], 0, v7
	v_add_u32_e32 v7, 1, v3
	s_nop 0
	v_cndmask_b32_e64 v5, v3, v5, s[2:3]
	v_fma_f32 v3, -v7, v3, v1
	v_cmp_lt_f32_e64 s[2:3], 0, v3
	s_nop 1
	v_cndmask_b32_e64 v3, v5, v7, s[2:3]
	v_mul_f32_e32 v5, 0x37800000, v3
	v_cndmask_b32_e32 v3, v3, v5, vcc
	v_mov_b32_e32 v5, 0x260
	v_cmp_class_f32_e32 vcc, v1, v5
	v_and_b32_e32 v5, 0x7fffffff, v10
	s_nop 0
	v_cndmask_b32_e32 v3, v3, v1, vcc
	v_add_f32_e32 v1, v3, v3
	v_div_scale_f32 v7, s[2:3], v1, v1, v5
	v_rcp_f32_e32 v11, v7
	v_div_scale_f32 v5, vcc, v5, v1, v5
	s_brev_b32 s2, -2
	v_fma_f32 v13, -v7, v11, 1.0
	v_fmac_f32_e32 v11, v13, v11
	v_mul_f32_e32 v13, v5, v11
	v_fma_f32 v15, -v7, v13, v5
	v_fmac_f32_e32 v13, v15, v11
	v_fma_f32 v5, -v7, v13, v5
	v_div_fmas_f32 v5, v5, v11, v13
	v_div_fixup_f32 v1, v5, v1, |v10|
	v_bfi_b32 v3, s2, v3, v10
.LBB239_158:
	s_or_b64 exec, exec, s[18:19]
                                        ; implicit-def: $vgpr10
	s_and_saveexec_b64 s[2:3], s[0:1]
	s_xor_b64 s[0:1], exec, s[2:3]
	s_cbranch_execz .LBB239_160
; %bb.159:
	v_mul_f32_e32 v5, 0.5, v1
	v_mul_f32_e32 v7, 0.5, v3
	v_cndmask_b32_e64 v11, v1, v5, s[16:17]
	v_cndmask_b32_e64 v10, v3, v7, s[16:17]
                                        ; implicit-def: $vgpr1
                                        ; implicit-def: $vgpr3
	s_andn2_saveexec_b64 s[0:1], s[0:1]
	s_cbranch_execnz .LBB239_161
	s_branch .LBB239_162
.LBB239_160:
	s_andn2_saveexec_b64 s[0:1], s[0:1]
.LBB239_161:
	v_add_f32_e32 v11, v1, v1
	v_add_f32_e32 v10, v3, v3
.LBB239_162:
	s_or_b64 exec, exec, s[0:1]
                                        ; implicit-def: $vgpr1
.LBB239_163:
	s_andn2_saveexec_b64 s[0:1], s[14:15]
	s_cbranch_execz .LBB239_169
; %bb.164:
	v_and_b32_e32 v1, 0x8000, v1
	v_cmp_ne_u32_e32 vcc, 0, v1
	v_sub_f32_e32 v1, v10, v10
	s_and_saveexec_b64 s[2:3], vcc
	s_xor_b64 s[2:3], exec, s[2:3]
; %bb.165:
	s_brev_b32 s14, -2
	v_and_b32_e32 v1, 0x7fffffff, v1
	v_bfi_b32 v10, s14, v11, v10
	v_mov_b32_e32 v11, v1
                                        ; implicit-def: $vgpr1
; %bb.166:
	s_andn2_saveexec_b64 s[2:3], s[2:3]
; %bb.167:
	s_brev_b32 s14, -2
	v_bfi_b32 v10, s14, v1, v10
; %bb.168:
	s_or_b64 exec, exec, s[2:3]
.LBB239_169:
	s_or_b64 exec, exec, s[0:1]
.LBB239_170:
	s_andn2_saveexec_b64 s[0:1], s[12:13]
	s_cbranch_execz .LBB239_172
; %bb.171:
	v_sub_f32_e32 v1, v10, v10
	v_div_scale_f32 v3, vcc, v1, v1, v1
	v_rcp_f32_e32 v5, v3
	s_nop 0
	v_fma_f32 v7, -v3, v5, 1.0
	v_fmac_f32_e32 v5, v7, v5
	v_mul_f32_e32 v7, v3, v5
	v_fma_f32 v10, -v3, v7, v3
	v_fmac_f32_e32 v7, v10, v5
	v_fma_f32 v3, -v3, v7, v3
	v_div_fmas_f32 v3, v3, v5, v7
	v_div_fixup_f32 v10, v3, v1, v1
.LBB239_172:
	s_or_b64 exec, exec, s[0:1]
.LBB239_173:
	s_or_b64 exec, exec, s[10:11]
.LBB239_174:
	s_or_b64 exec, exec, s[8:9]
	global_load_dword v1, v14, s[6:7]
	v_mov_b32_e32 v13, 0
	v_mov_b32_e32 v15, 0
	s_waitcnt vmcnt(0)
	v_cvt_f32_f16_sdwa v14, v1 dst_sel:DWORD dst_unused:UNUSED_PAD src0_sel:WORD_1
	v_cmp_neq_f16_e32 vcc, 0, v1
	v_cmp_neq_f16_sdwa s[0:1], v1, v13 src0_sel:WORD_1 src1_sel:DWORD
	s_or_b64 s[0:1], vcc, s[0:1]
	s_and_saveexec_b64 s[8:9], s[0:1]
	s_cbranch_execz .LBB239_204
; %bb.175:
	v_mov_b32_e32 v15, 0x7f800000
	v_cmp_neq_f32_e64 s[0:1], |v14|, v15
	s_and_saveexec_b64 s[10:11], s[0:1]
	s_cbranch_execz .LBB239_203
; %bb.176:
	v_cvt_f32_f16_e32 v15, v1
	v_cmp_o_f16_e32 vcc, v1, v1
	s_and_saveexec_b64 s[0:1], vcc
	s_xor_b64 s[12:13], exec, s[0:1]
	s_cbranch_execz .LBB239_200
; %bb.177:
	s_mov_b32 s0, 0x7f800000
	v_cmp_neq_f32_e64 s[0:1], |v15|, s0
	s_and_saveexec_b64 s[2:3], s[0:1]
	s_xor_b64 s[14:15], exec, s[2:3]
	s_cbranch_execz .LBB239_193
; %bb.178:
	v_max_f32_e64 v1, |v14|, |v14|
	v_max_f32_e64 v3, |v15|, |v15|
	v_max_f32_e32 v1, v3, v1
	s_mov_b32 s0, 0x7ed413cb
	v_cmp_nle_f32_e64 s[0:1], s0, v1
                                        ; implicit-def: $sgpr16_sgpr17
	s_and_saveexec_b64 s[2:3], s[0:1]
	s_xor_b64 s[2:3], exec, s[2:3]
	s_cbranch_execz .LBB239_182
; %bb.179:
	s_mov_b32 s18, 0x1000000
	v_cmp_le_f32_e64 s[16:17], |v15|, s18
	v_cmp_le_f32_e64 s[18:19], |v14|, s18
	s_and_b64 s[20:21], s[16:17], s[18:19]
	s_mov_b64 s[16:17], 0
	s_and_saveexec_b64 s[18:19], s[20:21]
; %bb.180:
	s_mov_b64 s[16:17], exec
	v_pk_mul_f32 v[14:15], v[14:15], 4.0 op_sel_hi:[1,0]
; %bb.181:
	s_or_b64 exec, exec, s[18:19]
.LBB239_182:
	s_andn2_saveexec_b64 s[2:3], s[2:3]
; %bb.183:
	s_mov_b32 s18, 0x3e800000
	v_pk_mul_f32 v[14:15], v[14:15], s[18:19] op_sel_hi:[1,0]
	s_andn2_b64 s[16:17], s[16:17], exec
; %bb.184:
	s_or_b64 exec, exec, s[2:3]
	v_max_f32_e64 v1, |v14|, |v14|
	v_max_f32_e64 v3, |v15|, |v15|
	v_max_f32_e32 v1, v3, v1
	v_cvt_f64_f32_e32 v[16:17], v1
	v_frexp_exp_i32_f64_e32 v3, v[16:17]
	v_sub_u32_e32 v5, 0, v3
	v_ldexp_f32 v7, |v15|, v5
	v_ldexp_f32 v5, |v14|, v5
	v_mul_f32_e32 v5, v5, v5
	v_fmac_f32_e32 v5, v7, v7
	v_sqrt_f32_e32 v5, v5
	s_mov_b32 s2, 0x7f800000
	v_cmp_neq_f32_e64 s[2:3], s2, v1
	v_cmp_le_f32_e32 vcc, 0, v15
	v_ldexp_f32 v3, v5, v3
	v_mov_b32_e32 v5, 0x7f800000
	v_cndmask_b32_e64 v5, v5, v3, s[2:3]
                                        ; implicit-def: $vgpr3
                                        ; implicit-def: $vgpr1
	s_and_saveexec_b64 s[2:3], vcc
	s_xor_b64 s[18:19], exec, s[2:3]
	s_cbranch_execz .LBB239_186
; %bb.185:
	v_add_f32_e32 v1, v15, v5
	v_mul_f32_e32 v1, 0.5, v1
	s_mov_b32 s2, 0xf800000
	v_mul_f32_e32 v3, 0x4f800000, v1
	v_cmp_gt_f32_e32 vcc, s2, v1
	s_nop 1
	v_cndmask_b32_e32 v1, v1, v3, vcc
	v_sqrt_f32_e32 v3, v1
	s_nop 0
	v_add_u32_e32 v5, -1, v3
	v_fma_f32 v7, -v5, v3, v1
	v_cmp_ge_f32_e64 s[2:3], 0, v7
	v_add_u32_e32 v7, 1, v3
	s_nop 0
	v_cndmask_b32_e64 v5, v3, v5, s[2:3]
	v_fma_f32 v3, -v7, v3, v1
	v_cmp_lt_f32_e64 s[2:3], 0, v3
	s_nop 1
	v_cndmask_b32_e64 v3, v5, v7, s[2:3]
	v_mul_f32_e32 v5, 0x37800000, v3
	v_cndmask_b32_e32 v3, v3, v5, vcc
	v_mov_b32_e32 v5, 0x260
	v_cmp_class_f32_e32 vcc, v1, v5
	s_nop 1
	v_cndmask_b32_e32 v1, v3, v1, vcc
	v_add_f32_e32 v3, v1, v1
	v_div_scale_f32 v5, s[2:3], v3, v3, v14
	v_rcp_f32_e32 v7, v5
	s_nop 0
	v_fma_f32 v15, -v5, v7, 1.0
	v_fmac_f32_e32 v7, v15, v7
	v_div_scale_f32 v15, vcc, v14, v3, v14
	v_mul_f32_e32 v16, v15, v7
	v_fma_f32 v17, -v5, v16, v15
	v_fmac_f32_e32 v16, v17, v7
	v_fma_f32 v5, -v5, v16, v15
	v_div_fmas_f32 v5, v5, v7, v16
	v_div_fixup_f32 v3, v5, v3, v14
                                        ; implicit-def: $vgpr5
                                        ; implicit-def: $vgpr14_vgpr15
	s_andn2_saveexec_b64 s[18:19], s[18:19]
	s_cbranch_execz .LBB239_188
	s_branch .LBB239_187
.LBB239_186:
	s_andn2_saveexec_b64 s[18:19], s[18:19]
	s_cbranch_execz .LBB239_188
.LBB239_187:
	v_sub_f32_e32 v1, v5, v15
	v_mul_f32_e32 v1, 0.5, v1
	s_mov_b32 s2, 0xf800000
	v_mul_f32_e32 v3, 0x4f800000, v1
	v_cmp_gt_f32_e32 vcc, s2, v1
	s_nop 1
	v_cndmask_b32_e32 v1, v1, v3, vcc
	v_sqrt_f32_e32 v3, v1
	s_nop 0
	v_add_u32_e32 v5, -1, v3
	v_fma_f32 v7, -v5, v3, v1
	v_cmp_ge_f32_e64 s[2:3], 0, v7
	v_add_u32_e32 v7, 1, v3
	s_nop 0
	v_cndmask_b32_e64 v5, v3, v5, s[2:3]
	v_fma_f32 v3, -v7, v3, v1
	v_cmp_lt_f32_e64 s[2:3], 0, v3
	s_nop 1
	v_cndmask_b32_e64 v3, v5, v7, s[2:3]
	v_mul_f32_e32 v5, 0x37800000, v3
	v_cndmask_b32_e32 v3, v3, v5, vcc
	v_mov_b32_e32 v5, 0x260
	v_cmp_class_f32_e32 vcc, v1, v5
	v_and_b32_e32 v5, 0x7fffffff, v14
	s_nop 0
	v_cndmask_b32_e32 v3, v3, v1, vcc
	v_add_f32_e32 v1, v3, v3
	v_div_scale_f32 v7, s[2:3], v1, v1, v5
	v_rcp_f32_e32 v15, v7
	v_div_scale_f32 v5, vcc, v5, v1, v5
	s_brev_b32 s2, -2
	v_fma_f32 v16, -v7, v15, 1.0
	v_fmac_f32_e32 v15, v16, v15
	v_mul_f32_e32 v16, v5, v15
	v_fma_f32 v17, -v7, v16, v5
	v_fmac_f32_e32 v16, v17, v15
	v_fma_f32 v5, -v7, v16, v5
	v_div_fmas_f32 v5, v5, v15, v16
	v_div_fixup_f32 v1, v5, v1, |v14|
	v_bfi_b32 v3, s2, v3, v14
.LBB239_188:
	s_or_b64 exec, exec, s[18:19]
                                        ; implicit-def: $vgpr14
	s_and_saveexec_b64 s[2:3], s[0:1]
	s_xor_b64 s[0:1], exec, s[2:3]
	s_cbranch_execz .LBB239_190
; %bb.189:
	v_mul_f32_e32 v5, 0.5, v1
	v_mul_f32_e32 v7, 0.5, v3
	v_cndmask_b32_e64 v15, v1, v5, s[16:17]
	v_cndmask_b32_e64 v14, v3, v7, s[16:17]
                                        ; implicit-def: $vgpr1
                                        ; implicit-def: $vgpr3
	s_andn2_saveexec_b64 s[0:1], s[0:1]
	s_cbranch_execnz .LBB239_191
	s_branch .LBB239_192
.LBB239_190:
	s_andn2_saveexec_b64 s[0:1], s[0:1]
.LBB239_191:
	v_add_f32_e32 v15, v1, v1
	v_add_f32_e32 v14, v3, v3
.LBB239_192:
	s_or_b64 exec, exec, s[0:1]
                                        ; implicit-def: $vgpr1
.LBB239_193:
	s_andn2_saveexec_b64 s[0:1], s[14:15]
	s_cbranch_execz .LBB239_199
; %bb.194:
	v_and_b32_e32 v1, 0x8000, v1
	v_cmp_ne_u32_e32 vcc, 0, v1
	v_sub_f32_e32 v1, v14, v14
	s_and_saveexec_b64 s[2:3], vcc
	s_xor_b64 s[2:3], exec, s[2:3]
; %bb.195:
	s_brev_b32 s14, -2
	v_and_b32_e32 v1, 0x7fffffff, v1
	v_bfi_b32 v14, s14, v15, v14
	v_mov_b32_e32 v15, v1
                                        ; implicit-def: $vgpr1
; %bb.196:
	s_andn2_saveexec_b64 s[2:3], s[2:3]
; %bb.197:
	s_brev_b32 s14, -2
	v_bfi_b32 v14, s14, v1, v14
; %bb.198:
	s_or_b64 exec, exec, s[2:3]
.LBB239_199:
	s_or_b64 exec, exec, s[0:1]
.LBB239_200:
	s_andn2_saveexec_b64 s[0:1], s[12:13]
	s_cbranch_execz .LBB239_202
; %bb.201:
	v_sub_f32_e32 v1, v14, v14
	v_div_scale_f32 v3, vcc, v1, v1, v1
	v_rcp_f32_e32 v5, v3
	s_nop 0
	v_fma_f32 v7, -v3, v5, 1.0
	v_fmac_f32_e32 v5, v7, v5
	v_mul_f32_e32 v7, v3, v5
	v_fma_f32 v14, -v3, v7, v3
	v_fmac_f32_e32 v7, v14, v5
	v_fma_f32 v3, -v3, v7, v3
	v_div_fmas_f32 v3, v3, v5, v7
	v_div_fixup_f32 v14, v3, v1, v1
.LBB239_202:
	s_or_b64 exec, exec, s[0:1]
.LBB239_203:
	s_or_b64 exec, exec, s[10:11]
.LBB239_204:
	s_or_b64 exec, exec, s[8:9]
	global_load_dword v1, v12, s[6:7]
	s_waitcnt vmcnt(0)
	v_cvt_f32_f16_sdwa v12, v1 dst_sel:DWORD dst_unused:UNUSED_PAD src0_sel:WORD_1
	v_cmp_neq_f16_e32 vcc, 0, v1
	v_cmp_neq_f16_sdwa s[0:1], v1, v13 src0_sel:WORD_1 src1_sel:DWORD
	s_or_b64 s[0:1], vcc, s[0:1]
	s_and_saveexec_b64 s[6:7], s[0:1]
	s_cbranch_execz .LBB239_234
; %bb.205:
	v_mov_b32_e32 v13, 0x7f800000
	v_cmp_neq_f32_e64 s[0:1], |v12|, v13
	s_and_saveexec_b64 s[8:9], s[0:1]
	s_cbranch_execz .LBB239_233
; %bb.206:
	v_cvt_f32_f16_e32 v13, v1
	v_cmp_o_f16_e32 vcc, v1, v1
	s_and_saveexec_b64 s[0:1], vcc
	s_xor_b64 s[10:11], exec, s[0:1]
	s_cbranch_execz .LBB239_230
; %bb.207:
	s_mov_b32 s0, 0x7f800000
	v_cmp_neq_f32_e64 s[0:1], |v13|, s0
	s_and_saveexec_b64 s[2:3], s[0:1]
	s_xor_b64 s[12:13], exec, s[2:3]
	s_cbranch_execz .LBB239_223
; %bb.208:
	v_max_f32_e64 v1, |v12|, |v12|
	v_max_f32_e64 v3, |v13|, |v13|
	v_max_f32_e32 v1, v3, v1
	s_mov_b32 s0, 0x7ed413cb
	v_cmp_nle_f32_e64 s[0:1], s0, v1
                                        ; implicit-def: $sgpr14_sgpr15
	s_and_saveexec_b64 s[2:3], s[0:1]
	s_xor_b64 s[2:3], exec, s[2:3]
	s_cbranch_execz .LBB239_212
; %bb.209:
	s_mov_b32 s16, 0x1000000
	v_cmp_le_f32_e64 s[14:15], |v13|, s16
	v_cmp_le_f32_e64 s[16:17], |v12|, s16
	s_and_b64 s[18:19], s[14:15], s[16:17]
	s_mov_b64 s[14:15], 0
	s_and_saveexec_b64 s[16:17], s[18:19]
; %bb.210:
	s_mov_b64 s[14:15], exec
	v_pk_mul_f32 v[12:13], v[12:13], 4.0 op_sel_hi:[1,0]
; %bb.211:
	s_or_b64 exec, exec, s[16:17]
.LBB239_212:
	s_andn2_saveexec_b64 s[2:3], s[2:3]
; %bb.213:
	s_mov_b32 s16, 0x3e800000
	v_pk_mul_f32 v[12:13], v[12:13], s[16:17] op_sel_hi:[1,0]
	s_andn2_b64 s[14:15], s[14:15], exec
; %bb.214:
	s_or_b64 exec, exec, s[2:3]
	v_max_f32_e64 v1, |v12|, |v12|
	v_max_f32_e64 v3, |v13|, |v13|
	v_max_f32_e32 v1, v3, v1
	v_cvt_f64_f32_e32 v[16:17], v1
	v_frexp_exp_i32_f64_e32 v3, v[16:17]
	v_sub_u32_e32 v5, 0, v3
	v_ldexp_f32 v7, |v13|, v5
	v_ldexp_f32 v5, |v12|, v5
	v_mul_f32_e32 v5, v5, v5
	v_fmac_f32_e32 v5, v7, v7
	v_sqrt_f32_e32 v5, v5
	s_mov_b32 s2, 0x7f800000
	v_cmp_neq_f32_e64 s[2:3], s2, v1
	v_cmp_le_f32_e32 vcc, 0, v13
	v_ldexp_f32 v3, v5, v3
	v_mov_b32_e32 v5, 0x7f800000
	v_cndmask_b32_e64 v5, v5, v3, s[2:3]
                                        ; implicit-def: $vgpr3
                                        ; implicit-def: $vgpr1
	s_and_saveexec_b64 s[2:3], vcc
	s_xor_b64 s[16:17], exec, s[2:3]
	s_cbranch_execz .LBB239_216
; %bb.215:
	v_add_f32_e32 v1, v13, v5
	v_mul_f32_e32 v1, 0.5, v1
	s_mov_b32 s2, 0xf800000
	v_mul_f32_e32 v3, 0x4f800000, v1
	v_cmp_gt_f32_e32 vcc, s2, v1
	s_nop 1
	v_cndmask_b32_e32 v1, v1, v3, vcc
	v_sqrt_f32_e32 v3, v1
	s_nop 0
	v_add_u32_e32 v5, -1, v3
	v_fma_f32 v7, -v5, v3, v1
	v_cmp_ge_f32_e64 s[2:3], 0, v7
	v_add_u32_e32 v7, 1, v3
	s_nop 0
	v_cndmask_b32_e64 v5, v3, v5, s[2:3]
	v_fma_f32 v3, -v7, v3, v1
	v_cmp_lt_f32_e64 s[2:3], 0, v3
	s_nop 1
	v_cndmask_b32_e64 v3, v5, v7, s[2:3]
	v_mul_f32_e32 v5, 0x37800000, v3
	v_cndmask_b32_e32 v3, v3, v5, vcc
	v_mov_b32_e32 v5, 0x260
	v_cmp_class_f32_e32 vcc, v1, v5
	s_nop 1
	v_cndmask_b32_e32 v1, v3, v1, vcc
	v_add_f32_e32 v3, v1, v1
	v_div_scale_f32 v5, s[2:3], v3, v3, v12
	v_rcp_f32_e32 v7, v5
	s_nop 0
	v_fma_f32 v13, -v5, v7, 1.0
	v_fmac_f32_e32 v7, v13, v7
	v_div_scale_f32 v13, vcc, v12, v3, v12
	v_mul_f32_e32 v16, v13, v7
	v_fma_f32 v17, -v5, v16, v13
	v_fmac_f32_e32 v16, v17, v7
	v_fma_f32 v5, -v5, v16, v13
	v_div_fmas_f32 v5, v5, v7, v16
	v_div_fixup_f32 v3, v5, v3, v12
                                        ; implicit-def: $vgpr5
                                        ; implicit-def: $vgpr12_vgpr13
	s_andn2_saveexec_b64 s[16:17], s[16:17]
	s_cbranch_execz .LBB239_218
	s_branch .LBB239_217
.LBB239_216:
	s_andn2_saveexec_b64 s[16:17], s[16:17]
	s_cbranch_execz .LBB239_218
.LBB239_217:
	v_sub_f32_e32 v1, v5, v13
	v_mul_f32_e32 v1, 0.5, v1
	s_mov_b32 s2, 0xf800000
	v_mul_f32_e32 v3, 0x4f800000, v1
	v_cmp_gt_f32_e32 vcc, s2, v1
	s_nop 1
	v_cndmask_b32_e32 v1, v1, v3, vcc
	v_sqrt_f32_e32 v3, v1
	s_nop 0
	v_add_u32_e32 v5, -1, v3
	v_fma_f32 v7, -v5, v3, v1
	v_cmp_ge_f32_e64 s[2:3], 0, v7
	v_add_u32_e32 v7, 1, v3
	s_nop 0
	v_cndmask_b32_e64 v5, v3, v5, s[2:3]
	v_fma_f32 v3, -v7, v3, v1
	v_cmp_lt_f32_e64 s[2:3], 0, v3
	s_nop 1
	v_cndmask_b32_e64 v3, v5, v7, s[2:3]
	v_mul_f32_e32 v5, 0x37800000, v3
	v_cndmask_b32_e32 v3, v3, v5, vcc
	v_mov_b32_e32 v5, 0x260
	v_cmp_class_f32_e32 vcc, v1, v5
	v_and_b32_e32 v5, 0x7fffffff, v12
	s_nop 0
	v_cndmask_b32_e32 v3, v3, v1, vcc
	v_add_f32_e32 v1, v3, v3
	v_div_scale_f32 v7, s[2:3], v1, v1, v5
	v_rcp_f32_e32 v13, v7
	v_div_scale_f32 v5, vcc, v5, v1, v5
	s_brev_b32 s2, -2
	v_fma_f32 v16, -v7, v13, 1.0
	v_fmac_f32_e32 v13, v16, v13
	v_mul_f32_e32 v16, v5, v13
	v_fma_f32 v17, -v7, v16, v5
	v_fmac_f32_e32 v16, v17, v13
	v_fma_f32 v5, -v7, v16, v5
	v_div_fmas_f32 v5, v5, v13, v16
	v_div_fixup_f32 v1, v5, v1, |v12|
	v_bfi_b32 v3, s2, v3, v12
.LBB239_218:
	s_or_b64 exec, exec, s[16:17]
                                        ; implicit-def: $vgpr12
	s_and_saveexec_b64 s[2:3], s[0:1]
	s_xor_b64 s[0:1], exec, s[2:3]
	s_cbranch_execz .LBB239_220
; %bb.219:
	v_mul_f32_e32 v5, 0.5, v1
	v_mul_f32_e32 v7, 0.5, v3
	v_cndmask_b32_e64 v13, v1, v5, s[14:15]
	v_cndmask_b32_e64 v12, v3, v7, s[14:15]
                                        ; implicit-def: $vgpr1
                                        ; implicit-def: $vgpr3
	s_andn2_saveexec_b64 s[0:1], s[0:1]
	s_cbranch_execnz .LBB239_221
	s_branch .LBB239_222
.LBB239_220:
	s_andn2_saveexec_b64 s[0:1], s[0:1]
.LBB239_221:
	v_add_f32_e32 v13, v1, v1
	v_add_f32_e32 v12, v3, v3
.LBB239_222:
	s_or_b64 exec, exec, s[0:1]
                                        ; implicit-def: $vgpr1
.LBB239_223:
	s_andn2_saveexec_b64 s[0:1], s[12:13]
	s_cbranch_execz .LBB239_229
; %bb.224:
	v_and_b32_e32 v1, 0x8000, v1
	v_cmp_ne_u32_e32 vcc, 0, v1
	v_sub_f32_e32 v1, v12, v12
	s_and_saveexec_b64 s[2:3], vcc
	s_xor_b64 s[2:3], exec, s[2:3]
; %bb.225:
	s_brev_b32 s12, -2
	v_and_b32_e32 v1, 0x7fffffff, v1
	v_bfi_b32 v12, s12, v13, v12
	v_mov_b32_e32 v13, v1
                                        ; implicit-def: $vgpr1
; %bb.226:
	s_andn2_saveexec_b64 s[2:3], s[2:3]
; %bb.227:
	s_brev_b32 s12, -2
	v_bfi_b32 v12, s12, v1, v12
; %bb.228:
	s_or_b64 exec, exec, s[2:3]
.LBB239_229:
	s_or_b64 exec, exec, s[0:1]
.LBB239_230:
	s_andn2_saveexec_b64 s[0:1], s[10:11]
	s_cbranch_execz .LBB239_232
; %bb.231:
	v_sub_f32_e32 v1, v12, v12
	v_div_scale_f32 v3, vcc, v1, v1, v1
	v_rcp_f32_e32 v5, v3
	s_nop 0
	v_fma_f32 v7, -v3, v5, 1.0
	v_fmac_f32_e32 v5, v7, v5
	v_mul_f32_e32 v7, v3, v5
	v_fma_f32 v12, -v3, v7, v3
	v_fmac_f32_e32 v7, v12, v5
	v_fma_f32 v3, -v3, v7, v3
	v_div_fmas_f32 v3, v3, v5, v7
	v_div_fixup_f32 v12, v3, v1, v1
.LBB239_232:
	s_or_b64 exec, exec, s[0:1]
.LBB239_233:
	s_or_b64 exec, exec, s[8:9]
.LBB239_234:
	s_or_b64 exec, exec, s[6:7]
	v_cvt_f16_f32_e32 v1, v15
	v_cvt_f16_f32_sdwa v3, v14 dst_sel:WORD_1 dst_unused:UNUSED_PAD src0_sel:DWORD
	v_cvt_f16_f32_e32 v5, v11
	v_cvt_f16_f32_sdwa v7, v10 dst_sel:WORD_1 dst_unused:UNUSED_PAD src0_sel:DWORD
	;; [unrolled: 2-line block ×4, first 2 shown]
	v_or_b32_e32 v1, v3, v1
	v_or_b32_e32 v3, v7, v5
	;; [unrolled: 1-line block ×4, first 2 shown]
	global_store_dword v0, v5, s[4:5]
	global_store_dword v2, v3, s[4:5]
	global_store_dword v4, v1, s[4:5]
	global_store_dword v6, v7, s[4:5]
	s_endpgm
.LBB239_235:
	s_andn2_saveexec_b64 s[14:15], s[14:15]
	s_cbranch_execz .LBB239_237
.LBB239_236:
	v_sub_f32_e32 v1, v6, v3
	v_mul_f32_e32 v1, 0.5, v1
	s_mov_b32 s2, 0xf800000
	v_mul_f32_e32 v3, 0x4f800000, v1
	v_cmp_gt_f32_e32 vcc, s2, v1
	s_nop 1
	v_cndmask_b32_e32 v1, v1, v3, vcc
	v_sqrt_f32_e32 v3, v1
	s_nop 0
	v_add_u32_e32 v5, -1, v3
	v_fma_f32 v6, -v5, v3, v1
	v_cmp_ge_f32_e64 s[2:3], 0, v6
	v_add_u32_e32 v6, 1, v3
	s_nop 0
	v_cndmask_b32_e64 v5, v3, v5, s[2:3]
	v_fma_f32 v3, -v6, v3, v1
	v_cmp_lt_f32_e64 s[2:3], 0, v3
	s_nop 1
	v_cndmask_b32_e64 v3, v5, v6, s[2:3]
	v_mul_f32_e32 v5, 0x37800000, v3
	v_cndmask_b32_e32 v3, v3, v5, vcc
	v_mov_b32_e32 v5, 0x260
	v_cmp_class_f32_e32 vcc, v1, v5
	v_and_b32_e32 v5, 0x7fffffff, v2
	s_nop 0
	v_cndmask_b32_e32 v3, v3, v1, vcc
	v_add_f32_e32 v1, v3, v3
	v_div_scale_f32 v6, s[2:3], v1, v1, v5
	v_rcp_f32_e32 v7, v6
	v_div_scale_f32 v5, vcc, v5, v1, v5
	s_brev_b32 s2, -2
	v_fma_f32 v8, -v6, v7, 1.0
	v_fmac_f32_e32 v7, v8, v7
	v_mul_f32_e32 v8, v5, v7
	v_fma_f32 v9, -v6, v8, v5
	v_fmac_f32_e32 v8, v9, v7
	v_fma_f32 v5, -v6, v8, v5
	v_div_fmas_f32 v5, v5, v7, v8
	v_div_fixup_f32 v1, v5, v1, |v2|
	v_bfi_b32 v5, s2, v3, v2
.LBB239_237:
	s_or_b64 exec, exec, s[14:15]
                                        ; implicit-def: $vgpr2
	s_and_saveexec_b64 s[2:3], s[0:1]
	s_xor_b64 s[0:1], exec, s[2:3]
	s_cbranch_execz .LBB239_243
; %bb.238:
	v_mul_f32_e32 v2, 0.5, v1
	v_mul_f32_e32 v6, 0.5, v5
	v_cndmask_b32_e64 v3, v1, v2, s[12:13]
	v_cndmask_b32_e64 v2, v5, v6, s[12:13]
                                        ; implicit-def: $vgpr1
                                        ; implicit-def: $vgpr5
	s_andn2_saveexec_b64 s[0:1], s[0:1]
	s_cbranch_execnz .LBB239_244
	s_branch .LBB239_245
.LBB239_239:
	s_andn2_saveexec_b64 s[14:15], s[14:15]
	s_cbranch_execz .LBB239_241
.LBB239_240:
	v_sub_f32_e32 v1, v6, v3
	v_mul_f32_e32 v1, 0.5, v1
	s_mov_b32 s2, 0xf800000
	v_mul_f32_e32 v3, 0x4f800000, v1
	v_cmp_gt_f32_e32 vcc, s2, v1
	s_nop 1
	v_cndmask_b32_e32 v1, v1, v3, vcc
	v_sqrt_f32_e32 v3, v1
	s_nop 0
	v_add_u32_e32 v5, -1, v3
	v_fma_f32 v6, -v5, v3, v1
	v_cmp_ge_f32_e64 s[2:3], 0, v6
	v_add_u32_e32 v6, 1, v3
	s_nop 0
	v_cndmask_b32_e64 v5, v3, v5, s[2:3]
	v_fma_f32 v3, -v6, v3, v1
	v_cmp_lt_f32_e64 s[2:3], 0, v3
	s_nop 1
	v_cndmask_b32_e64 v3, v5, v6, s[2:3]
	v_mul_f32_e32 v5, 0x37800000, v3
	v_cndmask_b32_e32 v3, v3, v5, vcc
	v_mov_b32_e32 v5, 0x260
	v_cmp_class_f32_e32 vcc, v1, v5
	v_and_b32_e32 v5, 0x7fffffff, v2
	s_nop 0
	v_cndmask_b32_e32 v3, v3, v1, vcc
	v_add_f32_e32 v1, v3, v3
	v_div_scale_f32 v6, s[2:3], v1, v1, v5
	v_rcp_f32_e32 v7, v6
	v_div_scale_f32 v5, vcc, v5, v1, v5
	s_brev_b32 s2, -2
	v_fma_f32 v8, -v6, v7, 1.0
	v_fmac_f32_e32 v7, v8, v7
	v_mul_f32_e32 v8, v5, v7
	v_fma_f32 v9, -v6, v8, v5
	v_fmac_f32_e32 v8, v9, v7
	v_fma_f32 v5, -v6, v8, v5
	v_div_fmas_f32 v5, v5, v7, v8
	v_div_fixup_f32 v1, v5, v1, |v2|
	v_bfi_b32 v5, s2, v3, v2
.LBB239_241:
	s_or_b64 exec, exec, s[14:15]
                                        ; implicit-def: $vgpr2
	s_and_saveexec_b64 s[2:3], s[0:1]
	s_xor_b64 s[0:1], exec, s[2:3]
	s_cbranch_execz .LBB239_286
; %bb.242:
	v_mul_f32_e32 v2, 0.5, v1
	v_mul_f32_e32 v6, 0.5, v5
	v_cndmask_b32_e64 v3, v1, v2, s[12:13]
	v_cndmask_b32_e64 v2, v5, v6, s[12:13]
                                        ; implicit-def: $vgpr1
                                        ; implicit-def: $vgpr5
	s_andn2_saveexec_b64 s[0:1], s[0:1]
	s_cbranch_execnz .LBB239_287
	s_branch .LBB239_288
.LBB239_243:
	s_andn2_saveexec_b64 s[0:1], s[0:1]
.LBB239_244:
	v_add_f32_e32 v3, v1, v1
	v_add_f32_e32 v2, v5, v5
.LBB239_245:
	s_or_b64 exec, exec, s[0:1]
                                        ; implicit-def: $vgpr1
.LBB239_246:
	s_andn2_saveexec_b64 s[0:1], s[10:11]
	s_cbranch_execz .LBB239_252
; %bb.247:
	v_and_b32_e32 v1, 0x8000, v1
	v_cmp_ne_u32_e32 vcc, 0, v1
	v_sub_f32_e32 v1, v2, v2
	s_and_saveexec_b64 s[2:3], vcc
	s_xor_b64 s[2:3], exec, s[2:3]
; %bb.248:
	s_brev_b32 s10, -2
	v_and_b32_e32 v1, 0x7fffffff, v1
	v_bfi_b32 v2, s10, v3, v2
	v_mov_b32_e32 v3, v1
                                        ; implicit-def: $vgpr1
; %bb.249:
	s_andn2_saveexec_b64 s[2:3], s[2:3]
; %bb.250:
	s_brev_b32 s10, -2
	v_bfi_b32 v2, s10, v1, v2
; %bb.251:
	s_or_b64 exec, exec, s[2:3]
.LBB239_252:
	s_or_b64 exec, exec, s[0:1]
.LBB239_253:
	s_andn2_saveexec_b64 s[0:1], s[8:9]
	s_cbranch_execz .LBB239_255
; %bb.254:
	v_sub_f32_e32 v1, v2, v2
	v_div_scale_f32 v2, vcc, v1, v1, v1
	v_rcp_f32_e32 v5, v2
	s_nop 0
	v_fma_f32 v6, -v2, v5, 1.0
	v_fmac_f32_e32 v5, v6, v5
	v_mul_f32_e32 v6, v2, v5
	v_fma_f32 v7, -v2, v6, v2
	v_fmac_f32_e32 v6, v7, v5
	v_fma_f32 v2, -v2, v6, v2
	v_div_fmas_f32 v2, v2, v5, v6
	v_div_fixup_f32 v2, v2, v1, v1
.LBB239_255:
	s_or_b64 exec, exec, s[0:1]
.LBB239_256:
	s_or_b64 exec, exec, s[6:7]
.LBB239_257:
	s_or_b64 exec, exec, s[4:5]
	v_cvt_f16_f32_e32 v1, v3
	v_cvt_f16_f32_sdwa v2, v2 dst_sel:WORD_1 dst_unused:UNUSED_PAD src0_sel:DWORD
	v_add_u32_e32 v4, 0x80, v4
	v_or_b32_e32 v1, v2, v1
	global_store_dword v0, v1, s[16:17]
	s_or_b64 exec, exec, s[48:49]
	v_cmp_gt_i32_e32 vcc, s55, v4
	s_and_saveexec_b64 s[48:49], vcc
	s_cbranch_execnz .LBB239_16
.LBB239_258:
	s_or_b64 exec, exec, s[48:49]
	v_cmp_gt_i32_e32 vcc, s55, v4
	s_and_saveexec_b64 s[48:49], vcc
	s_cbranch_execz .LBB239_301
.LBB239_259:
	s_andn2_b64 vcc, exec, s[36:37]
	s_cbranch_vccnz .LBB239_265
; %bb.260:
	s_andn2_b64 vcc, exec, s[46:47]
	s_cbranch_vccnz .LBB239_266
; %bb.261:
	s_add_i32 s58, s56, 1
	s_cmp_eq_u32 s54, 2
	s_cbranch_scc1 .LBB239_267
; %bb.262:
	s_and_b32 s57, s58, 28
	s_mov_b32 s59, 0
	v_mov_b32_e32 v0, 0
	v_mov_b32_e32 v2, 0
	s_mov_b64 s[50:51], s[34:35]
	s_mov_b64 s[52:53], s[44:45]
	v_mov_b32_e32 v5, v4
.LBB239_263:                            ; =>This Inner Loop Header: Depth=1
	s_load_dwordx8 s[8:15], s[50:51], 0x4
	s_load_dwordx4 s[28:31], s[50:51], 0x24
	s_load_dwordx8 s[0:7], s[52:53], 0x0
	s_add_u32 s50, s50, 48
	s_addc_u32 s51, s51, 0
	s_waitcnt lgkmcnt(0)
	v_mul_hi_u32 v1, s9, v5
	v_add_u32_e32 v1, v5, v1
	v_lshrrev_b32_e32 v1, s10, v1
	v_mul_lo_u32 v3, v1, s8
	v_mul_hi_u32 v6, s12, v1
	v_sub_u32_e32 v3, v5, v3
	v_add_u32_e32 v5, v1, v6
	v_lshrrev_b32_e32 v5, s13, v5
	v_mul_lo_u32 v7, v5, s11
	v_mul_hi_u32 v8, s15, v5
	v_sub_u32_e32 v1, v1, v7
	v_add_u32_e32 v7, v5, v8
	v_mul_lo_u32 v6, v3, s1
	v_mul_lo_u32 v3, v3, s0
	;; [unrolled: 1-line block ×4, first 2 shown]
	v_lshrrev_b32_e32 v7, s28, v7
	v_add3_u32 v0, v3, v0, v1
	v_mul_hi_u32 v3, s30, v7
	v_add3_u32 v1, v6, v2, v8
	v_mul_lo_u32 v2, v7, s14
	v_add_u32_e32 v3, v7, v3
	v_sub_u32_e32 v2, v5, v2
	v_lshrrev_b32_e32 v5, s31, v3
	s_add_i32 s59, s59, 4
	v_mul_lo_u32 v3, v5, s29
	s_add_u32 s52, s52, 32
	v_sub_u32_e32 v3, v7, v3
	s_addc_u32 s53, s53, 0
	v_mul_lo_u32 v6, v2, s4
	v_mul_lo_u32 v2, v2, s5
	;; [unrolled: 1-line block ×4, first 2 shown]
	s_cmp_eq_u32 s57, s59
	v_add3_u32 v2, v2, v1, v3
	v_add3_u32 v0, v6, v0, v7
	s_cbranch_scc0 .LBB239_263
; %bb.264:
	v_mov_b32_e32 v1, v2
	s_branch .LBB239_268
.LBB239_265:
                                        ; implicit-def: $vgpr2
                                        ; implicit-def: $vgpr0
	s_branch .LBB239_272
.LBB239_266:
	v_mov_b32_e32 v2, 0
	v_mov_b32_e32 v0, 0
	s_branch .LBB239_271
.LBB239_267:
	v_mov_b32_e32 v0, 0
	s_mov_b32 s57, 0
	v_mov_b32_e32 v1, v0
                                        ; implicit-def: $vgpr2
	v_mov_b32_e32 v5, v4
.LBB239_268:
	s_and_b32 s4, s58, 3
	s_cmp_eq_u32 s4, 0
	s_cbranch_scc1 .LBB239_271
; %bb.269:
	s_lshl_b32 s0, s57, 3
	s_add_u32 s0, s34, s0
	s_addc_u32 s1, s35, 0
	s_add_u32 s0, s0, 0xc4
	s_addc_u32 s1, s1, 0
	s_mul_i32 s2, s57, 12
	s_add_u32 s2, s34, s2
	s_addc_u32 s3, s35, 0
.LBB239_270:                            ; =>This Inner Loop Header: Depth=1
	s_load_dwordx2 s[6:7], s[2:3], 0x4
	s_load_dword s5, s[2:3], 0xc
	s_load_dwordx2 s[8:9], s[0:1], 0x0
	v_mov_b32_e32 v2, v1
	s_add_u32 s2, s2, 12
	s_waitcnt lgkmcnt(0)
	v_mul_hi_u32 v1, s7, v5
	v_add_u32_e32 v1, v5, v1
	v_lshrrev_b32_e32 v1, s5, v1
	s_addc_u32 s3, s3, 0
	v_mul_lo_u32 v3, v1, s6
	s_add_u32 s0, s0, 8
	v_sub_u32_e32 v6, v5, v3
	s_addc_u32 s1, s1, 0
	s_add_i32 s4, s4, -1
	v_mov_b32_e32 v5, v1
	v_mad_u64_u32 v[2:3], s[6:7], v6, s9, v[2:3]
	v_mad_u64_u32 v[0:1], s[6:7], v6, s8, v[0:1]
	s_cmp_lg_u32 s4, 0
	v_mov_b32_e32 v1, v2
	s_cbranch_scc1 .LBB239_270
.LBB239_271:
	s_cbranch_execnz .LBB239_274
.LBB239_272:
	s_waitcnt lgkmcnt(0)
	v_mul_hi_u32 v0, s25, v4
	v_add_u32_e32 v0, v4, v0
	v_lshrrev_b32_e32 v1, s26, v0
	v_mul_lo_u32 v0, v1, s24
	v_sub_u32_e32 v0, v4, v0
	v_mul_lo_u32 v2, v0, s21
	s_andn2_b64 vcc, exec, s[42:43]
	v_mul_lo_u32 v0, v0, s20
	s_cbranch_vccnz .LBB239_274
; %bb.273:
	v_mul_hi_u32 v3, s40, v1
	v_add_u32_e32 v3, v1, v3
	v_lshrrev_b32_e32 v3, s41, v3
	v_mul_lo_u32 v3, v3, s27
	v_sub_u32_e32 v3, v1, v3
	v_mad_u64_u32 v[0:1], s[0:1], v3, s22, v[0:1]
	v_mad_u64_u32 v[2:3], s[0:1], v3, s23, v[2:3]
.LBB239_274:
	s_waitcnt lgkmcnt(0)
	global_load_dword v1, v2, s[18:19]
	v_mov_b32_e32 v3, 0
	s_waitcnt vmcnt(0)
	v_cvt_f32_f16_sdwa v2, v1 dst_sel:DWORD dst_unused:UNUSED_PAD src0_sel:WORD_1
	v_cmp_neq_f16_e32 vcc, 0, v1
	v_cmp_neq_f16_sdwa s[0:1], v1, v3 src0_sel:WORD_1 src1_sel:DWORD
	s_or_b64 s[0:1], vcc, s[0:1]
	s_and_saveexec_b64 s[4:5], s[0:1]
	s_cbranch_execz .LBB239_322
; %bb.275:
	v_mov_b32_e32 v3, 0x7f800000
	v_cmp_neq_f32_e64 s[0:1], |v2|, v3
	s_and_saveexec_b64 s[6:7], s[0:1]
	s_cbranch_execz .LBB239_321
; %bb.276:
	v_cvt_f32_f16_e32 v3, v1
	v_cmp_o_f16_e32 vcc, v1, v1
	s_and_saveexec_b64 s[0:1], vcc
	s_xor_b64 s[8:9], exec, s[0:1]
	s_cbranch_execz .LBB239_318
; %bb.277:
	s_mov_b32 s0, 0x7f800000
	v_cmp_neq_f32_e64 s[0:1], |v3|, s0
	s_and_saveexec_b64 s[2:3], s[0:1]
	s_xor_b64 s[10:11], exec, s[2:3]
	s_cbranch_execz .LBB239_311
; %bb.278:
	v_max_f32_e64 v1, |v2|, |v2|
	v_max_f32_e64 v5, |v3|, |v3|
	v_max_f32_e32 v1, v5, v1
	s_mov_b32 s0, 0x7ed413cb
	v_cmp_nle_f32_e64 s[0:1], s0, v1
                                        ; implicit-def: $sgpr12_sgpr13
	s_and_saveexec_b64 s[2:3], s[0:1]
	s_xor_b64 s[2:3], exec, s[2:3]
	s_cbranch_execz .LBB239_282
; %bb.279:
	s_mov_b32 s14, 0x1000000
	v_cmp_le_f32_e64 s[12:13], |v3|, s14
	v_cmp_le_f32_e64 s[14:15], |v2|, s14
	s_and_b64 s[28:29], s[12:13], s[14:15]
	s_mov_b64 s[12:13], 0
	s_and_saveexec_b64 s[14:15], s[28:29]
; %bb.280:
	s_mov_b64 s[12:13], exec
	v_pk_mul_f32 v[2:3], v[2:3], 4.0 op_sel_hi:[1,0]
; %bb.281:
	s_or_b64 exec, exec, s[14:15]
.LBB239_282:
	s_andn2_saveexec_b64 s[2:3], s[2:3]
; %bb.283:
	s_mov_b32 s14, 0x3e800000
	v_pk_mul_f32 v[2:3], v[2:3], s[14:15] op_sel_hi:[1,0]
	s_andn2_b64 s[12:13], s[12:13], exec
; %bb.284:
	s_or_b64 exec, exec, s[2:3]
	v_max_f32_e64 v1, |v2|, |v2|
	v_max_f32_e64 v5, |v3|, |v3|
	v_max_f32_e32 v1, v5, v1
	v_cvt_f64_f32_e32 v[6:7], v1
	v_frexp_exp_i32_f64_e32 v5, v[6:7]
	v_sub_u32_e32 v6, 0, v5
	v_ldexp_f32 v7, |v3|, v6
	v_ldexp_f32 v6, |v2|, v6
	v_mul_f32_e32 v6, v6, v6
	v_fmac_f32_e32 v6, v7, v7
	v_sqrt_f32_e32 v6, v6
	s_mov_b32 s2, 0x7f800000
	v_cmp_neq_f32_e64 s[2:3], s2, v1
	v_cmp_le_f32_e32 vcc, 0, v3
	v_ldexp_f32 v5, v6, v5
	v_mov_b32_e32 v6, 0x7f800000
	v_cndmask_b32_e64 v6, v6, v5, s[2:3]
                                        ; implicit-def: $vgpr5
                                        ; implicit-def: $vgpr1
	s_and_saveexec_b64 s[2:3], vcc
	s_xor_b64 s[14:15], exec, s[2:3]
	s_cbranch_execz .LBB239_304
; %bb.285:
	v_add_f32_e32 v1, v3, v6
	v_mul_f32_e32 v1, 0.5, v1
	s_mov_b32 s2, 0xf800000
	v_mul_f32_e32 v3, 0x4f800000, v1
	v_cmp_gt_f32_e32 vcc, s2, v1
	s_nop 1
	v_cndmask_b32_e32 v1, v1, v3, vcc
	v_sqrt_f32_e32 v3, v1
	s_nop 0
	v_add_u32_e32 v5, -1, v3
	v_fma_f32 v6, -v5, v3, v1
	v_cmp_ge_f32_e64 s[2:3], 0, v6
	v_add_u32_e32 v6, 1, v3
	s_nop 0
	v_cndmask_b32_e64 v5, v3, v5, s[2:3]
	v_fma_f32 v3, -v6, v3, v1
	v_cmp_lt_f32_e64 s[2:3], 0, v3
	s_nop 1
	v_cndmask_b32_e64 v3, v5, v6, s[2:3]
	v_mul_f32_e32 v5, 0x37800000, v3
	v_cndmask_b32_e32 v3, v3, v5, vcc
	v_mov_b32_e32 v5, 0x260
	v_cmp_class_f32_e32 vcc, v1, v5
	s_nop 1
	v_cndmask_b32_e32 v1, v3, v1, vcc
	v_add_f32_e32 v3, v1, v1
	v_div_scale_f32 v5, s[2:3], v3, v3, v2
	v_rcp_f32_e32 v6, v5
	s_nop 0
	v_fma_f32 v7, -v5, v6, 1.0
	v_fmac_f32_e32 v6, v7, v6
	v_div_scale_f32 v7, vcc, v2, v3, v2
	v_mul_f32_e32 v8, v7, v6
	v_fma_f32 v9, -v5, v8, v7
	v_fmac_f32_e32 v8, v9, v6
	v_fma_f32 v5, -v5, v8, v7
	v_div_fmas_f32 v5, v5, v6, v8
	v_div_fixup_f32 v5, v5, v3, v2
                                        ; implicit-def: $vgpr6
                                        ; implicit-def: $vgpr2_vgpr3
	s_andn2_saveexec_b64 s[14:15], s[14:15]
	s_cbranch_execz .LBB239_306
	s_branch .LBB239_305
.LBB239_286:
	s_andn2_saveexec_b64 s[0:1], s[0:1]
.LBB239_287:
	v_add_f32_e32 v3, v1, v1
	v_add_f32_e32 v2, v5, v5
.LBB239_288:
	s_or_b64 exec, exec, s[0:1]
                                        ; implicit-def: $vgpr1
.LBB239_289:
	s_andn2_saveexec_b64 s[0:1], s[10:11]
	s_cbranch_execz .LBB239_295
; %bb.290:
	v_and_b32_e32 v1, 0x8000, v1
	v_cmp_ne_u32_e32 vcc, 0, v1
	v_sub_f32_e32 v1, v2, v2
	s_and_saveexec_b64 s[2:3], vcc
	s_xor_b64 s[2:3], exec, s[2:3]
; %bb.291:
	s_brev_b32 s10, -2
	v_and_b32_e32 v1, 0x7fffffff, v1
	v_bfi_b32 v2, s10, v3, v2
	v_mov_b32_e32 v3, v1
                                        ; implicit-def: $vgpr1
; %bb.292:
	s_andn2_saveexec_b64 s[2:3], s[2:3]
; %bb.293:
	s_brev_b32 s10, -2
	v_bfi_b32 v2, s10, v1, v2
; %bb.294:
	s_or_b64 exec, exec, s[2:3]
.LBB239_295:
	s_or_b64 exec, exec, s[0:1]
.LBB239_296:
	s_andn2_saveexec_b64 s[0:1], s[8:9]
	s_cbranch_execz .LBB239_298
; %bb.297:
	v_sub_f32_e32 v1, v2, v2
	v_div_scale_f32 v2, vcc, v1, v1, v1
	v_rcp_f32_e32 v5, v2
	s_nop 0
	v_fma_f32 v6, -v2, v5, 1.0
	v_fmac_f32_e32 v5, v6, v5
	v_mul_f32_e32 v6, v2, v5
	v_fma_f32 v7, -v2, v6, v2
	v_fmac_f32_e32 v6, v7, v5
	v_fma_f32 v2, -v2, v6, v2
	v_div_fmas_f32 v2, v2, v5, v6
	v_div_fixup_f32 v2, v2, v1, v1
.LBB239_298:
	s_or_b64 exec, exec, s[0:1]
.LBB239_299:
	s_or_b64 exec, exec, s[6:7]
.LBB239_300:
	s_or_b64 exec, exec, s[4:5]
	v_cvt_f16_f32_e32 v1, v3
	v_cvt_f16_f32_sdwa v2, v2 dst_sel:WORD_1 dst_unused:UNUSED_PAD src0_sel:DWORD
	v_add_u32_e32 v4, 0x80, v4
	v_or_b32_e32 v1, v2, v1
	global_store_dword v0, v1, s[16:17]
	s_or_b64 exec, exec, s[48:49]
	v_cmp_gt_i32_e32 vcc, s55, v4
	s_and_saveexec_b64 s[48:49], vcc
	s_cbranch_execnz .LBB239_259
.LBB239_301:
	s_or_b64 exec, exec, s[48:49]
	v_cmp_gt_i32_e32 vcc, s55, v4
	s_and_saveexec_b64 s[48:49], vcc
	s_cbranch_execnz .LBB239_323
.LBB239_302:
	s_or_b64 exec, exec, s[48:49]
                                        ; implicit-def: $vgpr16
                                        ; implicit-def: $vgpr4
	s_andn2_saveexec_b64 s[0:1], s[38:39]
	s_cbranch_execnz .LBB239_9
.LBB239_303:
	s_endpgm
.LBB239_304:
	s_andn2_saveexec_b64 s[14:15], s[14:15]
	s_cbranch_execz .LBB239_306
.LBB239_305:
	v_sub_f32_e32 v1, v6, v3
	v_mul_f32_e32 v1, 0.5, v1
	s_mov_b32 s2, 0xf800000
	v_mul_f32_e32 v3, 0x4f800000, v1
	v_cmp_gt_f32_e32 vcc, s2, v1
	s_nop 1
	v_cndmask_b32_e32 v1, v1, v3, vcc
	v_sqrt_f32_e32 v3, v1
	s_nop 0
	v_add_u32_e32 v5, -1, v3
	v_fma_f32 v6, -v5, v3, v1
	v_cmp_ge_f32_e64 s[2:3], 0, v6
	v_add_u32_e32 v6, 1, v3
	s_nop 0
	v_cndmask_b32_e64 v5, v3, v5, s[2:3]
	v_fma_f32 v3, -v6, v3, v1
	v_cmp_lt_f32_e64 s[2:3], 0, v3
	s_nop 1
	v_cndmask_b32_e64 v3, v5, v6, s[2:3]
	v_mul_f32_e32 v5, 0x37800000, v3
	v_cndmask_b32_e32 v3, v3, v5, vcc
	v_mov_b32_e32 v5, 0x260
	v_cmp_class_f32_e32 vcc, v1, v5
	v_and_b32_e32 v5, 0x7fffffff, v2
	s_nop 0
	v_cndmask_b32_e32 v3, v3, v1, vcc
	v_add_f32_e32 v1, v3, v3
	v_div_scale_f32 v6, s[2:3], v1, v1, v5
	v_rcp_f32_e32 v7, v6
	v_div_scale_f32 v5, vcc, v5, v1, v5
	s_brev_b32 s2, -2
	v_fma_f32 v8, -v6, v7, 1.0
	v_fmac_f32_e32 v7, v8, v7
	v_mul_f32_e32 v8, v5, v7
	v_fma_f32 v9, -v6, v8, v5
	v_fmac_f32_e32 v8, v9, v7
	v_fma_f32 v5, -v6, v8, v5
	v_div_fmas_f32 v5, v5, v7, v8
	v_div_fixup_f32 v1, v5, v1, |v2|
	v_bfi_b32 v5, s2, v3, v2
.LBB239_306:
	s_or_b64 exec, exec, s[14:15]
                                        ; implicit-def: $vgpr2
	s_and_saveexec_b64 s[2:3], s[0:1]
	s_xor_b64 s[0:1], exec, s[2:3]
	s_cbranch_execz .LBB239_308
; %bb.307:
	v_mul_f32_e32 v2, 0.5, v1
	v_mul_f32_e32 v6, 0.5, v5
	v_cndmask_b32_e64 v3, v1, v2, s[12:13]
	v_cndmask_b32_e64 v2, v5, v6, s[12:13]
                                        ; implicit-def: $vgpr1
                                        ; implicit-def: $vgpr5
	s_andn2_saveexec_b64 s[0:1], s[0:1]
	s_cbranch_execnz .LBB239_309
	s_branch .LBB239_310
.LBB239_308:
	s_andn2_saveexec_b64 s[0:1], s[0:1]
.LBB239_309:
	v_add_f32_e32 v3, v1, v1
	v_add_f32_e32 v2, v5, v5
.LBB239_310:
	s_or_b64 exec, exec, s[0:1]
                                        ; implicit-def: $vgpr1
.LBB239_311:
	s_andn2_saveexec_b64 s[0:1], s[10:11]
	s_cbranch_execz .LBB239_317
; %bb.312:
	v_and_b32_e32 v1, 0x8000, v1
	v_cmp_ne_u32_e32 vcc, 0, v1
	v_sub_f32_e32 v1, v2, v2
	s_and_saveexec_b64 s[2:3], vcc
	s_xor_b64 s[2:3], exec, s[2:3]
; %bb.313:
	s_brev_b32 s10, -2
	v_and_b32_e32 v1, 0x7fffffff, v1
	v_bfi_b32 v2, s10, v3, v2
	v_mov_b32_e32 v3, v1
                                        ; implicit-def: $vgpr1
; %bb.314:
	s_andn2_saveexec_b64 s[2:3], s[2:3]
; %bb.315:
	s_brev_b32 s10, -2
	v_bfi_b32 v2, s10, v1, v2
; %bb.316:
	s_or_b64 exec, exec, s[2:3]
.LBB239_317:
	s_or_b64 exec, exec, s[0:1]
.LBB239_318:
	s_andn2_saveexec_b64 s[0:1], s[8:9]
	s_cbranch_execz .LBB239_320
; %bb.319:
	v_sub_f32_e32 v1, v2, v2
	v_div_scale_f32 v2, vcc, v1, v1, v1
	v_rcp_f32_e32 v5, v2
	s_nop 0
	v_fma_f32 v6, -v2, v5, 1.0
	v_fmac_f32_e32 v5, v6, v5
	v_mul_f32_e32 v6, v2, v5
	v_fma_f32 v7, -v2, v6, v2
	v_fmac_f32_e32 v6, v7, v5
	v_fma_f32 v2, -v2, v6, v2
	v_div_fmas_f32 v2, v2, v5, v6
	v_div_fixup_f32 v2, v2, v1, v1
.LBB239_320:
	s_or_b64 exec, exec, s[0:1]
.LBB239_321:
	s_or_b64 exec, exec, s[6:7]
.LBB239_322:
	s_or_b64 exec, exec, s[4:5]
	v_cvt_f16_f32_e32 v1, v3
	v_cvt_f16_f32_sdwa v2, v2 dst_sel:WORD_1 dst_unused:UNUSED_PAD src0_sel:DWORD
	v_add_u32_e32 v4, 0x80, v4
	v_or_b32_e32 v1, v2, v1
	global_store_dword v0, v1, s[16:17]
	s_or_b64 exec, exec, s[48:49]
	v_cmp_gt_i32_e32 vcc, s55, v4
	s_and_saveexec_b64 s[48:49], vcc
	s_cbranch_execz .LBB239_302
.LBB239_323:
	s_andn2_b64 vcc, exec, s[36:37]
	s_cbranch_vccnz .LBB239_329
; %bb.324:
	s_andn2_b64 vcc, exec, s[46:47]
	s_cbranch_vccnz .LBB239_330
; %bb.325:
	s_add_i32 s56, s56, 1
	s_cmp_eq_u32 s54, 2
	s_cbranch_scc1 .LBB239_331
; %bb.326:
	s_and_b32 s50, s56, 28
	s_mov_b32 s51, 0
	v_mov_b32_e32 v0, 0
	v_mov_b32_e32 v2, 0
	s_mov_b64 s[46:47], s[34:35]
	v_mov_b32_e32 v5, v4
.LBB239_327:                            ; =>This Inner Loop Header: Depth=1
	s_load_dwordx8 s[8:15], s[46:47], 0x4
	s_load_dwordx4 s[28:31], s[46:47], 0x24
	s_load_dwordx8 s[0:7], s[44:45], 0x0
	s_add_u32 s46, s46, 48
	s_addc_u32 s47, s47, 0
	s_waitcnt lgkmcnt(0)
	v_mul_hi_u32 v1, s9, v5
	v_add_u32_e32 v1, v5, v1
	v_lshrrev_b32_e32 v1, s10, v1
	v_mul_lo_u32 v3, v1, s8
	v_mul_hi_u32 v6, s12, v1
	v_sub_u32_e32 v3, v5, v3
	v_add_u32_e32 v5, v1, v6
	v_lshrrev_b32_e32 v5, s13, v5
	v_mul_lo_u32 v7, v5, s11
	v_mul_hi_u32 v8, s15, v5
	v_sub_u32_e32 v1, v1, v7
	v_add_u32_e32 v7, v5, v8
	v_mul_lo_u32 v6, v3, s1
	v_mul_lo_u32 v3, v3, s0
	;; [unrolled: 1-line block ×4, first 2 shown]
	v_lshrrev_b32_e32 v7, s28, v7
	v_add3_u32 v0, v3, v0, v1
	v_mul_hi_u32 v3, s30, v7
	v_add3_u32 v1, v6, v2, v8
	v_mul_lo_u32 v2, v7, s14
	v_add_u32_e32 v3, v7, v3
	v_sub_u32_e32 v2, v5, v2
	v_lshrrev_b32_e32 v5, s31, v3
	s_add_i32 s51, s51, 4
	v_mul_lo_u32 v3, v5, s29
	s_add_u32 s44, s44, 32
	v_sub_u32_e32 v3, v7, v3
	s_addc_u32 s45, s45, 0
	v_mul_lo_u32 v6, v2, s4
	v_mul_lo_u32 v2, v2, s5
	;; [unrolled: 1-line block ×4, first 2 shown]
	s_cmp_eq_u32 s50, s51
	v_add3_u32 v2, v2, v1, v3
	v_add3_u32 v0, v6, v0, v7
	s_cbranch_scc0 .LBB239_327
; %bb.328:
	v_mov_b32_e32 v1, v2
	s_branch .LBB239_332
.LBB239_329:
                                        ; implicit-def: $vgpr2
                                        ; implicit-def: $vgpr0
	s_branch .LBB239_336
.LBB239_330:
	v_mov_b32_e32 v2, 0
	v_mov_b32_e32 v0, 0
	s_branch .LBB239_335
.LBB239_331:
	v_mov_b32_e32 v0, 0
	s_mov_b32 s50, 0
	v_mov_b32_e32 v1, v0
                                        ; implicit-def: $vgpr2
	v_mov_b32_e32 v5, v4
.LBB239_332:
	s_and_b32 s4, s56, 3
	s_cmp_eq_u32 s4, 0
	s_cbranch_scc1 .LBB239_335
; %bb.333:
	s_lshl_b32 s0, s50, 3
	s_add_u32 s0, s34, s0
	s_addc_u32 s1, s35, 0
	s_add_u32 s0, s0, 0xc4
	s_addc_u32 s1, s1, 0
	s_mul_i32 s2, s50, 12
	s_add_u32 s2, s34, s2
	s_addc_u32 s3, s35, 0
.LBB239_334:                            ; =>This Inner Loop Header: Depth=1
	s_load_dwordx2 s[6:7], s[2:3], 0x4
	s_load_dword s5, s[2:3], 0xc
	s_load_dwordx2 s[8:9], s[0:1], 0x0
	v_mov_b32_e32 v2, v1
	s_add_u32 s2, s2, 12
	s_waitcnt lgkmcnt(0)
	v_mul_hi_u32 v1, s7, v5
	v_add_u32_e32 v1, v5, v1
	v_lshrrev_b32_e32 v1, s5, v1
	s_addc_u32 s3, s3, 0
	v_mul_lo_u32 v3, v1, s6
	s_add_u32 s0, s0, 8
	v_sub_u32_e32 v6, v5, v3
	s_addc_u32 s1, s1, 0
	s_add_i32 s4, s4, -1
	v_mov_b32_e32 v5, v1
	v_mad_u64_u32 v[2:3], s[6:7], v6, s9, v[2:3]
	v_mad_u64_u32 v[0:1], s[6:7], v6, s8, v[0:1]
	s_cmp_lg_u32 s4, 0
	v_mov_b32_e32 v1, v2
	s_cbranch_scc1 .LBB239_334
.LBB239_335:
	s_cbranch_execnz .LBB239_338
.LBB239_336:
	s_waitcnt lgkmcnt(0)
	v_mul_hi_u32 v0, s25, v4
	v_add_u32_e32 v0, v4, v0
	v_lshrrev_b32_e32 v1, s26, v0
	v_mul_lo_u32 v0, v1, s24
	v_sub_u32_e32 v0, v4, v0
	v_mul_lo_u32 v2, v0, s21
	s_andn2_b64 vcc, exec, s[42:43]
	v_mul_lo_u32 v0, v0, s20
	s_cbranch_vccnz .LBB239_338
; %bb.337:
	v_mul_hi_u32 v3, s40, v1
	v_add_u32_e32 v3, v1, v3
	v_lshrrev_b32_e32 v3, s41, v3
	v_mul_lo_u32 v3, v3, s27
	v_sub_u32_e32 v3, v1, v3
	v_mad_u64_u32 v[0:1], s[0:1], v3, s22, v[0:1]
	v_mad_u64_u32 v[2:3], s[0:1], v3, s23, v[2:3]
.LBB239_338:
	s_waitcnt lgkmcnt(0)
	global_load_dword v1, v2, s[18:19]
	v_mov_b32_e32 v3, 0
	s_waitcnt vmcnt(0)
	v_cvt_f32_f16_sdwa v2, v1 dst_sel:DWORD dst_unused:UNUSED_PAD src0_sel:WORD_1
	v_cmp_neq_f16_e32 vcc, 0, v1
	v_cmp_neq_f16_sdwa s[0:1], v1, v3 src0_sel:WORD_1 src1_sel:DWORD
	s_or_b64 s[0:1], vcc, s[0:1]
	s_and_saveexec_b64 s[4:5], s[0:1]
	s_cbranch_execz .LBB239_368
; %bb.339:
	v_mov_b32_e32 v3, 0x7f800000
	v_cmp_neq_f32_e64 s[0:1], |v2|, v3
	s_and_saveexec_b64 s[6:7], s[0:1]
	s_cbranch_execz .LBB239_367
; %bb.340:
	v_cvt_f32_f16_e32 v3, v1
	v_cmp_o_f16_e32 vcc, v1, v1
	s_and_saveexec_b64 s[0:1], vcc
	s_xor_b64 s[8:9], exec, s[0:1]
	s_cbranch_execz .LBB239_364
; %bb.341:
	s_mov_b32 s0, 0x7f800000
	v_cmp_neq_f32_e64 s[0:1], |v3|, s0
	s_and_saveexec_b64 s[2:3], s[0:1]
	s_xor_b64 s[10:11], exec, s[2:3]
	s_cbranch_execz .LBB239_357
; %bb.342:
	v_max_f32_e64 v1, |v2|, |v2|
	v_max_f32_e64 v4, |v3|, |v3|
	v_max_f32_e32 v1, v4, v1
	s_mov_b32 s0, 0x7ed413cb
	v_cmp_nle_f32_e64 s[0:1], s0, v1
                                        ; implicit-def: $sgpr12_sgpr13
	s_and_saveexec_b64 s[2:3], s[0:1]
	s_xor_b64 s[2:3], exec, s[2:3]
	s_cbranch_execz .LBB239_346
; %bb.343:
	s_mov_b32 s14, 0x1000000
	v_cmp_le_f32_e64 s[12:13], |v3|, s14
	v_cmp_le_f32_e64 s[14:15], |v2|, s14
	s_and_b64 s[18:19], s[12:13], s[14:15]
	s_mov_b64 s[12:13], 0
	s_and_saveexec_b64 s[14:15], s[18:19]
; %bb.344:
	s_mov_b64 s[12:13], exec
	v_pk_mul_f32 v[2:3], v[2:3], 4.0 op_sel_hi:[1,0]
; %bb.345:
	s_or_b64 exec, exec, s[14:15]
.LBB239_346:
	s_andn2_saveexec_b64 s[2:3], s[2:3]
; %bb.347:
	s_mov_b32 s14, 0x3e800000
	v_pk_mul_f32 v[2:3], v[2:3], s[14:15] op_sel_hi:[1,0]
	s_andn2_b64 s[12:13], s[12:13], exec
; %bb.348:
	s_or_b64 exec, exec, s[2:3]
	v_max_f32_e64 v1, |v2|, |v2|
	v_max_f32_e64 v4, |v3|, |v3|
	v_max_f32_e32 v1, v4, v1
	v_cvt_f64_f32_e32 v[4:5], v1
	v_frexp_exp_i32_f64_e32 v4, v[4:5]
	v_sub_u32_e32 v5, 0, v4
	v_ldexp_f32 v6, |v3|, v5
	v_ldexp_f32 v5, |v2|, v5
	v_mul_f32_e32 v5, v5, v5
	v_fmac_f32_e32 v5, v6, v6
	v_sqrt_f32_e32 v5, v5
	s_mov_b32 s2, 0x7f800000
	v_cmp_neq_f32_e64 s[2:3], s2, v1
	v_cmp_le_f32_e32 vcc, 0, v3
	v_ldexp_f32 v4, v5, v4
	v_mov_b32_e32 v5, 0x7f800000
	v_cndmask_b32_e64 v5, v5, v4, s[2:3]
                                        ; implicit-def: $vgpr4
                                        ; implicit-def: $vgpr1
	s_and_saveexec_b64 s[2:3], vcc
	s_xor_b64 s[14:15], exec, s[2:3]
	s_cbranch_execz .LBB239_350
; %bb.349:
	v_add_f32_e32 v1, v3, v5
	v_mul_f32_e32 v1, 0.5, v1
	s_mov_b32 s2, 0xf800000
	v_mul_f32_e32 v3, 0x4f800000, v1
	v_cmp_gt_f32_e32 vcc, s2, v1
	s_nop 1
	v_cndmask_b32_e32 v1, v1, v3, vcc
	v_sqrt_f32_e32 v3, v1
	s_nop 0
	v_add_u32_e32 v4, -1, v3
	v_fma_f32 v5, -v4, v3, v1
	v_cmp_ge_f32_e64 s[2:3], 0, v5
	v_add_u32_e32 v5, 1, v3
	s_nop 0
	v_cndmask_b32_e64 v4, v3, v4, s[2:3]
	v_fma_f32 v3, -v5, v3, v1
	v_cmp_lt_f32_e64 s[2:3], 0, v3
	s_nop 1
	v_cndmask_b32_e64 v3, v4, v5, s[2:3]
	v_mul_f32_e32 v4, 0x37800000, v3
	v_cndmask_b32_e32 v3, v3, v4, vcc
	v_mov_b32_e32 v4, 0x260
	v_cmp_class_f32_e32 vcc, v1, v4
	s_nop 1
	v_cndmask_b32_e32 v1, v3, v1, vcc
	v_add_f32_e32 v3, v1, v1
	v_div_scale_f32 v4, s[2:3], v3, v3, v2
	v_rcp_f32_e32 v5, v4
	s_nop 0
	v_fma_f32 v6, -v4, v5, 1.0
	v_fmac_f32_e32 v5, v6, v5
	v_div_scale_f32 v6, vcc, v2, v3, v2
	v_mul_f32_e32 v7, v6, v5
	v_fma_f32 v8, -v4, v7, v6
	v_fmac_f32_e32 v7, v8, v5
	v_fma_f32 v4, -v4, v7, v6
	v_div_fmas_f32 v4, v4, v5, v7
	v_div_fixup_f32 v4, v4, v3, v2
                                        ; implicit-def: $vgpr5
                                        ; implicit-def: $vgpr2_vgpr3
	s_andn2_saveexec_b64 s[14:15], s[14:15]
	s_cbranch_execz .LBB239_352
	s_branch .LBB239_351
.LBB239_350:
	s_andn2_saveexec_b64 s[14:15], s[14:15]
	s_cbranch_execz .LBB239_352
.LBB239_351:
	v_sub_f32_e32 v1, v5, v3
	v_mul_f32_e32 v1, 0.5, v1
	s_mov_b32 s2, 0xf800000
	v_mul_f32_e32 v3, 0x4f800000, v1
	v_cmp_gt_f32_e32 vcc, s2, v1
	s_nop 1
	v_cndmask_b32_e32 v1, v1, v3, vcc
	v_sqrt_f32_e32 v3, v1
	s_nop 0
	v_add_u32_e32 v4, -1, v3
	v_fma_f32 v5, -v4, v3, v1
	v_cmp_ge_f32_e64 s[2:3], 0, v5
	v_add_u32_e32 v5, 1, v3
	s_nop 0
	v_cndmask_b32_e64 v4, v3, v4, s[2:3]
	v_fma_f32 v3, -v5, v3, v1
	v_cmp_lt_f32_e64 s[2:3], 0, v3
	s_nop 1
	v_cndmask_b32_e64 v3, v4, v5, s[2:3]
	v_mul_f32_e32 v4, 0x37800000, v3
	v_cndmask_b32_e32 v3, v3, v4, vcc
	v_mov_b32_e32 v4, 0x260
	v_cmp_class_f32_e32 vcc, v1, v4
	v_and_b32_e32 v4, 0x7fffffff, v2
	s_nop 0
	v_cndmask_b32_e32 v3, v3, v1, vcc
	v_add_f32_e32 v1, v3, v3
	v_div_scale_f32 v5, s[2:3], v1, v1, v4
	v_rcp_f32_e32 v6, v5
	v_div_scale_f32 v4, vcc, v4, v1, v4
	s_brev_b32 s2, -2
	v_fma_f32 v7, -v5, v6, 1.0
	v_fmac_f32_e32 v6, v7, v6
	v_mul_f32_e32 v7, v4, v6
	v_fma_f32 v8, -v5, v7, v4
	v_fmac_f32_e32 v7, v8, v6
	v_fma_f32 v4, -v5, v7, v4
	v_div_fmas_f32 v4, v4, v6, v7
	v_div_fixup_f32 v1, v4, v1, |v2|
	v_bfi_b32 v4, s2, v3, v2
.LBB239_352:
	s_or_b64 exec, exec, s[14:15]
                                        ; implicit-def: $vgpr2
	s_and_saveexec_b64 s[2:3], s[0:1]
	s_xor_b64 s[0:1], exec, s[2:3]
	s_cbranch_execz .LBB239_354
; %bb.353:
	v_mul_f32_e32 v2, 0.5, v1
	v_mul_f32_e32 v5, 0.5, v4
	v_cndmask_b32_e64 v3, v1, v2, s[12:13]
	v_cndmask_b32_e64 v2, v4, v5, s[12:13]
                                        ; implicit-def: $vgpr1
                                        ; implicit-def: $vgpr4
	s_andn2_saveexec_b64 s[0:1], s[0:1]
	s_cbranch_execnz .LBB239_355
	s_branch .LBB239_356
.LBB239_354:
	s_andn2_saveexec_b64 s[0:1], s[0:1]
.LBB239_355:
	v_add_f32_e32 v3, v1, v1
	v_add_f32_e32 v2, v4, v4
.LBB239_356:
	s_or_b64 exec, exec, s[0:1]
                                        ; implicit-def: $vgpr1
.LBB239_357:
	s_andn2_saveexec_b64 s[0:1], s[10:11]
	s_cbranch_execz .LBB239_363
; %bb.358:
	v_and_b32_e32 v1, 0x8000, v1
	v_cmp_ne_u32_e32 vcc, 0, v1
	v_sub_f32_e32 v1, v2, v2
	s_and_saveexec_b64 s[2:3], vcc
	s_xor_b64 s[2:3], exec, s[2:3]
; %bb.359:
	s_brev_b32 s10, -2
	v_and_b32_e32 v1, 0x7fffffff, v1
	v_bfi_b32 v2, s10, v3, v2
	v_mov_b32_e32 v3, v1
                                        ; implicit-def: $vgpr1
; %bb.360:
	s_andn2_saveexec_b64 s[2:3], s[2:3]
; %bb.361:
	s_brev_b32 s10, -2
	v_bfi_b32 v2, s10, v1, v2
; %bb.362:
	s_or_b64 exec, exec, s[2:3]
.LBB239_363:
	s_or_b64 exec, exec, s[0:1]
.LBB239_364:
	s_andn2_saveexec_b64 s[0:1], s[8:9]
	s_cbranch_execz .LBB239_366
; %bb.365:
	v_sub_f32_e32 v1, v2, v2
	v_div_scale_f32 v2, vcc, v1, v1, v1
	v_rcp_f32_e32 v4, v2
	s_nop 0
	v_fma_f32 v5, -v2, v4, 1.0
	v_fmac_f32_e32 v4, v5, v4
	v_mul_f32_e32 v5, v2, v4
	v_fma_f32 v6, -v2, v5, v2
	v_fmac_f32_e32 v5, v6, v4
	v_fma_f32 v2, -v2, v5, v2
	v_div_fmas_f32 v2, v2, v4, v5
	v_div_fixup_f32 v2, v2, v1, v1
.LBB239_366:
	s_or_b64 exec, exec, s[0:1]
.LBB239_367:
	s_or_b64 exec, exec, s[6:7]
.LBB239_368:
	s_or_b64 exec, exec, s[4:5]
	v_cvt_f16_f32_e32 v1, v3
	v_cvt_f16_f32_sdwa v2, v2 dst_sel:WORD_1 dst_unused:UNUSED_PAD src0_sel:DWORD
	s_nop 0
	v_or_b32_e32 v1, v2, v1
	global_store_dword v0, v1, s[16:17]
	s_or_b64 exec, exec, s[48:49]
                                        ; implicit-def: $vgpr16
                                        ; implicit-def: $vgpr4
	s_andn2_saveexec_b64 s[0:1], s[38:39]
	s_cbranch_execz .LBB239_303
	s_branch .LBB239_9
	.section	.rodata,"a",@progbits
	.p2align	6, 0x0
	.amdhsa_kernel _ZN2at6native32elementwise_kernel_manual_unrollILi128ELi4EZNS0_22gpu_kernel_impl_nocastIZZZNS0_16sqrt_kernel_cudaERNS_18TensorIteratorBaseEENKUlvE_clEvENKUlvE1_clEvEUlN3c107complexINS7_4HalfEEEE_EEvS4_RKT_EUlibE_EEviT1_
		.amdhsa_group_segment_fixed_size 0
		.amdhsa_private_segment_fixed_size 0
		.amdhsa_kernarg_size 360
		.amdhsa_user_sgpr_count 2
		.amdhsa_user_sgpr_dispatch_ptr 0
		.amdhsa_user_sgpr_queue_ptr 0
		.amdhsa_user_sgpr_kernarg_segment_ptr 1
		.amdhsa_user_sgpr_dispatch_id 0
		.amdhsa_user_sgpr_kernarg_preload_length 0
		.amdhsa_user_sgpr_kernarg_preload_offset 0
		.amdhsa_user_sgpr_private_segment_size 0
		.amdhsa_uses_dynamic_stack 0
		.amdhsa_enable_private_segment 0
		.amdhsa_system_sgpr_workgroup_id_x 1
		.amdhsa_system_sgpr_workgroup_id_y 0
		.amdhsa_system_sgpr_workgroup_id_z 0
		.amdhsa_system_sgpr_workgroup_info 0
		.amdhsa_system_vgpr_workitem_id 0
		.amdhsa_next_free_vgpr 18
		.amdhsa_next_free_sgpr 60
		.amdhsa_accum_offset 20
		.amdhsa_reserve_vcc 1
		.amdhsa_float_round_mode_32 0
		.amdhsa_float_round_mode_16_64 0
		.amdhsa_float_denorm_mode_32 3
		.amdhsa_float_denorm_mode_16_64 3
		.amdhsa_dx10_clamp 1
		.amdhsa_ieee_mode 1
		.amdhsa_fp16_overflow 0
		.amdhsa_tg_split 0
		.amdhsa_exception_fp_ieee_invalid_op 0
		.amdhsa_exception_fp_denorm_src 0
		.amdhsa_exception_fp_ieee_div_zero 0
		.amdhsa_exception_fp_ieee_overflow 0
		.amdhsa_exception_fp_ieee_underflow 0
		.amdhsa_exception_fp_ieee_inexact 0
		.amdhsa_exception_int_div_zero 0
	.end_amdhsa_kernel
	.section	.text._ZN2at6native32elementwise_kernel_manual_unrollILi128ELi4EZNS0_22gpu_kernel_impl_nocastIZZZNS0_16sqrt_kernel_cudaERNS_18TensorIteratorBaseEENKUlvE_clEvENKUlvE1_clEvEUlN3c107complexINS7_4HalfEEEE_EEvS4_RKT_EUlibE_EEviT1_,"axG",@progbits,_ZN2at6native32elementwise_kernel_manual_unrollILi128ELi4EZNS0_22gpu_kernel_impl_nocastIZZZNS0_16sqrt_kernel_cudaERNS_18TensorIteratorBaseEENKUlvE_clEvENKUlvE1_clEvEUlN3c107complexINS7_4HalfEEEE_EEvS4_RKT_EUlibE_EEviT1_,comdat
.Lfunc_end239:
	.size	_ZN2at6native32elementwise_kernel_manual_unrollILi128ELi4EZNS0_22gpu_kernel_impl_nocastIZZZNS0_16sqrt_kernel_cudaERNS_18TensorIteratorBaseEENKUlvE_clEvENKUlvE1_clEvEUlN3c107complexINS7_4HalfEEEE_EEvS4_RKT_EUlibE_EEviT1_, .Lfunc_end239-_ZN2at6native32elementwise_kernel_manual_unrollILi128ELi4EZNS0_22gpu_kernel_impl_nocastIZZZNS0_16sqrt_kernel_cudaERNS_18TensorIteratorBaseEENKUlvE_clEvENKUlvE1_clEvEUlN3c107complexINS7_4HalfEEEE_EEvS4_RKT_EUlibE_EEviT1_
                                        ; -- End function
	.set _ZN2at6native32elementwise_kernel_manual_unrollILi128ELi4EZNS0_22gpu_kernel_impl_nocastIZZZNS0_16sqrt_kernel_cudaERNS_18TensorIteratorBaseEENKUlvE_clEvENKUlvE1_clEvEUlN3c107complexINS7_4HalfEEEE_EEvS4_RKT_EUlibE_EEviT1_.num_vgpr, 18
	.set _ZN2at6native32elementwise_kernel_manual_unrollILi128ELi4EZNS0_22gpu_kernel_impl_nocastIZZZNS0_16sqrt_kernel_cudaERNS_18TensorIteratorBaseEENKUlvE_clEvENKUlvE1_clEvEUlN3c107complexINS7_4HalfEEEE_EEvS4_RKT_EUlibE_EEviT1_.num_agpr, 0
	.set _ZN2at6native32elementwise_kernel_manual_unrollILi128ELi4EZNS0_22gpu_kernel_impl_nocastIZZZNS0_16sqrt_kernel_cudaERNS_18TensorIteratorBaseEENKUlvE_clEvENKUlvE1_clEvEUlN3c107complexINS7_4HalfEEEE_EEvS4_RKT_EUlibE_EEviT1_.numbered_sgpr, 60
	.set _ZN2at6native32elementwise_kernel_manual_unrollILi128ELi4EZNS0_22gpu_kernel_impl_nocastIZZZNS0_16sqrt_kernel_cudaERNS_18TensorIteratorBaseEENKUlvE_clEvENKUlvE1_clEvEUlN3c107complexINS7_4HalfEEEE_EEvS4_RKT_EUlibE_EEviT1_.num_named_barrier, 0
	.set _ZN2at6native32elementwise_kernel_manual_unrollILi128ELi4EZNS0_22gpu_kernel_impl_nocastIZZZNS0_16sqrt_kernel_cudaERNS_18TensorIteratorBaseEENKUlvE_clEvENKUlvE1_clEvEUlN3c107complexINS7_4HalfEEEE_EEvS4_RKT_EUlibE_EEviT1_.private_seg_size, 0
	.set _ZN2at6native32elementwise_kernel_manual_unrollILi128ELi4EZNS0_22gpu_kernel_impl_nocastIZZZNS0_16sqrt_kernel_cudaERNS_18TensorIteratorBaseEENKUlvE_clEvENKUlvE1_clEvEUlN3c107complexINS7_4HalfEEEE_EEvS4_RKT_EUlibE_EEviT1_.uses_vcc, 1
	.set _ZN2at6native32elementwise_kernel_manual_unrollILi128ELi4EZNS0_22gpu_kernel_impl_nocastIZZZNS0_16sqrt_kernel_cudaERNS_18TensorIteratorBaseEENKUlvE_clEvENKUlvE1_clEvEUlN3c107complexINS7_4HalfEEEE_EEvS4_RKT_EUlibE_EEviT1_.uses_flat_scratch, 0
	.set _ZN2at6native32elementwise_kernel_manual_unrollILi128ELi4EZNS0_22gpu_kernel_impl_nocastIZZZNS0_16sqrt_kernel_cudaERNS_18TensorIteratorBaseEENKUlvE_clEvENKUlvE1_clEvEUlN3c107complexINS7_4HalfEEEE_EEvS4_RKT_EUlibE_EEviT1_.has_dyn_sized_stack, 0
	.set _ZN2at6native32elementwise_kernel_manual_unrollILi128ELi4EZNS0_22gpu_kernel_impl_nocastIZZZNS0_16sqrt_kernel_cudaERNS_18TensorIteratorBaseEENKUlvE_clEvENKUlvE1_clEvEUlN3c107complexINS7_4HalfEEEE_EEvS4_RKT_EUlibE_EEviT1_.has_recursion, 0
	.set _ZN2at6native32elementwise_kernel_manual_unrollILi128ELi4EZNS0_22gpu_kernel_impl_nocastIZZZNS0_16sqrt_kernel_cudaERNS_18TensorIteratorBaseEENKUlvE_clEvENKUlvE1_clEvEUlN3c107complexINS7_4HalfEEEE_EEvS4_RKT_EUlibE_EEviT1_.has_indirect_call, 0
	.section	.AMDGPU.csdata,"",@progbits
; Kernel info:
; codeLenInByte = 14452
; TotalNumSgprs: 66
; NumVgprs: 18
; NumAgprs: 0
; TotalNumVgprs: 18
; ScratchSize: 0
; MemoryBound: 0
; FloatMode: 240
; IeeeMode: 1
; LDSByteSize: 0 bytes/workgroup (compile time only)
; SGPRBlocks: 8
; VGPRBlocks: 2
; NumSGPRsForWavesPerEU: 66
; NumVGPRsForWavesPerEU: 18
; AccumOffset: 20
; Occupancy: 8
; WaveLimiterHint : 1
; COMPUTE_PGM_RSRC2:SCRATCH_EN: 0
; COMPUTE_PGM_RSRC2:USER_SGPR: 2
; COMPUTE_PGM_RSRC2:TRAP_HANDLER: 0
; COMPUTE_PGM_RSRC2:TGID_X_EN: 1
; COMPUTE_PGM_RSRC2:TGID_Y_EN: 0
; COMPUTE_PGM_RSRC2:TGID_Z_EN: 0
; COMPUTE_PGM_RSRC2:TIDIG_COMP_CNT: 0
; COMPUTE_PGM_RSRC3_GFX90A:ACCUM_OFFSET: 4
; COMPUTE_PGM_RSRC3_GFX90A:TG_SPLIT: 0
	.section	.text._ZN2at6native32elementwise_kernel_manual_unrollILi128ELi4EZNS0_15gpu_kernel_implIZZZNS0_16sqrt_kernel_cudaERNS_18TensorIteratorBaseEENKUlvE_clEvENKUlvE1_clEvEUlN3c107complexINS7_4HalfEEEE_EEvS4_RKT_EUlibE_EEviT1_,"axG",@progbits,_ZN2at6native32elementwise_kernel_manual_unrollILi128ELi4EZNS0_15gpu_kernel_implIZZZNS0_16sqrt_kernel_cudaERNS_18TensorIteratorBaseEENKUlvE_clEvENKUlvE1_clEvEUlN3c107complexINS7_4HalfEEEE_EEvS4_RKT_EUlibE_EEviT1_,comdat
	.globl	_ZN2at6native32elementwise_kernel_manual_unrollILi128ELi4EZNS0_15gpu_kernel_implIZZZNS0_16sqrt_kernel_cudaERNS_18TensorIteratorBaseEENKUlvE_clEvENKUlvE1_clEvEUlN3c107complexINS7_4HalfEEEE_EEvS4_RKT_EUlibE_EEviT1_ ; -- Begin function _ZN2at6native32elementwise_kernel_manual_unrollILi128ELi4EZNS0_15gpu_kernel_implIZZZNS0_16sqrt_kernel_cudaERNS_18TensorIteratorBaseEENKUlvE_clEvENKUlvE1_clEvEUlN3c107complexINS7_4HalfEEEE_EEvS4_RKT_EUlibE_EEviT1_
	.p2align	8
	.type	_ZN2at6native32elementwise_kernel_manual_unrollILi128ELi4EZNS0_15gpu_kernel_implIZZZNS0_16sqrt_kernel_cudaERNS_18TensorIteratorBaseEENKUlvE_clEvENKUlvE1_clEvEUlN3c107complexINS7_4HalfEEEE_EEvS4_RKT_EUlibE_EEviT1_,@function
_ZN2at6native32elementwise_kernel_manual_unrollILi128ELi4EZNS0_15gpu_kernel_implIZZZNS0_16sqrt_kernel_cudaERNS_18TensorIteratorBaseEENKUlvE_clEvENKUlvE1_clEvEUlN3c107complexINS7_4HalfEEEE_EEvS4_RKT_EUlibE_EEviT1_: ; @_ZN2at6native32elementwise_kernel_manual_unrollILi128ELi4EZNS0_15gpu_kernel_implIZZZNS0_16sqrt_kernel_cudaERNS_18TensorIteratorBaseEENKUlvE_clEvENKUlvE1_clEvEUlN3c107complexINS7_4HalfEEEE_EEvS4_RKT_EUlibE_EEviT1_
; %bb.0:
	v_mov_b32_e32 v1, 0
	global_load_ushort v1, v1, s[0:1] offset:33
	s_load_dwordx4 s[4:7], s[0:1], 0x8
	s_load_dwordx2 s[8:9], s[0:1], 0x18
	s_load_dword s45, s[0:1], 0x0
	v_lshl_or_b32 v4, s2, 9, v0
	v_or_b32_e32 v0, 0x180, v4
	s_mov_b64 s[10:11], 0
	s_mov_b64 s[14:15], 0
	s_waitcnt lgkmcnt(0)
	v_cmp_le_i32_e32 vcc, s45, v0
	s_waitcnt vmcnt(0)
	v_readfirstlane_b32 s33, v1
	s_and_b32 s0, 0xffff, s33
	s_lshr_b32 s44, s0, 8
	s_and_saveexec_b64 s[0:1], vcc
	s_xor_b64 s[12:13], exec, s[0:1]
	s_cbranch_execz .LBB240_1165
; %bb.1:
	v_cmp_gt_i32_e32 vcc, s45, v4
	s_mov_b64 s[2:3], -1
	s_mov_b64 s[22:23], 0
	s_mov_b64 s[16:17], 0
	s_and_saveexec_b64 s[18:19], vcc
	s_cbranch_execz .LBB240_285
; %bb.2:
	v_mul_lo_u32 v0, v4, s9
	v_ashrrev_i32_e32 v1, 31, v0
	s_and_b32 s20, 0xffff, s44
	s_cmp_lt_i32 s20, 11
	v_lshl_add_u64 v[0:1], s[6:7], 0, v[0:1]
	s_cbranch_scc1 .LBB240_9
; %bb.3:
	s_cmp_gt_i32 s20, 25
	s_cbranch_scc0 .LBB240_23
; %bb.4:
	s_cmp_gt_i32 s20, 28
	s_cbranch_scc0 .LBB240_24
	;; [unrolled: 3-line block ×4, first 2 shown]
; %bb.7:
	s_cmp_eq_u32 s20, 46
	s_mov_b64 s[2:3], 0
	s_cbranch_scc0 .LBB240_57
; %bb.8:
	global_load_dword v2, v[0:1], off
	s_mov_b64 s[0:1], -1
	s_waitcnt vmcnt(0)
	v_and_b32_e32 v3, 0xffff0000, v2
	v_lshlrev_b32_e32 v2, 16, v2
	v_cvt_f16_f32_e32 v2, v2
	v_cvt_f16_f32_e32 v3, v3
	s_branch .LBB240_59
.LBB240_9:
                                        ; implicit-def: $vgpr3
                                        ; implicit-def: $vgpr2
	s_mov_b64 s[0:1], 0
	s_and_b64 vcc, exec, s[2:3]
	s_cbranch_vccnz .LBB240_234
.LBB240_10:
	s_andn2_b64 vcc, exec, s[0:1]
	s_cbranch_vccnz .LBB240_283
.LBB240_11:
	v_cvt_f32_f16_e32 v0, v3
	s_waitcnt vmcnt(0)
	v_cmp_neq_f16_e32 vcc, 0, v2
	v_cmp_neq_f16_e64 s[0:1], 0, v3
	s_or_b64 s[0:1], vcc, s[0:1]
	v_mov_b32_e32 v3, 0
	s_and_saveexec_b64 s[14:15], s[0:1]
	s_cbranch_execz .LBB240_44
; %bb.12:
	v_mov_b32_e32 v3, 0x7f800000
	v_cmp_neq_f32_e64 s[0:1], |v0|, v3
	s_and_saveexec_b64 s[20:21], s[0:1]
	s_cbranch_execz .LBB240_43
; %bb.13:
	v_cvt_f32_f16_e32 v1, v2
	v_cmp_o_f16_e32 vcc, v2, v2
                                        ; implicit-def: $vgpr3
	s_and_saveexec_b64 s[0:1], vcc
	s_xor_b64 s[24:25], exec, s[0:1]
	s_cbranch_execz .LBB240_40
; %bb.14:
	s_mov_b32 s0, 0x7f800000
	v_cmp_neq_f32_e64 s[0:1], |v1|, s0
                                        ; implicit-def: $vgpr3
	s_and_saveexec_b64 s[2:3], s[0:1]
	s_xor_b64 s[26:27], exec, s[2:3]
	s_cbranch_execz .LBB240_33
; %bb.15:
	v_max_f32_e64 v2, |v0|, |v0|
	v_max_f32_e64 v3, |v1|, |v1|
	v_max_f32_e32 v2, v3, v2
	s_mov_b32 s0, 0x7ed413cb
	v_cmp_nle_f32_e64 s[0:1], s0, v2
                                        ; implicit-def: $sgpr28_sgpr29
	s_and_saveexec_b64 s[2:3], s[0:1]
	s_xor_b64 s[2:3], exec, s[2:3]
	s_cbranch_execz .LBB240_19
; %bb.16:
	s_mov_b32 s30, 0x1000000
	v_cmp_le_f32_e64 s[28:29], |v1|, s30
	v_cmp_le_f32_e64 s[30:31], |v0|, s30
	s_and_b64 s[34:35], s[28:29], s[30:31]
	s_mov_b64 s[28:29], 0
	s_and_saveexec_b64 s[30:31], s[34:35]
; %bb.17:
	s_mov_b64 s[28:29], exec
	v_mul_f32_e32 v1, 4.0, v1
	v_mul_f32_e32 v0, 4.0, v0
; %bb.18:
	s_or_b64 exec, exec, s[30:31]
.LBB240_19:
	s_andn2_saveexec_b64 s[2:3], s[2:3]
; %bb.20:
	v_mul_f32_e32 v1, 0x3e800000, v1
	v_mul_f32_e32 v0, 0x3e800000, v0
	s_andn2_b64 s[28:29], s[28:29], exec
; %bb.21:
	s_or_b64 exec, exec, s[2:3]
	v_max_f32_e64 v2, |v0|, |v0|
	v_max_f32_e64 v3, |v1|, |v1|
	v_max_f32_e32 v5, v3, v2
	v_cvt_f64_f32_e32 v[2:3], v5
	v_frexp_exp_i32_f64_e32 v2, v[2:3]
	v_sub_u32_e32 v3, 0, v2
	v_ldexp_f32 v6, |v1|, v3
	v_ldexp_f32 v3, |v0|, v3
	v_mul_f32_e32 v3, v3, v3
	v_fmac_f32_e32 v3, v6, v6
	v_sqrt_f32_e32 v3, v3
	s_mov_b32 s2, 0x7f800000
	v_cmp_neq_f32_e64 s[2:3], s2, v5
	v_cmp_le_f32_e32 vcc, 0, v1
	v_ldexp_f32 v2, v3, v2
	v_mov_b32_e32 v3, 0x7f800000
	v_cndmask_b32_e64 v3, v3, v2, s[2:3]
                                        ; implicit-def: $vgpr5
                                        ; implicit-def: $vgpr2
	s_and_saveexec_b64 s[2:3], vcc
	s_xor_b64 s[30:31], exec, s[2:3]
	s_cbranch_execz .LBB240_26
; %bb.22:
	v_add_f32_e32 v1, v1, v3
	v_mul_f32_e32 v1, 0.5, v1
	s_mov_b32 s2, 0xf800000
	v_mul_f32_e32 v2, 0x4f800000, v1
	v_cmp_gt_f32_e32 vcc, s2, v1
	s_nop 1
	v_cndmask_b32_e32 v1, v1, v2, vcc
	v_sqrt_f32_e32 v2, v1
	s_nop 0
	v_add_u32_e32 v3, -1, v2
	v_fma_f32 v5, -v3, v2, v1
	v_cmp_ge_f32_e64 s[2:3], 0, v5
	v_add_u32_e32 v5, 1, v2
	s_nop 0
	v_cndmask_b32_e64 v3, v2, v3, s[2:3]
	v_fma_f32 v2, -v5, v2, v1
	v_cmp_lt_f32_e64 s[2:3], 0, v2
	s_nop 1
	v_cndmask_b32_e64 v2, v3, v5, s[2:3]
	v_mul_f32_e32 v3, 0x37800000, v2
	v_cndmask_b32_e32 v2, v2, v3, vcc
	v_mov_b32_e32 v3, 0x260
	v_cmp_class_f32_e32 vcc, v1, v3
	s_nop 1
	v_cndmask_b32_e32 v2, v2, v1, vcc
	v_add_f32_e32 v1, v2, v2
	v_div_scale_f32 v3, s[2:3], v1, v1, v0
	v_rcp_f32_e32 v5, v3
	s_nop 0
	v_fma_f32 v6, -v3, v5, 1.0
	v_fmac_f32_e32 v5, v6, v5
	v_div_scale_f32 v6, vcc, v0, v1, v0
	v_mul_f32_e32 v7, v6, v5
	v_fma_f32 v8, -v3, v7, v6
	v_fmac_f32_e32 v7, v8, v5
	v_fma_f32 v3, -v3, v7, v6
	v_div_fmas_f32 v3, v3, v5, v7
	v_div_fixup_f32 v5, v3, v1, v0
                                        ; implicit-def: $vgpr3
                                        ; implicit-def: $vgpr1
                                        ; implicit-def: $vgpr0
	s_andn2_saveexec_b64 s[30:31], s[30:31]
	s_cbranch_execz .LBB240_28
	s_branch .LBB240_27
.LBB240_23:
	s_mov_b64 s[0:1], 0
                                        ; implicit-def: $vgpr3
                                        ; implicit-def: $vgpr2
	s_and_b64 vcc, exec, s[2:3]
	s_cbranch_vccnz .LBB240_199
	s_branch .LBB240_233
.LBB240_24:
	s_mov_b64 s[0:1], 0
                                        ; implicit-def: $vgpr3
                                        ; implicit-def: $vgpr2
	s_branch .LBB240_180
.LBB240_25:
	s_mov_b64 s[0:1], 0
                                        ; implicit-def: $vgpr3
                                        ; implicit-def: $vgpr2
	s_branch .LBB240_174
.LBB240_26:
	s_andn2_saveexec_b64 s[30:31], s[30:31]
	s_cbranch_execz .LBB240_28
.LBB240_27:
	v_sub_f32_e32 v1, v3, v1
	v_mul_f32_e32 v1, 0.5, v1
	s_mov_b32 s2, 0xf800000
	v_mul_f32_e32 v2, 0x4f800000, v1
	v_cmp_gt_f32_e32 vcc, s2, v1
	s_nop 1
	v_cndmask_b32_e32 v1, v1, v2, vcc
	v_sqrt_f32_e32 v2, v1
	s_nop 0
	v_add_u32_e32 v3, -1, v2
	v_fma_f32 v5, -v3, v2, v1
	v_cmp_ge_f32_e64 s[2:3], 0, v5
	v_add_u32_e32 v5, 1, v2
	s_nop 0
	v_cndmask_b32_e64 v3, v2, v3, s[2:3]
	v_fma_f32 v2, -v5, v2, v1
	v_cmp_lt_f32_e64 s[2:3], 0, v2
	s_nop 1
	v_cndmask_b32_e64 v2, v3, v5, s[2:3]
	v_mul_f32_e32 v3, 0x37800000, v2
	v_cndmask_b32_e32 v2, v2, v3, vcc
	v_mov_b32_e32 v3, 0x260
	v_cmp_class_f32_e32 vcc, v1, v3
	v_and_b32_e32 v3, 0x7fffffff, v0
	s_nop 0
	v_cndmask_b32_e32 v1, v2, v1, vcc
	v_add_f32_e32 v2, v1, v1
	v_div_scale_f32 v5, s[2:3], v2, v2, v3
	v_rcp_f32_e32 v6, v5
	v_div_scale_f32 v3, vcc, v3, v2, v3
	s_brev_b32 s2, -2
	v_fma_f32 v7, -v5, v6, 1.0
	v_fmac_f32_e32 v6, v7, v6
	v_mul_f32_e32 v7, v3, v6
	v_fma_f32 v8, -v5, v7, v3
	v_fmac_f32_e32 v7, v8, v6
	v_fma_f32 v3, -v5, v7, v3
	v_div_fmas_f32 v3, v3, v6, v7
	v_div_fixup_f32 v2, v3, v2, |v0|
	v_bfi_b32 v5, s2, v1, v0
.LBB240_28:
	s_or_b64 exec, exec, s[30:31]
                                        ; implicit-def: $vgpr0
                                        ; implicit-def: $vgpr3
	s_and_saveexec_b64 s[2:3], s[0:1]
	s_xor_b64 s[0:1], exec, s[2:3]
	s_cbranch_execz .LBB240_30
; %bb.29:
	v_mul_f32_e32 v0, 0.5, v2
	v_mul_f32_e32 v1, 0.5, v5
	v_cndmask_b32_e64 v3, v2, v0, s[28:29]
	v_cndmask_b32_e64 v0, v5, v1, s[28:29]
                                        ; implicit-def: $vgpr2
                                        ; implicit-def: $vgpr5
	s_andn2_saveexec_b64 s[0:1], s[0:1]
	s_cbranch_execnz .LBB240_31
	s_branch .LBB240_32
.LBB240_30:
	s_andn2_saveexec_b64 s[0:1], s[0:1]
.LBB240_31:
	v_add_f32_e32 v3, v2, v2
	v_add_f32_e32 v0, v5, v5
.LBB240_32:
	s_or_b64 exec, exec, s[0:1]
                                        ; implicit-def: $vgpr1
                                        ; implicit-def: $vgpr2
.LBB240_33:
	s_andn2_saveexec_b64 s[0:1], s[26:27]
	s_cbranch_execz .LBB240_39
; %bb.34:
	v_cmp_lt_i16_e32 vcc, -1, v2
	v_sub_f32_e32 v2, v0, v0
	s_brev_b32 s26, -2
	v_and_b32_e32 v3, 0x7fffffff, v2
	s_and_saveexec_b64 s[2:3], vcc
	s_xor_b64 s[2:3], exec, s[2:3]
; %bb.35:
	v_bfi_b32 v0, s26, v2, v0
	v_mov_b32_e32 v3, v1
; %bb.36:
	s_andn2_saveexec_b64 s[2:3], s[2:3]
; %bb.37:
	v_bfi_b32 v0, s26, v1, v0
; %bb.38:
	s_or_b64 exec, exec, s[2:3]
.LBB240_39:
	s_or_b64 exec, exec, s[0:1]
                                        ; implicit-def: $vgpr1
.LBB240_40:
	s_andn2_saveexec_b64 s[0:1], s[24:25]
	s_cbranch_execz .LBB240_42
; %bb.41:
	v_sub_f32_e32 v0, v0, v0
	v_div_scale_f32 v2, vcc, v0, v0, v0
	v_rcp_f32_e32 v3, v2
	s_nop 0
	v_fma_f32 v5, -v2, v3, 1.0
	v_fmac_f32_e32 v3, v5, v3
	v_mul_f32_e32 v5, v2, v3
	v_fma_f32 v6, -v2, v5, v2
	v_fmac_f32_e32 v5, v6, v3
	v_fma_f32 v2, -v2, v5, v2
	v_div_fmas_f32 v2, v2, v3, v5
	v_div_fixup_f32 v0, v2, v0, v0
	v_mov_b32_e32 v3, v1
.LBB240_42:
	s_or_b64 exec, exec, s[0:1]
.LBB240_43:
	s_or_b64 exec, exec, s[20:21]
.LBB240_44:
	s_or_b64 exec, exec, s[14:15]
	v_cvt_f16_f32_e32 v2, v0
	v_cvt_f16_f32_e32 v5, v3
	v_mul_lo_u32 v0, v4, s8
	v_ashrrev_i32_e32 v1, 31, v0
	v_lshlrev_b32_e32 v3, 16, v2
	s_and_b32 s24, s33, 0xff
	v_or_b32_e32 v6, v3, v5
	s_cmp_lt_i32 s24, 11
	v_lshl_add_u64 v[0:1], s[4:5], 0, v[0:1]
	s_cbranch_scc1 .LBB240_51
; %bb.45:
	s_and_b32 s25, 0xffff, s24
	s_cmp_gt_i32 s25, 25
	s_cbranch_scc0 .LBB240_54
; %bb.46:
	s_cmp_gt_i32 s25, 28
	s_cbranch_scc0 .LBB240_55
; %bb.47:
	;; [unrolled: 3-line block ×4, first 2 shown]
	s_mov_b64 s[14:15], 0
	s_mov_b64 s[0:1], -1
	s_cmp_eq_u32 s25, 46
	s_mov_b64 s[2:3], 0
	s_cbranch_scc0 .LBB240_63
; %bb.50:
	v_cvt_f32_f16_e32 v7, v2
	v_cvt_f32_f16_e32 v3, v5
	s_movk_i32 s0, 0x7fff
	v_cmp_o_f16_e32 vcc, v2, v2
	v_bfe_u32 v9, v7, 16, 1
	v_bfe_u32 v8, v3, 16, 1
	v_add3_u32 v7, v7, v9, s0
	v_add3_u32 v3, v3, v8, s0
	v_and_b32_e32 v7, 0xffff0000, v7
	v_mov_b32_e32 v8, 0x7fc00000
	v_cndmask_b32_e32 v7, v8, v7, vcc
	v_cmp_o_f16_e32 vcc, v5, v5
	v_mov_b32_e32 v8, 0x7fc0
	s_mov_b64 s[2:3], -1
	v_cndmask_b32_sdwa v3, v8, v3, vcc dst_sel:DWORD dst_unused:UNUSED_PAD src0_sel:DWORD src1_sel:WORD_1
	v_or_b32_e32 v3, v7, v3
	global_store_dword v[0:1], v3, off
	s_mov_b64 s[0:1], 0
	s_branch .LBB240_63
.LBB240_51:
	s_mov_b64 s[0:1], 0
	s_mov_b64 s[2:3], 0
	s_cbranch_execnz .LBB240_132
.LBB240_52:
	s_andn2_b64 vcc, exec, s[2:3]
	s_cbranch_vccnz .LBB240_170
.LBB240_53:
	v_add_u32_e32 v4, 0x80, v4
	s_mov_b64 s[2:3], -1
	s_branch .LBB240_284
.LBB240_54:
	s_mov_b64 s[14:15], -1
	s_mov_b64 s[0:1], 0
	s_mov_b64 s[2:3], 0
	s_branch .LBB240_90
.LBB240_55:
	s_mov_b64 s[14:15], -1
	s_mov_b64 s[0:1], 0
	s_mov_b64 s[2:3], 0
	s_branch .LBB240_73
.LBB240_56:
	s_mov_b64 s[14:15], -1
	s_mov_b64 s[0:1], 0
	s_mov_b64 s[2:3], 0
	s_branch .LBB240_69
.LBB240_57:
	s_mov_b64 s[16:17], -1
.LBB240_58:
	s_mov_b64 s[0:1], 0
                                        ; implicit-def: $vgpr3
                                        ; implicit-def: $vgpr2
.LBB240_59:
	s_and_b64 vcc, exec, s[2:3]
	s_cbranch_vccz .LBB240_173
; %bb.60:
	s_cmp_eq_u32 s20, 44
	s_cbranch_scc0 .LBB240_171
; %bb.61:
	global_load_ubyte v2, v[0:1], off
	s_movk_i32 s2, 0xff
	v_mov_b32_e32 v5, 0x7e00
	s_mov_b64 s[0:1], -1
	s_mov_b64 s[16:17], 0
	s_waitcnt vmcnt(0)
	v_lshlrev_b32_e32 v3, 23, v2
	v_cvt_f16_f32_e32 v3, v3
	v_cmp_ne_u32_e32 vcc, s2, v2
	s_nop 1
	v_cndmask_b32_e32 v3, v5, v3, vcc
	v_cmp_ne_u32_e32 vcc, 0, v2
	s_nop 1
	v_cndmask_b32_e32 v2, 0, v3, vcc
	s_branch .LBB240_172
.LBB240_62:
	s_mov_b64 s[14:15], -1
	s_mov_b64 s[0:1], 0
	s_mov_b64 s[2:3], 0
.LBB240_63:
	s_and_b64 vcc, exec, s[14:15]
	s_cbranch_vccz .LBB240_68
; %bb.64:
	s_cmp_eq_u32 s25, 44
	s_mov_b64 s[0:1], -1
	s_cbranch_scc0 .LBB240_68
; %bb.65:
	v_cvt_f32_f16_e32 v3, v5
	s_movk_i32 s0, 0xff
	v_mov_b32_e32 v8, 0xff
	v_bfe_u32 v7, v3, 23, 8
	v_cmp_ne_u32_e32 vcc, s0, v7
	s_and_saveexec_b64 s[2:3], vcc
; %bb.66:
	s_mov_b32 s0, 0x3fffff
	v_lshrrev_b32_e32 v8, 23, v3
	v_and_b32_e32 v9, 0x400000, v3
	v_and_or_b32 v3, v3, s0, v7
	v_cmp_ne_u32_e32 vcc, 0, v9
	v_cmp_ne_u32_e64 s[0:1], 0, v3
	s_and_b64 s[0:1], vcc, s[0:1]
	s_nop 0
	v_cndmask_b32_e64 v3, 0, 1, s[0:1]
	v_add_u32_e32 v8, v8, v3
; %bb.67:
	s_or_b64 exec, exec, s[2:3]
	s_mov_b64 s[2:3], -1
	s_mov_b64 s[0:1], 0
	global_store_byte v[0:1], v8, off
.LBB240_68:
	s_mov_b64 s[14:15], 0
.LBB240_69:
	s_and_b64 vcc, exec, s[14:15]
	s_cbranch_vccz .LBB240_72
; %bb.70:
	s_cmp_eq_u32 s25, 29
	s_mov_b64 s[0:1], -1
	s_cbranch_scc0 .LBB240_72
; %bb.71:
	v_cvt_f32_f16_e32 v3, v5
	v_mov_b32_e32 v9, 0
	s_mov_b64 s[2:3], -1
	s_mov_b64 s[0:1], 0
	v_cvt_u32_f32_e32 v8, v3
	s_mov_b64 s[14:15], 0
	global_store_dwordx2 v[0:1], v[8:9], off
	s_branch .LBB240_73
.LBB240_72:
	s_mov_b64 s[14:15], 0
.LBB240_73:
	s_and_b64 vcc, exec, s[14:15]
	s_cbranch_vccz .LBB240_89
; %bb.74:
	s_cmp_lt_i32 s25, 27
	s_mov_b64 s[2:3], -1
	s_cbranch_scc1 .LBB240_80
; %bb.75:
	s_cmp_gt_i32 s25, 27
	s_cbranch_scc0 .LBB240_77
; %bb.76:
	v_cvt_f32_f16_e32 v3, v5
	s_mov_b64 s[2:3], 0
	v_cvt_u32_f32_e32 v3, v3
	global_store_dword v[0:1], v3, off
.LBB240_77:
	s_andn2_b64 vcc, exec, s[2:3]
	s_cbranch_vccnz .LBB240_79
; %bb.78:
	v_cvt_u16_f16_e32 v3, v5
	global_store_short v[0:1], v3, off
.LBB240_79:
	s_mov_b64 s[2:3], 0
.LBB240_80:
	s_andn2_b64 vcc, exec, s[2:3]
	s_cbranch_vccnz .LBB240_88
; %bb.81:
	v_cvt_f32_f16_e32 v3, v5
	s_mov_b32 s2, 0x43800000
	v_mov_b32_e32 v8, 0x80
	v_and_b32_e32 v7, 0x7fffffff, v3
	v_cmp_gt_u32_e32 vcc, s2, v7
	s_and_saveexec_b64 s[2:3], vcc
	s_cbranch_execz .LBB240_87
; %bb.82:
	s_mov_b32 s14, 0x3bffffff
	v_cmp_lt_u32_e32 vcc, s14, v7
	s_mov_b64 s[14:15], 0
                                        ; implicit-def: $vgpr7
	s_and_saveexec_b64 s[20:21], vcc
	s_xor_b64 s[20:21], exec, s[20:21]
	s_cbranch_execz .LBB240_314
; %bb.83:
	v_bfe_u32 v7, v3, 20, 1
	s_mov_b32 s26, 0x487ffff
	v_add3_u32 v7, v3, v7, s26
	s_mov_b64 s[14:15], exec
	v_lshrrev_b32_e32 v7, 20, v7
	s_andn2_saveexec_b64 s[20:21], s[20:21]
	s_cbranch_execnz .LBB240_315
.LBB240_84:
	s_or_b64 exec, exec, s[20:21]
	v_mov_b32_e32 v8, 0
	s_and_saveexec_b64 s[20:21], s[14:15]
.LBB240_85:
	v_lshrrev_b32_e32 v3, 24, v3
	s_movk_i32 s14, 0x80
	v_and_or_b32 v8, v3, s14, v7
.LBB240_86:
	s_or_b64 exec, exec, s[20:21]
.LBB240_87:
	s_or_b64 exec, exec, s[2:3]
	global_store_byte v[0:1], v8, off
.LBB240_88:
	s_mov_b64 s[2:3], -1
.LBB240_89:
	s_mov_b64 s[14:15], 0
.LBB240_90:
	s_and_b64 vcc, exec, s[14:15]
	s_cbranch_vccz .LBB240_131
; %bb.91:
	s_cmp_gt_i32 s25, 22
	s_mov_b64 s[14:15], -1
	s_cbranch_scc0 .LBB240_123
; %bb.92:
	s_cmp_lt_i32 s25, 24
	s_mov_b64 s[2:3], -1
	s_cbranch_scc1 .LBB240_112
; %bb.93:
	s_cmp_gt_i32 s25, 24
	s_cbranch_scc0 .LBB240_101
; %bb.94:
	v_cvt_f32_f16_e32 v3, v5
	s_mov_b32 s2, 0x47800000
	v_mov_b32_e32 v8, 0x80
	v_and_b32_e32 v7, 0x7fffffff, v3
	v_cmp_gt_u32_e32 vcc, s2, v7
	s_and_saveexec_b64 s[2:3], vcc
	s_cbranch_execz .LBB240_100
; %bb.95:
	s_mov_b32 s14, 0x37ffffff
	v_cmp_lt_u32_e32 vcc, s14, v7
	s_mov_b64 s[14:15], 0
                                        ; implicit-def: $vgpr7
	s_and_saveexec_b64 s[20:21], vcc
	s_xor_b64 s[20:21], exec, s[20:21]
	s_cbranch_execz .LBB240_346
; %bb.96:
	v_bfe_u32 v7, v3, 21, 1
	s_mov_b32 s26, 0x88fffff
	v_add3_u32 v7, v3, v7, s26
	s_mov_b64 s[14:15], exec
	v_lshrrev_b32_e32 v7, 21, v7
	s_andn2_saveexec_b64 s[20:21], s[20:21]
	s_cbranch_execnz .LBB240_347
.LBB240_97:
	s_or_b64 exec, exec, s[20:21]
	v_mov_b32_e32 v8, 0
	s_and_saveexec_b64 s[20:21], s[14:15]
.LBB240_98:
	v_lshrrev_b32_e32 v3, 24, v3
	s_movk_i32 s14, 0x80
	v_and_or_b32 v8, v3, s14, v7
.LBB240_99:
	s_or_b64 exec, exec, s[20:21]
.LBB240_100:
	s_or_b64 exec, exec, s[2:3]
	s_mov_b64 s[2:3], 0
	global_store_byte v[0:1], v8, off
.LBB240_101:
	s_and_b64 vcc, exec, s[2:3]
	s_cbranch_vccz .LBB240_111
; %bb.102:
	v_cvt_f32_f16_e32 v3, v5
	s_mov_b32 s2, 0x43f00000
                                        ; implicit-def: $vgpr7
	v_and_b32_e32 v8, 0x7fffffff, v3
	v_cmp_gt_u32_e32 vcc, s2, v8
	s_and_saveexec_b64 s[2:3], vcc
	s_xor_b64 s[2:3], exec, s[2:3]
	s_cbranch_execz .LBB240_108
; %bb.103:
	s_mov_b32 s14, 0x3c7fffff
	v_cmp_lt_u32_e32 vcc, s14, v8
                                        ; implicit-def: $vgpr7
	s_and_saveexec_b64 s[14:15], vcc
	s_xor_b64 s[14:15], exec, s[14:15]
; %bb.104:
	v_bfe_u32 v7, v3, 20, 1
	s_mov_b32 s20, 0x407ffff
	v_add3_u32 v7, v3, v7, s20
	v_lshrrev_b32_e32 v8, 20, v7
	v_and_b32_e32 v7, 0xff00000, v7
	s_mov_b32 s20, 0x7f00000
	v_mov_b32_e32 v9, 0x7e
	v_cmp_ne_u32_e32 vcc, s20, v7
	s_nop 1
	v_cndmask_b32_e32 v7, v9, v8, vcc
; %bb.105:
	s_andn2_saveexec_b64 s[14:15], s[14:15]
; %bb.106:
	s_mov_b32 s20, 0x46800000
	v_add_f32_e64 v7, |v3|, s20
; %bb.107:
	s_or_b64 exec, exec, s[14:15]
                                        ; implicit-def: $vgpr8
.LBB240_108:
	s_andn2_saveexec_b64 s[2:3], s[2:3]
; %bb.109:
	s_mov_b32 s14, 0x7f800000
	v_mov_b32_e32 v7, 0x7e
	v_mov_b32_e32 v9, 0x7f
	v_cmp_lt_u32_e32 vcc, s14, v8
	s_nop 1
	v_cndmask_b32_e32 v7, v7, v9, vcc
; %bb.110:
	s_or_b64 exec, exec, s[2:3]
	v_lshrrev_b32_e32 v3, 24, v3
	s_movk_i32 s2, 0x80
	v_and_or_b32 v3, v3, s2, v7
	global_store_byte v[0:1], v3, off
.LBB240_111:
	s_mov_b64 s[2:3], 0
.LBB240_112:
	s_andn2_b64 vcc, exec, s[2:3]
	s_cbranch_vccnz .LBB240_122
; %bb.113:
	v_cvt_f32_f16_e32 v3, v5
	s_mov_b32 s2, 0x47800000
                                        ; implicit-def: $vgpr7
	v_and_b32_e32 v8, 0x7fffffff, v3
	v_cmp_gt_u32_e32 vcc, s2, v8
	s_and_saveexec_b64 s[2:3], vcc
	s_xor_b64 s[2:3], exec, s[2:3]
	s_cbranch_execz .LBB240_119
; %bb.114:
	s_mov_b32 s14, 0x387fffff
	v_cmp_lt_u32_e32 vcc, s14, v8
                                        ; implicit-def: $vgpr7
	s_and_saveexec_b64 s[14:15], vcc
	s_xor_b64 s[14:15], exec, s[14:15]
; %bb.115:
	v_bfe_u32 v7, v3, 21, 1
	s_mov_b32 s20, 0x80fffff
	v_add3_u32 v7, v3, v7, s20
	v_lshrrev_b32_e32 v7, 21, v7
; %bb.116:
	s_andn2_saveexec_b64 s[14:15], s[14:15]
; %bb.117:
	s_mov_b32 s20, 0x43000000
	v_add_f32_e64 v7, |v3|, s20
; %bb.118:
	s_or_b64 exec, exec, s[14:15]
                                        ; implicit-def: $vgpr8
.LBB240_119:
	s_andn2_saveexec_b64 s[2:3], s[2:3]
; %bb.120:
	s_mov_b32 s14, 0x7f800000
	v_mov_b32_e32 v7, 0x7c
	v_mov_b32_e32 v9, 0x7f
	v_cmp_lt_u32_e32 vcc, s14, v8
	s_nop 1
	v_cndmask_b32_e32 v7, v7, v9, vcc
; %bb.121:
	s_or_b64 exec, exec, s[2:3]
	v_lshrrev_b32_e32 v3, 24, v3
	s_movk_i32 s2, 0x80
	v_and_or_b32 v3, v3, s2, v7
	global_store_byte v[0:1], v3, off
.LBB240_122:
	s_mov_b64 s[14:15], 0
	s_mov_b64 s[2:3], -1
.LBB240_123:
	s_andn2_b64 vcc, exec, s[14:15]
	s_cbranch_vccnz .LBB240_131
; %bb.124:
	s_cmp_gt_i32 s25, 14
	s_mov_b64 s[14:15], -1
	s_cbranch_scc0 .LBB240_128
; %bb.125:
	s_cmp_eq_u32 s25, 15
	s_mov_b64 s[0:1], -1
	s_cbranch_scc0 .LBB240_127
; %bb.126:
	v_cvt_f32_f16_e32 v3, v5
	s_movk_i32 s0, 0x7fff
	v_cmp_o_f16_e32 vcc, v5, v5
	v_mov_b32_e32 v7, 0x7fc0
	v_bfe_u32 v8, v3, 16, 1
	v_add3_u32 v3, v3, v8, s0
	v_cndmask_b32_sdwa v3, v7, v3, vcc dst_sel:DWORD dst_unused:UNUSED_PAD src0_sel:DWORD src1_sel:WORD_1
	global_store_short v[0:1], v3, off
	s_mov_b64 s[2:3], -1
	s_mov_b64 s[0:1], 0
.LBB240_127:
	s_mov_b64 s[14:15], 0
.LBB240_128:
	s_and_b64 vcc, exec, s[14:15]
	s_cbranch_vccz .LBB240_131
; %bb.129:
	s_cmp_eq_u32 s25, 11
	s_mov_b64 s[0:1], -1
	s_cbranch_scc0 .LBB240_131
; %bb.130:
	v_and_b32_e32 v3, 0x7fff7fff, v6
	v_cmp_ne_u32_e32 vcc, 0, v3
	s_mov_b64 s[2:3], -1
	s_mov_b64 s[0:1], 0
	v_cndmask_b32_e64 v3, 0, 1, vcc
	global_store_byte v[0:1], v3, off
.LBB240_131:
	s_branch .LBB240_52
.LBB240_132:
	s_and_b32 s14, 0xffff, s24
	s_cmp_lt_i32 s14, 5
	s_mov_b64 s[2:3], -1
	s_cbranch_scc1 .LBB240_153
; %bb.133:
	s_cmp_lt_i32 s14, 8
	s_cbranch_scc1 .LBB240_143
; %bb.134:
	s_cmp_lt_i32 s14, 9
	s_cbranch_scc1 .LBB240_140
; %bb.135:
	v_cvt_f32_f16_e32 v3, v2
	s_cmp_gt_i32 s14, 9
	s_cbranch_scc0 .LBB240_137
; %bb.136:
	v_cvt_f32_f16_e32 v2, v5
	v_cvt_f64_f32_e32 v[10:11], v3
	s_mov_b64 s[2:3], 0
	v_cvt_f64_f32_e32 v[8:9], v2
	global_store_dwordx4 v[0:1], v[8:11], off
.LBB240_137:
	s_andn2_b64 vcc, exec, s[2:3]
	s_cbranch_vccnz .LBB240_139
; %bb.138:
	v_cvt_f32_f16_e32 v2, v5
	global_store_dwordx2 v[0:1], v[2:3], off
.LBB240_139:
	s_mov_b64 s[2:3], 0
.LBB240_140:
	s_andn2_b64 vcc, exec, s[2:3]
	s_cbranch_vccnz .LBB240_142
; %bb.141:
	global_store_dword v[0:1], v6, off
.LBB240_142:
	s_mov_b64 s[2:3], 0
.LBB240_143:
	s_andn2_b64 vcc, exec, s[2:3]
	s_cbranch_vccnz .LBB240_152
; %bb.144:
	s_cmp_lt_i32 s14, 6
	s_mov_b64 s[2:3], -1
	s_cbranch_scc1 .LBB240_150
; %bb.145:
	s_cmp_gt_i32 s14, 6
	s_cbranch_scc0 .LBB240_147
; %bb.146:
	v_cvt_f32_f16_e32 v2, v5
	s_mov_b64 s[2:3], 0
	v_cvt_f64_f32_e32 v[2:3], v2
	global_store_dwordx2 v[0:1], v[2:3], off
.LBB240_147:
	s_andn2_b64 vcc, exec, s[2:3]
	s_cbranch_vccnz .LBB240_149
; %bb.148:
	v_cvt_f32_f16_e32 v2, v5
	global_store_dword v[0:1], v2, off
.LBB240_149:
	s_mov_b64 s[2:3], 0
.LBB240_150:
	s_andn2_b64 vcc, exec, s[2:3]
	s_cbranch_vccnz .LBB240_152
; %bb.151:
	global_store_short v[0:1], v5, off
.LBB240_152:
	s_mov_b64 s[2:3], 0
.LBB240_153:
	s_andn2_b64 vcc, exec, s[2:3]
	s_cbranch_vccnz .LBB240_169
; %bb.154:
	s_cmp_lt_i32 s14, 2
	s_mov_b64 s[2:3], -1
	s_cbranch_scc1 .LBB240_164
; %bb.155:
	s_cmp_lt_i32 s14, 3
	s_cbranch_scc1 .LBB240_161
; %bb.156:
	s_cmp_gt_i32 s14, 3
	s_cbranch_scc0 .LBB240_158
; %bb.157:
	v_cvt_f32_f16_e32 v2, v5
	s_mov_b64 s[2:3], 0
	v_cvt_i32_f32_e32 v2, v2
	v_ashrrev_i32_e32 v3, 31, v2
	global_store_dwordx2 v[0:1], v[2:3], off
.LBB240_158:
	s_andn2_b64 vcc, exec, s[2:3]
	s_cbranch_vccnz .LBB240_160
; %bb.159:
	v_cvt_f32_f16_e32 v2, v5
	v_cvt_i32_f32_e32 v2, v2
	global_store_dword v[0:1], v2, off
.LBB240_160:
	s_mov_b64 s[2:3], 0
.LBB240_161:
	s_andn2_b64 vcc, exec, s[2:3]
	s_cbranch_vccnz .LBB240_163
; %bb.162:
	v_cvt_i16_f16_e32 v2, v5
	global_store_short v[0:1], v2, off
.LBB240_163:
	s_mov_b64 s[2:3], 0
.LBB240_164:
	s_andn2_b64 vcc, exec, s[2:3]
	s_cbranch_vccnz .LBB240_169
; %bb.165:
	s_cmp_gt_i32 s14, 0
	s_mov_b64 s[2:3], -1
	s_cbranch_scc0 .LBB240_167
; %bb.166:
	v_cvt_i16_f16_e32 v2, v5
	global_store_byte v[0:1], v2, off
	s_mov_b64 s[2:3], 0
.LBB240_167:
	s_andn2_b64 vcc, exec, s[2:3]
	s_cbranch_vccnz .LBB240_169
; %bb.168:
	v_cvt_f32_f16_e32 v2, v5
	v_cvt_i32_f32_e32 v2, v2
	global_store_byte v[0:1], v2, off
.LBB240_169:
	s_branch .LBB240_53
.LBB240_170:
	s_mov_b64 s[2:3], 0
                                        ; implicit-def: $vgpr4
	s_branch .LBB240_284
.LBB240_171:
	s_mov_b64 s[16:17], -1
                                        ; implicit-def: $vgpr2
.LBB240_172:
	v_mov_b32_e32 v3, 0
.LBB240_173:
	s_mov_b64 s[2:3], 0
.LBB240_174:
	s_and_b64 vcc, exec, s[2:3]
	s_cbranch_vccz .LBB240_179
; %bb.175:
	s_cmp_eq_u32 s20, 29
	s_cbranch_scc0 .LBB240_177
; %bb.176:
	global_load_dwordx2 v[2:3], v[0:1], off
	s_mov_b64 s[0:1], -1
	s_mov_b64 s[16:17], 0
	s_waitcnt vmcnt(0)
	v_ffbh_u32_e32 v5, v3
	v_min_u32_e32 v5, 32, v5
	v_lshlrev_b64 v[2:3], v5, v[2:3]
	v_min_u32_e32 v2, 1, v2
	v_or_b32_e32 v2, v3, v2
	v_cvt_f32_u32_e32 v2, v2
	v_sub_u32_e32 v3, 32, v5
	v_ldexp_f32 v2, v2, v3
	v_cvt_f16_f32_e32 v2, v2
	s_branch .LBB240_178
.LBB240_177:
	s_mov_b64 s[16:17], -1
                                        ; implicit-def: $vgpr2
.LBB240_178:
	v_mov_b32_e32 v3, 0
.LBB240_179:
	s_mov_b64 s[2:3], 0
.LBB240_180:
	s_and_b64 vcc, exec, s[2:3]
	s_cbranch_vccz .LBB240_198
; %bb.181:
	s_cmp_lt_i32 s20, 27
	s_cbranch_scc1 .LBB240_184
; %bb.182:
	s_cmp_gt_i32 s20, 27
	s_cbranch_scc0 .LBB240_185
; %bb.183:
	global_load_dword v2, v[0:1], off
	s_mov_b64 s[0:1], 0
	s_waitcnt vmcnt(0)
	v_cvt_f32_u32_e32 v2, v2
	v_cvt_f16_f32_e32 v2, v2
	s_branch .LBB240_186
.LBB240_184:
	s_mov_b64 s[0:1], -1
                                        ; implicit-def: $vgpr2
	s_branch .LBB240_189
.LBB240_185:
	s_mov_b64 s[0:1], -1
                                        ; implicit-def: $vgpr2
.LBB240_186:
	s_andn2_b64 vcc, exec, s[0:1]
	s_cbranch_vccnz .LBB240_188
; %bb.187:
	global_load_ushort v2, v[0:1], off
	s_waitcnt vmcnt(0)
	v_cvt_f16_u16_e32 v2, v2
.LBB240_188:
	s_mov_b64 s[0:1], 0
.LBB240_189:
	s_andn2_b64 vcc, exec, s[0:1]
	s_cbranch_vccnz .LBB240_197
; %bb.190:
	global_load_ubyte v3, v[0:1], off
	s_movk_i32 s0, 0x7f
	s_waitcnt vmcnt(0)
	v_cmp_lt_i16_e32 vcc, s0, v3
	s_mov_b64 s[0:1], 0
	s_and_saveexec_b64 s[2:3], vcc
	s_xor_b64 s[2:3], exec, s[2:3]
	s_cbranch_execz .LBB240_210
; %bb.191:
	s_movk_i32 s0, 0x80
	v_cmp_eq_u16_e32 vcc, s0, v3
	s_mov_b64 s[0:1], -1
	s_and_saveexec_b64 s[14:15], vcc
; %bb.192:
	s_xor_b64 s[0:1], exec, -1
; %bb.193:
	s_or_b64 exec, exec, s[14:15]
	s_and_b64 s[0:1], s[0:1], exec
	s_or_saveexec_b64 s[2:3], s[2:3]
	v_mov_b32_e32 v2, 0x7e00
	s_xor_b64 exec, exec, s[2:3]
	s_cbranch_execnz .LBB240_211
.LBB240_194:
	s_or_b64 exec, exec, s[2:3]
	s_and_saveexec_b64 s[2:3], s[0:1]
	s_cbranch_execz .LBB240_196
.LBB240_195:
	v_lshlrev_b32_e32 v2, 24, v3
	v_and_b32_e32 v3, 0xffff, v3
	v_and_b32_e32 v5, 7, v3
	v_ffbh_u32_e32 v7, v5
	v_min_u32_e32 v7, 32, v7
	v_subrev_u32_e32 v8, 28, v7
	v_bfe_u32 v6, v3, 3, 4
	v_lshlrev_b32_e32 v3, v8, v3
	v_sub_u32_e32 v7, 29, v7
	v_and_b32_e32 v3, 7, v3
	v_cmp_eq_u32_e32 vcc, 0, v6
	v_and_b32_e32 v2, 0x80000000, v2
	s_nop 0
	v_cndmask_b32_e32 v6, v6, v7, vcc
	v_cndmask_b32_e32 v3, v5, v3, vcc
	v_mov_b32_e32 v5, 0x3b800000
	v_lshlrev_b32_e32 v3, 20, v3
	v_lshl_add_u32 v5, v6, 23, v5
	v_or3_b32 v2, v2, v5, v3
	v_cvt_f16_f32_e32 v2, v2
.LBB240_196:
	s_or_b64 exec, exec, s[2:3]
.LBB240_197:
	s_mov_b64 s[0:1], -1
	v_mov_b32_e32 v3, 0
.LBB240_198:
	s_branch .LBB240_233
.LBB240_199:
	s_cmp_gt_i32 s20, 22
	s_cbranch_scc0 .LBB240_209
; %bb.200:
	s_cmp_lt_i32 s20, 24
	s_cbranch_scc1 .LBB240_212
; %bb.201:
	s_cmp_gt_i32 s20, 24
	s_cbranch_scc0 .LBB240_213
; %bb.202:
	global_load_ubyte v3, v[0:1], off
	s_movk_i32 s0, 0x7f
	s_waitcnt vmcnt(0)
	v_cmp_lt_i16_e32 vcc, s0, v3
	s_mov_b64 s[0:1], 0
	s_and_saveexec_b64 s[2:3], vcc
	s_xor_b64 s[2:3], exec, s[2:3]
	s_cbranch_execz .LBB240_224
; %bb.203:
	s_movk_i32 s0, 0x80
	v_cmp_eq_u16_e32 vcc, s0, v3
	s_mov_b64 s[0:1], -1
	s_and_saveexec_b64 s[14:15], vcc
; %bb.204:
	s_xor_b64 s[0:1], exec, -1
; %bb.205:
	s_or_b64 exec, exec, s[14:15]
	s_and_b64 s[0:1], s[0:1], exec
	s_or_saveexec_b64 s[2:3], s[2:3]
	v_mov_b32_e32 v2, 0x7e00
	s_xor_b64 exec, exec, s[2:3]
	s_cbranch_execnz .LBB240_225
.LBB240_206:
	s_or_b64 exec, exec, s[2:3]
	s_and_saveexec_b64 s[2:3], s[0:1]
	s_cbranch_execz .LBB240_208
.LBB240_207:
	v_lshlrev_b32_e32 v2, 24, v3
	v_and_b32_e32 v3, 0xffff, v3
	v_and_b32_e32 v5, 3, v3
	v_ffbh_u32_e32 v7, v5
	v_min_u32_e32 v7, 32, v7
	v_subrev_u32_e32 v8, 29, v7
	v_bfe_u32 v6, v3, 2, 5
	v_lshlrev_b32_e32 v3, v8, v3
	v_sub_u32_e32 v7, 30, v7
	v_and_b32_e32 v3, 3, v3
	v_cmp_eq_u32_e32 vcc, 0, v6
	v_and_b32_e32 v2, 0x80000000, v2
	s_nop 0
	v_cndmask_b32_e32 v6, v6, v7, vcc
	v_cndmask_b32_e32 v3, v5, v3, vcc
	v_mov_b32_e32 v5, 0x37800000
	v_lshlrev_b32_e32 v3, 21, v3
	v_lshl_add_u32 v5, v6, 23, v5
	v_or3_b32 v2, v2, v5, v3
	v_cvt_f16_f32_e32 v2, v2
.LBB240_208:
	s_or_b64 exec, exec, s[2:3]
	s_mov_b64 s[0:1], 0
	s_branch .LBB240_214
.LBB240_209:
                                        ; implicit-def: $vgpr2
	s_branch .LBB240_220
.LBB240_210:
	s_or_saveexec_b64 s[2:3], s[2:3]
	v_mov_b32_e32 v2, 0x7e00
	s_xor_b64 exec, exec, s[2:3]
	s_cbranch_execz .LBB240_194
.LBB240_211:
	v_cmp_ne_u16_e32 vcc, 0, v3
	s_andn2_b64 s[0:1], s[0:1], exec
	s_and_b64 s[14:15], vcc, exec
	s_or_b64 s[0:1], s[0:1], s[14:15]
	v_mov_b32_e32 v2, v3
	s_or_b64 exec, exec, s[2:3]
	s_and_saveexec_b64 s[2:3], s[0:1]
	s_cbranch_execnz .LBB240_195
	s_branch .LBB240_196
.LBB240_212:
	s_mov_b64 s[0:1], -1
                                        ; implicit-def: $vgpr2
	s_branch .LBB240_217
.LBB240_213:
	s_mov_b64 s[0:1], -1
                                        ; implicit-def: $vgpr2
.LBB240_214:
	s_and_b64 vcc, exec, s[0:1]
	s_cbranch_vccz .LBB240_216
; %bb.215:
	global_load_ubyte v2, v[0:1], off
	s_mov_b32 s0, 0x7f800000
	s_waitcnt vmcnt(0)
	v_lshlrev_b32_e32 v2, 24, v2
	v_and_b32_e32 v3, 0x7f000000, v2
	v_ffbh_u32_e32 v5, v3
	v_min_u32_e32 v5, 32, v5
	v_sub_u32_e64 v5, v5, 4 clamp
	v_lshlrev_b32_e32 v7, v5, v3
	v_lshlrev_b32_e32 v5, 23, v5
	v_lshrrev_b32_e32 v7, 4, v7
	v_add_u32_e32 v6, 0x1000000, v3
	v_sub_u32_e32 v5, v7, v5
	v_ashrrev_i32_e32 v6, 8, v6
	v_add_u32_e32 v5, 0x3c000000, v5
	v_and_or_b32 v5, v6, s0, v5
	v_cmp_ne_u32_e32 vcc, 0, v3
	s_brev_b32 s0, 1
	s_nop 0
	v_cndmask_b32_e32 v3, 0, v5, vcc
	v_and_or_b32 v2, v2, s0, v3
	v_cvt_f16_f32_e32 v2, v2
.LBB240_216:
	s_mov_b64 s[0:1], 0
.LBB240_217:
	s_andn2_b64 vcc, exec, s[0:1]
	s_cbranch_vccnz .LBB240_219
; %bb.218:
	global_load_ubyte v2, v[0:1], off
	s_movk_i32 s0, 0x7f00
	s_brev_b32 s1, 16
	s_waitcnt vmcnt(0)
	v_lshlrev_b16_e32 v3, 8, v2
	v_lshlrev_b32_e32 v2, 25, v2
	v_lshrrev_b32_e32 v5, 4, v2
	v_and_or_b32 v6, v3, s0, 0.5
	v_or_b32_e32 v5, 0x70000000, v5
	v_add_f32_e32 v6, -0.5, v6
	v_mul_f32_e32 v5, 0x7800000, v5
	v_cmp_gt_u32_e32 vcc, s1, v2
	v_bfe_i32 v3, v3, 0, 16
	s_brev_b32 s0, 1
	v_cndmask_b32_e32 v2, v5, v6, vcc
	v_and_or_b32 v2, v3, s0, v2
	v_cvt_f16_f32_e32 v2, v2
.LBB240_219:
	s_mov_b64 s[0:1], -1
	s_cbranch_execnz .LBB240_232
.LBB240_220:
	s_cmp_gt_i32 s20, 14
	s_cbranch_scc0 .LBB240_223
; %bb.221:
	s_cmp_eq_u32 s20, 15
	s_cbranch_scc0 .LBB240_226
; %bb.222:
	global_load_ushort v2, v[0:1], off
	s_mov_b64 s[0:1], -1
	s_mov_b64 s[16:17], 0
	s_waitcnt vmcnt(0)
	v_lshlrev_b32_e32 v2, 16, v2
	v_cvt_f16_f32_e32 v2, v2
	s_branch .LBB240_227
.LBB240_223:
	s_mov_b64 s[2:3], -1
                                        ; implicit-def: $vgpr2
	s_branch .LBB240_228
.LBB240_224:
	s_or_saveexec_b64 s[2:3], s[2:3]
	v_mov_b32_e32 v2, 0x7e00
	s_xor_b64 exec, exec, s[2:3]
	s_cbranch_execz .LBB240_206
.LBB240_225:
	v_cmp_ne_u16_e32 vcc, 0, v3
	s_andn2_b64 s[0:1], s[0:1], exec
	s_and_b64 s[14:15], vcc, exec
	s_or_b64 s[0:1], s[0:1], s[14:15]
	v_mov_b32_e32 v2, v3
	s_or_b64 exec, exec, s[2:3]
	s_and_saveexec_b64 s[2:3], s[0:1]
	s_cbranch_execnz .LBB240_207
	s_branch .LBB240_208
.LBB240_226:
	s_mov_b64 s[16:17], -1
                                        ; implicit-def: $vgpr2
.LBB240_227:
	s_mov_b64 s[2:3], 0
.LBB240_228:
	s_and_b64 vcc, exec, s[2:3]
	s_cbranch_vccz .LBB240_232
; %bb.229:
	s_cmp_eq_u32 s20, 11
	s_cbranch_scc0 .LBB240_231
; %bb.230:
	global_load_ubyte v2, v[0:1], off
	v_mov_b32_e32 v3, 0x3c00
	s_mov_b64 s[0:1], -1
	s_mov_b64 s[16:17], 0
	s_waitcnt vmcnt(0)
	v_cmp_ne_u16_e32 vcc, 0, v2
	s_nop 1
	v_cndmask_b32_e32 v2, 0, v3, vcc
	s_branch .LBB240_232
.LBB240_231:
	s_mov_b64 s[16:17], -1
                                        ; implicit-def: $vgpr2
.LBB240_232:
	v_mov_b32_e32 v3, 0
.LBB240_233:
	s_branch .LBB240_10
.LBB240_234:
	s_cmp_lt_i32 s20, 5
	s_cbranch_scc1 .LBB240_239
; %bb.235:
	s_cmp_lt_i32 s20, 8
	s_cbranch_scc1 .LBB240_240
; %bb.236:
	;; [unrolled: 3-line block ×3, first 2 shown]
	s_cmp_gt_i32 s20, 9
	s_cbranch_scc0 .LBB240_242
; %bb.238:
	global_load_dwordx4 v[6:9], v[0:1], off
	s_movk_i32 s0, 0x1ff
	s_movk_i32 s1, 0xffe
	v_mov_b32_e32 v2, 0x7c00
	v_mov_b32_e32 v3, 0x7e00
	s_movk_i32 s2, 0x40f
	s_mov_b32 s3, 0x8000
	s_waitcnt vmcnt(0)
	v_and_or_b32 v5, v7, s0, v6
	v_and_or_b32 v8, v9, s0, v8
	v_cmp_ne_u32_e32 vcc, 0, v5
	v_lshrrev_b32_e32 v6, 8, v7
	v_bfe_u32 v10, v7, 20, 11
	v_cndmask_b32_e64 v5, 0, 1, vcc
	v_cmp_ne_u32_e32 vcc, 0, v8
	v_lshrrev_b32_e32 v11, 8, v9
	v_bfe_u32 v12, v9, 20, 11
	v_sub_u32_e32 v13, 0x3f1, v10
	v_cndmask_b32_e64 v8, 0, 1, vcc
	v_and_or_b32 v5, v6, s1, v5
	v_add_u32_e32 v10, 0xfffffc10, v10
	v_sub_u32_e32 v14, 0x3f1, v12
	v_add_u32_e32 v12, 0xfffffc10, v12
	v_med3_i32 v6, v13, 0, 13
	v_and_or_b32 v8, v11, s1, v8
	v_or_b32_e32 v13, 0x1000, v5
	v_cmp_ne_u32_e32 vcc, 0, v5
	v_med3_i32 v11, v14, 0, 13
	v_lshl_or_b32 v14, v10, 12, v5
	v_cndmask_b32_e32 v5, v2, v3, vcc
	v_or_b32_e32 v15, 0x1000, v8
	v_lshl_or_b32 v16, v12, 12, v8
	v_cmp_ne_u32_e32 vcc, 0, v8
	v_lshrrev_b32_e32 v8, v6, v13
	v_lshrrev_b32_e32 v17, v11, v15
	v_lshlrev_b32_e32 v6, v6, v8
	v_cndmask_b32_e32 v3, v2, v3, vcc
	v_lshlrev_b32_e32 v11, v11, v17
	v_cmp_ne_u32_e32 vcc, v6, v13
	v_lshrrev_b32_e32 v7, 16, v7
	v_lshrrev_b32_e32 v9, 16, v9
	v_cndmask_b32_e64 v6, 0, 1, vcc
	v_cmp_ne_u32_e32 vcc, v11, v15
	v_or_b32_e32 v6, v8, v6
	s_mov_b64 s[0:1], 0
	v_cndmask_b32_e64 v11, 0, 1, vcc
	v_cmp_gt_i32_e32 vcc, 1, v10
	v_or_b32_e32 v8, v17, v11
	s_nop 0
	v_cndmask_b32_e32 v6, v14, v6, vcc
	v_cmp_gt_i32_e32 vcc, 1, v12
	v_and_b32_e32 v11, 7, v6
	v_lshrrev_b32_e32 v6, 2, v6
	v_cndmask_b32_e32 v8, v16, v8, vcc
	v_cmp_lt_i32_e32 vcc, 5, v11
	v_and_b32_e32 v13, 7, v8
	v_lshrrev_b32_e32 v8, 2, v8
	v_cndmask_b32_e64 v14, 0, 1, vcc
	v_cmp_eq_u32_e32 vcc, 3, v11
	s_nop 1
	v_cndmask_b32_e64 v11, 0, 1, vcc
	v_cmp_lt_i32_e32 vcc, 5, v13
	v_or_b32_e32 v11, v11, v14
	v_add_u32_e32 v6, v6, v11
	v_cndmask_b32_e64 v15, 0, 1, vcc
	v_cmp_eq_u32_e32 vcc, 3, v13
	s_nop 1
	v_cndmask_b32_e64 v13, 0, 1, vcc
	v_or_b32_e32 v13, v13, v15
	v_cmp_gt_i32_e32 vcc, 31, v10
	v_add_u32_e32 v8, v8, v13
	s_nop 0
	v_cndmask_b32_e32 v6, v2, v6, vcc
	v_cmp_gt_i32_e32 vcc, 31, v12
	s_nop 1
	v_cndmask_b32_e32 v2, v2, v8, vcc
	v_cmp_eq_u32_e32 vcc, s2, v10
	s_nop 1
	v_cndmask_b32_e32 v5, v6, v5, vcc
	v_cmp_eq_u32_e32 vcc, s2, v12
	s_nop 1
	v_cndmask_b32_e32 v3, v2, v3, vcc
	v_and_or_b32 v2, v7, s3, v5
	v_and_or_b32 v3, v9, s3, v3
	s_branch .LBB240_243
.LBB240_239:
                                        ; implicit-def: $vgpr3
                                        ; implicit-def: $vgpr2
	s_branch .LBB240_262
.LBB240_240:
	s_mov_b64 s[0:1], -1
                                        ; implicit-def: $vgpr3
                                        ; implicit-def: $vgpr2
	s_branch .LBB240_249
.LBB240_241:
	s_mov_b64 s[0:1], -1
                                        ; implicit-def: $vgpr3
                                        ; implicit-def: $vgpr2
	s_branch .LBB240_246
.LBB240_242:
	s_mov_b64 s[0:1], -1
                                        ; implicit-def: $vgpr3
                                        ; implicit-def: $vgpr2
.LBB240_243:
	s_andn2_b64 vcc, exec, s[0:1]
	s_cbranch_vccnz .LBB240_245
; %bb.244:
	global_load_dwordx2 v[2:3], v[0:1], off
	s_waitcnt vmcnt(0)
	v_cvt_f16_f32_e32 v2, v2
	v_cvt_f16_f32_e32 v3, v3
.LBB240_245:
	s_mov_b64 s[0:1], 0
.LBB240_246:
	s_andn2_b64 vcc, exec, s[0:1]
	s_cbranch_vccnz .LBB240_248
; %bb.247:
	global_load_dword v2, v[0:1], off
	s_waitcnt vmcnt(0)
	v_lshrrev_b32_e32 v3, 16, v2
.LBB240_248:
	s_mov_b64 s[0:1], 0
.LBB240_249:
	s_andn2_b64 vcc, exec, s[0:1]
	s_cbranch_vccnz .LBB240_261
; %bb.250:
	s_cmp_lt_i32 s20, 6
	s_cbranch_scc1 .LBB240_253
; %bb.251:
	s_cmp_gt_i32 s20, 6
	s_cbranch_scc0 .LBB240_254
; %bb.252:
	global_load_dwordx2 v[2:3], v[0:1], off
	s_movk_i32 s0, 0x1ff
	s_movk_i32 s1, 0xffe
	v_mov_b32_e32 v5, 0x7c00
	v_mov_b32_e32 v6, 0x7e00
	s_movk_i32 s2, 0x40f
	s_mov_b32 s3, 0x8000
	s_waitcnt vmcnt(0)
	v_and_or_b32 v2, v3, s0, v2
	v_cmp_ne_u32_e32 vcc, 0, v2
	v_lshrrev_b32_e32 v7, 8, v3
	v_bfe_u32 v8, v3, 20, 11
	v_cndmask_b32_e64 v2, 0, 1, vcc
	v_sub_u32_e32 v9, 0x3f1, v8
	v_and_or_b32 v2, v7, s1, v2
	v_add_u32_e32 v8, 0xfffffc10, v8
	v_med3_i32 v7, v9, 0, 13
	v_or_b32_e32 v9, 0x1000, v2
	v_cmp_ne_u32_e32 vcc, 0, v2
	v_lshl_or_b32 v10, v8, 12, v2
	v_lshrrev_b32_e32 v3, 16, v3
	v_cndmask_b32_e32 v2, v5, v6, vcc
	v_lshrrev_b32_e32 v6, v7, v9
	v_lshlrev_b32_e32 v7, v7, v6
	v_cmp_ne_u32_e32 vcc, v7, v9
	s_mov_b64 s[0:1], 0
	s_nop 0
	v_cndmask_b32_e64 v7, 0, 1, vcc
	v_or_b32_e32 v6, v6, v7
	v_cmp_gt_i32_e32 vcc, 1, v8
	s_nop 1
	v_cndmask_b32_e32 v6, v10, v6, vcc
	v_and_b32_e32 v7, 7, v6
	v_cmp_lt_i32_e32 vcc, 5, v7
	v_lshrrev_b32_e32 v6, 2, v6
	s_nop 0
	v_cndmask_b32_e64 v9, 0, 1, vcc
	v_cmp_eq_u32_e32 vcc, 3, v7
	s_nop 1
	v_cndmask_b32_e64 v7, 0, 1, vcc
	v_or_b32_e32 v7, v7, v9
	v_add_u32_e32 v6, v6, v7
	v_cmp_gt_i32_e32 vcc, 31, v8
	s_nop 1
	v_cndmask_b32_e32 v5, v5, v6, vcc
	v_cmp_eq_u32_e32 vcc, s2, v8
	s_nop 1
	v_cndmask_b32_e32 v2, v5, v2, vcc
	v_and_or_b32 v2, v3, s3, v2
	s_branch .LBB240_255
.LBB240_253:
	s_mov_b64 s[0:1], -1
                                        ; implicit-def: $vgpr2
	s_branch .LBB240_258
.LBB240_254:
	s_mov_b64 s[0:1], -1
                                        ; implicit-def: $vgpr2
.LBB240_255:
	s_andn2_b64 vcc, exec, s[0:1]
	s_cbranch_vccnz .LBB240_257
; %bb.256:
	global_load_dword v2, v[0:1], off
	s_waitcnt vmcnt(0)
	v_cvt_f16_f32_e32 v2, v2
.LBB240_257:
	s_mov_b64 s[0:1], 0
.LBB240_258:
	s_andn2_b64 vcc, exec, s[0:1]
	s_cbranch_vccnz .LBB240_260
; %bb.259:
	global_load_ushort v2, v[0:1], off
.LBB240_260:
	v_mov_b32_e32 v3, 0
.LBB240_261:
	s_cbranch_execnz .LBB240_282
.LBB240_262:
	s_cmp_lt_i32 s20, 2
	s_cbranch_scc1 .LBB240_266
; %bb.263:
	s_cmp_lt_i32 s20, 3
	s_cbranch_scc1 .LBB240_267
; %bb.264:
	s_cmp_gt_i32 s20, 3
	s_cbranch_scc0 .LBB240_268
; %bb.265:
	global_load_dwordx2 v[2:3], v[0:1], off
	s_mov_b64 s[0:1], 0
	s_waitcnt vmcnt(0)
	v_xor_b32_e32 v6, v2, v3
	v_ffbh_i32_e32 v5, v3
	v_ashrrev_i32_e32 v6, 31, v6
	v_add_u32_e32 v5, -1, v5
	v_add_u32_e32 v6, 32, v6
	v_min_u32_e32 v5, v5, v6
	v_lshlrev_b64 v[2:3], v5, v[2:3]
	v_min_u32_e32 v2, 1, v2
	v_or_b32_e32 v2, v3, v2
	v_cvt_f32_i32_e32 v2, v2
	v_sub_u32_e32 v3, 32, v5
	v_ldexp_f32 v2, v2, v3
	v_cvt_f16_f32_e32 v2, v2
	s_branch .LBB240_269
.LBB240_266:
	s_mov_b64 s[0:1], -1
                                        ; implicit-def: $vgpr2
	s_branch .LBB240_275
.LBB240_267:
	s_mov_b64 s[0:1], -1
                                        ; implicit-def: $vgpr2
	s_branch .LBB240_272
.LBB240_268:
	s_mov_b64 s[0:1], -1
                                        ; implicit-def: $vgpr2
.LBB240_269:
	s_andn2_b64 vcc, exec, s[0:1]
	s_cbranch_vccnz .LBB240_271
; %bb.270:
	global_load_dword v2, v[0:1], off
	s_waitcnt vmcnt(0)
	v_cvt_f32_i32_e32 v2, v2
	v_cvt_f16_f32_e32 v2, v2
.LBB240_271:
	s_mov_b64 s[0:1], 0
.LBB240_272:
	s_andn2_b64 vcc, exec, s[0:1]
	s_cbranch_vccnz .LBB240_274
; %bb.273:
	global_load_ushort v2, v[0:1], off
	s_waitcnt vmcnt(0)
	v_cvt_f16_i16_e32 v2, v2
.LBB240_274:
	s_mov_b64 s[0:1], 0
.LBB240_275:
	s_andn2_b64 vcc, exec, s[0:1]
	s_cbranch_vccnz .LBB240_281
; %bb.276:
	s_cmp_gt_i32 s20, 0
	s_cbranch_scc0 .LBB240_278
; %bb.277:
	global_load_sbyte v2, v[0:1], off
	s_mov_b64 s[0:1], 0
	s_waitcnt vmcnt(0)
	v_cvt_f16_i16_e32 v2, v2
	s_branch .LBB240_279
.LBB240_278:
	s_mov_b64 s[0:1], -1
                                        ; implicit-def: $vgpr2
.LBB240_279:
	s_andn2_b64 vcc, exec, s[0:1]
	s_cbranch_vccnz .LBB240_281
; %bb.280:
	global_load_ubyte v0, v[0:1], off
	s_waitcnt vmcnt(0)
	v_cvt_f16_u16_e32 v2, v0
.LBB240_281:
	v_mov_b32_e32 v3, 0
.LBB240_282:
	s_branch .LBB240_11
.LBB240_283:
	s_mov_b64 s[0:1], 0
                                        ; implicit-def: $vgpr4
	s_mov_b64 s[2:3], 0
.LBB240_284:
	s_and_b64 s[14:15], s[0:1], exec
	s_and_b64 s[16:17], s[16:17], exec
	s_orn2_b64 s[2:3], s[2:3], exec
.LBB240_285:
	s_or_b64 exec, exec, s[18:19]
	s_mov_b64 s[24:25], 0
	s_mov_b64 s[0:1], 0
                                        ; implicit-def: $vgpr0_vgpr1
                                        ; implicit-def: $vgpr6
                                        ; implicit-def: $vgpr2
	s_and_saveexec_b64 s[18:19], s[2:3]
	s_cbranch_execz .LBB240_294
; %bb.286:
	v_cmp_gt_i32_e32 vcc, s45, v4
	s_mov_b64 s[0:1], -1
	s_mov_b64 s[20:21], s[16:17]
	s_mov_b64 s[22:23], s[14:15]
	s_and_saveexec_b64 s[24:25], vcc
	s_cbranch_execz .LBB240_581
; %bb.287:
	v_mul_lo_u32 v0, v4, s9
	v_ashrrev_i32_e32 v1, 31, v0
	s_and_b32 s26, 0xffff, s44
	s_cmp_lt_i32 s26, 11
	v_lshl_add_u64 v[0:1], s[6:7], 0, v[0:1]
	s_cbranch_scc1 .LBB240_297
; %bb.288:
	s_cmp_gt_i32 s26, 25
	s_cbranch_scc0 .LBB240_311
; %bb.289:
	s_cmp_gt_i32 s26, 28
	s_cbranch_scc0 .LBB240_312
	;; [unrolled: 3-line block ×4, first 2 shown]
; %bb.292:
	s_cmp_eq_u32 s26, 46
	s_mov_b64 s[2:3], 0
	s_cbranch_scc0 .LBB240_348
; %bb.293:
	global_load_dword v2, v[0:1], off
	s_mov_b64 s[20:21], 0
	s_waitcnt vmcnt(0)
	v_and_b32_e32 v3, 0xffff0000, v2
	v_lshlrev_b32_e32 v2, 16, v2
	v_cvt_f16_f32_e32 v2, v2
	v_cvt_f16_f32_e32 v3, v3
	s_branch .LBB240_349
.LBB240_294:
	s_or_b64 exec, exec, s[18:19]
	s_mov_b64 s[18:19], 0
	s_and_saveexec_b64 s[2:3], s[16:17]
	s_cbranch_execnz .LBB240_965
.LBB240_295:
	s_or_b64 exec, exec, s[2:3]
	s_and_saveexec_b64 s[2:3], s[22:23]
	s_xor_b64 s[2:3], exec, s[2:3]
	s_cbranch_execz .LBB240_966
.LBB240_296:
	global_load_ubyte v2, v[0:1], off
	v_mov_b32_e32 v3, 0x3c00
	v_mov_b32_e32 v6, 0
	s_or_b64 s[0:1], s[0:1], exec
	s_waitcnt vmcnt(0)
	v_cmp_ne_u16_e32 vcc, 0, v2
	s_nop 1
	v_cndmask_b32_e32 v2, 0, v3, vcc
	s_or_b64 exec, exec, s[2:3]
	s_and_saveexec_b64 s[2:3], s[24:25]
	s_cbranch_execz .LBB240_1014
	s_branch .LBB240_967
.LBB240_297:
	s_mov_b64 s[0:1], 0
                                        ; implicit-def: $vgpr3
                                        ; implicit-def: $vgpr2
	s_mov_b64 s[20:21], s[16:17]
	s_cbranch_execnz .LBB240_529
.LBB240_298:
	s_andn2_b64 vcc, exec, s[0:1]
	s_cbranch_vccnz .LBB240_579
.LBB240_299:
	v_cvt_f32_f16_e32 v0, v3
	s_waitcnt vmcnt(0)
	v_cmp_neq_f16_e32 vcc, 0, v2
	v_cmp_neq_f16_e64 s[0:1], 0, v3
	s_or_b64 s[0:1], vcc, s[0:1]
	v_mov_b32_e32 v3, 0
	s_and_saveexec_b64 s[22:23], s[0:1]
	s_cbranch_execz .LBB240_335
; %bb.300:
	v_mov_b32_e32 v3, 0x7f800000
	v_cmp_neq_f32_e64 s[0:1], |v0|, v3
	s_and_saveexec_b64 s[26:27], s[0:1]
	s_cbranch_execz .LBB240_334
; %bb.301:
	v_cvt_f32_f16_e32 v1, v2
	v_cmp_o_f16_e32 vcc, v2, v2
                                        ; implicit-def: $vgpr3
	s_and_saveexec_b64 s[0:1], vcc
	s_xor_b64 s[28:29], exec, s[0:1]
	s_cbranch_execz .LBB240_331
; %bb.302:
	s_mov_b32 s0, 0x7f800000
	v_cmp_neq_f32_e64 s[0:1], |v1|, s0
                                        ; implicit-def: $vgpr3
	s_and_saveexec_b64 s[2:3], s[0:1]
	s_xor_b64 s[30:31], exec, s[2:3]
	s_cbranch_execz .LBB240_324
; %bb.303:
	v_max_f32_e64 v2, |v0|, |v0|
	v_max_f32_e64 v3, |v1|, |v1|
	v_max_f32_e32 v2, v3, v2
	s_mov_b32 s0, 0x7ed413cb
	v_cmp_nle_f32_e64 s[0:1], s0, v2
                                        ; implicit-def: $sgpr34_sgpr35
	s_and_saveexec_b64 s[2:3], s[0:1]
	s_xor_b64 s[2:3], exec, s[2:3]
	s_cbranch_execz .LBB240_307
; %bb.304:
	s_mov_b32 s36, 0x1000000
	v_cmp_le_f32_e64 s[34:35], |v1|, s36
	v_cmp_le_f32_e64 s[36:37], |v0|, s36
	s_and_b64 s[38:39], s[34:35], s[36:37]
	s_mov_b64 s[34:35], 0
	s_and_saveexec_b64 s[36:37], s[38:39]
; %bb.305:
	s_mov_b64 s[34:35], exec
	v_mul_f32_e32 v1, 4.0, v1
	v_mul_f32_e32 v0, 4.0, v0
; %bb.306:
	s_or_b64 exec, exec, s[36:37]
.LBB240_307:
	s_andn2_saveexec_b64 s[2:3], s[2:3]
; %bb.308:
	v_mul_f32_e32 v1, 0x3e800000, v1
	v_mul_f32_e32 v0, 0x3e800000, v0
	s_andn2_b64 s[34:35], s[34:35], exec
; %bb.309:
	s_or_b64 exec, exec, s[2:3]
	v_max_f32_e64 v2, |v0|, |v0|
	v_max_f32_e64 v3, |v1|, |v1|
	v_max_f32_e32 v5, v3, v2
	v_cvt_f64_f32_e32 v[2:3], v5
	v_frexp_exp_i32_f64_e32 v2, v[2:3]
	v_sub_u32_e32 v3, 0, v2
	v_ldexp_f32 v6, |v1|, v3
	v_ldexp_f32 v3, |v0|, v3
	v_mul_f32_e32 v3, v3, v3
	v_fmac_f32_e32 v3, v6, v6
	v_sqrt_f32_e32 v3, v3
	s_mov_b32 s2, 0x7f800000
	v_cmp_neq_f32_e64 s[2:3], s2, v5
	v_cmp_le_f32_e32 vcc, 0, v1
	v_ldexp_f32 v2, v3, v2
	v_mov_b32_e32 v3, 0x7f800000
	v_cndmask_b32_e64 v3, v3, v2, s[2:3]
                                        ; implicit-def: $vgpr5
                                        ; implicit-def: $vgpr2
	s_and_saveexec_b64 s[2:3], vcc
	s_xor_b64 s[36:37], exec, s[2:3]
	s_cbranch_execz .LBB240_317
; %bb.310:
	v_add_f32_e32 v1, v1, v3
	v_mul_f32_e32 v1, 0.5, v1
	s_mov_b32 s2, 0xf800000
	v_mul_f32_e32 v2, 0x4f800000, v1
	v_cmp_gt_f32_e32 vcc, s2, v1
	s_nop 1
	v_cndmask_b32_e32 v1, v1, v2, vcc
	v_sqrt_f32_e32 v2, v1
	s_nop 0
	v_add_u32_e32 v3, -1, v2
	v_fma_f32 v5, -v3, v2, v1
	v_cmp_ge_f32_e64 s[2:3], 0, v5
	v_add_u32_e32 v5, 1, v2
	s_nop 0
	v_cndmask_b32_e64 v3, v2, v3, s[2:3]
	v_fma_f32 v2, -v5, v2, v1
	v_cmp_lt_f32_e64 s[2:3], 0, v2
	s_nop 1
	v_cndmask_b32_e64 v2, v3, v5, s[2:3]
	v_mul_f32_e32 v3, 0x37800000, v2
	v_cndmask_b32_e32 v2, v2, v3, vcc
	v_mov_b32_e32 v3, 0x260
	v_cmp_class_f32_e32 vcc, v1, v3
	s_nop 1
	v_cndmask_b32_e32 v2, v2, v1, vcc
	v_add_f32_e32 v1, v2, v2
	v_div_scale_f32 v3, s[2:3], v1, v1, v0
	v_rcp_f32_e32 v5, v3
	s_nop 0
	v_fma_f32 v6, -v3, v5, 1.0
	v_fmac_f32_e32 v5, v6, v5
	v_div_scale_f32 v6, vcc, v0, v1, v0
	v_mul_f32_e32 v7, v6, v5
	v_fma_f32 v8, -v3, v7, v6
	v_fmac_f32_e32 v7, v8, v5
	v_fma_f32 v3, -v3, v7, v6
	v_div_fmas_f32 v3, v3, v5, v7
	v_div_fixup_f32 v5, v3, v1, v0
                                        ; implicit-def: $vgpr3
                                        ; implicit-def: $vgpr1
                                        ; implicit-def: $vgpr0
	s_andn2_saveexec_b64 s[36:37], s[36:37]
	s_cbranch_execz .LBB240_319
	s_branch .LBB240_318
.LBB240_311:
	s_mov_b64 s[2:3], -1
	s_mov_b64 s[0:1], 0
	s_mov_b64 s[20:21], s[16:17]
                                        ; implicit-def: $vgpr3
                                        ; implicit-def: $vgpr2
	s_branch .LBB240_492
.LBB240_312:
	s_mov_b64 s[2:3], -1
	s_mov_b64 s[0:1], 0
	s_mov_b64 s[20:21], s[16:17]
                                        ; implicit-def: $vgpr3
                                        ; implicit-def: $vgpr2
	s_branch .LBB240_473
.LBB240_313:
	s_mov_b64 s[2:3], -1
	s_mov_b64 s[0:1], 0
	s_mov_b64 s[20:21], s[16:17]
                                        ; implicit-def: $vgpr3
                                        ; implicit-def: $vgpr2
	s_branch .LBB240_467
.LBB240_314:
	s_andn2_saveexec_b64 s[20:21], s[20:21]
	s_cbranch_execz .LBB240_84
.LBB240_315:
	s_mov_b32 s26, 0x46000000
	v_add_f32_e64 v7, |v3|, s26
	v_and_b32_e32 v7, 0xff, v7
	v_cmp_ne_u32_e32 vcc, 0, v7
	s_andn2_b64 s[14:15], s[14:15], exec
	s_and_b64 s[26:27], vcc, exec
	s_or_b64 s[14:15], s[14:15], s[26:27]
	s_or_b64 exec, exec, s[20:21]
	v_mov_b32_e32 v8, 0
	s_and_saveexec_b64 s[20:21], s[14:15]
	s_cbranch_execnz .LBB240_85
	s_branch .LBB240_86
.LBB240_316:
	s_mov_b64 s[2:3], -1
	s_mov_b64 s[0:1], 0
	s_mov_b64 s[20:21], s[16:17]
                                        ; implicit-def: $vgpr3
                                        ; implicit-def: $vgpr2
	s_branch .LBB240_349
.LBB240_317:
	s_andn2_saveexec_b64 s[36:37], s[36:37]
	s_cbranch_execz .LBB240_319
.LBB240_318:
	v_sub_f32_e32 v1, v3, v1
	v_mul_f32_e32 v1, 0.5, v1
	s_mov_b32 s2, 0xf800000
	v_mul_f32_e32 v2, 0x4f800000, v1
	v_cmp_gt_f32_e32 vcc, s2, v1
	s_nop 1
	v_cndmask_b32_e32 v1, v1, v2, vcc
	v_sqrt_f32_e32 v2, v1
	s_nop 0
	v_add_u32_e32 v3, -1, v2
	v_fma_f32 v5, -v3, v2, v1
	v_cmp_ge_f32_e64 s[2:3], 0, v5
	v_add_u32_e32 v5, 1, v2
	s_nop 0
	v_cndmask_b32_e64 v3, v2, v3, s[2:3]
	v_fma_f32 v2, -v5, v2, v1
	v_cmp_lt_f32_e64 s[2:3], 0, v2
	s_nop 1
	v_cndmask_b32_e64 v2, v3, v5, s[2:3]
	v_mul_f32_e32 v3, 0x37800000, v2
	v_cndmask_b32_e32 v2, v2, v3, vcc
	v_mov_b32_e32 v3, 0x260
	v_cmp_class_f32_e32 vcc, v1, v3
	v_and_b32_e32 v3, 0x7fffffff, v0
	s_nop 0
	v_cndmask_b32_e32 v1, v2, v1, vcc
	v_add_f32_e32 v2, v1, v1
	v_div_scale_f32 v5, s[2:3], v2, v2, v3
	v_rcp_f32_e32 v6, v5
	v_div_scale_f32 v3, vcc, v3, v2, v3
	s_brev_b32 s2, -2
	v_fma_f32 v7, -v5, v6, 1.0
	v_fmac_f32_e32 v6, v7, v6
	v_mul_f32_e32 v7, v3, v6
	v_fma_f32 v8, -v5, v7, v3
	v_fmac_f32_e32 v7, v8, v6
	v_fma_f32 v3, -v5, v7, v3
	v_div_fmas_f32 v3, v3, v6, v7
	v_div_fixup_f32 v2, v3, v2, |v0|
	v_bfi_b32 v5, s2, v1, v0
.LBB240_319:
	s_or_b64 exec, exec, s[36:37]
                                        ; implicit-def: $vgpr0
                                        ; implicit-def: $vgpr3
	s_and_saveexec_b64 s[2:3], s[0:1]
	s_xor_b64 s[0:1], exec, s[2:3]
	s_cbranch_execz .LBB240_321
; %bb.320:
	v_mul_f32_e32 v0, 0.5, v2
	v_mul_f32_e32 v1, 0.5, v5
	v_cndmask_b32_e64 v3, v2, v0, s[34:35]
	v_cndmask_b32_e64 v0, v5, v1, s[34:35]
                                        ; implicit-def: $vgpr2
                                        ; implicit-def: $vgpr5
	s_andn2_saveexec_b64 s[0:1], s[0:1]
	s_cbranch_execnz .LBB240_322
	s_branch .LBB240_323
.LBB240_321:
	s_andn2_saveexec_b64 s[0:1], s[0:1]
.LBB240_322:
	v_add_f32_e32 v3, v2, v2
	v_add_f32_e32 v0, v5, v5
.LBB240_323:
	s_or_b64 exec, exec, s[0:1]
                                        ; implicit-def: $vgpr1
                                        ; implicit-def: $vgpr2
.LBB240_324:
	s_andn2_saveexec_b64 s[0:1], s[30:31]
	s_cbranch_execz .LBB240_330
; %bb.325:
	v_cmp_lt_i16_e32 vcc, -1, v2
	v_sub_f32_e32 v2, v0, v0
	s_brev_b32 s30, -2
	v_and_b32_e32 v3, 0x7fffffff, v2
	s_and_saveexec_b64 s[2:3], vcc
	s_xor_b64 s[2:3], exec, s[2:3]
; %bb.326:
	v_bfi_b32 v0, s30, v2, v0
	v_mov_b32_e32 v3, v1
; %bb.327:
	s_andn2_saveexec_b64 s[2:3], s[2:3]
; %bb.328:
	v_bfi_b32 v0, s30, v1, v0
; %bb.329:
	s_or_b64 exec, exec, s[2:3]
.LBB240_330:
	s_or_b64 exec, exec, s[0:1]
                                        ; implicit-def: $vgpr1
.LBB240_331:
	s_andn2_saveexec_b64 s[0:1], s[28:29]
	s_cbranch_execz .LBB240_333
; %bb.332:
	v_sub_f32_e32 v0, v0, v0
	v_div_scale_f32 v2, vcc, v0, v0, v0
	v_rcp_f32_e32 v3, v2
	s_nop 0
	v_fma_f32 v5, -v2, v3, 1.0
	v_fmac_f32_e32 v3, v5, v3
	v_mul_f32_e32 v5, v2, v3
	v_fma_f32 v6, -v2, v5, v2
	v_fmac_f32_e32 v5, v6, v3
	v_fma_f32 v2, -v2, v5, v2
	v_div_fmas_f32 v2, v2, v3, v5
	v_div_fixup_f32 v0, v2, v0, v0
	v_mov_b32_e32 v3, v1
.LBB240_333:
	s_or_b64 exec, exec, s[0:1]
.LBB240_334:
	s_or_b64 exec, exec, s[26:27]
.LBB240_335:
	s_or_b64 exec, exec, s[22:23]
	v_cvt_f16_f32_e32 v2, v0
	v_cvt_f16_f32_e32 v5, v3
	v_mul_lo_u32 v0, v4, s8
	v_ashrrev_i32_e32 v1, 31, v0
	v_lshlrev_b32_e32 v3, 16, v2
	s_and_b32 s28, s33, 0xff
	v_or_b32_e32 v6, v3, v5
	s_cmp_lt_i32 s28, 11
	v_lshl_add_u64 v[0:1], s[4:5], 0, v[0:1]
	s_cbranch_scc1 .LBB240_342
; %bb.336:
	s_and_b32 s29, 0xffff, s28
	s_cmp_gt_i32 s29, 25
	s_cbranch_scc0 .LBB240_343
; %bb.337:
	s_cmp_gt_i32 s29, 28
	s_cbranch_scc0 .LBB240_344
; %bb.338:
	;; [unrolled: 3-line block ×4, first 2 shown]
	s_mov_b64 s[22:23], 0
	s_mov_b64 s[0:1], -1
	s_cmp_eq_u32 s29, 46
	s_mov_b64 s[2:3], 0
	s_cbranch_scc0 .LBB240_353
; %bb.341:
	v_cvt_f32_f16_e32 v7, v2
	v_cvt_f32_f16_e32 v3, v5
	s_movk_i32 s0, 0x7fff
	v_cmp_o_f16_e32 vcc, v2, v2
	v_bfe_u32 v9, v7, 16, 1
	v_bfe_u32 v8, v3, 16, 1
	v_add3_u32 v7, v7, v9, s0
	v_add3_u32 v3, v3, v8, s0
	v_and_b32_e32 v7, 0xffff0000, v7
	v_mov_b32_e32 v8, 0x7fc00000
	v_cndmask_b32_e32 v7, v8, v7, vcc
	v_cmp_o_f16_e32 vcc, v5, v5
	v_mov_b32_e32 v8, 0x7fc0
	s_mov_b64 s[2:3], -1
	v_cndmask_b32_sdwa v3, v8, v3, vcc dst_sel:DWORD dst_unused:UNUSED_PAD src0_sel:DWORD src1_sel:WORD_1
	v_or_b32_e32 v3, v7, v3
	global_store_dword v[0:1], v3, off
	s_mov_b64 s[0:1], 0
	s_branch .LBB240_353
.LBB240_342:
	s_mov_b64 s[22:23], -1
	s_mov_b64 s[2:3], 0
	s_mov_b64 s[0:1], s[14:15]
	s_branch .LBB240_422
.LBB240_343:
	s_mov_b64 s[22:23], -1
	s_mov_b64 s[2:3], 0
	s_mov_b64 s[0:1], s[14:15]
	s_branch .LBB240_380
.LBB240_344:
	s_mov_b64 s[22:23], -1
	s_mov_b64 s[2:3], 0
	s_mov_b64 s[0:1], s[14:15]
	s_branch .LBB240_363
.LBB240_345:
	s_mov_b64 s[22:23], -1
	s_mov_b64 s[2:3], 0
	s_mov_b64 s[0:1], s[14:15]
	s_branch .LBB240_359
.LBB240_346:
	s_andn2_saveexec_b64 s[20:21], s[20:21]
	s_cbranch_execz .LBB240_97
.LBB240_347:
	s_mov_b32 s26, 0x42800000
	v_add_f32_e64 v7, |v3|, s26
	v_and_b32_e32 v7, 0xff, v7
	v_cmp_ne_u32_e32 vcc, 0, v7
	s_andn2_b64 s[14:15], s[14:15], exec
	s_and_b64 s[26:27], vcc, exec
	s_or_b64 s[14:15], s[14:15], s[26:27]
	s_or_b64 exec, exec, s[20:21]
	v_mov_b32_e32 v8, 0
	s_and_saveexec_b64 s[20:21], s[14:15]
	s_cbranch_execnz .LBB240_98
	s_branch .LBB240_99
.LBB240_348:
	s_mov_b64 s[20:21], -1
                                        ; implicit-def: $vgpr3
                                        ; implicit-def: $vgpr2
	s_mov_b64 s[0:1], 0
.LBB240_349:
	s_and_b64 vcc, exec, s[2:3]
	s_cbranch_vccz .LBB240_466
; %bb.350:
	s_cmp_eq_u32 s26, 44
	s_cbranch_scc0 .LBB240_464
; %bb.351:
	global_load_ubyte v2, v[0:1], off
	s_movk_i32 s2, 0xff
	v_mov_b32_e32 v5, 0x7e00
	s_mov_b64 s[0:1], -1
	s_mov_b64 s[20:21], 0
	s_waitcnt vmcnt(0)
	v_lshlrev_b32_e32 v3, 23, v2
	v_cvt_f16_f32_e32 v3, v3
	v_cmp_ne_u32_e32 vcc, s2, v2
	s_nop 1
	v_cndmask_b32_e32 v3, v5, v3, vcc
	v_cmp_ne_u32_e32 vcc, 0, v2
	s_nop 1
	v_cndmask_b32_e32 v2, 0, v3, vcc
	s_branch .LBB240_465
.LBB240_352:
	s_mov_b64 s[22:23], -1
	s_mov_b64 s[2:3], 0
	s_mov_b64 s[0:1], s[14:15]
.LBB240_353:
	s_and_b64 vcc, exec, s[22:23]
	s_cbranch_vccz .LBB240_358
; %bb.354:
	s_cmp_eq_u32 s29, 44
	s_mov_b64 s[0:1], -1
	s_cbranch_scc0 .LBB240_358
; %bb.355:
	v_cvt_f32_f16_e32 v3, v5
	s_movk_i32 s0, 0xff
	v_mov_b32_e32 v8, 0xff
	v_bfe_u32 v7, v3, 23, 8
	v_cmp_ne_u32_e32 vcc, s0, v7
	s_and_saveexec_b64 s[2:3], vcc
; %bb.356:
	s_mov_b32 s0, 0x3fffff
	v_lshrrev_b32_e32 v8, 23, v3
	v_and_b32_e32 v9, 0x400000, v3
	v_and_or_b32 v3, v3, s0, v7
	v_cmp_ne_u32_e32 vcc, 0, v9
	v_cmp_ne_u32_e64 s[0:1], 0, v3
	s_and_b64 s[0:1], vcc, s[0:1]
	s_nop 0
	v_cndmask_b32_e64 v3, 0, 1, s[0:1]
	v_add_u32_e32 v8, v8, v3
; %bb.357:
	s_or_b64 exec, exec, s[2:3]
	s_mov_b64 s[2:3], -1
	s_mov_b64 s[0:1], 0
	global_store_byte v[0:1], v8, off
.LBB240_358:
	s_mov_b64 s[22:23], 0
.LBB240_359:
	s_and_b64 vcc, exec, s[22:23]
	s_cbranch_vccz .LBB240_362
; %bb.360:
	s_cmp_eq_u32 s29, 29
	s_mov_b64 s[0:1], -1
	s_cbranch_scc0 .LBB240_362
; %bb.361:
	v_cvt_f32_f16_e32 v3, v5
	v_mov_b32_e32 v9, 0
	s_mov_b64 s[2:3], -1
	s_mov_b64 s[0:1], 0
	v_cvt_u32_f32_e32 v8, v3
	s_mov_b64 s[22:23], 0
	global_store_dwordx2 v[0:1], v[8:9], off
	s_branch .LBB240_363
.LBB240_362:
	s_mov_b64 s[22:23], 0
.LBB240_363:
	s_and_b64 vcc, exec, s[22:23]
	s_cbranch_vccz .LBB240_379
; %bb.364:
	s_cmp_lt_i32 s29, 27
	s_mov_b64 s[2:3], -1
	s_cbranch_scc1 .LBB240_370
; %bb.365:
	s_cmp_gt_i32 s29, 27
	s_cbranch_scc0 .LBB240_367
; %bb.366:
	v_cvt_f32_f16_e32 v3, v5
	s_mov_b64 s[2:3], 0
	v_cvt_u32_f32_e32 v3, v3
	global_store_dword v[0:1], v3, off
.LBB240_367:
	s_andn2_b64 vcc, exec, s[2:3]
	s_cbranch_vccnz .LBB240_369
; %bb.368:
	v_cvt_u16_f16_e32 v3, v5
	global_store_short v[0:1], v3, off
.LBB240_369:
	s_mov_b64 s[2:3], 0
.LBB240_370:
	s_andn2_b64 vcc, exec, s[2:3]
	s_cbranch_vccnz .LBB240_378
; %bb.371:
	v_cvt_f32_f16_e32 v3, v5
	s_mov_b32 s2, 0x43800000
	v_mov_b32_e32 v8, 0x80
	v_and_b32_e32 v7, 0x7fffffff, v3
	v_cmp_gt_u32_e32 vcc, s2, v7
	s_and_saveexec_b64 s[2:3], vcc
	s_cbranch_execz .LBB240_377
; %bb.372:
	s_mov_b32 s22, 0x3bffffff
	v_cmp_lt_u32_e32 vcc, s22, v7
	s_mov_b64 s[22:23], 0
                                        ; implicit-def: $vgpr7
	s_and_saveexec_b64 s[26:27], vcc
	s_xor_b64 s[26:27], exec, s[26:27]
	s_cbranch_execz .LBB240_594
; %bb.373:
	v_bfe_u32 v7, v3, 20, 1
	s_mov_b32 s30, 0x487ffff
	v_add3_u32 v7, v3, v7, s30
	s_mov_b64 s[22:23], exec
	v_lshrrev_b32_e32 v7, 20, v7
	s_andn2_saveexec_b64 s[26:27], s[26:27]
	s_cbranch_execnz .LBB240_595
.LBB240_374:
	s_or_b64 exec, exec, s[26:27]
	v_mov_b32_e32 v8, 0
	s_and_saveexec_b64 s[26:27], s[22:23]
.LBB240_375:
	v_lshrrev_b32_e32 v3, 24, v3
	s_movk_i32 s22, 0x80
	v_and_or_b32 v8, v3, s22, v7
.LBB240_376:
	s_or_b64 exec, exec, s[26:27]
.LBB240_377:
	s_or_b64 exec, exec, s[2:3]
	global_store_byte v[0:1], v8, off
.LBB240_378:
	s_mov_b64 s[2:3], -1
.LBB240_379:
	s_mov_b64 s[22:23], 0
.LBB240_380:
	s_and_b64 vcc, exec, s[22:23]
	s_cbranch_vccz .LBB240_421
; %bb.381:
	s_cmp_gt_i32 s29, 22
	s_mov_b64 s[22:23], -1
	s_cbranch_scc0 .LBB240_413
; %bb.382:
	s_cmp_lt_i32 s29, 24
	s_mov_b64 s[2:3], -1
	s_cbranch_scc1 .LBB240_402
; %bb.383:
	s_cmp_gt_i32 s29, 24
	s_cbranch_scc0 .LBB240_391
; %bb.384:
	v_cvt_f32_f16_e32 v3, v5
	s_mov_b32 s2, 0x47800000
	v_mov_b32_e32 v8, 0x80
	v_and_b32_e32 v7, 0x7fffffff, v3
	v_cmp_gt_u32_e32 vcc, s2, v7
	s_and_saveexec_b64 s[2:3], vcc
	s_cbranch_execz .LBB240_390
; %bb.385:
	s_mov_b32 s22, 0x37ffffff
	v_cmp_lt_u32_e32 vcc, s22, v7
	s_mov_b64 s[22:23], 0
                                        ; implicit-def: $vgpr7
	s_and_saveexec_b64 s[26:27], vcc
	s_xor_b64 s[26:27], exec, s[26:27]
	s_cbranch_execz .LBB240_597
; %bb.386:
	v_bfe_u32 v7, v3, 21, 1
	s_mov_b32 s30, 0x88fffff
	v_add3_u32 v7, v3, v7, s30
	s_mov_b64 s[22:23], exec
	v_lshrrev_b32_e32 v7, 21, v7
	s_andn2_saveexec_b64 s[26:27], s[26:27]
	s_cbranch_execnz .LBB240_598
.LBB240_387:
	s_or_b64 exec, exec, s[26:27]
	v_mov_b32_e32 v8, 0
	s_and_saveexec_b64 s[26:27], s[22:23]
.LBB240_388:
	v_lshrrev_b32_e32 v3, 24, v3
	s_movk_i32 s22, 0x80
	v_and_or_b32 v8, v3, s22, v7
.LBB240_389:
	s_or_b64 exec, exec, s[26:27]
.LBB240_390:
	s_or_b64 exec, exec, s[2:3]
	s_mov_b64 s[2:3], 0
	global_store_byte v[0:1], v8, off
.LBB240_391:
	s_and_b64 vcc, exec, s[2:3]
	s_cbranch_vccz .LBB240_401
; %bb.392:
	v_cvt_f32_f16_e32 v3, v5
	s_mov_b32 s2, 0x43f00000
                                        ; implicit-def: $vgpr7
	v_and_b32_e32 v8, 0x7fffffff, v3
	v_cmp_gt_u32_e32 vcc, s2, v8
	s_and_saveexec_b64 s[2:3], vcc
	s_xor_b64 s[2:3], exec, s[2:3]
	s_cbranch_execz .LBB240_398
; %bb.393:
	s_mov_b32 s22, 0x3c7fffff
	v_cmp_lt_u32_e32 vcc, s22, v8
                                        ; implicit-def: $vgpr7
	s_and_saveexec_b64 s[22:23], vcc
	s_xor_b64 s[22:23], exec, s[22:23]
; %bb.394:
	v_bfe_u32 v7, v3, 20, 1
	s_mov_b32 s26, 0x407ffff
	v_add3_u32 v7, v3, v7, s26
	v_lshrrev_b32_e32 v8, 20, v7
	v_and_b32_e32 v7, 0xff00000, v7
	s_mov_b32 s26, 0x7f00000
	v_mov_b32_e32 v9, 0x7e
	v_cmp_ne_u32_e32 vcc, s26, v7
	s_nop 1
	v_cndmask_b32_e32 v7, v9, v8, vcc
; %bb.395:
	s_andn2_saveexec_b64 s[22:23], s[22:23]
; %bb.396:
	s_mov_b32 s26, 0x46800000
	v_add_f32_e64 v7, |v3|, s26
; %bb.397:
	s_or_b64 exec, exec, s[22:23]
                                        ; implicit-def: $vgpr8
.LBB240_398:
	s_andn2_saveexec_b64 s[2:3], s[2:3]
; %bb.399:
	s_mov_b32 s22, 0x7f800000
	v_mov_b32_e32 v7, 0x7e
	v_mov_b32_e32 v9, 0x7f
	v_cmp_lt_u32_e32 vcc, s22, v8
	s_nop 1
	v_cndmask_b32_e32 v7, v7, v9, vcc
; %bb.400:
	s_or_b64 exec, exec, s[2:3]
	v_lshrrev_b32_e32 v3, 24, v3
	s_movk_i32 s2, 0x80
	v_and_or_b32 v3, v3, s2, v7
	global_store_byte v[0:1], v3, off
.LBB240_401:
	s_mov_b64 s[2:3], 0
.LBB240_402:
	s_andn2_b64 vcc, exec, s[2:3]
	s_cbranch_vccnz .LBB240_412
; %bb.403:
	v_cvt_f32_f16_e32 v3, v5
	s_mov_b32 s2, 0x47800000
                                        ; implicit-def: $vgpr7
	v_and_b32_e32 v8, 0x7fffffff, v3
	v_cmp_gt_u32_e32 vcc, s2, v8
	s_and_saveexec_b64 s[2:3], vcc
	s_xor_b64 s[2:3], exec, s[2:3]
	s_cbranch_execz .LBB240_409
; %bb.404:
	s_mov_b32 s22, 0x387fffff
	v_cmp_lt_u32_e32 vcc, s22, v8
                                        ; implicit-def: $vgpr7
	s_and_saveexec_b64 s[22:23], vcc
	s_xor_b64 s[22:23], exec, s[22:23]
; %bb.405:
	v_bfe_u32 v7, v3, 21, 1
	s_mov_b32 s26, 0x80fffff
	v_add3_u32 v7, v3, v7, s26
	v_lshrrev_b32_e32 v7, 21, v7
; %bb.406:
	s_andn2_saveexec_b64 s[22:23], s[22:23]
; %bb.407:
	s_mov_b32 s26, 0x43000000
	v_add_f32_e64 v7, |v3|, s26
; %bb.408:
	s_or_b64 exec, exec, s[22:23]
                                        ; implicit-def: $vgpr8
.LBB240_409:
	s_andn2_saveexec_b64 s[2:3], s[2:3]
; %bb.410:
	s_mov_b32 s22, 0x7f800000
	v_mov_b32_e32 v7, 0x7c
	v_mov_b32_e32 v9, 0x7f
	v_cmp_lt_u32_e32 vcc, s22, v8
	s_nop 1
	v_cndmask_b32_e32 v7, v7, v9, vcc
; %bb.411:
	s_or_b64 exec, exec, s[2:3]
	v_lshrrev_b32_e32 v3, 24, v3
	s_movk_i32 s2, 0x80
	v_and_or_b32 v3, v3, s2, v7
	global_store_byte v[0:1], v3, off
.LBB240_412:
	s_mov_b64 s[22:23], 0
	s_mov_b64 s[2:3], -1
.LBB240_413:
	s_andn2_b64 vcc, exec, s[22:23]
	s_cbranch_vccnz .LBB240_421
; %bb.414:
	s_cmp_gt_i32 s29, 14
	s_mov_b64 s[22:23], -1
	s_cbranch_scc0 .LBB240_418
; %bb.415:
	s_cmp_eq_u32 s29, 15
	s_mov_b64 s[0:1], -1
	s_cbranch_scc0 .LBB240_417
; %bb.416:
	v_cvt_f32_f16_e32 v3, v5
	s_movk_i32 s0, 0x7fff
	v_cmp_o_f16_e32 vcc, v5, v5
	v_mov_b32_e32 v7, 0x7fc0
	v_bfe_u32 v8, v3, 16, 1
	v_add3_u32 v3, v3, v8, s0
	v_cndmask_b32_sdwa v3, v7, v3, vcc dst_sel:DWORD dst_unused:UNUSED_PAD src0_sel:DWORD src1_sel:WORD_1
	global_store_short v[0:1], v3, off
	s_mov_b64 s[2:3], -1
	s_mov_b64 s[0:1], 0
.LBB240_417:
	s_mov_b64 s[22:23], 0
.LBB240_418:
	s_and_b64 vcc, exec, s[22:23]
	s_cbranch_vccz .LBB240_421
; %bb.419:
	s_cmp_eq_u32 s29, 11
	s_mov_b64 s[0:1], -1
	s_cbranch_scc0 .LBB240_421
; %bb.420:
	v_and_b32_e32 v3, 0x7fff7fff, v6
	v_cmp_ne_u32_e32 vcc, 0, v3
	s_mov_b64 s[2:3], -1
	s_mov_b64 s[0:1], 0
	v_cndmask_b32_e64 v3, 0, 1, vcc
	global_store_byte v[0:1], v3, off
.LBB240_421:
	s_mov_b64 s[22:23], 0
.LBB240_422:
	s_and_b64 vcc, exec, s[22:23]
	s_cbranch_vccz .LBB240_461
; %bb.423:
	s_and_b32 s22, 0xffff, s28
	s_cmp_lt_i32 s22, 5
	s_mov_b64 s[2:3], -1
	s_cbranch_scc1 .LBB240_444
; %bb.424:
	s_cmp_lt_i32 s22, 8
	s_cbranch_scc1 .LBB240_434
; %bb.425:
	s_cmp_lt_i32 s22, 9
	s_cbranch_scc1 .LBB240_431
; %bb.426:
	v_cvt_f32_f16_e32 v3, v2
	s_cmp_gt_i32 s22, 9
	s_cbranch_scc0 .LBB240_428
; %bb.427:
	v_cvt_f32_f16_e32 v2, v5
	v_cvt_f64_f32_e32 v[10:11], v3
	s_mov_b64 s[2:3], 0
	v_cvt_f64_f32_e32 v[8:9], v2
	global_store_dwordx4 v[0:1], v[8:11], off
.LBB240_428:
	s_andn2_b64 vcc, exec, s[2:3]
	s_cbranch_vccnz .LBB240_430
; %bb.429:
	v_cvt_f32_f16_e32 v2, v5
	global_store_dwordx2 v[0:1], v[2:3], off
.LBB240_430:
	s_mov_b64 s[2:3], 0
.LBB240_431:
	s_andn2_b64 vcc, exec, s[2:3]
	s_cbranch_vccnz .LBB240_433
; %bb.432:
	global_store_dword v[0:1], v6, off
.LBB240_433:
	s_mov_b64 s[2:3], 0
.LBB240_434:
	s_andn2_b64 vcc, exec, s[2:3]
	s_cbranch_vccnz .LBB240_443
; %bb.435:
	s_cmp_lt_i32 s22, 6
	s_mov_b64 s[2:3], -1
	s_cbranch_scc1 .LBB240_441
; %bb.436:
	s_cmp_gt_i32 s22, 6
	s_cbranch_scc0 .LBB240_438
; %bb.437:
	v_cvt_f32_f16_e32 v2, v5
	s_mov_b64 s[2:3], 0
	v_cvt_f64_f32_e32 v[2:3], v2
	global_store_dwordx2 v[0:1], v[2:3], off
.LBB240_438:
	s_andn2_b64 vcc, exec, s[2:3]
	s_cbranch_vccnz .LBB240_440
; %bb.439:
	v_cvt_f32_f16_e32 v2, v5
	global_store_dword v[0:1], v2, off
.LBB240_440:
	s_mov_b64 s[2:3], 0
.LBB240_441:
	s_andn2_b64 vcc, exec, s[2:3]
	s_cbranch_vccnz .LBB240_443
; %bb.442:
	global_store_short v[0:1], v5, off
.LBB240_443:
	s_mov_b64 s[2:3], 0
.LBB240_444:
	s_andn2_b64 vcc, exec, s[2:3]
	s_cbranch_vccnz .LBB240_460
; %bb.445:
	s_cmp_lt_i32 s22, 2
	s_mov_b64 s[2:3], -1
	s_cbranch_scc1 .LBB240_455
; %bb.446:
	s_cmp_lt_i32 s22, 3
	s_cbranch_scc1 .LBB240_452
; %bb.447:
	s_cmp_gt_i32 s22, 3
	s_cbranch_scc0 .LBB240_449
; %bb.448:
	v_cvt_f32_f16_e32 v2, v5
	s_mov_b64 s[2:3], 0
	v_cvt_i32_f32_e32 v2, v2
	v_ashrrev_i32_e32 v3, 31, v2
	global_store_dwordx2 v[0:1], v[2:3], off
.LBB240_449:
	s_andn2_b64 vcc, exec, s[2:3]
	s_cbranch_vccnz .LBB240_451
; %bb.450:
	v_cvt_f32_f16_e32 v2, v5
	v_cvt_i32_f32_e32 v2, v2
	global_store_dword v[0:1], v2, off
.LBB240_451:
	s_mov_b64 s[2:3], 0
.LBB240_452:
	s_andn2_b64 vcc, exec, s[2:3]
	s_cbranch_vccnz .LBB240_454
; %bb.453:
	v_cvt_i16_f16_e32 v2, v5
	global_store_short v[0:1], v2, off
.LBB240_454:
	s_mov_b64 s[2:3], 0
.LBB240_455:
	s_andn2_b64 vcc, exec, s[2:3]
	s_cbranch_vccnz .LBB240_460
; %bb.456:
	s_cmp_gt_i32 s22, 0
	s_mov_b64 s[2:3], -1
	s_cbranch_scc0 .LBB240_458
; %bb.457:
	v_cvt_i16_f16_e32 v2, v5
	s_mov_b64 s[2:3], 0
	global_store_byte v[0:1], v2, off
.LBB240_458:
	s_andn2_b64 vcc, exec, s[2:3]
	s_cbranch_vccnz .LBB240_460
; %bb.459:
	v_cvt_f32_f16_e32 v2, v5
	v_cvt_i32_f32_e32 v2, v2
	global_store_byte v[0:1], v2, off
.LBB240_460:
	s_mov_b64 s[2:3], -1
.LBB240_461:
	s_andn2_b64 vcc, exec, s[2:3]
	s_cbranch_vccnz .LBB240_463
; %bb.462:
	v_add_u32_e32 v4, 0x80, v4
	s_mov_b64 s[2:3], -1
	s_branch .LBB240_580
.LBB240_463:
	s_mov_b64 s[2:3], 0
                                        ; implicit-def: $vgpr4
	s_branch .LBB240_580
.LBB240_464:
	s_mov_b64 s[20:21], -1
                                        ; implicit-def: $vgpr2
.LBB240_465:
	v_mov_b32_e32 v3, 0
.LBB240_466:
	s_mov_b64 s[2:3], 0
.LBB240_467:
	s_and_b64 vcc, exec, s[2:3]
	s_cbranch_vccz .LBB240_472
; %bb.468:
	s_cmp_eq_u32 s26, 29
	s_cbranch_scc0 .LBB240_470
; %bb.469:
	global_load_dwordx2 v[2:3], v[0:1], off
	s_mov_b64 s[0:1], -1
	s_mov_b64 s[20:21], 0
	s_waitcnt vmcnt(0)
	v_ffbh_u32_e32 v5, v3
	v_min_u32_e32 v5, 32, v5
	v_lshlrev_b64 v[2:3], v5, v[2:3]
	v_min_u32_e32 v2, 1, v2
	v_or_b32_e32 v2, v3, v2
	v_cvt_f32_u32_e32 v2, v2
	v_sub_u32_e32 v3, 32, v5
	v_ldexp_f32 v2, v2, v3
	v_cvt_f16_f32_e32 v2, v2
	s_branch .LBB240_471
.LBB240_470:
	s_mov_b64 s[20:21], -1
                                        ; implicit-def: $vgpr2
.LBB240_471:
	v_mov_b32_e32 v3, 0
.LBB240_472:
	s_mov_b64 s[2:3], 0
.LBB240_473:
	s_and_b64 vcc, exec, s[2:3]
	s_cbranch_vccz .LBB240_491
; %bb.474:
	s_cmp_lt_i32 s26, 27
	s_cbranch_scc1 .LBB240_477
; %bb.475:
	s_cmp_gt_i32 s26, 27
	s_cbranch_scc0 .LBB240_478
; %bb.476:
	global_load_dword v2, v[0:1], off
	s_mov_b64 s[0:1], 0
	s_waitcnt vmcnt(0)
	v_cvt_f32_u32_e32 v2, v2
	v_cvt_f16_f32_e32 v2, v2
	s_branch .LBB240_479
.LBB240_477:
	s_mov_b64 s[0:1], -1
                                        ; implicit-def: $vgpr2
	s_branch .LBB240_482
.LBB240_478:
	s_mov_b64 s[0:1], -1
                                        ; implicit-def: $vgpr2
.LBB240_479:
	s_andn2_b64 vcc, exec, s[0:1]
	s_cbranch_vccnz .LBB240_481
; %bb.480:
	global_load_ushort v2, v[0:1], off
	s_waitcnt vmcnt(0)
	v_cvt_f16_u16_e32 v2, v2
.LBB240_481:
	s_mov_b64 s[0:1], 0
.LBB240_482:
	s_andn2_b64 vcc, exec, s[0:1]
	s_cbranch_vccnz .LBB240_490
; %bb.483:
	global_load_ubyte v3, v[0:1], off
	s_movk_i32 s0, 0x7f
	s_waitcnt vmcnt(0)
	v_cmp_lt_i16_e32 vcc, s0, v3
	s_mov_b64 s[0:1], 0
	s_and_saveexec_b64 s[2:3], vcc
	s_xor_b64 s[2:3], exec, s[2:3]
	s_cbranch_execz .LBB240_504
; %bb.484:
	s_movk_i32 s0, 0x80
	v_cmp_eq_u16_e32 vcc, s0, v3
	s_mov_b64 s[0:1], -1
	s_and_saveexec_b64 s[22:23], vcc
; %bb.485:
	s_xor_b64 s[0:1], exec, -1
; %bb.486:
	s_or_b64 exec, exec, s[22:23]
	s_and_b64 s[0:1], s[0:1], exec
	s_or_saveexec_b64 s[2:3], s[2:3]
	v_mov_b32_e32 v2, 0x7e00
	s_xor_b64 exec, exec, s[2:3]
	s_cbranch_execnz .LBB240_505
.LBB240_487:
	s_or_b64 exec, exec, s[2:3]
	s_and_saveexec_b64 s[2:3], s[0:1]
	s_cbranch_execz .LBB240_489
.LBB240_488:
	v_lshlrev_b32_e32 v2, 24, v3
	v_and_b32_e32 v3, 0xffff, v3
	v_and_b32_e32 v5, 7, v3
	v_ffbh_u32_e32 v7, v5
	v_min_u32_e32 v7, 32, v7
	v_subrev_u32_e32 v8, 28, v7
	v_bfe_u32 v6, v3, 3, 4
	v_lshlrev_b32_e32 v3, v8, v3
	v_sub_u32_e32 v7, 29, v7
	v_and_b32_e32 v3, 7, v3
	v_cmp_eq_u32_e32 vcc, 0, v6
	v_and_b32_e32 v2, 0x80000000, v2
	s_nop 0
	v_cndmask_b32_e32 v6, v6, v7, vcc
	v_cndmask_b32_e32 v3, v5, v3, vcc
	v_mov_b32_e32 v5, 0x3b800000
	v_lshlrev_b32_e32 v3, 20, v3
	v_lshl_add_u32 v5, v6, 23, v5
	v_or3_b32 v2, v2, v5, v3
	v_cvt_f16_f32_e32 v2, v2
.LBB240_489:
	s_or_b64 exec, exec, s[2:3]
.LBB240_490:
	s_mov_b64 s[0:1], -1
	v_mov_b32_e32 v3, 0
.LBB240_491:
	s_mov_b64 s[2:3], 0
.LBB240_492:
	s_and_b64 vcc, exec, s[2:3]
	s_cbranch_vccz .LBB240_528
; %bb.493:
	s_cmp_gt_i32 s26, 22
	s_cbranch_scc0 .LBB240_503
; %bb.494:
	s_cmp_lt_i32 s26, 24
	s_cbranch_scc1 .LBB240_506
; %bb.495:
	s_cmp_gt_i32 s26, 24
	s_cbranch_scc0 .LBB240_507
; %bb.496:
	global_load_ubyte v3, v[0:1], off
	s_movk_i32 s0, 0x7f
	s_waitcnt vmcnt(0)
	v_cmp_lt_i16_e32 vcc, s0, v3
	s_mov_b64 s[0:1], 0
	s_and_saveexec_b64 s[2:3], vcc
	s_xor_b64 s[2:3], exec, s[2:3]
	s_cbranch_execz .LBB240_519
; %bb.497:
	s_movk_i32 s0, 0x80
	v_cmp_eq_u16_e32 vcc, s0, v3
	s_mov_b64 s[0:1], -1
	s_and_saveexec_b64 s[22:23], vcc
; %bb.498:
	s_xor_b64 s[0:1], exec, -1
; %bb.499:
	s_or_b64 exec, exec, s[22:23]
	s_and_b64 s[0:1], s[0:1], exec
	s_or_saveexec_b64 s[2:3], s[2:3]
	v_mov_b32_e32 v2, 0x7e00
	s_xor_b64 exec, exec, s[2:3]
	s_cbranch_execnz .LBB240_520
.LBB240_500:
	s_or_b64 exec, exec, s[2:3]
	s_and_saveexec_b64 s[2:3], s[0:1]
	s_cbranch_execz .LBB240_502
.LBB240_501:
	v_lshlrev_b32_e32 v2, 24, v3
	v_and_b32_e32 v3, 0xffff, v3
	v_and_b32_e32 v5, 3, v3
	v_ffbh_u32_e32 v7, v5
	v_min_u32_e32 v7, 32, v7
	v_subrev_u32_e32 v8, 29, v7
	v_bfe_u32 v6, v3, 2, 5
	v_lshlrev_b32_e32 v3, v8, v3
	v_sub_u32_e32 v7, 30, v7
	v_and_b32_e32 v3, 3, v3
	v_cmp_eq_u32_e32 vcc, 0, v6
	v_and_b32_e32 v2, 0x80000000, v2
	s_nop 0
	v_cndmask_b32_e32 v6, v6, v7, vcc
	v_cndmask_b32_e32 v3, v5, v3, vcc
	v_mov_b32_e32 v5, 0x37800000
	v_lshlrev_b32_e32 v3, 21, v3
	v_lshl_add_u32 v5, v6, 23, v5
	v_or3_b32 v2, v2, v5, v3
	v_cvt_f16_f32_e32 v2, v2
.LBB240_502:
	s_or_b64 exec, exec, s[2:3]
	s_mov_b64 s[0:1], 0
	s_branch .LBB240_508
.LBB240_503:
	s_mov_b64 s[2:3], -1
                                        ; implicit-def: $vgpr2
	s_branch .LBB240_514
.LBB240_504:
	s_or_saveexec_b64 s[2:3], s[2:3]
	v_mov_b32_e32 v2, 0x7e00
	s_xor_b64 exec, exec, s[2:3]
	s_cbranch_execz .LBB240_487
.LBB240_505:
	v_cmp_ne_u16_e32 vcc, 0, v3
	s_andn2_b64 s[0:1], s[0:1], exec
	s_and_b64 s[22:23], vcc, exec
	s_or_b64 s[0:1], s[0:1], s[22:23]
	v_mov_b32_e32 v2, v3
	s_or_b64 exec, exec, s[2:3]
	s_and_saveexec_b64 s[2:3], s[0:1]
	s_cbranch_execnz .LBB240_488
	s_branch .LBB240_489
.LBB240_506:
	s_mov_b64 s[0:1], -1
                                        ; implicit-def: $vgpr2
	s_branch .LBB240_511
.LBB240_507:
	s_mov_b64 s[0:1], -1
                                        ; implicit-def: $vgpr2
.LBB240_508:
	s_and_b64 vcc, exec, s[0:1]
	s_cbranch_vccz .LBB240_510
; %bb.509:
	global_load_ubyte v2, v[0:1], off
	s_mov_b32 s0, 0x7f800000
	s_waitcnt vmcnt(0)
	v_lshlrev_b32_e32 v2, 24, v2
	v_and_b32_e32 v3, 0x7f000000, v2
	v_ffbh_u32_e32 v5, v3
	v_min_u32_e32 v5, 32, v5
	v_sub_u32_e64 v5, v5, 4 clamp
	v_lshlrev_b32_e32 v7, v5, v3
	v_lshlrev_b32_e32 v5, 23, v5
	v_lshrrev_b32_e32 v7, 4, v7
	v_add_u32_e32 v6, 0x1000000, v3
	v_sub_u32_e32 v5, v7, v5
	v_ashrrev_i32_e32 v6, 8, v6
	v_add_u32_e32 v5, 0x3c000000, v5
	v_and_or_b32 v5, v6, s0, v5
	v_cmp_ne_u32_e32 vcc, 0, v3
	s_brev_b32 s0, 1
	s_nop 0
	v_cndmask_b32_e32 v3, 0, v5, vcc
	v_and_or_b32 v2, v2, s0, v3
	v_cvt_f16_f32_e32 v2, v2
.LBB240_510:
	s_mov_b64 s[0:1], 0
.LBB240_511:
	s_andn2_b64 vcc, exec, s[0:1]
	s_cbranch_vccnz .LBB240_513
; %bb.512:
	global_load_ubyte v2, v[0:1], off
	s_movk_i32 s0, 0x7f00
	s_brev_b32 s1, 16
	s_waitcnt vmcnt(0)
	v_lshlrev_b16_e32 v3, 8, v2
	v_lshlrev_b32_e32 v2, 25, v2
	v_lshrrev_b32_e32 v5, 4, v2
	v_and_or_b32 v6, v3, s0, 0.5
	v_or_b32_e32 v5, 0x70000000, v5
	v_add_f32_e32 v6, -0.5, v6
	v_mul_f32_e32 v5, 0x7800000, v5
	v_cmp_gt_u32_e32 vcc, s1, v2
	v_bfe_i32 v3, v3, 0, 16
	s_brev_b32 s0, 1
	v_cndmask_b32_e32 v2, v5, v6, vcc
	v_and_or_b32 v2, v3, s0, v2
	v_cvt_f16_f32_e32 v2, v2
.LBB240_513:
	s_mov_b64 s[2:3], 0
	s_mov_b64 s[0:1], -1
.LBB240_514:
	s_andn2_b64 vcc, exec, s[2:3]
	s_cbranch_vccnz .LBB240_527
; %bb.515:
	s_cmp_gt_i32 s26, 14
	s_cbranch_scc0 .LBB240_518
; %bb.516:
	s_cmp_eq_u32 s26, 15
	s_cbranch_scc0 .LBB240_521
; %bb.517:
	global_load_ushort v2, v[0:1], off
	s_mov_b64 s[0:1], -1
	s_mov_b64 s[20:21], 0
	s_waitcnt vmcnt(0)
	v_lshlrev_b32_e32 v2, 16, v2
	v_cvt_f16_f32_e32 v2, v2
	s_branch .LBB240_522
.LBB240_518:
	s_mov_b64 s[2:3], -1
                                        ; implicit-def: $vgpr2
	s_branch .LBB240_523
.LBB240_519:
	s_or_saveexec_b64 s[2:3], s[2:3]
	v_mov_b32_e32 v2, 0x7e00
	s_xor_b64 exec, exec, s[2:3]
	s_cbranch_execz .LBB240_500
.LBB240_520:
	v_cmp_ne_u16_e32 vcc, 0, v3
	s_andn2_b64 s[0:1], s[0:1], exec
	s_and_b64 s[22:23], vcc, exec
	s_or_b64 s[0:1], s[0:1], s[22:23]
	v_mov_b32_e32 v2, v3
	s_or_b64 exec, exec, s[2:3]
	s_and_saveexec_b64 s[2:3], s[0:1]
	s_cbranch_execnz .LBB240_501
	s_branch .LBB240_502
.LBB240_521:
	s_mov_b64 s[20:21], -1
                                        ; implicit-def: $vgpr2
.LBB240_522:
	s_mov_b64 s[2:3], 0
.LBB240_523:
	s_and_b64 vcc, exec, s[2:3]
	s_cbranch_vccz .LBB240_527
; %bb.524:
	s_cmp_eq_u32 s26, 11
	s_cbranch_scc0 .LBB240_526
; %bb.525:
	global_load_ubyte v2, v[0:1], off
	v_mov_b32_e32 v3, 0x3c00
	s_mov_b64 s[0:1], -1
	s_mov_b64 s[20:21], 0
	s_waitcnt vmcnt(0)
	v_cmp_ne_u16_e32 vcc, 0, v2
	s_nop 1
	v_cndmask_b32_e32 v2, 0, v3, vcc
	s_branch .LBB240_527
.LBB240_526:
	s_mov_b64 s[20:21], -1
                                        ; implicit-def: $vgpr2
.LBB240_527:
	v_mov_b32_e32 v3, 0
.LBB240_528:
	s_branch .LBB240_298
.LBB240_529:
	s_cmp_lt_i32 s26, 5
	s_cbranch_scc1 .LBB240_534
; %bb.530:
	s_cmp_lt_i32 s26, 8
	s_cbranch_scc1 .LBB240_535
; %bb.531:
	;; [unrolled: 3-line block ×3, first 2 shown]
	s_cmp_gt_i32 s26, 9
	s_cbranch_scc0 .LBB240_537
; %bb.533:
	global_load_dwordx4 v[6:9], v[0:1], off
	s_movk_i32 s0, 0x1ff
	s_movk_i32 s1, 0xffe
	s_waitcnt vmcnt(1)
	v_mov_b32_e32 v2, 0x7c00
	v_mov_b32_e32 v3, 0x7e00
	s_movk_i32 s2, 0x40f
	s_mov_b32 s3, 0x8000
	s_waitcnt vmcnt(0)
	v_and_or_b32 v5, v7, s0, v6
	v_and_or_b32 v8, v9, s0, v8
	v_cmp_ne_u32_e32 vcc, 0, v5
	v_lshrrev_b32_e32 v6, 8, v7
	v_bfe_u32 v10, v7, 20, 11
	v_cndmask_b32_e64 v5, 0, 1, vcc
	v_cmp_ne_u32_e32 vcc, 0, v8
	v_lshrrev_b32_e32 v11, 8, v9
	v_bfe_u32 v12, v9, 20, 11
	v_sub_u32_e32 v13, 0x3f1, v10
	v_cndmask_b32_e64 v8, 0, 1, vcc
	v_and_or_b32 v5, v6, s1, v5
	v_add_u32_e32 v10, 0xfffffc10, v10
	v_sub_u32_e32 v14, 0x3f1, v12
	v_add_u32_e32 v12, 0xfffffc10, v12
	v_med3_i32 v6, v13, 0, 13
	v_and_or_b32 v8, v11, s1, v8
	v_or_b32_e32 v13, 0x1000, v5
	v_cmp_ne_u32_e32 vcc, 0, v5
	v_med3_i32 v11, v14, 0, 13
	v_lshl_or_b32 v14, v10, 12, v5
	v_cndmask_b32_e32 v5, v2, v3, vcc
	v_or_b32_e32 v15, 0x1000, v8
	v_lshl_or_b32 v16, v12, 12, v8
	v_cmp_ne_u32_e32 vcc, 0, v8
	v_lshrrev_b32_e32 v8, v6, v13
	v_lshrrev_b32_e32 v17, v11, v15
	v_lshlrev_b32_e32 v6, v6, v8
	v_cndmask_b32_e32 v3, v2, v3, vcc
	v_lshlrev_b32_e32 v11, v11, v17
	v_cmp_ne_u32_e32 vcc, v6, v13
	v_lshrrev_b32_e32 v7, 16, v7
	v_lshrrev_b32_e32 v9, 16, v9
	v_cndmask_b32_e64 v6, 0, 1, vcc
	v_cmp_ne_u32_e32 vcc, v11, v15
	v_or_b32_e32 v6, v8, v6
	s_mov_b64 s[0:1], 0
	v_cndmask_b32_e64 v11, 0, 1, vcc
	v_cmp_gt_i32_e32 vcc, 1, v10
	v_or_b32_e32 v8, v17, v11
	s_nop 0
	v_cndmask_b32_e32 v6, v14, v6, vcc
	v_cmp_gt_i32_e32 vcc, 1, v12
	v_and_b32_e32 v11, 7, v6
	v_lshrrev_b32_e32 v6, 2, v6
	v_cndmask_b32_e32 v8, v16, v8, vcc
	v_cmp_lt_i32_e32 vcc, 5, v11
	v_and_b32_e32 v13, 7, v8
	v_lshrrev_b32_e32 v8, 2, v8
	v_cndmask_b32_e64 v14, 0, 1, vcc
	v_cmp_eq_u32_e32 vcc, 3, v11
	s_nop 1
	v_cndmask_b32_e64 v11, 0, 1, vcc
	v_cmp_lt_i32_e32 vcc, 5, v13
	v_or_b32_e32 v11, v11, v14
	v_add_u32_e32 v6, v6, v11
	v_cndmask_b32_e64 v15, 0, 1, vcc
	v_cmp_eq_u32_e32 vcc, 3, v13
	s_nop 1
	v_cndmask_b32_e64 v13, 0, 1, vcc
	v_or_b32_e32 v13, v13, v15
	v_cmp_gt_i32_e32 vcc, 31, v10
	v_add_u32_e32 v8, v8, v13
	s_nop 0
	v_cndmask_b32_e32 v6, v2, v6, vcc
	v_cmp_gt_i32_e32 vcc, 31, v12
	s_nop 1
	v_cndmask_b32_e32 v2, v2, v8, vcc
	v_cmp_eq_u32_e32 vcc, s2, v10
	s_nop 1
	v_cndmask_b32_e32 v5, v6, v5, vcc
	v_cmp_eq_u32_e32 vcc, s2, v12
	s_nop 1
	v_cndmask_b32_e32 v3, v2, v3, vcc
	v_and_or_b32 v2, v7, s3, v5
	v_and_or_b32 v3, v9, s3, v3
	s_branch .LBB240_538
.LBB240_534:
	s_mov_b64 s[0:1], -1
                                        ; implicit-def: $vgpr3
                                        ; implicit-def: $vgpr2
	s_branch .LBB240_557
.LBB240_535:
	s_mov_b64 s[0:1], -1
                                        ; implicit-def: $vgpr3
                                        ; implicit-def: $vgpr2
	s_branch .LBB240_544
.LBB240_536:
	s_mov_b64 s[0:1], -1
                                        ; implicit-def: $vgpr3
                                        ; implicit-def: $vgpr2
	s_branch .LBB240_541
.LBB240_537:
	s_mov_b64 s[0:1], -1
                                        ; implicit-def: $vgpr3
                                        ; implicit-def: $vgpr2
.LBB240_538:
	s_andn2_b64 vcc, exec, s[0:1]
	s_cbranch_vccnz .LBB240_540
; %bb.539:
	global_load_dwordx2 v[2:3], v[0:1], off
	s_waitcnt vmcnt(0)
	v_cvt_f16_f32_e32 v2, v2
	v_cvt_f16_f32_e32 v3, v3
.LBB240_540:
	s_mov_b64 s[0:1], 0
.LBB240_541:
	s_andn2_b64 vcc, exec, s[0:1]
	s_cbranch_vccnz .LBB240_543
; %bb.542:
	global_load_dword v2, v[0:1], off
	s_waitcnt vmcnt(0)
	v_lshrrev_b32_e32 v3, 16, v2
.LBB240_543:
	s_mov_b64 s[0:1], 0
.LBB240_544:
	s_andn2_b64 vcc, exec, s[0:1]
	s_cbranch_vccnz .LBB240_556
; %bb.545:
	s_cmp_lt_i32 s26, 6
	s_cbranch_scc1 .LBB240_548
; %bb.546:
	s_cmp_gt_i32 s26, 6
	s_cbranch_scc0 .LBB240_549
; %bb.547:
	global_load_dwordx2 v[2:3], v[0:1], off
	s_movk_i32 s0, 0x1ff
	s_movk_i32 s1, 0xffe
	v_mov_b32_e32 v5, 0x7c00
	v_mov_b32_e32 v6, 0x7e00
	s_movk_i32 s2, 0x40f
	s_mov_b32 s3, 0x8000
	s_waitcnt vmcnt(0)
	v_and_or_b32 v2, v3, s0, v2
	v_cmp_ne_u32_e32 vcc, 0, v2
	v_lshrrev_b32_e32 v7, 8, v3
	v_bfe_u32 v8, v3, 20, 11
	v_cndmask_b32_e64 v2, 0, 1, vcc
	v_sub_u32_e32 v9, 0x3f1, v8
	v_and_or_b32 v2, v7, s1, v2
	v_add_u32_e32 v8, 0xfffffc10, v8
	v_med3_i32 v7, v9, 0, 13
	v_or_b32_e32 v9, 0x1000, v2
	v_cmp_ne_u32_e32 vcc, 0, v2
	v_lshl_or_b32 v10, v8, 12, v2
	v_lshrrev_b32_e32 v3, 16, v3
	v_cndmask_b32_e32 v2, v5, v6, vcc
	v_lshrrev_b32_e32 v6, v7, v9
	v_lshlrev_b32_e32 v7, v7, v6
	v_cmp_ne_u32_e32 vcc, v7, v9
	s_mov_b64 s[0:1], 0
	s_nop 0
	v_cndmask_b32_e64 v7, 0, 1, vcc
	v_or_b32_e32 v6, v6, v7
	v_cmp_gt_i32_e32 vcc, 1, v8
	s_nop 1
	v_cndmask_b32_e32 v6, v10, v6, vcc
	v_and_b32_e32 v7, 7, v6
	v_cmp_lt_i32_e32 vcc, 5, v7
	v_lshrrev_b32_e32 v6, 2, v6
	s_nop 0
	v_cndmask_b32_e64 v9, 0, 1, vcc
	v_cmp_eq_u32_e32 vcc, 3, v7
	s_nop 1
	v_cndmask_b32_e64 v7, 0, 1, vcc
	v_or_b32_e32 v7, v7, v9
	v_add_u32_e32 v6, v6, v7
	v_cmp_gt_i32_e32 vcc, 31, v8
	s_nop 1
	v_cndmask_b32_e32 v5, v5, v6, vcc
	v_cmp_eq_u32_e32 vcc, s2, v8
	s_nop 1
	v_cndmask_b32_e32 v2, v5, v2, vcc
	v_and_or_b32 v2, v3, s3, v2
	s_branch .LBB240_550
.LBB240_548:
	s_mov_b64 s[0:1], -1
                                        ; implicit-def: $vgpr2
	s_branch .LBB240_553
.LBB240_549:
	s_mov_b64 s[0:1], -1
                                        ; implicit-def: $vgpr2
.LBB240_550:
	s_andn2_b64 vcc, exec, s[0:1]
	s_cbranch_vccnz .LBB240_552
; %bb.551:
	global_load_dword v2, v[0:1], off
	s_waitcnt vmcnt(0)
	v_cvt_f16_f32_e32 v2, v2
.LBB240_552:
	s_mov_b64 s[0:1], 0
.LBB240_553:
	s_andn2_b64 vcc, exec, s[0:1]
	s_cbranch_vccnz .LBB240_555
; %bb.554:
	global_load_ushort v2, v[0:1], off
.LBB240_555:
	v_mov_b32_e32 v3, 0
.LBB240_556:
	s_mov_b64 s[0:1], 0
.LBB240_557:
	s_andn2_b64 vcc, exec, s[0:1]
	s_cbranch_vccnz .LBB240_578
; %bb.558:
	s_cmp_lt_i32 s26, 2
	s_cbranch_scc1 .LBB240_562
; %bb.559:
	s_cmp_lt_i32 s26, 3
	s_cbranch_scc1 .LBB240_563
; %bb.560:
	s_cmp_gt_i32 s26, 3
	s_cbranch_scc0 .LBB240_564
; %bb.561:
	global_load_dwordx2 v[2:3], v[0:1], off
	s_mov_b64 s[0:1], 0
	s_waitcnt vmcnt(0)
	v_xor_b32_e32 v6, v2, v3
	v_ffbh_i32_e32 v5, v3
	v_ashrrev_i32_e32 v6, 31, v6
	v_add_u32_e32 v5, -1, v5
	v_add_u32_e32 v6, 32, v6
	v_min_u32_e32 v5, v5, v6
	v_lshlrev_b64 v[2:3], v5, v[2:3]
	v_min_u32_e32 v2, 1, v2
	v_or_b32_e32 v2, v3, v2
	v_cvt_f32_i32_e32 v2, v2
	v_sub_u32_e32 v3, 32, v5
	v_ldexp_f32 v2, v2, v3
	v_cvt_f16_f32_e32 v2, v2
	s_branch .LBB240_565
.LBB240_562:
	s_mov_b64 s[0:1], -1
                                        ; implicit-def: $vgpr2
	s_branch .LBB240_571
.LBB240_563:
	s_mov_b64 s[0:1], -1
                                        ; implicit-def: $vgpr2
	s_branch .LBB240_568
.LBB240_564:
	s_mov_b64 s[0:1], -1
                                        ; implicit-def: $vgpr2
.LBB240_565:
	s_andn2_b64 vcc, exec, s[0:1]
	s_cbranch_vccnz .LBB240_567
; %bb.566:
	global_load_dword v2, v[0:1], off
	s_waitcnt vmcnt(0)
	v_cvt_f32_i32_e32 v2, v2
	v_cvt_f16_f32_e32 v2, v2
.LBB240_567:
	s_mov_b64 s[0:1], 0
.LBB240_568:
	s_andn2_b64 vcc, exec, s[0:1]
	s_cbranch_vccnz .LBB240_570
; %bb.569:
	global_load_ushort v2, v[0:1], off
	s_waitcnt vmcnt(0)
	v_cvt_f16_i16_e32 v2, v2
.LBB240_570:
	s_mov_b64 s[0:1], 0
.LBB240_571:
	s_andn2_b64 vcc, exec, s[0:1]
	s_cbranch_vccnz .LBB240_577
; %bb.572:
	s_cmp_gt_i32 s26, 0
	s_cbranch_scc0 .LBB240_574
; %bb.573:
	global_load_sbyte v2, v[0:1], off
	s_mov_b64 s[0:1], 0
	s_waitcnt vmcnt(0)
	v_cvt_f16_i16_e32 v2, v2
	s_branch .LBB240_575
.LBB240_574:
	s_mov_b64 s[0:1], -1
                                        ; implicit-def: $vgpr2
.LBB240_575:
	s_andn2_b64 vcc, exec, s[0:1]
	s_cbranch_vccnz .LBB240_577
; %bb.576:
	global_load_ubyte v0, v[0:1], off
	s_waitcnt vmcnt(0)
	v_cvt_f16_u16_e32 v2, v0
.LBB240_577:
	v_mov_b32_e32 v3, 0
.LBB240_578:
	s_branch .LBB240_299
.LBB240_579:
	s_mov_b64 s[2:3], 0
                                        ; implicit-def: $vgpr4
	s_mov_b64 s[0:1], s[14:15]
.LBB240_580:
	s_andn2_b64 s[22:23], s[14:15], exec
	s_and_b64 s[0:1], s[0:1], exec
	s_or_b64 s[22:23], s[22:23], s[0:1]
	s_andn2_b64 s[0:1], s[16:17], exec
	s_and_b64 s[20:21], s[20:21], exec
	s_or_b64 s[20:21], s[0:1], s[20:21]
	s_orn2_b64 s[0:1], s[2:3], exec
.LBB240_581:
	s_or_b64 exec, exec, s[24:25]
	s_mov_b64 s[2:3], 0
	s_mov_b64 s[26:27], 0
	;; [unrolled: 1-line block ×3, first 2 shown]
                                        ; implicit-def: $vgpr0_vgpr1
                                        ; implicit-def: $vgpr6
                                        ; implicit-def: $vgpr2
	s_and_saveexec_b64 s[24:25], s[0:1]
	s_cbranch_execz .LBB240_964
; %bb.582:
	v_cmp_gt_i32_e32 vcc, s45, v4
	s_mov_b64 s[34:35], -1
	s_mov_b64 s[0:1], s[20:21]
	s_mov_b64 s[2:3], s[22:23]
	s_and_saveexec_b64 s[26:27], vcc
	s_cbranch_execz .LBB240_875
; %bb.583:
	v_mul_lo_u32 v0, v4, s9
	v_ashrrev_i32_e32 v1, 31, v0
	s_and_b32 s34, 0xffff, s44
	s_cmp_lt_i32 s34, 11
	v_lshl_add_u64 v[0:1], s[6:7], 0, v[0:1]
	s_cbranch_scc1 .LBB240_590
; %bb.584:
	s_cmp_gt_i32 s34, 25
	s_cbranch_scc0 .LBB240_591
; %bb.585:
	s_cmp_gt_i32 s34, 28
	s_cbranch_scc0 .LBB240_592
	;; [unrolled: 3-line block ×4, first 2 shown]
; %bb.588:
	s_cmp_eq_u32 s34, 46
	s_mov_b64 s[2:3], 0
	s_cbranch_scc0 .LBB240_599
; %bb.589:
	global_load_dword v2, v[0:1], off
	s_mov_b64 s[0:1], -1
	s_waitcnt vmcnt(0)
	v_and_b32_e32 v3, 0xffff0000, v2
	v_lshlrev_b32_e32 v2, 16, v2
	v_cvt_f16_f32_e32 v2, v2
	v_cvt_f16_f32_e32 v3, v3
	s_branch .LBB240_600
.LBB240_590:
	s_mov_b64 s[2:3], -1
	s_mov_b64 s[0:1], 0
                                        ; implicit-def: $vgpr3
                                        ; implicit-def: $vgpr2
	s_mov_b64 s[28:29], s[20:21]
	s_branch .LBB240_668
.LBB240_591:
	s_mov_b64 s[2:3], -1
	s_mov_b64 s[0:1], 0
	s_mov_b64 s[28:29], s[20:21]
                                        ; implicit-def: $vgpr3
                                        ; implicit-def: $vgpr2
	s_branch .LBB240_631
.LBB240_592:
	s_mov_b64 s[2:3], -1
	s_mov_b64 s[0:1], 0
	s_mov_b64 s[28:29], s[20:21]
                                        ; implicit-def: $vgpr3
                                        ; implicit-def: $vgpr2
	s_branch .LBB240_612
.LBB240_593:
	s_mov_b64 s[2:3], -1
	s_mov_b64 s[0:1], 0
	s_mov_b64 s[28:29], s[20:21]
                                        ; implicit-def: $vgpr3
                                        ; implicit-def: $vgpr2
	s_branch .LBB240_606
.LBB240_594:
	s_andn2_saveexec_b64 s[26:27], s[26:27]
	s_cbranch_execz .LBB240_374
.LBB240_595:
	s_mov_b32 s30, 0x46000000
	v_add_f32_e64 v7, |v3|, s30
	v_and_b32_e32 v7, 0xff, v7
	v_cmp_ne_u32_e32 vcc, 0, v7
	s_andn2_b64 s[22:23], s[22:23], exec
	s_and_b64 s[30:31], vcc, exec
	s_or_b64 s[22:23], s[22:23], s[30:31]
	s_or_b64 exec, exec, s[26:27]
	v_mov_b32_e32 v8, 0
	s_and_saveexec_b64 s[26:27], s[22:23]
	s_cbranch_execnz .LBB240_375
	s_branch .LBB240_376
.LBB240_596:
	s_mov_b64 s[2:3], -1
	s_mov_b64 s[0:1], 0
	s_mov_b64 s[28:29], s[20:21]
                                        ; implicit-def: $vgpr3
                                        ; implicit-def: $vgpr2
	s_branch .LBB240_600
.LBB240_597:
	s_andn2_saveexec_b64 s[26:27], s[26:27]
	s_cbranch_execz .LBB240_387
.LBB240_598:
	s_mov_b32 s30, 0x42800000
	v_add_f32_e64 v7, |v3|, s30
	v_and_b32_e32 v7, 0xff, v7
	v_cmp_ne_u32_e32 vcc, 0, v7
	s_andn2_b64 s[22:23], s[22:23], exec
	s_and_b64 s[30:31], vcc, exec
	s_or_b64 s[22:23], s[22:23], s[30:31]
	s_or_b64 exec, exec, s[26:27]
	v_mov_b32_e32 v8, 0
	s_and_saveexec_b64 s[26:27], s[22:23]
	s_cbranch_execnz .LBB240_388
	s_branch .LBB240_389
.LBB240_599:
	s_mov_b64 s[28:29], -1
                                        ; implicit-def: $vgpr3
                                        ; implicit-def: $vgpr2
	s_mov_b64 s[0:1], 0
.LBB240_600:
	s_and_b64 vcc, exec, s[2:3]
	s_cbranch_vccz .LBB240_605
; %bb.601:
	s_cmp_eq_u32 s34, 44
	s_cbranch_scc0 .LBB240_603
; %bb.602:
	global_load_ubyte v2, v[0:1], off
	s_movk_i32 s2, 0xff
	v_mov_b32_e32 v5, 0x7e00
	s_mov_b64 s[0:1], -1
	s_mov_b64 s[28:29], 0
	s_waitcnt vmcnt(0)
	v_lshlrev_b32_e32 v3, 23, v2
	v_cvt_f16_f32_e32 v3, v3
	v_cmp_ne_u32_e32 vcc, s2, v2
	s_nop 1
	v_cndmask_b32_e32 v3, v5, v3, vcc
	v_cmp_ne_u32_e32 vcc, 0, v2
	s_nop 1
	v_cndmask_b32_e32 v2, 0, v3, vcc
	s_branch .LBB240_604
.LBB240_603:
	s_mov_b64 s[28:29], -1
                                        ; implicit-def: $vgpr2
.LBB240_604:
	v_mov_b32_e32 v3, 0
.LBB240_605:
	s_mov_b64 s[2:3], 0
.LBB240_606:
	s_and_b64 vcc, exec, s[2:3]
	s_cbranch_vccz .LBB240_611
; %bb.607:
	s_cmp_eq_u32 s34, 29
	s_cbranch_scc0 .LBB240_609
; %bb.608:
	global_load_dwordx2 v[2:3], v[0:1], off
	s_mov_b64 s[0:1], -1
	s_mov_b64 s[28:29], 0
	s_waitcnt vmcnt(0)
	v_ffbh_u32_e32 v5, v3
	v_min_u32_e32 v5, 32, v5
	v_lshlrev_b64 v[2:3], v5, v[2:3]
	v_min_u32_e32 v2, 1, v2
	v_or_b32_e32 v2, v3, v2
	v_cvt_f32_u32_e32 v2, v2
	v_sub_u32_e32 v3, 32, v5
	v_ldexp_f32 v2, v2, v3
	v_cvt_f16_f32_e32 v2, v2
	s_branch .LBB240_610
.LBB240_609:
	s_mov_b64 s[28:29], -1
                                        ; implicit-def: $vgpr2
.LBB240_610:
	v_mov_b32_e32 v3, 0
.LBB240_611:
	s_mov_b64 s[2:3], 0
.LBB240_612:
	s_and_b64 vcc, exec, s[2:3]
	s_cbranch_vccz .LBB240_630
; %bb.613:
	s_cmp_lt_i32 s34, 27
	s_cbranch_scc1 .LBB240_616
; %bb.614:
	s_cmp_gt_i32 s34, 27
	s_cbranch_scc0 .LBB240_617
; %bb.615:
	global_load_dword v2, v[0:1], off
	s_mov_b64 s[0:1], 0
	s_waitcnt vmcnt(0)
	v_cvt_f32_u32_e32 v2, v2
	v_cvt_f16_f32_e32 v2, v2
	s_branch .LBB240_618
.LBB240_616:
	s_mov_b64 s[0:1], -1
                                        ; implicit-def: $vgpr2
	s_branch .LBB240_621
.LBB240_617:
	s_mov_b64 s[0:1], -1
                                        ; implicit-def: $vgpr2
.LBB240_618:
	s_andn2_b64 vcc, exec, s[0:1]
	s_cbranch_vccnz .LBB240_620
; %bb.619:
	global_load_ushort v2, v[0:1], off
	s_waitcnt vmcnt(0)
	v_cvt_f16_u16_e32 v2, v2
.LBB240_620:
	s_mov_b64 s[0:1], 0
.LBB240_621:
	s_andn2_b64 vcc, exec, s[0:1]
	s_cbranch_vccnz .LBB240_629
; %bb.622:
	global_load_ubyte v3, v[0:1], off
	s_movk_i32 s0, 0x7f
	s_waitcnt vmcnt(0)
	v_cmp_lt_i16_e32 vcc, s0, v3
	s_mov_b64 s[0:1], 0
	s_and_saveexec_b64 s[2:3], vcc
	s_xor_b64 s[2:3], exec, s[2:3]
	s_cbranch_execz .LBB240_643
; %bb.623:
	s_movk_i32 s0, 0x80
	v_cmp_eq_u16_e32 vcc, s0, v3
	s_mov_b64 s[0:1], -1
	s_and_saveexec_b64 s[30:31], vcc
; %bb.624:
	s_xor_b64 s[0:1], exec, -1
; %bb.625:
	s_or_b64 exec, exec, s[30:31]
	s_and_b64 s[0:1], s[0:1], exec
	s_or_saveexec_b64 s[2:3], s[2:3]
	v_mov_b32_e32 v2, 0x7e00
	s_xor_b64 exec, exec, s[2:3]
	s_cbranch_execnz .LBB240_644
.LBB240_626:
	s_or_b64 exec, exec, s[2:3]
	s_and_saveexec_b64 s[2:3], s[0:1]
	s_cbranch_execz .LBB240_628
.LBB240_627:
	v_lshlrev_b32_e32 v2, 24, v3
	v_and_b32_e32 v3, 0xffff, v3
	v_and_b32_e32 v5, 7, v3
	v_ffbh_u32_e32 v7, v5
	v_min_u32_e32 v7, 32, v7
	v_subrev_u32_e32 v8, 28, v7
	v_bfe_u32 v6, v3, 3, 4
	v_lshlrev_b32_e32 v3, v8, v3
	v_sub_u32_e32 v7, 29, v7
	v_and_b32_e32 v3, 7, v3
	v_cmp_eq_u32_e32 vcc, 0, v6
	v_and_b32_e32 v2, 0x80000000, v2
	s_nop 0
	v_cndmask_b32_e32 v6, v6, v7, vcc
	v_cndmask_b32_e32 v3, v5, v3, vcc
	v_mov_b32_e32 v5, 0x3b800000
	v_lshlrev_b32_e32 v3, 20, v3
	v_lshl_add_u32 v5, v6, 23, v5
	v_or3_b32 v2, v2, v5, v3
	v_cvt_f16_f32_e32 v2, v2
.LBB240_628:
	s_or_b64 exec, exec, s[2:3]
.LBB240_629:
	s_mov_b64 s[0:1], -1
	v_mov_b32_e32 v3, 0
.LBB240_630:
	s_mov_b64 s[2:3], 0
.LBB240_631:
	s_and_b64 vcc, exec, s[2:3]
	s_cbranch_vccz .LBB240_667
; %bb.632:
	s_cmp_gt_i32 s34, 22
	s_cbranch_scc0 .LBB240_642
; %bb.633:
	s_cmp_lt_i32 s34, 24
	s_cbranch_scc1 .LBB240_645
; %bb.634:
	s_cmp_gt_i32 s34, 24
	s_cbranch_scc0 .LBB240_646
; %bb.635:
	global_load_ubyte v3, v[0:1], off
	s_movk_i32 s0, 0x7f
	s_waitcnt vmcnt(0)
	v_cmp_lt_i16_e32 vcc, s0, v3
	s_mov_b64 s[0:1], 0
	s_and_saveexec_b64 s[2:3], vcc
	s_xor_b64 s[2:3], exec, s[2:3]
	s_cbranch_execz .LBB240_658
; %bb.636:
	s_movk_i32 s0, 0x80
	v_cmp_eq_u16_e32 vcc, s0, v3
	s_mov_b64 s[0:1], -1
	s_and_saveexec_b64 s[30:31], vcc
; %bb.637:
	s_xor_b64 s[0:1], exec, -1
; %bb.638:
	s_or_b64 exec, exec, s[30:31]
	s_and_b64 s[0:1], s[0:1], exec
	s_or_saveexec_b64 s[2:3], s[2:3]
	v_mov_b32_e32 v2, 0x7e00
	s_xor_b64 exec, exec, s[2:3]
	s_cbranch_execnz .LBB240_659
.LBB240_639:
	s_or_b64 exec, exec, s[2:3]
	s_and_saveexec_b64 s[2:3], s[0:1]
	s_cbranch_execz .LBB240_641
.LBB240_640:
	v_lshlrev_b32_e32 v2, 24, v3
	v_and_b32_e32 v3, 0xffff, v3
	v_and_b32_e32 v5, 3, v3
	v_ffbh_u32_e32 v7, v5
	v_min_u32_e32 v7, 32, v7
	v_subrev_u32_e32 v8, 29, v7
	v_bfe_u32 v6, v3, 2, 5
	v_lshlrev_b32_e32 v3, v8, v3
	v_sub_u32_e32 v7, 30, v7
	v_and_b32_e32 v3, 3, v3
	v_cmp_eq_u32_e32 vcc, 0, v6
	v_and_b32_e32 v2, 0x80000000, v2
	s_nop 0
	v_cndmask_b32_e32 v6, v6, v7, vcc
	v_cndmask_b32_e32 v3, v5, v3, vcc
	v_mov_b32_e32 v5, 0x37800000
	v_lshlrev_b32_e32 v3, 21, v3
	v_lshl_add_u32 v5, v6, 23, v5
	v_or3_b32 v2, v2, v5, v3
	v_cvt_f16_f32_e32 v2, v2
.LBB240_641:
	s_or_b64 exec, exec, s[2:3]
	s_mov_b64 s[0:1], 0
	s_branch .LBB240_647
.LBB240_642:
	s_mov_b64 s[2:3], -1
                                        ; implicit-def: $vgpr2
	s_branch .LBB240_653
.LBB240_643:
	s_or_saveexec_b64 s[2:3], s[2:3]
	v_mov_b32_e32 v2, 0x7e00
	s_xor_b64 exec, exec, s[2:3]
	s_cbranch_execz .LBB240_626
.LBB240_644:
	v_cmp_ne_u16_e32 vcc, 0, v3
	s_andn2_b64 s[0:1], s[0:1], exec
	s_and_b64 s[30:31], vcc, exec
	s_or_b64 s[0:1], s[0:1], s[30:31]
	v_mov_b32_e32 v2, v3
	s_or_b64 exec, exec, s[2:3]
	s_and_saveexec_b64 s[2:3], s[0:1]
	s_cbranch_execnz .LBB240_627
	s_branch .LBB240_628
.LBB240_645:
	s_mov_b64 s[0:1], -1
                                        ; implicit-def: $vgpr2
	s_branch .LBB240_650
.LBB240_646:
	s_mov_b64 s[0:1], -1
                                        ; implicit-def: $vgpr2
.LBB240_647:
	s_and_b64 vcc, exec, s[0:1]
	s_cbranch_vccz .LBB240_649
; %bb.648:
	global_load_ubyte v2, v[0:1], off
	s_mov_b32 s0, 0x7f800000
	s_waitcnt vmcnt(0)
	v_lshlrev_b32_e32 v2, 24, v2
	v_and_b32_e32 v3, 0x7f000000, v2
	v_ffbh_u32_e32 v5, v3
	v_min_u32_e32 v5, 32, v5
	v_sub_u32_e64 v5, v5, 4 clamp
	v_lshlrev_b32_e32 v7, v5, v3
	v_lshlrev_b32_e32 v5, 23, v5
	v_lshrrev_b32_e32 v7, 4, v7
	v_add_u32_e32 v6, 0x1000000, v3
	v_sub_u32_e32 v5, v7, v5
	v_ashrrev_i32_e32 v6, 8, v6
	v_add_u32_e32 v5, 0x3c000000, v5
	v_and_or_b32 v5, v6, s0, v5
	v_cmp_ne_u32_e32 vcc, 0, v3
	s_brev_b32 s0, 1
	s_nop 0
	v_cndmask_b32_e32 v3, 0, v5, vcc
	v_and_or_b32 v2, v2, s0, v3
	v_cvt_f16_f32_e32 v2, v2
.LBB240_649:
	s_mov_b64 s[0:1], 0
.LBB240_650:
	s_andn2_b64 vcc, exec, s[0:1]
	s_cbranch_vccnz .LBB240_652
; %bb.651:
	global_load_ubyte v2, v[0:1], off
	s_movk_i32 s0, 0x7f00
	s_brev_b32 s1, 16
	s_waitcnt vmcnt(0)
	v_lshlrev_b16_e32 v3, 8, v2
	v_lshlrev_b32_e32 v2, 25, v2
	v_lshrrev_b32_e32 v5, 4, v2
	v_and_or_b32 v6, v3, s0, 0.5
	v_or_b32_e32 v5, 0x70000000, v5
	v_add_f32_e32 v6, -0.5, v6
	v_mul_f32_e32 v5, 0x7800000, v5
	v_cmp_gt_u32_e32 vcc, s1, v2
	v_bfe_i32 v3, v3, 0, 16
	s_brev_b32 s0, 1
	v_cndmask_b32_e32 v2, v5, v6, vcc
	v_and_or_b32 v2, v3, s0, v2
	v_cvt_f16_f32_e32 v2, v2
.LBB240_652:
	s_mov_b64 s[2:3], 0
	s_mov_b64 s[0:1], -1
.LBB240_653:
	s_andn2_b64 vcc, exec, s[2:3]
	s_cbranch_vccnz .LBB240_666
; %bb.654:
	s_cmp_gt_i32 s34, 14
	s_cbranch_scc0 .LBB240_657
; %bb.655:
	s_cmp_eq_u32 s34, 15
	s_cbranch_scc0 .LBB240_660
; %bb.656:
	global_load_ushort v2, v[0:1], off
	s_mov_b64 s[0:1], -1
	s_mov_b64 s[28:29], 0
	s_waitcnt vmcnt(0)
	v_lshlrev_b32_e32 v2, 16, v2
	v_cvt_f16_f32_e32 v2, v2
	s_branch .LBB240_661
.LBB240_657:
	s_mov_b64 s[2:3], -1
                                        ; implicit-def: $vgpr2
	s_branch .LBB240_662
.LBB240_658:
	s_or_saveexec_b64 s[2:3], s[2:3]
	v_mov_b32_e32 v2, 0x7e00
	s_xor_b64 exec, exec, s[2:3]
	s_cbranch_execz .LBB240_639
.LBB240_659:
	v_cmp_ne_u16_e32 vcc, 0, v3
	s_andn2_b64 s[0:1], s[0:1], exec
	s_and_b64 s[30:31], vcc, exec
	s_or_b64 s[0:1], s[0:1], s[30:31]
	v_mov_b32_e32 v2, v3
	s_or_b64 exec, exec, s[2:3]
	s_and_saveexec_b64 s[2:3], s[0:1]
	s_cbranch_execnz .LBB240_640
	s_branch .LBB240_641
.LBB240_660:
	s_mov_b64 s[28:29], -1
                                        ; implicit-def: $vgpr2
.LBB240_661:
	s_mov_b64 s[2:3], 0
.LBB240_662:
	s_and_b64 vcc, exec, s[2:3]
	s_cbranch_vccz .LBB240_666
; %bb.663:
	s_cmp_eq_u32 s34, 11
	s_cbranch_scc0 .LBB240_665
; %bb.664:
	global_load_ubyte v2, v[0:1], off
	v_mov_b32_e32 v3, 0x3c00
	s_mov_b64 s[0:1], -1
	s_mov_b64 s[28:29], 0
	s_waitcnt vmcnt(0)
	v_cmp_ne_u16_e32 vcc, 0, v2
	s_nop 1
	v_cndmask_b32_e32 v2, 0, v3, vcc
	s_branch .LBB240_666
.LBB240_665:
	s_mov_b64 s[28:29], -1
                                        ; implicit-def: $vgpr2
.LBB240_666:
	v_mov_b32_e32 v3, 0
.LBB240_667:
	s_mov_b64 s[2:3], 0
.LBB240_668:
	s_and_b64 vcc, exec, s[2:3]
	s_cbranch_vccz .LBB240_719
; %bb.669:
	s_cmp_lt_i32 s34, 5
	s_cbranch_scc1 .LBB240_674
; %bb.670:
	s_cmp_lt_i32 s34, 8
	s_cbranch_scc1 .LBB240_675
	;; [unrolled: 3-line block ×3, first 2 shown]
; %bb.672:
	s_cmp_gt_i32 s34, 9
	s_cbranch_scc0 .LBB240_677
; %bb.673:
	global_load_dwordx4 v[6:9], v[0:1], off
	s_movk_i32 s0, 0x1ff
	s_movk_i32 s1, 0xffe
	s_waitcnt vmcnt(1)
	v_mov_b32_e32 v2, 0x7c00
	v_mov_b32_e32 v3, 0x7e00
	s_movk_i32 s2, 0x40f
	s_mov_b32 s3, 0x8000
	s_waitcnt vmcnt(0)
	v_and_or_b32 v5, v7, s0, v6
	v_and_or_b32 v8, v9, s0, v8
	v_cmp_ne_u32_e32 vcc, 0, v5
	v_lshrrev_b32_e32 v6, 8, v7
	v_bfe_u32 v10, v7, 20, 11
	v_cndmask_b32_e64 v5, 0, 1, vcc
	v_cmp_ne_u32_e32 vcc, 0, v8
	v_lshrrev_b32_e32 v11, 8, v9
	v_bfe_u32 v12, v9, 20, 11
	v_sub_u32_e32 v13, 0x3f1, v10
	v_cndmask_b32_e64 v8, 0, 1, vcc
	v_and_or_b32 v5, v6, s1, v5
	v_add_u32_e32 v10, 0xfffffc10, v10
	v_sub_u32_e32 v14, 0x3f1, v12
	v_add_u32_e32 v12, 0xfffffc10, v12
	v_med3_i32 v6, v13, 0, 13
	v_and_or_b32 v8, v11, s1, v8
	v_or_b32_e32 v13, 0x1000, v5
	v_cmp_ne_u32_e32 vcc, 0, v5
	v_med3_i32 v11, v14, 0, 13
	v_lshl_or_b32 v14, v10, 12, v5
	v_cndmask_b32_e32 v5, v2, v3, vcc
	v_or_b32_e32 v15, 0x1000, v8
	v_lshl_or_b32 v16, v12, 12, v8
	v_cmp_ne_u32_e32 vcc, 0, v8
	v_lshrrev_b32_e32 v8, v6, v13
	v_lshrrev_b32_e32 v17, v11, v15
	v_lshlrev_b32_e32 v6, v6, v8
	v_cndmask_b32_e32 v3, v2, v3, vcc
	v_lshlrev_b32_e32 v11, v11, v17
	v_cmp_ne_u32_e32 vcc, v6, v13
	v_lshrrev_b32_e32 v7, 16, v7
	v_lshrrev_b32_e32 v9, 16, v9
	v_cndmask_b32_e64 v6, 0, 1, vcc
	v_cmp_ne_u32_e32 vcc, v11, v15
	v_or_b32_e32 v6, v8, v6
	s_mov_b64 s[0:1], 0
	v_cndmask_b32_e64 v11, 0, 1, vcc
	v_cmp_gt_i32_e32 vcc, 1, v10
	v_or_b32_e32 v8, v17, v11
	s_nop 0
	v_cndmask_b32_e32 v6, v14, v6, vcc
	v_cmp_gt_i32_e32 vcc, 1, v12
	v_and_b32_e32 v11, 7, v6
	v_lshrrev_b32_e32 v6, 2, v6
	v_cndmask_b32_e32 v8, v16, v8, vcc
	v_cmp_lt_i32_e32 vcc, 5, v11
	v_and_b32_e32 v13, 7, v8
	v_lshrrev_b32_e32 v8, 2, v8
	v_cndmask_b32_e64 v14, 0, 1, vcc
	v_cmp_eq_u32_e32 vcc, 3, v11
	s_nop 1
	v_cndmask_b32_e64 v11, 0, 1, vcc
	v_cmp_lt_i32_e32 vcc, 5, v13
	v_or_b32_e32 v11, v11, v14
	v_add_u32_e32 v6, v6, v11
	v_cndmask_b32_e64 v15, 0, 1, vcc
	v_cmp_eq_u32_e32 vcc, 3, v13
	s_nop 1
	v_cndmask_b32_e64 v13, 0, 1, vcc
	v_or_b32_e32 v13, v13, v15
	v_cmp_gt_i32_e32 vcc, 31, v10
	v_add_u32_e32 v8, v8, v13
	s_nop 0
	v_cndmask_b32_e32 v6, v2, v6, vcc
	v_cmp_gt_i32_e32 vcc, 31, v12
	s_nop 1
	v_cndmask_b32_e32 v2, v2, v8, vcc
	v_cmp_eq_u32_e32 vcc, s2, v10
	s_nop 1
	v_cndmask_b32_e32 v5, v6, v5, vcc
	v_cmp_eq_u32_e32 vcc, s2, v12
	s_nop 1
	v_cndmask_b32_e32 v3, v2, v3, vcc
	v_and_or_b32 v2, v7, s3, v5
	v_and_or_b32 v3, v9, s3, v3
	s_branch .LBB240_678
.LBB240_674:
	s_mov_b64 s[0:1], -1
                                        ; implicit-def: $vgpr3
                                        ; implicit-def: $vgpr2
	s_branch .LBB240_697
.LBB240_675:
	s_mov_b64 s[0:1], -1
                                        ; implicit-def: $vgpr3
                                        ; implicit-def: $vgpr2
	s_branch .LBB240_684
.LBB240_676:
	s_mov_b64 s[0:1], -1
                                        ; implicit-def: $vgpr3
                                        ; implicit-def: $vgpr2
	s_branch .LBB240_681
.LBB240_677:
	s_mov_b64 s[0:1], -1
                                        ; implicit-def: $vgpr3
                                        ; implicit-def: $vgpr2
.LBB240_678:
	s_andn2_b64 vcc, exec, s[0:1]
	s_cbranch_vccnz .LBB240_680
; %bb.679:
	global_load_dwordx2 v[2:3], v[0:1], off
	s_waitcnt vmcnt(0)
	v_cvt_f16_f32_e32 v2, v2
	v_cvt_f16_f32_e32 v3, v3
.LBB240_680:
	s_mov_b64 s[0:1], 0
.LBB240_681:
	s_andn2_b64 vcc, exec, s[0:1]
	s_cbranch_vccnz .LBB240_683
; %bb.682:
	global_load_dword v2, v[0:1], off
	s_waitcnt vmcnt(0)
	v_lshrrev_b32_e32 v3, 16, v2
.LBB240_683:
	s_mov_b64 s[0:1], 0
.LBB240_684:
	s_andn2_b64 vcc, exec, s[0:1]
	s_cbranch_vccnz .LBB240_696
; %bb.685:
	s_cmp_lt_i32 s34, 6
	s_cbranch_scc1 .LBB240_688
; %bb.686:
	s_cmp_gt_i32 s34, 6
	s_cbranch_scc0 .LBB240_689
; %bb.687:
	global_load_dwordx2 v[2:3], v[0:1], off
	s_movk_i32 s0, 0x1ff
	s_movk_i32 s1, 0xffe
	v_mov_b32_e32 v5, 0x7c00
	v_mov_b32_e32 v6, 0x7e00
	s_movk_i32 s2, 0x40f
	s_mov_b32 s3, 0x8000
	s_waitcnt vmcnt(0)
	v_and_or_b32 v2, v3, s0, v2
	v_cmp_ne_u32_e32 vcc, 0, v2
	v_lshrrev_b32_e32 v7, 8, v3
	v_bfe_u32 v8, v3, 20, 11
	v_cndmask_b32_e64 v2, 0, 1, vcc
	v_sub_u32_e32 v9, 0x3f1, v8
	v_and_or_b32 v2, v7, s1, v2
	v_add_u32_e32 v8, 0xfffffc10, v8
	v_med3_i32 v7, v9, 0, 13
	v_or_b32_e32 v9, 0x1000, v2
	v_cmp_ne_u32_e32 vcc, 0, v2
	v_lshl_or_b32 v10, v8, 12, v2
	v_lshrrev_b32_e32 v3, 16, v3
	v_cndmask_b32_e32 v2, v5, v6, vcc
	v_lshrrev_b32_e32 v6, v7, v9
	v_lshlrev_b32_e32 v7, v7, v6
	v_cmp_ne_u32_e32 vcc, v7, v9
	s_mov_b64 s[0:1], 0
	s_nop 0
	v_cndmask_b32_e64 v7, 0, 1, vcc
	v_or_b32_e32 v6, v6, v7
	v_cmp_gt_i32_e32 vcc, 1, v8
	s_nop 1
	v_cndmask_b32_e32 v6, v10, v6, vcc
	v_and_b32_e32 v7, 7, v6
	v_cmp_lt_i32_e32 vcc, 5, v7
	v_lshrrev_b32_e32 v6, 2, v6
	s_nop 0
	v_cndmask_b32_e64 v9, 0, 1, vcc
	v_cmp_eq_u32_e32 vcc, 3, v7
	s_nop 1
	v_cndmask_b32_e64 v7, 0, 1, vcc
	v_or_b32_e32 v7, v7, v9
	v_add_u32_e32 v6, v6, v7
	v_cmp_gt_i32_e32 vcc, 31, v8
	s_nop 1
	v_cndmask_b32_e32 v5, v5, v6, vcc
	v_cmp_eq_u32_e32 vcc, s2, v8
	s_nop 1
	v_cndmask_b32_e32 v2, v5, v2, vcc
	v_and_or_b32 v2, v3, s3, v2
	s_branch .LBB240_690
.LBB240_688:
	s_mov_b64 s[0:1], -1
                                        ; implicit-def: $vgpr2
	s_branch .LBB240_693
.LBB240_689:
	s_mov_b64 s[0:1], -1
                                        ; implicit-def: $vgpr2
.LBB240_690:
	s_andn2_b64 vcc, exec, s[0:1]
	s_cbranch_vccnz .LBB240_692
; %bb.691:
	global_load_dword v2, v[0:1], off
	s_waitcnt vmcnt(0)
	v_cvt_f16_f32_e32 v2, v2
.LBB240_692:
	s_mov_b64 s[0:1], 0
.LBB240_693:
	s_andn2_b64 vcc, exec, s[0:1]
	s_cbranch_vccnz .LBB240_695
; %bb.694:
	global_load_ushort v2, v[0:1], off
.LBB240_695:
	v_mov_b32_e32 v3, 0
.LBB240_696:
	s_mov_b64 s[0:1], 0
.LBB240_697:
	s_andn2_b64 vcc, exec, s[0:1]
	s_cbranch_vccnz .LBB240_718
; %bb.698:
	s_cmp_lt_i32 s34, 2
	s_cbranch_scc1 .LBB240_702
; %bb.699:
	s_cmp_lt_i32 s34, 3
	s_cbranch_scc1 .LBB240_703
; %bb.700:
	s_cmp_gt_i32 s34, 3
	s_cbranch_scc0 .LBB240_704
; %bb.701:
	global_load_dwordx2 v[2:3], v[0:1], off
	s_mov_b64 s[0:1], 0
	s_waitcnt vmcnt(0)
	v_xor_b32_e32 v6, v2, v3
	v_ffbh_i32_e32 v5, v3
	v_ashrrev_i32_e32 v6, 31, v6
	v_add_u32_e32 v5, -1, v5
	v_add_u32_e32 v6, 32, v6
	v_min_u32_e32 v5, v5, v6
	v_lshlrev_b64 v[2:3], v5, v[2:3]
	v_min_u32_e32 v2, 1, v2
	v_or_b32_e32 v2, v3, v2
	v_cvt_f32_i32_e32 v2, v2
	v_sub_u32_e32 v3, 32, v5
	v_ldexp_f32 v2, v2, v3
	v_cvt_f16_f32_e32 v2, v2
	s_branch .LBB240_705
.LBB240_702:
	s_mov_b64 s[0:1], -1
                                        ; implicit-def: $vgpr2
	s_branch .LBB240_711
.LBB240_703:
	s_mov_b64 s[0:1], -1
                                        ; implicit-def: $vgpr2
	s_branch .LBB240_708
.LBB240_704:
	s_mov_b64 s[0:1], -1
                                        ; implicit-def: $vgpr2
.LBB240_705:
	s_andn2_b64 vcc, exec, s[0:1]
	s_cbranch_vccnz .LBB240_707
; %bb.706:
	global_load_dword v2, v[0:1], off
	s_waitcnt vmcnt(0)
	v_cvt_f32_i32_e32 v2, v2
	v_cvt_f16_f32_e32 v2, v2
.LBB240_707:
	s_mov_b64 s[0:1], 0
.LBB240_708:
	s_andn2_b64 vcc, exec, s[0:1]
	s_cbranch_vccnz .LBB240_710
; %bb.709:
	global_load_ushort v2, v[0:1], off
	s_waitcnt vmcnt(0)
	v_cvt_f16_i16_e32 v2, v2
.LBB240_710:
	s_mov_b64 s[0:1], 0
.LBB240_711:
	s_andn2_b64 vcc, exec, s[0:1]
	s_cbranch_vccnz .LBB240_717
; %bb.712:
	s_cmp_gt_i32 s34, 0
	s_cbranch_scc0 .LBB240_714
; %bb.713:
	global_load_sbyte v2, v[0:1], off
	s_mov_b64 s[0:1], 0
	s_waitcnt vmcnt(0)
	v_cvt_f16_i16_e32 v2, v2
	s_branch .LBB240_715
.LBB240_714:
	s_mov_b64 s[0:1], -1
                                        ; implicit-def: $vgpr2
.LBB240_715:
	s_andn2_b64 vcc, exec, s[0:1]
	s_cbranch_vccnz .LBB240_717
; %bb.716:
	global_load_ubyte v0, v[0:1], off
	s_waitcnt vmcnt(0)
	v_cvt_f16_u16_e32 v2, v0
.LBB240_717:
	v_mov_b32_e32 v3, 0
.LBB240_718:
	s_mov_b64 s[0:1], -1
.LBB240_719:
	s_andn2_b64 vcc, exec, s[0:1]
	s_cbranch_vccnz .LBB240_732
; %bb.720:
	v_cvt_f32_f16_e32 v0, v3
	s_waitcnt vmcnt(0)
	v_cmp_neq_f16_e32 vcc, 0, v2
	v_cmp_neq_f16_e64 s[0:1], 0, v3
	s_or_b64 s[0:1], vcc, s[0:1]
	v_mov_b32_e32 v3, 0
	s_and_saveexec_b64 s[30:31], s[0:1]
	s_cbranch_execz .LBB240_751
; %bb.721:
	v_mov_b32_e32 v3, 0x7f800000
	v_cmp_neq_f32_e64 s[0:1], |v0|, v3
	s_and_saveexec_b64 s[34:35], s[0:1]
	s_cbranch_execz .LBB240_750
; %bb.722:
	v_cvt_f32_f16_e32 v1, v2
	v_cmp_o_f16_e32 vcc, v2, v2
                                        ; implicit-def: $vgpr3
	s_and_saveexec_b64 s[0:1], vcc
	s_xor_b64 s[36:37], exec, s[0:1]
	s_cbranch_execz .LBB240_747
; %bb.723:
	s_mov_b32 s0, 0x7f800000
	v_cmp_neq_f32_e64 s[0:1], |v1|, s0
                                        ; implicit-def: $vgpr3
	s_and_saveexec_b64 s[2:3], s[0:1]
	s_xor_b64 s[38:39], exec, s[2:3]
	s_cbranch_execz .LBB240_740
; %bb.724:
	v_max_f32_e64 v2, |v0|, |v0|
	v_max_f32_e64 v3, |v1|, |v1|
	v_max_f32_e32 v2, v3, v2
	s_mov_b32 s0, 0x7ed413cb
	v_cmp_nle_f32_e64 s[0:1], s0, v2
                                        ; implicit-def: $sgpr40_sgpr41
	s_and_saveexec_b64 s[2:3], s[0:1]
	s_xor_b64 s[2:3], exec, s[2:3]
	s_cbranch_execz .LBB240_728
; %bb.725:
	s_mov_b32 s42, 0x1000000
	v_cmp_le_f32_e64 s[40:41], |v1|, s42
	v_cmp_le_f32_e64 s[42:43], |v0|, s42
	s_and_b64 s[46:47], s[40:41], s[42:43]
	s_mov_b64 s[40:41], 0
	s_and_saveexec_b64 s[42:43], s[46:47]
; %bb.726:
	s_mov_b64 s[40:41], exec
	v_mul_f32_e32 v1, 4.0, v1
	v_mul_f32_e32 v0, 4.0, v0
; %bb.727:
	s_or_b64 exec, exec, s[42:43]
.LBB240_728:
	s_andn2_saveexec_b64 s[2:3], s[2:3]
; %bb.729:
	v_mul_f32_e32 v1, 0x3e800000, v1
	v_mul_f32_e32 v0, 0x3e800000, v0
	s_andn2_b64 s[40:41], s[40:41], exec
; %bb.730:
	s_or_b64 exec, exec, s[2:3]
	v_max_f32_e64 v2, |v0|, |v0|
	v_max_f32_e64 v3, |v1|, |v1|
	v_max_f32_e32 v5, v3, v2
	v_cvt_f64_f32_e32 v[2:3], v5
	v_frexp_exp_i32_f64_e32 v2, v[2:3]
	v_sub_u32_e32 v3, 0, v2
	v_ldexp_f32 v6, |v1|, v3
	v_ldexp_f32 v3, |v0|, v3
	v_mul_f32_e32 v3, v3, v3
	v_fmac_f32_e32 v3, v6, v6
	v_sqrt_f32_e32 v3, v3
	s_mov_b32 s2, 0x7f800000
	v_cmp_neq_f32_e64 s[2:3], s2, v5
	v_cmp_le_f32_e32 vcc, 0, v1
	v_ldexp_f32 v2, v3, v2
	v_mov_b32_e32 v3, 0x7f800000
	v_cndmask_b32_e64 v3, v3, v2, s[2:3]
                                        ; implicit-def: $vgpr5
                                        ; implicit-def: $vgpr2
	s_and_saveexec_b64 s[2:3], vcc
	s_xor_b64 s[42:43], exec, s[2:3]
	s_cbranch_execz .LBB240_733
; %bb.731:
	v_add_f32_e32 v1, v1, v3
	v_mul_f32_e32 v1, 0.5, v1
	s_mov_b32 s2, 0xf800000
	v_mul_f32_e32 v2, 0x4f800000, v1
	v_cmp_gt_f32_e32 vcc, s2, v1
	s_nop 1
	v_cndmask_b32_e32 v1, v1, v2, vcc
	v_sqrt_f32_e32 v2, v1
	s_nop 0
	v_add_u32_e32 v3, -1, v2
	v_fma_f32 v5, -v3, v2, v1
	v_cmp_ge_f32_e64 s[2:3], 0, v5
	v_add_u32_e32 v5, 1, v2
	s_nop 0
	v_cndmask_b32_e64 v3, v2, v3, s[2:3]
	v_fma_f32 v2, -v5, v2, v1
	v_cmp_lt_f32_e64 s[2:3], 0, v2
	s_nop 1
	v_cndmask_b32_e64 v2, v3, v5, s[2:3]
	v_mul_f32_e32 v3, 0x37800000, v2
	v_cndmask_b32_e32 v2, v2, v3, vcc
	v_mov_b32_e32 v3, 0x260
	v_cmp_class_f32_e32 vcc, v1, v3
	s_nop 1
	v_cndmask_b32_e32 v2, v2, v1, vcc
	v_add_f32_e32 v1, v2, v2
	v_div_scale_f32 v3, s[2:3], v1, v1, v0
	v_rcp_f32_e32 v5, v3
	s_nop 0
	v_fma_f32 v6, -v3, v5, 1.0
	v_fmac_f32_e32 v5, v6, v5
	v_div_scale_f32 v6, vcc, v0, v1, v0
	v_mul_f32_e32 v7, v6, v5
	v_fma_f32 v8, -v3, v7, v6
	v_fmac_f32_e32 v7, v8, v5
	v_fma_f32 v3, -v3, v7, v6
	v_div_fmas_f32 v3, v3, v5, v7
	v_div_fixup_f32 v5, v3, v1, v0
                                        ; implicit-def: $vgpr3
                                        ; implicit-def: $vgpr1
                                        ; implicit-def: $vgpr0
	s_andn2_saveexec_b64 s[42:43], s[42:43]
	s_cbranch_execz .LBB240_735
	s_branch .LBB240_734
.LBB240_732:
	s_mov_b64 s[30:31], 0
                                        ; implicit-def: $vgpr4
	s_mov_b64 s[0:1], s[22:23]
	s_branch .LBB240_874
.LBB240_733:
	s_andn2_saveexec_b64 s[42:43], s[42:43]
	s_cbranch_execz .LBB240_735
.LBB240_734:
	v_sub_f32_e32 v1, v3, v1
	v_mul_f32_e32 v1, 0.5, v1
	s_mov_b32 s2, 0xf800000
	v_mul_f32_e32 v2, 0x4f800000, v1
	v_cmp_gt_f32_e32 vcc, s2, v1
	s_nop 1
	v_cndmask_b32_e32 v1, v1, v2, vcc
	v_sqrt_f32_e32 v2, v1
	s_nop 0
	v_add_u32_e32 v3, -1, v2
	v_fma_f32 v5, -v3, v2, v1
	v_cmp_ge_f32_e64 s[2:3], 0, v5
	v_add_u32_e32 v5, 1, v2
	s_nop 0
	v_cndmask_b32_e64 v3, v2, v3, s[2:3]
	v_fma_f32 v2, -v5, v2, v1
	v_cmp_lt_f32_e64 s[2:3], 0, v2
	s_nop 1
	v_cndmask_b32_e64 v2, v3, v5, s[2:3]
	v_mul_f32_e32 v3, 0x37800000, v2
	v_cndmask_b32_e32 v2, v2, v3, vcc
	v_mov_b32_e32 v3, 0x260
	v_cmp_class_f32_e32 vcc, v1, v3
	v_and_b32_e32 v3, 0x7fffffff, v0
	s_nop 0
	v_cndmask_b32_e32 v1, v2, v1, vcc
	v_add_f32_e32 v2, v1, v1
	v_div_scale_f32 v5, s[2:3], v2, v2, v3
	v_rcp_f32_e32 v6, v5
	v_div_scale_f32 v3, vcc, v3, v2, v3
	s_brev_b32 s2, -2
	v_fma_f32 v7, -v5, v6, 1.0
	v_fmac_f32_e32 v6, v7, v6
	v_mul_f32_e32 v7, v3, v6
	v_fma_f32 v8, -v5, v7, v3
	v_fmac_f32_e32 v7, v8, v6
	v_fma_f32 v3, -v5, v7, v3
	v_div_fmas_f32 v3, v3, v6, v7
	v_div_fixup_f32 v2, v3, v2, |v0|
	v_bfi_b32 v5, s2, v1, v0
.LBB240_735:
	s_or_b64 exec, exec, s[42:43]
                                        ; implicit-def: $vgpr0
                                        ; implicit-def: $vgpr3
	s_and_saveexec_b64 s[2:3], s[0:1]
	s_xor_b64 s[0:1], exec, s[2:3]
	s_cbranch_execz .LBB240_737
; %bb.736:
	v_mul_f32_e32 v0, 0.5, v2
	v_mul_f32_e32 v1, 0.5, v5
	v_cndmask_b32_e64 v3, v2, v0, s[40:41]
	v_cndmask_b32_e64 v0, v5, v1, s[40:41]
                                        ; implicit-def: $vgpr2
                                        ; implicit-def: $vgpr5
	s_andn2_saveexec_b64 s[0:1], s[0:1]
	s_cbranch_execnz .LBB240_738
	s_branch .LBB240_739
.LBB240_737:
	s_andn2_saveexec_b64 s[0:1], s[0:1]
.LBB240_738:
	v_add_f32_e32 v3, v2, v2
	v_add_f32_e32 v0, v5, v5
.LBB240_739:
	s_or_b64 exec, exec, s[0:1]
                                        ; implicit-def: $vgpr1
                                        ; implicit-def: $vgpr2
.LBB240_740:
	s_andn2_saveexec_b64 s[0:1], s[38:39]
	s_cbranch_execz .LBB240_746
; %bb.741:
	v_cmp_lt_i16_e32 vcc, -1, v2
	v_sub_f32_e32 v2, v0, v0
	s_brev_b32 s38, -2
	v_and_b32_e32 v3, 0x7fffffff, v2
	s_and_saveexec_b64 s[2:3], vcc
	s_xor_b64 s[2:3], exec, s[2:3]
; %bb.742:
	v_bfi_b32 v0, s38, v2, v0
	v_mov_b32_e32 v3, v1
; %bb.743:
	s_andn2_saveexec_b64 s[2:3], s[2:3]
; %bb.744:
	v_bfi_b32 v0, s38, v1, v0
; %bb.745:
	s_or_b64 exec, exec, s[2:3]
.LBB240_746:
	s_or_b64 exec, exec, s[0:1]
                                        ; implicit-def: $vgpr1
.LBB240_747:
	s_andn2_saveexec_b64 s[0:1], s[36:37]
	s_cbranch_execz .LBB240_749
; %bb.748:
	v_sub_f32_e32 v0, v0, v0
	v_div_scale_f32 v2, vcc, v0, v0, v0
	v_rcp_f32_e32 v3, v2
	s_nop 0
	v_fma_f32 v5, -v2, v3, 1.0
	v_fmac_f32_e32 v3, v5, v3
	v_mul_f32_e32 v5, v2, v3
	v_fma_f32 v6, -v2, v5, v2
	v_fmac_f32_e32 v5, v6, v3
	v_fma_f32 v2, -v2, v5, v2
	v_div_fmas_f32 v2, v2, v3, v5
	v_div_fixup_f32 v0, v2, v0, v0
	v_mov_b32_e32 v3, v1
.LBB240_749:
	s_or_b64 exec, exec, s[0:1]
.LBB240_750:
	s_or_b64 exec, exec, s[34:35]
.LBB240_751:
	s_or_b64 exec, exec, s[30:31]
	v_cvt_f16_f32_e32 v2, v0
	v_cvt_f16_f32_e32 v5, v3
	v_mul_lo_u32 v0, v4, s8
	v_ashrrev_i32_e32 v1, 31, v0
	v_lshlrev_b32_e32 v3, 16, v2
	s_and_b32 s36, s33, 0xff
	v_or_b32_e32 v6, v3, v5
	s_cmp_lt_i32 s36, 11
	v_lshl_add_u64 v[0:1], s[4:5], 0, v[0:1]
	s_cbranch_scc1 .LBB240_758
; %bb.752:
	s_and_b32 s37, 0xffff, s36
	s_cmp_gt_i32 s37, 25
	s_cbranch_scc0 .LBB240_759
; %bb.753:
	s_cmp_gt_i32 s37, 28
	s_cbranch_scc0 .LBB240_760
; %bb.754:
	;; [unrolled: 3-line block ×4, first 2 shown]
	s_mov_b64 s[30:31], 0
	s_mov_b64 s[0:1], -1
	s_cmp_eq_u32 s37, 46
	s_mov_b64 s[2:3], 0
	s_cbranch_scc0 .LBB240_763
; %bb.757:
	v_cvt_f32_f16_e32 v7, v2
	v_cvt_f32_f16_e32 v3, v5
	s_movk_i32 s0, 0x7fff
	v_cmp_o_f16_e32 vcc, v2, v2
	v_bfe_u32 v9, v7, 16, 1
	v_bfe_u32 v8, v3, 16, 1
	v_add3_u32 v7, v7, v9, s0
	v_add3_u32 v3, v3, v8, s0
	v_and_b32_e32 v7, 0xffff0000, v7
	v_mov_b32_e32 v8, 0x7fc00000
	v_cndmask_b32_e32 v7, v8, v7, vcc
	v_cmp_o_f16_e32 vcc, v5, v5
	v_mov_b32_e32 v8, 0x7fc0
	s_mov_b64 s[2:3], -1
	v_cndmask_b32_sdwa v3, v8, v3, vcc dst_sel:DWORD dst_unused:UNUSED_PAD src0_sel:DWORD src1_sel:WORD_1
	v_or_b32_e32 v3, v7, v3
	global_store_dword v[0:1], v3, off
	s_mov_b64 s[0:1], 0
	s_branch .LBB240_763
.LBB240_758:
	s_mov_b64 s[30:31], -1
	s_mov_b64 s[2:3], 0
	s_mov_b64 s[0:1], s[22:23]
	s_branch .LBB240_832
.LBB240_759:
	s_mov_b64 s[30:31], -1
	s_mov_b64 s[2:3], 0
	s_mov_b64 s[0:1], s[22:23]
	s_branch .LBB240_790
.LBB240_760:
	s_mov_b64 s[30:31], -1
	s_mov_b64 s[2:3], 0
	s_mov_b64 s[0:1], s[22:23]
	s_branch .LBB240_773
.LBB240_761:
	s_mov_b64 s[30:31], -1
	s_mov_b64 s[2:3], 0
	s_mov_b64 s[0:1], s[22:23]
	s_branch .LBB240_769
.LBB240_762:
	s_mov_b64 s[30:31], -1
	s_mov_b64 s[2:3], 0
	s_mov_b64 s[0:1], s[22:23]
.LBB240_763:
	s_and_b64 vcc, exec, s[30:31]
	s_cbranch_vccz .LBB240_768
; %bb.764:
	s_cmp_eq_u32 s37, 44
	s_mov_b64 s[0:1], -1
	s_cbranch_scc0 .LBB240_768
; %bb.765:
	v_cvt_f32_f16_e32 v3, v5
	s_movk_i32 s0, 0xff
	v_mov_b32_e32 v8, 0xff
	v_bfe_u32 v7, v3, 23, 8
	v_cmp_ne_u32_e32 vcc, s0, v7
	s_and_saveexec_b64 s[2:3], vcc
; %bb.766:
	s_mov_b32 s0, 0x3fffff
	v_lshrrev_b32_e32 v8, 23, v3
	v_and_b32_e32 v9, 0x400000, v3
	v_and_or_b32 v3, v3, s0, v7
	v_cmp_ne_u32_e32 vcc, 0, v9
	v_cmp_ne_u32_e64 s[0:1], 0, v3
	s_and_b64 s[0:1], vcc, s[0:1]
	s_nop 0
	v_cndmask_b32_e64 v3, 0, 1, s[0:1]
	v_add_u32_e32 v8, v8, v3
; %bb.767:
	s_or_b64 exec, exec, s[2:3]
	s_mov_b64 s[2:3], -1
	s_mov_b64 s[0:1], 0
	global_store_byte v[0:1], v8, off
.LBB240_768:
	s_mov_b64 s[30:31], 0
.LBB240_769:
	s_and_b64 vcc, exec, s[30:31]
	s_cbranch_vccz .LBB240_772
; %bb.770:
	s_cmp_eq_u32 s37, 29
	s_mov_b64 s[0:1], -1
	s_cbranch_scc0 .LBB240_772
; %bb.771:
	v_cvt_f32_f16_e32 v3, v5
	v_mov_b32_e32 v9, 0
	s_mov_b64 s[2:3], -1
	s_mov_b64 s[0:1], 0
	v_cvt_u32_f32_e32 v8, v3
	s_mov_b64 s[30:31], 0
	global_store_dwordx2 v[0:1], v[8:9], off
	s_branch .LBB240_773
.LBB240_772:
	s_mov_b64 s[30:31], 0
.LBB240_773:
	s_and_b64 vcc, exec, s[30:31]
	s_cbranch_vccz .LBB240_789
; %bb.774:
	s_cmp_lt_i32 s37, 27
	s_mov_b64 s[2:3], -1
	s_cbranch_scc1 .LBB240_780
; %bb.775:
	s_cmp_gt_i32 s37, 27
	s_cbranch_scc0 .LBB240_777
; %bb.776:
	v_cvt_f32_f16_e32 v3, v5
	s_mov_b64 s[2:3], 0
	v_cvt_u32_f32_e32 v3, v3
	global_store_dword v[0:1], v3, off
.LBB240_777:
	s_andn2_b64 vcc, exec, s[2:3]
	s_cbranch_vccnz .LBB240_779
; %bb.778:
	v_cvt_u16_f16_e32 v3, v5
	global_store_short v[0:1], v3, off
.LBB240_779:
	s_mov_b64 s[2:3], 0
.LBB240_780:
	s_andn2_b64 vcc, exec, s[2:3]
	s_cbranch_vccnz .LBB240_788
; %bb.781:
	v_cvt_f32_f16_e32 v3, v5
	s_mov_b32 s2, 0x43800000
	v_mov_b32_e32 v8, 0x80
	v_and_b32_e32 v7, 0x7fffffff, v3
	v_cmp_gt_u32_e32 vcc, s2, v7
	s_and_saveexec_b64 s[2:3], vcc
	s_cbranch_execz .LBB240_787
; %bb.782:
	s_mov_b32 s30, 0x3bffffff
	v_cmp_lt_u32_e32 vcc, s30, v7
	s_mov_b64 s[30:31], 0
                                        ; implicit-def: $vgpr7
	s_and_saveexec_b64 s[34:35], vcc
	s_xor_b64 s[34:35], exec, s[34:35]
	s_cbranch_execz .LBB240_888
; %bb.783:
	v_bfe_u32 v7, v3, 20, 1
	s_mov_b32 s38, 0x487ffff
	v_add3_u32 v7, v3, v7, s38
	s_mov_b64 s[30:31], exec
	v_lshrrev_b32_e32 v7, 20, v7
	s_andn2_saveexec_b64 s[34:35], s[34:35]
	s_cbranch_execnz .LBB240_889
.LBB240_784:
	s_or_b64 exec, exec, s[34:35]
	v_mov_b32_e32 v8, 0
	s_and_saveexec_b64 s[34:35], s[30:31]
.LBB240_785:
	v_lshrrev_b32_e32 v3, 24, v3
	s_movk_i32 s30, 0x80
	v_and_or_b32 v8, v3, s30, v7
.LBB240_786:
	s_or_b64 exec, exec, s[34:35]
.LBB240_787:
	s_or_b64 exec, exec, s[2:3]
	global_store_byte v[0:1], v8, off
.LBB240_788:
	s_mov_b64 s[2:3], -1
.LBB240_789:
	s_mov_b64 s[30:31], 0
.LBB240_790:
	s_and_b64 vcc, exec, s[30:31]
	s_cbranch_vccz .LBB240_831
; %bb.791:
	s_cmp_gt_i32 s37, 22
	s_mov_b64 s[30:31], -1
	s_cbranch_scc0 .LBB240_823
; %bb.792:
	s_cmp_lt_i32 s37, 24
	s_mov_b64 s[2:3], -1
	s_cbranch_scc1 .LBB240_812
; %bb.793:
	s_cmp_gt_i32 s37, 24
	s_cbranch_scc0 .LBB240_801
; %bb.794:
	v_cvt_f32_f16_e32 v3, v5
	s_mov_b32 s2, 0x47800000
	v_mov_b32_e32 v8, 0x80
	v_and_b32_e32 v7, 0x7fffffff, v3
	v_cmp_gt_u32_e32 vcc, s2, v7
	s_and_saveexec_b64 s[2:3], vcc
	s_cbranch_execz .LBB240_800
; %bb.795:
	s_mov_b32 s30, 0x37ffffff
	v_cmp_lt_u32_e32 vcc, s30, v7
	s_mov_b64 s[30:31], 0
                                        ; implicit-def: $vgpr7
	s_and_saveexec_b64 s[34:35], vcc
	s_xor_b64 s[34:35], exec, s[34:35]
	s_cbranch_execz .LBB240_891
; %bb.796:
	v_bfe_u32 v7, v3, 21, 1
	s_mov_b32 s38, 0x88fffff
	v_add3_u32 v7, v3, v7, s38
	s_mov_b64 s[30:31], exec
	v_lshrrev_b32_e32 v7, 21, v7
	s_andn2_saveexec_b64 s[34:35], s[34:35]
	s_cbranch_execnz .LBB240_892
.LBB240_797:
	s_or_b64 exec, exec, s[34:35]
	v_mov_b32_e32 v8, 0
	s_and_saveexec_b64 s[34:35], s[30:31]
.LBB240_798:
	v_lshrrev_b32_e32 v3, 24, v3
	s_movk_i32 s30, 0x80
	v_and_or_b32 v8, v3, s30, v7
.LBB240_799:
	s_or_b64 exec, exec, s[34:35]
.LBB240_800:
	s_or_b64 exec, exec, s[2:3]
	s_mov_b64 s[2:3], 0
	global_store_byte v[0:1], v8, off
.LBB240_801:
	s_and_b64 vcc, exec, s[2:3]
	s_cbranch_vccz .LBB240_811
; %bb.802:
	v_cvt_f32_f16_e32 v3, v5
	s_mov_b32 s2, 0x43f00000
                                        ; implicit-def: $vgpr7
	v_and_b32_e32 v8, 0x7fffffff, v3
	v_cmp_gt_u32_e32 vcc, s2, v8
	s_and_saveexec_b64 s[2:3], vcc
	s_xor_b64 s[2:3], exec, s[2:3]
	s_cbranch_execz .LBB240_808
; %bb.803:
	s_mov_b32 s30, 0x3c7fffff
	v_cmp_lt_u32_e32 vcc, s30, v8
                                        ; implicit-def: $vgpr7
	s_and_saveexec_b64 s[30:31], vcc
	s_xor_b64 s[30:31], exec, s[30:31]
; %bb.804:
	v_bfe_u32 v7, v3, 20, 1
	s_mov_b32 s34, 0x407ffff
	v_add3_u32 v7, v3, v7, s34
	v_lshrrev_b32_e32 v8, 20, v7
	v_and_b32_e32 v7, 0xff00000, v7
	s_mov_b32 s34, 0x7f00000
	v_mov_b32_e32 v9, 0x7e
	v_cmp_ne_u32_e32 vcc, s34, v7
	s_nop 1
	v_cndmask_b32_e32 v7, v9, v8, vcc
; %bb.805:
	s_andn2_saveexec_b64 s[30:31], s[30:31]
; %bb.806:
	s_mov_b32 s34, 0x46800000
	v_add_f32_e64 v7, |v3|, s34
; %bb.807:
	s_or_b64 exec, exec, s[30:31]
                                        ; implicit-def: $vgpr8
.LBB240_808:
	s_andn2_saveexec_b64 s[2:3], s[2:3]
; %bb.809:
	s_mov_b32 s30, 0x7f800000
	v_mov_b32_e32 v7, 0x7e
	v_mov_b32_e32 v9, 0x7f
	v_cmp_lt_u32_e32 vcc, s30, v8
	s_nop 1
	v_cndmask_b32_e32 v7, v7, v9, vcc
; %bb.810:
	s_or_b64 exec, exec, s[2:3]
	v_lshrrev_b32_e32 v3, 24, v3
	s_movk_i32 s2, 0x80
	v_and_or_b32 v3, v3, s2, v7
	global_store_byte v[0:1], v3, off
.LBB240_811:
	s_mov_b64 s[2:3], 0
.LBB240_812:
	s_andn2_b64 vcc, exec, s[2:3]
	s_cbranch_vccnz .LBB240_822
; %bb.813:
	v_cvt_f32_f16_e32 v3, v5
	s_mov_b32 s2, 0x47800000
                                        ; implicit-def: $vgpr7
	v_and_b32_e32 v8, 0x7fffffff, v3
	v_cmp_gt_u32_e32 vcc, s2, v8
	s_and_saveexec_b64 s[2:3], vcc
	s_xor_b64 s[2:3], exec, s[2:3]
	s_cbranch_execz .LBB240_819
; %bb.814:
	s_mov_b32 s30, 0x387fffff
	v_cmp_lt_u32_e32 vcc, s30, v8
                                        ; implicit-def: $vgpr7
	s_and_saveexec_b64 s[30:31], vcc
	s_xor_b64 s[30:31], exec, s[30:31]
; %bb.815:
	v_bfe_u32 v7, v3, 21, 1
	s_mov_b32 s34, 0x80fffff
	v_add3_u32 v7, v3, v7, s34
	v_lshrrev_b32_e32 v7, 21, v7
; %bb.816:
	s_andn2_saveexec_b64 s[30:31], s[30:31]
; %bb.817:
	s_mov_b32 s34, 0x43000000
	v_add_f32_e64 v7, |v3|, s34
; %bb.818:
	s_or_b64 exec, exec, s[30:31]
                                        ; implicit-def: $vgpr8
.LBB240_819:
	s_andn2_saveexec_b64 s[2:3], s[2:3]
; %bb.820:
	s_mov_b32 s30, 0x7f800000
	v_mov_b32_e32 v7, 0x7c
	v_mov_b32_e32 v9, 0x7f
	v_cmp_lt_u32_e32 vcc, s30, v8
	s_nop 1
	v_cndmask_b32_e32 v7, v7, v9, vcc
; %bb.821:
	s_or_b64 exec, exec, s[2:3]
	v_lshrrev_b32_e32 v3, 24, v3
	s_movk_i32 s2, 0x80
	v_and_or_b32 v3, v3, s2, v7
	global_store_byte v[0:1], v3, off
.LBB240_822:
	s_mov_b64 s[30:31], 0
	s_mov_b64 s[2:3], -1
.LBB240_823:
	s_andn2_b64 vcc, exec, s[30:31]
	s_cbranch_vccnz .LBB240_831
; %bb.824:
	s_cmp_gt_i32 s37, 14
	s_mov_b64 s[30:31], -1
	s_cbranch_scc0 .LBB240_828
; %bb.825:
	s_cmp_eq_u32 s37, 15
	s_mov_b64 s[0:1], -1
	s_cbranch_scc0 .LBB240_827
; %bb.826:
	v_cvt_f32_f16_e32 v3, v5
	s_movk_i32 s0, 0x7fff
	v_cmp_o_f16_e32 vcc, v5, v5
	v_mov_b32_e32 v7, 0x7fc0
	v_bfe_u32 v8, v3, 16, 1
	v_add3_u32 v3, v3, v8, s0
	v_cndmask_b32_sdwa v3, v7, v3, vcc dst_sel:DWORD dst_unused:UNUSED_PAD src0_sel:DWORD src1_sel:WORD_1
	global_store_short v[0:1], v3, off
	s_mov_b64 s[2:3], -1
	s_mov_b64 s[0:1], 0
.LBB240_827:
	s_mov_b64 s[30:31], 0
.LBB240_828:
	s_and_b64 vcc, exec, s[30:31]
	s_cbranch_vccz .LBB240_831
; %bb.829:
	s_cmp_eq_u32 s37, 11
	s_mov_b64 s[0:1], -1
	s_cbranch_scc0 .LBB240_831
; %bb.830:
	v_and_b32_e32 v3, 0x7fff7fff, v6
	v_cmp_ne_u32_e32 vcc, 0, v3
	s_mov_b64 s[2:3], -1
	s_mov_b64 s[0:1], 0
	v_cndmask_b32_e64 v3, 0, 1, vcc
	global_store_byte v[0:1], v3, off
.LBB240_831:
	s_mov_b64 s[30:31], 0
.LBB240_832:
	s_and_b64 vcc, exec, s[30:31]
	s_cbranch_vccz .LBB240_871
; %bb.833:
	s_and_b32 s30, 0xffff, s36
	s_cmp_lt_i32 s30, 5
	s_mov_b64 s[2:3], -1
	s_cbranch_scc1 .LBB240_854
; %bb.834:
	s_cmp_lt_i32 s30, 8
	s_cbranch_scc1 .LBB240_844
; %bb.835:
	s_cmp_lt_i32 s30, 9
	s_cbranch_scc1 .LBB240_841
; %bb.836:
	v_cvt_f32_f16_e32 v3, v2
	s_cmp_gt_i32 s30, 9
	s_cbranch_scc0 .LBB240_838
; %bb.837:
	v_cvt_f32_f16_e32 v2, v5
	v_cvt_f64_f32_e32 v[10:11], v3
	s_mov_b64 s[2:3], 0
	v_cvt_f64_f32_e32 v[8:9], v2
	global_store_dwordx4 v[0:1], v[8:11], off
.LBB240_838:
	s_andn2_b64 vcc, exec, s[2:3]
	s_cbranch_vccnz .LBB240_840
; %bb.839:
	v_cvt_f32_f16_e32 v2, v5
	global_store_dwordx2 v[0:1], v[2:3], off
.LBB240_840:
	s_mov_b64 s[2:3], 0
.LBB240_841:
	s_andn2_b64 vcc, exec, s[2:3]
	s_cbranch_vccnz .LBB240_843
; %bb.842:
	global_store_dword v[0:1], v6, off
.LBB240_843:
	s_mov_b64 s[2:3], 0
.LBB240_844:
	s_andn2_b64 vcc, exec, s[2:3]
	s_cbranch_vccnz .LBB240_853
; %bb.845:
	s_cmp_lt_i32 s30, 6
	s_mov_b64 s[2:3], -1
	s_cbranch_scc1 .LBB240_851
; %bb.846:
	s_cmp_gt_i32 s30, 6
	s_cbranch_scc0 .LBB240_848
; %bb.847:
	v_cvt_f32_f16_e32 v2, v5
	s_mov_b64 s[2:3], 0
	v_cvt_f64_f32_e32 v[2:3], v2
	global_store_dwordx2 v[0:1], v[2:3], off
.LBB240_848:
	s_andn2_b64 vcc, exec, s[2:3]
	s_cbranch_vccnz .LBB240_850
; %bb.849:
	v_cvt_f32_f16_e32 v2, v5
	global_store_dword v[0:1], v2, off
.LBB240_850:
	s_mov_b64 s[2:3], 0
.LBB240_851:
	s_andn2_b64 vcc, exec, s[2:3]
	s_cbranch_vccnz .LBB240_853
; %bb.852:
	global_store_short v[0:1], v5, off
.LBB240_853:
	s_mov_b64 s[2:3], 0
.LBB240_854:
	s_andn2_b64 vcc, exec, s[2:3]
	s_cbranch_vccnz .LBB240_870
; %bb.855:
	s_cmp_lt_i32 s30, 2
	s_mov_b64 s[2:3], -1
	s_cbranch_scc1 .LBB240_865
; %bb.856:
	s_cmp_lt_i32 s30, 3
	s_cbranch_scc1 .LBB240_862
; %bb.857:
	s_cmp_gt_i32 s30, 3
	s_cbranch_scc0 .LBB240_859
; %bb.858:
	v_cvt_f32_f16_e32 v2, v5
	s_mov_b64 s[2:3], 0
	v_cvt_i32_f32_e32 v2, v2
	v_ashrrev_i32_e32 v3, 31, v2
	global_store_dwordx2 v[0:1], v[2:3], off
.LBB240_859:
	s_andn2_b64 vcc, exec, s[2:3]
	s_cbranch_vccnz .LBB240_861
; %bb.860:
	v_cvt_f32_f16_e32 v2, v5
	v_cvt_i32_f32_e32 v2, v2
	global_store_dword v[0:1], v2, off
.LBB240_861:
	s_mov_b64 s[2:3], 0
.LBB240_862:
	s_andn2_b64 vcc, exec, s[2:3]
	s_cbranch_vccnz .LBB240_864
; %bb.863:
	v_cvt_i16_f16_e32 v2, v5
	global_store_short v[0:1], v2, off
.LBB240_864:
	s_mov_b64 s[2:3], 0
.LBB240_865:
	s_andn2_b64 vcc, exec, s[2:3]
	s_cbranch_vccnz .LBB240_870
; %bb.866:
	s_cmp_gt_i32 s30, 0
	s_mov_b64 s[2:3], -1
	s_cbranch_scc0 .LBB240_868
; %bb.867:
	v_cvt_i16_f16_e32 v2, v5
	s_mov_b64 s[2:3], 0
	global_store_byte v[0:1], v2, off
.LBB240_868:
	s_andn2_b64 vcc, exec, s[2:3]
	s_cbranch_vccnz .LBB240_870
; %bb.869:
	v_cvt_f32_f16_e32 v2, v5
	v_cvt_i32_f32_e32 v2, v2
	global_store_byte v[0:1], v2, off
.LBB240_870:
	s_mov_b64 s[2:3], -1
.LBB240_871:
	s_andn2_b64 vcc, exec, s[2:3]
	s_cbranch_vccnz .LBB240_873
; %bb.872:
	v_add_u32_e32 v4, 0x80, v4
	s_mov_b64 s[30:31], -1
	s_branch .LBB240_874
.LBB240_873:
	s_mov_b64 s[30:31], 0
                                        ; implicit-def: $vgpr4
.LBB240_874:
	s_andn2_b64 s[2:3], s[22:23], exec
	s_and_b64 s[0:1], s[0:1], exec
	s_or_b64 s[2:3], s[2:3], s[0:1]
	s_andn2_b64 s[0:1], s[20:21], exec
	s_and_b64 s[28:29], s[28:29], exec
	s_or_b64 s[0:1], s[0:1], s[28:29]
	s_orn2_b64 s[34:35], s[30:31], exec
.LBB240_875:
	s_or_b64 exec, exec, s[26:27]
	s_mov_b64 s[30:31], 0
	s_mov_b64 s[36:37], 0
	;; [unrolled: 1-line block ×3, first 2 shown]
                                        ; implicit-def: $vgpr0_vgpr1
                                        ; implicit-def: $vgpr6
                                        ; implicit-def: $vgpr2
	s_and_saveexec_b64 s[26:27], s[34:35]
	s_cbranch_execz .LBB240_963
; %bb.876:
	v_cmp_gt_i32_e32 vcc, s45, v4
	s_mov_b64 s[34:35], 0
	s_mov_b64 s[38:39], s[0:1]
	;; [unrolled: 1-line block ×3, first 2 shown]
                                        ; implicit-def: $vgpr0_vgpr1
                                        ; implicit-def: $vgpr6
                                        ; implicit-def: $vgpr2
	s_and_saveexec_b64 s[28:29], vcc
	s_cbranch_execz .LBB240_962
; %bb.877:
	v_mul_lo_u32 v0, v4, s9
	v_ashrrev_i32_e32 v1, 31, v0
	s_and_b32 s42, 0xffff, s44
	s_cmp_lt_i32 s42, 11
	v_lshl_add_u64 v[0:1], s[6:7], 0, v[0:1]
	s_cbranch_scc1 .LBB240_884
; %bb.878:
	s_cmp_gt_i32 s42, 25
	s_cbranch_scc0 .LBB240_885
; %bb.879:
	s_cmp_gt_i32 s42, 28
	s_cbranch_scc0 .LBB240_886
	;; [unrolled: 3-line block ×4, first 2 shown]
; %bb.882:
	s_cmp_eq_u32 s42, 46
	s_mov_b64 s[38:39], 0
	s_cbranch_scc0 .LBB240_893
; %bb.883:
	global_load_dword v2, v[0:1], off
	s_mov_b64 s[36:37], -1
	s_waitcnt vmcnt(0)
	v_and_b32_e32 v3, 0xffff0000, v2
	v_lshlrev_b32_e32 v2, 16, v2
	v_cvt_f16_f32_e32 v2, v2
	v_cvt_f16_f32_e32 v6, v3
	s_branch .LBB240_895
.LBB240_884:
	s_mov_b64 s[38:39], -1
                                        ; implicit-def: $vgpr6
                                        ; implicit-def: $vgpr2
	s_mov_b64 s[30:31], s[0:1]
	s_branch .LBB240_961
.LBB240_885:
	s_mov_b64 s[38:39], -1
	s_mov_b64 s[30:31], s[0:1]
                                        ; implicit-def: $vgpr6
                                        ; implicit-def: $vgpr2
	s_branch .LBB240_926
.LBB240_886:
	s_mov_b64 s[38:39], -1
	s_mov_b64 s[30:31], s[0:1]
                                        ; implicit-def: $vgpr6
                                        ; implicit-def: $vgpr2
	s_branch .LBB240_907
.LBB240_887:
	s_mov_b64 s[38:39], -1
	s_mov_b64 s[30:31], s[0:1]
                                        ; implicit-def: $vgpr6
                                        ; implicit-def: $vgpr2
	s_branch .LBB240_901
.LBB240_888:
	s_andn2_saveexec_b64 s[34:35], s[34:35]
	s_cbranch_execz .LBB240_784
.LBB240_889:
	s_mov_b32 s38, 0x46000000
	v_add_f32_e64 v7, |v3|, s38
	v_and_b32_e32 v7, 0xff, v7
	v_cmp_ne_u32_e32 vcc, 0, v7
	s_andn2_b64 s[30:31], s[30:31], exec
	s_and_b64 s[38:39], vcc, exec
	s_or_b64 s[30:31], s[30:31], s[38:39]
	s_or_b64 exec, exec, s[34:35]
	v_mov_b32_e32 v8, 0
	s_and_saveexec_b64 s[34:35], s[30:31]
	s_cbranch_execnz .LBB240_785
	s_branch .LBB240_786
.LBB240_890:
	s_mov_b64 s[38:39], -1
	s_mov_b64 s[30:31], s[0:1]
	s_branch .LBB240_894
.LBB240_891:
	s_andn2_saveexec_b64 s[34:35], s[34:35]
	s_cbranch_execz .LBB240_797
.LBB240_892:
	s_mov_b32 s38, 0x42800000
	v_add_f32_e64 v7, |v3|, s38
	v_and_b32_e32 v7, 0xff, v7
	v_cmp_ne_u32_e32 vcc, 0, v7
	s_andn2_b64 s[30:31], s[30:31], exec
	s_and_b64 s[38:39], vcc, exec
	s_or_b64 s[30:31], s[30:31], s[38:39]
	s_or_b64 exec, exec, s[34:35]
	v_mov_b32_e32 v8, 0
	s_and_saveexec_b64 s[34:35], s[30:31]
	s_cbranch_execnz .LBB240_798
	s_branch .LBB240_799
.LBB240_893:
	s_mov_b64 s[30:31], -1
.LBB240_894:
                                        ; implicit-def: $vgpr6
                                        ; implicit-def: $vgpr2
.LBB240_895:
	s_and_b64 vcc, exec, s[38:39]
	s_cbranch_vccz .LBB240_900
; %bb.896:
	s_cmp_eq_u32 s42, 44
	s_cbranch_scc0 .LBB240_898
; %bb.897:
	global_load_ubyte v2, v[0:1], off
	s_movk_i32 s36, 0xff
	v_mov_b32_e32 v5, 0x7e00
	s_mov_b64 s[30:31], 0
	s_waitcnt vmcnt(0)
	v_lshlrev_b32_e32 v3, 23, v2
	v_cvt_f16_f32_e32 v3, v3
	v_cmp_ne_u32_e32 vcc, s36, v2
	s_mov_b64 s[36:37], -1
	s_nop 0
	v_cndmask_b32_e32 v3, v5, v3, vcc
	v_cmp_ne_u32_e32 vcc, 0, v2
	s_nop 1
	v_cndmask_b32_e32 v2, 0, v3, vcc
	s_branch .LBB240_899
.LBB240_898:
	s_mov_b64 s[30:31], -1
                                        ; implicit-def: $vgpr2
.LBB240_899:
	v_mov_b32_e32 v6, 0
.LBB240_900:
	s_mov_b64 s[38:39], 0
.LBB240_901:
	s_and_b64 vcc, exec, s[38:39]
	s_cbranch_vccz .LBB240_906
; %bb.902:
	s_cmp_eq_u32 s42, 29
	s_cbranch_scc0 .LBB240_904
; %bb.903:
	global_load_dwordx2 v[2:3], v[0:1], off
	s_mov_b64 s[30:31], 0
	s_mov_b64 s[36:37], -1
	s_waitcnt vmcnt(0)
	v_ffbh_u32_e32 v5, v3
	v_min_u32_e32 v5, 32, v5
	v_lshlrev_b64 v[2:3], v5, v[2:3]
	v_min_u32_e32 v2, 1, v2
	v_or_b32_e32 v2, v3, v2
	v_cvt_f32_u32_e32 v2, v2
	v_sub_u32_e32 v3, 32, v5
	v_ldexp_f32 v2, v2, v3
	v_cvt_f16_f32_e32 v2, v2
	s_branch .LBB240_905
.LBB240_904:
	s_mov_b64 s[30:31], -1
                                        ; implicit-def: $vgpr2
.LBB240_905:
	v_mov_b32_e32 v6, 0
.LBB240_906:
	s_mov_b64 s[38:39], 0
.LBB240_907:
	s_and_b64 vcc, exec, s[38:39]
	s_cbranch_vccz .LBB240_925
; %bb.908:
	s_cmp_lt_i32 s42, 27
	s_cbranch_scc1 .LBB240_911
; %bb.909:
	s_cmp_gt_i32 s42, 27
	s_cbranch_scc0 .LBB240_912
; %bb.910:
	global_load_dword v2, v[0:1], off
	s_mov_b64 s[36:37], 0
	s_waitcnt vmcnt(0)
	v_cvt_f32_u32_e32 v2, v2
	v_cvt_f16_f32_e32 v2, v2
	s_branch .LBB240_913
.LBB240_911:
	s_mov_b64 s[36:37], -1
                                        ; implicit-def: $vgpr2
	s_branch .LBB240_916
.LBB240_912:
	s_mov_b64 s[36:37], -1
                                        ; implicit-def: $vgpr2
.LBB240_913:
	s_andn2_b64 vcc, exec, s[36:37]
	s_cbranch_vccnz .LBB240_915
; %bb.914:
	global_load_ushort v2, v[0:1], off
	s_waitcnt vmcnt(0)
	v_cvt_f16_u16_e32 v2, v2
.LBB240_915:
	s_mov_b64 s[36:37], 0
.LBB240_916:
	s_andn2_b64 vcc, exec, s[36:37]
	s_cbranch_vccnz .LBB240_924
; %bb.917:
	global_load_ubyte v3, v[0:1], off
	s_movk_i32 s36, 0x7f
	s_waitcnt vmcnt(0)
	v_cmp_lt_i16_e32 vcc, s36, v3
	s_mov_b64 s[36:37], 0
	s_and_saveexec_b64 s[38:39], vcc
	s_xor_b64 s[38:39], exec, s[38:39]
	s_cbranch_execz .LBB240_938
; %bb.918:
	s_movk_i32 s36, 0x80
	v_cmp_eq_u16_e32 vcc, s36, v3
	s_mov_b64 s[36:37], -1
	s_and_saveexec_b64 s[40:41], vcc
; %bb.919:
	s_xor_b64 s[36:37], exec, -1
; %bb.920:
	s_or_b64 exec, exec, s[40:41]
	s_and_b64 s[36:37], s[36:37], exec
	s_or_saveexec_b64 s[38:39], s[38:39]
	v_mov_b32_e32 v2, 0x7e00
	s_xor_b64 exec, exec, s[38:39]
	s_cbranch_execnz .LBB240_939
.LBB240_921:
	s_or_b64 exec, exec, s[38:39]
	s_and_saveexec_b64 s[38:39], s[36:37]
	s_cbranch_execz .LBB240_923
.LBB240_922:
	v_lshlrev_b32_e32 v2, 24, v3
	v_and_b32_e32 v3, 0xffff, v3
	v_and_b32_e32 v5, 7, v3
	v_ffbh_u32_e32 v7, v5
	v_min_u32_e32 v7, 32, v7
	v_subrev_u32_e32 v8, 28, v7
	v_bfe_u32 v6, v3, 3, 4
	v_lshlrev_b32_e32 v3, v8, v3
	v_sub_u32_e32 v7, 29, v7
	v_and_b32_e32 v3, 7, v3
	v_cmp_eq_u32_e32 vcc, 0, v6
	v_and_b32_e32 v2, 0x80000000, v2
	s_nop 0
	v_cndmask_b32_e32 v6, v6, v7, vcc
	v_cndmask_b32_e32 v3, v5, v3, vcc
	v_mov_b32_e32 v5, 0x3b800000
	v_lshlrev_b32_e32 v3, 20, v3
	v_lshl_add_u32 v5, v6, 23, v5
	v_or3_b32 v2, v2, v5, v3
	v_cvt_f16_f32_e32 v2, v2
.LBB240_923:
	s_or_b64 exec, exec, s[38:39]
.LBB240_924:
	s_mov_b64 s[36:37], -1
	v_mov_b32_e32 v6, 0
.LBB240_925:
	s_mov_b64 s[38:39], 0
.LBB240_926:
	s_and_b64 vcc, exec, s[38:39]
	s_cbranch_vccz .LBB240_960
; %bb.927:
	s_cmp_gt_i32 s42, 22
	s_cbranch_scc0 .LBB240_937
; %bb.928:
	s_cmp_lt_i32 s42, 24
	s_cbranch_scc1 .LBB240_940
; %bb.929:
	s_cmp_gt_i32 s42, 24
	s_cbranch_scc0 .LBB240_941
; %bb.930:
	global_load_ubyte v3, v[0:1], off
	s_movk_i32 s34, 0x7f
	s_waitcnt vmcnt(0)
	v_cmp_lt_i16_e32 vcc, s34, v3
	s_mov_b64 s[34:35], 0
	s_and_saveexec_b64 s[36:37], vcc
	s_xor_b64 s[36:37], exec, s[36:37]
	s_cbranch_execz .LBB240_953
; %bb.931:
	s_movk_i32 s34, 0x80
	v_cmp_eq_u16_e32 vcc, s34, v3
	s_mov_b64 s[34:35], -1
	s_and_saveexec_b64 s[38:39], vcc
; %bb.932:
	s_xor_b64 s[34:35], exec, -1
; %bb.933:
	s_or_b64 exec, exec, s[38:39]
	s_and_b64 s[34:35], s[34:35], exec
	s_or_saveexec_b64 s[36:37], s[36:37]
	v_mov_b32_e32 v2, 0x7e00
	s_xor_b64 exec, exec, s[36:37]
	s_cbranch_execnz .LBB240_954
.LBB240_934:
	s_or_b64 exec, exec, s[36:37]
	s_and_saveexec_b64 s[36:37], s[34:35]
	s_cbranch_execz .LBB240_936
.LBB240_935:
	v_lshlrev_b32_e32 v2, 24, v3
	v_and_b32_e32 v3, 0xffff, v3
	v_and_b32_e32 v5, 3, v3
	v_ffbh_u32_e32 v7, v5
	v_min_u32_e32 v7, 32, v7
	v_subrev_u32_e32 v8, 29, v7
	v_bfe_u32 v6, v3, 2, 5
	v_lshlrev_b32_e32 v3, v8, v3
	v_sub_u32_e32 v7, 30, v7
	v_and_b32_e32 v3, 3, v3
	v_cmp_eq_u32_e32 vcc, 0, v6
	v_and_b32_e32 v2, 0x80000000, v2
	s_nop 0
	v_cndmask_b32_e32 v6, v6, v7, vcc
	v_cndmask_b32_e32 v3, v5, v3, vcc
	v_mov_b32_e32 v5, 0x37800000
	v_lshlrev_b32_e32 v3, 21, v3
	v_lshl_add_u32 v5, v6, 23, v5
	v_or3_b32 v2, v2, v5, v3
	v_cvt_f16_f32_e32 v2, v2
.LBB240_936:
	s_or_b64 exec, exec, s[36:37]
	s_mov_b64 s[34:35], 0
	s_branch .LBB240_942
.LBB240_937:
	s_mov_b64 s[34:35], -1
                                        ; implicit-def: $vgpr2
	s_branch .LBB240_948
.LBB240_938:
	s_or_saveexec_b64 s[38:39], s[38:39]
	v_mov_b32_e32 v2, 0x7e00
	s_xor_b64 exec, exec, s[38:39]
	s_cbranch_execz .LBB240_921
.LBB240_939:
	v_cmp_ne_u16_e32 vcc, 0, v3
	s_andn2_b64 s[36:37], s[36:37], exec
	s_and_b64 s[40:41], vcc, exec
	s_or_b64 s[36:37], s[36:37], s[40:41]
	v_mov_b32_e32 v2, v3
	s_or_b64 exec, exec, s[38:39]
	s_and_saveexec_b64 s[38:39], s[36:37]
	s_cbranch_execnz .LBB240_922
	s_branch .LBB240_923
.LBB240_940:
	s_mov_b64 s[34:35], -1
                                        ; implicit-def: $vgpr2
	s_branch .LBB240_945
.LBB240_941:
	s_mov_b64 s[34:35], -1
                                        ; implicit-def: $vgpr2
.LBB240_942:
	s_and_b64 vcc, exec, s[34:35]
	s_cbranch_vccz .LBB240_944
; %bb.943:
	global_load_ubyte v2, v[0:1], off
	s_mov_b32 s34, 0x7f800000
	s_waitcnt vmcnt(0)
	v_lshlrev_b32_e32 v2, 24, v2
	v_and_b32_e32 v3, 0x7f000000, v2
	v_ffbh_u32_e32 v5, v3
	v_min_u32_e32 v5, 32, v5
	v_sub_u32_e64 v5, v5, 4 clamp
	v_lshlrev_b32_e32 v7, v5, v3
	v_lshlrev_b32_e32 v5, 23, v5
	v_lshrrev_b32_e32 v7, 4, v7
	v_add_u32_e32 v6, 0x1000000, v3
	v_sub_u32_e32 v5, v7, v5
	v_ashrrev_i32_e32 v6, 8, v6
	v_add_u32_e32 v5, 0x3c000000, v5
	v_and_or_b32 v5, v6, s34, v5
	v_cmp_ne_u32_e32 vcc, 0, v3
	s_brev_b32 s34, 1
	s_nop 0
	v_cndmask_b32_e32 v3, 0, v5, vcc
	v_and_or_b32 v2, v2, s34, v3
	v_cvt_f16_f32_e32 v2, v2
.LBB240_944:
	s_mov_b64 s[34:35], 0
.LBB240_945:
	s_andn2_b64 vcc, exec, s[34:35]
	s_cbranch_vccnz .LBB240_947
; %bb.946:
	global_load_ubyte v2, v[0:1], off
	s_movk_i32 s34, 0x7f00
	s_brev_b32 s35, 16
	s_waitcnt vmcnt(0)
	v_lshlrev_b16_e32 v3, 8, v2
	v_lshlrev_b32_e32 v2, 25, v2
	v_lshrrev_b32_e32 v5, 4, v2
	v_and_or_b32 v6, v3, s34, 0.5
	v_or_b32_e32 v5, 0x70000000, v5
	v_add_f32_e32 v6, -0.5, v6
	v_mul_f32_e32 v5, 0x7800000, v5
	v_cmp_gt_u32_e32 vcc, s35, v2
	v_bfe_i32 v3, v3, 0, 16
	s_brev_b32 s34, 1
	v_cndmask_b32_e32 v2, v5, v6, vcc
	v_and_or_b32 v2, v3, s34, v2
	v_cvt_f16_f32_e32 v2, v2
.LBB240_947:
	s_mov_b64 s[34:35], 0
	s_mov_b64 s[36:37], -1
.LBB240_948:
	s_andn2_b64 vcc, exec, s[34:35]
	s_mov_b64 s[34:35], 0
	s_cbranch_vccnz .LBB240_959
; %bb.949:
	s_cmp_gt_i32 s42, 14
	s_cbranch_scc0 .LBB240_952
; %bb.950:
	s_cmp_eq_u32 s42, 15
	s_cbranch_scc0 .LBB240_955
; %bb.951:
	global_load_ushort v2, v[0:1], off
	s_mov_b64 s[30:31], 0
	s_mov_b64 s[36:37], -1
	s_waitcnt vmcnt(0)
	v_lshlrev_b32_e32 v2, 16, v2
	v_cvt_f16_f32_e32 v2, v2
	s_branch .LBB240_956
.LBB240_952:
	s_mov_b64 s[38:39], -1
                                        ; implicit-def: $vgpr2
	s_branch .LBB240_957
.LBB240_953:
	s_or_saveexec_b64 s[36:37], s[36:37]
	v_mov_b32_e32 v2, 0x7e00
	s_xor_b64 exec, exec, s[36:37]
	s_cbranch_execz .LBB240_934
.LBB240_954:
	v_cmp_ne_u16_e32 vcc, 0, v3
	s_andn2_b64 s[34:35], s[34:35], exec
	s_and_b64 s[38:39], vcc, exec
	s_or_b64 s[34:35], s[34:35], s[38:39]
	v_mov_b32_e32 v2, v3
	s_or_b64 exec, exec, s[36:37]
	s_and_saveexec_b64 s[36:37], s[34:35]
	s_cbranch_execnz .LBB240_935
	s_branch .LBB240_936
.LBB240_955:
	s_mov_b64 s[30:31], -1
                                        ; implicit-def: $vgpr2
.LBB240_956:
	s_mov_b64 s[38:39], 0
.LBB240_957:
	s_and_b64 vcc, exec, s[38:39]
	s_cbranch_vccz .LBB240_959
; %bb.958:
	s_cmp_lg_u32 s42, 11
	s_cselect_b64 s[38:39], -1, 0
	s_andn2_b64 s[30:31], s[30:31], exec
	s_and_b64 s[38:39], s[38:39], exec
	s_mov_b64 s[34:35], -1
	s_or_b64 s[30:31], s[30:31], s[38:39]
.LBB240_959:
	v_mov_b32_e32 v6, 0
.LBB240_960:
	s_mov_b64 s[38:39], 0
.LBB240_961:
	s_and_b64 s[40:41], s[36:37], exec
	s_and_b64 s[36:37], s[38:39], exec
	s_andn2_b64 s[38:39], s[0:1], exec
	s_and_b64 s[30:31], s[30:31], exec
	s_and_b64 s[34:35], s[34:35], exec
	s_or_b64 s[38:39], s[38:39], s[30:31]
.LBB240_962:
	s_or_b64 exec, exec, s[28:29]
	s_and_b64 s[30:31], s[34:35], exec
	s_andn2_b64 s[0:1], s[0:1], exec
	s_and_b64 s[34:35], s[38:39], exec
	s_and_b64 s[28:29], s[40:41], exec
	;; [unrolled: 1-line block ×3, first 2 shown]
	s_or_b64 s[0:1], s[0:1], s[34:35]
.LBB240_963:
	s_or_b64 exec, exec, s[26:27]
	s_andn2_b64 s[22:23], s[22:23], exec
	s_and_b64 s[2:3], s[2:3], exec
	s_andn2_b64 s[20:21], s[20:21], exec
	s_and_b64 s[0:1], s[0:1], exec
	s_or_b64 s[22:23], s[22:23], s[2:3]
	s_and_b64 s[28:29], s[28:29], exec
	s_and_b64 s[26:27], s[36:37], exec
	;; [unrolled: 1-line block ×3, first 2 shown]
	s_or_b64 s[20:21], s[20:21], s[0:1]
.LBB240_964:
	s_or_b64 exec, exec, s[24:25]
	s_andn2_b64 s[0:1], s[14:15], exec
	s_and_b64 s[14:15], s[22:23], exec
	s_and_b64 s[22:23], s[2:3], exec
	s_andn2_b64 s[2:3], s[16:17], exec
	s_and_b64 s[16:17], s[20:21], exec
	s_or_b64 s[14:15], s[0:1], s[14:15]
	s_and_b64 s[0:1], s[28:29], exec
	s_and_b64 s[24:25], s[26:27], exec
	s_or_b64 s[16:17], s[2:3], s[16:17]
	s_or_b64 exec, exec, s[18:19]
	s_mov_b64 s[18:19], 0
	s_and_saveexec_b64 s[2:3], s[16:17]
	s_cbranch_execz .LBB240_295
.LBB240_965:
	s_mov_b64 s[18:19], exec
	s_andn2_b64 s[22:23], s[22:23], exec
	s_trap 2
	s_or_b64 exec, exec, s[2:3]
	s_and_saveexec_b64 s[2:3], s[22:23]
	s_xor_b64 s[2:3], exec, s[2:3]
	s_cbranch_execnz .LBB240_296
.LBB240_966:
	s_or_b64 exec, exec, s[2:3]
	s_and_saveexec_b64 s[2:3], s[24:25]
	s_cbranch_execz .LBB240_1014
.LBB240_967:
	s_sext_i32_i16 s16, s44
	s_cmp_lt_i32 s16, 5
	s_cbranch_scc1 .LBB240_972
; %bb.968:
	s_cmp_lt_i32 s16, 8
	s_cbranch_scc1 .LBB240_973
; %bb.969:
	;; [unrolled: 3-line block ×3, first 2 shown]
	s_cmp_gt_i32 s16, 9
	s_cbranch_scc0 .LBB240_975
; %bb.971:
	global_load_dwordx4 v[6:9], v[0:1], off
	s_movk_i32 s16, 0x1ff
	s_movk_i32 s17, 0xffe
	s_waitcnt vmcnt(1)
	v_mov_b32_e32 v2, 0x7c00
	v_mov_b32_e32 v3, 0x7e00
	s_movk_i32 s20, 0x40f
	s_mov_b32 s21, 0x8000
	s_waitcnt vmcnt(0)
	v_and_or_b32 v5, v7, s16, v6
	v_and_or_b32 v8, v9, s16, v8
	v_cmp_ne_u32_e32 vcc, 0, v5
	v_lshrrev_b32_e32 v6, 8, v7
	v_bfe_u32 v10, v7, 20, 11
	v_cndmask_b32_e64 v5, 0, 1, vcc
	v_cmp_ne_u32_e32 vcc, 0, v8
	v_lshrrev_b32_e32 v11, 8, v9
	v_bfe_u32 v12, v9, 20, 11
	v_sub_u32_e32 v13, 0x3f1, v10
	v_cndmask_b32_e64 v8, 0, 1, vcc
	v_and_or_b32 v5, v6, s17, v5
	v_add_u32_e32 v10, 0xfffffc10, v10
	v_sub_u32_e32 v14, 0x3f1, v12
	v_add_u32_e32 v12, 0xfffffc10, v12
	v_med3_i32 v6, v13, 0, 13
	v_and_or_b32 v8, v11, s17, v8
	v_or_b32_e32 v13, 0x1000, v5
	v_cmp_ne_u32_e32 vcc, 0, v5
	v_med3_i32 v11, v14, 0, 13
	v_lshl_or_b32 v14, v10, 12, v5
	v_cndmask_b32_e32 v5, v2, v3, vcc
	v_or_b32_e32 v15, 0x1000, v8
	v_lshl_or_b32 v16, v12, 12, v8
	v_cmp_ne_u32_e32 vcc, 0, v8
	v_lshrrev_b32_e32 v8, v6, v13
	v_lshrrev_b32_e32 v17, v11, v15
	v_lshlrev_b32_e32 v6, v6, v8
	v_cndmask_b32_e32 v3, v2, v3, vcc
	v_lshlrev_b32_e32 v11, v11, v17
	v_cmp_ne_u32_e32 vcc, v6, v13
	v_lshrrev_b32_e32 v7, 16, v7
	v_lshrrev_b32_e32 v9, 16, v9
	v_cndmask_b32_e64 v6, 0, 1, vcc
	v_cmp_ne_u32_e32 vcc, v11, v15
	v_or_b32_e32 v6, v8, v6
	s_mov_b64 s[16:17], 0
	v_cndmask_b32_e64 v11, 0, 1, vcc
	v_cmp_gt_i32_e32 vcc, 1, v10
	v_or_b32_e32 v8, v17, v11
	s_nop 0
	v_cndmask_b32_e32 v6, v14, v6, vcc
	v_cmp_gt_i32_e32 vcc, 1, v12
	v_and_b32_e32 v11, 7, v6
	v_lshrrev_b32_e32 v6, 2, v6
	v_cndmask_b32_e32 v8, v16, v8, vcc
	v_cmp_lt_i32_e32 vcc, 5, v11
	v_and_b32_e32 v13, 7, v8
	v_lshrrev_b32_e32 v8, 2, v8
	v_cndmask_b32_e64 v14, 0, 1, vcc
	v_cmp_eq_u32_e32 vcc, 3, v11
	s_nop 1
	v_cndmask_b32_e64 v11, 0, 1, vcc
	v_cmp_lt_i32_e32 vcc, 5, v13
	v_or_b32_e32 v11, v11, v14
	v_add_u32_e32 v6, v6, v11
	v_cndmask_b32_e64 v15, 0, 1, vcc
	v_cmp_eq_u32_e32 vcc, 3, v13
	s_nop 1
	v_cndmask_b32_e64 v13, 0, 1, vcc
	v_or_b32_e32 v13, v13, v15
	v_cmp_gt_i32_e32 vcc, 31, v10
	v_add_u32_e32 v8, v8, v13
	s_nop 0
	v_cndmask_b32_e32 v6, v2, v6, vcc
	v_cmp_gt_i32_e32 vcc, 31, v12
	s_nop 1
	v_cndmask_b32_e32 v2, v2, v8, vcc
	v_cmp_eq_u32_e32 vcc, s20, v10
	s_nop 1
	v_cndmask_b32_e32 v5, v6, v5, vcc
	v_cmp_eq_u32_e32 vcc, s20, v12
	s_nop 1
	v_cndmask_b32_e32 v3, v2, v3, vcc
	v_and_or_b32 v2, v7, s21, v5
	v_and_or_b32 v6, v9, s21, v3
	s_branch .LBB240_976
.LBB240_972:
                                        ; implicit-def: $vgpr6
                                        ; implicit-def: $vgpr2
	s_branch .LBB240_994
.LBB240_973:
                                        ; implicit-def: $vgpr6
                                        ; implicit-def: $vgpr2
	s_branch .LBB240_982
.LBB240_974:
	s_mov_b64 s[16:17], -1
                                        ; implicit-def: $vgpr6
                                        ; implicit-def: $vgpr2
	s_branch .LBB240_979
.LBB240_975:
	s_mov_b64 s[16:17], -1
                                        ; implicit-def: $vgpr6
                                        ; implicit-def: $vgpr2
.LBB240_976:
	s_andn2_b64 vcc, exec, s[16:17]
	s_cbranch_vccnz .LBB240_978
; %bb.977:
	global_load_dwordx2 v[2:3], v[0:1], off
	s_waitcnt vmcnt(0)
	v_cvt_f16_f32_e32 v2, v2
	v_cvt_f16_f32_e32 v6, v3
.LBB240_978:
	s_mov_b64 s[16:17], 0
.LBB240_979:
	s_andn2_b64 vcc, exec, s[16:17]
	s_cbranch_vccnz .LBB240_981
; %bb.980:
	global_load_dword v2, v[0:1], off
	s_waitcnt vmcnt(0)
	v_lshrrev_b32_e32 v6, 16, v2
.LBB240_981:
	s_cbranch_execnz .LBB240_993
.LBB240_982:
	s_sext_i32_i16 s16, s44
	s_cmp_lt_i32 s16, 6
	s_cbranch_scc1 .LBB240_985
; %bb.983:
	s_cmp_gt_i32 s16, 6
	s_cbranch_scc0 .LBB240_986
; %bb.984:
	global_load_dwordx2 v[2:3], v[0:1], off
	s_movk_i32 s16, 0x1ff
	s_movk_i32 s17, 0xffe
	v_mov_b32_e32 v5, 0x7c00
	v_mov_b32_e32 v6, 0x7e00
	s_movk_i32 s20, 0x40f
	s_mov_b32 s21, 0x8000
	s_waitcnt vmcnt(0)
	v_and_or_b32 v2, v3, s16, v2
	v_cmp_ne_u32_e32 vcc, 0, v2
	v_lshrrev_b32_e32 v7, 8, v3
	v_bfe_u32 v8, v3, 20, 11
	v_cndmask_b32_e64 v2, 0, 1, vcc
	v_sub_u32_e32 v9, 0x3f1, v8
	v_and_or_b32 v2, v7, s17, v2
	v_add_u32_e32 v8, 0xfffffc10, v8
	v_med3_i32 v7, v9, 0, 13
	v_or_b32_e32 v9, 0x1000, v2
	v_cmp_ne_u32_e32 vcc, 0, v2
	v_lshl_or_b32 v10, v8, 12, v2
	v_lshrrev_b32_e32 v3, 16, v3
	v_cndmask_b32_e32 v2, v5, v6, vcc
	v_lshrrev_b32_e32 v6, v7, v9
	v_lshlrev_b32_e32 v7, v7, v6
	v_cmp_ne_u32_e32 vcc, v7, v9
	s_mov_b64 s[16:17], 0
	s_nop 0
	v_cndmask_b32_e64 v7, 0, 1, vcc
	v_or_b32_e32 v6, v6, v7
	v_cmp_gt_i32_e32 vcc, 1, v8
	s_nop 1
	v_cndmask_b32_e32 v6, v10, v6, vcc
	v_and_b32_e32 v7, 7, v6
	v_cmp_lt_i32_e32 vcc, 5, v7
	v_lshrrev_b32_e32 v6, 2, v6
	s_nop 0
	v_cndmask_b32_e64 v9, 0, 1, vcc
	v_cmp_eq_u32_e32 vcc, 3, v7
	s_nop 1
	v_cndmask_b32_e64 v7, 0, 1, vcc
	v_or_b32_e32 v7, v7, v9
	v_add_u32_e32 v6, v6, v7
	v_cmp_gt_i32_e32 vcc, 31, v8
	s_nop 1
	v_cndmask_b32_e32 v5, v5, v6, vcc
	v_cmp_eq_u32_e32 vcc, s20, v8
	s_nop 1
	v_cndmask_b32_e32 v2, v5, v2, vcc
	v_and_or_b32 v2, v3, s21, v2
	s_branch .LBB240_987
.LBB240_985:
	s_mov_b64 s[16:17], -1
                                        ; implicit-def: $vgpr2
	s_branch .LBB240_990
.LBB240_986:
	s_mov_b64 s[16:17], -1
                                        ; implicit-def: $vgpr2
.LBB240_987:
	s_andn2_b64 vcc, exec, s[16:17]
	s_cbranch_vccnz .LBB240_989
; %bb.988:
	global_load_dword v2, v[0:1], off
	s_waitcnt vmcnt(0)
	v_cvt_f16_f32_e32 v2, v2
.LBB240_989:
	s_mov_b64 s[16:17], 0
.LBB240_990:
	s_andn2_b64 vcc, exec, s[16:17]
	s_cbranch_vccnz .LBB240_992
; %bb.991:
	global_load_ushort v2, v[0:1], off
.LBB240_992:
	v_mov_b32_e32 v6, 0
.LBB240_993:
	s_cbranch_execnz .LBB240_1013
.LBB240_994:
	s_sext_i32_i16 s16, s44
	s_cmp_lt_i32 s16, 2
	s_cbranch_scc1 .LBB240_998
; %bb.995:
	s_cmp_lt_i32 s16, 3
	s_cbranch_scc1 .LBB240_999
; %bb.996:
	s_cmp_gt_i32 s16, 3
	s_cbranch_scc0 .LBB240_1000
; %bb.997:
	global_load_dwordx2 v[2:3], v[0:1], off
	s_mov_b64 s[16:17], 0
	s_waitcnt vmcnt(0)
	v_xor_b32_e32 v6, v2, v3
	v_ffbh_i32_e32 v5, v3
	v_ashrrev_i32_e32 v6, 31, v6
	v_add_u32_e32 v5, -1, v5
	v_add_u32_e32 v6, 32, v6
	v_min_u32_e32 v5, v5, v6
	v_lshlrev_b64 v[2:3], v5, v[2:3]
	v_min_u32_e32 v2, 1, v2
	v_or_b32_e32 v2, v3, v2
	v_cvt_f32_i32_e32 v2, v2
	v_sub_u32_e32 v3, 32, v5
	v_ldexp_f32 v2, v2, v3
	v_cvt_f16_f32_e32 v2, v2
	s_branch .LBB240_1001
.LBB240_998:
                                        ; implicit-def: $vgpr2
	s_branch .LBB240_1007
.LBB240_999:
	s_mov_b64 s[16:17], -1
                                        ; implicit-def: $vgpr2
	s_branch .LBB240_1004
.LBB240_1000:
	s_mov_b64 s[16:17], -1
                                        ; implicit-def: $vgpr2
.LBB240_1001:
	s_andn2_b64 vcc, exec, s[16:17]
	s_cbranch_vccnz .LBB240_1003
; %bb.1002:
	global_load_dword v2, v[0:1], off
	s_waitcnt vmcnt(0)
	v_cvt_f32_i32_e32 v2, v2
	v_cvt_f16_f32_e32 v2, v2
.LBB240_1003:
	s_mov_b64 s[16:17], 0
.LBB240_1004:
	s_andn2_b64 vcc, exec, s[16:17]
	s_cbranch_vccnz .LBB240_1006
; %bb.1005:
	global_load_ushort v2, v[0:1], off
	s_waitcnt vmcnt(0)
	v_cvt_f16_i16_e32 v2, v2
.LBB240_1006:
	s_cbranch_execnz .LBB240_1012
.LBB240_1007:
	s_sext_i32_i16 s16, s44
	s_cmp_gt_i32 s16, 0
	s_cbranch_scc0 .LBB240_1009
; %bb.1008:
	global_load_sbyte v2, v[0:1], off
	s_mov_b64 s[16:17], 0
	s_waitcnt vmcnt(0)
	v_cvt_f16_i16_e32 v2, v2
	s_branch .LBB240_1010
.LBB240_1009:
	s_mov_b64 s[16:17], -1
                                        ; implicit-def: $vgpr2
.LBB240_1010:
	s_andn2_b64 vcc, exec, s[16:17]
	s_cbranch_vccnz .LBB240_1012
; %bb.1011:
	global_load_ubyte v0, v[0:1], off
	s_waitcnt vmcnt(0)
	v_cvt_f16_u16_e32 v2, v0
.LBB240_1012:
	v_mov_b32_e32 v6, 0
.LBB240_1013:
	s_or_b64 s[0:1], s[0:1], exec
.LBB240_1014:
	s_or_b64 exec, exec, s[2:3]
	s_mov_b64 s[20:21], 0
	s_mov_b64 s[2:3], 0
                                        ; implicit-def: $sgpr26
                                        ; implicit-def: $vgpr0_vgpr1
                                        ; implicit-def: $vgpr7
                                        ; implicit-def: $vgpr3
                                        ; implicit-def: $vgpr5
	s_and_saveexec_b64 s[16:17], s[0:1]
	s_cbranch_execz .LBB240_1027
; %bb.1015:
	v_cvt_f32_f16_e32 v0, v6
	s_waitcnt vmcnt(0)
	v_cmp_neq_f16_e32 vcc, 0, v2
	v_cmp_neq_f16_e64 s[0:1], 0, v6
	s_or_b64 s[0:1], vcc, s[0:1]
	v_mov_b32_e32 v5, 0
	s_and_saveexec_b64 s[20:21], s[0:1]
	s_cbranch_execz .LBB240_1048
; %bb.1016:
	v_mov_b32_e32 v5, 0x7f800000
	v_cmp_neq_f32_e64 s[0:1], |v0|, v5
	s_and_saveexec_b64 s[22:23], s[0:1]
	s_cbranch_execz .LBB240_1047
; %bb.1017:
	v_cvt_f32_f16_e32 v1, v2
	v_cmp_o_f16_e32 vcc, v2, v2
                                        ; implicit-def: $vgpr5
	s_and_saveexec_b64 s[0:1], vcc
	s_xor_b64 s[24:25], exec, s[0:1]
	s_cbranch_execz .LBB240_1044
; %bb.1018:
	s_mov_b32 s0, 0x7f800000
	v_cmp_neq_f32_e64 s[0:1], |v1|, s0
                                        ; implicit-def: $vgpr5
	s_and_saveexec_b64 s[2:3], s[0:1]
	s_xor_b64 s[26:27], exec, s[2:3]
	s_cbranch_execz .LBB240_1037
; %bb.1019:
	v_max_f32_e64 v2, |v0|, |v0|
	v_max_f32_e64 v3, |v1|, |v1|
	v_max_f32_e32 v2, v3, v2
	s_mov_b32 s0, 0x7ed413cb
	v_cmp_nle_f32_e64 s[0:1], s0, v2
                                        ; implicit-def: $sgpr28_sgpr29
	s_and_saveexec_b64 s[2:3], s[0:1]
	s_xor_b64 s[2:3], exec, s[2:3]
	s_cbranch_execz .LBB240_1023
; %bb.1020:
	s_mov_b32 s30, 0x1000000
	v_cmp_le_f32_e64 s[28:29], |v1|, s30
	v_cmp_le_f32_e64 s[30:31], |v0|, s30
	s_and_b64 s[34:35], s[28:29], s[30:31]
	s_mov_b64 s[28:29], 0
	s_and_saveexec_b64 s[30:31], s[34:35]
; %bb.1021:
	s_mov_b64 s[28:29], exec
	v_mul_f32_e32 v1, 4.0, v1
	v_mul_f32_e32 v0, 4.0, v0
; %bb.1022:
	s_or_b64 exec, exec, s[30:31]
.LBB240_1023:
	s_andn2_saveexec_b64 s[2:3], s[2:3]
; %bb.1024:
	v_mul_f32_e32 v1, 0x3e800000, v1
	v_mul_f32_e32 v0, 0x3e800000, v0
	s_andn2_b64 s[28:29], s[28:29], exec
; %bb.1025:
	s_or_b64 exec, exec, s[2:3]
	v_max_f32_e64 v2, |v0|, |v0|
	v_max_f32_e64 v3, |v1|, |v1|
	v_max_f32_e32 v5, v3, v2
	v_cvt_f64_f32_e32 v[2:3], v5
	v_frexp_exp_i32_f64_e32 v2, v[2:3]
	v_sub_u32_e32 v3, 0, v2
	v_ldexp_f32 v6, |v1|, v3
	v_ldexp_f32 v3, |v0|, v3
	v_mul_f32_e32 v3, v3, v3
	v_fmac_f32_e32 v3, v6, v6
	v_sqrt_f32_e32 v3, v3
	s_mov_b32 s2, 0x7f800000
	v_cmp_neq_f32_e64 s[2:3], s2, v5
	v_cmp_le_f32_e32 vcc, 0, v1
	v_ldexp_f32 v2, v3, v2
	v_mov_b32_e32 v3, 0x7f800000
	v_cndmask_b32_e64 v5, v3, v2, s[2:3]
                                        ; implicit-def: $vgpr3
                                        ; implicit-def: $vgpr2
	s_and_saveexec_b64 s[2:3], vcc
	s_xor_b64 s[30:31], exec, s[2:3]
	s_cbranch_execz .LBB240_1030
; %bb.1026:
	v_add_f32_e32 v1, v1, v5
	v_mul_f32_e32 v1, 0.5, v1
	s_mov_b32 s2, 0xf800000
	v_mul_f32_e32 v2, 0x4f800000, v1
	v_cmp_gt_f32_e32 vcc, s2, v1
	s_nop 1
	v_cndmask_b32_e32 v1, v1, v2, vcc
	v_sqrt_f32_e32 v2, v1
	s_nop 0
	v_add_u32_e32 v3, -1, v2
	v_fma_f32 v5, -v3, v2, v1
	v_cmp_ge_f32_e64 s[2:3], 0, v5
	v_add_u32_e32 v5, 1, v2
	s_nop 0
	v_cndmask_b32_e64 v3, v2, v3, s[2:3]
	v_fma_f32 v2, -v5, v2, v1
	v_cmp_lt_f32_e64 s[2:3], 0, v2
	s_nop 1
	v_cndmask_b32_e64 v2, v3, v5, s[2:3]
	v_mul_f32_e32 v3, 0x37800000, v2
	v_cndmask_b32_e32 v2, v2, v3, vcc
	v_mov_b32_e32 v3, 0x260
	v_cmp_class_f32_e32 vcc, v1, v3
	s_nop 1
	v_cndmask_b32_e32 v2, v2, v1, vcc
	v_add_f32_e32 v1, v2, v2
	v_div_scale_f32 v3, s[2:3], v1, v1, v0
	v_rcp_f32_e32 v5, v3
	s_nop 0
	v_fma_f32 v6, -v3, v5, 1.0
	v_fmac_f32_e32 v5, v6, v5
	v_div_scale_f32 v6, vcc, v0, v1, v0
	v_mul_f32_e32 v7, v6, v5
	v_fma_f32 v8, -v3, v7, v6
	v_fmac_f32_e32 v7, v8, v5
	v_fma_f32 v3, -v3, v7, v6
	v_div_fmas_f32 v3, v3, v5, v7
	v_div_fixup_f32 v3, v3, v1, v0
                                        ; implicit-def: $vgpr5
                                        ; implicit-def: $vgpr1
                                        ; implicit-def: $vgpr0
	s_andn2_saveexec_b64 s[30:31], s[30:31]
	s_cbranch_execz .LBB240_1032
	s_branch .LBB240_1031
.LBB240_1027:
	s_or_b64 exec, exec, s[16:17]
	s_and_saveexec_b64 s[0:1], s[14:15]
	s_cbranch_execnz .LBB240_1125
.LBB240_1028:
	s_or_b64 exec, exec, s[0:1]
	s_and_saveexec_b64 s[0:1], s[20:21]
	s_xor_b64 s[0:1], exec, s[0:1]
	s_cbranch_execz .LBB240_1126
.LBB240_1029:
	s_waitcnt vmcnt(0)
	v_and_b32_e32 v2, 0x7fff7fff, v7
	v_cmp_ne_u32_e32 vcc, 0, v2
	s_nop 1
	v_cndmask_b32_e64 v2, 0, 1, vcc
	global_store_byte v[0:1], v2, off
	s_or_b64 exec, exec, s[0:1]
	s_and_saveexec_b64 s[0:1], s[2:3]
	s_xor_b64 s[0:1], exec, s[0:1]
	s_cbranch_execz .LBB240_1164
	s_branch .LBB240_1127
.LBB240_1030:
	s_andn2_saveexec_b64 s[30:31], s[30:31]
	s_cbranch_execz .LBB240_1032
.LBB240_1031:
	v_sub_f32_e32 v1, v5, v1
	v_mul_f32_e32 v1, 0.5, v1
	s_mov_b32 s2, 0xf800000
	v_mul_f32_e32 v2, 0x4f800000, v1
	v_cmp_gt_f32_e32 vcc, s2, v1
	s_nop 1
	v_cndmask_b32_e32 v1, v1, v2, vcc
	v_sqrt_f32_e32 v2, v1
	s_nop 0
	v_add_u32_e32 v3, -1, v2
	v_fma_f32 v5, -v3, v2, v1
	v_cmp_ge_f32_e64 s[2:3], 0, v5
	v_add_u32_e32 v5, 1, v2
	s_nop 0
	v_cndmask_b32_e64 v3, v2, v3, s[2:3]
	v_fma_f32 v2, -v5, v2, v1
	v_cmp_lt_f32_e64 s[2:3], 0, v2
	s_nop 1
	v_cndmask_b32_e64 v2, v3, v5, s[2:3]
	v_mul_f32_e32 v3, 0x37800000, v2
	v_cndmask_b32_e32 v2, v2, v3, vcc
	v_mov_b32_e32 v3, 0x260
	v_cmp_class_f32_e32 vcc, v1, v3
	v_and_b32_e32 v3, 0x7fffffff, v0
	s_nop 0
	v_cndmask_b32_e32 v1, v2, v1, vcc
	v_add_f32_e32 v2, v1, v1
	v_div_scale_f32 v5, s[2:3], v2, v2, v3
	v_rcp_f32_e32 v6, v5
	v_div_scale_f32 v3, vcc, v3, v2, v3
	s_brev_b32 s2, -2
	v_fma_f32 v7, -v5, v6, 1.0
	v_fmac_f32_e32 v6, v7, v6
	v_mul_f32_e32 v7, v3, v6
	v_fma_f32 v8, -v5, v7, v3
	v_fmac_f32_e32 v7, v8, v6
	v_fma_f32 v3, -v5, v7, v3
	v_div_fmas_f32 v3, v3, v6, v7
	v_div_fixup_f32 v2, v3, v2, |v0|
	v_bfi_b32 v3, s2, v1, v0
.LBB240_1032:
	s_or_b64 exec, exec, s[30:31]
                                        ; implicit-def: $vgpr0
                                        ; implicit-def: $vgpr5
	s_and_saveexec_b64 s[2:3], s[0:1]
	s_xor_b64 s[0:1], exec, s[2:3]
	s_cbranch_execz .LBB240_1034
; %bb.1033:
	v_mul_f32_e32 v0, 0.5, v2
	v_mul_f32_e32 v1, 0.5, v3
	v_cndmask_b32_e64 v5, v2, v0, s[28:29]
	v_cndmask_b32_e64 v0, v3, v1, s[28:29]
                                        ; implicit-def: $vgpr2
                                        ; implicit-def: $vgpr3
	s_andn2_saveexec_b64 s[0:1], s[0:1]
	s_cbranch_execnz .LBB240_1035
	s_branch .LBB240_1036
.LBB240_1034:
	s_andn2_saveexec_b64 s[0:1], s[0:1]
.LBB240_1035:
	v_add_f32_e32 v5, v2, v2
	v_add_f32_e32 v0, v3, v3
.LBB240_1036:
	s_or_b64 exec, exec, s[0:1]
                                        ; implicit-def: $vgpr1
                                        ; implicit-def: $vgpr2
.LBB240_1037:
	s_andn2_saveexec_b64 s[0:1], s[26:27]
	s_cbranch_execz .LBB240_1043
; %bb.1038:
	v_cmp_lt_i16_e32 vcc, -1, v2
	v_sub_f32_e32 v2, v0, v0
	s_brev_b32 s26, -2
	v_and_b32_e32 v5, 0x7fffffff, v2
	s_and_saveexec_b64 s[2:3], vcc
	s_xor_b64 s[2:3], exec, s[2:3]
; %bb.1039:
	v_bfi_b32 v0, s26, v2, v0
	v_mov_b32_e32 v5, v1
; %bb.1040:
	s_andn2_saveexec_b64 s[2:3], s[2:3]
; %bb.1041:
	v_bfi_b32 v0, s26, v1, v0
; %bb.1042:
	s_or_b64 exec, exec, s[2:3]
.LBB240_1043:
	s_or_b64 exec, exec, s[0:1]
                                        ; implicit-def: $vgpr1
.LBB240_1044:
	s_andn2_saveexec_b64 s[0:1], s[24:25]
	s_cbranch_execz .LBB240_1046
; %bb.1045:
	v_sub_f32_e32 v0, v0, v0
	v_div_scale_f32 v2, vcc, v0, v0, v0
	v_rcp_f32_e32 v3, v2
	s_nop 0
	v_fma_f32 v5, -v2, v3, 1.0
	v_fmac_f32_e32 v3, v5, v3
	v_mul_f32_e32 v5, v2, v3
	v_fma_f32 v6, -v2, v5, v2
	v_fmac_f32_e32 v5, v6, v3
	v_fma_f32 v2, -v2, v5, v2
	v_div_fmas_f32 v2, v2, v3, v5
	v_div_fixup_f32 v0, v2, v0, v0
	v_mov_b32_e32 v5, v1
.LBB240_1046:
	s_or_b64 exec, exec, s[0:1]
.LBB240_1047:
	s_or_b64 exec, exec, s[22:23]
.LBB240_1048:
	s_or_b64 exec, exec, s[20:21]
	v_cvt_f16_f32_e32 v3, v0
	v_cvt_f16_f32_e32 v5, v5
	v_mul_lo_u32 v0, v4, s8
	v_ashrrev_i32_e32 v1, 31, v0
	s_and_b32 s26, s33, 0xff
	v_lshlrev_b32_e32 v2, 16, v3
	s_cmp_lt_i32 s26, 11
	v_lshl_add_u64 v[0:1], s[4:5], 0, v[0:1]
	s_cbranch_scc1 .LBB240_1065
; %bb.1049:
	s_and_b32 s27, 0xffff, s26
	s_mov_b64 s[20:21], -1
	s_cmp_gt_i32 s27, 25
	s_mov_b64 s[0:1], s[14:15]
	s_cbranch_scc0 .LBB240_1083
; %bb.1050:
	s_mov_b64 s[2:3], -1
	s_cmp_gt_i32 s27, 28
	s_mov_b64 s[0:1], s[14:15]
	s_cbranch_scc0 .LBB240_1067
; %bb.1051:
	s_cmp_gt_i32 s27, 43
	s_mov_b64 s[0:1], s[14:15]
	s_cbranch_scc0 .LBB240_1062
; %bb.1052:
	;; [unrolled: 4-line block ×3, first 2 shown]
	s_cmp_eq_u32 s27, 46
	s_mov_b64 s[0:1], -1
	s_cbranch_scc0 .LBB240_1055
; %bb.1054:
	v_cvt_f32_f16_e32 v6, v3
	v_cvt_f32_f16_e32 v4, v5
	s_movk_i32 s0, 0x7fff
	v_cmp_o_f16_e32 vcc, v3, v3
	v_bfe_u32 v8, v6, 16, 1
	v_bfe_u32 v7, v4, 16, 1
	v_add3_u32 v6, v6, v8, s0
	v_add3_u32 v4, v4, v7, s0
	v_and_b32_e32 v6, 0xffff0000, v6
	v_mov_b32_e32 v7, 0x7fc00000
	v_cndmask_b32_e32 v6, v7, v6, vcc
	v_cmp_o_f16_e32 vcc, v5, v5
	v_mov_b32_e32 v7, 0x7fc0
	s_mov_b64 s[0:1], 0
	v_cndmask_b32_sdwa v4, v7, v4, vcc dst_sel:DWORD dst_unused:UNUSED_PAD src0_sel:DWORD src1_sel:WORD_1
	v_or_b32_e32 v4, v6, v4
	global_store_dword v[0:1], v4, off
.LBB240_1055:
	s_mov_b64 s[2:3], 0
.LBB240_1056:
	s_and_b64 vcc, exec, s[2:3]
	s_cbranch_vccz .LBB240_1061
; %bb.1057:
	s_cmp_eq_u32 s27, 44
	s_mov_b64 s[0:1], -1
	s_cbranch_scc0 .LBB240_1061
; %bb.1058:
	v_cvt_f32_f16_e32 v4, v5
	s_movk_i32 s0, 0xff
	v_mov_b32_e32 v7, 0xff
	v_bfe_u32 v6, v4, 23, 8
	v_cmp_ne_u32_e32 vcc, s0, v6
	s_and_saveexec_b64 s[2:3], vcc
; %bb.1059:
	s_mov_b32 s0, 0x3fffff
	v_lshrrev_b32_e32 v7, 23, v4
	v_and_b32_e32 v8, 0x400000, v4
	v_and_or_b32 v4, v4, s0, v6
	v_cmp_ne_u32_e32 vcc, 0, v8
	v_cmp_ne_u32_e64 s[0:1], 0, v4
	s_and_b64 s[0:1], vcc, s[0:1]
	s_nop 0
	v_cndmask_b32_e64 v4, 0, 1, s[0:1]
	v_add_u32_e32 v7, v7, v4
; %bb.1060:
	s_or_b64 exec, exec, s[2:3]
	s_mov_b64 s[0:1], 0
	global_store_byte v[0:1], v7, off
.LBB240_1061:
	s_mov_b64 s[2:3], 0
.LBB240_1062:
	s_and_b64 vcc, exec, s[2:3]
	s_cbranch_vccz .LBB240_1066
; %bb.1063:
	s_cmp_eq_u32 s27, 29
	s_mov_b64 s[0:1], -1
	s_cbranch_scc0 .LBB240_1066
; %bb.1064:
	v_cvt_f32_f16_e32 v4, v5
	v_mov_b32_e32 v7, 0
	s_mov_b64 s[0:1], 0
	s_mov_b64 s[2:3], 0
	v_cvt_u32_f32_e32 v6, v4
	global_store_dwordx2 v[0:1], v[6:7], off
	s_branch .LBB240_1067
.LBB240_1065:
	s_mov_b64 s[20:21], 0
	s_mov_b64 s[2:3], -1
	s_mov_b64 s[0:1], s[14:15]
	s_branch .LBB240_1124
.LBB240_1066:
	s_mov_b64 s[2:3], 0
.LBB240_1067:
	s_and_b64 vcc, exec, s[2:3]
	s_cbranch_vccz .LBB240_1082
; %bb.1068:
	s_cmp_lt_i32 s27, 27
	s_mov_b64 s[2:3], -1
	s_cbranch_scc1 .LBB240_1074
; %bb.1069:
	s_cmp_gt_i32 s27, 27
	s_cbranch_scc0 .LBB240_1071
; %bb.1070:
	v_cvt_f32_f16_e32 v4, v5
	s_mov_b64 s[2:3], 0
	v_cvt_u32_f32_e32 v4, v4
	global_store_dword v[0:1], v4, off
.LBB240_1071:
	s_andn2_b64 vcc, exec, s[2:3]
	s_cbranch_vccnz .LBB240_1073
; %bb.1072:
	v_cvt_u16_f16_e32 v4, v5
	global_store_short v[0:1], v4, off
.LBB240_1073:
	s_mov_b64 s[2:3], 0
.LBB240_1074:
	s_andn2_b64 vcc, exec, s[2:3]
	s_cbranch_vccnz .LBB240_1082
; %bb.1075:
	v_cvt_f32_f16_e32 v4, v5
	s_mov_b32 s2, 0x43800000
	v_mov_b32_e32 v7, 0x80
	v_and_b32_e32 v6, 0x7fffffff, v4
	v_cmp_gt_u32_e32 vcc, s2, v6
	s_and_saveexec_b64 s[2:3], vcc
	s_cbranch_execz .LBB240_1081
; %bb.1076:
	s_mov_b32 s20, 0x3bffffff
	v_cmp_lt_u32_e32 vcc, s20, v6
	s_mov_b64 s[20:21], 0
                                        ; implicit-def: $vgpr6
	s_and_saveexec_b64 s[22:23], vcc
	s_xor_b64 s[22:23], exec, s[22:23]
	s_cbranch_execz .LBB240_1179
; %bb.1077:
	v_bfe_u32 v6, v4, 20, 1
	s_mov_b32 s24, 0x487ffff
	v_add3_u32 v6, v4, v6, s24
	s_mov_b64 s[20:21], exec
	v_lshrrev_b32_e32 v6, 20, v6
	s_andn2_saveexec_b64 s[22:23], s[22:23]
	s_cbranch_execnz .LBB240_1180
.LBB240_1078:
	s_or_b64 exec, exec, s[22:23]
	v_mov_b32_e32 v7, 0
	s_and_saveexec_b64 s[22:23], s[20:21]
.LBB240_1079:
	v_lshrrev_b32_e32 v4, 24, v4
	s_movk_i32 s20, 0x80
	v_and_or_b32 v7, v4, s20, v6
.LBB240_1080:
	s_or_b64 exec, exec, s[22:23]
.LBB240_1081:
	s_or_b64 exec, exec, s[2:3]
	global_store_byte v[0:1], v7, off
.LBB240_1082:
	s_mov_b64 s[20:21], 0
.LBB240_1083:
	s_mov_b64 s[2:3], 0
	s_and_b64 vcc, exec, s[20:21]
	s_cbranch_vccz .LBB240_1123
; %bb.1084:
	s_cmp_gt_i32 s27, 22
	s_mov_b64 s[20:21], -1
	s_cbranch_scc0 .LBB240_1116
; %bb.1085:
	s_cmp_lt_i32 s27, 24
	s_cbranch_scc1 .LBB240_1105
; %bb.1086:
	s_cmp_gt_i32 s27, 24
	s_cbranch_scc0 .LBB240_1094
; %bb.1087:
	v_cvt_f32_f16_e32 v4, v5
	s_mov_b32 s20, 0x47800000
	v_mov_b32_e32 v7, 0x80
	v_and_b32_e32 v6, 0x7fffffff, v4
	v_cmp_gt_u32_e32 vcc, s20, v6
	s_and_saveexec_b64 s[20:21], vcc
	s_cbranch_execz .LBB240_1093
; %bb.1088:
	s_mov_b32 s22, 0x37ffffff
	v_cmp_lt_u32_e32 vcc, s22, v6
	s_mov_b64 s[22:23], 0
                                        ; implicit-def: $vgpr6
	s_and_saveexec_b64 s[24:25], vcc
	s_xor_b64 s[24:25], exec, s[24:25]
	s_cbranch_execz .LBB240_1340
; %bb.1089:
	v_bfe_u32 v6, v4, 21, 1
	s_mov_b32 s28, 0x88fffff
	v_add3_u32 v6, v4, v6, s28
	s_mov_b64 s[22:23], exec
	v_lshrrev_b32_e32 v6, 21, v6
	s_andn2_saveexec_b64 s[24:25], s[24:25]
	s_cbranch_execnz .LBB240_1341
.LBB240_1090:
	s_or_b64 exec, exec, s[24:25]
	v_mov_b32_e32 v7, 0
	s_and_saveexec_b64 s[24:25], s[22:23]
.LBB240_1091:
	v_lshrrev_b32_e32 v4, 24, v4
	s_movk_i32 s22, 0x80
	v_and_or_b32 v7, v4, s22, v6
.LBB240_1092:
	s_or_b64 exec, exec, s[24:25]
.LBB240_1093:
	s_or_b64 exec, exec, s[20:21]
	s_mov_b64 s[20:21], 0
	global_store_byte v[0:1], v7, off
.LBB240_1094:
	s_and_b64 vcc, exec, s[20:21]
	s_cbranch_vccz .LBB240_1104
; %bb.1095:
	v_cvt_f32_f16_e32 v4, v5
	s_mov_b32 s20, 0x43f00000
                                        ; implicit-def: $vgpr6
	v_and_b32_e32 v7, 0x7fffffff, v4
	v_cmp_gt_u32_e32 vcc, s20, v7
	s_and_saveexec_b64 s[20:21], vcc
	s_xor_b64 s[20:21], exec, s[20:21]
	s_cbranch_execz .LBB240_1101
; %bb.1096:
	s_mov_b32 s22, 0x3c7fffff
	v_cmp_lt_u32_e32 vcc, s22, v7
                                        ; implicit-def: $vgpr6
	s_and_saveexec_b64 s[22:23], vcc
	s_xor_b64 s[22:23], exec, s[22:23]
; %bb.1097:
	v_bfe_u32 v6, v4, 20, 1
	s_mov_b32 s24, 0x407ffff
	v_add3_u32 v6, v4, v6, s24
	v_lshrrev_b32_e32 v7, 20, v6
	v_and_b32_e32 v6, 0xff00000, v6
	s_mov_b32 s24, 0x7f00000
	v_mov_b32_e32 v8, 0x7e
	v_cmp_ne_u32_e32 vcc, s24, v6
	s_nop 1
	v_cndmask_b32_e32 v6, v8, v7, vcc
; %bb.1098:
	s_andn2_saveexec_b64 s[22:23], s[22:23]
; %bb.1099:
	s_mov_b32 s24, 0x46800000
	v_add_f32_e64 v6, |v4|, s24
; %bb.1100:
	s_or_b64 exec, exec, s[22:23]
                                        ; implicit-def: $vgpr7
.LBB240_1101:
	s_andn2_saveexec_b64 s[20:21], s[20:21]
; %bb.1102:
	s_mov_b32 s22, 0x7f800000
	v_mov_b32_e32 v6, 0x7e
	v_mov_b32_e32 v8, 0x7f
	v_cmp_lt_u32_e32 vcc, s22, v7
	s_nop 1
	v_cndmask_b32_e32 v6, v6, v8, vcc
; %bb.1103:
	s_or_b64 exec, exec, s[20:21]
	v_lshrrev_b32_e32 v4, 24, v4
	s_movk_i32 s20, 0x80
	v_and_or_b32 v4, v4, s20, v6
	global_store_byte v[0:1], v4, off
.LBB240_1104:
	s_mov_b64 s[20:21], 0
.LBB240_1105:
	s_andn2_b64 vcc, exec, s[20:21]
	s_cbranch_vccnz .LBB240_1115
; %bb.1106:
	v_cvt_f32_f16_e32 v4, v5
	s_mov_b32 s20, 0x47800000
                                        ; implicit-def: $vgpr6
	v_and_b32_e32 v7, 0x7fffffff, v4
	v_cmp_gt_u32_e32 vcc, s20, v7
	s_and_saveexec_b64 s[20:21], vcc
	s_xor_b64 s[20:21], exec, s[20:21]
	s_cbranch_execz .LBB240_1112
; %bb.1107:
	s_mov_b32 s22, 0x387fffff
	v_cmp_lt_u32_e32 vcc, s22, v7
                                        ; implicit-def: $vgpr6
	s_and_saveexec_b64 s[22:23], vcc
	s_xor_b64 s[22:23], exec, s[22:23]
; %bb.1108:
	v_bfe_u32 v6, v4, 21, 1
	s_mov_b32 s24, 0x80fffff
	v_add3_u32 v6, v4, v6, s24
	v_lshrrev_b32_e32 v6, 21, v6
; %bb.1109:
	s_andn2_saveexec_b64 s[22:23], s[22:23]
; %bb.1110:
	s_mov_b32 s24, 0x43000000
	v_add_f32_e64 v6, |v4|, s24
; %bb.1111:
	s_or_b64 exec, exec, s[22:23]
                                        ; implicit-def: $vgpr7
.LBB240_1112:
	s_andn2_saveexec_b64 s[20:21], s[20:21]
; %bb.1113:
	s_mov_b32 s22, 0x7f800000
	v_mov_b32_e32 v6, 0x7c
	v_mov_b32_e32 v8, 0x7f
	v_cmp_lt_u32_e32 vcc, s22, v7
	s_nop 1
	v_cndmask_b32_e32 v6, v6, v8, vcc
; %bb.1114:
	s_or_b64 exec, exec, s[20:21]
	v_lshrrev_b32_e32 v4, 24, v4
	s_movk_i32 s20, 0x80
	v_and_or_b32 v4, v4, s20, v6
	global_store_byte v[0:1], v4, off
.LBB240_1115:
	s_mov_b64 s[20:21], 0
.LBB240_1116:
	s_andn2_b64 vcc, exec, s[20:21]
	s_mov_b64 s[20:21], 0
	s_cbranch_vccnz .LBB240_1124
; %bb.1117:
	s_cmp_gt_i32 s27, 14
	s_mov_b64 s[22:23], -1
	s_cbranch_scc0 .LBB240_1121
; %bb.1118:
	s_cmp_eq_u32 s27, 15
	s_mov_b64 s[0:1], -1
	s_cbranch_scc0 .LBB240_1120
; %bb.1119:
	v_cvt_f32_f16_e32 v4, v5
	s_movk_i32 s0, 0x7fff
	v_cmp_o_f16_e32 vcc, v5, v5
	v_mov_b32_e32 v6, 0x7fc0
	v_bfe_u32 v7, v4, 16, 1
	v_add3_u32 v4, v4, v7, s0
	v_cndmask_b32_sdwa v4, v6, v4, vcc dst_sel:DWORD dst_unused:UNUSED_PAD src0_sel:DWORD src1_sel:WORD_1
	global_store_short v[0:1], v4, off
	s_mov_b64 s[0:1], 0
.LBB240_1120:
	s_mov_b64 s[22:23], 0
.LBB240_1121:
	s_and_b64 vcc, exec, s[22:23]
	s_cbranch_vccz .LBB240_1124
; %bb.1122:
	s_cmp_lg_u32 s27, 11
	s_cselect_b64 s[22:23], -1, 0
	s_andn2_b64 s[0:1], s[0:1], exec
	s_and_b64 s[22:23], s[22:23], exec
	s_mov_b64 s[20:21], -1
	s_or_b64 s[0:1], s[0:1], s[22:23]
	s_branch .LBB240_1124
.LBB240_1123:
	s_mov_b64 s[20:21], 0
.LBB240_1124:
	s_andn2_b64 s[14:15], s[14:15], exec
	s_and_b64 s[0:1], s[0:1], exec
	v_or_b32_e32 v7, v2, v5
	s_and_b64 s[2:3], s[2:3], exec
	s_and_b64 s[20:21], s[20:21], exec
	s_or_b64 s[14:15], s[14:15], s[0:1]
	s_or_b64 exec, exec, s[16:17]
	s_and_saveexec_b64 s[0:1], s[14:15]
	s_cbranch_execz .LBB240_1028
.LBB240_1125:
	s_or_b64 s[18:19], s[18:19], exec
	s_andn2_b64 s[20:21], s[20:21], exec
	s_trap 2
	s_or_b64 exec, exec, s[0:1]
	s_and_saveexec_b64 s[0:1], s[20:21]
	s_xor_b64 s[0:1], exec, s[0:1]
	s_cbranch_execnz .LBB240_1029
.LBB240_1126:
	s_or_b64 exec, exec, s[0:1]
	s_and_saveexec_b64 s[0:1], s[2:3]
	s_xor_b64 s[0:1], exec, s[0:1]
	s_cbranch_execz .LBB240_1164
.LBB240_1127:
	s_sext_i32_i16 s14, s26
	s_cmp_lt_i32 s14, 5
	s_mov_b64 s[2:3], -1
	s_cbranch_scc1 .LBB240_1148
; %bb.1128:
	s_cmp_lt_i32 s14, 8
	s_cbranch_scc1 .LBB240_1138
; %bb.1129:
	s_cmp_lt_i32 s14, 9
	s_cbranch_scc1 .LBB240_1135
; %bb.1130:
	v_cvt_f32_f16_e32 v3, v3
	s_cmp_gt_i32 s14, 9
	s_cbranch_scc0 .LBB240_1132
; %bb.1131:
	s_waitcnt vmcnt(0)
	v_cvt_f32_f16_e32 v2, v5
	v_cvt_f64_f32_e32 v[10:11], v3
	s_mov_b64 s[2:3], 0
	v_cvt_f64_f32_e32 v[8:9], v2
	global_store_dwordx4 v[0:1], v[8:11], off
.LBB240_1132:
	s_andn2_b64 vcc, exec, s[2:3]
	s_cbranch_vccnz .LBB240_1134
; %bb.1133:
	s_waitcnt vmcnt(0)
	v_cvt_f32_f16_e32 v2, v5
	global_store_dwordx2 v[0:1], v[2:3], off
.LBB240_1134:
	s_mov_b64 s[2:3], 0
.LBB240_1135:
	s_andn2_b64 vcc, exec, s[2:3]
	s_cbranch_vccnz .LBB240_1137
; %bb.1136:
	global_store_dword v[0:1], v7, off
.LBB240_1137:
	s_mov_b64 s[2:3], 0
.LBB240_1138:
	s_andn2_b64 vcc, exec, s[2:3]
	s_cbranch_vccnz .LBB240_1147
; %bb.1139:
	s_sext_i32_i16 s14, s26
	s_cmp_lt_i32 s14, 6
	s_mov_b64 s[2:3], -1
	s_cbranch_scc1 .LBB240_1145
; %bb.1140:
	s_cmp_gt_i32 s14, 6
	s_cbranch_scc0 .LBB240_1142
; %bb.1141:
	s_waitcnt vmcnt(0)
	v_cvt_f32_f16_e32 v2, v5
	s_mov_b64 s[2:3], 0
	v_cvt_f64_f32_e32 v[2:3], v2
	global_store_dwordx2 v[0:1], v[2:3], off
.LBB240_1142:
	s_andn2_b64 vcc, exec, s[2:3]
	s_cbranch_vccnz .LBB240_1144
; %bb.1143:
	s_waitcnt vmcnt(0)
	v_cvt_f32_f16_e32 v2, v5
	global_store_dword v[0:1], v2, off
.LBB240_1144:
	s_mov_b64 s[2:3], 0
.LBB240_1145:
	s_andn2_b64 vcc, exec, s[2:3]
	s_cbranch_vccnz .LBB240_1147
; %bb.1146:
	global_store_short v[0:1], v5, off
.LBB240_1147:
	s_mov_b64 s[2:3], 0
.LBB240_1148:
	s_andn2_b64 vcc, exec, s[2:3]
	s_cbranch_vccnz .LBB240_1164
; %bb.1149:
	s_sext_i32_i16 s14, s26
	s_cmp_lt_i32 s14, 2
	s_mov_b64 s[2:3], -1
	s_cbranch_scc1 .LBB240_1159
; %bb.1150:
	s_cmp_lt_i32 s14, 3
	s_cbranch_scc1 .LBB240_1156
; %bb.1151:
	s_cmp_gt_i32 s14, 3
	s_cbranch_scc0 .LBB240_1153
; %bb.1152:
	s_waitcnt vmcnt(0)
	v_cvt_f32_f16_e32 v2, v5
	s_mov_b64 s[2:3], 0
	v_cvt_i32_f32_e32 v2, v2
	v_ashrrev_i32_e32 v3, 31, v2
	global_store_dwordx2 v[0:1], v[2:3], off
.LBB240_1153:
	s_andn2_b64 vcc, exec, s[2:3]
	s_cbranch_vccnz .LBB240_1155
; %bb.1154:
	s_waitcnt vmcnt(0)
	v_cvt_f32_f16_e32 v2, v5
	v_cvt_i32_f32_e32 v2, v2
	global_store_dword v[0:1], v2, off
.LBB240_1155:
	s_mov_b64 s[2:3], 0
.LBB240_1156:
	s_andn2_b64 vcc, exec, s[2:3]
	s_cbranch_vccnz .LBB240_1158
; %bb.1157:
	s_waitcnt vmcnt(0)
	v_cvt_i16_f16_e32 v2, v5
	global_store_short v[0:1], v2, off
.LBB240_1158:
	s_mov_b64 s[2:3], 0
.LBB240_1159:
	s_andn2_b64 vcc, exec, s[2:3]
	s_cbranch_vccnz .LBB240_1164
; %bb.1160:
	s_sext_i32_i16 s2, s26
	s_cmp_gt_i32 s2, 0
	s_mov_b64 s[2:3], -1
	s_cbranch_scc0 .LBB240_1162
; %bb.1161:
	s_waitcnt vmcnt(0)
	v_cvt_i16_f16_e32 v2, v5
	s_mov_b64 s[2:3], 0
	global_store_byte v[0:1], v2, off
.LBB240_1162:
	s_andn2_b64 vcc, exec, s[2:3]
	s_cbranch_vccnz .LBB240_1164
; %bb.1163:
	s_waitcnt vmcnt(0)
	v_cvt_f32_f16_e32 v2, v5
	v_cvt_i32_f32_e32 v2, v2
	global_store_byte v[0:1], v2, off
.LBB240_1164:
	s_or_b64 exec, exec, s[0:1]
	s_and_b64 s[14:15], s[18:19], exec
                                        ; implicit-def: $vgpr4
.LBB240_1165:
	s_or_saveexec_b64 s[12:13], s[12:13]
	s_mov_b64 s[0:1], 0
                                        ; implicit-def: $sgpr20
                                        ; implicit-def: $vgpr0_vgpr1
                                        ; implicit-def: $vgpr6
                                        ; implicit-def: $vgpr2
                                        ; implicit-def: $vgpr5
	s_xor_b64 exec, exec, s[12:13]
	s_cbranch_execz .LBB240_2254
; %bb.1166:
	v_mul_lo_u32 v0, s9, v4
	v_ashrrev_i32_e32 v1, 31, v0
	s_and_b32 s28, 0xffff, s44
	s_cmp_lt_i32 s28, 11
	s_waitcnt vmcnt(0)
	v_lshl_add_u64 v[2:3], s[6:7], 0, v[0:1]
	s_cbranch_scc1 .LBB240_1173
; %bb.1167:
	s_cmp_gt_i32 s28, 25
	s_mov_b64 s[2:3], 0
	s_cbranch_scc0 .LBB240_1175
; %bb.1168:
	s_cmp_gt_i32 s28, 28
	s_cbranch_scc0 .LBB240_1176
; %bb.1169:
	s_cmp_gt_i32 s28, 43
	;; [unrolled: 3-line block ×3, first 2 shown]
	s_cbranch_scc0 .LBB240_1178
; %bb.1171:
	s_cmp_eq_u32 s28, 46
	s_mov_b64 s[16:17], 0
	s_cbranch_scc0 .LBB240_1181
; %bb.1172:
	global_load_dword v1, v[2:3], off
	s_mov_b64 s[10:11], -1
	s_waitcnt vmcnt(0)
	v_and_b32_e32 v5, 0xffff0000, v1
	v_lshlrev_b32_e32 v1, 16, v1
	v_cvt_f16_f32_e32 v1, v1
	v_cvt_f16_f32_e32 v6, v5
	s_branch .LBB240_1183
.LBB240_1173:
                                        ; implicit-def: $vgpr6
                                        ; implicit-def: $vgpr1
	s_mov_b64 s[16:17], s[14:15]
	s_cbranch_execnz .LBB240_1249
.LBB240_1174:
	s_andn2_b64 vcc, exec, s[10:11]
	s_cbranch_vccz .LBB240_1296
	s_branch .LBB240_2252
.LBB240_1175:
                                        ; implicit-def: $vgpr6
                                        ; implicit-def: $vgpr1
	s_cbranch_execnz .LBB240_1213
	s_branch .LBB240_1245
.LBB240_1176:
                                        ; implicit-def: $vgpr6
                                        ; implicit-def: $vgpr1
	s_cbranch_execnz .LBB240_1195
	s_branch .LBB240_1212
.LBB240_1177:
	s_mov_b64 s[16:17], -1
                                        ; implicit-def: $vgpr6
                                        ; implicit-def: $vgpr1
	s_branch .LBB240_1189
.LBB240_1178:
	s_mov_b64 s[16:17], -1
	s_branch .LBB240_1182
.LBB240_1179:
	s_andn2_saveexec_b64 s[22:23], s[22:23]
	s_cbranch_execz .LBB240_1078
.LBB240_1180:
	s_mov_b32 s24, 0x46000000
	v_add_f32_e64 v6, |v4|, s24
	v_and_b32_e32 v6, 0xff, v6
	v_cmp_ne_u32_e32 vcc, 0, v6
	s_andn2_b64 s[20:21], s[20:21], exec
	s_and_b64 s[24:25], vcc, exec
	s_or_b64 s[20:21], s[20:21], s[24:25]
	s_or_b64 exec, exec, s[22:23]
	v_mov_b32_e32 v7, 0
	s_and_saveexec_b64 s[22:23], s[20:21]
	s_cbranch_execnz .LBB240_1079
	s_branch .LBB240_1080
.LBB240_1181:
	s_mov_b64 s[0:1], -1
.LBB240_1182:
                                        ; implicit-def: $vgpr6
                                        ; implicit-def: $vgpr1
.LBB240_1183:
	s_and_b64 vcc, exec, s[16:17]
	s_cbranch_vccz .LBB240_1188
; %bb.1184:
	s_cmp_eq_u32 s28, 44
	s_cbranch_scc0 .LBB240_1186
; %bb.1185:
	global_load_ubyte v1, v[2:3], off
	s_movk_i32 s10, 0xff
	v_mov_b32_e32 v6, 0x7e00
	s_mov_b64 s[0:1], 0
	s_waitcnt vmcnt(0)
	v_lshlrev_b32_e32 v5, 23, v1
	v_cvt_f16_f32_e32 v5, v5
	v_cmp_ne_u32_e32 vcc, s10, v1
	s_mov_b64 s[10:11], -1
	s_nop 0
	v_cndmask_b32_e32 v5, v6, v5, vcc
	v_cmp_ne_u32_e32 vcc, 0, v1
	s_nop 1
	v_cndmask_b32_e32 v1, 0, v5, vcc
	s_branch .LBB240_1187
.LBB240_1186:
	s_mov_b64 s[0:1], -1
                                        ; implicit-def: $vgpr1
.LBB240_1187:
	v_mov_b32_e32 v6, 0
.LBB240_1188:
	s_mov_b64 s[16:17], 0
.LBB240_1189:
	s_and_b64 vcc, exec, s[16:17]
	s_cbranch_vccz .LBB240_1194
; %bb.1190:
	s_cmp_eq_u32 s28, 29
	s_cbranch_scc0 .LBB240_1192
; %bb.1191:
	global_load_dwordx2 v[6:7], v[2:3], off
	s_mov_b64 s[0:1], 0
	s_mov_b64 s[10:11], -1
	s_waitcnt vmcnt(0)
	v_ffbh_u32_e32 v1, v7
	v_min_u32_e32 v1, 32, v1
	v_lshlrev_b64 v[6:7], v1, v[6:7]
	v_min_u32_e32 v5, 1, v6
	v_or_b32_e32 v5, v7, v5
	v_cvt_f32_u32_e32 v5, v5
	v_sub_u32_e32 v1, 32, v1
	v_ldexp_f32 v1, v5, v1
	v_cvt_f16_f32_e32 v1, v1
	s_branch .LBB240_1193
.LBB240_1192:
	s_mov_b64 s[0:1], -1
                                        ; implicit-def: $vgpr1
.LBB240_1193:
	v_mov_b32_e32 v6, 0
.LBB240_1194:
	s_branch .LBB240_1212
.LBB240_1195:
	s_cmp_lt_i32 s28, 27
	s_cbranch_scc1 .LBB240_1198
; %bb.1196:
	s_cmp_gt_i32 s28, 27
	s_cbranch_scc0 .LBB240_1199
; %bb.1197:
	global_load_dword v1, v[2:3], off
	s_mov_b64 s[10:11], 0
	s_waitcnt vmcnt(0)
	v_cvt_f32_u32_e32 v1, v1
	v_cvt_f16_f32_e32 v1, v1
	s_branch .LBB240_1200
.LBB240_1198:
	s_mov_b64 s[10:11], -1
                                        ; implicit-def: $vgpr1
	s_branch .LBB240_1203
.LBB240_1199:
	s_mov_b64 s[10:11], -1
                                        ; implicit-def: $vgpr1
.LBB240_1200:
	s_andn2_b64 vcc, exec, s[10:11]
	s_cbranch_vccnz .LBB240_1202
; %bb.1201:
	global_load_ushort v1, v[2:3], off
	s_waitcnt vmcnt(0)
	v_cvt_f16_u16_e32 v1, v1
.LBB240_1202:
	s_mov_b64 s[10:11], 0
.LBB240_1203:
	s_andn2_b64 vcc, exec, s[10:11]
	s_cbranch_vccnz .LBB240_1211
; %bb.1204:
	global_load_ubyte v5, v[2:3], off
	s_movk_i32 s10, 0x7f
	s_waitcnt vmcnt(0)
	v_cmp_lt_i16_e32 vcc, s10, v5
	s_mov_b64 s[10:11], 0
	s_and_saveexec_b64 s[16:17], vcc
	s_xor_b64 s[16:17], exec, s[16:17]
	s_cbranch_execz .LBB240_1224
; %bb.1205:
	s_movk_i32 s10, 0x80
	v_cmp_eq_u16_e32 vcc, s10, v5
	s_mov_b64 s[10:11], -1
	s_and_saveexec_b64 s[18:19], vcc
; %bb.1206:
	s_xor_b64 s[10:11], exec, -1
; %bb.1207:
	s_or_b64 exec, exec, s[18:19]
	s_and_b64 s[10:11], s[10:11], exec
	s_or_saveexec_b64 s[16:17], s[16:17]
	v_mov_b32_e32 v1, 0x7e00
	s_xor_b64 exec, exec, s[16:17]
	s_cbranch_execnz .LBB240_1225
.LBB240_1208:
	s_or_b64 exec, exec, s[16:17]
	s_and_saveexec_b64 s[16:17], s[10:11]
	s_cbranch_execz .LBB240_1210
.LBB240_1209:
	v_lshlrev_b32_e32 v1, 24, v5
	v_and_b32_e32 v5, 0xffff, v5
	v_and_b32_e32 v6, 7, v5
	v_ffbh_u32_e32 v8, v6
	v_min_u32_e32 v8, 32, v8
	v_subrev_u32_e32 v9, 28, v8
	v_bfe_u32 v7, v5, 3, 4
	v_lshlrev_b32_e32 v5, v9, v5
	v_sub_u32_e32 v8, 29, v8
	v_and_b32_e32 v5, 7, v5
	v_cmp_eq_u32_e32 vcc, 0, v7
	v_and_b32_e32 v1, 0x80000000, v1
	s_nop 0
	v_cndmask_b32_e32 v7, v7, v8, vcc
	v_cndmask_b32_e32 v5, v6, v5, vcc
	v_mov_b32_e32 v6, 0x3b800000
	v_lshlrev_b32_e32 v5, 20, v5
	v_lshl_add_u32 v6, v7, 23, v6
	v_or3_b32 v1, v1, v6, v5
	v_cvt_f16_f32_e32 v1, v1
.LBB240_1210:
	s_or_b64 exec, exec, s[16:17]
.LBB240_1211:
	s_mov_b64 s[10:11], -1
	v_mov_b32_e32 v6, 0
.LBB240_1212:
	s_branch .LBB240_1245
.LBB240_1213:
	s_cmp_gt_i32 s28, 22
	s_cbranch_scc0 .LBB240_1223
; %bb.1214:
	s_cmp_lt_i32 s28, 24
	s_cbranch_scc1 .LBB240_1226
; %bb.1215:
	s_cmp_gt_i32 s28, 24
	s_cbranch_scc0 .LBB240_1227
; %bb.1216:
	global_load_ubyte v5, v[2:3], off
	s_movk_i32 s2, 0x7f
	s_waitcnt vmcnt(0)
	v_cmp_lt_i16_e32 vcc, s2, v5
	s_mov_b64 s[2:3], 0
	s_and_saveexec_b64 s[10:11], vcc
	s_xor_b64 s[10:11], exec, s[10:11]
	s_cbranch_execz .LBB240_1238
; %bb.1217:
	s_movk_i32 s2, 0x80
	v_cmp_eq_u16_e32 vcc, s2, v5
	s_mov_b64 s[2:3], -1
	s_and_saveexec_b64 s[16:17], vcc
; %bb.1218:
	s_xor_b64 s[2:3], exec, -1
; %bb.1219:
	s_or_b64 exec, exec, s[16:17]
	s_and_b64 s[2:3], s[2:3], exec
	s_or_saveexec_b64 s[10:11], s[10:11]
	v_mov_b32_e32 v1, 0x7e00
	s_xor_b64 exec, exec, s[10:11]
	s_cbranch_execnz .LBB240_1239
.LBB240_1220:
	s_or_b64 exec, exec, s[10:11]
	s_and_saveexec_b64 s[10:11], s[2:3]
	s_cbranch_execz .LBB240_1222
.LBB240_1221:
	v_lshlrev_b32_e32 v1, 24, v5
	v_and_b32_e32 v5, 0xffff, v5
	v_and_b32_e32 v6, 3, v5
	v_ffbh_u32_e32 v8, v6
	v_min_u32_e32 v8, 32, v8
	v_subrev_u32_e32 v9, 29, v8
	v_bfe_u32 v7, v5, 2, 5
	v_lshlrev_b32_e32 v5, v9, v5
	v_sub_u32_e32 v8, 30, v8
	v_and_b32_e32 v5, 3, v5
	v_cmp_eq_u32_e32 vcc, 0, v7
	v_and_b32_e32 v1, 0x80000000, v1
	s_nop 0
	v_cndmask_b32_e32 v7, v7, v8, vcc
	v_cndmask_b32_e32 v5, v6, v5, vcc
	v_mov_b32_e32 v6, 0x37800000
	v_lshlrev_b32_e32 v5, 21, v5
	v_lshl_add_u32 v6, v7, 23, v6
	v_or3_b32 v1, v1, v6, v5
	v_cvt_f16_f32_e32 v1, v1
.LBB240_1222:
	s_or_b64 exec, exec, s[10:11]
	s_mov_b64 s[2:3], 0
	s_branch .LBB240_1228
.LBB240_1223:
                                        ; implicit-def: $vgpr1
	s_mov_b64 s[2:3], 0
	s_branch .LBB240_1234
.LBB240_1224:
	s_or_saveexec_b64 s[16:17], s[16:17]
	v_mov_b32_e32 v1, 0x7e00
	s_xor_b64 exec, exec, s[16:17]
	s_cbranch_execz .LBB240_1208
.LBB240_1225:
	v_cmp_ne_u16_e32 vcc, 0, v5
	s_andn2_b64 s[10:11], s[10:11], exec
	s_and_b64 s[18:19], vcc, exec
	s_or_b64 s[10:11], s[10:11], s[18:19]
	v_mov_b32_e32 v1, v5
	s_or_b64 exec, exec, s[16:17]
	s_and_saveexec_b64 s[16:17], s[10:11]
	s_cbranch_execnz .LBB240_1209
	s_branch .LBB240_1210
.LBB240_1226:
	s_mov_b64 s[2:3], -1
                                        ; implicit-def: $vgpr1
	s_branch .LBB240_1231
.LBB240_1227:
	s_mov_b64 s[2:3], -1
                                        ; implicit-def: $vgpr1
.LBB240_1228:
	s_and_b64 vcc, exec, s[2:3]
	s_cbranch_vccz .LBB240_1230
; %bb.1229:
	global_load_ubyte v1, v[2:3], off
	s_mov_b32 s2, 0x7f800000
	s_waitcnt vmcnt(0)
	v_lshlrev_b32_e32 v1, 24, v1
	v_and_b32_e32 v5, 0x7f000000, v1
	v_ffbh_u32_e32 v6, v5
	v_min_u32_e32 v6, 32, v6
	v_sub_u32_e64 v6, v6, 4 clamp
	v_lshlrev_b32_e32 v8, v6, v5
	v_lshlrev_b32_e32 v6, 23, v6
	v_lshrrev_b32_e32 v8, 4, v8
	v_add_u32_e32 v7, 0x1000000, v5
	v_sub_u32_e32 v6, v8, v6
	v_ashrrev_i32_e32 v7, 8, v7
	v_add_u32_e32 v6, 0x3c000000, v6
	v_and_or_b32 v6, v7, s2, v6
	v_cmp_ne_u32_e32 vcc, 0, v5
	s_brev_b32 s2, 1
	s_nop 0
	v_cndmask_b32_e32 v5, 0, v6, vcc
	v_and_or_b32 v1, v1, s2, v5
	v_cvt_f16_f32_e32 v1, v1
.LBB240_1230:
	s_mov_b64 s[2:3], 0
.LBB240_1231:
	s_andn2_b64 vcc, exec, s[2:3]
	s_cbranch_vccnz .LBB240_1233
; %bb.1232:
	global_load_ubyte v1, v[2:3], off
	s_movk_i32 s2, 0x7f00
	s_brev_b32 s3, 16
	s_waitcnt vmcnt(0)
	v_lshlrev_b16_e32 v5, 8, v1
	v_lshlrev_b32_e32 v1, 25, v1
	v_lshrrev_b32_e32 v6, 4, v1
	v_and_or_b32 v7, v5, s2, 0.5
	v_or_b32_e32 v6, 0x70000000, v6
	v_add_f32_e32 v7, -0.5, v7
	v_mul_f32_e32 v6, 0x7800000, v6
	v_cmp_gt_u32_e32 vcc, s3, v1
	v_bfe_i32 v5, v5, 0, 16
	s_brev_b32 s2, 1
	v_cndmask_b32_e32 v1, v6, v7, vcc
	v_and_or_b32 v1, v5, s2, v1
	v_cvt_f16_f32_e32 v1, v1
.LBB240_1233:
	s_mov_b64 s[10:11], -1
	s_mov_b64 s[2:3], 0
	s_cbranch_execnz .LBB240_1244
.LBB240_1234:
	s_cmp_gt_i32 s28, 14
	s_cbranch_scc0 .LBB240_1237
; %bb.1235:
	s_cmp_eq_u32 s28, 15
	s_cbranch_scc0 .LBB240_1240
; %bb.1236:
	global_load_ushort v1, v[2:3], off
	s_mov_b64 s[0:1], 0
	s_mov_b64 s[10:11], -1
	s_waitcnt vmcnt(0)
	v_lshlrev_b32_e32 v1, 16, v1
	v_cvt_f16_f32_e32 v1, v1
	s_branch .LBB240_1241
.LBB240_1237:
	s_mov_b64 s[16:17], -1
                                        ; implicit-def: $vgpr1
	s_branch .LBB240_1242
.LBB240_1238:
	s_or_saveexec_b64 s[10:11], s[10:11]
	v_mov_b32_e32 v1, 0x7e00
	s_xor_b64 exec, exec, s[10:11]
	s_cbranch_execz .LBB240_1220
.LBB240_1239:
	v_cmp_ne_u16_e32 vcc, 0, v5
	s_andn2_b64 s[2:3], s[2:3], exec
	s_and_b64 s[16:17], vcc, exec
	s_or_b64 s[2:3], s[2:3], s[16:17]
	v_mov_b32_e32 v1, v5
	s_or_b64 exec, exec, s[10:11]
	s_and_saveexec_b64 s[10:11], s[2:3]
	s_cbranch_execnz .LBB240_1221
	s_branch .LBB240_1222
.LBB240_1240:
	s_mov_b64 s[0:1], -1
                                        ; implicit-def: $vgpr1
.LBB240_1241:
	s_mov_b64 s[16:17], 0
.LBB240_1242:
	s_and_b64 vcc, exec, s[16:17]
	s_cbranch_vccz .LBB240_1244
; %bb.1243:
	s_cmp_lg_u32 s28, 11
	s_mov_b64 s[2:3], -1
	s_cselect_b64 s[0:1], -1, 0
.LBB240_1244:
	v_mov_b32_e32 v6, 0
.LBB240_1245:
	s_and_b64 vcc, exec, s[0:1]
	s_mov_b64 s[16:17], s[14:15]
	s_cbranch_vccnz .LBB240_1338
; %bb.1246:
	s_andn2_b64 vcc, exec, s[2:3]
	s_cbranch_vccnz .LBB240_1248
.LBB240_1247:
	global_load_ubyte v1, v[2:3], off
	v_mov_b32_e32 v5, 0x3c00
	v_mov_b32_e32 v6, 0
	s_mov_b64 s[10:11], -1
	s_waitcnt vmcnt(0)
	v_cmp_ne_u16_e32 vcc, 0, v1
	s_nop 1
	v_cndmask_b32_e32 v1, 0, v5, vcc
.LBB240_1248:
	s_branch .LBB240_1174
.LBB240_1249:
	s_cmp_lt_i32 s28, 5
	s_cbranch_scc1 .LBB240_1254
; %bb.1250:
	s_cmp_lt_i32 s28, 8
	s_cbranch_scc1 .LBB240_1256
; %bb.1251:
	s_cmp_lt_i32 s28, 9
	s_cbranch_scc1 .LBB240_1257
; %bb.1252:
	s_cmp_gt_i32 s28, 9
	s_cbranch_scc0 .LBB240_1258
; %bb.1253:
	global_load_dwordx4 v[6:9], v[2:3], off
	s_movk_i32 s0, 0x1ff
	s_movk_i32 s1, 0xffe
	v_mov_b32_e32 v1, 0x7c00
	v_mov_b32_e32 v5, 0x7e00
	s_movk_i32 s2, 0x40f
	s_mov_b32 s3, 0x8000
	s_waitcnt vmcnt(0)
	v_and_or_b32 v6, v7, s0, v6
	v_and_or_b32 v8, v9, s0, v8
	v_cmp_ne_u32_e32 vcc, 0, v6
	v_lshrrev_b32_e32 v10, 8, v7
	v_bfe_u32 v11, v7, 20, 11
	v_cndmask_b32_e64 v6, 0, 1, vcc
	v_cmp_ne_u32_e32 vcc, 0, v8
	v_lshrrev_b32_e32 v12, 8, v9
	v_bfe_u32 v13, v9, 20, 11
	v_sub_u32_e32 v14, 0x3f1, v11
	v_cndmask_b32_e64 v8, 0, 1, vcc
	v_and_or_b32 v6, v10, s1, v6
	v_add_u32_e32 v11, 0xfffffc10, v11
	v_sub_u32_e32 v15, 0x3f1, v13
	v_add_u32_e32 v13, 0xfffffc10, v13
	v_med3_i32 v10, v14, 0, 13
	v_and_or_b32 v8, v12, s1, v8
	v_or_b32_e32 v14, 0x1000, v6
	v_cmp_ne_u32_e32 vcc, 0, v6
	v_med3_i32 v12, v15, 0, 13
	v_lshl_or_b32 v15, v11, 12, v6
	v_cndmask_b32_e32 v6, v1, v5, vcc
	v_or_b32_e32 v16, 0x1000, v8
	v_lshl_or_b32 v17, v13, 12, v8
	v_cmp_ne_u32_e32 vcc, 0, v8
	v_lshrrev_b32_e32 v8, v10, v14
	v_lshrrev_b32_e32 v18, v12, v16
	v_lshlrev_b32_e32 v10, v10, v8
	v_cndmask_b32_e32 v5, v1, v5, vcc
	v_lshlrev_b32_e32 v12, v12, v18
	v_cmp_ne_u32_e32 vcc, v10, v14
	v_lshrrev_b32_e32 v7, 16, v7
	v_lshrrev_b32_e32 v9, 16, v9
	v_cndmask_b32_e64 v10, 0, 1, vcc
	v_cmp_ne_u32_e32 vcc, v12, v16
	v_or_b32_e32 v8, v8, v10
	s_mov_b64 s[0:1], 0
	v_cndmask_b32_e64 v12, 0, 1, vcc
	v_cmp_gt_i32_e32 vcc, 1, v11
	v_or_b32_e32 v10, v18, v12
	s_nop 0
	v_cndmask_b32_e32 v8, v15, v8, vcc
	v_cmp_gt_i32_e32 vcc, 1, v13
	v_and_b32_e32 v12, 7, v8
	v_lshrrev_b32_e32 v8, 2, v8
	v_cndmask_b32_e32 v10, v17, v10, vcc
	v_cmp_lt_i32_e32 vcc, 5, v12
	v_and_b32_e32 v14, 7, v10
	v_lshrrev_b32_e32 v10, 2, v10
	v_cndmask_b32_e64 v15, 0, 1, vcc
	v_cmp_eq_u32_e32 vcc, 3, v12
	s_nop 1
	v_cndmask_b32_e64 v12, 0, 1, vcc
	v_cmp_lt_i32_e32 vcc, 5, v14
	v_or_b32_e32 v12, v12, v15
	v_add_u32_e32 v8, v8, v12
	v_cndmask_b32_e64 v16, 0, 1, vcc
	v_cmp_eq_u32_e32 vcc, 3, v14
	s_nop 1
	v_cndmask_b32_e64 v14, 0, 1, vcc
	v_or_b32_e32 v14, v14, v16
	v_cmp_gt_i32_e32 vcc, 31, v11
	v_add_u32_e32 v10, v10, v14
	s_nop 0
	v_cndmask_b32_e32 v8, v1, v8, vcc
	v_cmp_gt_i32_e32 vcc, 31, v13
	s_nop 1
	v_cndmask_b32_e32 v1, v1, v10, vcc
	v_cmp_eq_u32_e32 vcc, s2, v11
	s_nop 1
	v_cndmask_b32_e32 v6, v8, v6, vcc
	v_cmp_eq_u32_e32 vcc, s2, v13
	s_nop 1
	v_cndmask_b32_e32 v5, v1, v5, vcc
	v_and_or_b32 v1, v7, s3, v6
	v_and_or_b32 v6, v9, s3, v5
	s_branch .LBB240_1259
.LBB240_1254:
                                        ; implicit-def: $vgpr6
                                        ; implicit-def: $vgpr1
	s_branch .LBB240_1277
.LBB240_1255:
	s_branch .LBB240_1296
.LBB240_1256:
                                        ; implicit-def: $vgpr6
                                        ; implicit-def: $vgpr1
	s_branch .LBB240_1265
.LBB240_1257:
	s_mov_b64 s[0:1], -1
                                        ; implicit-def: $vgpr6
                                        ; implicit-def: $vgpr1
	s_branch .LBB240_1262
.LBB240_1258:
	s_mov_b64 s[0:1], -1
                                        ; implicit-def: $vgpr6
                                        ; implicit-def: $vgpr1
.LBB240_1259:
	s_andn2_b64 vcc, exec, s[0:1]
	s_cbranch_vccnz .LBB240_1261
; %bb.1260:
	global_load_dwordx2 v[6:7], v[2:3], off
	s_waitcnt vmcnt(0)
	v_cvt_f16_f32_e32 v1, v6
	v_cvt_f16_f32_e32 v6, v7
.LBB240_1261:
	s_mov_b64 s[0:1], 0
.LBB240_1262:
	s_andn2_b64 vcc, exec, s[0:1]
	s_cbranch_vccnz .LBB240_1264
; %bb.1263:
	global_load_dword v1, v[2:3], off
	s_waitcnt vmcnt(0)
	v_lshrrev_b32_e32 v6, 16, v1
.LBB240_1264:
	s_cbranch_execnz .LBB240_1276
.LBB240_1265:
	s_cmp_lt_i32 s28, 6
	s_cbranch_scc1 .LBB240_1268
; %bb.1266:
	s_cmp_gt_i32 s28, 6
	s_cbranch_scc0 .LBB240_1269
; %bb.1267:
	global_load_dwordx2 v[6:7], v[2:3], off
	s_movk_i32 s0, 0x1ff
	s_movk_i32 s1, 0xffe
	v_mov_b32_e32 v1, 0x7c00
	v_mov_b32_e32 v5, 0x7e00
	s_movk_i32 s2, 0x40f
	s_mov_b32 s3, 0x8000
	s_waitcnt vmcnt(0)
	v_and_or_b32 v6, v7, s0, v6
	v_cmp_ne_u32_e32 vcc, 0, v6
	v_lshrrev_b32_e32 v8, 8, v7
	v_bfe_u32 v9, v7, 20, 11
	v_cndmask_b32_e64 v6, 0, 1, vcc
	v_sub_u32_e32 v10, 0x3f1, v9
	v_and_or_b32 v6, v8, s1, v6
	v_add_u32_e32 v9, 0xfffffc10, v9
	v_med3_i32 v8, v10, 0, 13
	v_or_b32_e32 v10, 0x1000, v6
	v_lshl_or_b32 v11, v9, 12, v6
	v_cmp_ne_u32_e32 vcc, 0, v6
	v_lshrrev_b32_e32 v6, v8, v10
	v_lshlrev_b32_e32 v8, v8, v6
	v_cndmask_b32_e32 v5, v1, v5, vcc
	v_cmp_ne_u32_e32 vcc, v8, v10
	v_lshrrev_b32_e32 v7, 16, v7
	s_mov_b64 s[0:1], 0
	v_cndmask_b32_e64 v8, 0, 1, vcc
	v_or_b32_e32 v6, v6, v8
	v_cmp_gt_i32_e32 vcc, 1, v9
	s_nop 1
	v_cndmask_b32_e32 v6, v11, v6, vcc
	v_and_b32_e32 v8, 7, v6
	v_cmp_lt_i32_e32 vcc, 5, v8
	v_lshrrev_b32_e32 v6, 2, v6
	s_nop 0
	v_cndmask_b32_e64 v10, 0, 1, vcc
	v_cmp_eq_u32_e32 vcc, 3, v8
	s_nop 1
	v_cndmask_b32_e64 v8, 0, 1, vcc
	v_or_b32_e32 v8, v8, v10
	v_add_u32_e32 v6, v6, v8
	v_cmp_gt_i32_e32 vcc, 31, v9
	s_nop 1
	v_cndmask_b32_e32 v1, v1, v6, vcc
	v_cmp_eq_u32_e32 vcc, s2, v9
	s_nop 1
	v_cndmask_b32_e32 v1, v1, v5, vcc
	v_and_or_b32 v1, v7, s3, v1
	s_branch .LBB240_1270
.LBB240_1268:
	s_mov_b64 s[0:1], -1
                                        ; implicit-def: $vgpr1
	s_branch .LBB240_1273
.LBB240_1269:
	s_mov_b64 s[0:1], -1
                                        ; implicit-def: $vgpr1
.LBB240_1270:
	s_andn2_b64 vcc, exec, s[0:1]
	s_cbranch_vccnz .LBB240_1272
; %bb.1271:
	global_load_dword v1, v[2:3], off
	s_waitcnt vmcnt(0)
	v_cvt_f16_f32_e32 v1, v1
.LBB240_1272:
	s_mov_b64 s[0:1], 0
.LBB240_1273:
	s_andn2_b64 vcc, exec, s[0:1]
	s_cbranch_vccnz .LBB240_1275
; %bb.1274:
	global_load_ushort v1, v[2:3], off
.LBB240_1275:
	v_mov_b32_e32 v6, 0
.LBB240_1276:
	s_cbranch_execnz .LBB240_1255
.LBB240_1277:
	s_cmp_lt_i32 s28, 2
	s_cbranch_scc1 .LBB240_1281
; %bb.1278:
	s_cmp_lt_i32 s28, 3
	s_cbranch_scc1 .LBB240_1282
; %bb.1279:
	s_cmp_gt_i32 s28, 3
	s_cbranch_scc0 .LBB240_1283
; %bb.1280:
	global_load_dwordx2 v[6:7], v[2:3], off
	s_mov_b64 s[0:1], 0
	s_waitcnt vmcnt(0)
	v_xor_b32_e32 v5, v6, v7
	v_ffbh_i32_e32 v1, v7
	v_ashrrev_i32_e32 v5, 31, v5
	v_add_u32_e32 v1, -1, v1
	v_add_u32_e32 v5, 32, v5
	v_min_u32_e32 v1, v1, v5
	v_lshlrev_b64 v[6:7], v1, v[6:7]
	v_min_u32_e32 v5, 1, v6
	v_or_b32_e32 v5, v7, v5
	v_cvt_f32_i32_e32 v5, v5
	v_sub_u32_e32 v1, 32, v1
	v_ldexp_f32 v1, v5, v1
	v_cvt_f16_f32_e32 v1, v1
	s_branch .LBB240_1284
.LBB240_1281:
                                        ; implicit-def: $vgpr1
	s_branch .LBB240_1290
.LBB240_1282:
	s_mov_b64 s[0:1], -1
                                        ; implicit-def: $vgpr1
	s_branch .LBB240_1287
.LBB240_1283:
	s_mov_b64 s[0:1], -1
                                        ; implicit-def: $vgpr1
.LBB240_1284:
	s_andn2_b64 vcc, exec, s[0:1]
	s_cbranch_vccnz .LBB240_1286
; %bb.1285:
	global_load_dword v1, v[2:3], off
	s_waitcnt vmcnt(0)
	v_cvt_f32_i32_e32 v1, v1
	v_cvt_f16_f32_e32 v1, v1
.LBB240_1286:
	s_mov_b64 s[0:1], 0
.LBB240_1287:
	s_andn2_b64 vcc, exec, s[0:1]
	s_cbranch_vccnz .LBB240_1289
; %bb.1288:
	global_load_ushort v1, v[2:3], off
	s_waitcnt vmcnt(0)
	v_cvt_f16_i16_e32 v1, v1
.LBB240_1289:
	s_cbranch_execnz .LBB240_1295
.LBB240_1290:
	s_cmp_gt_i32 s28, 0
	s_cbranch_scc0 .LBB240_1292
; %bb.1291:
	global_load_sbyte v1, v[2:3], off
	s_mov_b64 s[0:1], 0
	s_waitcnt vmcnt(0)
	v_cvt_f16_i16_e32 v1, v1
	s_branch .LBB240_1293
.LBB240_1292:
	s_mov_b64 s[0:1], -1
                                        ; implicit-def: $vgpr1
.LBB240_1293:
	s_andn2_b64 vcc, exec, s[0:1]
	s_cbranch_vccnz .LBB240_1295
; %bb.1294:
	global_load_ubyte v1, v[2:3], off
	s_waitcnt vmcnt(0)
	v_cvt_f16_u16_e32 v1, v1
.LBB240_1295:
	v_mov_b32_e32 v6, 0
.LBB240_1296:
	v_cvt_f32_f16_e32 v5, v6
	s_waitcnt vmcnt(0)
	v_cmp_neq_f16_e32 vcc, 0, v1
	v_cmp_neq_f16_e64 s[0:1], 0, v6
	s_or_b64 s[0:1], vcc, s[0:1]
	v_mov_b32_e32 v6, 0
	s_and_saveexec_b64 s[10:11], s[0:1]
	s_cbranch_execz .LBB240_1326
; %bb.1297:
	v_mov_b32_e32 v6, 0x7f800000
	v_cmp_neq_f32_e64 s[0:1], |v5|, v6
	s_and_saveexec_b64 s[18:19], s[0:1]
	s_cbranch_execz .LBB240_1325
; %bb.1298:
	v_cvt_f32_f16_e32 v2, v1
	v_cmp_o_f16_e32 vcc, v1, v1
                                        ; implicit-def: $vgpr6
	s_and_saveexec_b64 s[0:1], vcc
	s_xor_b64 s[20:21], exec, s[0:1]
	s_cbranch_execz .LBB240_1322
; %bb.1299:
	s_mov_b32 s0, 0x7f800000
	v_cmp_neq_f32_e64 s[0:1], |v2|, s0
                                        ; implicit-def: $vgpr6
	s_and_saveexec_b64 s[2:3], s[0:1]
	s_xor_b64 s[22:23], exec, s[2:3]
	s_cbranch_execz .LBB240_1315
; %bb.1300:
	v_max_f32_e64 v1, |v5|, |v5|
	v_max_f32_e64 v3, |v2|, |v2|
	v_max_f32_e32 v1, v3, v1
	s_mov_b32 s0, 0x7ed413cb
	v_cmp_nle_f32_e64 s[0:1], s0, v1
                                        ; implicit-def: $sgpr24_sgpr25
	s_and_saveexec_b64 s[2:3], s[0:1]
	s_xor_b64 s[2:3], exec, s[2:3]
	s_cbranch_execz .LBB240_1304
; %bb.1301:
	s_mov_b32 s26, 0x1000000
	v_cmp_le_f32_e64 s[24:25], |v2|, s26
	v_cmp_le_f32_e64 s[26:27], |v5|, s26
	s_and_b64 s[30:31], s[24:25], s[26:27]
	s_mov_b64 s[24:25], 0
	s_and_saveexec_b64 s[26:27], s[30:31]
; %bb.1302:
	s_mov_b64 s[24:25], exec
	v_mul_f32_e32 v2, 4.0, v2
	v_mul_f32_e32 v5, 4.0, v5
; %bb.1303:
	s_or_b64 exec, exec, s[26:27]
.LBB240_1304:
	s_andn2_saveexec_b64 s[2:3], s[2:3]
; %bb.1305:
	v_mul_f32_e32 v2, 0x3e800000, v2
	v_mul_f32_e32 v5, 0x3e800000, v5
	s_andn2_b64 s[24:25], s[24:25], exec
; %bb.1306:
	s_or_b64 exec, exec, s[2:3]
	v_max_f32_e64 v1, |v5|, |v5|
	v_max_f32_e64 v3, |v2|, |v2|
	v_max_f32_e32 v1, v3, v1
	v_cvt_f64_f32_e32 v[6:7], v1
	v_frexp_exp_i32_f64_e32 v3, v[6:7]
	v_sub_u32_e32 v6, 0, v3
	v_ldexp_f32 v7, |v2|, v6
	v_ldexp_f32 v6, |v5|, v6
	v_mul_f32_e32 v6, v6, v6
	v_fmac_f32_e32 v6, v7, v7
	v_sqrt_f32_e32 v6, v6
	s_mov_b32 s2, 0x7f800000
	v_cmp_neq_f32_e64 s[2:3], s2, v1
	v_cmp_le_f32_e32 vcc, 0, v2
	v_ldexp_f32 v3, v6, v3
	v_mov_b32_e32 v6, 0x7f800000
	v_cndmask_b32_e64 v6, v6, v3, s[2:3]
                                        ; implicit-def: $vgpr3
                                        ; implicit-def: $vgpr1
	s_and_saveexec_b64 s[2:3], vcc
	s_xor_b64 s[26:27], exec, s[2:3]
	s_cbranch_execz .LBB240_1308
; %bb.1307:
	v_add_f32_e32 v1, v2, v6
	v_mul_f32_e32 v1, 0.5, v1
	s_mov_b32 s2, 0xf800000
	v_mul_f32_e32 v2, 0x4f800000, v1
	v_cmp_gt_f32_e32 vcc, s2, v1
	s_nop 1
	v_cndmask_b32_e32 v1, v1, v2, vcc
	v_sqrt_f32_e32 v2, v1
	s_nop 0
	v_add_u32_e32 v3, -1, v2
	v_fma_f32 v6, -v3, v2, v1
	v_cmp_ge_f32_e64 s[2:3], 0, v6
	v_add_u32_e32 v6, 1, v2
	s_nop 0
	v_cndmask_b32_e64 v3, v2, v3, s[2:3]
	v_fma_f32 v2, -v6, v2, v1
	v_cmp_lt_f32_e64 s[2:3], 0, v2
	s_nop 1
	v_cndmask_b32_e64 v2, v3, v6, s[2:3]
	v_mul_f32_e32 v3, 0x37800000, v2
	v_cndmask_b32_e32 v2, v2, v3, vcc
	v_mov_b32_e32 v3, 0x260
	v_cmp_class_f32_e32 vcc, v1, v3
	s_nop 1
	v_cndmask_b32_e32 v1, v2, v1, vcc
	v_add_f32_e32 v2, v1, v1
	v_div_scale_f32 v3, s[2:3], v2, v2, v5
	v_rcp_f32_e32 v6, v3
	s_nop 0
	v_fma_f32 v7, -v3, v6, 1.0
	v_fmac_f32_e32 v6, v7, v6
	v_div_scale_f32 v7, vcc, v5, v2, v5
	v_mul_f32_e32 v8, v7, v6
	v_fma_f32 v9, -v3, v8, v7
	v_fmac_f32_e32 v8, v9, v6
	v_fma_f32 v3, -v3, v8, v7
	v_div_fmas_f32 v3, v3, v6, v8
	v_div_fixup_f32 v3, v3, v2, v5
                                        ; implicit-def: $vgpr6
                                        ; implicit-def: $vgpr2
                                        ; implicit-def: $vgpr5
	s_andn2_saveexec_b64 s[26:27], s[26:27]
	s_cbranch_execz .LBB240_1310
	s_branch .LBB240_1309
.LBB240_1308:
	s_andn2_saveexec_b64 s[26:27], s[26:27]
	s_cbranch_execz .LBB240_1310
.LBB240_1309:
	v_sub_f32_e32 v1, v6, v2
	v_mul_f32_e32 v1, 0.5, v1
	s_mov_b32 s2, 0xf800000
	v_mul_f32_e32 v2, 0x4f800000, v1
	v_cmp_gt_f32_e32 vcc, s2, v1
	s_nop 1
	v_cndmask_b32_e32 v1, v1, v2, vcc
	v_sqrt_f32_e32 v2, v1
	s_nop 0
	v_add_u32_e32 v3, -1, v2
	v_fma_f32 v6, -v3, v2, v1
	v_cmp_ge_f32_e64 s[2:3], 0, v6
	v_add_u32_e32 v6, 1, v2
	s_nop 0
	v_cndmask_b32_e64 v3, v2, v3, s[2:3]
	v_fma_f32 v2, -v6, v2, v1
	v_cmp_lt_f32_e64 s[2:3], 0, v2
	s_nop 1
	v_cndmask_b32_e64 v2, v3, v6, s[2:3]
	v_mul_f32_e32 v3, 0x37800000, v2
	v_cndmask_b32_e32 v2, v2, v3, vcc
	v_mov_b32_e32 v3, 0x260
	v_cmp_class_f32_e32 vcc, v1, v3
	v_and_b32_e32 v3, 0x7fffffff, v5
	s_nop 0
	v_cndmask_b32_e32 v2, v2, v1, vcc
	v_add_f32_e32 v1, v2, v2
	v_div_scale_f32 v6, s[2:3], v1, v1, v3
	v_rcp_f32_e32 v7, v6
	v_div_scale_f32 v3, vcc, v3, v1, v3
	s_brev_b32 s2, -2
	v_fma_f32 v8, -v6, v7, 1.0
	v_fmac_f32_e32 v7, v8, v7
	v_mul_f32_e32 v8, v3, v7
	v_fma_f32 v9, -v6, v8, v3
	v_fmac_f32_e32 v8, v9, v7
	v_fma_f32 v3, -v6, v8, v3
	v_div_fmas_f32 v3, v3, v7, v8
	v_div_fixup_f32 v1, v3, v1, |v5|
	v_bfi_b32 v3, s2, v2, v5
.LBB240_1310:
	s_or_b64 exec, exec, s[26:27]
                                        ; implicit-def: $vgpr5
                                        ; implicit-def: $vgpr6
	s_and_saveexec_b64 s[2:3], s[0:1]
	s_xor_b64 s[0:1], exec, s[2:3]
	s_cbranch_execz .LBB240_1312
; %bb.1311:
	v_mul_f32_e32 v2, 0.5, v1
	v_mul_f32_e32 v5, 0.5, v3
	v_cndmask_b32_e64 v6, v1, v2, s[24:25]
	v_cndmask_b32_e64 v5, v3, v5, s[24:25]
                                        ; implicit-def: $vgpr1
                                        ; implicit-def: $vgpr3
	s_andn2_saveexec_b64 s[0:1], s[0:1]
	s_cbranch_execnz .LBB240_1313
	s_branch .LBB240_1314
.LBB240_1312:
	s_andn2_saveexec_b64 s[0:1], s[0:1]
.LBB240_1313:
	v_add_f32_e32 v6, v1, v1
	v_add_f32_e32 v5, v3, v3
.LBB240_1314:
	s_or_b64 exec, exec, s[0:1]
                                        ; implicit-def: $vgpr2
                                        ; implicit-def: $vgpr1
.LBB240_1315:
	s_andn2_saveexec_b64 s[0:1], s[22:23]
	s_cbranch_execz .LBB240_1321
; %bb.1316:
	v_cmp_lt_i16_e32 vcc, -1, v1
	v_sub_f32_e32 v1, v5, v5
	s_brev_b32 s22, -2
	v_and_b32_e32 v6, 0x7fffffff, v1
	s_and_saveexec_b64 s[2:3], vcc
	s_xor_b64 s[2:3], exec, s[2:3]
; %bb.1317:
	v_bfi_b32 v5, s22, v1, v5
	v_mov_b32_e32 v6, v2
; %bb.1318:
	s_andn2_saveexec_b64 s[2:3], s[2:3]
; %bb.1319:
	v_bfi_b32 v5, s22, v2, v5
; %bb.1320:
	s_or_b64 exec, exec, s[2:3]
.LBB240_1321:
	s_or_b64 exec, exec, s[0:1]
                                        ; implicit-def: $vgpr2
.LBB240_1322:
	s_andn2_saveexec_b64 s[0:1], s[20:21]
	s_cbranch_execz .LBB240_1324
; %bb.1323:
	v_sub_f32_e32 v1, v5, v5
	v_div_scale_f32 v3, vcc, v1, v1, v1
	v_rcp_f32_e32 v5, v3
	s_nop 0
	v_fma_f32 v6, -v3, v5, 1.0
	v_fmac_f32_e32 v5, v6, v5
	v_mul_f32_e32 v6, v3, v5
	v_fma_f32 v7, -v3, v6, v3
	v_fmac_f32_e32 v6, v7, v5
	v_fma_f32 v3, -v3, v6, v3
	v_div_fmas_f32 v3, v3, v5, v6
	v_div_fixup_f32 v5, v3, v1, v1
	v_mov_b32_e32 v6, v2
.LBB240_1324:
	s_or_b64 exec, exec, s[0:1]
.LBB240_1325:
	s_or_b64 exec, exec, s[18:19]
.LBB240_1326:
	s_or_b64 exec, exec, s[10:11]
	s_lshl_b32 s9, s9, 7
	v_add_u32_e32 v0, s9, v0
	v_ashrrev_i32_e32 v1, 31, v0
	s_cmp_lt_i32 s28, 11
	v_lshl_add_u64 v[2:3], s[6:7], 0, v[0:1]
	s_cbranch_scc1 .LBB240_1333
; %bb.1327:
	s_cmp_gt_i32 s28, 25
	s_mov_b64 s[2:3], 0
	s_cbranch_scc0 .LBB240_1335
; %bb.1328:
	s_cmp_gt_i32 s28, 28
	s_cbranch_scc0 .LBB240_1336
; %bb.1329:
	s_cmp_gt_i32 s28, 43
	;; [unrolled: 3-line block ×3, first 2 shown]
	s_cbranch_scc0 .LBB240_1339
; %bb.1331:
	s_cmp_eq_u32 s28, 46
	s_mov_b64 s[18:19], 0
	s_cbranch_scc0 .LBB240_1342
; %bb.1332:
	global_load_dword v1, v[2:3], off
	s_mov_b64 s[0:1], 0
	s_mov_b64 s[10:11], -1
	s_waitcnt vmcnt(0)
	v_and_b32_e32 v7, 0xffff0000, v1
	v_lshlrev_b32_e32 v1, 16, v1
	v_cvt_f16_f32_e32 v1, v1
	v_cvt_f16_f32_e32 v8, v7
	s_branch .LBB240_1343
.LBB240_1333:
	s_mov_b64 s[10:11], 0
                                        ; implicit-def: $vgpr8
                                        ; implicit-def: $vgpr1
	s_cbranch_execnz .LBB240_1411
.LBB240_1334:
	s_andn2_b64 vcc, exec, s[10:11]
	s_cbranch_vccnz .LBB240_2252
	s_branch .LBB240_1460
.LBB240_1335:
	s_mov_b64 s[10:11], 0
	s_mov_b64 s[0:1], 0
                                        ; implicit-def: $vgpr8
                                        ; implicit-def: $vgpr1
	s_cbranch_execnz .LBB240_1374
	s_branch .LBB240_1407
.LBB240_1336:
	s_mov_b64 s[18:19], -1
	s_mov_b64 s[10:11], 0
	s_mov_b64 s[0:1], 0
                                        ; implicit-def: $vgpr8
                                        ; implicit-def: $vgpr1
	s_branch .LBB240_1355
.LBB240_1337:
	s_mov_b64 s[18:19], -1
	s_mov_b64 s[10:11], 0
	s_mov_b64 s[0:1], 0
                                        ; implicit-def: $vgpr8
                                        ; implicit-def: $vgpr1
	s_branch .LBB240_1349
.LBB240_1338:
	s_trap 2
	s_or_b64 s[16:17], s[14:15], exec
	s_cbranch_execz .LBB240_1247
	s_branch .LBB240_1248
.LBB240_1339:
	s_mov_b64 s[18:19], -1
	s_mov_b64 s[10:11], 0
	s_mov_b64 s[0:1], 0
                                        ; implicit-def: $vgpr8
                                        ; implicit-def: $vgpr1
	s_branch .LBB240_1343
.LBB240_1340:
	s_andn2_saveexec_b64 s[24:25], s[24:25]
	s_cbranch_execz .LBB240_1090
.LBB240_1341:
	s_mov_b32 s28, 0x42800000
	v_add_f32_e64 v6, |v4|, s28
	v_and_b32_e32 v6, 0xff, v6
	v_cmp_ne_u32_e32 vcc, 0, v6
	s_andn2_b64 s[22:23], s[22:23], exec
	s_and_b64 s[28:29], vcc, exec
	s_or_b64 s[22:23], s[22:23], s[28:29]
	s_or_b64 exec, exec, s[24:25]
	v_mov_b32_e32 v7, 0
	s_and_saveexec_b64 s[24:25], s[22:23]
	s_cbranch_execnz .LBB240_1091
	s_branch .LBB240_1092
.LBB240_1342:
	s_mov_b64 s[0:1], -1
                                        ; implicit-def: $vgpr8
                                        ; implicit-def: $vgpr1
	s_mov_b64 s[10:11], 0
.LBB240_1343:
	s_and_b64 vcc, exec, s[18:19]
	s_cbranch_vccz .LBB240_1348
; %bb.1344:
	s_cmp_eq_u32 s28, 44
	s_cbranch_scc0 .LBB240_1346
; %bb.1345:
	global_load_ubyte v1, v[2:3], off
	s_movk_i32 s10, 0xff
	v_mov_b32_e32 v8, 0x7e00
	s_mov_b64 s[0:1], 0
	s_waitcnt vmcnt(0)
	v_lshlrev_b32_e32 v7, 23, v1
	v_cvt_f16_f32_e32 v7, v7
	v_cmp_ne_u32_e32 vcc, s10, v1
	s_mov_b64 s[10:11], -1
	s_nop 0
	v_cndmask_b32_e32 v7, v8, v7, vcc
	v_cmp_ne_u32_e32 vcc, 0, v1
	s_nop 1
	v_cndmask_b32_e32 v1, 0, v7, vcc
	s_branch .LBB240_1347
.LBB240_1346:
	s_mov_b64 s[0:1], -1
                                        ; implicit-def: $vgpr1
.LBB240_1347:
	v_mov_b32_e32 v8, 0
.LBB240_1348:
	s_mov_b64 s[18:19], 0
.LBB240_1349:
	s_and_b64 vcc, exec, s[18:19]
	s_cbranch_vccz .LBB240_1354
; %bb.1350:
	s_cmp_eq_u32 s28, 29
	s_cbranch_scc0 .LBB240_1352
; %bb.1351:
	global_load_dwordx2 v[8:9], v[2:3], off
	s_mov_b64 s[0:1], 0
	s_mov_b64 s[10:11], -1
	s_waitcnt vmcnt(0)
	v_ffbh_u32_e32 v1, v9
	v_min_u32_e32 v1, 32, v1
	v_lshlrev_b64 v[8:9], v1, v[8:9]
	v_min_u32_e32 v7, 1, v8
	v_or_b32_e32 v7, v9, v7
	v_cvt_f32_u32_e32 v7, v7
	v_sub_u32_e32 v1, 32, v1
	v_ldexp_f32 v1, v7, v1
	v_cvt_f16_f32_e32 v1, v1
	s_branch .LBB240_1353
.LBB240_1352:
	s_mov_b64 s[0:1], -1
                                        ; implicit-def: $vgpr1
.LBB240_1353:
	v_mov_b32_e32 v8, 0
.LBB240_1354:
	s_mov_b64 s[18:19], 0
.LBB240_1355:
	s_and_b64 vcc, exec, s[18:19]
	s_cbranch_vccz .LBB240_1373
; %bb.1356:
	s_cmp_lt_i32 s28, 27
	s_cbranch_scc1 .LBB240_1359
; %bb.1357:
	s_cmp_gt_i32 s28, 27
	s_cbranch_scc0 .LBB240_1360
; %bb.1358:
	global_load_dword v1, v[2:3], off
	s_mov_b64 s[10:11], 0
	s_waitcnt vmcnt(0)
	v_cvt_f32_u32_e32 v1, v1
	v_cvt_f16_f32_e32 v1, v1
	s_branch .LBB240_1361
.LBB240_1359:
	s_mov_b64 s[10:11], -1
                                        ; implicit-def: $vgpr1
	s_branch .LBB240_1364
.LBB240_1360:
	s_mov_b64 s[10:11], -1
                                        ; implicit-def: $vgpr1
.LBB240_1361:
	s_andn2_b64 vcc, exec, s[10:11]
	s_cbranch_vccnz .LBB240_1363
; %bb.1362:
	global_load_ushort v1, v[2:3], off
	s_waitcnt vmcnt(0)
	v_cvt_f16_u16_e32 v1, v1
.LBB240_1363:
	s_mov_b64 s[10:11], 0
.LBB240_1364:
	s_andn2_b64 vcc, exec, s[10:11]
	s_cbranch_vccnz .LBB240_1372
; %bb.1365:
	global_load_ubyte v7, v[2:3], off
	s_movk_i32 s10, 0x7f
	s_waitcnt vmcnt(0)
	v_cmp_lt_i16_e32 vcc, s10, v7
	s_mov_b64 s[10:11], 0
	s_and_saveexec_b64 s[18:19], vcc
	s_xor_b64 s[18:19], exec, s[18:19]
	s_cbranch_execz .LBB240_1385
; %bb.1366:
	s_movk_i32 s10, 0x80
	v_cmp_eq_u16_e32 vcc, s10, v7
	s_mov_b64 s[10:11], -1
	s_and_saveexec_b64 s[20:21], vcc
; %bb.1367:
	s_xor_b64 s[10:11], exec, -1
; %bb.1368:
	s_or_b64 exec, exec, s[20:21]
	s_and_b64 s[10:11], s[10:11], exec
	s_or_saveexec_b64 s[18:19], s[18:19]
	v_mov_b32_e32 v1, 0x7e00
	s_xor_b64 exec, exec, s[18:19]
	s_cbranch_execnz .LBB240_1386
.LBB240_1369:
	s_or_b64 exec, exec, s[18:19]
	s_and_saveexec_b64 s[18:19], s[10:11]
	s_cbranch_execz .LBB240_1371
.LBB240_1370:
	v_lshlrev_b32_e32 v1, 24, v7
	v_and_b32_e32 v7, 0xffff, v7
	v_and_b32_e32 v8, 7, v7
	v_ffbh_u32_e32 v10, v8
	v_min_u32_e32 v10, 32, v10
	v_subrev_u32_e32 v11, 28, v10
	v_bfe_u32 v9, v7, 3, 4
	v_lshlrev_b32_e32 v7, v11, v7
	v_sub_u32_e32 v10, 29, v10
	v_and_b32_e32 v7, 7, v7
	v_cmp_eq_u32_e32 vcc, 0, v9
	v_and_b32_e32 v1, 0x80000000, v1
	s_nop 0
	v_cndmask_b32_e32 v9, v9, v10, vcc
	v_cndmask_b32_e32 v7, v8, v7, vcc
	v_mov_b32_e32 v8, 0x3b800000
	v_lshlrev_b32_e32 v7, 20, v7
	v_lshl_add_u32 v8, v9, 23, v8
	v_or3_b32 v1, v1, v8, v7
	v_cvt_f16_f32_e32 v1, v1
.LBB240_1371:
	s_or_b64 exec, exec, s[18:19]
.LBB240_1372:
	s_mov_b64 s[10:11], -1
	v_mov_b32_e32 v8, 0
.LBB240_1373:
	s_branch .LBB240_1407
.LBB240_1374:
	s_cmp_gt_i32 s28, 22
	s_cbranch_scc0 .LBB240_1384
; %bb.1375:
	s_cmp_lt_i32 s28, 24
	s_cbranch_scc1 .LBB240_1387
; %bb.1376:
	s_cmp_gt_i32 s28, 24
	s_cbranch_scc0 .LBB240_1388
; %bb.1377:
	global_load_ubyte v7, v[2:3], off
	s_movk_i32 s2, 0x7f
	s_waitcnt vmcnt(0)
	v_cmp_lt_i16_e32 vcc, s2, v7
	s_mov_b64 s[2:3], 0
	s_and_saveexec_b64 s[10:11], vcc
	s_xor_b64 s[10:11], exec, s[10:11]
	s_cbranch_execz .LBB240_1400
; %bb.1378:
	s_movk_i32 s2, 0x80
	v_cmp_eq_u16_e32 vcc, s2, v7
	s_mov_b64 s[2:3], -1
	s_and_saveexec_b64 s[18:19], vcc
; %bb.1379:
	s_xor_b64 s[2:3], exec, -1
; %bb.1380:
	s_or_b64 exec, exec, s[18:19]
	s_and_b64 s[2:3], s[2:3], exec
	s_or_saveexec_b64 s[10:11], s[10:11]
	v_mov_b32_e32 v1, 0x7e00
	s_xor_b64 exec, exec, s[10:11]
	s_cbranch_execnz .LBB240_1401
.LBB240_1381:
	s_or_b64 exec, exec, s[10:11]
	s_and_saveexec_b64 s[10:11], s[2:3]
	s_cbranch_execz .LBB240_1383
.LBB240_1382:
	v_lshlrev_b32_e32 v1, 24, v7
	v_and_b32_e32 v7, 0xffff, v7
	v_and_b32_e32 v8, 3, v7
	v_ffbh_u32_e32 v10, v8
	v_min_u32_e32 v10, 32, v10
	v_subrev_u32_e32 v11, 29, v10
	v_bfe_u32 v9, v7, 2, 5
	v_lshlrev_b32_e32 v7, v11, v7
	v_sub_u32_e32 v10, 30, v10
	v_and_b32_e32 v7, 3, v7
	v_cmp_eq_u32_e32 vcc, 0, v9
	v_and_b32_e32 v1, 0x80000000, v1
	s_nop 0
	v_cndmask_b32_e32 v9, v9, v10, vcc
	v_cndmask_b32_e32 v7, v8, v7, vcc
	v_mov_b32_e32 v8, 0x37800000
	v_lshlrev_b32_e32 v7, 21, v7
	v_lshl_add_u32 v8, v9, 23, v8
	v_or3_b32 v1, v1, v8, v7
	v_cvt_f16_f32_e32 v1, v1
.LBB240_1383:
	s_or_b64 exec, exec, s[10:11]
	s_mov_b64 s[2:3], 0
	s_branch .LBB240_1389
.LBB240_1384:
	s_mov_b64 s[2:3], -1
                                        ; implicit-def: $vgpr1
	s_branch .LBB240_1395
.LBB240_1385:
	s_or_saveexec_b64 s[18:19], s[18:19]
	v_mov_b32_e32 v1, 0x7e00
	s_xor_b64 exec, exec, s[18:19]
	s_cbranch_execz .LBB240_1369
.LBB240_1386:
	v_cmp_ne_u16_e32 vcc, 0, v7
	s_andn2_b64 s[10:11], s[10:11], exec
	s_and_b64 s[20:21], vcc, exec
	s_or_b64 s[10:11], s[10:11], s[20:21]
	v_mov_b32_e32 v1, v7
	s_or_b64 exec, exec, s[18:19]
	s_and_saveexec_b64 s[18:19], s[10:11]
	s_cbranch_execnz .LBB240_1370
	s_branch .LBB240_1371
.LBB240_1387:
	s_mov_b64 s[2:3], -1
                                        ; implicit-def: $vgpr1
	s_branch .LBB240_1392
.LBB240_1388:
	s_mov_b64 s[2:3], -1
                                        ; implicit-def: $vgpr1
.LBB240_1389:
	s_and_b64 vcc, exec, s[2:3]
	s_cbranch_vccz .LBB240_1391
; %bb.1390:
	global_load_ubyte v1, v[2:3], off
	s_mov_b32 s2, 0x7f800000
	s_waitcnt vmcnt(0)
	v_lshlrev_b32_e32 v1, 24, v1
	v_and_b32_e32 v7, 0x7f000000, v1
	v_ffbh_u32_e32 v8, v7
	v_min_u32_e32 v8, 32, v8
	v_sub_u32_e64 v8, v8, 4 clamp
	v_lshlrev_b32_e32 v10, v8, v7
	v_lshlrev_b32_e32 v8, 23, v8
	v_lshrrev_b32_e32 v10, 4, v10
	v_add_u32_e32 v9, 0x1000000, v7
	v_sub_u32_e32 v8, v10, v8
	v_ashrrev_i32_e32 v9, 8, v9
	v_add_u32_e32 v8, 0x3c000000, v8
	v_and_or_b32 v8, v9, s2, v8
	v_cmp_ne_u32_e32 vcc, 0, v7
	s_brev_b32 s2, 1
	s_nop 0
	v_cndmask_b32_e32 v7, 0, v8, vcc
	v_and_or_b32 v1, v1, s2, v7
	v_cvt_f16_f32_e32 v1, v1
.LBB240_1391:
	s_mov_b64 s[2:3], 0
.LBB240_1392:
	s_andn2_b64 vcc, exec, s[2:3]
	s_cbranch_vccnz .LBB240_1394
; %bb.1393:
	global_load_ubyte v1, v[2:3], off
	s_movk_i32 s2, 0x7f00
	s_brev_b32 s3, 16
	s_waitcnt vmcnt(0)
	v_lshlrev_b16_e32 v7, 8, v1
	v_lshlrev_b32_e32 v1, 25, v1
	v_lshrrev_b32_e32 v8, 4, v1
	v_and_or_b32 v9, v7, s2, 0.5
	v_or_b32_e32 v8, 0x70000000, v8
	v_add_f32_e32 v9, -0.5, v9
	v_mul_f32_e32 v8, 0x7800000, v8
	v_cmp_gt_u32_e32 vcc, s3, v1
	v_bfe_i32 v7, v7, 0, 16
	s_brev_b32 s2, 1
	v_cndmask_b32_e32 v1, v8, v9, vcc
	v_and_or_b32 v1, v7, s2, v1
	v_cvt_f16_f32_e32 v1, v1
.LBB240_1394:
	s_mov_b64 s[2:3], 0
	s_mov_b64 s[10:11], -1
.LBB240_1395:
	s_andn2_b64 vcc, exec, s[2:3]
	s_mov_b64 s[2:3], 0
	s_cbranch_vccnz .LBB240_1406
; %bb.1396:
	s_cmp_gt_i32 s28, 14
	s_cbranch_scc0 .LBB240_1399
; %bb.1397:
	s_cmp_eq_u32 s28, 15
	s_cbranch_scc0 .LBB240_1402
; %bb.1398:
	global_load_ushort v1, v[2:3], off
	s_mov_b64 s[0:1], 0
	s_mov_b64 s[10:11], -1
	s_waitcnt vmcnt(0)
	v_lshlrev_b32_e32 v1, 16, v1
	v_cvt_f16_f32_e32 v1, v1
	s_branch .LBB240_1403
.LBB240_1399:
	s_mov_b64 s[18:19], -1
                                        ; implicit-def: $vgpr1
	s_branch .LBB240_1404
.LBB240_1400:
	s_or_saveexec_b64 s[10:11], s[10:11]
	v_mov_b32_e32 v1, 0x7e00
	s_xor_b64 exec, exec, s[10:11]
	s_cbranch_execz .LBB240_1381
.LBB240_1401:
	v_cmp_ne_u16_e32 vcc, 0, v7
	s_andn2_b64 s[2:3], s[2:3], exec
	s_and_b64 s[18:19], vcc, exec
	s_or_b64 s[2:3], s[2:3], s[18:19]
	v_mov_b32_e32 v1, v7
	s_or_b64 exec, exec, s[10:11]
	s_and_saveexec_b64 s[10:11], s[2:3]
	s_cbranch_execnz .LBB240_1382
	s_branch .LBB240_1383
.LBB240_1402:
	s_mov_b64 s[0:1], -1
                                        ; implicit-def: $vgpr1
.LBB240_1403:
	s_mov_b64 s[18:19], 0
.LBB240_1404:
	s_and_b64 vcc, exec, s[18:19]
	s_cbranch_vccz .LBB240_1406
; %bb.1405:
	s_cmp_lg_u32 s28, 11
	s_mov_b64 s[2:3], -1
	s_cselect_b64 s[0:1], -1, 0
.LBB240_1406:
	v_mov_b32_e32 v8, 0
.LBB240_1407:
	s_and_b64 vcc, exec, s[0:1]
	s_cbranch_vccnz .LBB240_1514
; %bb.1408:
	s_andn2_b64 vcc, exec, s[2:3]
	s_cbranch_vccnz .LBB240_1410
.LBB240_1409:
	global_load_ubyte v1, v[2:3], off
	v_mov_b32_e32 v7, 0x3c00
	v_mov_b32_e32 v8, 0
	s_mov_b64 s[10:11], -1
	s_waitcnt vmcnt(0)
	v_cmp_ne_u16_e32 vcc, 0, v1
	s_nop 1
	v_cndmask_b32_e32 v1, 0, v7, vcc
.LBB240_1410:
	s_branch .LBB240_1334
.LBB240_1411:
	s_cmp_lt_i32 s28, 5
	s_cbranch_scc1 .LBB240_1416
; %bb.1412:
	s_cmp_lt_i32 s28, 8
	s_cbranch_scc1 .LBB240_1418
; %bb.1413:
	s_cmp_lt_i32 s28, 9
	s_cbranch_scc1 .LBB240_1419
; %bb.1414:
	s_cmp_gt_i32 s28, 9
	s_cbranch_scc0 .LBB240_1420
; %bb.1415:
	global_load_dwordx4 v[8:11], v[2:3], off
	s_movk_i32 s0, 0x1ff
	s_movk_i32 s1, 0xffe
	v_mov_b32_e32 v1, 0x7c00
	v_mov_b32_e32 v7, 0x7e00
	s_movk_i32 s2, 0x40f
	s_mov_b32 s3, 0x8000
	s_waitcnt vmcnt(0)
	v_and_or_b32 v8, v9, s0, v8
	v_and_or_b32 v10, v11, s0, v10
	v_cmp_ne_u32_e32 vcc, 0, v8
	v_lshrrev_b32_e32 v12, 8, v9
	v_bfe_u32 v13, v9, 20, 11
	v_cndmask_b32_e64 v8, 0, 1, vcc
	v_cmp_ne_u32_e32 vcc, 0, v10
	v_lshrrev_b32_e32 v14, 8, v11
	v_bfe_u32 v15, v11, 20, 11
	v_sub_u32_e32 v16, 0x3f1, v13
	v_cndmask_b32_e64 v10, 0, 1, vcc
	v_and_or_b32 v8, v12, s1, v8
	v_add_u32_e32 v13, 0xfffffc10, v13
	v_sub_u32_e32 v17, 0x3f1, v15
	v_add_u32_e32 v15, 0xfffffc10, v15
	v_med3_i32 v12, v16, 0, 13
	v_and_or_b32 v10, v14, s1, v10
	v_or_b32_e32 v16, 0x1000, v8
	v_cmp_ne_u32_e32 vcc, 0, v8
	v_med3_i32 v14, v17, 0, 13
	v_lshl_or_b32 v17, v13, 12, v8
	v_cndmask_b32_e32 v8, v1, v7, vcc
	v_or_b32_e32 v18, 0x1000, v10
	v_lshl_or_b32 v19, v15, 12, v10
	v_cmp_ne_u32_e32 vcc, 0, v10
	v_lshrrev_b32_e32 v10, v12, v16
	v_lshrrev_b32_e32 v20, v14, v18
	v_lshlrev_b32_e32 v12, v12, v10
	v_cndmask_b32_e32 v7, v1, v7, vcc
	v_lshlrev_b32_e32 v14, v14, v20
	v_cmp_ne_u32_e32 vcc, v12, v16
	v_lshrrev_b32_e32 v9, 16, v9
	v_lshrrev_b32_e32 v11, 16, v11
	v_cndmask_b32_e64 v12, 0, 1, vcc
	v_cmp_ne_u32_e32 vcc, v14, v18
	v_or_b32_e32 v10, v10, v12
	s_mov_b64 s[0:1], 0
	v_cndmask_b32_e64 v14, 0, 1, vcc
	v_cmp_gt_i32_e32 vcc, 1, v13
	v_or_b32_e32 v12, v20, v14
	s_nop 0
	v_cndmask_b32_e32 v10, v17, v10, vcc
	v_cmp_gt_i32_e32 vcc, 1, v15
	v_and_b32_e32 v14, 7, v10
	v_lshrrev_b32_e32 v10, 2, v10
	v_cndmask_b32_e32 v12, v19, v12, vcc
	v_cmp_lt_i32_e32 vcc, 5, v14
	v_and_b32_e32 v16, 7, v12
	v_lshrrev_b32_e32 v12, 2, v12
	v_cndmask_b32_e64 v17, 0, 1, vcc
	v_cmp_eq_u32_e32 vcc, 3, v14
	s_nop 1
	v_cndmask_b32_e64 v14, 0, 1, vcc
	v_cmp_lt_i32_e32 vcc, 5, v16
	v_or_b32_e32 v14, v14, v17
	v_add_u32_e32 v10, v10, v14
	v_cndmask_b32_e64 v18, 0, 1, vcc
	v_cmp_eq_u32_e32 vcc, 3, v16
	s_nop 1
	v_cndmask_b32_e64 v16, 0, 1, vcc
	v_or_b32_e32 v16, v16, v18
	v_cmp_gt_i32_e32 vcc, 31, v13
	v_add_u32_e32 v12, v12, v16
	s_nop 0
	v_cndmask_b32_e32 v10, v1, v10, vcc
	v_cmp_gt_i32_e32 vcc, 31, v15
	s_nop 1
	v_cndmask_b32_e32 v1, v1, v12, vcc
	v_cmp_eq_u32_e32 vcc, s2, v13
	s_nop 1
	v_cndmask_b32_e32 v8, v10, v8, vcc
	v_cmp_eq_u32_e32 vcc, s2, v15
	s_nop 1
	v_cndmask_b32_e32 v7, v1, v7, vcc
	v_and_or_b32 v1, v9, s3, v8
	v_and_or_b32 v8, v11, s3, v7
	s_branch .LBB240_1421
.LBB240_1416:
                                        ; implicit-def: $vgpr8
                                        ; implicit-def: $vgpr1
	s_branch .LBB240_1440
.LBB240_1417:
	s_branch .LBB240_1460
.LBB240_1418:
	s_mov_b64 s[0:1], -1
                                        ; implicit-def: $vgpr8
                                        ; implicit-def: $vgpr1
	s_branch .LBB240_1427
.LBB240_1419:
	s_mov_b64 s[0:1], -1
                                        ; implicit-def: $vgpr8
                                        ; implicit-def: $vgpr1
	s_branch .LBB240_1424
.LBB240_1420:
	s_mov_b64 s[0:1], -1
                                        ; implicit-def: $vgpr8
                                        ; implicit-def: $vgpr1
.LBB240_1421:
	s_andn2_b64 vcc, exec, s[0:1]
	s_cbranch_vccnz .LBB240_1423
; %bb.1422:
	global_load_dwordx2 v[8:9], v[2:3], off
	s_waitcnt vmcnt(0)
	v_cvt_f16_f32_e32 v1, v8
	v_cvt_f16_f32_e32 v8, v9
.LBB240_1423:
	s_mov_b64 s[0:1], 0
.LBB240_1424:
	s_andn2_b64 vcc, exec, s[0:1]
	s_cbranch_vccnz .LBB240_1426
; %bb.1425:
	global_load_dword v1, v[2:3], off
	s_waitcnt vmcnt(0)
	v_lshrrev_b32_e32 v8, 16, v1
.LBB240_1426:
	s_mov_b64 s[0:1], 0
.LBB240_1427:
	s_andn2_b64 vcc, exec, s[0:1]
	s_cbranch_vccnz .LBB240_1439
; %bb.1428:
	s_cmp_lt_i32 s28, 6
	s_cbranch_scc1 .LBB240_1431
; %bb.1429:
	s_cmp_gt_i32 s28, 6
	s_cbranch_scc0 .LBB240_1432
; %bb.1430:
	global_load_dwordx2 v[8:9], v[2:3], off
	s_movk_i32 s0, 0x1ff
	s_movk_i32 s1, 0xffe
	v_mov_b32_e32 v1, 0x7c00
	v_mov_b32_e32 v7, 0x7e00
	s_movk_i32 s2, 0x40f
	s_mov_b32 s3, 0x8000
	s_waitcnt vmcnt(0)
	v_and_or_b32 v8, v9, s0, v8
	v_cmp_ne_u32_e32 vcc, 0, v8
	v_lshrrev_b32_e32 v10, 8, v9
	v_bfe_u32 v11, v9, 20, 11
	v_cndmask_b32_e64 v8, 0, 1, vcc
	v_sub_u32_e32 v12, 0x3f1, v11
	v_and_or_b32 v8, v10, s1, v8
	v_add_u32_e32 v11, 0xfffffc10, v11
	v_med3_i32 v10, v12, 0, 13
	v_or_b32_e32 v12, 0x1000, v8
	v_lshl_or_b32 v13, v11, 12, v8
	v_cmp_ne_u32_e32 vcc, 0, v8
	v_lshrrev_b32_e32 v8, v10, v12
	v_lshlrev_b32_e32 v10, v10, v8
	v_cndmask_b32_e32 v7, v1, v7, vcc
	v_cmp_ne_u32_e32 vcc, v10, v12
	v_lshrrev_b32_e32 v9, 16, v9
	s_mov_b64 s[0:1], 0
	v_cndmask_b32_e64 v10, 0, 1, vcc
	v_or_b32_e32 v8, v8, v10
	v_cmp_gt_i32_e32 vcc, 1, v11
	s_nop 1
	v_cndmask_b32_e32 v8, v13, v8, vcc
	v_and_b32_e32 v10, 7, v8
	v_cmp_lt_i32_e32 vcc, 5, v10
	v_lshrrev_b32_e32 v8, 2, v8
	s_nop 0
	v_cndmask_b32_e64 v12, 0, 1, vcc
	v_cmp_eq_u32_e32 vcc, 3, v10
	s_nop 1
	v_cndmask_b32_e64 v10, 0, 1, vcc
	v_or_b32_e32 v10, v10, v12
	v_add_u32_e32 v8, v8, v10
	v_cmp_gt_i32_e32 vcc, 31, v11
	s_nop 1
	v_cndmask_b32_e32 v1, v1, v8, vcc
	v_cmp_eq_u32_e32 vcc, s2, v11
	s_nop 1
	v_cndmask_b32_e32 v1, v1, v7, vcc
	v_and_or_b32 v1, v9, s3, v1
	s_branch .LBB240_1433
.LBB240_1431:
	s_mov_b64 s[0:1], -1
                                        ; implicit-def: $vgpr1
	s_branch .LBB240_1436
.LBB240_1432:
	s_mov_b64 s[0:1], -1
                                        ; implicit-def: $vgpr1
.LBB240_1433:
	s_andn2_b64 vcc, exec, s[0:1]
	s_cbranch_vccnz .LBB240_1435
; %bb.1434:
	global_load_dword v1, v[2:3], off
	s_waitcnt vmcnt(0)
	v_cvt_f16_f32_e32 v1, v1
.LBB240_1435:
	s_mov_b64 s[0:1], 0
.LBB240_1436:
	s_andn2_b64 vcc, exec, s[0:1]
	s_cbranch_vccnz .LBB240_1438
; %bb.1437:
	global_load_ushort v1, v[2:3], off
.LBB240_1438:
	v_mov_b32_e32 v8, 0
.LBB240_1439:
	s_cbranch_execnz .LBB240_1417
.LBB240_1440:
	s_cmp_lt_i32 s28, 2
	s_cbranch_scc1 .LBB240_1444
; %bb.1441:
	s_cmp_lt_i32 s28, 3
	s_cbranch_scc1 .LBB240_1445
; %bb.1442:
	s_cmp_gt_i32 s28, 3
	s_cbranch_scc0 .LBB240_1446
; %bb.1443:
	global_load_dwordx2 v[8:9], v[2:3], off
	s_mov_b64 s[0:1], 0
	s_waitcnt vmcnt(0)
	v_xor_b32_e32 v7, v8, v9
	v_ffbh_i32_e32 v1, v9
	v_ashrrev_i32_e32 v7, 31, v7
	v_add_u32_e32 v1, -1, v1
	v_add_u32_e32 v7, 32, v7
	v_min_u32_e32 v1, v1, v7
	v_lshlrev_b64 v[8:9], v1, v[8:9]
	v_min_u32_e32 v7, 1, v8
	v_or_b32_e32 v7, v9, v7
	v_cvt_f32_i32_e32 v7, v7
	v_sub_u32_e32 v1, 32, v1
	v_ldexp_f32 v1, v7, v1
	v_cvt_f16_f32_e32 v1, v1
	s_branch .LBB240_1447
.LBB240_1444:
	s_mov_b64 s[0:1], -1
                                        ; implicit-def: $vgpr1
	s_branch .LBB240_1453
.LBB240_1445:
	s_mov_b64 s[0:1], -1
                                        ; implicit-def: $vgpr1
	s_branch .LBB240_1450
.LBB240_1446:
	s_mov_b64 s[0:1], -1
                                        ; implicit-def: $vgpr1
.LBB240_1447:
	s_andn2_b64 vcc, exec, s[0:1]
	s_cbranch_vccnz .LBB240_1449
; %bb.1448:
	global_load_dword v1, v[2:3], off
	s_waitcnt vmcnt(0)
	v_cvt_f32_i32_e32 v1, v1
	v_cvt_f16_f32_e32 v1, v1
.LBB240_1449:
	s_mov_b64 s[0:1], 0
.LBB240_1450:
	s_andn2_b64 vcc, exec, s[0:1]
	s_cbranch_vccnz .LBB240_1452
; %bb.1451:
	global_load_ushort v1, v[2:3], off
	s_waitcnt vmcnt(0)
	v_cvt_f16_i16_e32 v1, v1
.LBB240_1452:
	s_mov_b64 s[0:1], 0
.LBB240_1453:
	s_andn2_b64 vcc, exec, s[0:1]
	s_cbranch_vccnz .LBB240_1459
; %bb.1454:
	s_cmp_gt_i32 s28, 0
	s_cbranch_scc0 .LBB240_1456
; %bb.1455:
	global_load_sbyte v1, v[2:3], off
	s_mov_b64 s[0:1], 0
	s_waitcnt vmcnt(0)
	v_cvt_f16_i16_e32 v1, v1
	s_branch .LBB240_1457
.LBB240_1456:
	s_mov_b64 s[0:1], -1
                                        ; implicit-def: $vgpr1
.LBB240_1457:
	s_andn2_b64 vcc, exec, s[0:1]
	s_cbranch_vccnz .LBB240_1459
; %bb.1458:
	global_load_ubyte v1, v[2:3], off
	s_waitcnt vmcnt(0)
	v_cvt_f16_u16_e32 v1, v1
.LBB240_1459:
	v_mov_b32_e32 v8, 0
.LBB240_1460:
	v_cvt_f32_f16_e32 v7, v8
	s_waitcnt vmcnt(0)
	v_cmp_neq_f16_e32 vcc, 0, v1
	v_cmp_neq_f16_e64 s[0:1], 0, v8
	s_or_b64 s[0:1], vcc, s[0:1]
	v_mov_b32_e32 v8, 0
	s_and_saveexec_b64 s[10:11], s[0:1]
	s_cbranch_execz .LBB240_1490
; %bb.1461:
	v_mov_b32_e32 v8, 0x7f800000
	v_cmp_neq_f32_e64 s[0:1], |v7|, v8
	s_and_saveexec_b64 s[18:19], s[0:1]
	s_cbranch_execz .LBB240_1489
; %bb.1462:
	v_cvt_f32_f16_e32 v2, v1
	v_cmp_o_f16_e32 vcc, v1, v1
                                        ; implicit-def: $vgpr8
	s_and_saveexec_b64 s[0:1], vcc
	s_xor_b64 s[20:21], exec, s[0:1]
	s_cbranch_execz .LBB240_1486
; %bb.1463:
	s_mov_b32 s0, 0x7f800000
	v_cmp_neq_f32_e64 s[0:1], |v2|, s0
                                        ; implicit-def: $vgpr8
	s_and_saveexec_b64 s[2:3], s[0:1]
	s_xor_b64 s[22:23], exec, s[2:3]
	s_cbranch_execz .LBB240_1479
; %bb.1464:
	v_max_f32_e64 v1, |v7|, |v7|
	v_max_f32_e64 v3, |v2|, |v2|
	v_max_f32_e32 v1, v3, v1
	s_mov_b32 s0, 0x7ed413cb
	v_cmp_nle_f32_e64 s[0:1], s0, v1
                                        ; implicit-def: $sgpr24_sgpr25
	s_and_saveexec_b64 s[2:3], s[0:1]
	s_xor_b64 s[2:3], exec, s[2:3]
	s_cbranch_execz .LBB240_1468
; %bb.1465:
	s_mov_b32 s26, 0x1000000
	v_cmp_le_f32_e64 s[24:25], |v2|, s26
	v_cmp_le_f32_e64 s[26:27], |v7|, s26
	s_and_b64 s[30:31], s[24:25], s[26:27]
	s_mov_b64 s[24:25], 0
	s_and_saveexec_b64 s[26:27], s[30:31]
; %bb.1466:
	s_mov_b64 s[24:25], exec
	v_mul_f32_e32 v2, 4.0, v2
	v_mul_f32_e32 v7, 4.0, v7
; %bb.1467:
	s_or_b64 exec, exec, s[26:27]
.LBB240_1468:
	s_andn2_saveexec_b64 s[2:3], s[2:3]
; %bb.1469:
	v_mul_f32_e32 v2, 0x3e800000, v2
	v_mul_f32_e32 v7, 0x3e800000, v7
	s_andn2_b64 s[24:25], s[24:25], exec
; %bb.1470:
	s_or_b64 exec, exec, s[2:3]
	v_max_f32_e64 v1, |v7|, |v7|
	v_max_f32_e64 v3, |v2|, |v2|
	v_max_f32_e32 v1, v3, v1
	v_cvt_f64_f32_e32 v[8:9], v1
	v_frexp_exp_i32_f64_e32 v3, v[8:9]
	v_sub_u32_e32 v8, 0, v3
	v_ldexp_f32 v9, |v2|, v8
	v_ldexp_f32 v8, |v7|, v8
	v_mul_f32_e32 v8, v8, v8
	v_fmac_f32_e32 v8, v9, v9
	v_sqrt_f32_e32 v8, v8
	s_mov_b32 s2, 0x7f800000
	v_cmp_neq_f32_e64 s[2:3], s2, v1
	v_cmp_le_f32_e32 vcc, 0, v2
	v_ldexp_f32 v3, v8, v3
	v_mov_b32_e32 v8, 0x7f800000
	v_cndmask_b32_e64 v8, v8, v3, s[2:3]
                                        ; implicit-def: $vgpr3
                                        ; implicit-def: $vgpr1
	s_and_saveexec_b64 s[2:3], vcc
	s_xor_b64 s[26:27], exec, s[2:3]
	s_cbranch_execz .LBB240_1472
; %bb.1471:
	v_add_f32_e32 v1, v2, v8
	v_mul_f32_e32 v1, 0.5, v1
	s_mov_b32 s2, 0xf800000
	v_mul_f32_e32 v2, 0x4f800000, v1
	v_cmp_gt_f32_e32 vcc, s2, v1
	s_nop 1
	v_cndmask_b32_e32 v1, v1, v2, vcc
	v_sqrt_f32_e32 v2, v1
	s_nop 0
	v_add_u32_e32 v3, -1, v2
	v_fma_f32 v8, -v3, v2, v1
	v_cmp_ge_f32_e64 s[2:3], 0, v8
	v_add_u32_e32 v8, 1, v2
	s_nop 0
	v_cndmask_b32_e64 v3, v2, v3, s[2:3]
	v_fma_f32 v2, -v8, v2, v1
	v_cmp_lt_f32_e64 s[2:3], 0, v2
	s_nop 1
	v_cndmask_b32_e64 v2, v3, v8, s[2:3]
	v_mul_f32_e32 v3, 0x37800000, v2
	v_cndmask_b32_e32 v2, v2, v3, vcc
	v_mov_b32_e32 v3, 0x260
	v_cmp_class_f32_e32 vcc, v1, v3
	s_nop 1
	v_cndmask_b32_e32 v1, v2, v1, vcc
	v_add_f32_e32 v2, v1, v1
	v_div_scale_f32 v3, s[2:3], v2, v2, v7
	v_rcp_f32_e32 v8, v3
	s_nop 0
	v_fma_f32 v9, -v3, v8, 1.0
	v_fmac_f32_e32 v8, v9, v8
	v_div_scale_f32 v9, vcc, v7, v2, v7
	v_mul_f32_e32 v10, v9, v8
	v_fma_f32 v11, -v3, v10, v9
	v_fmac_f32_e32 v10, v11, v8
	v_fma_f32 v3, -v3, v10, v9
	v_div_fmas_f32 v3, v3, v8, v10
	v_div_fixup_f32 v3, v3, v2, v7
                                        ; implicit-def: $vgpr8
                                        ; implicit-def: $vgpr2
                                        ; implicit-def: $vgpr7
	s_andn2_saveexec_b64 s[26:27], s[26:27]
	s_cbranch_execz .LBB240_1474
	s_branch .LBB240_1473
.LBB240_1472:
	s_andn2_saveexec_b64 s[26:27], s[26:27]
	s_cbranch_execz .LBB240_1474
.LBB240_1473:
	v_sub_f32_e32 v1, v8, v2
	v_mul_f32_e32 v1, 0.5, v1
	s_mov_b32 s2, 0xf800000
	v_mul_f32_e32 v2, 0x4f800000, v1
	v_cmp_gt_f32_e32 vcc, s2, v1
	s_nop 1
	v_cndmask_b32_e32 v1, v1, v2, vcc
	v_sqrt_f32_e32 v2, v1
	s_nop 0
	v_add_u32_e32 v3, -1, v2
	v_fma_f32 v8, -v3, v2, v1
	v_cmp_ge_f32_e64 s[2:3], 0, v8
	v_add_u32_e32 v8, 1, v2
	s_nop 0
	v_cndmask_b32_e64 v3, v2, v3, s[2:3]
	v_fma_f32 v2, -v8, v2, v1
	v_cmp_lt_f32_e64 s[2:3], 0, v2
	s_nop 1
	v_cndmask_b32_e64 v2, v3, v8, s[2:3]
	v_mul_f32_e32 v3, 0x37800000, v2
	v_cndmask_b32_e32 v2, v2, v3, vcc
	v_mov_b32_e32 v3, 0x260
	v_cmp_class_f32_e32 vcc, v1, v3
	v_and_b32_e32 v3, 0x7fffffff, v7
	s_nop 0
	v_cndmask_b32_e32 v2, v2, v1, vcc
	v_add_f32_e32 v1, v2, v2
	v_div_scale_f32 v8, s[2:3], v1, v1, v3
	v_rcp_f32_e32 v9, v8
	v_div_scale_f32 v3, vcc, v3, v1, v3
	s_brev_b32 s2, -2
	v_fma_f32 v10, -v8, v9, 1.0
	v_fmac_f32_e32 v9, v10, v9
	v_mul_f32_e32 v10, v3, v9
	v_fma_f32 v11, -v8, v10, v3
	v_fmac_f32_e32 v10, v11, v9
	v_fma_f32 v3, -v8, v10, v3
	v_div_fmas_f32 v3, v3, v9, v10
	v_div_fixup_f32 v1, v3, v1, |v7|
	v_bfi_b32 v3, s2, v2, v7
.LBB240_1474:
	s_or_b64 exec, exec, s[26:27]
                                        ; implicit-def: $vgpr7
                                        ; implicit-def: $vgpr8
	s_and_saveexec_b64 s[2:3], s[0:1]
	s_xor_b64 s[0:1], exec, s[2:3]
	s_cbranch_execz .LBB240_1476
; %bb.1475:
	v_mul_f32_e32 v2, 0.5, v1
	v_mul_f32_e32 v7, 0.5, v3
	v_cndmask_b32_e64 v8, v1, v2, s[24:25]
	v_cndmask_b32_e64 v7, v3, v7, s[24:25]
                                        ; implicit-def: $vgpr1
                                        ; implicit-def: $vgpr3
	s_andn2_saveexec_b64 s[0:1], s[0:1]
	s_cbranch_execnz .LBB240_1477
	s_branch .LBB240_1478
.LBB240_1476:
	s_andn2_saveexec_b64 s[0:1], s[0:1]
.LBB240_1477:
	v_add_f32_e32 v8, v1, v1
	v_add_f32_e32 v7, v3, v3
.LBB240_1478:
	s_or_b64 exec, exec, s[0:1]
                                        ; implicit-def: $vgpr2
                                        ; implicit-def: $vgpr1
.LBB240_1479:
	s_andn2_saveexec_b64 s[0:1], s[22:23]
	s_cbranch_execz .LBB240_1485
; %bb.1480:
	v_cmp_lt_i16_e32 vcc, -1, v1
	v_sub_f32_e32 v1, v7, v7
	s_brev_b32 s22, -2
	v_and_b32_e32 v8, 0x7fffffff, v1
	s_and_saveexec_b64 s[2:3], vcc
	s_xor_b64 s[2:3], exec, s[2:3]
; %bb.1481:
	v_bfi_b32 v7, s22, v1, v7
	v_mov_b32_e32 v8, v2
; %bb.1482:
	s_andn2_saveexec_b64 s[2:3], s[2:3]
; %bb.1483:
	v_bfi_b32 v7, s22, v2, v7
; %bb.1484:
	s_or_b64 exec, exec, s[2:3]
.LBB240_1485:
	s_or_b64 exec, exec, s[0:1]
                                        ; implicit-def: $vgpr2
.LBB240_1486:
	s_andn2_saveexec_b64 s[0:1], s[20:21]
	s_cbranch_execz .LBB240_1488
; %bb.1487:
	v_sub_f32_e32 v1, v7, v7
	v_div_scale_f32 v3, vcc, v1, v1, v1
	v_rcp_f32_e32 v7, v3
	s_nop 0
	v_fma_f32 v8, -v3, v7, 1.0
	v_fmac_f32_e32 v7, v8, v7
	v_mul_f32_e32 v8, v3, v7
	v_fma_f32 v9, -v3, v8, v3
	v_fmac_f32_e32 v8, v9, v7
	v_fma_f32 v3, -v3, v8, v3
	v_div_fmas_f32 v3, v3, v7, v8
	v_div_fixup_f32 v7, v3, v1, v1
	v_mov_b32_e32 v8, v2
.LBB240_1488:
	s_or_b64 exec, exec, s[0:1]
.LBB240_1489:
	s_or_b64 exec, exec, s[18:19]
.LBB240_1490:
	s_or_b64 exec, exec, s[10:11]
	v_add_u32_e32 v0, s9, v0
	v_ashrrev_i32_e32 v1, 31, v0
	s_cmp_lt_i32 s28, 11
	v_lshl_add_u64 v[2:3], s[6:7], 0, v[0:1]
	s_cbranch_scc1 .LBB240_1497
; %bb.1491:
	s_cmp_gt_i32 s28, 25
	s_mov_b64 s[2:3], 0
	s_cbranch_scc0 .LBB240_1499
; %bb.1492:
	s_cmp_gt_i32 s28, 28
	s_cbranch_scc0 .LBB240_1510
; %bb.1493:
	s_cmp_gt_i32 s28, 43
	s_cbranch_scc0 .LBB240_1512
; %bb.1494:
	s_cmp_gt_i32 s28, 45
	s_cbranch_scc0 .LBB240_1515
; %bb.1495:
	s_cmp_eq_u32 s28, 46
	s_mov_b64 s[18:19], 0
	s_cbranch_scc0 .LBB240_1599
; %bb.1496:
	global_load_dword v1, v[2:3], off
	s_mov_b64 s[0:1], 0
	s_mov_b64 s[10:11], -1
	s_waitcnt vmcnt(0)
	v_and_b32_e32 v9, 0xffff0000, v1
	v_lshlrev_b32_e32 v1, 16, v1
	v_cvt_f16_f32_e32 v1, v1
	v_cvt_f16_f32_e32 v10, v9
	s_branch .LBB240_1600
.LBB240_1497:
	s_mov_b64 s[10:11], 0
                                        ; implicit-def: $vgpr10
                                        ; implicit-def: $vgpr1
	s_cbranch_execnz .LBB240_1504
.LBB240_1498:
	s_andn2_b64 vcc, exec, s[10:11]
	s_cbranch_vccnz .LBB240_2252
	s_branch .LBB240_1558
.LBB240_1499:
	s_mov_b64 s[10:11], 0
	s_mov_b64 s[0:1], 0
                                        ; implicit-def: $vgpr10
                                        ; implicit-def: $vgpr1
	s_cbranch_execnz .LBB240_1632
.LBB240_1500:
	s_and_b64 vcc, exec, s[0:1]
	s_cbranch_vccnz .LBB240_1665
.LBB240_1501:
	s_andn2_b64 vcc, exec, s[2:3]
	s_cbranch_vccnz .LBB240_1503
.LBB240_1502:
	global_load_ubyte v1, v[2:3], off
	v_mov_b32_e32 v9, 0x3c00
	v_mov_b32_e32 v10, 0
	s_mov_b64 s[10:11], -1
	s_waitcnt vmcnt(0)
	v_cmp_ne_u16_e32 vcc, 0, v1
	s_nop 1
	v_cndmask_b32_e32 v1, 0, v9, vcc
.LBB240_1503:
	s_branch .LBB240_1498
.LBB240_1504:
	s_cmp_lt_i32 s28, 5
	s_cbranch_scc1 .LBB240_1509
; %bb.1505:
	s_cmp_lt_i32 s28, 8
	s_cbranch_scc1 .LBB240_1511
; %bb.1506:
	s_cmp_lt_i32 s28, 9
	s_cbranch_scc1 .LBB240_1513
; %bb.1507:
	s_cmp_gt_i32 s28, 9
	s_cbranch_scc0 .LBB240_1516
; %bb.1508:
	global_load_dwordx4 v[10:13], v[2:3], off
	s_movk_i32 s0, 0x1ff
	s_movk_i32 s1, 0xffe
	v_mov_b32_e32 v1, 0x7c00
	v_mov_b32_e32 v9, 0x7e00
	s_movk_i32 s2, 0x40f
	s_mov_b32 s3, 0x8000
	s_waitcnt vmcnt(0)
	v_and_or_b32 v10, v11, s0, v10
	v_and_or_b32 v12, v13, s0, v12
	v_cmp_ne_u32_e32 vcc, 0, v10
	v_lshrrev_b32_e32 v14, 8, v11
	v_bfe_u32 v15, v11, 20, 11
	v_cndmask_b32_e64 v10, 0, 1, vcc
	v_cmp_ne_u32_e32 vcc, 0, v12
	v_lshrrev_b32_e32 v16, 8, v13
	v_bfe_u32 v17, v13, 20, 11
	v_sub_u32_e32 v18, 0x3f1, v15
	v_cndmask_b32_e64 v12, 0, 1, vcc
	v_and_or_b32 v10, v14, s1, v10
	v_add_u32_e32 v15, 0xfffffc10, v15
	v_sub_u32_e32 v19, 0x3f1, v17
	v_add_u32_e32 v17, 0xfffffc10, v17
	v_med3_i32 v14, v18, 0, 13
	v_and_or_b32 v12, v16, s1, v12
	v_or_b32_e32 v18, 0x1000, v10
	v_cmp_ne_u32_e32 vcc, 0, v10
	v_med3_i32 v16, v19, 0, 13
	v_lshl_or_b32 v19, v15, 12, v10
	v_cndmask_b32_e32 v10, v1, v9, vcc
	v_or_b32_e32 v20, 0x1000, v12
	v_lshl_or_b32 v21, v17, 12, v12
	v_cmp_ne_u32_e32 vcc, 0, v12
	v_lshrrev_b32_e32 v12, v14, v18
	v_lshrrev_b32_e32 v22, v16, v20
	v_lshlrev_b32_e32 v14, v14, v12
	v_cndmask_b32_e32 v9, v1, v9, vcc
	v_lshlrev_b32_e32 v16, v16, v22
	v_cmp_ne_u32_e32 vcc, v14, v18
	v_lshrrev_b32_e32 v11, 16, v11
	v_lshrrev_b32_e32 v13, 16, v13
	v_cndmask_b32_e64 v14, 0, 1, vcc
	v_cmp_ne_u32_e32 vcc, v16, v20
	v_or_b32_e32 v12, v12, v14
	s_mov_b64 s[0:1], 0
	v_cndmask_b32_e64 v16, 0, 1, vcc
	v_cmp_gt_i32_e32 vcc, 1, v15
	v_or_b32_e32 v14, v22, v16
	s_nop 0
	v_cndmask_b32_e32 v12, v19, v12, vcc
	v_cmp_gt_i32_e32 vcc, 1, v17
	v_and_b32_e32 v16, 7, v12
	v_lshrrev_b32_e32 v12, 2, v12
	v_cndmask_b32_e32 v14, v21, v14, vcc
	v_cmp_lt_i32_e32 vcc, 5, v16
	v_and_b32_e32 v18, 7, v14
	v_lshrrev_b32_e32 v14, 2, v14
	v_cndmask_b32_e64 v19, 0, 1, vcc
	v_cmp_eq_u32_e32 vcc, 3, v16
	s_nop 1
	v_cndmask_b32_e64 v16, 0, 1, vcc
	v_cmp_lt_i32_e32 vcc, 5, v18
	v_or_b32_e32 v16, v16, v19
	v_add_u32_e32 v12, v12, v16
	v_cndmask_b32_e64 v20, 0, 1, vcc
	v_cmp_eq_u32_e32 vcc, 3, v18
	s_nop 1
	v_cndmask_b32_e64 v18, 0, 1, vcc
	v_or_b32_e32 v18, v18, v20
	v_cmp_gt_i32_e32 vcc, 31, v15
	v_add_u32_e32 v14, v14, v18
	s_nop 0
	v_cndmask_b32_e32 v12, v1, v12, vcc
	v_cmp_gt_i32_e32 vcc, 31, v17
	s_nop 1
	v_cndmask_b32_e32 v1, v1, v14, vcc
	v_cmp_eq_u32_e32 vcc, s2, v15
	s_nop 1
	v_cndmask_b32_e32 v10, v12, v10, vcc
	v_cmp_eq_u32_e32 vcc, s2, v17
	s_nop 1
	v_cndmask_b32_e32 v9, v1, v9, vcc
	v_and_or_b32 v1, v11, s3, v10
	v_and_or_b32 v10, v13, s3, v9
	s_branch .LBB240_1517
.LBB240_1509:
	s_mov_b64 s[0:1], -1
                                        ; implicit-def: $vgpr10
                                        ; implicit-def: $vgpr1
	s_branch .LBB240_1536
.LBB240_1510:
	s_mov_b64 s[18:19], -1
	s_mov_b64 s[10:11], 0
	s_mov_b64 s[0:1], 0
                                        ; implicit-def: $vgpr10
                                        ; implicit-def: $vgpr1
	s_branch .LBB240_1613
.LBB240_1511:
	s_mov_b64 s[0:1], -1
                                        ; implicit-def: $vgpr10
                                        ; implicit-def: $vgpr1
	s_branch .LBB240_1523
.LBB240_1512:
	s_mov_b64 s[18:19], -1
	s_mov_b64 s[10:11], 0
	s_mov_b64 s[0:1], 0
                                        ; implicit-def: $vgpr10
                                        ; implicit-def: $vgpr1
	s_branch .LBB240_1607
.LBB240_1513:
	s_mov_b64 s[0:1], -1
                                        ; implicit-def: $vgpr10
                                        ; implicit-def: $vgpr1
	s_branch .LBB240_1520
.LBB240_1514:
	s_trap 2
	s_or_b64 s[16:17], s[16:17], exec
	s_cbranch_execz .LBB240_1409
	s_branch .LBB240_1410
.LBB240_1515:
	s_mov_b64 s[18:19], -1
	s_mov_b64 s[10:11], 0
	s_mov_b64 s[0:1], 0
                                        ; implicit-def: $vgpr10
                                        ; implicit-def: $vgpr1
	s_branch .LBB240_1600
.LBB240_1516:
	s_mov_b64 s[0:1], -1
                                        ; implicit-def: $vgpr10
                                        ; implicit-def: $vgpr1
.LBB240_1517:
	s_andn2_b64 vcc, exec, s[0:1]
	s_cbranch_vccnz .LBB240_1519
; %bb.1518:
	global_load_dwordx2 v[10:11], v[2:3], off
	s_waitcnt vmcnt(0)
	v_cvt_f16_f32_e32 v1, v10
	v_cvt_f16_f32_e32 v10, v11
.LBB240_1519:
	s_mov_b64 s[0:1], 0
.LBB240_1520:
	s_andn2_b64 vcc, exec, s[0:1]
	s_cbranch_vccnz .LBB240_1522
; %bb.1521:
	global_load_dword v1, v[2:3], off
	s_waitcnt vmcnt(0)
	v_lshrrev_b32_e32 v10, 16, v1
.LBB240_1522:
	s_mov_b64 s[0:1], 0
.LBB240_1523:
	s_andn2_b64 vcc, exec, s[0:1]
	s_cbranch_vccnz .LBB240_1535
; %bb.1524:
	s_cmp_lt_i32 s28, 6
	s_cbranch_scc1 .LBB240_1527
; %bb.1525:
	s_cmp_gt_i32 s28, 6
	s_cbranch_scc0 .LBB240_1528
; %bb.1526:
	global_load_dwordx2 v[10:11], v[2:3], off
	s_movk_i32 s0, 0x1ff
	s_movk_i32 s1, 0xffe
	v_mov_b32_e32 v1, 0x7c00
	v_mov_b32_e32 v9, 0x7e00
	s_movk_i32 s2, 0x40f
	s_mov_b32 s3, 0x8000
	s_waitcnt vmcnt(0)
	v_and_or_b32 v10, v11, s0, v10
	v_cmp_ne_u32_e32 vcc, 0, v10
	v_lshrrev_b32_e32 v12, 8, v11
	v_bfe_u32 v13, v11, 20, 11
	v_cndmask_b32_e64 v10, 0, 1, vcc
	v_sub_u32_e32 v14, 0x3f1, v13
	v_and_or_b32 v10, v12, s1, v10
	v_add_u32_e32 v13, 0xfffffc10, v13
	v_med3_i32 v12, v14, 0, 13
	v_or_b32_e32 v14, 0x1000, v10
	v_lshl_or_b32 v15, v13, 12, v10
	v_cmp_ne_u32_e32 vcc, 0, v10
	v_lshrrev_b32_e32 v10, v12, v14
	v_lshlrev_b32_e32 v12, v12, v10
	v_cndmask_b32_e32 v9, v1, v9, vcc
	v_cmp_ne_u32_e32 vcc, v12, v14
	v_lshrrev_b32_e32 v11, 16, v11
	s_mov_b64 s[0:1], 0
	v_cndmask_b32_e64 v12, 0, 1, vcc
	v_or_b32_e32 v10, v10, v12
	v_cmp_gt_i32_e32 vcc, 1, v13
	s_nop 1
	v_cndmask_b32_e32 v10, v15, v10, vcc
	v_and_b32_e32 v12, 7, v10
	v_cmp_lt_i32_e32 vcc, 5, v12
	v_lshrrev_b32_e32 v10, 2, v10
	s_nop 0
	v_cndmask_b32_e64 v14, 0, 1, vcc
	v_cmp_eq_u32_e32 vcc, 3, v12
	s_nop 1
	v_cndmask_b32_e64 v12, 0, 1, vcc
	v_or_b32_e32 v12, v12, v14
	v_add_u32_e32 v10, v10, v12
	v_cmp_gt_i32_e32 vcc, 31, v13
	s_nop 1
	v_cndmask_b32_e32 v1, v1, v10, vcc
	v_cmp_eq_u32_e32 vcc, s2, v13
	s_nop 1
	v_cndmask_b32_e32 v1, v1, v9, vcc
	v_and_or_b32 v1, v11, s3, v1
	s_branch .LBB240_1529
.LBB240_1527:
	s_mov_b64 s[0:1], -1
                                        ; implicit-def: $vgpr1
	s_branch .LBB240_1532
.LBB240_1528:
	s_mov_b64 s[0:1], -1
                                        ; implicit-def: $vgpr1
.LBB240_1529:
	s_andn2_b64 vcc, exec, s[0:1]
	s_cbranch_vccnz .LBB240_1531
; %bb.1530:
	global_load_dword v1, v[2:3], off
	s_waitcnt vmcnt(0)
	v_cvt_f16_f32_e32 v1, v1
.LBB240_1531:
	s_mov_b64 s[0:1], 0
.LBB240_1532:
	s_andn2_b64 vcc, exec, s[0:1]
	s_cbranch_vccnz .LBB240_1534
; %bb.1533:
	global_load_ushort v1, v[2:3], off
.LBB240_1534:
	v_mov_b32_e32 v10, 0
.LBB240_1535:
	s_mov_b64 s[0:1], 0
.LBB240_1536:
	s_andn2_b64 vcc, exec, s[0:1]
	s_cbranch_vccnz .LBB240_1557
; %bb.1537:
	s_cmp_lt_i32 s28, 2
	s_cbranch_scc1 .LBB240_1541
; %bb.1538:
	s_cmp_lt_i32 s28, 3
	s_cbranch_scc1 .LBB240_1542
; %bb.1539:
	s_cmp_gt_i32 s28, 3
	s_cbranch_scc0 .LBB240_1543
; %bb.1540:
	global_load_dwordx2 v[10:11], v[2:3], off
	s_mov_b64 s[0:1], 0
	s_waitcnt vmcnt(0)
	v_xor_b32_e32 v9, v10, v11
	v_ffbh_i32_e32 v1, v11
	v_ashrrev_i32_e32 v9, 31, v9
	v_add_u32_e32 v1, -1, v1
	v_add_u32_e32 v9, 32, v9
	v_min_u32_e32 v1, v1, v9
	v_lshlrev_b64 v[10:11], v1, v[10:11]
	v_min_u32_e32 v9, 1, v10
	v_or_b32_e32 v9, v11, v9
	v_cvt_f32_i32_e32 v9, v9
	v_sub_u32_e32 v1, 32, v1
	v_ldexp_f32 v1, v9, v1
	v_cvt_f16_f32_e32 v1, v1
	s_branch .LBB240_1544
.LBB240_1541:
	s_mov_b64 s[0:1], -1
                                        ; implicit-def: $vgpr1
	s_branch .LBB240_1550
.LBB240_1542:
	s_mov_b64 s[0:1], -1
                                        ; implicit-def: $vgpr1
	s_branch .LBB240_1547
.LBB240_1543:
	s_mov_b64 s[0:1], -1
                                        ; implicit-def: $vgpr1
.LBB240_1544:
	s_andn2_b64 vcc, exec, s[0:1]
	s_cbranch_vccnz .LBB240_1546
; %bb.1545:
	global_load_dword v1, v[2:3], off
	s_waitcnt vmcnt(0)
	v_cvt_f32_i32_e32 v1, v1
	v_cvt_f16_f32_e32 v1, v1
.LBB240_1546:
	s_mov_b64 s[0:1], 0
.LBB240_1547:
	s_andn2_b64 vcc, exec, s[0:1]
	s_cbranch_vccnz .LBB240_1549
; %bb.1548:
	global_load_ushort v1, v[2:3], off
	s_waitcnt vmcnt(0)
	v_cvt_f16_i16_e32 v1, v1
.LBB240_1549:
	s_mov_b64 s[0:1], 0
.LBB240_1550:
	s_andn2_b64 vcc, exec, s[0:1]
	s_cbranch_vccnz .LBB240_1556
; %bb.1551:
	s_cmp_gt_i32 s28, 0
	s_cbranch_scc0 .LBB240_1553
; %bb.1552:
	global_load_sbyte v1, v[2:3], off
	s_mov_b64 s[0:1], 0
	s_waitcnt vmcnt(0)
	v_cvt_f16_i16_e32 v1, v1
	s_branch .LBB240_1554
.LBB240_1553:
	s_mov_b64 s[0:1], -1
                                        ; implicit-def: $vgpr1
.LBB240_1554:
	s_andn2_b64 vcc, exec, s[0:1]
	s_cbranch_vccnz .LBB240_1556
; %bb.1555:
	global_load_ubyte v1, v[2:3], off
	s_waitcnt vmcnt(0)
	v_cvt_f16_u16_e32 v1, v1
.LBB240_1556:
	v_mov_b32_e32 v10, 0
.LBB240_1557:
.LBB240_1558:
	v_cvt_f32_f16_e32 v9, v10
	s_waitcnt vmcnt(0)
	v_cmp_neq_f16_e32 vcc, 0, v1
	v_cmp_neq_f16_e64 s[0:1], 0, v10
	s_or_b64 s[0:1], vcc, s[0:1]
	v_mov_b32_e32 v10, 0
	s_and_saveexec_b64 s[10:11], s[0:1]
	s_cbranch_execz .LBB240_1588
; %bb.1559:
	v_mov_b32_e32 v10, 0x7f800000
	v_cmp_neq_f32_e64 s[0:1], |v9|, v10
	s_and_saveexec_b64 s[18:19], s[0:1]
	s_cbranch_execz .LBB240_1587
; %bb.1560:
	v_cvt_f32_f16_e32 v2, v1
	v_cmp_o_f16_e32 vcc, v1, v1
                                        ; implicit-def: $vgpr10
	s_and_saveexec_b64 s[0:1], vcc
	s_xor_b64 s[20:21], exec, s[0:1]
	s_cbranch_execz .LBB240_1584
; %bb.1561:
	s_mov_b32 s0, 0x7f800000
	v_cmp_neq_f32_e64 s[0:1], |v2|, s0
                                        ; implicit-def: $vgpr10
	s_and_saveexec_b64 s[2:3], s[0:1]
	s_xor_b64 s[22:23], exec, s[2:3]
	s_cbranch_execz .LBB240_1577
; %bb.1562:
	v_max_f32_e64 v1, |v9|, |v9|
	v_max_f32_e64 v3, |v2|, |v2|
	v_max_f32_e32 v1, v3, v1
	s_mov_b32 s0, 0x7ed413cb
	v_cmp_nle_f32_e64 s[0:1], s0, v1
                                        ; implicit-def: $sgpr24_sgpr25
	s_and_saveexec_b64 s[2:3], s[0:1]
	s_xor_b64 s[2:3], exec, s[2:3]
	s_cbranch_execz .LBB240_1566
; %bb.1563:
	s_mov_b32 s26, 0x1000000
	v_cmp_le_f32_e64 s[24:25], |v2|, s26
	v_cmp_le_f32_e64 s[26:27], |v9|, s26
	s_and_b64 s[30:31], s[24:25], s[26:27]
	s_mov_b64 s[24:25], 0
	s_and_saveexec_b64 s[26:27], s[30:31]
; %bb.1564:
	s_mov_b64 s[24:25], exec
	v_mul_f32_e32 v2, 4.0, v2
	v_mul_f32_e32 v9, 4.0, v9
; %bb.1565:
	s_or_b64 exec, exec, s[26:27]
.LBB240_1566:
	s_andn2_saveexec_b64 s[2:3], s[2:3]
; %bb.1567:
	v_mul_f32_e32 v2, 0x3e800000, v2
	v_mul_f32_e32 v9, 0x3e800000, v9
	s_andn2_b64 s[24:25], s[24:25], exec
; %bb.1568:
	s_or_b64 exec, exec, s[2:3]
	v_max_f32_e64 v1, |v9|, |v9|
	v_max_f32_e64 v3, |v2|, |v2|
	v_max_f32_e32 v1, v3, v1
	v_cvt_f64_f32_e32 v[10:11], v1
	v_frexp_exp_i32_f64_e32 v3, v[10:11]
	v_sub_u32_e32 v10, 0, v3
	v_ldexp_f32 v11, |v2|, v10
	v_ldexp_f32 v10, |v9|, v10
	v_mul_f32_e32 v10, v10, v10
	v_fmac_f32_e32 v10, v11, v11
	v_sqrt_f32_e32 v10, v10
	s_mov_b32 s2, 0x7f800000
	v_cmp_neq_f32_e64 s[2:3], s2, v1
	v_cmp_le_f32_e32 vcc, 0, v2
	v_ldexp_f32 v3, v10, v3
	v_mov_b32_e32 v10, 0x7f800000
	v_cndmask_b32_e64 v10, v10, v3, s[2:3]
                                        ; implicit-def: $vgpr3
                                        ; implicit-def: $vgpr1
	s_and_saveexec_b64 s[2:3], vcc
	s_xor_b64 s[26:27], exec, s[2:3]
	s_cbranch_execz .LBB240_1570
; %bb.1569:
	v_add_f32_e32 v1, v2, v10
	v_mul_f32_e32 v1, 0.5, v1
	s_mov_b32 s2, 0xf800000
	v_mul_f32_e32 v2, 0x4f800000, v1
	v_cmp_gt_f32_e32 vcc, s2, v1
	s_nop 1
	v_cndmask_b32_e32 v1, v1, v2, vcc
	v_sqrt_f32_e32 v2, v1
	s_nop 0
	v_add_u32_e32 v3, -1, v2
	v_fma_f32 v10, -v3, v2, v1
	v_cmp_ge_f32_e64 s[2:3], 0, v10
	v_add_u32_e32 v10, 1, v2
	s_nop 0
	v_cndmask_b32_e64 v3, v2, v3, s[2:3]
	v_fma_f32 v2, -v10, v2, v1
	v_cmp_lt_f32_e64 s[2:3], 0, v2
	s_nop 1
	v_cndmask_b32_e64 v2, v3, v10, s[2:3]
	v_mul_f32_e32 v3, 0x37800000, v2
	v_cndmask_b32_e32 v2, v2, v3, vcc
	v_mov_b32_e32 v3, 0x260
	v_cmp_class_f32_e32 vcc, v1, v3
	s_nop 1
	v_cndmask_b32_e32 v1, v2, v1, vcc
	v_add_f32_e32 v2, v1, v1
	v_div_scale_f32 v3, s[2:3], v2, v2, v9
	v_rcp_f32_e32 v10, v3
	s_nop 0
	v_fma_f32 v11, -v3, v10, 1.0
	v_fmac_f32_e32 v10, v11, v10
	v_div_scale_f32 v11, vcc, v9, v2, v9
	v_mul_f32_e32 v12, v11, v10
	v_fma_f32 v13, -v3, v12, v11
	v_fmac_f32_e32 v12, v13, v10
	v_fma_f32 v3, -v3, v12, v11
	v_div_fmas_f32 v3, v3, v10, v12
	v_div_fixup_f32 v3, v3, v2, v9
                                        ; implicit-def: $vgpr10
                                        ; implicit-def: $vgpr2
                                        ; implicit-def: $vgpr9
	s_andn2_saveexec_b64 s[26:27], s[26:27]
	s_cbranch_execz .LBB240_1572
	s_branch .LBB240_1571
.LBB240_1570:
	s_andn2_saveexec_b64 s[26:27], s[26:27]
	s_cbranch_execz .LBB240_1572
.LBB240_1571:
	v_sub_f32_e32 v1, v10, v2
	v_mul_f32_e32 v1, 0.5, v1
	s_mov_b32 s2, 0xf800000
	v_mul_f32_e32 v2, 0x4f800000, v1
	v_cmp_gt_f32_e32 vcc, s2, v1
	s_nop 1
	v_cndmask_b32_e32 v1, v1, v2, vcc
	v_sqrt_f32_e32 v2, v1
	s_nop 0
	v_add_u32_e32 v3, -1, v2
	v_fma_f32 v10, -v3, v2, v1
	v_cmp_ge_f32_e64 s[2:3], 0, v10
	v_add_u32_e32 v10, 1, v2
	s_nop 0
	v_cndmask_b32_e64 v3, v2, v3, s[2:3]
	v_fma_f32 v2, -v10, v2, v1
	v_cmp_lt_f32_e64 s[2:3], 0, v2
	s_nop 1
	v_cndmask_b32_e64 v2, v3, v10, s[2:3]
	v_mul_f32_e32 v3, 0x37800000, v2
	v_cndmask_b32_e32 v2, v2, v3, vcc
	v_mov_b32_e32 v3, 0x260
	v_cmp_class_f32_e32 vcc, v1, v3
	v_and_b32_e32 v3, 0x7fffffff, v9
	s_nop 0
	v_cndmask_b32_e32 v2, v2, v1, vcc
	v_add_f32_e32 v1, v2, v2
	v_div_scale_f32 v10, s[2:3], v1, v1, v3
	v_rcp_f32_e32 v11, v10
	v_div_scale_f32 v3, vcc, v3, v1, v3
	s_brev_b32 s2, -2
	v_fma_f32 v12, -v10, v11, 1.0
	v_fmac_f32_e32 v11, v12, v11
	v_mul_f32_e32 v12, v3, v11
	v_fma_f32 v13, -v10, v12, v3
	v_fmac_f32_e32 v12, v13, v11
	v_fma_f32 v3, -v10, v12, v3
	v_div_fmas_f32 v3, v3, v11, v12
	v_div_fixup_f32 v1, v3, v1, |v9|
	v_bfi_b32 v3, s2, v2, v9
.LBB240_1572:
	s_or_b64 exec, exec, s[26:27]
                                        ; implicit-def: $vgpr9
                                        ; implicit-def: $vgpr10
	s_and_saveexec_b64 s[2:3], s[0:1]
	s_xor_b64 s[0:1], exec, s[2:3]
	s_cbranch_execz .LBB240_1574
; %bb.1573:
	v_mul_f32_e32 v2, 0.5, v1
	v_mul_f32_e32 v9, 0.5, v3
	v_cndmask_b32_e64 v10, v1, v2, s[24:25]
	v_cndmask_b32_e64 v9, v3, v9, s[24:25]
                                        ; implicit-def: $vgpr1
                                        ; implicit-def: $vgpr3
	s_andn2_saveexec_b64 s[0:1], s[0:1]
	s_cbranch_execnz .LBB240_1575
	s_branch .LBB240_1576
.LBB240_1574:
	s_andn2_saveexec_b64 s[0:1], s[0:1]
.LBB240_1575:
	v_add_f32_e32 v10, v1, v1
	v_add_f32_e32 v9, v3, v3
.LBB240_1576:
	s_or_b64 exec, exec, s[0:1]
                                        ; implicit-def: $vgpr2
                                        ; implicit-def: $vgpr1
.LBB240_1577:
	s_andn2_saveexec_b64 s[0:1], s[22:23]
	s_cbranch_execz .LBB240_1583
; %bb.1578:
	v_cmp_lt_i16_e32 vcc, -1, v1
	v_sub_f32_e32 v1, v9, v9
	s_brev_b32 s22, -2
	v_and_b32_e32 v10, 0x7fffffff, v1
	s_and_saveexec_b64 s[2:3], vcc
	s_xor_b64 s[2:3], exec, s[2:3]
; %bb.1579:
	v_bfi_b32 v9, s22, v1, v9
	v_mov_b32_e32 v10, v2
; %bb.1580:
	s_andn2_saveexec_b64 s[2:3], s[2:3]
; %bb.1581:
	v_bfi_b32 v9, s22, v2, v9
; %bb.1582:
	s_or_b64 exec, exec, s[2:3]
.LBB240_1583:
	s_or_b64 exec, exec, s[0:1]
                                        ; implicit-def: $vgpr2
.LBB240_1584:
	s_andn2_saveexec_b64 s[0:1], s[20:21]
	s_cbranch_execz .LBB240_1586
; %bb.1585:
	v_sub_f32_e32 v1, v9, v9
	v_div_scale_f32 v3, vcc, v1, v1, v1
	v_rcp_f32_e32 v9, v3
	s_nop 0
	v_fma_f32 v10, -v3, v9, 1.0
	v_fmac_f32_e32 v9, v10, v9
	v_mul_f32_e32 v10, v3, v9
	v_fma_f32 v11, -v3, v10, v3
	v_fmac_f32_e32 v10, v11, v9
	v_fma_f32 v3, -v3, v10, v3
	v_div_fmas_f32 v3, v3, v9, v10
	v_div_fixup_f32 v9, v3, v1, v1
	v_mov_b32_e32 v10, v2
.LBB240_1586:
	s_or_b64 exec, exec, s[0:1]
.LBB240_1587:
	s_or_b64 exec, exec, s[18:19]
.LBB240_1588:
	s_or_b64 exec, exec, s[10:11]
	v_add_u32_e32 v0, s9, v0
	v_ashrrev_i32_e32 v1, 31, v0
	s_cmp_lt_i32 s28, 11
	v_lshl_add_u64 v[0:1], s[6:7], 0, v[0:1]
	s_cbranch_scc1 .LBB240_1595
; %bb.1589:
	s_cmp_gt_i32 s28, 25
	s_mov_b64 s[2:3], 0
	s_cbranch_scc0 .LBB240_1596
; %bb.1590:
	s_cmp_gt_i32 s28, 28
	s_cbranch_scc0 .LBB240_1597
; %bb.1591:
	s_cmp_gt_i32 s28, 43
	;; [unrolled: 3-line block ×3, first 2 shown]
	s_cbranch_scc0 .LBB240_1603
; %bb.1593:
	s_cmp_eq_u32 s28, 46
	s_mov_b64 s[10:11], 0
	s_cbranch_scc0 .LBB240_1666
; %bb.1594:
	global_load_dword v2, v[0:1], off
	s_mov_b64 s[0:1], 0
	s_mov_b64 s[6:7], -1
	s_waitcnt vmcnt(0)
	v_and_b32_e32 v3, 0xffff0000, v2
	v_lshlrev_b32_e32 v2, 16, v2
	v_cvt_f16_f32_e32 v2, v2
	v_cvt_f16_f32_e32 v3, v3
	s_branch .LBB240_1667
.LBB240_1595:
	s_mov_b64 s[0:1], -1
	s_mov_b64 s[6:7], 0
                                        ; implicit-def: $vgpr3
                                        ; implicit-def: $vgpr2
	s_branch .LBB240_1713
.LBB240_1596:
	s_mov_b64 s[10:11], -1
	s_mov_b64 s[6:7], 0
	s_mov_b64 s[0:1], 0
                                        ; implicit-def: $vgpr3
                                        ; implicit-def: $vgpr2
	s_branch .LBB240_1698
.LBB240_1597:
	s_mov_b64 s[10:11], -1
	s_mov_b64 s[6:7], 0
	s_mov_b64 s[0:1], 0
                                        ; implicit-def: $vgpr3
                                        ; implicit-def: $vgpr2
	s_branch .LBB240_1679
.LBB240_1598:
	s_mov_b64 s[10:11], -1
	s_mov_b64 s[6:7], 0
	s_mov_b64 s[0:1], 0
                                        ; implicit-def: $vgpr3
                                        ; implicit-def: $vgpr2
	s_branch .LBB240_1673
.LBB240_1599:
	s_mov_b64 s[0:1], -1
                                        ; implicit-def: $vgpr10
                                        ; implicit-def: $vgpr1
	s_mov_b64 s[10:11], 0
.LBB240_1600:
	s_and_b64 vcc, exec, s[18:19]
	s_cbranch_vccz .LBB240_1606
; %bb.1601:
	s_cmp_eq_u32 s28, 44
	s_cbranch_scc0 .LBB240_1604
; %bb.1602:
	global_load_ubyte v1, v[2:3], off
	s_movk_i32 s10, 0xff
	v_mov_b32_e32 v10, 0x7e00
	s_mov_b64 s[0:1], 0
	s_waitcnt vmcnt(0)
	v_lshlrev_b32_e32 v9, 23, v1
	v_cvt_f16_f32_e32 v9, v9
	v_cmp_ne_u32_e32 vcc, s10, v1
	s_mov_b64 s[10:11], -1
	s_nop 0
	v_cndmask_b32_e32 v9, v10, v9, vcc
	v_cmp_ne_u32_e32 vcc, 0, v1
	s_nop 1
	v_cndmask_b32_e32 v1, 0, v9, vcc
	s_branch .LBB240_1605
.LBB240_1603:
	s_mov_b64 s[10:11], -1
	s_mov_b64 s[6:7], 0
	s_mov_b64 s[0:1], 0
                                        ; implicit-def: $vgpr3
                                        ; implicit-def: $vgpr2
	s_branch .LBB240_1667
.LBB240_1604:
	s_mov_b64 s[0:1], -1
                                        ; implicit-def: $vgpr1
.LBB240_1605:
	v_mov_b32_e32 v10, 0
.LBB240_1606:
	s_mov_b64 s[18:19], 0
.LBB240_1607:
	s_and_b64 vcc, exec, s[18:19]
	s_cbranch_vccz .LBB240_1612
; %bb.1608:
	s_cmp_eq_u32 s28, 29
	s_cbranch_scc0 .LBB240_1610
; %bb.1609:
	global_load_dwordx2 v[10:11], v[2:3], off
	s_mov_b64 s[0:1], 0
	s_mov_b64 s[10:11], -1
	s_waitcnt vmcnt(0)
	v_ffbh_u32_e32 v1, v11
	v_min_u32_e32 v1, 32, v1
	v_lshlrev_b64 v[10:11], v1, v[10:11]
	v_min_u32_e32 v9, 1, v10
	v_or_b32_e32 v9, v11, v9
	v_cvt_f32_u32_e32 v9, v9
	v_sub_u32_e32 v1, 32, v1
	v_ldexp_f32 v1, v9, v1
	v_cvt_f16_f32_e32 v1, v1
	s_branch .LBB240_1611
.LBB240_1610:
	s_mov_b64 s[0:1], -1
                                        ; implicit-def: $vgpr1
.LBB240_1611:
	v_mov_b32_e32 v10, 0
.LBB240_1612:
	s_mov_b64 s[18:19], 0
.LBB240_1613:
	s_and_b64 vcc, exec, s[18:19]
	s_cbranch_vccz .LBB240_1631
; %bb.1614:
	s_cmp_lt_i32 s28, 27
	s_cbranch_scc1 .LBB240_1617
; %bb.1615:
	s_cmp_gt_i32 s28, 27
	s_cbranch_scc0 .LBB240_1618
; %bb.1616:
	global_load_dword v1, v[2:3], off
	s_mov_b64 s[10:11], 0
	s_waitcnt vmcnt(0)
	v_cvt_f32_u32_e32 v1, v1
	v_cvt_f16_f32_e32 v1, v1
	s_branch .LBB240_1619
.LBB240_1617:
	s_mov_b64 s[10:11], -1
                                        ; implicit-def: $vgpr1
	s_branch .LBB240_1622
.LBB240_1618:
	s_mov_b64 s[10:11], -1
                                        ; implicit-def: $vgpr1
.LBB240_1619:
	s_andn2_b64 vcc, exec, s[10:11]
	s_cbranch_vccnz .LBB240_1621
; %bb.1620:
	global_load_ushort v1, v[2:3], off
	s_waitcnt vmcnt(0)
	v_cvt_f16_u16_e32 v1, v1
.LBB240_1621:
	s_mov_b64 s[10:11], 0
.LBB240_1622:
	s_andn2_b64 vcc, exec, s[10:11]
	s_cbranch_vccnz .LBB240_1630
; %bb.1623:
	global_load_ubyte v9, v[2:3], off
	s_movk_i32 s10, 0x7f
	s_waitcnt vmcnt(0)
	v_cmp_lt_i16_e32 vcc, s10, v9
	s_mov_b64 s[10:11], 0
	s_and_saveexec_b64 s[18:19], vcc
	s_xor_b64 s[18:19], exec, s[18:19]
	s_cbranch_execz .LBB240_1643
; %bb.1624:
	s_movk_i32 s10, 0x80
	v_cmp_eq_u16_e32 vcc, s10, v9
	s_mov_b64 s[10:11], -1
	s_and_saveexec_b64 s[20:21], vcc
; %bb.1625:
	s_xor_b64 s[10:11], exec, -1
; %bb.1626:
	s_or_b64 exec, exec, s[20:21]
	s_and_b64 s[10:11], s[10:11], exec
	s_or_saveexec_b64 s[18:19], s[18:19]
	v_mov_b32_e32 v1, 0x7e00
	s_xor_b64 exec, exec, s[18:19]
	s_cbranch_execnz .LBB240_1644
.LBB240_1627:
	s_or_b64 exec, exec, s[18:19]
	s_and_saveexec_b64 s[18:19], s[10:11]
	s_cbranch_execz .LBB240_1629
.LBB240_1628:
	v_lshlrev_b32_e32 v1, 24, v9
	v_and_b32_e32 v9, 0xffff, v9
	v_and_b32_e32 v10, 7, v9
	v_ffbh_u32_e32 v12, v10
	v_min_u32_e32 v12, 32, v12
	v_subrev_u32_e32 v13, 28, v12
	v_bfe_u32 v11, v9, 3, 4
	v_lshlrev_b32_e32 v9, v13, v9
	v_sub_u32_e32 v12, 29, v12
	v_and_b32_e32 v9, 7, v9
	v_cmp_eq_u32_e32 vcc, 0, v11
	v_and_b32_e32 v1, 0x80000000, v1
	s_nop 0
	v_cndmask_b32_e32 v11, v11, v12, vcc
	v_cndmask_b32_e32 v9, v10, v9, vcc
	v_mov_b32_e32 v10, 0x3b800000
	v_lshlrev_b32_e32 v9, 20, v9
	v_lshl_add_u32 v10, v11, 23, v10
	v_or3_b32 v1, v1, v10, v9
	v_cvt_f16_f32_e32 v1, v1
.LBB240_1629:
	s_or_b64 exec, exec, s[18:19]
.LBB240_1630:
	s_mov_b64 s[10:11], -1
	v_mov_b32_e32 v10, 0
.LBB240_1631:
	s_branch .LBB240_1500
.LBB240_1632:
	s_cmp_gt_i32 s28, 22
	s_cbranch_scc0 .LBB240_1642
; %bb.1633:
	s_cmp_lt_i32 s28, 24
	s_cbranch_scc1 .LBB240_1645
; %bb.1634:
	s_cmp_gt_i32 s28, 24
	s_cbranch_scc0 .LBB240_1646
; %bb.1635:
	global_load_ubyte v9, v[2:3], off
	s_movk_i32 s2, 0x7f
	s_waitcnt vmcnt(0)
	v_cmp_lt_i16_e32 vcc, s2, v9
	s_mov_b64 s[2:3], 0
	s_and_saveexec_b64 s[10:11], vcc
	s_xor_b64 s[10:11], exec, s[10:11]
	s_cbranch_execz .LBB240_1658
; %bb.1636:
	s_movk_i32 s2, 0x80
	v_cmp_eq_u16_e32 vcc, s2, v9
	s_mov_b64 s[2:3], -1
	s_and_saveexec_b64 s[18:19], vcc
; %bb.1637:
	s_xor_b64 s[2:3], exec, -1
; %bb.1638:
	s_or_b64 exec, exec, s[18:19]
	s_and_b64 s[2:3], s[2:3], exec
	s_or_saveexec_b64 s[10:11], s[10:11]
	v_mov_b32_e32 v1, 0x7e00
	s_xor_b64 exec, exec, s[10:11]
	s_cbranch_execnz .LBB240_1659
.LBB240_1639:
	s_or_b64 exec, exec, s[10:11]
	s_and_saveexec_b64 s[10:11], s[2:3]
	s_cbranch_execz .LBB240_1641
.LBB240_1640:
	v_lshlrev_b32_e32 v1, 24, v9
	v_and_b32_e32 v9, 0xffff, v9
	v_and_b32_e32 v10, 3, v9
	v_ffbh_u32_e32 v12, v10
	v_min_u32_e32 v12, 32, v12
	v_subrev_u32_e32 v13, 29, v12
	v_bfe_u32 v11, v9, 2, 5
	v_lshlrev_b32_e32 v9, v13, v9
	v_sub_u32_e32 v12, 30, v12
	v_and_b32_e32 v9, 3, v9
	v_cmp_eq_u32_e32 vcc, 0, v11
	v_and_b32_e32 v1, 0x80000000, v1
	s_nop 0
	v_cndmask_b32_e32 v11, v11, v12, vcc
	v_cndmask_b32_e32 v9, v10, v9, vcc
	v_mov_b32_e32 v10, 0x37800000
	v_lshlrev_b32_e32 v9, 21, v9
	v_lshl_add_u32 v10, v11, 23, v10
	v_or3_b32 v1, v1, v10, v9
	v_cvt_f16_f32_e32 v1, v1
.LBB240_1641:
	s_or_b64 exec, exec, s[10:11]
	s_mov_b64 s[2:3], 0
	s_branch .LBB240_1647
.LBB240_1642:
	s_mov_b64 s[2:3], -1
                                        ; implicit-def: $vgpr1
	s_branch .LBB240_1653
.LBB240_1643:
	s_or_saveexec_b64 s[18:19], s[18:19]
	v_mov_b32_e32 v1, 0x7e00
	s_xor_b64 exec, exec, s[18:19]
	s_cbranch_execz .LBB240_1627
.LBB240_1644:
	v_cmp_ne_u16_e32 vcc, 0, v9
	s_andn2_b64 s[10:11], s[10:11], exec
	s_and_b64 s[20:21], vcc, exec
	s_or_b64 s[10:11], s[10:11], s[20:21]
	v_mov_b32_e32 v1, v9
	s_or_b64 exec, exec, s[18:19]
	s_and_saveexec_b64 s[18:19], s[10:11]
	s_cbranch_execnz .LBB240_1628
	s_branch .LBB240_1629
.LBB240_1645:
	s_mov_b64 s[2:3], -1
                                        ; implicit-def: $vgpr1
	s_branch .LBB240_1650
.LBB240_1646:
	s_mov_b64 s[2:3], -1
                                        ; implicit-def: $vgpr1
.LBB240_1647:
	s_and_b64 vcc, exec, s[2:3]
	s_cbranch_vccz .LBB240_1649
; %bb.1648:
	global_load_ubyte v1, v[2:3], off
	s_mov_b32 s2, 0x7f800000
	s_waitcnt vmcnt(0)
	v_lshlrev_b32_e32 v1, 24, v1
	v_and_b32_e32 v9, 0x7f000000, v1
	v_ffbh_u32_e32 v10, v9
	v_min_u32_e32 v10, 32, v10
	v_sub_u32_e64 v10, v10, 4 clamp
	v_lshlrev_b32_e32 v12, v10, v9
	v_lshlrev_b32_e32 v10, 23, v10
	v_lshrrev_b32_e32 v12, 4, v12
	v_add_u32_e32 v11, 0x1000000, v9
	v_sub_u32_e32 v10, v12, v10
	v_ashrrev_i32_e32 v11, 8, v11
	v_add_u32_e32 v10, 0x3c000000, v10
	v_and_or_b32 v10, v11, s2, v10
	v_cmp_ne_u32_e32 vcc, 0, v9
	s_brev_b32 s2, 1
	s_nop 0
	v_cndmask_b32_e32 v9, 0, v10, vcc
	v_and_or_b32 v1, v1, s2, v9
	v_cvt_f16_f32_e32 v1, v1
.LBB240_1649:
	s_mov_b64 s[2:3], 0
.LBB240_1650:
	s_andn2_b64 vcc, exec, s[2:3]
	s_cbranch_vccnz .LBB240_1652
; %bb.1651:
	global_load_ubyte v1, v[2:3], off
	s_movk_i32 s2, 0x7f00
	s_brev_b32 s3, 16
	s_waitcnt vmcnt(0)
	v_lshlrev_b16_e32 v9, 8, v1
	v_lshlrev_b32_e32 v1, 25, v1
	v_lshrrev_b32_e32 v10, 4, v1
	v_and_or_b32 v11, v9, s2, 0.5
	v_or_b32_e32 v10, 0x70000000, v10
	v_add_f32_e32 v11, -0.5, v11
	v_mul_f32_e32 v10, 0x7800000, v10
	v_cmp_gt_u32_e32 vcc, s3, v1
	v_bfe_i32 v9, v9, 0, 16
	s_brev_b32 s2, 1
	v_cndmask_b32_e32 v1, v10, v11, vcc
	v_and_or_b32 v1, v9, s2, v1
	v_cvt_f16_f32_e32 v1, v1
.LBB240_1652:
	s_mov_b64 s[2:3], 0
	s_mov_b64 s[10:11], -1
.LBB240_1653:
	s_andn2_b64 vcc, exec, s[2:3]
	s_mov_b64 s[2:3], 0
	s_cbranch_vccnz .LBB240_1664
; %bb.1654:
	s_cmp_gt_i32 s28, 14
	s_cbranch_scc0 .LBB240_1657
; %bb.1655:
	s_cmp_eq_u32 s28, 15
	s_cbranch_scc0 .LBB240_1660
; %bb.1656:
	global_load_ushort v1, v[2:3], off
	s_mov_b64 s[0:1], 0
	s_mov_b64 s[10:11], -1
	s_waitcnt vmcnt(0)
	v_lshlrev_b32_e32 v1, 16, v1
	v_cvt_f16_f32_e32 v1, v1
	s_branch .LBB240_1661
.LBB240_1657:
	s_mov_b64 s[18:19], -1
                                        ; implicit-def: $vgpr1
	s_branch .LBB240_1662
.LBB240_1658:
	s_or_saveexec_b64 s[10:11], s[10:11]
	v_mov_b32_e32 v1, 0x7e00
	s_xor_b64 exec, exec, s[10:11]
	s_cbranch_execz .LBB240_1639
.LBB240_1659:
	v_cmp_ne_u16_e32 vcc, 0, v9
	s_andn2_b64 s[2:3], s[2:3], exec
	s_and_b64 s[18:19], vcc, exec
	s_or_b64 s[2:3], s[2:3], s[18:19]
	v_mov_b32_e32 v1, v9
	s_or_b64 exec, exec, s[10:11]
	s_and_saveexec_b64 s[10:11], s[2:3]
	s_cbranch_execnz .LBB240_1640
	s_branch .LBB240_1641
.LBB240_1660:
	s_mov_b64 s[0:1], -1
                                        ; implicit-def: $vgpr1
.LBB240_1661:
	s_mov_b64 s[18:19], 0
.LBB240_1662:
	s_and_b64 vcc, exec, s[18:19]
	s_cbranch_vccz .LBB240_1664
; %bb.1663:
	s_cmp_lg_u32 s28, 11
	s_mov_b64 s[2:3], -1
	s_cselect_b64 s[0:1], -1, 0
.LBB240_1664:
	v_mov_b32_e32 v10, 0
	s_and_b64 vcc, exec, s[0:1]
	s_cbranch_vccz .LBB240_1501
.LBB240_1665:
	s_trap 2
	s_or_b64 s[16:17], s[16:17], exec
	s_cbranch_execz .LBB240_1502
	s_branch .LBB240_1503
.LBB240_1666:
	s_mov_b64 s[0:1], -1
                                        ; implicit-def: $vgpr3
                                        ; implicit-def: $vgpr2
	s_mov_b64 s[6:7], 0
.LBB240_1667:
	s_and_b64 vcc, exec, s[10:11]
	s_cbranch_vccz .LBB240_1672
; %bb.1668:
	s_cmp_eq_u32 s28, 44
	s_cbranch_scc0 .LBB240_1670
; %bb.1669:
	global_load_ubyte v2, v[0:1], off
	s_movk_i32 s6, 0xff
	v_mov_b32_e32 v11, 0x7e00
	s_mov_b64 s[0:1], 0
	s_waitcnt vmcnt(0)
	v_lshlrev_b32_e32 v3, 23, v2
	v_cvt_f16_f32_e32 v3, v3
	v_cmp_ne_u32_e32 vcc, s6, v2
	s_mov_b64 s[6:7], -1
	s_nop 0
	v_cndmask_b32_e32 v3, v11, v3, vcc
	v_cmp_ne_u32_e32 vcc, 0, v2
	s_nop 1
	v_cndmask_b32_e32 v2, 0, v3, vcc
	s_branch .LBB240_1671
.LBB240_1670:
	s_mov_b64 s[0:1], -1
                                        ; implicit-def: $vgpr2
.LBB240_1671:
	v_mov_b32_e32 v3, 0
.LBB240_1672:
	s_mov_b64 s[10:11], 0
.LBB240_1673:
	s_and_b64 vcc, exec, s[10:11]
	s_cbranch_vccz .LBB240_1678
; %bb.1674:
	s_cmp_eq_u32 s28, 29
	s_cbranch_scc0 .LBB240_1676
; %bb.1675:
	global_load_dwordx2 v[2:3], v[0:1], off
	s_mov_b64 s[0:1], 0
	s_mov_b64 s[6:7], -1
	s_waitcnt vmcnt(0)
	v_ffbh_u32_e32 v11, v3
	v_min_u32_e32 v11, 32, v11
	v_lshlrev_b64 v[2:3], v11, v[2:3]
	v_min_u32_e32 v2, 1, v2
	v_or_b32_e32 v2, v3, v2
	v_cvt_f32_u32_e32 v2, v2
	v_sub_u32_e32 v3, 32, v11
	v_ldexp_f32 v2, v2, v3
	v_cvt_f16_f32_e32 v2, v2
	s_branch .LBB240_1677
.LBB240_1676:
	s_mov_b64 s[0:1], -1
                                        ; implicit-def: $vgpr2
.LBB240_1677:
	v_mov_b32_e32 v3, 0
.LBB240_1678:
	s_mov_b64 s[10:11], 0
.LBB240_1679:
	s_and_b64 vcc, exec, s[10:11]
	s_cbranch_vccz .LBB240_1697
; %bb.1680:
	s_cmp_lt_i32 s28, 27
	s_cbranch_scc1 .LBB240_1683
; %bb.1681:
	s_cmp_gt_i32 s28, 27
	s_cbranch_scc0 .LBB240_1684
; %bb.1682:
	global_load_dword v2, v[0:1], off
	s_mov_b64 s[6:7], 0
	s_waitcnt vmcnt(0)
	v_cvt_f32_u32_e32 v2, v2
	v_cvt_f16_f32_e32 v2, v2
	s_branch .LBB240_1685
.LBB240_1683:
	s_mov_b64 s[6:7], -1
                                        ; implicit-def: $vgpr2
	s_branch .LBB240_1688
.LBB240_1684:
	s_mov_b64 s[6:7], -1
                                        ; implicit-def: $vgpr2
.LBB240_1685:
	s_andn2_b64 vcc, exec, s[6:7]
	s_cbranch_vccnz .LBB240_1687
; %bb.1686:
	global_load_ushort v2, v[0:1], off
	s_waitcnt vmcnt(0)
	v_cvt_f16_u16_e32 v2, v2
.LBB240_1687:
	s_mov_b64 s[6:7], 0
.LBB240_1688:
	s_andn2_b64 vcc, exec, s[6:7]
	s_cbranch_vccnz .LBB240_1696
; %bb.1689:
	global_load_ubyte v3, v[0:1], off
	s_movk_i32 s6, 0x7f
	s_waitcnt vmcnt(0)
	v_cmp_lt_i16_e32 vcc, s6, v3
	s_mov_b64 s[6:7], 0
	s_and_saveexec_b64 s[10:11], vcc
	s_xor_b64 s[10:11], exec, s[10:11]
	s_cbranch_execz .LBB240_1722
; %bb.1690:
	s_movk_i32 s6, 0x80
	v_cmp_eq_u16_e32 vcc, s6, v3
	s_mov_b64 s[6:7], -1
	s_and_saveexec_b64 s[18:19], vcc
; %bb.1691:
	s_xor_b64 s[6:7], exec, -1
; %bb.1692:
	s_or_b64 exec, exec, s[18:19]
	s_and_b64 s[6:7], s[6:7], exec
	s_or_saveexec_b64 s[10:11], s[10:11]
	v_mov_b32_e32 v2, 0x7e00
	s_xor_b64 exec, exec, s[10:11]
	s_cbranch_execnz .LBB240_1723
.LBB240_1693:
	s_or_b64 exec, exec, s[10:11]
	s_and_saveexec_b64 s[10:11], s[6:7]
	s_cbranch_execz .LBB240_1695
.LBB240_1694:
	v_lshlrev_b32_e32 v2, 24, v3
	v_and_b32_e32 v3, 0xffff, v3
	v_and_b32_e32 v11, 7, v3
	v_ffbh_u32_e32 v13, v11
	v_min_u32_e32 v13, 32, v13
	v_subrev_u32_e32 v14, 28, v13
	v_bfe_u32 v12, v3, 3, 4
	v_lshlrev_b32_e32 v3, v14, v3
	v_sub_u32_e32 v13, 29, v13
	v_and_b32_e32 v3, 7, v3
	v_cmp_eq_u32_e32 vcc, 0, v12
	v_and_b32_e32 v2, 0x80000000, v2
	s_nop 0
	v_cndmask_b32_e32 v12, v12, v13, vcc
	v_cndmask_b32_e32 v3, v11, v3, vcc
	v_mov_b32_e32 v11, 0x3b800000
	v_lshlrev_b32_e32 v3, 20, v3
	v_lshl_add_u32 v11, v12, 23, v11
	v_or3_b32 v2, v2, v11, v3
	v_cvt_f16_f32_e32 v2, v2
.LBB240_1695:
	s_or_b64 exec, exec, s[10:11]
.LBB240_1696:
	s_mov_b64 s[6:7], -1
	v_mov_b32_e32 v3, 0
.LBB240_1697:
	s_mov_b64 s[10:11], 0
.LBB240_1698:
	s_and_b64 vcc, exec, s[10:11]
	s_cbranch_vccz .LBB240_1709
; %bb.1699:
	s_cmp_gt_i32 s28, 22
	s_cbranch_scc0 .LBB240_1720
; %bb.1700:
	s_cmp_lt_i32 s28, 24
	s_cbranch_scc1 .LBB240_1724
; %bb.1701:
	s_cmp_gt_i32 s28, 24
	s_cbranch_scc0 .LBB240_1726
; %bb.1702:
	global_load_ubyte v3, v[0:1], off
	s_movk_i32 s2, 0x7f
	s_waitcnt vmcnt(0)
	v_cmp_lt_i16_e32 vcc, s2, v3
	s_mov_b64 s[2:3], 0
	s_and_saveexec_b64 s[6:7], vcc
	s_xor_b64 s[6:7], exec, s[6:7]
	s_cbranch_execz .LBB240_1738
; %bb.1703:
	s_movk_i32 s2, 0x80
	v_cmp_eq_u16_e32 vcc, s2, v3
	s_mov_b64 s[2:3], -1
	s_and_saveexec_b64 s[10:11], vcc
; %bb.1704:
	s_xor_b64 s[2:3], exec, -1
; %bb.1705:
	s_or_b64 exec, exec, s[10:11]
	s_and_b64 s[2:3], s[2:3], exec
	s_or_saveexec_b64 s[6:7], s[6:7]
	v_mov_b32_e32 v2, 0x7e00
	s_xor_b64 exec, exec, s[6:7]
	s_cbranch_execnz .LBB240_1739
.LBB240_1706:
	s_or_b64 exec, exec, s[6:7]
	s_and_saveexec_b64 s[6:7], s[2:3]
	s_cbranch_execz .LBB240_1708
.LBB240_1707:
	v_lshlrev_b32_e32 v2, 24, v3
	v_and_b32_e32 v3, 0xffff, v3
	v_and_b32_e32 v11, 3, v3
	v_ffbh_u32_e32 v13, v11
	v_min_u32_e32 v13, 32, v13
	v_subrev_u32_e32 v14, 29, v13
	v_bfe_u32 v12, v3, 2, 5
	v_lshlrev_b32_e32 v3, v14, v3
	v_sub_u32_e32 v13, 30, v13
	v_and_b32_e32 v3, 3, v3
	v_cmp_eq_u32_e32 vcc, 0, v12
	v_and_b32_e32 v2, 0x80000000, v2
	s_nop 0
	v_cndmask_b32_e32 v12, v12, v13, vcc
	v_cndmask_b32_e32 v3, v11, v3, vcc
	v_mov_b32_e32 v11, 0x37800000
	v_lshlrev_b32_e32 v3, 21, v3
	v_lshl_add_u32 v11, v12, 23, v11
	v_or3_b32 v2, v2, v11, v3
	v_cvt_f16_f32_e32 v2, v2
.LBB240_1708:
	s_or_b64 exec, exec, s[6:7]
	s_mov_b64 s[2:3], 0
	s_branch .LBB240_1727
.LBB240_1709:
	s_and_b64 vcc, exec, s[0:1]
	s_cbranch_vccnz .LBB240_1757
.LBB240_1710:
	s_andn2_b64 vcc, exec, s[2:3]
	s_cbranch_vccnz .LBB240_1712
.LBB240_1711:
	global_load_ubyte v2, v[0:1], off
	v_mov_b32_e32 v11, 0x3c00
	v_mov_b32_e32 v3, 0
	s_mov_b64 s[6:7], -1
	s_waitcnt vmcnt(0)
	v_cmp_ne_u16_e32 vcc, 0, v2
	s_nop 1
	v_cndmask_b32_e32 v2, 0, v11, vcc
.LBB240_1712:
	s_mov_b64 s[0:1], 0
.LBB240_1713:
	s_and_b64 vcc, exec, s[0:1]
	s_cbranch_vccz .LBB240_1788
; %bb.1714:
	s_cmp_lt_i32 s28, 5
	s_cbranch_scc1 .LBB240_1719
; %bb.1715:
	s_cmp_lt_i32 s28, 8
	s_cbranch_scc1 .LBB240_1721
	;; [unrolled: 3-line block ×3, first 2 shown]
; %bb.1717:
	s_cmp_gt_i32 s28, 9
	s_cbranch_scc0 .LBB240_1740
; %bb.1718:
	global_load_dwordx4 v[12:15], v[0:1], off
	s_movk_i32 s0, 0x1ff
	s_movk_i32 s1, 0xffe
	v_mov_b32_e32 v2, 0x7c00
	v_mov_b32_e32 v3, 0x7e00
	s_movk_i32 s2, 0x40f
	s_mov_b32 s3, 0x8000
	s_waitcnt vmcnt(0)
	v_and_or_b32 v11, v13, s0, v12
	v_and_or_b32 v14, v15, s0, v14
	v_cmp_ne_u32_e32 vcc, 0, v11
	v_lshrrev_b32_e32 v12, 8, v13
	v_bfe_u32 v16, v13, 20, 11
	v_cndmask_b32_e64 v11, 0, 1, vcc
	v_cmp_ne_u32_e32 vcc, 0, v14
	v_lshrrev_b32_e32 v17, 8, v15
	v_bfe_u32 v18, v15, 20, 11
	v_sub_u32_e32 v19, 0x3f1, v16
	v_cndmask_b32_e64 v14, 0, 1, vcc
	v_and_or_b32 v11, v12, s1, v11
	v_add_u32_e32 v16, 0xfffffc10, v16
	v_sub_u32_e32 v20, 0x3f1, v18
	v_add_u32_e32 v18, 0xfffffc10, v18
	v_med3_i32 v12, v19, 0, 13
	v_and_or_b32 v14, v17, s1, v14
	v_or_b32_e32 v19, 0x1000, v11
	v_cmp_ne_u32_e32 vcc, 0, v11
	v_med3_i32 v17, v20, 0, 13
	v_lshl_or_b32 v20, v16, 12, v11
	v_cndmask_b32_e32 v11, v2, v3, vcc
	v_or_b32_e32 v21, 0x1000, v14
	v_lshl_or_b32 v22, v18, 12, v14
	v_cmp_ne_u32_e32 vcc, 0, v14
	v_lshrrev_b32_e32 v14, v12, v19
	v_lshrrev_b32_e32 v23, v17, v21
	v_lshlrev_b32_e32 v12, v12, v14
	v_cndmask_b32_e32 v3, v2, v3, vcc
	v_lshlrev_b32_e32 v17, v17, v23
	v_cmp_ne_u32_e32 vcc, v12, v19
	v_lshrrev_b32_e32 v13, 16, v13
	v_lshrrev_b32_e32 v15, 16, v15
	v_cndmask_b32_e64 v12, 0, 1, vcc
	v_cmp_ne_u32_e32 vcc, v17, v21
	v_or_b32_e32 v12, v14, v12
	s_mov_b64 s[0:1], 0
	v_cndmask_b32_e64 v17, 0, 1, vcc
	v_cmp_gt_i32_e32 vcc, 1, v16
	v_or_b32_e32 v14, v23, v17
	s_nop 0
	v_cndmask_b32_e32 v12, v20, v12, vcc
	v_cmp_gt_i32_e32 vcc, 1, v18
	v_and_b32_e32 v17, 7, v12
	v_lshrrev_b32_e32 v12, 2, v12
	v_cndmask_b32_e32 v14, v22, v14, vcc
	v_cmp_lt_i32_e32 vcc, 5, v17
	v_and_b32_e32 v19, 7, v14
	v_lshrrev_b32_e32 v14, 2, v14
	v_cndmask_b32_e64 v20, 0, 1, vcc
	v_cmp_eq_u32_e32 vcc, 3, v17
	s_nop 1
	v_cndmask_b32_e64 v17, 0, 1, vcc
	v_cmp_lt_i32_e32 vcc, 5, v19
	v_or_b32_e32 v17, v17, v20
	v_add_u32_e32 v12, v12, v17
	v_cndmask_b32_e64 v21, 0, 1, vcc
	v_cmp_eq_u32_e32 vcc, 3, v19
	s_nop 1
	v_cndmask_b32_e64 v19, 0, 1, vcc
	v_or_b32_e32 v19, v19, v21
	v_cmp_gt_i32_e32 vcc, 31, v16
	v_add_u32_e32 v14, v14, v19
	s_nop 0
	v_cndmask_b32_e32 v12, v2, v12, vcc
	v_cmp_gt_i32_e32 vcc, 31, v18
	s_nop 1
	v_cndmask_b32_e32 v2, v2, v14, vcc
	v_cmp_eq_u32_e32 vcc, s2, v16
	s_nop 1
	v_cndmask_b32_e32 v11, v12, v11, vcc
	v_cmp_eq_u32_e32 vcc, s2, v18
	s_nop 1
	v_cndmask_b32_e32 v3, v2, v3, vcc
	v_and_or_b32 v2, v13, s3, v11
	v_and_or_b32 v3, v15, s3, v3
	s_branch .LBB240_1741
.LBB240_1719:
	s_mov_b64 s[0:1], -1
                                        ; implicit-def: $vgpr3
                                        ; implicit-def: $vgpr2
	s_branch .LBB240_1766
.LBB240_1720:
	s_mov_b64 s[2:3], -1
                                        ; implicit-def: $vgpr2
	s_branch .LBB240_1733
.LBB240_1721:
	s_mov_b64 s[0:1], -1
                                        ; implicit-def: $vgpr3
                                        ; implicit-def: $vgpr2
	s_branch .LBB240_1747
.LBB240_1722:
	s_or_saveexec_b64 s[10:11], s[10:11]
	v_mov_b32_e32 v2, 0x7e00
	s_xor_b64 exec, exec, s[10:11]
	s_cbranch_execz .LBB240_1693
.LBB240_1723:
	v_cmp_ne_u16_e32 vcc, 0, v3
	s_andn2_b64 s[6:7], s[6:7], exec
	s_and_b64 s[18:19], vcc, exec
	s_or_b64 s[6:7], s[6:7], s[18:19]
	v_mov_b32_e32 v2, v3
	s_or_b64 exec, exec, s[10:11]
	s_and_saveexec_b64 s[10:11], s[6:7]
	s_cbranch_execnz .LBB240_1694
	s_branch .LBB240_1695
.LBB240_1724:
	s_mov_b64 s[2:3], -1
                                        ; implicit-def: $vgpr2
	s_branch .LBB240_1730
.LBB240_1725:
	s_mov_b64 s[0:1], -1
                                        ; implicit-def: $vgpr3
                                        ; implicit-def: $vgpr2
	s_branch .LBB240_1744
.LBB240_1726:
	s_mov_b64 s[2:3], -1
                                        ; implicit-def: $vgpr2
.LBB240_1727:
	s_and_b64 vcc, exec, s[2:3]
	s_cbranch_vccz .LBB240_1729
; %bb.1728:
	global_load_ubyte v2, v[0:1], off
	s_mov_b32 s2, 0x7f800000
	s_waitcnt vmcnt(0)
	v_lshlrev_b32_e32 v2, 24, v2
	v_and_b32_e32 v3, 0x7f000000, v2
	v_ffbh_u32_e32 v11, v3
	v_min_u32_e32 v11, 32, v11
	v_sub_u32_e64 v11, v11, 4 clamp
	v_lshlrev_b32_e32 v13, v11, v3
	v_lshlrev_b32_e32 v11, 23, v11
	v_lshrrev_b32_e32 v13, 4, v13
	v_add_u32_e32 v12, 0x1000000, v3
	v_sub_u32_e32 v11, v13, v11
	v_ashrrev_i32_e32 v12, 8, v12
	v_add_u32_e32 v11, 0x3c000000, v11
	v_and_or_b32 v11, v12, s2, v11
	v_cmp_ne_u32_e32 vcc, 0, v3
	s_brev_b32 s2, 1
	s_nop 0
	v_cndmask_b32_e32 v3, 0, v11, vcc
	v_and_or_b32 v2, v2, s2, v3
	v_cvt_f16_f32_e32 v2, v2
.LBB240_1729:
	s_mov_b64 s[2:3], 0
.LBB240_1730:
	s_andn2_b64 vcc, exec, s[2:3]
	s_cbranch_vccnz .LBB240_1732
; %bb.1731:
	global_load_ubyte v2, v[0:1], off
	s_movk_i32 s2, 0x7f00
	s_brev_b32 s3, 16
	s_waitcnt vmcnt(0)
	v_lshlrev_b16_e32 v3, 8, v2
	v_lshlrev_b32_e32 v2, 25, v2
	v_lshrrev_b32_e32 v11, 4, v2
	v_and_or_b32 v12, v3, s2, 0.5
	v_or_b32_e32 v11, 0x70000000, v11
	v_add_f32_e32 v12, -0.5, v12
	v_mul_f32_e32 v11, 0x7800000, v11
	v_cmp_gt_u32_e32 vcc, s3, v2
	v_bfe_i32 v3, v3, 0, 16
	s_brev_b32 s2, 1
	v_cndmask_b32_e32 v2, v11, v12, vcc
	v_and_or_b32 v2, v3, s2, v2
	v_cvt_f16_f32_e32 v2, v2
.LBB240_1732:
	s_mov_b64 s[2:3], 0
	s_mov_b64 s[6:7], -1
.LBB240_1733:
	s_andn2_b64 vcc, exec, s[2:3]
	s_mov_b64 s[2:3], 0
	s_cbranch_vccnz .LBB240_1756
; %bb.1734:
	s_cmp_gt_i32 s28, 14
	s_cbranch_scc0 .LBB240_1737
; %bb.1735:
	s_cmp_eq_u32 s28, 15
	s_cbranch_scc0 .LBB240_1752
; %bb.1736:
	global_load_ushort v2, v[0:1], off
	s_mov_b64 s[0:1], 0
	s_mov_b64 s[6:7], -1
	s_waitcnt vmcnt(0)
	v_lshlrev_b32_e32 v2, 16, v2
	v_cvt_f16_f32_e32 v2, v2
	s_branch .LBB240_1753
.LBB240_1737:
	s_mov_b64 s[10:11], -1
                                        ; implicit-def: $vgpr2
	s_branch .LBB240_1754
.LBB240_1738:
	s_or_saveexec_b64 s[6:7], s[6:7]
	v_mov_b32_e32 v2, 0x7e00
	s_xor_b64 exec, exec, s[6:7]
	s_cbranch_execz .LBB240_1706
.LBB240_1739:
	v_cmp_ne_u16_e32 vcc, 0, v3
	s_andn2_b64 s[2:3], s[2:3], exec
	s_and_b64 s[10:11], vcc, exec
	s_or_b64 s[2:3], s[2:3], s[10:11]
	v_mov_b32_e32 v2, v3
	s_or_b64 exec, exec, s[6:7]
	s_and_saveexec_b64 s[6:7], s[2:3]
	s_cbranch_execnz .LBB240_1707
	s_branch .LBB240_1708
.LBB240_1740:
	s_mov_b64 s[0:1], -1
                                        ; implicit-def: $vgpr3
                                        ; implicit-def: $vgpr2
.LBB240_1741:
	s_andn2_b64 vcc, exec, s[0:1]
	s_cbranch_vccnz .LBB240_1743
; %bb.1742:
	global_load_dwordx2 v[2:3], v[0:1], off
	s_waitcnt vmcnt(0)
	v_cvt_f16_f32_e32 v2, v2
	v_cvt_f16_f32_e32 v3, v3
.LBB240_1743:
	s_mov_b64 s[0:1], 0
.LBB240_1744:
	s_andn2_b64 vcc, exec, s[0:1]
	s_cbranch_vccnz .LBB240_1746
; %bb.1745:
	global_load_dword v2, v[0:1], off
	s_waitcnt vmcnt(0)
	v_lshrrev_b32_e32 v3, 16, v2
.LBB240_1746:
	s_mov_b64 s[0:1], 0
.LBB240_1747:
	s_andn2_b64 vcc, exec, s[0:1]
	s_cbranch_vccnz .LBB240_1765
; %bb.1748:
	s_cmp_lt_i32 s28, 6
	s_cbranch_scc1 .LBB240_1751
; %bb.1749:
	s_cmp_gt_i32 s28, 6
	s_cbranch_scc0 .LBB240_1758
; %bb.1750:
	global_load_dwordx2 v[2:3], v[0:1], off
	s_movk_i32 s0, 0x1ff
	s_movk_i32 s1, 0xffe
	v_mov_b32_e32 v11, 0x7c00
	v_mov_b32_e32 v12, 0x7e00
	s_movk_i32 s2, 0x40f
	s_mov_b32 s3, 0x8000
	s_waitcnt vmcnt(0)
	v_and_or_b32 v2, v3, s0, v2
	v_cmp_ne_u32_e32 vcc, 0, v2
	v_lshrrev_b32_e32 v13, 8, v3
	v_bfe_u32 v14, v3, 20, 11
	v_cndmask_b32_e64 v2, 0, 1, vcc
	v_sub_u32_e32 v15, 0x3f1, v14
	v_and_or_b32 v2, v13, s1, v2
	v_add_u32_e32 v14, 0xfffffc10, v14
	v_med3_i32 v13, v15, 0, 13
	v_or_b32_e32 v15, 0x1000, v2
	v_cmp_ne_u32_e32 vcc, 0, v2
	v_lshl_or_b32 v16, v14, 12, v2
	v_lshrrev_b32_e32 v3, 16, v3
	v_cndmask_b32_e32 v2, v11, v12, vcc
	v_lshrrev_b32_e32 v12, v13, v15
	v_lshlrev_b32_e32 v13, v13, v12
	v_cmp_ne_u32_e32 vcc, v13, v15
	s_mov_b64 s[0:1], 0
	s_nop 0
	v_cndmask_b32_e64 v13, 0, 1, vcc
	v_or_b32_e32 v12, v12, v13
	v_cmp_gt_i32_e32 vcc, 1, v14
	s_nop 1
	v_cndmask_b32_e32 v12, v16, v12, vcc
	v_and_b32_e32 v13, 7, v12
	v_cmp_lt_i32_e32 vcc, 5, v13
	v_lshrrev_b32_e32 v12, 2, v12
	s_nop 0
	v_cndmask_b32_e64 v15, 0, 1, vcc
	v_cmp_eq_u32_e32 vcc, 3, v13
	s_nop 1
	v_cndmask_b32_e64 v13, 0, 1, vcc
	v_or_b32_e32 v13, v13, v15
	v_add_u32_e32 v12, v12, v13
	v_cmp_gt_i32_e32 vcc, 31, v14
	s_nop 1
	v_cndmask_b32_e32 v11, v11, v12, vcc
	v_cmp_eq_u32_e32 vcc, s2, v14
	s_nop 1
	v_cndmask_b32_e32 v2, v11, v2, vcc
	v_and_or_b32 v2, v3, s3, v2
	s_branch .LBB240_1759
.LBB240_1751:
	s_mov_b64 s[0:1], -1
                                        ; implicit-def: $vgpr2
	s_branch .LBB240_1762
.LBB240_1752:
	s_mov_b64 s[0:1], -1
                                        ; implicit-def: $vgpr2
.LBB240_1753:
	s_mov_b64 s[10:11], 0
.LBB240_1754:
	s_and_b64 vcc, exec, s[10:11]
	s_cbranch_vccz .LBB240_1756
; %bb.1755:
	s_cmp_lg_u32 s28, 11
	s_mov_b64 s[2:3], -1
	s_cselect_b64 s[0:1], -1, 0
.LBB240_1756:
	v_mov_b32_e32 v3, 0
	s_and_b64 vcc, exec, s[0:1]
	s_cbranch_vccz .LBB240_1710
.LBB240_1757:
	s_trap 2
	s_or_b64 s[16:17], s[16:17], exec
	s_cbranch_execz .LBB240_1711
	s_branch .LBB240_1712
.LBB240_1758:
	s_mov_b64 s[0:1], -1
                                        ; implicit-def: $vgpr2
.LBB240_1759:
	s_andn2_b64 vcc, exec, s[0:1]
	s_cbranch_vccnz .LBB240_1761
; %bb.1760:
	global_load_dword v2, v[0:1], off
	s_waitcnt vmcnt(0)
	v_cvt_f16_f32_e32 v2, v2
.LBB240_1761:
	s_mov_b64 s[0:1], 0
.LBB240_1762:
	s_andn2_b64 vcc, exec, s[0:1]
	s_cbranch_vccnz .LBB240_1764
; %bb.1763:
	global_load_ushort v2, v[0:1], off
.LBB240_1764:
	v_mov_b32_e32 v3, 0
.LBB240_1765:
	s_mov_b64 s[0:1], 0
.LBB240_1766:
	s_andn2_b64 vcc, exec, s[0:1]
	s_cbranch_vccnz .LBB240_1787
; %bb.1767:
	s_cmp_lt_i32 s28, 2
	s_cbranch_scc1 .LBB240_1771
; %bb.1768:
	s_cmp_lt_i32 s28, 3
	s_cbranch_scc1 .LBB240_1772
; %bb.1769:
	s_cmp_gt_i32 s28, 3
	s_cbranch_scc0 .LBB240_1773
; %bb.1770:
	global_load_dwordx2 v[2:3], v[0:1], off
	s_mov_b64 s[0:1], 0
	s_waitcnt vmcnt(0)
	v_xor_b32_e32 v12, v2, v3
	v_ffbh_i32_e32 v11, v3
	v_ashrrev_i32_e32 v12, 31, v12
	v_add_u32_e32 v11, -1, v11
	v_add_u32_e32 v12, 32, v12
	v_min_u32_e32 v11, v11, v12
	v_lshlrev_b64 v[2:3], v11, v[2:3]
	v_min_u32_e32 v2, 1, v2
	v_or_b32_e32 v2, v3, v2
	v_cvt_f32_i32_e32 v2, v2
	v_sub_u32_e32 v3, 32, v11
	v_ldexp_f32 v2, v2, v3
	v_cvt_f16_f32_e32 v2, v2
	s_branch .LBB240_1774
.LBB240_1771:
	s_mov_b64 s[0:1], -1
                                        ; implicit-def: $vgpr2
	s_branch .LBB240_1780
.LBB240_1772:
	s_mov_b64 s[0:1], -1
                                        ; implicit-def: $vgpr2
	s_branch .LBB240_1777
.LBB240_1773:
	s_mov_b64 s[0:1], -1
                                        ; implicit-def: $vgpr2
.LBB240_1774:
	s_andn2_b64 vcc, exec, s[0:1]
	s_cbranch_vccnz .LBB240_1776
; %bb.1775:
	global_load_dword v2, v[0:1], off
	s_waitcnt vmcnt(0)
	v_cvt_f32_i32_e32 v2, v2
	v_cvt_f16_f32_e32 v2, v2
.LBB240_1776:
	s_mov_b64 s[0:1], 0
.LBB240_1777:
	s_andn2_b64 vcc, exec, s[0:1]
	s_cbranch_vccnz .LBB240_1779
; %bb.1778:
	global_load_ushort v2, v[0:1], off
	s_waitcnt vmcnt(0)
	v_cvt_f16_i16_e32 v2, v2
.LBB240_1779:
	s_mov_b64 s[0:1], 0
.LBB240_1780:
	s_andn2_b64 vcc, exec, s[0:1]
	s_cbranch_vccnz .LBB240_1786
; %bb.1781:
	s_cmp_gt_i32 s28, 0
	s_cbranch_scc0 .LBB240_1783
; %bb.1782:
	global_load_sbyte v2, v[0:1], off
	s_mov_b64 s[0:1], 0
	s_waitcnt vmcnt(0)
	v_cvt_f16_i16_e32 v2, v2
	s_branch .LBB240_1784
.LBB240_1783:
	s_mov_b64 s[0:1], -1
                                        ; implicit-def: $vgpr2
.LBB240_1784:
	s_andn2_b64 vcc, exec, s[0:1]
	s_cbranch_vccnz .LBB240_1786
; %bb.1785:
	global_load_ubyte v0, v[0:1], off
	s_waitcnt vmcnt(0)
	v_cvt_f16_u16_e32 v2, v0
.LBB240_1786:
	v_mov_b32_e32 v3, 0
.LBB240_1787:
	s_mov_b64 s[6:7], -1
.LBB240_1788:
	s_andn2_b64 vcc, exec, s[6:7]
	s_cbranch_vccnz .LBB240_2252
; %bb.1789:
	v_cvt_f32_f16_e32 v11, v3
	s_waitcnt vmcnt(0)
	v_cmp_neq_f16_e32 vcc, 0, v2
	v_cmp_neq_f16_e64 s[0:1], 0, v3
	s_or_b64 s[0:1], vcc, s[0:1]
	v_mov_b32_e32 v12, 0
	s_and_saveexec_b64 s[6:7], s[0:1]
	s_cbranch_execz .LBB240_1819
; %bb.1790:
	v_mov_b32_e32 v12, 0x7f800000
	v_cmp_neq_f32_e64 s[0:1], |v11|, v12
	s_and_saveexec_b64 s[10:11], s[0:1]
	s_cbranch_execz .LBB240_1818
; %bb.1791:
	v_cvt_f32_f16_e32 v0, v2
	v_cmp_o_f16_e32 vcc, v2, v2
                                        ; implicit-def: $vgpr12
	s_and_saveexec_b64 s[0:1], vcc
	s_xor_b64 s[18:19], exec, s[0:1]
	s_cbranch_execz .LBB240_1815
; %bb.1792:
	s_mov_b32 s0, 0x7f800000
	v_cmp_neq_f32_e64 s[0:1], |v0|, s0
                                        ; implicit-def: $vgpr12
	s_and_saveexec_b64 s[2:3], s[0:1]
	s_xor_b64 s[20:21], exec, s[2:3]
	s_cbranch_execz .LBB240_1808
; %bb.1793:
	v_max_f32_e64 v1, |v11|, |v11|
	v_max_f32_e64 v2, |v0|, |v0|
	v_max_f32_e32 v1, v2, v1
	s_mov_b32 s0, 0x7ed413cb
	v_cmp_nle_f32_e64 s[0:1], s0, v1
                                        ; implicit-def: $sgpr22_sgpr23
	s_and_saveexec_b64 s[2:3], s[0:1]
	s_xor_b64 s[2:3], exec, s[2:3]
	s_cbranch_execz .LBB240_1797
; %bb.1794:
	s_mov_b32 s9, 0x1000000
	v_cmp_le_f32_e64 s[22:23], |v0|, s9
	v_cmp_le_f32_e64 s[24:25], |v11|, s9
	s_and_b64 s[26:27], s[22:23], s[24:25]
	s_mov_b64 s[22:23], 0
	s_and_saveexec_b64 s[24:25], s[26:27]
; %bb.1795:
	s_mov_b64 s[22:23], exec
	v_mul_f32_e32 v0, 4.0, v0
	v_mul_f32_e32 v11, 4.0, v11
; %bb.1796:
	s_or_b64 exec, exec, s[24:25]
.LBB240_1797:
	s_andn2_saveexec_b64 s[2:3], s[2:3]
; %bb.1798:
	v_mul_f32_e32 v0, 0x3e800000, v0
	v_mul_f32_e32 v11, 0x3e800000, v11
	s_andn2_b64 s[22:23], s[22:23], exec
; %bb.1799:
	s_or_b64 exec, exec, s[2:3]
	v_max_f32_e64 v1, |v11|, |v11|
	v_max_f32_e64 v2, |v0|, |v0|
	v_max_f32_e32 v1, v2, v1
	v_cvt_f64_f32_e32 v[2:3], v1
	v_frexp_exp_i32_f64_e32 v2, v[2:3]
	v_sub_u32_e32 v3, 0, v2
	v_ldexp_f32 v12, |v0|, v3
	v_ldexp_f32 v3, |v11|, v3
	v_mul_f32_e32 v3, v3, v3
	v_fmac_f32_e32 v3, v12, v12
	v_sqrt_f32_e32 v3, v3
	s_mov_b32 s2, 0x7f800000
	v_cmp_neq_f32_e64 s[2:3], s2, v1
	v_cmp_le_f32_e32 vcc, 0, v0
	v_ldexp_f32 v2, v3, v2
	v_mov_b32_e32 v3, 0x7f800000
	v_cndmask_b32_e64 v3, v3, v2, s[2:3]
                                        ; implicit-def: $vgpr2
                                        ; implicit-def: $vgpr1
	s_and_saveexec_b64 s[2:3], vcc
	s_xor_b64 s[24:25], exec, s[2:3]
	s_cbranch_execz .LBB240_1801
; %bb.1800:
	v_add_f32_e32 v0, v0, v3
	v_mul_f32_e32 v0, 0.5, v0
	s_mov_b32 s2, 0xf800000
	v_mul_f32_e32 v1, 0x4f800000, v0
	v_cmp_gt_f32_e32 vcc, s2, v0
	s_nop 1
	v_cndmask_b32_e32 v0, v0, v1, vcc
	v_sqrt_f32_e32 v1, v0
	s_nop 0
	v_add_u32_e32 v2, -1, v1
	v_fma_f32 v3, -v2, v1, v0
	v_cmp_ge_f32_e64 s[2:3], 0, v3
	v_add_u32_e32 v3, 1, v1
	s_nop 0
	v_cndmask_b32_e64 v2, v1, v2, s[2:3]
	v_fma_f32 v1, -v3, v1, v0
	v_cmp_lt_f32_e64 s[2:3], 0, v1
	s_nop 1
	v_cndmask_b32_e64 v1, v2, v3, s[2:3]
	v_mul_f32_e32 v2, 0x37800000, v1
	v_cndmask_b32_e32 v1, v1, v2, vcc
	v_mov_b32_e32 v2, 0x260
	v_cmp_class_f32_e32 vcc, v0, v2
	s_nop 1
	v_cndmask_b32_e32 v1, v1, v0, vcc
	v_add_f32_e32 v0, v1, v1
	v_div_scale_f32 v2, s[2:3], v0, v0, v11
	v_rcp_f32_e32 v3, v2
	s_nop 0
	v_fma_f32 v12, -v2, v3, 1.0
	v_fmac_f32_e32 v3, v12, v3
	v_div_scale_f32 v12, vcc, v11, v0, v11
	v_mul_f32_e32 v13, v12, v3
	v_fma_f32 v14, -v2, v13, v12
	v_fmac_f32_e32 v13, v14, v3
	v_fma_f32 v2, -v2, v13, v12
	v_div_fmas_f32 v2, v2, v3, v13
	v_div_fixup_f32 v2, v2, v0, v11
                                        ; implicit-def: $vgpr3
                                        ; implicit-def: $vgpr0
                                        ; implicit-def: $vgpr11
	s_andn2_saveexec_b64 s[24:25], s[24:25]
	s_cbranch_execz .LBB240_1803
	s_branch .LBB240_1802
.LBB240_1801:
	s_andn2_saveexec_b64 s[24:25], s[24:25]
	s_cbranch_execz .LBB240_1803
.LBB240_1802:
	v_sub_f32_e32 v0, v3, v0
	v_mul_f32_e32 v0, 0.5, v0
	s_mov_b32 s2, 0xf800000
	v_mul_f32_e32 v1, 0x4f800000, v0
	v_cmp_gt_f32_e32 vcc, s2, v0
	s_nop 1
	v_cndmask_b32_e32 v0, v0, v1, vcc
	v_sqrt_f32_e32 v1, v0
	s_nop 0
	v_add_u32_e32 v2, -1, v1
	v_fma_f32 v3, -v2, v1, v0
	v_cmp_ge_f32_e64 s[2:3], 0, v3
	v_add_u32_e32 v3, 1, v1
	s_nop 0
	v_cndmask_b32_e64 v2, v1, v2, s[2:3]
	v_fma_f32 v1, -v3, v1, v0
	v_cmp_lt_f32_e64 s[2:3], 0, v1
	s_nop 1
	v_cndmask_b32_e64 v1, v2, v3, s[2:3]
	v_mul_f32_e32 v2, 0x37800000, v1
	v_cndmask_b32_e32 v1, v1, v2, vcc
	v_mov_b32_e32 v2, 0x260
	v_cmp_class_f32_e32 vcc, v0, v2
	v_and_b32_e32 v2, 0x7fffffff, v11
	s_nop 0
	v_cndmask_b32_e32 v0, v1, v0, vcc
	v_add_f32_e32 v1, v0, v0
	v_div_scale_f32 v3, s[2:3], v1, v1, v2
	v_rcp_f32_e32 v12, v3
	v_div_scale_f32 v2, vcc, v2, v1, v2
	s_brev_b32 s2, -2
	v_fma_f32 v13, -v3, v12, 1.0
	v_fmac_f32_e32 v12, v13, v12
	v_mul_f32_e32 v13, v2, v12
	v_fma_f32 v14, -v3, v13, v2
	v_fmac_f32_e32 v13, v14, v12
	v_fma_f32 v2, -v3, v13, v2
	v_div_fmas_f32 v2, v2, v12, v13
	v_div_fixup_f32 v1, v2, v1, |v11|
	v_bfi_b32 v2, s2, v0, v11
.LBB240_1803:
	s_or_b64 exec, exec, s[24:25]
                                        ; implicit-def: $vgpr11
                                        ; implicit-def: $vgpr12
	s_and_saveexec_b64 s[2:3], s[0:1]
	s_xor_b64 s[0:1], exec, s[2:3]
	s_cbranch_execz .LBB240_1805
; %bb.1804:
	v_mul_f32_e32 v0, 0.5, v1
	v_mul_f32_e32 v3, 0.5, v2
	v_cndmask_b32_e64 v12, v1, v0, s[22:23]
	v_cndmask_b32_e64 v11, v2, v3, s[22:23]
                                        ; implicit-def: $vgpr1
                                        ; implicit-def: $vgpr2
	s_andn2_saveexec_b64 s[0:1], s[0:1]
	s_cbranch_execnz .LBB240_1806
	s_branch .LBB240_1807
.LBB240_1805:
	s_andn2_saveexec_b64 s[0:1], s[0:1]
.LBB240_1806:
	v_add_f32_e32 v12, v1, v1
	v_add_f32_e32 v11, v2, v2
.LBB240_1807:
	s_or_b64 exec, exec, s[0:1]
                                        ; implicit-def: $vgpr0
                                        ; implicit-def: $vgpr2
.LBB240_1808:
	s_andn2_saveexec_b64 s[0:1], s[20:21]
	s_cbranch_execz .LBB240_1814
; %bb.1809:
	v_sub_f32_e32 v1, v11, v11
	v_cmp_lt_i16_e32 vcc, -1, v2
	s_brev_b32 s9, -2
	v_and_b32_e32 v12, 0x7fffffff, v1
	s_and_saveexec_b64 s[2:3], vcc
	s_xor_b64 s[2:3], exec, s[2:3]
; %bb.1810:
	v_bfi_b32 v11, s9, v1, v11
	v_mov_b32_e32 v12, v0
; %bb.1811:
	s_andn2_saveexec_b64 s[2:3], s[2:3]
; %bb.1812:
	v_bfi_b32 v11, s9, v0, v11
; %bb.1813:
	s_or_b64 exec, exec, s[2:3]
.LBB240_1814:
	s_or_b64 exec, exec, s[0:1]
                                        ; implicit-def: $vgpr0
.LBB240_1815:
	s_andn2_saveexec_b64 s[0:1], s[18:19]
	s_cbranch_execz .LBB240_1817
; %bb.1816:
	v_sub_f32_e32 v1, v11, v11
	v_div_scale_f32 v2, vcc, v1, v1, v1
	v_rcp_f32_e32 v3, v2
	s_nop 0
	v_fma_f32 v11, -v2, v3, 1.0
	v_fmac_f32_e32 v3, v11, v3
	v_mul_f32_e32 v11, v2, v3
	v_fma_f32 v12, -v2, v11, v2
	v_fmac_f32_e32 v11, v12, v3
	v_fma_f32 v2, -v2, v11, v2
	v_div_fmas_f32 v2, v2, v3, v11
	v_div_fixup_f32 v11, v2, v1, v1
	v_mov_b32_e32 v12, v0
.LBB240_1817:
	s_or_b64 exec, exec, s[0:1]
.LBB240_1818:
	s_or_b64 exec, exec, s[10:11]
.LBB240_1819:
	s_or_b64 exec, exec, s[6:7]
	v_cvt_f16_f32_e32 v5, v5
	v_cvt_f16_f32_e32 v6, v6
	v_mul_lo_u32 v0, s8, v4
	v_ashrrev_i32_e32 v1, 31, v0
	v_lshlrev_b32_e32 v2, 16, v5
	s_and_b32 s20, s33, 0xff
	v_or_b32_e32 v13, v2, v6
	s_cmp_lt_i32 s20, 11
	v_lshl_add_u64 v[2:3], s[4:5], 0, v[0:1]
	s_cbranch_scc1 .LBB240_1897
; %bb.1820:
	s_and_b32 s9, 0xffff, s20
	s_mov_b64 s[10:11], -1
	s_mov_b64 s[2:3], 0
	s_cmp_gt_i32 s9, 25
	s_mov_b64 s[6:7], 0
	s_mov_b64 s[0:1], 0
	s_cbranch_scc0 .LBB240_1853
; %bb.1821:
	s_cmp_gt_i32 s9, 28
	s_cbranch_scc0 .LBB240_1836
; %bb.1822:
	s_cmp_gt_i32 s9, 43
	;; [unrolled: 3-line block ×3, first 2 shown]
	s_cbranch_scc0 .LBB240_1826
; %bb.1824:
	s_mov_b64 s[0:1], -1
	s_mov_b64 s[10:11], 0
	s_cmp_eq_u32 s9, 46
	s_cbranch_scc0 .LBB240_1826
; %bb.1825:
	v_cvt_f32_f16_e32 v4, v5
	v_cvt_f32_f16_e32 v1, v6
	s_movk_i32 s0, 0x7fff
	v_cmp_o_f16_e32 vcc, v5, v5
	v_bfe_u32 v15, v4, 16, 1
	v_bfe_u32 v14, v1, 16, 1
	v_add3_u32 v4, v4, v15, s0
	v_add3_u32 v1, v1, v14, s0
	v_and_b32_e32 v4, 0xffff0000, v4
	v_mov_b32_e32 v14, 0x7fc00000
	v_cndmask_b32_e32 v4, v14, v4, vcc
	v_cmp_o_f16_e32 vcc, v6, v6
	v_mov_b32_e32 v14, 0x7fc0
	s_mov_b64 s[0:1], 0
	v_cndmask_b32_sdwa v1, v14, v1, vcc dst_sel:DWORD dst_unused:UNUSED_PAD src0_sel:DWORD src1_sel:WORD_1
	v_or_b32_e32 v1, v4, v1
	global_store_dword v[2:3], v1, off
	s_mov_b64 s[6:7], -1
.LBB240_1826:
	s_and_b64 vcc, exec, s[10:11]
	s_cbranch_vccz .LBB240_1831
; %bb.1827:
	s_cmp_eq_u32 s9, 44
	s_mov_b64 s[0:1], -1
	s_cbranch_scc0 .LBB240_1831
; %bb.1828:
	v_cvt_f32_f16_e32 v1, v6
	s_movk_i32 s0, 0xff
	v_mov_b32_e32 v14, 0xff
	v_bfe_u32 v4, v1, 23, 8
	v_cmp_ne_u32_e32 vcc, s0, v4
	s_and_saveexec_b64 s[6:7], vcc
; %bb.1829:
	s_mov_b32 s0, 0x3fffff
	v_lshrrev_b32_e32 v14, 23, v1
	v_and_b32_e32 v15, 0x400000, v1
	v_and_or_b32 v1, v1, s0, v4
	v_cmp_ne_u32_e32 vcc, 0, v15
	v_cmp_ne_u32_e64 s[0:1], 0, v1
	s_and_b64 s[0:1], vcc, s[0:1]
	s_nop 0
	v_cndmask_b32_e64 v1, 0, 1, s[0:1]
	v_add_u32_e32 v14, v14, v1
; %bb.1830:
	s_or_b64 exec, exec, s[6:7]
	s_mov_b64 s[0:1], 0
	s_mov_b64 s[6:7], -1
	global_store_byte v[2:3], v14, off
.LBB240_1831:
	s_mov_b64 s[10:11], 0
.LBB240_1832:
	s_and_b64 vcc, exec, s[10:11]
	s_cbranch_vccz .LBB240_1835
; %bb.1833:
	s_cmp_eq_u32 s9, 29
	s_mov_b64 s[0:1], -1
	s_cbranch_scc0 .LBB240_1835
; %bb.1834:
	v_cvt_f32_f16_e32 v1, v6
	v_mov_b32_e32 v15, 0
	s_mov_b64 s[0:1], 0
	s_mov_b64 s[6:7], -1
	v_cvt_u32_f32_e32 v14, v1
	global_store_dwordx2 v[2:3], v[14:15], off
.LBB240_1835:
	s_mov_b64 s[10:11], 0
.LBB240_1836:
	s_and_b64 vcc, exec, s[10:11]
	s_cbranch_vccz .LBB240_1852
; %bb.1837:
	s_cmp_lt_i32 s9, 27
	s_mov_b64 s[6:7], -1
	s_cbranch_scc1 .LBB240_1843
; %bb.1838:
	s_cmp_gt_i32 s9, 27
	s_cbranch_scc0 .LBB240_1840
; %bb.1839:
	v_cvt_f32_f16_e32 v1, v6
	s_mov_b64 s[6:7], 0
	v_cvt_u32_f32_e32 v1, v1
	global_store_dword v[2:3], v1, off
.LBB240_1840:
	s_andn2_b64 vcc, exec, s[6:7]
	s_cbranch_vccnz .LBB240_1842
; %bb.1841:
	v_cvt_u16_f16_e32 v1, v6
	global_store_short v[2:3], v1, off
.LBB240_1842:
	s_mov_b64 s[6:7], 0
.LBB240_1843:
	s_andn2_b64 vcc, exec, s[6:7]
	s_cbranch_vccnz .LBB240_1851
; %bb.1844:
	v_cvt_f32_f16_e32 v1, v6
	s_mov_b32 s6, 0x43800000
	v_mov_b32_e32 v14, 0x80
	v_and_b32_e32 v4, 0x7fffffff, v1
	v_cmp_gt_u32_e32 vcc, s6, v4
	s_and_saveexec_b64 s[6:7], vcc
	s_cbranch_execz .LBB240_1850
; %bb.1845:
	s_mov_b32 s10, 0x3bffffff
	v_cmp_lt_u32_e32 vcc, s10, v4
	s_mov_b64 s[10:11], 0
                                        ; implicit-def: $vgpr4
	s_and_saveexec_b64 s[18:19], vcc
	s_xor_b64 s[18:19], exec, s[18:19]
	s_cbranch_execz .LBB240_2299
; %bb.1846:
	v_bfe_u32 v4, v1, 20, 1
	s_mov_b32 s21, 0x487ffff
	v_add3_u32 v4, v1, v4, s21
	s_mov_b64 s[10:11], exec
	v_lshrrev_b32_e32 v4, 20, v4
	s_andn2_saveexec_b64 s[18:19], s[18:19]
	s_cbranch_execnz .LBB240_2300
.LBB240_1847:
	s_or_b64 exec, exec, s[18:19]
	v_mov_b32_e32 v14, 0
	s_and_saveexec_b64 s[18:19], s[10:11]
.LBB240_1848:
	v_lshrrev_b32_e32 v1, 24, v1
	s_movk_i32 s10, 0x80
	v_and_or_b32 v14, v1, s10, v4
.LBB240_1849:
	s_or_b64 exec, exec, s[18:19]
.LBB240_1850:
	s_or_b64 exec, exec, s[6:7]
	global_store_byte v[2:3], v14, off
.LBB240_1851:
	s_mov_b64 s[6:7], -1
.LBB240_1852:
	s_mov_b64 s[10:11], 0
.LBB240_1853:
	s_and_b64 vcc, exec, s[10:11]
	s_cbranch_vccz .LBB240_1893
; %bb.1854:
	s_cmp_gt_i32 s9, 22
	s_mov_b64 s[2:3], -1
	s_cbranch_scc0 .LBB240_1886
; %bb.1855:
	s_cmp_lt_i32 s9, 24
	s_cbranch_scc1 .LBB240_1875
; %bb.1856:
	s_cmp_gt_i32 s9, 24
	s_cbranch_scc0 .LBB240_1864
; %bb.1857:
	v_cvt_f32_f16_e32 v1, v6
	s_mov_b32 s2, 0x47800000
	v_mov_b32_e32 v14, 0x80
	v_and_b32_e32 v4, 0x7fffffff, v1
	v_cmp_gt_u32_e32 vcc, s2, v4
	s_and_saveexec_b64 s[2:3], vcc
	s_cbranch_execz .LBB240_1863
; %bb.1858:
	s_mov_b32 s6, 0x37ffffff
	v_cmp_lt_u32_e32 vcc, s6, v4
	s_mov_b64 s[6:7], 0
                                        ; implicit-def: $vgpr4
	s_and_saveexec_b64 s[10:11], vcc
	s_xor_b64 s[10:11], exec, s[10:11]
	s_cbranch_execz .LBB240_2302
; %bb.1859:
	v_bfe_u32 v4, v1, 21, 1
	s_mov_b32 s18, 0x88fffff
	v_add3_u32 v4, v1, v4, s18
	s_mov_b64 s[6:7], exec
	v_lshrrev_b32_e32 v4, 21, v4
	s_andn2_saveexec_b64 s[10:11], s[10:11]
	s_cbranch_execnz .LBB240_2303
.LBB240_1860:
	s_or_b64 exec, exec, s[10:11]
	v_mov_b32_e32 v14, 0
	s_and_saveexec_b64 s[10:11], s[6:7]
.LBB240_1861:
	v_lshrrev_b32_e32 v1, 24, v1
	s_movk_i32 s6, 0x80
	v_and_or_b32 v14, v1, s6, v4
.LBB240_1862:
	s_or_b64 exec, exec, s[10:11]
.LBB240_1863:
	s_or_b64 exec, exec, s[2:3]
	s_mov_b64 s[2:3], 0
	global_store_byte v[2:3], v14, off
.LBB240_1864:
	s_and_b64 vcc, exec, s[2:3]
	s_cbranch_vccz .LBB240_1874
; %bb.1865:
	v_cvt_f32_f16_e32 v1, v6
	s_mov_b32 s2, 0x43f00000
                                        ; implicit-def: $vgpr4
	v_and_b32_e32 v14, 0x7fffffff, v1
	v_cmp_gt_u32_e32 vcc, s2, v14
	s_and_saveexec_b64 s[2:3], vcc
	s_xor_b64 s[2:3], exec, s[2:3]
	s_cbranch_execz .LBB240_1871
; %bb.1866:
	s_mov_b32 s6, 0x3c7fffff
	v_cmp_lt_u32_e32 vcc, s6, v14
                                        ; implicit-def: $vgpr4
	s_and_saveexec_b64 s[6:7], vcc
	s_xor_b64 s[6:7], exec, s[6:7]
; %bb.1867:
	v_bfe_u32 v4, v1, 20, 1
	s_mov_b32 s10, 0x407ffff
	v_add3_u32 v4, v1, v4, s10
	v_lshrrev_b32_e32 v14, 20, v4
	v_and_b32_e32 v4, 0xff00000, v4
	s_mov_b32 s10, 0x7f00000
	v_mov_b32_e32 v15, 0x7e
	v_cmp_ne_u32_e32 vcc, s10, v4
	s_nop 1
	v_cndmask_b32_e32 v4, v15, v14, vcc
; %bb.1868:
	s_andn2_saveexec_b64 s[6:7], s[6:7]
; %bb.1869:
	s_mov_b32 s10, 0x46800000
	v_add_f32_e64 v4, |v1|, s10
; %bb.1870:
	s_or_b64 exec, exec, s[6:7]
                                        ; implicit-def: $vgpr14
.LBB240_1871:
	s_andn2_saveexec_b64 s[2:3], s[2:3]
; %bb.1872:
	s_mov_b32 s6, 0x7f800000
	v_mov_b32_e32 v4, 0x7e
	v_mov_b32_e32 v15, 0x7f
	v_cmp_lt_u32_e32 vcc, s6, v14
	s_nop 1
	v_cndmask_b32_e32 v4, v4, v15, vcc
; %bb.1873:
	s_or_b64 exec, exec, s[2:3]
	v_lshrrev_b32_e32 v1, 24, v1
	s_movk_i32 s2, 0x80
	v_and_or_b32 v1, v1, s2, v4
	global_store_byte v[2:3], v1, off
.LBB240_1874:
	s_mov_b64 s[2:3], 0
.LBB240_1875:
	s_andn2_b64 vcc, exec, s[2:3]
	s_cbranch_vccnz .LBB240_1885
; %bb.1876:
	v_cvt_f32_f16_e32 v1, v6
	s_mov_b32 s2, 0x47800000
                                        ; implicit-def: $vgpr4
	v_and_b32_e32 v14, 0x7fffffff, v1
	v_cmp_gt_u32_e32 vcc, s2, v14
	s_and_saveexec_b64 s[2:3], vcc
	s_xor_b64 s[2:3], exec, s[2:3]
	s_cbranch_execz .LBB240_1882
; %bb.1877:
	s_mov_b32 s6, 0x387fffff
	v_cmp_lt_u32_e32 vcc, s6, v14
                                        ; implicit-def: $vgpr4
	s_and_saveexec_b64 s[6:7], vcc
	s_xor_b64 s[6:7], exec, s[6:7]
; %bb.1878:
	v_bfe_u32 v4, v1, 21, 1
	s_mov_b32 s10, 0x80fffff
	v_add3_u32 v4, v1, v4, s10
	v_lshrrev_b32_e32 v4, 21, v4
; %bb.1879:
	s_andn2_saveexec_b64 s[6:7], s[6:7]
; %bb.1880:
	s_mov_b32 s10, 0x43000000
	v_add_f32_e64 v4, |v1|, s10
; %bb.1881:
	s_or_b64 exec, exec, s[6:7]
                                        ; implicit-def: $vgpr14
.LBB240_1882:
	s_andn2_saveexec_b64 s[2:3], s[2:3]
; %bb.1883:
	s_mov_b32 s6, 0x7f800000
	v_mov_b32_e32 v4, 0x7c
	v_mov_b32_e32 v15, 0x7f
	v_cmp_lt_u32_e32 vcc, s6, v14
	s_nop 1
	v_cndmask_b32_e32 v4, v4, v15, vcc
; %bb.1884:
	s_or_b64 exec, exec, s[2:3]
	v_lshrrev_b32_e32 v1, 24, v1
	s_movk_i32 s2, 0x80
	v_and_or_b32 v1, v1, s2, v4
	global_store_byte v[2:3], v1, off
.LBB240_1885:
	s_mov_b64 s[2:3], 0
	s_mov_b64 s[6:7], -1
.LBB240_1886:
	s_andn2_b64 vcc, exec, s[2:3]
	s_mov_b64 s[2:3], 0
	s_cbranch_vccnz .LBB240_1893
; %bb.1887:
	s_cmp_gt_i32 s9, 14
	s_mov_b64 s[10:11], -1
	s_cbranch_scc0 .LBB240_1891
; %bb.1888:
	s_cmp_eq_u32 s9, 15
	s_mov_b64 s[0:1], -1
	s_cbranch_scc0 .LBB240_1890
; %bb.1889:
	v_cvt_f32_f16_e32 v1, v6
	s_movk_i32 s0, 0x7fff
	v_cmp_o_f16_e32 vcc, v6, v6
	v_mov_b32_e32 v4, 0x7fc0
	v_bfe_u32 v14, v1, 16, 1
	v_add3_u32 v1, v1, v14, s0
	v_cndmask_b32_sdwa v1, v4, v1, vcc dst_sel:DWORD dst_unused:UNUSED_PAD src0_sel:DWORD src1_sel:WORD_1
	global_store_short v[2:3], v1, off
	s_mov_b64 s[0:1], 0
	s_mov_b64 s[6:7], -1
.LBB240_1890:
	s_mov_b64 s[10:11], 0
.LBB240_1891:
	s_and_b64 vcc, exec, s[10:11]
	s_cbranch_vccz .LBB240_1893
; %bb.1892:
	s_cmp_lg_u32 s9, 11
	s_mov_b64 s[2:3], -1
	s_cselect_b64 s[0:1], -1, 0
.LBB240_1893:
	s_and_b64 vcc, exec, s[0:1]
	s_cbranch_vccnz .LBB240_2301
; %bb.1894:
	s_andn2_b64 vcc, exec, s[2:3]
	s_cbranch_vccnz .LBB240_1896
.LBB240_1895:
	v_and_b32_e32 v1, 0x7fff7fff, v13
	v_cmp_ne_u32_e32 vcc, 0, v1
	s_mov_b64 s[6:7], -1
	s_nop 0
	v_cndmask_b32_e64 v1, 0, 1, vcc
	global_store_byte v[2:3], v1, off
.LBB240_1896:
	s_mov_b64 s[0:1], 0
	s_branch .LBB240_1898
.LBB240_1897:
	s_mov_b64 s[0:1], -1
	s_mov_b64 s[6:7], 0
.LBB240_1898:
	s_and_b64 vcc, exec, s[0:1]
	s_cbranch_vccz .LBB240_1937
; %bb.1899:
	s_and_b32 s2, 0xffff, s20
	s_cmp_lt_i32 s2, 5
	s_mov_b64 s[0:1], -1
	s_cbranch_scc1 .LBB240_1920
; %bb.1900:
	s_cmp_lt_i32 s2, 8
	s_cbranch_scc1 .LBB240_1910
; %bb.1901:
	s_cmp_lt_i32 s2, 9
	s_cbranch_scc1 .LBB240_1907
; %bb.1902:
	v_cvt_f32_f16_e32 v5, v5
	s_cmp_gt_i32 s2, 9
	s_cbranch_scc0 .LBB240_1904
; %bb.1903:
	v_cvt_f32_f16_e32 v1, v6
	v_cvt_f64_f32_e32 v[16:17], v5
	s_mov_b64 s[0:1], 0
	v_cvt_f64_f32_e32 v[14:15], v1
	global_store_dwordx4 v[2:3], v[14:17], off
.LBB240_1904:
	s_andn2_b64 vcc, exec, s[0:1]
	s_cbranch_vccnz .LBB240_1906
; %bb.1905:
	v_cvt_f32_f16_e32 v4, v6
	global_store_dwordx2 v[2:3], v[4:5], off
.LBB240_1906:
	s_mov_b64 s[0:1], 0
.LBB240_1907:
	s_andn2_b64 vcc, exec, s[0:1]
	s_cbranch_vccnz .LBB240_1909
; %bb.1908:
	global_store_dword v[2:3], v13, off
.LBB240_1909:
	s_mov_b64 s[0:1], 0
.LBB240_1910:
	s_andn2_b64 vcc, exec, s[0:1]
	s_cbranch_vccnz .LBB240_1919
; %bb.1911:
	s_cmp_lt_i32 s2, 6
	s_mov_b64 s[0:1], -1
	s_cbranch_scc1 .LBB240_1917
; %bb.1912:
	s_cmp_gt_i32 s2, 6
	s_cbranch_scc0 .LBB240_1914
; %bb.1913:
	v_cvt_f32_f16_e32 v1, v6
	s_mov_b64 s[0:1], 0
	v_cvt_f64_f32_e32 v[4:5], v1
	global_store_dwordx2 v[2:3], v[4:5], off
.LBB240_1914:
	s_andn2_b64 vcc, exec, s[0:1]
	s_cbranch_vccnz .LBB240_1916
; %bb.1915:
	v_cvt_f32_f16_e32 v1, v6
	global_store_dword v[2:3], v1, off
.LBB240_1916:
	s_mov_b64 s[0:1], 0
.LBB240_1917:
	s_andn2_b64 vcc, exec, s[0:1]
	s_cbranch_vccnz .LBB240_1919
; %bb.1918:
	global_store_short v[2:3], v6, off
.LBB240_1919:
	s_mov_b64 s[0:1], 0
.LBB240_1920:
	s_andn2_b64 vcc, exec, s[0:1]
	s_cbranch_vccnz .LBB240_1936
; %bb.1921:
	s_cmp_lt_i32 s2, 2
	s_mov_b64 s[0:1], -1
	s_cbranch_scc1 .LBB240_1931
; %bb.1922:
	s_cmp_lt_i32 s2, 3
	s_cbranch_scc1 .LBB240_1928
; %bb.1923:
	s_cmp_gt_i32 s2, 3
	s_cbranch_scc0 .LBB240_1925
; %bb.1924:
	v_cvt_f32_f16_e32 v1, v6
	s_mov_b64 s[0:1], 0
	v_cvt_i32_f32_e32 v4, v1
	v_ashrrev_i32_e32 v5, 31, v4
	global_store_dwordx2 v[2:3], v[4:5], off
.LBB240_1925:
	s_andn2_b64 vcc, exec, s[0:1]
	s_cbranch_vccnz .LBB240_1927
; %bb.1926:
	v_cvt_f32_f16_e32 v1, v6
	v_cvt_i32_f32_e32 v1, v1
	global_store_dword v[2:3], v1, off
.LBB240_1927:
	s_mov_b64 s[0:1], 0
.LBB240_1928:
	s_andn2_b64 vcc, exec, s[0:1]
	s_cbranch_vccnz .LBB240_1930
; %bb.1929:
	v_cvt_i16_f16_e32 v1, v6
	global_store_short v[2:3], v1, off
.LBB240_1930:
	s_mov_b64 s[0:1], 0
.LBB240_1931:
	s_andn2_b64 vcc, exec, s[0:1]
	s_cbranch_vccnz .LBB240_1936
; %bb.1932:
	s_cmp_gt_i32 s2, 0
	s_mov_b64 s[0:1], -1
	s_cbranch_scc0 .LBB240_1934
; %bb.1933:
	v_cvt_i16_f16_e32 v1, v6
	global_store_byte v[2:3], v1, off
	s_mov_b64 s[0:1], 0
.LBB240_1934:
	s_andn2_b64 vcc, exec, s[0:1]
	s_cbranch_vccnz .LBB240_1936
; %bb.1935:
	v_cvt_f32_f16_e32 v1, v6
	v_cvt_i32_f32_e32 v1, v1
	global_store_byte v[2:3], v1, off
.LBB240_1936:
	s_mov_b64 s[6:7], -1
.LBB240_1937:
	s_andn2_b64 vcc, exec, s[6:7]
	s_cbranch_vccnz .LBB240_2252
; %bb.1938:
	v_cvt_f16_f32_e32 v4, v7
	v_cvt_f16_f32_e32 v6, v8
	s_lshl_b32 s18, s8, 7
	v_add_u32_e32 v0, s18, v0
	v_lshlrev_b32_e32 v1, 16, v4
	v_or_b32_e32 v7, v1, v6
	v_ashrrev_i32_e32 v1, 31, v0
	s_cmp_lt_i32 s20, 11
	v_lshl_add_u64 v[2:3], s[4:5], 0, v[0:1]
	s_cbranch_scc1 .LBB240_2016
; %bb.1939:
	s_and_b32 s19, 0xffff, s20
	s_mov_b64 s[8:9], -1
	s_mov_b64 s[2:3], 0
	s_cmp_gt_i32 s19, 25
	s_mov_b64 s[6:7], 0
	s_mov_b64 s[0:1], 0
	s_cbranch_scc0 .LBB240_1972
; %bb.1940:
	s_cmp_gt_i32 s19, 28
	s_cbranch_scc0 .LBB240_1955
; %bb.1941:
	s_cmp_gt_i32 s19, 43
	;; [unrolled: 3-line block ×3, first 2 shown]
	s_cbranch_scc0 .LBB240_1945
; %bb.1943:
	s_mov_b64 s[0:1], -1
	s_mov_b64 s[8:9], 0
	s_cmp_eq_u32 s19, 46
	s_cbranch_scc0 .LBB240_1945
; %bb.1944:
	v_cvt_f32_f16_e32 v5, v4
	v_cvt_f32_f16_e32 v1, v6
	s_movk_i32 s0, 0x7fff
	v_cmp_o_f16_e32 vcc, v4, v4
	v_bfe_u32 v13, v5, 16, 1
	v_bfe_u32 v8, v1, 16, 1
	v_add3_u32 v5, v5, v13, s0
	v_add3_u32 v1, v1, v8, s0
	v_and_b32_e32 v5, 0xffff0000, v5
	v_mov_b32_e32 v8, 0x7fc00000
	v_cndmask_b32_e32 v5, v8, v5, vcc
	v_cmp_o_f16_e32 vcc, v6, v6
	v_mov_b32_e32 v8, 0x7fc0
	s_mov_b64 s[0:1], 0
	v_cndmask_b32_sdwa v1, v8, v1, vcc dst_sel:DWORD dst_unused:UNUSED_PAD src0_sel:DWORD src1_sel:WORD_1
	v_or_b32_e32 v1, v5, v1
	global_store_dword v[2:3], v1, off
	s_mov_b64 s[6:7], -1
.LBB240_1945:
	s_and_b64 vcc, exec, s[8:9]
	s_cbranch_vccz .LBB240_1950
; %bb.1946:
	s_cmp_eq_u32 s19, 44
	s_mov_b64 s[0:1], -1
	s_cbranch_scc0 .LBB240_1950
; %bb.1947:
	v_cvt_f32_f16_e32 v1, v6
	s_movk_i32 s0, 0xff
	v_mov_b32_e32 v8, 0xff
	v_bfe_u32 v5, v1, 23, 8
	v_cmp_ne_u32_e32 vcc, s0, v5
	s_and_saveexec_b64 s[6:7], vcc
; %bb.1948:
	s_mov_b32 s0, 0x3fffff
	v_lshrrev_b32_e32 v8, 23, v1
	v_and_b32_e32 v13, 0x400000, v1
	v_and_or_b32 v1, v1, s0, v5
	v_cmp_ne_u32_e32 vcc, 0, v13
	v_cmp_ne_u32_e64 s[0:1], 0, v1
	s_and_b64 s[0:1], vcc, s[0:1]
	s_nop 0
	v_cndmask_b32_e64 v1, 0, 1, s[0:1]
	v_add_u32_e32 v8, v8, v1
; %bb.1949:
	s_or_b64 exec, exec, s[6:7]
	s_mov_b64 s[0:1], 0
	s_mov_b64 s[6:7], -1
	global_store_byte v[2:3], v8, off
.LBB240_1950:
	s_mov_b64 s[8:9], 0
.LBB240_1951:
	s_and_b64 vcc, exec, s[8:9]
	s_cbranch_vccz .LBB240_1954
; %bb.1952:
	s_cmp_eq_u32 s19, 29
	s_mov_b64 s[0:1], -1
	s_cbranch_scc0 .LBB240_1954
; %bb.1953:
	v_cvt_f32_f16_e32 v1, v6
	v_mov_b32_e32 v15, 0
	s_mov_b64 s[0:1], 0
	s_mov_b64 s[6:7], -1
	v_cvt_u32_f32_e32 v14, v1
	global_store_dwordx2 v[2:3], v[14:15], off
.LBB240_1954:
	s_mov_b64 s[8:9], 0
.LBB240_1955:
	s_and_b64 vcc, exec, s[8:9]
	s_cbranch_vccz .LBB240_1971
; %bb.1956:
	s_cmp_lt_i32 s19, 27
	s_mov_b64 s[6:7], -1
	s_cbranch_scc1 .LBB240_1962
; %bb.1957:
	s_cmp_gt_i32 s19, 27
	s_cbranch_scc0 .LBB240_1959
; %bb.1958:
	v_cvt_f32_f16_e32 v1, v6
	s_mov_b64 s[6:7], 0
	v_cvt_u32_f32_e32 v1, v1
	global_store_dword v[2:3], v1, off
.LBB240_1959:
	s_andn2_b64 vcc, exec, s[6:7]
	s_cbranch_vccnz .LBB240_1961
; %bb.1960:
	v_cvt_u16_f16_e32 v1, v6
	global_store_short v[2:3], v1, off
.LBB240_1961:
	s_mov_b64 s[6:7], 0
.LBB240_1962:
	s_andn2_b64 vcc, exec, s[6:7]
	s_cbranch_vccnz .LBB240_1970
; %bb.1963:
	v_cvt_f32_f16_e32 v1, v6
	s_mov_b32 s6, 0x43800000
	v_mov_b32_e32 v8, 0x80
	v_and_b32_e32 v5, 0x7fffffff, v1
	v_cmp_gt_u32_e32 vcc, s6, v5
	s_and_saveexec_b64 s[6:7], vcc
	s_cbranch_execz .LBB240_1969
; %bb.1964:
	s_mov_b32 s8, 0x3bffffff
	v_cmp_lt_u32_e32 vcc, s8, v5
	s_mov_b64 s[8:9], 0
                                        ; implicit-def: $vgpr5
	s_and_saveexec_b64 s[10:11], vcc
	s_xor_b64 s[10:11], exec, s[10:11]
	s_cbranch_execz .LBB240_2304
; %bb.1965:
	v_bfe_u32 v5, v1, 20, 1
	s_mov_b32 s21, 0x487ffff
	v_add3_u32 v5, v1, v5, s21
	s_mov_b64 s[8:9], exec
	v_lshrrev_b32_e32 v5, 20, v5
	s_andn2_saveexec_b64 s[10:11], s[10:11]
	s_cbranch_execnz .LBB240_2305
.LBB240_1966:
	s_or_b64 exec, exec, s[10:11]
	v_mov_b32_e32 v8, 0
	s_and_saveexec_b64 s[10:11], s[8:9]
.LBB240_1967:
	v_lshrrev_b32_e32 v1, 24, v1
	s_movk_i32 s8, 0x80
	v_and_or_b32 v8, v1, s8, v5
.LBB240_1968:
	s_or_b64 exec, exec, s[10:11]
.LBB240_1969:
	s_or_b64 exec, exec, s[6:7]
	global_store_byte v[2:3], v8, off
.LBB240_1970:
	s_mov_b64 s[6:7], -1
.LBB240_1971:
	s_mov_b64 s[8:9], 0
.LBB240_1972:
	s_and_b64 vcc, exec, s[8:9]
	s_cbranch_vccz .LBB240_2012
; %bb.1973:
	s_cmp_gt_i32 s19, 22
	s_mov_b64 s[2:3], -1
	s_cbranch_scc0 .LBB240_2005
; %bb.1974:
	s_cmp_lt_i32 s19, 24
	s_cbranch_scc1 .LBB240_1994
; %bb.1975:
	s_cmp_gt_i32 s19, 24
	s_cbranch_scc0 .LBB240_1983
; %bb.1976:
	v_cvt_f32_f16_e32 v1, v6
	s_mov_b32 s2, 0x47800000
	v_mov_b32_e32 v8, 0x80
	v_and_b32_e32 v5, 0x7fffffff, v1
	v_cmp_gt_u32_e32 vcc, s2, v5
	s_and_saveexec_b64 s[2:3], vcc
	s_cbranch_execz .LBB240_1982
; %bb.1977:
	s_mov_b32 s6, 0x37ffffff
	v_cmp_lt_u32_e32 vcc, s6, v5
	s_mov_b64 s[6:7], 0
                                        ; implicit-def: $vgpr5
	s_and_saveexec_b64 s[8:9], vcc
	s_xor_b64 s[8:9], exec, s[8:9]
	s_cbranch_execz .LBB240_2307
; %bb.1978:
	v_bfe_u32 v5, v1, 21, 1
	s_mov_b32 s10, 0x88fffff
	v_add3_u32 v5, v1, v5, s10
	s_mov_b64 s[6:7], exec
	v_lshrrev_b32_e32 v5, 21, v5
	s_andn2_saveexec_b64 s[8:9], s[8:9]
	s_cbranch_execnz .LBB240_2308
.LBB240_1979:
	s_or_b64 exec, exec, s[8:9]
	v_mov_b32_e32 v8, 0
	s_and_saveexec_b64 s[8:9], s[6:7]
.LBB240_1980:
	v_lshrrev_b32_e32 v1, 24, v1
	s_movk_i32 s6, 0x80
	v_and_or_b32 v8, v1, s6, v5
.LBB240_1981:
	s_or_b64 exec, exec, s[8:9]
.LBB240_1982:
	s_or_b64 exec, exec, s[2:3]
	s_mov_b64 s[2:3], 0
	global_store_byte v[2:3], v8, off
.LBB240_1983:
	s_and_b64 vcc, exec, s[2:3]
	s_cbranch_vccz .LBB240_1993
; %bb.1984:
	v_cvt_f32_f16_e32 v1, v6
	s_mov_b32 s2, 0x43f00000
                                        ; implicit-def: $vgpr5
	v_and_b32_e32 v8, 0x7fffffff, v1
	v_cmp_gt_u32_e32 vcc, s2, v8
	s_and_saveexec_b64 s[2:3], vcc
	s_xor_b64 s[2:3], exec, s[2:3]
	s_cbranch_execz .LBB240_1990
; %bb.1985:
	s_mov_b32 s6, 0x3c7fffff
	v_cmp_lt_u32_e32 vcc, s6, v8
                                        ; implicit-def: $vgpr5
	s_and_saveexec_b64 s[6:7], vcc
	s_xor_b64 s[6:7], exec, s[6:7]
; %bb.1986:
	v_bfe_u32 v5, v1, 20, 1
	s_mov_b32 s8, 0x407ffff
	v_add3_u32 v5, v1, v5, s8
	v_lshrrev_b32_e32 v8, 20, v5
	v_and_b32_e32 v5, 0xff00000, v5
	s_mov_b32 s8, 0x7f00000
	v_mov_b32_e32 v13, 0x7e
	v_cmp_ne_u32_e32 vcc, s8, v5
	s_nop 1
	v_cndmask_b32_e32 v5, v13, v8, vcc
; %bb.1987:
	s_andn2_saveexec_b64 s[6:7], s[6:7]
; %bb.1988:
	s_mov_b32 s8, 0x46800000
	v_add_f32_e64 v5, |v1|, s8
; %bb.1989:
	s_or_b64 exec, exec, s[6:7]
                                        ; implicit-def: $vgpr8
.LBB240_1990:
	s_andn2_saveexec_b64 s[2:3], s[2:3]
; %bb.1991:
	s_mov_b32 s6, 0x7f800000
	v_mov_b32_e32 v5, 0x7e
	v_mov_b32_e32 v13, 0x7f
	v_cmp_lt_u32_e32 vcc, s6, v8
	s_nop 1
	v_cndmask_b32_e32 v5, v5, v13, vcc
; %bb.1992:
	s_or_b64 exec, exec, s[2:3]
	v_lshrrev_b32_e32 v1, 24, v1
	s_movk_i32 s2, 0x80
	v_and_or_b32 v1, v1, s2, v5
	global_store_byte v[2:3], v1, off
.LBB240_1993:
	s_mov_b64 s[2:3], 0
.LBB240_1994:
	s_andn2_b64 vcc, exec, s[2:3]
	s_cbranch_vccnz .LBB240_2004
; %bb.1995:
	v_cvt_f32_f16_e32 v1, v6
	s_mov_b32 s2, 0x47800000
                                        ; implicit-def: $vgpr5
	v_and_b32_e32 v8, 0x7fffffff, v1
	v_cmp_gt_u32_e32 vcc, s2, v8
	s_and_saveexec_b64 s[2:3], vcc
	s_xor_b64 s[2:3], exec, s[2:3]
	s_cbranch_execz .LBB240_2001
; %bb.1996:
	s_mov_b32 s6, 0x387fffff
	v_cmp_lt_u32_e32 vcc, s6, v8
                                        ; implicit-def: $vgpr5
	s_and_saveexec_b64 s[6:7], vcc
	s_xor_b64 s[6:7], exec, s[6:7]
; %bb.1997:
	v_bfe_u32 v5, v1, 21, 1
	s_mov_b32 s8, 0x80fffff
	v_add3_u32 v5, v1, v5, s8
	v_lshrrev_b32_e32 v5, 21, v5
; %bb.1998:
	s_andn2_saveexec_b64 s[6:7], s[6:7]
; %bb.1999:
	s_mov_b32 s8, 0x43000000
	v_add_f32_e64 v5, |v1|, s8
; %bb.2000:
	s_or_b64 exec, exec, s[6:7]
                                        ; implicit-def: $vgpr8
.LBB240_2001:
	s_andn2_saveexec_b64 s[2:3], s[2:3]
; %bb.2002:
	s_mov_b32 s6, 0x7f800000
	v_mov_b32_e32 v5, 0x7c
	v_mov_b32_e32 v13, 0x7f
	v_cmp_lt_u32_e32 vcc, s6, v8
	s_nop 1
	v_cndmask_b32_e32 v5, v5, v13, vcc
; %bb.2003:
	s_or_b64 exec, exec, s[2:3]
	v_lshrrev_b32_e32 v1, 24, v1
	s_movk_i32 s2, 0x80
	v_and_or_b32 v1, v1, s2, v5
	global_store_byte v[2:3], v1, off
.LBB240_2004:
	s_mov_b64 s[2:3], 0
	s_mov_b64 s[6:7], -1
.LBB240_2005:
	s_andn2_b64 vcc, exec, s[2:3]
	s_mov_b64 s[2:3], 0
	s_cbranch_vccnz .LBB240_2012
; %bb.2006:
	s_cmp_gt_i32 s19, 14
	s_mov_b64 s[8:9], -1
	s_cbranch_scc0 .LBB240_2010
; %bb.2007:
	s_cmp_eq_u32 s19, 15
	s_mov_b64 s[0:1], -1
	s_cbranch_scc0 .LBB240_2009
; %bb.2008:
	v_cvt_f32_f16_e32 v1, v6
	s_movk_i32 s0, 0x7fff
	v_cmp_o_f16_e32 vcc, v6, v6
	v_mov_b32_e32 v5, 0x7fc0
	v_bfe_u32 v8, v1, 16, 1
	v_add3_u32 v1, v1, v8, s0
	v_cndmask_b32_sdwa v1, v5, v1, vcc dst_sel:DWORD dst_unused:UNUSED_PAD src0_sel:DWORD src1_sel:WORD_1
	global_store_short v[2:3], v1, off
	s_mov_b64 s[0:1], 0
	s_mov_b64 s[6:7], -1
.LBB240_2009:
	s_mov_b64 s[8:9], 0
.LBB240_2010:
	s_and_b64 vcc, exec, s[8:9]
	s_cbranch_vccz .LBB240_2012
; %bb.2011:
	s_cmp_lg_u32 s19, 11
	s_mov_b64 s[2:3], -1
	s_cselect_b64 s[0:1], -1, 0
.LBB240_2012:
	s_and_b64 vcc, exec, s[0:1]
	s_cbranch_vccnz .LBB240_2306
; %bb.2013:
	s_andn2_b64 vcc, exec, s[2:3]
	s_cbranch_vccnz .LBB240_2015
.LBB240_2014:
	v_and_b32_e32 v1, 0x7fff7fff, v7
	v_cmp_ne_u32_e32 vcc, 0, v1
	s_mov_b64 s[6:7], -1
	s_nop 0
	v_cndmask_b32_e64 v1, 0, 1, vcc
	global_store_byte v[2:3], v1, off
.LBB240_2015:
	s_mov_b64 s[0:1], 0
	s_branch .LBB240_2017
.LBB240_2016:
	s_mov_b64 s[0:1], -1
	s_mov_b64 s[6:7], 0
.LBB240_2017:
	s_and_b64 vcc, exec, s[0:1]
	s_cbranch_vccz .LBB240_2056
; %bb.2018:
	s_and_b32 s2, 0xffff, s20
	s_cmp_lt_i32 s2, 5
	s_mov_b64 s[0:1], -1
	s_cbranch_scc1 .LBB240_2039
; %bb.2019:
	s_cmp_lt_i32 s2, 8
	s_cbranch_scc1 .LBB240_2029
; %bb.2020:
	s_cmp_lt_i32 s2, 9
	s_cbranch_scc1 .LBB240_2026
; %bb.2021:
	v_cvt_f32_f16_e32 v5, v4
	s_cmp_gt_i32 s2, 9
	s_cbranch_scc0 .LBB240_2023
; %bb.2022:
	v_cvt_f32_f16_e32 v1, v6
	v_cvt_f64_f32_e32 v[16:17], v5
	s_mov_b64 s[0:1], 0
	v_cvt_f64_f32_e32 v[14:15], v1
	global_store_dwordx4 v[2:3], v[14:17], off
.LBB240_2023:
	s_andn2_b64 vcc, exec, s[0:1]
	s_cbranch_vccnz .LBB240_2025
; %bb.2024:
	v_cvt_f32_f16_e32 v4, v6
	global_store_dwordx2 v[2:3], v[4:5], off
.LBB240_2025:
	s_mov_b64 s[0:1], 0
.LBB240_2026:
	s_andn2_b64 vcc, exec, s[0:1]
	s_cbranch_vccnz .LBB240_2028
; %bb.2027:
	global_store_dword v[2:3], v7, off
.LBB240_2028:
	s_mov_b64 s[0:1], 0
.LBB240_2029:
	s_andn2_b64 vcc, exec, s[0:1]
	s_cbranch_vccnz .LBB240_2038
; %bb.2030:
	s_cmp_lt_i32 s2, 6
	s_mov_b64 s[0:1], -1
	s_cbranch_scc1 .LBB240_2036
; %bb.2031:
	s_cmp_gt_i32 s2, 6
	s_cbranch_scc0 .LBB240_2033
; %bb.2032:
	v_cvt_f32_f16_e32 v1, v6
	s_mov_b64 s[0:1], 0
	v_cvt_f64_f32_e32 v[4:5], v1
	global_store_dwordx2 v[2:3], v[4:5], off
.LBB240_2033:
	s_andn2_b64 vcc, exec, s[0:1]
	s_cbranch_vccnz .LBB240_2035
; %bb.2034:
	v_cvt_f32_f16_e32 v1, v6
	global_store_dword v[2:3], v1, off
.LBB240_2035:
	s_mov_b64 s[0:1], 0
.LBB240_2036:
	s_andn2_b64 vcc, exec, s[0:1]
	s_cbranch_vccnz .LBB240_2038
; %bb.2037:
	global_store_short v[2:3], v6, off
.LBB240_2038:
	s_mov_b64 s[0:1], 0
.LBB240_2039:
	s_andn2_b64 vcc, exec, s[0:1]
	s_cbranch_vccnz .LBB240_2055
; %bb.2040:
	s_cmp_lt_i32 s2, 2
	s_mov_b64 s[0:1], -1
	s_cbranch_scc1 .LBB240_2050
; %bb.2041:
	s_cmp_lt_i32 s2, 3
	s_cbranch_scc1 .LBB240_2047
; %bb.2042:
	s_cmp_gt_i32 s2, 3
	s_cbranch_scc0 .LBB240_2044
; %bb.2043:
	v_cvt_f32_f16_e32 v1, v6
	s_mov_b64 s[0:1], 0
	v_cvt_i32_f32_e32 v4, v1
	v_ashrrev_i32_e32 v5, 31, v4
	global_store_dwordx2 v[2:3], v[4:5], off
.LBB240_2044:
	s_andn2_b64 vcc, exec, s[0:1]
	s_cbranch_vccnz .LBB240_2046
; %bb.2045:
	v_cvt_f32_f16_e32 v1, v6
	v_cvt_i32_f32_e32 v1, v1
	global_store_dword v[2:3], v1, off
.LBB240_2046:
	s_mov_b64 s[0:1], 0
.LBB240_2047:
	s_andn2_b64 vcc, exec, s[0:1]
	s_cbranch_vccnz .LBB240_2049
; %bb.2048:
	v_cvt_i16_f16_e32 v1, v6
	global_store_short v[2:3], v1, off
.LBB240_2049:
	s_mov_b64 s[0:1], 0
.LBB240_2050:
	s_andn2_b64 vcc, exec, s[0:1]
	s_cbranch_vccnz .LBB240_2055
; %bb.2051:
	s_cmp_gt_i32 s2, 0
	s_mov_b64 s[0:1], -1
	s_cbranch_scc0 .LBB240_2053
; %bb.2052:
	v_cvt_i16_f16_e32 v1, v6
	global_store_byte v[2:3], v1, off
	s_mov_b64 s[0:1], 0
.LBB240_2053:
	s_andn2_b64 vcc, exec, s[0:1]
	s_cbranch_vccnz .LBB240_2055
; %bb.2054:
	v_cvt_f32_f16_e32 v1, v6
	v_cvt_i32_f32_e32 v1, v1
	global_store_byte v[2:3], v1, off
.LBB240_2055:
	s_mov_b64 s[6:7], -1
.LBB240_2056:
	s_andn2_b64 vcc, exec, s[6:7]
	s_cbranch_vccnz .LBB240_2252
; %bb.2057:
	v_cvt_f16_f32_e32 v4, v9
	v_cvt_f16_f32_e32 v6, v10
	v_add_u32_e32 v0, s18, v0
	v_ashrrev_i32_e32 v1, 31, v0
	v_lshlrev_b32_e32 v2, 16, v4
	v_or_b32_e32 v7, v2, v6
	s_cmp_lt_i32 s20, 11
	v_lshl_add_u64 v[2:3], s[4:5], 0, v[0:1]
	s_cbranch_scc1 .LBB240_2135
; %bb.2058:
	s_and_b32 s19, 0xffff, s20
	s_mov_b64 s[8:9], -1
	s_mov_b64 s[2:3], 0
	s_cmp_gt_i32 s19, 25
	s_mov_b64 s[6:7], 0
	s_mov_b64 s[0:1], 0
	s_cbranch_scc0 .LBB240_2091
; %bb.2059:
	s_cmp_gt_i32 s19, 28
	s_cbranch_scc0 .LBB240_2074
; %bb.2060:
	s_cmp_gt_i32 s19, 43
	;; [unrolled: 3-line block ×3, first 2 shown]
	s_cbranch_scc0 .LBB240_2064
; %bb.2062:
	s_mov_b64 s[0:1], -1
	s_mov_b64 s[8:9], 0
	s_cmp_eq_u32 s19, 46
	s_cbranch_scc0 .LBB240_2064
; %bb.2063:
	v_cvt_f32_f16_e32 v5, v4
	v_cvt_f32_f16_e32 v1, v6
	s_movk_i32 s0, 0x7fff
	v_cmp_o_f16_e32 vcc, v4, v4
	v_bfe_u32 v9, v5, 16, 1
	v_bfe_u32 v8, v1, 16, 1
	v_add3_u32 v5, v5, v9, s0
	v_add3_u32 v1, v1, v8, s0
	v_and_b32_e32 v5, 0xffff0000, v5
	v_mov_b32_e32 v8, 0x7fc00000
	v_cndmask_b32_e32 v5, v8, v5, vcc
	v_cmp_o_f16_e32 vcc, v6, v6
	v_mov_b32_e32 v8, 0x7fc0
	s_mov_b64 s[0:1], 0
	v_cndmask_b32_sdwa v1, v8, v1, vcc dst_sel:DWORD dst_unused:UNUSED_PAD src0_sel:DWORD src1_sel:WORD_1
	v_or_b32_e32 v1, v5, v1
	global_store_dword v[2:3], v1, off
	s_mov_b64 s[6:7], -1
.LBB240_2064:
	s_and_b64 vcc, exec, s[8:9]
	s_cbranch_vccz .LBB240_2069
; %bb.2065:
	s_cmp_eq_u32 s19, 44
	s_mov_b64 s[0:1], -1
	s_cbranch_scc0 .LBB240_2069
; %bb.2066:
	v_cvt_f32_f16_e32 v1, v6
	s_movk_i32 s0, 0xff
	v_mov_b32_e32 v8, 0xff
	v_bfe_u32 v5, v1, 23, 8
	v_cmp_ne_u32_e32 vcc, s0, v5
	s_and_saveexec_b64 s[6:7], vcc
; %bb.2067:
	s_mov_b32 s0, 0x3fffff
	v_lshrrev_b32_e32 v8, 23, v1
	v_and_b32_e32 v9, 0x400000, v1
	v_and_or_b32 v1, v1, s0, v5
	v_cmp_ne_u32_e32 vcc, 0, v9
	v_cmp_ne_u32_e64 s[0:1], 0, v1
	s_and_b64 s[0:1], vcc, s[0:1]
	s_nop 0
	v_cndmask_b32_e64 v1, 0, 1, s[0:1]
	v_add_u32_e32 v8, v8, v1
; %bb.2068:
	s_or_b64 exec, exec, s[6:7]
	s_mov_b64 s[0:1], 0
	s_mov_b64 s[6:7], -1
	global_store_byte v[2:3], v8, off
.LBB240_2069:
	s_mov_b64 s[8:9], 0
.LBB240_2070:
	s_and_b64 vcc, exec, s[8:9]
	s_cbranch_vccz .LBB240_2073
; %bb.2071:
	s_cmp_eq_u32 s19, 29
	s_mov_b64 s[0:1], -1
	s_cbranch_scc0 .LBB240_2073
; %bb.2072:
	v_cvt_f32_f16_e32 v1, v6
	v_mov_b32_e32 v9, 0
	s_mov_b64 s[0:1], 0
	s_mov_b64 s[6:7], -1
	v_cvt_u32_f32_e32 v8, v1
	global_store_dwordx2 v[2:3], v[8:9], off
.LBB240_2073:
	s_mov_b64 s[8:9], 0
.LBB240_2074:
	s_and_b64 vcc, exec, s[8:9]
	s_cbranch_vccz .LBB240_2090
; %bb.2075:
	s_cmp_lt_i32 s19, 27
	s_mov_b64 s[6:7], -1
	s_cbranch_scc1 .LBB240_2081
; %bb.2076:
	s_cmp_gt_i32 s19, 27
	s_cbranch_scc0 .LBB240_2078
; %bb.2077:
	v_cvt_f32_f16_e32 v1, v6
	s_mov_b64 s[6:7], 0
	v_cvt_u32_f32_e32 v1, v1
	global_store_dword v[2:3], v1, off
.LBB240_2078:
	s_andn2_b64 vcc, exec, s[6:7]
	s_cbranch_vccnz .LBB240_2080
; %bb.2079:
	v_cvt_u16_f16_e32 v1, v6
	global_store_short v[2:3], v1, off
.LBB240_2080:
	s_mov_b64 s[6:7], 0
.LBB240_2081:
	s_andn2_b64 vcc, exec, s[6:7]
	s_cbranch_vccnz .LBB240_2089
; %bb.2082:
	v_cvt_f32_f16_e32 v1, v6
	s_mov_b32 s6, 0x43800000
	v_mov_b32_e32 v8, 0x80
	v_and_b32_e32 v5, 0x7fffffff, v1
	v_cmp_gt_u32_e32 vcc, s6, v5
	s_and_saveexec_b64 s[6:7], vcc
	s_cbranch_execz .LBB240_2088
; %bb.2083:
	s_mov_b32 s8, 0x3bffffff
	v_cmp_lt_u32_e32 vcc, s8, v5
	s_mov_b64 s[8:9], 0
                                        ; implicit-def: $vgpr5
	s_and_saveexec_b64 s[10:11], vcc
	s_xor_b64 s[10:11], exec, s[10:11]
	s_cbranch_execz .LBB240_2309
; %bb.2084:
	v_bfe_u32 v5, v1, 20, 1
	s_mov_b32 s21, 0x487ffff
	v_add3_u32 v5, v1, v5, s21
	s_mov_b64 s[8:9], exec
	v_lshrrev_b32_e32 v5, 20, v5
	s_andn2_saveexec_b64 s[10:11], s[10:11]
	s_cbranch_execnz .LBB240_2310
.LBB240_2085:
	s_or_b64 exec, exec, s[10:11]
	v_mov_b32_e32 v8, 0
	s_and_saveexec_b64 s[10:11], s[8:9]
.LBB240_2086:
	v_lshrrev_b32_e32 v1, 24, v1
	s_movk_i32 s8, 0x80
	v_and_or_b32 v8, v1, s8, v5
.LBB240_2087:
	s_or_b64 exec, exec, s[10:11]
.LBB240_2088:
	s_or_b64 exec, exec, s[6:7]
	global_store_byte v[2:3], v8, off
.LBB240_2089:
	s_mov_b64 s[6:7], -1
.LBB240_2090:
	s_mov_b64 s[8:9], 0
.LBB240_2091:
	s_and_b64 vcc, exec, s[8:9]
	s_cbranch_vccz .LBB240_2131
; %bb.2092:
	s_cmp_gt_i32 s19, 22
	s_mov_b64 s[2:3], -1
	s_cbranch_scc0 .LBB240_2124
; %bb.2093:
	s_cmp_lt_i32 s19, 24
	s_cbranch_scc1 .LBB240_2113
; %bb.2094:
	s_cmp_gt_i32 s19, 24
	s_cbranch_scc0 .LBB240_2102
; %bb.2095:
	v_cvt_f32_f16_e32 v1, v6
	s_mov_b32 s2, 0x47800000
	v_mov_b32_e32 v8, 0x80
	v_and_b32_e32 v5, 0x7fffffff, v1
	v_cmp_gt_u32_e32 vcc, s2, v5
	s_and_saveexec_b64 s[2:3], vcc
	s_cbranch_execz .LBB240_2101
; %bb.2096:
	s_mov_b32 s6, 0x37ffffff
	v_cmp_lt_u32_e32 vcc, s6, v5
	s_mov_b64 s[6:7], 0
                                        ; implicit-def: $vgpr5
	s_and_saveexec_b64 s[8:9], vcc
	s_xor_b64 s[8:9], exec, s[8:9]
	s_cbranch_execz .LBB240_2312
; %bb.2097:
	v_bfe_u32 v5, v1, 21, 1
	s_mov_b32 s10, 0x88fffff
	v_add3_u32 v5, v1, v5, s10
	s_mov_b64 s[6:7], exec
	v_lshrrev_b32_e32 v5, 21, v5
	s_andn2_saveexec_b64 s[8:9], s[8:9]
	s_cbranch_execnz .LBB240_2313
.LBB240_2098:
	s_or_b64 exec, exec, s[8:9]
	v_mov_b32_e32 v8, 0
	s_and_saveexec_b64 s[8:9], s[6:7]
.LBB240_2099:
	v_lshrrev_b32_e32 v1, 24, v1
	s_movk_i32 s6, 0x80
	v_and_or_b32 v8, v1, s6, v5
.LBB240_2100:
	s_or_b64 exec, exec, s[8:9]
.LBB240_2101:
	s_or_b64 exec, exec, s[2:3]
	s_mov_b64 s[2:3], 0
	global_store_byte v[2:3], v8, off
.LBB240_2102:
	s_and_b64 vcc, exec, s[2:3]
	s_cbranch_vccz .LBB240_2112
; %bb.2103:
	v_cvt_f32_f16_e32 v1, v6
	s_mov_b32 s2, 0x43f00000
                                        ; implicit-def: $vgpr5
	v_and_b32_e32 v8, 0x7fffffff, v1
	v_cmp_gt_u32_e32 vcc, s2, v8
	s_and_saveexec_b64 s[2:3], vcc
	s_xor_b64 s[2:3], exec, s[2:3]
	s_cbranch_execz .LBB240_2109
; %bb.2104:
	s_mov_b32 s6, 0x3c7fffff
	v_cmp_lt_u32_e32 vcc, s6, v8
                                        ; implicit-def: $vgpr5
	s_and_saveexec_b64 s[6:7], vcc
	s_xor_b64 s[6:7], exec, s[6:7]
; %bb.2105:
	v_bfe_u32 v5, v1, 20, 1
	s_mov_b32 s8, 0x407ffff
	v_add3_u32 v5, v1, v5, s8
	v_lshrrev_b32_e32 v8, 20, v5
	v_and_b32_e32 v5, 0xff00000, v5
	s_mov_b32 s8, 0x7f00000
	v_mov_b32_e32 v9, 0x7e
	v_cmp_ne_u32_e32 vcc, s8, v5
	s_nop 1
	v_cndmask_b32_e32 v5, v9, v8, vcc
; %bb.2106:
	s_andn2_saveexec_b64 s[6:7], s[6:7]
; %bb.2107:
	s_mov_b32 s8, 0x46800000
	v_add_f32_e64 v5, |v1|, s8
; %bb.2108:
	s_or_b64 exec, exec, s[6:7]
                                        ; implicit-def: $vgpr8
.LBB240_2109:
	s_andn2_saveexec_b64 s[2:3], s[2:3]
; %bb.2110:
	s_mov_b32 s6, 0x7f800000
	v_mov_b32_e32 v5, 0x7e
	v_mov_b32_e32 v9, 0x7f
	v_cmp_lt_u32_e32 vcc, s6, v8
	s_nop 1
	v_cndmask_b32_e32 v5, v5, v9, vcc
; %bb.2111:
	s_or_b64 exec, exec, s[2:3]
	v_lshrrev_b32_e32 v1, 24, v1
	s_movk_i32 s2, 0x80
	v_and_or_b32 v1, v1, s2, v5
	global_store_byte v[2:3], v1, off
.LBB240_2112:
	s_mov_b64 s[2:3], 0
.LBB240_2113:
	s_andn2_b64 vcc, exec, s[2:3]
	s_cbranch_vccnz .LBB240_2123
; %bb.2114:
	v_cvt_f32_f16_e32 v1, v6
	s_mov_b32 s2, 0x47800000
                                        ; implicit-def: $vgpr5
	v_and_b32_e32 v8, 0x7fffffff, v1
	v_cmp_gt_u32_e32 vcc, s2, v8
	s_and_saveexec_b64 s[2:3], vcc
	s_xor_b64 s[2:3], exec, s[2:3]
	s_cbranch_execz .LBB240_2120
; %bb.2115:
	s_mov_b32 s6, 0x387fffff
	v_cmp_lt_u32_e32 vcc, s6, v8
                                        ; implicit-def: $vgpr5
	s_and_saveexec_b64 s[6:7], vcc
	s_xor_b64 s[6:7], exec, s[6:7]
; %bb.2116:
	v_bfe_u32 v5, v1, 21, 1
	s_mov_b32 s8, 0x80fffff
	v_add3_u32 v5, v1, v5, s8
	v_lshrrev_b32_e32 v5, 21, v5
; %bb.2117:
	s_andn2_saveexec_b64 s[6:7], s[6:7]
; %bb.2118:
	s_mov_b32 s8, 0x43000000
	v_add_f32_e64 v5, |v1|, s8
; %bb.2119:
	s_or_b64 exec, exec, s[6:7]
                                        ; implicit-def: $vgpr8
.LBB240_2120:
	s_andn2_saveexec_b64 s[2:3], s[2:3]
; %bb.2121:
	s_mov_b32 s6, 0x7f800000
	v_mov_b32_e32 v5, 0x7c
	v_mov_b32_e32 v9, 0x7f
	v_cmp_lt_u32_e32 vcc, s6, v8
	s_nop 1
	v_cndmask_b32_e32 v5, v5, v9, vcc
; %bb.2122:
	s_or_b64 exec, exec, s[2:3]
	v_lshrrev_b32_e32 v1, 24, v1
	s_movk_i32 s2, 0x80
	v_and_or_b32 v1, v1, s2, v5
	global_store_byte v[2:3], v1, off
.LBB240_2123:
	s_mov_b64 s[2:3], 0
	s_mov_b64 s[6:7], -1
.LBB240_2124:
	s_andn2_b64 vcc, exec, s[2:3]
	s_mov_b64 s[2:3], 0
	s_cbranch_vccnz .LBB240_2131
; %bb.2125:
	s_cmp_gt_i32 s19, 14
	s_mov_b64 s[8:9], -1
	s_cbranch_scc0 .LBB240_2129
; %bb.2126:
	s_cmp_eq_u32 s19, 15
	s_mov_b64 s[0:1], -1
	s_cbranch_scc0 .LBB240_2128
; %bb.2127:
	v_cvt_f32_f16_e32 v1, v6
	s_movk_i32 s0, 0x7fff
	v_cmp_o_f16_e32 vcc, v6, v6
	v_mov_b32_e32 v5, 0x7fc0
	v_bfe_u32 v8, v1, 16, 1
	v_add3_u32 v1, v1, v8, s0
	v_cndmask_b32_sdwa v1, v5, v1, vcc dst_sel:DWORD dst_unused:UNUSED_PAD src0_sel:DWORD src1_sel:WORD_1
	global_store_short v[2:3], v1, off
	s_mov_b64 s[0:1], 0
	s_mov_b64 s[6:7], -1
.LBB240_2128:
	s_mov_b64 s[8:9], 0
.LBB240_2129:
	s_and_b64 vcc, exec, s[8:9]
	s_cbranch_vccz .LBB240_2131
; %bb.2130:
	s_cmp_lg_u32 s19, 11
	s_mov_b64 s[2:3], -1
	s_cselect_b64 s[0:1], -1, 0
.LBB240_2131:
	s_and_b64 vcc, exec, s[0:1]
	s_cbranch_vccnz .LBB240_2311
; %bb.2132:
	s_andn2_b64 vcc, exec, s[2:3]
	s_cbranch_vccnz .LBB240_2134
.LBB240_2133:
	v_and_b32_e32 v1, 0x7fff7fff, v7
	v_cmp_ne_u32_e32 vcc, 0, v1
	s_mov_b64 s[6:7], -1
	s_nop 0
	v_cndmask_b32_e64 v1, 0, 1, vcc
	global_store_byte v[2:3], v1, off
.LBB240_2134:
	s_mov_b64 s[0:1], 0
	s_branch .LBB240_2136
.LBB240_2135:
	s_mov_b64 s[0:1], -1
	s_mov_b64 s[6:7], 0
.LBB240_2136:
	s_and_b64 vcc, exec, s[0:1]
	s_cbranch_vccz .LBB240_2175
; %bb.2137:
	s_and_b32 s2, 0xffff, s20
	s_cmp_lt_i32 s2, 5
	s_mov_b64 s[0:1], -1
	s_cbranch_scc1 .LBB240_2158
; %bb.2138:
	s_cmp_lt_i32 s2, 8
	s_cbranch_scc1 .LBB240_2148
; %bb.2139:
	s_cmp_lt_i32 s2, 9
	s_cbranch_scc1 .LBB240_2145
; %bb.2140:
	v_cvt_f32_f16_e32 v5, v4
	s_cmp_gt_i32 s2, 9
	s_cbranch_scc0 .LBB240_2142
; %bb.2141:
	v_cvt_f32_f16_e32 v1, v6
	v_cvt_f64_f32_e32 v[16:17], v5
	s_mov_b64 s[0:1], 0
	v_cvt_f64_f32_e32 v[14:15], v1
	global_store_dwordx4 v[2:3], v[14:17], off
.LBB240_2142:
	s_andn2_b64 vcc, exec, s[0:1]
	s_cbranch_vccnz .LBB240_2144
; %bb.2143:
	v_cvt_f32_f16_e32 v4, v6
	global_store_dwordx2 v[2:3], v[4:5], off
.LBB240_2144:
	s_mov_b64 s[0:1], 0
.LBB240_2145:
	s_andn2_b64 vcc, exec, s[0:1]
	s_cbranch_vccnz .LBB240_2147
; %bb.2146:
	global_store_dword v[2:3], v7, off
.LBB240_2147:
	s_mov_b64 s[0:1], 0
.LBB240_2148:
	s_andn2_b64 vcc, exec, s[0:1]
	s_cbranch_vccnz .LBB240_2157
; %bb.2149:
	s_cmp_lt_i32 s2, 6
	s_mov_b64 s[0:1], -1
	s_cbranch_scc1 .LBB240_2155
; %bb.2150:
	s_cmp_gt_i32 s2, 6
	s_cbranch_scc0 .LBB240_2152
; %bb.2151:
	v_cvt_f32_f16_e32 v1, v6
	s_mov_b64 s[0:1], 0
	v_cvt_f64_f32_e32 v[4:5], v1
	global_store_dwordx2 v[2:3], v[4:5], off
.LBB240_2152:
	s_andn2_b64 vcc, exec, s[0:1]
	s_cbranch_vccnz .LBB240_2154
; %bb.2153:
	v_cvt_f32_f16_e32 v1, v6
	global_store_dword v[2:3], v1, off
.LBB240_2154:
	s_mov_b64 s[0:1], 0
.LBB240_2155:
	s_andn2_b64 vcc, exec, s[0:1]
	s_cbranch_vccnz .LBB240_2157
; %bb.2156:
	global_store_short v[2:3], v6, off
.LBB240_2157:
	s_mov_b64 s[0:1], 0
.LBB240_2158:
	s_andn2_b64 vcc, exec, s[0:1]
	s_cbranch_vccnz .LBB240_2174
; %bb.2159:
	s_cmp_lt_i32 s2, 2
	s_mov_b64 s[0:1], -1
	s_cbranch_scc1 .LBB240_2169
; %bb.2160:
	s_cmp_lt_i32 s2, 3
	s_cbranch_scc1 .LBB240_2166
; %bb.2161:
	s_cmp_gt_i32 s2, 3
	s_cbranch_scc0 .LBB240_2163
; %bb.2162:
	v_cvt_f32_f16_e32 v1, v6
	s_mov_b64 s[0:1], 0
	v_cvt_i32_f32_e32 v4, v1
	v_ashrrev_i32_e32 v5, 31, v4
	global_store_dwordx2 v[2:3], v[4:5], off
.LBB240_2163:
	s_andn2_b64 vcc, exec, s[0:1]
	s_cbranch_vccnz .LBB240_2165
; %bb.2164:
	v_cvt_f32_f16_e32 v1, v6
	v_cvt_i32_f32_e32 v1, v1
	global_store_dword v[2:3], v1, off
.LBB240_2165:
	s_mov_b64 s[0:1], 0
.LBB240_2166:
	s_andn2_b64 vcc, exec, s[0:1]
	s_cbranch_vccnz .LBB240_2168
; %bb.2167:
	v_cvt_i16_f16_e32 v1, v6
	global_store_short v[2:3], v1, off
.LBB240_2168:
	s_mov_b64 s[0:1], 0
.LBB240_2169:
	s_andn2_b64 vcc, exec, s[0:1]
	s_cbranch_vccnz .LBB240_2174
; %bb.2170:
	s_cmp_gt_i32 s2, 0
	s_mov_b64 s[0:1], -1
	s_cbranch_scc0 .LBB240_2172
; %bb.2171:
	v_cvt_i16_f16_e32 v1, v6
	global_store_byte v[2:3], v1, off
	s_mov_b64 s[0:1], 0
.LBB240_2172:
	s_andn2_b64 vcc, exec, s[0:1]
	s_cbranch_vccnz .LBB240_2174
; %bb.2173:
	v_cvt_f32_f16_e32 v1, v6
	v_cvt_i32_f32_e32 v1, v1
	global_store_byte v[2:3], v1, off
.LBB240_2174:
	s_mov_b64 s[6:7], -1
.LBB240_2175:
	s_andn2_b64 vcc, exec, s[6:7]
	s_cbranch_vccnz .LBB240_2252
; %bb.2176:
	v_cvt_f16_f32_e32 v2, v11
	v_cvt_f16_f32_e32 v5, v12
	v_add_u32_e32 v0, s18, v0
	v_ashrrev_i32_e32 v1, 31, v0
	v_lshlrev_b32_e32 v3, 16, v2
	s_cmp_lt_i32 s20, 11
	v_lshl_add_u64 v[0:1], s[4:5], 0, v[0:1]
	s_cbranch_scc1 .LBB240_2297
; %bb.2177:
	s_and_b32 s10, 0xffff, s20
	s_mov_b64 s[4:5], -1
	s_mov_b64 s[2:3], 0
	s_cmp_gt_i32 s10, 25
	s_mov_b64 s[0:1], 0
	s_cbranch_scc0 .LBB240_2210
; %bb.2178:
	s_cmp_gt_i32 s10, 28
	s_cbranch_scc0 .LBB240_2194
; %bb.2179:
	s_cmp_gt_i32 s10, 43
	;; [unrolled: 3-line block ×3, first 2 shown]
	s_cbranch_scc0 .LBB240_2184
; %bb.2181:
	s_cmp_eq_u32 s10, 46
	s_mov_b64 s[0:1], -1
	s_cbranch_scc0 .LBB240_2183
; %bb.2182:
	v_cvt_f32_f16_e32 v6, v2
	v_cvt_f32_f16_e32 v4, v5
	s_movk_i32 s0, 0x7fff
	v_cmp_o_f16_e32 vcc, v2, v2
	v_bfe_u32 v8, v6, 16, 1
	v_bfe_u32 v7, v4, 16, 1
	v_add3_u32 v6, v6, v8, s0
	v_add3_u32 v4, v4, v7, s0
	v_and_b32_e32 v6, 0xffff0000, v6
	v_mov_b32_e32 v7, 0x7fc00000
	v_cndmask_b32_e32 v6, v7, v6, vcc
	v_cmp_o_f16_e32 vcc, v5, v5
	v_mov_b32_e32 v7, 0x7fc0
	s_mov_b64 s[0:1], 0
	v_cndmask_b32_sdwa v4, v7, v4, vcc dst_sel:DWORD dst_unused:UNUSED_PAD src0_sel:DWORD src1_sel:WORD_1
	v_or_b32_e32 v4, v6, v4
	global_store_dword v[0:1], v4, off
.LBB240_2183:
	s_mov_b64 s[4:5], 0
.LBB240_2184:
	s_and_b64 vcc, exec, s[4:5]
	s_cbranch_vccz .LBB240_2189
; %bb.2185:
	s_cmp_eq_u32 s10, 44
	s_mov_b64 s[0:1], -1
	s_cbranch_scc0 .LBB240_2189
; %bb.2186:
	v_cvt_f32_f16_e32 v4, v5
	s_movk_i32 s0, 0xff
	v_mov_b32_e32 v7, 0xff
	v_bfe_u32 v6, v4, 23, 8
	v_cmp_ne_u32_e32 vcc, s0, v6
	s_and_saveexec_b64 s[4:5], vcc
; %bb.2187:
	s_mov_b32 s0, 0x3fffff
	v_lshrrev_b32_e32 v7, 23, v4
	v_and_b32_e32 v8, 0x400000, v4
	v_and_or_b32 v4, v4, s0, v6
	v_cmp_ne_u32_e32 vcc, 0, v8
	v_cmp_ne_u32_e64 s[0:1], 0, v4
	s_and_b64 s[0:1], vcc, s[0:1]
	s_nop 0
	v_cndmask_b32_e64 v4, 0, 1, s[0:1]
	v_add_u32_e32 v7, v7, v4
; %bb.2188:
	s_or_b64 exec, exec, s[4:5]
	s_mov_b64 s[0:1], 0
	global_store_byte v[0:1], v7, off
.LBB240_2189:
	s_mov_b64 s[4:5], 0
.LBB240_2190:
	s_and_b64 vcc, exec, s[4:5]
	s_cbranch_vccz .LBB240_2193
; %bb.2191:
	s_cmp_eq_u32 s10, 29
	s_mov_b64 s[0:1], -1
	s_cbranch_scc0 .LBB240_2193
; %bb.2192:
	v_cvt_f32_f16_e32 v4, v5
	v_mov_b32_e32 v7, 0
	s_mov_b64 s[0:1], 0
	v_cvt_u32_f32_e32 v6, v4
	global_store_dwordx2 v[0:1], v[6:7], off
.LBB240_2193:
	s_mov_b64 s[4:5], 0
.LBB240_2194:
	s_and_b64 vcc, exec, s[4:5]
	s_cbranch_vccz .LBB240_2209
; %bb.2195:
	s_cmp_lt_i32 s10, 27
	s_mov_b64 s[4:5], -1
	s_cbranch_scc1 .LBB240_2201
; %bb.2196:
	s_cmp_gt_i32 s10, 27
	s_cbranch_scc0 .LBB240_2198
; %bb.2197:
	v_cvt_f32_f16_e32 v4, v5
	s_mov_b64 s[4:5], 0
	v_cvt_u32_f32_e32 v4, v4
	global_store_dword v[0:1], v4, off
.LBB240_2198:
	s_andn2_b64 vcc, exec, s[4:5]
	s_cbranch_vccnz .LBB240_2200
; %bb.2199:
	v_cvt_u16_f16_e32 v4, v5
	global_store_short v[0:1], v4, off
.LBB240_2200:
	s_mov_b64 s[4:5], 0
.LBB240_2201:
	s_andn2_b64 vcc, exec, s[4:5]
	s_cbranch_vccnz .LBB240_2209
; %bb.2202:
	v_cvt_f32_f16_e32 v4, v5
	s_mov_b32 s4, 0x43800000
	v_mov_b32_e32 v7, 0x80
	v_and_b32_e32 v6, 0x7fffffff, v4
	v_cmp_gt_u32_e32 vcc, s4, v6
	s_and_saveexec_b64 s[4:5], vcc
	s_cbranch_execz .LBB240_2208
; %bb.2203:
	s_mov_b32 s6, 0x3bffffff
	v_cmp_lt_u32_e32 vcc, s6, v6
	s_mov_b64 s[6:7], 0
                                        ; implicit-def: $vgpr6
	s_and_saveexec_b64 s[8:9], vcc
	s_xor_b64 s[8:9], exec, s[8:9]
	s_cbranch_execz .LBB240_2314
; %bb.2204:
	v_bfe_u32 v6, v4, 20, 1
	s_mov_b32 s11, 0x487ffff
	v_add3_u32 v6, v4, v6, s11
	s_mov_b64 s[6:7], exec
	v_lshrrev_b32_e32 v6, 20, v6
	s_andn2_saveexec_b64 s[8:9], s[8:9]
	s_cbranch_execnz .LBB240_2315
.LBB240_2205:
	s_or_b64 exec, exec, s[8:9]
	v_mov_b32_e32 v7, 0
	s_and_saveexec_b64 s[8:9], s[6:7]
.LBB240_2206:
	v_lshrrev_b32_e32 v4, 24, v4
	s_movk_i32 s6, 0x80
	v_and_or_b32 v7, v4, s6, v6
.LBB240_2207:
	s_or_b64 exec, exec, s[8:9]
.LBB240_2208:
	s_or_b64 exec, exec, s[4:5]
	global_store_byte v[0:1], v7, off
.LBB240_2209:
	s_mov_b64 s[4:5], 0
.LBB240_2210:
	s_and_b64 vcc, exec, s[4:5]
	s_cbranch_vccz .LBB240_2250
; %bb.2211:
	s_cmp_gt_i32 s10, 22
	s_mov_b64 s[2:3], -1
	s_cbranch_scc0 .LBB240_2243
; %bb.2212:
	s_cmp_lt_i32 s10, 24
	s_cbranch_scc1 .LBB240_2232
; %bb.2213:
	s_cmp_gt_i32 s10, 24
	s_cbranch_scc0 .LBB240_2221
; %bb.2214:
	v_cvt_f32_f16_e32 v4, v5
	s_mov_b32 s2, 0x47800000
	v_mov_b32_e32 v7, 0x80
	v_and_b32_e32 v6, 0x7fffffff, v4
	v_cmp_gt_u32_e32 vcc, s2, v6
	s_and_saveexec_b64 s[2:3], vcc
	s_cbranch_execz .LBB240_2220
; %bb.2215:
	s_mov_b32 s4, 0x37ffffff
	v_cmp_lt_u32_e32 vcc, s4, v6
	s_mov_b64 s[4:5], 0
                                        ; implicit-def: $vgpr6
	s_and_saveexec_b64 s[6:7], vcc
	s_xor_b64 s[6:7], exec, s[6:7]
	s_cbranch_execz .LBB240_2317
; %bb.2216:
	v_bfe_u32 v6, v4, 21, 1
	s_mov_b32 s8, 0x88fffff
	v_add3_u32 v6, v4, v6, s8
	s_mov_b64 s[4:5], exec
	v_lshrrev_b32_e32 v6, 21, v6
	s_andn2_saveexec_b64 s[6:7], s[6:7]
	s_cbranch_execnz .LBB240_2318
.LBB240_2217:
	s_or_b64 exec, exec, s[6:7]
	v_mov_b32_e32 v7, 0
	s_and_saveexec_b64 s[6:7], s[4:5]
.LBB240_2218:
	v_lshrrev_b32_e32 v4, 24, v4
	s_movk_i32 s4, 0x80
	v_and_or_b32 v7, v4, s4, v6
.LBB240_2219:
	s_or_b64 exec, exec, s[6:7]
.LBB240_2220:
	s_or_b64 exec, exec, s[2:3]
	s_mov_b64 s[2:3], 0
	global_store_byte v[0:1], v7, off
.LBB240_2221:
	s_and_b64 vcc, exec, s[2:3]
	s_cbranch_vccz .LBB240_2231
; %bb.2222:
	v_cvt_f32_f16_e32 v4, v5
	s_mov_b32 s2, 0x43f00000
                                        ; implicit-def: $vgpr6
	v_and_b32_e32 v7, 0x7fffffff, v4
	v_cmp_gt_u32_e32 vcc, s2, v7
	s_and_saveexec_b64 s[2:3], vcc
	s_xor_b64 s[2:3], exec, s[2:3]
	s_cbranch_execz .LBB240_2228
; %bb.2223:
	s_mov_b32 s4, 0x3c7fffff
	v_cmp_lt_u32_e32 vcc, s4, v7
                                        ; implicit-def: $vgpr6
	s_and_saveexec_b64 s[4:5], vcc
	s_xor_b64 s[4:5], exec, s[4:5]
; %bb.2224:
	v_bfe_u32 v6, v4, 20, 1
	s_mov_b32 s6, 0x407ffff
	v_add3_u32 v6, v4, v6, s6
	v_lshrrev_b32_e32 v7, 20, v6
	v_and_b32_e32 v6, 0xff00000, v6
	s_mov_b32 s6, 0x7f00000
	v_mov_b32_e32 v8, 0x7e
	v_cmp_ne_u32_e32 vcc, s6, v6
	s_nop 1
	v_cndmask_b32_e32 v6, v8, v7, vcc
; %bb.2225:
	s_andn2_saveexec_b64 s[4:5], s[4:5]
; %bb.2226:
	s_mov_b32 s6, 0x46800000
	v_add_f32_e64 v6, |v4|, s6
; %bb.2227:
	s_or_b64 exec, exec, s[4:5]
                                        ; implicit-def: $vgpr7
.LBB240_2228:
	s_andn2_saveexec_b64 s[2:3], s[2:3]
; %bb.2229:
	s_mov_b32 s4, 0x7f800000
	v_mov_b32_e32 v6, 0x7e
	v_mov_b32_e32 v8, 0x7f
	v_cmp_lt_u32_e32 vcc, s4, v7
	s_nop 1
	v_cndmask_b32_e32 v6, v6, v8, vcc
; %bb.2230:
	s_or_b64 exec, exec, s[2:3]
	v_lshrrev_b32_e32 v4, 24, v4
	s_movk_i32 s2, 0x80
	v_and_or_b32 v4, v4, s2, v6
	global_store_byte v[0:1], v4, off
.LBB240_2231:
	s_mov_b64 s[2:3], 0
.LBB240_2232:
	s_andn2_b64 vcc, exec, s[2:3]
	s_cbranch_vccnz .LBB240_2242
; %bb.2233:
	v_cvt_f32_f16_e32 v4, v5
	s_mov_b32 s2, 0x47800000
                                        ; implicit-def: $vgpr6
	v_and_b32_e32 v7, 0x7fffffff, v4
	v_cmp_gt_u32_e32 vcc, s2, v7
	s_and_saveexec_b64 s[2:3], vcc
	s_xor_b64 s[2:3], exec, s[2:3]
	s_cbranch_execz .LBB240_2239
; %bb.2234:
	s_mov_b32 s4, 0x387fffff
	v_cmp_lt_u32_e32 vcc, s4, v7
                                        ; implicit-def: $vgpr6
	s_and_saveexec_b64 s[4:5], vcc
	s_xor_b64 s[4:5], exec, s[4:5]
; %bb.2235:
	v_bfe_u32 v6, v4, 21, 1
	s_mov_b32 s6, 0x80fffff
	v_add3_u32 v6, v4, v6, s6
	v_lshrrev_b32_e32 v6, 21, v6
; %bb.2236:
	s_andn2_saveexec_b64 s[4:5], s[4:5]
; %bb.2237:
	s_mov_b32 s6, 0x43000000
	v_add_f32_e64 v6, |v4|, s6
; %bb.2238:
	s_or_b64 exec, exec, s[4:5]
                                        ; implicit-def: $vgpr7
.LBB240_2239:
	s_andn2_saveexec_b64 s[2:3], s[2:3]
; %bb.2240:
	s_mov_b32 s4, 0x7f800000
	v_mov_b32_e32 v6, 0x7c
	v_mov_b32_e32 v8, 0x7f
	v_cmp_lt_u32_e32 vcc, s4, v7
	s_nop 1
	v_cndmask_b32_e32 v6, v6, v8, vcc
; %bb.2241:
	s_or_b64 exec, exec, s[2:3]
	v_lshrrev_b32_e32 v4, 24, v4
	s_movk_i32 s2, 0x80
	v_and_or_b32 v4, v4, s2, v6
	global_store_byte v[0:1], v4, off
.LBB240_2242:
	s_mov_b64 s[2:3], 0
.LBB240_2243:
	s_andn2_b64 vcc, exec, s[2:3]
	s_mov_b64 s[2:3], 0
	s_cbranch_vccnz .LBB240_2250
; %bb.2244:
	s_cmp_gt_i32 s10, 14
	s_mov_b64 s[4:5], -1
	s_cbranch_scc0 .LBB240_2248
; %bb.2245:
	s_cmp_eq_u32 s10, 15
	s_mov_b64 s[0:1], -1
	s_cbranch_scc0 .LBB240_2247
; %bb.2246:
	v_cvt_f32_f16_e32 v4, v5
	s_movk_i32 s0, 0x7fff
	v_cmp_o_f16_e32 vcc, v5, v5
	v_mov_b32_e32 v6, 0x7fc0
	v_bfe_u32 v7, v4, 16, 1
	v_add3_u32 v4, v4, v7, s0
	v_cndmask_b32_sdwa v4, v6, v4, vcc dst_sel:DWORD dst_unused:UNUSED_PAD src0_sel:DWORD src1_sel:WORD_1
	global_store_short v[0:1], v4, off
	s_mov_b64 s[0:1], 0
.LBB240_2247:
	s_mov_b64 s[4:5], 0
.LBB240_2248:
	s_and_b64 vcc, exec, s[4:5]
	s_cbranch_vccz .LBB240_2250
; %bb.2249:
	s_cmp_lg_u32 s10, 11
	s_mov_b64 s[2:3], -1
	s_cselect_b64 s[0:1], -1, 0
.LBB240_2250:
	s_and_b64 vcc, exec, s[0:1]
	s_cbranch_vccnz .LBB240_2316
.LBB240_2251:
	s_mov_b64 s[0:1], 0
	s_branch .LBB240_2298
.LBB240_2252:
	s_mov_b64 s[0:1], 0
	s_mov_b64 s[2:3], 0
                                        ; implicit-def: $sgpr20
                                        ; implicit-def: $vgpr0_vgpr1
                                        ; implicit-def: $vgpr6
                                        ; implicit-def: $vgpr2
                                        ; implicit-def: $vgpr5
.LBB240_2253:
	s_and_b64 s[10:11], s[2:3], exec
	s_andn2_b64 s[2:3], s[14:15], exec
	s_and_b64 s[4:5], s[16:17], exec
	s_and_b64 s[0:1], s[0:1], exec
	s_or_b64 s[14:15], s[2:3], s[4:5]
.LBB240_2254:
	s_or_b64 exec, exec, s[12:13]
	s_and_saveexec_b64 s[2:3], s[14:15]
	s_cbranch_execz .LBB240_2257
; %bb.2255:
	; divergent unreachable
	s_or_b64 exec, exec, s[2:3]
	s_and_saveexec_b64 s[2:3], s[10:11]
	s_xor_b64 s[2:3], exec, s[2:3]
	s_cbranch_execnz .LBB240_2258
.LBB240_2256:
	s_or_b64 exec, exec, s[2:3]
	s_and_saveexec_b64 s[2:3], s[0:1]
	s_cbranch_execnz .LBB240_2259
	s_branch .LBB240_2296
.LBB240_2257:
	s_or_b64 exec, exec, s[2:3]
	s_and_saveexec_b64 s[2:3], s[10:11]
	s_xor_b64 s[2:3], exec, s[2:3]
	s_cbranch_execz .LBB240_2256
.LBB240_2258:
	v_and_b32_e32 v3, 0x7fff7fff, v6
	v_cmp_ne_u32_e32 vcc, 0, v3
	s_nop 1
	v_cndmask_b32_e64 v3, 0, 1, vcc
	s_waitcnt vmcnt(0)
	global_store_byte v[0:1], v3, off
	s_or_b64 exec, exec, s[2:3]
	s_and_saveexec_b64 s[2:3], s[0:1]
	s_cbranch_execz .LBB240_2296
.LBB240_2259:
	s_sext_i32_i16 s2, s20
	s_cmp_lt_i32 s2, 5
	s_mov_b64 s[0:1], -1
	s_cbranch_scc1 .LBB240_2280
; %bb.2260:
	s_cmp_lt_i32 s2, 8
	s_cbranch_scc1 .LBB240_2270
; %bb.2261:
	s_cmp_lt_i32 s2, 9
	s_cbranch_scc1 .LBB240_2267
; %bb.2262:
	s_waitcnt vmcnt(0)
	v_cvt_f32_f16_e32 v3, v2
	s_cmp_gt_i32 s2, 9
	s_cbranch_scc0 .LBB240_2264
; %bb.2263:
	v_cvt_f32_f16_e32 v2, v5
	v_cvt_f64_f32_e32 v[10:11], v3
	s_mov_b64 s[0:1], 0
	v_cvt_f64_f32_e32 v[8:9], v2
	global_store_dwordx4 v[0:1], v[8:11], off
.LBB240_2264:
	s_andn2_b64 vcc, exec, s[0:1]
	s_cbranch_vccnz .LBB240_2266
; %bb.2265:
	v_cvt_f32_f16_e32 v2, v5
	global_store_dwordx2 v[0:1], v[2:3], off
.LBB240_2266:
	s_mov_b64 s[0:1], 0
.LBB240_2267:
	s_andn2_b64 vcc, exec, s[0:1]
	s_cbranch_vccnz .LBB240_2269
; %bb.2268:
	s_waitcnt vmcnt(0)
	global_store_dword v[0:1], v6, off
.LBB240_2269:
	s_mov_b64 s[0:1], 0
.LBB240_2270:
	s_andn2_b64 vcc, exec, s[0:1]
	s_cbranch_vccnz .LBB240_2279
; %bb.2271:
	s_sext_i32_i16 s2, s20
	s_cmp_lt_i32 s2, 6
	s_mov_b64 s[0:1], -1
	s_cbranch_scc1 .LBB240_2277
; %bb.2272:
	s_cmp_gt_i32 s2, 6
	s_cbranch_scc0 .LBB240_2274
; %bb.2273:
	s_waitcnt vmcnt(0)
	v_cvt_f32_f16_e32 v2, v5
	s_mov_b64 s[0:1], 0
	v_cvt_f64_f32_e32 v[2:3], v2
	global_store_dwordx2 v[0:1], v[2:3], off
.LBB240_2274:
	s_andn2_b64 vcc, exec, s[0:1]
	s_cbranch_vccnz .LBB240_2276
; %bb.2275:
	s_waitcnt vmcnt(0)
	v_cvt_f32_f16_e32 v2, v5
	global_store_dword v[0:1], v2, off
.LBB240_2276:
	s_mov_b64 s[0:1], 0
.LBB240_2277:
	s_andn2_b64 vcc, exec, s[0:1]
	s_cbranch_vccnz .LBB240_2279
; %bb.2278:
	s_waitcnt vmcnt(0)
	global_store_short v[0:1], v5, off
.LBB240_2279:
	s_mov_b64 s[0:1], 0
.LBB240_2280:
	s_andn2_b64 vcc, exec, s[0:1]
	s_cbranch_vccnz .LBB240_2296
; %bb.2281:
	s_sext_i32_i16 s2, s20
	s_cmp_lt_i32 s2, 2
	s_mov_b64 s[0:1], -1
	s_cbranch_scc1 .LBB240_2291
; %bb.2282:
	s_cmp_lt_i32 s2, 3
	s_cbranch_scc1 .LBB240_2288
; %bb.2283:
	s_cmp_gt_i32 s2, 3
	s_cbranch_scc0 .LBB240_2285
; %bb.2284:
	s_waitcnt vmcnt(0)
	v_cvt_f32_f16_e32 v2, v5
	s_mov_b64 s[0:1], 0
	v_cvt_i32_f32_e32 v2, v2
	v_ashrrev_i32_e32 v3, 31, v2
	global_store_dwordx2 v[0:1], v[2:3], off
.LBB240_2285:
	s_andn2_b64 vcc, exec, s[0:1]
	s_cbranch_vccnz .LBB240_2287
; %bb.2286:
	s_waitcnt vmcnt(0)
	v_cvt_f32_f16_e32 v2, v5
	v_cvt_i32_f32_e32 v2, v2
	global_store_dword v[0:1], v2, off
.LBB240_2287:
	s_mov_b64 s[0:1], 0
.LBB240_2288:
	s_andn2_b64 vcc, exec, s[0:1]
	s_cbranch_vccnz .LBB240_2290
; %bb.2289:
	s_waitcnt vmcnt(0)
	v_cvt_i16_f16_e32 v2, v5
	global_store_short v[0:1], v2, off
.LBB240_2290:
	s_mov_b64 s[0:1], 0
.LBB240_2291:
	s_andn2_b64 vcc, exec, s[0:1]
	s_cbranch_vccnz .LBB240_2296
; %bb.2292:
	s_sext_i32_i16 s0, s20
	s_cmp_gt_i32 s0, 0
	s_mov_b64 s[0:1], -1
	s_cbranch_scc0 .LBB240_2294
; %bb.2293:
	s_waitcnt vmcnt(0)
	v_cvt_i16_f16_e32 v2, v5
	global_store_byte v[0:1], v2, off
	s_mov_b64 s[0:1], 0
.LBB240_2294:
	s_andn2_b64 vcc, exec, s[0:1]
	s_cbranch_vccnz .LBB240_2296
; %bb.2295:
	s_waitcnt vmcnt(0)
	v_cvt_f32_f16_e32 v2, v5
	v_cvt_i32_f32_e32 v2, v2
	global_store_byte v[0:1], v2, off
	s_endpgm
.LBB240_2296:
	s_endpgm
.LBB240_2297:
	s_mov_b64 s[2:3], 0
	s_mov_b64 s[0:1], -1
.LBB240_2298:
	v_or_b32_e32 v6, v3, v5
	s_branch .LBB240_2253
.LBB240_2299:
	s_andn2_saveexec_b64 s[18:19], s[18:19]
	s_cbranch_execz .LBB240_1847
.LBB240_2300:
	s_mov_b32 s21, 0x46000000
	v_add_f32_e64 v4, |v1|, s21
	v_and_b32_e32 v4, 0xff, v4
	v_cmp_ne_u32_e32 vcc, 0, v4
	s_andn2_b64 s[10:11], s[10:11], exec
	s_and_b64 s[22:23], vcc, exec
	s_or_b64 s[10:11], s[10:11], s[22:23]
	s_or_b64 exec, exec, s[18:19]
	v_mov_b32_e32 v14, 0
	s_and_saveexec_b64 s[18:19], s[10:11]
	s_cbranch_execnz .LBB240_1848
	s_branch .LBB240_1849
.LBB240_2301:
	s_trap 2
	s_or_b64 s[16:17], s[16:17], exec
	s_cbranch_execz .LBB240_1895
	s_branch .LBB240_1896
.LBB240_2302:
	s_andn2_saveexec_b64 s[10:11], s[10:11]
	s_cbranch_execz .LBB240_1860
.LBB240_2303:
	s_mov_b32 s18, 0x42800000
	v_add_f32_e64 v4, |v1|, s18
	v_and_b32_e32 v4, 0xff, v4
	v_cmp_ne_u32_e32 vcc, 0, v4
	s_andn2_b64 s[6:7], s[6:7], exec
	s_and_b64 s[18:19], vcc, exec
	s_or_b64 s[6:7], s[6:7], s[18:19]
	s_or_b64 exec, exec, s[10:11]
	v_mov_b32_e32 v14, 0
	s_and_saveexec_b64 s[10:11], s[6:7]
	s_cbranch_execnz .LBB240_1861
	s_branch .LBB240_1862
.LBB240_2304:
	s_andn2_saveexec_b64 s[10:11], s[10:11]
	s_cbranch_execz .LBB240_1966
.LBB240_2305:
	s_mov_b32 s21, 0x46000000
	v_add_f32_e64 v5, |v1|, s21
	v_and_b32_e32 v5, 0xff, v5
	v_cmp_ne_u32_e32 vcc, 0, v5
	s_andn2_b64 s[8:9], s[8:9], exec
	s_and_b64 s[22:23], vcc, exec
	s_or_b64 s[8:9], s[8:9], s[22:23]
	s_or_b64 exec, exec, s[10:11]
	v_mov_b32_e32 v8, 0
	s_and_saveexec_b64 s[10:11], s[8:9]
	s_cbranch_execnz .LBB240_1967
	s_branch .LBB240_1968
.LBB240_2306:
	s_trap 2
	s_or_b64 s[16:17], s[16:17], exec
	s_cbranch_execz .LBB240_2014
	s_branch .LBB240_2015
.LBB240_2307:
	s_andn2_saveexec_b64 s[8:9], s[8:9]
	s_cbranch_execz .LBB240_1979
.LBB240_2308:
	s_mov_b32 s10, 0x42800000
	v_add_f32_e64 v5, |v1|, s10
	v_and_b32_e32 v5, 0xff, v5
	v_cmp_ne_u32_e32 vcc, 0, v5
	s_andn2_b64 s[6:7], s[6:7], exec
	s_and_b64 s[10:11], vcc, exec
	s_or_b64 s[6:7], s[6:7], s[10:11]
	s_or_b64 exec, exec, s[8:9]
	v_mov_b32_e32 v8, 0
	s_and_saveexec_b64 s[8:9], s[6:7]
	s_cbranch_execnz .LBB240_1980
	s_branch .LBB240_1981
.LBB240_2309:
	s_andn2_saveexec_b64 s[10:11], s[10:11]
	s_cbranch_execz .LBB240_2085
.LBB240_2310:
	s_mov_b32 s21, 0x46000000
	v_add_f32_e64 v5, |v1|, s21
	v_and_b32_e32 v5, 0xff, v5
	v_cmp_ne_u32_e32 vcc, 0, v5
	s_andn2_b64 s[8:9], s[8:9], exec
	s_and_b64 s[22:23], vcc, exec
	s_or_b64 s[8:9], s[8:9], s[22:23]
	s_or_b64 exec, exec, s[10:11]
	v_mov_b32_e32 v8, 0
	s_and_saveexec_b64 s[10:11], s[8:9]
	s_cbranch_execnz .LBB240_2086
	s_branch .LBB240_2087
.LBB240_2311:
	s_trap 2
	s_or_b64 s[16:17], s[16:17], exec
	s_cbranch_execz .LBB240_2133
	s_branch .LBB240_2134
.LBB240_2312:
	s_andn2_saveexec_b64 s[8:9], s[8:9]
	s_cbranch_execz .LBB240_2098
.LBB240_2313:
	s_mov_b32 s10, 0x42800000
	v_add_f32_e64 v5, |v1|, s10
	v_and_b32_e32 v5, 0xff, v5
	v_cmp_ne_u32_e32 vcc, 0, v5
	s_andn2_b64 s[6:7], s[6:7], exec
	s_and_b64 s[10:11], vcc, exec
	s_or_b64 s[6:7], s[6:7], s[10:11]
	s_or_b64 exec, exec, s[8:9]
	v_mov_b32_e32 v8, 0
	s_and_saveexec_b64 s[8:9], s[6:7]
	s_cbranch_execnz .LBB240_2099
	s_branch .LBB240_2100
.LBB240_2314:
	s_andn2_saveexec_b64 s[8:9], s[8:9]
	s_cbranch_execz .LBB240_2205
.LBB240_2315:
	s_mov_b32 s11, 0x46000000
	v_add_f32_e64 v6, |v4|, s11
	v_and_b32_e32 v6, 0xff, v6
	v_cmp_ne_u32_e32 vcc, 0, v6
	s_andn2_b64 s[6:7], s[6:7], exec
	s_and_b64 s[18:19], vcc, exec
	s_or_b64 s[6:7], s[6:7], s[18:19]
	s_or_b64 exec, exec, s[8:9]
	v_mov_b32_e32 v7, 0
	s_and_saveexec_b64 s[8:9], s[6:7]
	s_cbranch_execnz .LBB240_2206
	s_branch .LBB240_2207
.LBB240_2316:
	s_mov_b64 s[2:3], 0
	s_or_b64 s[16:17], s[16:17], exec
	s_trap 2
	s_branch .LBB240_2251
.LBB240_2317:
	s_andn2_saveexec_b64 s[6:7], s[6:7]
	s_cbranch_execz .LBB240_2217
.LBB240_2318:
	s_mov_b32 s8, 0x42800000
	v_add_f32_e64 v6, |v4|, s8
	v_and_b32_e32 v6, 0xff, v6
	v_cmp_ne_u32_e32 vcc, 0, v6
	s_andn2_b64 s[4:5], s[4:5], exec
	s_and_b64 s[8:9], vcc, exec
	s_or_b64 s[4:5], s[4:5], s[8:9]
	s_or_b64 exec, exec, s[6:7]
	v_mov_b32_e32 v7, 0
	s_and_saveexec_b64 s[6:7], s[4:5]
	s_cbranch_execnz .LBB240_2218
	s_branch .LBB240_2219
	.section	.rodata,"a",@progbits
	.p2align	6, 0x0
	.amdhsa_kernel _ZN2at6native32elementwise_kernel_manual_unrollILi128ELi4EZNS0_15gpu_kernel_implIZZZNS0_16sqrt_kernel_cudaERNS_18TensorIteratorBaseEENKUlvE_clEvENKUlvE1_clEvEUlN3c107complexINS7_4HalfEEEE_EEvS4_RKT_EUlibE_EEviT1_
		.amdhsa_group_segment_fixed_size 0
		.amdhsa_private_segment_fixed_size 0
		.amdhsa_kernarg_size 40
		.amdhsa_user_sgpr_count 2
		.amdhsa_user_sgpr_dispatch_ptr 0
		.amdhsa_user_sgpr_queue_ptr 0
		.amdhsa_user_sgpr_kernarg_segment_ptr 1
		.amdhsa_user_sgpr_dispatch_id 0
		.amdhsa_user_sgpr_kernarg_preload_length 0
		.amdhsa_user_sgpr_kernarg_preload_offset 0
		.amdhsa_user_sgpr_private_segment_size 0
		.amdhsa_uses_dynamic_stack 0
		.amdhsa_enable_private_segment 0
		.amdhsa_system_sgpr_workgroup_id_x 1
		.amdhsa_system_sgpr_workgroup_id_y 0
		.amdhsa_system_sgpr_workgroup_id_z 0
		.amdhsa_system_sgpr_workgroup_info 0
		.amdhsa_system_vgpr_workitem_id 0
		.amdhsa_next_free_vgpr 24
		.amdhsa_next_free_sgpr 48
		.amdhsa_accum_offset 24
		.amdhsa_reserve_vcc 1
		.amdhsa_float_round_mode_32 0
		.amdhsa_float_round_mode_16_64 0
		.amdhsa_float_denorm_mode_32 3
		.amdhsa_float_denorm_mode_16_64 3
		.amdhsa_dx10_clamp 1
		.amdhsa_ieee_mode 1
		.amdhsa_fp16_overflow 0
		.amdhsa_tg_split 0
		.amdhsa_exception_fp_ieee_invalid_op 0
		.amdhsa_exception_fp_denorm_src 0
		.amdhsa_exception_fp_ieee_div_zero 0
		.amdhsa_exception_fp_ieee_overflow 0
		.amdhsa_exception_fp_ieee_underflow 0
		.amdhsa_exception_fp_ieee_inexact 0
		.amdhsa_exception_int_div_zero 0
	.end_amdhsa_kernel
	.section	.text._ZN2at6native32elementwise_kernel_manual_unrollILi128ELi4EZNS0_15gpu_kernel_implIZZZNS0_16sqrt_kernel_cudaERNS_18TensorIteratorBaseEENKUlvE_clEvENKUlvE1_clEvEUlN3c107complexINS7_4HalfEEEE_EEvS4_RKT_EUlibE_EEviT1_,"axG",@progbits,_ZN2at6native32elementwise_kernel_manual_unrollILi128ELi4EZNS0_15gpu_kernel_implIZZZNS0_16sqrt_kernel_cudaERNS_18TensorIteratorBaseEENKUlvE_clEvENKUlvE1_clEvEUlN3c107complexINS7_4HalfEEEE_EEvS4_RKT_EUlibE_EEviT1_,comdat
.Lfunc_end240:
	.size	_ZN2at6native32elementwise_kernel_manual_unrollILi128ELi4EZNS0_15gpu_kernel_implIZZZNS0_16sqrt_kernel_cudaERNS_18TensorIteratorBaseEENKUlvE_clEvENKUlvE1_clEvEUlN3c107complexINS7_4HalfEEEE_EEvS4_RKT_EUlibE_EEviT1_, .Lfunc_end240-_ZN2at6native32elementwise_kernel_manual_unrollILi128ELi4EZNS0_15gpu_kernel_implIZZZNS0_16sqrt_kernel_cudaERNS_18TensorIteratorBaseEENKUlvE_clEvENKUlvE1_clEvEUlN3c107complexINS7_4HalfEEEE_EEvS4_RKT_EUlibE_EEviT1_
                                        ; -- End function
	.set _ZN2at6native32elementwise_kernel_manual_unrollILi128ELi4EZNS0_15gpu_kernel_implIZZZNS0_16sqrt_kernel_cudaERNS_18TensorIteratorBaseEENKUlvE_clEvENKUlvE1_clEvEUlN3c107complexINS7_4HalfEEEE_EEvS4_RKT_EUlibE_EEviT1_.num_vgpr, 24
	.set _ZN2at6native32elementwise_kernel_manual_unrollILi128ELi4EZNS0_15gpu_kernel_implIZZZNS0_16sqrt_kernel_cudaERNS_18TensorIteratorBaseEENKUlvE_clEvENKUlvE1_clEvEUlN3c107complexINS7_4HalfEEEE_EEvS4_RKT_EUlibE_EEviT1_.num_agpr, 0
	.set _ZN2at6native32elementwise_kernel_manual_unrollILi128ELi4EZNS0_15gpu_kernel_implIZZZNS0_16sqrt_kernel_cudaERNS_18TensorIteratorBaseEENKUlvE_clEvENKUlvE1_clEvEUlN3c107complexINS7_4HalfEEEE_EEvS4_RKT_EUlibE_EEviT1_.numbered_sgpr, 48
	.set _ZN2at6native32elementwise_kernel_manual_unrollILi128ELi4EZNS0_15gpu_kernel_implIZZZNS0_16sqrt_kernel_cudaERNS_18TensorIteratorBaseEENKUlvE_clEvENKUlvE1_clEvEUlN3c107complexINS7_4HalfEEEE_EEvS4_RKT_EUlibE_EEviT1_.num_named_barrier, 0
	.set _ZN2at6native32elementwise_kernel_manual_unrollILi128ELi4EZNS0_15gpu_kernel_implIZZZNS0_16sqrt_kernel_cudaERNS_18TensorIteratorBaseEENKUlvE_clEvENKUlvE1_clEvEUlN3c107complexINS7_4HalfEEEE_EEvS4_RKT_EUlibE_EEviT1_.private_seg_size, 0
	.set _ZN2at6native32elementwise_kernel_manual_unrollILi128ELi4EZNS0_15gpu_kernel_implIZZZNS0_16sqrt_kernel_cudaERNS_18TensorIteratorBaseEENKUlvE_clEvENKUlvE1_clEvEUlN3c107complexINS7_4HalfEEEE_EEvS4_RKT_EUlibE_EEviT1_.uses_vcc, 1
	.set _ZN2at6native32elementwise_kernel_manual_unrollILi128ELi4EZNS0_15gpu_kernel_implIZZZNS0_16sqrt_kernel_cudaERNS_18TensorIteratorBaseEENKUlvE_clEvENKUlvE1_clEvEUlN3c107complexINS7_4HalfEEEE_EEvS4_RKT_EUlibE_EEviT1_.uses_flat_scratch, 0
	.set _ZN2at6native32elementwise_kernel_manual_unrollILi128ELi4EZNS0_15gpu_kernel_implIZZZNS0_16sqrt_kernel_cudaERNS_18TensorIteratorBaseEENKUlvE_clEvENKUlvE1_clEvEUlN3c107complexINS7_4HalfEEEE_EEvS4_RKT_EUlibE_EEviT1_.has_dyn_sized_stack, 0
	.set _ZN2at6native32elementwise_kernel_manual_unrollILi128ELi4EZNS0_15gpu_kernel_implIZZZNS0_16sqrt_kernel_cudaERNS_18TensorIteratorBaseEENKUlvE_clEvENKUlvE1_clEvEUlN3c107complexINS7_4HalfEEEE_EEvS4_RKT_EUlibE_EEviT1_.has_recursion, 0
	.set _ZN2at6native32elementwise_kernel_manual_unrollILi128ELi4EZNS0_15gpu_kernel_implIZZZNS0_16sqrt_kernel_cudaERNS_18TensorIteratorBaseEENKUlvE_clEvENKUlvE1_clEvEUlN3c107complexINS7_4HalfEEEE_EEvS4_RKT_EUlibE_EEviT1_.has_indirect_call, 0
	.section	.AMDGPU.csdata,"",@progbits
; Kernel info:
; codeLenInByte = 46948
; TotalNumSgprs: 54
; NumVgprs: 24
; NumAgprs: 0
; TotalNumVgprs: 24
; ScratchSize: 0
; MemoryBound: 0
; FloatMode: 240
; IeeeMode: 1
; LDSByteSize: 0 bytes/workgroup (compile time only)
; SGPRBlocks: 6
; VGPRBlocks: 2
; NumSGPRsForWavesPerEU: 54
; NumVGPRsForWavesPerEU: 24
; AccumOffset: 24
; Occupancy: 8
; WaveLimiterHint : 0
; COMPUTE_PGM_RSRC2:SCRATCH_EN: 0
; COMPUTE_PGM_RSRC2:USER_SGPR: 2
; COMPUTE_PGM_RSRC2:TRAP_HANDLER: 0
; COMPUTE_PGM_RSRC2:TGID_X_EN: 1
; COMPUTE_PGM_RSRC2:TGID_Y_EN: 0
; COMPUTE_PGM_RSRC2:TGID_Z_EN: 0
; COMPUTE_PGM_RSRC2:TIDIG_COMP_CNT: 0
; COMPUTE_PGM_RSRC3_GFX90A:ACCUM_OFFSET: 5
; COMPUTE_PGM_RSRC3_GFX90A:TG_SPLIT: 0
	.section	.text._ZN2at6native32elementwise_kernel_manual_unrollILi128ELi4EZNS0_15gpu_kernel_implIZZZNS0_16sqrt_kernel_cudaERNS_18TensorIteratorBaseEENKUlvE_clEvENKUlvE1_clEvEUlN3c107complexINS7_4HalfEEEE_EEvS4_RKT_EUlibE0_EEviT1_,"axG",@progbits,_ZN2at6native32elementwise_kernel_manual_unrollILi128ELi4EZNS0_15gpu_kernel_implIZZZNS0_16sqrt_kernel_cudaERNS_18TensorIteratorBaseEENKUlvE_clEvENKUlvE1_clEvEUlN3c107complexINS7_4HalfEEEE_EEvS4_RKT_EUlibE0_EEviT1_,comdat
	.globl	_ZN2at6native32elementwise_kernel_manual_unrollILi128ELi4EZNS0_15gpu_kernel_implIZZZNS0_16sqrt_kernel_cudaERNS_18TensorIteratorBaseEENKUlvE_clEvENKUlvE1_clEvEUlN3c107complexINS7_4HalfEEEE_EEvS4_RKT_EUlibE0_EEviT1_ ; -- Begin function _ZN2at6native32elementwise_kernel_manual_unrollILi128ELi4EZNS0_15gpu_kernel_implIZZZNS0_16sqrt_kernel_cudaERNS_18TensorIteratorBaseEENKUlvE_clEvENKUlvE1_clEvEUlN3c107complexINS7_4HalfEEEE_EEvS4_RKT_EUlibE0_EEviT1_
	.p2align	8
	.type	_ZN2at6native32elementwise_kernel_manual_unrollILi128ELi4EZNS0_15gpu_kernel_implIZZZNS0_16sqrt_kernel_cudaERNS_18TensorIteratorBaseEENKUlvE_clEvENKUlvE1_clEvEUlN3c107complexINS7_4HalfEEEE_EEvS4_RKT_EUlibE0_EEviT1_,@function
_ZN2at6native32elementwise_kernel_manual_unrollILi128ELi4EZNS0_15gpu_kernel_implIZZZNS0_16sqrt_kernel_cudaERNS_18TensorIteratorBaseEENKUlvE_clEvENKUlvE1_clEvEUlN3c107complexINS7_4HalfEEEE_EEvS4_RKT_EUlibE0_EEviT1_: ; @_ZN2at6native32elementwise_kernel_manual_unrollILi128ELi4EZNS0_15gpu_kernel_implIZZZNS0_16sqrt_kernel_cudaERNS_18TensorIteratorBaseEENKUlvE_clEvENKUlvE1_clEvEUlN3c107complexINS7_4HalfEEEE_EEvS4_RKT_EUlibE0_EEviT1_
; %bb.0:
	s_load_dword s70, s[0:1], 0x0
	s_load_dword s33, s[0:1], 0x8
	s_add_u32 s34, s0, 8
	s_addc_u32 s35, s1, 0
	v_lshl_or_b32 v8, s2, 9, v0
	v_or_b32_e32 v16, 0x180, v8
	s_waitcnt lgkmcnt(0)
	s_add_i32 s72, s33, -1
	s_cmp_gt_u32 s72, 1
	v_cmp_le_i32_e32 vcc, s70, v16
	s_cselect_b64 s[42:43], -1, 0
	s_mov_b64 s[40:41], 0
	s_mov_b64 s[24:25], 0
	s_and_saveexec_b64 s[2:3], vcc
	s_xor_b64 s[44:45], exec, s[2:3]
	s_cbranch_execz .LBB241_1229
; %bb.1:
	v_mov_b32_e32 v0, 0
	global_load_ushort v0, v0, s[34:35] offset:345
	s_load_dwordx4 s[28:31], s[34:35], 0x4
	s_load_dwordx2 s[46:47], s[34:35], 0x14
	s_load_dwordx4 s[24:27], s[34:35], 0xc4
	s_load_dwordx4 s[20:23], s[34:35], 0x148
	s_cmp_lg_u32 s33, 0
	s_cselect_b64 s[52:53], -1, 0
	s_add_u32 s50, s34, 0xc4
	s_addc_u32 s51, s35, 0
	s_min_u32 s75, s72, 15
	s_cmp_gt_u32 s33, 1
	s_cselect_b64 s[48:49], -1, 0
	v_cmp_gt_i32_e32 vcc, s70, v8
	s_mov_b64 s[4:5], -1
	s_mov_b64 s[62:63], 0
	s_mov_b64 s[56:57], 0
	;; [unrolled: 1-line block ×3, first 2 shown]
	s_waitcnt vmcnt(0)
	v_readfirstlane_b32 s73, v0
	s_and_b32 s2, 0xffff, s73
	s_lshr_b32 s74, s2, 8
	s_and_saveexec_b64 s[58:59], vcc
	s_cbranch_execz .LBB241_301
; %bb.2:
	s_andn2_b64 vcc, exec, s[42:43]
	s_cbranch_vccnz .LBB241_8
; %bb.3:
	s_andn2_b64 vcc, exec, s[52:53]
	s_cbranch_vccnz .LBB241_9
; %bb.4:
	s_add_i32 s57, s75, 1
	s_cmp_eq_u32 s72, 2
	s_cbranch_scc1 .LBB241_10
; %bb.5:
	s_and_b32 s56, s57, 28
	s_mov_b32 s60, 0
	v_mov_b32_e32 v0, 0
	v_mov_b32_e32 v2, 0
	s_mov_b64 s[2:3], s[34:35]
	s_mov_b64 s[54:55], s[50:51]
	v_mov_b32_e32 v4, v8
.LBB241_6:                              ; =>This Inner Loop Header: Depth=1
	s_load_dwordx8 s[12:19], s[2:3], 0x4
	s_load_dwordx4 s[36:39], s[2:3], 0x24
	s_load_dwordx8 s[4:11], s[54:55], 0x0
	s_add_u32 s2, s2, 48
	s_addc_u32 s3, s3, 0
	s_waitcnt lgkmcnt(0)
	v_mul_hi_u32 v1, s13, v4
	v_add_u32_e32 v1, v4, v1
	v_lshrrev_b32_e32 v1, s14, v1
	v_mul_lo_u32 v3, v1, s12
	v_mul_hi_u32 v5, s16, v1
	v_sub_u32_e32 v3, v4, v3
	v_add_u32_e32 v4, v1, v5
	v_lshrrev_b32_e32 v4, s17, v4
	v_mul_lo_u32 v6, v4, s15
	v_mul_hi_u32 v7, s19, v4
	v_sub_u32_e32 v1, v1, v6
	v_add_u32_e32 v6, v4, v7
	v_mul_lo_u32 v5, v3, s5
	v_mul_lo_u32 v3, v3, s4
	;; [unrolled: 1-line block ×4, first 2 shown]
	v_lshrrev_b32_e32 v6, s36, v6
	v_add3_u32 v0, v3, v0, v1
	v_mul_hi_u32 v3, s38, v6
	v_add3_u32 v1, v5, v2, v7
	v_mul_lo_u32 v2, v6, s18
	v_add_u32_e32 v3, v6, v3
	v_sub_u32_e32 v2, v4, v2
	v_lshrrev_b32_e32 v4, s39, v3
	s_add_i32 s60, s60, 4
	v_mul_lo_u32 v3, v4, s37
	s_add_u32 s54, s54, 32
	v_sub_u32_e32 v3, v6, v3
	s_addc_u32 s55, s55, 0
	v_mul_lo_u32 v5, v2, s8
	v_mul_lo_u32 v2, v2, s9
	;; [unrolled: 1-line block ×4, first 2 shown]
	s_cmp_lg_u32 s56, s60
	v_add3_u32 v2, v2, v1, v3
	v_add3_u32 v0, v5, v0, v6
	s_cbranch_scc1 .LBB241_6
; %bb.7:
	v_mov_b32_e32 v1, v2
	s_branch .LBB241_11
.LBB241_8:
                                        ; implicit-def: $vgpr2
                                        ; implicit-def: $vgpr0
	s_branch .LBB241_15
.LBB241_9:
	v_mov_b32_e32 v2, 0
	v_mov_b32_e32 v0, 0
	s_branch .LBB241_14
.LBB241_10:
	v_mov_b32_e32 v0, 0
	s_mov_b32 s56, 0
	v_mov_b32_e32 v1, v0
                                        ; implicit-def: $vgpr2
	v_mov_b32_e32 v4, v8
.LBB241_11:
	s_and_b32 s6, s57, 3
	s_cmp_eq_u32 s6, 0
	s_cbranch_scc1 .LBB241_14
; %bb.12:
	s_lshl_b32 s2, s56, 3
	s_add_u32 s2, s34, s2
	s_addc_u32 s3, s35, 0
	s_add_u32 s2, s2, 0xc4
	s_addc_u32 s3, s3, 0
	s_mul_i32 s4, s56, 12
	s_add_u32 s4, s34, s4
	s_addc_u32 s5, s35, 0
.LBB241_13:                             ; =>This Inner Loop Header: Depth=1
	s_load_dwordx2 s[8:9], s[4:5], 0x4
	s_load_dword s7, s[4:5], 0xc
	s_load_dwordx2 s[10:11], s[2:3], 0x0
	v_mov_b32_e32 v2, v1
	s_add_u32 s4, s4, 12
	s_waitcnt lgkmcnt(0)
	v_mul_hi_u32 v1, s9, v4
	v_add_u32_e32 v1, v4, v1
	v_lshrrev_b32_e32 v1, s7, v1
	s_addc_u32 s5, s5, 0
	v_mul_lo_u32 v3, v1, s8
	s_add_u32 s2, s2, 8
	v_sub_u32_e32 v5, v4, v3
	s_addc_u32 s3, s3, 0
	s_add_i32 s6, s6, -1
	v_mov_b32_e32 v4, v1
	v_mad_u64_u32 v[2:3], s[8:9], v5, s11, v[2:3]
	v_mad_u64_u32 v[0:1], s[8:9], v5, s10, v[0:1]
	s_cmp_lg_u32 s6, 0
	v_mov_b32_e32 v1, v2
	s_cbranch_scc1 .LBB241_13
.LBB241_14:
	s_cbranch_execnz .LBB241_17
.LBB241_15:
	s_waitcnt lgkmcnt(0)
	v_mul_hi_u32 v0, s29, v8
	v_add_u32_e32 v0, v8, v0
	v_lshrrev_b32_e32 v1, s30, v0
	v_mul_lo_u32 v0, v1, s28
	v_sub_u32_e32 v0, v8, v0
	v_mul_lo_u32 v2, v0, s25
	s_andn2_b64 vcc, exec, s[48:49]
	v_mul_lo_u32 v0, v0, s24
	s_cbranch_vccnz .LBB241_17
; %bb.16:
	v_mul_hi_u32 v3, s46, v1
	v_add_u32_e32 v3, v1, v3
	v_lshrrev_b32_e32 v3, s47, v3
	v_mul_lo_u32 v3, v3, s31
	v_sub_u32_e32 v3, v1, v3
	v_mad_u64_u32 v[0:1], s[2:3], v3, s26, v[0:1]
	v_mad_u64_u32 v[2:3], s[2:3], v3, s27, v[2:3]
.LBB241_17:
	v_mov_b32_e32 v3, 0
	s_and_b32 s10, 0xffff, s74
	s_cmp_lt_i32 s10, 11
	s_waitcnt lgkmcnt(0)
	v_lshl_add_u64 v[2:3], s[22:23], 0, v[2:3]
	s_cbranch_scc1 .LBB241_24
; %bb.18:
	s_cmp_gt_i32 s10, 25
	s_cbranch_scc0 .LBB241_38
; %bb.19:
	s_cmp_gt_i32 s10, 28
	s_cbranch_scc0 .LBB241_39
	;; [unrolled: 3-line block ×4, first 2 shown]
; %bb.22:
	s_cmp_eq_u32 s10, 46
	s_mov_b64 s[4:5], 0
	s_cbranch_scc0 .LBB241_72
; %bb.23:
	global_load_dword v1, v[2:3], off
	s_mov_b64 s[2:3], -1
	s_mov_b64 s[6:7], 0
	s_waitcnt vmcnt(0)
	v_and_b32_e32 v4, 0xffff0000, v1
	v_lshlrev_b32_e32 v1, 16, v1
	v_cvt_f16_f32_e32 v1, v1
	v_cvt_f16_f32_e32 v4, v4
	s_branch .LBB241_74
.LBB241_24:
	s_mov_b64 s[6:7], 0
                                        ; implicit-def: $vgpr4
                                        ; implicit-def: $vgpr1
	s_mov_b64 s[2:3], 0
	s_cbranch_execnz .LBB241_249
.LBB241_25:
	s_andn2_b64 vcc, exec, s[2:3]
	s_cbranch_vccnz .LBB241_298
.LBB241_26:
	v_cvt_f32_f16_e32 v2, v4
	s_waitcnt vmcnt(0)
	v_cmp_neq_f16_e32 vcc, 0, v1
	v_cmp_neq_f16_e64 s[2:3], 0, v4
	s_or_b64 s[2:3], vcc, s[2:3]
	v_mov_b32_e32 v4, 0
	s_and_saveexec_b64 s[8:9], s[2:3]
	s_cbranch_execz .LBB241_60
; %bb.27:
	v_mov_b32_e32 v4, 0x7f800000
	v_cmp_neq_f32_e64 s[2:3], |v2|, v4
	s_and_saveexec_b64 s[10:11], s[2:3]
	s_cbranch_execz .LBB241_59
; %bb.28:
	v_cvt_f32_f16_e32 v3, v1
	v_cmp_o_f16_e32 vcc, v1, v1
                                        ; implicit-def: $vgpr4
	s_and_saveexec_b64 s[2:3], vcc
	s_xor_b64 s[12:13], exec, s[2:3]
	s_cbranch_execz .LBB241_56
; %bb.29:
	s_mov_b32 s2, 0x7f800000
	v_cmp_neq_f32_e64 s[2:3], |v3|, s2
                                        ; implicit-def: $vgpr4
	s_and_saveexec_b64 s[4:5], s[2:3]
	s_xor_b64 s[14:15], exec, s[4:5]
	s_cbranch_execz .LBB241_49
; %bb.30:
	v_max_f32_e64 v1, |v2|, |v2|
	v_max_f32_e64 v4, |v3|, |v3|
	v_max_f32_e32 v1, v4, v1
	s_mov_b32 s2, 0x7ed413cb
	v_cmp_nle_f32_e64 s[2:3], s2, v1
                                        ; implicit-def: $sgpr16_sgpr17
	s_and_saveexec_b64 s[4:5], s[2:3]
	s_xor_b64 s[4:5], exec, s[4:5]
	s_cbranch_execz .LBB241_34
; %bb.31:
	s_mov_b32 s18, 0x1000000
	v_cmp_le_f32_e64 s[16:17], |v3|, s18
	v_cmp_le_f32_e64 s[18:19], |v2|, s18
	s_and_b64 s[36:37], s[16:17], s[18:19]
	s_mov_b64 s[16:17], 0
	s_and_saveexec_b64 s[18:19], s[36:37]
; %bb.32:
	s_mov_b64 s[16:17], exec
	v_mul_f32_e32 v3, 4.0, v3
	v_mul_f32_e32 v2, 4.0, v2
; %bb.33:
	s_or_b64 exec, exec, s[18:19]
.LBB241_34:
	s_andn2_saveexec_b64 s[4:5], s[4:5]
; %bb.35:
	v_mul_f32_e32 v3, 0x3e800000, v3
	v_mul_f32_e32 v2, 0x3e800000, v2
	s_andn2_b64 s[16:17], s[16:17], exec
; %bb.36:
	s_or_b64 exec, exec, s[4:5]
	v_max_f32_e64 v1, |v2|, |v2|
	v_max_f32_e64 v4, |v3|, |v3|
	v_max_f32_e32 v1, v4, v1
	v_cvt_f64_f32_e32 v[4:5], v1
	v_frexp_exp_i32_f64_e32 v4, v[4:5]
	v_sub_u32_e32 v5, 0, v4
	v_ldexp_f32 v6, |v3|, v5
	v_ldexp_f32 v5, |v2|, v5
	v_mul_f32_e32 v5, v5, v5
	v_fmac_f32_e32 v5, v6, v6
	v_sqrt_f32_e32 v5, v5
	s_mov_b32 s4, 0x7f800000
	v_cmp_neq_f32_e64 s[4:5], s4, v1
	v_cmp_le_f32_e32 vcc, 0, v3
	v_ldexp_f32 v4, v5, v4
	v_mov_b32_e32 v5, 0x7f800000
	v_cndmask_b32_e64 v4, v5, v4, s[4:5]
                                        ; implicit-def: $vgpr5
                                        ; implicit-def: $vgpr1
	s_and_saveexec_b64 s[4:5], vcc
	s_xor_b64 s[18:19], exec, s[4:5]
	s_cbranch_execz .LBB241_42
; %bb.37:
	v_add_f32_e32 v1, v3, v4
	v_mul_f32_e32 v1, 0.5, v1
	s_mov_b32 s4, 0xf800000
	v_mul_f32_e32 v3, 0x4f800000, v1
	v_cmp_gt_f32_e32 vcc, s4, v1
	s_nop 1
	v_cndmask_b32_e32 v1, v1, v3, vcc
	v_sqrt_f32_e32 v3, v1
	s_nop 0
	v_add_u32_e32 v4, -1, v3
	v_fma_f32 v5, -v4, v3, v1
	v_cmp_ge_f32_e64 s[4:5], 0, v5
	v_add_u32_e32 v5, 1, v3
	s_nop 0
	v_cndmask_b32_e64 v4, v3, v4, s[4:5]
	v_fma_f32 v3, -v5, v3, v1
	v_cmp_lt_f32_e64 s[4:5], 0, v3
	s_nop 1
	v_cndmask_b32_e64 v3, v4, v5, s[4:5]
	v_mul_f32_e32 v4, 0x37800000, v3
	v_cndmask_b32_e32 v3, v3, v4, vcc
	v_mov_b32_e32 v4, 0x260
	v_cmp_class_f32_e32 vcc, v1, v4
	s_nop 1
	v_cndmask_b32_e32 v1, v3, v1, vcc
	v_add_f32_e32 v3, v1, v1
	v_div_scale_f32 v4, s[4:5], v3, v3, v2
	v_rcp_f32_e32 v5, v4
	s_nop 0
	v_fma_f32 v6, -v4, v5, 1.0
	v_fmac_f32_e32 v5, v6, v5
	v_div_scale_f32 v6, vcc, v2, v3, v2
	v_mul_f32_e32 v7, v6, v5
	v_fma_f32 v9, -v4, v7, v6
	v_fmac_f32_e32 v7, v9, v5
	v_fma_f32 v4, -v4, v7, v6
	v_div_fmas_f32 v4, v4, v5, v7
	v_div_fixup_f32 v5, v4, v3, v2
                                        ; implicit-def: $vgpr4
                                        ; implicit-def: $vgpr3
                                        ; implicit-def: $vgpr2
	s_andn2_saveexec_b64 s[18:19], s[18:19]
	s_cbranch_execz .LBB241_44
	s_branch .LBB241_43
.LBB241_38:
	s_mov_b64 s[6:7], 0
	s_mov_b64 s[2:3], 0
                                        ; implicit-def: $vgpr4
                                        ; implicit-def: $vgpr1
	s_cbranch_execnz .LBB241_214
	s_branch .LBB241_248
.LBB241_39:
	s_mov_b64 s[4:5], -1
	s_mov_b64 s[6:7], 0
	s_mov_b64 s[2:3], 0
                                        ; implicit-def: $vgpr4
                                        ; implicit-def: $vgpr1
	s_branch .LBB241_195
.LBB241_40:
	s_mov_b64 s[4:5], -1
	s_mov_b64 s[6:7], 0
	s_mov_b64 s[2:3], 0
                                        ; implicit-def: $vgpr4
                                        ; implicit-def: $vgpr1
	s_branch .LBB241_189
.LBB241_41:
	s_mov_b64 s[4:5], -1
	s_mov_b64 s[6:7], 0
	s_branch .LBB241_73
.LBB241_42:
	s_andn2_saveexec_b64 s[18:19], s[18:19]
	s_cbranch_execz .LBB241_44
.LBB241_43:
	v_sub_f32_e32 v1, v4, v3
	v_mul_f32_e32 v1, 0.5, v1
	s_mov_b32 s4, 0xf800000
	v_mul_f32_e32 v3, 0x4f800000, v1
	v_cmp_gt_f32_e32 vcc, s4, v1
	s_nop 1
	v_cndmask_b32_e32 v1, v1, v3, vcc
	v_sqrt_f32_e32 v3, v1
	s_nop 0
	v_add_u32_e32 v4, -1, v3
	v_fma_f32 v5, -v4, v3, v1
	v_cmp_ge_f32_e64 s[4:5], 0, v5
	v_add_u32_e32 v5, 1, v3
	s_nop 0
	v_cndmask_b32_e64 v4, v3, v4, s[4:5]
	v_fma_f32 v3, -v5, v3, v1
	v_cmp_lt_f32_e64 s[4:5], 0, v3
	s_nop 1
	v_cndmask_b32_e64 v3, v4, v5, s[4:5]
	v_mul_f32_e32 v4, 0x37800000, v3
	v_cndmask_b32_e32 v3, v3, v4, vcc
	v_mov_b32_e32 v4, 0x260
	v_cmp_class_f32_e32 vcc, v1, v4
	v_and_b32_e32 v4, 0x7fffffff, v2
	s_nop 0
	v_cndmask_b32_e32 v3, v3, v1, vcc
	v_add_f32_e32 v1, v3, v3
	v_div_scale_f32 v5, s[4:5], v1, v1, v4
	v_rcp_f32_e32 v6, v5
	v_div_scale_f32 v4, vcc, v4, v1, v4
	s_brev_b32 s4, -2
	v_fma_f32 v7, -v5, v6, 1.0
	v_fmac_f32_e32 v6, v7, v6
	v_mul_f32_e32 v7, v4, v6
	v_fma_f32 v9, -v5, v7, v4
	v_fmac_f32_e32 v7, v9, v6
	v_fma_f32 v4, -v5, v7, v4
	v_div_fmas_f32 v4, v4, v6, v7
	v_div_fixup_f32 v1, v4, v1, |v2|
	v_bfi_b32 v5, s4, v3, v2
.LBB241_44:
	s_or_b64 exec, exec, s[18:19]
                                        ; implicit-def: $vgpr2
                                        ; implicit-def: $vgpr4
	s_and_saveexec_b64 s[4:5], s[2:3]
	s_xor_b64 s[2:3], exec, s[4:5]
	s_cbranch_execz .LBB241_46
; %bb.45:
	v_mul_f32_e32 v2, 0.5, v1
	v_mul_f32_e32 v3, 0.5, v5
	v_cndmask_b32_e64 v4, v1, v2, s[16:17]
	v_cndmask_b32_e64 v2, v5, v3, s[16:17]
                                        ; implicit-def: $vgpr1
                                        ; implicit-def: $vgpr5
	s_andn2_saveexec_b64 s[2:3], s[2:3]
	s_cbranch_execnz .LBB241_47
	s_branch .LBB241_48
.LBB241_46:
	s_andn2_saveexec_b64 s[2:3], s[2:3]
.LBB241_47:
	v_add_f32_e32 v4, v1, v1
	v_add_f32_e32 v2, v5, v5
.LBB241_48:
	s_or_b64 exec, exec, s[2:3]
                                        ; implicit-def: $vgpr3
                                        ; implicit-def: $vgpr1
.LBB241_49:
	s_andn2_saveexec_b64 s[2:3], s[14:15]
	s_cbranch_execz .LBB241_55
; %bb.50:
	v_cmp_lt_i16_e32 vcc, -1, v1
	v_sub_f32_e32 v1, v2, v2
	s_brev_b32 s14, -2
	v_and_b32_e32 v4, 0x7fffffff, v1
	s_and_saveexec_b64 s[4:5], vcc
	s_xor_b64 s[4:5], exec, s[4:5]
; %bb.51:
	v_bfi_b32 v2, s14, v1, v2
	v_mov_b32_e32 v4, v3
; %bb.52:
	s_andn2_saveexec_b64 s[4:5], s[4:5]
; %bb.53:
	v_bfi_b32 v2, s14, v3, v2
; %bb.54:
	s_or_b64 exec, exec, s[4:5]
.LBB241_55:
	s_or_b64 exec, exec, s[2:3]
                                        ; implicit-def: $vgpr3
.LBB241_56:
	s_andn2_saveexec_b64 s[2:3], s[12:13]
	s_cbranch_execz .LBB241_58
; %bb.57:
	v_sub_f32_e32 v1, v2, v2
	v_div_scale_f32 v2, vcc, v1, v1, v1
	v_rcp_f32_e32 v4, v2
	s_nop 0
	v_fma_f32 v5, -v2, v4, 1.0
	v_fmac_f32_e32 v4, v5, v4
	v_mul_f32_e32 v5, v2, v4
	v_fma_f32 v6, -v2, v5, v2
	v_fmac_f32_e32 v5, v6, v4
	v_fma_f32 v2, -v2, v5, v2
	v_div_fmas_f32 v2, v2, v4, v5
	v_div_fixup_f32 v2, v2, v1, v1
	v_mov_b32_e32 v4, v3
.LBB241_58:
	s_or_b64 exec, exec, s[2:3]
.LBB241_59:
	s_or_b64 exec, exec, s[10:11]
.LBB241_60:
	s_or_b64 exec, exec, s[8:9]
	v_cvt_f16_f32_e32 v2, v2
	v_cvt_f16_f32_e32 v4, v4
	v_mov_b32_e32 v1, 0
	s_and_b32 s12, s73, 0xff
	v_lshlrev_b32_e32 v3, 16, v2
	v_or_b32_e32 v5, v3, v4
	s_cmp_lt_i32 s12, 11
	v_lshl_add_u64 v[0:1], s[20:21], 0, v[0:1]
	s_cbranch_scc1 .LBB241_67
; %bb.61:
	s_and_b32 s13, 0xffff, s12
	s_cmp_gt_i32 s13, 25
	s_cbranch_scc0 .LBB241_69
; %bb.62:
	s_cmp_gt_i32 s13, 28
	s_cbranch_scc0 .LBB241_70
; %bb.63:
	;; [unrolled: 3-line block ×4, first 2 shown]
	s_mov_b64 s[8:9], 0
	s_mov_b64 s[2:3], -1
	s_cmp_eq_u32 s13, 46
	s_mov_b64 s[4:5], 0
	s_cbranch_scc0 .LBB241_78
; %bb.66:
	v_cvt_f32_f16_e32 v6, v2
	v_cvt_f32_f16_e32 v3, v4
	s_movk_i32 s2, 0x7fff
	v_cmp_o_f16_e32 vcc, v2, v2
	v_bfe_u32 v9, v6, 16, 1
	v_bfe_u32 v7, v3, 16, 1
	v_add3_u32 v6, v6, v9, s2
	v_add3_u32 v3, v3, v7, s2
	v_and_b32_e32 v6, 0xffff0000, v6
	v_mov_b32_e32 v7, 0x7fc00000
	v_cndmask_b32_e32 v6, v7, v6, vcc
	v_cmp_o_f16_e32 vcc, v4, v4
	v_mov_b32_e32 v7, 0x7fc0
	s_mov_b64 s[4:5], -1
	v_cndmask_b32_sdwa v3, v7, v3, vcc dst_sel:DWORD dst_unused:UNUSED_PAD src0_sel:DWORD src1_sel:WORD_1
	v_or_b32_e32 v3, v6, v3
	global_store_dword v[0:1], v3, off
	s_mov_b64 s[2:3], 0
	s_branch .LBB241_78
.LBB241_67:
	s_mov_b64 s[2:3], 0
	s_mov_b64 s[4:5], 0
	s_cbranch_execnz .LBB241_147
.LBB241_68:
	s_andn2_b64 vcc, exec, s[4:5]
	s_cbranch_vccnz .LBB241_299
	s_branch .LBB241_185
.LBB241_69:
	s_mov_b64 s[8:9], -1
	s_mov_b64 s[2:3], 0
	s_mov_b64 s[4:5], 0
	s_branch .LBB241_105
.LBB241_70:
	s_mov_b64 s[8:9], -1
	s_mov_b64 s[2:3], 0
	s_mov_b64 s[4:5], 0
	s_branch .LBB241_88
.LBB241_71:
	s_mov_b64 s[8:9], -1
	s_mov_b64 s[2:3], 0
	s_mov_b64 s[4:5], 0
	s_branch .LBB241_84
.LBB241_72:
	s_mov_b64 s[6:7], -1
.LBB241_73:
	s_mov_b64 s[2:3], 0
                                        ; implicit-def: $vgpr4
                                        ; implicit-def: $vgpr1
.LBB241_74:
	s_and_b64 vcc, exec, s[4:5]
	s_cbranch_vccz .LBB241_188
; %bb.75:
	s_cmp_eq_u32 s10, 44
	s_cbranch_scc0 .LBB241_186
; %bb.76:
	global_load_ubyte v1, v[2:3], off
	s_movk_i32 s4, 0xff
	v_mov_b32_e32 v5, 0x7e00
	s_mov_b64 s[2:3], -1
	s_mov_b64 s[6:7], 0
	s_waitcnt vmcnt(0)
	v_lshlrev_b32_e32 v4, 23, v1
	v_cvt_f16_f32_e32 v4, v4
	v_cmp_ne_u32_e32 vcc, s4, v1
	s_nop 1
	v_cndmask_b32_e32 v4, v5, v4, vcc
	v_cmp_ne_u32_e32 vcc, 0, v1
	s_nop 1
	v_cndmask_b32_e32 v1, 0, v4, vcc
	s_branch .LBB241_187
.LBB241_77:
	s_mov_b64 s[8:9], -1
	s_mov_b64 s[2:3], 0
	s_mov_b64 s[4:5], 0
.LBB241_78:
	s_and_b64 vcc, exec, s[8:9]
	s_cbranch_vccz .LBB241_83
; %bb.79:
	s_cmp_eq_u32 s13, 44
	s_mov_b64 s[2:3], -1
	s_cbranch_scc0 .LBB241_83
; %bb.80:
	v_cvt_f32_f16_e32 v3, v4
	s_movk_i32 s2, 0xff
	v_mov_b32_e32 v7, 0xff
	v_bfe_u32 v6, v3, 23, 8
	v_cmp_ne_u32_e32 vcc, s2, v6
	s_and_saveexec_b64 s[4:5], vcc
; %bb.81:
	s_mov_b32 s2, 0x3fffff
	v_lshrrev_b32_e32 v7, 23, v3
	v_and_b32_e32 v9, 0x400000, v3
	v_and_or_b32 v3, v3, s2, v6
	v_cmp_ne_u32_e32 vcc, 0, v9
	v_cmp_ne_u32_e64 s[2:3], 0, v3
	s_and_b64 s[2:3], vcc, s[2:3]
	s_nop 0
	v_cndmask_b32_e64 v3, 0, 1, s[2:3]
	v_add_u32_e32 v7, v7, v3
; %bb.82:
	s_or_b64 exec, exec, s[4:5]
	s_mov_b64 s[4:5], -1
	s_mov_b64 s[2:3], 0
	global_store_byte v[0:1], v7, off
.LBB241_83:
	s_mov_b64 s[8:9], 0
.LBB241_84:
	s_and_b64 vcc, exec, s[8:9]
	s_cbranch_vccz .LBB241_87
; %bb.85:
	s_cmp_eq_u32 s13, 29
	s_mov_b64 s[2:3], -1
	s_cbranch_scc0 .LBB241_87
; %bb.86:
	v_cvt_f32_f16_e32 v3, v4
	v_mov_b32_e32 v7, 0
	s_mov_b64 s[4:5], -1
	s_mov_b64 s[2:3], 0
	v_cvt_u32_f32_e32 v6, v3
	s_mov_b64 s[8:9], 0
	global_store_dwordx2 v[0:1], v[6:7], off
	s_branch .LBB241_88
.LBB241_87:
	s_mov_b64 s[8:9], 0
.LBB241_88:
	s_and_b64 vcc, exec, s[8:9]
	s_cbranch_vccz .LBB241_104
; %bb.89:
	s_cmp_lt_i32 s13, 27
	s_mov_b64 s[4:5], -1
	s_cbranch_scc1 .LBB241_95
; %bb.90:
	s_cmp_gt_i32 s13, 27
	s_cbranch_scc0 .LBB241_92
; %bb.91:
	v_cvt_f32_f16_e32 v3, v4
	s_mov_b64 s[4:5], 0
	v_cvt_u32_f32_e32 v3, v3
	global_store_dword v[0:1], v3, off
.LBB241_92:
	s_andn2_b64 vcc, exec, s[4:5]
	s_cbranch_vccnz .LBB241_94
; %bb.93:
	v_cvt_u16_f16_e32 v3, v4
	global_store_short v[0:1], v3, off
.LBB241_94:
	s_mov_b64 s[4:5], 0
.LBB241_95:
	s_andn2_b64 vcc, exec, s[4:5]
	s_cbranch_vccnz .LBB241_103
; %bb.96:
	v_cvt_f32_f16_e32 v3, v4
	s_mov_b32 s4, 0x43800000
	v_mov_b32_e32 v7, 0x80
	v_and_b32_e32 v6, 0x7fffffff, v3
	v_cmp_gt_u32_e32 vcc, s4, v6
	s_and_saveexec_b64 s[4:5], vcc
	s_cbranch_execz .LBB241_102
; %bb.97:
	s_mov_b32 s8, 0x3bffffff
	v_cmp_lt_u32_e32 vcc, s8, v6
	s_mov_b64 s[8:9], 0
                                        ; implicit-def: $vgpr6
	s_and_saveexec_b64 s[10:11], vcc
	s_xor_b64 s[10:11], exec, s[10:11]
	s_cbranch_execz .LBB241_345
; %bb.98:
	v_bfe_u32 v6, v3, 20, 1
	s_mov_b32 s14, 0x487ffff
	v_add3_u32 v6, v3, v6, s14
	s_mov_b64 s[8:9], exec
	v_lshrrev_b32_e32 v6, 20, v6
	s_andn2_saveexec_b64 s[10:11], s[10:11]
	s_cbranch_execnz .LBB241_346
.LBB241_99:
	s_or_b64 exec, exec, s[10:11]
	v_mov_b32_e32 v7, 0
	s_and_saveexec_b64 s[10:11], s[8:9]
.LBB241_100:
	v_lshrrev_b32_e32 v3, 24, v3
	s_movk_i32 s8, 0x80
	v_and_or_b32 v7, v3, s8, v6
.LBB241_101:
	s_or_b64 exec, exec, s[10:11]
.LBB241_102:
	s_or_b64 exec, exec, s[4:5]
	global_store_byte v[0:1], v7, off
.LBB241_103:
	s_mov_b64 s[4:5], -1
.LBB241_104:
	s_mov_b64 s[8:9], 0
.LBB241_105:
	s_and_b64 vcc, exec, s[8:9]
	s_cbranch_vccz .LBB241_146
; %bb.106:
	s_cmp_gt_i32 s13, 22
	s_mov_b64 s[8:9], -1
	s_cbranch_scc0 .LBB241_138
; %bb.107:
	s_cmp_lt_i32 s13, 24
	s_mov_b64 s[4:5], -1
	s_cbranch_scc1 .LBB241_127
; %bb.108:
	s_cmp_gt_i32 s13, 24
	s_cbranch_scc0 .LBB241_116
; %bb.109:
	v_cvt_f32_f16_e32 v3, v4
	s_mov_b32 s4, 0x47800000
	v_mov_b32_e32 v7, 0x80
	v_and_b32_e32 v6, 0x7fffffff, v3
	v_cmp_gt_u32_e32 vcc, s4, v6
	s_and_saveexec_b64 s[4:5], vcc
	s_cbranch_execz .LBB241_115
; %bb.110:
	s_mov_b32 s8, 0x37ffffff
	v_cmp_lt_u32_e32 vcc, s8, v6
	s_mov_b64 s[8:9], 0
                                        ; implicit-def: $vgpr6
	s_and_saveexec_b64 s[10:11], vcc
	s_xor_b64 s[10:11], exec, s[10:11]
	s_cbranch_execz .LBB241_377
; %bb.111:
	v_bfe_u32 v6, v3, 21, 1
	s_mov_b32 s14, 0x88fffff
	v_add3_u32 v6, v3, v6, s14
	s_mov_b64 s[8:9], exec
	v_lshrrev_b32_e32 v6, 21, v6
	s_andn2_saveexec_b64 s[10:11], s[10:11]
	s_cbranch_execnz .LBB241_378
.LBB241_112:
	s_or_b64 exec, exec, s[10:11]
	v_mov_b32_e32 v7, 0
	s_and_saveexec_b64 s[10:11], s[8:9]
.LBB241_113:
	v_lshrrev_b32_e32 v3, 24, v3
	s_movk_i32 s8, 0x80
	v_and_or_b32 v7, v3, s8, v6
.LBB241_114:
	s_or_b64 exec, exec, s[10:11]
.LBB241_115:
	s_or_b64 exec, exec, s[4:5]
	s_mov_b64 s[4:5], 0
	global_store_byte v[0:1], v7, off
.LBB241_116:
	s_and_b64 vcc, exec, s[4:5]
	s_cbranch_vccz .LBB241_126
; %bb.117:
	v_cvt_f32_f16_e32 v3, v4
	s_mov_b32 s4, 0x43f00000
                                        ; implicit-def: $vgpr6
	v_and_b32_e32 v7, 0x7fffffff, v3
	v_cmp_gt_u32_e32 vcc, s4, v7
	s_and_saveexec_b64 s[4:5], vcc
	s_xor_b64 s[4:5], exec, s[4:5]
	s_cbranch_execz .LBB241_123
; %bb.118:
	s_mov_b32 s8, 0x3c7fffff
	v_cmp_lt_u32_e32 vcc, s8, v7
                                        ; implicit-def: $vgpr6
	s_and_saveexec_b64 s[8:9], vcc
	s_xor_b64 s[8:9], exec, s[8:9]
; %bb.119:
	v_bfe_u32 v6, v3, 20, 1
	s_mov_b32 s10, 0x407ffff
	v_add3_u32 v6, v3, v6, s10
	v_lshrrev_b32_e32 v7, 20, v6
	v_and_b32_e32 v6, 0xff00000, v6
	s_mov_b32 s10, 0x7f00000
	v_mov_b32_e32 v9, 0x7e
	v_cmp_ne_u32_e32 vcc, s10, v6
	s_nop 1
	v_cndmask_b32_e32 v6, v9, v7, vcc
; %bb.120:
	s_andn2_saveexec_b64 s[8:9], s[8:9]
; %bb.121:
	s_mov_b32 s10, 0x46800000
	v_add_f32_e64 v6, |v3|, s10
; %bb.122:
	s_or_b64 exec, exec, s[8:9]
                                        ; implicit-def: $vgpr7
.LBB241_123:
	s_andn2_saveexec_b64 s[4:5], s[4:5]
; %bb.124:
	s_mov_b32 s8, 0x7f800000
	v_mov_b32_e32 v6, 0x7e
	v_mov_b32_e32 v9, 0x7f
	v_cmp_lt_u32_e32 vcc, s8, v7
	s_nop 1
	v_cndmask_b32_e32 v6, v6, v9, vcc
; %bb.125:
	s_or_b64 exec, exec, s[4:5]
	v_lshrrev_b32_e32 v3, 24, v3
	s_movk_i32 s4, 0x80
	v_and_or_b32 v3, v3, s4, v6
	global_store_byte v[0:1], v3, off
.LBB241_126:
	s_mov_b64 s[4:5], 0
.LBB241_127:
	s_andn2_b64 vcc, exec, s[4:5]
	s_cbranch_vccnz .LBB241_137
; %bb.128:
	v_cvt_f32_f16_e32 v3, v4
	s_mov_b32 s4, 0x47800000
                                        ; implicit-def: $vgpr6
	v_and_b32_e32 v7, 0x7fffffff, v3
	v_cmp_gt_u32_e32 vcc, s4, v7
	s_and_saveexec_b64 s[4:5], vcc
	s_xor_b64 s[4:5], exec, s[4:5]
	s_cbranch_execz .LBB241_134
; %bb.129:
	s_mov_b32 s8, 0x387fffff
	v_cmp_lt_u32_e32 vcc, s8, v7
                                        ; implicit-def: $vgpr6
	s_and_saveexec_b64 s[8:9], vcc
	s_xor_b64 s[8:9], exec, s[8:9]
; %bb.130:
	v_bfe_u32 v6, v3, 21, 1
	s_mov_b32 s10, 0x80fffff
	v_add3_u32 v6, v3, v6, s10
	v_lshrrev_b32_e32 v6, 21, v6
; %bb.131:
	s_andn2_saveexec_b64 s[8:9], s[8:9]
; %bb.132:
	s_mov_b32 s10, 0x43000000
	v_add_f32_e64 v6, |v3|, s10
; %bb.133:
	s_or_b64 exec, exec, s[8:9]
                                        ; implicit-def: $vgpr7
.LBB241_134:
	s_andn2_saveexec_b64 s[4:5], s[4:5]
; %bb.135:
	s_mov_b32 s8, 0x7f800000
	v_mov_b32_e32 v6, 0x7c
	v_mov_b32_e32 v9, 0x7f
	v_cmp_lt_u32_e32 vcc, s8, v7
	s_nop 1
	v_cndmask_b32_e32 v6, v6, v9, vcc
; %bb.136:
	s_or_b64 exec, exec, s[4:5]
	v_lshrrev_b32_e32 v3, 24, v3
	s_movk_i32 s4, 0x80
	v_and_or_b32 v3, v3, s4, v6
	global_store_byte v[0:1], v3, off
.LBB241_137:
	s_mov_b64 s[8:9], 0
	s_mov_b64 s[4:5], -1
.LBB241_138:
	s_andn2_b64 vcc, exec, s[8:9]
	s_cbranch_vccnz .LBB241_146
; %bb.139:
	s_cmp_gt_i32 s13, 14
	s_mov_b64 s[8:9], -1
	s_cbranch_scc0 .LBB241_143
; %bb.140:
	s_cmp_eq_u32 s13, 15
	s_mov_b64 s[2:3], -1
	s_cbranch_scc0 .LBB241_142
; %bb.141:
	v_cvt_f32_f16_e32 v3, v4
	s_movk_i32 s2, 0x7fff
	v_cmp_o_f16_e32 vcc, v4, v4
	v_mov_b32_e32 v6, 0x7fc0
	v_bfe_u32 v7, v3, 16, 1
	v_add3_u32 v3, v3, v7, s2
	v_cndmask_b32_sdwa v3, v6, v3, vcc dst_sel:DWORD dst_unused:UNUSED_PAD src0_sel:DWORD src1_sel:WORD_1
	global_store_short v[0:1], v3, off
	s_mov_b64 s[4:5], -1
	s_mov_b64 s[2:3], 0
.LBB241_142:
	s_mov_b64 s[8:9], 0
.LBB241_143:
	s_and_b64 vcc, exec, s[8:9]
	s_cbranch_vccz .LBB241_146
; %bb.144:
	s_cmp_eq_u32 s13, 11
	s_mov_b64 s[2:3], -1
	s_cbranch_scc0 .LBB241_146
; %bb.145:
	v_and_b32_e32 v3, 0x7fff7fff, v5
	v_cmp_ne_u32_e32 vcc, 0, v3
	s_mov_b64 s[4:5], -1
	s_mov_b64 s[2:3], 0
	v_cndmask_b32_e64 v3, 0, 1, vcc
	global_store_byte v[0:1], v3, off
.LBB241_146:
	s_branch .LBB241_68
.LBB241_147:
	s_and_b32 s8, 0xffff, s12
	s_cmp_lt_i32 s8, 5
	s_mov_b64 s[4:5], -1
	s_cbranch_scc1 .LBB241_168
; %bb.148:
	s_cmp_lt_i32 s8, 8
	s_cbranch_scc1 .LBB241_158
; %bb.149:
	s_cmp_lt_i32 s8, 9
	s_cbranch_scc1 .LBB241_155
; %bb.150:
	v_cvt_f32_f16_e32 v3, v2
	s_cmp_gt_i32 s8, 9
	s_cbranch_scc0 .LBB241_152
; %bb.151:
	v_cvt_f32_f16_e32 v2, v4
	v_cvt_f64_f32_e32 v[12:13], v3
	s_mov_b64 s[4:5], 0
	v_cvt_f64_f32_e32 v[10:11], v2
	global_store_dwordx4 v[0:1], v[10:13], off
.LBB241_152:
	s_andn2_b64 vcc, exec, s[4:5]
	s_cbranch_vccnz .LBB241_154
; %bb.153:
	v_cvt_f32_f16_e32 v2, v4
	global_store_dwordx2 v[0:1], v[2:3], off
.LBB241_154:
	s_mov_b64 s[4:5], 0
.LBB241_155:
	s_andn2_b64 vcc, exec, s[4:5]
	s_cbranch_vccnz .LBB241_157
; %bb.156:
	global_store_dword v[0:1], v5, off
.LBB241_157:
	s_mov_b64 s[4:5], 0
.LBB241_158:
	s_andn2_b64 vcc, exec, s[4:5]
	s_cbranch_vccnz .LBB241_167
; %bb.159:
	s_cmp_lt_i32 s8, 6
	s_mov_b64 s[4:5], -1
	s_cbranch_scc1 .LBB241_165
; %bb.160:
	s_cmp_gt_i32 s8, 6
	s_cbranch_scc0 .LBB241_162
; %bb.161:
	v_cvt_f32_f16_e32 v2, v4
	s_mov_b64 s[4:5], 0
	v_cvt_f64_f32_e32 v[2:3], v2
	global_store_dwordx2 v[0:1], v[2:3], off
.LBB241_162:
	s_andn2_b64 vcc, exec, s[4:5]
	s_cbranch_vccnz .LBB241_164
; %bb.163:
	v_cvt_f32_f16_e32 v2, v4
	global_store_dword v[0:1], v2, off
.LBB241_164:
	s_mov_b64 s[4:5], 0
.LBB241_165:
	s_andn2_b64 vcc, exec, s[4:5]
	s_cbranch_vccnz .LBB241_167
; %bb.166:
	global_store_short v[0:1], v4, off
.LBB241_167:
	s_mov_b64 s[4:5], 0
.LBB241_168:
	s_andn2_b64 vcc, exec, s[4:5]
	s_cbranch_vccnz .LBB241_184
; %bb.169:
	s_cmp_lt_i32 s8, 2
	s_mov_b64 s[4:5], -1
	s_cbranch_scc1 .LBB241_179
; %bb.170:
	s_cmp_lt_i32 s8, 3
	s_cbranch_scc1 .LBB241_176
; %bb.171:
	s_cmp_gt_i32 s8, 3
	s_cbranch_scc0 .LBB241_173
; %bb.172:
	v_cvt_f32_f16_e32 v2, v4
	s_mov_b64 s[4:5], 0
	v_cvt_i32_f32_e32 v2, v2
	v_ashrrev_i32_e32 v3, 31, v2
	global_store_dwordx2 v[0:1], v[2:3], off
.LBB241_173:
	s_andn2_b64 vcc, exec, s[4:5]
	s_cbranch_vccnz .LBB241_175
; %bb.174:
	v_cvt_f32_f16_e32 v2, v4
	v_cvt_i32_f32_e32 v2, v2
	global_store_dword v[0:1], v2, off
.LBB241_175:
	s_mov_b64 s[4:5], 0
.LBB241_176:
	s_andn2_b64 vcc, exec, s[4:5]
	s_cbranch_vccnz .LBB241_178
; %bb.177:
	v_cvt_i16_f16_e32 v2, v4
	global_store_short v[0:1], v2, off
.LBB241_178:
	s_mov_b64 s[4:5], 0
.LBB241_179:
	s_andn2_b64 vcc, exec, s[4:5]
	s_cbranch_vccnz .LBB241_184
; %bb.180:
	s_cmp_gt_i32 s8, 0
	s_mov_b64 s[4:5], -1
	s_cbranch_scc0 .LBB241_182
; %bb.181:
	v_cvt_i16_f16_e32 v2, v4
	global_store_byte v[0:1], v2, off
	s_mov_b64 s[4:5], 0
.LBB241_182:
	s_andn2_b64 vcc, exec, s[4:5]
	s_cbranch_vccnz .LBB241_184
; %bb.183:
	v_cvt_f32_f16_e32 v2, v4
	v_cvt_i32_f32_e32 v2, v2
	global_store_byte v[0:1], v2, off
.LBB241_184:
.LBB241_185:
	v_add_u32_e32 v8, 0x80, v8
	s_mov_b64 s[4:5], -1
	s_branch .LBB241_300
.LBB241_186:
	s_mov_b64 s[6:7], -1
                                        ; implicit-def: $vgpr1
.LBB241_187:
	v_mov_b32_e32 v4, 0
.LBB241_188:
	s_mov_b64 s[4:5], 0
.LBB241_189:
	s_and_b64 vcc, exec, s[4:5]
	s_cbranch_vccz .LBB241_194
; %bb.190:
	s_cmp_eq_u32 s10, 29
	s_cbranch_scc0 .LBB241_192
; %bb.191:
	global_load_dwordx2 v[4:5], v[2:3], off
	s_mov_b64 s[2:3], -1
	s_mov_b64 s[6:7], 0
	s_waitcnt vmcnt(0)
	v_ffbh_u32_e32 v1, v5
	v_min_u32_e32 v1, 32, v1
	v_lshlrev_b64 v[4:5], v1, v[4:5]
	v_min_u32_e32 v4, 1, v4
	v_or_b32_e32 v4, v5, v4
	v_cvt_f32_u32_e32 v4, v4
	v_sub_u32_e32 v1, 32, v1
	v_ldexp_f32 v1, v4, v1
	v_cvt_f16_f32_e32 v1, v1
	s_branch .LBB241_193
.LBB241_192:
	s_mov_b64 s[6:7], -1
                                        ; implicit-def: $vgpr1
.LBB241_193:
	v_mov_b32_e32 v4, 0
.LBB241_194:
	s_mov_b64 s[4:5], 0
.LBB241_195:
	s_and_b64 vcc, exec, s[4:5]
	s_cbranch_vccz .LBB241_213
; %bb.196:
	s_cmp_lt_i32 s10, 27
	s_cbranch_scc1 .LBB241_199
; %bb.197:
	s_cmp_gt_i32 s10, 27
	s_cbranch_scc0 .LBB241_200
; %bb.198:
	global_load_dword v1, v[2:3], off
	s_mov_b64 s[2:3], 0
	s_waitcnt vmcnt(0)
	v_cvt_f32_u32_e32 v1, v1
	v_cvt_f16_f32_e32 v1, v1
	s_branch .LBB241_201
.LBB241_199:
	s_mov_b64 s[2:3], -1
                                        ; implicit-def: $vgpr1
	s_branch .LBB241_204
.LBB241_200:
	s_mov_b64 s[2:3], -1
                                        ; implicit-def: $vgpr1
.LBB241_201:
	s_andn2_b64 vcc, exec, s[2:3]
	s_cbranch_vccnz .LBB241_203
; %bb.202:
	global_load_ushort v1, v[2:3], off
	s_waitcnt vmcnt(0)
	v_cvt_f16_u16_e32 v1, v1
.LBB241_203:
	s_mov_b64 s[2:3], 0
.LBB241_204:
	s_andn2_b64 vcc, exec, s[2:3]
	s_cbranch_vccnz .LBB241_212
; %bb.205:
	global_load_ubyte v4, v[2:3], off
	s_movk_i32 s2, 0x7f
	s_waitcnt vmcnt(0)
	v_cmp_lt_i16_e32 vcc, s2, v4
	s_mov_b64 s[2:3], 0
	s_and_saveexec_b64 s[4:5], vcc
	s_xor_b64 s[4:5], exec, s[4:5]
	s_cbranch_execz .LBB241_225
; %bb.206:
	s_movk_i32 s2, 0x80
	v_cmp_eq_u16_e32 vcc, s2, v4
	s_mov_b64 s[2:3], -1
	s_and_saveexec_b64 s[8:9], vcc
; %bb.207:
	s_xor_b64 s[2:3], exec, -1
; %bb.208:
	s_or_b64 exec, exec, s[8:9]
	s_and_b64 s[2:3], s[2:3], exec
	s_or_saveexec_b64 s[4:5], s[4:5]
	v_mov_b32_e32 v1, 0x7e00
	s_xor_b64 exec, exec, s[4:5]
	s_cbranch_execnz .LBB241_226
.LBB241_209:
	s_or_b64 exec, exec, s[4:5]
	s_and_saveexec_b64 s[4:5], s[2:3]
	s_cbranch_execz .LBB241_211
.LBB241_210:
	v_lshlrev_b32_e32 v1, 24, v4
	v_and_b32_e32 v4, 0xffff, v4
	v_and_b32_e32 v5, 7, v4
	v_ffbh_u32_e32 v7, v5
	v_min_u32_e32 v7, 32, v7
	v_subrev_u32_e32 v9, 28, v7
	v_bfe_u32 v6, v4, 3, 4
	v_lshlrev_b32_e32 v4, v9, v4
	v_sub_u32_e32 v7, 29, v7
	v_and_b32_e32 v4, 7, v4
	v_cmp_eq_u32_e32 vcc, 0, v6
	v_and_b32_e32 v1, 0x80000000, v1
	s_nop 0
	v_cndmask_b32_e32 v6, v6, v7, vcc
	v_cndmask_b32_e32 v4, v5, v4, vcc
	v_mov_b32_e32 v5, 0x3b800000
	v_lshlrev_b32_e32 v4, 20, v4
	v_lshl_add_u32 v5, v6, 23, v5
	v_or3_b32 v1, v1, v5, v4
	v_cvt_f16_f32_e32 v1, v1
.LBB241_211:
	s_or_b64 exec, exec, s[4:5]
.LBB241_212:
	s_mov_b64 s[2:3], -1
	v_mov_b32_e32 v4, 0
.LBB241_213:
	s_branch .LBB241_248
.LBB241_214:
	s_cmp_gt_i32 s10, 22
	s_cbranch_scc0 .LBB241_224
; %bb.215:
	s_cmp_lt_i32 s10, 24
	s_cbranch_scc1 .LBB241_227
; %bb.216:
	s_cmp_gt_i32 s10, 24
	s_cbranch_scc0 .LBB241_228
; %bb.217:
	global_load_ubyte v4, v[2:3], off
	s_movk_i32 s2, 0x7f
	s_waitcnt vmcnt(0)
	v_cmp_lt_i16_e32 vcc, s2, v4
	s_mov_b64 s[2:3], 0
	s_and_saveexec_b64 s[4:5], vcc
	s_xor_b64 s[4:5], exec, s[4:5]
	s_cbranch_execz .LBB241_239
; %bb.218:
	s_movk_i32 s2, 0x80
	v_cmp_eq_u16_e32 vcc, s2, v4
	s_mov_b64 s[2:3], -1
	s_and_saveexec_b64 s[8:9], vcc
; %bb.219:
	s_xor_b64 s[2:3], exec, -1
; %bb.220:
	s_or_b64 exec, exec, s[8:9]
	s_and_b64 s[2:3], s[2:3], exec
	s_or_saveexec_b64 s[4:5], s[4:5]
	v_mov_b32_e32 v1, 0x7e00
	s_xor_b64 exec, exec, s[4:5]
	s_cbranch_execnz .LBB241_240
.LBB241_221:
	s_or_b64 exec, exec, s[4:5]
	s_and_saveexec_b64 s[4:5], s[2:3]
	s_cbranch_execz .LBB241_223
.LBB241_222:
	v_lshlrev_b32_e32 v1, 24, v4
	v_and_b32_e32 v4, 0xffff, v4
	v_and_b32_e32 v5, 3, v4
	v_ffbh_u32_e32 v7, v5
	v_min_u32_e32 v7, 32, v7
	v_subrev_u32_e32 v9, 29, v7
	v_bfe_u32 v6, v4, 2, 5
	v_lshlrev_b32_e32 v4, v9, v4
	v_sub_u32_e32 v7, 30, v7
	v_and_b32_e32 v4, 3, v4
	v_cmp_eq_u32_e32 vcc, 0, v6
	v_and_b32_e32 v1, 0x80000000, v1
	s_nop 0
	v_cndmask_b32_e32 v6, v6, v7, vcc
	v_cndmask_b32_e32 v4, v5, v4, vcc
	v_mov_b32_e32 v5, 0x37800000
	v_lshlrev_b32_e32 v4, 21, v4
	v_lshl_add_u32 v5, v6, 23, v5
	v_or3_b32 v1, v1, v5, v4
	v_cvt_f16_f32_e32 v1, v1
.LBB241_223:
	s_or_b64 exec, exec, s[4:5]
	s_mov_b64 s[2:3], 0
	s_branch .LBB241_229
.LBB241_224:
                                        ; implicit-def: $vgpr1
	s_branch .LBB241_235
.LBB241_225:
	s_or_saveexec_b64 s[4:5], s[4:5]
	v_mov_b32_e32 v1, 0x7e00
	s_xor_b64 exec, exec, s[4:5]
	s_cbranch_execz .LBB241_209
.LBB241_226:
	v_cmp_ne_u16_e32 vcc, 0, v4
	s_andn2_b64 s[2:3], s[2:3], exec
	s_and_b64 s[8:9], vcc, exec
	s_or_b64 s[2:3], s[2:3], s[8:9]
	v_mov_b32_e32 v1, v4
	s_or_b64 exec, exec, s[4:5]
	s_and_saveexec_b64 s[4:5], s[2:3]
	s_cbranch_execnz .LBB241_210
	s_branch .LBB241_211
.LBB241_227:
	s_mov_b64 s[2:3], -1
                                        ; implicit-def: $vgpr1
	s_branch .LBB241_232
.LBB241_228:
	s_mov_b64 s[2:3], -1
                                        ; implicit-def: $vgpr1
.LBB241_229:
	s_and_b64 vcc, exec, s[2:3]
	s_cbranch_vccz .LBB241_231
; %bb.230:
	global_load_ubyte v1, v[2:3], off
	s_mov_b32 s2, 0x7f800000
	s_waitcnt vmcnt(0)
	v_lshlrev_b32_e32 v1, 24, v1
	v_and_b32_e32 v4, 0x7f000000, v1
	v_ffbh_u32_e32 v5, v4
	v_min_u32_e32 v5, 32, v5
	v_sub_u32_e64 v5, v5, 4 clamp
	v_lshlrev_b32_e32 v7, v5, v4
	v_lshlrev_b32_e32 v5, 23, v5
	v_lshrrev_b32_e32 v7, 4, v7
	v_add_u32_e32 v6, 0x1000000, v4
	v_sub_u32_e32 v5, v7, v5
	v_ashrrev_i32_e32 v6, 8, v6
	v_add_u32_e32 v5, 0x3c000000, v5
	v_and_or_b32 v5, v6, s2, v5
	v_cmp_ne_u32_e32 vcc, 0, v4
	s_brev_b32 s2, 1
	s_nop 0
	v_cndmask_b32_e32 v4, 0, v5, vcc
	v_and_or_b32 v1, v1, s2, v4
	v_cvt_f16_f32_e32 v1, v1
.LBB241_231:
	s_mov_b64 s[2:3], 0
.LBB241_232:
	s_andn2_b64 vcc, exec, s[2:3]
	s_cbranch_vccnz .LBB241_234
; %bb.233:
	global_load_ubyte v1, v[2:3], off
	s_movk_i32 s2, 0x7f00
	s_brev_b32 s3, 16
	s_waitcnt vmcnt(0)
	v_lshlrev_b16_e32 v4, 8, v1
	v_lshlrev_b32_e32 v1, 25, v1
	v_lshrrev_b32_e32 v5, 4, v1
	v_and_or_b32 v6, v4, s2, 0.5
	v_or_b32_e32 v5, 0x70000000, v5
	v_add_f32_e32 v6, -0.5, v6
	v_mul_f32_e32 v5, 0x7800000, v5
	v_cmp_gt_u32_e32 vcc, s3, v1
	v_bfe_i32 v4, v4, 0, 16
	s_brev_b32 s2, 1
	v_cndmask_b32_e32 v1, v5, v6, vcc
	v_and_or_b32 v1, v4, s2, v1
	v_cvt_f16_f32_e32 v1, v1
.LBB241_234:
	s_mov_b64 s[2:3], -1
	s_cbranch_execnz .LBB241_247
.LBB241_235:
	s_cmp_gt_i32 s10, 14
	s_cbranch_scc0 .LBB241_238
; %bb.236:
	s_cmp_eq_u32 s10, 15
	s_cbranch_scc0 .LBB241_241
; %bb.237:
	global_load_ushort v1, v[2:3], off
	s_mov_b64 s[2:3], -1
	s_mov_b64 s[6:7], 0
	s_waitcnt vmcnt(0)
	v_lshlrev_b32_e32 v1, 16, v1
	v_cvt_f16_f32_e32 v1, v1
	s_branch .LBB241_242
.LBB241_238:
	s_mov_b64 s[4:5], -1
                                        ; implicit-def: $vgpr1
	s_branch .LBB241_243
.LBB241_239:
	s_or_saveexec_b64 s[4:5], s[4:5]
	v_mov_b32_e32 v1, 0x7e00
	s_xor_b64 exec, exec, s[4:5]
	s_cbranch_execz .LBB241_221
.LBB241_240:
	v_cmp_ne_u16_e32 vcc, 0, v4
	s_andn2_b64 s[2:3], s[2:3], exec
	s_and_b64 s[8:9], vcc, exec
	s_or_b64 s[2:3], s[2:3], s[8:9]
	v_mov_b32_e32 v1, v4
	s_or_b64 exec, exec, s[4:5]
	s_and_saveexec_b64 s[4:5], s[2:3]
	s_cbranch_execnz .LBB241_222
	s_branch .LBB241_223
.LBB241_241:
	s_mov_b64 s[6:7], -1
                                        ; implicit-def: $vgpr1
.LBB241_242:
	s_mov_b64 s[4:5], 0
.LBB241_243:
	s_and_b64 vcc, exec, s[4:5]
	s_cbranch_vccz .LBB241_247
; %bb.244:
	s_cmp_eq_u32 s10, 11
	s_cbranch_scc0 .LBB241_246
; %bb.245:
	global_load_ubyte v1, v[2:3], off
	v_mov_b32_e32 v4, 0x3c00
	s_mov_b64 s[2:3], -1
	s_mov_b64 s[6:7], 0
	s_waitcnt vmcnt(0)
	v_cmp_ne_u16_e32 vcc, 0, v1
	s_nop 1
	v_cndmask_b32_e32 v1, 0, v4, vcc
	s_branch .LBB241_247
.LBB241_246:
	s_mov_b64 s[6:7], -1
                                        ; implicit-def: $vgpr1
.LBB241_247:
	v_mov_b32_e32 v4, 0
.LBB241_248:
	s_branch .LBB241_25
.LBB241_249:
	s_cmp_lt_i32 s10, 5
	s_cbranch_scc1 .LBB241_254
; %bb.250:
	s_cmp_lt_i32 s10, 8
	s_cbranch_scc1 .LBB241_255
; %bb.251:
	;; [unrolled: 3-line block ×3, first 2 shown]
	s_cmp_gt_i32 s10, 9
	s_cbranch_scc0 .LBB241_257
; %bb.253:
	global_load_dwordx4 v[4:7], v[2:3], off
	s_movk_i32 s2, 0x1ff
	s_movk_i32 s3, 0xffe
	v_mov_b32_e32 v1, 0x7c00
	v_mov_b32_e32 v9, 0x7e00
	s_movk_i32 s4, 0x40f
	s_mov_b32 s5, 0x8000
	s_waitcnt vmcnt(0)
	v_and_or_b32 v4, v5, s2, v4
	v_and_or_b32 v6, v7, s2, v6
	v_cmp_ne_u32_e32 vcc, 0, v4
	v_lshrrev_b32_e32 v10, 8, v5
	v_bfe_u32 v11, v5, 20, 11
	v_cndmask_b32_e64 v4, 0, 1, vcc
	v_cmp_ne_u32_e32 vcc, 0, v6
	v_lshrrev_b32_e32 v12, 8, v7
	v_bfe_u32 v13, v7, 20, 11
	v_cndmask_b32_e64 v6, 0, 1, vcc
	v_and_or_b32 v4, v10, s3, v4
	v_sub_u32_e32 v14, 0x3f1, v11
	v_add_u32_e32 v11, 0xfffffc10, v11
	v_sub_u32_e32 v15, 0x3f1, v13
	v_and_or_b32 v6, v12, s3, v6
	v_cmp_ne_u32_e32 vcc, 0, v4
	v_add_u32_e32 v13, 0xfffffc10, v13
	v_med3_i32 v10, v14, 0, 13
	v_med3_i32 v12, v15, 0, 13
	v_or_b32_e32 v14, 0x1000, v4
	v_lshl_or_b32 v15, v11, 12, v4
	v_cndmask_b32_e32 v4, v1, v9, vcc
	v_cmp_ne_u32_e32 vcc, 0, v6
	v_or_b32_e32 v16, 0x1000, v6
	v_lshl_or_b32 v17, v13, 12, v6
	v_cndmask_b32_e32 v6, v1, v9, vcc
	v_lshrrev_b32_e32 v9, v10, v14
	v_lshrrev_b32_e32 v18, v12, v16
	v_lshlrev_b32_e32 v10, v10, v9
	v_lshlrev_b32_e32 v12, v12, v18
	v_cmp_ne_u32_e32 vcc, v10, v14
	v_lshrrev_b32_e32 v5, 16, v5
	v_lshrrev_b32_e32 v7, 16, v7
	v_cndmask_b32_e64 v10, 0, 1, vcc
	v_cmp_ne_u32_e32 vcc, v12, v16
	v_or_b32_e32 v9, v9, v10
	s_mov_b64 s[2:3], 0
	v_cndmask_b32_e64 v12, 0, 1, vcc
	v_cmp_gt_i32_e32 vcc, 1, v11
	v_or_b32_e32 v10, v18, v12
	s_nop 0
	v_cndmask_b32_e32 v9, v15, v9, vcc
	v_cmp_gt_i32_e32 vcc, 1, v13
	v_and_b32_e32 v12, 7, v9
	v_lshrrev_b32_e32 v9, 2, v9
	v_cndmask_b32_e32 v10, v17, v10, vcc
	v_cmp_lt_i32_e32 vcc, 5, v12
	v_and_b32_e32 v14, 7, v10
	v_lshrrev_b32_e32 v10, 2, v10
	v_cndmask_b32_e64 v15, 0, 1, vcc
	v_cmp_eq_u32_e32 vcc, 3, v12
	s_nop 1
	v_cndmask_b32_e64 v12, 0, 1, vcc
	v_cmp_lt_i32_e32 vcc, 5, v14
	v_or_b32_e32 v12, v12, v15
	v_add_u32_e32 v9, v9, v12
	v_cndmask_b32_e64 v16, 0, 1, vcc
	v_cmp_eq_u32_e32 vcc, 3, v14
	s_nop 1
	v_cndmask_b32_e64 v14, 0, 1, vcc
	v_or_b32_e32 v14, v14, v16
	v_cmp_gt_i32_e32 vcc, 31, v11
	v_add_u32_e32 v10, v10, v14
	s_nop 0
	v_cndmask_b32_e32 v9, v1, v9, vcc
	v_cmp_gt_i32_e32 vcc, 31, v13
	s_nop 1
	v_cndmask_b32_e32 v1, v1, v10, vcc
	v_cmp_eq_u32_e32 vcc, s4, v11
	s_nop 1
	v_cndmask_b32_e32 v4, v9, v4, vcc
	v_cmp_eq_u32_e32 vcc, s4, v13
	s_nop 1
	v_cndmask_b32_e32 v6, v1, v6, vcc
	v_and_or_b32 v1, v5, s5, v4
	v_and_or_b32 v4, v7, s5, v6
	s_branch .LBB241_258
.LBB241_254:
                                        ; implicit-def: $vgpr4
                                        ; implicit-def: $vgpr1
	s_branch .LBB241_277
.LBB241_255:
	s_mov_b64 s[2:3], -1
                                        ; implicit-def: $vgpr4
                                        ; implicit-def: $vgpr1
	s_branch .LBB241_264
.LBB241_256:
	s_mov_b64 s[2:3], -1
                                        ; implicit-def: $vgpr4
                                        ; implicit-def: $vgpr1
	s_branch .LBB241_261
.LBB241_257:
	s_mov_b64 s[2:3], -1
                                        ; implicit-def: $vgpr4
                                        ; implicit-def: $vgpr1
.LBB241_258:
	s_andn2_b64 vcc, exec, s[2:3]
	s_cbranch_vccnz .LBB241_260
; %bb.259:
	global_load_dwordx2 v[4:5], v[2:3], off
	s_waitcnt vmcnt(0)
	v_cvt_f16_f32_e32 v1, v4
	v_cvt_f16_f32_e32 v4, v5
.LBB241_260:
	s_mov_b64 s[2:3], 0
.LBB241_261:
	s_andn2_b64 vcc, exec, s[2:3]
	s_cbranch_vccnz .LBB241_263
; %bb.262:
	global_load_dword v1, v[2:3], off
	s_waitcnt vmcnt(0)
	v_lshrrev_b32_e32 v4, 16, v1
.LBB241_263:
	s_mov_b64 s[2:3], 0
.LBB241_264:
	s_andn2_b64 vcc, exec, s[2:3]
	s_cbranch_vccnz .LBB241_276
; %bb.265:
	s_cmp_lt_i32 s10, 6
	s_cbranch_scc1 .LBB241_268
; %bb.266:
	s_cmp_gt_i32 s10, 6
	s_cbranch_scc0 .LBB241_269
; %bb.267:
	global_load_dwordx2 v[4:5], v[2:3], off
	s_movk_i32 s2, 0x1ff
	s_movk_i32 s3, 0xffe
	v_mov_b32_e32 v1, 0x7c00
	v_mov_b32_e32 v6, 0x7e00
	s_movk_i32 s4, 0x40f
	s_mov_b32 s5, 0x8000
	s_waitcnt vmcnt(0)
	v_and_or_b32 v4, v5, s2, v4
	v_cmp_ne_u32_e32 vcc, 0, v4
	v_lshrrev_b32_e32 v7, 8, v5
	v_bfe_u32 v9, v5, 20, 11
	v_cndmask_b32_e64 v4, 0, 1, vcc
	v_sub_u32_e32 v10, 0x3f1, v9
	v_and_or_b32 v4, v7, s3, v4
	v_add_u32_e32 v9, 0xfffffc10, v9
	v_med3_i32 v7, v10, 0, 13
	v_or_b32_e32 v10, 0x1000, v4
	v_cmp_ne_u32_e32 vcc, 0, v4
	v_lshl_or_b32 v11, v9, 12, v4
	v_lshrrev_b32_e32 v5, 16, v5
	v_cndmask_b32_e32 v4, v1, v6, vcc
	v_lshrrev_b32_e32 v6, v7, v10
	v_lshlrev_b32_e32 v7, v7, v6
	v_cmp_ne_u32_e32 vcc, v7, v10
	s_mov_b64 s[2:3], 0
	s_nop 0
	v_cndmask_b32_e64 v7, 0, 1, vcc
	v_or_b32_e32 v6, v6, v7
	v_cmp_gt_i32_e32 vcc, 1, v9
	s_nop 1
	v_cndmask_b32_e32 v6, v11, v6, vcc
	v_and_b32_e32 v7, 7, v6
	v_cmp_lt_i32_e32 vcc, 5, v7
	v_lshrrev_b32_e32 v6, 2, v6
	s_nop 0
	v_cndmask_b32_e64 v10, 0, 1, vcc
	v_cmp_eq_u32_e32 vcc, 3, v7
	s_nop 1
	v_cndmask_b32_e64 v7, 0, 1, vcc
	v_or_b32_e32 v7, v7, v10
	v_add_u32_e32 v6, v6, v7
	v_cmp_gt_i32_e32 vcc, 31, v9
	s_nop 1
	v_cndmask_b32_e32 v1, v1, v6, vcc
	v_cmp_eq_u32_e32 vcc, s4, v9
	s_nop 1
	v_cndmask_b32_e32 v1, v1, v4, vcc
	v_and_or_b32 v1, v5, s5, v1
	s_branch .LBB241_270
.LBB241_268:
	s_mov_b64 s[2:3], -1
                                        ; implicit-def: $vgpr1
	s_branch .LBB241_273
.LBB241_269:
	s_mov_b64 s[2:3], -1
                                        ; implicit-def: $vgpr1
.LBB241_270:
	s_andn2_b64 vcc, exec, s[2:3]
	s_cbranch_vccnz .LBB241_272
; %bb.271:
	global_load_dword v1, v[2:3], off
	s_waitcnt vmcnt(0)
	v_cvt_f16_f32_e32 v1, v1
.LBB241_272:
	s_mov_b64 s[2:3], 0
.LBB241_273:
	s_andn2_b64 vcc, exec, s[2:3]
	s_cbranch_vccnz .LBB241_275
; %bb.274:
	global_load_ushort v1, v[2:3], off
.LBB241_275:
	v_mov_b32_e32 v4, 0
.LBB241_276:
	s_cbranch_execnz .LBB241_297
.LBB241_277:
	s_cmp_lt_i32 s10, 2
	s_cbranch_scc1 .LBB241_281
; %bb.278:
	s_cmp_lt_i32 s10, 3
	s_cbranch_scc1 .LBB241_282
; %bb.279:
	s_cmp_gt_i32 s10, 3
	s_cbranch_scc0 .LBB241_283
; %bb.280:
	global_load_dwordx2 v[4:5], v[2:3], off
	s_mov_b64 s[2:3], 0
	s_waitcnt vmcnt(0)
	v_xor_b32_e32 v6, v4, v5
	v_ffbh_i32_e32 v1, v5
	v_ashrrev_i32_e32 v6, 31, v6
	v_add_u32_e32 v1, -1, v1
	v_add_u32_e32 v6, 32, v6
	v_min_u32_e32 v1, v1, v6
	v_lshlrev_b64 v[4:5], v1, v[4:5]
	v_min_u32_e32 v4, 1, v4
	v_or_b32_e32 v4, v5, v4
	v_cvt_f32_i32_e32 v4, v4
	v_sub_u32_e32 v1, 32, v1
	v_ldexp_f32 v1, v4, v1
	v_cvt_f16_f32_e32 v1, v1
	s_branch .LBB241_284
.LBB241_281:
	s_mov_b64 s[2:3], -1
                                        ; implicit-def: $vgpr1
	s_branch .LBB241_290
.LBB241_282:
	s_mov_b64 s[2:3], -1
                                        ; implicit-def: $vgpr1
	s_branch .LBB241_287
.LBB241_283:
	s_mov_b64 s[2:3], -1
                                        ; implicit-def: $vgpr1
.LBB241_284:
	s_andn2_b64 vcc, exec, s[2:3]
	s_cbranch_vccnz .LBB241_286
; %bb.285:
	global_load_dword v1, v[2:3], off
	s_waitcnt vmcnt(0)
	v_cvt_f32_i32_e32 v1, v1
	v_cvt_f16_f32_e32 v1, v1
.LBB241_286:
	s_mov_b64 s[2:3], 0
.LBB241_287:
	s_andn2_b64 vcc, exec, s[2:3]
	s_cbranch_vccnz .LBB241_289
; %bb.288:
	global_load_ushort v1, v[2:3], off
	s_waitcnt vmcnt(0)
	v_cvt_f16_i16_e32 v1, v1
.LBB241_289:
	s_mov_b64 s[2:3], 0
.LBB241_290:
	s_andn2_b64 vcc, exec, s[2:3]
	s_cbranch_vccnz .LBB241_296
; %bb.291:
	s_cmp_gt_i32 s10, 0
	s_cbranch_scc0 .LBB241_293
; %bb.292:
	global_load_sbyte v1, v[2:3], off
	s_mov_b64 s[2:3], 0
	s_waitcnt vmcnt(0)
	v_cvt_f16_i16_e32 v1, v1
	s_branch .LBB241_294
.LBB241_293:
	s_mov_b64 s[2:3], -1
                                        ; implicit-def: $vgpr1
.LBB241_294:
	s_andn2_b64 vcc, exec, s[2:3]
	s_cbranch_vccnz .LBB241_296
; %bb.295:
	global_load_ubyte v1, v[2:3], off
	s_waitcnt vmcnt(0)
	v_cvt_f16_u16_e32 v1, v1
.LBB241_296:
	v_mov_b32_e32 v4, 0
.LBB241_297:
	s_branch .LBB241_26
.LBB241_298:
	s_mov_b64 s[2:3], 0
.LBB241_299:
	s_mov_b64 s[4:5], 0
                                        ; implicit-def: $vgpr8
.LBB241_300:
	s_and_b64 s[54:55], s[2:3], exec
	s_and_b64 s[56:57], s[6:7], exec
	s_orn2_b64 s[4:5], s[4:5], exec
.LBB241_301:
	s_or_b64 exec, exec, s[58:59]
	s_mov_b64 s[8:9], 0
	s_mov_b64 s[2:3], 0
                                        ; implicit-def: $vgpr2_vgpr3
                                        ; implicit-def: $vgpr0
                                        ; implicit-def: $vgpr6
                                        ; implicit-def: $vgpr1
	s_and_saveexec_b64 s[58:59], s[4:5]
	s_cbranch_execz .LBB241_309
; %bb.302:
	v_cmp_gt_i32_e32 vcc, s70, v8
	s_mov_b64 s[2:3], -1
	s_mov_b64 s[60:61], s[56:57]
	s_mov_b64 s[62:63], s[54:55]
	s_and_saveexec_b64 s[64:65], vcc
	s_cbranch_execz .LBB241_613
; %bb.303:
	s_andn2_b64 vcc, exec, s[42:43]
	s_cbranch_vccnz .LBB241_312
; %bb.304:
	s_andn2_b64 vcc, exec, s[52:53]
	s_cbranch_vccnz .LBB241_313
; %bb.305:
	s_add_i32 s63, s75, 1
	s_cmp_eq_u32 s72, 2
	s_cbranch_scc1 .LBB241_314
; %bb.306:
	s_and_b32 s62, s63, 28
	s_mov_b32 s66, 0
	v_mov_b32_e32 v0, 0
	v_mov_b32_e32 v2, 0
	s_mov_b64 s[2:3], s[34:35]
	s_mov_b64 s[60:61], s[50:51]
	v_mov_b32_e32 v4, v8
.LBB241_307:                            ; =>This Inner Loop Header: Depth=1
	s_load_dwordx8 s[12:19], s[2:3], 0x4
	s_load_dwordx4 s[36:39], s[2:3], 0x24
	s_load_dwordx8 s[4:11], s[60:61], 0x0
	s_add_u32 s2, s2, 48
	s_addc_u32 s3, s3, 0
	s_waitcnt vmcnt(0) lgkmcnt(0)
	v_mul_hi_u32 v1, s13, v4
	v_add_u32_e32 v1, v4, v1
	v_lshrrev_b32_e32 v1, s14, v1
	v_mul_lo_u32 v3, v1, s12
	v_mul_hi_u32 v5, s16, v1
	v_sub_u32_e32 v3, v4, v3
	v_add_u32_e32 v4, v1, v5
	v_lshrrev_b32_e32 v4, s17, v4
	v_mul_lo_u32 v6, v4, s15
	v_mul_hi_u32 v7, s19, v4
	v_sub_u32_e32 v1, v1, v6
	v_add_u32_e32 v6, v4, v7
	v_mul_lo_u32 v5, v3, s5
	v_mul_lo_u32 v3, v3, s4
	;; [unrolled: 1-line block ×4, first 2 shown]
	v_lshrrev_b32_e32 v6, s36, v6
	v_add3_u32 v0, v3, v0, v1
	v_mul_hi_u32 v3, s38, v6
	v_add3_u32 v1, v5, v2, v7
	v_mul_lo_u32 v2, v6, s18
	v_add_u32_e32 v3, v6, v3
	v_sub_u32_e32 v2, v4, v2
	v_lshrrev_b32_e32 v4, s39, v3
	s_add_i32 s66, s66, 4
	v_mul_lo_u32 v3, v4, s37
	s_add_u32 s60, s60, 32
	v_sub_u32_e32 v3, v6, v3
	s_addc_u32 s61, s61, 0
	v_mul_lo_u32 v5, v2, s8
	v_mul_lo_u32 v2, v2, s9
	;; [unrolled: 1-line block ×4, first 2 shown]
	s_cmp_eq_u32 s62, s66
	v_add3_u32 v2, v2, v1, v3
	v_add3_u32 v0, v5, v0, v6
	s_cbranch_scc0 .LBB241_307
; %bb.308:
	v_mov_b32_e32 v1, v2
	s_branch .LBB241_315
.LBB241_309:
	s_or_b64 exec, exec, s[58:59]
	s_mov_b64 s[6:7], 0
	s_and_saveexec_b64 s[4:5], s[56:57]
	s_cbranch_execnz .LBB241_1029
.LBB241_310:
	s_or_b64 exec, exec, s[4:5]
	s_and_saveexec_b64 s[4:5], s[62:63]
	s_xor_b64 s[4:5], exec, s[4:5]
	s_cbranch_execz .LBB241_1030
.LBB241_311:
	global_load_ubyte v1, v[2:3], off
	v_mov_b32_e32 v4, 0x3c00
	v_mov_b32_e32 v6, 0
	s_or_b64 s[2:3], s[2:3], exec
	s_waitcnt vmcnt(0)
	v_cmp_ne_u16_e32 vcc, 0, v1
	s_nop 1
	v_cndmask_b32_e32 v1, 0, v4, vcc
	s_or_b64 exec, exec, s[4:5]
	s_and_saveexec_b64 s[4:5], s[8:9]
	s_cbranch_execz .LBB241_1078
	s_branch .LBB241_1031
.LBB241_312:
                                        ; implicit-def: $vgpr2
                                        ; implicit-def: $vgpr0
	s_andn2_b64 vcc, exec, s[2:3]
	s_cbranch_vccz .LBB241_319
	s_branch .LBB241_321
.LBB241_313:
	v_mov_b32_e32 v2, 0
	v_mov_b32_e32 v0, 0
	s_branch .LBB241_318
.LBB241_314:
	v_mov_b32_e32 v0, 0
	s_mov_b32 s62, 0
	s_waitcnt vmcnt(0)
	v_mov_b32_e32 v1, v0
                                        ; implicit-def: $vgpr2
	v_mov_b32_e32 v4, v8
.LBB241_315:
	s_and_b32 s6, s63, 3
	s_cmp_eq_u32 s6, 0
	s_cbranch_scc1 .LBB241_318
; %bb.316:
	s_lshl_b32 s2, s62, 3
	s_add_u32 s2, s34, s2
	s_addc_u32 s3, s35, 0
	s_add_u32 s2, s2, 0xc4
	s_addc_u32 s3, s3, 0
	s_mul_i32 s4, s62, 12
	s_add_u32 s4, s34, s4
	s_addc_u32 s5, s35, 0
.LBB241_317:                            ; =>This Inner Loop Header: Depth=1
	s_load_dwordx2 s[8:9], s[4:5], 0x4
	s_load_dword s7, s[4:5], 0xc
	s_load_dwordx2 s[10:11], s[2:3], 0x0
	v_mov_b32_e32 v2, v1
	s_add_u32 s4, s4, 12
	s_waitcnt lgkmcnt(0)
	v_mul_hi_u32 v1, s9, v4
	v_add_u32_e32 v1, v4, v1
	v_lshrrev_b32_e32 v1, s7, v1
	s_addc_u32 s5, s5, 0
	v_mul_lo_u32 v3, v1, s8
	s_add_u32 s2, s2, 8
	v_sub_u32_e32 v5, v4, v3
	s_addc_u32 s3, s3, 0
	s_add_i32 s6, s6, -1
	v_mov_b32_e32 v4, v1
	v_mad_u64_u32 v[2:3], s[8:9], v5, s11, v[2:3]
	v_mad_u64_u32 v[0:1], s[8:9], v5, s10, v[0:1]
	s_cmp_lg_u32 s6, 0
	v_mov_b32_e32 v1, v2
	s_cbranch_scc1 .LBB241_317
.LBB241_318:
	s_cbranch_execnz .LBB241_321
.LBB241_319:
	s_waitcnt lgkmcnt(0)
	v_mul_hi_u32 v0, s29, v8
	v_add_u32_e32 v0, v8, v0
	s_waitcnt vmcnt(0)
	v_lshrrev_b32_e32 v1, s30, v0
	v_mul_lo_u32 v0, v1, s28
	v_sub_u32_e32 v0, v8, v0
	v_mul_lo_u32 v2, v0, s25
	s_andn2_b64 vcc, exec, s[48:49]
	v_mul_lo_u32 v0, v0, s24
	s_cbranch_vccnz .LBB241_321
; %bb.320:
	v_mul_hi_u32 v3, s46, v1
	v_add_u32_e32 v3, v1, v3
	v_lshrrev_b32_e32 v3, s47, v3
	v_mul_lo_u32 v3, v3, s31
	v_sub_u32_e32 v3, v1, v3
	v_mad_u64_u32 v[0:1], s[2:3], v3, s26, v[0:1]
	v_mad_u64_u32 v[2:3], s[2:3], v3, s27, v[2:3]
.LBB241_321:
	v_mov_b32_e32 v3, 0
	s_and_b32 s10, 0xffff, s74
	s_cmp_lt_i32 s10, 11
	s_waitcnt lgkmcnt(0)
	v_lshl_add_u64 v[2:3], s[22:23], 0, v[2:3]
	s_cbranch_scc1 .LBB241_328
; %bb.322:
	s_cmp_gt_i32 s10, 25
	s_cbranch_scc0 .LBB241_342
; %bb.323:
	s_cmp_gt_i32 s10, 28
	s_cbranch_scc0 .LBB241_343
	;; [unrolled: 3-line block ×4, first 2 shown]
; %bb.326:
	s_cmp_eq_u32 s10, 46
	s_mov_b64 s[4:5], 0
	s_cbranch_scc0 .LBB241_379
; %bb.327:
	global_load_dword v1, v[2:3], off
	s_mov_b64 s[2:3], -1
	s_mov_b64 s[6:7], 0
	s_waitcnt vmcnt(0)
	v_and_b32_e32 v4, 0xffff0000, v1
	v_lshlrev_b32_e32 v1, 16, v1
	v_cvt_f16_f32_e32 v1, v1
	v_cvt_f16_f32_e32 v4, v4
	s_branch .LBB241_380
.LBB241_328:
	s_mov_b64 s[2:3], 0
                                        ; implicit-def: $vgpr4
                                        ; implicit-def: $vgpr1
	s_mov_b64 s[6:7], s[56:57]
	s_cbranch_execnz .LBB241_560
.LBB241_329:
	s_andn2_b64 vcc, exec, s[2:3]
	s_cbranch_vccnz .LBB241_610
.LBB241_330:
	v_cvt_f32_f16_e32 v2, v4
	s_waitcnt vmcnt(0)
	v_cmp_neq_f16_e32 vcc, 0, v1
	v_cmp_neq_f16_e64 s[2:3], 0, v4
	s_or_b64 s[2:3], vcc, s[2:3]
	v_mov_b32_e32 v4, 0
	s_and_saveexec_b64 s[8:9], s[2:3]
	s_cbranch_execz .LBB241_366
; %bb.331:
	v_mov_b32_e32 v4, 0x7f800000
	v_cmp_neq_f32_e64 s[2:3], |v2|, v4
	s_and_saveexec_b64 s[10:11], s[2:3]
	s_cbranch_execz .LBB241_365
; %bb.332:
	v_cvt_f32_f16_e32 v3, v1
	v_cmp_o_f16_e32 vcc, v1, v1
                                        ; implicit-def: $vgpr4
	s_and_saveexec_b64 s[2:3], vcc
	s_xor_b64 s[12:13], exec, s[2:3]
	s_cbranch_execz .LBB241_362
; %bb.333:
	s_mov_b32 s2, 0x7f800000
	v_cmp_neq_f32_e64 s[2:3], |v3|, s2
                                        ; implicit-def: $vgpr4
	s_and_saveexec_b64 s[4:5], s[2:3]
	s_xor_b64 s[14:15], exec, s[4:5]
	s_cbranch_execz .LBB241_355
; %bb.334:
	v_max_f32_e64 v1, |v2|, |v2|
	v_max_f32_e64 v4, |v3|, |v3|
	v_max_f32_e32 v1, v4, v1
	s_mov_b32 s2, 0x7ed413cb
	v_cmp_nle_f32_e64 s[2:3], s2, v1
                                        ; implicit-def: $sgpr16_sgpr17
	s_and_saveexec_b64 s[4:5], s[2:3]
	s_xor_b64 s[4:5], exec, s[4:5]
	s_cbranch_execz .LBB241_338
; %bb.335:
	s_mov_b32 s18, 0x1000000
	v_cmp_le_f32_e64 s[16:17], |v3|, s18
	v_cmp_le_f32_e64 s[18:19], |v2|, s18
	s_and_b64 s[36:37], s[16:17], s[18:19]
	s_mov_b64 s[16:17], 0
	s_and_saveexec_b64 s[18:19], s[36:37]
; %bb.336:
	s_mov_b64 s[16:17], exec
	v_mul_f32_e32 v3, 4.0, v3
	v_mul_f32_e32 v2, 4.0, v2
; %bb.337:
	s_or_b64 exec, exec, s[18:19]
.LBB241_338:
	s_andn2_saveexec_b64 s[4:5], s[4:5]
; %bb.339:
	v_mul_f32_e32 v3, 0x3e800000, v3
	v_mul_f32_e32 v2, 0x3e800000, v2
	s_andn2_b64 s[16:17], s[16:17], exec
; %bb.340:
	s_or_b64 exec, exec, s[4:5]
	v_max_f32_e64 v1, |v2|, |v2|
	v_max_f32_e64 v4, |v3|, |v3|
	v_max_f32_e32 v1, v4, v1
	v_cvt_f64_f32_e32 v[4:5], v1
	v_frexp_exp_i32_f64_e32 v4, v[4:5]
	v_sub_u32_e32 v5, 0, v4
	v_ldexp_f32 v6, |v3|, v5
	v_ldexp_f32 v5, |v2|, v5
	v_mul_f32_e32 v5, v5, v5
	v_fmac_f32_e32 v5, v6, v6
	v_sqrt_f32_e32 v5, v5
	s_mov_b32 s4, 0x7f800000
	v_cmp_neq_f32_e64 s[4:5], s4, v1
	v_cmp_le_f32_e32 vcc, 0, v3
	v_ldexp_f32 v4, v5, v4
	v_mov_b32_e32 v5, 0x7f800000
	v_cndmask_b32_e64 v4, v5, v4, s[4:5]
                                        ; implicit-def: $vgpr5
                                        ; implicit-def: $vgpr1
	s_and_saveexec_b64 s[4:5], vcc
	s_xor_b64 s[18:19], exec, s[4:5]
	s_cbranch_execz .LBB241_348
; %bb.341:
	v_add_f32_e32 v1, v3, v4
	v_mul_f32_e32 v1, 0.5, v1
	s_mov_b32 s4, 0xf800000
	v_mul_f32_e32 v3, 0x4f800000, v1
	v_cmp_gt_f32_e32 vcc, s4, v1
	s_nop 1
	v_cndmask_b32_e32 v1, v1, v3, vcc
	v_sqrt_f32_e32 v3, v1
	s_nop 0
	v_add_u32_e32 v4, -1, v3
	v_fma_f32 v5, -v4, v3, v1
	v_cmp_ge_f32_e64 s[4:5], 0, v5
	v_add_u32_e32 v5, 1, v3
	s_nop 0
	v_cndmask_b32_e64 v4, v3, v4, s[4:5]
	v_fma_f32 v3, -v5, v3, v1
	v_cmp_lt_f32_e64 s[4:5], 0, v3
	s_nop 1
	v_cndmask_b32_e64 v3, v4, v5, s[4:5]
	v_mul_f32_e32 v4, 0x37800000, v3
	v_cndmask_b32_e32 v3, v3, v4, vcc
	v_mov_b32_e32 v4, 0x260
	v_cmp_class_f32_e32 vcc, v1, v4
	s_nop 1
	v_cndmask_b32_e32 v1, v3, v1, vcc
	v_add_f32_e32 v3, v1, v1
	v_div_scale_f32 v4, s[4:5], v3, v3, v2
	v_rcp_f32_e32 v5, v4
	s_nop 0
	v_fma_f32 v6, -v4, v5, 1.0
	v_fmac_f32_e32 v5, v6, v5
	v_div_scale_f32 v6, vcc, v2, v3, v2
	v_mul_f32_e32 v7, v6, v5
	v_fma_f32 v9, -v4, v7, v6
	v_fmac_f32_e32 v7, v9, v5
	v_fma_f32 v4, -v4, v7, v6
	v_div_fmas_f32 v4, v4, v5, v7
	v_div_fixup_f32 v5, v4, v3, v2
                                        ; implicit-def: $vgpr4
                                        ; implicit-def: $vgpr3
                                        ; implicit-def: $vgpr2
	s_andn2_saveexec_b64 s[18:19], s[18:19]
	s_cbranch_execz .LBB241_350
	s_branch .LBB241_349
.LBB241_342:
	s_mov_b64 s[4:5], -1
	s_mov_b64 s[2:3], 0
	s_mov_b64 s[6:7], s[56:57]
                                        ; implicit-def: $vgpr4
                                        ; implicit-def: $vgpr1
	s_branch .LBB241_523
.LBB241_343:
	s_mov_b64 s[4:5], -1
	s_mov_b64 s[2:3], 0
	s_mov_b64 s[6:7], s[56:57]
                                        ; implicit-def: $vgpr4
                                        ; implicit-def: $vgpr1
	s_branch .LBB241_504
.LBB241_344:
	s_mov_b64 s[4:5], -1
	s_mov_b64 s[2:3], 0
	s_mov_b64 s[6:7], s[56:57]
                                        ; implicit-def: $vgpr4
                                        ; implicit-def: $vgpr1
	s_branch .LBB241_498
.LBB241_345:
	s_andn2_saveexec_b64 s[10:11], s[10:11]
	s_cbranch_execz .LBB241_99
.LBB241_346:
	s_mov_b32 s14, 0x46000000
	v_add_f32_e64 v6, |v3|, s14
	v_and_b32_e32 v6, 0xff, v6
	v_cmp_ne_u32_e32 vcc, 0, v6
	s_andn2_b64 s[8:9], s[8:9], exec
	s_and_b64 s[14:15], vcc, exec
	s_or_b64 s[8:9], s[8:9], s[14:15]
	s_or_b64 exec, exec, s[10:11]
	v_mov_b32_e32 v7, 0
	s_and_saveexec_b64 s[10:11], s[8:9]
	s_cbranch_execnz .LBB241_100
	s_branch .LBB241_101
.LBB241_347:
	s_mov_b64 s[4:5], -1
	s_mov_b64 s[2:3], 0
	s_mov_b64 s[6:7], s[56:57]
                                        ; implicit-def: $vgpr4
                                        ; implicit-def: $vgpr1
	s_branch .LBB241_380
.LBB241_348:
	s_andn2_saveexec_b64 s[18:19], s[18:19]
	s_cbranch_execz .LBB241_350
.LBB241_349:
	v_sub_f32_e32 v1, v4, v3
	v_mul_f32_e32 v1, 0.5, v1
	s_mov_b32 s4, 0xf800000
	v_mul_f32_e32 v3, 0x4f800000, v1
	v_cmp_gt_f32_e32 vcc, s4, v1
	s_nop 1
	v_cndmask_b32_e32 v1, v1, v3, vcc
	v_sqrt_f32_e32 v3, v1
	s_nop 0
	v_add_u32_e32 v4, -1, v3
	v_fma_f32 v5, -v4, v3, v1
	v_cmp_ge_f32_e64 s[4:5], 0, v5
	v_add_u32_e32 v5, 1, v3
	s_nop 0
	v_cndmask_b32_e64 v4, v3, v4, s[4:5]
	v_fma_f32 v3, -v5, v3, v1
	v_cmp_lt_f32_e64 s[4:5], 0, v3
	s_nop 1
	v_cndmask_b32_e64 v3, v4, v5, s[4:5]
	v_mul_f32_e32 v4, 0x37800000, v3
	v_cndmask_b32_e32 v3, v3, v4, vcc
	v_mov_b32_e32 v4, 0x260
	v_cmp_class_f32_e32 vcc, v1, v4
	v_and_b32_e32 v4, 0x7fffffff, v2
	s_nop 0
	v_cndmask_b32_e32 v3, v3, v1, vcc
	v_add_f32_e32 v1, v3, v3
	v_div_scale_f32 v5, s[4:5], v1, v1, v4
	v_rcp_f32_e32 v6, v5
	v_div_scale_f32 v4, vcc, v4, v1, v4
	s_brev_b32 s4, -2
	v_fma_f32 v7, -v5, v6, 1.0
	v_fmac_f32_e32 v6, v7, v6
	v_mul_f32_e32 v7, v4, v6
	v_fma_f32 v9, -v5, v7, v4
	v_fmac_f32_e32 v7, v9, v6
	v_fma_f32 v4, -v5, v7, v4
	v_div_fmas_f32 v4, v4, v6, v7
	v_div_fixup_f32 v1, v4, v1, |v2|
	v_bfi_b32 v5, s4, v3, v2
.LBB241_350:
	s_or_b64 exec, exec, s[18:19]
                                        ; implicit-def: $vgpr2
                                        ; implicit-def: $vgpr4
	s_and_saveexec_b64 s[4:5], s[2:3]
	s_xor_b64 s[2:3], exec, s[4:5]
	s_cbranch_execz .LBB241_352
; %bb.351:
	v_mul_f32_e32 v2, 0.5, v1
	v_mul_f32_e32 v3, 0.5, v5
	v_cndmask_b32_e64 v4, v1, v2, s[16:17]
	v_cndmask_b32_e64 v2, v5, v3, s[16:17]
                                        ; implicit-def: $vgpr1
                                        ; implicit-def: $vgpr5
	s_andn2_saveexec_b64 s[2:3], s[2:3]
	s_cbranch_execnz .LBB241_353
	s_branch .LBB241_354
.LBB241_352:
	s_andn2_saveexec_b64 s[2:3], s[2:3]
.LBB241_353:
	v_add_f32_e32 v4, v1, v1
	v_add_f32_e32 v2, v5, v5
.LBB241_354:
	s_or_b64 exec, exec, s[2:3]
                                        ; implicit-def: $vgpr3
                                        ; implicit-def: $vgpr1
.LBB241_355:
	s_andn2_saveexec_b64 s[2:3], s[14:15]
	s_cbranch_execz .LBB241_361
; %bb.356:
	v_cmp_lt_i16_e32 vcc, -1, v1
	v_sub_f32_e32 v1, v2, v2
	s_brev_b32 s14, -2
	v_and_b32_e32 v4, 0x7fffffff, v1
	s_and_saveexec_b64 s[4:5], vcc
	s_xor_b64 s[4:5], exec, s[4:5]
; %bb.357:
	v_bfi_b32 v2, s14, v1, v2
	v_mov_b32_e32 v4, v3
; %bb.358:
	s_andn2_saveexec_b64 s[4:5], s[4:5]
; %bb.359:
	v_bfi_b32 v2, s14, v3, v2
; %bb.360:
	s_or_b64 exec, exec, s[4:5]
.LBB241_361:
	s_or_b64 exec, exec, s[2:3]
                                        ; implicit-def: $vgpr3
.LBB241_362:
	s_andn2_saveexec_b64 s[2:3], s[12:13]
	s_cbranch_execz .LBB241_364
; %bb.363:
	v_sub_f32_e32 v1, v2, v2
	v_div_scale_f32 v2, vcc, v1, v1, v1
	v_rcp_f32_e32 v4, v2
	s_nop 0
	v_fma_f32 v5, -v2, v4, 1.0
	v_fmac_f32_e32 v4, v5, v4
	v_mul_f32_e32 v5, v2, v4
	v_fma_f32 v6, -v2, v5, v2
	v_fmac_f32_e32 v5, v6, v4
	v_fma_f32 v2, -v2, v5, v2
	v_div_fmas_f32 v2, v2, v4, v5
	v_div_fixup_f32 v2, v2, v1, v1
	v_mov_b32_e32 v4, v3
.LBB241_364:
	s_or_b64 exec, exec, s[2:3]
.LBB241_365:
	s_or_b64 exec, exec, s[10:11]
.LBB241_366:
	s_or_b64 exec, exec, s[8:9]
	v_cvt_f16_f32_e32 v2, v2
	v_cvt_f16_f32_e32 v4, v4
	v_mov_b32_e32 v1, 0
	s_and_b32 s12, s73, 0xff
	v_lshlrev_b32_e32 v3, 16, v2
	v_or_b32_e32 v5, v3, v4
	s_cmp_lt_i32 s12, 11
	v_lshl_add_u64 v[0:1], s[20:21], 0, v[0:1]
	s_cbranch_scc1 .LBB241_373
; %bb.367:
	s_and_b32 s13, 0xffff, s12
	s_cmp_gt_i32 s13, 25
	s_cbranch_scc0 .LBB241_374
; %bb.368:
	s_cmp_gt_i32 s13, 28
	s_cbranch_scc0 .LBB241_375
; %bb.369:
	;; [unrolled: 3-line block ×4, first 2 shown]
	s_mov_b64 s[8:9], 0
	s_mov_b64 s[2:3], -1
	s_cmp_eq_u32 s13, 46
	s_mov_b64 s[4:5], 0
	s_cbranch_scc0 .LBB241_384
; %bb.372:
	v_cvt_f32_f16_e32 v6, v2
	v_cvt_f32_f16_e32 v3, v4
	s_movk_i32 s2, 0x7fff
	v_cmp_o_f16_e32 vcc, v2, v2
	v_bfe_u32 v9, v6, 16, 1
	v_bfe_u32 v7, v3, 16, 1
	v_add3_u32 v6, v6, v9, s2
	v_add3_u32 v3, v3, v7, s2
	v_and_b32_e32 v6, 0xffff0000, v6
	v_mov_b32_e32 v7, 0x7fc00000
	v_cndmask_b32_e32 v6, v7, v6, vcc
	v_cmp_o_f16_e32 vcc, v4, v4
	v_mov_b32_e32 v7, 0x7fc0
	s_mov_b64 s[4:5], -1
	v_cndmask_b32_sdwa v3, v7, v3, vcc dst_sel:DWORD dst_unused:UNUSED_PAD src0_sel:DWORD src1_sel:WORD_1
	v_or_b32_e32 v3, v6, v3
	global_store_dword v[0:1], v3, off
	s_mov_b64 s[2:3], 0
	s_branch .LBB241_384
.LBB241_373:
	s_mov_b64 s[8:9], -1
	s_mov_b64 s[4:5], 0
	s_mov_b64 s[2:3], s[54:55]
	s_branch .LBB241_453
.LBB241_374:
	s_mov_b64 s[8:9], -1
	s_mov_b64 s[4:5], 0
	s_mov_b64 s[2:3], s[54:55]
	s_branch .LBB241_411
.LBB241_375:
	s_mov_b64 s[8:9], -1
	s_mov_b64 s[4:5], 0
	s_mov_b64 s[2:3], s[54:55]
	s_branch .LBB241_394
.LBB241_376:
	s_mov_b64 s[8:9], -1
	s_mov_b64 s[4:5], 0
	s_mov_b64 s[2:3], s[54:55]
	s_branch .LBB241_390
.LBB241_377:
	s_andn2_saveexec_b64 s[10:11], s[10:11]
	s_cbranch_execz .LBB241_112
.LBB241_378:
	s_mov_b32 s14, 0x42800000
	v_add_f32_e64 v6, |v3|, s14
	v_and_b32_e32 v6, 0xff, v6
	v_cmp_ne_u32_e32 vcc, 0, v6
	s_andn2_b64 s[8:9], s[8:9], exec
	s_and_b64 s[14:15], vcc, exec
	s_or_b64 s[8:9], s[8:9], s[14:15]
	s_or_b64 exec, exec, s[10:11]
	v_mov_b32_e32 v7, 0
	s_and_saveexec_b64 s[10:11], s[8:9]
	s_cbranch_execnz .LBB241_113
	s_branch .LBB241_114
.LBB241_379:
	s_mov_b64 s[6:7], -1
                                        ; implicit-def: $vgpr4
                                        ; implicit-def: $vgpr1
	s_mov_b64 s[2:3], 0
.LBB241_380:
	s_and_b64 vcc, exec, s[4:5]
	s_cbranch_vccz .LBB241_497
; %bb.381:
	s_cmp_eq_u32 s10, 44
	s_cbranch_scc0 .LBB241_495
; %bb.382:
	global_load_ubyte v1, v[2:3], off
	s_movk_i32 s4, 0xff
	v_mov_b32_e32 v5, 0x7e00
	s_mov_b64 s[2:3], -1
	s_mov_b64 s[6:7], 0
	s_waitcnt vmcnt(0)
	v_lshlrev_b32_e32 v4, 23, v1
	v_cvt_f16_f32_e32 v4, v4
	v_cmp_ne_u32_e32 vcc, s4, v1
	s_nop 1
	v_cndmask_b32_e32 v4, v5, v4, vcc
	v_cmp_ne_u32_e32 vcc, 0, v1
	s_nop 1
	v_cndmask_b32_e32 v1, 0, v4, vcc
	s_branch .LBB241_496
.LBB241_383:
	s_mov_b64 s[8:9], -1
	s_mov_b64 s[4:5], 0
	s_mov_b64 s[2:3], s[54:55]
.LBB241_384:
	s_and_b64 vcc, exec, s[8:9]
	s_cbranch_vccz .LBB241_389
; %bb.385:
	s_cmp_eq_u32 s13, 44
	s_mov_b64 s[2:3], -1
	s_cbranch_scc0 .LBB241_389
; %bb.386:
	v_cvt_f32_f16_e32 v3, v4
	s_movk_i32 s2, 0xff
	v_mov_b32_e32 v7, 0xff
	v_bfe_u32 v6, v3, 23, 8
	v_cmp_ne_u32_e32 vcc, s2, v6
	s_and_saveexec_b64 s[4:5], vcc
; %bb.387:
	s_mov_b32 s2, 0x3fffff
	v_lshrrev_b32_e32 v7, 23, v3
	v_and_b32_e32 v9, 0x400000, v3
	v_and_or_b32 v3, v3, s2, v6
	v_cmp_ne_u32_e32 vcc, 0, v9
	v_cmp_ne_u32_e64 s[2:3], 0, v3
	s_and_b64 s[2:3], vcc, s[2:3]
	s_nop 0
	v_cndmask_b32_e64 v3, 0, 1, s[2:3]
	v_add_u32_e32 v7, v7, v3
; %bb.388:
	s_or_b64 exec, exec, s[4:5]
	s_mov_b64 s[4:5], -1
	s_mov_b64 s[2:3], 0
	global_store_byte v[0:1], v7, off
.LBB241_389:
	s_mov_b64 s[8:9], 0
.LBB241_390:
	s_and_b64 vcc, exec, s[8:9]
	s_cbranch_vccz .LBB241_393
; %bb.391:
	s_cmp_eq_u32 s13, 29
	s_mov_b64 s[2:3], -1
	s_cbranch_scc0 .LBB241_393
; %bb.392:
	v_cvt_f32_f16_e32 v3, v4
	v_mov_b32_e32 v7, 0
	s_mov_b64 s[4:5], -1
	s_mov_b64 s[2:3], 0
	v_cvt_u32_f32_e32 v6, v3
	s_mov_b64 s[8:9], 0
	global_store_dwordx2 v[0:1], v[6:7], off
	s_branch .LBB241_394
.LBB241_393:
	s_mov_b64 s[8:9], 0
.LBB241_394:
	s_and_b64 vcc, exec, s[8:9]
	s_cbranch_vccz .LBB241_410
; %bb.395:
	s_cmp_lt_i32 s13, 27
	s_mov_b64 s[4:5], -1
	s_cbranch_scc1 .LBB241_401
; %bb.396:
	s_cmp_gt_i32 s13, 27
	s_cbranch_scc0 .LBB241_398
; %bb.397:
	v_cvt_f32_f16_e32 v3, v4
	s_mov_b64 s[4:5], 0
	v_cvt_u32_f32_e32 v3, v3
	global_store_dword v[0:1], v3, off
.LBB241_398:
	s_andn2_b64 vcc, exec, s[4:5]
	s_cbranch_vccnz .LBB241_400
; %bb.399:
	v_cvt_u16_f16_e32 v3, v4
	global_store_short v[0:1], v3, off
.LBB241_400:
	s_mov_b64 s[4:5], 0
.LBB241_401:
	s_andn2_b64 vcc, exec, s[4:5]
	s_cbranch_vccnz .LBB241_409
; %bb.402:
	v_cvt_f32_f16_e32 v3, v4
	s_mov_b32 s4, 0x43800000
	v_mov_b32_e32 v7, 0x80
	v_and_b32_e32 v6, 0x7fffffff, v3
	v_cmp_gt_u32_e32 vcc, s4, v6
	s_and_saveexec_b64 s[4:5], vcc
	s_cbranch_execz .LBB241_408
; %bb.403:
	s_mov_b32 s8, 0x3bffffff
	v_cmp_lt_u32_e32 vcc, s8, v6
	s_mov_b64 s[8:9], 0
                                        ; implicit-def: $vgpr6
	s_and_saveexec_b64 s[10:11], vcc
	s_xor_b64 s[10:11], exec, s[10:11]
	s_cbranch_execz .LBB241_642
; %bb.404:
	v_bfe_u32 v6, v3, 20, 1
	s_mov_b32 s14, 0x487ffff
	v_add3_u32 v6, v3, v6, s14
	s_mov_b64 s[8:9], exec
	v_lshrrev_b32_e32 v6, 20, v6
	s_andn2_saveexec_b64 s[10:11], s[10:11]
	s_cbranch_execnz .LBB241_643
.LBB241_405:
	s_or_b64 exec, exec, s[10:11]
	v_mov_b32_e32 v7, 0
	s_and_saveexec_b64 s[10:11], s[8:9]
.LBB241_406:
	v_lshrrev_b32_e32 v3, 24, v3
	s_movk_i32 s8, 0x80
	v_and_or_b32 v7, v3, s8, v6
.LBB241_407:
	s_or_b64 exec, exec, s[10:11]
.LBB241_408:
	s_or_b64 exec, exec, s[4:5]
	global_store_byte v[0:1], v7, off
.LBB241_409:
	s_mov_b64 s[4:5], -1
.LBB241_410:
	s_mov_b64 s[8:9], 0
.LBB241_411:
	s_and_b64 vcc, exec, s[8:9]
	s_cbranch_vccz .LBB241_452
; %bb.412:
	s_cmp_gt_i32 s13, 22
	s_mov_b64 s[8:9], -1
	s_cbranch_scc0 .LBB241_444
; %bb.413:
	s_cmp_lt_i32 s13, 24
	s_mov_b64 s[4:5], -1
	s_cbranch_scc1 .LBB241_433
; %bb.414:
	s_cmp_gt_i32 s13, 24
	s_cbranch_scc0 .LBB241_422
; %bb.415:
	v_cvt_f32_f16_e32 v3, v4
	s_mov_b32 s4, 0x47800000
	v_mov_b32_e32 v7, 0x80
	v_and_b32_e32 v6, 0x7fffffff, v3
	v_cmp_gt_u32_e32 vcc, s4, v6
	s_and_saveexec_b64 s[4:5], vcc
	s_cbranch_execz .LBB241_421
; %bb.416:
	s_mov_b32 s8, 0x37ffffff
	v_cmp_lt_u32_e32 vcc, s8, v6
	s_mov_b64 s[8:9], 0
                                        ; implicit-def: $vgpr6
	s_and_saveexec_b64 s[10:11], vcc
	s_xor_b64 s[10:11], exec, s[10:11]
	s_cbranch_execz .LBB241_645
; %bb.417:
	v_bfe_u32 v6, v3, 21, 1
	s_mov_b32 s14, 0x88fffff
	v_add3_u32 v6, v3, v6, s14
	s_mov_b64 s[8:9], exec
	v_lshrrev_b32_e32 v6, 21, v6
	s_andn2_saveexec_b64 s[10:11], s[10:11]
	s_cbranch_execnz .LBB241_646
.LBB241_418:
	s_or_b64 exec, exec, s[10:11]
	v_mov_b32_e32 v7, 0
	s_and_saveexec_b64 s[10:11], s[8:9]
.LBB241_419:
	v_lshrrev_b32_e32 v3, 24, v3
	s_movk_i32 s8, 0x80
	v_and_or_b32 v7, v3, s8, v6
.LBB241_420:
	s_or_b64 exec, exec, s[10:11]
.LBB241_421:
	s_or_b64 exec, exec, s[4:5]
	s_mov_b64 s[4:5], 0
	global_store_byte v[0:1], v7, off
.LBB241_422:
	s_and_b64 vcc, exec, s[4:5]
	s_cbranch_vccz .LBB241_432
; %bb.423:
	v_cvt_f32_f16_e32 v3, v4
	s_mov_b32 s4, 0x43f00000
                                        ; implicit-def: $vgpr6
	v_and_b32_e32 v7, 0x7fffffff, v3
	v_cmp_gt_u32_e32 vcc, s4, v7
	s_and_saveexec_b64 s[4:5], vcc
	s_xor_b64 s[4:5], exec, s[4:5]
	s_cbranch_execz .LBB241_429
; %bb.424:
	s_mov_b32 s8, 0x3c7fffff
	v_cmp_lt_u32_e32 vcc, s8, v7
                                        ; implicit-def: $vgpr6
	s_and_saveexec_b64 s[8:9], vcc
	s_xor_b64 s[8:9], exec, s[8:9]
; %bb.425:
	v_bfe_u32 v6, v3, 20, 1
	s_mov_b32 s10, 0x407ffff
	v_add3_u32 v6, v3, v6, s10
	v_lshrrev_b32_e32 v7, 20, v6
	v_and_b32_e32 v6, 0xff00000, v6
	s_mov_b32 s10, 0x7f00000
	v_mov_b32_e32 v9, 0x7e
	v_cmp_ne_u32_e32 vcc, s10, v6
	s_nop 1
	v_cndmask_b32_e32 v6, v9, v7, vcc
; %bb.426:
	s_andn2_saveexec_b64 s[8:9], s[8:9]
; %bb.427:
	s_mov_b32 s10, 0x46800000
	v_add_f32_e64 v6, |v3|, s10
; %bb.428:
	s_or_b64 exec, exec, s[8:9]
                                        ; implicit-def: $vgpr7
.LBB241_429:
	s_andn2_saveexec_b64 s[4:5], s[4:5]
; %bb.430:
	s_mov_b32 s8, 0x7f800000
	v_mov_b32_e32 v6, 0x7e
	v_mov_b32_e32 v9, 0x7f
	v_cmp_lt_u32_e32 vcc, s8, v7
	s_nop 1
	v_cndmask_b32_e32 v6, v6, v9, vcc
; %bb.431:
	s_or_b64 exec, exec, s[4:5]
	v_lshrrev_b32_e32 v3, 24, v3
	s_movk_i32 s4, 0x80
	v_and_or_b32 v3, v3, s4, v6
	global_store_byte v[0:1], v3, off
.LBB241_432:
	s_mov_b64 s[4:5], 0
.LBB241_433:
	s_andn2_b64 vcc, exec, s[4:5]
	s_cbranch_vccnz .LBB241_443
; %bb.434:
	v_cvt_f32_f16_e32 v3, v4
	s_mov_b32 s4, 0x47800000
                                        ; implicit-def: $vgpr6
	v_and_b32_e32 v7, 0x7fffffff, v3
	v_cmp_gt_u32_e32 vcc, s4, v7
	s_and_saveexec_b64 s[4:5], vcc
	s_xor_b64 s[4:5], exec, s[4:5]
	s_cbranch_execz .LBB241_440
; %bb.435:
	s_mov_b32 s8, 0x387fffff
	v_cmp_lt_u32_e32 vcc, s8, v7
                                        ; implicit-def: $vgpr6
	s_and_saveexec_b64 s[8:9], vcc
	s_xor_b64 s[8:9], exec, s[8:9]
; %bb.436:
	v_bfe_u32 v6, v3, 21, 1
	s_mov_b32 s10, 0x80fffff
	v_add3_u32 v6, v3, v6, s10
	v_lshrrev_b32_e32 v6, 21, v6
; %bb.437:
	s_andn2_saveexec_b64 s[8:9], s[8:9]
; %bb.438:
	s_mov_b32 s10, 0x43000000
	v_add_f32_e64 v6, |v3|, s10
; %bb.439:
	s_or_b64 exec, exec, s[8:9]
                                        ; implicit-def: $vgpr7
.LBB241_440:
	s_andn2_saveexec_b64 s[4:5], s[4:5]
; %bb.441:
	s_mov_b32 s8, 0x7f800000
	v_mov_b32_e32 v6, 0x7c
	v_mov_b32_e32 v9, 0x7f
	v_cmp_lt_u32_e32 vcc, s8, v7
	s_nop 1
	v_cndmask_b32_e32 v6, v6, v9, vcc
; %bb.442:
	s_or_b64 exec, exec, s[4:5]
	v_lshrrev_b32_e32 v3, 24, v3
	s_movk_i32 s4, 0x80
	v_and_or_b32 v3, v3, s4, v6
	global_store_byte v[0:1], v3, off
.LBB241_443:
	s_mov_b64 s[8:9], 0
	s_mov_b64 s[4:5], -1
.LBB241_444:
	s_andn2_b64 vcc, exec, s[8:9]
	s_cbranch_vccnz .LBB241_452
; %bb.445:
	s_cmp_gt_i32 s13, 14
	s_mov_b64 s[8:9], -1
	s_cbranch_scc0 .LBB241_449
; %bb.446:
	s_cmp_eq_u32 s13, 15
	s_mov_b64 s[2:3], -1
	s_cbranch_scc0 .LBB241_448
; %bb.447:
	v_cvt_f32_f16_e32 v3, v4
	s_movk_i32 s2, 0x7fff
	v_cmp_o_f16_e32 vcc, v4, v4
	v_mov_b32_e32 v6, 0x7fc0
	v_bfe_u32 v7, v3, 16, 1
	v_add3_u32 v3, v3, v7, s2
	v_cndmask_b32_sdwa v3, v6, v3, vcc dst_sel:DWORD dst_unused:UNUSED_PAD src0_sel:DWORD src1_sel:WORD_1
	global_store_short v[0:1], v3, off
	s_mov_b64 s[4:5], -1
	s_mov_b64 s[2:3], 0
.LBB241_448:
	s_mov_b64 s[8:9], 0
.LBB241_449:
	s_and_b64 vcc, exec, s[8:9]
	s_cbranch_vccz .LBB241_452
; %bb.450:
	s_cmp_eq_u32 s13, 11
	s_mov_b64 s[2:3], -1
	s_cbranch_scc0 .LBB241_452
; %bb.451:
	v_and_b32_e32 v3, 0x7fff7fff, v5
	v_cmp_ne_u32_e32 vcc, 0, v3
	s_mov_b64 s[4:5], -1
	s_mov_b64 s[2:3], 0
	v_cndmask_b32_e64 v3, 0, 1, vcc
	global_store_byte v[0:1], v3, off
.LBB241_452:
	s_mov_b64 s[8:9], 0
.LBB241_453:
	s_and_b64 vcc, exec, s[8:9]
	s_cbranch_vccz .LBB241_492
; %bb.454:
	s_and_b32 s8, 0xffff, s12
	s_cmp_lt_i32 s8, 5
	s_mov_b64 s[4:5], -1
	s_cbranch_scc1 .LBB241_475
; %bb.455:
	s_cmp_lt_i32 s8, 8
	s_cbranch_scc1 .LBB241_465
; %bb.456:
	s_cmp_lt_i32 s8, 9
	s_cbranch_scc1 .LBB241_462
; %bb.457:
	v_cvt_f32_f16_e32 v3, v2
	s_cmp_gt_i32 s8, 9
	s_cbranch_scc0 .LBB241_459
; %bb.458:
	v_cvt_f32_f16_e32 v2, v4
	v_cvt_f64_f32_e32 v[12:13], v3
	s_mov_b64 s[4:5], 0
	v_cvt_f64_f32_e32 v[10:11], v2
	global_store_dwordx4 v[0:1], v[10:13], off
.LBB241_459:
	s_andn2_b64 vcc, exec, s[4:5]
	s_cbranch_vccnz .LBB241_461
; %bb.460:
	v_cvt_f32_f16_e32 v2, v4
	global_store_dwordx2 v[0:1], v[2:3], off
.LBB241_461:
	s_mov_b64 s[4:5], 0
.LBB241_462:
	s_andn2_b64 vcc, exec, s[4:5]
	s_cbranch_vccnz .LBB241_464
; %bb.463:
	global_store_dword v[0:1], v5, off
.LBB241_464:
	s_mov_b64 s[4:5], 0
.LBB241_465:
	s_andn2_b64 vcc, exec, s[4:5]
	s_cbranch_vccnz .LBB241_474
; %bb.466:
	s_cmp_lt_i32 s8, 6
	s_mov_b64 s[4:5], -1
	s_cbranch_scc1 .LBB241_472
; %bb.467:
	s_cmp_gt_i32 s8, 6
	s_cbranch_scc0 .LBB241_469
; %bb.468:
	v_cvt_f32_f16_e32 v2, v4
	s_mov_b64 s[4:5], 0
	v_cvt_f64_f32_e32 v[2:3], v2
	global_store_dwordx2 v[0:1], v[2:3], off
.LBB241_469:
	s_andn2_b64 vcc, exec, s[4:5]
	s_cbranch_vccnz .LBB241_471
; %bb.470:
	v_cvt_f32_f16_e32 v2, v4
	global_store_dword v[0:1], v2, off
.LBB241_471:
	s_mov_b64 s[4:5], 0
.LBB241_472:
	s_andn2_b64 vcc, exec, s[4:5]
	s_cbranch_vccnz .LBB241_474
; %bb.473:
	global_store_short v[0:1], v4, off
.LBB241_474:
	s_mov_b64 s[4:5], 0
.LBB241_475:
	s_andn2_b64 vcc, exec, s[4:5]
	s_cbranch_vccnz .LBB241_491
; %bb.476:
	s_cmp_lt_i32 s8, 2
	s_mov_b64 s[4:5], -1
	s_cbranch_scc1 .LBB241_486
; %bb.477:
	s_cmp_lt_i32 s8, 3
	s_cbranch_scc1 .LBB241_483
; %bb.478:
	s_cmp_gt_i32 s8, 3
	s_cbranch_scc0 .LBB241_480
; %bb.479:
	v_cvt_f32_f16_e32 v2, v4
	s_mov_b64 s[4:5], 0
	v_cvt_i32_f32_e32 v2, v2
	v_ashrrev_i32_e32 v3, 31, v2
	global_store_dwordx2 v[0:1], v[2:3], off
.LBB241_480:
	s_andn2_b64 vcc, exec, s[4:5]
	s_cbranch_vccnz .LBB241_482
; %bb.481:
	v_cvt_f32_f16_e32 v2, v4
	v_cvt_i32_f32_e32 v2, v2
	global_store_dword v[0:1], v2, off
.LBB241_482:
	s_mov_b64 s[4:5], 0
.LBB241_483:
	s_andn2_b64 vcc, exec, s[4:5]
	s_cbranch_vccnz .LBB241_485
; %bb.484:
	v_cvt_i16_f16_e32 v2, v4
	global_store_short v[0:1], v2, off
.LBB241_485:
	s_mov_b64 s[4:5], 0
.LBB241_486:
	s_andn2_b64 vcc, exec, s[4:5]
	s_cbranch_vccnz .LBB241_491
; %bb.487:
	s_cmp_gt_i32 s8, 0
	s_mov_b64 s[4:5], -1
	s_cbranch_scc0 .LBB241_489
; %bb.488:
	v_cvt_i16_f16_e32 v2, v4
	s_mov_b64 s[4:5], 0
	global_store_byte v[0:1], v2, off
.LBB241_489:
	s_andn2_b64 vcc, exec, s[4:5]
	s_cbranch_vccnz .LBB241_491
; %bb.490:
	v_cvt_f32_f16_e32 v2, v4
	v_cvt_i32_f32_e32 v2, v2
	global_store_byte v[0:1], v2, off
.LBB241_491:
	s_mov_b64 s[4:5], -1
.LBB241_492:
	s_andn2_b64 vcc, exec, s[4:5]
	s_cbranch_vccnz .LBB241_494
; %bb.493:
	v_add_u32_e32 v8, 0x80, v8
	s_mov_b64 s[4:5], -1
	s_branch .LBB241_612
.LBB241_494:
	s_mov_b64 s[4:5], 0
	s_branch .LBB241_611
.LBB241_495:
	s_mov_b64 s[6:7], -1
                                        ; implicit-def: $vgpr1
.LBB241_496:
	v_mov_b32_e32 v4, 0
.LBB241_497:
	s_mov_b64 s[4:5], 0
.LBB241_498:
	s_and_b64 vcc, exec, s[4:5]
	s_cbranch_vccz .LBB241_503
; %bb.499:
	s_cmp_eq_u32 s10, 29
	s_cbranch_scc0 .LBB241_501
; %bb.500:
	global_load_dwordx2 v[4:5], v[2:3], off
	s_mov_b64 s[2:3], -1
	s_mov_b64 s[6:7], 0
	s_waitcnt vmcnt(0)
	v_ffbh_u32_e32 v1, v5
	v_min_u32_e32 v1, 32, v1
	v_lshlrev_b64 v[4:5], v1, v[4:5]
	v_min_u32_e32 v4, 1, v4
	v_or_b32_e32 v4, v5, v4
	v_cvt_f32_u32_e32 v4, v4
	v_sub_u32_e32 v1, 32, v1
	v_ldexp_f32 v1, v4, v1
	v_cvt_f16_f32_e32 v1, v1
	s_branch .LBB241_502
.LBB241_501:
	s_mov_b64 s[6:7], -1
                                        ; implicit-def: $vgpr1
.LBB241_502:
	v_mov_b32_e32 v4, 0
.LBB241_503:
	s_mov_b64 s[4:5], 0
.LBB241_504:
	s_and_b64 vcc, exec, s[4:5]
	s_cbranch_vccz .LBB241_522
; %bb.505:
	s_cmp_lt_i32 s10, 27
	s_cbranch_scc1 .LBB241_508
; %bb.506:
	s_cmp_gt_i32 s10, 27
	s_cbranch_scc0 .LBB241_509
; %bb.507:
	global_load_dword v1, v[2:3], off
	s_mov_b64 s[2:3], 0
	s_waitcnt vmcnt(0)
	v_cvt_f32_u32_e32 v1, v1
	v_cvt_f16_f32_e32 v1, v1
	s_branch .LBB241_510
.LBB241_508:
	s_mov_b64 s[2:3], -1
                                        ; implicit-def: $vgpr1
	s_branch .LBB241_513
.LBB241_509:
	s_mov_b64 s[2:3], -1
                                        ; implicit-def: $vgpr1
.LBB241_510:
	s_andn2_b64 vcc, exec, s[2:3]
	s_cbranch_vccnz .LBB241_512
; %bb.511:
	global_load_ushort v1, v[2:3], off
	s_waitcnt vmcnt(0)
	v_cvt_f16_u16_e32 v1, v1
.LBB241_512:
	s_mov_b64 s[2:3], 0
.LBB241_513:
	s_andn2_b64 vcc, exec, s[2:3]
	s_cbranch_vccnz .LBB241_521
; %bb.514:
	global_load_ubyte v4, v[2:3], off
	s_movk_i32 s2, 0x7f
	s_waitcnt vmcnt(0)
	v_cmp_lt_i16_e32 vcc, s2, v4
	s_mov_b64 s[2:3], 0
	s_and_saveexec_b64 s[4:5], vcc
	s_xor_b64 s[4:5], exec, s[4:5]
	s_cbranch_execz .LBB241_535
; %bb.515:
	s_movk_i32 s2, 0x80
	v_cmp_eq_u16_e32 vcc, s2, v4
	s_mov_b64 s[2:3], -1
	s_and_saveexec_b64 s[8:9], vcc
; %bb.516:
	s_xor_b64 s[2:3], exec, -1
; %bb.517:
	s_or_b64 exec, exec, s[8:9]
	s_and_b64 s[2:3], s[2:3], exec
	s_or_saveexec_b64 s[4:5], s[4:5]
	v_mov_b32_e32 v1, 0x7e00
	s_xor_b64 exec, exec, s[4:5]
	s_cbranch_execnz .LBB241_536
.LBB241_518:
	s_or_b64 exec, exec, s[4:5]
	s_and_saveexec_b64 s[4:5], s[2:3]
	s_cbranch_execz .LBB241_520
.LBB241_519:
	v_lshlrev_b32_e32 v1, 24, v4
	v_and_b32_e32 v4, 0xffff, v4
	v_and_b32_e32 v5, 7, v4
	v_ffbh_u32_e32 v7, v5
	v_min_u32_e32 v7, 32, v7
	v_subrev_u32_e32 v9, 28, v7
	v_bfe_u32 v6, v4, 3, 4
	v_lshlrev_b32_e32 v4, v9, v4
	v_sub_u32_e32 v7, 29, v7
	v_and_b32_e32 v4, 7, v4
	v_cmp_eq_u32_e32 vcc, 0, v6
	v_and_b32_e32 v1, 0x80000000, v1
	s_nop 0
	v_cndmask_b32_e32 v6, v6, v7, vcc
	v_cndmask_b32_e32 v4, v5, v4, vcc
	v_mov_b32_e32 v5, 0x3b800000
	v_lshlrev_b32_e32 v4, 20, v4
	v_lshl_add_u32 v5, v6, 23, v5
	v_or3_b32 v1, v1, v5, v4
	v_cvt_f16_f32_e32 v1, v1
.LBB241_520:
	s_or_b64 exec, exec, s[4:5]
.LBB241_521:
	s_mov_b64 s[2:3], -1
	v_mov_b32_e32 v4, 0
.LBB241_522:
	s_mov_b64 s[4:5], 0
.LBB241_523:
	s_and_b64 vcc, exec, s[4:5]
	s_cbranch_vccz .LBB241_559
; %bb.524:
	s_cmp_gt_i32 s10, 22
	s_cbranch_scc0 .LBB241_534
; %bb.525:
	s_cmp_lt_i32 s10, 24
	s_cbranch_scc1 .LBB241_537
; %bb.526:
	s_cmp_gt_i32 s10, 24
	s_cbranch_scc0 .LBB241_538
; %bb.527:
	global_load_ubyte v4, v[2:3], off
	s_movk_i32 s2, 0x7f
	s_waitcnt vmcnt(0)
	v_cmp_lt_i16_e32 vcc, s2, v4
	s_mov_b64 s[2:3], 0
	s_and_saveexec_b64 s[4:5], vcc
	s_xor_b64 s[4:5], exec, s[4:5]
	s_cbranch_execz .LBB241_550
; %bb.528:
	s_movk_i32 s2, 0x80
	v_cmp_eq_u16_e32 vcc, s2, v4
	s_mov_b64 s[2:3], -1
	s_and_saveexec_b64 s[8:9], vcc
; %bb.529:
	s_xor_b64 s[2:3], exec, -1
; %bb.530:
	s_or_b64 exec, exec, s[8:9]
	s_and_b64 s[2:3], s[2:3], exec
	s_or_saveexec_b64 s[4:5], s[4:5]
	v_mov_b32_e32 v1, 0x7e00
	s_xor_b64 exec, exec, s[4:5]
	s_cbranch_execnz .LBB241_551
.LBB241_531:
	s_or_b64 exec, exec, s[4:5]
	s_and_saveexec_b64 s[4:5], s[2:3]
	s_cbranch_execz .LBB241_533
.LBB241_532:
	v_lshlrev_b32_e32 v1, 24, v4
	v_and_b32_e32 v4, 0xffff, v4
	v_and_b32_e32 v5, 3, v4
	v_ffbh_u32_e32 v7, v5
	v_min_u32_e32 v7, 32, v7
	v_subrev_u32_e32 v9, 29, v7
	v_bfe_u32 v6, v4, 2, 5
	v_lshlrev_b32_e32 v4, v9, v4
	v_sub_u32_e32 v7, 30, v7
	v_and_b32_e32 v4, 3, v4
	v_cmp_eq_u32_e32 vcc, 0, v6
	v_and_b32_e32 v1, 0x80000000, v1
	s_nop 0
	v_cndmask_b32_e32 v6, v6, v7, vcc
	v_cndmask_b32_e32 v4, v5, v4, vcc
	v_mov_b32_e32 v5, 0x37800000
	v_lshlrev_b32_e32 v4, 21, v4
	v_lshl_add_u32 v5, v6, 23, v5
	v_or3_b32 v1, v1, v5, v4
	v_cvt_f16_f32_e32 v1, v1
.LBB241_533:
	s_or_b64 exec, exec, s[4:5]
	s_mov_b64 s[2:3], 0
	s_branch .LBB241_539
.LBB241_534:
	s_mov_b64 s[4:5], -1
                                        ; implicit-def: $vgpr1
	s_branch .LBB241_545
.LBB241_535:
	s_or_saveexec_b64 s[4:5], s[4:5]
	v_mov_b32_e32 v1, 0x7e00
	s_xor_b64 exec, exec, s[4:5]
	s_cbranch_execz .LBB241_518
.LBB241_536:
	v_cmp_ne_u16_e32 vcc, 0, v4
	s_andn2_b64 s[2:3], s[2:3], exec
	s_and_b64 s[8:9], vcc, exec
	s_or_b64 s[2:3], s[2:3], s[8:9]
	v_mov_b32_e32 v1, v4
	s_or_b64 exec, exec, s[4:5]
	s_and_saveexec_b64 s[4:5], s[2:3]
	s_cbranch_execnz .LBB241_519
	s_branch .LBB241_520
.LBB241_537:
	s_mov_b64 s[2:3], -1
                                        ; implicit-def: $vgpr1
	s_branch .LBB241_542
.LBB241_538:
	s_mov_b64 s[2:3], -1
                                        ; implicit-def: $vgpr1
.LBB241_539:
	s_and_b64 vcc, exec, s[2:3]
	s_cbranch_vccz .LBB241_541
; %bb.540:
	global_load_ubyte v1, v[2:3], off
	s_mov_b32 s2, 0x7f800000
	s_waitcnt vmcnt(0)
	v_lshlrev_b32_e32 v1, 24, v1
	v_and_b32_e32 v4, 0x7f000000, v1
	v_ffbh_u32_e32 v5, v4
	v_min_u32_e32 v5, 32, v5
	v_sub_u32_e64 v5, v5, 4 clamp
	v_lshlrev_b32_e32 v7, v5, v4
	v_lshlrev_b32_e32 v5, 23, v5
	v_lshrrev_b32_e32 v7, 4, v7
	v_add_u32_e32 v6, 0x1000000, v4
	v_sub_u32_e32 v5, v7, v5
	v_ashrrev_i32_e32 v6, 8, v6
	v_add_u32_e32 v5, 0x3c000000, v5
	v_and_or_b32 v5, v6, s2, v5
	v_cmp_ne_u32_e32 vcc, 0, v4
	s_brev_b32 s2, 1
	s_nop 0
	v_cndmask_b32_e32 v4, 0, v5, vcc
	v_and_or_b32 v1, v1, s2, v4
	v_cvt_f16_f32_e32 v1, v1
.LBB241_541:
	s_mov_b64 s[2:3], 0
.LBB241_542:
	s_andn2_b64 vcc, exec, s[2:3]
	s_cbranch_vccnz .LBB241_544
; %bb.543:
	global_load_ubyte v1, v[2:3], off
	s_movk_i32 s2, 0x7f00
	s_brev_b32 s3, 16
	s_waitcnt vmcnt(0)
	v_lshlrev_b16_e32 v4, 8, v1
	v_lshlrev_b32_e32 v1, 25, v1
	v_lshrrev_b32_e32 v5, 4, v1
	v_and_or_b32 v6, v4, s2, 0.5
	v_or_b32_e32 v5, 0x70000000, v5
	v_add_f32_e32 v6, -0.5, v6
	v_mul_f32_e32 v5, 0x7800000, v5
	v_cmp_gt_u32_e32 vcc, s3, v1
	v_bfe_i32 v4, v4, 0, 16
	s_brev_b32 s2, 1
	v_cndmask_b32_e32 v1, v5, v6, vcc
	v_and_or_b32 v1, v4, s2, v1
	v_cvt_f16_f32_e32 v1, v1
.LBB241_544:
	s_mov_b64 s[4:5], 0
	s_mov_b64 s[2:3], -1
.LBB241_545:
	s_andn2_b64 vcc, exec, s[4:5]
	s_cbranch_vccnz .LBB241_558
; %bb.546:
	s_cmp_gt_i32 s10, 14
	s_cbranch_scc0 .LBB241_549
; %bb.547:
	s_cmp_eq_u32 s10, 15
	s_cbranch_scc0 .LBB241_552
; %bb.548:
	global_load_ushort v1, v[2:3], off
	s_mov_b64 s[2:3], -1
	s_mov_b64 s[6:7], 0
	s_waitcnt vmcnt(0)
	v_lshlrev_b32_e32 v1, 16, v1
	v_cvt_f16_f32_e32 v1, v1
	s_branch .LBB241_553
.LBB241_549:
	s_mov_b64 s[4:5], -1
                                        ; implicit-def: $vgpr1
	s_branch .LBB241_554
.LBB241_550:
	s_or_saveexec_b64 s[4:5], s[4:5]
	v_mov_b32_e32 v1, 0x7e00
	s_xor_b64 exec, exec, s[4:5]
	s_cbranch_execz .LBB241_531
.LBB241_551:
	v_cmp_ne_u16_e32 vcc, 0, v4
	s_andn2_b64 s[2:3], s[2:3], exec
	s_and_b64 s[8:9], vcc, exec
	s_or_b64 s[2:3], s[2:3], s[8:9]
	v_mov_b32_e32 v1, v4
	s_or_b64 exec, exec, s[4:5]
	s_and_saveexec_b64 s[4:5], s[2:3]
	s_cbranch_execnz .LBB241_532
	s_branch .LBB241_533
.LBB241_552:
	s_mov_b64 s[6:7], -1
                                        ; implicit-def: $vgpr1
.LBB241_553:
	s_mov_b64 s[4:5], 0
.LBB241_554:
	s_and_b64 vcc, exec, s[4:5]
	s_cbranch_vccz .LBB241_558
; %bb.555:
	s_cmp_eq_u32 s10, 11
	s_cbranch_scc0 .LBB241_557
; %bb.556:
	global_load_ubyte v1, v[2:3], off
	v_mov_b32_e32 v4, 0x3c00
	s_mov_b64 s[2:3], -1
	s_mov_b64 s[6:7], 0
	s_waitcnt vmcnt(0)
	v_cmp_ne_u16_e32 vcc, 0, v1
	s_nop 1
	v_cndmask_b32_e32 v1, 0, v4, vcc
	s_branch .LBB241_558
.LBB241_557:
	s_mov_b64 s[6:7], -1
                                        ; implicit-def: $vgpr1
.LBB241_558:
	v_mov_b32_e32 v4, 0
.LBB241_559:
	s_branch .LBB241_329
.LBB241_560:
	s_cmp_lt_i32 s10, 5
	s_cbranch_scc1 .LBB241_565
; %bb.561:
	s_cmp_lt_i32 s10, 8
	s_cbranch_scc1 .LBB241_566
; %bb.562:
	;; [unrolled: 3-line block ×3, first 2 shown]
	s_cmp_gt_i32 s10, 9
	s_cbranch_scc0 .LBB241_568
; %bb.564:
	global_load_dwordx4 v[4:7], v[2:3], off
	s_movk_i32 s2, 0x1ff
	s_movk_i32 s3, 0xffe
	s_waitcnt vmcnt(1)
	v_mov_b32_e32 v1, 0x7c00
	v_mov_b32_e32 v9, 0x7e00
	s_movk_i32 s4, 0x40f
	s_mov_b32 s5, 0x8000
	s_waitcnt vmcnt(0)
	v_and_or_b32 v4, v5, s2, v4
	v_and_or_b32 v6, v7, s2, v6
	v_cmp_ne_u32_e32 vcc, 0, v4
	v_lshrrev_b32_e32 v10, 8, v5
	v_bfe_u32 v11, v5, 20, 11
	v_cndmask_b32_e64 v4, 0, 1, vcc
	v_cmp_ne_u32_e32 vcc, 0, v6
	v_lshrrev_b32_e32 v12, 8, v7
	v_bfe_u32 v13, v7, 20, 11
	v_cndmask_b32_e64 v6, 0, 1, vcc
	v_and_or_b32 v4, v10, s3, v4
	v_sub_u32_e32 v14, 0x3f1, v11
	v_add_u32_e32 v11, 0xfffffc10, v11
	v_sub_u32_e32 v15, 0x3f1, v13
	v_and_or_b32 v6, v12, s3, v6
	v_cmp_ne_u32_e32 vcc, 0, v4
	v_add_u32_e32 v13, 0xfffffc10, v13
	v_med3_i32 v10, v14, 0, 13
	v_med3_i32 v12, v15, 0, 13
	v_or_b32_e32 v14, 0x1000, v4
	v_lshl_or_b32 v15, v11, 12, v4
	v_cndmask_b32_e32 v4, v1, v9, vcc
	v_cmp_ne_u32_e32 vcc, 0, v6
	v_or_b32_e32 v16, 0x1000, v6
	v_lshl_or_b32 v17, v13, 12, v6
	v_cndmask_b32_e32 v6, v1, v9, vcc
	v_lshrrev_b32_e32 v9, v10, v14
	v_lshrrev_b32_e32 v18, v12, v16
	v_lshlrev_b32_e32 v10, v10, v9
	v_lshlrev_b32_e32 v12, v12, v18
	v_cmp_ne_u32_e32 vcc, v10, v14
	v_lshrrev_b32_e32 v5, 16, v5
	v_lshrrev_b32_e32 v7, 16, v7
	v_cndmask_b32_e64 v10, 0, 1, vcc
	v_cmp_ne_u32_e32 vcc, v12, v16
	v_or_b32_e32 v9, v9, v10
	s_mov_b64 s[2:3], 0
	v_cndmask_b32_e64 v12, 0, 1, vcc
	v_cmp_gt_i32_e32 vcc, 1, v11
	v_or_b32_e32 v10, v18, v12
	s_nop 0
	v_cndmask_b32_e32 v9, v15, v9, vcc
	v_cmp_gt_i32_e32 vcc, 1, v13
	v_and_b32_e32 v12, 7, v9
	v_lshrrev_b32_e32 v9, 2, v9
	v_cndmask_b32_e32 v10, v17, v10, vcc
	v_cmp_lt_i32_e32 vcc, 5, v12
	v_and_b32_e32 v14, 7, v10
	v_lshrrev_b32_e32 v10, 2, v10
	v_cndmask_b32_e64 v15, 0, 1, vcc
	v_cmp_eq_u32_e32 vcc, 3, v12
	s_nop 1
	v_cndmask_b32_e64 v12, 0, 1, vcc
	v_cmp_lt_i32_e32 vcc, 5, v14
	v_or_b32_e32 v12, v12, v15
	v_add_u32_e32 v9, v9, v12
	v_cndmask_b32_e64 v16, 0, 1, vcc
	v_cmp_eq_u32_e32 vcc, 3, v14
	s_nop 1
	v_cndmask_b32_e64 v14, 0, 1, vcc
	v_or_b32_e32 v14, v14, v16
	v_cmp_gt_i32_e32 vcc, 31, v11
	v_add_u32_e32 v10, v10, v14
	s_nop 0
	v_cndmask_b32_e32 v9, v1, v9, vcc
	v_cmp_gt_i32_e32 vcc, 31, v13
	s_nop 1
	v_cndmask_b32_e32 v1, v1, v10, vcc
	v_cmp_eq_u32_e32 vcc, s4, v11
	s_nop 1
	v_cndmask_b32_e32 v4, v9, v4, vcc
	v_cmp_eq_u32_e32 vcc, s4, v13
	s_nop 1
	v_cndmask_b32_e32 v6, v1, v6, vcc
	v_and_or_b32 v1, v5, s5, v4
	v_and_or_b32 v4, v7, s5, v6
	s_branch .LBB241_569
.LBB241_565:
	s_mov_b64 s[2:3], -1
                                        ; implicit-def: $vgpr4
                                        ; implicit-def: $vgpr1
	s_branch .LBB241_588
.LBB241_566:
	s_mov_b64 s[2:3], -1
                                        ; implicit-def: $vgpr4
                                        ; implicit-def: $vgpr1
	s_branch .LBB241_575
.LBB241_567:
	s_mov_b64 s[2:3], -1
                                        ; implicit-def: $vgpr4
                                        ; implicit-def: $vgpr1
	s_branch .LBB241_572
.LBB241_568:
	s_mov_b64 s[2:3], -1
                                        ; implicit-def: $vgpr4
                                        ; implicit-def: $vgpr1
.LBB241_569:
	s_andn2_b64 vcc, exec, s[2:3]
	s_cbranch_vccnz .LBB241_571
; %bb.570:
	global_load_dwordx2 v[4:5], v[2:3], off
	s_waitcnt vmcnt(0)
	v_cvt_f16_f32_e32 v1, v4
	v_cvt_f16_f32_e32 v4, v5
.LBB241_571:
	s_mov_b64 s[2:3], 0
.LBB241_572:
	s_andn2_b64 vcc, exec, s[2:3]
	s_cbranch_vccnz .LBB241_574
; %bb.573:
	global_load_dword v1, v[2:3], off
	s_waitcnt vmcnt(0)
	v_lshrrev_b32_e32 v4, 16, v1
.LBB241_574:
	s_mov_b64 s[2:3], 0
.LBB241_575:
	s_andn2_b64 vcc, exec, s[2:3]
	s_cbranch_vccnz .LBB241_587
; %bb.576:
	s_cmp_lt_i32 s10, 6
	s_cbranch_scc1 .LBB241_579
; %bb.577:
	s_cmp_gt_i32 s10, 6
	s_cbranch_scc0 .LBB241_580
; %bb.578:
	global_load_dwordx2 v[4:5], v[2:3], off
	s_movk_i32 s2, 0x1ff
	s_movk_i32 s3, 0xffe
	s_waitcnt vmcnt(1)
	v_mov_b32_e32 v1, 0x7c00
	v_mov_b32_e32 v6, 0x7e00
	s_movk_i32 s4, 0x40f
	s_mov_b32 s5, 0x8000
	s_waitcnt vmcnt(0)
	v_and_or_b32 v4, v5, s2, v4
	v_cmp_ne_u32_e32 vcc, 0, v4
	v_lshrrev_b32_e32 v7, 8, v5
	v_bfe_u32 v9, v5, 20, 11
	v_cndmask_b32_e64 v4, 0, 1, vcc
	v_sub_u32_e32 v10, 0x3f1, v9
	v_and_or_b32 v4, v7, s3, v4
	v_add_u32_e32 v9, 0xfffffc10, v9
	v_med3_i32 v7, v10, 0, 13
	v_or_b32_e32 v10, 0x1000, v4
	v_cmp_ne_u32_e32 vcc, 0, v4
	v_lshl_or_b32 v11, v9, 12, v4
	v_lshrrev_b32_e32 v5, 16, v5
	v_cndmask_b32_e32 v4, v1, v6, vcc
	v_lshrrev_b32_e32 v6, v7, v10
	v_lshlrev_b32_e32 v7, v7, v6
	v_cmp_ne_u32_e32 vcc, v7, v10
	s_mov_b64 s[2:3], 0
	s_nop 0
	v_cndmask_b32_e64 v7, 0, 1, vcc
	v_or_b32_e32 v6, v6, v7
	v_cmp_gt_i32_e32 vcc, 1, v9
	s_nop 1
	v_cndmask_b32_e32 v6, v11, v6, vcc
	v_and_b32_e32 v7, 7, v6
	v_cmp_lt_i32_e32 vcc, 5, v7
	v_lshrrev_b32_e32 v6, 2, v6
	s_nop 0
	v_cndmask_b32_e64 v10, 0, 1, vcc
	v_cmp_eq_u32_e32 vcc, 3, v7
	s_nop 1
	v_cndmask_b32_e64 v7, 0, 1, vcc
	v_or_b32_e32 v7, v7, v10
	v_add_u32_e32 v6, v6, v7
	v_cmp_gt_i32_e32 vcc, 31, v9
	s_nop 1
	v_cndmask_b32_e32 v1, v1, v6, vcc
	v_cmp_eq_u32_e32 vcc, s4, v9
	s_nop 1
	v_cndmask_b32_e32 v1, v1, v4, vcc
	v_and_or_b32 v1, v5, s5, v1
	s_branch .LBB241_581
.LBB241_579:
	s_mov_b64 s[2:3], -1
                                        ; implicit-def: $vgpr1
	s_branch .LBB241_584
.LBB241_580:
	s_mov_b64 s[2:3], -1
                                        ; implicit-def: $vgpr1
.LBB241_581:
	s_andn2_b64 vcc, exec, s[2:3]
	s_cbranch_vccnz .LBB241_583
; %bb.582:
	global_load_dword v1, v[2:3], off
	s_waitcnt vmcnt(0)
	v_cvt_f16_f32_e32 v1, v1
.LBB241_583:
	s_mov_b64 s[2:3], 0
.LBB241_584:
	s_andn2_b64 vcc, exec, s[2:3]
	s_cbranch_vccnz .LBB241_586
; %bb.585:
	global_load_ushort v1, v[2:3], off
.LBB241_586:
	v_mov_b32_e32 v4, 0
.LBB241_587:
	s_mov_b64 s[2:3], 0
.LBB241_588:
	s_andn2_b64 vcc, exec, s[2:3]
	s_cbranch_vccnz .LBB241_609
; %bb.589:
	s_cmp_lt_i32 s10, 2
	s_cbranch_scc1 .LBB241_593
; %bb.590:
	s_cmp_lt_i32 s10, 3
	s_cbranch_scc1 .LBB241_594
; %bb.591:
	s_cmp_gt_i32 s10, 3
	s_cbranch_scc0 .LBB241_595
; %bb.592:
	global_load_dwordx2 v[4:5], v[2:3], off
	s_mov_b64 s[2:3], 0
	s_waitcnt vmcnt(0)
	v_xor_b32_e32 v6, v4, v5
	v_ffbh_i32_e32 v1, v5
	v_ashrrev_i32_e32 v6, 31, v6
	v_add_u32_e32 v1, -1, v1
	v_add_u32_e32 v6, 32, v6
	v_min_u32_e32 v1, v1, v6
	v_lshlrev_b64 v[4:5], v1, v[4:5]
	v_min_u32_e32 v4, 1, v4
	v_or_b32_e32 v4, v5, v4
	v_cvt_f32_i32_e32 v4, v4
	v_sub_u32_e32 v1, 32, v1
	v_ldexp_f32 v1, v4, v1
	v_cvt_f16_f32_e32 v1, v1
	s_branch .LBB241_596
.LBB241_593:
	s_mov_b64 s[2:3], -1
                                        ; implicit-def: $vgpr1
	s_branch .LBB241_602
.LBB241_594:
	s_mov_b64 s[2:3], -1
                                        ; implicit-def: $vgpr1
	s_branch .LBB241_599
.LBB241_595:
	s_mov_b64 s[2:3], -1
                                        ; implicit-def: $vgpr1
.LBB241_596:
	s_andn2_b64 vcc, exec, s[2:3]
	s_cbranch_vccnz .LBB241_598
; %bb.597:
	global_load_dword v1, v[2:3], off
	s_waitcnt vmcnt(0)
	v_cvt_f32_i32_e32 v1, v1
	v_cvt_f16_f32_e32 v1, v1
.LBB241_598:
	s_mov_b64 s[2:3], 0
.LBB241_599:
	s_andn2_b64 vcc, exec, s[2:3]
	s_cbranch_vccnz .LBB241_601
; %bb.600:
	global_load_ushort v1, v[2:3], off
	s_waitcnt vmcnt(0)
	v_cvt_f16_i16_e32 v1, v1
.LBB241_601:
	s_mov_b64 s[2:3], 0
.LBB241_602:
	s_andn2_b64 vcc, exec, s[2:3]
	s_cbranch_vccnz .LBB241_608
; %bb.603:
	s_cmp_gt_i32 s10, 0
	s_cbranch_scc0 .LBB241_605
; %bb.604:
	global_load_sbyte v1, v[2:3], off
	s_mov_b64 s[2:3], 0
	s_waitcnt vmcnt(0)
	v_cvt_f16_i16_e32 v1, v1
	s_branch .LBB241_606
.LBB241_605:
	s_mov_b64 s[2:3], -1
                                        ; implicit-def: $vgpr1
.LBB241_606:
	s_andn2_b64 vcc, exec, s[2:3]
	s_cbranch_vccnz .LBB241_608
; %bb.607:
	global_load_ubyte v1, v[2:3], off
	s_waitcnt vmcnt(0)
	v_cvt_f16_u16_e32 v1, v1
.LBB241_608:
	v_mov_b32_e32 v4, 0
.LBB241_609:
	s_branch .LBB241_330
.LBB241_610:
	s_mov_b64 s[4:5], 0
	s_mov_b64 s[2:3], s[54:55]
.LBB241_611:
                                        ; implicit-def: $vgpr8
.LBB241_612:
	s_andn2_b64 s[8:9], s[54:55], exec
	s_and_b64 s[2:3], s[2:3], exec
	s_or_b64 s[62:63], s[8:9], s[2:3]
	s_andn2_b64 s[2:3], s[56:57], exec
	s_and_b64 s[6:7], s[6:7], exec
	s_or_b64 s[60:61], s[2:3], s[6:7]
	s_orn2_b64 s[2:3], s[4:5], exec
.LBB241_613:
	s_or_b64 exec, exec, s[64:65]
	s_mov_b64 s[4:5], 0
	s_mov_b64 s[6:7], 0
	s_mov_b64 s[8:9], 0
                                        ; implicit-def: $vgpr2_vgpr3
                                        ; implicit-def: $vgpr0
                                        ; implicit-def: $vgpr6
                                        ; implicit-def: $vgpr1
	s_and_saveexec_b64 s[64:65], s[2:3]
	s_cbranch_execz .LBB241_1028
; %bb.614:
	v_cmp_gt_i32_e32 vcc, s70, v8
	s_mov_b64 s[6:7], -1
	s_mov_b64 s[2:3], s[60:61]
	s_mov_b64 s[68:69], s[62:63]
	s_and_saveexec_b64 s[66:67], vcc
	s_cbranch_execz .LBB241_924
; %bb.615:
	s_andn2_b64 vcc, exec, s[42:43]
	s_cbranch_vccnz .LBB241_621
; %bb.616:
	s_andn2_b64 vcc, exec, s[52:53]
	s_cbranch_vccnz .LBB241_622
; %bb.617:
	s_add_i32 s76, s75, 1
	s_cmp_eq_u32 s72, 2
	s_cbranch_scc1 .LBB241_623
; %bb.618:
	s_and_b32 s71, s76, 28
	s_mov_b32 s77, 0
	v_mov_b32_e32 v0, 0
	v_mov_b32_e32 v2, 0
	s_mov_b64 s[2:3], s[34:35]
	s_mov_b64 s[68:69], s[50:51]
	v_mov_b32_e32 v4, v8
.LBB241_619:                            ; =>This Inner Loop Header: Depth=1
	s_load_dwordx8 s[12:19], s[2:3], 0x4
	s_load_dwordx4 s[36:39], s[2:3], 0x24
	s_load_dwordx8 s[4:11], s[68:69], 0x0
	s_add_u32 s2, s2, 48
	s_addc_u32 s3, s3, 0
	s_waitcnt vmcnt(0) lgkmcnt(0)
	v_mul_hi_u32 v1, s13, v4
	v_add_u32_e32 v1, v4, v1
	v_lshrrev_b32_e32 v1, s14, v1
	v_mul_lo_u32 v3, v1, s12
	v_mul_hi_u32 v5, s16, v1
	v_sub_u32_e32 v3, v4, v3
	v_add_u32_e32 v4, v1, v5
	v_lshrrev_b32_e32 v4, s17, v4
	v_mul_lo_u32 v6, v4, s15
	v_mul_hi_u32 v7, s19, v4
	v_sub_u32_e32 v1, v1, v6
	v_add_u32_e32 v6, v4, v7
	v_mul_lo_u32 v5, v3, s5
	v_mul_lo_u32 v3, v3, s4
	;; [unrolled: 1-line block ×4, first 2 shown]
	v_lshrrev_b32_e32 v6, s36, v6
	v_add3_u32 v0, v3, v0, v1
	v_mul_hi_u32 v3, s38, v6
	v_add3_u32 v1, v5, v2, v7
	v_mul_lo_u32 v2, v6, s18
	v_add_u32_e32 v3, v6, v3
	v_sub_u32_e32 v2, v4, v2
	v_lshrrev_b32_e32 v4, s39, v3
	s_add_i32 s77, s77, 4
	v_mul_lo_u32 v3, v4, s37
	s_add_u32 s68, s68, 32
	v_sub_u32_e32 v3, v6, v3
	s_addc_u32 s69, s69, 0
	v_mul_lo_u32 v5, v2, s8
	v_mul_lo_u32 v2, v2, s9
	;; [unrolled: 1-line block ×4, first 2 shown]
	s_cmp_eq_u32 s71, s77
	v_add3_u32 v2, v2, v1, v3
	v_add3_u32 v0, v5, v0, v6
	s_cbranch_scc0 .LBB241_619
; %bb.620:
	v_mov_b32_e32 v1, v2
	s_branch .LBB241_624
.LBB241_621:
	s_mov_b64 s[2:3], -1
                                        ; implicit-def: $vgpr2
                                        ; implicit-def: $vgpr0
	s_branch .LBB241_628
.LBB241_622:
	v_mov_b32_e32 v2, 0
	v_mov_b32_e32 v0, 0
	s_branch .LBB241_627
.LBB241_623:
	v_mov_b32_e32 v0, 0
	s_mov_b32 s71, 0
	s_waitcnt vmcnt(0)
	v_mov_b32_e32 v1, v0
                                        ; implicit-def: $vgpr2
	v_mov_b32_e32 v4, v8
.LBB241_624:
	s_and_b32 s6, s76, 3
	s_cmp_eq_u32 s6, 0
	s_cbranch_scc1 .LBB241_627
; %bb.625:
	s_lshl_b32 s2, s71, 3
	s_add_u32 s2, s34, s2
	s_addc_u32 s3, s35, 0
	s_add_u32 s2, s2, 0xc4
	s_addc_u32 s3, s3, 0
	s_mul_i32 s4, s71, 12
	s_add_u32 s4, s34, s4
	s_addc_u32 s5, s35, 0
.LBB241_626:                            ; =>This Inner Loop Header: Depth=1
	s_load_dwordx2 s[8:9], s[4:5], 0x4
	s_load_dword s7, s[4:5], 0xc
	s_load_dwordx2 s[10:11], s[2:3], 0x0
	v_mov_b32_e32 v2, v1
	s_add_u32 s4, s4, 12
	s_waitcnt lgkmcnt(0)
	v_mul_hi_u32 v1, s9, v4
	v_add_u32_e32 v1, v4, v1
	v_lshrrev_b32_e32 v1, s7, v1
	s_addc_u32 s5, s5, 0
	v_mul_lo_u32 v3, v1, s8
	s_add_u32 s2, s2, 8
	v_sub_u32_e32 v5, v4, v3
	s_addc_u32 s3, s3, 0
	s_add_i32 s6, s6, -1
	v_mov_b32_e32 v4, v1
	v_mad_u64_u32 v[2:3], s[8:9], v5, s11, v[2:3]
	v_mad_u64_u32 v[0:1], s[8:9], v5, s10, v[0:1]
	s_cmp_lg_u32 s6, 0
	v_mov_b32_e32 v1, v2
	s_cbranch_scc1 .LBB241_626
.LBB241_627:
	s_mov_b64 s[2:3], 0
.LBB241_628:
	s_andn2_b64 vcc, exec, s[2:3]
	s_cbranch_vccnz .LBB241_631
; %bb.629:
	s_waitcnt lgkmcnt(0)
	v_mul_hi_u32 v0, s29, v8
	v_add_u32_e32 v0, v8, v0
	s_waitcnt vmcnt(0)
	v_lshrrev_b32_e32 v1, s30, v0
	v_mul_lo_u32 v0, v1, s28
	v_sub_u32_e32 v0, v8, v0
	v_mul_lo_u32 v2, v0, s25
	s_andn2_b64 vcc, exec, s[48:49]
	v_mul_lo_u32 v0, v0, s24
	s_cbranch_vccnz .LBB241_631
; %bb.630:
	v_mul_hi_u32 v3, s46, v1
	v_add_u32_e32 v3, v1, v3
	v_lshrrev_b32_e32 v3, s47, v3
	v_mul_lo_u32 v3, v3, s31
	v_sub_u32_e32 v3, v1, v3
	v_mad_u64_u32 v[0:1], s[2:3], v3, s26, v[0:1]
	v_mad_u64_u32 v[2:3], s[2:3], v3, s27, v[2:3]
.LBB241_631:
	v_mov_b32_e32 v3, 0
	s_and_b32 s10, 0xffff, s74
	s_cmp_lt_i32 s10, 11
	s_waitcnt lgkmcnt(0)
	v_lshl_add_u64 v[2:3], s[22:23], 0, v[2:3]
	s_cbranch_scc1 .LBB241_638
; %bb.632:
	s_cmp_gt_i32 s10, 25
	s_cbranch_scc0 .LBB241_639
; %bb.633:
	s_cmp_gt_i32 s10, 28
	s_cbranch_scc0 .LBB241_640
	;; [unrolled: 3-line block ×4, first 2 shown]
; %bb.636:
	s_cmp_eq_u32 s10, 46
	s_mov_b64 s[4:5], 0
	s_cbranch_scc0 .LBB241_647
; %bb.637:
	global_load_dword v1, v[2:3], off
	s_mov_b64 s[2:3], -1
	s_mov_b64 s[6:7], 0
	s_waitcnt vmcnt(0)
	v_and_b32_e32 v4, 0xffff0000, v1
	v_lshlrev_b32_e32 v1, 16, v1
	v_cvt_f16_f32_e32 v1, v1
	v_cvt_f16_f32_e32 v4, v4
	s_branch .LBB241_648
.LBB241_638:
	s_mov_b64 s[4:5], -1
	s_mov_b64 s[2:3], 0
                                        ; implicit-def: $vgpr4
                                        ; implicit-def: $vgpr1
	s_mov_b64 s[6:7], s[60:61]
	s_branch .LBB241_716
.LBB241_639:
	s_mov_b64 s[4:5], -1
	s_mov_b64 s[2:3], 0
	s_mov_b64 s[6:7], s[60:61]
                                        ; implicit-def: $vgpr4
                                        ; implicit-def: $vgpr1
	s_branch .LBB241_679
.LBB241_640:
	s_mov_b64 s[4:5], -1
	s_mov_b64 s[2:3], 0
	s_mov_b64 s[6:7], s[60:61]
                                        ; implicit-def: $vgpr4
                                        ; implicit-def: $vgpr1
	s_branch .LBB241_660
.LBB241_641:
	s_mov_b64 s[4:5], -1
	s_mov_b64 s[2:3], 0
	s_mov_b64 s[6:7], s[60:61]
                                        ; implicit-def: $vgpr4
                                        ; implicit-def: $vgpr1
	s_branch .LBB241_654
.LBB241_642:
	s_andn2_saveexec_b64 s[10:11], s[10:11]
	s_cbranch_execz .LBB241_405
.LBB241_643:
	s_mov_b32 s14, 0x46000000
	v_add_f32_e64 v6, |v3|, s14
	v_and_b32_e32 v6, 0xff, v6
	v_cmp_ne_u32_e32 vcc, 0, v6
	s_andn2_b64 s[8:9], s[8:9], exec
	s_and_b64 s[14:15], vcc, exec
	s_or_b64 s[8:9], s[8:9], s[14:15]
	s_or_b64 exec, exec, s[10:11]
	v_mov_b32_e32 v7, 0
	s_and_saveexec_b64 s[10:11], s[8:9]
	s_cbranch_execnz .LBB241_406
	s_branch .LBB241_407
.LBB241_644:
	s_mov_b64 s[4:5], -1
	s_mov_b64 s[2:3], 0
	s_mov_b64 s[6:7], s[60:61]
                                        ; implicit-def: $vgpr4
                                        ; implicit-def: $vgpr1
	s_branch .LBB241_648
.LBB241_645:
	s_andn2_saveexec_b64 s[10:11], s[10:11]
	s_cbranch_execz .LBB241_418
.LBB241_646:
	s_mov_b32 s14, 0x42800000
	v_add_f32_e64 v6, |v3|, s14
	v_and_b32_e32 v6, 0xff, v6
	v_cmp_ne_u32_e32 vcc, 0, v6
	s_andn2_b64 s[8:9], s[8:9], exec
	s_and_b64 s[14:15], vcc, exec
	s_or_b64 s[8:9], s[8:9], s[14:15]
	s_or_b64 exec, exec, s[10:11]
	v_mov_b32_e32 v7, 0
	s_and_saveexec_b64 s[10:11], s[8:9]
	s_cbranch_execnz .LBB241_419
	s_branch .LBB241_420
.LBB241_647:
	s_mov_b64 s[6:7], -1
                                        ; implicit-def: $vgpr4
                                        ; implicit-def: $vgpr1
	s_mov_b64 s[2:3], 0
.LBB241_648:
	s_and_b64 vcc, exec, s[4:5]
	s_cbranch_vccz .LBB241_653
; %bb.649:
	s_cmp_eq_u32 s10, 44
	s_cbranch_scc0 .LBB241_651
; %bb.650:
	global_load_ubyte v1, v[2:3], off
	s_movk_i32 s4, 0xff
	v_mov_b32_e32 v5, 0x7e00
	s_mov_b64 s[2:3], -1
	s_mov_b64 s[6:7], 0
	s_waitcnt vmcnt(0)
	v_lshlrev_b32_e32 v4, 23, v1
	v_cvt_f16_f32_e32 v4, v4
	v_cmp_ne_u32_e32 vcc, s4, v1
	s_nop 1
	v_cndmask_b32_e32 v4, v5, v4, vcc
	v_cmp_ne_u32_e32 vcc, 0, v1
	s_nop 1
	v_cndmask_b32_e32 v1, 0, v4, vcc
	s_branch .LBB241_652
.LBB241_651:
	s_mov_b64 s[6:7], -1
                                        ; implicit-def: $vgpr1
.LBB241_652:
	v_mov_b32_e32 v4, 0
.LBB241_653:
	s_mov_b64 s[4:5], 0
.LBB241_654:
	s_and_b64 vcc, exec, s[4:5]
	s_cbranch_vccz .LBB241_659
; %bb.655:
	s_cmp_eq_u32 s10, 29
	s_cbranch_scc0 .LBB241_657
; %bb.656:
	global_load_dwordx2 v[4:5], v[2:3], off
	s_mov_b64 s[2:3], -1
	s_mov_b64 s[6:7], 0
	s_waitcnt vmcnt(0)
	v_ffbh_u32_e32 v1, v5
	v_min_u32_e32 v1, 32, v1
	v_lshlrev_b64 v[4:5], v1, v[4:5]
	v_min_u32_e32 v4, 1, v4
	v_or_b32_e32 v4, v5, v4
	v_cvt_f32_u32_e32 v4, v4
	v_sub_u32_e32 v1, 32, v1
	v_ldexp_f32 v1, v4, v1
	v_cvt_f16_f32_e32 v1, v1
	s_branch .LBB241_658
.LBB241_657:
	s_mov_b64 s[6:7], -1
                                        ; implicit-def: $vgpr1
.LBB241_658:
	v_mov_b32_e32 v4, 0
.LBB241_659:
	s_mov_b64 s[4:5], 0
.LBB241_660:
	s_and_b64 vcc, exec, s[4:5]
	s_cbranch_vccz .LBB241_678
; %bb.661:
	s_cmp_lt_i32 s10, 27
	s_cbranch_scc1 .LBB241_664
; %bb.662:
	s_cmp_gt_i32 s10, 27
	s_cbranch_scc0 .LBB241_665
; %bb.663:
	global_load_dword v1, v[2:3], off
	s_mov_b64 s[2:3], 0
	s_waitcnt vmcnt(0)
	v_cvt_f32_u32_e32 v1, v1
	v_cvt_f16_f32_e32 v1, v1
	s_branch .LBB241_666
.LBB241_664:
	s_mov_b64 s[2:3], -1
                                        ; implicit-def: $vgpr1
	s_branch .LBB241_669
.LBB241_665:
	s_mov_b64 s[2:3], -1
                                        ; implicit-def: $vgpr1
.LBB241_666:
	s_andn2_b64 vcc, exec, s[2:3]
	s_cbranch_vccnz .LBB241_668
; %bb.667:
	global_load_ushort v1, v[2:3], off
	s_waitcnt vmcnt(0)
	v_cvt_f16_u16_e32 v1, v1
.LBB241_668:
	s_mov_b64 s[2:3], 0
.LBB241_669:
	s_andn2_b64 vcc, exec, s[2:3]
	s_cbranch_vccnz .LBB241_677
; %bb.670:
	global_load_ubyte v4, v[2:3], off
	s_movk_i32 s2, 0x7f
	s_waitcnt vmcnt(0)
	v_cmp_lt_i16_e32 vcc, s2, v4
	s_mov_b64 s[2:3], 0
	s_and_saveexec_b64 s[4:5], vcc
	s_xor_b64 s[4:5], exec, s[4:5]
	s_cbranch_execz .LBB241_691
; %bb.671:
	s_movk_i32 s2, 0x80
	v_cmp_eq_u16_e32 vcc, s2, v4
	s_mov_b64 s[2:3], -1
	s_and_saveexec_b64 s[8:9], vcc
; %bb.672:
	s_xor_b64 s[2:3], exec, -1
; %bb.673:
	s_or_b64 exec, exec, s[8:9]
	s_and_b64 s[2:3], s[2:3], exec
	s_or_saveexec_b64 s[4:5], s[4:5]
	v_mov_b32_e32 v1, 0x7e00
	s_xor_b64 exec, exec, s[4:5]
	s_cbranch_execnz .LBB241_692
.LBB241_674:
	s_or_b64 exec, exec, s[4:5]
	s_and_saveexec_b64 s[4:5], s[2:3]
	s_cbranch_execz .LBB241_676
.LBB241_675:
	v_lshlrev_b32_e32 v1, 24, v4
	v_and_b32_e32 v4, 0xffff, v4
	v_and_b32_e32 v5, 7, v4
	v_ffbh_u32_e32 v7, v5
	v_min_u32_e32 v7, 32, v7
	v_subrev_u32_e32 v9, 28, v7
	v_bfe_u32 v6, v4, 3, 4
	v_lshlrev_b32_e32 v4, v9, v4
	v_sub_u32_e32 v7, 29, v7
	v_and_b32_e32 v4, 7, v4
	v_cmp_eq_u32_e32 vcc, 0, v6
	v_and_b32_e32 v1, 0x80000000, v1
	s_nop 0
	v_cndmask_b32_e32 v6, v6, v7, vcc
	v_cndmask_b32_e32 v4, v5, v4, vcc
	v_mov_b32_e32 v5, 0x3b800000
	v_lshlrev_b32_e32 v4, 20, v4
	v_lshl_add_u32 v5, v6, 23, v5
	v_or3_b32 v1, v1, v5, v4
	v_cvt_f16_f32_e32 v1, v1
.LBB241_676:
	s_or_b64 exec, exec, s[4:5]
.LBB241_677:
	s_mov_b64 s[2:3], -1
	v_mov_b32_e32 v4, 0
.LBB241_678:
	s_mov_b64 s[4:5], 0
.LBB241_679:
	s_and_b64 vcc, exec, s[4:5]
	s_cbranch_vccz .LBB241_715
; %bb.680:
	s_cmp_gt_i32 s10, 22
	s_cbranch_scc0 .LBB241_690
; %bb.681:
	s_cmp_lt_i32 s10, 24
	s_cbranch_scc1 .LBB241_693
; %bb.682:
	s_cmp_gt_i32 s10, 24
	s_cbranch_scc0 .LBB241_694
; %bb.683:
	global_load_ubyte v4, v[2:3], off
	s_movk_i32 s2, 0x7f
	s_waitcnt vmcnt(0)
	v_cmp_lt_i16_e32 vcc, s2, v4
	s_mov_b64 s[2:3], 0
	s_and_saveexec_b64 s[4:5], vcc
	s_xor_b64 s[4:5], exec, s[4:5]
	s_cbranch_execz .LBB241_706
; %bb.684:
	s_movk_i32 s2, 0x80
	v_cmp_eq_u16_e32 vcc, s2, v4
	s_mov_b64 s[2:3], -1
	s_and_saveexec_b64 s[8:9], vcc
; %bb.685:
	s_xor_b64 s[2:3], exec, -1
; %bb.686:
	s_or_b64 exec, exec, s[8:9]
	s_and_b64 s[2:3], s[2:3], exec
	s_or_saveexec_b64 s[4:5], s[4:5]
	v_mov_b32_e32 v1, 0x7e00
	s_xor_b64 exec, exec, s[4:5]
	s_cbranch_execnz .LBB241_707
.LBB241_687:
	s_or_b64 exec, exec, s[4:5]
	s_and_saveexec_b64 s[4:5], s[2:3]
	s_cbranch_execz .LBB241_689
.LBB241_688:
	v_lshlrev_b32_e32 v1, 24, v4
	v_and_b32_e32 v4, 0xffff, v4
	v_and_b32_e32 v5, 3, v4
	v_ffbh_u32_e32 v7, v5
	v_min_u32_e32 v7, 32, v7
	v_subrev_u32_e32 v9, 29, v7
	v_bfe_u32 v6, v4, 2, 5
	v_lshlrev_b32_e32 v4, v9, v4
	v_sub_u32_e32 v7, 30, v7
	v_and_b32_e32 v4, 3, v4
	v_cmp_eq_u32_e32 vcc, 0, v6
	v_and_b32_e32 v1, 0x80000000, v1
	s_nop 0
	v_cndmask_b32_e32 v6, v6, v7, vcc
	v_cndmask_b32_e32 v4, v5, v4, vcc
	v_mov_b32_e32 v5, 0x37800000
	v_lshlrev_b32_e32 v4, 21, v4
	v_lshl_add_u32 v5, v6, 23, v5
	v_or3_b32 v1, v1, v5, v4
	v_cvt_f16_f32_e32 v1, v1
.LBB241_689:
	s_or_b64 exec, exec, s[4:5]
	s_mov_b64 s[2:3], 0
	s_branch .LBB241_695
.LBB241_690:
	s_mov_b64 s[4:5], -1
                                        ; implicit-def: $vgpr1
	s_branch .LBB241_701
.LBB241_691:
	s_or_saveexec_b64 s[4:5], s[4:5]
	v_mov_b32_e32 v1, 0x7e00
	s_xor_b64 exec, exec, s[4:5]
	s_cbranch_execz .LBB241_674
.LBB241_692:
	v_cmp_ne_u16_e32 vcc, 0, v4
	s_andn2_b64 s[2:3], s[2:3], exec
	s_and_b64 s[8:9], vcc, exec
	s_or_b64 s[2:3], s[2:3], s[8:9]
	v_mov_b32_e32 v1, v4
	s_or_b64 exec, exec, s[4:5]
	s_and_saveexec_b64 s[4:5], s[2:3]
	s_cbranch_execnz .LBB241_675
	s_branch .LBB241_676
.LBB241_693:
	s_mov_b64 s[2:3], -1
                                        ; implicit-def: $vgpr1
	s_branch .LBB241_698
.LBB241_694:
	s_mov_b64 s[2:3], -1
                                        ; implicit-def: $vgpr1
.LBB241_695:
	s_and_b64 vcc, exec, s[2:3]
	s_cbranch_vccz .LBB241_697
; %bb.696:
	global_load_ubyte v1, v[2:3], off
	s_mov_b32 s2, 0x7f800000
	s_waitcnt vmcnt(0)
	v_lshlrev_b32_e32 v1, 24, v1
	v_and_b32_e32 v4, 0x7f000000, v1
	v_ffbh_u32_e32 v5, v4
	v_min_u32_e32 v5, 32, v5
	v_sub_u32_e64 v5, v5, 4 clamp
	v_lshlrev_b32_e32 v7, v5, v4
	v_lshlrev_b32_e32 v5, 23, v5
	v_lshrrev_b32_e32 v7, 4, v7
	v_add_u32_e32 v6, 0x1000000, v4
	v_sub_u32_e32 v5, v7, v5
	v_ashrrev_i32_e32 v6, 8, v6
	v_add_u32_e32 v5, 0x3c000000, v5
	v_and_or_b32 v5, v6, s2, v5
	v_cmp_ne_u32_e32 vcc, 0, v4
	s_brev_b32 s2, 1
	s_nop 0
	v_cndmask_b32_e32 v4, 0, v5, vcc
	v_and_or_b32 v1, v1, s2, v4
	v_cvt_f16_f32_e32 v1, v1
.LBB241_697:
	s_mov_b64 s[2:3], 0
.LBB241_698:
	s_andn2_b64 vcc, exec, s[2:3]
	s_cbranch_vccnz .LBB241_700
; %bb.699:
	global_load_ubyte v1, v[2:3], off
	s_movk_i32 s2, 0x7f00
	s_brev_b32 s3, 16
	s_waitcnt vmcnt(0)
	v_lshlrev_b16_e32 v4, 8, v1
	v_lshlrev_b32_e32 v1, 25, v1
	v_lshrrev_b32_e32 v5, 4, v1
	v_and_or_b32 v6, v4, s2, 0.5
	v_or_b32_e32 v5, 0x70000000, v5
	v_add_f32_e32 v6, -0.5, v6
	v_mul_f32_e32 v5, 0x7800000, v5
	v_cmp_gt_u32_e32 vcc, s3, v1
	v_bfe_i32 v4, v4, 0, 16
	s_brev_b32 s2, 1
	v_cndmask_b32_e32 v1, v5, v6, vcc
	v_and_or_b32 v1, v4, s2, v1
	v_cvt_f16_f32_e32 v1, v1
.LBB241_700:
	s_mov_b64 s[4:5], 0
	s_mov_b64 s[2:3], -1
.LBB241_701:
	s_andn2_b64 vcc, exec, s[4:5]
	s_cbranch_vccnz .LBB241_714
; %bb.702:
	s_cmp_gt_i32 s10, 14
	s_cbranch_scc0 .LBB241_705
; %bb.703:
	s_cmp_eq_u32 s10, 15
	s_cbranch_scc0 .LBB241_708
; %bb.704:
	global_load_ushort v1, v[2:3], off
	s_mov_b64 s[2:3], -1
	s_mov_b64 s[6:7], 0
	s_waitcnt vmcnt(0)
	v_lshlrev_b32_e32 v1, 16, v1
	v_cvt_f16_f32_e32 v1, v1
	s_branch .LBB241_709
.LBB241_705:
	s_mov_b64 s[4:5], -1
                                        ; implicit-def: $vgpr1
	s_branch .LBB241_710
.LBB241_706:
	s_or_saveexec_b64 s[4:5], s[4:5]
	v_mov_b32_e32 v1, 0x7e00
	s_xor_b64 exec, exec, s[4:5]
	s_cbranch_execz .LBB241_687
.LBB241_707:
	v_cmp_ne_u16_e32 vcc, 0, v4
	s_andn2_b64 s[2:3], s[2:3], exec
	s_and_b64 s[8:9], vcc, exec
	s_or_b64 s[2:3], s[2:3], s[8:9]
	v_mov_b32_e32 v1, v4
	s_or_b64 exec, exec, s[4:5]
	s_and_saveexec_b64 s[4:5], s[2:3]
	s_cbranch_execnz .LBB241_688
	s_branch .LBB241_689
.LBB241_708:
	s_mov_b64 s[6:7], -1
                                        ; implicit-def: $vgpr1
.LBB241_709:
	s_mov_b64 s[4:5], 0
.LBB241_710:
	s_and_b64 vcc, exec, s[4:5]
	s_cbranch_vccz .LBB241_714
; %bb.711:
	s_cmp_eq_u32 s10, 11
	s_cbranch_scc0 .LBB241_713
; %bb.712:
	global_load_ubyte v1, v[2:3], off
	v_mov_b32_e32 v4, 0x3c00
	s_mov_b64 s[2:3], -1
	s_mov_b64 s[6:7], 0
	s_waitcnt vmcnt(0)
	v_cmp_ne_u16_e32 vcc, 0, v1
	s_nop 1
	v_cndmask_b32_e32 v1, 0, v4, vcc
	s_branch .LBB241_714
.LBB241_713:
	s_mov_b64 s[6:7], -1
                                        ; implicit-def: $vgpr1
.LBB241_714:
	v_mov_b32_e32 v4, 0
.LBB241_715:
	s_mov_b64 s[4:5], 0
.LBB241_716:
	s_and_b64 vcc, exec, s[4:5]
	s_cbranch_vccz .LBB241_767
; %bb.717:
	s_cmp_lt_i32 s10, 5
	s_cbranch_scc1 .LBB241_722
; %bb.718:
	s_cmp_lt_i32 s10, 8
	s_cbranch_scc1 .LBB241_723
	;; [unrolled: 3-line block ×3, first 2 shown]
; %bb.720:
	s_cmp_gt_i32 s10, 9
	s_cbranch_scc0 .LBB241_725
; %bb.721:
	global_load_dwordx4 v[4:7], v[2:3], off
	s_movk_i32 s2, 0x1ff
	s_movk_i32 s3, 0xffe
	s_waitcnt vmcnt(1)
	v_mov_b32_e32 v1, 0x7c00
	v_mov_b32_e32 v9, 0x7e00
	s_movk_i32 s4, 0x40f
	s_mov_b32 s5, 0x8000
	s_waitcnt vmcnt(0)
	v_and_or_b32 v4, v5, s2, v4
	v_and_or_b32 v6, v7, s2, v6
	v_cmp_ne_u32_e32 vcc, 0, v4
	v_lshrrev_b32_e32 v10, 8, v5
	v_bfe_u32 v11, v5, 20, 11
	v_cndmask_b32_e64 v4, 0, 1, vcc
	v_cmp_ne_u32_e32 vcc, 0, v6
	v_lshrrev_b32_e32 v12, 8, v7
	v_bfe_u32 v13, v7, 20, 11
	v_cndmask_b32_e64 v6, 0, 1, vcc
	v_and_or_b32 v4, v10, s3, v4
	v_sub_u32_e32 v14, 0x3f1, v11
	v_add_u32_e32 v11, 0xfffffc10, v11
	v_sub_u32_e32 v15, 0x3f1, v13
	v_and_or_b32 v6, v12, s3, v6
	v_cmp_ne_u32_e32 vcc, 0, v4
	v_add_u32_e32 v13, 0xfffffc10, v13
	v_med3_i32 v10, v14, 0, 13
	v_med3_i32 v12, v15, 0, 13
	v_or_b32_e32 v14, 0x1000, v4
	v_lshl_or_b32 v15, v11, 12, v4
	v_cndmask_b32_e32 v4, v1, v9, vcc
	v_cmp_ne_u32_e32 vcc, 0, v6
	v_or_b32_e32 v16, 0x1000, v6
	v_lshl_or_b32 v17, v13, 12, v6
	v_cndmask_b32_e32 v6, v1, v9, vcc
	v_lshrrev_b32_e32 v9, v10, v14
	v_lshrrev_b32_e32 v18, v12, v16
	v_lshlrev_b32_e32 v10, v10, v9
	v_lshlrev_b32_e32 v12, v12, v18
	v_cmp_ne_u32_e32 vcc, v10, v14
	v_lshrrev_b32_e32 v5, 16, v5
	v_lshrrev_b32_e32 v7, 16, v7
	v_cndmask_b32_e64 v10, 0, 1, vcc
	v_cmp_ne_u32_e32 vcc, v12, v16
	v_or_b32_e32 v9, v9, v10
	s_mov_b64 s[2:3], 0
	v_cndmask_b32_e64 v12, 0, 1, vcc
	v_cmp_gt_i32_e32 vcc, 1, v11
	v_or_b32_e32 v10, v18, v12
	s_nop 0
	v_cndmask_b32_e32 v9, v15, v9, vcc
	v_cmp_gt_i32_e32 vcc, 1, v13
	v_and_b32_e32 v12, 7, v9
	v_lshrrev_b32_e32 v9, 2, v9
	v_cndmask_b32_e32 v10, v17, v10, vcc
	v_cmp_lt_i32_e32 vcc, 5, v12
	v_and_b32_e32 v14, 7, v10
	v_lshrrev_b32_e32 v10, 2, v10
	v_cndmask_b32_e64 v15, 0, 1, vcc
	v_cmp_eq_u32_e32 vcc, 3, v12
	s_nop 1
	v_cndmask_b32_e64 v12, 0, 1, vcc
	v_cmp_lt_i32_e32 vcc, 5, v14
	v_or_b32_e32 v12, v12, v15
	v_add_u32_e32 v9, v9, v12
	v_cndmask_b32_e64 v16, 0, 1, vcc
	v_cmp_eq_u32_e32 vcc, 3, v14
	s_nop 1
	v_cndmask_b32_e64 v14, 0, 1, vcc
	v_or_b32_e32 v14, v14, v16
	v_cmp_gt_i32_e32 vcc, 31, v11
	v_add_u32_e32 v10, v10, v14
	s_nop 0
	v_cndmask_b32_e32 v9, v1, v9, vcc
	v_cmp_gt_i32_e32 vcc, 31, v13
	s_nop 1
	v_cndmask_b32_e32 v1, v1, v10, vcc
	v_cmp_eq_u32_e32 vcc, s4, v11
	s_nop 1
	v_cndmask_b32_e32 v4, v9, v4, vcc
	v_cmp_eq_u32_e32 vcc, s4, v13
	s_nop 1
	v_cndmask_b32_e32 v6, v1, v6, vcc
	v_and_or_b32 v1, v5, s5, v4
	v_and_or_b32 v4, v7, s5, v6
	s_branch .LBB241_726
.LBB241_722:
	s_mov_b64 s[2:3], -1
                                        ; implicit-def: $vgpr4
                                        ; implicit-def: $vgpr1
	s_branch .LBB241_745
.LBB241_723:
	s_mov_b64 s[2:3], -1
                                        ; implicit-def: $vgpr4
                                        ; implicit-def: $vgpr1
	s_branch .LBB241_732
.LBB241_724:
	s_mov_b64 s[2:3], -1
                                        ; implicit-def: $vgpr4
                                        ; implicit-def: $vgpr1
	s_branch .LBB241_729
.LBB241_725:
	s_mov_b64 s[2:3], -1
                                        ; implicit-def: $vgpr4
                                        ; implicit-def: $vgpr1
.LBB241_726:
	s_andn2_b64 vcc, exec, s[2:3]
	s_cbranch_vccnz .LBB241_728
; %bb.727:
	global_load_dwordx2 v[4:5], v[2:3], off
	s_waitcnt vmcnt(0)
	v_cvt_f16_f32_e32 v1, v4
	v_cvt_f16_f32_e32 v4, v5
.LBB241_728:
	s_mov_b64 s[2:3], 0
.LBB241_729:
	s_andn2_b64 vcc, exec, s[2:3]
	s_cbranch_vccnz .LBB241_731
; %bb.730:
	global_load_dword v1, v[2:3], off
	s_waitcnt vmcnt(0)
	v_lshrrev_b32_e32 v4, 16, v1
.LBB241_731:
	s_mov_b64 s[2:3], 0
.LBB241_732:
	s_andn2_b64 vcc, exec, s[2:3]
	s_cbranch_vccnz .LBB241_744
; %bb.733:
	s_cmp_lt_i32 s10, 6
	s_cbranch_scc1 .LBB241_736
; %bb.734:
	s_cmp_gt_i32 s10, 6
	s_cbranch_scc0 .LBB241_737
; %bb.735:
	global_load_dwordx2 v[4:5], v[2:3], off
	s_movk_i32 s2, 0x1ff
	s_movk_i32 s3, 0xffe
	s_waitcnt vmcnt(1)
	v_mov_b32_e32 v1, 0x7c00
	v_mov_b32_e32 v6, 0x7e00
	s_movk_i32 s4, 0x40f
	s_mov_b32 s5, 0x8000
	s_waitcnt vmcnt(0)
	v_and_or_b32 v4, v5, s2, v4
	v_cmp_ne_u32_e32 vcc, 0, v4
	v_lshrrev_b32_e32 v7, 8, v5
	v_bfe_u32 v9, v5, 20, 11
	v_cndmask_b32_e64 v4, 0, 1, vcc
	v_sub_u32_e32 v10, 0x3f1, v9
	v_and_or_b32 v4, v7, s3, v4
	v_add_u32_e32 v9, 0xfffffc10, v9
	v_med3_i32 v7, v10, 0, 13
	v_or_b32_e32 v10, 0x1000, v4
	v_cmp_ne_u32_e32 vcc, 0, v4
	v_lshl_or_b32 v11, v9, 12, v4
	v_lshrrev_b32_e32 v5, 16, v5
	v_cndmask_b32_e32 v4, v1, v6, vcc
	v_lshrrev_b32_e32 v6, v7, v10
	v_lshlrev_b32_e32 v7, v7, v6
	v_cmp_ne_u32_e32 vcc, v7, v10
	s_mov_b64 s[2:3], 0
	s_nop 0
	v_cndmask_b32_e64 v7, 0, 1, vcc
	v_or_b32_e32 v6, v6, v7
	v_cmp_gt_i32_e32 vcc, 1, v9
	s_nop 1
	v_cndmask_b32_e32 v6, v11, v6, vcc
	v_and_b32_e32 v7, 7, v6
	v_cmp_lt_i32_e32 vcc, 5, v7
	v_lshrrev_b32_e32 v6, 2, v6
	s_nop 0
	v_cndmask_b32_e64 v10, 0, 1, vcc
	v_cmp_eq_u32_e32 vcc, 3, v7
	s_nop 1
	v_cndmask_b32_e64 v7, 0, 1, vcc
	v_or_b32_e32 v7, v7, v10
	v_add_u32_e32 v6, v6, v7
	v_cmp_gt_i32_e32 vcc, 31, v9
	s_nop 1
	v_cndmask_b32_e32 v1, v1, v6, vcc
	v_cmp_eq_u32_e32 vcc, s4, v9
	s_nop 1
	v_cndmask_b32_e32 v1, v1, v4, vcc
	v_and_or_b32 v1, v5, s5, v1
	s_branch .LBB241_738
.LBB241_736:
	s_mov_b64 s[2:3], -1
                                        ; implicit-def: $vgpr1
	s_branch .LBB241_741
.LBB241_737:
	s_mov_b64 s[2:3], -1
                                        ; implicit-def: $vgpr1
.LBB241_738:
	s_andn2_b64 vcc, exec, s[2:3]
	s_cbranch_vccnz .LBB241_740
; %bb.739:
	global_load_dword v1, v[2:3], off
	s_waitcnt vmcnt(0)
	v_cvt_f16_f32_e32 v1, v1
.LBB241_740:
	s_mov_b64 s[2:3], 0
.LBB241_741:
	s_andn2_b64 vcc, exec, s[2:3]
	s_cbranch_vccnz .LBB241_743
; %bb.742:
	global_load_ushort v1, v[2:3], off
.LBB241_743:
	v_mov_b32_e32 v4, 0
.LBB241_744:
	s_mov_b64 s[2:3], 0
.LBB241_745:
	s_andn2_b64 vcc, exec, s[2:3]
	s_cbranch_vccnz .LBB241_766
; %bb.746:
	s_cmp_lt_i32 s10, 2
	s_cbranch_scc1 .LBB241_750
; %bb.747:
	s_cmp_lt_i32 s10, 3
	s_cbranch_scc1 .LBB241_751
; %bb.748:
	s_cmp_gt_i32 s10, 3
	s_cbranch_scc0 .LBB241_752
; %bb.749:
	global_load_dwordx2 v[4:5], v[2:3], off
	s_mov_b64 s[2:3], 0
	s_waitcnt vmcnt(0)
	v_xor_b32_e32 v6, v4, v5
	v_ffbh_i32_e32 v1, v5
	v_ashrrev_i32_e32 v6, 31, v6
	v_add_u32_e32 v1, -1, v1
	v_add_u32_e32 v6, 32, v6
	v_min_u32_e32 v1, v1, v6
	v_lshlrev_b64 v[4:5], v1, v[4:5]
	v_min_u32_e32 v4, 1, v4
	v_or_b32_e32 v4, v5, v4
	v_cvt_f32_i32_e32 v4, v4
	v_sub_u32_e32 v1, 32, v1
	v_ldexp_f32 v1, v4, v1
	v_cvt_f16_f32_e32 v1, v1
	s_branch .LBB241_753
.LBB241_750:
	s_mov_b64 s[2:3], -1
                                        ; implicit-def: $vgpr1
	s_branch .LBB241_759
.LBB241_751:
	s_mov_b64 s[2:3], -1
                                        ; implicit-def: $vgpr1
	s_branch .LBB241_756
.LBB241_752:
	s_mov_b64 s[2:3], -1
                                        ; implicit-def: $vgpr1
.LBB241_753:
	s_andn2_b64 vcc, exec, s[2:3]
	s_cbranch_vccnz .LBB241_755
; %bb.754:
	global_load_dword v1, v[2:3], off
	s_waitcnt vmcnt(0)
	v_cvt_f32_i32_e32 v1, v1
	v_cvt_f16_f32_e32 v1, v1
.LBB241_755:
	s_mov_b64 s[2:3], 0
.LBB241_756:
	s_andn2_b64 vcc, exec, s[2:3]
	s_cbranch_vccnz .LBB241_758
; %bb.757:
	global_load_ushort v1, v[2:3], off
	s_waitcnt vmcnt(0)
	v_cvt_f16_i16_e32 v1, v1
.LBB241_758:
	s_mov_b64 s[2:3], 0
.LBB241_759:
	s_andn2_b64 vcc, exec, s[2:3]
	s_cbranch_vccnz .LBB241_765
; %bb.760:
	s_cmp_gt_i32 s10, 0
	s_cbranch_scc0 .LBB241_762
; %bb.761:
	global_load_sbyte v1, v[2:3], off
	s_mov_b64 s[2:3], 0
	s_waitcnt vmcnt(0)
	v_cvt_f16_i16_e32 v1, v1
	s_branch .LBB241_763
.LBB241_762:
	s_mov_b64 s[2:3], -1
                                        ; implicit-def: $vgpr1
.LBB241_763:
	s_andn2_b64 vcc, exec, s[2:3]
	s_cbranch_vccnz .LBB241_765
; %bb.764:
	global_load_ubyte v1, v[2:3], off
	s_waitcnt vmcnt(0)
	v_cvt_f16_u16_e32 v1, v1
.LBB241_765:
	v_mov_b32_e32 v4, 0
.LBB241_766:
	s_mov_b64 s[2:3], -1
.LBB241_767:
	s_andn2_b64 vcc, exec, s[2:3]
	s_cbranch_vccnz .LBB241_780
; %bb.768:
	v_cvt_f32_f16_e32 v2, v4
	s_waitcnt vmcnt(0)
	v_cmp_neq_f16_e32 vcc, 0, v1
	v_cmp_neq_f16_e64 s[2:3], 0, v4
	s_or_b64 s[2:3], vcc, s[2:3]
	v_mov_b32_e32 v4, 0
	s_and_saveexec_b64 s[8:9], s[2:3]
	s_cbranch_execz .LBB241_799
; %bb.769:
	v_mov_b32_e32 v4, 0x7f800000
	v_cmp_neq_f32_e64 s[2:3], |v2|, v4
	s_and_saveexec_b64 s[10:11], s[2:3]
	s_cbranch_execz .LBB241_798
; %bb.770:
	v_cvt_f32_f16_e32 v3, v1
	v_cmp_o_f16_e32 vcc, v1, v1
                                        ; implicit-def: $vgpr4
	s_and_saveexec_b64 s[2:3], vcc
	s_xor_b64 s[12:13], exec, s[2:3]
	s_cbranch_execz .LBB241_795
; %bb.771:
	s_mov_b32 s2, 0x7f800000
	v_cmp_neq_f32_e64 s[2:3], |v3|, s2
                                        ; implicit-def: $vgpr4
	s_and_saveexec_b64 s[4:5], s[2:3]
	s_xor_b64 s[14:15], exec, s[4:5]
	s_cbranch_execz .LBB241_788
; %bb.772:
	v_max_f32_e64 v1, |v2|, |v2|
	v_max_f32_e64 v4, |v3|, |v3|
	v_max_f32_e32 v1, v4, v1
	s_mov_b32 s2, 0x7ed413cb
	v_cmp_nle_f32_e64 s[2:3], s2, v1
                                        ; implicit-def: $sgpr16_sgpr17
	s_and_saveexec_b64 s[4:5], s[2:3]
	s_xor_b64 s[4:5], exec, s[4:5]
	s_cbranch_execz .LBB241_776
; %bb.773:
	s_mov_b32 s18, 0x1000000
	v_cmp_le_f32_e64 s[16:17], |v3|, s18
	v_cmp_le_f32_e64 s[18:19], |v2|, s18
	s_and_b64 s[36:37], s[16:17], s[18:19]
	s_mov_b64 s[16:17], 0
	s_and_saveexec_b64 s[18:19], s[36:37]
; %bb.774:
	s_mov_b64 s[16:17], exec
	v_mul_f32_e32 v3, 4.0, v3
	v_mul_f32_e32 v2, 4.0, v2
; %bb.775:
	s_or_b64 exec, exec, s[18:19]
.LBB241_776:
	s_andn2_saveexec_b64 s[4:5], s[4:5]
; %bb.777:
	v_mul_f32_e32 v3, 0x3e800000, v3
	v_mul_f32_e32 v2, 0x3e800000, v2
	s_andn2_b64 s[16:17], s[16:17], exec
; %bb.778:
	s_or_b64 exec, exec, s[4:5]
	v_max_f32_e64 v1, |v2|, |v2|
	v_max_f32_e64 v4, |v3|, |v3|
	v_max_f32_e32 v1, v4, v1
	v_cvt_f64_f32_e32 v[4:5], v1
	v_frexp_exp_i32_f64_e32 v4, v[4:5]
	v_sub_u32_e32 v5, 0, v4
	v_ldexp_f32 v6, |v3|, v5
	v_ldexp_f32 v5, |v2|, v5
	v_mul_f32_e32 v5, v5, v5
	v_fmac_f32_e32 v5, v6, v6
	v_sqrt_f32_e32 v5, v5
	s_mov_b32 s4, 0x7f800000
	v_cmp_neq_f32_e64 s[4:5], s4, v1
	v_cmp_le_f32_e32 vcc, 0, v3
	v_ldexp_f32 v4, v5, v4
	v_mov_b32_e32 v5, 0x7f800000
	v_cndmask_b32_e64 v4, v5, v4, s[4:5]
                                        ; implicit-def: $vgpr5
                                        ; implicit-def: $vgpr1
	s_and_saveexec_b64 s[4:5], vcc
	s_xor_b64 s[18:19], exec, s[4:5]
	s_cbranch_execz .LBB241_781
; %bb.779:
	v_add_f32_e32 v1, v3, v4
	v_mul_f32_e32 v1, 0.5, v1
	s_mov_b32 s4, 0xf800000
	v_mul_f32_e32 v3, 0x4f800000, v1
	v_cmp_gt_f32_e32 vcc, s4, v1
	s_nop 1
	v_cndmask_b32_e32 v1, v1, v3, vcc
	v_sqrt_f32_e32 v3, v1
	s_nop 0
	v_add_u32_e32 v4, -1, v3
	v_fma_f32 v5, -v4, v3, v1
	v_cmp_ge_f32_e64 s[4:5], 0, v5
	v_add_u32_e32 v5, 1, v3
	s_nop 0
	v_cndmask_b32_e64 v4, v3, v4, s[4:5]
	v_fma_f32 v3, -v5, v3, v1
	v_cmp_lt_f32_e64 s[4:5], 0, v3
	s_nop 1
	v_cndmask_b32_e64 v3, v4, v5, s[4:5]
	v_mul_f32_e32 v4, 0x37800000, v3
	v_cndmask_b32_e32 v3, v3, v4, vcc
	v_mov_b32_e32 v4, 0x260
	v_cmp_class_f32_e32 vcc, v1, v4
	s_nop 1
	v_cndmask_b32_e32 v1, v3, v1, vcc
	v_add_f32_e32 v3, v1, v1
	v_div_scale_f32 v4, s[4:5], v3, v3, v2
	v_rcp_f32_e32 v5, v4
	s_nop 0
	v_fma_f32 v6, -v4, v5, 1.0
	v_fmac_f32_e32 v5, v6, v5
	v_div_scale_f32 v6, vcc, v2, v3, v2
	v_mul_f32_e32 v7, v6, v5
	v_fma_f32 v9, -v4, v7, v6
	v_fmac_f32_e32 v7, v9, v5
	v_fma_f32 v4, -v4, v7, v6
	v_div_fmas_f32 v4, v4, v5, v7
	v_div_fixup_f32 v5, v4, v3, v2
                                        ; implicit-def: $vgpr4
                                        ; implicit-def: $vgpr3
                                        ; implicit-def: $vgpr2
	s_andn2_saveexec_b64 s[18:19], s[18:19]
	s_cbranch_execz .LBB241_783
	s_branch .LBB241_782
.LBB241_780:
	s_mov_b64 s[4:5], 0
	s_mov_b64 s[2:3], s[62:63]
	s_branch .LBB241_922
.LBB241_781:
	s_andn2_saveexec_b64 s[18:19], s[18:19]
	s_cbranch_execz .LBB241_783
.LBB241_782:
	v_sub_f32_e32 v1, v4, v3
	v_mul_f32_e32 v1, 0.5, v1
	s_mov_b32 s4, 0xf800000
	v_mul_f32_e32 v3, 0x4f800000, v1
	v_cmp_gt_f32_e32 vcc, s4, v1
	s_nop 1
	v_cndmask_b32_e32 v1, v1, v3, vcc
	v_sqrt_f32_e32 v3, v1
	s_nop 0
	v_add_u32_e32 v4, -1, v3
	v_fma_f32 v5, -v4, v3, v1
	v_cmp_ge_f32_e64 s[4:5], 0, v5
	v_add_u32_e32 v5, 1, v3
	s_nop 0
	v_cndmask_b32_e64 v4, v3, v4, s[4:5]
	v_fma_f32 v3, -v5, v3, v1
	v_cmp_lt_f32_e64 s[4:5], 0, v3
	s_nop 1
	v_cndmask_b32_e64 v3, v4, v5, s[4:5]
	v_mul_f32_e32 v4, 0x37800000, v3
	v_cndmask_b32_e32 v3, v3, v4, vcc
	v_mov_b32_e32 v4, 0x260
	v_cmp_class_f32_e32 vcc, v1, v4
	v_and_b32_e32 v4, 0x7fffffff, v2
	s_nop 0
	v_cndmask_b32_e32 v3, v3, v1, vcc
	v_add_f32_e32 v1, v3, v3
	v_div_scale_f32 v5, s[4:5], v1, v1, v4
	v_rcp_f32_e32 v6, v5
	v_div_scale_f32 v4, vcc, v4, v1, v4
	s_brev_b32 s4, -2
	v_fma_f32 v7, -v5, v6, 1.0
	v_fmac_f32_e32 v6, v7, v6
	v_mul_f32_e32 v7, v4, v6
	v_fma_f32 v9, -v5, v7, v4
	v_fmac_f32_e32 v7, v9, v6
	v_fma_f32 v4, -v5, v7, v4
	v_div_fmas_f32 v4, v4, v6, v7
	v_div_fixup_f32 v1, v4, v1, |v2|
	v_bfi_b32 v5, s4, v3, v2
.LBB241_783:
	s_or_b64 exec, exec, s[18:19]
                                        ; implicit-def: $vgpr2
                                        ; implicit-def: $vgpr4
	s_and_saveexec_b64 s[4:5], s[2:3]
	s_xor_b64 s[2:3], exec, s[4:5]
	s_cbranch_execz .LBB241_785
; %bb.784:
	v_mul_f32_e32 v2, 0.5, v1
	v_mul_f32_e32 v3, 0.5, v5
	v_cndmask_b32_e64 v4, v1, v2, s[16:17]
	v_cndmask_b32_e64 v2, v5, v3, s[16:17]
                                        ; implicit-def: $vgpr1
                                        ; implicit-def: $vgpr5
	s_andn2_saveexec_b64 s[2:3], s[2:3]
	s_cbranch_execnz .LBB241_786
	s_branch .LBB241_787
.LBB241_785:
	s_andn2_saveexec_b64 s[2:3], s[2:3]
.LBB241_786:
	v_add_f32_e32 v4, v1, v1
	v_add_f32_e32 v2, v5, v5
.LBB241_787:
	s_or_b64 exec, exec, s[2:3]
                                        ; implicit-def: $vgpr3
                                        ; implicit-def: $vgpr1
.LBB241_788:
	s_andn2_saveexec_b64 s[2:3], s[14:15]
	s_cbranch_execz .LBB241_794
; %bb.789:
	v_cmp_lt_i16_e32 vcc, -1, v1
	v_sub_f32_e32 v1, v2, v2
	s_brev_b32 s14, -2
	v_and_b32_e32 v4, 0x7fffffff, v1
	s_and_saveexec_b64 s[4:5], vcc
	s_xor_b64 s[4:5], exec, s[4:5]
; %bb.790:
	v_bfi_b32 v2, s14, v1, v2
	v_mov_b32_e32 v4, v3
; %bb.791:
	s_andn2_saveexec_b64 s[4:5], s[4:5]
; %bb.792:
	v_bfi_b32 v2, s14, v3, v2
; %bb.793:
	s_or_b64 exec, exec, s[4:5]
.LBB241_794:
	s_or_b64 exec, exec, s[2:3]
                                        ; implicit-def: $vgpr3
.LBB241_795:
	s_andn2_saveexec_b64 s[2:3], s[12:13]
	s_cbranch_execz .LBB241_797
; %bb.796:
	v_sub_f32_e32 v1, v2, v2
	v_div_scale_f32 v2, vcc, v1, v1, v1
	v_rcp_f32_e32 v4, v2
	s_nop 0
	v_fma_f32 v5, -v2, v4, 1.0
	v_fmac_f32_e32 v4, v5, v4
	v_mul_f32_e32 v5, v2, v4
	v_fma_f32 v6, -v2, v5, v2
	v_fmac_f32_e32 v5, v6, v4
	v_fma_f32 v2, -v2, v5, v2
	v_div_fmas_f32 v2, v2, v4, v5
	v_div_fixup_f32 v2, v2, v1, v1
	v_mov_b32_e32 v4, v3
.LBB241_797:
	s_or_b64 exec, exec, s[2:3]
.LBB241_798:
	s_or_b64 exec, exec, s[10:11]
.LBB241_799:
	s_or_b64 exec, exec, s[8:9]
	v_cvt_f16_f32_e32 v2, v2
	v_cvt_f16_f32_e32 v4, v4
	v_mov_b32_e32 v1, 0
	s_and_b32 s12, s73, 0xff
	v_lshlrev_b32_e32 v3, 16, v2
	v_or_b32_e32 v5, v3, v4
	s_cmp_lt_i32 s12, 11
	v_lshl_add_u64 v[0:1], s[20:21], 0, v[0:1]
	s_cbranch_scc1 .LBB241_806
; %bb.800:
	s_and_b32 s13, 0xffff, s12
	s_cmp_gt_i32 s13, 25
	s_cbranch_scc0 .LBB241_807
; %bb.801:
	s_cmp_gt_i32 s13, 28
	s_cbranch_scc0 .LBB241_808
; %bb.802:
	;; [unrolled: 3-line block ×4, first 2 shown]
	s_mov_b64 s[8:9], 0
	s_mov_b64 s[2:3], -1
	s_cmp_eq_u32 s13, 46
	s_mov_b64 s[4:5], 0
	s_cbranch_scc0 .LBB241_811
; %bb.805:
	v_cvt_f32_f16_e32 v6, v2
	v_cvt_f32_f16_e32 v3, v4
	s_movk_i32 s2, 0x7fff
	v_cmp_o_f16_e32 vcc, v2, v2
	v_bfe_u32 v9, v6, 16, 1
	v_bfe_u32 v7, v3, 16, 1
	v_add3_u32 v6, v6, v9, s2
	v_add3_u32 v3, v3, v7, s2
	v_and_b32_e32 v6, 0xffff0000, v6
	v_mov_b32_e32 v7, 0x7fc00000
	v_cndmask_b32_e32 v6, v7, v6, vcc
	v_cmp_o_f16_e32 vcc, v4, v4
	v_mov_b32_e32 v7, 0x7fc0
	s_mov_b64 s[4:5], -1
	v_cndmask_b32_sdwa v3, v7, v3, vcc dst_sel:DWORD dst_unused:UNUSED_PAD src0_sel:DWORD src1_sel:WORD_1
	v_or_b32_e32 v3, v6, v3
	global_store_dword v[0:1], v3, off
	s_mov_b64 s[2:3], 0
	s_branch .LBB241_811
.LBB241_806:
	s_mov_b64 s[8:9], -1
	s_mov_b64 s[4:5], 0
	s_mov_b64 s[2:3], s[62:63]
	s_branch .LBB241_880
.LBB241_807:
	s_mov_b64 s[8:9], -1
	s_mov_b64 s[4:5], 0
	s_mov_b64 s[2:3], s[62:63]
	s_branch .LBB241_838
.LBB241_808:
	s_mov_b64 s[8:9], -1
	s_mov_b64 s[4:5], 0
	s_mov_b64 s[2:3], s[62:63]
	s_branch .LBB241_821
.LBB241_809:
	s_mov_b64 s[8:9], -1
	s_mov_b64 s[4:5], 0
	s_mov_b64 s[2:3], s[62:63]
	s_branch .LBB241_817
.LBB241_810:
	s_mov_b64 s[8:9], -1
	s_mov_b64 s[4:5], 0
	s_mov_b64 s[2:3], s[62:63]
.LBB241_811:
	s_and_b64 vcc, exec, s[8:9]
	s_cbranch_vccz .LBB241_816
; %bb.812:
	s_cmp_eq_u32 s13, 44
	s_mov_b64 s[2:3], -1
	s_cbranch_scc0 .LBB241_816
; %bb.813:
	v_cvt_f32_f16_e32 v3, v4
	s_movk_i32 s2, 0xff
	v_mov_b32_e32 v7, 0xff
	v_bfe_u32 v6, v3, 23, 8
	v_cmp_ne_u32_e32 vcc, s2, v6
	s_and_saveexec_b64 s[4:5], vcc
; %bb.814:
	s_mov_b32 s2, 0x3fffff
	v_lshrrev_b32_e32 v7, 23, v3
	v_and_b32_e32 v9, 0x400000, v3
	v_and_or_b32 v3, v3, s2, v6
	v_cmp_ne_u32_e32 vcc, 0, v9
	v_cmp_ne_u32_e64 s[2:3], 0, v3
	s_and_b64 s[2:3], vcc, s[2:3]
	s_nop 0
	v_cndmask_b32_e64 v3, 0, 1, s[2:3]
	v_add_u32_e32 v7, v7, v3
; %bb.815:
	s_or_b64 exec, exec, s[4:5]
	s_mov_b64 s[4:5], -1
	s_mov_b64 s[2:3], 0
	global_store_byte v[0:1], v7, off
.LBB241_816:
	s_mov_b64 s[8:9], 0
.LBB241_817:
	s_and_b64 vcc, exec, s[8:9]
	s_cbranch_vccz .LBB241_820
; %bb.818:
	s_cmp_eq_u32 s13, 29
	s_mov_b64 s[2:3], -1
	s_cbranch_scc0 .LBB241_820
; %bb.819:
	v_cvt_f32_f16_e32 v3, v4
	v_mov_b32_e32 v7, 0
	s_mov_b64 s[4:5], -1
	s_mov_b64 s[2:3], 0
	v_cvt_u32_f32_e32 v6, v3
	s_mov_b64 s[8:9], 0
	global_store_dwordx2 v[0:1], v[6:7], off
	s_branch .LBB241_821
.LBB241_820:
	s_mov_b64 s[8:9], 0
.LBB241_821:
	s_and_b64 vcc, exec, s[8:9]
	s_cbranch_vccz .LBB241_837
; %bb.822:
	s_cmp_lt_i32 s13, 27
	s_mov_b64 s[4:5], -1
	s_cbranch_scc1 .LBB241_828
; %bb.823:
	s_cmp_gt_i32 s13, 27
	s_cbranch_scc0 .LBB241_825
; %bb.824:
	v_cvt_f32_f16_e32 v3, v4
	s_mov_b64 s[4:5], 0
	v_cvt_u32_f32_e32 v3, v3
	global_store_dword v[0:1], v3, off
.LBB241_825:
	s_andn2_b64 vcc, exec, s[4:5]
	s_cbranch_vccnz .LBB241_827
; %bb.826:
	v_cvt_u16_f16_e32 v3, v4
	global_store_short v[0:1], v3, off
.LBB241_827:
	s_mov_b64 s[4:5], 0
.LBB241_828:
	s_andn2_b64 vcc, exec, s[4:5]
	s_cbranch_vccnz .LBB241_836
; %bb.829:
	v_cvt_f32_f16_e32 v3, v4
	s_mov_b32 s4, 0x43800000
	v_mov_b32_e32 v7, 0x80
	v_and_b32_e32 v6, 0x7fffffff, v3
	v_cmp_gt_u32_e32 vcc, s4, v6
	s_and_saveexec_b64 s[4:5], vcc
	s_cbranch_execz .LBB241_835
; %bb.830:
	s_mov_b32 s8, 0x3bffffff
	v_cmp_lt_u32_e32 vcc, s8, v6
	s_mov_b64 s[8:9], 0
                                        ; implicit-def: $vgpr6
	s_and_saveexec_b64 s[10:11], vcc
	s_xor_b64 s[10:11], exec, s[10:11]
	s_cbranch_execz .LBB241_953
; %bb.831:
	v_bfe_u32 v6, v3, 20, 1
	s_mov_b32 s14, 0x487ffff
	v_add3_u32 v6, v3, v6, s14
	s_mov_b64 s[8:9], exec
	v_lshrrev_b32_e32 v6, 20, v6
	s_andn2_saveexec_b64 s[10:11], s[10:11]
	s_cbranch_execnz .LBB241_954
.LBB241_832:
	s_or_b64 exec, exec, s[10:11]
	v_mov_b32_e32 v7, 0
	s_and_saveexec_b64 s[10:11], s[8:9]
.LBB241_833:
	v_lshrrev_b32_e32 v3, 24, v3
	s_movk_i32 s8, 0x80
	v_and_or_b32 v7, v3, s8, v6
.LBB241_834:
	s_or_b64 exec, exec, s[10:11]
.LBB241_835:
	s_or_b64 exec, exec, s[4:5]
	global_store_byte v[0:1], v7, off
.LBB241_836:
	s_mov_b64 s[4:5], -1
.LBB241_837:
	s_mov_b64 s[8:9], 0
.LBB241_838:
	s_and_b64 vcc, exec, s[8:9]
	s_cbranch_vccz .LBB241_879
; %bb.839:
	s_cmp_gt_i32 s13, 22
	s_mov_b64 s[8:9], -1
	s_cbranch_scc0 .LBB241_871
; %bb.840:
	s_cmp_lt_i32 s13, 24
	s_mov_b64 s[4:5], -1
	s_cbranch_scc1 .LBB241_860
; %bb.841:
	s_cmp_gt_i32 s13, 24
	s_cbranch_scc0 .LBB241_849
; %bb.842:
	v_cvt_f32_f16_e32 v3, v4
	s_mov_b32 s4, 0x47800000
	v_mov_b32_e32 v7, 0x80
	v_and_b32_e32 v6, 0x7fffffff, v3
	v_cmp_gt_u32_e32 vcc, s4, v6
	s_and_saveexec_b64 s[4:5], vcc
	s_cbranch_execz .LBB241_848
; %bb.843:
	s_mov_b32 s8, 0x37ffffff
	v_cmp_lt_u32_e32 vcc, s8, v6
	s_mov_b64 s[8:9], 0
                                        ; implicit-def: $vgpr6
	s_and_saveexec_b64 s[10:11], vcc
	s_xor_b64 s[10:11], exec, s[10:11]
	s_cbranch_execz .LBB241_956
; %bb.844:
	v_bfe_u32 v6, v3, 21, 1
	s_mov_b32 s14, 0x88fffff
	v_add3_u32 v6, v3, v6, s14
	s_mov_b64 s[8:9], exec
	v_lshrrev_b32_e32 v6, 21, v6
	s_andn2_saveexec_b64 s[10:11], s[10:11]
	s_cbranch_execnz .LBB241_957
.LBB241_845:
	s_or_b64 exec, exec, s[10:11]
	v_mov_b32_e32 v7, 0
	s_and_saveexec_b64 s[10:11], s[8:9]
.LBB241_846:
	v_lshrrev_b32_e32 v3, 24, v3
	s_movk_i32 s8, 0x80
	v_and_or_b32 v7, v3, s8, v6
.LBB241_847:
	s_or_b64 exec, exec, s[10:11]
.LBB241_848:
	s_or_b64 exec, exec, s[4:5]
	s_mov_b64 s[4:5], 0
	global_store_byte v[0:1], v7, off
.LBB241_849:
	s_and_b64 vcc, exec, s[4:5]
	s_cbranch_vccz .LBB241_859
; %bb.850:
	v_cvt_f32_f16_e32 v3, v4
	s_mov_b32 s4, 0x43f00000
                                        ; implicit-def: $vgpr6
	v_and_b32_e32 v7, 0x7fffffff, v3
	v_cmp_gt_u32_e32 vcc, s4, v7
	s_and_saveexec_b64 s[4:5], vcc
	s_xor_b64 s[4:5], exec, s[4:5]
	s_cbranch_execz .LBB241_856
; %bb.851:
	s_mov_b32 s8, 0x3c7fffff
	v_cmp_lt_u32_e32 vcc, s8, v7
                                        ; implicit-def: $vgpr6
	s_and_saveexec_b64 s[8:9], vcc
	s_xor_b64 s[8:9], exec, s[8:9]
; %bb.852:
	v_bfe_u32 v6, v3, 20, 1
	s_mov_b32 s10, 0x407ffff
	v_add3_u32 v6, v3, v6, s10
	v_lshrrev_b32_e32 v7, 20, v6
	v_and_b32_e32 v6, 0xff00000, v6
	s_mov_b32 s10, 0x7f00000
	v_mov_b32_e32 v9, 0x7e
	v_cmp_ne_u32_e32 vcc, s10, v6
	s_nop 1
	v_cndmask_b32_e32 v6, v9, v7, vcc
; %bb.853:
	s_andn2_saveexec_b64 s[8:9], s[8:9]
; %bb.854:
	s_mov_b32 s10, 0x46800000
	v_add_f32_e64 v6, |v3|, s10
; %bb.855:
	s_or_b64 exec, exec, s[8:9]
                                        ; implicit-def: $vgpr7
.LBB241_856:
	s_andn2_saveexec_b64 s[4:5], s[4:5]
; %bb.857:
	s_mov_b32 s8, 0x7f800000
	v_mov_b32_e32 v6, 0x7e
	v_mov_b32_e32 v9, 0x7f
	v_cmp_lt_u32_e32 vcc, s8, v7
	s_nop 1
	v_cndmask_b32_e32 v6, v6, v9, vcc
; %bb.858:
	s_or_b64 exec, exec, s[4:5]
	v_lshrrev_b32_e32 v3, 24, v3
	s_movk_i32 s4, 0x80
	v_and_or_b32 v3, v3, s4, v6
	global_store_byte v[0:1], v3, off
.LBB241_859:
	s_mov_b64 s[4:5], 0
.LBB241_860:
	s_andn2_b64 vcc, exec, s[4:5]
	s_cbranch_vccnz .LBB241_870
; %bb.861:
	v_cvt_f32_f16_e32 v3, v4
	s_mov_b32 s4, 0x47800000
                                        ; implicit-def: $vgpr6
	v_and_b32_e32 v7, 0x7fffffff, v3
	v_cmp_gt_u32_e32 vcc, s4, v7
	s_and_saveexec_b64 s[4:5], vcc
	s_xor_b64 s[4:5], exec, s[4:5]
	s_cbranch_execz .LBB241_867
; %bb.862:
	s_mov_b32 s8, 0x387fffff
	v_cmp_lt_u32_e32 vcc, s8, v7
                                        ; implicit-def: $vgpr6
	s_and_saveexec_b64 s[8:9], vcc
	s_xor_b64 s[8:9], exec, s[8:9]
; %bb.863:
	v_bfe_u32 v6, v3, 21, 1
	s_mov_b32 s10, 0x80fffff
	v_add3_u32 v6, v3, v6, s10
	v_lshrrev_b32_e32 v6, 21, v6
; %bb.864:
	s_andn2_saveexec_b64 s[8:9], s[8:9]
; %bb.865:
	s_mov_b32 s10, 0x43000000
	v_add_f32_e64 v6, |v3|, s10
; %bb.866:
	s_or_b64 exec, exec, s[8:9]
                                        ; implicit-def: $vgpr7
.LBB241_867:
	s_andn2_saveexec_b64 s[4:5], s[4:5]
; %bb.868:
	s_mov_b32 s8, 0x7f800000
	v_mov_b32_e32 v6, 0x7c
	v_mov_b32_e32 v9, 0x7f
	v_cmp_lt_u32_e32 vcc, s8, v7
	s_nop 1
	v_cndmask_b32_e32 v6, v6, v9, vcc
; %bb.869:
	s_or_b64 exec, exec, s[4:5]
	v_lshrrev_b32_e32 v3, 24, v3
	s_movk_i32 s4, 0x80
	v_and_or_b32 v3, v3, s4, v6
	global_store_byte v[0:1], v3, off
.LBB241_870:
	s_mov_b64 s[8:9], 0
	s_mov_b64 s[4:5], -1
.LBB241_871:
	s_andn2_b64 vcc, exec, s[8:9]
	s_cbranch_vccnz .LBB241_879
; %bb.872:
	s_cmp_gt_i32 s13, 14
	s_mov_b64 s[8:9], -1
	s_cbranch_scc0 .LBB241_876
; %bb.873:
	s_cmp_eq_u32 s13, 15
	s_mov_b64 s[2:3], -1
	s_cbranch_scc0 .LBB241_875
; %bb.874:
	v_cvt_f32_f16_e32 v3, v4
	s_movk_i32 s2, 0x7fff
	v_cmp_o_f16_e32 vcc, v4, v4
	v_mov_b32_e32 v6, 0x7fc0
	v_bfe_u32 v7, v3, 16, 1
	v_add3_u32 v3, v3, v7, s2
	v_cndmask_b32_sdwa v3, v6, v3, vcc dst_sel:DWORD dst_unused:UNUSED_PAD src0_sel:DWORD src1_sel:WORD_1
	global_store_short v[0:1], v3, off
	s_mov_b64 s[4:5], -1
	s_mov_b64 s[2:3], 0
.LBB241_875:
	s_mov_b64 s[8:9], 0
.LBB241_876:
	s_and_b64 vcc, exec, s[8:9]
	s_cbranch_vccz .LBB241_879
; %bb.877:
	s_cmp_eq_u32 s13, 11
	s_mov_b64 s[2:3], -1
	s_cbranch_scc0 .LBB241_879
; %bb.878:
	v_and_b32_e32 v3, 0x7fff7fff, v5
	v_cmp_ne_u32_e32 vcc, 0, v3
	s_mov_b64 s[4:5], -1
	s_mov_b64 s[2:3], 0
	v_cndmask_b32_e64 v3, 0, 1, vcc
	global_store_byte v[0:1], v3, off
.LBB241_879:
	s_mov_b64 s[8:9], 0
.LBB241_880:
	s_and_b64 vcc, exec, s[8:9]
	s_cbranch_vccz .LBB241_919
; %bb.881:
	s_and_b32 s8, 0xffff, s12
	s_cmp_lt_i32 s8, 5
	s_mov_b64 s[4:5], -1
	s_cbranch_scc1 .LBB241_902
; %bb.882:
	s_cmp_lt_i32 s8, 8
	s_cbranch_scc1 .LBB241_892
; %bb.883:
	s_cmp_lt_i32 s8, 9
	s_cbranch_scc1 .LBB241_889
; %bb.884:
	v_cvt_f32_f16_e32 v3, v2
	s_cmp_gt_i32 s8, 9
	s_cbranch_scc0 .LBB241_886
; %bb.885:
	v_cvt_f32_f16_e32 v2, v4
	v_cvt_f64_f32_e32 v[12:13], v3
	s_mov_b64 s[4:5], 0
	v_cvt_f64_f32_e32 v[10:11], v2
	global_store_dwordx4 v[0:1], v[10:13], off
.LBB241_886:
	s_andn2_b64 vcc, exec, s[4:5]
	s_cbranch_vccnz .LBB241_888
; %bb.887:
	v_cvt_f32_f16_e32 v2, v4
	global_store_dwordx2 v[0:1], v[2:3], off
.LBB241_888:
	s_mov_b64 s[4:5], 0
.LBB241_889:
	s_andn2_b64 vcc, exec, s[4:5]
	s_cbranch_vccnz .LBB241_891
; %bb.890:
	global_store_dword v[0:1], v5, off
.LBB241_891:
	s_mov_b64 s[4:5], 0
.LBB241_892:
	s_andn2_b64 vcc, exec, s[4:5]
	s_cbranch_vccnz .LBB241_901
; %bb.893:
	s_cmp_lt_i32 s8, 6
	s_mov_b64 s[4:5], -1
	s_cbranch_scc1 .LBB241_899
; %bb.894:
	s_cmp_gt_i32 s8, 6
	s_cbranch_scc0 .LBB241_896
; %bb.895:
	v_cvt_f32_f16_e32 v2, v4
	s_mov_b64 s[4:5], 0
	v_cvt_f64_f32_e32 v[2:3], v2
	global_store_dwordx2 v[0:1], v[2:3], off
.LBB241_896:
	s_andn2_b64 vcc, exec, s[4:5]
	s_cbranch_vccnz .LBB241_898
; %bb.897:
	v_cvt_f32_f16_e32 v2, v4
	global_store_dword v[0:1], v2, off
.LBB241_898:
	s_mov_b64 s[4:5], 0
.LBB241_899:
	s_andn2_b64 vcc, exec, s[4:5]
	s_cbranch_vccnz .LBB241_901
; %bb.900:
	global_store_short v[0:1], v4, off
.LBB241_901:
	s_mov_b64 s[4:5], 0
.LBB241_902:
	s_andn2_b64 vcc, exec, s[4:5]
	s_cbranch_vccnz .LBB241_918
; %bb.903:
	s_cmp_lt_i32 s8, 2
	s_mov_b64 s[4:5], -1
	s_cbranch_scc1 .LBB241_913
; %bb.904:
	s_cmp_lt_i32 s8, 3
	s_cbranch_scc1 .LBB241_910
; %bb.905:
	s_cmp_gt_i32 s8, 3
	s_cbranch_scc0 .LBB241_907
; %bb.906:
	v_cvt_f32_f16_e32 v2, v4
	s_mov_b64 s[4:5], 0
	v_cvt_i32_f32_e32 v2, v2
	v_ashrrev_i32_e32 v3, 31, v2
	global_store_dwordx2 v[0:1], v[2:3], off
.LBB241_907:
	s_andn2_b64 vcc, exec, s[4:5]
	s_cbranch_vccnz .LBB241_909
; %bb.908:
	v_cvt_f32_f16_e32 v2, v4
	v_cvt_i32_f32_e32 v2, v2
	global_store_dword v[0:1], v2, off
.LBB241_909:
	s_mov_b64 s[4:5], 0
.LBB241_910:
	s_andn2_b64 vcc, exec, s[4:5]
	s_cbranch_vccnz .LBB241_912
; %bb.911:
	v_cvt_i16_f16_e32 v2, v4
	global_store_short v[0:1], v2, off
.LBB241_912:
	s_mov_b64 s[4:5], 0
.LBB241_913:
	s_andn2_b64 vcc, exec, s[4:5]
	s_cbranch_vccnz .LBB241_918
; %bb.914:
	s_cmp_gt_i32 s8, 0
	s_mov_b64 s[4:5], -1
	s_cbranch_scc0 .LBB241_916
; %bb.915:
	v_cvt_i16_f16_e32 v2, v4
	s_mov_b64 s[4:5], 0
	global_store_byte v[0:1], v2, off
.LBB241_916:
	s_andn2_b64 vcc, exec, s[4:5]
	s_cbranch_vccnz .LBB241_918
; %bb.917:
	v_cvt_f32_f16_e32 v2, v4
	v_cvt_i32_f32_e32 v2, v2
	global_store_byte v[0:1], v2, off
.LBB241_918:
	s_mov_b64 s[4:5], -1
.LBB241_919:
	s_andn2_b64 vcc, exec, s[4:5]
	s_cbranch_vccnz .LBB241_921
; %bb.920:
	v_add_u32_e32 v8, 0x80, v8
	s_mov_b64 s[4:5], -1
	s_branch .LBB241_923
.LBB241_921:
	s_mov_b64 s[4:5], 0
.LBB241_922:
                                        ; implicit-def: $vgpr8
.LBB241_923:
	s_andn2_b64 s[8:9], s[62:63], exec
	s_and_b64 s[2:3], s[2:3], exec
	s_or_b64 s[68:69], s[8:9], s[2:3]
	s_andn2_b64 s[2:3], s[60:61], exec
	s_and_b64 s[6:7], s[6:7], exec
	s_or_b64 s[2:3], s[2:3], s[6:7]
	s_orn2_b64 s[6:7], s[4:5], exec
.LBB241_924:
	s_or_b64 exec, exec, s[66:67]
	s_mov_b64 s[4:5], 0
	s_mov_b64 s[10:11], 0
	;; [unrolled: 1-line block ×3, first 2 shown]
                                        ; implicit-def: $vgpr2_vgpr3
                                        ; implicit-def: $vgpr0
                                        ; implicit-def: $vgpr6
                                        ; implicit-def: $vgpr1
	s_and_saveexec_b64 s[66:67], s[6:7]
	s_cbranch_execz .LBB241_1027
; %bb.925:
	v_cmp_gt_i32_e32 vcc, s70, v8
	s_mov_b64 s[6:7], 0
	s_mov_b64 s[12:13], s[2:3]
                                        ; implicit-def: $vgpr2_vgpr3
                                        ; implicit-def: $vgpr0
                                        ; implicit-def: $vgpr6
                                        ; implicit-def: $vgpr1
	s_and_saveexec_b64 s[70:71], vcc
	s_cbranch_execz .LBB241_1026
; %bb.926:
	s_andn2_b64 vcc, exec, s[42:43]
	s_cbranch_vccnz .LBB241_932
; %bb.927:
	s_andn2_b64 vcc, exec, s[52:53]
	s_cbranch_vccnz .LBB241_933
; %bb.928:
	s_add_i32 s76, s75, 1
	s_cmp_eq_u32 s72, 2
	s_cbranch_scc1 .LBB241_934
; %bb.929:
	s_and_b32 s75, s76, 28
	s_mov_b32 s77, 0
	v_mov_b32_e32 v0, 0
	v_mov_b32_e32 v2, 0
	s_mov_b64 s[52:53], s[34:35]
	v_mov_b32_e32 v4, v8
.LBB241_930:                            ; =>This Inner Loop Header: Depth=1
	s_load_dwordx8 s[12:19], s[52:53], 0x4
	s_load_dwordx4 s[36:39], s[52:53], 0x24
	s_load_dwordx8 s[4:11], s[50:51], 0x0
	s_add_u32 s52, s52, 48
	s_addc_u32 s53, s53, 0
	s_waitcnt vmcnt(0) lgkmcnt(0)
	v_mul_hi_u32 v1, s13, v4
	v_add_u32_e32 v1, v4, v1
	v_lshrrev_b32_e32 v1, s14, v1
	v_mul_lo_u32 v3, v1, s12
	v_mul_hi_u32 v5, s16, v1
	v_sub_u32_e32 v3, v4, v3
	v_add_u32_e32 v4, v1, v5
	v_lshrrev_b32_e32 v4, s17, v4
	v_mul_lo_u32 v6, v4, s15
	v_mul_hi_u32 v7, s19, v4
	v_sub_u32_e32 v1, v1, v6
	v_add_u32_e32 v6, v4, v7
	v_mul_lo_u32 v5, v3, s5
	v_mul_lo_u32 v3, v3, s4
	;; [unrolled: 1-line block ×4, first 2 shown]
	v_lshrrev_b32_e32 v6, s36, v6
	v_add3_u32 v0, v3, v0, v1
	v_mul_hi_u32 v3, s38, v6
	v_add3_u32 v1, v5, v2, v7
	v_mul_lo_u32 v2, v6, s18
	v_add_u32_e32 v3, v6, v3
	v_sub_u32_e32 v2, v4, v2
	v_lshrrev_b32_e32 v4, s39, v3
	s_add_i32 s77, s77, 4
	v_mul_lo_u32 v3, v4, s37
	s_add_u32 s50, s50, 32
	v_sub_u32_e32 v3, v6, v3
	s_addc_u32 s51, s51, 0
	v_mul_lo_u32 v5, v2, s8
	v_mul_lo_u32 v2, v2, s9
	;; [unrolled: 1-line block ×4, first 2 shown]
	s_cmp_eq_u32 s75, s77
	v_add3_u32 v2, v2, v1, v3
	v_add3_u32 v0, v5, v0, v6
	s_cbranch_scc0 .LBB241_930
; %bb.931:
	v_mov_b32_e32 v1, v2
	s_branch .LBB241_935
.LBB241_932:
	s_mov_b64 s[4:5], -1
                                        ; implicit-def: $vgpr2
                                        ; implicit-def: $vgpr0
	s_branch .LBB241_939
.LBB241_933:
	v_mov_b32_e32 v2, 0
	v_mov_b32_e32 v0, 0
	s_branch .LBB241_938
.LBB241_934:
	v_mov_b32_e32 v0, 0
	s_mov_b32 s75, 0
	s_waitcnt vmcnt(0)
	v_mov_b32_e32 v1, v0
                                        ; implicit-def: $vgpr2
	v_mov_b32_e32 v4, v8
.LBB241_935:
	s_and_b32 s8, s76, 3
	s_cmp_eq_u32 s8, 0
	s_cbranch_scc1 .LBB241_938
; %bb.936:
	s_lshl_b32 s4, s75, 3
	s_add_u32 s4, s34, s4
	s_addc_u32 s5, s35, 0
	s_add_u32 s4, s4, 0xc4
	s_addc_u32 s5, s5, 0
	s_mul_i32 s6, s75, 12
	s_add_u32 s6, s34, s6
	s_addc_u32 s7, s35, 0
.LBB241_937:                            ; =>This Inner Loop Header: Depth=1
	s_load_dwordx2 s[10:11], s[6:7], 0x4
	s_load_dword s9, s[6:7], 0xc
	s_load_dwordx2 s[12:13], s[4:5], 0x0
	v_mov_b32_e32 v2, v1
	s_add_u32 s6, s6, 12
	s_waitcnt lgkmcnt(0)
	v_mul_hi_u32 v1, s11, v4
	v_add_u32_e32 v1, v4, v1
	v_lshrrev_b32_e32 v1, s9, v1
	s_addc_u32 s7, s7, 0
	v_mul_lo_u32 v3, v1, s10
	s_add_u32 s4, s4, 8
	v_sub_u32_e32 v5, v4, v3
	s_addc_u32 s5, s5, 0
	s_add_i32 s8, s8, -1
	v_mov_b32_e32 v4, v1
	v_mad_u64_u32 v[2:3], s[10:11], v5, s13, v[2:3]
	v_mad_u64_u32 v[0:1], s[10:11], v5, s12, v[0:1]
	s_cmp_lg_u32 s8, 0
	v_mov_b32_e32 v1, v2
	s_cbranch_scc1 .LBB241_937
.LBB241_938:
	s_mov_b64 s[4:5], 0
.LBB241_939:
	s_andn2_b64 vcc, exec, s[4:5]
	s_cbranch_vccnz .LBB241_942
; %bb.940:
	s_waitcnt lgkmcnt(0)
	v_mul_hi_u32 v0, s29, v8
	v_add_u32_e32 v0, v8, v0
	s_waitcnt vmcnt(0)
	v_lshrrev_b32_e32 v1, s30, v0
	v_mul_lo_u32 v0, v1, s28
	v_sub_u32_e32 v0, v8, v0
	v_mul_lo_u32 v2, v0, s25
	s_andn2_b64 vcc, exec, s[48:49]
	v_mul_lo_u32 v0, v0, s24
	s_cbranch_vccnz .LBB241_942
; %bb.941:
	v_mul_hi_u32 v3, s46, v1
	v_add_u32_e32 v3, v1, v3
	v_lshrrev_b32_e32 v3, s47, v3
	v_mul_lo_u32 v3, v3, s31
	v_sub_u32_e32 v3, v1, v3
	v_mad_u64_u32 v[0:1], s[4:5], v3, s26, v[0:1]
	v_mad_u64_u32 v[2:3], s[4:5], v3, s27, v[2:3]
.LBB241_942:
	v_mov_b32_e32 v3, 0
	s_and_b32 s14, 0xffff, s74
	s_cmp_lt_i32 s14, 11
	s_waitcnt lgkmcnt(0)
	v_lshl_add_u64 v[2:3], s[22:23], 0, v[2:3]
	s_cbranch_scc1 .LBB241_949
; %bb.943:
	s_cmp_gt_i32 s14, 25
	s_mov_b64 s[6:7], 0
	s_cbranch_scc0 .LBB241_950
; %bb.944:
	s_cmp_gt_i32 s14, 28
	s_cbranch_scc0 .LBB241_951
; %bb.945:
	s_cmp_gt_i32 s14, 43
	;; [unrolled: 3-line block ×3, first 2 shown]
	s_cbranch_scc0 .LBB241_955
; %bb.947:
	s_cmp_eq_u32 s14, 46
	s_mov_b64 s[10:11], 0
	s_cbranch_scc0 .LBB241_958
; %bb.948:
	global_load_dword v1, v[2:3], off
	s_mov_b64 s[4:5], 0
	s_mov_b64 s[8:9], -1
	s_waitcnt vmcnt(0)
	v_and_b32_e32 v4, 0xffff0000, v1
	v_lshlrev_b32_e32 v1, 16, v1
	v_cvt_f16_f32_e32 v1, v1
	v_cvt_f16_f32_e32 v6, v4
	s_branch .LBB241_959
.LBB241_949:
	s_mov_b64 s[10:11], -1
	s_mov_b64 s[8:9], 0
	s_mov_b64 s[6:7], 0
	s_mov_b64 s[4:5], s[2:3]
                                        ; implicit-def: $vgpr6
                                        ; implicit-def: $vgpr1
	s_branch .LBB241_1025
.LBB241_950:
	s_mov_b64 s[10:11], -1
	s_mov_b64 s[8:9], 0
	s_mov_b64 s[4:5], s[2:3]
                                        ; implicit-def: $vgpr6
                                        ; implicit-def: $vgpr1
	s_branch .LBB241_990
.LBB241_951:
	s_mov_b64 s[10:11], -1
	s_mov_b64 s[8:9], 0
	s_mov_b64 s[4:5], s[2:3]
                                        ; implicit-def: $vgpr6
                                        ; implicit-def: $vgpr1
	s_branch .LBB241_971
.LBB241_952:
	s_mov_b64 s[10:11], -1
	s_mov_b64 s[8:9], 0
	s_mov_b64 s[4:5], s[2:3]
                                        ; implicit-def: $vgpr6
                                        ; implicit-def: $vgpr1
	s_branch .LBB241_965
.LBB241_953:
	s_andn2_saveexec_b64 s[10:11], s[10:11]
	s_cbranch_execz .LBB241_832
.LBB241_954:
	s_mov_b32 s14, 0x46000000
	v_add_f32_e64 v6, |v3|, s14
	v_and_b32_e32 v6, 0xff, v6
	v_cmp_ne_u32_e32 vcc, 0, v6
	s_andn2_b64 s[8:9], s[8:9], exec
	s_and_b64 s[14:15], vcc, exec
	s_or_b64 s[8:9], s[8:9], s[14:15]
	s_or_b64 exec, exec, s[10:11]
	v_mov_b32_e32 v7, 0
	s_and_saveexec_b64 s[10:11], s[8:9]
	s_cbranch_execnz .LBB241_833
	s_branch .LBB241_834
.LBB241_955:
	s_mov_b64 s[10:11], -1
	s_mov_b64 s[8:9], 0
	s_mov_b64 s[4:5], s[2:3]
                                        ; implicit-def: $vgpr6
                                        ; implicit-def: $vgpr1
	s_branch .LBB241_959
.LBB241_956:
	s_andn2_saveexec_b64 s[10:11], s[10:11]
	s_cbranch_execz .LBB241_845
.LBB241_957:
	s_mov_b32 s14, 0x42800000
	v_add_f32_e64 v6, |v3|, s14
	v_and_b32_e32 v6, 0xff, v6
	v_cmp_ne_u32_e32 vcc, 0, v6
	s_andn2_b64 s[8:9], s[8:9], exec
	s_and_b64 s[14:15], vcc, exec
	s_or_b64 s[8:9], s[8:9], s[14:15]
	s_or_b64 exec, exec, s[10:11]
	v_mov_b32_e32 v7, 0
	s_and_saveexec_b64 s[10:11], s[8:9]
	s_cbranch_execnz .LBB241_846
	s_branch .LBB241_847
.LBB241_958:
	s_mov_b64 s[4:5], -1
                                        ; implicit-def: $vgpr6
                                        ; implicit-def: $vgpr1
	s_mov_b64 s[8:9], 0
.LBB241_959:
	s_and_b64 vcc, exec, s[10:11]
	s_cbranch_vccz .LBB241_964
; %bb.960:
	s_cmp_eq_u32 s14, 44
	s_cbranch_scc0 .LBB241_962
; %bb.961:
	global_load_ubyte v1, v[2:3], off
	s_movk_i32 s8, 0xff
	v_mov_b32_e32 v5, 0x7e00
	s_mov_b64 s[4:5], 0
	s_waitcnt vmcnt(0)
	v_lshlrev_b32_e32 v4, 23, v1
	v_cvt_f16_f32_e32 v4, v4
	v_cmp_ne_u32_e32 vcc, s8, v1
	s_mov_b64 s[8:9], -1
	s_nop 0
	v_cndmask_b32_e32 v4, v5, v4, vcc
	v_cmp_ne_u32_e32 vcc, 0, v1
	s_nop 1
	v_cndmask_b32_e32 v1, 0, v4, vcc
	s_branch .LBB241_963
.LBB241_962:
	s_mov_b64 s[4:5], -1
                                        ; implicit-def: $vgpr1
.LBB241_963:
	v_mov_b32_e32 v6, 0
.LBB241_964:
	s_mov_b64 s[10:11], 0
.LBB241_965:
	s_and_b64 vcc, exec, s[10:11]
	s_cbranch_vccz .LBB241_970
; %bb.966:
	s_cmp_eq_u32 s14, 29
	s_cbranch_scc0 .LBB241_968
; %bb.967:
	global_load_dwordx2 v[4:5], v[2:3], off
	s_mov_b64 s[4:5], 0
	s_mov_b64 s[8:9], -1
	s_waitcnt vmcnt(0)
	v_ffbh_u32_e32 v1, v5
	v_min_u32_e32 v1, 32, v1
	v_lshlrev_b64 v[4:5], v1, v[4:5]
	v_min_u32_e32 v4, 1, v4
	v_or_b32_e32 v4, v5, v4
	v_cvt_f32_u32_e32 v4, v4
	v_sub_u32_e32 v1, 32, v1
	v_ldexp_f32 v1, v4, v1
	v_cvt_f16_f32_e32 v1, v1
	s_branch .LBB241_969
.LBB241_968:
	s_mov_b64 s[4:5], -1
                                        ; implicit-def: $vgpr1
.LBB241_969:
	v_mov_b32_e32 v6, 0
.LBB241_970:
	s_mov_b64 s[10:11], 0
.LBB241_971:
	s_and_b64 vcc, exec, s[10:11]
	s_cbranch_vccz .LBB241_989
; %bb.972:
	s_cmp_lt_i32 s14, 27
	s_cbranch_scc1 .LBB241_975
; %bb.973:
	s_cmp_gt_i32 s14, 27
	s_cbranch_scc0 .LBB241_976
; %bb.974:
	global_load_dword v1, v[2:3], off
	s_mov_b64 s[8:9], 0
	s_waitcnt vmcnt(0)
	v_cvt_f32_u32_e32 v1, v1
	v_cvt_f16_f32_e32 v1, v1
	s_branch .LBB241_977
.LBB241_975:
	s_mov_b64 s[8:9], -1
                                        ; implicit-def: $vgpr1
	s_branch .LBB241_980
.LBB241_976:
	s_mov_b64 s[8:9], -1
                                        ; implicit-def: $vgpr1
.LBB241_977:
	s_andn2_b64 vcc, exec, s[8:9]
	s_cbranch_vccnz .LBB241_979
; %bb.978:
	global_load_ushort v1, v[2:3], off
	s_waitcnt vmcnt(0)
	v_cvt_f16_u16_e32 v1, v1
.LBB241_979:
	s_mov_b64 s[8:9], 0
.LBB241_980:
	s_andn2_b64 vcc, exec, s[8:9]
	s_cbranch_vccnz .LBB241_988
; %bb.981:
	global_load_ubyte v4, v[2:3], off
	s_movk_i32 s8, 0x7f
	s_waitcnt vmcnt(0)
	v_cmp_lt_i16_e32 vcc, s8, v4
	s_mov_b64 s[8:9], 0
	s_and_saveexec_b64 s[10:11], vcc
	s_xor_b64 s[10:11], exec, s[10:11]
	s_cbranch_execz .LBB241_1002
; %bb.982:
	s_movk_i32 s8, 0x80
	v_cmp_eq_u16_e32 vcc, s8, v4
	s_mov_b64 s[8:9], -1
	s_and_saveexec_b64 s[12:13], vcc
; %bb.983:
	s_xor_b64 s[8:9], exec, -1
; %bb.984:
	s_or_b64 exec, exec, s[12:13]
	s_and_b64 s[8:9], s[8:9], exec
	s_or_saveexec_b64 s[10:11], s[10:11]
	v_mov_b32_e32 v1, 0x7e00
	s_xor_b64 exec, exec, s[10:11]
	s_cbranch_execnz .LBB241_1003
.LBB241_985:
	s_or_b64 exec, exec, s[10:11]
	s_and_saveexec_b64 s[10:11], s[8:9]
	s_cbranch_execz .LBB241_987
.LBB241_986:
	v_lshlrev_b32_e32 v1, 24, v4
	v_and_b32_e32 v4, 0xffff, v4
	v_and_b32_e32 v5, 7, v4
	v_ffbh_u32_e32 v7, v5
	v_min_u32_e32 v7, 32, v7
	v_subrev_u32_e32 v8, 28, v7
	v_bfe_u32 v6, v4, 3, 4
	v_lshlrev_b32_e32 v4, v8, v4
	v_sub_u32_e32 v7, 29, v7
	v_and_b32_e32 v4, 7, v4
	v_cmp_eq_u32_e32 vcc, 0, v6
	v_and_b32_e32 v1, 0x80000000, v1
	s_nop 0
	v_cndmask_b32_e32 v6, v6, v7, vcc
	v_cndmask_b32_e32 v4, v5, v4, vcc
	v_mov_b32_e32 v5, 0x3b800000
	v_lshlrev_b32_e32 v4, 20, v4
	v_lshl_add_u32 v5, v6, 23, v5
	v_or3_b32 v1, v1, v5, v4
	v_cvt_f16_f32_e32 v1, v1
.LBB241_987:
	s_or_b64 exec, exec, s[10:11]
.LBB241_988:
	s_mov_b64 s[8:9], -1
	v_mov_b32_e32 v6, 0
.LBB241_989:
	s_mov_b64 s[10:11], 0
.LBB241_990:
	s_and_b64 vcc, exec, s[10:11]
	s_cbranch_vccz .LBB241_1024
; %bb.991:
	s_cmp_gt_i32 s14, 22
	s_cbranch_scc0 .LBB241_1001
; %bb.992:
	s_cmp_lt_i32 s14, 24
	s_cbranch_scc1 .LBB241_1004
; %bb.993:
	s_cmp_gt_i32 s14, 24
	s_cbranch_scc0 .LBB241_1005
; %bb.994:
	global_load_ubyte v4, v[2:3], off
	s_movk_i32 s6, 0x7f
	s_waitcnt vmcnt(0)
	v_cmp_lt_i16_e32 vcc, s6, v4
	s_mov_b64 s[6:7], 0
	s_and_saveexec_b64 s[8:9], vcc
	s_xor_b64 s[8:9], exec, s[8:9]
	s_cbranch_execz .LBB241_1017
; %bb.995:
	s_movk_i32 s6, 0x80
	v_cmp_eq_u16_e32 vcc, s6, v4
	s_mov_b64 s[6:7], -1
	s_and_saveexec_b64 s[10:11], vcc
; %bb.996:
	s_xor_b64 s[6:7], exec, -1
; %bb.997:
	s_or_b64 exec, exec, s[10:11]
	s_and_b64 s[6:7], s[6:7], exec
	s_or_saveexec_b64 s[8:9], s[8:9]
	v_mov_b32_e32 v1, 0x7e00
	s_xor_b64 exec, exec, s[8:9]
	s_cbranch_execnz .LBB241_1018
.LBB241_998:
	s_or_b64 exec, exec, s[8:9]
	s_and_saveexec_b64 s[8:9], s[6:7]
	s_cbranch_execz .LBB241_1000
.LBB241_999:
	v_lshlrev_b32_e32 v1, 24, v4
	v_and_b32_e32 v4, 0xffff, v4
	v_and_b32_e32 v5, 3, v4
	v_ffbh_u32_e32 v7, v5
	v_min_u32_e32 v7, 32, v7
	v_subrev_u32_e32 v8, 29, v7
	v_bfe_u32 v6, v4, 2, 5
	v_lshlrev_b32_e32 v4, v8, v4
	v_sub_u32_e32 v7, 30, v7
	v_and_b32_e32 v4, 3, v4
	v_cmp_eq_u32_e32 vcc, 0, v6
	v_and_b32_e32 v1, 0x80000000, v1
	s_nop 0
	v_cndmask_b32_e32 v6, v6, v7, vcc
	v_cndmask_b32_e32 v4, v5, v4, vcc
	v_mov_b32_e32 v5, 0x37800000
	v_lshlrev_b32_e32 v4, 21, v4
	v_lshl_add_u32 v5, v6, 23, v5
	v_or3_b32 v1, v1, v5, v4
	v_cvt_f16_f32_e32 v1, v1
.LBB241_1000:
	s_or_b64 exec, exec, s[8:9]
	s_mov_b64 s[6:7], 0
	s_branch .LBB241_1006
.LBB241_1001:
	s_mov_b64 s[6:7], -1
                                        ; implicit-def: $vgpr1
	s_branch .LBB241_1012
.LBB241_1002:
	s_or_saveexec_b64 s[10:11], s[10:11]
	v_mov_b32_e32 v1, 0x7e00
	s_xor_b64 exec, exec, s[10:11]
	s_cbranch_execz .LBB241_985
.LBB241_1003:
	v_cmp_ne_u16_e32 vcc, 0, v4
	s_andn2_b64 s[8:9], s[8:9], exec
	s_and_b64 s[12:13], vcc, exec
	s_or_b64 s[8:9], s[8:9], s[12:13]
	v_mov_b32_e32 v1, v4
	s_or_b64 exec, exec, s[10:11]
	s_and_saveexec_b64 s[10:11], s[8:9]
	s_cbranch_execnz .LBB241_986
	s_branch .LBB241_987
.LBB241_1004:
	s_mov_b64 s[6:7], -1
                                        ; implicit-def: $vgpr1
	s_branch .LBB241_1009
.LBB241_1005:
	s_mov_b64 s[6:7], -1
                                        ; implicit-def: $vgpr1
.LBB241_1006:
	s_and_b64 vcc, exec, s[6:7]
	s_cbranch_vccz .LBB241_1008
; %bb.1007:
	global_load_ubyte v1, v[2:3], off
	s_mov_b32 s6, 0x7f800000
	s_waitcnt vmcnt(0)
	v_lshlrev_b32_e32 v1, 24, v1
	v_and_b32_e32 v4, 0x7f000000, v1
	v_ffbh_u32_e32 v5, v4
	v_min_u32_e32 v5, 32, v5
	v_sub_u32_e64 v5, v5, 4 clamp
	v_lshlrev_b32_e32 v7, v5, v4
	v_lshlrev_b32_e32 v5, 23, v5
	v_lshrrev_b32_e32 v7, 4, v7
	v_add_u32_e32 v6, 0x1000000, v4
	v_sub_u32_e32 v5, v7, v5
	v_ashrrev_i32_e32 v6, 8, v6
	v_add_u32_e32 v5, 0x3c000000, v5
	v_and_or_b32 v5, v6, s6, v5
	v_cmp_ne_u32_e32 vcc, 0, v4
	s_brev_b32 s6, 1
	s_nop 0
	v_cndmask_b32_e32 v4, 0, v5, vcc
	v_and_or_b32 v1, v1, s6, v4
	v_cvt_f16_f32_e32 v1, v1
.LBB241_1008:
	s_mov_b64 s[6:7], 0
.LBB241_1009:
	s_andn2_b64 vcc, exec, s[6:7]
	s_cbranch_vccnz .LBB241_1011
; %bb.1010:
	global_load_ubyte v1, v[2:3], off
	s_movk_i32 s6, 0x7f00
	s_brev_b32 s7, 16
	s_waitcnt vmcnt(0)
	v_lshlrev_b16_e32 v4, 8, v1
	v_lshlrev_b32_e32 v1, 25, v1
	v_lshrrev_b32_e32 v5, 4, v1
	v_and_or_b32 v6, v4, s6, 0.5
	v_or_b32_e32 v5, 0x70000000, v5
	v_add_f32_e32 v6, -0.5, v6
	v_mul_f32_e32 v5, 0x7800000, v5
	v_cmp_gt_u32_e32 vcc, s7, v1
	v_bfe_i32 v4, v4, 0, 16
	s_brev_b32 s6, 1
	v_cndmask_b32_e32 v1, v5, v6, vcc
	v_and_or_b32 v1, v4, s6, v1
	v_cvt_f16_f32_e32 v1, v1
.LBB241_1011:
	s_mov_b64 s[6:7], 0
	s_mov_b64 s[8:9], -1
.LBB241_1012:
	s_andn2_b64 vcc, exec, s[6:7]
	s_mov_b64 s[6:7], 0
	s_cbranch_vccnz .LBB241_1023
; %bb.1013:
	s_cmp_gt_i32 s14, 14
	s_cbranch_scc0 .LBB241_1016
; %bb.1014:
	s_cmp_eq_u32 s14, 15
	s_cbranch_scc0 .LBB241_1019
; %bb.1015:
	global_load_ushort v1, v[2:3], off
	s_mov_b64 s[4:5], 0
	s_mov_b64 s[8:9], -1
	s_waitcnt vmcnt(0)
	v_lshlrev_b32_e32 v1, 16, v1
	v_cvt_f16_f32_e32 v1, v1
	s_branch .LBB241_1020
.LBB241_1016:
	s_mov_b64 s[10:11], -1
                                        ; implicit-def: $vgpr1
	s_branch .LBB241_1021
.LBB241_1017:
	s_or_saveexec_b64 s[8:9], s[8:9]
	v_mov_b32_e32 v1, 0x7e00
	s_xor_b64 exec, exec, s[8:9]
	s_cbranch_execz .LBB241_998
.LBB241_1018:
	v_cmp_ne_u16_e32 vcc, 0, v4
	s_andn2_b64 s[6:7], s[6:7], exec
	s_and_b64 s[10:11], vcc, exec
	s_or_b64 s[6:7], s[6:7], s[10:11]
	v_mov_b32_e32 v1, v4
	s_or_b64 exec, exec, s[8:9]
	s_and_saveexec_b64 s[8:9], s[6:7]
	s_cbranch_execnz .LBB241_999
	s_branch .LBB241_1000
.LBB241_1019:
	s_mov_b64 s[4:5], -1
                                        ; implicit-def: $vgpr1
.LBB241_1020:
	s_mov_b64 s[10:11], 0
.LBB241_1021:
	s_and_b64 vcc, exec, s[10:11]
	s_cbranch_vccz .LBB241_1023
; %bb.1022:
	s_cmp_lg_u32 s14, 11
	s_cselect_b64 s[10:11], -1, 0
	s_andn2_b64 s[4:5], s[4:5], exec
	s_and_b64 s[10:11], s[10:11], exec
	s_mov_b64 s[6:7], -1
	s_or_b64 s[4:5], s[4:5], s[10:11]
.LBB241_1023:
	v_mov_b32_e32 v6, 0
.LBB241_1024:
	s_mov_b64 s[10:11], 0
.LBB241_1025:
	s_andn2_b64 s[12:13], s[2:3], exec
	s_and_b64 s[4:5], s[4:5], exec
	s_and_b64 s[8:9], s[8:9], exec
	;; [unrolled: 1-line block ×4, first 2 shown]
	s_or_b64 s[12:13], s[12:13], s[4:5]
.LBB241_1026:
	s_or_b64 exec, exec, s[70:71]
	s_and_b64 s[4:5], s[6:7], exec
	s_andn2_b64 s[2:3], s[2:3], exec
	s_and_b64 s[6:7], s[12:13], exec
	s_and_b64 s[8:9], s[8:9], exec
	;; [unrolled: 1-line block ×3, first 2 shown]
	s_or_b64 s[2:3], s[2:3], s[6:7]
.LBB241_1027:
	s_or_b64 exec, exec, s[66:67]
	s_andn2_b64 s[6:7], s[62:63], exec
	s_and_b64 s[12:13], s[68:69], exec
	s_or_b64 s[62:63], s[6:7], s[12:13]
	s_and_b64 s[6:7], s[10:11], exec
	s_andn2_b64 s[10:11], s[60:61], exec
	s_and_b64 s[2:3], s[2:3], exec
	s_and_b64 s[8:9], s[8:9], exec
	;; [unrolled: 1-line block ×3, first 2 shown]
	s_or_b64 s[60:61], s[10:11], s[2:3]
.LBB241_1028:
	s_or_b64 exec, exec, s[64:65]
	s_andn2_b64 s[2:3], s[54:55], exec
	s_and_b64 s[10:11], s[62:63], exec
	s_or_b64 s[54:55], s[2:3], s[10:11]
	s_and_b64 s[2:3], s[8:9], exec
	s_and_b64 s[8:9], s[6:7], exec
	;; [unrolled: 1-line block ×3, first 2 shown]
	s_andn2_b64 s[4:5], s[56:57], exec
	s_and_b64 s[6:7], s[60:61], exec
	s_or_b64 s[56:57], s[4:5], s[6:7]
	s_or_b64 exec, exec, s[58:59]
	s_mov_b64 s[6:7], 0
	s_and_saveexec_b64 s[4:5], s[56:57]
	s_cbranch_execz .LBB241_310
.LBB241_1029:
	s_mov_b64 s[6:7], exec
	s_andn2_b64 s[62:63], s[62:63], exec
	s_trap 2
	s_or_b64 exec, exec, s[4:5]
	s_and_saveexec_b64 s[4:5], s[62:63]
	s_xor_b64 s[4:5], exec, s[4:5]
	s_cbranch_execnz .LBB241_311
.LBB241_1030:
	s_or_b64 exec, exec, s[4:5]
	s_and_saveexec_b64 s[4:5], s[8:9]
	s_cbranch_execz .LBB241_1078
.LBB241_1031:
	s_sext_i32_i16 s8, s74
	s_cmp_lt_i32 s8, 5
	s_cbranch_scc1 .LBB241_1036
; %bb.1032:
	s_cmp_lt_i32 s8, 8
	s_cbranch_scc1 .LBB241_1037
; %bb.1033:
	;; [unrolled: 3-line block ×3, first 2 shown]
	s_cmp_gt_i32 s8, 9
	s_cbranch_scc0 .LBB241_1039
; %bb.1035:
	global_load_dwordx4 v[4:7], v[2:3], off
	s_movk_i32 s8, 0x1ff
	s_movk_i32 s9, 0xffe
	s_waitcnt vmcnt(1)
	v_mov_b32_e32 v1, 0x7c00
	v_mov_b32_e32 v8, 0x7e00
	s_movk_i32 s10, 0x40f
	s_mov_b32 s11, 0x8000
	s_waitcnt vmcnt(0)
	v_and_or_b32 v4, v5, s8, v4
	v_and_or_b32 v6, v7, s8, v6
	v_cmp_ne_u32_e32 vcc, 0, v4
	v_lshrrev_b32_e32 v9, 8, v5
	v_bfe_u32 v10, v5, 20, 11
	v_cndmask_b32_e64 v4, 0, 1, vcc
	v_cmp_ne_u32_e32 vcc, 0, v6
	v_lshrrev_b32_e32 v11, 8, v7
	v_bfe_u32 v12, v7, 20, 11
	v_cndmask_b32_e64 v6, 0, 1, vcc
	v_and_or_b32 v4, v9, s9, v4
	v_sub_u32_e32 v13, 0x3f1, v10
	v_add_u32_e32 v10, 0xfffffc10, v10
	v_sub_u32_e32 v14, 0x3f1, v12
	v_and_or_b32 v6, v11, s9, v6
	v_cmp_ne_u32_e32 vcc, 0, v4
	v_add_u32_e32 v12, 0xfffffc10, v12
	v_med3_i32 v9, v13, 0, 13
	v_med3_i32 v11, v14, 0, 13
	v_or_b32_e32 v13, 0x1000, v4
	v_lshl_or_b32 v14, v10, 12, v4
	v_cndmask_b32_e32 v4, v1, v8, vcc
	v_cmp_ne_u32_e32 vcc, 0, v6
	v_or_b32_e32 v15, 0x1000, v6
	v_lshl_or_b32 v16, v12, 12, v6
	v_cndmask_b32_e32 v6, v1, v8, vcc
	v_lshrrev_b32_e32 v8, v9, v13
	v_lshrrev_b32_e32 v17, v11, v15
	v_lshlrev_b32_e32 v9, v9, v8
	v_lshlrev_b32_e32 v11, v11, v17
	v_cmp_ne_u32_e32 vcc, v9, v13
	v_lshrrev_b32_e32 v5, 16, v5
	v_lshrrev_b32_e32 v7, 16, v7
	v_cndmask_b32_e64 v9, 0, 1, vcc
	v_cmp_ne_u32_e32 vcc, v11, v15
	v_or_b32_e32 v8, v8, v9
	s_mov_b64 s[8:9], 0
	v_cndmask_b32_e64 v11, 0, 1, vcc
	v_cmp_gt_i32_e32 vcc, 1, v10
	v_or_b32_e32 v9, v17, v11
	s_nop 0
	v_cndmask_b32_e32 v8, v14, v8, vcc
	v_cmp_gt_i32_e32 vcc, 1, v12
	v_and_b32_e32 v11, 7, v8
	v_lshrrev_b32_e32 v8, 2, v8
	v_cndmask_b32_e32 v9, v16, v9, vcc
	v_cmp_lt_i32_e32 vcc, 5, v11
	v_and_b32_e32 v13, 7, v9
	v_lshrrev_b32_e32 v9, 2, v9
	v_cndmask_b32_e64 v14, 0, 1, vcc
	v_cmp_eq_u32_e32 vcc, 3, v11
	s_nop 1
	v_cndmask_b32_e64 v11, 0, 1, vcc
	v_cmp_lt_i32_e32 vcc, 5, v13
	v_or_b32_e32 v11, v11, v14
	v_add_u32_e32 v8, v8, v11
	v_cndmask_b32_e64 v15, 0, 1, vcc
	v_cmp_eq_u32_e32 vcc, 3, v13
	s_nop 1
	v_cndmask_b32_e64 v13, 0, 1, vcc
	v_or_b32_e32 v13, v13, v15
	v_cmp_gt_i32_e32 vcc, 31, v10
	v_add_u32_e32 v9, v9, v13
	s_nop 0
	v_cndmask_b32_e32 v8, v1, v8, vcc
	v_cmp_gt_i32_e32 vcc, 31, v12
	s_nop 1
	v_cndmask_b32_e32 v1, v1, v9, vcc
	v_cmp_eq_u32_e32 vcc, s10, v10
	s_nop 1
	v_cndmask_b32_e32 v4, v8, v4, vcc
	v_cmp_eq_u32_e32 vcc, s10, v12
	s_nop 1
	v_cndmask_b32_e32 v6, v1, v6, vcc
	v_and_or_b32 v1, v5, s11, v4
	v_and_or_b32 v6, v7, s11, v6
	s_branch .LBB241_1040
.LBB241_1036:
                                        ; implicit-def: $vgpr6
                                        ; implicit-def: $vgpr1
	s_branch .LBB241_1058
.LBB241_1037:
                                        ; implicit-def: $vgpr6
                                        ; implicit-def: $vgpr1
	s_branch .LBB241_1046
.LBB241_1038:
	s_mov_b64 s[8:9], -1
                                        ; implicit-def: $vgpr6
                                        ; implicit-def: $vgpr1
	s_branch .LBB241_1043
.LBB241_1039:
	s_mov_b64 s[8:9], -1
                                        ; implicit-def: $vgpr6
                                        ; implicit-def: $vgpr1
.LBB241_1040:
	s_andn2_b64 vcc, exec, s[8:9]
	s_cbranch_vccnz .LBB241_1042
; %bb.1041:
	global_load_dwordx2 v[4:5], v[2:3], off
	s_waitcnt vmcnt(0)
	v_cvt_f16_f32_e32 v1, v4
	v_cvt_f16_f32_e32 v6, v5
.LBB241_1042:
	s_mov_b64 s[8:9], 0
.LBB241_1043:
	s_andn2_b64 vcc, exec, s[8:9]
	s_cbranch_vccnz .LBB241_1045
; %bb.1044:
	global_load_dword v1, v[2:3], off
	s_waitcnt vmcnt(0)
	v_lshrrev_b32_e32 v6, 16, v1
.LBB241_1045:
	s_cbranch_execnz .LBB241_1057
.LBB241_1046:
	s_sext_i32_i16 s8, s74
	s_cmp_lt_i32 s8, 6
	s_cbranch_scc1 .LBB241_1049
; %bb.1047:
	s_cmp_gt_i32 s8, 6
	s_cbranch_scc0 .LBB241_1050
; %bb.1048:
	global_load_dwordx2 v[4:5], v[2:3], off
	s_movk_i32 s8, 0x1ff
	s_movk_i32 s9, 0xffe
	s_waitcnt vmcnt(1)
	v_mov_b32_e32 v1, 0x7c00
	v_mov_b32_e32 v6, 0x7e00
	s_movk_i32 s10, 0x40f
	s_mov_b32 s11, 0x8000
	s_waitcnt vmcnt(0)
	v_and_or_b32 v4, v5, s8, v4
	v_cmp_ne_u32_e32 vcc, 0, v4
	v_lshrrev_b32_e32 v7, 8, v5
	v_bfe_u32 v8, v5, 20, 11
	v_cndmask_b32_e64 v4, 0, 1, vcc
	v_sub_u32_e32 v9, 0x3f1, v8
	v_and_or_b32 v4, v7, s9, v4
	v_add_u32_e32 v8, 0xfffffc10, v8
	v_med3_i32 v7, v9, 0, 13
	v_or_b32_e32 v9, 0x1000, v4
	v_cmp_ne_u32_e32 vcc, 0, v4
	v_lshl_or_b32 v10, v8, 12, v4
	v_lshrrev_b32_e32 v5, 16, v5
	v_cndmask_b32_e32 v4, v1, v6, vcc
	v_lshrrev_b32_e32 v6, v7, v9
	v_lshlrev_b32_e32 v7, v7, v6
	v_cmp_ne_u32_e32 vcc, v7, v9
	s_mov_b64 s[8:9], 0
	s_nop 0
	v_cndmask_b32_e64 v7, 0, 1, vcc
	v_or_b32_e32 v6, v6, v7
	v_cmp_gt_i32_e32 vcc, 1, v8
	s_nop 1
	v_cndmask_b32_e32 v6, v10, v6, vcc
	v_and_b32_e32 v7, 7, v6
	v_cmp_lt_i32_e32 vcc, 5, v7
	v_lshrrev_b32_e32 v6, 2, v6
	s_nop 0
	v_cndmask_b32_e64 v9, 0, 1, vcc
	v_cmp_eq_u32_e32 vcc, 3, v7
	s_nop 1
	v_cndmask_b32_e64 v7, 0, 1, vcc
	v_or_b32_e32 v7, v7, v9
	v_add_u32_e32 v6, v6, v7
	v_cmp_gt_i32_e32 vcc, 31, v8
	s_nop 1
	v_cndmask_b32_e32 v1, v1, v6, vcc
	v_cmp_eq_u32_e32 vcc, s10, v8
	s_nop 1
	v_cndmask_b32_e32 v1, v1, v4, vcc
	v_and_or_b32 v1, v5, s11, v1
	s_branch .LBB241_1051
.LBB241_1049:
	s_mov_b64 s[8:9], -1
                                        ; implicit-def: $vgpr1
	s_branch .LBB241_1054
.LBB241_1050:
	s_mov_b64 s[8:9], -1
                                        ; implicit-def: $vgpr1
.LBB241_1051:
	s_andn2_b64 vcc, exec, s[8:9]
	s_cbranch_vccnz .LBB241_1053
; %bb.1052:
	global_load_dword v1, v[2:3], off
	s_waitcnt vmcnt(0)
	v_cvt_f16_f32_e32 v1, v1
.LBB241_1053:
	s_mov_b64 s[8:9], 0
.LBB241_1054:
	s_andn2_b64 vcc, exec, s[8:9]
	s_cbranch_vccnz .LBB241_1056
; %bb.1055:
	global_load_ushort v1, v[2:3], off
.LBB241_1056:
	v_mov_b32_e32 v6, 0
.LBB241_1057:
	s_cbranch_execnz .LBB241_1077
.LBB241_1058:
	s_sext_i32_i16 s8, s74
	s_cmp_lt_i32 s8, 2
	s_cbranch_scc1 .LBB241_1062
; %bb.1059:
	s_cmp_lt_i32 s8, 3
	s_cbranch_scc1 .LBB241_1063
; %bb.1060:
	s_cmp_gt_i32 s8, 3
	s_cbranch_scc0 .LBB241_1064
; %bb.1061:
	global_load_dwordx2 v[4:5], v[2:3], off
	s_mov_b64 s[8:9], 0
	s_waitcnt vmcnt(0)
	v_xor_b32_e32 v6, v4, v5
	v_ffbh_i32_e32 v1, v5
	v_ashrrev_i32_e32 v6, 31, v6
	v_add_u32_e32 v1, -1, v1
	v_add_u32_e32 v6, 32, v6
	v_min_u32_e32 v1, v1, v6
	v_lshlrev_b64 v[4:5], v1, v[4:5]
	v_min_u32_e32 v4, 1, v4
	v_or_b32_e32 v4, v5, v4
	v_cvt_f32_i32_e32 v4, v4
	v_sub_u32_e32 v1, 32, v1
	v_ldexp_f32 v1, v4, v1
	v_cvt_f16_f32_e32 v1, v1
	s_branch .LBB241_1065
.LBB241_1062:
                                        ; implicit-def: $vgpr1
	s_branch .LBB241_1071
.LBB241_1063:
	s_mov_b64 s[8:9], -1
                                        ; implicit-def: $vgpr1
	s_branch .LBB241_1068
.LBB241_1064:
	s_mov_b64 s[8:9], -1
                                        ; implicit-def: $vgpr1
.LBB241_1065:
	s_andn2_b64 vcc, exec, s[8:9]
	s_cbranch_vccnz .LBB241_1067
; %bb.1066:
	global_load_dword v1, v[2:3], off
	s_waitcnt vmcnt(0)
	v_cvt_f32_i32_e32 v1, v1
	v_cvt_f16_f32_e32 v1, v1
.LBB241_1067:
	s_mov_b64 s[8:9], 0
.LBB241_1068:
	s_andn2_b64 vcc, exec, s[8:9]
	s_cbranch_vccnz .LBB241_1070
; %bb.1069:
	global_load_ushort v1, v[2:3], off
	s_waitcnt vmcnt(0)
	v_cvt_f16_i16_e32 v1, v1
.LBB241_1070:
	s_cbranch_execnz .LBB241_1076
.LBB241_1071:
	s_sext_i32_i16 s8, s74
	s_cmp_gt_i32 s8, 0
	s_cbranch_scc0 .LBB241_1073
; %bb.1072:
	global_load_sbyte v1, v[2:3], off
	s_mov_b64 s[8:9], 0
	s_waitcnt vmcnt(0)
	v_cvt_f16_i16_e32 v1, v1
	s_branch .LBB241_1074
.LBB241_1073:
	s_mov_b64 s[8:9], -1
                                        ; implicit-def: $vgpr1
.LBB241_1074:
	s_andn2_b64 vcc, exec, s[8:9]
	s_cbranch_vccnz .LBB241_1076
; %bb.1075:
	global_load_ubyte v1, v[2:3], off
	s_waitcnt vmcnt(0)
	v_cvt_f16_u16_e32 v1, v1
.LBB241_1076:
	v_mov_b32_e32 v6, 0
.LBB241_1077:
	s_or_b64 s[2:3], s[2:3], exec
.LBB241_1078:
	s_or_b64 exec, exec, s[4:5]
	s_mov_b64 s[10:11], 0
	s_mov_b64 s[4:5], 0
                                        ; implicit-def: $sgpr16
                                        ; implicit-def: $vgpr2_vgpr3
                                        ; implicit-def: $vgpr7
                                        ; implicit-def: $vgpr5
                                        ; implicit-def: $vgpr4
	s_and_saveexec_b64 s[8:9], s[2:3]
	s_cbranch_execz .LBB241_1091
; %bb.1079:
	v_cvt_f32_f16_e32 v2, v6
	s_waitcnt vmcnt(0)
	v_cmp_neq_f16_e32 vcc, 0, v1
	v_cmp_neq_f16_e64 s[2:3], 0, v6
	s_or_b64 s[2:3], vcc, s[2:3]
	v_mov_b32_e32 v4, 0
	s_and_saveexec_b64 s[10:11], s[2:3]
	s_cbranch_execz .LBB241_1112
; %bb.1080:
	v_mov_b32_e32 v4, 0x7f800000
	v_cmp_neq_f32_e64 s[2:3], |v2|, v4
	s_and_saveexec_b64 s[12:13], s[2:3]
	s_cbranch_execz .LBB241_1111
; %bb.1081:
	v_cvt_f32_f16_e32 v3, v1
	v_cmp_o_f16_e32 vcc, v1, v1
                                        ; implicit-def: $vgpr4
	s_and_saveexec_b64 s[2:3], vcc
	s_xor_b64 s[14:15], exec, s[2:3]
	s_cbranch_execz .LBB241_1108
; %bb.1082:
	s_mov_b32 s2, 0x7f800000
	v_cmp_neq_f32_e64 s[2:3], |v3|, s2
                                        ; implicit-def: $vgpr4
	s_and_saveexec_b64 s[4:5], s[2:3]
	s_xor_b64 s[16:17], exec, s[4:5]
	s_cbranch_execz .LBB241_1101
; %bb.1083:
	v_max_f32_e64 v1, |v2|, |v2|
	v_max_f32_e64 v4, |v3|, |v3|
	v_max_f32_e32 v1, v4, v1
	s_mov_b32 s2, 0x7ed413cb
	v_cmp_nle_f32_e64 s[2:3], s2, v1
                                        ; implicit-def: $sgpr18_sgpr19
	s_and_saveexec_b64 s[4:5], s[2:3]
	s_xor_b64 s[4:5], exec, s[4:5]
	s_cbranch_execz .LBB241_1087
; %bb.1084:
	s_waitcnt lgkmcnt(0)
	s_mov_b32 s22, 0x1000000
	v_cmp_le_f32_e64 s[18:19], |v3|, s22
	v_cmp_le_f32_e64 s[22:23], |v2|, s22
	s_and_b64 s[24:25], s[18:19], s[22:23]
	s_mov_b64 s[18:19], 0
	s_and_saveexec_b64 s[22:23], s[24:25]
; %bb.1085:
	s_mov_b64 s[18:19], exec
	v_mul_f32_e32 v3, 4.0, v3
	v_mul_f32_e32 v2, 4.0, v2
; %bb.1086:
	s_or_b64 exec, exec, s[22:23]
.LBB241_1087:
	s_andn2_saveexec_b64 s[4:5], s[4:5]
; %bb.1088:
	v_mul_f32_e32 v3, 0x3e800000, v3
	v_mul_f32_e32 v2, 0x3e800000, v2
	s_andn2_b64 s[18:19], s[18:19], exec
; %bb.1089:
	s_or_b64 exec, exec, s[4:5]
	v_max_f32_e64 v1, |v2|, |v2|
	v_max_f32_e64 v4, |v3|, |v3|
	v_max_f32_e32 v1, v4, v1
	v_cvt_f64_f32_e32 v[4:5], v1
	v_frexp_exp_i32_f64_e32 v4, v[4:5]
	v_sub_u32_e32 v5, 0, v4
	v_ldexp_f32 v6, |v3|, v5
	v_ldexp_f32 v5, |v2|, v5
	v_mul_f32_e32 v5, v5, v5
	v_fmac_f32_e32 v5, v6, v6
	v_sqrt_f32_e32 v5, v5
	s_mov_b32 s4, 0x7f800000
	v_cmp_neq_f32_e64 s[4:5], s4, v1
	v_cmp_le_f32_e32 vcc, 0, v3
	v_ldexp_f32 v4, v5, v4
	v_mov_b32_e32 v5, 0x7f800000
	v_cndmask_b32_e64 v4, v5, v4, s[4:5]
                                        ; implicit-def: $vgpr5
                                        ; implicit-def: $vgpr1
	s_and_saveexec_b64 s[4:5], vcc
	s_waitcnt lgkmcnt(0)
	s_xor_b64 s[22:23], exec, s[4:5]
	s_cbranch_execz .LBB241_1094
; %bb.1090:
	v_add_f32_e32 v1, v3, v4
	v_mul_f32_e32 v1, 0.5, v1
	s_mov_b32 s4, 0xf800000
	v_mul_f32_e32 v3, 0x4f800000, v1
	v_cmp_gt_f32_e32 vcc, s4, v1
	s_nop 1
	v_cndmask_b32_e32 v1, v1, v3, vcc
	v_sqrt_f32_e32 v3, v1
	s_nop 0
	v_add_u32_e32 v4, -1, v3
	v_fma_f32 v5, -v4, v3, v1
	v_cmp_ge_f32_e64 s[4:5], 0, v5
	v_add_u32_e32 v5, 1, v3
	s_nop 0
	v_cndmask_b32_e64 v4, v3, v4, s[4:5]
	v_fma_f32 v3, -v5, v3, v1
	v_cmp_lt_f32_e64 s[4:5], 0, v3
	s_nop 1
	v_cndmask_b32_e64 v3, v4, v5, s[4:5]
	v_mul_f32_e32 v4, 0x37800000, v3
	v_cndmask_b32_e32 v3, v3, v4, vcc
	v_mov_b32_e32 v4, 0x260
	v_cmp_class_f32_e32 vcc, v1, v4
	s_nop 1
	v_cndmask_b32_e32 v1, v3, v1, vcc
	v_add_f32_e32 v3, v1, v1
	v_div_scale_f32 v4, s[4:5], v3, v3, v2
	v_rcp_f32_e32 v5, v4
	s_nop 0
	v_fma_f32 v6, -v4, v5, 1.0
	v_fmac_f32_e32 v5, v6, v5
	v_div_scale_f32 v6, vcc, v2, v3, v2
	v_mul_f32_e32 v7, v6, v5
	v_fma_f32 v8, -v4, v7, v6
	v_fmac_f32_e32 v7, v8, v5
	v_fma_f32 v4, -v4, v7, v6
	v_div_fmas_f32 v4, v4, v5, v7
	v_div_fixup_f32 v5, v4, v3, v2
                                        ; implicit-def: $vgpr4
                                        ; implicit-def: $vgpr3
                                        ; implicit-def: $vgpr2
	s_andn2_saveexec_b64 s[22:23], s[22:23]
	s_cbranch_execz .LBB241_1096
	s_branch .LBB241_1095
.LBB241_1091:
	s_or_b64 exec, exec, s[8:9]
	s_and_saveexec_b64 s[2:3], s[54:55]
	s_cbranch_execnz .LBB241_1189
.LBB241_1092:
	s_or_b64 exec, exec, s[2:3]
	s_and_saveexec_b64 s[2:3], s[10:11]
	s_xor_b64 s[2:3], exec, s[2:3]
	s_cbranch_execz .LBB241_1190
.LBB241_1093:
	v_and_b32_e32 v0, 0x7fff7fff, v7
	v_cmp_ne_u32_e32 vcc, 0, v0
	s_nop 1
	v_cndmask_b32_e64 v0, 0, 1, vcc
	global_store_byte v[2:3], v0, off
	s_or_b64 exec, exec, s[2:3]
	s_and_saveexec_b64 s[2:3], s[4:5]
	s_xor_b64 s[2:3], exec, s[2:3]
	s_cbranch_execz .LBB241_1228
	s_branch .LBB241_1191
.LBB241_1094:
	s_andn2_saveexec_b64 s[22:23], s[22:23]
	s_cbranch_execz .LBB241_1096
.LBB241_1095:
	v_sub_f32_e32 v1, v4, v3
	v_mul_f32_e32 v1, 0.5, v1
	s_mov_b32 s4, 0xf800000
	v_mul_f32_e32 v3, 0x4f800000, v1
	v_cmp_gt_f32_e32 vcc, s4, v1
	s_nop 1
	v_cndmask_b32_e32 v1, v1, v3, vcc
	v_sqrt_f32_e32 v3, v1
	s_nop 0
	v_add_u32_e32 v4, -1, v3
	v_fma_f32 v5, -v4, v3, v1
	v_cmp_ge_f32_e64 s[4:5], 0, v5
	v_add_u32_e32 v5, 1, v3
	s_nop 0
	v_cndmask_b32_e64 v4, v3, v4, s[4:5]
	v_fma_f32 v3, -v5, v3, v1
	v_cmp_lt_f32_e64 s[4:5], 0, v3
	s_nop 1
	v_cndmask_b32_e64 v3, v4, v5, s[4:5]
	v_mul_f32_e32 v4, 0x37800000, v3
	v_cndmask_b32_e32 v3, v3, v4, vcc
	v_mov_b32_e32 v4, 0x260
	v_cmp_class_f32_e32 vcc, v1, v4
	v_and_b32_e32 v4, 0x7fffffff, v2
	s_nop 0
	v_cndmask_b32_e32 v3, v3, v1, vcc
	v_add_f32_e32 v1, v3, v3
	v_div_scale_f32 v5, s[4:5], v1, v1, v4
	v_rcp_f32_e32 v6, v5
	v_div_scale_f32 v4, vcc, v4, v1, v4
	s_brev_b32 s4, -2
	v_fma_f32 v7, -v5, v6, 1.0
	v_fmac_f32_e32 v6, v7, v6
	v_mul_f32_e32 v7, v4, v6
	v_fma_f32 v8, -v5, v7, v4
	v_fmac_f32_e32 v7, v8, v6
	v_fma_f32 v4, -v5, v7, v4
	v_div_fmas_f32 v4, v4, v6, v7
	v_div_fixup_f32 v1, v4, v1, |v2|
	v_bfi_b32 v5, s4, v3, v2
.LBB241_1096:
	s_or_b64 exec, exec, s[22:23]
                                        ; implicit-def: $vgpr2
                                        ; implicit-def: $vgpr4
	s_and_saveexec_b64 s[4:5], s[2:3]
	s_xor_b64 s[2:3], exec, s[4:5]
	s_cbranch_execz .LBB241_1098
; %bb.1097:
	v_mul_f32_e32 v2, 0.5, v1
	v_mul_f32_e32 v3, 0.5, v5
	v_cndmask_b32_e64 v4, v1, v2, s[18:19]
	v_cndmask_b32_e64 v2, v5, v3, s[18:19]
                                        ; implicit-def: $vgpr1
                                        ; implicit-def: $vgpr5
	s_andn2_saveexec_b64 s[2:3], s[2:3]
	s_cbranch_execnz .LBB241_1099
	s_branch .LBB241_1100
.LBB241_1098:
	s_andn2_saveexec_b64 s[2:3], s[2:3]
.LBB241_1099:
	v_add_f32_e32 v4, v1, v1
	v_add_f32_e32 v2, v5, v5
.LBB241_1100:
	s_or_b64 exec, exec, s[2:3]
                                        ; implicit-def: $vgpr3
                                        ; implicit-def: $vgpr1
.LBB241_1101:
	s_andn2_saveexec_b64 s[2:3], s[16:17]
	s_cbranch_execz .LBB241_1107
; %bb.1102:
	v_cmp_lt_i16_e32 vcc, -1, v1
	v_sub_f32_e32 v1, v2, v2
	s_brev_b32 s16, -2
	v_and_b32_e32 v4, 0x7fffffff, v1
	s_and_saveexec_b64 s[4:5], vcc
	s_xor_b64 s[4:5], exec, s[4:5]
; %bb.1103:
	v_bfi_b32 v2, s16, v1, v2
	v_mov_b32_e32 v4, v3
; %bb.1104:
	s_andn2_saveexec_b64 s[4:5], s[4:5]
; %bb.1105:
	v_bfi_b32 v2, s16, v3, v2
; %bb.1106:
	s_or_b64 exec, exec, s[4:5]
.LBB241_1107:
	s_or_b64 exec, exec, s[2:3]
                                        ; implicit-def: $vgpr3
.LBB241_1108:
	s_andn2_saveexec_b64 s[2:3], s[14:15]
	s_cbranch_execz .LBB241_1110
; %bb.1109:
	v_sub_f32_e32 v1, v2, v2
	v_div_scale_f32 v2, vcc, v1, v1, v1
	v_rcp_f32_e32 v4, v2
	s_nop 0
	v_fma_f32 v5, -v2, v4, 1.0
	v_fmac_f32_e32 v4, v5, v4
	v_mul_f32_e32 v5, v2, v4
	v_fma_f32 v6, -v2, v5, v2
	v_fmac_f32_e32 v5, v6, v4
	v_fma_f32 v2, -v2, v5, v2
	v_div_fmas_f32 v2, v2, v4, v5
	v_div_fixup_f32 v2, v2, v1, v1
	v_mov_b32_e32 v4, v3
.LBB241_1110:
	s_or_b64 exec, exec, s[2:3]
.LBB241_1111:
	s_or_b64 exec, exec, s[12:13]
.LBB241_1112:
	s_or_b64 exec, exec, s[10:11]
	v_cvt_f16_f32_e32 v5, v2
	v_cvt_f16_f32_e32 v4, v4
	v_mov_b32_e32 v1, 0
	s_and_b32 s16, s73, 0xff
	v_lshlrev_b32_e32 v6, 16, v5
	s_cmp_lt_i32 s16, 11
	s_waitcnt lgkmcnt(0)
	v_lshl_add_u64 v[2:3], s[20:21], 0, v[0:1]
	s_cbranch_scc1 .LBB241_1129
; %bb.1113:
	s_and_b32 s17, 0xffff, s16
	s_mov_b64 s[10:11], -1
	s_cmp_gt_i32 s17, 25
	s_mov_b64 s[2:3], s[54:55]
	s_cbranch_scc0 .LBB241_1147
; %bb.1114:
	s_mov_b64 s[4:5], -1
	s_cmp_gt_i32 s17, 28
	s_mov_b64 s[2:3], s[54:55]
	s_cbranch_scc0 .LBB241_1131
; %bb.1115:
	s_cmp_gt_i32 s17, 43
	s_mov_b64 s[2:3], s[54:55]
	s_cbranch_scc0 .LBB241_1126
; %bb.1116:
	s_cmp_gt_i32 s17, 45
	s_mov_b64 s[2:3], s[54:55]
	s_cbranch_scc0 .LBB241_1120
; %bb.1117:
	s_cmp_eq_u32 s17, 46
	s_mov_b64 s[2:3], -1
	s_cbranch_scc0 .LBB241_1119
; %bb.1118:
	v_cvt_f32_f16_e32 v1, v5
	v_cvt_f32_f16_e32 v0, v4
	s_movk_i32 s2, 0x7fff
	v_cmp_o_f16_e32 vcc, v5, v5
	v_bfe_u32 v8, v1, 16, 1
	v_bfe_u32 v7, v0, 16, 1
	v_add3_u32 v1, v1, v8, s2
	v_add3_u32 v0, v0, v7, s2
	v_and_b32_e32 v1, 0xffff0000, v1
	v_mov_b32_e32 v7, 0x7fc00000
	v_cndmask_b32_e32 v1, v7, v1, vcc
	v_cmp_o_f16_e32 vcc, v4, v4
	v_mov_b32_e32 v7, 0x7fc0
	s_mov_b64 s[2:3], 0
	v_cndmask_b32_sdwa v0, v7, v0, vcc dst_sel:DWORD dst_unused:UNUSED_PAD src0_sel:DWORD src1_sel:WORD_1
	v_or_b32_e32 v0, v1, v0
	global_store_dword v[2:3], v0, off
.LBB241_1119:
	s_mov_b64 s[4:5], 0
.LBB241_1120:
	s_and_b64 vcc, exec, s[4:5]
	s_cbranch_vccz .LBB241_1125
; %bb.1121:
	s_cmp_eq_u32 s17, 44
	s_mov_b64 s[2:3], -1
	s_cbranch_scc0 .LBB241_1125
; %bb.1122:
	v_cvt_f32_f16_e32 v0, v4
	s_movk_i32 s2, 0xff
	v_mov_b32_e32 v7, 0xff
	v_bfe_u32 v1, v0, 23, 8
	v_cmp_ne_u32_e32 vcc, s2, v1
	s_and_saveexec_b64 s[4:5], vcc
; %bb.1123:
	s_mov_b32 s2, 0x3fffff
	v_lshrrev_b32_e32 v7, 23, v0
	v_and_b32_e32 v8, 0x400000, v0
	v_and_or_b32 v0, v0, s2, v1
	v_cmp_ne_u32_e32 vcc, 0, v8
	v_cmp_ne_u32_e64 s[2:3], 0, v0
	s_and_b64 s[2:3], vcc, s[2:3]
	s_nop 0
	v_cndmask_b32_e64 v0, 0, 1, s[2:3]
	v_add_u32_e32 v7, v7, v0
; %bb.1124:
	s_or_b64 exec, exec, s[4:5]
	s_mov_b64 s[2:3], 0
	global_store_byte v[2:3], v7, off
.LBB241_1125:
	s_mov_b64 s[4:5], 0
.LBB241_1126:
	s_and_b64 vcc, exec, s[4:5]
	s_cbranch_vccz .LBB241_1130
; %bb.1127:
	s_cmp_eq_u32 s17, 29
	s_mov_b64 s[2:3], -1
	s_cbranch_scc0 .LBB241_1130
; %bb.1128:
	v_cvt_f32_f16_e32 v0, v4
	v_mov_b32_e32 v1, 0
	s_mov_b64 s[2:3], 0
	s_mov_b64 s[4:5], 0
	v_cvt_u32_f32_e32 v0, v0
	global_store_dwordx2 v[2:3], v[0:1], off
	s_branch .LBB241_1131
.LBB241_1129:
	s_mov_b64 s[10:11], 0
	s_mov_b64 s[4:5], -1
	s_mov_b64 s[2:3], s[54:55]
	s_branch .LBB241_1188
.LBB241_1130:
	s_mov_b64 s[4:5], 0
.LBB241_1131:
	s_and_b64 vcc, exec, s[4:5]
	s_cbranch_vccz .LBB241_1146
; %bb.1132:
	s_cmp_lt_i32 s17, 27
	s_mov_b64 s[4:5], -1
	s_cbranch_scc1 .LBB241_1138
; %bb.1133:
	s_cmp_gt_i32 s17, 27
	s_cbranch_scc0 .LBB241_1135
; %bb.1134:
	v_cvt_f32_f16_e32 v0, v4
	s_mov_b64 s[4:5], 0
	v_cvt_u32_f32_e32 v0, v0
	global_store_dword v[2:3], v0, off
.LBB241_1135:
	s_andn2_b64 vcc, exec, s[4:5]
	s_cbranch_vccnz .LBB241_1137
; %bb.1136:
	v_cvt_u16_f16_e32 v0, v4
	global_store_short v[2:3], v0, off
.LBB241_1137:
	s_mov_b64 s[4:5], 0
.LBB241_1138:
	s_andn2_b64 vcc, exec, s[4:5]
	s_cbranch_vccnz .LBB241_1146
; %bb.1139:
	v_cvt_f32_f16_e32 v0, v4
	s_mov_b32 s4, 0x43800000
	v_mov_b32_e32 v7, 0x80
	v_and_b32_e32 v1, 0x7fffffff, v0
	v_cmp_gt_u32_e32 vcc, s4, v1
	s_and_saveexec_b64 s[4:5], vcc
	s_cbranch_execz .LBB241_1145
; %bb.1140:
	s_mov_b32 s10, 0x3bffffff
	v_cmp_lt_u32_e32 vcc, s10, v1
	s_mov_b64 s[10:11], 0
                                        ; implicit-def: $vgpr1
	s_and_saveexec_b64 s[12:13], vcc
	s_xor_b64 s[12:13], exec, s[12:13]
	s_cbranch_execz .LBB241_1299
; %bb.1141:
	v_bfe_u32 v1, v0, 20, 1
	s_mov_b32 s14, 0x487ffff
	v_add3_u32 v1, v0, v1, s14
	s_mov_b64 s[10:11], exec
	v_lshrrev_b32_e32 v1, 20, v1
	s_andn2_saveexec_b64 s[12:13], s[12:13]
	s_cbranch_execnz .LBB241_1300
.LBB241_1142:
	s_or_b64 exec, exec, s[12:13]
	v_mov_b32_e32 v7, 0
	s_and_saveexec_b64 s[12:13], s[10:11]
.LBB241_1143:
	v_lshrrev_b32_e32 v0, 24, v0
	s_movk_i32 s10, 0x80
	v_and_or_b32 v7, v0, s10, v1
.LBB241_1144:
	s_or_b64 exec, exec, s[12:13]
.LBB241_1145:
	s_or_b64 exec, exec, s[4:5]
	global_store_byte v[2:3], v7, off
.LBB241_1146:
	s_mov_b64 s[10:11], 0
.LBB241_1147:
	s_mov_b64 s[4:5], 0
	s_and_b64 vcc, exec, s[10:11]
	s_cbranch_vccz .LBB241_1187
; %bb.1148:
	s_cmp_gt_i32 s17, 22
	s_mov_b64 s[10:11], -1
	s_cbranch_scc0 .LBB241_1180
; %bb.1149:
	s_cmp_lt_i32 s17, 24
	s_cbranch_scc1 .LBB241_1169
; %bb.1150:
	s_cmp_gt_i32 s17, 24
	s_cbranch_scc0 .LBB241_1158
; %bb.1151:
	v_cvt_f32_f16_e32 v0, v4
	s_mov_b32 s10, 0x47800000
	v_mov_b32_e32 v7, 0x80
	v_and_b32_e32 v1, 0x7fffffff, v0
	v_cmp_gt_u32_e32 vcc, s10, v1
	s_and_saveexec_b64 s[10:11], vcc
	s_cbranch_execz .LBB241_1157
; %bb.1152:
	s_mov_b32 s12, 0x37ffffff
	v_cmp_lt_u32_e32 vcc, s12, v1
	s_mov_b64 s[12:13], 0
                                        ; implicit-def: $vgpr1
	s_and_saveexec_b64 s[14:15], vcc
	s_xor_b64 s[14:15], exec, s[14:15]
	s_cbranch_execz .LBB241_1459
; %bb.1153:
	v_bfe_u32 v1, v0, 21, 1
	s_mov_b32 s18, 0x88fffff
	v_add3_u32 v1, v0, v1, s18
	s_mov_b64 s[12:13], exec
	v_lshrrev_b32_e32 v1, 21, v1
	s_andn2_saveexec_b64 s[14:15], s[14:15]
	s_cbranch_execnz .LBB241_1460
.LBB241_1154:
	s_or_b64 exec, exec, s[14:15]
	v_mov_b32_e32 v7, 0
	s_and_saveexec_b64 s[14:15], s[12:13]
.LBB241_1155:
	v_lshrrev_b32_e32 v0, 24, v0
	s_movk_i32 s12, 0x80
	v_and_or_b32 v7, v0, s12, v1
.LBB241_1156:
	s_or_b64 exec, exec, s[14:15]
.LBB241_1157:
	s_or_b64 exec, exec, s[10:11]
	s_mov_b64 s[10:11], 0
	global_store_byte v[2:3], v7, off
.LBB241_1158:
	s_and_b64 vcc, exec, s[10:11]
	s_cbranch_vccz .LBB241_1168
; %bb.1159:
	v_cvt_f32_f16_e32 v0, v4
	s_mov_b32 s10, 0x43f00000
                                        ; implicit-def: $vgpr1
	v_and_b32_e32 v7, 0x7fffffff, v0
	v_cmp_gt_u32_e32 vcc, s10, v7
	s_and_saveexec_b64 s[10:11], vcc
	s_xor_b64 s[10:11], exec, s[10:11]
	s_cbranch_execz .LBB241_1165
; %bb.1160:
	s_mov_b32 s12, 0x3c7fffff
	v_cmp_lt_u32_e32 vcc, s12, v7
                                        ; implicit-def: $vgpr1
	s_and_saveexec_b64 s[12:13], vcc
	s_xor_b64 s[12:13], exec, s[12:13]
; %bb.1161:
	v_bfe_u32 v1, v0, 20, 1
	s_mov_b32 s14, 0x407ffff
	v_add3_u32 v1, v0, v1, s14
	v_lshrrev_b32_e32 v7, 20, v1
	v_and_b32_e32 v1, 0xff00000, v1
	s_mov_b32 s14, 0x7f00000
	v_mov_b32_e32 v8, 0x7e
	v_cmp_ne_u32_e32 vcc, s14, v1
	s_nop 1
	v_cndmask_b32_e32 v1, v8, v7, vcc
; %bb.1162:
	s_andn2_saveexec_b64 s[12:13], s[12:13]
; %bb.1163:
	s_mov_b32 s14, 0x46800000
	v_add_f32_e64 v1, |v0|, s14
; %bb.1164:
	s_or_b64 exec, exec, s[12:13]
                                        ; implicit-def: $vgpr7
.LBB241_1165:
	s_andn2_saveexec_b64 s[10:11], s[10:11]
; %bb.1166:
	s_mov_b32 s12, 0x7f800000
	v_mov_b32_e32 v1, 0x7e
	v_mov_b32_e32 v8, 0x7f
	v_cmp_lt_u32_e32 vcc, s12, v7
	s_nop 1
	v_cndmask_b32_e32 v1, v1, v8, vcc
; %bb.1167:
	s_or_b64 exec, exec, s[10:11]
	v_lshrrev_b32_e32 v0, 24, v0
	s_movk_i32 s10, 0x80
	v_and_or_b32 v0, v0, s10, v1
	global_store_byte v[2:3], v0, off
.LBB241_1168:
	s_mov_b64 s[10:11], 0
.LBB241_1169:
	s_andn2_b64 vcc, exec, s[10:11]
	s_cbranch_vccnz .LBB241_1179
; %bb.1170:
	v_cvt_f32_f16_e32 v0, v4
	s_mov_b32 s10, 0x47800000
                                        ; implicit-def: $vgpr1
	v_and_b32_e32 v7, 0x7fffffff, v0
	v_cmp_gt_u32_e32 vcc, s10, v7
	s_and_saveexec_b64 s[10:11], vcc
	s_xor_b64 s[10:11], exec, s[10:11]
	s_cbranch_execz .LBB241_1176
; %bb.1171:
	s_mov_b32 s12, 0x387fffff
	v_cmp_lt_u32_e32 vcc, s12, v7
                                        ; implicit-def: $vgpr1
	s_and_saveexec_b64 s[12:13], vcc
	s_xor_b64 s[12:13], exec, s[12:13]
; %bb.1172:
	v_bfe_u32 v1, v0, 21, 1
	s_mov_b32 s14, 0x80fffff
	v_add3_u32 v1, v0, v1, s14
	v_lshrrev_b32_e32 v1, 21, v1
; %bb.1173:
	s_andn2_saveexec_b64 s[12:13], s[12:13]
; %bb.1174:
	s_mov_b32 s14, 0x43000000
	v_add_f32_e64 v1, |v0|, s14
; %bb.1175:
	s_or_b64 exec, exec, s[12:13]
                                        ; implicit-def: $vgpr7
.LBB241_1176:
	s_andn2_saveexec_b64 s[10:11], s[10:11]
; %bb.1177:
	s_mov_b32 s12, 0x7f800000
	v_mov_b32_e32 v1, 0x7c
	v_mov_b32_e32 v8, 0x7f
	v_cmp_lt_u32_e32 vcc, s12, v7
	s_nop 1
	v_cndmask_b32_e32 v1, v1, v8, vcc
; %bb.1178:
	s_or_b64 exec, exec, s[10:11]
	v_lshrrev_b32_e32 v0, 24, v0
	s_movk_i32 s10, 0x80
	v_and_or_b32 v0, v0, s10, v1
	global_store_byte v[2:3], v0, off
.LBB241_1179:
	s_mov_b64 s[10:11], 0
.LBB241_1180:
	s_andn2_b64 vcc, exec, s[10:11]
	s_mov_b64 s[10:11], 0
	s_cbranch_vccnz .LBB241_1188
; %bb.1181:
	s_cmp_gt_i32 s17, 14
	s_mov_b64 s[12:13], -1
	s_cbranch_scc0 .LBB241_1185
; %bb.1182:
	s_cmp_eq_u32 s17, 15
	s_mov_b64 s[2:3], -1
	s_cbranch_scc0 .LBB241_1184
; %bb.1183:
	v_cvt_f32_f16_e32 v0, v4
	s_movk_i32 s2, 0x7fff
	v_cmp_o_f16_e32 vcc, v4, v4
	v_mov_b32_e32 v1, 0x7fc0
	v_bfe_u32 v7, v0, 16, 1
	v_add3_u32 v0, v0, v7, s2
	v_cndmask_b32_sdwa v0, v1, v0, vcc dst_sel:DWORD dst_unused:UNUSED_PAD src0_sel:DWORD src1_sel:WORD_1
	global_store_short v[2:3], v0, off
	s_mov_b64 s[2:3], 0
.LBB241_1184:
	s_mov_b64 s[12:13], 0
.LBB241_1185:
	s_and_b64 vcc, exec, s[12:13]
	s_cbranch_vccz .LBB241_1188
; %bb.1186:
	s_cmp_lg_u32 s17, 11
	s_cselect_b64 s[12:13], -1, 0
	s_andn2_b64 s[2:3], s[2:3], exec
	s_and_b64 s[12:13], s[12:13], exec
	s_mov_b64 s[10:11], -1
	s_or_b64 s[2:3], s[2:3], s[12:13]
	s_branch .LBB241_1188
.LBB241_1187:
	s_mov_b64 s[10:11], 0
.LBB241_1188:
	s_andn2_b64 s[12:13], s[54:55], exec
	s_and_b64 s[2:3], s[2:3], exec
	v_or_b32_e32 v7, v6, v4
	s_and_b64 s[4:5], s[4:5], exec
	s_and_b64 s[10:11], s[10:11], exec
	s_or_b64 s[54:55], s[12:13], s[2:3]
	s_or_b64 exec, exec, s[8:9]
	s_and_saveexec_b64 s[2:3], s[54:55]
	s_cbranch_execz .LBB241_1092
.LBB241_1189:
	s_or_b64 s[6:7], s[6:7], exec
	s_andn2_b64 s[10:11], s[10:11], exec
	s_trap 2
	s_or_b64 exec, exec, s[2:3]
	s_and_saveexec_b64 s[2:3], s[10:11]
	s_xor_b64 s[2:3], exec, s[2:3]
	s_cbranch_execnz .LBB241_1093
.LBB241_1190:
	s_or_b64 exec, exec, s[2:3]
	s_and_saveexec_b64 s[2:3], s[4:5]
	s_xor_b64 s[2:3], exec, s[2:3]
	s_cbranch_execz .LBB241_1228
.LBB241_1191:
	s_sext_i32_i16 s8, s16
	s_cmp_lt_i32 s8, 5
	s_mov_b64 s[4:5], -1
	s_cbranch_scc1 .LBB241_1212
; %bb.1192:
	s_cmp_lt_i32 s8, 8
	s_cbranch_scc1 .LBB241_1202
; %bb.1193:
	s_cmp_lt_i32 s8, 9
	s_cbranch_scc1 .LBB241_1199
; %bb.1194:
	s_cmp_gt_i32 s8, 9
	s_cbranch_scc0 .LBB241_1196
; %bb.1195:
	v_cvt_f32_f16_e32 v0, v4
	s_waitcnt vmcnt(0)
	v_cvt_f32_f16_e32 v1, v5
	s_mov_b64 s[4:5], 0
	v_cvt_f64_f32_e32 v[8:9], v0
	v_cvt_f64_f32_e32 v[10:11], v1
	global_store_dwordx4 v[2:3], v[8:11], off
.LBB241_1196:
	s_andn2_b64 vcc, exec, s[4:5]
	s_cbranch_vccnz .LBB241_1198
; %bb.1197:
	v_cvt_f32_f16_e32 v0, v4
	s_waitcnt vmcnt(0)
	v_cvt_f32_f16_e32 v1, v5
	global_store_dwordx2 v[2:3], v[0:1], off
.LBB241_1198:
	s_mov_b64 s[4:5], 0
.LBB241_1199:
	s_andn2_b64 vcc, exec, s[4:5]
	s_cbranch_vccnz .LBB241_1201
; %bb.1200:
	global_store_dword v[2:3], v7, off
.LBB241_1201:
	s_mov_b64 s[4:5], 0
.LBB241_1202:
	s_andn2_b64 vcc, exec, s[4:5]
	s_cbranch_vccnz .LBB241_1211
; %bb.1203:
	s_sext_i32_i16 s8, s16
	s_cmp_lt_i32 s8, 6
	s_mov_b64 s[4:5], -1
	s_cbranch_scc1 .LBB241_1209
; %bb.1204:
	s_cmp_gt_i32 s8, 6
	s_cbranch_scc0 .LBB241_1206
; %bb.1205:
	v_cvt_f32_f16_e32 v0, v4
	s_mov_b64 s[4:5], 0
	s_waitcnt vmcnt(0)
	v_cvt_f64_f32_e32 v[0:1], v0
	global_store_dwordx2 v[2:3], v[0:1], off
.LBB241_1206:
	s_andn2_b64 vcc, exec, s[4:5]
	s_cbranch_vccnz .LBB241_1208
; %bb.1207:
	v_cvt_f32_f16_e32 v0, v4
	global_store_dword v[2:3], v0, off
.LBB241_1208:
	s_mov_b64 s[4:5], 0
.LBB241_1209:
	s_andn2_b64 vcc, exec, s[4:5]
	s_cbranch_vccnz .LBB241_1211
; %bb.1210:
	global_store_short v[2:3], v4, off
.LBB241_1211:
	s_mov_b64 s[4:5], 0
.LBB241_1212:
	s_andn2_b64 vcc, exec, s[4:5]
	s_cbranch_vccnz .LBB241_1228
; %bb.1213:
	s_sext_i32_i16 s8, s16
	s_cmp_lt_i32 s8, 2
	s_mov_b64 s[4:5], -1
	s_cbranch_scc1 .LBB241_1223
; %bb.1214:
	s_cmp_lt_i32 s8, 3
	s_cbranch_scc1 .LBB241_1220
; %bb.1215:
	s_cmp_gt_i32 s8, 3
	s_cbranch_scc0 .LBB241_1217
; %bb.1216:
	v_cvt_f32_f16_e32 v0, v4
	s_mov_b64 s[4:5], 0
	v_cvt_i32_f32_e32 v0, v0
	s_waitcnt vmcnt(0)
	v_ashrrev_i32_e32 v1, 31, v0
	global_store_dwordx2 v[2:3], v[0:1], off
.LBB241_1217:
	s_andn2_b64 vcc, exec, s[4:5]
	s_cbranch_vccnz .LBB241_1219
; %bb.1218:
	v_cvt_f32_f16_e32 v0, v4
	v_cvt_i32_f32_e32 v0, v0
	global_store_dword v[2:3], v0, off
.LBB241_1219:
	s_mov_b64 s[4:5], 0
.LBB241_1220:
	s_andn2_b64 vcc, exec, s[4:5]
	s_cbranch_vccnz .LBB241_1222
; %bb.1221:
	v_cvt_i16_f16_e32 v0, v4
	global_store_short v[2:3], v0, off
.LBB241_1222:
	s_mov_b64 s[4:5], 0
.LBB241_1223:
	s_andn2_b64 vcc, exec, s[4:5]
	s_cbranch_vccnz .LBB241_1228
; %bb.1224:
	s_sext_i32_i16 s4, s16
	s_cmp_gt_i32 s4, 0
	s_mov_b64 s[4:5], -1
	s_cbranch_scc0 .LBB241_1226
; %bb.1225:
	v_cvt_i16_f16_e32 v0, v4
	s_mov_b64 s[4:5], 0
	global_store_byte v[2:3], v0, off
.LBB241_1226:
	s_andn2_b64 vcc, exec, s[4:5]
	s_cbranch_vccnz .LBB241_1228
; %bb.1227:
	v_cvt_f32_f16_e32 v0, v4
	v_cvt_i32_f32_e32 v0, v0
	global_store_byte v[2:3], v0, off
.LBB241_1228:
	s_or_b64 exec, exec, s[2:3]
	s_waitcnt lgkmcnt(0)
	s_and_b64 s[24:25], s[6:7], exec
                                        ; implicit-def: $vgpr16
                                        ; implicit-def: $vgpr8
.LBB241_1229:
	s_or_saveexec_b64 s[26:27], s[44:45]
	s_mov_b64 s[4:5], 0
                                        ; implicit-def: $vgpr0_vgpr1
                                        ; implicit-def: $sgpr14
                                        ; implicit-def: $vgpr4
                                        ; implicit-def: $vgpr3
                                        ; implicit-def: $vgpr2
	s_xor_b64 exec, exec, s[26:27]
	s_cbranch_execz .LBB241_2373
; %bb.1230:
	v_cndmask_b32_e64 v0, 0, 1, s[42:43]
	v_cmp_ne_u32_e64 s[2:3], 1, v0
	s_andn2_b64 vcc, exec, s[42:43]
	s_cbranch_vccnz .LBB241_1236
; %bb.1231:
	s_cmp_lg_u32 s33, 0
	s_mov_b32 s36, 0
	s_cbranch_scc0 .LBB241_1237
; %bb.1232:
	s_min_u32 s37, s72, 15
	s_add_i32 s37, s37, 1
	s_cmp_eq_u32 s72, 2
	s_cbranch_scc1 .LBB241_1238
; %bb.1233:
	s_and_b32 s36, s37, 28
	s_add_u32 s28, s34, 0xc4
	s_addc_u32 s29, s35, 0
	s_mov_b32 s38, 0
	v_mov_b32_e32 v6, 0
	v_mov_b32_e32 v14, 0
	s_mov_b64 s[30:31], s[34:35]
	v_mov_b32_e32 v0, v8
.LBB241_1234:                           ; =>This Inner Loop Header: Depth=1
	s_load_dwordx8 s[12:19], s[30:31], 0x4
	s_load_dwordx4 s[20:23], s[30:31], 0x24
	s_load_dwordx8 s[4:11], s[28:29], 0x0
	s_add_u32 s30, s30, 48
	s_addc_u32 s31, s31, 0
	s_waitcnt vmcnt(0) lgkmcnt(0)
	v_mul_hi_u32 v1, s13, v0
	v_add_u32_e32 v1, v0, v1
	v_lshrrev_b32_e32 v1, s14, v1
	v_mul_lo_u32 v2, v1, s12
	v_mul_hi_u32 v3, s16, v1
	v_sub_u32_e32 v0, v0, v2
	v_add_u32_e32 v2, v1, v3
	v_lshrrev_b32_e32 v2, s17, v2
	v_mul_lo_u32 v4, v2, s15
	v_mul_hi_u32 v5, s19, v2
	v_sub_u32_e32 v1, v1, v4
	v_add_u32_e32 v4, v2, v5
	v_mul_lo_u32 v3, v0, s5
	v_mul_lo_u32 v0, v0, s4
	v_mul_lo_u32 v5, v1, s7
	v_mul_lo_u32 v1, v1, s6
	v_lshrrev_b32_e32 v4, s20, v4
	v_add3_u32 v1, v0, v6, v1
	v_add3_u32 v3, v3, v14, v5
	v_mul_lo_u32 v0, v4, s18
	v_mul_hi_u32 v5, s22, v4
	v_sub_u32_e32 v0, v2, v0
	v_add_u32_e32 v2, v4, v5
	v_mul_lo_u32 v5, v0, s8
	v_mul_lo_u32 v6, v0, s9
	v_lshrrev_b32_e32 v0, s23, v2
	s_add_i32 s38, s38, 4
	v_mul_lo_u32 v2, v0, s21
	s_add_u32 s28, s28, 32
	v_sub_u32_e32 v2, v4, v2
	s_addc_u32 s29, s29, 0
	v_mul_lo_u32 v4, v2, s10
	v_mul_lo_u32 v2, v2, s11
	s_cmp_lg_u32 s36, s38
	v_add3_u32 v14, v6, v3, v2
	v_add3_u32 v6, v5, v1, v4
	s_cbranch_scc1 .LBB241_1234
; %bb.1235:
	v_mov_b32_e32 v1, v14
	s_and_b32 s8, s37, 3
	s_cmp_eq_u32 s8, 0
	s_cbranch_scc0 .LBB241_1239
	s_branch .LBB241_1241
.LBB241_1236:
                                        ; implicit-def: $vgpr14
                                        ; implicit-def: $vgpr6
	s_branch .LBB241_1242
.LBB241_1237:
	v_mov_b32_e32 v14, 0
	v_mov_b32_e32 v6, 0
	s_branch .LBB241_1241
.LBB241_1238:
	v_mov_b32_e32 v6, 0
                                        ; implicit-def: $vgpr14
	s_waitcnt vmcnt(0)
	v_mov_b32_e32 v1, v6
	v_mov_b32_e32 v0, v8
	s_and_b32 s8, s37, 3
	s_cmp_eq_u32 s8, 0
	s_cbranch_scc1 .LBB241_1241
.LBB241_1239:
	s_lshl_b32 s4, s36, 3
	s_add_u32 s4, s34, s4
	s_addc_u32 s5, s35, 0
	s_add_u32 s4, s4, 0xc4
	s_addc_u32 s5, s5, 0
	s_mul_i32 s6, s36, 12
	s_add_u32 s6, s34, s6
	s_addc_u32 s7, s35, 0
.LBB241_1240:                           ; =>This Inner Loop Header: Depth=1
	s_load_dwordx2 s[10:11], s[6:7], 0x4
	s_load_dword s9, s[6:7], 0xc
	s_load_dwordx2 s[12:13], s[4:5], 0x0
	v_mov_b32_e32 v2, v1
	s_add_u32 s6, s6, 12
	s_waitcnt lgkmcnt(0)
	v_mul_hi_u32 v1, s11, v0
	v_add_u32_e32 v1, v0, v1
	v_lshrrev_b32_e32 v1, s9, v1
	s_addc_u32 s7, s7, 0
	v_mul_lo_u32 v3, v1, s10
	s_add_u32 s4, s4, 8
	v_sub_u32_e32 v3, v0, v3
	s_addc_u32 s5, s5, 0
	s_add_i32 s8, s8, -1
	v_mad_u64_u32 v[14:15], s[10:11], v3, s13, v[2:3]
	s_cmp_lg_u32 s8, 0
	v_mov_b32_e32 v0, v1
	v_mad_u64_u32 v[6:7], s[10:11], v3, s12, v[6:7]
	v_mov_b32_e32 v1, v14
	s_cbranch_scc1 .LBB241_1240
.LBB241_1241:
	s_cbranch_execnz .LBB241_1244
.LBB241_1242:
	s_load_dwordx4 s[4:7], s[34:35], 0x4
	s_load_dwordx2 s[8:9], s[34:35], 0xc4
	s_cmp_lt_u32 s33, 2
	s_waitcnt lgkmcnt(0)
	v_mul_hi_u32 v0, s5, v8
	v_add_u32_e32 v0, v8, v0
	v_lshrrev_b32_e32 v0, s6, v0
	s_waitcnt vmcnt(0)
	v_mul_lo_u32 v1, v0, s4
	v_sub_u32_e32 v1, v8, v1
	v_mul_lo_u32 v14, v1, s9
	v_mul_lo_u32 v6, v1, s8
	s_cbranch_scc1 .LBB241_1244
; %bb.1243:
	s_load_dwordx4 s[4:7], s[34:35], 0x10
	s_load_dwordx2 s[8:9], s[34:35], 0xcc
	s_waitcnt lgkmcnt(0)
	v_mul_hi_u32 v1, s5, v0
	v_add_u32_e32 v1, v0, v1
	v_lshrrev_b32_e32 v1, s6, v1
	v_mul_lo_u32 v1, v1, s4
	v_sub_u32_e32 v0, v0, v1
	v_mad_u64_u32 v[6:7], s[4:5], v0, s8, v[6:7]
	v_mad_u64_u32 v[14:15], s[4:5], v0, s9, v[14:15]
.LBB241_1244:
	s_and_b64 vcc, exec, s[2:3]
	v_add_u32_e32 v0, 0x80, v8
	s_cbranch_vccnz .LBB241_1250
; %bb.1245:
	s_cmp_lg_u32 s33, 0
	s_mov_b32 s36, 0
	s_cbranch_scc0 .LBB241_1251
; %bb.1246:
	s_min_u32 s37, s72, 15
	s_add_i32 s37, s37, 1
	s_cmp_eq_u32 s72, 2
	s_cbranch_scc1 .LBB241_1252
; %bb.1247:
	s_and_b32 s36, s37, 28
	s_add_u32 s28, s34, 0xc4
	s_addc_u32 s29, s35, 0
	s_mov_b32 s38, 0
	v_mov_b32_e32 v4, 0
	v_mov_b32_e32 v12, 0
	s_mov_b64 s[30:31], s[34:35]
	v_mov_b32_e32 v2, v0
.LBB241_1248:                           ; =>This Inner Loop Header: Depth=1
	s_load_dwordx8 s[12:19], s[30:31], 0x4
	s_load_dwordx4 s[20:23], s[30:31], 0x24
	s_load_dwordx8 s[4:11], s[28:29], 0x0
	s_add_u32 s30, s30, 48
	s_addc_u32 s31, s31, 0
	s_waitcnt vmcnt(0) lgkmcnt(0)
	v_mul_hi_u32 v1, s13, v2
	v_add_u32_e32 v1, v2, v1
	v_lshrrev_b32_e32 v1, s14, v1
	v_mul_lo_u32 v3, v1, s12
	v_mul_hi_u32 v5, s16, v1
	v_sub_u32_e32 v2, v2, v3
	v_add_u32_e32 v3, v1, v5
	v_lshrrev_b32_e32 v3, s17, v3
	v_mul_lo_u32 v7, v3, s15
	v_mul_hi_u32 v9, s19, v3
	v_sub_u32_e32 v1, v1, v7
	v_add_u32_e32 v7, v3, v9
	v_mul_lo_u32 v5, v2, s5
	v_mul_lo_u32 v2, v2, s4
	;; [unrolled: 1-line block ×4, first 2 shown]
	v_lshrrev_b32_e32 v7, s20, v7
	v_add3_u32 v1, v2, v4, v1
	v_add3_u32 v4, v5, v12, v9
	v_mul_lo_u32 v2, v7, s18
	v_mul_hi_u32 v5, s22, v7
	v_sub_u32_e32 v2, v3, v2
	v_add_u32_e32 v3, v7, v5
	v_mul_lo_u32 v5, v2, s8
	v_mul_lo_u32 v9, v2, s9
	v_lshrrev_b32_e32 v2, s23, v3
	s_add_i32 s38, s38, 4
	v_mul_lo_u32 v3, v2, s21
	s_add_u32 s28, s28, 32
	v_sub_u32_e32 v3, v7, v3
	s_addc_u32 s29, s29, 0
	v_mul_lo_u32 v7, v3, s10
	v_mul_lo_u32 v3, v3, s11
	s_cmp_lg_u32 s36, s38
	v_add3_u32 v12, v9, v4, v3
	v_add3_u32 v4, v5, v1, v7
	s_cbranch_scc1 .LBB241_1248
; %bb.1249:
	v_mov_b32_e32 v1, v12
	s_and_b32 s8, s37, 3
	s_cmp_eq_u32 s8, 0
	s_cbranch_scc0 .LBB241_1253
	s_branch .LBB241_1255
.LBB241_1250:
                                        ; implicit-def: $vgpr12
                                        ; implicit-def: $vgpr4
	s_branch .LBB241_1256
.LBB241_1251:
	v_mov_b32_e32 v12, 0
	v_mov_b32_e32 v4, 0
	s_branch .LBB241_1255
.LBB241_1252:
	v_mov_b32_e32 v4, 0
                                        ; implicit-def: $vgpr12
	s_waitcnt vmcnt(0)
	v_mov_b32_e32 v1, v4
	v_mov_b32_e32 v2, v0
	s_and_b32 s8, s37, 3
	s_cmp_eq_u32 s8, 0
	s_cbranch_scc1 .LBB241_1255
.LBB241_1253:
	s_lshl_b32 s4, s36, 3
	s_add_u32 s4, s34, s4
	s_addc_u32 s5, s35, 0
	s_add_u32 s4, s4, 0xc4
	s_addc_u32 s5, s5, 0
	s_mul_i32 s6, s36, 12
	s_add_u32 s6, s34, s6
	s_addc_u32 s7, s35, 0
.LBB241_1254:                           ; =>This Inner Loop Header: Depth=1
	s_load_dwordx2 s[10:11], s[6:7], 0x4
	s_load_dword s9, s[6:7], 0xc
	s_load_dwordx2 s[12:13], s[4:5], 0x0
	v_mov_b32_e32 v10, v1
	s_add_u32 s6, s6, 12
	s_waitcnt lgkmcnt(0)
	v_mul_hi_u32 v1, s11, v2
	v_add_u32_e32 v1, v2, v1
	v_lshrrev_b32_e32 v1, s9, v1
	s_addc_u32 s7, s7, 0
	v_mul_lo_u32 v3, v1, s10
	s_add_u32 s4, s4, 8
	v_sub_u32_e32 v3, v2, v3
	s_addc_u32 s5, s5, 0
	s_add_i32 s8, s8, -1
	v_mad_u64_u32 v[12:13], s[10:11], v3, s13, v[10:11]
	s_cmp_lg_u32 s8, 0
	v_mov_b32_e32 v2, v1
	v_mad_u64_u32 v[4:5], s[10:11], v3, s12, v[4:5]
	v_mov_b32_e32 v1, v12
	s_cbranch_scc1 .LBB241_1254
.LBB241_1255:
	s_cbranch_execnz .LBB241_1258
.LBB241_1256:
	s_load_dwordx4 s[4:7], s[34:35], 0x4
	s_load_dwordx2 s[8:9], s[34:35], 0xc4
	s_cmp_lt_u32 s33, 2
	s_waitcnt vmcnt(0) lgkmcnt(0)
	v_mul_hi_u32 v1, s5, v0
	v_add_u32_e32 v1, v0, v1
	v_lshrrev_b32_e32 v1, s6, v1
	v_mul_lo_u32 v2, v1, s4
	v_sub_u32_e32 v0, v0, v2
	v_mul_lo_u32 v12, v0, s9
	v_mul_lo_u32 v4, v0, s8
	s_cbranch_scc1 .LBB241_1258
; %bb.1257:
	s_load_dwordx4 s[4:7], s[34:35], 0x10
	s_load_dwordx2 s[8:9], s[34:35], 0xcc
	s_waitcnt lgkmcnt(0)
	v_mul_hi_u32 v0, s5, v1
	v_add_u32_e32 v0, v1, v0
	v_lshrrev_b32_e32 v0, s6, v0
	v_mul_lo_u32 v0, v0, s4
	v_sub_u32_e32 v0, v1, v0
	v_mad_u64_u32 v[4:5], s[4:5], v0, s8, v[4:5]
	v_mad_u64_u32 v[12:13], s[4:5], v0, s9, v[12:13]
.LBB241_1258:
	s_and_b64 vcc, exec, s[2:3]
	v_add_u32_e32 v0, 0x100, v8
	s_cbranch_vccnz .LBB241_1264
; %bb.1259:
	s_cmp_lg_u32 s33, 0
	s_mov_b32 s36, 0
	s_cbranch_scc0 .LBB241_1265
; %bb.1260:
	s_min_u32 s37, s72, 15
	s_add_i32 s37, s37, 1
	s_cmp_eq_u32 s72, 2
	s_cbranch_scc1 .LBB241_1266
; %bb.1261:
	s_and_b32 s36, s37, 28
	s_add_u32 s28, s34, 0xc4
	s_addc_u32 s29, s35, 0
	s_mov_b32 s38, 0
	v_mov_b32_e32 v2, 0
	v_mov_b32_e32 v10, 0
	s_mov_b64 s[30:31], s[34:35]
	v_mov_b32_e32 v5, v0
.LBB241_1262:                           ; =>This Inner Loop Header: Depth=1
	s_load_dwordx8 s[12:19], s[30:31], 0x4
	s_load_dwordx4 s[20:23], s[30:31], 0x24
	s_load_dwordx8 s[4:11], s[28:29], 0x0
	s_add_u32 s30, s30, 48
	s_addc_u32 s31, s31, 0
	s_waitcnt vmcnt(0) lgkmcnt(0)
	v_mul_hi_u32 v1, s13, v5
	v_add_u32_e32 v1, v5, v1
	v_lshrrev_b32_e32 v1, s14, v1
	v_mul_lo_u32 v3, v1, s12
	v_mul_hi_u32 v7, s16, v1
	v_sub_u32_e32 v3, v5, v3
	v_add_u32_e32 v5, v1, v7
	v_lshrrev_b32_e32 v5, s17, v5
	v_mul_lo_u32 v8, v5, s15
	v_mul_hi_u32 v9, s19, v5
	v_sub_u32_e32 v1, v1, v8
	v_add_u32_e32 v8, v5, v9
	v_mul_lo_u32 v7, v3, s5
	v_mul_lo_u32 v3, v3, s4
	;; [unrolled: 1-line block ×4, first 2 shown]
	v_lshrrev_b32_e32 v8, s20, v8
	v_add3_u32 v1, v3, v2, v1
	v_add3_u32 v2, v7, v10, v9
	v_mul_lo_u32 v3, v8, s18
	v_mul_hi_u32 v7, s22, v8
	v_sub_u32_e32 v3, v5, v3
	v_add_u32_e32 v5, v8, v7
	v_lshrrev_b32_e32 v5, s23, v5
	s_add_i32 s38, s38, 4
	v_mul_lo_u32 v9, v5, s21
	s_add_u32 s28, s28, 32
	v_sub_u32_e32 v8, v8, v9
	s_addc_u32 s29, s29, 0
	v_mul_lo_u32 v7, v3, s8
	v_mul_lo_u32 v3, v3, s9
	;; [unrolled: 1-line block ×4, first 2 shown]
	s_cmp_lg_u32 s36, s38
	v_add3_u32 v10, v3, v2, v8
	v_add3_u32 v2, v7, v1, v9
	s_cbranch_scc1 .LBB241_1262
; %bb.1263:
	v_mov_b32_e32 v1, v10
	s_and_b32 s8, s37, 3
	s_cmp_eq_u32 s8, 0
	s_cbranch_scc0 .LBB241_1267
	s_branch .LBB241_1269
.LBB241_1264:
                                        ; implicit-def: $vgpr10
                                        ; implicit-def: $vgpr2
	s_branch .LBB241_1270
.LBB241_1265:
	v_mov_b32_e32 v10, 0
	v_mov_b32_e32 v2, 0
	s_branch .LBB241_1269
.LBB241_1266:
	v_mov_b32_e32 v2, 0
                                        ; implicit-def: $vgpr10
	s_waitcnt vmcnt(0)
	v_mov_b32_e32 v1, v2
	v_mov_b32_e32 v5, v0
	s_and_b32 s8, s37, 3
	s_cmp_eq_u32 s8, 0
	s_cbranch_scc1 .LBB241_1269
.LBB241_1267:
	s_lshl_b32 s4, s36, 3
	s_add_u32 s4, s34, s4
	s_addc_u32 s5, s35, 0
	s_add_u32 s4, s4, 0xc4
	s_addc_u32 s5, s5, 0
	s_mul_i32 s6, s36, 12
	s_add_u32 s6, s34, s6
	s_addc_u32 s7, s35, 0
.LBB241_1268:                           ; =>This Inner Loop Header: Depth=1
	s_load_dwordx2 s[10:11], s[6:7], 0x4
	s_load_dword s9, s[6:7], 0xc
	s_load_dwordx2 s[12:13], s[4:5], 0x0
	v_mov_b32_e32 v8, v1
	s_add_u32 s6, s6, 12
	s_waitcnt lgkmcnt(0)
	v_mul_hi_u32 v1, s11, v5
	v_add_u32_e32 v1, v5, v1
	v_lshrrev_b32_e32 v1, s9, v1
	s_addc_u32 s7, s7, 0
	v_mul_lo_u32 v3, v1, s10
	s_add_u32 s4, s4, 8
	v_sub_u32_e32 v3, v5, v3
	s_addc_u32 s5, s5, 0
	s_add_i32 s8, s8, -1
	v_mad_u64_u32 v[10:11], s[10:11], v3, s13, v[8:9]
	s_cmp_lg_u32 s8, 0
	v_mov_b32_e32 v5, v1
	v_mad_u64_u32 v[2:3], s[10:11], v3, s12, v[2:3]
	v_mov_b32_e32 v1, v10
	s_cbranch_scc1 .LBB241_1268
.LBB241_1269:
	s_cbranch_execnz .LBB241_1272
.LBB241_1270:
	s_load_dwordx4 s[4:7], s[34:35], 0x4
	s_load_dwordx2 s[8:9], s[34:35], 0xc4
	s_cmp_lt_u32 s33, 2
	s_waitcnt vmcnt(0) lgkmcnt(0)
	v_mul_hi_u32 v1, s5, v0
	v_add_u32_e32 v1, v0, v1
	v_lshrrev_b32_e32 v1, s6, v1
	v_mul_lo_u32 v2, v1, s4
	v_sub_u32_e32 v0, v0, v2
	v_mul_lo_u32 v10, v0, s9
	v_mul_lo_u32 v2, v0, s8
	s_cbranch_scc1 .LBB241_1272
; %bb.1271:
	s_load_dwordx4 s[4:7], s[34:35], 0x10
	s_load_dwordx2 s[8:9], s[34:35], 0xcc
	s_waitcnt lgkmcnt(0)
	v_mul_hi_u32 v0, s5, v1
	v_add_u32_e32 v0, v1, v0
	v_lshrrev_b32_e32 v0, s6, v0
	v_mul_lo_u32 v0, v0, s4
	v_sub_u32_e32 v0, v1, v0
	v_mad_u64_u32 v[2:3], s[4:5], v0, s8, v[2:3]
	v_mad_u64_u32 v[10:11], s[4:5], v0, s9, v[10:11]
.LBB241_1272:
	s_and_b64 vcc, exec, s[2:3]
	s_cbranch_vccnz .LBB241_1278
; %bb.1273:
	s_cmp_lg_u32 s33, 0
	s_mov_b32 s30, 0
	s_cbranch_scc0 .LBB241_1279
; %bb.1274:
	s_min_u32 s31, s72, 15
	s_add_i32 s31, s31, 1
	s_cmp_eq_u32 s72, 2
	s_cbranch_scc1 .LBB241_1280
; %bb.1275:
	s_and_b32 s30, s31, 28
	s_add_u32 s2, s34, 0xc4
	s_addc_u32 s3, s35, 0
	s_mov_b32 s36, 0
	v_mov_b32_e32 v0, 0
	v_mov_b32_e32 v8, 0
	s_mov_b64 s[28:29], s[34:35]
	v_mov_b32_e32 v3, v16
.LBB241_1276:                           ; =>This Inner Loop Header: Depth=1
	s_load_dwordx8 s[12:19], s[28:29], 0x4
	s_load_dwordx4 s[20:23], s[28:29], 0x24
	s_load_dwordx8 s[4:11], s[2:3], 0x0
	s_add_u32 s28, s28, 48
	s_addc_u32 s29, s29, 0
	s_waitcnt vmcnt(0) lgkmcnt(0)
	v_mul_hi_u32 v1, s13, v3
	v_add_u32_e32 v1, v3, v1
	v_lshrrev_b32_e32 v1, s14, v1
	v_mul_lo_u32 v5, v1, s12
	v_mul_hi_u32 v7, s16, v1
	v_sub_u32_e32 v3, v3, v5
	v_add_u32_e32 v5, v1, v7
	v_lshrrev_b32_e32 v5, s17, v5
	v_mul_lo_u32 v9, v5, s15
	v_mul_hi_u32 v11, s19, v5
	v_sub_u32_e32 v1, v1, v9
	v_add_u32_e32 v9, v5, v11
	v_mul_lo_u32 v7, v3, s5
	v_mul_lo_u32 v3, v3, s4
	;; [unrolled: 1-line block ×4, first 2 shown]
	v_lshrrev_b32_e32 v9, s20, v9
	v_add3_u32 v0, v3, v0, v1
	v_add3_u32 v1, v7, v8, v11
	v_mul_lo_u32 v3, v9, s18
	v_mul_hi_u32 v7, s22, v9
	v_sub_u32_e32 v3, v5, v3
	v_add_u32_e32 v5, v9, v7
	v_mul_lo_u32 v7, v3, s8
	v_mul_lo_u32 v8, v3, s9
	v_lshrrev_b32_e32 v3, s23, v5
	s_add_i32 s36, s36, 4
	v_mul_lo_u32 v5, v3, s21
	s_add_u32 s2, s2, 32
	v_sub_u32_e32 v5, v9, v5
	s_addc_u32 s3, s3, 0
	v_mul_lo_u32 v9, v5, s10
	v_mul_lo_u32 v5, v5, s11
	s_cmp_lg_u32 s30, s36
	v_add3_u32 v8, v8, v1, v5
	v_add3_u32 v0, v7, v0, v9
	s_cbranch_scc1 .LBB241_1276
; %bb.1277:
	v_mov_b32_e32 v1, v8
	s_and_b32 s6, s31, 3
	s_cmp_eq_u32 s6, 0
	s_cbranch_scc0 .LBB241_1281
	s_branch .LBB241_1283
.LBB241_1278:
                                        ; implicit-def: $vgpr8
                                        ; implicit-def: $vgpr0
	s_branch .LBB241_1284
.LBB241_1279:
	v_mov_b32_e32 v8, 0
	v_mov_b32_e32 v0, 0
	s_branch .LBB241_1283
.LBB241_1280:
	v_mov_b32_e32 v0, 0
                                        ; implicit-def: $vgpr8
	s_waitcnt vmcnt(0)
	v_mov_b32_e32 v1, v0
	v_mov_b32_e32 v3, v16
	s_and_b32 s6, s31, 3
	s_cmp_eq_u32 s6, 0
	s_cbranch_scc1 .LBB241_1283
.LBB241_1281:
	s_lshl_b32 s2, s30, 3
	s_add_u32 s2, s34, s2
	s_addc_u32 s3, s35, 0
	s_add_u32 s2, s2, 0xc4
	s_addc_u32 s3, s3, 0
	s_mul_i32 s4, s30, 12
	s_add_u32 s4, s34, s4
	s_addc_u32 s5, s35, 0
.LBB241_1282:                           ; =>This Inner Loop Header: Depth=1
	s_load_dwordx2 s[8:9], s[4:5], 0x4
	s_load_dword s7, s[4:5], 0xc
	s_load_dwordx2 s[10:11], s[2:3], 0x0
	v_mov_b32_e32 v8, v1
	s_add_u32 s4, s4, 12
	s_waitcnt lgkmcnt(0)
	v_mul_hi_u32 v1, s9, v3
	v_add_u32_e32 v1, v3, v1
	v_lshrrev_b32_e32 v1, s7, v1
	s_addc_u32 s5, s5, 0
	v_mul_lo_u32 v5, v1, s8
	s_add_u32 s2, s2, 8
	v_sub_u32_e32 v5, v3, v5
	s_addc_u32 s3, s3, 0
	s_add_i32 s6, s6, -1
	v_mov_b32_e32 v3, v1
	v_mad_u64_u32 v[8:9], s[8:9], v5, s11, v[8:9]
	v_mad_u64_u32 v[0:1], s[8:9], v5, s10, v[0:1]
	s_cmp_lg_u32 s6, 0
	v_mov_b32_e32 v1, v8
	s_cbranch_scc1 .LBB241_1282
.LBB241_1283:
	s_cbranch_execnz .LBB241_1286
.LBB241_1284:
	s_load_dwordx4 s[4:7], s[34:35], 0x4
	s_load_dwordx2 s[2:3], s[34:35], 0xc4
	s_cmp_lt_u32 s33, 2
	s_waitcnt lgkmcnt(0)
	v_mul_hi_u32 v0, s5, v16
	v_add_u32_e32 v0, v16, v0
	s_waitcnt vmcnt(0)
	v_lshrrev_b32_e32 v1, s6, v0
	v_mul_lo_u32 v0, v1, s4
	v_sub_u32_e32 v0, v16, v0
	v_mul_lo_u32 v8, v0, s3
	v_mul_lo_u32 v0, v0, s2
	s_cbranch_scc1 .LBB241_1286
; %bb.1285:
	s_load_dwordx4 s[4:7], s[34:35], 0x10
	s_load_dwordx2 s[2:3], s[34:35], 0xcc
	s_waitcnt lgkmcnt(0)
	v_mul_hi_u32 v3, s5, v1
	v_add_u32_e32 v3, v1, v3
	v_lshrrev_b32_e32 v3, s6, v3
	v_mul_lo_u32 v3, v3, s4
	v_sub_u32_e32 v3, v1, v3
	v_mad_u64_u32 v[0:1], s[4:5], v3, s2, v[0:1]
	v_mad_u64_u32 v[8:9], s[2:3], v3, s3, v[8:9]
.LBB241_1286:
	s_load_dword s22, s[0:1], 0x160
	s_load_dwordx4 s[4:7], s[34:35], 0x148
	v_mov_b32_e32 v15, 0
	s_waitcnt lgkmcnt(0)
	s_bfe_u32 s14, s22, 0x80010
	s_cmp_lt_i32 s14, 11
	v_lshl_add_u64 v[14:15], s[6:7], 0, v[14:15]
	s_cbranch_scc1 .LBB241_1293
; %bb.1287:
	s_and_b32 s15, 0xffff, s14
	s_cmp_gt_i32 s15, 25
	s_mov_b64 s[2:3], 0
	s_cbranch_scc0 .LBB241_1295
; %bb.1288:
	s_cmp_gt_i32 s15, 28
	s_cbranch_scc0 .LBB241_1296
; %bb.1289:
	s_cmp_gt_i32 s15, 43
	;; [unrolled: 3-line block ×3, first 2 shown]
	s_cbranch_scc0 .LBB241_1298
; %bb.1291:
	s_cmp_eq_u32 s15, 46
	s_mov_b64 s[8:9], 0
	s_cbranch_scc0 .LBB241_1301
; %bb.1292:
	global_load_dword v1, v[14:15], off
	s_mov_b64 s[0:1], 0
	s_mov_b64 s[10:11], -1
	s_waitcnt vmcnt(0)
	v_and_b32_e32 v3, 0xffff0000, v1
	v_lshlrev_b32_e32 v1, 16, v1
	v_cvt_f16_f32_e32 v5, v1
	v_cvt_f16_f32_e32 v3, v3
	s_branch .LBB241_1302
.LBB241_1293:
	s_mov_b64 s[10:11], 0
                                        ; implicit-def: $vgpr3
                                        ; implicit-def: $vgpr5
	s_mov_b64 s[8:9], s[24:25]
	s_cbranch_execnz .LBB241_1368
.LBB241_1294:
	s_andn2_b64 vcc, exec, s[10:11]
	s_cbranch_vccz .LBB241_1415
	s_branch .LBB241_2371
.LBB241_1295:
	s_mov_b64 s[10:11], 0
	s_mov_b64 s[0:1], 0
                                        ; implicit-def: $vgpr3
                                        ; implicit-def: $vgpr5
	s_cbranch_execnz .LBB241_1332
	s_branch .LBB241_1364
.LBB241_1296:
	s_mov_b64 s[10:11], 0
	s_mov_b64 s[0:1], 0
                                        ; implicit-def: $vgpr3
                                        ; implicit-def: $vgpr5
	s_cbranch_execnz .LBB241_1314
	s_branch .LBB241_1331
.LBB241_1297:
	s_mov_b64 s[8:9], -1
	s_mov_b64 s[10:11], 0
	s_mov_b64 s[0:1], 0
                                        ; implicit-def: $vgpr3
                                        ; implicit-def: $vgpr5
	s_branch .LBB241_1308
.LBB241_1298:
	s_mov_b64 s[8:9], -1
	s_mov_b64 s[10:11], 0
	s_mov_b64 s[0:1], 0
                                        ; implicit-def: $vgpr3
                                        ; implicit-def: $vgpr5
	s_branch .LBB241_1302
.LBB241_1299:
	s_andn2_saveexec_b64 s[12:13], s[12:13]
	s_cbranch_execz .LBB241_1142
.LBB241_1300:
	s_mov_b32 s14, 0x46000000
	v_add_f32_e64 v1, |v0|, s14
	v_and_b32_e32 v1, 0xff, v1
	v_cmp_ne_u32_e32 vcc, 0, v1
	s_andn2_b64 s[10:11], s[10:11], exec
	s_and_b64 s[14:15], vcc, exec
	s_or_b64 s[10:11], s[10:11], s[14:15]
	s_or_b64 exec, exec, s[12:13]
	v_mov_b32_e32 v7, 0
	s_and_saveexec_b64 s[12:13], s[10:11]
	s_cbranch_execnz .LBB241_1143
	s_branch .LBB241_1144
.LBB241_1301:
	s_mov_b64 s[0:1], -1
                                        ; implicit-def: $vgpr3
                                        ; implicit-def: $vgpr5
	s_mov_b64 s[10:11], 0
.LBB241_1302:
	s_and_b64 vcc, exec, s[8:9]
	s_cbranch_vccz .LBB241_1307
; %bb.1303:
	s_cmp_eq_u32 s15, 44
	s_cbranch_scc0 .LBB241_1305
; %bb.1304:
	global_load_ubyte v1, v[14:15], off
	s_movk_i32 s8, 0xff
	v_mov_b32_e32 v5, 0x7e00
	s_mov_b64 s[0:1], 0
	s_mov_b64 s[10:11], -1
	s_waitcnt vmcnt(0)
	v_lshlrev_b32_e32 v3, 23, v1
	v_cvt_f16_f32_e32 v3, v3
	v_cmp_ne_u32_e32 vcc, s8, v1
	s_nop 1
	v_cndmask_b32_e32 v3, v5, v3, vcc
	v_cmp_ne_u32_e32 vcc, 0, v1
	s_nop 1
	v_cndmask_b32_e32 v5, 0, v3, vcc
	s_branch .LBB241_1306
.LBB241_1305:
	s_mov_b64 s[0:1], -1
                                        ; implicit-def: $vgpr5
.LBB241_1306:
	v_mov_b32_e32 v3, 0
.LBB241_1307:
	s_mov_b64 s[8:9], 0
.LBB241_1308:
	s_and_b64 vcc, exec, s[8:9]
	s_cbranch_vccz .LBB241_1313
; %bb.1309:
	s_cmp_eq_u32 s15, 29
	s_cbranch_scc0 .LBB241_1311
; %bb.1310:
	global_load_dwordx2 v[16:17], v[14:15], off
	s_mov_b64 s[0:1], 0
	s_mov_b64 s[10:11], -1
	s_waitcnt vmcnt(0)
	v_ffbh_u32_e32 v1, v17
	v_min_u32_e32 v1, 32, v1
	v_lshlrev_b64 v[16:17], v1, v[16:17]
	v_min_u32_e32 v3, 1, v16
	v_or_b32_e32 v3, v17, v3
	v_cvt_f32_u32_e32 v3, v3
	v_sub_u32_e32 v1, 32, v1
	v_ldexp_f32 v1, v3, v1
	v_cvt_f16_f32_e32 v5, v1
	s_branch .LBB241_1312
.LBB241_1311:
	s_mov_b64 s[0:1], -1
                                        ; implicit-def: $vgpr5
.LBB241_1312:
	v_mov_b32_e32 v3, 0
.LBB241_1313:
	s_branch .LBB241_1331
.LBB241_1314:
	s_cmp_lt_i32 s15, 27
	s_cbranch_scc1 .LBB241_1317
; %bb.1315:
	s_cmp_gt_i32 s15, 27
	s_cbranch_scc0 .LBB241_1318
; %bb.1316:
	global_load_dword v1, v[14:15], off
	s_mov_b64 s[8:9], 0
	s_waitcnt vmcnt(0)
	v_cvt_f32_u32_e32 v1, v1
	v_cvt_f16_f32_e32 v5, v1
	s_branch .LBB241_1319
.LBB241_1317:
	s_mov_b64 s[8:9], -1
                                        ; implicit-def: $vgpr5
	s_branch .LBB241_1322
.LBB241_1318:
	s_mov_b64 s[8:9], -1
                                        ; implicit-def: $vgpr5
.LBB241_1319:
	s_andn2_b64 vcc, exec, s[8:9]
	s_cbranch_vccnz .LBB241_1321
; %bb.1320:
	global_load_ushort v1, v[14:15], off
	s_waitcnt vmcnt(0)
	v_cvt_f16_u16_e32 v5, v1
.LBB241_1321:
	s_mov_b64 s[8:9], 0
.LBB241_1322:
	s_andn2_b64 vcc, exec, s[8:9]
	s_cbranch_vccnz .LBB241_1330
; %bb.1323:
	global_load_ubyte v1, v[14:15], off
	s_movk_i32 s8, 0x7f
	s_waitcnt vmcnt(0)
	v_cmp_lt_i16_e32 vcc, s8, v1
	s_mov_b64 s[8:9], 0
	s_and_saveexec_b64 s[10:11], vcc
	s_xor_b64 s[10:11], exec, s[10:11]
	s_cbranch_execz .LBB241_1343
; %bb.1324:
	s_movk_i32 s8, 0x80
	v_cmp_eq_u16_e32 vcc, s8, v1
	s_mov_b64 s[8:9], -1
	s_and_saveexec_b64 s[12:13], vcc
; %bb.1325:
	s_xor_b64 s[8:9], exec, -1
; %bb.1326:
	s_or_b64 exec, exec, s[12:13]
	s_and_b64 s[8:9], s[8:9], exec
	s_or_saveexec_b64 s[10:11], s[10:11]
	v_mov_b32_e32 v5, 0x7e00
	s_xor_b64 exec, exec, s[10:11]
	s_cbranch_execnz .LBB241_1344
.LBB241_1327:
	s_or_b64 exec, exec, s[10:11]
	s_and_saveexec_b64 s[10:11], s[8:9]
	s_cbranch_execz .LBB241_1329
.LBB241_1328:
	v_lshlrev_b32_e32 v3, 24, v1
	v_and_b32_e32 v1, 0xffff, v1
	v_and_b32_e32 v5, 7, v1
	v_ffbh_u32_e32 v9, v5
	v_min_u32_e32 v9, 32, v9
	v_subrev_u32_e32 v11, 28, v9
	v_bfe_u32 v7, v1, 3, 4
	v_lshlrev_b32_e32 v1, v11, v1
	v_sub_u32_e32 v9, 29, v9
	v_and_b32_e32 v1, 7, v1
	v_cmp_eq_u32_e32 vcc, 0, v7
	v_and_b32_e32 v3, 0x80000000, v3
	s_nop 0
	v_cndmask_b32_e32 v7, v7, v9, vcc
	v_cndmask_b32_e32 v1, v5, v1, vcc
	v_mov_b32_e32 v5, 0x3b800000
	v_lshlrev_b32_e32 v1, 20, v1
	v_lshl_add_u32 v5, v7, 23, v5
	v_or3_b32 v1, v3, v5, v1
	v_cvt_f16_f32_e32 v5, v1
.LBB241_1329:
	s_or_b64 exec, exec, s[10:11]
.LBB241_1330:
	s_mov_b64 s[10:11], -1
	v_mov_b32_e32 v3, 0
.LBB241_1331:
	s_branch .LBB241_1364
.LBB241_1332:
	s_cmp_gt_i32 s15, 22
	s_cbranch_scc0 .LBB241_1342
; %bb.1333:
	s_cmp_lt_i32 s15, 24
	s_cbranch_scc1 .LBB241_1345
; %bb.1334:
	s_cmp_gt_i32 s15, 24
	s_cbranch_scc0 .LBB241_1346
; %bb.1335:
	global_load_ubyte v1, v[14:15], off
	s_movk_i32 s2, 0x7f
	s_waitcnt vmcnt(0)
	v_cmp_lt_i16_e32 vcc, s2, v1
	s_mov_b64 s[2:3], 0
	s_and_saveexec_b64 s[8:9], vcc
	s_xor_b64 s[8:9], exec, s[8:9]
	s_cbranch_execz .LBB241_1357
; %bb.1336:
	s_movk_i32 s2, 0x80
	v_cmp_eq_u16_e32 vcc, s2, v1
	s_mov_b64 s[2:3], -1
	s_and_saveexec_b64 s[10:11], vcc
; %bb.1337:
	s_xor_b64 s[2:3], exec, -1
; %bb.1338:
	s_or_b64 exec, exec, s[10:11]
	s_and_b64 s[2:3], s[2:3], exec
	s_or_saveexec_b64 s[8:9], s[8:9]
	v_mov_b32_e32 v5, 0x7e00
	s_xor_b64 exec, exec, s[8:9]
	s_cbranch_execnz .LBB241_1358
.LBB241_1339:
	s_or_b64 exec, exec, s[8:9]
	s_and_saveexec_b64 s[8:9], s[2:3]
	s_cbranch_execz .LBB241_1341
.LBB241_1340:
	v_lshlrev_b32_e32 v3, 24, v1
	v_and_b32_e32 v1, 0xffff, v1
	v_and_b32_e32 v5, 3, v1
	v_ffbh_u32_e32 v9, v5
	v_min_u32_e32 v9, 32, v9
	v_subrev_u32_e32 v11, 29, v9
	v_bfe_u32 v7, v1, 2, 5
	v_lshlrev_b32_e32 v1, v11, v1
	v_sub_u32_e32 v9, 30, v9
	v_and_b32_e32 v1, 3, v1
	v_cmp_eq_u32_e32 vcc, 0, v7
	v_and_b32_e32 v3, 0x80000000, v3
	s_nop 0
	v_cndmask_b32_e32 v7, v7, v9, vcc
	v_cndmask_b32_e32 v1, v5, v1, vcc
	v_mov_b32_e32 v5, 0x37800000
	v_lshlrev_b32_e32 v1, 21, v1
	v_lshl_add_u32 v5, v7, 23, v5
	v_or3_b32 v1, v3, v5, v1
	v_cvt_f16_f32_e32 v5, v1
.LBB241_1341:
	s_or_b64 exec, exec, s[8:9]
	s_mov_b64 s[2:3], 0
	s_branch .LBB241_1347
.LBB241_1342:
                                        ; implicit-def: $vgpr5
	s_mov_b64 s[2:3], 0
	s_branch .LBB241_1353
.LBB241_1343:
	s_or_saveexec_b64 s[10:11], s[10:11]
	v_mov_b32_e32 v5, 0x7e00
	s_xor_b64 exec, exec, s[10:11]
	s_cbranch_execz .LBB241_1327
.LBB241_1344:
	v_cmp_ne_u16_e32 vcc, 0, v1
	s_andn2_b64 s[8:9], s[8:9], exec
	s_and_b64 s[12:13], vcc, exec
	s_or_b64 s[8:9], s[8:9], s[12:13]
	v_mov_b32_e32 v5, v1
	s_or_b64 exec, exec, s[10:11]
	s_and_saveexec_b64 s[10:11], s[8:9]
	s_cbranch_execnz .LBB241_1328
	s_branch .LBB241_1329
.LBB241_1345:
	s_mov_b64 s[2:3], -1
                                        ; implicit-def: $vgpr5
	s_branch .LBB241_1350
.LBB241_1346:
	s_mov_b64 s[2:3], -1
                                        ; implicit-def: $vgpr5
.LBB241_1347:
	s_and_b64 vcc, exec, s[2:3]
	s_cbranch_vccz .LBB241_1349
; %bb.1348:
	global_load_ubyte v1, v[14:15], off
	s_mov_b32 s2, 0x7f800000
	s_waitcnt vmcnt(0)
	v_lshlrev_b32_e32 v1, 24, v1
	v_and_b32_e32 v3, 0x7f000000, v1
	v_ffbh_u32_e32 v5, v3
	v_min_u32_e32 v5, 32, v5
	v_sub_u32_e64 v5, v5, 4 clamp
	v_lshlrev_b32_e32 v9, v5, v3
	v_lshlrev_b32_e32 v5, 23, v5
	v_lshrrev_b32_e32 v9, 4, v9
	v_add_u32_e32 v7, 0x1000000, v3
	v_sub_u32_e32 v5, v9, v5
	v_ashrrev_i32_e32 v7, 8, v7
	v_add_u32_e32 v5, 0x3c000000, v5
	v_and_or_b32 v5, v7, s2, v5
	v_cmp_ne_u32_e32 vcc, 0, v3
	s_brev_b32 s2, 1
	s_nop 0
	v_cndmask_b32_e32 v3, 0, v5, vcc
	v_and_or_b32 v1, v1, s2, v3
	v_cvt_f16_f32_e32 v5, v1
.LBB241_1349:
	s_mov_b64 s[2:3], 0
.LBB241_1350:
	s_andn2_b64 vcc, exec, s[2:3]
	s_cbranch_vccnz .LBB241_1352
; %bb.1351:
	global_load_ubyte v1, v[14:15], off
	s_movk_i32 s2, 0x7f00
	s_brev_b32 s3, 16
	s_waitcnt vmcnt(0)
	v_lshlrev_b16_e32 v3, 8, v1
	v_lshlrev_b32_e32 v1, 25, v1
	v_lshrrev_b32_e32 v5, 4, v1
	v_and_or_b32 v7, v3, s2, 0.5
	v_or_b32_e32 v5, 0x70000000, v5
	v_add_f32_e32 v7, -0.5, v7
	v_mul_f32_e32 v5, 0x7800000, v5
	v_cmp_gt_u32_e32 vcc, s3, v1
	v_bfe_i32 v3, v3, 0, 16
	s_brev_b32 s2, 1
	v_cndmask_b32_e32 v1, v5, v7, vcc
	v_and_or_b32 v1, v3, s2, v1
	v_cvt_f16_f32_e32 v5, v1
.LBB241_1352:
	s_mov_b64 s[10:11], -1
	s_mov_b64 s[2:3], 0
	s_cbranch_execnz .LBB241_1363
.LBB241_1353:
	s_cmp_gt_i32 s15, 14
	s_cbranch_scc0 .LBB241_1356
; %bb.1354:
	s_cmp_eq_u32 s15, 15
	s_cbranch_scc0 .LBB241_1359
; %bb.1355:
	global_load_ushort v1, v[14:15], off
	s_mov_b64 s[0:1], 0
	s_mov_b64 s[10:11], -1
	s_waitcnt vmcnt(0)
	v_lshlrev_b32_e32 v1, 16, v1
	v_cvt_f16_f32_e32 v5, v1
	s_branch .LBB241_1360
.LBB241_1356:
	s_mov_b64 s[8:9], -1
                                        ; implicit-def: $vgpr5
	s_branch .LBB241_1361
.LBB241_1357:
	s_or_saveexec_b64 s[8:9], s[8:9]
	v_mov_b32_e32 v5, 0x7e00
	s_xor_b64 exec, exec, s[8:9]
	s_cbranch_execz .LBB241_1339
.LBB241_1358:
	v_cmp_ne_u16_e32 vcc, 0, v1
	s_andn2_b64 s[2:3], s[2:3], exec
	s_and_b64 s[10:11], vcc, exec
	s_or_b64 s[2:3], s[2:3], s[10:11]
	v_mov_b32_e32 v5, v1
	s_or_b64 exec, exec, s[8:9]
	s_and_saveexec_b64 s[8:9], s[2:3]
	s_cbranch_execnz .LBB241_1340
	s_branch .LBB241_1341
.LBB241_1359:
	s_mov_b64 s[0:1], -1
                                        ; implicit-def: $vgpr5
.LBB241_1360:
	s_mov_b64 s[8:9], 0
.LBB241_1361:
	s_and_b64 vcc, exec, s[8:9]
	s_cbranch_vccz .LBB241_1363
; %bb.1362:
	s_cmp_lg_u32 s15, 11
	s_mov_b64 s[2:3], -1
	s_cselect_b64 s[0:1], -1, 0
.LBB241_1363:
	v_mov_b32_e32 v3, 0
.LBB241_1364:
	s_and_b64 vcc, exec, s[0:1]
	s_mov_b64 s[8:9], s[24:25]
	s_cbranch_vccnz .LBB241_1457
; %bb.1365:
	s_andn2_b64 vcc, exec, s[2:3]
	s_cbranch_vccnz .LBB241_1367
.LBB241_1366:
	global_load_ubyte v1, v[14:15], off
	v_mov_b32_e32 v5, 0x3c00
	v_mov_b32_e32 v3, 0
	s_mov_b64 s[10:11], -1
	s_waitcnt vmcnt(0)
	v_cmp_ne_u16_e32 vcc, 0, v1
	s_nop 1
	v_cndmask_b32_e32 v5, 0, v5, vcc
.LBB241_1367:
	s_branch .LBB241_1294
.LBB241_1368:
	s_and_b32 s2, 0xffff, s14
	s_cmp_lt_i32 s2, 5
	s_cbranch_scc1 .LBB241_1373
; %bb.1369:
	s_cmp_lt_i32 s2, 8
	s_cbranch_scc1 .LBB241_1375
; %bb.1370:
	s_cmp_lt_i32 s2, 9
	s_cbranch_scc1 .LBB241_1376
; %bb.1371:
	s_cmp_gt_i32 s2, 9
	s_cbranch_scc0 .LBB241_1377
; %bb.1372:
	global_load_dwordx4 v[16:19], v[14:15], off
	s_movk_i32 s0, 0x1ff
	s_movk_i32 s1, 0xffe
	s_waitcnt vmcnt(1)
	v_mov_b32_e32 v1, 0x7c00
	v_mov_b32_e32 v3, 0x7e00
	s_movk_i32 s3, 0x40f
	s_mov_b32 s10, 0x8000
	s_waitcnt vmcnt(0)
	v_and_or_b32 v5, v17, s0, v16
	v_and_or_b32 v13, v19, s0, v18
	v_cmp_ne_u32_e32 vcc, 0, v5
	v_lshrrev_b32_e32 v7, 8, v17
	v_bfe_u32 v9, v17, 20, 11
	v_cndmask_b32_e64 v5, 0, 1, vcc
	v_cmp_ne_u32_e32 vcc, 0, v13
	v_lshrrev_b32_e32 v11, 16, v17
	v_lshrrev_b32_e32 v16, 8, v19
	v_bfe_u32 v17, v19, 20, 11
	v_lshrrev_b32_e32 v18, 16, v19
	v_sub_u32_e32 v19, 0x3f1, v9
	v_cndmask_b32_e64 v13, 0, 1, vcc
	v_and_or_b32 v5, v7, s1, v5
	v_add_u32_e32 v9, 0xfffffc10, v9
	v_sub_u32_e32 v20, 0x3f1, v17
	v_add_u32_e32 v17, 0xfffffc10, v17
	v_med3_i32 v7, v19, 0, 13
	v_and_or_b32 v13, v16, s1, v13
	v_or_b32_e32 v19, 0x1000, v5
	v_cmp_ne_u32_e32 vcc, 0, v5
	v_med3_i32 v16, v20, 0, 13
	v_lshl_or_b32 v20, v9, 12, v5
	v_cndmask_b32_e32 v5, v1, v3, vcc
	v_or_b32_e32 v21, 0x1000, v13
	v_lshl_or_b32 v22, v17, 12, v13
	v_cmp_ne_u32_e32 vcc, 0, v13
	v_lshrrev_b32_e32 v13, v7, v19
	v_lshrrev_b32_e32 v23, v16, v21
	v_lshlrev_b32_e32 v7, v7, v13
	v_cndmask_b32_e32 v3, v1, v3, vcc
	v_lshlrev_b32_e32 v16, v16, v23
	v_cmp_ne_u32_e32 vcc, v7, v19
	s_mov_b64 s[0:1], 0
	s_nop 0
	v_cndmask_b32_e64 v7, 0, 1, vcc
	v_cmp_ne_u32_e32 vcc, v16, v21
	v_or_b32_e32 v7, v13, v7
	s_nop 0
	v_cndmask_b32_e64 v16, 0, 1, vcc
	v_cmp_gt_i32_e32 vcc, 1, v9
	v_or_b32_e32 v13, v23, v16
	s_nop 0
	v_cndmask_b32_e32 v7, v20, v7, vcc
	v_cmp_gt_i32_e32 vcc, 1, v17
	v_and_b32_e32 v16, 7, v7
	v_lshrrev_b32_e32 v7, 2, v7
	v_cndmask_b32_e32 v13, v22, v13, vcc
	v_cmp_lt_i32_e32 vcc, 5, v16
	v_and_b32_e32 v19, 7, v13
	v_lshrrev_b32_e32 v13, 2, v13
	v_cndmask_b32_e64 v20, 0, 1, vcc
	v_cmp_eq_u32_e32 vcc, 3, v16
	s_nop 1
	v_cndmask_b32_e64 v16, 0, 1, vcc
	v_cmp_lt_i32_e32 vcc, 5, v19
	v_or_b32_e32 v16, v16, v20
	v_add_u32_e32 v7, v7, v16
	v_cndmask_b32_e64 v21, 0, 1, vcc
	v_cmp_eq_u32_e32 vcc, 3, v19
	s_nop 1
	v_cndmask_b32_e64 v19, 0, 1, vcc
	v_or_b32_e32 v19, v19, v21
	v_cmp_gt_i32_e32 vcc, 31, v9
	v_add_u32_e32 v13, v13, v19
	s_nop 0
	v_cndmask_b32_e32 v7, v1, v7, vcc
	v_cmp_gt_i32_e32 vcc, 31, v17
	s_nop 1
	v_cndmask_b32_e32 v1, v1, v13, vcc
	v_cmp_eq_u32_e32 vcc, s3, v9
	s_nop 1
	v_cndmask_b32_e32 v5, v7, v5, vcc
	v_cmp_eq_u32_e32 vcc, s3, v17
	v_and_or_b32 v5, v11, s10, v5
	s_nop 0
	v_cndmask_b32_e32 v1, v1, v3, vcc
	v_and_or_b32 v3, v18, s10, v1
	s_branch .LBB241_1378
.LBB241_1373:
                                        ; implicit-def: $vgpr3
                                        ; implicit-def: $vgpr5
	s_branch .LBB241_1396
.LBB241_1374:
	s_branch .LBB241_1415
.LBB241_1375:
                                        ; implicit-def: $vgpr3
                                        ; implicit-def: $vgpr5
	s_branch .LBB241_1384
.LBB241_1376:
	s_mov_b64 s[0:1], -1
                                        ; implicit-def: $vgpr3
                                        ; implicit-def: $vgpr5
	s_branch .LBB241_1381
.LBB241_1377:
	s_mov_b64 s[0:1], -1
                                        ; implicit-def: $vgpr3
                                        ; implicit-def: $vgpr5
.LBB241_1378:
	s_andn2_b64 vcc, exec, s[0:1]
	s_cbranch_vccnz .LBB241_1380
; %bb.1379:
	global_load_dwordx2 v[16:17], v[14:15], off
	s_waitcnt vmcnt(0)
	v_cvt_f16_f32_e32 v5, v16
	v_cvt_f16_f32_e32 v3, v17
.LBB241_1380:
	s_mov_b64 s[0:1], 0
.LBB241_1381:
	s_andn2_b64 vcc, exec, s[0:1]
	s_cbranch_vccnz .LBB241_1383
; %bb.1382:
	global_load_dword v5, v[14:15], off
	s_waitcnt vmcnt(0)
	v_lshrrev_b32_e32 v3, 16, v5
.LBB241_1383:
	s_cbranch_execnz .LBB241_1395
.LBB241_1384:
	s_cmp_lt_i32 s2, 6
	s_cbranch_scc1 .LBB241_1387
; %bb.1385:
	s_cmp_gt_i32 s2, 6
	s_cbranch_scc0 .LBB241_1388
; %bb.1386:
	global_load_dwordx2 v[16:17], v[14:15], off
	s_movk_i32 s0, 0x1ff
	s_movk_i32 s1, 0xffe
	s_waitcnt vmcnt(1)
	v_mov_b32_e32 v1, 0x7c00
	v_mov_b32_e32 v3, 0x7e00
	s_movk_i32 s3, 0x40f
	s_mov_b32 s10, 0x8000
	s_waitcnt vmcnt(0)
	v_and_or_b32 v5, v17, s0, v16
	v_cmp_ne_u32_e32 vcc, 0, v5
	v_lshrrev_b32_e32 v7, 8, v17
	v_bfe_u32 v9, v17, 20, 11
	v_cndmask_b32_e64 v5, 0, 1, vcc
	v_sub_u32_e32 v13, 0x3f1, v9
	v_and_or_b32 v5, v7, s1, v5
	v_add_u32_e32 v9, 0xfffffc10, v9
	v_med3_i32 v7, v13, 0, 13
	v_or_b32_e32 v13, 0x1000, v5
	v_lshl_or_b32 v16, v9, 12, v5
	v_cmp_ne_u32_e32 vcc, 0, v5
	v_lshrrev_b32_e32 v5, v7, v13
	v_lshlrev_b32_e32 v7, v7, v5
	v_cndmask_b32_e32 v3, v1, v3, vcc
	v_cmp_ne_u32_e32 vcc, v7, v13
	v_lshrrev_b32_e32 v11, 16, v17
	s_mov_b64 s[0:1], 0
	v_cndmask_b32_e64 v7, 0, 1, vcc
	v_or_b32_e32 v5, v5, v7
	v_cmp_gt_i32_e32 vcc, 1, v9
	s_nop 1
	v_cndmask_b32_e32 v5, v16, v5, vcc
	v_and_b32_e32 v7, 7, v5
	v_cmp_lt_i32_e32 vcc, 5, v7
	v_lshrrev_b32_e32 v5, 2, v5
	s_nop 0
	v_cndmask_b32_e64 v13, 0, 1, vcc
	v_cmp_eq_u32_e32 vcc, 3, v7
	s_nop 1
	v_cndmask_b32_e64 v7, 0, 1, vcc
	v_or_b32_e32 v7, v7, v13
	v_add_u32_e32 v5, v5, v7
	v_cmp_gt_i32_e32 vcc, 31, v9
	s_nop 1
	v_cndmask_b32_e32 v1, v1, v5, vcc
	v_cmp_eq_u32_e32 vcc, s3, v9
	s_nop 1
	v_cndmask_b32_e32 v1, v1, v3, vcc
	v_and_or_b32 v5, v11, s10, v1
	s_branch .LBB241_1389
.LBB241_1387:
	s_mov_b64 s[0:1], -1
                                        ; implicit-def: $vgpr5
	s_branch .LBB241_1392
.LBB241_1388:
	s_mov_b64 s[0:1], -1
                                        ; implicit-def: $vgpr5
.LBB241_1389:
	s_andn2_b64 vcc, exec, s[0:1]
	s_cbranch_vccnz .LBB241_1391
; %bb.1390:
	global_load_dword v1, v[14:15], off
	s_waitcnt vmcnt(0)
	v_cvt_f16_f32_e32 v5, v1
.LBB241_1391:
	s_mov_b64 s[0:1], 0
.LBB241_1392:
	s_andn2_b64 vcc, exec, s[0:1]
	s_cbranch_vccnz .LBB241_1394
; %bb.1393:
	global_load_ushort v5, v[14:15], off
.LBB241_1394:
	v_mov_b32_e32 v3, 0
.LBB241_1395:
	s_cbranch_execnz .LBB241_1374
.LBB241_1396:
	s_cmp_lt_i32 s2, 2
	s_cbranch_scc1 .LBB241_1400
; %bb.1397:
	s_cmp_lt_i32 s2, 3
	s_cbranch_scc1 .LBB241_1401
; %bb.1398:
	s_cmp_gt_i32 s2, 3
	s_cbranch_scc0 .LBB241_1402
; %bb.1399:
	global_load_dwordx2 v[16:17], v[14:15], off
	s_mov_b64 s[0:1], 0
	s_waitcnt vmcnt(0)
	v_xor_b32_e32 v3, v16, v17
	v_ffbh_i32_e32 v1, v17
	v_ashrrev_i32_e32 v3, 31, v3
	v_add_u32_e32 v1, -1, v1
	v_add_u32_e32 v3, 32, v3
	v_min_u32_e32 v1, v1, v3
	v_lshlrev_b64 v[16:17], v1, v[16:17]
	v_min_u32_e32 v3, 1, v16
	v_or_b32_e32 v3, v17, v3
	v_cvt_f32_i32_e32 v3, v3
	v_sub_u32_e32 v1, 32, v1
	v_ldexp_f32 v1, v3, v1
	v_cvt_f16_f32_e32 v5, v1
	s_branch .LBB241_1403
.LBB241_1400:
                                        ; implicit-def: $vgpr5
	s_branch .LBB241_1409
.LBB241_1401:
	s_mov_b64 s[0:1], -1
                                        ; implicit-def: $vgpr5
	s_branch .LBB241_1406
.LBB241_1402:
	s_mov_b64 s[0:1], -1
                                        ; implicit-def: $vgpr5
.LBB241_1403:
	s_andn2_b64 vcc, exec, s[0:1]
	s_cbranch_vccnz .LBB241_1405
; %bb.1404:
	global_load_dword v1, v[14:15], off
	s_waitcnt vmcnt(0)
	v_cvt_f32_i32_e32 v1, v1
	v_cvt_f16_f32_e32 v5, v1
.LBB241_1405:
	s_mov_b64 s[0:1], 0
.LBB241_1406:
	s_andn2_b64 vcc, exec, s[0:1]
	s_cbranch_vccnz .LBB241_1408
; %bb.1407:
	global_load_ushort v1, v[14:15], off
	s_waitcnt vmcnt(0)
	v_cvt_f16_i16_e32 v5, v1
.LBB241_1408:
	s_cbranch_execnz .LBB241_1414
.LBB241_1409:
	s_cmp_gt_i32 s2, 0
	s_cbranch_scc0 .LBB241_1411
; %bb.1410:
	global_load_sbyte v1, v[14:15], off
	s_mov_b64 s[0:1], 0
	s_waitcnt vmcnt(0)
	v_cvt_f16_i16_e32 v5, v1
	s_branch .LBB241_1412
.LBB241_1411:
	s_mov_b64 s[0:1], -1
                                        ; implicit-def: $vgpr5
.LBB241_1412:
	s_andn2_b64 vcc, exec, s[0:1]
	s_cbranch_vccnz .LBB241_1414
; %bb.1413:
	global_load_ubyte v1, v[14:15], off
	s_waitcnt vmcnt(0)
	v_cvt_f16_u16_e32 v5, v1
.LBB241_1414:
	v_mov_b32_e32 v3, 0
.LBB241_1415:
	s_waitcnt vmcnt(0)
	v_cvt_f32_f16_e32 v1, v3
	v_cmp_neq_f16_e32 vcc, 0, v5
	v_cmp_neq_f16_e64 s[0:1], 0, v3
	s_or_b64 s[0:1], vcc, s[0:1]
	v_mov_b32_e32 v3, 0
	s_and_saveexec_b64 s[10:11], s[0:1]
	s_cbranch_execz .LBB241_1445
; %bb.1416:
	v_mov_b32_e32 v3, 0x7f800000
	v_cmp_neq_f32_e64 s[0:1], |v1|, v3
	s_and_saveexec_b64 s[12:13], s[0:1]
	s_cbranch_execz .LBB241_1444
; %bb.1417:
	v_cvt_f32_f16_e32 v7, v5
	v_cmp_o_f16_e32 vcc, v5, v5
                                        ; implicit-def: $vgpr3
	s_and_saveexec_b64 s[0:1], vcc
	s_xor_b64 s[14:15], exec, s[0:1]
	s_cbranch_execz .LBB241_1441
; %bb.1418:
	s_mov_b32 s0, 0x7f800000
	v_cmp_neq_f32_e64 s[0:1], |v7|, s0
                                        ; implicit-def: $vgpr3
	s_and_saveexec_b64 s[2:3], s[0:1]
	s_xor_b64 s[16:17], exec, s[2:3]
	s_cbranch_execz .LBB241_1434
; %bb.1419:
	v_max_f32_e64 v3, |v1|, |v1|
	v_max_f32_e64 v5, |v7|, |v7|
	v_max_f32_e32 v3, v5, v3
	s_mov_b32 s0, 0x7ed413cb
	v_cmp_nle_f32_e64 s[0:1], s0, v3
                                        ; implicit-def: $sgpr18_sgpr19
	s_and_saveexec_b64 s[2:3], s[0:1]
	s_xor_b64 s[2:3], exec, s[2:3]
	s_cbranch_execz .LBB241_1423
; %bb.1420:
	s_mov_b32 s20, 0x1000000
	v_cmp_le_f32_e64 s[18:19], |v7|, s20
	v_cmp_le_f32_e64 s[20:21], |v1|, s20
	s_and_b64 s[28:29], s[18:19], s[20:21]
	s_mov_b64 s[18:19], 0
	s_and_saveexec_b64 s[20:21], s[28:29]
; %bb.1421:
	s_mov_b64 s[18:19], exec
	v_mul_f32_e32 v7, 4.0, v7
	v_mul_f32_e32 v1, 4.0, v1
; %bb.1422:
	s_or_b64 exec, exec, s[20:21]
.LBB241_1423:
	s_andn2_saveexec_b64 s[2:3], s[2:3]
; %bb.1424:
	v_mul_f32_e32 v7, 0x3e800000, v7
	v_mul_f32_e32 v1, 0x3e800000, v1
	s_andn2_b64 s[18:19], s[18:19], exec
; %bb.1425:
	s_or_b64 exec, exec, s[2:3]
	v_max_f32_e64 v3, |v1|, |v1|
	v_max_f32_e64 v5, |v7|, |v7|
	v_max_f32_e32 v3, v5, v3
	v_cvt_f64_f32_e32 v[14:15], v3
	v_frexp_exp_i32_f64_e32 v5, v[14:15]
	v_sub_u32_e32 v9, 0, v5
	v_ldexp_f32 v11, |v7|, v9
	v_ldexp_f32 v9, |v1|, v9
	v_mul_f32_e32 v9, v9, v9
	v_fmac_f32_e32 v9, v11, v11
	v_sqrt_f32_e32 v9, v9
	s_mov_b32 s2, 0x7f800000
	v_cmp_neq_f32_e64 s[2:3], s2, v3
	v_cmp_le_f32_e32 vcc, 0, v7
	v_ldexp_f32 v5, v9, v5
	v_mov_b32_e32 v9, 0x7f800000
	v_cndmask_b32_e64 v3, v9, v5, s[2:3]
                                        ; implicit-def: $vgpr9
                                        ; implicit-def: $vgpr5
	s_and_saveexec_b64 s[2:3], vcc
	s_xor_b64 s[20:21], exec, s[2:3]
	s_cbranch_execz .LBB241_1427
; %bb.1426:
	v_add_f32_e32 v3, v7, v3
	v_mul_f32_e32 v3, 0.5, v3
	s_mov_b32 s2, 0xf800000
	v_mul_f32_e32 v5, 0x4f800000, v3
	v_cmp_gt_f32_e32 vcc, s2, v3
	s_nop 1
	v_cndmask_b32_e32 v3, v3, v5, vcc
	v_sqrt_f32_e32 v5, v3
	s_nop 0
	v_add_u32_e32 v7, -1, v5
	v_fma_f32 v9, -v7, v5, v3
	v_cmp_ge_f32_e64 s[2:3], 0, v9
	v_add_u32_e32 v9, 1, v5
	s_nop 0
	v_cndmask_b32_e64 v7, v5, v7, s[2:3]
	v_fma_f32 v5, -v9, v5, v3
	v_cmp_lt_f32_e64 s[2:3], 0, v5
	s_nop 1
	v_cndmask_b32_e64 v5, v7, v9, s[2:3]
	v_mul_f32_e32 v7, 0x37800000, v5
	v_cndmask_b32_e32 v5, v5, v7, vcc
	v_mov_b32_e32 v7, 0x260
	v_cmp_class_f32_e32 vcc, v3, v7
	s_nop 1
	v_cndmask_b32_e32 v5, v5, v3, vcc
	v_add_f32_e32 v3, v5, v5
	v_div_scale_f32 v7, s[2:3], v3, v3, v1
	v_rcp_f32_e32 v9, v7
	s_nop 0
	v_fma_f32 v11, -v7, v9, 1.0
	v_fmac_f32_e32 v9, v11, v9
	v_div_scale_f32 v11, vcc, v1, v3, v1
	v_mul_f32_e32 v13, v11, v9
	v_fma_f32 v14, -v7, v13, v11
	v_fmac_f32_e32 v13, v14, v9
	v_fma_f32 v7, -v7, v13, v11
	v_div_fmas_f32 v7, v7, v9, v13
	v_div_fixup_f32 v9, v7, v3, v1
                                        ; implicit-def: $vgpr3
                                        ; implicit-def: $vgpr7
                                        ; implicit-def: $vgpr1
	s_andn2_saveexec_b64 s[20:21], s[20:21]
	s_cbranch_execz .LBB241_1429
	s_branch .LBB241_1428
.LBB241_1427:
	s_andn2_saveexec_b64 s[20:21], s[20:21]
	s_cbranch_execz .LBB241_1429
.LBB241_1428:
	v_sub_f32_e32 v3, v3, v7
	v_mul_f32_e32 v3, 0.5, v3
	s_mov_b32 s2, 0xf800000
	v_mul_f32_e32 v5, 0x4f800000, v3
	v_cmp_gt_f32_e32 vcc, s2, v3
	s_nop 1
	v_cndmask_b32_e32 v3, v3, v5, vcc
	v_sqrt_f32_e32 v5, v3
	s_nop 0
	v_add_u32_e32 v7, -1, v5
	v_fma_f32 v9, -v7, v5, v3
	v_cmp_ge_f32_e64 s[2:3], 0, v9
	v_add_u32_e32 v9, 1, v5
	s_nop 0
	v_cndmask_b32_e64 v7, v5, v7, s[2:3]
	v_fma_f32 v5, -v9, v5, v3
	v_cmp_lt_f32_e64 s[2:3], 0, v5
	s_nop 1
	v_cndmask_b32_e64 v5, v7, v9, s[2:3]
	v_mul_f32_e32 v7, 0x37800000, v5
	v_cndmask_b32_e32 v5, v5, v7, vcc
	v_mov_b32_e32 v7, 0x260
	v_cmp_class_f32_e32 vcc, v3, v7
	v_and_b32_e32 v7, 0x7fffffff, v1
	s_nop 0
	v_cndmask_b32_e32 v3, v5, v3, vcc
	v_add_f32_e32 v5, v3, v3
	v_div_scale_f32 v9, s[2:3], v5, v5, v7
	v_rcp_f32_e32 v11, v9
	v_div_scale_f32 v7, vcc, v7, v5, v7
	s_brev_b32 s2, -2
	v_fma_f32 v13, -v9, v11, 1.0
	v_fmac_f32_e32 v11, v13, v11
	v_mul_f32_e32 v13, v7, v11
	v_fma_f32 v14, -v9, v13, v7
	v_fmac_f32_e32 v13, v14, v11
	v_fma_f32 v7, -v9, v13, v7
	v_div_fmas_f32 v7, v7, v11, v13
	v_div_fixup_f32 v5, v7, v5, |v1|
	v_bfi_b32 v9, s2, v3, v1
.LBB241_1429:
	s_or_b64 exec, exec, s[20:21]
                                        ; implicit-def: $vgpr1
                                        ; implicit-def: $vgpr3
	s_and_saveexec_b64 s[2:3], s[0:1]
	s_xor_b64 s[0:1], exec, s[2:3]
	s_cbranch_execz .LBB241_1431
; %bb.1430:
	v_mul_f32_e32 v1, 0.5, v5
	v_mul_f32_e32 v7, 0.5, v9
	v_cndmask_b32_e64 v3, v5, v1, s[18:19]
	v_cndmask_b32_e64 v1, v9, v7, s[18:19]
                                        ; implicit-def: $vgpr5
                                        ; implicit-def: $vgpr9
	s_andn2_saveexec_b64 s[0:1], s[0:1]
	s_cbranch_execnz .LBB241_1432
	s_branch .LBB241_1433
.LBB241_1431:
	s_andn2_saveexec_b64 s[0:1], s[0:1]
.LBB241_1432:
	v_add_f32_e32 v3, v5, v5
	v_add_f32_e32 v1, v9, v9
.LBB241_1433:
	s_or_b64 exec, exec, s[0:1]
                                        ; implicit-def: $vgpr7
                                        ; implicit-def: $vgpr5
.LBB241_1434:
	s_andn2_saveexec_b64 s[0:1], s[16:17]
	s_cbranch_execz .LBB241_1440
; %bb.1435:
	v_cmp_lt_i16_e32 vcc, -1, v5
	v_sub_f32_e32 v5, v1, v1
	s_brev_b32 s16, -2
	v_and_b32_e32 v3, 0x7fffffff, v5
	s_and_saveexec_b64 s[2:3], vcc
	s_xor_b64 s[2:3], exec, s[2:3]
; %bb.1436:
	v_bfi_b32 v1, s16, v5, v1
	v_mov_b32_e32 v3, v7
; %bb.1437:
	s_andn2_saveexec_b64 s[2:3], s[2:3]
; %bb.1438:
	v_bfi_b32 v1, s16, v7, v1
; %bb.1439:
	s_or_b64 exec, exec, s[2:3]
.LBB241_1440:
	s_or_b64 exec, exec, s[0:1]
                                        ; implicit-def: $vgpr7
.LBB241_1441:
	s_andn2_saveexec_b64 s[0:1], s[14:15]
	s_cbranch_execz .LBB241_1443
; %bb.1442:
	v_sub_f32_e32 v1, v1, v1
	v_div_scale_f32 v3, vcc, v1, v1, v1
	v_rcp_f32_e32 v5, v3
	s_nop 0
	v_fma_f32 v9, -v3, v5, 1.0
	v_fmac_f32_e32 v5, v9, v5
	v_mul_f32_e32 v9, v3, v5
	v_fma_f32 v11, -v3, v9, v3
	v_fmac_f32_e32 v9, v11, v5
	v_fma_f32 v3, -v3, v9, v3
	v_div_fmas_f32 v3, v3, v5, v9
	v_div_fixup_f32 v1, v3, v1, v1
	v_mov_b32_e32 v3, v7
.LBB241_1443:
	s_or_b64 exec, exec, s[0:1]
.LBB241_1444:
	s_or_b64 exec, exec, s[12:13]
.LBB241_1445:
	s_or_b64 exec, exec, s[10:11]
	s_lshr_b32 s0, s22, 16
	v_mov_b32_e32 v13, 0
	s_and_b32 s23, s0, 0xff
	s_cmp_lt_i32 s23, 11
	v_lshl_add_u64 v[12:13], s[6:7], 0, v[12:13]
	s_cbranch_scc1 .LBB241_1452
; %bb.1446:
	s_and_b32 s16, 0xffff, s23
	s_cmp_gt_i32 s16, 25
	s_mov_b64 s[2:3], 0
	s_cbranch_scc0 .LBB241_1454
; %bb.1447:
	s_cmp_gt_i32 s16, 28
	s_cbranch_scc0 .LBB241_1455
; %bb.1448:
	s_cmp_gt_i32 s16, 43
	s_cbranch_scc0 .LBB241_1456
; %bb.1449:
	s_cmp_gt_i32 s16, 45
	s_cbranch_scc0 .LBB241_1458
; %bb.1450:
	s_cmp_eq_u32 s16, 46
	s_mov_b64 s[12:13], 0
	s_cbranch_scc0 .LBB241_1461
; %bb.1451:
	global_load_dword v5, v[12:13], off
	s_mov_b64 s[0:1], 0
	s_mov_b64 s[10:11], -1
	s_waitcnt vmcnt(0)
	v_and_b32_e32 v9, 0xffff0000, v5
	v_lshlrev_b32_e32 v5, 16, v5
	v_cvt_f16_f32_e32 v7, v5
	v_cvt_f16_f32_e32 v9, v9
	s_branch .LBB241_1462
.LBB241_1452:
	s_mov_b64 s[10:11], 0
                                        ; implicit-def: $vgpr9
                                        ; implicit-def: $vgpr7
	s_cbranch_execnz .LBB241_1530
.LBB241_1453:
	s_andn2_b64 vcc, exec, s[10:11]
	s_cbranch_vccnz .LBB241_2371
	s_branch .LBB241_1579
.LBB241_1454:
	s_mov_b64 s[10:11], 0
	s_mov_b64 s[0:1], 0
                                        ; implicit-def: $vgpr9
                                        ; implicit-def: $vgpr7
	s_cbranch_execnz .LBB241_1493
	s_branch .LBB241_1526
.LBB241_1455:
	s_mov_b64 s[12:13], -1
	s_mov_b64 s[10:11], 0
	s_mov_b64 s[0:1], 0
                                        ; implicit-def: $vgpr9
                                        ; implicit-def: $vgpr7
	s_branch .LBB241_1474
.LBB241_1456:
	s_mov_b64 s[12:13], -1
	s_mov_b64 s[10:11], 0
	s_mov_b64 s[0:1], 0
                                        ; implicit-def: $vgpr9
                                        ; implicit-def: $vgpr7
	s_branch .LBB241_1468
.LBB241_1457:
	s_trap 2
	s_or_b64 s[8:9], s[24:25], exec
	s_cbranch_execz .LBB241_1366
	s_branch .LBB241_1367
.LBB241_1458:
	s_mov_b64 s[12:13], -1
	s_mov_b64 s[10:11], 0
	s_mov_b64 s[0:1], 0
                                        ; implicit-def: $vgpr9
                                        ; implicit-def: $vgpr7
	s_branch .LBB241_1462
.LBB241_1459:
	s_andn2_saveexec_b64 s[14:15], s[14:15]
	s_cbranch_execz .LBB241_1154
.LBB241_1460:
	s_mov_b32 s18, 0x42800000
	v_add_f32_e64 v1, |v0|, s18
	v_and_b32_e32 v1, 0xff, v1
	v_cmp_ne_u32_e32 vcc, 0, v1
	s_andn2_b64 s[12:13], s[12:13], exec
	s_and_b64 s[18:19], vcc, exec
	s_or_b64 s[12:13], s[12:13], s[18:19]
	s_or_b64 exec, exec, s[14:15]
	v_mov_b32_e32 v7, 0
	s_and_saveexec_b64 s[14:15], s[12:13]
	s_cbranch_execnz .LBB241_1155
	s_branch .LBB241_1156
.LBB241_1461:
	s_mov_b64 s[0:1], -1
                                        ; implicit-def: $vgpr9
                                        ; implicit-def: $vgpr7
	s_mov_b64 s[10:11], 0
.LBB241_1462:
	s_and_b64 vcc, exec, s[12:13]
	s_cbranch_vccz .LBB241_1467
; %bb.1463:
	s_cmp_eq_u32 s16, 44
	s_cbranch_scc0 .LBB241_1465
; %bb.1464:
	global_load_ubyte v5, v[12:13], off
	s_movk_i32 s10, 0xff
	v_mov_b32_e32 v9, 0x7e00
	s_mov_b64 s[0:1], 0
	s_waitcnt vmcnt(0)
	v_lshlrev_b32_e32 v7, 23, v5
	v_cvt_f16_f32_e32 v7, v7
	v_cmp_ne_u32_e32 vcc, s10, v5
	s_mov_b64 s[10:11], -1
	s_nop 0
	v_cndmask_b32_e32 v7, v9, v7, vcc
	v_cmp_ne_u32_e32 vcc, 0, v5
	s_nop 1
	v_cndmask_b32_e32 v7, 0, v7, vcc
	s_branch .LBB241_1466
.LBB241_1465:
	s_mov_b64 s[0:1], -1
                                        ; implicit-def: $vgpr7
.LBB241_1466:
	v_mov_b32_e32 v9, 0
.LBB241_1467:
	s_mov_b64 s[12:13], 0
.LBB241_1468:
	s_and_b64 vcc, exec, s[12:13]
	s_cbranch_vccz .LBB241_1473
; %bb.1469:
	s_cmp_eq_u32 s16, 29
	s_cbranch_scc0 .LBB241_1471
; %bb.1470:
	global_load_dwordx2 v[14:15], v[12:13], off
	s_mov_b64 s[0:1], 0
	s_mov_b64 s[10:11], -1
	s_waitcnt vmcnt(0)
	v_ffbh_u32_e32 v5, v15
	v_min_u32_e32 v5, 32, v5
	v_lshlrev_b64 v[14:15], v5, v[14:15]
	v_min_u32_e32 v7, 1, v14
	v_or_b32_e32 v7, v15, v7
	v_cvt_f32_u32_e32 v7, v7
	v_sub_u32_e32 v5, 32, v5
	v_ldexp_f32 v5, v7, v5
	v_cvt_f16_f32_e32 v7, v5
	s_branch .LBB241_1472
.LBB241_1471:
	s_mov_b64 s[0:1], -1
                                        ; implicit-def: $vgpr7
.LBB241_1472:
	v_mov_b32_e32 v9, 0
.LBB241_1473:
	s_mov_b64 s[12:13], 0
.LBB241_1474:
	s_and_b64 vcc, exec, s[12:13]
	s_cbranch_vccz .LBB241_1492
; %bb.1475:
	s_cmp_lt_i32 s16, 27
	s_cbranch_scc1 .LBB241_1478
; %bb.1476:
	s_cmp_gt_i32 s16, 27
	s_cbranch_scc0 .LBB241_1479
; %bb.1477:
	global_load_dword v5, v[12:13], off
	s_mov_b64 s[10:11], 0
	s_waitcnt vmcnt(0)
	v_cvt_f32_u32_e32 v5, v5
	v_cvt_f16_f32_e32 v7, v5
	s_branch .LBB241_1480
.LBB241_1478:
	s_mov_b64 s[10:11], -1
                                        ; implicit-def: $vgpr7
	s_branch .LBB241_1483
.LBB241_1479:
	s_mov_b64 s[10:11], -1
                                        ; implicit-def: $vgpr7
.LBB241_1480:
	s_andn2_b64 vcc, exec, s[10:11]
	s_cbranch_vccnz .LBB241_1482
; %bb.1481:
	global_load_ushort v5, v[12:13], off
	s_waitcnt vmcnt(0)
	v_cvt_f16_u16_e32 v7, v5
.LBB241_1482:
	s_mov_b64 s[10:11], 0
.LBB241_1483:
	s_andn2_b64 vcc, exec, s[10:11]
	s_cbranch_vccnz .LBB241_1491
; %bb.1484:
	global_load_ubyte v5, v[12:13], off
	s_movk_i32 s10, 0x7f
	s_waitcnt vmcnt(0)
	v_cmp_lt_i16_e32 vcc, s10, v5
	s_mov_b64 s[10:11], 0
	s_and_saveexec_b64 s[12:13], vcc
	s_xor_b64 s[12:13], exec, s[12:13]
	s_cbranch_execz .LBB241_1504
; %bb.1485:
	s_movk_i32 s10, 0x80
	v_cmp_eq_u16_e32 vcc, s10, v5
	s_mov_b64 s[10:11], -1
	s_and_saveexec_b64 s[14:15], vcc
; %bb.1486:
	s_xor_b64 s[10:11], exec, -1
; %bb.1487:
	s_or_b64 exec, exec, s[14:15]
	s_and_b64 s[10:11], s[10:11], exec
	s_or_saveexec_b64 s[12:13], s[12:13]
	v_mov_b32_e32 v7, 0x7e00
	s_xor_b64 exec, exec, s[12:13]
	s_cbranch_execnz .LBB241_1505
.LBB241_1488:
	s_or_b64 exec, exec, s[12:13]
	s_and_saveexec_b64 s[12:13], s[10:11]
	s_cbranch_execz .LBB241_1490
.LBB241_1489:
	v_lshlrev_b32_e32 v7, 24, v5
	v_and_b32_e32 v5, 0xffff, v5
	v_and_b32_e32 v9, 7, v5
	v_ffbh_u32_e32 v14, v9
	v_min_u32_e32 v14, 32, v14
	v_subrev_u32_e32 v15, 28, v14
	v_bfe_u32 v11, v5, 3, 4
	v_lshlrev_b32_e32 v5, v15, v5
	v_sub_u32_e32 v14, 29, v14
	v_and_b32_e32 v5, 7, v5
	v_cmp_eq_u32_e32 vcc, 0, v11
	v_and_b32_e32 v7, 0x80000000, v7
	s_nop 0
	v_cndmask_b32_e32 v11, v11, v14, vcc
	v_cndmask_b32_e32 v5, v9, v5, vcc
	v_mov_b32_e32 v9, 0x3b800000
	v_lshlrev_b32_e32 v5, 20, v5
	v_lshl_add_u32 v9, v11, 23, v9
	v_or3_b32 v5, v7, v9, v5
	v_cvt_f16_f32_e32 v7, v5
.LBB241_1490:
	s_or_b64 exec, exec, s[12:13]
.LBB241_1491:
	s_mov_b64 s[10:11], -1
	v_mov_b32_e32 v9, 0
.LBB241_1492:
	s_branch .LBB241_1526
.LBB241_1493:
	s_cmp_gt_i32 s16, 22
	s_cbranch_scc0 .LBB241_1503
; %bb.1494:
	s_cmp_lt_i32 s16, 24
	s_cbranch_scc1 .LBB241_1506
; %bb.1495:
	s_cmp_gt_i32 s16, 24
	s_cbranch_scc0 .LBB241_1507
; %bb.1496:
	global_load_ubyte v5, v[12:13], off
	s_movk_i32 s2, 0x7f
	s_waitcnt vmcnt(0)
	v_cmp_lt_i16_e32 vcc, s2, v5
	s_mov_b64 s[2:3], 0
	s_and_saveexec_b64 s[10:11], vcc
	s_xor_b64 s[10:11], exec, s[10:11]
	s_cbranch_execz .LBB241_1519
; %bb.1497:
	s_movk_i32 s2, 0x80
	v_cmp_eq_u16_e32 vcc, s2, v5
	s_mov_b64 s[2:3], -1
	s_and_saveexec_b64 s[12:13], vcc
; %bb.1498:
	s_xor_b64 s[2:3], exec, -1
; %bb.1499:
	s_or_b64 exec, exec, s[12:13]
	s_and_b64 s[2:3], s[2:3], exec
	s_or_saveexec_b64 s[10:11], s[10:11]
	v_mov_b32_e32 v7, 0x7e00
	s_xor_b64 exec, exec, s[10:11]
	s_cbranch_execnz .LBB241_1520
.LBB241_1500:
	s_or_b64 exec, exec, s[10:11]
	s_and_saveexec_b64 s[10:11], s[2:3]
	s_cbranch_execz .LBB241_1502
.LBB241_1501:
	v_lshlrev_b32_e32 v7, 24, v5
	v_and_b32_e32 v5, 0xffff, v5
	v_and_b32_e32 v9, 3, v5
	v_ffbh_u32_e32 v14, v9
	v_min_u32_e32 v14, 32, v14
	v_subrev_u32_e32 v15, 29, v14
	v_bfe_u32 v11, v5, 2, 5
	v_lshlrev_b32_e32 v5, v15, v5
	v_sub_u32_e32 v14, 30, v14
	v_and_b32_e32 v5, 3, v5
	v_cmp_eq_u32_e32 vcc, 0, v11
	v_and_b32_e32 v7, 0x80000000, v7
	s_nop 0
	v_cndmask_b32_e32 v11, v11, v14, vcc
	v_cndmask_b32_e32 v5, v9, v5, vcc
	v_mov_b32_e32 v9, 0x37800000
	v_lshlrev_b32_e32 v5, 21, v5
	v_lshl_add_u32 v9, v11, 23, v9
	v_or3_b32 v5, v7, v9, v5
	v_cvt_f16_f32_e32 v7, v5
.LBB241_1502:
	s_or_b64 exec, exec, s[10:11]
	s_mov_b64 s[2:3], 0
	s_branch .LBB241_1508
.LBB241_1503:
	s_mov_b64 s[2:3], -1
                                        ; implicit-def: $vgpr7
	s_branch .LBB241_1514
.LBB241_1504:
	s_or_saveexec_b64 s[12:13], s[12:13]
	v_mov_b32_e32 v7, 0x7e00
	s_xor_b64 exec, exec, s[12:13]
	s_cbranch_execz .LBB241_1488
.LBB241_1505:
	v_cmp_ne_u16_e32 vcc, 0, v5
	s_andn2_b64 s[10:11], s[10:11], exec
	s_and_b64 s[14:15], vcc, exec
	s_or_b64 s[10:11], s[10:11], s[14:15]
	v_mov_b32_e32 v7, v5
	s_or_b64 exec, exec, s[12:13]
	s_and_saveexec_b64 s[12:13], s[10:11]
	s_cbranch_execnz .LBB241_1489
	s_branch .LBB241_1490
.LBB241_1506:
	s_mov_b64 s[2:3], -1
                                        ; implicit-def: $vgpr7
	s_branch .LBB241_1511
.LBB241_1507:
	s_mov_b64 s[2:3], -1
                                        ; implicit-def: $vgpr7
.LBB241_1508:
	s_and_b64 vcc, exec, s[2:3]
	s_cbranch_vccz .LBB241_1510
; %bb.1509:
	global_load_ubyte v5, v[12:13], off
	s_mov_b32 s2, 0x7f800000
	s_waitcnt vmcnt(0)
	v_lshlrev_b32_e32 v5, 24, v5
	v_and_b32_e32 v7, 0x7f000000, v5
	v_ffbh_u32_e32 v9, v7
	v_min_u32_e32 v9, 32, v9
	v_sub_u32_e64 v9, v9, 4 clamp
	v_lshlrev_b32_e32 v14, v9, v7
	v_lshlrev_b32_e32 v9, 23, v9
	v_lshrrev_b32_e32 v14, 4, v14
	v_add_u32_e32 v11, 0x1000000, v7
	v_sub_u32_e32 v9, v14, v9
	v_ashrrev_i32_e32 v11, 8, v11
	v_add_u32_e32 v9, 0x3c000000, v9
	v_and_or_b32 v9, v11, s2, v9
	v_cmp_ne_u32_e32 vcc, 0, v7
	s_brev_b32 s2, 1
	s_nop 0
	v_cndmask_b32_e32 v7, 0, v9, vcc
	v_and_or_b32 v5, v5, s2, v7
	v_cvt_f16_f32_e32 v7, v5
.LBB241_1510:
	s_mov_b64 s[2:3], 0
.LBB241_1511:
	s_andn2_b64 vcc, exec, s[2:3]
	s_cbranch_vccnz .LBB241_1513
; %bb.1512:
	global_load_ubyte v5, v[12:13], off
	s_movk_i32 s2, 0x7f00
	s_brev_b32 s3, 16
	s_waitcnt vmcnt(0)
	v_lshlrev_b16_e32 v7, 8, v5
	v_lshlrev_b32_e32 v5, 25, v5
	v_lshrrev_b32_e32 v9, 4, v5
	v_and_or_b32 v11, v7, s2, 0.5
	v_or_b32_e32 v9, 0x70000000, v9
	v_add_f32_e32 v11, -0.5, v11
	v_mul_f32_e32 v9, 0x7800000, v9
	v_cmp_gt_u32_e32 vcc, s3, v5
	v_bfe_i32 v7, v7, 0, 16
	s_brev_b32 s2, 1
	v_cndmask_b32_e32 v5, v9, v11, vcc
	v_and_or_b32 v5, v7, s2, v5
	v_cvt_f16_f32_e32 v7, v5
.LBB241_1513:
	s_mov_b64 s[2:3], 0
	s_mov_b64 s[10:11], -1
.LBB241_1514:
	s_andn2_b64 vcc, exec, s[2:3]
	s_mov_b64 s[2:3], 0
	s_cbranch_vccnz .LBB241_1525
; %bb.1515:
	s_cmp_gt_i32 s16, 14
	s_cbranch_scc0 .LBB241_1518
; %bb.1516:
	s_cmp_eq_u32 s16, 15
	s_cbranch_scc0 .LBB241_1521
; %bb.1517:
	global_load_ushort v5, v[12:13], off
	s_mov_b64 s[0:1], 0
	s_mov_b64 s[10:11], -1
	s_waitcnt vmcnt(0)
	v_lshlrev_b32_e32 v5, 16, v5
	v_cvt_f16_f32_e32 v7, v5
	s_branch .LBB241_1522
.LBB241_1518:
	s_mov_b64 s[12:13], -1
                                        ; implicit-def: $vgpr7
	s_branch .LBB241_1523
.LBB241_1519:
	s_or_saveexec_b64 s[10:11], s[10:11]
	v_mov_b32_e32 v7, 0x7e00
	s_xor_b64 exec, exec, s[10:11]
	s_cbranch_execz .LBB241_1500
.LBB241_1520:
	v_cmp_ne_u16_e32 vcc, 0, v5
	s_andn2_b64 s[2:3], s[2:3], exec
	s_and_b64 s[12:13], vcc, exec
	s_or_b64 s[2:3], s[2:3], s[12:13]
	v_mov_b32_e32 v7, v5
	s_or_b64 exec, exec, s[10:11]
	s_and_saveexec_b64 s[10:11], s[2:3]
	s_cbranch_execnz .LBB241_1501
	s_branch .LBB241_1502
.LBB241_1521:
	s_mov_b64 s[0:1], -1
                                        ; implicit-def: $vgpr7
.LBB241_1522:
	s_mov_b64 s[12:13], 0
.LBB241_1523:
	s_and_b64 vcc, exec, s[12:13]
	s_cbranch_vccz .LBB241_1525
; %bb.1524:
	s_cmp_lg_u32 s16, 11
	s_mov_b64 s[2:3], -1
	s_cselect_b64 s[0:1], -1, 0
.LBB241_1525:
	v_mov_b32_e32 v9, 0
.LBB241_1526:
	s_and_b64 vcc, exec, s[0:1]
	s_cbranch_vccnz .LBB241_1633
; %bb.1527:
	s_andn2_b64 vcc, exec, s[2:3]
	s_cbranch_vccnz .LBB241_1529
.LBB241_1528:
	global_load_ubyte v5, v[12:13], off
	v_mov_b32_e32 v7, 0x3c00
	v_mov_b32_e32 v9, 0
	s_mov_b64 s[10:11], -1
	s_waitcnt vmcnt(0)
	v_cmp_ne_u16_e32 vcc, 0, v5
	s_nop 1
	v_cndmask_b32_e32 v7, 0, v7, vcc
.LBB241_1529:
	s_branch .LBB241_1453
.LBB241_1530:
	s_and_b32 s2, 0xffff, s23
	s_cmp_lt_i32 s2, 5
	s_cbranch_scc1 .LBB241_1535
; %bb.1531:
	s_cmp_lt_i32 s2, 8
	s_cbranch_scc1 .LBB241_1537
; %bb.1532:
	;; [unrolled: 3-line block ×3, first 2 shown]
	s_cmp_gt_i32 s2, 9
	s_cbranch_scc0 .LBB241_1539
; %bb.1534:
	global_load_dwordx4 v[14:17], v[12:13], off
	s_movk_i32 s0, 0x1ff
	s_movk_i32 s1, 0xffe
	v_mov_b32_e32 v5, 0x7c00
	v_mov_b32_e32 v7, 0x7e00
	s_movk_i32 s3, 0x40f
	s_mov_b32 s10, 0x8000
	s_waitcnt vmcnt(0)
	v_and_or_b32 v9, v15, s0, v14
	v_and_or_b32 v16, v17, s0, v16
	v_cmp_ne_u32_e32 vcc, 0, v9
	v_lshrrev_b32_e32 v11, 8, v15
	v_bfe_u32 v14, v15, 20, 11
	v_cndmask_b32_e64 v9, 0, 1, vcc
	v_cmp_ne_u32_e32 vcc, 0, v16
	v_lshrrev_b32_e32 v18, 8, v17
	v_bfe_u32 v19, v17, 20, 11
	v_sub_u32_e32 v20, 0x3f1, v14
	v_cndmask_b32_e64 v16, 0, 1, vcc
	v_and_or_b32 v9, v11, s1, v9
	v_add_u32_e32 v14, 0xfffffc10, v14
	v_sub_u32_e32 v21, 0x3f1, v19
	v_add_u32_e32 v19, 0xfffffc10, v19
	v_med3_i32 v11, v20, 0, 13
	v_and_or_b32 v16, v18, s1, v16
	v_or_b32_e32 v20, 0x1000, v9
	v_cmp_ne_u32_e32 vcc, 0, v9
	v_med3_i32 v18, v21, 0, 13
	v_lshl_or_b32 v21, v14, 12, v9
	v_cndmask_b32_e32 v9, v5, v7, vcc
	v_or_b32_e32 v22, 0x1000, v16
	v_lshl_or_b32 v23, v19, 12, v16
	v_cmp_ne_u32_e32 vcc, 0, v16
	v_lshrrev_b32_e32 v16, v11, v20
	v_lshrrev_b32_e32 v24, v18, v22
	v_lshlrev_b32_e32 v11, v11, v16
	v_cndmask_b32_e32 v7, v5, v7, vcc
	v_lshlrev_b32_e32 v18, v18, v24
	v_cmp_ne_u32_e32 vcc, v11, v20
	v_lshrrev_b32_e32 v15, 16, v15
	v_lshrrev_b32_e32 v17, 16, v17
	v_cndmask_b32_e64 v11, 0, 1, vcc
	v_cmp_ne_u32_e32 vcc, v18, v22
	v_or_b32_e32 v11, v16, v11
	s_mov_b64 s[0:1], 0
	v_cndmask_b32_e64 v18, 0, 1, vcc
	v_cmp_gt_i32_e32 vcc, 1, v14
	v_or_b32_e32 v16, v24, v18
	s_nop 0
	v_cndmask_b32_e32 v11, v21, v11, vcc
	v_cmp_gt_i32_e32 vcc, 1, v19
	v_and_b32_e32 v18, 7, v11
	v_lshrrev_b32_e32 v11, 2, v11
	v_cndmask_b32_e32 v16, v23, v16, vcc
	v_cmp_lt_i32_e32 vcc, 5, v18
	v_and_b32_e32 v20, 7, v16
	v_lshrrev_b32_e32 v16, 2, v16
	v_cndmask_b32_e64 v21, 0, 1, vcc
	v_cmp_eq_u32_e32 vcc, 3, v18
	s_nop 1
	v_cndmask_b32_e64 v18, 0, 1, vcc
	v_cmp_lt_i32_e32 vcc, 5, v20
	v_or_b32_e32 v18, v18, v21
	v_add_u32_e32 v11, v11, v18
	v_cndmask_b32_e64 v22, 0, 1, vcc
	v_cmp_eq_u32_e32 vcc, 3, v20
	s_nop 1
	v_cndmask_b32_e64 v20, 0, 1, vcc
	v_or_b32_e32 v20, v20, v22
	v_cmp_gt_i32_e32 vcc, 31, v14
	v_add_u32_e32 v16, v16, v20
	s_nop 0
	v_cndmask_b32_e32 v11, v5, v11, vcc
	v_cmp_gt_i32_e32 vcc, 31, v19
	s_nop 1
	v_cndmask_b32_e32 v5, v5, v16, vcc
	v_cmp_eq_u32_e32 vcc, s3, v14
	s_nop 1
	v_cndmask_b32_e32 v9, v11, v9, vcc
	v_cmp_eq_u32_e32 vcc, s3, v19
	s_nop 1
	v_cndmask_b32_e32 v5, v5, v7, vcc
	v_and_or_b32 v7, v15, s10, v9
	v_and_or_b32 v9, v17, s10, v5
	s_branch .LBB241_1540
.LBB241_1535:
                                        ; implicit-def: $vgpr9
                                        ; implicit-def: $vgpr7
	s_branch .LBB241_1559
.LBB241_1536:
	s_branch .LBB241_1579
.LBB241_1537:
	s_mov_b64 s[0:1], -1
                                        ; implicit-def: $vgpr9
                                        ; implicit-def: $vgpr7
	s_branch .LBB241_1546
.LBB241_1538:
	s_mov_b64 s[0:1], -1
                                        ; implicit-def: $vgpr9
                                        ; implicit-def: $vgpr7
	s_branch .LBB241_1543
.LBB241_1539:
	s_mov_b64 s[0:1], -1
                                        ; implicit-def: $vgpr9
                                        ; implicit-def: $vgpr7
.LBB241_1540:
	s_andn2_b64 vcc, exec, s[0:1]
	s_cbranch_vccnz .LBB241_1542
; %bb.1541:
	global_load_dwordx2 v[14:15], v[12:13], off
	s_waitcnt vmcnt(0)
	v_cvt_f16_f32_e32 v7, v14
	v_cvt_f16_f32_e32 v9, v15
.LBB241_1542:
	s_mov_b64 s[0:1], 0
.LBB241_1543:
	s_andn2_b64 vcc, exec, s[0:1]
	s_cbranch_vccnz .LBB241_1545
; %bb.1544:
	global_load_dword v7, v[12:13], off
	s_waitcnt vmcnt(0)
	v_lshrrev_b32_e32 v9, 16, v7
.LBB241_1545:
	s_mov_b64 s[0:1], 0
.LBB241_1546:
	s_andn2_b64 vcc, exec, s[0:1]
	s_cbranch_vccnz .LBB241_1558
; %bb.1547:
	s_cmp_lt_i32 s2, 6
	s_cbranch_scc1 .LBB241_1550
; %bb.1548:
	s_cmp_gt_i32 s2, 6
	s_cbranch_scc0 .LBB241_1551
; %bb.1549:
	global_load_dwordx2 v[14:15], v[12:13], off
	s_movk_i32 s0, 0x1ff
	s_movk_i32 s1, 0xffe
	v_mov_b32_e32 v5, 0x7c00
	v_mov_b32_e32 v7, 0x7e00
	s_movk_i32 s3, 0x40f
	s_mov_b32 s10, 0x8000
	s_waitcnt vmcnt(0)
	v_and_or_b32 v9, v15, s0, v14
	v_cmp_ne_u32_e32 vcc, 0, v9
	v_lshrrev_b32_e32 v11, 8, v15
	v_bfe_u32 v14, v15, 20, 11
	v_cndmask_b32_e64 v9, 0, 1, vcc
	v_sub_u32_e32 v16, 0x3f1, v14
	v_and_or_b32 v9, v11, s1, v9
	v_add_u32_e32 v14, 0xfffffc10, v14
	v_med3_i32 v11, v16, 0, 13
	v_or_b32_e32 v16, 0x1000, v9
	v_lshl_or_b32 v17, v14, 12, v9
	v_cmp_ne_u32_e32 vcc, 0, v9
	v_lshrrev_b32_e32 v9, v11, v16
	v_lshlrev_b32_e32 v11, v11, v9
	v_cndmask_b32_e32 v7, v5, v7, vcc
	v_cmp_ne_u32_e32 vcc, v11, v16
	v_lshrrev_b32_e32 v15, 16, v15
	s_mov_b64 s[0:1], 0
	v_cndmask_b32_e64 v11, 0, 1, vcc
	v_or_b32_e32 v9, v9, v11
	v_cmp_gt_i32_e32 vcc, 1, v14
	s_nop 1
	v_cndmask_b32_e32 v9, v17, v9, vcc
	v_and_b32_e32 v11, 7, v9
	v_cmp_lt_i32_e32 vcc, 5, v11
	v_lshrrev_b32_e32 v9, 2, v9
	s_nop 0
	v_cndmask_b32_e64 v16, 0, 1, vcc
	v_cmp_eq_u32_e32 vcc, 3, v11
	s_nop 1
	v_cndmask_b32_e64 v11, 0, 1, vcc
	v_or_b32_e32 v11, v11, v16
	v_add_u32_e32 v9, v9, v11
	v_cmp_gt_i32_e32 vcc, 31, v14
	s_nop 1
	v_cndmask_b32_e32 v5, v5, v9, vcc
	v_cmp_eq_u32_e32 vcc, s3, v14
	s_nop 1
	v_cndmask_b32_e32 v5, v5, v7, vcc
	v_and_or_b32 v7, v15, s10, v5
	s_branch .LBB241_1552
.LBB241_1550:
	s_mov_b64 s[0:1], -1
                                        ; implicit-def: $vgpr7
	s_branch .LBB241_1555
.LBB241_1551:
	s_mov_b64 s[0:1], -1
                                        ; implicit-def: $vgpr7
.LBB241_1552:
	s_andn2_b64 vcc, exec, s[0:1]
	s_cbranch_vccnz .LBB241_1554
; %bb.1553:
	global_load_dword v5, v[12:13], off
	s_waitcnt vmcnt(0)
	v_cvt_f16_f32_e32 v7, v5
.LBB241_1554:
	s_mov_b64 s[0:1], 0
.LBB241_1555:
	s_andn2_b64 vcc, exec, s[0:1]
	s_cbranch_vccnz .LBB241_1557
; %bb.1556:
	global_load_ushort v7, v[12:13], off
.LBB241_1557:
	v_mov_b32_e32 v9, 0
.LBB241_1558:
	s_cbranch_execnz .LBB241_1536
.LBB241_1559:
	s_cmp_lt_i32 s2, 2
	s_cbranch_scc1 .LBB241_1563
; %bb.1560:
	s_cmp_lt_i32 s2, 3
	s_cbranch_scc1 .LBB241_1564
; %bb.1561:
	s_cmp_gt_i32 s2, 3
	s_cbranch_scc0 .LBB241_1565
; %bb.1562:
	global_load_dwordx2 v[14:15], v[12:13], off
	s_mov_b64 s[0:1], 0
	s_waitcnt vmcnt(0)
	v_xor_b32_e32 v7, v14, v15
	v_ffbh_i32_e32 v5, v15
	v_ashrrev_i32_e32 v7, 31, v7
	v_add_u32_e32 v5, -1, v5
	v_add_u32_e32 v7, 32, v7
	v_min_u32_e32 v5, v5, v7
	v_lshlrev_b64 v[14:15], v5, v[14:15]
	v_min_u32_e32 v7, 1, v14
	v_or_b32_e32 v7, v15, v7
	v_cvt_f32_i32_e32 v7, v7
	v_sub_u32_e32 v5, 32, v5
	v_ldexp_f32 v5, v7, v5
	v_cvt_f16_f32_e32 v7, v5
	s_branch .LBB241_1566
.LBB241_1563:
	s_mov_b64 s[0:1], -1
                                        ; implicit-def: $vgpr7
	s_branch .LBB241_1572
.LBB241_1564:
	s_mov_b64 s[0:1], -1
                                        ; implicit-def: $vgpr7
	s_branch .LBB241_1569
.LBB241_1565:
	s_mov_b64 s[0:1], -1
                                        ; implicit-def: $vgpr7
.LBB241_1566:
	s_andn2_b64 vcc, exec, s[0:1]
	s_cbranch_vccnz .LBB241_1568
; %bb.1567:
	global_load_dword v5, v[12:13], off
	s_waitcnt vmcnt(0)
	v_cvt_f32_i32_e32 v5, v5
	v_cvt_f16_f32_e32 v7, v5
.LBB241_1568:
	s_mov_b64 s[0:1], 0
.LBB241_1569:
	s_andn2_b64 vcc, exec, s[0:1]
	s_cbranch_vccnz .LBB241_1571
; %bb.1570:
	global_load_ushort v5, v[12:13], off
	s_waitcnt vmcnt(0)
	v_cvt_f16_i16_e32 v7, v5
.LBB241_1571:
	s_mov_b64 s[0:1], 0
.LBB241_1572:
	s_andn2_b64 vcc, exec, s[0:1]
	s_cbranch_vccnz .LBB241_1578
; %bb.1573:
	s_cmp_gt_i32 s2, 0
	s_cbranch_scc0 .LBB241_1575
; %bb.1574:
	global_load_sbyte v5, v[12:13], off
	s_mov_b64 s[0:1], 0
	s_waitcnt vmcnt(0)
	v_cvt_f16_i16_e32 v7, v5
	s_branch .LBB241_1576
.LBB241_1575:
	s_mov_b64 s[0:1], -1
                                        ; implicit-def: $vgpr7
.LBB241_1576:
	s_andn2_b64 vcc, exec, s[0:1]
	s_cbranch_vccnz .LBB241_1578
; %bb.1577:
	global_load_ubyte v5, v[12:13], off
	s_waitcnt vmcnt(0)
	v_cvt_f16_u16_e32 v7, v5
.LBB241_1578:
	v_mov_b32_e32 v9, 0
.LBB241_1579:
	v_cvt_f32_f16_e32 v5, v9
	s_waitcnt vmcnt(0)
	v_cmp_neq_f16_e32 vcc, 0, v7
	v_cmp_neq_f16_e64 s[0:1], 0, v9
	s_or_b64 s[0:1], vcc, s[0:1]
	v_mov_b32_e32 v12, 0
	s_and_saveexec_b64 s[10:11], s[0:1]
	s_cbranch_execz .LBB241_1609
; %bb.1580:
	v_mov_b32_e32 v12, 0x7f800000
	v_cmp_neq_f32_e64 s[0:1], |v5|, v12
	s_and_saveexec_b64 s[12:13], s[0:1]
	s_cbranch_execz .LBB241_1608
; %bb.1581:
	v_cvt_f32_f16_e32 v9, v7
	v_cmp_o_f16_e32 vcc, v7, v7
                                        ; implicit-def: $vgpr12
	s_and_saveexec_b64 s[0:1], vcc
	s_xor_b64 s[14:15], exec, s[0:1]
	s_cbranch_execz .LBB241_1605
; %bb.1582:
	s_mov_b32 s0, 0x7f800000
	v_cmp_neq_f32_e64 s[0:1], |v9|, s0
                                        ; implicit-def: $vgpr12
	s_and_saveexec_b64 s[2:3], s[0:1]
	s_xor_b64 s[16:17], exec, s[2:3]
	s_cbranch_execz .LBB241_1598
; %bb.1583:
	v_max_f32_e64 v7, |v5|, |v5|
	v_max_f32_e64 v11, |v9|, |v9|
	v_max_f32_e32 v7, v11, v7
	s_mov_b32 s0, 0x7ed413cb
	v_cmp_nle_f32_e64 s[0:1], s0, v7
                                        ; implicit-def: $sgpr18_sgpr19
	s_and_saveexec_b64 s[2:3], s[0:1]
	s_xor_b64 s[2:3], exec, s[2:3]
	s_cbranch_execz .LBB241_1587
; %bb.1584:
	s_mov_b32 s20, 0x1000000
	v_cmp_le_f32_e64 s[18:19], |v9|, s20
	v_cmp_le_f32_e64 s[20:21], |v5|, s20
	s_and_b64 s[28:29], s[18:19], s[20:21]
	s_mov_b64 s[18:19], 0
	s_and_saveexec_b64 s[20:21], s[28:29]
; %bb.1585:
	s_mov_b64 s[18:19], exec
	v_mul_f32_e32 v9, 4.0, v9
	v_mul_f32_e32 v5, 4.0, v5
; %bb.1586:
	s_or_b64 exec, exec, s[20:21]
.LBB241_1587:
	s_andn2_saveexec_b64 s[2:3], s[2:3]
; %bb.1588:
	v_mul_f32_e32 v9, 0x3e800000, v9
	v_mul_f32_e32 v5, 0x3e800000, v5
	s_andn2_b64 s[18:19], s[18:19], exec
; %bb.1589:
	s_or_b64 exec, exec, s[2:3]
	v_max_f32_e64 v7, |v5|, |v5|
	v_max_f32_e64 v11, |v9|, |v9|
	v_max_f32_e32 v7, v11, v7
	v_cvt_f64_f32_e32 v[12:13], v7
	v_frexp_exp_i32_f64_e32 v11, v[12:13]
	v_sub_u32_e32 v12, 0, v11
	v_ldexp_f32 v13, |v9|, v12
	v_ldexp_f32 v12, |v5|, v12
	v_mul_f32_e32 v12, v12, v12
	v_fmac_f32_e32 v12, v13, v13
	v_sqrt_f32_e32 v12, v12
	s_mov_b32 s2, 0x7f800000
	v_cmp_neq_f32_e64 s[2:3], s2, v7
	v_cmp_le_f32_e32 vcc, 0, v9
	v_ldexp_f32 v11, v12, v11
	v_mov_b32_e32 v12, 0x7f800000
	v_cndmask_b32_e64 v12, v12, v11, s[2:3]
                                        ; implicit-def: $vgpr11
                                        ; implicit-def: $vgpr7
	s_and_saveexec_b64 s[2:3], vcc
	s_xor_b64 s[20:21], exec, s[2:3]
	s_cbranch_execz .LBB241_1591
; %bb.1590:
	v_add_f32_e32 v7, v9, v12
	v_mul_f32_e32 v7, 0.5, v7
	s_mov_b32 s2, 0xf800000
	v_mul_f32_e32 v9, 0x4f800000, v7
	v_cmp_gt_f32_e32 vcc, s2, v7
	s_nop 1
	v_cndmask_b32_e32 v7, v7, v9, vcc
	v_sqrt_f32_e32 v9, v7
	s_nop 0
	v_add_u32_e32 v11, -1, v9
	v_fma_f32 v12, -v11, v9, v7
	v_cmp_ge_f32_e64 s[2:3], 0, v12
	v_add_u32_e32 v12, 1, v9
	s_nop 0
	v_cndmask_b32_e64 v11, v9, v11, s[2:3]
	v_fma_f32 v9, -v12, v9, v7
	v_cmp_lt_f32_e64 s[2:3], 0, v9
	s_nop 1
	v_cndmask_b32_e64 v9, v11, v12, s[2:3]
	v_mul_f32_e32 v11, 0x37800000, v9
	v_cndmask_b32_e32 v9, v9, v11, vcc
	v_mov_b32_e32 v11, 0x260
	v_cmp_class_f32_e32 vcc, v7, v11
	s_nop 1
	v_cndmask_b32_e32 v7, v9, v7, vcc
	v_add_f32_e32 v9, v7, v7
	v_div_scale_f32 v11, s[2:3], v9, v9, v5
	v_rcp_f32_e32 v12, v11
	s_nop 0
	v_fma_f32 v13, -v11, v12, 1.0
	v_fmac_f32_e32 v12, v13, v12
	v_div_scale_f32 v13, vcc, v5, v9, v5
	v_mul_f32_e32 v14, v13, v12
	v_fma_f32 v15, -v11, v14, v13
	v_fmac_f32_e32 v14, v15, v12
	v_fma_f32 v11, -v11, v14, v13
	v_div_fmas_f32 v11, v11, v12, v14
	v_div_fixup_f32 v11, v11, v9, v5
                                        ; implicit-def: $vgpr12
                                        ; implicit-def: $vgpr9
                                        ; implicit-def: $vgpr5
	s_andn2_saveexec_b64 s[20:21], s[20:21]
	s_cbranch_execz .LBB241_1593
	s_branch .LBB241_1592
.LBB241_1591:
	s_andn2_saveexec_b64 s[20:21], s[20:21]
	s_cbranch_execz .LBB241_1593
.LBB241_1592:
	v_sub_f32_e32 v7, v12, v9
	v_mul_f32_e32 v7, 0.5, v7
	s_mov_b32 s2, 0xf800000
	v_mul_f32_e32 v9, 0x4f800000, v7
	v_cmp_gt_f32_e32 vcc, s2, v7
	s_nop 1
	v_cndmask_b32_e32 v7, v7, v9, vcc
	v_sqrt_f32_e32 v9, v7
	s_nop 0
	v_add_u32_e32 v11, -1, v9
	v_fma_f32 v12, -v11, v9, v7
	v_cmp_ge_f32_e64 s[2:3], 0, v12
	v_add_u32_e32 v12, 1, v9
	s_nop 0
	v_cndmask_b32_e64 v11, v9, v11, s[2:3]
	v_fma_f32 v9, -v12, v9, v7
	v_cmp_lt_f32_e64 s[2:3], 0, v9
	s_nop 1
	v_cndmask_b32_e64 v9, v11, v12, s[2:3]
	v_mul_f32_e32 v11, 0x37800000, v9
	v_cndmask_b32_e32 v9, v9, v11, vcc
	v_mov_b32_e32 v11, 0x260
	v_cmp_class_f32_e32 vcc, v7, v11
	v_and_b32_e32 v11, 0x7fffffff, v5
	s_nop 0
	v_cndmask_b32_e32 v9, v9, v7, vcc
	v_add_f32_e32 v7, v9, v9
	v_div_scale_f32 v12, s[2:3], v7, v7, v11
	v_rcp_f32_e32 v13, v12
	v_div_scale_f32 v11, vcc, v11, v7, v11
	s_brev_b32 s2, -2
	v_fma_f32 v14, -v12, v13, 1.0
	v_fmac_f32_e32 v13, v14, v13
	v_mul_f32_e32 v14, v11, v13
	v_fma_f32 v15, -v12, v14, v11
	v_fmac_f32_e32 v14, v15, v13
	v_fma_f32 v11, -v12, v14, v11
	v_div_fmas_f32 v11, v11, v13, v14
	v_div_fixup_f32 v7, v11, v7, |v5|
	v_bfi_b32 v11, s2, v9, v5
.LBB241_1593:
	s_or_b64 exec, exec, s[20:21]
                                        ; implicit-def: $vgpr5
                                        ; implicit-def: $vgpr12
	s_and_saveexec_b64 s[2:3], s[0:1]
	s_xor_b64 s[0:1], exec, s[2:3]
	s_cbranch_execz .LBB241_1595
; %bb.1594:
	v_mul_f32_e32 v5, 0.5, v7
	v_mul_f32_e32 v9, 0.5, v11
	v_cndmask_b32_e64 v12, v7, v5, s[18:19]
	v_cndmask_b32_e64 v5, v11, v9, s[18:19]
                                        ; implicit-def: $vgpr7
                                        ; implicit-def: $vgpr11
	s_andn2_saveexec_b64 s[0:1], s[0:1]
	s_cbranch_execnz .LBB241_1596
	s_branch .LBB241_1597
.LBB241_1595:
	s_andn2_saveexec_b64 s[0:1], s[0:1]
.LBB241_1596:
	v_add_f32_e32 v12, v7, v7
	v_add_f32_e32 v5, v11, v11
.LBB241_1597:
	s_or_b64 exec, exec, s[0:1]
                                        ; implicit-def: $vgpr9
                                        ; implicit-def: $vgpr7
.LBB241_1598:
	s_andn2_saveexec_b64 s[0:1], s[16:17]
	s_cbranch_execz .LBB241_1604
; %bb.1599:
	v_cmp_lt_i16_e32 vcc, -1, v7
	v_sub_f32_e32 v7, v5, v5
	s_brev_b32 s16, -2
	v_and_b32_e32 v12, 0x7fffffff, v7
	s_and_saveexec_b64 s[2:3], vcc
	s_xor_b64 s[2:3], exec, s[2:3]
; %bb.1600:
	v_bfi_b32 v5, s16, v7, v5
	v_mov_b32_e32 v12, v9
; %bb.1601:
	s_andn2_saveexec_b64 s[2:3], s[2:3]
; %bb.1602:
	v_bfi_b32 v5, s16, v9, v5
; %bb.1603:
	s_or_b64 exec, exec, s[2:3]
.LBB241_1604:
	s_or_b64 exec, exec, s[0:1]
                                        ; implicit-def: $vgpr9
.LBB241_1605:
	s_andn2_saveexec_b64 s[0:1], s[14:15]
	s_cbranch_execz .LBB241_1607
; %bb.1606:
	v_sub_f32_e32 v5, v5, v5
	v_div_scale_f32 v7, vcc, v5, v5, v5
	v_rcp_f32_e32 v11, v7
	s_nop 0
	v_fma_f32 v12, -v7, v11, 1.0
	v_fmac_f32_e32 v11, v12, v11
	v_mul_f32_e32 v12, v7, v11
	v_fma_f32 v13, -v7, v12, v7
	v_fmac_f32_e32 v12, v13, v11
	v_fma_f32 v7, -v7, v12, v7
	v_div_fmas_f32 v7, v7, v11, v12
	v_div_fixup_f32 v5, v7, v5, v5
	v_mov_b32_e32 v12, v9
.LBB241_1607:
	s_or_b64 exec, exec, s[0:1]
.LBB241_1608:
	s_or_b64 exec, exec, s[12:13]
.LBB241_1609:
	s_or_b64 exec, exec, s[10:11]
	v_mov_b32_e32 v11, 0
	s_cmp_lt_i32 s23, 11
	v_lshl_add_u64 v[10:11], s[6:7], 0, v[10:11]
	s_cbranch_scc1 .LBB241_1616
; %bb.1610:
	s_and_b32 s16, 0xffff, s23
	s_cmp_gt_i32 s16, 25
	s_mov_b64 s[2:3], 0
	s_cbranch_scc0 .LBB241_1618
; %bb.1611:
	s_cmp_gt_i32 s16, 28
	s_cbranch_scc0 .LBB241_1629
; %bb.1612:
	s_cmp_gt_i32 s16, 43
	;; [unrolled: 3-line block ×3, first 2 shown]
	s_cbranch_scc0 .LBB241_1634
; %bb.1614:
	s_cmp_eq_u32 s16, 46
	s_mov_b64 s[12:13], 0
	s_cbranch_scc0 .LBB241_1718
; %bb.1615:
	global_load_dword v7, v[10:11], off
	s_mov_b64 s[0:1], 0
	s_mov_b64 s[10:11], -1
	s_waitcnt vmcnt(0)
	v_and_b32_e32 v9, 0xffff0000, v7
	v_lshlrev_b32_e32 v7, 16, v7
	v_cvt_f16_f32_e32 v7, v7
	v_cvt_f16_f32_e32 v9, v9
	s_branch .LBB241_1719
.LBB241_1616:
	s_mov_b64 s[10:11], 0
                                        ; implicit-def: $vgpr9
                                        ; implicit-def: $vgpr7
	s_cbranch_execnz .LBB241_1623
.LBB241_1617:
	s_andn2_b64 vcc, exec, s[10:11]
	s_cbranch_vccnz .LBB241_2371
	s_branch .LBB241_1677
.LBB241_1618:
	s_mov_b64 s[10:11], 0
	s_mov_b64 s[0:1], 0
                                        ; implicit-def: $vgpr9
                                        ; implicit-def: $vgpr7
	s_cbranch_execnz .LBB241_1751
.LBB241_1619:
	s_and_b64 vcc, exec, s[0:1]
	s_cbranch_vccnz .LBB241_1784
.LBB241_1620:
	s_andn2_b64 vcc, exec, s[2:3]
	s_cbranch_vccnz .LBB241_1622
.LBB241_1621:
	global_load_ubyte v7, v[10:11], off
	v_mov_b32_e32 v13, 0x3c00
	v_mov_b32_e32 v9, 0
	s_mov_b64 s[10:11], -1
	s_waitcnt vmcnt(0)
	v_cmp_ne_u16_e32 vcc, 0, v7
	s_nop 1
	v_cndmask_b32_e32 v7, 0, v13, vcc
.LBB241_1622:
	s_branch .LBB241_1617
.LBB241_1623:
	s_and_b32 s2, 0xffff, s23
	s_cmp_lt_i32 s2, 5
	s_cbranch_scc1 .LBB241_1628
; %bb.1624:
	s_cmp_lt_i32 s2, 8
	s_cbranch_scc1 .LBB241_1630
; %bb.1625:
	;; [unrolled: 3-line block ×3, first 2 shown]
	s_cmp_gt_i32 s2, 9
	s_cbranch_scc0 .LBB241_1635
; %bb.1627:
	global_load_dwordx4 v[14:17], v[10:11], off
	s_movk_i32 s0, 0x1ff
	s_movk_i32 s1, 0xffe
	v_mov_b32_e32 v7, 0x7c00
	v_mov_b32_e32 v9, 0x7e00
	s_movk_i32 s3, 0x40f
	s_mov_b32 s10, 0x8000
	s_waitcnt vmcnt(0)
	v_and_or_b32 v13, v15, s0, v14
	v_and_or_b32 v16, v17, s0, v16
	v_cmp_ne_u32_e32 vcc, 0, v13
	v_lshrrev_b32_e32 v14, 8, v15
	v_bfe_u32 v18, v15, 20, 11
	v_cndmask_b32_e64 v13, 0, 1, vcc
	v_cmp_ne_u32_e32 vcc, 0, v16
	v_lshrrev_b32_e32 v19, 8, v17
	v_bfe_u32 v20, v17, 20, 11
	v_sub_u32_e32 v21, 0x3f1, v18
	v_cndmask_b32_e64 v16, 0, 1, vcc
	v_and_or_b32 v13, v14, s1, v13
	v_add_u32_e32 v18, 0xfffffc10, v18
	v_sub_u32_e32 v22, 0x3f1, v20
	v_add_u32_e32 v20, 0xfffffc10, v20
	v_med3_i32 v14, v21, 0, 13
	v_and_or_b32 v16, v19, s1, v16
	v_or_b32_e32 v21, 0x1000, v13
	v_cmp_ne_u32_e32 vcc, 0, v13
	v_med3_i32 v19, v22, 0, 13
	v_lshl_or_b32 v22, v18, 12, v13
	v_cndmask_b32_e32 v13, v7, v9, vcc
	v_or_b32_e32 v23, 0x1000, v16
	v_lshl_or_b32 v24, v20, 12, v16
	v_cmp_ne_u32_e32 vcc, 0, v16
	v_lshrrev_b32_e32 v16, v14, v21
	v_lshrrev_b32_e32 v25, v19, v23
	v_lshlrev_b32_e32 v14, v14, v16
	v_cndmask_b32_e32 v9, v7, v9, vcc
	v_lshlrev_b32_e32 v19, v19, v25
	v_cmp_ne_u32_e32 vcc, v14, v21
	v_lshrrev_b32_e32 v15, 16, v15
	v_lshrrev_b32_e32 v17, 16, v17
	v_cndmask_b32_e64 v14, 0, 1, vcc
	v_cmp_ne_u32_e32 vcc, v19, v23
	v_or_b32_e32 v14, v16, v14
	s_mov_b64 s[0:1], 0
	v_cndmask_b32_e64 v19, 0, 1, vcc
	v_cmp_gt_i32_e32 vcc, 1, v18
	v_or_b32_e32 v16, v25, v19
	s_nop 0
	v_cndmask_b32_e32 v14, v22, v14, vcc
	v_cmp_gt_i32_e32 vcc, 1, v20
	v_and_b32_e32 v19, 7, v14
	v_lshrrev_b32_e32 v14, 2, v14
	v_cndmask_b32_e32 v16, v24, v16, vcc
	v_cmp_lt_i32_e32 vcc, 5, v19
	v_and_b32_e32 v21, 7, v16
	v_lshrrev_b32_e32 v16, 2, v16
	v_cndmask_b32_e64 v22, 0, 1, vcc
	v_cmp_eq_u32_e32 vcc, 3, v19
	s_nop 1
	v_cndmask_b32_e64 v19, 0, 1, vcc
	v_cmp_lt_i32_e32 vcc, 5, v21
	v_or_b32_e32 v19, v19, v22
	v_add_u32_e32 v14, v14, v19
	v_cndmask_b32_e64 v23, 0, 1, vcc
	v_cmp_eq_u32_e32 vcc, 3, v21
	s_nop 1
	v_cndmask_b32_e64 v21, 0, 1, vcc
	v_or_b32_e32 v21, v21, v23
	v_cmp_gt_i32_e32 vcc, 31, v18
	v_add_u32_e32 v16, v16, v21
	s_nop 0
	v_cndmask_b32_e32 v14, v7, v14, vcc
	v_cmp_gt_i32_e32 vcc, 31, v20
	s_nop 1
	v_cndmask_b32_e32 v7, v7, v16, vcc
	v_cmp_eq_u32_e32 vcc, s3, v18
	s_nop 1
	v_cndmask_b32_e32 v13, v14, v13, vcc
	v_cmp_eq_u32_e32 vcc, s3, v20
	s_nop 1
	v_cndmask_b32_e32 v9, v7, v9, vcc
	v_and_or_b32 v7, v15, s10, v13
	v_and_or_b32 v9, v17, s10, v9
	s_branch .LBB241_1636
.LBB241_1628:
	s_mov_b64 s[0:1], -1
                                        ; implicit-def: $vgpr9
                                        ; implicit-def: $vgpr7
	s_branch .LBB241_1655
.LBB241_1629:
	s_mov_b64 s[12:13], -1
	s_mov_b64 s[10:11], 0
	s_mov_b64 s[0:1], 0
                                        ; implicit-def: $vgpr9
                                        ; implicit-def: $vgpr7
	s_branch .LBB241_1732
.LBB241_1630:
	s_mov_b64 s[0:1], -1
                                        ; implicit-def: $vgpr9
                                        ; implicit-def: $vgpr7
	s_branch .LBB241_1642
.LBB241_1631:
	s_mov_b64 s[12:13], -1
	s_mov_b64 s[10:11], 0
	s_mov_b64 s[0:1], 0
                                        ; implicit-def: $vgpr9
                                        ; implicit-def: $vgpr7
	s_branch .LBB241_1726
.LBB241_1632:
	s_mov_b64 s[0:1], -1
                                        ; implicit-def: $vgpr9
                                        ; implicit-def: $vgpr7
	s_branch .LBB241_1639
.LBB241_1633:
	s_trap 2
	s_or_b64 s[8:9], s[8:9], exec
	s_cbranch_execz .LBB241_1528
	s_branch .LBB241_1529
.LBB241_1634:
	s_mov_b64 s[12:13], -1
	s_mov_b64 s[10:11], 0
	s_mov_b64 s[0:1], 0
                                        ; implicit-def: $vgpr9
                                        ; implicit-def: $vgpr7
	s_branch .LBB241_1719
.LBB241_1635:
	s_mov_b64 s[0:1], -1
                                        ; implicit-def: $vgpr9
                                        ; implicit-def: $vgpr7
.LBB241_1636:
	s_andn2_b64 vcc, exec, s[0:1]
	s_cbranch_vccnz .LBB241_1638
; %bb.1637:
	global_load_dwordx2 v[14:15], v[10:11], off
	s_waitcnt vmcnt(0)
	v_cvt_f16_f32_e32 v7, v14
	v_cvt_f16_f32_e32 v9, v15
.LBB241_1638:
	s_mov_b64 s[0:1], 0
.LBB241_1639:
	s_andn2_b64 vcc, exec, s[0:1]
	s_cbranch_vccnz .LBB241_1641
; %bb.1640:
	global_load_dword v7, v[10:11], off
	s_waitcnt vmcnt(0)
	v_lshrrev_b32_e32 v9, 16, v7
.LBB241_1641:
	s_mov_b64 s[0:1], 0
.LBB241_1642:
	s_andn2_b64 vcc, exec, s[0:1]
	s_cbranch_vccnz .LBB241_1654
; %bb.1643:
	s_cmp_lt_i32 s2, 6
	s_cbranch_scc1 .LBB241_1646
; %bb.1644:
	s_cmp_gt_i32 s2, 6
	s_cbranch_scc0 .LBB241_1647
; %bb.1645:
	global_load_dwordx2 v[14:15], v[10:11], off
	s_movk_i32 s0, 0x1ff
	s_movk_i32 s1, 0xffe
	v_mov_b32_e32 v7, 0x7c00
	v_mov_b32_e32 v9, 0x7e00
	s_movk_i32 s3, 0x40f
	s_mov_b32 s10, 0x8000
	s_waitcnt vmcnt(0)
	v_and_or_b32 v13, v15, s0, v14
	v_cmp_ne_u32_e32 vcc, 0, v13
	v_lshrrev_b32_e32 v14, 8, v15
	v_bfe_u32 v16, v15, 20, 11
	v_cndmask_b32_e64 v13, 0, 1, vcc
	v_sub_u32_e32 v17, 0x3f1, v16
	v_and_or_b32 v13, v14, s1, v13
	v_add_u32_e32 v16, 0xfffffc10, v16
	v_med3_i32 v14, v17, 0, 13
	v_or_b32_e32 v17, 0x1000, v13
	v_lshl_or_b32 v18, v16, 12, v13
	v_cmp_ne_u32_e32 vcc, 0, v13
	v_lshrrev_b32_e32 v13, v14, v17
	v_lshlrev_b32_e32 v14, v14, v13
	v_cndmask_b32_e32 v9, v7, v9, vcc
	v_cmp_ne_u32_e32 vcc, v14, v17
	v_lshrrev_b32_e32 v15, 16, v15
	s_mov_b64 s[0:1], 0
	v_cndmask_b32_e64 v14, 0, 1, vcc
	v_or_b32_e32 v13, v13, v14
	v_cmp_gt_i32_e32 vcc, 1, v16
	s_nop 1
	v_cndmask_b32_e32 v13, v18, v13, vcc
	v_and_b32_e32 v14, 7, v13
	v_cmp_lt_i32_e32 vcc, 5, v14
	v_lshrrev_b32_e32 v13, 2, v13
	s_nop 0
	v_cndmask_b32_e64 v17, 0, 1, vcc
	v_cmp_eq_u32_e32 vcc, 3, v14
	s_nop 1
	v_cndmask_b32_e64 v14, 0, 1, vcc
	v_or_b32_e32 v14, v14, v17
	v_add_u32_e32 v13, v13, v14
	v_cmp_gt_i32_e32 vcc, 31, v16
	s_nop 1
	v_cndmask_b32_e32 v7, v7, v13, vcc
	v_cmp_eq_u32_e32 vcc, s3, v16
	s_nop 1
	v_cndmask_b32_e32 v7, v7, v9, vcc
	v_and_or_b32 v7, v15, s10, v7
	s_branch .LBB241_1648
.LBB241_1646:
	s_mov_b64 s[0:1], -1
                                        ; implicit-def: $vgpr7
	s_branch .LBB241_1651
.LBB241_1647:
	s_mov_b64 s[0:1], -1
                                        ; implicit-def: $vgpr7
.LBB241_1648:
	s_andn2_b64 vcc, exec, s[0:1]
	s_cbranch_vccnz .LBB241_1650
; %bb.1649:
	global_load_dword v7, v[10:11], off
	s_waitcnt vmcnt(0)
	v_cvt_f16_f32_e32 v7, v7
.LBB241_1650:
	s_mov_b64 s[0:1], 0
.LBB241_1651:
	s_andn2_b64 vcc, exec, s[0:1]
	s_cbranch_vccnz .LBB241_1653
; %bb.1652:
	global_load_ushort v7, v[10:11], off
.LBB241_1653:
	v_mov_b32_e32 v9, 0
.LBB241_1654:
	s_mov_b64 s[0:1], 0
.LBB241_1655:
	s_andn2_b64 vcc, exec, s[0:1]
	s_cbranch_vccnz .LBB241_1676
; %bb.1656:
	s_cmp_lt_i32 s2, 2
	s_cbranch_scc1 .LBB241_1660
; %bb.1657:
	s_cmp_lt_i32 s2, 3
	s_cbranch_scc1 .LBB241_1661
; %bb.1658:
	s_cmp_gt_i32 s2, 3
	s_cbranch_scc0 .LBB241_1662
; %bb.1659:
	global_load_dwordx2 v[14:15], v[10:11], off
	s_mov_b64 s[0:1], 0
	s_waitcnt vmcnt(0)
	v_xor_b32_e32 v9, v14, v15
	v_ffbh_i32_e32 v7, v15
	v_ashrrev_i32_e32 v9, 31, v9
	v_add_u32_e32 v7, -1, v7
	v_add_u32_e32 v9, 32, v9
	v_min_u32_e32 v7, v7, v9
	v_lshlrev_b64 v[14:15], v7, v[14:15]
	v_min_u32_e32 v9, 1, v14
	v_or_b32_e32 v9, v15, v9
	v_cvt_f32_i32_e32 v9, v9
	v_sub_u32_e32 v7, 32, v7
	v_ldexp_f32 v7, v9, v7
	v_cvt_f16_f32_e32 v7, v7
	s_branch .LBB241_1663
.LBB241_1660:
	s_mov_b64 s[0:1], -1
                                        ; implicit-def: $vgpr7
	s_branch .LBB241_1669
.LBB241_1661:
	s_mov_b64 s[0:1], -1
                                        ; implicit-def: $vgpr7
	s_branch .LBB241_1666
.LBB241_1662:
	s_mov_b64 s[0:1], -1
                                        ; implicit-def: $vgpr7
.LBB241_1663:
	s_andn2_b64 vcc, exec, s[0:1]
	s_cbranch_vccnz .LBB241_1665
; %bb.1664:
	global_load_dword v7, v[10:11], off
	s_waitcnt vmcnt(0)
	v_cvt_f32_i32_e32 v7, v7
	v_cvt_f16_f32_e32 v7, v7
.LBB241_1665:
	s_mov_b64 s[0:1], 0
.LBB241_1666:
	s_andn2_b64 vcc, exec, s[0:1]
	s_cbranch_vccnz .LBB241_1668
; %bb.1667:
	global_load_ushort v7, v[10:11], off
	s_waitcnt vmcnt(0)
	v_cvt_f16_i16_e32 v7, v7
.LBB241_1668:
	s_mov_b64 s[0:1], 0
.LBB241_1669:
	s_andn2_b64 vcc, exec, s[0:1]
	s_cbranch_vccnz .LBB241_1675
; %bb.1670:
	s_cmp_gt_i32 s2, 0
	s_cbranch_scc0 .LBB241_1672
; %bb.1671:
	global_load_sbyte v7, v[10:11], off
	s_mov_b64 s[0:1], 0
	s_waitcnt vmcnt(0)
	v_cvt_f16_i16_e32 v7, v7
	s_branch .LBB241_1673
.LBB241_1672:
	s_mov_b64 s[0:1], -1
                                        ; implicit-def: $vgpr7
.LBB241_1673:
	s_andn2_b64 vcc, exec, s[0:1]
	s_cbranch_vccnz .LBB241_1675
; %bb.1674:
	global_load_ubyte v7, v[10:11], off
	s_waitcnt vmcnt(0)
	v_cvt_f16_u16_e32 v7, v7
.LBB241_1675:
	v_mov_b32_e32 v9, 0
.LBB241_1676:
.LBB241_1677:
	v_cvt_f32_f16_e32 v10, v9
	s_waitcnt vmcnt(0)
	v_cmp_neq_f16_e32 vcc, 0, v7
	v_cmp_neq_f16_e64 s[0:1], 0, v9
	s_or_b64 s[0:1], vcc, s[0:1]
	v_mov_b32_e32 v11, 0
	s_and_saveexec_b64 s[10:11], s[0:1]
	s_cbranch_execz .LBB241_1707
; %bb.1678:
	v_mov_b32_e32 v11, 0x7f800000
	v_cmp_neq_f32_e64 s[0:1], |v10|, v11
	s_and_saveexec_b64 s[12:13], s[0:1]
	s_cbranch_execz .LBB241_1706
; %bb.1679:
	v_cvt_f32_f16_e32 v9, v7
	v_cmp_o_f16_e32 vcc, v7, v7
                                        ; implicit-def: $vgpr11
	s_and_saveexec_b64 s[0:1], vcc
	s_xor_b64 s[14:15], exec, s[0:1]
	s_cbranch_execz .LBB241_1703
; %bb.1680:
	s_mov_b32 s0, 0x7f800000
	v_cmp_neq_f32_e64 s[0:1], |v9|, s0
                                        ; implicit-def: $vgpr11
	s_and_saveexec_b64 s[2:3], s[0:1]
	s_xor_b64 s[16:17], exec, s[2:3]
	s_cbranch_execz .LBB241_1696
; %bb.1681:
	v_max_f32_e64 v7, |v10|, |v10|
	v_max_f32_e64 v11, |v9|, |v9|
	v_max_f32_e32 v7, v11, v7
	s_mov_b32 s0, 0x7ed413cb
	v_cmp_nle_f32_e64 s[0:1], s0, v7
                                        ; implicit-def: $sgpr18_sgpr19
	s_and_saveexec_b64 s[2:3], s[0:1]
	s_xor_b64 s[2:3], exec, s[2:3]
	s_cbranch_execz .LBB241_1685
; %bb.1682:
	s_mov_b32 s20, 0x1000000
	v_cmp_le_f32_e64 s[18:19], |v9|, s20
	v_cmp_le_f32_e64 s[20:21], |v10|, s20
	s_and_b64 s[28:29], s[18:19], s[20:21]
	s_mov_b64 s[18:19], 0
	s_and_saveexec_b64 s[20:21], s[28:29]
; %bb.1683:
	s_mov_b64 s[18:19], exec
	v_mul_f32_e32 v9, 4.0, v9
	v_mul_f32_e32 v10, 4.0, v10
; %bb.1684:
	s_or_b64 exec, exec, s[20:21]
.LBB241_1685:
	s_andn2_saveexec_b64 s[2:3], s[2:3]
; %bb.1686:
	v_mul_f32_e32 v9, 0x3e800000, v9
	v_mul_f32_e32 v10, 0x3e800000, v10
	s_andn2_b64 s[18:19], s[18:19], exec
; %bb.1687:
	s_or_b64 exec, exec, s[2:3]
	v_max_f32_e64 v7, |v10|, |v10|
	v_max_f32_e64 v11, |v9|, |v9|
	v_max_f32_e32 v7, v11, v7
	v_cvt_f64_f32_e32 v[14:15], v7
	v_frexp_exp_i32_f64_e32 v11, v[14:15]
	v_sub_u32_e32 v13, 0, v11
	v_ldexp_f32 v14, |v9|, v13
	v_ldexp_f32 v13, |v10|, v13
	v_mul_f32_e32 v13, v13, v13
	v_fmac_f32_e32 v13, v14, v14
	v_sqrt_f32_e32 v13, v13
	s_mov_b32 s2, 0x7f800000
	v_cmp_neq_f32_e64 s[2:3], s2, v7
	v_cmp_le_f32_e32 vcc, 0, v9
	v_ldexp_f32 v11, v13, v11
	v_mov_b32_e32 v13, 0x7f800000
	v_cndmask_b32_e64 v11, v13, v11, s[2:3]
                                        ; implicit-def: $vgpr13
                                        ; implicit-def: $vgpr7
	s_and_saveexec_b64 s[2:3], vcc
	s_xor_b64 s[20:21], exec, s[2:3]
	s_cbranch_execz .LBB241_1689
; %bb.1688:
	v_add_f32_e32 v7, v9, v11
	v_mul_f32_e32 v7, 0.5, v7
	s_mov_b32 s2, 0xf800000
	v_mul_f32_e32 v9, 0x4f800000, v7
	v_cmp_gt_f32_e32 vcc, s2, v7
	s_nop 1
	v_cndmask_b32_e32 v7, v7, v9, vcc
	v_sqrt_f32_e32 v9, v7
	s_nop 0
	v_add_u32_e32 v11, -1, v9
	v_fma_f32 v13, -v11, v9, v7
	v_cmp_ge_f32_e64 s[2:3], 0, v13
	v_add_u32_e32 v13, 1, v9
	s_nop 0
	v_cndmask_b32_e64 v11, v9, v11, s[2:3]
	v_fma_f32 v9, -v13, v9, v7
	v_cmp_lt_f32_e64 s[2:3], 0, v9
	s_nop 1
	v_cndmask_b32_e64 v9, v11, v13, s[2:3]
	v_mul_f32_e32 v11, 0x37800000, v9
	v_cndmask_b32_e32 v9, v9, v11, vcc
	v_mov_b32_e32 v11, 0x260
	v_cmp_class_f32_e32 vcc, v7, v11
	s_nop 1
	v_cndmask_b32_e32 v7, v9, v7, vcc
	v_add_f32_e32 v9, v7, v7
	v_div_scale_f32 v11, s[2:3], v9, v9, v10
	v_rcp_f32_e32 v13, v11
	s_nop 0
	v_fma_f32 v14, -v11, v13, 1.0
	v_fmac_f32_e32 v13, v14, v13
	v_div_scale_f32 v14, vcc, v10, v9, v10
	v_mul_f32_e32 v15, v14, v13
	v_fma_f32 v16, -v11, v15, v14
	v_fmac_f32_e32 v15, v16, v13
	v_fma_f32 v11, -v11, v15, v14
	v_div_fmas_f32 v11, v11, v13, v15
	v_div_fixup_f32 v13, v11, v9, v10
                                        ; implicit-def: $vgpr11
                                        ; implicit-def: $vgpr9
                                        ; implicit-def: $vgpr10
	s_andn2_saveexec_b64 s[20:21], s[20:21]
	s_cbranch_execz .LBB241_1691
	s_branch .LBB241_1690
.LBB241_1689:
	s_andn2_saveexec_b64 s[20:21], s[20:21]
	s_cbranch_execz .LBB241_1691
.LBB241_1690:
	v_sub_f32_e32 v7, v11, v9
	v_mul_f32_e32 v7, 0.5, v7
	s_mov_b32 s2, 0xf800000
	v_mul_f32_e32 v9, 0x4f800000, v7
	v_cmp_gt_f32_e32 vcc, s2, v7
	s_nop 1
	v_cndmask_b32_e32 v7, v7, v9, vcc
	v_sqrt_f32_e32 v9, v7
	s_nop 0
	v_add_u32_e32 v11, -1, v9
	v_fma_f32 v13, -v11, v9, v7
	v_cmp_ge_f32_e64 s[2:3], 0, v13
	v_add_u32_e32 v13, 1, v9
	s_nop 0
	v_cndmask_b32_e64 v11, v9, v11, s[2:3]
	v_fma_f32 v9, -v13, v9, v7
	v_cmp_lt_f32_e64 s[2:3], 0, v9
	s_nop 1
	v_cndmask_b32_e64 v9, v11, v13, s[2:3]
	v_mul_f32_e32 v11, 0x37800000, v9
	v_cndmask_b32_e32 v9, v9, v11, vcc
	v_mov_b32_e32 v11, 0x260
	v_cmp_class_f32_e32 vcc, v7, v11
	v_and_b32_e32 v11, 0x7fffffff, v10
	s_nop 0
	v_cndmask_b32_e32 v9, v9, v7, vcc
	v_add_f32_e32 v7, v9, v9
	v_div_scale_f32 v13, s[2:3], v7, v7, v11
	v_rcp_f32_e32 v14, v13
	v_div_scale_f32 v11, vcc, v11, v7, v11
	s_brev_b32 s2, -2
	v_fma_f32 v15, -v13, v14, 1.0
	v_fmac_f32_e32 v14, v15, v14
	v_mul_f32_e32 v15, v11, v14
	v_fma_f32 v16, -v13, v15, v11
	v_fmac_f32_e32 v15, v16, v14
	v_fma_f32 v11, -v13, v15, v11
	v_div_fmas_f32 v11, v11, v14, v15
	v_div_fixup_f32 v7, v11, v7, |v10|
	v_bfi_b32 v13, s2, v9, v10
.LBB241_1691:
	s_or_b64 exec, exec, s[20:21]
                                        ; implicit-def: $vgpr10
                                        ; implicit-def: $vgpr11
	s_and_saveexec_b64 s[2:3], s[0:1]
	s_xor_b64 s[0:1], exec, s[2:3]
	s_cbranch_execz .LBB241_1693
; %bb.1692:
	v_mul_f32_e32 v9, 0.5, v7
	v_mul_f32_e32 v10, 0.5, v13
	v_cndmask_b32_e64 v11, v7, v9, s[18:19]
	v_cndmask_b32_e64 v10, v13, v10, s[18:19]
                                        ; implicit-def: $vgpr7
                                        ; implicit-def: $vgpr13
	s_andn2_saveexec_b64 s[0:1], s[0:1]
	s_cbranch_execnz .LBB241_1694
	s_branch .LBB241_1695
.LBB241_1693:
	s_andn2_saveexec_b64 s[0:1], s[0:1]
.LBB241_1694:
	v_add_f32_e32 v11, v7, v7
	v_add_f32_e32 v10, v13, v13
.LBB241_1695:
	s_or_b64 exec, exec, s[0:1]
                                        ; implicit-def: $vgpr9
                                        ; implicit-def: $vgpr7
.LBB241_1696:
	s_andn2_saveexec_b64 s[0:1], s[16:17]
	s_cbranch_execz .LBB241_1702
; %bb.1697:
	v_cmp_lt_i16_e32 vcc, -1, v7
	v_sub_f32_e32 v7, v10, v10
	s_brev_b32 s16, -2
	v_and_b32_e32 v11, 0x7fffffff, v7
	s_and_saveexec_b64 s[2:3], vcc
	s_xor_b64 s[2:3], exec, s[2:3]
; %bb.1698:
	v_bfi_b32 v10, s16, v7, v10
	v_mov_b32_e32 v11, v9
; %bb.1699:
	s_andn2_saveexec_b64 s[2:3], s[2:3]
; %bb.1700:
	v_bfi_b32 v10, s16, v9, v10
; %bb.1701:
	s_or_b64 exec, exec, s[2:3]
.LBB241_1702:
	s_or_b64 exec, exec, s[0:1]
                                        ; implicit-def: $vgpr9
.LBB241_1703:
	s_andn2_saveexec_b64 s[0:1], s[14:15]
	s_cbranch_execz .LBB241_1705
; %bb.1704:
	v_sub_f32_e32 v7, v10, v10
	v_div_scale_f32 v10, vcc, v7, v7, v7
	v_rcp_f32_e32 v11, v10
	s_nop 0
	v_fma_f32 v13, -v10, v11, 1.0
	v_fmac_f32_e32 v11, v13, v11
	v_mul_f32_e32 v13, v10, v11
	v_fma_f32 v14, -v10, v13, v10
	v_fmac_f32_e32 v13, v14, v11
	v_fma_f32 v10, -v10, v13, v10
	v_div_fmas_f32 v10, v10, v11, v13
	v_div_fixup_f32 v10, v10, v7, v7
	v_mov_b32_e32 v11, v9
.LBB241_1705:
	s_or_b64 exec, exec, s[0:1]
.LBB241_1706:
	s_or_b64 exec, exec, s[12:13]
.LBB241_1707:
	s_or_b64 exec, exec, s[10:11]
	v_mov_b32_e32 v9, 0
	s_cmp_lt_i32 s23, 11
	v_lshl_add_u64 v[8:9], s[6:7], 0, v[8:9]
	s_cbranch_scc1 .LBB241_1714
; %bb.1708:
	s_and_b32 s14, 0xffff, s23
	s_cmp_gt_i32 s14, 25
	s_mov_b64 s[2:3], 0
	s_cbranch_scc0 .LBB241_1715
; %bb.1709:
	s_cmp_gt_i32 s14, 28
	s_cbranch_scc0 .LBB241_1716
; %bb.1710:
	s_cmp_gt_i32 s14, 43
	;; [unrolled: 3-line block ×3, first 2 shown]
	s_cbranch_scc0 .LBB241_1722
; %bb.1712:
	s_cmp_eq_u32 s14, 46
	s_mov_b64 s[10:11], 0
	s_cbranch_scc0 .LBB241_1785
; %bb.1713:
	global_load_dword v7, v[8:9], off
	s_mov_b64 s[0:1], 0
	s_mov_b64 s[6:7], -1
	s_waitcnt vmcnt(0)
	v_and_b32_e32 v13, 0xffff0000, v7
	v_lshlrev_b32_e32 v7, 16, v7
	v_cvt_f16_f32_e32 v7, v7
	v_cvt_f16_f32_e32 v14, v13
	s_branch .LBB241_1786
.LBB241_1714:
	s_mov_b64 s[0:1], -1
	s_mov_b64 s[6:7], 0
                                        ; implicit-def: $vgpr14
                                        ; implicit-def: $vgpr7
	s_branch .LBB241_1832
.LBB241_1715:
	s_mov_b64 s[10:11], -1
	s_mov_b64 s[6:7], 0
	s_mov_b64 s[0:1], 0
                                        ; implicit-def: $vgpr14
                                        ; implicit-def: $vgpr7
	s_branch .LBB241_1817
.LBB241_1716:
	s_mov_b64 s[10:11], -1
	s_mov_b64 s[6:7], 0
	s_mov_b64 s[0:1], 0
                                        ; implicit-def: $vgpr14
                                        ; implicit-def: $vgpr7
	s_branch .LBB241_1798
.LBB241_1717:
	s_mov_b64 s[10:11], -1
	s_mov_b64 s[6:7], 0
	s_mov_b64 s[0:1], 0
                                        ; implicit-def: $vgpr14
                                        ; implicit-def: $vgpr7
	s_branch .LBB241_1792
.LBB241_1718:
	s_mov_b64 s[0:1], -1
                                        ; implicit-def: $vgpr9
                                        ; implicit-def: $vgpr7
	s_mov_b64 s[10:11], 0
.LBB241_1719:
	s_and_b64 vcc, exec, s[12:13]
	s_cbranch_vccz .LBB241_1725
; %bb.1720:
	s_cmp_eq_u32 s16, 44
	s_cbranch_scc0 .LBB241_1723
; %bb.1721:
	global_load_ubyte v7, v[10:11], off
	s_movk_i32 s10, 0xff
	v_mov_b32_e32 v13, 0x7e00
	s_mov_b64 s[0:1], 0
	s_waitcnt vmcnt(0)
	v_lshlrev_b32_e32 v9, 23, v7
	v_cvt_f16_f32_e32 v9, v9
	v_cmp_ne_u32_e32 vcc, s10, v7
	s_mov_b64 s[10:11], -1
	s_nop 0
	v_cndmask_b32_e32 v9, v13, v9, vcc
	v_cmp_ne_u32_e32 vcc, 0, v7
	s_nop 1
	v_cndmask_b32_e32 v7, 0, v9, vcc
	s_branch .LBB241_1724
.LBB241_1722:
	s_mov_b64 s[10:11], -1
	s_mov_b64 s[6:7], 0
	s_mov_b64 s[0:1], 0
                                        ; implicit-def: $vgpr14
                                        ; implicit-def: $vgpr7
	s_branch .LBB241_1786
.LBB241_1723:
	s_mov_b64 s[0:1], -1
                                        ; implicit-def: $vgpr7
.LBB241_1724:
	v_mov_b32_e32 v9, 0
.LBB241_1725:
	s_mov_b64 s[12:13], 0
.LBB241_1726:
	s_and_b64 vcc, exec, s[12:13]
	s_cbranch_vccz .LBB241_1731
; %bb.1727:
	s_cmp_eq_u32 s16, 29
	s_cbranch_scc0 .LBB241_1729
; %bb.1728:
	global_load_dwordx2 v[14:15], v[10:11], off
	s_mov_b64 s[0:1], 0
	s_mov_b64 s[10:11], -1
	s_waitcnt vmcnt(0)
	v_ffbh_u32_e32 v7, v15
	v_min_u32_e32 v7, 32, v7
	v_lshlrev_b64 v[14:15], v7, v[14:15]
	v_min_u32_e32 v9, 1, v14
	v_or_b32_e32 v9, v15, v9
	v_cvt_f32_u32_e32 v9, v9
	v_sub_u32_e32 v7, 32, v7
	v_ldexp_f32 v7, v9, v7
	v_cvt_f16_f32_e32 v7, v7
	s_branch .LBB241_1730
.LBB241_1729:
	s_mov_b64 s[0:1], -1
                                        ; implicit-def: $vgpr7
.LBB241_1730:
	v_mov_b32_e32 v9, 0
.LBB241_1731:
	s_mov_b64 s[12:13], 0
.LBB241_1732:
	s_and_b64 vcc, exec, s[12:13]
	s_cbranch_vccz .LBB241_1750
; %bb.1733:
	s_cmp_lt_i32 s16, 27
	s_cbranch_scc1 .LBB241_1736
; %bb.1734:
	s_cmp_gt_i32 s16, 27
	s_cbranch_scc0 .LBB241_1737
; %bb.1735:
	global_load_dword v7, v[10:11], off
	s_mov_b64 s[10:11], 0
	s_waitcnt vmcnt(0)
	v_cvt_f32_u32_e32 v7, v7
	v_cvt_f16_f32_e32 v7, v7
	s_branch .LBB241_1738
.LBB241_1736:
	s_mov_b64 s[10:11], -1
                                        ; implicit-def: $vgpr7
	s_branch .LBB241_1741
.LBB241_1737:
	s_mov_b64 s[10:11], -1
                                        ; implicit-def: $vgpr7
.LBB241_1738:
	s_andn2_b64 vcc, exec, s[10:11]
	s_cbranch_vccnz .LBB241_1740
; %bb.1739:
	global_load_ushort v7, v[10:11], off
	s_waitcnt vmcnt(0)
	v_cvt_f16_u16_e32 v7, v7
.LBB241_1740:
	s_mov_b64 s[10:11], 0
.LBB241_1741:
	s_andn2_b64 vcc, exec, s[10:11]
	s_cbranch_vccnz .LBB241_1749
; %bb.1742:
	global_load_ubyte v9, v[10:11], off
	s_movk_i32 s10, 0x7f
	s_waitcnt vmcnt(0)
	v_cmp_lt_i16_e32 vcc, s10, v9
	s_mov_b64 s[10:11], 0
	s_and_saveexec_b64 s[12:13], vcc
	s_xor_b64 s[12:13], exec, s[12:13]
	s_cbranch_execz .LBB241_1762
; %bb.1743:
	s_movk_i32 s10, 0x80
	v_cmp_eq_u16_e32 vcc, s10, v9
	s_mov_b64 s[10:11], -1
	s_and_saveexec_b64 s[14:15], vcc
; %bb.1744:
	s_xor_b64 s[10:11], exec, -1
; %bb.1745:
	s_or_b64 exec, exec, s[14:15]
	s_and_b64 s[10:11], s[10:11], exec
	s_or_saveexec_b64 s[12:13], s[12:13]
	v_mov_b32_e32 v7, 0x7e00
	s_xor_b64 exec, exec, s[12:13]
	s_cbranch_execnz .LBB241_1763
.LBB241_1746:
	s_or_b64 exec, exec, s[12:13]
	s_and_saveexec_b64 s[12:13], s[10:11]
	s_cbranch_execz .LBB241_1748
.LBB241_1747:
	v_lshlrev_b32_e32 v7, 24, v9
	v_and_b32_e32 v9, 0xffff, v9
	v_and_b32_e32 v13, 7, v9
	v_ffbh_u32_e32 v15, v13
	v_min_u32_e32 v15, 32, v15
	v_subrev_u32_e32 v16, 28, v15
	v_bfe_u32 v14, v9, 3, 4
	v_lshlrev_b32_e32 v9, v16, v9
	v_sub_u32_e32 v15, 29, v15
	v_and_b32_e32 v9, 7, v9
	v_cmp_eq_u32_e32 vcc, 0, v14
	v_and_b32_e32 v7, 0x80000000, v7
	s_nop 0
	v_cndmask_b32_e32 v14, v14, v15, vcc
	v_cndmask_b32_e32 v9, v13, v9, vcc
	v_mov_b32_e32 v13, 0x3b800000
	v_lshlrev_b32_e32 v9, 20, v9
	v_lshl_add_u32 v13, v14, 23, v13
	v_or3_b32 v7, v7, v13, v9
	v_cvt_f16_f32_e32 v7, v7
.LBB241_1748:
	s_or_b64 exec, exec, s[12:13]
.LBB241_1749:
	s_mov_b64 s[10:11], -1
	v_mov_b32_e32 v9, 0
.LBB241_1750:
	s_branch .LBB241_1619
.LBB241_1751:
	s_cmp_gt_i32 s16, 22
	s_cbranch_scc0 .LBB241_1761
; %bb.1752:
	s_cmp_lt_i32 s16, 24
	s_cbranch_scc1 .LBB241_1764
; %bb.1753:
	s_cmp_gt_i32 s16, 24
	s_cbranch_scc0 .LBB241_1765
; %bb.1754:
	global_load_ubyte v9, v[10:11], off
	s_movk_i32 s2, 0x7f
	s_waitcnt vmcnt(0)
	v_cmp_lt_i16_e32 vcc, s2, v9
	s_mov_b64 s[2:3], 0
	s_and_saveexec_b64 s[10:11], vcc
	s_xor_b64 s[10:11], exec, s[10:11]
	s_cbranch_execz .LBB241_1777
; %bb.1755:
	s_movk_i32 s2, 0x80
	v_cmp_eq_u16_e32 vcc, s2, v9
	s_mov_b64 s[2:3], -1
	s_and_saveexec_b64 s[12:13], vcc
; %bb.1756:
	s_xor_b64 s[2:3], exec, -1
; %bb.1757:
	s_or_b64 exec, exec, s[12:13]
	s_and_b64 s[2:3], s[2:3], exec
	s_or_saveexec_b64 s[10:11], s[10:11]
	v_mov_b32_e32 v7, 0x7e00
	s_xor_b64 exec, exec, s[10:11]
	s_cbranch_execnz .LBB241_1778
.LBB241_1758:
	s_or_b64 exec, exec, s[10:11]
	s_and_saveexec_b64 s[10:11], s[2:3]
	s_cbranch_execz .LBB241_1760
.LBB241_1759:
	v_lshlrev_b32_e32 v7, 24, v9
	v_and_b32_e32 v9, 0xffff, v9
	v_and_b32_e32 v13, 3, v9
	v_ffbh_u32_e32 v15, v13
	v_min_u32_e32 v15, 32, v15
	v_subrev_u32_e32 v16, 29, v15
	v_bfe_u32 v14, v9, 2, 5
	v_lshlrev_b32_e32 v9, v16, v9
	v_sub_u32_e32 v15, 30, v15
	v_and_b32_e32 v9, 3, v9
	v_cmp_eq_u32_e32 vcc, 0, v14
	v_and_b32_e32 v7, 0x80000000, v7
	s_nop 0
	v_cndmask_b32_e32 v14, v14, v15, vcc
	v_cndmask_b32_e32 v9, v13, v9, vcc
	v_mov_b32_e32 v13, 0x37800000
	v_lshlrev_b32_e32 v9, 21, v9
	v_lshl_add_u32 v13, v14, 23, v13
	v_or3_b32 v7, v7, v13, v9
	v_cvt_f16_f32_e32 v7, v7
.LBB241_1760:
	s_or_b64 exec, exec, s[10:11]
	s_mov_b64 s[2:3], 0
	s_branch .LBB241_1766
.LBB241_1761:
	s_mov_b64 s[2:3], -1
                                        ; implicit-def: $vgpr7
	s_branch .LBB241_1772
.LBB241_1762:
	s_or_saveexec_b64 s[12:13], s[12:13]
	v_mov_b32_e32 v7, 0x7e00
	s_xor_b64 exec, exec, s[12:13]
	s_cbranch_execz .LBB241_1746
.LBB241_1763:
	v_cmp_ne_u16_e32 vcc, 0, v9
	s_andn2_b64 s[10:11], s[10:11], exec
	s_and_b64 s[14:15], vcc, exec
	s_or_b64 s[10:11], s[10:11], s[14:15]
	v_mov_b32_e32 v7, v9
	s_or_b64 exec, exec, s[12:13]
	s_and_saveexec_b64 s[12:13], s[10:11]
	s_cbranch_execnz .LBB241_1747
	s_branch .LBB241_1748
.LBB241_1764:
	s_mov_b64 s[2:3], -1
                                        ; implicit-def: $vgpr7
	s_branch .LBB241_1769
.LBB241_1765:
	s_mov_b64 s[2:3], -1
                                        ; implicit-def: $vgpr7
.LBB241_1766:
	s_and_b64 vcc, exec, s[2:3]
	s_cbranch_vccz .LBB241_1768
; %bb.1767:
	global_load_ubyte v7, v[10:11], off
	s_mov_b32 s2, 0x7f800000
	s_waitcnt vmcnt(0)
	v_lshlrev_b32_e32 v7, 24, v7
	v_and_b32_e32 v9, 0x7f000000, v7
	v_ffbh_u32_e32 v13, v9
	v_min_u32_e32 v13, 32, v13
	v_sub_u32_e64 v13, v13, 4 clamp
	v_lshlrev_b32_e32 v15, v13, v9
	v_lshlrev_b32_e32 v13, 23, v13
	v_lshrrev_b32_e32 v15, 4, v15
	v_add_u32_e32 v14, 0x1000000, v9
	v_sub_u32_e32 v13, v15, v13
	v_ashrrev_i32_e32 v14, 8, v14
	v_add_u32_e32 v13, 0x3c000000, v13
	v_and_or_b32 v13, v14, s2, v13
	v_cmp_ne_u32_e32 vcc, 0, v9
	s_brev_b32 s2, 1
	s_nop 0
	v_cndmask_b32_e32 v9, 0, v13, vcc
	v_and_or_b32 v7, v7, s2, v9
	v_cvt_f16_f32_e32 v7, v7
.LBB241_1768:
	s_mov_b64 s[2:3], 0
.LBB241_1769:
	s_andn2_b64 vcc, exec, s[2:3]
	s_cbranch_vccnz .LBB241_1771
; %bb.1770:
	global_load_ubyte v7, v[10:11], off
	s_movk_i32 s2, 0x7f00
	s_brev_b32 s3, 16
	s_waitcnt vmcnt(0)
	v_lshlrev_b16_e32 v9, 8, v7
	v_lshlrev_b32_e32 v7, 25, v7
	v_lshrrev_b32_e32 v13, 4, v7
	v_and_or_b32 v14, v9, s2, 0.5
	v_or_b32_e32 v13, 0x70000000, v13
	v_add_f32_e32 v14, -0.5, v14
	v_mul_f32_e32 v13, 0x7800000, v13
	v_cmp_gt_u32_e32 vcc, s3, v7
	v_bfe_i32 v9, v9, 0, 16
	s_brev_b32 s2, 1
	v_cndmask_b32_e32 v7, v13, v14, vcc
	v_and_or_b32 v7, v9, s2, v7
	v_cvt_f16_f32_e32 v7, v7
.LBB241_1771:
	s_mov_b64 s[2:3], 0
	s_mov_b64 s[10:11], -1
.LBB241_1772:
	s_andn2_b64 vcc, exec, s[2:3]
	s_mov_b64 s[2:3], 0
	s_cbranch_vccnz .LBB241_1783
; %bb.1773:
	s_cmp_gt_i32 s16, 14
	s_cbranch_scc0 .LBB241_1776
; %bb.1774:
	s_cmp_eq_u32 s16, 15
	s_cbranch_scc0 .LBB241_1779
; %bb.1775:
	global_load_ushort v7, v[10:11], off
	s_mov_b64 s[0:1], 0
	s_mov_b64 s[10:11], -1
	s_waitcnt vmcnt(0)
	v_lshlrev_b32_e32 v7, 16, v7
	v_cvt_f16_f32_e32 v7, v7
	s_branch .LBB241_1780
.LBB241_1776:
	s_mov_b64 s[12:13], -1
                                        ; implicit-def: $vgpr7
	s_branch .LBB241_1781
.LBB241_1777:
	s_or_saveexec_b64 s[10:11], s[10:11]
	v_mov_b32_e32 v7, 0x7e00
	s_xor_b64 exec, exec, s[10:11]
	s_cbranch_execz .LBB241_1758
.LBB241_1778:
	v_cmp_ne_u16_e32 vcc, 0, v9
	s_andn2_b64 s[2:3], s[2:3], exec
	s_and_b64 s[12:13], vcc, exec
	s_or_b64 s[2:3], s[2:3], s[12:13]
	v_mov_b32_e32 v7, v9
	s_or_b64 exec, exec, s[10:11]
	s_and_saveexec_b64 s[10:11], s[2:3]
	s_cbranch_execnz .LBB241_1759
	s_branch .LBB241_1760
.LBB241_1779:
	s_mov_b64 s[0:1], -1
                                        ; implicit-def: $vgpr7
.LBB241_1780:
	s_mov_b64 s[12:13], 0
.LBB241_1781:
	s_and_b64 vcc, exec, s[12:13]
	s_cbranch_vccz .LBB241_1783
; %bb.1782:
	s_cmp_lg_u32 s16, 11
	s_mov_b64 s[2:3], -1
	s_cselect_b64 s[0:1], -1, 0
.LBB241_1783:
	v_mov_b32_e32 v9, 0
	s_and_b64 vcc, exec, s[0:1]
	s_cbranch_vccz .LBB241_1620
.LBB241_1784:
	s_trap 2
	s_or_b64 s[8:9], s[8:9], exec
	s_cbranch_execz .LBB241_1621
	s_branch .LBB241_1622
.LBB241_1785:
	s_mov_b64 s[0:1], -1
                                        ; implicit-def: $vgpr14
                                        ; implicit-def: $vgpr7
	s_mov_b64 s[6:7], 0
.LBB241_1786:
	s_and_b64 vcc, exec, s[10:11]
	s_cbranch_vccz .LBB241_1791
; %bb.1787:
	s_cmp_eq_u32 s14, 44
	s_cbranch_scc0 .LBB241_1789
; %bb.1788:
	global_load_ubyte v7, v[8:9], off
	s_movk_i32 s6, 0xff
	v_mov_b32_e32 v14, 0x7e00
	s_mov_b64 s[0:1], 0
	s_waitcnt vmcnt(0)
	v_lshlrev_b32_e32 v13, 23, v7
	v_cvt_f16_f32_e32 v13, v13
	v_cmp_ne_u32_e32 vcc, s6, v7
	s_mov_b64 s[6:7], -1
	s_nop 0
	v_cndmask_b32_e32 v13, v14, v13, vcc
	v_cmp_ne_u32_e32 vcc, 0, v7
	s_nop 1
	v_cndmask_b32_e32 v7, 0, v13, vcc
	s_branch .LBB241_1790
.LBB241_1789:
	s_mov_b64 s[0:1], -1
                                        ; implicit-def: $vgpr7
.LBB241_1790:
	v_mov_b32_e32 v14, 0
.LBB241_1791:
	s_mov_b64 s[10:11], 0
.LBB241_1792:
	s_and_b64 vcc, exec, s[10:11]
	s_cbranch_vccz .LBB241_1797
; %bb.1793:
	s_cmp_eq_u32 s14, 29
	s_cbranch_scc0 .LBB241_1795
; %bb.1794:
	global_load_dwordx2 v[14:15], v[8:9], off
	s_mov_b64 s[0:1], 0
	s_mov_b64 s[6:7], -1
	s_waitcnt vmcnt(0)
	v_ffbh_u32_e32 v7, v15
	v_min_u32_e32 v7, 32, v7
	v_lshlrev_b64 v[14:15], v7, v[14:15]
	v_min_u32_e32 v13, 1, v14
	v_or_b32_e32 v13, v15, v13
	v_cvt_f32_u32_e32 v13, v13
	v_sub_u32_e32 v7, 32, v7
	v_ldexp_f32 v7, v13, v7
	v_cvt_f16_f32_e32 v7, v7
	s_branch .LBB241_1796
.LBB241_1795:
	s_mov_b64 s[0:1], -1
                                        ; implicit-def: $vgpr7
.LBB241_1796:
	v_mov_b32_e32 v14, 0
.LBB241_1797:
	s_mov_b64 s[10:11], 0
.LBB241_1798:
	s_and_b64 vcc, exec, s[10:11]
	s_cbranch_vccz .LBB241_1816
; %bb.1799:
	s_cmp_lt_i32 s14, 27
	s_cbranch_scc1 .LBB241_1802
; %bb.1800:
	s_cmp_gt_i32 s14, 27
	s_cbranch_scc0 .LBB241_1803
; %bb.1801:
	global_load_dword v7, v[8:9], off
	s_mov_b64 s[6:7], 0
	s_waitcnt vmcnt(0)
	v_cvt_f32_u32_e32 v7, v7
	v_cvt_f16_f32_e32 v7, v7
	s_branch .LBB241_1804
.LBB241_1802:
	s_mov_b64 s[6:7], -1
                                        ; implicit-def: $vgpr7
	s_branch .LBB241_1807
.LBB241_1803:
	s_mov_b64 s[6:7], -1
                                        ; implicit-def: $vgpr7
.LBB241_1804:
	s_andn2_b64 vcc, exec, s[6:7]
	s_cbranch_vccnz .LBB241_1806
; %bb.1805:
	global_load_ushort v7, v[8:9], off
	s_waitcnt vmcnt(0)
	v_cvt_f16_u16_e32 v7, v7
.LBB241_1806:
	s_mov_b64 s[6:7], 0
.LBB241_1807:
	s_andn2_b64 vcc, exec, s[6:7]
	s_cbranch_vccnz .LBB241_1815
; %bb.1808:
	global_load_ubyte v13, v[8:9], off
	s_movk_i32 s6, 0x7f
	s_waitcnt vmcnt(0)
	v_cmp_lt_i16_e32 vcc, s6, v13
	s_mov_b64 s[6:7], 0
	s_and_saveexec_b64 s[10:11], vcc
	s_xor_b64 s[10:11], exec, s[10:11]
	s_cbranch_execz .LBB241_1841
; %bb.1809:
	s_movk_i32 s6, 0x80
	v_cmp_eq_u16_e32 vcc, s6, v13
	s_mov_b64 s[6:7], -1
	s_and_saveexec_b64 s[12:13], vcc
; %bb.1810:
	s_xor_b64 s[6:7], exec, -1
; %bb.1811:
	s_or_b64 exec, exec, s[12:13]
	s_and_b64 s[6:7], s[6:7], exec
	s_or_saveexec_b64 s[10:11], s[10:11]
	v_mov_b32_e32 v7, 0x7e00
	s_xor_b64 exec, exec, s[10:11]
	s_cbranch_execnz .LBB241_1842
.LBB241_1812:
	s_or_b64 exec, exec, s[10:11]
	s_and_saveexec_b64 s[10:11], s[6:7]
	s_cbranch_execz .LBB241_1814
.LBB241_1813:
	v_lshlrev_b32_e32 v7, 24, v13
	v_and_b32_e32 v13, 0xffff, v13
	v_and_b32_e32 v14, 7, v13
	v_ffbh_u32_e32 v16, v14
	v_min_u32_e32 v16, 32, v16
	v_subrev_u32_e32 v17, 28, v16
	v_bfe_u32 v15, v13, 3, 4
	v_lshlrev_b32_e32 v13, v17, v13
	v_sub_u32_e32 v16, 29, v16
	v_and_b32_e32 v13, 7, v13
	v_cmp_eq_u32_e32 vcc, 0, v15
	v_and_b32_e32 v7, 0x80000000, v7
	s_nop 0
	v_cndmask_b32_e32 v15, v15, v16, vcc
	v_cndmask_b32_e32 v13, v14, v13, vcc
	v_mov_b32_e32 v14, 0x3b800000
	v_lshlrev_b32_e32 v13, 20, v13
	v_lshl_add_u32 v14, v15, 23, v14
	v_or3_b32 v7, v7, v14, v13
	v_cvt_f16_f32_e32 v7, v7
.LBB241_1814:
	s_or_b64 exec, exec, s[10:11]
.LBB241_1815:
	s_mov_b64 s[6:7], -1
	v_mov_b32_e32 v14, 0
.LBB241_1816:
	s_mov_b64 s[10:11], 0
.LBB241_1817:
	s_and_b64 vcc, exec, s[10:11]
	s_cbranch_vccz .LBB241_1828
; %bb.1818:
	s_cmp_gt_i32 s14, 22
	s_cbranch_scc0 .LBB241_1839
; %bb.1819:
	s_cmp_lt_i32 s14, 24
	s_cbranch_scc1 .LBB241_1843
; %bb.1820:
	s_cmp_gt_i32 s14, 24
	s_cbranch_scc0 .LBB241_1845
; %bb.1821:
	global_load_ubyte v13, v[8:9], off
	s_movk_i32 s2, 0x7f
	s_waitcnt vmcnt(0)
	v_cmp_lt_i16_e32 vcc, s2, v13
	s_mov_b64 s[2:3], 0
	s_and_saveexec_b64 s[6:7], vcc
	s_xor_b64 s[6:7], exec, s[6:7]
	s_cbranch_execz .LBB241_1857
; %bb.1822:
	s_movk_i32 s2, 0x80
	v_cmp_eq_u16_e32 vcc, s2, v13
	s_mov_b64 s[2:3], -1
	s_and_saveexec_b64 s[10:11], vcc
; %bb.1823:
	s_xor_b64 s[2:3], exec, -1
; %bb.1824:
	s_or_b64 exec, exec, s[10:11]
	s_and_b64 s[2:3], s[2:3], exec
	s_or_saveexec_b64 s[6:7], s[6:7]
	v_mov_b32_e32 v7, 0x7e00
	s_xor_b64 exec, exec, s[6:7]
	s_cbranch_execnz .LBB241_1858
.LBB241_1825:
	s_or_b64 exec, exec, s[6:7]
	s_and_saveexec_b64 s[6:7], s[2:3]
	s_cbranch_execz .LBB241_1827
.LBB241_1826:
	v_lshlrev_b32_e32 v7, 24, v13
	v_and_b32_e32 v13, 0xffff, v13
	v_and_b32_e32 v14, 3, v13
	v_ffbh_u32_e32 v16, v14
	v_min_u32_e32 v16, 32, v16
	v_subrev_u32_e32 v17, 29, v16
	v_bfe_u32 v15, v13, 2, 5
	v_lshlrev_b32_e32 v13, v17, v13
	v_sub_u32_e32 v16, 30, v16
	v_and_b32_e32 v13, 3, v13
	v_cmp_eq_u32_e32 vcc, 0, v15
	v_and_b32_e32 v7, 0x80000000, v7
	s_nop 0
	v_cndmask_b32_e32 v15, v15, v16, vcc
	v_cndmask_b32_e32 v13, v14, v13, vcc
	v_mov_b32_e32 v14, 0x37800000
	v_lshlrev_b32_e32 v13, 21, v13
	v_lshl_add_u32 v14, v15, 23, v14
	v_or3_b32 v7, v7, v14, v13
	v_cvt_f16_f32_e32 v7, v7
.LBB241_1827:
	s_or_b64 exec, exec, s[6:7]
	s_mov_b64 s[2:3], 0
	s_branch .LBB241_1846
.LBB241_1828:
	s_and_b64 vcc, exec, s[0:1]
	s_cbranch_vccnz .LBB241_1876
.LBB241_1829:
	s_andn2_b64 vcc, exec, s[2:3]
	s_cbranch_vccnz .LBB241_1831
.LBB241_1830:
	global_load_ubyte v7, v[8:9], off
	v_mov_b32_e32 v13, 0x3c00
	v_mov_b32_e32 v14, 0
	s_mov_b64 s[6:7], -1
	s_waitcnt vmcnt(0)
	v_cmp_ne_u16_e32 vcc, 0, v7
	s_nop 1
	v_cndmask_b32_e32 v7, 0, v13, vcc
.LBB241_1831:
	s_mov_b64 s[0:1], 0
.LBB241_1832:
	s_and_b64 vcc, exec, s[0:1]
	s_cbranch_vccz .LBB241_1907
; %bb.1833:
	s_and_b32 s2, 0xffff, s23
	s_cmp_lt_i32 s2, 5
	s_cbranch_scc1 .LBB241_1838
; %bb.1834:
	s_cmp_lt_i32 s2, 8
	s_cbranch_scc1 .LBB241_1840
; %bb.1835:
	;; [unrolled: 3-line block ×3, first 2 shown]
	s_cmp_gt_i32 s2, 9
	s_cbranch_scc0 .LBB241_1859
; %bb.1837:
	global_load_dwordx4 v[14:17], v[8:9], off
	s_movk_i32 s0, 0x1ff
	s_movk_i32 s1, 0xffe
	v_mov_b32_e32 v7, 0x7c00
	v_mov_b32_e32 v13, 0x7e00
	s_movk_i32 s3, 0x40f
	s_mov_b32 s6, 0x8000
	s_waitcnt vmcnt(0)
	v_and_or_b32 v14, v15, s0, v14
	v_and_or_b32 v16, v17, s0, v16
	v_cmp_ne_u32_e32 vcc, 0, v14
	v_lshrrev_b32_e32 v18, 8, v15
	v_bfe_u32 v19, v15, 20, 11
	v_cndmask_b32_e64 v14, 0, 1, vcc
	v_cmp_ne_u32_e32 vcc, 0, v16
	v_lshrrev_b32_e32 v20, 8, v17
	v_bfe_u32 v21, v17, 20, 11
	v_sub_u32_e32 v22, 0x3f1, v19
	v_cndmask_b32_e64 v16, 0, 1, vcc
	v_and_or_b32 v14, v18, s1, v14
	v_add_u32_e32 v19, 0xfffffc10, v19
	v_sub_u32_e32 v23, 0x3f1, v21
	v_add_u32_e32 v21, 0xfffffc10, v21
	v_med3_i32 v18, v22, 0, 13
	v_and_or_b32 v16, v20, s1, v16
	v_or_b32_e32 v22, 0x1000, v14
	v_cmp_ne_u32_e32 vcc, 0, v14
	v_med3_i32 v20, v23, 0, 13
	v_lshl_or_b32 v23, v19, 12, v14
	v_cndmask_b32_e32 v14, v7, v13, vcc
	v_or_b32_e32 v24, 0x1000, v16
	v_lshl_or_b32 v25, v21, 12, v16
	v_cmp_ne_u32_e32 vcc, 0, v16
	v_lshrrev_b32_e32 v16, v18, v22
	v_lshrrev_b32_e32 v26, v20, v24
	v_lshlrev_b32_e32 v18, v18, v16
	v_cndmask_b32_e32 v13, v7, v13, vcc
	v_lshlrev_b32_e32 v20, v20, v26
	v_cmp_ne_u32_e32 vcc, v18, v22
	v_lshrrev_b32_e32 v15, 16, v15
	v_lshrrev_b32_e32 v17, 16, v17
	v_cndmask_b32_e64 v18, 0, 1, vcc
	v_cmp_ne_u32_e32 vcc, v20, v24
	v_or_b32_e32 v16, v16, v18
	s_mov_b64 s[0:1], 0
	v_cndmask_b32_e64 v20, 0, 1, vcc
	v_cmp_gt_i32_e32 vcc, 1, v19
	v_or_b32_e32 v18, v26, v20
	s_nop 0
	v_cndmask_b32_e32 v16, v23, v16, vcc
	v_cmp_gt_i32_e32 vcc, 1, v21
	v_and_b32_e32 v20, 7, v16
	v_lshrrev_b32_e32 v16, 2, v16
	v_cndmask_b32_e32 v18, v25, v18, vcc
	v_cmp_lt_i32_e32 vcc, 5, v20
	v_and_b32_e32 v22, 7, v18
	v_lshrrev_b32_e32 v18, 2, v18
	v_cndmask_b32_e64 v23, 0, 1, vcc
	v_cmp_eq_u32_e32 vcc, 3, v20
	s_nop 1
	v_cndmask_b32_e64 v20, 0, 1, vcc
	v_cmp_lt_i32_e32 vcc, 5, v22
	v_or_b32_e32 v20, v20, v23
	v_add_u32_e32 v16, v16, v20
	v_cndmask_b32_e64 v24, 0, 1, vcc
	v_cmp_eq_u32_e32 vcc, 3, v22
	s_nop 1
	v_cndmask_b32_e64 v22, 0, 1, vcc
	v_or_b32_e32 v22, v22, v24
	v_cmp_gt_i32_e32 vcc, 31, v19
	v_add_u32_e32 v18, v18, v22
	s_nop 0
	v_cndmask_b32_e32 v16, v7, v16, vcc
	v_cmp_gt_i32_e32 vcc, 31, v21
	s_nop 1
	v_cndmask_b32_e32 v7, v7, v18, vcc
	v_cmp_eq_u32_e32 vcc, s3, v19
	s_nop 1
	v_cndmask_b32_e32 v14, v16, v14, vcc
	v_cmp_eq_u32_e32 vcc, s3, v21
	s_nop 1
	v_cndmask_b32_e32 v13, v7, v13, vcc
	v_and_or_b32 v7, v15, s6, v14
	v_and_or_b32 v14, v17, s6, v13
	s_branch .LBB241_1860
.LBB241_1838:
	s_mov_b64 s[0:1], -1
                                        ; implicit-def: $vgpr14
                                        ; implicit-def: $vgpr7
	s_branch .LBB241_1885
.LBB241_1839:
	s_mov_b64 s[2:3], -1
                                        ; implicit-def: $vgpr7
	s_branch .LBB241_1852
.LBB241_1840:
	s_mov_b64 s[0:1], -1
                                        ; implicit-def: $vgpr14
                                        ; implicit-def: $vgpr7
	s_branch .LBB241_1866
.LBB241_1841:
	s_or_saveexec_b64 s[10:11], s[10:11]
	v_mov_b32_e32 v7, 0x7e00
	s_xor_b64 exec, exec, s[10:11]
	s_cbranch_execz .LBB241_1812
.LBB241_1842:
	v_cmp_ne_u16_e32 vcc, 0, v13
	s_andn2_b64 s[6:7], s[6:7], exec
	s_and_b64 s[12:13], vcc, exec
	s_or_b64 s[6:7], s[6:7], s[12:13]
	v_mov_b32_e32 v7, v13
	s_or_b64 exec, exec, s[10:11]
	s_and_saveexec_b64 s[10:11], s[6:7]
	s_cbranch_execnz .LBB241_1813
	s_branch .LBB241_1814
.LBB241_1843:
	s_mov_b64 s[2:3], -1
                                        ; implicit-def: $vgpr7
	s_branch .LBB241_1849
.LBB241_1844:
	s_mov_b64 s[0:1], -1
                                        ; implicit-def: $vgpr14
                                        ; implicit-def: $vgpr7
	s_branch .LBB241_1863
.LBB241_1845:
	s_mov_b64 s[2:3], -1
                                        ; implicit-def: $vgpr7
.LBB241_1846:
	s_and_b64 vcc, exec, s[2:3]
	s_cbranch_vccz .LBB241_1848
; %bb.1847:
	global_load_ubyte v7, v[8:9], off
	s_mov_b32 s2, 0x7f800000
	s_waitcnt vmcnt(0)
	v_lshlrev_b32_e32 v7, 24, v7
	v_and_b32_e32 v13, 0x7f000000, v7
	v_ffbh_u32_e32 v14, v13
	v_min_u32_e32 v14, 32, v14
	v_sub_u32_e64 v14, v14, 4 clamp
	v_lshlrev_b32_e32 v16, v14, v13
	v_lshlrev_b32_e32 v14, 23, v14
	v_lshrrev_b32_e32 v16, 4, v16
	v_add_u32_e32 v15, 0x1000000, v13
	v_sub_u32_e32 v14, v16, v14
	v_ashrrev_i32_e32 v15, 8, v15
	v_add_u32_e32 v14, 0x3c000000, v14
	v_and_or_b32 v14, v15, s2, v14
	v_cmp_ne_u32_e32 vcc, 0, v13
	s_brev_b32 s2, 1
	s_nop 0
	v_cndmask_b32_e32 v13, 0, v14, vcc
	v_and_or_b32 v7, v7, s2, v13
	v_cvt_f16_f32_e32 v7, v7
.LBB241_1848:
	s_mov_b64 s[2:3], 0
.LBB241_1849:
	s_andn2_b64 vcc, exec, s[2:3]
	s_cbranch_vccnz .LBB241_1851
; %bb.1850:
	global_load_ubyte v7, v[8:9], off
	s_movk_i32 s2, 0x7f00
	s_brev_b32 s3, 16
	s_waitcnt vmcnt(0)
	v_lshlrev_b16_e32 v13, 8, v7
	v_lshlrev_b32_e32 v7, 25, v7
	v_lshrrev_b32_e32 v14, 4, v7
	v_and_or_b32 v15, v13, s2, 0.5
	v_or_b32_e32 v14, 0x70000000, v14
	v_add_f32_e32 v15, -0.5, v15
	v_mul_f32_e32 v14, 0x7800000, v14
	v_cmp_gt_u32_e32 vcc, s3, v7
	v_bfe_i32 v13, v13, 0, 16
	s_brev_b32 s2, 1
	v_cndmask_b32_e32 v7, v14, v15, vcc
	v_and_or_b32 v7, v13, s2, v7
	v_cvt_f16_f32_e32 v7, v7
.LBB241_1851:
	s_mov_b64 s[2:3], 0
	s_mov_b64 s[6:7], -1
.LBB241_1852:
	s_andn2_b64 vcc, exec, s[2:3]
	s_mov_b64 s[2:3], 0
	s_cbranch_vccnz .LBB241_1875
; %bb.1853:
	s_cmp_gt_i32 s14, 14
	s_cbranch_scc0 .LBB241_1856
; %bb.1854:
	s_cmp_eq_u32 s14, 15
	s_cbranch_scc0 .LBB241_1871
; %bb.1855:
	global_load_ushort v7, v[8:9], off
	s_mov_b64 s[0:1], 0
	s_mov_b64 s[6:7], -1
	s_waitcnt vmcnt(0)
	v_lshlrev_b32_e32 v7, 16, v7
	v_cvt_f16_f32_e32 v7, v7
	s_branch .LBB241_1872
.LBB241_1856:
	s_mov_b64 s[10:11], -1
                                        ; implicit-def: $vgpr7
	s_branch .LBB241_1873
.LBB241_1857:
	s_or_saveexec_b64 s[6:7], s[6:7]
	v_mov_b32_e32 v7, 0x7e00
	s_xor_b64 exec, exec, s[6:7]
	s_cbranch_execz .LBB241_1825
.LBB241_1858:
	v_cmp_ne_u16_e32 vcc, 0, v13
	s_andn2_b64 s[2:3], s[2:3], exec
	s_and_b64 s[10:11], vcc, exec
	s_or_b64 s[2:3], s[2:3], s[10:11]
	v_mov_b32_e32 v7, v13
	s_or_b64 exec, exec, s[6:7]
	s_and_saveexec_b64 s[6:7], s[2:3]
	s_cbranch_execnz .LBB241_1826
	s_branch .LBB241_1827
.LBB241_1859:
	s_mov_b64 s[0:1], -1
                                        ; implicit-def: $vgpr14
                                        ; implicit-def: $vgpr7
.LBB241_1860:
	s_andn2_b64 vcc, exec, s[0:1]
	s_cbranch_vccnz .LBB241_1862
; %bb.1861:
	global_load_dwordx2 v[14:15], v[8:9], off
	s_waitcnt vmcnt(0)
	v_cvt_f16_f32_e32 v7, v14
	v_cvt_f16_f32_e32 v14, v15
.LBB241_1862:
	s_mov_b64 s[0:1], 0
.LBB241_1863:
	s_andn2_b64 vcc, exec, s[0:1]
	s_cbranch_vccnz .LBB241_1865
; %bb.1864:
	global_load_dword v7, v[8:9], off
	s_waitcnt vmcnt(0)
	v_lshrrev_b32_e32 v14, 16, v7
.LBB241_1865:
	s_mov_b64 s[0:1], 0
.LBB241_1866:
	s_andn2_b64 vcc, exec, s[0:1]
	s_cbranch_vccnz .LBB241_1884
; %bb.1867:
	s_cmp_lt_i32 s2, 6
	s_cbranch_scc1 .LBB241_1870
; %bb.1868:
	s_cmp_gt_i32 s2, 6
	s_cbranch_scc0 .LBB241_1877
; %bb.1869:
	global_load_dwordx2 v[14:15], v[8:9], off
	s_movk_i32 s0, 0x1ff
	s_movk_i32 s1, 0xffe
	v_mov_b32_e32 v7, 0x7c00
	v_mov_b32_e32 v13, 0x7e00
	s_movk_i32 s3, 0x40f
	s_mov_b32 s6, 0x8000
	s_waitcnt vmcnt(0)
	v_and_or_b32 v14, v15, s0, v14
	v_cmp_ne_u32_e32 vcc, 0, v14
	v_lshrrev_b32_e32 v16, 8, v15
	v_bfe_u32 v17, v15, 20, 11
	v_cndmask_b32_e64 v14, 0, 1, vcc
	v_sub_u32_e32 v18, 0x3f1, v17
	v_and_or_b32 v14, v16, s1, v14
	v_add_u32_e32 v17, 0xfffffc10, v17
	v_med3_i32 v16, v18, 0, 13
	v_or_b32_e32 v18, 0x1000, v14
	v_lshl_or_b32 v19, v17, 12, v14
	v_cmp_ne_u32_e32 vcc, 0, v14
	v_lshrrev_b32_e32 v14, v16, v18
	v_lshlrev_b32_e32 v16, v16, v14
	v_cndmask_b32_e32 v13, v7, v13, vcc
	v_cmp_ne_u32_e32 vcc, v16, v18
	v_lshrrev_b32_e32 v15, 16, v15
	s_mov_b64 s[0:1], 0
	v_cndmask_b32_e64 v16, 0, 1, vcc
	v_or_b32_e32 v14, v14, v16
	v_cmp_gt_i32_e32 vcc, 1, v17
	s_nop 1
	v_cndmask_b32_e32 v14, v19, v14, vcc
	v_and_b32_e32 v16, 7, v14
	v_cmp_lt_i32_e32 vcc, 5, v16
	v_lshrrev_b32_e32 v14, 2, v14
	s_nop 0
	v_cndmask_b32_e64 v18, 0, 1, vcc
	v_cmp_eq_u32_e32 vcc, 3, v16
	s_nop 1
	v_cndmask_b32_e64 v16, 0, 1, vcc
	v_or_b32_e32 v16, v16, v18
	v_add_u32_e32 v14, v14, v16
	v_cmp_gt_i32_e32 vcc, 31, v17
	s_nop 1
	v_cndmask_b32_e32 v7, v7, v14, vcc
	v_cmp_eq_u32_e32 vcc, s3, v17
	s_nop 1
	v_cndmask_b32_e32 v7, v7, v13, vcc
	v_and_or_b32 v7, v15, s6, v7
	s_branch .LBB241_1878
.LBB241_1870:
	s_mov_b64 s[0:1], -1
                                        ; implicit-def: $vgpr7
	s_branch .LBB241_1881
.LBB241_1871:
	s_mov_b64 s[0:1], -1
                                        ; implicit-def: $vgpr7
.LBB241_1872:
	s_mov_b64 s[10:11], 0
.LBB241_1873:
	s_and_b64 vcc, exec, s[10:11]
	s_cbranch_vccz .LBB241_1875
; %bb.1874:
	s_cmp_lg_u32 s14, 11
	s_mov_b64 s[2:3], -1
	s_cselect_b64 s[0:1], -1, 0
.LBB241_1875:
	v_mov_b32_e32 v14, 0
	s_and_b64 vcc, exec, s[0:1]
	s_cbranch_vccz .LBB241_1829
.LBB241_1876:
	s_trap 2
	s_or_b64 s[8:9], s[8:9], exec
	s_cbranch_execz .LBB241_1830
	s_branch .LBB241_1831
.LBB241_1877:
	s_mov_b64 s[0:1], -1
                                        ; implicit-def: $vgpr7
.LBB241_1878:
	s_andn2_b64 vcc, exec, s[0:1]
	s_cbranch_vccnz .LBB241_1880
; %bb.1879:
	global_load_dword v7, v[8:9], off
	s_waitcnt vmcnt(0)
	v_cvt_f16_f32_e32 v7, v7
.LBB241_1880:
	s_mov_b64 s[0:1], 0
.LBB241_1881:
	s_andn2_b64 vcc, exec, s[0:1]
	s_cbranch_vccnz .LBB241_1883
; %bb.1882:
	global_load_ushort v7, v[8:9], off
.LBB241_1883:
	v_mov_b32_e32 v14, 0
.LBB241_1884:
	s_mov_b64 s[0:1], 0
.LBB241_1885:
	s_andn2_b64 vcc, exec, s[0:1]
	s_cbranch_vccnz .LBB241_1906
; %bb.1886:
	s_cmp_lt_i32 s2, 2
	s_cbranch_scc1 .LBB241_1890
; %bb.1887:
	s_cmp_lt_i32 s2, 3
	s_cbranch_scc1 .LBB241_1891
; %bb.1888:
	s_cmp_gt_i32 s2, 3
	s_cbranch_scc0 .LBB241_1892
; %bb.1889:
	global_load_dwordx2 v[14:15], v[8:9], off
	s_mov_b64 s[0:1], 0
	s_waitcnt vmcnt(0)
	v_xor_b32_e32 v13, v14, v15
	v_ffbh_i32_e32 v7, v15
	v_ashrrev_i32_e32 v13, 31, v13
	v_add_u32_e32 v7, -1, v7
	v_add_u32_e32 v13, 32, v13
	v_min_u32_e32 v7, v7, v13
	v_lshlrev_b64 v[14:15], v7, v[14:15]
	v_min_u32_e32 v13, 1, v14
	v_or_b32_e32 v13, v15, v13
	v_cvt_f32_i32_e32 v13, v13
	v_sub_u32_e32 v7, 32, v7
	v_ldexp_f32 v7, v13, v7
	v_cvt_f16_f32_e32 v7, v7
	s_branch .LBB241_1893
.LBB241_1890:
	s_mov_b64 s[0:1], -1
                                        ; implicit-def: $vgpr7
	s_branch .LBB241_1899
.LBB241_1891:
	s_mov_b64 s[0:1], -1
                                        ; implicit-def: $vgpr7
	s_branch .LBB241_1896
.LBB241_1892:
	s_mov_b64 s[0:1], -1
                                        ; implicit-def: $vgpr7
.LBB241_1893:
	s_andn2_b64 vcc, exec, s[0:1]
	s_cbranch_vccnz .LBB241_1895
; %bb.1894:
	global_load_dword v7, v[8:9], off
	s_waitcnt vmcnt(0)
	v_cvt_f32_i32_e32 v7, v7
	v_cvt_f16_f32_e32 v7, v7
.LBB241_1895:
	s_mov_b64 s[0:1], 0
.LBB241_1896:
	s_andn2_b64 vcc, exec, s[0:1]
	s_cbranch_vccnz .LBB241_1898
; %bb.1897:
	global_load_ushort v7, v[8:9], off
	s_waitcnt vmcnt(0)
	v_cvt_f16_i16_e32 v7, v7
.LBB241_1898:
	s_mov_b64 s[0:1], 0
.LBB241_1899:
	s_andn2_b64 vcc, exec, s[0:1]
	s_cbranch_vccnz .LBB241_1905
; %bb.1900:
	s_cmp_gt_i32 s2, 0
	s_cbranch_scc0 .LBB241_1902
; %bb.1901:
	global_load_sbyte v7, v[8:9], off
	s_mov_b64 s[0:1], 0
	s_waitcnt vmcnt(0)
	v_cvt_f16_i16_e32 v7, v7
	s_branch .LBB241_1903
.LBB241_1902:
	s_mov_b64 s[0:1], -1
                                        ; implicit-def: $vgpr7
.LBB241_1903:
	s_andn2_b64 vcc, exec, s[0:1]
	s_cbranch_vccnz .LBB241_1905
; %bb.1904:
	global_load_ubyte v7, v[8:9], off
	s_waitcnt vmcnt(0)
	v_cvt_f16_u16_e32 v7, v7
.LBB241_1905:
	v_mov_b32_e32 v14, 0
.LBB241_1906:
	s_mov_b64 s[6:7], -1
.LBB241_1907:
	s_andn2_b64 vcc, exec, s[6:7]
	s_cbranch_vccnz .LBB241_2371
; %bb.1908:
	v_cvt_f32_f16_e32 v13, v14
	s_waitcnt vmcnt(0)
	v_cmp_neq_f16_e32 vcc, 0, v7
	v_cmp_neq_f16_e64 s[0:1], 0, v14
	s_or_b64 s[0:1], vcc, s[0:1]
	v_mov_b32_e32 v14, 0
	s_and_saveexec_b64 s[6:7], s[0:1]
	s_cbranch_execz .LBB241_1938
; %bb.1909:
	v_mov_b32_e32 v14, 0x7f800000
	v_cmp_neq_f32_e64 s[0:1], |v13|, v14
	s_and_saveexec_b64 s[10:11], s[0:1]
	s_cbranch_execz .LBB241_1937
; %bb.1910:
	v_cvt_f32_f16_e32 v8, v7
	v_cmp_o_f16_e32 vcc, v7, v7
                                        ; implicit-def: $vgpr14
	s_and_saveexec_b64 s[0:1], vcc
	s_xor_b64 s[12:13], exec, s[0:1]
	s_cbranch_execz .LBB241_1934
; %bb.1911:
	s_mov_b32 s0, 0x7f800000
	v_cmp_neq_f32_e64 s[0:1], |v8|, s0
                                        ; implicit-def: $vgpr14
	s_and_saveexec_b64 s[2:3], s[0:1]
	s_xor_b64 s[14:15], exec, s[2:3]
	s_cbranch_execz .LBB241_1927
; %bb.1912:
	v_max_f32_e64 v7, |v13|, |v13|
	v_max_f32_e64 v9, |v8|, |v8|
	v_max_f32_e32 v7, v9, v7
	s_mov_b32 s0, 0x7ed413cb
	v_cmp_nle_f32_e64 s[0:1], s0, v7
                                        ; implicit-def: $sgpr16_sgpr17
	s_and_saveexec_b64 s[2:3], s[0:1]
	s_xor_b64 s[2:3], exec, s[2:3]
	s_cbranch_execz .LBB241_1916
; %bb.1913:
	s_mov_b32 s18, 0x1000000
	v_cmp_le_f32_e64 s[16:17], |v8|, s18
	v_cmp_le_f32_e64 s[18:19], |v13|, s18
	s_and_b64 s[20:21], s[16:17], s[18:19]
	s_mov_b64 s[16:17], 0
	s_and_saveexec_b64 s[18:19], s[20:21]
; %bb.1914:
	s_mov_b64 s[16:17], exec
	v_mul_f32_e32 v8, 4.0, v8
	v_mul_f32_e32 v13, 4.0, v13
; %bb.1915:
	s_or_b64 exec, exec, s[18:19]
.LBB241_1916:
	s_andn2_saveexec_b64 s[2:3], s[2:3]
; %bb.1917:
	v_mul_f32_e32 v8, 0x3e800000, v8
	v_mul_f32_e32 v13, 0x3e800000, v13
	s_andn2_b64 s[16:17], s[16:17], exec
; %bb.1918:
	s_or_b64 exec, exec, s[2:3]
	v_max_f32_e64 v7, |v13|, |v13|
	v_max_f32_e64 v9, |v8|, |v8|
	v_max_f32_e32 v7, v9, v7
	v_cvt_f64_f32_e32 v[14:15], v7
	v_frexp_exp_i32_f64_e32 v9, v[14:15]
	v_sub_u32_e32 v14, 0, v9
	v_ldexp_f32 v15, |v8|, v14
	v_ldexp_f32 v14, |v13|, v14
	v_mul_f32_e32 v14, v14, v14
	v_fmac_f32_e32 v14, v15, v15
	v_sqrt_f32_e32 v14, v14
	s_mov_b32 s2, 0x7f800000
	v_cmp_neq_f32_e64 s[2:3], s2, v7
	v_cmp_le_f32_e32 vcc, 0, v8
	v_ldexp_f32 v9, v14, v9
	v_mov_b32_e32 v14, 0x7f800000
	v_cndmask_b32_e64 v14, v14, v9, s[2:3]
                                        ; implicit-def: $vgpr9
                                        ; implicit-def: $vgpr7
	s_and_saveexec_b64 s[2:3], vcc
	s_xor_b64 s[18:19], exec, s[2:3]
	s_cbranch_execz .LBB241_1920
; %bb.1919:
	v_add_f32_e32 v7, v8, v14
	v_mul_f32_e32 v7, 0.5, v7
	s_mov_b32 s2, 0xf800000
	v_mul_f32_e32 v8, 0x4f800000, v7
	v_cmp_gt_f32_e32 vcc, s2, v7
	s_nop 1
	v_cndmask_b32_e32 v7, v7, v8, vcc
	v_sqrt_f32_e32 v8, v7
	s_nop 0
	v_add_u32_e32 v9, -1, v8
	v_fma_f32 v14, -v9, v8, v7
	v_cmp_ge_f32_e64 s[2:3], 0, v14
	v_add_u32_e32 v14, 1, v8
	s_nop 0
	v_cndmask_b32_e64 v9, v8, v9, s[2:3]
	v_fma_f32 v8, -v14, v8, v7
	v_cmp_lt_f32_e64 s[2:3], 0, v8
	s_nop 1
	v_cndmask_b32_e64 v8, v9, v14, s[2:3]
	v_mul_f32_e32 v9, 0x37800000, v8
	v_cndmask_b32_e32 v8, v8, v9, vcc
	v_mov_b32_e32 v9, 0x260
	v_cmp_class_f32_e32 vcc, v7, v9
	s_nop 1
	v_cndmask_b32_e32 v7, v8, v7, vcc
	v_add_f32_e32 v8, v7, v7
	v_div_scale_f32 v9, s[2:3], v8, v8, v13
	v_rcp_f32_e32 v14, v9
	s_nop 0
	v_fma_f32 v15, -v9, v14, 1.0
	v_fmac_f32_e32 v14, v15, v14
	v_div_scale_f32 v15, vcc, v13, v8, v13
	v_mul_f32_e32 v16, v15, v14
	v_fma_f32 v17, -v9, v16, v15
	v_fmac_f32_e32 v16, v17, v14
	v_fma_f32 v9, -v9, v16, v15
	v_div_fmas_f32 v9, v9, v14, v16
	v_div_fixup_f32 v9, v9, v8, v13
                                        ; implicit-def: $vgpr14
                                        ; implicit-def: $vgpr8
                                        ; implicit-def: $vgpr13
	s_andn2_saveexec_b64 s[18:19], s[18:19]
	s_cbranch_execz .LBB241_1922
	s_branch .LBB241_1921
.LBB241_1920:
	s_andn2_saveexec_b64 s[18:19], s[18:19]
	s_cbranch_execz .LBB241_1922
.LBB241_1921:
	v_sub_f32_e32 v7, v14, v8
	v_mul_f32_e32 v7, 0.5, v7
	s_mov_b32 s2, 0xf800000
	v_mul_f32_e32 v8, 0x4f800000, v7
	v_cmp_gt_f32_e32 vcc, s2, v7
	s_nop 1
	v_cndmask_b32_e32 v7, v7, v8, vcc
	v_sqrt_f32_e32 v8, v7
	s_nop 0
	v_add_u32_e32 v9, -1, v8
	v_fma_f32 v14, -v9, v8, v7
	v_cmp_ge_f32_e64 s[2:3], 0, v14
	v_add_u32_e32 v14, 1, v8
	s_nop 0
	v_cndmask_b32_e64 v9, v8, v9, s[2:3]
	v_fma_f32 v8, -v14, v8, v7
	v_cmp_lt_f32_e64 s[2:3], 0, v8
	s_nop 1
	v_cndmask_b32_e64 v8, v9, v14, s[2:3]
	v_mul_f32_e32 v9, 0x37800000, v8
	v_cndmask_b32_e32 v8, v8, v9, vcc
	v_mov_b32_e32 v9, 0x260
	v_cmp_class_f32_e32 vcc, v7, v9
	v_and_b32_e32 v9, 0x7fffffff, v13
	s_nop 0
	v_cndmask_b32_e32 v8, v8, v7, vcc
	v_add_f32_e32 v7, v8, v8
	v_div_scale_f32 v14, s[2:3], v7, v7, v9
	v_rcp_f32_e32 v15, v14
	v_div_scale_f32 v9, vcc, v9, v7, v9
	s_brev_b32 s2, -2
	v_fma_f32 v16, -v14, v15, 1.0
	v_fmac_f32_e32 v15, v16, v15
	v_mul_f32_e32 v16, v9, v15
	v_fma_f32 v17, -v14, v16, v9
	v_fmac_f32_e32 v16, v17, v15
	v_fma_f32 v9, -v14, v16, v9
	v_div_fmas_f32 v9, v9, v15, v16
	v_div_fixup_f32 v7, v9, v7, |v13|
	v_bfi_b32 v9, s2, v8, v13
.LBB241_1922:
	s_or_b64 exec, exec, s[18:19]
                                        ; implicit-def: $vgpr13
                                        ; implicit-def: $vgpr14
	s_and_saveexec_b64 s[2:3], s[0:1]
	s_xor_b64 s[0:1], exec, s[2:3]
	s_cbranch_execz .LBB241_1924
; %bb.1923:
	v_mul_f32_e32 v8, 0.5, v7
	v_mul_f32_e32 v13, 0.5, v9
	v_cndmask_b32_e64 v14, v7, v8, s[16:17]
	v_cndmask_b32_e64 v13, v9, v13, s[16:17]
                                        ; implicit-def: $vgpr7
                                        ; implicit-def: $vgpr9
	s_andn2_saveexec_b64 s[0:1], s[0:1]
	s_cbranch_execnz .LBB241_1925
	s_branch .LBB241_1926
.LBB241_1924:
	s_andn2_saveexec_b64 s[0:1], s[0:1]
.LBB241_1925:
	v_add_f32_e32 v14, v7, v7
	v_add_f32_e32 v13, v9, v9
.LBB241_1926:
	s_or_b64 exec, exec, s[0:1]
                                        ; implicit-def: $vgpr8
                                        ; implicit-def: $vgpr7
.LBB241_1927:
	s_andn2_saveexec_b64 s[0:1], s[14:15]
	s_cbranch_execz .LBB241_1933
; %bb.1928:
	v_cmp_lt_i16_e32 vcc, -1, v7
	v_sub_f32_e32 v7, v13, v13
	s_brev_b32 s14, -2
	v_and_b32_e32 v14, 0x7fffffff, v7
	s_and_saveexec_b64 s[2:3], vcc
	s_xor_b64 s[2:3], exec, s[2:3]
; %bb.1929:
	v_bfi_b32 v13, s14, v7, v13
	v_mov_b32_e32 v14, v8
; %bb.1930:
	s_andn2_saveexec_b64 s[2:3], s[2:3]
; %bb.1931:
	v_bfi_b32 v13, s14, v8, v13
; %bb.1932:
	s_or_b64 exec, exec, s[2:3]
.LBB241_1933:
	s_or_b64 exec, exec, s[0:1]
                                        ; implicit-def: $vgpr8
.LBB241_1934:
	s_andn2_saveexec_b64 s[0:1], s[12:13]
	s_cbranch_execz .LBB241_1936
; %bb.1935:
	v_sub_f32_e32 v7, v13, v13
	v_div_scale_f32 v9, vcc, v7, v7, v7
	v_rcp_f32_e32 v13, v9
	s_nop 0
	v_fma_f32 v14, -v9, v13, 1.0
	v_fmac_f32_e32 v13, v14, v13
	v_mul_f32_e32 v14, v9, v13
	v_fma_f32 v15, -v9, v14, v9
	v_fmac_f32_e32 v14, v15, v13
	v_fma_f32 v9, -v9, v14, v9
	v_div_fmas_f32 v9, v9, v13, v14
	v_div_fixup_f32 v13, v9, v7, v7
	v_mov_b32_e32 v14, v8
.LBB241_1936:
	s_or_b64 exec, exec, s[0:1]
.LBB241_1937:
	s_or_b64 exec, exec, s[10:11]
.LBB241_1938:
	s_or_b64 exec, exec, s[6:7]
	v_cvt_f16_f32_e32 v8, v1
	v_cvt_f16_f32_e32 v1, v3
	s_bfe_u32 s14, s22, 0x80008
	v_mov_b32_e32 v7, 0
	v_lshlrev_b32_e32 v3, 16, v8
	v_or_b32_e32 v3, v3, v1
	s_cmp_lt_i32 s14, 11
	v_lshl_add_u64 v[6:7], s[4:5], 0, v[6:7]
	s_cbranch_scc1 .LBB241_2016
; %bb.1939:
	s_and_b32 s15, 0xffff, s14
	s_mov_b64 s[10:11], -1
	s_mov_b64 s[2:3], 0
	s_cmp_gt_i32 s15, 25
	s_mov_b64 s[6:7], 0
	s_mov_b64 s[0:1], 0
	s_cbranch_scc0 .LBB241_1972
; %bb.1940:
	s_cmp_gt_i32 s15, 28
	s_cbranch_scc0 .LBB241_1955
; %bb.1941:
	s_cmp_gt_i32 s15, 43
	;; [unrolled: 3-line block ×3, first 2 shown]
	s_cbranch_scc0 .LBB241_1945
; %bb.1943:
	s_mov_b64 s[0:1], -1
	s_mov_b64 s[10:11], 0
	s_cmp_eq_u32 s15, 46
	s_cbranch_scc0 .LBB241_1945
; %bb.1944:
	v_cvt_f32_f16_e32 v15, v8
	v_cvt_f32_f16_e32 v9, v1
	s_movk_i32 s0, 0x7fff
	v_cmp_o_f16_e32 vcc, v8, v8
	v_bfe_u32 v17, v15, 16, 1
	v_bfe_u32 v16, v9, 16, 1
	v_add3_u32 v15, v15, v17, s0
	v_add3_u32 v9, v9, v16, s0
	v_and_b32_e32 v15, 0xffff0000, v15
	v_mov_b32_e32 v16, 0x7fc00000
	v_cndmask_b32_e32 v15, v16, v15, vcc
	v_cmp_o_f16_e32 vcc, v1, v1
	v_mov_b32_e32 v16, 0x7fc0
	s_mov_b64 s[0:1], 0
	v_cndmask_b32_sdwa v9, v16, v9, vcc dst_sel:DWORD dst_unused:UNUSED_PAD src0_sel:DWORD src1_sel:WORD_1
	v_or_b32_e32 v9, v15, v9
	global_store_dword v[6:7], v9, off
	s_mov_b64 s[6:7], -1
.LBB241_1945:
	s_and_b64 vcc, exec, s[10:11]
	s_cbranch_vccz .LBB241_1950
; %bb.1946:
	s_cmp_eq_u32 s15, 44
	s_mov_b64 s[0:1], -1
	s_cbranch_scc0 .LBB241_1950
; %bb.1947:
	v_cvt_f32_f16_e32 v9, v1
	s_movk_i32 s0, 0xff
	v_mov_b32_e32 v16, 0xff
	v_bfe_u32 v15, v9, 23, 8
	v_cmp_ne_u32_e32 vcc, s0, v15
	s_and_saveexec_b64 s[6:7], vcc
; %bb.1948:
	s_mov_b32 s0, 0x3fffff
	v_lshrrev_b32_e32 v16, 23, v9
	v_and_b32_e32 v17, 0x400000, v9
	v_and_or_b32 v9, v9, s0, v15
	v_cmp_ne_u32_e32 vcc, 0, v17
	v_cmp_ne_u32_e64 s[0:1], 0, v9
	s_and_b64 s[0:1], vcc, s[0:1]
	s_nop 0
	v_cndmask_b32_e64 v9, 0, 1, s[0:1]
	v_add_u32_e32 v16, v16, v9
; %bb.1949:
	s_or_b64 exec, exec, s[6:7]
	s_mov_b64 s[0:1], 0
	s_mov_b64 s[6:7], -1
	global_store_byte v[6:7], v16, off
.LBB241_1950:
	s_mov_b64 s[10:11], 0
.LBB241_1951:
	s_and_b64 vcc, exec, s[10:11]
	s_cbranch_vccz .LBB241_1954
; %bb.1952:
	s_cmp_eq_u32 s15, 29
	s_mov_b64 s[0:1], -1
	s_cbranch_scc0 .LBB241_1954
; %bb.1953:
	v_cvt_f32_f16_e32 v9, v1
	v_mov_b32_e32 v17, 0
	s_mov_b64 s[0:1], 0
	s_mov_b64 s[6:7], -1
	v_cvt_u32_f32_e32 v16, v9
	global_store_dwordx2 v[6:7], v[16:17], off
.LBB241_1954:
	s_mov_b64 s[10:11], 0
.LBB241_1955:
	s_and_b64 vcc, exec, s[10:11]
	s_cbranch_vccz .LBB241_1971
; %bb.1956:
	s_cmp_lt_i32 s15, 27
	s_mov_b64 s[6:7], -1
	s_cbranch_scc1 .LBB241_1962
; %bb.1957:
	s_cmp_gt_i32 s15, 27
	s_cbranch_scc0 .LBB241_1959
; %bb.1958:
	v_cvt_f32_f16_e32 v9, v1
	s_mov_b64 s[6:7], 0
	v_cvt_u32_f32_e32 v9, v9
	global_store_dword v[6:7], v9, off
.LBB241_1959:
	s_andn2_b64 vcc, exec, s[6:7]
	s_cbranch_vccnz .LBB241_1961
; %bb.1960:
	v_cvt_u16_f16_e32 v9, v1
	global_store_short v[6:7], v9, off
.LBB241_1961:
	s_mov_b64 s[6:7], 0
.LBB241_1962:
	s_andn2_b64 vcc, exec, s[6:7]
	s_cbranch_vccnz .LBB241_1970
; %bb.1963:
	v_cvt_f32_f16_e32 v9, v1
	s_mov_b32 s6, 0x43800000
	v_mov_b32_e32 v16, 0x80
	v_and_b32_e32 v15, 0x7fffffff, v9
	v_cmp_gt_u32_e32 vcc, s6, v15
	s_and_saveexec_b64 s[6:7], vcc
	s_cbranch_execz .LBB241_1969
; %bb.1964:
	s_mov_b32 s10, 0x3bffffff
	v_cmp_lt_u32_e32 vcc, s10, v15
	s_mov_b64 s[10:11], 0
                                        ; implicit-def: $vgpr15
	s_and_saveexec_b64 s[12:13], vcc
	s_xor_b64 s[12:13], exec, s[12:13]
	s_cbranch_execz .LBB241_2418
; %bb.1965:
	v_bfe_u32 v15, v9, 20, 1
	s_mov_b32 s16, 0x487ffff
	v_add3_u32 v15, v9, v15, s16
	s_mov_b64 s[10:11], exec
	v_lshrrev_b32_e32 v15, 20, v15
	s_andn2_saveexec_b64 s[12:13], s[12:13]
	s_cbranch_execnz .LBB241_2419
.LBB241_1966:
	s_or_b64 exec, exec, s[12:13]
	v_mov_b32_e32 v16, 0
	s_and_saveexec_b64 s[12:13], s[10:11]
.LBB241_1967:
	v_lshrrev_b32_e32 v9, 24, v9
	s_movk_i32 s10, 0x80
	v_and_or_b32 v16, v9, s10, v15
.LBB241_1968:
	s_or_b64 exec, exec, s[12:13]
.LBB241_1969:
	s_or_b64 exec, exec, s[6:7]
	global_store_byte v[6:7], v16, off
.LBB241_1970:
	s_mov_b64 s[6:7], -1
.LBB241_1971:
	s_mov_b64 s[10:11], 0
.LBB241_1972:
	s_and_b64 vcc, exec, s[10:11]
	s_cbranch_vccz .LBB241_2012
; %bb.1973:
	s_cmp_gt_i32 s15, 22
	s_mov_b64 s[2:3], -1
	s_cbranch_scc0 .LBB241_2005
; %bb.1974:
	s_cmp_lt_i32 s15, 24
	s_cbranch_scc1 .LBB241_1994
; %bb.1975:
	s_cmp_gt_i32 s15, 24
	s_cbranch_scc0 .LBB241_1983
; %bb.1976:
	v_cvt_f32_f16_e32 v9, v1
	s_mov_b32 s2, 0x47800000
	v_mov_b32_e32 v16, 0x80
	v_and_b32_e32 v15, 0x7fffffff, v9
	v_cmp_gt_u32_e32 vcc, s2, v15
	s_and_saveexec_b64 s[2:3], vcc
	s_cbranch_execz .LBB241_1982
; %bb.1977:
	s_mov_b32 s6, 0x37ffffff
	v_cmp_lt_u32_e32 vcc, s6, v15
	s_mov_b64 s[6:7], 0
                                        ; implicit-def: $vgpr15
	s_and_saveexec_b64 s[10:11], vcc
	s_xor_b64 s[10:11], exec, s[10:11]
	s_cbranch_execz .LBB241_2421
; %bb.1978:
	v_bfe_u32 v15, v9, 21, 1
	s_mov_b32 s12, 0x88fffff
	v_add3_u32 v15, v9, v15, s12
	s_mov_b64 s[6:7], exec
	v_lshrrev_b32_e32 v15, 21, v15
	s_andn2_saveexec_b64 s[10:11], s[10:11]
	s_cbranch_execnz .LBB241_2422
.LBB241_1979:
	s_or_b64 exec, exec, s[10:11]
	v_mov_b32_e32 v16, 0
	s_and_saveexec_b64 s[10:11], s[6:7]
.LBB241_1980:
	v_lshrrev_b32_e32 v9, 24, v9
	s_movk_i32 s6, 0x80
	v_and_or_b32 v16, v9, s6, v15
.LBB241_1981:
	s_or_b64 exec, exec, s[10:11]
.LBB241_1982:
	s_or_b64 exec, exec, s[2:3]
	s_mov_b64 s[2:3], 0
	global_store_byte v[6:7], v16, off
.LBB241_1983:
	s_and_b64 vcc, exec, s[2:3]
	s_cbranch_vccz .LBB241_1993
; %bb.1984:
	v_cvt_f32_f16_e32 v9, v1
	s_mov_b32 s2, 0x43f00000
                                        ; implicit-def: $vgpr15
	v_and_b32_e32 v16, 0x7fffffff, v9
	v_cmp_gt_u32_e32 vcc, s2, v16
	s_and_saveexec_b64 s[2:3], vcc
	s_xor_b64 s[2:3], exec, s[2:3]
	s_cbranch_execz .LBB241_1990
; %bb.1985:
	s_mov_b32 s6, 0x3c7fffff
	v_cmp_lt_u32_e32 vcc, s6, v16
                                        ; implicit-def: $vgpr15
	s_and_saveexec_b64 s[6:7], vcc
	s_xor_b64 s[6:7], exec, s[6:7]
; %bb.1986:
	v_bfe_u32 v15, v9, 20, 1
	s_mov_b32 s10, 0x407ffff
	v_add3_u32 v15, v9, v15, s10
	v_lshrrev_b32_e32 v16, 20, v15
	v_and_b32_e32 v15, 0xff00000, v15
	s_mov_b32 s10, 0x7f00000
	v_mov_b32_e32 v17, 0x7e
	v_cmp_ne_u32_e32 vcc, s10, v15
	s_nop 1
	v_cndmask_b32_e32 v15, v17, v16, vcc
; %bb.1987:
	s_andn2_saveexec_b64 s[6:7], s[6:7]
; %bb.1988:
	s_mov_b32 s10, 0x46800000
	v_add_f32_e64 v15, |v9|, s10
; %bb.1989:
	s_or_b64 exec, exec, s[6:7]
                                        ; implicit-def: $vgpr16
.LBB241_1990:
	s_andn2_saveexec_b64 s[2:3], s[2:3]
; %bb.1991:
	s_mov_b32 s6, 0x7f800000
	v_mov_b32_e32 v15, 0x7e
	v_mov_b32_e32 v17, 0x7f
	v_cmp_lt_u32_e32 vcc, s6, v16
	s_nop 1
	v_cndmask_b32_e32 v15, v15, v17, vcc
; %bb.1992:
	s_or_b64 exec, exec, s[2:3]
	v_lshrrev_b32_e32 v9, 24, v9
	s_movk_i32 s2, 0x80
	v_and_or_b32 v9, v9, s2, v15
	global_store_byte v[6:7], v9, off
.LBB241_1993:
	s_mov_b64 s[2:3], 0
.LBB241_1994:
	s_andn2_b64 vcc, exec, s[2:3]
	s_cbranch_vccnz .LBB241_2004
; %bb.1995:
	v_cvt_f32_f16_e32 v9, v1
	s_mov_b32 s2, 0x47800000
                                        ; implicit-def: $vgpr15
	v_and_b32_e32 v16, 0x7fffffff, v9
	v_cmp_gt_u32_e32 vcc, s2, v16
	s_and_saveexec_b64 s[2:3], vcc
	s_xor_b64 s[2:3], exec, s[2:3]
	s_cbranch_execz .LBB241_2001
; %bb.1996:
	s_mov_b32 s6, 0x387fffff
	v_cmp_lt_u32_e32 vcc, s6, v16
                                        ; implicit-def: $vgpr15
	s_and_saveexec_b64 s[6:7], vcc
	s_xor_b64 s[6:7], exec, s[6:7]
; %bb.1997:
	v_bfe_u32 v15, v9, 21, 1
	s_mov_b32 s10, 0x80fffff
	v_add3_u32 v15, v9, v15, s10
	v_lshrrev_b32_e32 v15, 21, v15
; %bb.1998:
	s_andn2_saveexec_b64 s[6:7], s[6:7]
; %bb.1999:
	s_mov_b32 s10, 0x43000000
	v_add_f32_e64 v15, |v9|, s10
; %bb.2000:
	s_or_b64 exec, exec, s[6:7]
                                        ; implicit-def: $vgpr16
.LBB241_2001:
	s_andn2_saveexec_b64 s[2:3], s[2:3]
; %bb.2002:
	s_mov_b32 s6, 0x7f800000
	v_mov_b32_e32 v15, 0x7c
	v_mov_b32_e32 v17, 0x7f
	v_cmp_lt_u32_e32 vcc, s6, v16
	s_nop 1
	v_cndmask_b32_e32 v15, v15, v17, vcc
; %bb.2003:
	s_or_b64 exec, exec, s[2:3]
	v_lshrrev_b32_e32 v9, 24, v9
	s_movk_i32 s2, 0x80
	v_and_or_b32 v9, v9, s2, v15
	global_store_byte v[6:7], v9, off
.LBB241_2004:
	s_mov_b64 s[2:3], 0
	s_mov_b64 s[6:7], -1
.LBB241_2005:
	s_andn2_b64 vcc, exec, s[2:3]
	s_mov_b64 s[2:3], 0
	s_cbranch_vccnz .LBB241_2012
; %bb.2006:
	s_cmp_gt_i32 s15, 14
	s_mov_b64 s[10:11], -1
	s_cbranch_scc0 .LBB241_2010
; %bb.2007:
	s_cmp_eq_u32 s15, 15
	s_mov_b64 s[0:1], -1
	s_cbranch_scc0 .LBB241_2009
; %bb.2008:
	v_cvt_f32_f16_e32 v9, v1
	s_movk_i32 s0, 0x7fff
	v_cmp_o_f16_e32 vcc, v1, v1
	v_mov_b32_e32 v15, 0x7fc0
	v_bfe_u32 v16, v9, 16, 1
	v_add3_u32 v9, v9, v16, s0
	v_cndmask_b32_sdwa v9, v15, v9, vcc dst_sel:DWORD dst_unused:UNUSED_PAD src0_sel:DWORD src1_sel:WORD_1
	global_store_short v[6:7], v9, off
	s_mov_b64 s[0:1], 0
	s_mov_b64 s[6:7], -1
.LBB241_2009:
	s_mov_b64 s[10:11], 0
.LBB241_2010:
	s_and_b64 vcc, exec, s[10:11]
	s_cbranch_vccz .LBB241_2012
; %bb.2011:
	s_cmp_lg_u32 s15, 11
	s_mov_b64 s[2:3], -1
	s_cselect_b64 s[0:1], -1, 0
.LBB241_2012:
	s_and_b64 vcc, exec, s[0:1]
	s_cbranch_vccnz .LBB241_2420
; %bb.2013:
	s_andn2_b64 vcc, exec, s[2:3]
	s_cbranch_vccnz .LBB241_2015
.LBB241_2014:
	v_and_b32_e32 v9, 0x7fff7fff, v3
	v_cmp_ne_u32_e32 vcc, 0, v9
	s_mov_b64 s[6:7], -1
	s_nop 0
	v_cndmask_b32_e64 v9, 0, 1, vcc
	global_store_byte v[6:7], v9, off
.LBB241_2015:
	s_mov_b64 s[0:1], 0
	s_branch .LBB241_2017
.LBB241_2016:
	s_mov_b64 s[0:1], -1
	s_mov_b64 s[6:7], 0
.LBB241_2017:
	s_and_b64 vcc, exec, s[0:1]
	s_cbranch_vccz .LBB241_2056
; %bb.2018:
	s_and_b32 s2, 0xffff, s14
	s_cmp_lt_i32 s2, 5
	s_mov_b64 s[0:1], -1
	s_cbranch_scc1 .LBB241_2039
; %bb.2019:
	s_cmp_lt_i32 s2, 8
	s_cbranch_scc1 .LBB241_2029
; %bb.2020:
	s_cmp_lt_i32 s2, 9
	s_cbranch_scc1 .LBB241_2026
; %bb.2021:
	v_cvt_f32_f16_e32 v9, v8
	s_cmp_gt_i32 s2, 9
	s_cbranch_scc0 .LBB241_2023
; %bb.2022:
	v_cvt_f32_f16_e32 v8, v1
	v_cvt_f64_f32_e32 v[18:19], v9
	s_mov_b64 s[0:1], 0
	v_cvt_f64_f32_e32 v[16:17], v8
	global_store_dwordx4 v[6:7], v[16:19], off
.LBB241_2023:
	s_andn2_b64 vcc, exec, s[0:1]
	s_cbranch_vccnz .LBB241_2025
; %bb.2024:
	v_cvt_f32_f16_e32 v8, v1
	global_store_dwordx2 v[6:7], v[8:9], off
.LBB241_2025:
	s_mov_b64 s[0:1], 0
.LBB241_2026:
	s_andn2_b64 vcc, exec, s[0:1]
	s_cbranch_vccnz .LBB241_2028
; %bb.2027:
	global_store_dword v[6:7], v3, off
.LBB241_2028:
	s_mov_b64 s[0:1], 0
.LBB241_2029:
	s_andn2_b64 vcc, exec, s[0:1]
	s_cbranch_vccnz .LBB241_2038
; %bb.2030:
	s_cmp_lt_i32 s2, 6
	s_mov_b64 s[0:1], -1
	s_cbranch_scc1 .LBB241_2036
; %bb.2031:
	s_cmp_gt_i32 s2, 6
	s_cbranch_scc0 .LBB241_2033
; %bb.2032:
	v_cvt_f32_f16_e32 v3, v1
	s_mov_b64 s[0:1], 0
	v_cvt_f64_f32_e32 v[8:9], v3
	global_store_dwordx2 v[6:7], v[8:9], off
.LBB241_2033:
	s_andn2_b64 vcc, exec, s[0:1]
	s_cbranch_vccnz .LBB241_2035
; %bb.2034:
	v_cvt_f32_f16_e32 v3, v1
	global_store_dword v[6:7], v3, off
.LBB241_2035:
	s_mov_b64 s[0:1], 0
.LBB241_2036:
	s_andn2_b64 vcc, exec, s[0:1]
	s_cbranch_vccnz .LBB241_2038
; %bb.2037:
	global_store_short v[6:7], v1, off
.LBB241_2038:
	s_mov_b64 s[0:1], 0
.LBB241_2039:
	s_andn2_b64 vcc, exec, s[0:1]
	s_cbranch_vccnz .LBB241_2055
; %bb.2040:
	s_cmp_lt_i32 s2, 2
	s_mov_b64 s[0:1], -1
	s_cbranch_scc1 .LBB241_2050
; %bb.2041:
	s_cmp_lt_i32 s2, 3
	s_cbranch_scc1 .LBB241_2047
; %bb.2042:
	s_cmp_gt_i32 s2, 3
	s_cbranch_scc0 .LBB241_2044
; %bb.2043:
	v_cvt_f32_f16_e32 v3, v1
	s_mov_b64 s[0:1], 0
	v_cvt_i32_f32_e32 v8, v3
	v_ashrrev_i32_e32 v9, 31, v8
	global_store_dwordx2 v[6:7], v[8:9], off
.LBB241_2044:
	s_andn2_b64 vcc, exec, s[0:1]
	s_cbranch_vccnz .LBB241_2046
; %bb.2045:
	v_cvt_f32_f16_e32 v3, v1
	v_cvt_i32_f32_e32 v3, v3
	global_store_dword v[6:7], v3, off
.LBB241_2046:
	s_mov_b64 s[0:1], 0
.LBB241_2047:
	s_andn2_b64 vcc, exec, s[0:1]
	s_cbranch_vccnz .LBB241_2049
; %bb.2048:
	v_cvt_i16_f16_e32 v3, v1
	global_store_short v[6:7], v3, off
.LBB241_2049:
	s_mov_b64 s[0:1], 0
.LBB241_2050:
	s_andn2_b64 vcc, exec, s[0:1]
	s_cbranch_vccnz .LBB241_2055
; %bb.2051:
	s_cmp_gt_i32 s2, 0
	s_mov_b64 s[0:1], -1
	s_cbranch_scc0 .LBB241_2053
; %bb.2052:
	v_cvt_i16_f16_e32 v3, v1
	global_store_byte v[6:7], v3, off
	s_mov_b64 s[0:1], 0
.LBB241_2053:
	s_andn2_b64 vcc, exec, s[0:1]
	s_cbranch_vccnz .LBB241_2055
; %bb.2054:
	v_cvt_f32_f16_e32 v1, v1
	v_cvt_i32_f32_e32 v1, v1
	global_store_byte v[6:7], v1, off
.LBB241_2055:
	s_mov_b64 s[6:7], -1
.LBB241_2056:
	s_andn2_b64 vcc, exec, s[6:7]
	s_cbranch_vccnz .LBB241_2371
; %bb.2057:
	v_cvt_f16_f32_e32 v6, v5
	v_cvt_f16_f32_e32 v1, v12
	s_lshr_b32 s0, s22, 8
	s_and_b32 s14, s0, 0xff
	v_lshlrev_b32_e32 v3, 16, v6
	v_mov_b32_e32 v5, 0
	v_or_b32_e32 v3, v3, v1
	s_cmp_lt_i32 s14, 11
	v_lshl_add_u64 v[4:5], s[4:5], 0, v[4:5]
	s_cbranch_scc1 .LBB241_2135
; %bb.2058:
	s_and_b32 s15, 0xffff, s14
	s_mov_b64 s[10:11], -1
	s_mov_b64 s[2:3], 0
	s_cmp_gt_i32 s15, 25
	s_mov_b64 s[6:7], 0
	s_mov_b64 s[0:1], 0
	s_cbranch_scc0 .LBB241_2091
; %bb.2059:
	s_cmp_gt_i32 s15, 28
	s_cbranch_scc0 .LBB241_2074
; %bb.2060:
	s_cmp_gt_i32 s15, 43
	;; [unrolled: 3-line block ×3, first 2 shown]
	s_cbranch_scc0 .LBB241_2064
; %bb.2062:
	s_mov_b64 s[0:1], -1
	s_mov_b64 s[10:11], 0
	s_cmp_eq_u32 s15, 46
	s_cbranch_scc0 .LBB241_2064
; %bb.2063:
	v_cvt_f32_f16_e32 v8, v6
	v_cvt_f32_f16_e32 v7, v1
	s_movk_i32 s0, 0x7fff
	v_cmp_o_f16_e32 vcc, v6, v6
	v_bfe_u32 v12, v8, 16, 1
	v_bfe_u32 v9, v7, 16, 1
	v_add3_u32 v8, v8, v12, s0
	v_add3_u32 v7, v7, v9, s0
	v_and_b32_e32 v8, 0xffff0000, v8
	v_mov_b32_e32 v9, 0x7fc00000
	v_cndmask_b32_e32 v8, v9, v8, vcc
	v_cmp_o_f16_e32 vcc, v1, v1
	v_mov_b32_e32 v9, 0x7fc0
	s_mov_b64 s[0:1], 0
	v_cndmask_b32_sdwa v7, v9, v7, vcc dst_sel:DWORD dst_unused:UNUSED_PAD src0_sel:DWORD src1_sel:WORD_1
	v_or_b32_e32 v7, v8, v7
	global_store_dword v[4:5], v7, off
	s_mov_b64 s[6:7], -1
.LBB241_2064:
	s_and_b64 vcc, exec, s[10:11]
	s_cbranch_vccz .LBB241_2069
; %bb.2065:
	s_cmp_eq_u32 s15, 44
	s_mov_b64 s[0:1], -1
	s_cbranch_scc0 .LBB241_2069
; %bb.2066:
	v_cvt_f32_f16_e32 v7, v1
	s_movk_i32 s0, 0xff
	v_mov_b32_e32 v9, 0xff
	v_bfe_u32 v8, v7, 23, 8
	v_cmp_ne_u32_e32 vcc, s0, v8
	s_and_saveexec_b64 s[6:7], vcc
; %bb.2067:
	s_mov_b32 s0, 0x3fffff
	v_lshrrev_b32_e32 v9, 23, v7
	v_and_b32_e32 v12, 0x400000, v7
	v_and_or_b32 v7, v7, s0, v8
	v_cmp_ne_u32_e32 vcc, 0, v12
	v_cmp_ne_u32_e64 s[0:1], 0, v7
	s_and_b64 s[0:1], vcc, s[0:1]
	s_nop 0
	v_cndmask_b32_e64 v7, 0, 1, s[0:1]
	v_add_u32_e32 v9, v9, v7
; %bb.2068:
	s_or_b64 exec, exec, s[6:7]
	s_mov_b64 s[0:1], 0
	s_mov_b64 s[6:7], -1
	global_store_byte v[4:5], v9, off
.LBB241_2069:
	s_mov_b64 s[10:11], 0
.LBB241_2070:
	s_and_b64 vcc, exec, s[10:11]
	s_cbranch_vccz .LBB241_2073
; %bb.2071:
	s_cmp_eq_u32 s15, 29
	s_mov_b64 s[0:1], -1
	s_cbranch_scc0 .LBB241_2073
; %bb.2072:
	v_cvt_f32_f16_e32 v7, v1
	v_mov_b32_e32 v9, 0
	s_mov_b64 s[0:1], 0
	s_mov_b64 s[6:7], -1
	v_cvt_u32_f32_e32 v8, v7
	global_store_dwordx2 v[4:5], v[8:9], off
.LBB241_2073:
	s_mov_b64 s[10:11], 0
.LBB241_2074:
	s_and_b64 vcc, exec, s[10:11]
	s_cbranch_vccz .LBB241_2090
; %bb.2075:
	s_cmp_lt_i32 s15, 27
	s_mov_b64 s[6:7], -1
	s_cbranch_scc1 .LBB241_2081
; %bb.2076:
	s_cmp_gt_i32 s15, 27
	s_cbranch_scc0 .LBB241_2078
; %bb.2077:
	v_cvt_f32_f16_e32 v7, v1
	s_mov_b64 s[6:7], 0
	v_cvt_u32_f32_e32 v7, v7
	global_store_dword v[4:5], v7, off
.LBB241_2078:
	s_andn2_b64 vcc, exec, s[6:7]
	s_cbranch_vccnz .LBB241_2080
; %bb.2079:
	v_cvt_u16_f16_e32 v7, v1
	global_store_short v[4:5], v7, off
.LBB241_2080:
	s_mov_b64 s[6:7], 0
.LBB241_2081:
	s_andn2_b64 vcc, exec, s[6:7]
	s_cbranch_vccnz .LBB241_2089
; %bb.2082:
	v_cvt_f32_f16_e32 v7, v1
	s_mov_b32 s6, 0x43800000
	v_mov_b32_e32 v9, 0x80
	v_and_b32_e32 v8, 0x7fffffff, v7
	v_cmp_gt_u32_e32 vcc, s6, v8
	s_and_saveexec_b64 s[6:7], vcc
	s_cbranch_execz .LBB241_2088
; %bb.2083:
	s_mov_b32 s10, 0x3bffffff
	v_cmp_lt_u32_e32 vcc, s10, v8
	s_mov_b64 s[10:11], 0
                                        ; implicit-def: $vgpr8
	s_and_saveexec_b64 s[12:13], vcc
	s_xor_b64 s[12:13], exec, s[12:13]
	s_cbranch_execz .LBB241_2423
; %bb.2084:
	v_bfe_u32 v8, v7, 20, 1
	s_mov_b32 s16, 0x487ffff
	v_add3_u32 v8, v7, v8, s16
	s_mov_b64 s[10:11], exec
	v_lshrrev_b32_e32 v8, 20, v8
	s_andn2_saveexec_b64 s[12:13], s[12:13]
	s_cbranch_execnz .LBB241_2424
.LBB241_2085:
	s_or_b64 exec, exec, s[12:13]
	v_mov_b32_e32 v9, 0
	s_and_saveexec_b64 s[12:13], s[10:11]
.LBB241_2086:
	v_lshrrev_b32_e32 v7, 24, v7
	s_movk_i32 s10, 0x80
	v_and_or_b32 v9, v7, s10, v8
.LBB241_2087:
	s_or_b64 exec, exec, s[12:13]
.LBB241_2088:
	s_or_b64 exec, exec, s[6:7]
	global_store_byte v[4:5], v9, off
.LBB241_2089:
	s_mov_b64 s[6:7], -1
.LBB241_2090:
	s_mov_b64 s[10:11], 0
.LBB241_2091:
	s_and_b64 vcc, exec, s[10:11]
	s_cbranch_vccz .LBB241_2131
; %bb.2092:
	s_cmp_gt_i32 s15, 22
	s_mov_b64 s[2:3], -1
	s_cbranch_scc0 .LBB241_2124
; %bb.2093:
	s_cmp_lt_i32 s15, 24
	s_cbranch_scc1 .LBB241_2113
; %bb.2094:
	s_cmp_gt_i32 s15, 24
	s_cbranch_scc0 .LBB241_2102
; %bb.2095:
	v_cvt_f32_f16_e32 v7, v1
	s_mov_b32 s2, 0x47800000
	v_mov_b32_e32 v9, 0x80
	v_and_b32_e32 v8, 0x7fffffff, v7
	v_cmp_gt_u32_e32 vcc, s2, v8
	s_and_saveexec_b64 s[2:3], vcc
	s_cbranch_execz .LBB241_2101
; %bb.2096:
	s_mov_b32 s6, 0x37ffffff
	v_cmp_lt_u32_e32 vcc, s6, v8
	s_mov_b64 s[6:7], 0
                                        ; implicit-def: $vgpr8
	s_and_saveexec_b64 s[10:11], vcc
	s_xor_b64 s[10:11], exec, s[10:11]
	s_cbranch_execz .LBB241_2426
; %bb.2097:
	v_bfe_u32 v8, v7, 21, 1
	s_mov_b32 s12, 0x88fffff
	v_add3_u32 v8, v7, v8, s12
	s_mov_b64 s[6:7], exec
	v_lshrrev_b32_e32 v8, 21, v8
	s_andn2_saveexec_b64 s[10:11], s[10:11]
	s_cbranch_execnz .LBB241_2427
.LBB241_2098:
	s_or_b64 exec, exec, s[10:11]
	v_mov_b32_e32 v9, 0
	s_and_saveexec_b64 s[10:11], s[6:7]
.LBB241_2099:
	v_lshrrev_b32_e32 v7, 24, v7
	s_movk_i32 s6, 0x80
	v_and_or_b32 v9, v7, s6, v8
.LBB241_2100:
	s_or_b64 exec, exec, s[10:11]
.LBB241_2101:
	s_or_b64 exec, exec, s[2:3]
	s_mov_b64 s[2:3], 0
	global_store_byte v[4:5], v9, off
.LBB241_2102:
	s_and_b64 vcc, exec, s[2:3]
	s_cbranch_vccz .LBB241_2112
; %bb.2103:
	v_cvt_f32_f16_e32 v7, v1
	s_mov_b32 s2, 0x43f00000
                                        ; implicit-def: $vgpr8
	v_and_b32_e32 v9, 0x7fffffff, v7
	v_cmp_gt_u32_e32 vcc, s2, v9
	s_and_saveexec_b64 s[2:3], vcc
	s_xor_b64 s[2:3], exec, s[2:3]
	s_cbranch_execz .LBB241_2109
; %bb.2104:
	s_mov_b32 s6, 0x3c7fffff
	v_cmp_lt_u32_e32 vcc, s6, v9
                                        ; implicit-def: $vgpr8
	s_and_saveexec_b64 s[6:7], vcc
	s_xor_b64 s[6:7], exec, s[6:7]
; %bb.2105:
	v_bfe_u32 v8, v7, 20, 1
	s_mov_b32 s10, 0x407ffff
	v_add3_u32 v8, v7, v8, s10
	v_lshrrev_b32_e32 v9, 20, v8
	v_and_b32_e32 v8, 0xff00000, v8
	s_mov_b32 s10, 0x7f00000
	v_mov_b32_e32 v12, 0x7e
	v_cmp_ne_u32_e32 vcc, s10, v8
	s_nop 1
	v_cndmask_b32_e32 v8, v12, v9, vcc
; %bb.2106:
	s_andn2_saveexec_b64 s[6:7], s[6:7]
; %bb.2107:
	s_mov_b32 s10, 0x46800000
	v_add_f32_e64 v8, |v7|, s10
; %bb.2108:
	s_or_b64 exec, exec, s[6:7]
                                        ; implicit-def: $vgpr9
.LBB241_2109:
	s_andn2_saveexec_b64 s[2:3], s[2:3]
; %bb.2110:
	s_mov_b32 s6, 0x7f800000
	v_mov_b32_e32 v8, 0x7e
	v_mov_b32_e32 v12, 0x7f
	v_cmp_lt_u32_e32 vcc, s6, v9
	s_nop 1
	v_cndmask_b32_e32 v8, v8, v12, vcc
; %bb.2111:
	s_or_b64 exec, exec, s[2:3]
	v_lshrrev_b32_e32 v7, 24, v7
	s_movk_i32 s2, 0x80
	v_and_or_b32 v7, v7, s2, v8
	global_store_byte v[4:5], v7, off
.LBB241_2112:
	s_mov_b64 s[2:3], 0
.LBB241_2113:
	s_andn2_b64 vcc, exec, s[2:3]
	s_cbranch_vccnz .LBB241_2123
; %bb.2114:
	v_cvt_f32_f16_e32 v7, v1
	s_mov_b32 s2, 0x47800000
                                        ; implicit-def: $vgpr8
	v_and_b32_e32 v9, 0x7fffffff, v7
	v_cmp_gt_u32_e32 vcc, s2, v9
	s_and_saveexec_b64 s[2:3], vcc
	s_xor_b64 s[2:3], exec, s[2:3]
	s_cbranch_execz .LBB241_2120
; %bb.2115:
	s_mov_b32 s6, 0x387fffff
	v_cmp_lt_u32_e32 vcc, s6, v9
                                        ; implicit-def: $vgpr8
	s_and_saveexec_b64 s[6:7], vcc
	s_xor_b64 s[6:7], exec, s[6:7]
; %bb.2116:
	v_bfe_u32 v8, v7, 21, 1
	s_mov_b32 s10, 0x80fffff
	v_add3_u32 v8, v7, v8, s10
	v_lshrrev_b32_e32 v8, 21, v8
; %bb.2117:
	s_andn2_saveexec_b64 s[6:7], s[6:7]
; %bb.2118:
	s_mov_b32 s10, 0x43000000
	v_add_f32_e64 v8, |v7|, s10
; %bb.2119:
	s_or_b64 exec, exec, s[6:7]
                                        ; implicit-def: $vgpr9
.LBB241_2120:
	s_andn2_saveexec_b64 s[2:3], s[2:3]
; %bb.2121:
	s_mov_b32 s6, 0x7f800000
	v_mov_b32_e32 v8, 0x7c
	v_mov_b32_e32 v12, 0x7f
	v_cmp_lt_u32_e32 vcc, s6, v9
	s_nop 1
	v_cndmask_b32_e32 v8, v8, v12, vcc
; %bb.2122:
	s_or_b64 exec, exec, s[2:3]
	v_lshrrev_b32_e32 v7, 24, v7
	s_movk_i32 s2, 0x80
	v_and_or_b32 v7, v7, s2, v8
	global_store_byte v[4:5], v7, off
.LBB241_2123:
	s_mov_b64 s[2:3], 0
	s_mov_b64 s[6:7], -1
.LBB241_2124:
	s_andn2_b64 vcc, exec, s[2:3]
	s_mov_b64 s[2:3], 0
	s_cbranch_vccnz .LBB241_2131
; %bb.2125:
	s_cmp_gt_i32 s15, 14
	s_mov_b64 s[10:11], -1
	s_cbranch_scc0 .LBB241_2129
; %bb.2126:
	s_cmp_eq_u32 s15, 15
	s_mov_b64 s[0:1], -1
	s_cbranch_scc0 .LBB241_2128
; %bb.2127:
	v_cvt_f32_f16_e32 v7, v1
	s_movk_i32 s0, 0x7fff
	v_cmp_o_f16_e32 vcc, v1, v1
	v_mov_b32_e32 v8, 0x7fc0
	v_bfe_u32 v9, v7, 16, 1
	v_add3_u32 v7, v7, v9, s0
	v_cndmask_b32_sdwa v7, v8, v7, vcc dst_sel:DWORD dst_unused:UNUSED_PAD src0_sel:DWORD src1_sel:WORD_1
	global_store_short v[4:5], v7, off
	s_mov_b64 s[0:1], 0
	s_mov_b64 s[6:7], -1
.LBB241_2128:
	s_mov_b64 s[10:11], 0
.LBB241_2129:
	s_and_b64 vcc, exec, s[10:11]
	s_cbranch_vccz .LBB241_2131
; %bb.2130:
	s_cmp_lg_u32 s15, 11
	s_mov_b64 s[2:3], -1
	s_cselect_b64 s[0:1], -1, 0
.LBB241_2131:
	s_and_b64 vcc, exec, s[0:1]
	s_cbranch_vccnz .LBB241_2425
; %bb.2132:
	s_andn2_b64 vcc, exec, s[2:3]
	s_cbranch_vccnz .LBB241_2134
.LBB241_2133:
	v_and_b32_e32 v7, 0x7fff7fff, v3
	v_cmp_ne_u32_e32 vcc, 0, v7
	s_mov_b64 s[6:7], -1
	s_nop 0
	v_cndmask_b32_e64 v7, 0, 1, vcc
	global_store_byte v[4:5], v7, off
.LBB241_2134:
	s_mov_b64 s[0:1], 0
	s_branch .LBB241_2136
.LBB241_2135:
	s_mov_b64 s[0:1], -1
	s_mov_b64 s[6:7], 0
.LBB241_2136:
	s_and_b64 vcc, exec, s[0:1]
	s_cbranch_vccz .LBB241_2175
; %bb.2137:
	s_and_b32 s2, 0xffff, s14
	s_cmp_lt_i32 s2, 5
	s_mov_b64 s[0:1], -1
	s_cbranch_scc1 .LBB241_2158
; %bb.2138:
	s_cmp_lt_i32 s2, 8
	s_cbranch_scc1 .LBB241_2148
; %bb.2139:
	s_cmp_lt_i32 s2, 9
	s_cbranch_scc1 .LBB241_2145
; %bb.2140:
	s_cmp_gt_i32 s2, 9
	s_cbranch_scc0 .LBB241_2142
; %bb.2141:
	v_cvt_f32_f16_e32 v7, v1
	v_cvt_f32_f16_e32 v8, v6
	s_mov_b64 s[0:1], 0
	v_cvt_f64_f32_e32 v[16:17], v7
	v_cvt_f64_f32_e32 v[18:19], v8
	global_store_dwordx4 v[4:5], v[16:19], off
.LBB241_2142:
	s_andn2_b64 vcc, exec, s[0:1]
	s_cbranch_vccnz .LBB241_2144
; %bb.2143:
	v_cvt_f32_f16_e32 v8, v1
	v_cvt_f32_f16_e32 v9, v6
	global_store_dwordx2 v[4:5], v[8:9], off
.LBB241_2144:
	s_mov_b64 s[0:1], 0
.LBB241_2145:
	s_andn2_b64 vcc, exec, s[0:1]
	s_cbranch_vccnz .LBB241_2147
; %bb.2146:
	global_store_dword v[4:5], v3, off
.LBB241_2147:
	s_mov_b64 s[0:1], 0
.LBB241_2148:
	s_andn2_b64 vcc, exec, s[0:1]
	s_cbranch_vccnz .LBB241_2157
; %bb.2149:
	s_cmp_lt_i32 s2, 6
	s_mov_b64 s[0:1], -1
	s_cbranch_scc1 .LBB241_2155
; %bb.2150:
	s_cmp_gt_i32 s2, 6
	s_cbranch_scc0 .LBB241_2152
; %bb.2151:
	v_cvt_f32_f16_e32 v3, v1
	s_mov_b64 s[0:1], 0
	v_cvt_f64_f32_e32 v[6:7], v3
	global_store_dwordx2 v[4:5], v[6:7], off
.LBB241_2152:
	s_andn2_b64 vcc, exec, s[0:1]
	s_cbranch_vccnz .LBB241_2154
; %bb.2153:
	v_cvt_f32_f16_e32 v3, v1
	global_store_dword v[4:5], v3, off
.LBB241_2154:
	s_mov_b64 s[0:1], 0
.LBB241_2155:
	s_andn2_b64 vcc, exec, s[0:1]
	s_cbranch_vccnz .LBB241_2157
; %bb.2156:
	global_store_short v[4:5], v1, off
.LBB241_2157:
	s_mov_b64 s[0:1], 0
.LBB241_2158:
	s_andn2_b64 vcc, exec, s[0:1]
	s_cbranch_vccnz .LBB241_2174
; %bb.2159:
	s_cmp_lt_i32 s2, 2
	s_mov_b64 s[0:1], -1
	s_cbranch_scc1 .LBB241_2169
; %bb.2160:
	s_cmp_lt_i32 s2, 3
	s_cbranch_scc1 .LBB241_2166
; %bb.2161:
	s_cmp_gt_i32 s2, 3
	s_cbranch_scc0 .LBB241_2163
; %bb.2162:
	v_cvt_f32_f16_e32 v3, v1
	s_mov_b64 s[0:1], 0
	v_cvt_i32_f32_e32 v6, v3
	v_ashrrev_i32_e32 v7, 31, v6
	global_store_dwordx2 v[4:5], v[6:7], off
.LBB241_2163:
	s_andn2_b64 vcc, exec, s[0:1]
	s_cbranch_vccnz .LBB241_2165
; %bb.2164:
	v_cvt_f32_f16_e32 v3, v1
	v_cvt_i32_f32_e32 v3, v3
	global_store_dword v[4:5], v3, off
.LBB241_2165:
	s_mov_b64 s[0:1], 0
.LBB241_2166:
	s_andn2_b64 vcc, exec, s[0:1]
	s_cbranch_vccnz .LBB241_2168
; %bb.2167:
	v_cvt_i16_f16_e32 v3, v1
	global_store_short v[4:5], v3, off
.LBB241_2168:
	s_mov_b64 s[0:1], 0
.LBB241_2169:
	s_andn2_b64 vcc, exec, s[0:1]
	s_cbranch_vccnz .LBB241_2174
; %bb.2170:
	s_cmp_gt_i32 s2, 0
	s_mov_b64 s[0:1], -1
	s_cbranch_scc0 .LBB241_2172
; %bb.2171:
	v_cvt_i16_f16_e32 v3, v1
	global_store_byte v[4:5], v3, off
	s_mov_b64 s[0:1], 0
.LBB241_2172:
	s_andn2_b64 vcc, exec, s[0:1]
	s_cbranch_vccnz .LBB241_2174
; %bb.2173:
	v_cvt_f32_f16_e32 v1, v1
	v_cvt_i32_f32_e32 v1, v1
	global_store_byte v[4:5], v1, off
.LBB241_2174:
	s_mov_b64 s[6:7], -1
.LBB241_2175:
	s_andn2_b64 vcc, exec, s[6:7]
	s_cbranch_vccnz .LBB241_2371
; %bb.2176:
	v_cvt_f16_f32_e32 v4, v10
	v_cvt_f16_f32_e32 v1, v11
	v_mov_b32_e32 v3, 0
	s_cmp_lt_i32 s14, 11
	v_lshlrev_b32_e32 v5, 16, v4
	v_or_b32_e32 v6, v5, v1
	v_lshl_add_u64 v[2:3], s[4:5], 0, v[2:3]
	s_cbranch_scc1 .LBB241_2254
; %bb.2177:
	s_and_b32 s15, 0xffff, s14
	s_mov_b64 s[10:11], -1
	s_mov_b64 s[2:3], 0
	s_cmp_gt_i32 s15, 25
	s_mov_b64 s[6:7], 0
	s_mov_b64 s[0:1], 0
	s_cbranch_scc0 .LBB241_2210
; %bb.2178:
	s_cmp_gt_i32 s15, 28
	s_cbranch_scc0 .LBB241_2193
; %bb.2179:
	s_cmp_gt_i32 s15, 43
	;; [unrolled: 3-line block ×3, first 2 shown]
	s_cbranch_scc0 .LBB241_2183
; %bb.2181:
	s_mov_b64 s[0:1], -1
	s_mov_b64 s[10:11], 0
	s_cmp_eq_u32 s15, 46
	s_cbranch_scc0 .LBB241_2183
; %bb.2182:
	v_cvt_f32_f16_e32 v7, v4
	v_cvt_f32_f16_e32 v5, v1
	s_movk_i32 s0, 0x7fff
	v_cmp_o_f16_e32 vcc, v4, v4
	v_bfe_u32 v9, v7, 16, 1
	v_bfe_u32 v8, v5, 16, 1
	v_add3_u32 v7, v7, v9, s0
	v_add3_u32 v5, v5, v8, s0
	v_and_b32_e32 v7, 0xffff0000, v7
	v_mov_b32_e32 v8, 0x7fc00000
	v_cndmask_b32_e32 v7, v8, v7, vcc
	v_cmp_o_f16_e32 vcc, v1, v1
	v_mov_b32_e32 v8, 0x7fc0
	s_mov_b64 s[0:1], 0
	v_cndmask_b32_sdwa v5, v8, v5, vcc dst_sel:DWORD dst_unused:UNUSED_PAD src0_sel:DWORD src1_sel:WORD_1
	v_or_b32_e32 v5, v7, v5
	global_store_dword v[2:3], v5, off
	s_mov_b64 s[6:7], -1
.LBB241_2183:
	s_and_b64 vcc, exec, s[10:11]
	s_cbranch_vccz .LBB241_2188
; %bb.2184:
	s_cmp_eq_u32 s15, 44
	s_mov_b64 s[0:1], -1
	s_cbranch_scc0 .LBB241_2188
; %bb.2185:
	v_cvt_f32_f16_e32 v5, v1
	s_movk_i32 s0, 0xff
	v_mov_b32_e32 v8, 0xff
	v_bfe_u32 v7, v5, 23, 8
	v_cmp_ne_u32_e32 vcc, s0, v7
	s_and_saveexec_b64 s[6:7], vcc
; %bb.2186:
	s_mov_b32 s0, 0x3fffff
	v_lshrrev_b32_e32 v8, 23, v5
	v_and_b32_e32 v9, 0x400000, v5
	v_and_or_b32 v5, v5, s0, v7
	v_cmp_ne_u32_e32 vcc, 0, v9
	v_cmp_ne_u32_e64 s[0:1], 0, v5
	s_and_b64 s[0:1], vcc, s[0:1]
	s_nop 0
	v_cndmask_b32_e64 v5, 0, 1, s[0:1]
	v_add_u32_e32 v8, v8, v5
; %bb.2187:
	s_or_b64 exec, exec, s[6:7]
	s_mov_b64 s[0:1], 0
	s_mov_b64 s[6:7], -1
	global_store_byte v[2:3], v8, off
.LBB241_2188:
	s_mov_b64 s[10:11], 0
.LBB241_2189:
	s_and_b64 vcc, exec, s[10:11]
	s_cbranch_vccz .LBB241_2192
; %bb.2190:
	s_cmp_eq_u32 s15, 29
	s_mov_b64 s[0:1], -1
	s_cbranch_scc0 .LBB241_2192
; %bb.2191:
	v_cvt_f32_f16_e32 v5, v1
	v_mov_b32_e32 v9, 0
	s_mov_b64 s[0:1], 0
	s_mov_b64 s[6:7], -1
	v_cvt_u32_f32_e32 v8, v5
	global_store_dwordx2 v[2:3], v[8:9], off
.LBB241_2192:
	s_mov_b64 s[10:11], 0
.LBB241_2193:
	s_and_b64 vcc, exec, s[10:11]
	s_cbranch_vccz .LBB241_2209
; %bb.2194:
	s_cmp_lt_i32 s15, 27
	s_mov_b64 s[6:7], -1
	s_cbranch_scc1 .LBB241_2200
; %bb.2195:
	s_cmp_gt_i32 s15, 27
	s_cbranch_scc0 .LBB241_2197
; %bb.2196:
	v_cvt_f32_f16_e32 v5, v1
	s_mov_b64 s[6:7], 0
	v_cvt_u32_f32_e32 v5, v5
	global_store_dword v[2:3], v5, off
.LBB241_2197:
	s_andn2_b64 vcc, exec, s[6:7]
	s_cbranch_vccnz .LBB241_2199
; %bb.2198:
	v_cvt_u16_f16_e32 v5, v1
	global_store_short v[2:3], v5, off
.LBB241_2199:
	s_mov_b64 s[6:7], 0
.LBB241_2200:
	s_andn2_b64 vcc, exec, s[6:7]
	s_cbranch_vccnz .LBB241_2208
; %bb.2201:
	v_cvt_f32_f16_e32 v5, v1
	s_mov_b32 s6, 0x43800000
	v_mov_b32_e32 v8, 0x80
	v_and_b32_e32 v7, 0x7fffffff, v5
	v_cmp_gt_u32_e32 vcc, s6, v7
	s_and_saveexec_b64 s[6:7], vcc
	s_cbranch_execz .LBB241_2207
; %bb.2202:
	s_mov_b32 s10, 0x3bffffff
	v_cmp_lt_u32_e32 vcc, s10, v7
	s_mov_b64 s[10:11], 0
                                        ; implicit-def: $vgpr7
	s_and_saveexec_b64 s[12:13], vcc
	s_xor_b64 s[12:13], exec, s[12:13]
	s_cbranch_execz .LBB241_2428
; %bb.2203:
	v_bfe_u32 v7, v5, 20, 1
	s_mov_b32 s16, 0x487ffff
	v_add3_u32 v7, v5, v7, s16
	s_mov_b64 s[10:11], exec
	v_lshrrev_b32_e32 v7, 20, v7
	s_andn2_saveexec_b64 s[12:13], s[12:13]
	s_cbranch_execnz .LBB241_2429
.LBB241_2204:
	s_or_b64 exec, exec, s[12:13]
	v_mov_b32_e32 v8, 0
	s_and_saveexec_b64 s[12:13], s[10:11]
.LBB241_2205:
	v_lshrrev_b32_e32 v5, 24, v5
	s_movk_i32 s10, 0x80
	v_and_or_b32 v8, v5, s10, v7
.LBB241_2206:
	s_or_b64 exec, exec, s[12:13]
.LBB241_2207:
	s_or_b64 exec, exec, s[6:7]
	global_store_byte v[2:3], v8, off
.LBB241_2208:
	s_mov_b64 s[6:7], -1
.LBB241_2209:
	s_mov_b64 s[10:11], 0
.LBB241_2210:
	s_and_b64 vcc, exec, s[10:11]
	s_cbranch_vccz .LBB241_2250
; %bb.2211:
	s_cmp_gt_i32 s15, 22
	s_mov_b64 s[2:3], -1
	s_cbranch_scc0 .LBB241_2243
; %bb.2212:
	s_cmp_lt_i32 s15, 24
	s_cbranch_scc1 .LBB241_2232
; %bb.2213:
	s_cmp_gt_i32 s15, 24
	s_cbranch_scc0 .LBB241_2221
; %bb.2214:
	v_cvt_f32_f16_e32 v5, v1
	s_mov_b32 s2, 0x47800000
	v_mov_b32_e32 v8, 0x80
	v_and_b32_e32 v7, 0x7fffffff, v5
	v_cmp_gt_u32_e32 vcc, s2, v7
	s_and_saveexec_b64 s[2:3], vcc
	s_cbranch_execz .LBB241_2220
; %bb.2215:
	s_mov_b32 s6, 0x37ffffff
	v_cmp_lt_u32_e32 vcc, s6, v7
	s_mov_b64 s[6:7], 0
                                        ; implicit-def: $vgpr7
	s_and_saveexec_b64 s[10:11], vcc
	s_xor_b64 s[10:11], exec, s[10:11]
	s_cbranch_execz .LBB241_2431
; %bb.2216:
	v_bfe_u32 v7, v5, 21, 1
	s_mov_b32 s12, 0x88fffff
	v_add3_u32 v7, v5, v7, s12
	s_mov_b64 s[6:7], exec
	v_lshrrev_b32_e32 v7, 21, v7
	s_andn2_saveexec_b64 s[10:11], s[10:11]
	s_cbranch_execnz .LBB241_2432
.LBB241_2217:
	s_or_b64 exec, exec, s[10:11]
	v_mov_b32_e32 v8, 0
	s_and_saveexec_b64 s[10:11], s[6:7]
.LBB241_2218:
	v_lshrrev_b32_e32 v5, 24, v5
	s_movk_i32 s6, 0x80
	v_and_or_b32 v8, v5, s6, v7
.LBB241_2219:
	s_or_b64 exec, exec, s[10:11]
.LBB241_2220:
	s_or_b64 exec, exec, s[2:3]
	s_mov_b64 s[2:3], 0
	global_store_byte v[2:3], v8, off
.LBB241_2221:
	s_and_b64 vcc, exec, s[2:3]
	s_cbranch_vccz .LBB241_2231
; %bb.2222:
	v_cvt_f32_f16_e32 v5, v1
	s_mov_b32 s2, 0x43f00000
                                        ; implicit-def: $vgpr7
	v_and_b32_e32 v8, 0x7fffffff, v5
	v_cmp_gt_u32_e32 vcc, s2, v8
	s_and_saveexec_b64 s[2:3], vcc
	s_xor_b64 s[2:3], exec, s[2:3]
	s_cbranch_execz .LBB241_2228
; %bb.2223:
	s_mov_b32 s6, 0x3c7fffff
	v_cmp_lt_u32_e32 vcc, s6, v8
                                        ; implicit-def: $vgpr7
	s_and_saveexec_b64 s[6:7], vcc
	s_xor_b64 s[6:7], exec, s[6:7]
; %bb.2224:
	v_bfe_u32 v7, v5, 20, 1
	s_mov_b32 s10, 0x407ffff
	v_add3_u32 v7, v5, v7, s10
	v_lshrrev_b32_e32 v8, 20, v7
	v_and_b32_e32 v7, 0xff00000, v7
	s_mov_b32 s10, 0x7f00000
	v_mov_b32_e32 v9, 0x7e
	v_cmp_ne_u32_e32 vcc, s10, v7
	s_nop 1
	v_cndmask_b32_e32 v7, v9, v8, vcc
; %bb.2225:
	s_andn2_saveexec_b64 s[6:7], s[6:7]
; %bb.2226:
	s_mov_b32 s10, 0x46800000
	v_add_f32_e64 v7, |v5|, s10
; %bb.2227:
	s_or_b64 exec, exec, s[6:7]
                                        ; implicit-def: $vgpr8
.LBB241_2228:
	s_andn2_saveexec_b64 s[2:3], s[2:3]
; %bb.2229:
	s_mov_b32 s6, 0x7f800000
	v_mov_b32_e32 v7, 0x7e
	v_mov_b32_e32 v9, 0x7f
	v_cmp_lt_u32_e32 vcc, s6, v8
	s_nop 1
	v_cndmask_b32_e32 v7, v7, v9, vcc
; %bb.2230:
	s_or_b64 exec, exec, s[2:3]
	v_lshrrev_b32_e32 v5, 24, v5
	s_movk_i32 s2, 0x80
	v_and_or_b32 v5, v5, s2, v7
	global_store_byte v[2:3], v5, off
.LBB241_2231:
	s_mov_b64 s[2:3], 0
.LBB241_2232:
	s_andn2_b64 vcc, exec, s[2:3]
	s_cbranch_vccnz .LBB241_2242
; %bb.2233:
	v_cvt_f32_f16_e32 v5, v1
	s_mov_b32 s2, 0x47800000
                                        ; implicit-def: $vgpr7
	v_and_b32_e32 v8, 0x7fffffff, v5
	v_cmp_gt_u32_e32 vcc, s2, v8
	s_and_saveexec_b64 s[2:3], vcc
	s_xor_b64 s[2:3], exec, s[2:3]
	s_cbranch_execz .LBB241_2239
; %bb.2234:
	s_mov_b32 s6, 0x387fffff
	v_cmp_lt_u32_e32 vcc, s6, v8
                                        ; implicit-def: $vgpr7
	s_and_saveexec_b64 s[6:7], vcc
	s_xor_b64 s[6:7], exec, s[6:7]
; %bb.2235:
	v_bfe_u32 v7, v5, 21, 1
	s_mov_b32 s10, 0x80fffff
	v_add3_u32 v7, v5, v7, s10
	v_lshrrev_b32_e32 v7, 21, v7
; %bb.2236:
	s_andn2_saveexec_b64 s[6:7], s[6:7]
; %bb.2237:
	s_mov_b32 s10, 0x43000000
	v_add_f32_e64 v7, |v5|, s10
; %bb.2238:
	s_or_b64 exec, exec, s[6:7]
                                        ; implicit-def: $vgpr8
.LBB241_2239:
	s_andn2_saveexec_b64 s[2:3], s[2:3]
; %bb.2240:
	s_mov_b32 s6, 0x7f800000
	v_mov_b32_e32 v7, 0x7c
	v_mov_b32_e32 v9, 0x7f
	v_cmp_lt_u32_e32 vcc, s6, v8
	s_nop 1
	v_cndmask_b32_e32 v7, v7, v9, vcc
; %bb.2241:
	s_or_b64 exec, exec, s[2:3]
	v_lshrrev_b32_e32 v5, 24, v5
	s_movk_i32 s2, 0x80
	v_and_or_b32 v5, v5, s2, v7
	global_store_byte v[2:3], v5, off
.LBB241_2242:
	s_mov_b64 s[2:3], 0
	s_mov_b64 s[6:7], -1
.LBB241_2243:
	s_andn2_b64 vcc, exec, s[2:3]
	s_mov_b64 s[2:3], 0
	s_cbranch_vccnz .LBB241_2250
; %bb.2244:
	s_cmp_gt_i32 s15, 14
	s_mov_b64 s[10:11], -1
	s_cbranch_scc0 .LBB241_2248
; %bb.2245:
	s_cmp_eq_u32 s15, 15
	s_mov_b64 s[0:1], -1
	s_cbranch_scc0 .LBB241_2247
; %bb.2246:
	v_cvt_f32_f16_e32 v5, v1
	s_movk_i32 s0, 0x7fff
	v_cmp_o_f16_e32 vcc, v1, v1
	v_mov_b32_e32 v7, 0x7fc0
	v_bfe_u32 v8, v5, 16, 1
	v_add3_u32 v5, v5, v8, s0
	v_cndmask_b32_sdwa v5, v7, v5, vcc dst_sel:DWORD dst_unused:UNUSED_PAD src0_sel:DWORD src1_sel:WORD_1
	global_store_short v[2:3], v5, off
	s_mov_b64 s[0:1], 0
	s_mov_b64 s[6:7], -1
.LBB241_2247:
	s_mov_b64 s[10:11], 0
.LBB241_2248:
	s_and_b64 vcc, exec, s[10:11]
	s_cbranch_vccz .LBB241_2250
; %bb.2249:
	s_cmp_lg_u32 s15, 11
	s_mov_b64 s[2:3], -1
	s_cselect_b64 s[0:1], -1, 0
.LBB241_2250:
	s_and_b64 vcc, exec, s[0:1]
	s_cbranch_vccnz .LBB241_2430
; %bb.2251:
	s_andn2_b64 vcc, exec, s[2:3]
	s_cbranch_vccnz .LBB241_2253
.LBB241_2252:
	v_and_b32_e32 v5, 0x7fff7fff, v6
	v_cmp_ne_u32_e32 vcc, 0, v5
	s_mov_b64 s[6:7], -1
	s_nop 0
	v_cndmask_b32_e64 v5, 0, 1, vcc
	global_store_byte v[2:3], v5, off
.LBB241_2253:
	s_mov_b64 s[0:1], 0
	s_branch .LBB241_2255
.LBB241_2254:
	s_mov_b64 s[0:1], -1
	s_mov_b64 s[6:7], 0
.LBB241_2255:
	s_and_b64 vcc, exec, s[0:1]
	s_cbranch_vccz .LBB241_2294
; %bb.2256:
	s_and_b32 s2, 0xffff, s14
	s_cmp_lt_i32 s2, 5
	s_mov_b64 s[0:1], -1
	s_cbranch_scc1 .LBB241_2277
; %bb.2257:
	s_cmp_lt_i32 s2, 8
	s_cbranch_scc1 .LBB241_2267
; %bb.2258:
	s_cmp_lt_i32 s2, 9
	s_cbranch_scc1 .LBB241_2264
; %bb.2259:
	v_cvt_f32_f16_e32 v5, v4
	s_cmp_gt_i32 s2, 9
	s_cbranch_scc0 .LBB241_2261
; %bb.2260:
	v_cvt_f32_f16_e32 v4, v1
	v_cvt_f64_f32_e32 v[10:11], v5
	s_mov_b64 s[0:1], 0
	v_cvt_f64_f32_e32 v[8:9], v4
	global_store_dwordx4 v[2:3], v[8:11], off
.LBB241_2261:
	s_andn2_b64 vcc, exec, s[0:1]
	s_cbranch_vccnz .LBB241_2263
; %bb.2262:
	v_cvt_f32_f16_e32 v4, v1
	global_store_dwordx2 v[2:3], v[4:5], off
.LBB241_2263:
	s_mov_b64 s[0:1], 0
.LBB241_2264:
	s_andn2_b64 vcc, exec, s[0:1]
	s_cbranch_vccnz .LBB241_2266
; %bb.2265:
	global_store_dword v[2:3], v6, off
.LBB241_2266:
	s_mov_b64 s[0:1], 0
.LBB241_2267:
	s_andn2_b64 vcc, exec, s[0:1]
	s_cbranch_vccnz .LBB241_2276
; %bb.2268:
	s_cmp_lt_i32 s2, 6
	s_mov_b64 s[0:1], -1
	s_cbranch_scc1 .LBB241_2274
; %bb.2269:
	s_cmp_gt_i32 s2, 6
	s_cbranch_scc0 .LBB241_2271
; %bb.2270:
	v_cvt_f32_f16_e32 v4, v1
	s_mov_b64 s[0:1], 0
	v_cvt_f64_f32_e32 v[4:5], v4
	global_store_dwordx2 v[2:3], v[4:5], off
.LBB241_2271:
	s_andn2_b64 vcc, exec, s[0:1]
	s_cbranch_vccnz .LBB241_2273
; %bb.2272:
	v_cvt_f32_f16_e32 v4, v1
	global_store_dword v[2:3], v4, off
.LBB241_2273:
	s_mov_b64 s[0:1], 0
.LBB241_2274:
	s_andn2_b64 vcc, exec, s[0:1]
	s_cbranch_vccnz .LBB241_2276
; %bb.2275:
	global_store_short v[2:3], v1, off
.LBB241_2276:
	s_mov_b64 s[0:1], 0
.LBB241_2277:
	s_andn2_b64 vcc, exec, s[0:1]
	s_cbranch_vccnz .LBB241_2293
; %bb.2278:
	s_cmp_lt_i32 s2, 2
	s_mov_b64 s[0:1], -1
	s_cbranch_scc1 .LBB241_2288
; %bb.2279:
	s_cmp_lt_i32 s2, 3
	s_cbranch_scc1 .LBB241_2285
; %bb.2280:
	s_cmp_gt_i32 s2, 3
	s_cbranch_scc0 .LBB241_2282
; %bb.2281:
	v_cvt_f32_f16_e32 v4, v1
	s_mov_b64 s[0:1], 0
	v_cvt_i32_f32_e32 v4, v4
	v_ashrrev_i32_e32 v5, 31, v4
	global_store_dwordx2 v[2:3], v[4:5], off
.LBB241_2282:
	s_andn2_b64 vcc, exec, s[0:1]
	s_cbranch_vccnz .LBB241_2284
; %bb.2283:
	v_cvt_f32_f16_e32 v4, v1
	v_cvt_i32_f32_e32 v4, v4
	global_store_dword v[2:3], v4, off
.LBB241_2284:
	s_mov_b64 s[0:1], 0
.LBB241_2285:
	s_andn2_b64 vcc, exec, s[0:1]
	s_cbranch_vccnz .LBB241_2287
; %bb.2286:
	v_cvt_i16_f16_e32 v4, v1
	global_store_short v[2:3], v4, off
.LBB241_2287:
	s_mov_b64 s[0:1], 0
.LBB241_2288:
	s_andn2_b64 vcc, exec, s[0:1]
	s_cbranch_vccnz .LBB241_2293
; %bb.2289:
	s_cmp_gt_i32 s2, 0
	s_mov_b64 s[0:1], -1
	s_cbranch_scc0 .LBB241_2291
; %bb.2290:
	v_cvt_i16_f16_e32 v4, v1
	global_store_byte v[2:3], v4, off
	s_mov_b64 s[0:1], 0
.LBB241_2291:
	s_andn2_b64 vcc, exec, s[0:1]
	s_cbranch_vccnz .LBB241_2293
; %bb.2292:
	v_cvt_f32_f16_e32 v1, v1
	v_cvt_i32_f32_e32 v1, v1
	global_store_byte v[2:3], v1, off
.LBB241_2293:
	s_mov_b64 s[6:7], -1
.LBB241_2294:
	s_andn2_b64 vcc, exec, s[6:7]
	s_cbranch_vccnz .LBB241_2371
; %bb.2295:
	v_cvt_f16_f32_e32 v3, v13
	v_cvt_f16_f32_e32 v2, v14
	v_mov_b32_e32 v1, 0
	s_cmp_lt_i32 s14, 11
	v_lshlrev_b32_e32 v4, 16, v3
	v_lshl_add_u64 v[0:1], s[4:5], 0, v[0:1]
	s_cbranch_scc1 .LBB241_2416
; %bb.2296:
	s_and_b32 s12, 0xffff, s14
	s_mov_b64 s[4:5], -1
	s_mov_b64 s[2:3], 0
	s_cmp_gt_i32 s12, 25
	s_mov_b64 s[0:1], 0
	s_cbranch_scc0 .LBB241_2329
; %bb.2297:
	s_cmp_gt_i32 s12, 28
	s_cbranch_scc0 .LBB241_2313
; %bb.2298:
	s_cmp_gt_i32 s12, 43
	;; [unrolled: 3-line block ×3, first 2 shown]
	s_cbranch_scc0 .LBB241_2303
; %bb.2300:
	s_cmp_eq_u32 s12, 46
	s_mov_b64 s[0:1], -1
	s_cbranch_scc0 .LBB241_2302
; %bb.2301:
	v_cvt_f32_f16_e32 v6, v3
	v_cvt_f32_f16_e32 v5, v2
	s_movk_i32 s0, 0x7fff
	v_cmp_o_f16_e32 vcc, v3, v3
	v_bfe_u32 v8, v6, 16, 1
	v_bfe_u32 v7, v5, 16, 1
	v_add3_u32 v6, v6, v8, s0
	v_add3_u32 v5, v5, v7, s0
	v_and_b32_e32 v6, 0xffff0000, v6
	v_mov_b32_e32 v7, 0x7fc00000
	v_cndmask_b32_e32 v6, v7, v6, vcc
	v_cmp_o_f16_e32 vcc, v2, v2
	v_mov_b32_e32 v7, 0x7fc0
	s_mov_b64 s[0:1], 0
	v_cndmask_b32_sdwa v5, v7, v5, vcc dst_sel:DWORD dst_unused:UNUSED_PAD src0_sel:DWORD src1_sel:WORD_1
	v_or_b32_e32 v5, v6, v5
	global_store_dword v[0:1], v5, off
.LBB241_2302:
	s_mov_b64 s[4:5], 0
.LBB241_2303:
	s_and_b64 vcc, exec, s[4:5]
	s_cbranch_vccz .LBB241_2308
; %bb.2304:
	s_cmp_eq_u32 s12, 44
	s_mov_b64 s[0:1], -1
	s_cbranch_scc0 .LBB241_2308
; %bb.2305:
	v_cvt_f32_f16_e32 v5, v2
	s_movk_i32 s0, 0xff
	v_mov_b32_e32 v7, 0xff
	v_bfe_u32 v6, v5, 23, 8
	v_cmp_ne_u32_e32 vcc, s0, v6
	s_and_saveexec_b64 s[4:5], vcc
; %bb.2306:
	s_mov_b32 s0, 0x3fffff
	v_lshrrev_b32_e32 v7, 23, v5
	v_and_b32_e32 v8, 0x400000, v5
	v_and_or_b32 v5, v5, s0, v6
	v_cmp_ne_u32_e32 vcc, 0, v8
	v_cmp_ne_u32_e64 s[0:1], 0, v5
	s_and_b64 s[0:1], vcc, s[0:1]
	s_nop 0
	v_cndmask_b32_e64 v5, 0, 1, s[0:1]
	v_add_u32_e32 v7, v7, v5
; %bb.2307:
	s_or_b64 exec, exec, s[4:5]
	s_mov_b64 s[0:1], 0
	global_store_byte v[0:1], v7, off
.LBB241_2308:
	s_mov_b64 s[4:5], 0
.LBB241_2309:
	s_and_b64 vcc, exec, s[4:5]
	s_cbranch_vccz .LBB241_2312
; %bb.2310:
	s_cmp_eq_u32 s12, 29
	s_mov_b64 s[0:1], -1
	s_cbranch_scc0 .LBB241_2312
; %bb.2311:
	v_cvt_f32_f16_e32 v5, v2
	v_mov_b32_e32 v7, 0
	s_mov_b64 s[0:1], 0
	v_cvt_u32_f32_e32 v6, v5
	global_store_dwordx2 v[0:1], v[6:7], off
.LBB241_2312:
	s_mov_b64 s[4:5], 0
.LBB241_2313:
	s_and_b64 vcc, exec, s[4:5]
	s_cbranch_vccz .LBB241_2328
; %bb.2314:
	s_cmp_lt_i32 s12, 27
	s_mov_b64 s[4:5], -1
	s_cbranch_scc1 .LBB241_2320
; %bb.2315:
	s_cmp_gt_i32 s12, 27
	s_cbranch_scc0 .LBB241_2317
; %bb.2316:
	v_cvt_f32_f16_e32 v5, v2
	s_mov_b64 s[4:5], 0
	v_cvt_u32_f32_e32 v5, v5
	global_store_dword v[0:1], v5, off
.LBB241_2317:
	s_andn2_b64 vcc, exec, s[4:5]
	s_cbranch_vccnz .LBB241_2319
; %bb.2318:
	v_cvt_u16_f16_e32 v5, v2
	global_store_short v[0:1], v5, off
.LBB241_2319:
	s_mov_b64 s[4:5], 0
.LBB241_2320:
	s_andn2_b64 vcc, exec, s[4:5]
	s_cbranch_vccnz .LBB241_2328
; %bb.2321:
	v_cvt_f32_f16_e32 v5, v2
	s_mov_b32 s4, 0x43800000
	v_mov_b32_e32 v7, 0x80
	v_and_b32_e32 v6, 0x7fffffff, v5
	v_cmp_gt_u32_e32 vcc, s4, v6
	s_and_saveexec_b64 s[4:5], vcc
	s_cbranch_execz .LBB241_2327
; %bb.2322:
	s_mov_b32 s6, 0x3bffffff
	v_cmp_lt_u32_e32 vcc, s6, v6
	s_mov_b64 s[6:7], 0
                                        ; implicit-def: $vgpr6
	s_and_saveexec_b64 s[10:11], vcc
	s_xor_b64 s[10:11], exec, s[10:11]
	s_cbranch_execz .LBB241_2433
; %bb.2323:
	v_bfe_u32 v6, v5, 20, 1
	s_mov_b32 s13, 0x487ffff
	v_add3_u32 v6, v5, v6, s13
	s_mov_b64 s[6:7], exec
	v_lshrrev_b32_e32 v6, 20, v6
	s_andn2_saveexec_b64 s[10:11], s[10:11]
	s_cbranch_execnz .LBB241_2434
.LBB241_2324:
	s_or_b64 exec, exec, s[10:11]
	v_mov_b32_e32 v7, 0
	s_and_saveexec_b64 s[10:11], s[6:7]
.LBB241_2325:
	v_lshrrev_b32_e32 v5, 24, v5
	s_movk_i32 s6, 0x80
	v_and_or_b32 v7, v5, s6, v6
.LBB241_2326:
	s_or_b64 exec, exec, s[10:11]
.LBB241_2327:
	s_or_b64 exec, exec, s[4:5]
	global_store_byte v[0:1], v7, off
.LBB241_2328:
	s_mov_b64 s[4:5], 0
.LBB241_2329:
	s_and_b64 vcc, exec, s[4:5]
	s_cbranch_vccz .LBB241_2369
; %bb.2330:
	s_cmp_gt_i32 s12, 22
	s_mov_b64 s[2:3], -1
	s_cbranch_scc0 .LBB241_2362
; %bb.2331:
	s_cmp_lt_i32 s12, 24
	s_cbranch_scc1 .LBB241_2351
; %bb.2332:
	s_cmp_gt_i32 s12, 24
	s_cbranch_scc0 .LBB241_2340
; %bb.2333:
	v_cvt_f32_f16_e32 v5, v2
	s_mov_b32 s2, 0x47800000
	v_mov_b32_e32 v7, 0x80
	v_and_b32_e32 v6, 0x7fffffff, v5
	v_cmp_gt_u32_e32 vcc, s2, v6
	s_and_saveexec_b64 s[2:3], vcc
	s_cbranch_execz .LBB241_2339
; %bb.2334:
	s_mov_b32 s4, 0x37ffffff
	v_cmp_lt_u32_e32 vcc, s4, v6
	s_mov_b64 s[4:5], 0
                                        ; implicit-def: $vgpr6
	s_and_saveexec_b64 s[6:7], vcc
	s_xor_b64 s[6:7], exec, s[6:7]
	s_cbranch_execz .LBB241_2436
; %bb.2335:
	v_bfe_u32 v6, v5, 21, 1
	s_mov_b32 s10, 0x88fffff
	v_add3_u32 v6, v5, v6, s10
	s_mov_b64 s[4:5], exec
	v_lshrrev_b32_e32 v6, 21, v6
	s_andn2_saveexec_b64 s[6:7], s[6:7]
	s_cbranch_execnz .LBB241_2437
.LBB241_2336:
	s_or_b64 exec, exec, s[6:7]
	v_mov_b32_e32 v7, 0
	s_and_saveexec_b64 s[6:7], s[4:5]
.LBB241_2337:
	v_lshrrev_b32_e32 v5, 24, v5
	s_movk_i32 s4, 0x80
	v_and_or_b32 v7, v5, s4, v6
.LBB241_2338:
	s_or_b64 exec, exec, s[6:7]
.LBB241_2339:
	s_or_b64 exec, exec, s[2:3]
	s_mov_b64 s[2:3], 0
	global_store_byte v[0:1], v7, off
.LBB241_2340:
	s_and_b64 vcc, exec, s[2:3]
	s_cbranch_vccz .LBB241_2350
; %bb.2341:
	v_cvt_f32_f16_e32 v5, v2
	s_mov_b32 s2, 0x43f00000
                                        ; implicit-def: $vgpr6
	v_and_b32_e32 v7, 0x7fffffff, v5
	v_cmp_gt_u32_e32 vcc, s2, v7
	s_and_saveexec_b64 s[2:3], vcc
	s_xor_b64 s[2:3], exec, s[2:3]
	s_cbranch_execz .LBB241_2347
; %bb.2342:
	s_mov_b32 s4, 0x3c7fffff
	v_cmp_lt_u32_e32 vcc, s4, v7
                                        ; implicit-def: $vgpr6
	s_and_saveexec_b64 s[4:5], vcc
	s_xor_b64 s[4:5], exec, s[4:5]
; %bb.2343:
	v_bfe_u32 v6, v5, 20, 1
	s_mov_b32 s6, 0x407ffff
	v_add3_u32 v6, v5, v6, s6
	v_lshrrev_b32_e32 v7, 20, v6
	v_and_b32_e32 v6, 0xff00000, v6
	s_mov_b32 s6, 0x7f00000
	v_mov_b32_e32 v8, 0x7e
	v_cmp_ne_u32_e32 vcc, s6, v6
	s_nop 1
	v_cndmask_b32_e32 v6, v8, v7, vcc
; %bb.2344:
	s_andn2_saveexec_b64 s[4:5], s[4:5]
; %bb.2345:
	s_mov_b32 s6, 0x46800000
	v_add_f32_e64 v6, |v5|, s6
; %bb.2346:
	s_or_b64 exec, exec, s[4:5]
                                        ; implicit-def: $vgpr7
.LBB241_2347:
	s_andn2_saveexec_b64 s[2:3], s[2:3]
; %bb.2348:
	s_mov_b32 s4, 0x7f800000
	v_mov_b32_e32 v6, 0x7e
	v_mov_b32_e32 v8, 0x7f
	v_cmp_lt_u32_e32 vcc, s4, v7
	s_nop 1
	v_cndmask_b32_e32 v6, v6, v8, vcc
; %bb.2349:
	s_or_b64 exec, exec, s[2:3]
	v_lshrrev_b32_e32 v5, 24, v5
	s_movk_i32 s2, 0x80
	v_and_or_b32 v5, v5, s2, v6
	global_store_byte v[0:1], v5, off
.LBB241_2350:
	s_mov_b64 s[2:3], 0
.LBB241_2351:
	s_andn2_b64 vcc, exec, s[2:3]
	s_cbranch_vccnz .LBB241_2361
; %bb.2352:
	v_cvt_f32_f16_e32 v5, v2
	s_mov_b32 s2, 0x47800000
                                        ; implicit-def: $vgpr6
	v_and_b32_e32 v7, 0x7fffffff, v5
	v_cmp_gt_u32_e32 vcc, s2, v7
	s_and_saveexec_b64 s[2:3], vcc
	s_xor_b64 s[2:3], exec, s[2:3]
	s_cbranch_execz .LBB241_2358
; %bb.2353:
	s_mov_b32 s4, 0x387fffff
	v_cmp_lt_u32_e32 vcc, s4, v7
                                        ; implicit-def: $vgpr6
	s_and_saveexec_b64 s[4:5], vcc
	s_xor_b64 s[4:5], exec, s[4:5]
; %bb.2354:
	v_bfe_u32 v6, v5, 21, 1
	s_mov_b32 s6, 0x80fffff
	v_add3_u32 v6, v5, v6, s6
	v_lshrrev_b32_e32 v6, 21, v6
; %bb.2355:
	s_andn2_saveexec_b64 s[4:5], s[4:5]
; %bb.2356:
	s_mov_b32 s6, 0x43000000
	v_add_f32_e64 v6, |v5|, s6
; %bb.2357:
	s_or_b64 exec, exec, s[4:5]
                                        ; implicit-def: $vgpr7
.LBB241_2358:
	s_andn2_saveexec_b64 s[2:3], s[2:3]
; %bb.2359:
	s_mov_b32 s4, 0x7f800000
	v_mov_b32_e32 v6, 0x7c
	v_mov_b32_e32 v8, 0x7f
	v_cmp_lt_u32_e32 vcc, s4, v7
	s_nop 1
	v_cndmask_b32_e32 v6, v6, v8, vcc
; %bb.2360:
	s_or_b64 exec, exec, s[2:3]
	v_lshrrev_b32_e32 v5, 24, v5
	s_movk_i32 s2, 0x80
	v_and_or_b32 v5, v5, s2, v6
	global_store_byte v[0:1], v5, off
.LBB241_2361:
	s_mov_b64 s[2:3], 0
.LBB241_2362:
	s_andn2_b64 vcc, exec, s[2:3]
	s_mov_b64 s[2:3], 0
	s_cbranch_vccnz .LBB241_2369
; %bb.2363:
	s_cmp_gt_i32 s12, 14
	s_mov_b64 s[4:5], -1
	s_cbranch_scc0 .LBB241_2367
; %bb.2364:
	s_cmp_eq_u32 s12, 15
	s_mov_b64 s[0:1], -1
	s_cbranch_scc0 .LBB241_2366
; %bb.2365:
	v_cvt_f32_f16_e32 v5, v2
	s_movk_i32 s0, 0x7fff
	v_cmp_o_f16_e32 vcc, v2, v2
	v_mov_b32_e32 v6, 0x7fc0
	v_bfe_u32 v7, v5, 16, 1
	v_add3_u32 v5, v5, v7, s0
	v_cndmask_b32_sdwa v5, v6, v5, vcc dst_sel:DWORD dst_unused:UNUSED_PAD src0_sel:DWORD src1_sel:WORD_1
	global_store_short v[0:1], v5, off
	s_mov_b64 s[0:1], 0
.LBB241_2366:
	s_mov_b64 s[4:5], 0
.LBB241_2367:
	s_and_b64 vcc, exec, s[4:5]
	s_cbranch_vccz .LBB241_2369
; %bb.2368:
	s_cmp_lg_u32 s12, 11
	s_mov_b64 s[2:3], -1
	s_cselect_b64 s[0:1], -1, 0
.LBB241_2369:
	s_and_b64 vcc, exec, s[0:1]
	s_cbranch_vccnz .LBB241_2435
.LBB241_2370:
	s_mov_b64 s[0:1], 0
	s_branch .LBB241_2417
.LBB241_2371:
	s_mov_b64 s[0:1], 0
	s_mov_b64 s[2:3], 0
                                        ; implicit-def: $vgpr0_vgpr1
                                        ; implicit-def: $sgpr14
                                        ; implicit-def: $vgpr4
                                        ; implicit-def: $vgpr3
                                        ; implicit-def: $vgpr2
.LBB241_2372:
	s_and_b64 s[4:5], s[0:1], exec
	s_and_b64 s[40:41], s[2:3], exec
	s_andn2_b64 s[0:1], s[24:25], exec
	s_and_b64 s[2:3], s[8:9], exec
	s_or_b64 s[24:25], s[0:1], s[2:3]
.LBB241_2373:
	s_or_b64 exec, exec, s[26:27]
	s_and_saveexec_b64 s[0:1], s[24:25]
	s_cbranch_execz .LBB241_2376
; %bb.2374:
	; divergent unreachable
	s_or_b64 exec, exec, s[0:1]
	s_and_saveexec_b64 s[0:1], s[40:41]
	s_xor_b64 s[0:1], exec, s[0:1]
	s_cbranch_execnz .LBB241_2377
.LBB241_2375:
	s_or_b64 exec, exec, s[0:1]
	s_and_saveexec_b64 s[0:1], s[4:5]
	s_cbranch_execnz .LBB241_2378
	s_branch .LBB241_2415
.LBB241_2376:
	s_or_b64 exec, exec, s[0:1]
	s_and_saveexec_b64 s[0:1], s[40:41]
	s_xor_b64 s[0:1], exec, s[0:1]
	s_cbranch_execz .LBB241_2375
.LBB241_2377:
	s_waitcnt vmcnt(0)
	v_and_b32_e32 v5, 0x7fff7fff, v4
	v_cmp_ne_u32_e32 vcc, 0, v5
	s_nop 1
	v_cndmask_b32_e64 v5, 0, 1, vcc
	global_store_byte v[0:1], v5, off
	s_or_b64 exec, exec, s[0:1]
	s_and_saveexec_b64 s[0:1], s[4:5]
	s_cbranch_execz .LBB241_2415
.LBB241_2378:
	s_sext_i32_i16 s2, s14
	s_cmp_lt_i32 s2, 5
	s_mov_b64 s[0:1], -1
	s_cbranch_scc1 .LBB241_2399
; %bb.2379:
	s_cmp_lt_i32 s2, 8
	s_cbranch_scc1 .LBB241_2389
; %bb.2380:
	s_cmp_lt_i32 s2, 9
	s_cbranch_scc1 .LBB241_2386
; %bb.2381:
	s_cmp_gt_i32 s2, 9
	s_cbranch_scc0 .LBB241_2383
; %bb.2382:
	s_waitcnt vmcnt(0)
	v_cvt_f32_f16_e32 v5, v2
	v_cvt_f32_f16_e32 v8, v3
	s_mov_b64 s[0:1], 0
	v_cvt_f64_f32_e32 v[6:7], v5
	v_cvt_f64_f32_e32 v[8:9], v8
	global_store_dwordx4 v[0:1], v[6:9], off
.LBB241_2383:
	s_andn2_b64 vcc, exec, s[0:1]
	s_cbranch_vccnz .LBB241_2385
; %bb.2384:
	v_cvt_f32_f16_e32 v6, v2
	s_waitcnt vmcnt(0)
	v_cvt_f32_f16_e32 v7, v3
	global_store_dwordx2 v[0:1], v[6:7], off
.LBB241_2385:
	s_mov_b64 s[0:1], 0
.LBB241_2386:
	s_andn2_b64 vcc, exec, s[0:1]
	s_cbranch_vccnz .LBB241_2388
; %bb.2387:
	s_waitcnt vmcnt(0)
	global_store_dword v[0:1], v4, off
.LBB241_2388:
	s_mov_b64 s[0:1], 0
.LBB241_2389:
	s_andn2_b64 vcc, exec, s[0:1]
	s_cbranch_vccnz .LBB241_2398
; %bb.2390:
	s_sext_i32_i16 s2, s14
	s_cmp_lt_i32 s2, 6
	s_mov_b64 s[0:1], -1
	s_cbranch_scc1 .LBB241_2396
; %bb.2391:
	s_cmp_gt_i32 s2, 6
	s_cbranch_scc0 .LBB241_2393
; %bb.2392:
	v_cvt_f32_f16_e32 v3, v2
	s_mov_b64 s[0:1], 0
	s_waitcnt vmcnt(0)
	v_cvt_f64_f32_e32 v[4:5], v3
	global_store_dwordx2 v[0:1], v[4:5], off
.LBB241_2393:
	s_andn2_b64 vcc, exec, s[0:1]
	s_cbranch_vccnz .LBB241_2395
; %bb.2394:
	v_cvt_f32_f16_e32 v3, v2
	s_waitcnt vmcnt(0)
	global_store_dword v[0:1], v3, off
.LBB241_2395:
	s_mov_b64 s[0:1], 0
.LBB241_2396:
	s_andn2_b64 vcc, exec, s[0:1]
	s_cbranch_vccnz .LBB241_2398
; %bb.2397:
	s_waitcnt vmcnt(0)
	global_store_short v[0:1], v2, off
.LBB241_2398:
	s_mov_b64 s[0:1], 0
.LBB241_2399:
	s_andn2_b64 vcc, exec, s[0:1]
	s_cbranch_vccnz .LBB241_2415
; %bb.2400:
	s_sext_i32_i16 s2, s14
	s_cmp_lt_i32 s2, 2
	s_mov_b64 s[0:1], -1
	s_cbranch_scc1 .LBB241_2410
; %bb.2401:
	s_cmp_lt_i32 s2, 3
	s_cbranch_scc1 .LBB241_2407
; %bb.2402:
	s_cmp_gt_i32 s2, 3
	s_cbranch_scc0 .LBB241_2404
; %bb.2403:
	v_cvt_f32_f16_e32 v3, v2
	s_mov_b64 s[0:1], 0
	v_cvt_i32_f32_e32 v4, v3
	s_waitcnt vmcnt(0)
	v_ashrrev_i32_e32 v5, 31, v4
	global_store_dwordx2 v[0:1], v[4:5], off
.LBB241_2404:
	s_andn2_b64 vcc, exec, s[0:1]
	s_cbranch_vccnz .LBB241_2406
; %bb.2405:
	v_cvt_f32_f16_e32 v3, v2
	v_cvt_i32_f32_e32 v3, v3
	s_waitcnt vmcnt(0)
	global_store_dword v[0:1], v3, off
.LBB241_2406:
	s_mov_b64 s[0:1], 0
.LBB241_2407:
	s_andn2_b64 vcc, exec, s[0:1]
	s_cbranch_vccnz .LBB241_2409
; %bb.2408:
	v_cvt_i16_f16_e32 v3, v2
	s_waitcnt vmcnt(0)
	global_store_short v[0:1], v3, off
.LBB241_2409:
	s_mov_b64 s[0:1], 0
.LBB241_2410:
	s_andn2_b64 vcc, exec, s[0:1]
	s_cbranch_vccnz .LBB241_2415
; %bb.2411:
	s_sext_i32_i16 s0, s14
	s_cmp_gt_i32 s0, 0
	s_mov_b64 s[0:1], -1
	s_cbranch_scc0 .LBB241_2413
; %bb.2412:
	v_cvt_i16_f16_e32 v3, v2
	s_waitcnt vmcnt(0)
	global_store_byte v[0:1], v3, off
	s_mov_b64 s[0:1], 0
.LBB241_2413:
	s_andn2_b64 vcc, exec, s[0:1]
	s_cbranch_vccnz .LBB241_2415
; %bb.2414:
	v_cvt_f32_f16_e32 v2, v2
	v_cvt_i32_f32_e32 v2, v2
	s_waitcnt vmcnt(0)
	global_store_byte v[0:1], v2, off
	s_endpgm
.LBB241_2415:
	s_endpgm
.LBB241_2416:
	s_mov_b64 s[2:3], 0
	s_mov_b64 s[0:1], -1
.LBB241_2417:
	v_or_b32_e32 v4, v4, v2
	s_branch .LBB241_2372
.LBB241_2418:
	s_andn2_saveexec_b64 s[12:13], s[12:13]
	s_cbranch_execz .LBB241_1966
.LBB241_2419:
	s_mov_b32 s16, 0x46000000
	v_add_f32_e64 v15, |v9|, s16
	v_and_b32_e32 v15, 0xff, v15
	v_cmp_ne_u32_e32 vcc, 0, v15
	s_andn2_b64 s[10:11], s[10:11], exec
	s_and_b64 s[16:17], vcc, exec
	s_or_b64 s[10:11], s[10:11], s[16:17]
	s_or_b64 exec, exec, s[12:13]
	v_mov_b32_e32 v16, 0
	s_and_saveexec_b64 s[12:13], s[10:11]
	s_cbranch_execnz .LBB241_1967
	s_branch .LBB241_1968
.LBB241_2420:
	s_trap 2
	s_or_b64 s[8:9], s[8:9], exec
	s_cbranch_execz .LBB241_2014
	s_branch .LBB241_2015
.LBB241_2421:
	s_andn2_saveexec_b64 s[10:11], s[10:11]
	s_cbranch_execz .LBB241_1979
.LBB241_2422:
	s_mov_b32 s12, 0x42800000
	v_add_f32_e64 v15, |v9|, s12
	v_and_b32_e32 v15, 0xff, v15
	v_cmp_ne_u32_e32 vcc, 0, v15
	s_andn2_b64 s[6:7], s[6:7], exec
	s_and_b64 s[12:13], vcc, exec
	s_or_b64 s[6:7], s[6:7], s[12:13]
	s_or_b64 exec, exec, s[10:11]
	v_mov_b32_e32 v16, 0
	s_and_saveexec_b64 s[10:11], s[6:7]
	s_cbranch_execnz .LBB241_1980
	s_branch .LBB241_1981
.LBB241_2423:
	s_andn2_saveexec_b64 s[12:13], s[12:13]
	s_cbranch_execz .LBB241_2085
.LBB241_2424:
	s_mov_b32 s16, 0x46000000
	v_add_f32_e64 v8, |v7|, s16
	v_and_b32_e32 v8, 0xff, v8
	v_cmp_ne_u32_e32 vcc, 0, v8
	s_andn2_b64 s[10:11], s[10:11], exec
	s_and_b64 s[16:17], vcc, exec
	s_or_b64 s[10:11], s[10:11], s[16:17]
	s_or_b64 exec, exec, s[12:13]
	v_mov_b32_e32 v9, 0
	s_and_saveexec_b64 s[12:13], s[10:11]
	s_cbranch_execnz .LBB241_2086
	s_branch .LBB241_2087
.LBB241_2425:
	s_trap 2
	s_or_b64 s[8:9], s[8:9], exec
	s_cbranch_execz .LBB241_2133
	s_branch .LBB241_2134
.LBB241_2426:
	s_andn2_saveexec_b64 s[10:11], s[10:11]
	s_cbranch_execz .LBB241_2098
.LBB241_2427:
	s_mov_b32 s12, 0x42800000
	v_add_f32_e64 v8, |v7|, s12
	v_and_b32_e32 v8, 0xff, v8
	v_cmp_ne_u32_e32 vcc, 0, v8
	s_andn2_b64 s[6:7], s[6:7], exec
	s_and_b64 s[12:13], vcc, exec
	s_or_b64 s[6:7], s[6:7], s[12:13]
	s_or_b64 exec, exec, s[10:11]
	v_mov_b32_e32 v9, 0
	s_and_saveexec_b64 s[10:11], s[6:7]
	s_cbranch_execnz .LBB241_2099
	s_branch .LBB241_2100
.LBB241_2428:
	s_andn2_saveexec_b64 s[12:13], s[12:13]
	s_cbranch_execz .LBB241_2204
.LBB241_2429:
	s_mov_b32 s16, 0x46000000
	v_add_f32_e64 v7, |v5|, s16
	v_and_b32_e32 v7, 0xff, v7
	v_cmp_ne_u32_e32 vcc, 0, v7
	s_andn2_b64 s[10:11], s[10:11], exec
	s_and_b64 s[16:17], vcc, exec
	s_or_b64 s[10:11], s[10:11], s[16:17]
	s_or_b64 exec, exec, s[12:13]
	v_mov_b32_e32 v8, 0
	s_and_saveexec_b64 s[12:13], s[10:11]
	s_cbranch_execnz .LBB241_2205
	s_branch .LBB241_2206
.LBB241_2430:
	s_trap 2
	s_or_b64 s[8:9], s[8:9], exec
	s_cbranch_execz .LBB241_2252
	s_branch .LBB241_2253
.LBB241_2431:
	s_andn2_saveexec_b64 s[10:11], s[10:11]
	s_cbranch_execz .LBB241_2217
.LBB241_2432:
	s_mov_b32 s12, 0x42800000
	v_add_f32_e64 v7, |v5|, s12
	v_and_b32_e32 v7, 0xff, v7
	v_cmp_ne_u32_e32 vcc, 0, v7
	s_andn2_b64 s[6:7], s[6:7], exec
	s_and_b64 s[12:13], vcc, exec
	s_or_b64 s[6:7], s[6:7], s[12:13]
	s_or_b64 exec, exec, s[10:11]
	v_mov_b32_e32 v8, 0
	s_and_saveexec_b64 s[10:11], s[6:7]
	s_cbranch_execnz .LBB241_2218
	s_branch .LBB241_2219
.LBB241_2433:
	s_andn2_saveexec_b64 s[10:11], s[10:11]
	s_cbranch_execz .LBB241_2324
.LBB241_2434:
	s_mov_b32 s13, 0x46000000
	v_add_f32_e64 v6, |v5|, s13
	v_and_b32_e32 v6, 0xff, v6
	v_cmp_ne_u32_e32 vcc, 0, v6
	s_andn2_b64 s[6:7], s[6:7], exec
	s_and_b64 s[16:17], vcc, exec
	s_or_b64 s[6:7], s[6:7], s[16:17]
	s_or_b64 exec, exec, s[10:11]
	v_mov_b32_e32 v7, 0
	s_and_saveexec_b64 s[10:11], s[6:7]
	s_cbranch_execnz .LBB241_2325
	s_branch .LBB241_2326
.LBB241_2435:
	s_mov_b64 s[2:3], 0
	s_or_b64 s[8:9], s[8:9], exec
	s_trap 2
	s_branch .LBB241_2370
.LBB241_2436:
	s_andn2_saveexec_b64 s[6:7], s[6:7]
	s_cbranch_execz .LBB241_2336
.LBB241_2437:
	s_mov_b32 s10, 0x42800000
	v_add_f32_e64 v6, |v5|, s10
	v_and_b32_e32 v6, 0xff, v6
	v_cmp_ne_u32_e32 vcc, 0, v6
	s_andn2_b64 s[4:5], s[4:5], exec
	s_and_b64 s[10:11], vcc, exec
	s_or_b64 s[4:5], s[4:5], s[10:11]
	s_or_b64 exec, exec, s[6:7]
	v_mov_b32_e32 v7, 0
	s_and_saveexec_b64 s[6:7], s[4:5]
	s_cbranch_execnz .LBB241_2337
	s_branch .LBB241_2338
	.section	.rodata,"a",@progbits
	.p2align	6, 0x0
	.amdhsa_kernel _ZN2at6native32elementwise_kernel_manual_unrollILi128ELi4EZNS0_15gpu_kernel_implIZZZNS0_16sqrt_kernel_cudaERNS_18TensorIteratorBaseEENKUlvE_clEvENKUlvE1_clEvEUlN3c107complexINS7_4HalfEEEE_EEvS4_RKT_EUlibE0_EEviT1_
		.amdhsa_group_segment_fixed_size 0
		.amdhsa_private_segment_fixed_size 0
		.amdhsa_kernarg_size 360
		.amdhsa_user_sgpr_count 2
		.amdhsa_user_sgpr_dispatch_ptr 0
		.amdhsa_user_sgpr_queue_ptr 0
		.amdhsa_user_sgpr_kernarg_segment_ptr 1
		.amdhsa_user_sgpr_dispatch_id 0
		.amdhsa_user_sgpr_kernarg_preload_length 0
		.amdhsa_user_sgpr_kernarg_preload_offset 0
		.amdhsa_user_sgpr_private_segment_size 0
		.amdhsa_uses_dynamic_stack 0
		.amdhsa_enable_private_segment 0
		.amdhsa_system_sgpr_workgroup_id_x 1
		.amdhsa_system_sgpr_workgroup_id_y 0
		.amdhsa_system_sgpr_workgroup_id_z 0
		.amdhsa_system_sgpr_workgroup_info 0
		.amdhsa_system_vgpr_workitem_id 0
		.amdhsa_next_free_vgpr 27
		.amdhsa_next_free_sgpr 78
		.amdhsa_accum_offset 28
		.amdhsa_reserve_vcc 1
		.amdhsa_float_round_mode_32 0
		.amdhsa_float_round_mode_16_64 0
		.amdhsa_float_denorm_mode_32 3
		.amdhsa_float_denorm_mode_16_64 3
		.amdhsa_dx10_clamp 1
		.amdhsa_ieee_mode 1
		.amdhsa_fp16_overflow 0
		.amdhsa_tg_split 0
		.amdhsa_exception_fp_ieee_invalid_op 0
		.amdhsa_exception_fp_denorm_src 0
		.amdhsa_exception_fp_ieee_div_zero 0
		.amdhsa_exception_fp_ieee_overflow 0
		.amdhsa_exception_fp_ieee_underflow 0
		.amdhsa_exception_fp_ieee_inexact 0
		.amdhsa_exception_int_div_zero 0
	.end_amdhsa_kernel
	.section	.text._ZN2at6native32elementwise_kernel_manual_unrollILi128ELi4EZNS0_15gpu_kernel_implIZZZNS0_16sqrt_kernel_cudaERNS_18TensorIteratorBaseEENKUlvE_clEvENKUlvE1_clEvEUlN3c107complexINS7_4HalfEEEE_EEvS4_RKT_EUlibE0_EEviT1_,"axG",@progbits,_ZN2at6native32elementwise_kernel_manual_unrollILi128ELi4EZNS0_15gpu_kernel_implIZZZNS0_16sqrt_kernel_cudaERNS_18TensorIteratorBaseEENKUlvE_clEvENKUlvE1_clEvEUlN3c107complexINS7_4HalfEEEE_EEvS4_RKT_EUlibE0_EEviT1_,comdat
.Lfunc_end241:
	.size	_ZN2at6native32elementwise_kernel_manual_unrollILi128ELi4EZNS0_15gpu_kernel_implIZZZNS0_16sqrt_kernel_cudaERNS_18TensorIteratorBaseEENKUlvE_clEvENKUlvE1_clEvEUlN3c107complexINS7_4HalfEEEE_EEvS4_RKT_EUlibE0_EEviT1_, .Lfunc_end241-_ZN2at6native32elementwise_kernel_manual_unrollILi128ELi4EZNS0_15gpu_kernel_implIZZZNS0_16sqrt_kernel_cudaERNS_18TensorIteratorBaseEENKUlvE_clEvENKUlvE1_clEvEUlN3c107complexINS7_4HalfEEEE_EEvS4_RKT_EUlibE0_EEviT1_
                                        ; -- End function
	.set _ZN2at6native32elementwise_kernel_manual_unrollILi128ELi4EZNS0_15gpu_kernel_implIZZZNS0_16sqrt_kernel_cudaERNS_18TensorIteratorBaseEENKUlvE_clEvENKUlvE1_clEvEUlN3c107complexINS7_4HalfEEEE_EEvS4_RKT_EUlibE0_EEviT1_.num_vgpr, 27
	.set _ZN2at6native32elementwise_kernel_manual_unrollILi128ELi4EZNS0_15gpu_kernel_implIZZZNS0_16sqrt_kernel_cudaERNS_18TensorIteratorBaseEENKUlvE_clEvENKUlvE1_clEvEUlN3c107complexINS7_4HalfEEEE_EEvS4_RKT_EUlibE0_EEviT1_.num_agpr, 0
	.set _ZN2at6native32elementwise_kernel_manual_unrollILi128ELi4EZNS0_15gpu_kernel_implIZZZNS0_16sqrt_kernel_cudaERNS_18TensorIteratorBaseEENKUlvE_clEvENKUlvE1_clEvEUlN3c107complexINS7_4HalfEEEE_EEvS4_RKT_EUlibE0_EEviT1_.numbered_sgpr, 78
	.set _ZN2at6native32elementwise_kernel_manual_unrollILi128ELi4EZNS0_15gpu_kernel_implIZZZNS0_16sqrt_kernel_cudaERNS_18TensorIteratorBaseEENKUlvE_clEvENKUlvE1_clEvEUlN3c107complexINS7_4HalfEEEE_EEvS4_RKT_EUlibE0_EEviT1_.num_named_barrier, 0
	.set _ZN2at6native32elementwise_kernel_manual_unrollILi128ELi4EZNS0_15gpu_kernel_implIZZZNS0_16sqrt_kernel_cudaERNS_18TensorIteratorBaseEENKUlvE_clEvENKUlvE1_clEvEUlN3c107complexINS7_4HalfEEEE_EEvS4_RKT_EUlibE0_EEviT1_.private_seg_size, 0
	.set _ZN2at6native32elementwise_kernel_manual_unrollILi128ELi4EZNS0_15gpu_kernel_implIZZZNS0_16sqrt_kernel_cudaERNS_18TensorIteratorBaseEENKUlvE_clEvENKUlvE1_clEvEUlN3c107complexINS7_4HalfEEEE_EEvS4_RKT_EUlibE0_EEviT1_.uses_vcc, 1
	.set _ZN2at6native32elementwise_kernel_manual_unrollILi128ELi4EZNS0_15gpu_kernel_implIZZZNS0_16sqrt_kernel_cudaERNS_18TensorIteratorBaseEENKUlvE_clEvENKUlvE1_clEvEUlN3c107complexINS7_4HalfEEEE_EEvS4_RKT_EUlibE0_EEviT1_.uses_flat_scratch, 0
	.set _ZN2at6native32elementwise_kernel_manual_unrollILi128ELi4EZNS0_15gpu_kernel_implIZZZNS0_16sqrt_kernel_cudaERNS_18TensorIteratorBaseEENKUlvE_clEvENKUlvE1_clEvEUlN3c107complexINS7_4HalfEEEE_EEvS4_RKT_EUlibE0_EEviT1_.has_dyn_sized_stack, 0
	.set _ZN2at6native32elementwise_kernel_manual_unrollILi128ELi4EZNS0_15gpu_kernel_implIZZZNS0_16sqrt_kernel_cudaERNS_18TensorIteratorBaseEENKUlvE_clEvENKUlvE1_clEvEUlN3c107complexINS7_4HalfEEEE_EEvS4_RKT_EUlibE0_EEviT1_.has_recursion, 0
	.set _ZN2at6native32elementwise_kernel_manual_unrollILi128ELi4EZNS0_15gpu_kernel_implIZZZNS0_16sqrt_kernel_cudaERNS_18TensorIteratorBaseEENKUlvE_clEvENKUlvE1_clEvEUlN3c107complexINS7_4HalfEEEE_EEvS4_RKT_EUlibE0_EEviT1_.has_indirect_call, 0
	.section	.AMDGPU.csdata,"",@progbits
; Kernel info:
; codeLenInByte = 52516
; TotalNumSgprs: 84
; NumVgprs: 27
; NumAgprs: 0
; TotalNumVgprs: 27
; ScratchSize: 0
; MemoryBound: 0
; FloatMode: 240
; IeeeMode: 1
; LDSByteSize: 0 bytes/workgroup (compile time only)
; SGPRBlocks: 10
; VGPRBlocks: 3
; NumSGPRsForWavesPerEU: 84
; NumVGPRsForWavesPerEU: 27
; AccumOffset: 28
; Occupancy: 8
; WaveLimiterHint : 1
; COMPUTE_PGM_RSRC2:SCRATCH_EN: 0
; COMPUTE_PGM_RSRC2:USER_SGPR: 2
; COMPUTE_PGM_RSRC2:TRAP_HANDLER: 0
; COMPUTE_PGM_RSRC2:TGID_X_EN: 1
; COMPUTE_PGM_RSRC2:TGID_Y_EN: 0
; COMPUTE_PGM_RSRC2:TGID_Z_EN: 0
; COMPUTE_PGM_RSRC2:TIDIG_COMP_CNT: 0
; COMPUTE_PGM_RSRC3_GFX90A:ACCUM_OFFSET: 6
; COMPUTE_PGM_RSRC3_GFX90A:TG_SPLIT: 0
	.section	.text._ZN2at6native29vectorized_elementwise_kernelILi16EZZZNS0_16sqrt_kernel_cudaERNS_18TensorIteratorBaseEENKUlvE0_clEvENKUlvE_clEvEUldE_St5arrayIPcLm2EEEEviT0_T1_,"axG",@progbits,_ZN2at6native29vectorized_elementwise_kernelILi16EZZZNS0_16sqrt_kernel_cudaERNS_18TensorIteratorBaseEENKUlvE0_clEvENKUlvE_clEvEUldE_St5arrayIPcLm2EEEEviT0_T1_,comdat
	.globl	_ZN2at6native29vectorized_elementwise_kernelILi16EZZZNS0_16sqrt_kernel_cudaERNS_18TensorIteratorBaseEENKUlvE0_clEvENKUlvE_clEvEUldE_St5arrayIPcLm2EEEEviT0_T1_ ; -- Begin function _ZN2at6native29vectorized_elementwise_kernelILi16EZZZNS0_16sqrt_kernel_cudaERNS_18TensorIteratorBaseEENKUlvE0_clEvENKUlvE_clEvEUldE_St5arrayIPcLm2EEEEviT0_T1_
	.p2align	8
	.type	_ZN2at6native29vectorized_elementwise_kernelILi16EZZZNS0_16sqrt_kernel_cudaERNS_18TensorIteratorBaseEENKUlvE0_clEvENKUlvE_clEvEUldE_St5arrayIPcLm2EEEEviT0_T1_,@function
_ZN2at6native29vectorized_elementwise_kernelILi16EZZZNS0_16sqrt_kernel_cudaERNS_18TensorIteratorBaseEENKUlvE0_clEvENKUlvE_clEvEUldE_St5arrayIPcLm2EEEEviT0_T1_: ; @_ZN2at6native29vectorized_elementwise_kernelILi16EZZZNS0_16sqrt_kernel_cudaERNS_18TensorIteratorBaseEENKUlvE0_clEvENKUlvE_clEvEUldE_St5arrayIPcLm2EEEEviT0_T1_
; %bb.0:
	s_load_dword s3, s[0:1], 0x0
	s_load_dwordx4 s[8:11], s[0:1], 0x8
	s_lshl_b32 s6, s2, 10
	s_mov_b64 s[0:1], -1
	s_waitcnt lgkmcnt(0)
	s_sub_i32 s12, s3, s6
	s_cmpk_gt_i32 s12, 0x3ff
	s_cbranch_scc0 .LBB242_2
; %bb.1:
	s_ashr_i32 s7, s6, 31
	s_lshl_b64 s[0:1], s[6:7], 3
	s_add_u32 s2, s10, s0
	s_addc_u32 s3, s11, s1
	v_lshlrev_b32_e32 v1, 5, v0
	global_load_dwordx4 v[2:5], v1, s[2:3]
	global_load_dwordx4 v[6:9], v1, s[2:3] offset:16
	s_mov_b32 s4, 0
	s_brev_b32 s5, 8
	v_mov_b32_e32 v10, 0x100
	s_add_u32 s14, s8, s0
	s_addc_u32 s15, s9, s1
	v_mov_b32_e32 v11, 0xffffff80
	v_mov_b32_e32 v34, 0x260
	s_waitcnt vmcnt(1)
	v_cmp_gt_f64_e32 vcc, s[4:5], v[2:3]
	s_nop 1
	v_cndmask_b32_e32 v12, 0, v10, vcc
	v_cmp_gt_f64_e64 s[0:1], s[4:5], v[4:5]
	s_waitcnt vmcnt(0)
	v_cmp_gt_f64_e64 s[2:3], s[4:5], v[6:7]
	v_cmp_gt_f64_e64 s[4:5], s[4:5], v[8:9]
	v_cndmask_b32_e64 v13, 0, v10, s[0:1]
	v_cndmask_b32_e64 v14, 0, v10, s[2:3]
	;; [unrolled: 1-line block ×3, first 2 shown]
	v_ldexp_f64 v[2:3], v[2:3], v12
	v_cndmask_b32_e32 v35, 0, v11, vcc
	v_ldexp_f64 v[4:5], v[4:5], v13
	v_cndmask_b32_e64 v36, 0, v11, s[0:1]
	v_cndmask_b32_e64 v37, 0, v11, s[2:3]
	v_ldexp_f64 v[8:9], v[8:9], v10
	v_cndmask_b32_e64 v38, 0, v11, s[4:5]
	v_rsq_f64_e32 v[10:11], v[2:3]
	v_ldexp_f64 v[6:7], v[6:7], v14
	v_rsq_f64_e32 v[12:13], v[4:5]
	v_rsq_f64_e32 v[14:15], v[6:7]
	;; [unrolled: 1-line block ×3, first 2 shown]
	v_mul_f64 v[18:19], v[2:3], v[10:11]
	v_mul_f64 v[10:11], v[10:11], 0.5
	v_mul_f64 v[20:21], v[4:5], v[12:13]
	v_mul_f64 v[12:13], v[12:13], 0.5
	v_fma_f64 v[26:27], -v[10:11], v[18:19], 0.5
	v_mul_f64 v[22:23], v[6:7], v[14:15]
	v_mul_f64 v[14:15], v[14:15], 0.5
	v_fma_f64 v[28:29], -v[12:13], v[20:21], 0.5
	v_fmac_f64_e32 v[18:19], v[18:19], v[26:27]
	v_mul_f64 v[24:25], v[8:9], v[16:17]
	v_mul_f64 v[16:17], v[16:17], 0.5
	v_fma_f64 v[30:31], -v[14:15], v[22:23], 0.5
	v_fmac_f64_e32 v[10:11], v[10:11], v[26:27]
	v_fmac_f64_e32 v[20:21], v[20:21], v[28:29]
	v_fma_f64 v[26:27], -v[18:19], v[18:19], v[2:3]
	v_fma_f64 v[32:33], -v[16:17], v[24:25], 0.5
	v_fmac_f64_e32 v[12:13], v[12:13], v[28:29]
	v_fmac_f64_e32 v[22:23], v[22:23], v[30:31]
	v_fma_f64 v[28:29], -v[20:21], v[20:21], v[4:5]
	v_fmac_f64_e32 v[18:19], v[26:27], v[10:11]
	v_fmac_f64_e32 v[14:15], v[14:15], v[30:31]
	;; [unrolled: 1-line block ×3, first 2 shown]
	v_fma_f64 v[30:31], -v[22:23], v[22:23], v[6:7]
	v_fmac_f64_e32 v[20:21], v[28:29], v[12:13]
	v_fma_f64 v[26:27], -v[18:19], v[18:19], v[2:3]
	v_fmac_f64_e32 v[16:17], v[16:17], v[32:33]
	;; [unrolled: 2-line block ×4, first 2 shown]
	v_fmac_f64_e32 v[24:25], v[32:33], v[16:17]
	v_fma_f64 v[30:31], -v[22:23], v[22:23], v[6:7]
	v_fmac_f64_e32 v[20:21], v[28:29], v[12:13]
	v_ldexp_f64 v[10:11], v[18:19], v35
	v_cmp_class_f64_e32 vcc, v[2:3], v34
	v_fma_f64 v[32:33], -v[24:25], v[24:25], v[8:9]
	v_fmac_f64_e32 v[22:23], v[30:31], v[14:15]
	v_ldexp_f64 v[12:13], v[20:21], v36
	v_cndmask_b32_e32 v3, v11, v3, vcc
	v_cndmask_b32_e32 v2, v10, v2, vcc
	v_cmp_class_f64_e32 vcc, v[4:5], v34
	v_fmac_f64_e32 v[24:25], v[32:33], v[16:17]
	v_ldexp_f64 v[14:15], v[22:23], v37
	v_cndmask_b32_e32 v5, v13, v5, vcc
	v_cndmask_b32_e32 v4, v12, v4, vcc
	v_cmp_class_f64_e32 vcc, v[6:7], v34
	v_ldexp_f64 v[16:17], v[24:25], v38
	s_mov_b64 s[0:1], 0
	v_cndmask_b32_e32 v7, v15, v7, vcc
	v_cndmask_b32_e32 v6, v14, v6, vcc
	v_cmp_class_f64_e32 vcc, v[8:9], v34
	s_nop 1
	v_cndmask_b32_e32 v9, v17, v9, vcc
	v_cndmask_b32_e32 v8, v16, v8, vcc
	global_store_dwordx4 v1, v[2:5], s[14:15]
	global_store_dwordx4 v1, v[6:9], s[14:15] offset:16
.LBB242_2:
	s_andn2_b64 vcc, exec, s[0:1]
	s_cbranch_vccnz .LBB242_16
; %bb.3:
	v_cmp_gt_i32_e32 vcc, s12, v0
	v_mov_b64_e32 v[4:5], 0
	v_or_b32_e32 v2, s6, v0
	v_mov_b64_e32 v[6:7], 0
	v_mov_b32_e32 v1, v0
	s_and_saveexec_b64 s[2:3], vcc
	s_cbranch_execz .LBB242_5
; %bb.4:
	v_mov_b32_e32 v3, 0
	v_lshl_add_u64 v[6:7], v[2:3], 3, s[10:11]
	global_load_dwordx2 v[6:7], v[6:7], off
	s_mov_b32 s0, 0
	s_brev_b32 s1, 8
	v_mov_b32_e32 v3, 0x100
	v_mov_b32_e32 v14, 0x260
	v_or_b32_e32 v1, 0x100, v0
	s_waitcnt vmcnt(0)
	v_cmp_gt_f64_e64 s[0:1], s[0:1], v[6:7]
	s_nop 1
	v_cndmask_b32_e64 v3, 0, v3, s[0:1]
	v_ldexp_f64 v[6:7], v[6:7], v3
	v_rsq_f64_e32 v[8:9], v[6:7]
	v_mov_b32_e32 v3, 0xffffff80
	v_cndmask_b32_e64 v3, 0, v3, s[0:1]
	v_cmp_class_f64_e64 s[0:1], v[6:7], v14
	v_mul_f64 v[10:11], v[6:7], v[8:9]
	v_mul_f64 v[8:9], v[8:9], 0.5
	v_fma_f64 v[12:13], -v[8:9], v[10:11], 0.5
	v_fmac_f64_e32 v[10:11], v[10:11], v[12:13]
	v_fmac_f64_e32 v[8:9], v[8:9], v[12:13]
	v_fma_f64 v[12:13], -v[10:11], v[10:11], v[6:7]
	v_fmac_f64_e32 v[10:11], v[12:13], v[8:9]
	v_fma_f64 v[12:13], -v[10:11], v[10:11], v[6:7]
	v_fmac_f64_e32 v[10:11], v[12:13], v[8:9]
	v_ldexp_f64 v[8:9], v[10:11], v3
	v_cndmask_b32_e64 v7, v9, v7, s[0:1]
	v_cndmask_b32_e64 v6, v8, v6, s[0:1]
.LBB242_5:
	s_or_b64 exec, exec, s[2:3]
	v_cmp_gt_i32_e64 s[0:1], s12, v1
	s_and_saveexec_b64 s[2:3], s[0:1]
	s_cbranch_execz .LBB242_7
; %bb.6:
	v_add_u32_e32 v4, s6, v1
	v_mov_b32_e32 v5, 0
	v_lshl_add_u64 v[4:5], v[4:5], 3, s[10:11]
	global_load_dwordx2 v[4:5], v[4:5], off
	s_mov_b32 s0, 0
	s_brev_b32 s1, 8
	v_mov_b32_e32 v3, 0x100
	v_mov_b32_e32 v14, 0x260
	v_add_u32_e32 v1, 0x100, v1
	s_waitcnt vmcnt(0)
	v_cmp_gt_f64_e64 s[0:1], s[0:1], v[4:5]
	s_nop 1
	v_cndmask_b32_e64 v3, 0, v3, s[0:1]
	v_ldexp_f64 v[4:5], v[4:5], v3
	v_rsq_f64_e32 v[8:9], v[4:5]
	v_mov_b32_e32 v3, 0xffffff80
	v_cndmask_b32_e64 v3, 0, v3, s[0:1]
	v_cmp_class_f64_e64 s[0:1], v[4:5], v14
	v_mul_f64 v[10:11], v[4:5], v[8:9]
	v_mul_f64 v[8:9], v[8:9], 0.5
	v_fma_f64 v[12:13], -v[8:9], v[10:11], 0.5
	v_fmac_f64_e32 v[10:11], v[10:11], v[12:13]
	v_fmac_f64_e32 v[8:9], v[8:9], v[12:13]
	v_fma_f64 v[12:13], -v[10:11], v[10:11], v[4:5]
	v_fmac_f64_e32 v[10:11], v[12:13], v[8:9]
	v_fma_f64 v[12:13], -v[10:11], v[10:11], v[4:5]
	v_fmac_f64_e32 v[10:11], v[12:13], v[8:9]
	v_ldexp_f64 v[8:9], v[10:11], v3
	v_cndmask_b32_e64 v5, v9, v5, s[0:1]
	v_cndmask_b32_e64 v4, v8, v4, s[0:1]
.LBB242_7:
	s_or_b64 exec, exec, s[2:3]
	v_cmp_gt_i32_e64 s[0:1], s12, v1
	v_mov_b64_e32 v[8:9], 0
	v_mov_b64_e32 v[10:11], 0
	s_and_saveexec_b64 s[2:3], s[0:1]
	s_cbranch_execz .LBB242_9
; %bb.8:
	v_add_u32_e32 v10, s6, v1
	v_mov_b32_e32 v11, 0
	v_lshl_add_u64 v[10:11], v[10:11], 3, s[10:11]
	global_load_dwordx2 v[10:11], v[10:11], off
	s_mov_b32 s0, 0
	s_brev_b32 s1, 8
	v_mov_b32_e32 v3, 0x100
	v_mov_b32_e32 v18, 0x260
	v_add_u32_e32 v1, 0x100, v1
	s_waitcnt vmcnt(0)
	v_cmp_gt_f64_e64 s[0:1], s[0:1], v[10:11]
	s_nop 1
	v_cndmask_b32_e64 v3, 0, v3, s[0:1]
	v_ldexp_f64 v[10:11], v[10:11], v3
	v_rsq_f64_e32 v[12:13], v[10:11]
	v_mov_b32_e32 v3, 0xffffff80
	v_cndmask_b32_e64 v3, 0, v3, s[0:1]
	v_cmp_class_f64_e64 s[0:1], v[10:11], v18
	v_mul_f64 v[14:15], v[10:11], v[12:13]
	v_mul_f64 v[12:13], v[12:13], 0.5
	v_fma_f64 v[16:17], -v[12:13], v[14:15], 0.5
	v_fmac_f64_e32 v[14:15], v[14:15], v[16:17]
	v_fmac_f64_e32 v[12:13], v[12:13], v[16:17]
	v_fma_f64 v[16:17], -v[14:15], v[14:15], v[10:11]
	v_fmac_f64_e32 v[14:15], v[16:17], v[12:13]
	v_fma_f64 v[16:17], -v[14:15], v[14:15], v[10:11]
	v_fmac_f64_e32 v[14:15], v[16:17], v[12:13]
	v_ldexp_f64 v[12:13], v[14:15], v3
	v_cndmask_b32_e64 v11, v13, v11, s[0:1]
	v_cndmask_b32_e64 v10, v12, v10, s[0:1]
.LBB242_9:
	s_or_b64 exec, exec, s[2:3]
	v_cmp_gt_i32_e64 s[0:1], s12, v1
	s_and_saveexec_b64 s[2:3], s[0:1]
	s_cbranch_execz .LBB242_11
; %bb.10:
	v_add_u32_e32 v8, s6, v1
	v_mov_b32_e32 v9, 0
	v_lshl_add_u64 v[8:9], v[8:9], 3, s[10:11]
	global_load_dwordx2 v[8:9], v[8:9], off
	s_mov_b32 s0, 0
	s_brev_b32 s1, 8
	v_mov_b32_e32 v1, 0x100
	v_mov_b32_e32 v3, 0x260
	s_waitcnt vmcnt(0)
	v_cmp_gt_f64_e64 s[0:1], s[0:1], v[8:9]
	s_nop 1
	v_cndmask_b32_e64 v1, 0, v1, s[0:1]
	v_ldexp_f64 v[8:9], v[8:9], v1
	v_rsq_f64_e32 v[12:13], v[8:9]
	v_mov_b32_e32 v1, 0xffffff80
	v_cndmask_b32_e64 v1, 0, v1, s[0:1]
	v_cmp_class_f64_e64 s[0:1], v[8:9], v3
	v_mul_f64 v[14:15], v[8:9], v[12:13]
	v_mul_f64 v[12:13], v[12:13], 0.5
	v_fma_f64 v[16:17], -v[12:13], v[14:15], 0.5
	v_fmac_f64_e32 v[14:15], v[14:15], v[16:17]
	v_fmac_f64_e32 v[12:13], v[12:13], v[16:17]
	v_fma_f64 v[16:17], -v[14:15], v[14:15], v[8:9]
	v_fmac_f64_e32 v[14:15], v[16:17], v[12:13]
	v_fma_f64 v[16:17], -v[14:15], v[14:15], v[8:9]
	v_fmac_f64_e32 v[14:15], v[16:17], v[12:13]
	v_ldexp_f64 v[12:13], v[14:15], v1
	v_cndmask_b32_e64 v9, v13, v9, s[0:1]
	v_cndmask_b32_e64 v8, v12, v8, s[0:1]
.LBB242_11:
	s_or_b64 exec, exec, s[2:3]
	v_or_b32_e32 v1, 0x100, v0
	v_cmp_gt_i32_e64 s[0:1], s12, v1
	v_or_b32_e32 v3, 0x200, v0
	v_cndmask_b32_e32 v15, 0, v7, vcc
	v_cndmask_b32_e64 v13, 0, v5, s[0:1]
	v_cndmask_b32_e64 v12, 0, v4, s[0:1]
	v_cmp_gt_i32_e64 s[0:1], s12, v3
	v_or_b32_e32 v3, 0x300, v0
	v_cndmask_b32_e32 v14, 0, v6, vcc
	v_cndmask_b32_e64 v7, 0, v11, s[0:1]
	v_cndmask_b32_e64 v6, 0, v10, s[0:1]
	v_cmp_gt_i32_e64 s[0:1], s12, v3
	s_nop 1
	v_cndmask_b32_e64 v5, 0, v9, s[0:1]
	v_cndmask_b32_e64 v4, 0, v8, s[0:1]
	s_and_saveexec_b64 s[0:1], vcc
	s_cbranch_execnz .LBB242_17
; %bb.12:
	s_or_b64 exec, exec, s[0:1]
	v_cmp_gt_i32_e32 vcc, s12, v0
	s_and_saveexec_b64 s[0:1], vcc
	s_cbranch_execnz .LBB242_18
.LBB242_13:
	s_or_b64 exec, exec, s[0:1]
	v_cmp_gt_i32_e32 vcc, s12, v0
	s_and_saveexec_b64 s[0:1], vcc
	s_cbranch_execnz .LBB242_19
.LBB242_14:
	s_or_b64 exec, exec, s[0:1]
	v_cmp_gt_i32_e32 vcc, s12, v0
	s_and_saveexec_b64 s[0:1], vcc
	s_cbranch_execz .LBB242_16
.LBB242_15:
	v_add_u32_e32 v0, s6, v0
	v_mov_b32_e32 v1, 0
	v_lshl_add_u64 v[0:1], v[0:1], 3, s[8:9]
	global_store_dwordx2 v[0:1], v[4:5], off
.LBB242_16:
	s_endpgm
.LBB242_17:
	v_mov_b32_e32 v3, 0
	v_lshl_add_u64 v[2:3], v[2:3], 3, s[8:9]
	v_mov_b32_e32 v0, v1
	global_store_dwordx2 v[2:3], v[14:15], off
	s_or_b64 exec, exec, s[0:1]
	v_cmp_gt_i32_e32 vcc, s12, v0
	s_and_saveexec_b64 s[0:1], vcc
	s_cbranch_execz .LBB242_13
.LBB242_18:
	v_add_u32_e32 v2, s6, v0
	v_mov_b32_e32 v3, 0
	v_lshl_add_u64 v[2:3], v[2:3], 3, s[8:9]
	v_add_u32_e32 v0, 0x100, v0
	global_store_dwordx2 v[2:3], v[12:13], off
	s_or_b64 exec, exec, s[0:1]
	v_cmp_gt_i32_e32 vcc, s12, v0
	s_and_saveexec_b64 s[0:1], vcc
	s_cbranch_execz .LBB242_14
.LBB242_19:
	v_add_u32_e32 v2, s6, v0
	v_mov_b32_e32 v3, 0
	v_lshl_add_u64 v[2:3], v[2:3], 3, s[8:9]
	v_add_u32_e32 v0, 0x100, v0
	global_store_dwordx2 v[2:3], v[6:7], off
	s_or_b64 exec, exec, s[0:1]
	v_cmp_gt_i32_e32 vcc, s12, v0
	s_and_saveexec_b64 s[0:1], vcc
	s_cbranch_execnz .LBB242_15
	s_branch .LBB242_16
	.section	.rodata,"a",@progbits
	.p2align	6, 0x0
	.amdhsa_kernel _ZN2at6native29vectorized_elementwise_kernelILi16EZZZNS0_16sqrt_kernel_cudaERNS_18TensorIteratorBaseEENKUlvE0_clEvENKUlvE_clEvEUldE_St5arrayIPcLm2EEEEviT0_T1_
		.amdhsa_group_segment_fixed_size 0
		.amdhsa_private_segment_fixed_size 0
		.amdhsa_kernarg_size 24
		.amdhsa_user_sgpr_count 2
		.amdhsa_user_sgpr_dispatch_ptr 0
		.amdhsa_user_sgpr_queue_ptr 0
		.amdhsa_user_sgpr_kernarg_segment_ptr 1
		.amdhsa_user_sgpr_dispatch_id 0
		.amdhsa_user_sgpr_kernarg_preload_length 0
		.amdhsa_user_sgpr_kernarg_preload_offset 0
		.amdhsa_user_sgpr_private_segment_size 0
		.amdhsa_uses_dynamic_stack 0
		.amdhsa_enable_private_segment 0
		.amdhsa_system_sgpr_workgroup_id_x 1
		.amdhsa_system_sgpr_workgroup_id_y 0
		.amdhsa_system_sgpr_workgroup_id_z 0
		.amdhsa_system_sgpr_workgroup_info 0
		.amdhsa_system_vgpr_workitem_id 0
		.amdhsa_next_free_vgpr 39
		.amdhsa_next_free_sgpr 16
		.amdhsa_accum_offset 40
		.amdhsa_reserve_vcc 1
		.amdhsa_float_round_mode_32 0
		.amdhsa_float_round_mode_16_64 0
		.amdhsa_float_denorm_mode_32 3
		.amdhsa_float_denorm_mode_16_64 3
		.amdhsa_dx10_clamp 1
		.amdhsa_ieee_mode 1
		.amdhsa_fp16_overflow 0
		.amdhsa_tg_split 0
		.amdhsa_exception_fp_ieee_invalid_op 0
		.amdhsa_exception_fp_denorm_src 0
		.amdhsa_exception_fp_ieee_div_zero 0
		.amdhsa_exception_fp_ieee_overflow 0
		.amdhsa_exception_fp_ieee_underflow 0
		.amdhsa_exception_fp_ieee_inexact 0
		.amdhsa_exception_int_div_zero 0
	.end_amdhsa_kernel
	.section	.text._ZN2at6native29vectorized_elementwise_kernelILi16EZZZNS0_16sqrt_kernel_cudaERNS_18TensorIteratorBaseEENKUlvE0_clEvENKUlvE_clEvEUldE_St5arrayIPcLm2EEEEviT0_T1_,"axG",@progbits,_ZN2at6native29vectorized_elementwise_kernelILi16EZZZNS0_16sqrt_kernel_cudaERNS_18TensorIteratorBaseEENKUlvE0_clEvENKUlvE_clEvEUldE_St5arrayIPcLm2EEEEviT0_T1_,comdat
.Lfunc_end242:
	.size	_ZN2at6native29vectorized_elementwise_kernelILi16EZZZNS0_16sqrt_kernel_cudaERNS_18TensorIteratorBaseEENKUlvE0_clEvENKUlvE_clEvEUldE_St5arrayIPcLm2EEEEviT0_T1_, .Lfunc_end242-_ZN2at6native29vectorized_elementwise_kernelILi16EZZZNS0_16sqrt_kernel_cudaERNS_18TensorIteratorBaseEENKUlvE0_clEvENKUlvE_clEvEUldE_St5arrayIPcLm2EEEEviT0_T1_
                                        ; -- End function
	.set _ZN2at6native29vectorized_elementwise_kernelILi16EZZZNS0_16sqrt_kernel_cudaERNS_18TensorIteratorBaseEENKUlvE0_clEvENKUlvE_clEvEUldE_St5arrayIPcLm2EEEEviT0_T1_.num_vgpr, 39
	.set _ZN2at6native29vectorized_elementwise_kernelILi16EZZZNS0_16sqrt_kernel_cudaERNS_18TensorIteratorBaseEENKUlvE0_clEvENKUlvE_clEvEUldE_St5arrayIPcLm2EEEEviT0_T1_.num_agpr, 0
	.set _ZN2at6native29vectorized_elementwise_kernelILi16EZZZNS0_16sqrt_kernel_cudaERNS_18TensorIteratorBaseEENKUlvE0_clEvENKUlvE_clEvEUldE_St5arrayIPcLm2EEEEviT0_T1_.numbered_sgpr, 16
	.set _ZN2at6native29vectorized_elementwise_kernelILi16EZZZNS0_16sqrt_kernel_cudaERNS_18TensorIteratorBaseEENKUlvE0_clEvENKUlvE_clEvEUldE_St5arrayIPcLm2EEEEviT0_T1_.num_named_barrier, 0
	.set _ZN2at6native29vectorized_elementwise_kernelILi16EZZZNS0_16sqrt_kernel_cudaERNS_18TensorIteratorBaseEENKUlvE0_clEvENKUlvE_clEvEUldE_St5arrayIPcLm2EEEEviT0_T1_.private_seg_size, 0
	.set _ZN2at6native29vectorized_elementwise_kernelILi16EZZZNS0_16sqrt_kernel_cudaERNS_18TensorIteratorBaseEENKUlvE0_clEvENKUlvE_clEvEUldE_St5arrayIPcLm2EEEEviT0_T1_.uses_vcc, 1
	.set _ZN2at6native29vectorized_elementwise_kernelILi16EZZZNS0_16sqrt_kernel_cudaERNS_18TensorIteratorBaseEENKUlvE0_clEvENKUlvE_clEvEUldE_St5arrayIPcLm2EEEEviT0_T1_.uses_flat_scratch, 0
	.set _ZN2at6native29vectorized_elementwise_kernelILi16EZZZNS0_16sqrt_kernel_cudaERNS_18TensorIteratorBaseEENKUlvE0_clEvENKUlvE_clEvEUldE_St5arrayIPcLm2EEEEviT0_T1_.has_dyn_sized_stack, 0
	.set _ZN2at6native29vectorized_elementwise_kernelILi16EZZZNS0_16sqrt_kernel_cudaERNS_18TensorIteratorBaseEENKUlvE0_clEvENKUlvE_clEvEUldE_St5arrayIPcLm2EEEEviT0_T1_.has_recursion, 0
	.set _ZN2at6native29vectorized_elementwise_kernelILi16EZZZNS0_16sqrt_kernel_cudaERNS_18TensorIteratorBaseEENKUlvE0_clEvENKUlvE_clEvEUldE_St5arrayIPcLm2EEEEviT0_T1_.has_indirect_call, 0
	.section	.AMDGPU.csdata,"",@progbits
; Kernel info:
; codeLenInByte = 1800
; TotalNumSgprs: 22
; NumVgprs: 39
; NumAgprs: 0
; TotalNumVgprs: 39
; ScratchSize: 0
; MemoryBound: 0
; FloatMode: 240
; IeeeMode: 1
; LDSByteSize: 0 bytes/workgroup (compile time only)
; SGPRBlocks: 2
; VGPRBlocks: 4
; NumSGPRsForWavesPerEU: 22
; NumVGPRsForWavesPerEU: 39
; AccumOffset: 40
; Occupancy: 8
; WaveLimiterHint : 0
; COMPUTE_PGM_RSRC2:SCRATCH_EN: 0
; COMPUTE_PGM_RSRC2:USER_SGPR: 2
; COMPUTE_PGM_RSRC2:TRAP_HANDLER: 0
; COMPUTE_PGM_RSRC2:TGID_X_EN: 1
; COMPUTE_PGM_RSRC2:TGID_Y_EN: 0
; COMPUTE_PGM_RSRC2:TGID_Z_EN: 0
; COMPUTE_PGM_RSRC2:TIDIG_COMP_CNT: 0
; COMPUTE_PGM_RSRC3_GFX90A:ACCUM_OFFSET: 9
; COMPUTE_PGM_RSRC3_GFX90A:TG_SPLIT: 0
	.section	.text._ZN2at6native29vectorized_elementwise_kernelILi8EZZZNS0_16sqrt_kernel_cudaERNS_18TensorIteratorBaseEENKUlvE0_clEvENKUlvE_clEvEUldE_St5arrayIPcLm2EEEEviT0_T1_,"axG",@progbits,_ZN2at6native29vectorized_elementwise_kernelILi8EZZZNS0_16sqrt_kernel_cudaERNS_18TensorIteratorBaseEENKUlvE0_clEvENKUlvE_clEvEUldE_St5arrayIPcLm2EEEEviT0_T1_,comdat
	.globl	_ZN2at6native29vectorized_elementwise_kernelILi8EZZZNS0_16sqrt_kernel_cudaERNS_18TensorIteratorBaseEENKUlvE0_clEvENKUlvE_clEvEUldE_St5arrayIPcLm2EEEEviT0_T1_ ; -- Begin function _ZN2at6native29vectorized_elementwise_kernelILi8EZZZNS0_16sqrt_kernel_cudaERNS_18TensorIteratorBaseEENKUlvE0_clEvENKUlvE_clEvEUldE_St5arrayIPcLm2EEEEviT0_T1_
	.p2align	8
	.type	_ZN2at6native29vectorized_elementwise_kernelILi8EZZZNS0_16sqrt_kernel_cudaERNS_18TensorIteratorBaseEENKUlvE0_clEvENKUlvE_clEvEUldE_St5arrayIPcLm2EEEEviT0_T1_,@function
_ZN2at6native29vectorized_elementwise_kernelILi8EZZZNS0_16sqrt_kernel_cudaERNS_18TensorIteratorBaseEENKUlvE0_clEvENKUlvE_clEvEUldE_St5arrayIPcLm2EEEEviT0_T1_: ; @_ZN2at6native29vectorized_elementwise_kernelILi8EZZZNS0_16sqrt_kernel_cudaERNS_18TensorIteratorBaseEENKUlvE0_clEvENKUlvE_clEvEUldE_St5arrayIPcLm2EEEEviT0_T1_
; %bb.0:
	s_load_dword s3, s[0:1], 0x0
	s_load_dwordx4 s[8:11], s[0:1], 0x8
	s_lshl_b32 s6, s2, 10
	s_mov_b64 s[0:1], -1
	s_waitcnt lgkmcnt(0)
	s_sub_i32 s12, s3, s6
	s_cmpk_gt_i32 s12, 0x3ff
	s_cbranch_scc0 .LBB243_2
; %bb.1:
	s_ashr_i32 s7, s6, 31
	s_lshl_b64 s[0:1], s[6:7], 3
	s_add_u32 s2, s10, s0
	s_addc_u32 s3, s11, s1
	v_lshlrev_b32_e32 v1, 5, v0
	global_load_dwordx4 v[2:5], v1, s[2:3]
	global_load_dwordx4 v[6:9], v1, s[2:3] offset:16
	s_mov_b32 s4, 0
	s_brev_b32 s5, 8
	v_mov_b32_e32 v10, 0x100
	s_add_u32 s14, s8, s0
	s_addc_u32 s15, s9, s1
	v_mov_b32_e32 v11, 0xffffff80
	v_mov_b32_e32 v34, 0x260
	s_waitcnt vmcnt(1)
	v_cmp_gt_f64_e32 vcc, s[4:5], v[2:3]
	s_nop 1
	v_cndmask_b32_e32 v12, 0, v10, vcc
	v_cmp_gt_f64_e64 s[0:1], s[4:5], v[4:5]
	s_waitcnt vmcnt(0)
	v_cmp_gt_f64_e64 s[2:3], s[4:5], v[6:7]
	v_cmp_gt_f64_e64 s[4:5], s[4:5], v[8:9]
	v_cndmask_b32_e64 v13, 0, v10, s[0:1]
	v_cndmask_b32_e64 v14, 0, v10, s[2:3]
	;; [unrolled: 1-line block ×3, first 2 shown]
	v_ldexp_f64 v[2:3], v[2:3], v12
	v_cndmask_b32_e32 v35, 0, v11, vcc
	v_ldexp_f64 v[4:5], v[4:5], v13
	v_cndmask_b32_e64 v36, 0, v11, s[0:1]
	v_cndmask_b32_e64 v37, 0, v11, s[2:3]
	v_ldexp_f64 v[8:9], v[8:9], v10
	v_cndmask_b32_e64 v38, 0, v11, s[4:5]
	v_rsq_f64_e32 v[10:11], v[2:3]
	v_ldexp_f64 v[6:7], v[6:7], v14
	v_rsq_f64_e32 v[12:13], v[4:5]
	v_rsq_f64_e32 v[14:15], v[6:7]
	;; [unrolled: 1-line block ×3, first 2 shown]
	v_mul_f64 v[18:19], v[2:3], v[10:11]
	v_mul_f64 v[10:11], v[10:11], 0.5
	v_mul_f64 v[20:21], v[4:5], v[12:13]
	v_mul_f64 v[12:13], v[12:13], 0.5
	v_fma_f64 v[26:27], -v[10:11], v[18:19], 0.5
	v_mul_f64 v[22:23], v[6:7], v[14:15]
	v_mul_f64 v[14:15], v[14:15], 0.5
	v_fma_f64 v[28:29], -v[12:13], v[20:21], 0.5
	v_fmac_f64_e32 v[18:19], v[18:19], v[26:27]
	v_mul_f64 v[24:25], v[8:9], v[16:17]
	v_mul_f64 v[16:17], v[16:17], 0.5
	v_fma_f64 v[30:31], -v[14:15], v[22:23], 0.5
	v_fmac_f64_e32 v[10:11], v[10:11], v[26:27]
	v_fmac_f64_e32 v[20:21], v[20:21], v[28:29]
	v_fma_f64 v[26:27], -v[18:19], v[18:19], v[2:3]
	v_fma_f64 v[32:33], -v[16:17], v[24:25], 0.5
	v_fmac_f64_e32 v[12:13], v[12:13], v[28:29]
	v_fmac_f64_e32 v[22:23], v[22:23], v[30:31]
	v_fma_f64 v[28:29], -v[20:21], v[20:21], v[4:5]
	v_fmac_f64_e32 v[18:19], v[26:27], v[10:11]
	v_fmac_f64_e32 v[14:15], v[14:15], v[30:31]
	;; [unrolled: 1-line block ×3, first 2 shown]
	v_fma_f64 v[30:31], -v[22:23], v[22:23], v[6:7]
	v_fmac_f64_e32 v[20:21], v[28:29], v[12:13]
	v_fma_f64 v[26:27], -v[18:19], v[18:19], v[2:3]
	v_fmac_f64_e32 v[16:17], v[16:17], v[32:33]
	;; [unrolled: 2-line block ×4, first 2 shown]
	v_fmac_f64_e32 v[24:25], v[32:33], v[16:17]
	v_fma_f64 v[30:31], -v[22:23], v[22:23], v[6:7]
	v_fmac_f64_e32 v[20:21], v[28:29], v[12:13]
	v_ldexp_f64 v[10:11], v[18:19], v35
	v_cmp_class_f64_e32 vcc, v[2:3], v34
	v_fma_f64 v[32:33], -v[24:25], v[24:25], v[8:9]
	v_fmac_f64_e32 v[22:23], v[30:31], v[14:15]
	v_ldexp_f64 v[12:13], v[20:21], v36
	v_cndmask_b32_e32 v3, v11, v3, vcc
	v_cndmask_b32_e32 v2, v10, v2, vcc
	v_cmp_class_f64_e32 vcc, v[4:5], v34
	v_fmac_f64_e32 v[24:25], v[32:33], v[16:17]
	v_ldexp_f64 v[14:15], v[22:23], v37
	v_cndmask_b32_e32 v5, v13, v5, vcc
	v_cndmask_b32_e32 v4, v12, v4, vcc
	v_cmp_class_f64_e32 vcc, v[6:7], v34
	v_ldexp_f64 v[16:17], v[24:25], v38
	s_mov_b64 s[0:1], 0
	v_cndmask_b32_e32 v7, v15, v7, vcc
	v_cndmask_b32_e32 v6, v14, v6, vcc
	v_cmp_class_f64_e32 vcc, v[8:9], v34
	s_nop 1
	v_cndmask_b32_e32 v9, v17, v9, vcc
	v_cndmask_b32_e32 v8, v16, v8, vcc
	global_store_dwordx4 v1, v[2:5], s[14:15]
	global_store_dwordx4 v1, v[6:9], s[14:15] offset:16
.LBB243_2:
	s_andn2_b64 vcc, exec, s[0:1]
	s_cbranch_vccnz .LBB243_16
; %bb.3:
	v_cmp_gt_i32_e32 vcc, s12, v0
	v_mov_b64_e32 v[4:5], 0
	v_or_b32_e32 v2, s6, v0
	v_mov_b64_e32 v[6:7], 0
	v_mov_b32_e32 v1, v0
	s_and_saveexec_b64 s[2:3], vcc
	s_cbranch_execz .LBB243_5
; %bb.4:
	v_mov_b32_e32 v3, 0
	v_lshl_add_u64 v[6:7], v[2:3], 3, s[10:11]
	global_load_dwordx2 v[6:7], v[6:7], off
	s_mov_b32 s0, 0
	s_brev_b32 s1, 8
	v_mov_b32_e32 v3, 0x100
	v_mov_b32_e32 v14, 0x260
	v_or_b32_e32 v1, 0x100, v0
	s_waitcnt vmcnt(0)
	v_cmp_gt_f64_e64 s[0:1], s[0:1], v[6:7]
	s_nop 1
	v_cndmask_b32_e64 v3, 0, v3, s[0:1]
	v_ldexp_f64 v[6:7], v[6:7], v3
	v_rsq_f64_e32 v[8:9], v[6:7]
	v_mov_b32_e32 v3, 0xffffff80
	v_cndmask_b32_e64 v3, 0, v3, s[0:1]
	v_cmp_class_f64_e64 s[0:1], v[6:7], v14
	v_mul_f64 v[10:11], v[6:7], v[8:9]
	v_mul_f64 v[8:9], v[8:9], 0.5
	v_fma_f64 v[12:13], -v[8:9], v[10:11], 0.5
	v_fmac_f64_e32 v[10:11], v[10:11], v[12:13]
	v_fmac_f64_e32 v[8:9], v[8:9], v[12:13]
	v_fma_f64 v[12:13], -v[10:11], v[10:11], v[6:7]
	v_fmac_f64_e32 v[10:11], v[12:13], v[8:9]
	v_fma_f64 v[12:13], -v[10:11], v[10:11], v[6:7]
	v_fmac_f64_e32 v[10:11], v[12:13], v[8:9]
	v_ldexp_f64 v[8:9], v[10:11], v3
	v_cndmask_b32_e64 v7, v9, v7, s[0:1]
	v_cndmask_b32_e64 v6, v8, v6, s[0:1]
.LBB243_5:
	s_or_b64 exec, exec, s[2:3]
	v_cmp_gt_i32_e64 s[0:1], s12, v1
	s_and_saveexec_b64 s[2:3], s[0:1]
	s_cbranch_execz .LBB243_7
; %bb.6:
	v_add_u32_e32 v4, s6, v1
	v_mov_b32_e32 v5, 0
	v_lshl_add_u64 v[4:5], v[4:5], 3, s[10:11]
	global_load_dwordx2 v[4:5], v[4:5], off
	s_mov_b32 s0, 0
	s_brev_b32 s1, 8
	v_mov_b32_e32 v3, 0x100
	v_mov_b32_e32 v14, 0x260
	v_add_u32_e32 v1, 0x100, v1
	s_waitcnt vmcnt(0)
	v_cmp_gt_f64_e64 s[0:1], s[0:1], v[4:5]
	s_nop 1
	v_cndmask_b32_e64 v3, 0, v3, s[0:1]
	v_ldexp_f64 v[4:5], v[4:5], v3
	v_rsq_f64_e32 v[8:9], v[4:5]
	v_mov_b32_e32 v3, 0xffffff80
	v_cndmask_b32_e64 v3, 0, v3, s[0:1]
	v_cmp_class_f64_e64 s[0:1], v[4:5], v14
	v_mul_f64 v[10:11], v[4:5], v[8:9]
	v_mul_f64 v[8:9], v[8:9], 0.5
	v_fma_f64 v[12:13], -v[8:9], v[10:11], 0.5
	v_fmac_f64_e32 v[10:11], v[10:11], v[12:13]
	v_fmac_f64_e32 v[8:9], v[8:9], v[12:13]
	v_fma_f64 v[12:13], -v[10:11], v[10:11], v[4:5]
	v_fmac_f64_e32 v[10:11], v[12:13], v[8:9]
	v_fma_f64 v[12:13], -v[10:11], v[10:11], v[4:5]
	v_fmac_f64_e32 v[10:11], v[12:13], v[8:9]
	v_ldexp_f64 v[8:9], v[10:11], v3
	v_cndmask_b32_e64 v5, v9, v5, s[0:1]
	v_cndmask_b32_e64 v4, v8, v4, s[0:1]
.LBB243_7:
	s_or_b64 exec, exec, s[2:3]
	v_cmp_gt_i32_e64 s[0:1], s12, v1
	v_mov_b64_e32 v[8:9], 0
	v_mov_b64_e32 v[10:11], 0
	s_and_saveexec_b64 s[2:3], s[0:1]
	s_cbranch_execz .LBB243_9
; %bb.8:
	v_add_u32_e32 v10, s6, v1
	v_mov_b32_e32 v11, 0
	v_lshl_add_u64 v[10:11], v[10:11], 3, s[10:11]
	global_load_dwordx2 v[10:11], v[10:11], off
	s_mov_b32 s0, 0
	s_brev_b32 s1, 8
	v_mov_b32_e32 v3, 0x100
	v_mov_b32_e32 v18, 0x260
	v_add_u32_e32 v1, 0x100, v1
	s_waitcnt vmcnt(0)
	v_cmp_gt_f64_e64 s[0:1], s[0:1], v[10:11]
	s_nop 1
	v_cndmask_b32_e64 v3, 0, v3, s[0:1]
	v_ldexp_f64 v[10:11], v[10:11], v3
	v_rsq_f64_e32 v[12:13], v[10:11]
	v_mov_b32_e32 v3, 0xffffff80
	v_cndmask_b32_e64 v3, 0, v3, s[0:1]
	v_cmp_class_f64_e64 s[0:1], v[10:11], v18
	v_mul_f64 v[14:15], v[10:11], v[12:13]
	v_mul_f64 v[12:13], v[12:13], 0.5
	v_fma_f64 v[16:17], -v[12:13], v[14:15], 0.5
	v_fmac_f64_e32 v[14:15], v[14:15], v[16:17]
	v_fmac_f64_e32 v[12:13], v[12:13], v[16:17]
	v_fma_f64 v[16:17], -v[14:15], v[14:15], v[10:11]
	v_fmac_f64_e32 v[14:15], v[16:17], v[12:13]
	v_fma_f64 v[16:17], -v[14:15], v[14:15], v[10:11]
	v_fmac_f64_e32 v[14:15], v[16:17], v[12:13]
	v_ldexp_f64 v[12:13], v[14:15], v3
	v_cndmask_b32_e64 v11, v13, v11, s[0:1]
	v_cndmask_b32_e64 v10, v12, v10, s[0:1]
.LBB243_9:
	s_or_b64 exec, exec, s[2:3]
	v_cmp_gt_i32_e64 s[0:1], s12, v1
	s_and_saveexec_b64 s[2:3], s[0:1]
	s_cbranch_execz .LBB243_11
; %bb.10:
	v_add_u32_e32 v8, s6, v1
	v_mov_b32_e32 v9, 0
	v_lshl_add_u64 v[8:9], v[8:9], 3, s[10:11]
	global_load_dwordx2 v[8:9], v[8:9], off
	s_mov_b32 s0, 0
	s_brev_b32 s1, 8
	v_mov_b32_e32 v1, 0x100
	v_mov_b32_e32 v3, 0x260
	s_waitcnt vmcnt(0)
	v_cmp_gt_f64_e64 s[0:1], s[0:1], v[8:9]
	s_nop 1
	v_cndmask_b32_e64 v1, 0, v1, s[0:1]
	v_ldexp_f64 v[8:9], v[8:9], v1
	v_rsq_f64_e32 v[12:13], v[8:9]
	v_mov_b32_e32 v1, 0xffffff80
	v_cndmask_b32_e64 v1, 0, v1, s[0:1]
	v_cmp_class_f64_e64 s[0:1], v[8:9], v3
	v_mul_f64 v[14:15], v[8:9], v[12:13]
	v_mul_f64 v[12:13], v[12:13], 0.5
	v_fma_f64 v[16:17], -v[12:13], v[14:15], 0.5
	v_fmac_f64_e32 v[14:15], v[14:15], v[16:17]
	v_fmac_f64_e32 v[12:13], v[12:13], v[16:17]
	v_fma_f64 v[16:17], -v[14:15], v[14:15], v[8:9]
	v_fmac_f64_e32 v[14:15], v[16:17], v[12:13]
	v_fma_f64 v[16:17], -v[14:15], v[14:15], v[8:9]
	v_fmac_f64_e32 v[14:15], v[16:17], v[12:13]
	v_ldexp_f64 v[12:13], v[14:15], v1
	v_cndmask_b32_e64 v9, v13, v9, s[0:1]
	v_cndmask_b32_e64 v8, v12, v8, s[0:1]
.LBB243_11:
	s_or_b64 exec, exec, s[2:3]
	v_or_b32_e32 v1, 0x100, v0
	v_cmp_gt_i32_e64 s[0:1], s12, v1
	v_or_b32_e32 v3, 0x200, v0
	v_cndmask_b32_e32 v15, 0, v7, vcc
	v_cndmask_b32_e64 v13, 0, v5, s[0:1]
	v_cndmask_b32_e64 v12, 0, v4, s[0:1]
	v_cmp_gt_i32_e64 s[0:1], s12, v3
	v_or_b32_e32 v3, 0x300, v0
	v_cndmask_b32_e32 v14, 0, v6, vcc
	v_cndmask_b32_e64 v7, 0, v11, s[0:1]
	v_cndmask_b32_e64 v6, 0, v10, s[0:1]
	v_cmp_gt_i32_e64 s[0:1], s12, v3
	s_nop 1
	v_cndmask_b32_e64 v5, 0, v9, s[0:1]
	v_cndmask_b32_e64 v4, 0, v8, s[0:1]
	s_and_saveexec_b64 s[0:1], vcc
	s_cbranch_execnz .LBB243_17
; %bb.12:
	s_or_b64 exec, exec, s[0:1]
	v_cmp_gt_i32_e32 vcc, s12, v0
	s_and_saveexec_b64 s[0:1], vcc
	s_cbranch_execnz .LBB243_18
.LBB243_13:
	s_or_b64 exec, exec, s[0:1]
	v_cmp_gt_i32_e32 vcc, s12, v0
	s_and_saveexec_b64 s[0:1], vcc
	s_cbranch_execnz .LBB243_19
.LBB243_14:
	s_or_b64 exec, exec, s[0:1]
	v_cmp_gt_i32_e32 vcc, s12, v0
	s_and_saveexec_b64 s[0:1], vcc
	s_cbranch_execz .LBB243_16
.LBB243_15:
	v_add_u32_e32 v0, s6, v0
	v_mov_b32_e32 v1, 0
	v_lshl_add_u64 v[0:1], v[0:1], 3, s[8:9]
	global_store_dwordx2 v[0:1], v[4:5], off
.LBB243_16:
	s_endpgm
.LBB243_17:
	v_mov_b32_e32 v3, 0
	v_lshl_add_u64 v[2:3], v[2:3], 3, s[8:9]
	v_mov_b32_e32 v0, v1
	global_store_dwordx2 v[2:3], v[14:15], off
	s_or_b64 exec, exec, s[0:1]
	v_cmp_gt_i32_e32 vcc, s12, v0
	s_and_saveexec_b64 s[0:1], vcc
	s_cbranch_execz .LBB243_13
.LBB243_18:
	v_add_u32_e32 v2, s6, v0
	v_mov_b32_e32 v3, 0
	v_lshl_add_u64 v[2:3], v[2:3], 3, s[8:9]
	v_add_u32_e32 v0, 0x100, v0
	global_store_dwordx2 v[2:3], v[12:13], off
	s_or_b64 exec, exec, s[0:1]
	v_cmp_gt_i32_e32 vcc, s12, v0
	s_and_saveexec_b64 s[0:1], vcc
	s_cbranch_execz .LBB243_14
.LBB243_19:
	v_add_u32_e32 v2, s6, v0
	v_mov_b32_e32 v3, 0
	v_lshl_add_u64 v[2:3], v[2:3], 3, s[8:9]
	v_add_u32_e32 v0, 0x100, v0
	global_store_dwordx2 v[2:3], v[6:7], off
	s_or_b64 exec, exec, s[0:1]
	v_cmp_gt_i32_e32 vcc, s12, v0
	s_and_saveexec_b64 s[0:1], vcc
	s_cbranch_execnz .LBB243_15
	s_branch .LBB243_16
	.section	.rodata,"a",@progbits
	.p2align	6, 0x0
	.amdhsa_kernel _ZN2at6native29vectorized_elementwise_kernelILi8EZZZNS0_16sqrt_kernel_cudaERNS_18TensorIteratorBaseEENKUlvE0_clEvENKUlvE_clEvEUldE_St5arrayIPcLm2EEEEviT0_T1_
		.amdhsa_group_segment_fixed_size 0
		.amdhsa_private_segment_fixed_size 0
		.amdhsa_kernarg_size 24
		.amdhsa_user_sgpr_count 2
		.amdhsa_user_sgpr_dispatch_ptr 0
		.amdhsa_user_sgpr_queue_ptr 0
		.amdhsa_user_sgpr_kernarg_segment_ptr 1
		.amdhsa_user_sgpr_dispatch_id 0
		.amdhsa_user_sgpr_kernarg_preload_length 0
		.amdhsa_user_sgpr_kernarg_preload_offset 0
		.amdhsa_user_sgpr_private_segment_size 0
		.amdhsa_uses_dynamic_stack 0
		.amdhsa_enable_private_segment 0
		.amdhsa_system_sgpr_workgroup_id_x 1
		.amdhsa_system_sgpr_workgroup_id_y 0
		.amdhsa_system_sgpr_workgroup_id_z 0
		.amdhsa_system_sgpr_workgroup_info 0
		.amdhsa_system_vgpr_workitem_id 0
		.amdhsa_next_free_vgpr 39
		.amdhsa_next_free_sgpr 16
		.amdhsa_accum_offset 40
		.amdhsa_reserve_vcc 1
		.amdhsa_float_round_mode_32 0
		.amdhsa_float_round_mode_16_64 0
		.amdhsa_float_denorm_mode_32 3
		.amdhsa_float_denorm_mode_16_64 3
		.amdhsa_dx10_clamp 1
		.amdhsa_ieee_mode 1
		.amdhsa_fp16_overflow 0
		.amdhsa_tg_split 0
		.amdhsa_exception_fp_ieee_invalid_op 0
		.amdhsa_exception_fp_denorm_src 0
		.amdhsa_exception_fp_ieee_div_zero 0
		.amdhsa_exception_fp_ieee_overflow 0
		.amdhsa_exception_fp_ieee_underflow 0
		.amdhsa_exception_fp_ieee_inexact 0
		.amdhsa_exception_int_div_zero 0
	.end_amdhsa_kernel
	.section	.text._ZN2at6native29vectorized_elementwise_kernelILi8EZZZNS0_16sqrt_kernel_cudaERNS_18TensorIteratorBaseEENKUlvE0_clEvENKUlvE_clEvEUldE_St5arrayIPcLm2EEEEviT0_T1_,"axG",@progbits,_ZN2at6native29vectorized_elementwise_kernelILi8EZZZNS0_16sqrt_kernel_cudaERNS_18TensorIteratorBaseEENKUlvE0_clEvENKUlvE_clEvEUldE_St5arrayIPcLm2EEEEviT0_T1_,comdat
.Lfunc_end243:
	.size	_ZN2at6native29vectorized_elementwise_kernelILi8EZZZNS0_16sqrt_kernel_cudaERNS_18TensorIteratorBaseEENKUlvE0_clEvENKUlvE_clEvEUldE_St5arrayIPcLm2EEEEviT0_T1_, .Lfunc_end243-_ZN2at6native29vectorized_elementwise_kernelILi8EZZZNS0_16sqrt_kernel_cudaERNS_18TensorIteratorBaseEENKUlvE0_clEvENKUlvE_clEvEUldE_St5arrayIPcLm2EEEEviT0_T1_
                                        ; -- End function
	.set _ZN2at6native29vectorized_elementwise_kernelILi8EZZZNS0_16sqrt_kernel_cudaERNS_18TensorIteratorBaseEENKUlvE0_clEvENKUlvE_clEvEUldE_St5arrayIPcLm2EEEEviT0_T1_.num_vgpr, 39
	.set _ZN2at6native29vectorized_elementwise_kernelILi8EZZZNS0_16sqrt_kernel_cudaERNS_18TensorIteratorBaseEENKUlvE0_clEvENKUlvE_clEvEUldE_St5arrayIPcLm2EEEEviT0_T1_.num_agpr, 0
	.set _ZN2at6native29vectorized_elementwise_kernelILi8EZZZNS0_16sqrt_kernel_cudaERNS_18TensorIteratorBaseEENKUlvE0_clEvENKUlvE_clEvEUldE_St5arrayIPcLm2EEEEviT0_T1_.numbered_sgpr, 16
	.set _ZN2at6native29vectorized_elementwise_kernelILi8EZZZNS0_16sqrt_kernel_cudaERNS_18TensorIteratorBaseEENKUlvE0_clEvENKUlvE_clEvEUldE_St5arrayIPcLm2EEEEviT0_T1_.num_named_barrier, 0
	.set _ZN2at6native29vectorized_elementwise_kernelILi8EZZZNS0_16sqrt_kernel_cudaERNS_18TensorIteratorBaseEENKUlvE0_clEvENKUlvE_clEvEUldE_St5arrayIPcLm2EEEEviT0_T1_.private_seg_size, 0
	.set _ZN2at6native29vectorized_elementwise_kernelILi8EZZZNS0_16sqrt_kernel_cudaERNS_18TensorIteratorBaseEENKUlvE0_clEvENKUlvE_clEvEUldE_St5arrayIPcLm2EEEEviT0_T1_.uses_vcc, 1
	.set _ZN2at6native29vectorized_elementwise_kernelILi8EZZZNS0_16sqrt_kernel_cudaERNS_18TensorIteratorBaseEENKUlvE0_clEvENKUlvE_clEvEUldE_St5arrayIPcLm2EEEEviT0_T1_.uses_flat_scratch, 0
	.set _ZN2at6native29vectorized_elementwise_kernelILi8EZZZNS0_16sqrt_kernel_cudaERNS_18TensorIteratorBaseEENKUlvE0_clEvENKUlvE_clEvEUldE_St5arrayIPcLm2EEEEviT0_T1_.has_dyn_sized_stack, 0
	.set _ZN2at6native29vectorized_elementwise_kernelILi8EZZZNS0_16sqrt_kernel_cudaERNS_18TensorIteratorBaseEENKUlvE0_clEvENKUlvE_clEvEUldE_St5arrayIPcLm2EEEEviT0_T1_.has_recursion, 0
	.set _ZN2at6native29vectorized_elementwise_kernelILi8EZZZNS0_16sqrt_kernel_cudaERNS_18TensorIteratorBaseEENKUlvE0_clEvENKUlvE_clEvEUldE_St5arrayIPcLm2EEEEviT0_T1_.has_indirect_call, 0
	.section	.AMDGPU.csdata,"",@progbits
; Kernel info:
; codeLenInByte = 1800
; TotalNumSgprs: 22
; NumVgprs: 39
; NumAgprs: 0
; TotalNumVgprs: 39
; ScratchSize: 0
; MemoryBound: 0
; FloatMode: 240
; IeeeMode: 1
; LDSByteSize: 0 bytes/workgroup (compile time only)
; SGPRBlocks: 2
; VGPRBlocks: 4
; NumSGPRsForWavesPerEU: 22
; NumVGPRsForWavesPerEU: 39
; AccumOffset: 40
; Occupancy: 8
; WaveLimiterHint : 0
; COMPUTE_PGM_RSRC2:SCRATCH_EN: 0
; COMPUTE_PGM_RSRC2:USER_SGPR: 2
; COMPUTE_PGM_RSRC2:TRAP_HANDLER: 0
; COMPUTE_PGM_RSRC2:TGID_X_EN: 1
; COMPUTE_PGM_RSRC2:TGID_Y_EN: 0
; COMPUTE_PGM_RSRC2:TGID_Z_EN: 0
; COMPUTE_PGM_RSRC2:TIDIG_COMP_CNT: 0
; COMPUTE_PGM_RSRC3_GFX90A:ACCUM_OFFSET: 9
; COMPUTE_PGM_RSRC3_GFX90A:TG_SPLIT: 0
	.section	.text._ZN2at6native29vectorized_elementwise_kernelILi4EZZZNS0_16sqrt_kernel_cudaERNS_18TensorIteratorBaseEENKUlvE0_clEvENKUlvE_clEvEUldE_St5arrayIPcLm2EEEEviT0_T1_,"axG",@progbits,_ZN2at6native29vectorized_elementwise_kernelILi4EZZZNS0_16sqrt_kernel_cudaERNS_18TensorIteratorBaseEENKUlvE0_clEvENKUlvE_clEvEUldE_St5arrayIPcLm2EEEEviT0_T1_,comdat
	.globl	_ZN2at6native29vectorized_elementwise_kernelILi4EZZZNS0_16sqrt_kernel_cudaERNS_18TensorIteratorBaseEENKUlvE0_clEvENKUlvE_clEvEUldE_St5arrayIPcLm2EEEEviT0_T1_ ; -- Begin function _ZN2at6native29vectorized_elementwise_kernelILi4EZZZNS0_16sqrt_kernel_cudaERNS_18TensorIteratorBaseEENKUlvE0_clEvENKUlvE_clEvEUldE_St5arrayIPcLm2EEEEviT0_T1_
	.p2align	8
	.type	_ZN2at6native29vectorized_elementwise_kernelILi4EZZZNS0_16sqrt_kernel_cudaERNS_18TensorIteratorBaseEENKUlvE0_clEvENKUlvE_clEvEUldE_St5arrayIPcLm2EEEEviT0_T1_,@function
_ZN2at6native29vectorized_elementwise_kernelILi4EZZZNS0_16sqrt_kernel_cudaERNS_18TensorIteratorBaseEENKUlvE0_clEvENKUlvE_clEvEUldE_St5arrayIPcLm2EEEEviT0_T1_: ; @_ZN2at6native29vectorized_elementwise_kernelILi4EZZZNS0_16sqrt_kernel_cudaERNS_18TensorIteratorBaseEENKUlvE0_clEvENKUlvE_clEvEUldE_St5arrayIPcLm2EEEEviT0_T1_
; %bb.0:
	s_load_dword s3, s[0:1], 0x0
	s_load_dwordx4 s[8:11], s[0:1], 0x8
	s_lshl_b32 s6, s2, 10
	s_mov_b64 s[0:1], -1
	s_waitcnt lgkmcnt(0)
	s_sub_i32 s12, s3, s6
	s_cmpk_gt_i32 s12, 0x3ff
	s_cbranch_scc0 .LBB244_2
; %bb.1:
	s_ashr_i32 s7, s6, 31
	s_lshl_b64 s[0:1], s[6:7], 3
	s_add_u32 s2, s10, s0
	s_addc_u32 s3, s11, s1
	v_lshlrev_b32_e32 v1, 5, v0
	global_load_dwordx4 v[2:5], v1, s[2:3]
	global_load_dwordx4 v[6:9], v1, s[2:3] offset:16
	s_mov_b32 s4, 0
	s_brev_b32 s5, 8
	v_mov_b32_e32 v10, 0x100
	s_add_u32 s14, s8, s0
	s_addc_u32 s15, s9, s1
	v_mov_b32_e32 v11, 0xffffff80
	v_mov_b32_e32 v34, 0x260
	s_waitcnt vmcnt(1)
	v_cmp_gt_f64_e32 vcc, s[4:5], v[2:3]
	s_nop 1
	v_cndmask_b32_e32 v12, 0, v10, vcc
	v_cmp_gt_f64_e64 s[0:1], s[4:5], v[4:5]
	s_waitcnt vmcnt(0)
	v_cmp_gt_f64_e64 s[2:3], s[4:5], v[6:7]
	v_cmp_gt_f64_e64 s[4:5], s[4:5], v[8:9]
	v_cndmask_b32_e64 v13, 0, v10, s[0:1]
	v_cndmask_b32_e64 v14, 0, v10, s[2:3]
	;; [unrolled: 1-line block ×3, first 2 shown]
	v_ldexp_f64 v[2:3], v[2:3], v12
	v_cndmask_b32_e32 v35, 0, v11, vcc
	v_ldexp_f64 v[4:5], v[4:5], v13
	v_cndmask_b32_e64 v36, 0, v11, s[0:1]
	v_cndmask_b32_e64 v37, 0, v11, s[2:3]
	v_ldexp_f64 v[8:9], v[8:9], v10
	v_cndmask_b32_e64 v38, 0, v11, s[4:5]
	v_rsq_f64_e32 v[10:11], v[2:3]
	v_ldexp_f64 v[6:7], v[6:7], v14
	v_rsq_f64_e32 v[12:13], v[4:5]
	v_rsq_f64_e32 v[14:15], v[6:7]
	;; [unrolled: 1-line block ×3, first 2 shown]
	v_mul_f64 v[18:19], v[2:3], v[10:11]
	v_mul_f64 v[10:11], v[10:11], 0.5
	v_mul_f64 v[20:21], v[4:5], v[12:13]
	v_mul_f64 v[12:13], v[12:13], 0.5
	v_fma_f64 v[26:27], -v[10:11], v[18:19], 0.5
	v_mul_f64 v[22:23], v[6:7], v[14:15]
	v_mul_f64 v[14:15], v[14:15], 0.5
	v_fma_f64 v[28:29], -v[12:13], v[20:21], 0.5
	v_fmac_f64_e32 v[18:19], v[18:19], v[26:27]
	v_mul_f64 v[24:25], v[8:9], v[16:17]
	v_mul_f64 v[16:17], v[16:17], 0.5
	v_fma_f64 v[30:31], -v[14:15], v[22:23], 0.5
	v_fmac_f64_e32 v[10:11], v[10:11], v[26:27]
	v_fmac_f64_e32 v[20:21], v[20:21], v[28:29]
	v_fma_f64 v[26:27], -v[18:19], v[18:19], v[2:3]
	v_fma_f64 v[32:33], -v[16:17], v[24:25], 0.5
	v_fmac_f64_e32 v[12:13], v[12:13], v[28:29]
	v_fmac_f64_e32 v[22:23], v[22:23], v[30:31]
	v_fma_f64 v[28:29], -v[20:21], v[20:21], v[4:5]
	v_fmac_f64_e32 v[18:19], v[26:27], v[10:11]
	v_fmac_f64_e32 v[14:15], v[14:15], v[30:31]
	;; [unrolled: 1-line block ×3, first 2 shown]
	v_fma_f64 v[30:31], -v[22:23], v[22:23], v[6:7]
	v_fmac_f64_e32 v[20:21], v[28:29], v[12:13]
	v_fma_f64 v[26:27], -v[18:19], v[18:19], v[2:3]
	v_fmac_f64_e32 v[16:17], v[16:17], v[32:33]
	;; [unrolled: 2-line block ×4, first 2 shown]
	v_fmac_f64_e32 v[24:25], v[32:33], v[16:17]
	v_fma_f64 v[30:31], -v[22:23], v[22:23], v[6:7]
	v_fmac_f64_e32 v[20:21], v[28:29], v[12:13]
	v_ldexp_f64 v[10:11], v[18:19], v35
	v_cmp_class_f64_e32 vcc, v[2:3], v34
	v_fma_f64 v[32:33], -v[24:25], v[24:25], v[8:9]
	v_fmac_f64_e32 v[22:23], v[30:31], v[14:15]
	v_ldexp_f64 v[12:13], v[20:21], v36
	v_cndmask_b32_e32 v3, v11, v3, vcc
	v_cndmask_b32_e32 v2, v10, v2, vcc
	v_cmp_class_f64_e32 vcc, v[4:5], v34
	v_fmac_f64_e32 v[24:25], v[32:33], v[16:17]
	v_ldexp_f64 v[14:15], v[22:23], v37
	v_cndmask_b32_e32 v5, v13, v5, vcc
	v_cndmask_b32_e32 v4, v12, v4, vcc
	v_cmp_class_f64_e32 vcc, v[6:7], v34
	v_ldexp_f64 v[16:17], v[24:25], v38
	s_mov_b64 s[0:1], 0
	v_cndmask_b32_e32 v7, v15, v7, vcc
	v_cndmask_b32_e32 v6, v14, v6, vcc
	v_cmp_class_f64_e32 vcc, v[8:9], v34
	s_nop 1
	v_cndmask_b32_e32 v9, v17, v9, vcc
	v_cndmask_b32_e32 v8, v16, v8, vcc
	global_store_dwordx4 v1, v[2:5], s[14:15]
	global_store_dwordx4 v1, v[6:9], s[14:15] offset:16
.LBB244_2:
	s_andn2_b64 vcc, exec, s[0:1]
	s_cbranch_vccnz .LBB244_16
; %bb.3:
	v_cmp_gt_i32_e32 vcc, s12, v0
	v_mov_b64_e32 v[4:5], 0
	v_or_b32_e32 v2, s6, v0
	v_mov_b64_e32 v[6:7], 0
	v_mov_b32_e32 v1, v0
	s_and_saveexec_b64 s[2:3], vcc
	s_cbranch_execz .LBB244_5
; %bb.4:
	v_mov_b32_e32 v3, 0
	v_lshl_add_u64 v[6:7], v[2:3], 3, s[10:11]
	global_load_dwordx2 v[6:7], v[6:7], off
	s_mov_b32 s0, 0
	s_brev_b32 s1, 8
	v_mov_b32_e32 v3, 0x100
	v_mov_b32_e32 v14, 0x260
	v_or_b32_e32 v1, 0x100, v0
	s_waitcnt vmcnt(0)
	v_cmp_gt_f64_e64 s[0:1], s[0:1], v[6:7]
	s_nop 1
	v_cndmask_b32_e64 v3, 0, v3, s[0:1]
	v_ldexp_f64 v[6:7], v[6:7], v3
	v_rsq_f64_e32 v[8:9], v[6:7]
	v_mov_b32_e32 v3, 0xffffff80
	v_cndmask_b32_e64 v3, 0, v3, s[0:1]
	v_cmp_class_f64_e64 s[0:1], v[6:7], v14
	v_mul_f64 v[10:11], v[6:7], v[8:9]
	v_mul_f64 v[8:9], v[8:9], 0.5
	v_fma_f64 v[12:13], -v[8:9], v[10:11], 0.5
	v_fmac_f64_e32 v[10:11], v[10:11], v[12:13]
	v_fmac_f64_e32 v[8:9], v[8:9], v[12:13]
	v_fma_f64 v[12:13], -v[10:11], v[10:11], v[6:7]
	v_fmac_f64_e32 v[10:11], v[12:13], v[8:9]
	v_fma_f64 v[12:13], -v[10:11], v[10:11], v[6:7]
	v_fmac_f64_e32 v[10:11], v[12:13], v[8:9]
	v_ldexp_f64 v[8:9], v[10:11], v3
	v_cndmask_b32_e64 v7, v9, v7, s[0:1]
	v_cndmask_b32_e64 v6, v8, v6, s[0:1]
.LBB244_5:
	s_or_b64 exec, exec, s[2:3]
	v_cmp_gt_i32_e64 s[0:1], s12, v1
	s_and_saveexec_b64 s[2:3], s[0:1]
	s_cbranch_execz .LBB244_7
; %bb.6:
	v_add_u32_e32 v4, s6, v1
	v_mov_b32_e32 v5, 0
	v_lshl_add_u64 v[4:5], v[4:5], 3, s[10:11]
	global_load_dwordx2 v[4:5], v[4:5], off
	s_mov_b32 s0, 0
	s_brev_b32 s1, 8
	v_mov_b32_e32 v3, 0x100
	v_mov_b32_e32 v14, 0x260
	v_add_u32_e32 v1, 0x100, v1
	s_waitcnt vmcnt(0)
	v_cmp_gt_f64_e64 s[0:1], s[0:1], v[4:5]
	s_nop 1
	v_cndmask_b32_e64 v3, 0, v3, s[0:1]
	v_ldexp_f64 v[4:5], v[4:5], v3
	v_rsq_f64_e32 v[8:9], v[4:5]
	v_mov_b32_e32 v3, 0xffffff80
	v_cndmask_b32_e64 v3, 0, v3, s[0:1]
	v_cmp_class_f64_e64 s[0:1], v[4:5], v14
	v_mul_f64 v[10:11], v[4:5], v[8:9]
	v_mul_f64 v[8:9], v[8:9], 0.5
	v_fma_f64 v[12:13], -v[8:9], v[10:11], 0.5
	v_fmac_f64_e32 v[10:11], v[10:11], v[12:13]
	v_fmac_f64_e32 v[8:9], v[8:9], v[12:13]
	v_fma_f64 v[12:13], -v[10:11], v[10:11], v[4:5]
	v_fmac_f64_e32 v[10:11], v[12:13], v[8:9]
	v_fma_f64 v[12:13], -v[10:11], v[10:11], v[4:5]
	v_fmac_f64_e32 v[10:11], v[12:13], v[8:9]
	v_ldexp_f64 v[8:9], v[10:11], v3
	v_cndmask_b32_e64 v5, v9, v5, s[0:1]
	v_cndmask_b32_e64 v4, v8, v4, s[0:1]
.LBB244_7:
	s_or_b64 exec, exec, s[2:3]
	v_cmp_gt_i32_e64 s[0:1], s12, v1
	v_mov_b64_e32 v[8:9], 0
	v_mov_b64_e32 v[10:11], 0
	s_and_saveexec_b64 s[2:3], s[0:1]
	s_cbranch_execz .LBB244_9
; %bb.8:
	v_add_u32_e32 v10, s6, v1
	v_mov_b32_e32 v11, 0
	v_lshl_add_u64 v[10:11], v[10:11], 3, s[10:11]
	global_load_dwordx2 v[10:11], v[10:11], off
	s_mov_b32 s0, 0
	s_brev_b32 s1, 8
	v_mov_b32_e32 v3, 0x100
	v_mov_b32_e32 v18, 0x260
	v_add_u32_e32 v1, 0x100, v1
	s_waitcnt vmcnt(0)
	v_cmp_gt_f64_e64 s[0:1], s[0:1], v[10:11]
	s_nop 1
	v_cndmask_b32_e64 v3, 0, v3, s[0:1]
	v_ldexp_f64 v[10:11], v[10:11], v3
	v_rsq_f64_e32 v[12:13], v[10:11]
	v_mov_b32_e32 v3, 0xffffff80
	v_cndmask_b32_e64 v3, 0, v3, s[0:1]
	v_cmp_class_f64_e64 s[0:1], v[10:11], v18
	v_mul_f64 v[14:15], v[10:11], v[12:13]
	v_mul_f64 v[12:13], v[12:13], 0.5
	v_fma_f64 v[16:17], -v[12:13], v[14:15], 0.5
	v_fmac_f64_e32 v[14:15], v[14:15], v[16:17]
	v_fmac_f64_e32 v[12:13], v[12:13], v[16:17]
	v_fma_f64 v[16:17], -v[14:15], v[14:15], v[10:11]
	v_fmac_f64_e32 v[14:15], v[16:17], v[12:13]
	v_fma_f64 v[16:17], -v[14:15], v[14:15], v[10:11]
	v_fmac_f64_e32 v[14:15], v[16:17], v[12:13]
	v_ldexp_f64 v[12:13], v[14:15], v3
	v_cndmask_b32_e64 v11, v13, v11, s[0:1]
	v_cndmask_b32_e64 v10, v12, v10, s[0:1]
.LBB244_9:
	s_or_b64 exec, exec, s[2:3]
	v_cmp_gt_i32_e64 s[0:1], s12, v1
	s_and_saveexec_b64 s[2:3], s[0:1]
	s_cbranch_execz .LBB244_11
; %bb.10:
	v_add_u32_e32 v8, s6, v1
	v_mov_b32_e32 v9, 0
	v_lshl_add_u64 v[8:9], v[8:9], 3, s[10:11]
	global_load_dwordx2 v[8:9], v[8:9], off
	s_mov_b32 s0, 0
	s_brev_b32 s1, 8
	v_mov_b32_e32 v1, 0x100
	v_mov_b32_e32 v3, 0x260
	s_waitcnt vmcnt(0)
	v_cmp_gt_f64_e64 s[0:1], s[0:1], v[8:9]
	s_nop 1
	v_cndmask_b32_e64 v1, 0, v1, s[0:1]
	v_ldexp_f64 v[8:9], v[8:9], v1
	v_rsq_f64_e32 v[12:13], v[8:9]
	v_mov_b32_e32 v1, 0xffffff80
	v_cndmask_b32_e64 v1, 0, v1, s[0:1]
	v_cmp_class_f64_e64 s[0:1], v[8:9], v3
	v_mul_f64 v[14:15], v[8:9], v[12:13]
	v_mul_f64 v[12:13], v[12:13], 0.5
	v_fma_f64 v[16:17], -v[12:13], v[14:15], 0.5
	v_fmac_f64_e32 v[14:15], v[14:15], v[16:17]
	v_fmac_f64_e32 v[12:13], v[12:13], v[16:17]
	v_fma_f64 v[16:17], -v[14:15], v[14:15], v[8:9]
	v_fmac_f64_e32 v[14:15], v[16:17], v[12:13]
	v_fma_f64 v[16:17], -v[14:15], v[14:15], v[8:9]
	v_fmac_f64_e32 v[14:15], v[16:17], v[12:13]
	v_ldexp_f64 v[12:13], v[14:15], v1
	v_cndmask_b32_e64 v9, v13, v9, s[0:1]
	v_cndmask_b32_e64 v8, v12, v8, s[0:1]
.LBB244_11:
	s_or_b64 exec, exec, s[2:3]
	v_or_b32_e32 v1, 0x100, v0
	v_cmp_gt_i32_e64 s[0:1], s12, v1
	v_or_b32_e32 v3, 0x200, v0
	v_cndmask_b32_e32 v15, 0, v7, vcc
	v_cndmask_b32_e64 v13, 0, v5, s[0:1]
	v_cndmask_b32_e64 v12, 0, v4, s[0:1]
	v_cmp_gt_i32_e64 s[0:1], s12, v3
	v_or_b32_e32 v3, 0x300, v0
	v_cndmask_b32_e32 v14, 0, v6, vcc
	v_cndmask_b32_e64 v7, 0, v11, s[0:1]
	v_cndmask_b32_e64 v6, 0, v10, s[0:1]
	v_cmp_gt_i32_e64 s[0:1], s12, v3
	s_nop 1
	v_cndmask_b32_e64 v5, 0, v9, s[0:1]
	v_cndmask_b32_e64 v4, 0, v8, s[0:1]
	s_and_saveexec_b64 s[0:1], vcc
	s_cbranch_execnz .LBB244_17
; %bb.12:
	s_or_b64 exec, exec, s[0:1]
	v_cmp_gt_i32_e32 vcc, s12, v0
	s_and_saveexec_b64 s[0:1], vcc
	s_cbranch_execnz .LBB244_18
.LBB244_13:
	s_or_b64 exec, exec, s[0:1]
	v_cmp_gt_i32_e32 vcc, s12, v0
	s_and_saveexec_b64 s[0:1], vcc
	s_cbranch_execnz .LBB244_19
.LBB244_14:
	s_or_b64 exec, exec, s[0:1]
	v_cmp_gt_i32_e32 vcc, s12, v0
	s_and_saveexec_b64 s[0:1], vcc
	s_cbranch_execz .LBB244_16
.LBB244_15:
	v_add_u32_e32 v0, s6, v0
	v_mov_b32_e32 v1, 0
	v_lshl_add_u64 v[0:1], v[0:1], 3, s[8:9]
	global_store_dwordx2 v[0:1], v[4:5], off
.LBB244_16:
	s_endpgm
.LBB244_17:
	v_mov_b32_e32 v3, 0
	v_lshl_add_u64 v[2:3], v[2:3], 3, s[8:9]
	v_mov_b32_e32 v0, v1
	global_store_dwordx2 v[2:3], v[14:15], off
	s_or_b64 exec, exec, s[0:1]
	v_cmp_gt_i32_e32 vcc, s12, v0
	s_and_saveexec_b64 s[0:1], vcc
	s_cbranch_execz .LBB244_13
.LBB244_18:
	v_add_u32_e32 v2, s6, v0
	v_mov_b32_e32 v3, 0
	v_lshl_add_u64 v[2:3], v[2:3], 3, s[8:9]
	v_add_u32_e32 v0, 0x100, v0
	global_store_dwordx2 v[2:3], v[12:13], off
	s_or_b64 exec, exec, s[0:1]
	v_cmp_gt_i32_e32 vcc, s12, v0
	s_and_saveexec_b64 s[0:1], vcc
	s_cbranch_execz .LBB244_14
.LBB244_19:
	v_add_u32_e32 v2, s6, v0
	v_mov_b32_e32 v3, 0
	v_lshl_add_u64 v[2:3], v[2:3], 3, s[8:9]
	v_add_u32_e32 v0, 0x100, v0
	global_store_dwordx2 v[2:3], v[6:7], off
	s_or_b64 exec, exec, s[0:1]
	v_cmp_gt_i32_e32 vcc, s12, v0
	s_and_saveexec_b64 s[0:1], vcc
	s_cbranch_execnz .LBB244_15
	s_branch .LBB244_16
	.section	.rodata,"a",@progbits
	.p2align	6, 0x0
	.amdhsa_kernel _ZN2at6native29vectorized_elementwise_kernelILi4EZZZNS0_16sqrt_kernel_cudaERNS_18TensorIteratorBaseEENKUlvE0_clEvENKUlvE_clEvEUldE_St5arrayIPcLm2EEEEviT0_T1_
		.amdhsa_group_segment_fixed_size 0
		.amdhsa_private_segment_fixed_size 0
		.amdhsa_kernarg_size 24
		.amdhsa_user_sgpr_count 2
		.amdhsa_user_sgpr_dispatch_ptr 0
		.amdhsa_user_sgpr_queue_ptr 0
		.amdhsa_user_sgpr_kernarg_segment_ptr 1
		.amdhsa_user_sgpr_dispatch_id 0
		.amdhsa_user_sgpr_kernarg_preload_length 0
		.amdhsa_user_sgpr_kernarg_preload_offset 0
		.amdhsa_user_sgpr_private_segment_size 0
		.amdhsa_uses_dynamic_stack 0
		.amdhsa_enable_private_segment 0
		.amdhsa_system_sgpr_workgroup_id_x 1
		.amdhsa_system_sgpr_workgroup_id_y 0
		.amdhsa_system_sgpr_workgroup_id_z 0
		.amdhsa_system_sgpr_workgroup_info 0
		.amdhsa_system_vgpr_workitem_id 0
		.amdhsa_next_free_vgpr 39
		.amdhsa_next_free_sgpr 16
		.amdhsa_accum_offset 40
		.amdhsa_reserve_vcc 1
		.amdhsa_float_round_mode_32 0
		.amdhsa_float_round_mode_16_64 0
		.amdhsa_float_denorm_mode_32 3
		.amdhsa_float_denorm_mode_16_64 3
		.amdhsa_dx10_clamp 1
		.amdhsa_ieee_mode 1
		.amdhsa_fp16_overflow 0
		.amdhsa_tg_split 0
		.amdhsa_exception_fp_ieee_invalid_op 0
		.amdhsa_exception_fp_denorm_src 0
		.amdhsa_exception_fp_ieee_div_zero 0
		.amdhsa_exception_fp_ieee_overflow 0
		.amdhsa_exception_fp_ieee_underflow 0
		.amdhsa_exception_fp_ieee_inexact 0
		.amdhsa_exception_int_div_zero 0
	.end_amdhsa_kernel
	.section	.text._ZN2at6native29vectorized_elementwise_kernelILi4EZZZNS0_16sqrt_kernel_cudaERNS_18TensorIteratorBaseEENKUlvE0_clEvENKUlvE_clEvEUldE_St5arrayIPcLm2EEEEviT0_T1_,"axG",@progbits,_ZN2at6native29vectorized_elementwise_kernelILi4EZZZNS0_16sqrt_kernel_cudaERNS_18TensorIteratorBaseEENKUlvE0_clEvENKUlvE_clEvEUldE_St5arrayIPcLm2EEEEviT0_T1_,comdat
.Lfunc_end244:
	.size	_ZN2at6native29vectorized_elementwise_kernelILi4EZZZNS0_16sqrt_kernel_cudaERNS_18TensorIteratorBaseEENKUlvE0_clEvENKUlvE_clEvEUldE_St5arrayIPcLm2EEEEviT0_T1_, .Lfunc_end244-_ZN2at6native29vectorized_elementwise_kernelILi4EZZZNS0_16sqrt_kernel_cudaERNS_18TensorIteratorBaseEENKUlvE0_clEvENKUlvE_clEvEUldE_St5arrayIPcLm2EEEEviT0_T1_
                                        ; -- End function
	.set _ZN2at6native29vectorized_elementwise_kernelILi4EZZZNS0_16sqrt_kernel_cudaERNS_18TensorIteratorBaseEENKUlvE0_clEvENKUlvE_clEvEUldE_St5arrayIPcLm2EEEEviT0_T1_.num_vgpr, 39
	.set _ZN2at6native29vectorized_elementwise_kernelILi4EZZZNS0_16sqrt_kernel_cudaERNS_18TensorIteratorBaseEENKUlvE0_clEvENKUlvE_clEvEUldE_St5arrayIPcLm2EEEEviT0_T1_.num_agpr, 0
	.set _ZN2at6native29vectorized_elementwise_kernelILi4EZZZNS0_16sqrt_kernel_cudaERNS_18TensorIteratorBaseEENKUlvE0_clEvENKUlvE_clEvEUldE_St5arrayIPcLm2EEEEviT0_T1_.numbered_sgpr, 16
	.set _ZN2at6native29vectorized_elementwise_kernelILi4EZZZNS0_16sqrt_kernel_cudaERNS_18TensorIteratorBaseEENKUlvE0_clEvENKUlvE_clEvEUldE_St5arrayIPcLm2EEEEviT0_T1_.num_named_barrier, 0
	.set _ZN2at6native29vectorized_elementwise_kernelILi4EZZZNS0_16sqrt_kernel_cudaERNS_18TensorIteratorBaseEENKUlvE0_clEvENKUlvE_clEvEUldE_St5arrayIPcLm2EEEEviT0_T1_.private_seg_size, 0
	.set _ZN2at6native29vectorized_elementwise_kernelILi4EZZZNS0_16sqrt_kernel_cudaERNS_18TensorIteratorBaseEENKUlvE0_clEvENKUlvE_clEvEUldE_St5arrayIPcLm2EEEEviT0_T1_.uses_vcc, 1
	.set _ZN2at6native29vectorized_elementwise_kernelILi4EZZZNS0_16sqrt_kernel_cudaERNS_18TensorIteratorBaseEENKUlvE0_clEvENKUlvE_clEvEUldE_St5arrayIPcLm2EEEEviT0_T1_.uses_flat_scratch, 0
	.set _ZN2at6native29vectorized_elementwise_kernelILi4EZZZNS0_16sqrt_kernel_cudaERNS_18TensorIteratorBaseEENKUlvE0_clEvENKUlvE_clEvEUldE_St5arrayIPcLm2EEEEviT0_T1_.has_dyn_sized_stack, 0
	.set _ZN2at6native29vectorized_elementwise_kernelILi4EZZZNS0_16sqrt_kernel_cudaERNS_18TensorIteratorBaseEENKUlvE0_clEvENKUlvE_clEvEUldE_St5arrayIPcLm2EEEEviT0_T1_.has_recursion, 0
	.set _ZN2at6native29vectorized_elementwise_kernelILi4EZZZNS0_16sqrt_kernel_cudaERNS_18TensorIteratorBaseEENKUlvE0_clEvENKUlvE_clEvEUldE_St5arrayIPcLm2EEEEviT0_T1_.has_indirect_call, 0
	.section	.AMDGPU.csdata,"",@progbits
; Kernel info:
; codeLenInByte = 1800
; TotalNumSgprs: 22
; NumVgprs: 39
; NumAgprs: 0
; TotalNumVgprs: 39
; ScratchSize: 0
; MemoryBound: 0
; FloatMode: 240
; IeeeMode: 1
; LDSByteSize: 0 bytes/workgroup (compile time only)
; SGPRBlocks: 2
; VGPRBlocks: 4
; NumSGPRsForWavesPerEU: 22
; NumVGPRsForWavesPerEU: 39
; AccumOffset: 40
; Occupancy: 8
; WaveLimiterHint : 0
; COMPUTE_PGM_RSRC2:SCRATCH_EN: 0
; COMPUTE_PGM_RSRC2:USER_SGPR: 2
; COMPUTE_PGM_RSRC2:TRAP_HANDLER: 0
; COMPUTE_PGM_RSRC2:TGID_X_EN: 1
; COMPUTE_PGM_RSRC2:TGID_Y_EN: 0
; COMPUTE_PGM_RSRC2:TGID_Z_EN: 0
; COMPUTE_PGM_RSRC2:TIDIG_COMP_CNT: 0
; COMPUTE_PGM_RSRC3_GFX90A:ACCUM_OFFSET: 9
; COMPUTE_PGM_RSRC3_GFX90A:TG_SPLIT: 0
	.section	.text._ZN2at6native29vectorized_elementwise_kernelILi2EZZZNS0_16sqrt_kernel_cudaERNS_18TensorIteratorBaseEENKUlvE0_clEvENKUlvE_clEvEUldE_St5arrayIPcLm2EEEEviT0_T1_,"axG",@progbits,_ZN2at6native29vectorized_elementwise_kernelILi2EZZZNS0_16sqrt_kernel_cudaERNS_18TensorIteratorBaseEENKUlvE0_clEvENKUlvE_clEvEUldE_St5arrayIPcLm2EEEEviT0_T1_,comdat
	.globl	_ZN2at6native29vectorized_elementwise_kernelILi2EZZZNS0_16sqrt_kernel_cudaERNS_18TensorIteratorBaseEENKUlvE0_clEvENKUlvE_clEvEUldE_St5arrayIPcLm2EEEEviT0_T1_ ; -- Begin function _ZN2at6native29vectorized_elementwise_kernelILi2EZZZNS0_16sqrt_kernel_cudaERNS_18TensorIteratorBaseEENKUlvE0_clEvENKUlvE_clEvEUldE_St5arrayIPcLm2EEEEviT0_T1_
	.p2align	8
	.type	_ZN2at6native29vectorized_elementwise_kernelILi2EZZZNS0_16sqrt_kernel_cudaERNS_18TensorIteratorBaseEENKUlvE0_clEvENKUlvE_clEvEUldE_St5arrayIPcLm2EEEEviT0_T1_,@function
_ZN2at6native29vectorized_elementwise_kernelILi2EZZZNS0_16sqrt_kernel_cudaERNS_18TensorIteratorBaseEENKUlvE0_clEvENKUlvE_clEvEUldE_St5arrayIPcLm2EEEEviT0_T1_: ; @_ZN2at6native29vectorized_elementwise_kernelILi2EZZZNS0_16sqrt_kernel_cudaERNS_18TensorIteratorBaseEENKUlvE0_clEvENKUlvE_clEvEUldE_St5arrayIPcLm2EEEEviT0_T1_
; %bb.0:
	s_load_dword s3, s[0:1], 0x0
	s_load_dwordx4 s[4:7], s[0:1], 0x8
	s_lshl_b32 s2, s2, 10
	s_mov_b64 s[0:1], -1
	s_waitcnt lgkmcnt(0)
	s_sub_i32 s10, s3, s2
	s_cmpk_gt_i32 s10, 0x3ff
	s_cbranch_scc0 .LBB245_2
; %bb.1:
	s_ashr_i32 s3, s2, 31
	s_lshl_b64 s[0:1], s[2:3], 3
	s_add_u32 s8, s6, s0
	s_addc_u32 s9, s7, s1
	v_lshlrev_b32_e32 v10, 4, v0
	v_mov_b32_e32 v11, 0
	global_load_dwordx4 v[2:5], v10, s[8:9]
	v_lshl_add_u64 v[6:7], s[8:9], 0, v[10:11]
	v_add_co_u32_e32 v6, vcc, 0x1000, v6
	s_add_u32 s12, s4, s0
	s_nop 0
	v_addc_co_u32_e32 v7, vcc, 0, v7, vcc
	global_load_dwordx4 v[6:9], v[6:7], off
	s_addc_u32 s13, s5, s1
	v_lshl_add_u64 v[12:13], s[12:13], 0, v[10:11]
	s_mov_b32 s8, 0
	v_add_co_u32_e32 v12, vcc, 0x1000, v12
	s_brev_b32 s9, 8
	s_nop 0
	v_addc_co_u32_e32 v13, vcc, 0, v13, vcc
	v_mov_b32_e32 v1, 0x100
	v_mov_b32_e32 v18, 0xffffff80
	;; [unrolled: 1-line block ×3, first 2 shown]
	s_waitcnt vmcnt(1)
	v_cmp_gt_f64_e32 vcc, s[8:9], v[2:3]
	s_nop 1
	v_cndmask_b32_e32 v11, 0, v1, vcc
	v_cmp_gt_f64_e64 s[0:1], s[8:9], v[4:5]
	v_ldexp_f64 v[2:3], v[2:3], v11
	v_cndmask_b32_e32 v11, 0, v18, vcc
	v_cndmask_b32_e64 v14, 0, v1, s[0:1]
	v_ldexp_f64 v[4:5], v[4:5], v14
	v_rsq_f64_e32 v[14:15], v[2:3]
	s_waitcnt vmcnt(0)
	v_cmp_gt_f64_e32 vcc, s[8:9], v[6:7]
	v_cndmask_b32_e64 v39, 0, v18, s[0:1]
	v_rsq_f64_e32 v[16:17], v[4:5]
	v_cndmask_b32_e32 v19, 0, v1, vcc
	v_cmp_gt_f64_e64 s[0:1], s[8:9], v[8:9]
	v_ldexp_f64 v[6:7], v[6:7], v19
	v_cndmask_b32_e32 v40, 0, v18, vcc
	v_cndmask_b32_e64 v1, 0, v1, s[0:1]
	v_ldexp_f64 v[8:9], v[8:9], v1
	v_cndmask_b32_e64 v1, 0, v18, s[0:1]
	v_rsq_f64_e32 v[18:19], v[6:7]
	v_rsq_f64_e32 v[20:21], v[8:9]
	v_mul_f64 v[22:23], v[2:3], v[14:15]
	v_mul_f64 v[14:15], v[14:15], 0.5
	v_mul_f64 v[24:25], v[4:5], v[16:17]
	v_mul_f64 v[16:17], v[16:17], 0.5
	v_fma_f64 v[26:27], -v[14:15], v[22:23], 0.5
	v_fma_f64 v[28:29], -v[16:17], v[24:25], 0.5
	v_fmac_f64_e32 v[22:23], v[22:23], v[26:27]
	v_fmac_f64_e32 v[14:15], v[14:15], v[26:27]
	;; [unrolled: 1-line block ×3, first 2 shown]
	v_fma_f64 v[26:27], -v[22:23], v[22:23], v[2:3]
	v_mul_f64 v[30:31], v[6:7], v[18:19]
	v_mul_f64 v[18:19], v[18:19], 0.5
	v_fmac_f64_e32 v[16:17], v[16:17], v[28:29]
	v_fma_f64 v[28:29], -v[24:25], v[24:25], v[4:5]
	v_mul_f64 v[32:33], v[8:9], v[20:21]
	v_mul_f64 v[20:21], v[20:21], 0.5
	v_fmac_f64_e32 v[22:23], v[26:27], v[14:15]
	v_fma_f64 v[26:27], -v[18:19], v[30:31], 0.5
	v_fmac_f64_e32 v[24:25], v[28:29], v[16:17]
	v_fma_f64 v[28:29], -v[20:21], v[32:33], 0.5
	v_fma_f64 v[34:35], -v[22:23], v[22:23], v[2:3]
	v_fmac_f64_e32 v[30:31], v[30:31], v[26:27]
	v_fma_f64 v[36:37], -v[24:25], v[24:25], v[4:5]
	v_fmac_f64_e32 v[18:19], v[18:19], v[26:27]
	v_fmac_f64_e32 v[32:33], v[32:33], v[28:29]
	v_fmac_f64_e32 v[22:23], v[34:35], v[14:15]
	v_fma_f64 v[14:15], -v[30:31], v[30:31], v[6:7]
	v_fmac_f64_e32 v[20:21], v[20:21], v[28:29]
	v_fmac_f64_e32 v[24:25], v[36:37], v[16:17]
	v_fma_f64 v[16:17], -v[32:33], v[32:33], v[8:9]
	v_ldexp_f64 v[22:23], v[22:23], v11
	v_fmac_f64_e32 v[30:31], v[14:15], v[18:19]
	v_cmp_class_f64_e32 vcc, v[2:3], v38
	v_ldexp_f64 v[24:25], v[24:25], v39
	v_fmac_f64_e32 v[32:33], v[16:17], v[20:21]
	v_cndmask_b32_e32 v3, v23, v3, vcc
	v_cndmask_b32_e32 v2, v22, v2, vcc
	v_cmp_class_f64_e32 vcc, v[4:5], v38
	v_fma_f64 v[14:15], -v[30:31], v[30:31], v[6:7]
	v_fma_f64 v[16:17], -v[32:33], v[32:33], v[8:9]
	v_cndmask_b32_e32 v5, v25, v5, vcc
	v_cndmask_b32_e32 v4, v24, v4, vcc
	v_fmac_f64_e32 v[30:31], v[14:15], v[18:19]
	v_fmac_f64_e32 v[32:33], v[16:17], v[20:21]
	global_store_dwordx4 v10, v[2:5], s[12:13]
	v_cmp_class_f64_e32 vcc, v[6:7], v38
	s_mov_b64 s[0:1], 0
	v_ldexp_f64 v[2:3], v[30:31], v40
	v_ldexp_f64 v[4:5], v[32:33], v1
	v_cndmask_b32_e32 v3, v3, v7, vcc
	v_cndmask_b32_e32 v2, v2, v6, vcc
	v_cmp_class_f64_e32 vcc, v[8:9], v38
	s_nop 1
	v_cndmask_b32_e32 v5, v5, v9, vcc
	v_cndmask_b32_e32 v4, v4, v8, vcc
	global_store_dwordx4 v[12:13], v[2:5], off
.LBB245_2:
	s_andn2_b64 vcc, exec, s[0:1]
	s_cbranch_vccnz .LBB245_16
; %bb.3:
	v_cmp_gt_i32_e32 vcc, s10, v0
	v_mov_b64_e32 v[4:5], 0
	v_or_b32_e32 v2, s2, v0
	v_mov_b64_e32 v[6:7], 0
	v_mov_b32_e32 v1, v0
	s_and_saveexec_b64 s[8:9], vcc
	s_cbranch_execz .LBB245_5
; %bb.4:
	v_mov_b32_e32 v3, 0
	v_lshl_add_u64 v[6:7], v[2:3], 3, s[6:7]
	global_load_dwordx2 v[6:7], v[6:7], off
	s_mov_b32 s0, 0
	s_brev_b32 s1, 8
	v_mov_b32_e32 v3, 0x100
	v_mov_b32_e32 v14, 0x260
	v_or_b32_e32 v1, 0x100, v0
	s_waitcnt vmcnt(0)
	v_cmp_gt_f64_e64 s[0:1], s[0:1], v[6:7]
	s_nop 1
	v_cndmask_b32_e64 v3, 0, v3, s[0:1]
	v_ldexp_f64 v[6:7], v[6:7], v3
	v_rsq_f64_e32 v[8:9], v[6:7]
	v_mov_b32_e32 v3, 0xffffff80
	v_cndmask_b32_e64 v3, 0, v3, s[0:1]
	v_cmp_class_f64_e64 s[0:1], v[6:7], v14
	v_mul_f64 v[10:11], v[6:7], v[8:9]
	v_mul_f64 v[8:9], v[8:9], 0.5
	v_fma_f64 v[12:13], -v[8:9], v[10:11], 0.5
	v_fmac_f64_e32 v[10:11], v[10:11], v[12:13]
	v_fmac_f64_e32 v[8:9], v[8:9], v[12:13]
	v_fma_f64 v[12:13], -v[10:11], v[10:11], v[6:7]
	v_fmac_f64_e32 v[10:11], v[12:13], v[8:9]
	v_fma_f64 v[12:13], -v[10:11], v[10:11], v[6:7]
	v_fmac_f64_e32 v[10:11], v[12:13], v[8:9]
	v_ldexp_f64 v[8:9], v[10:11], v3
	v_cndmask_b32_e64 v7, v9, v7, s[0:1]
	v_cndmask_b32_e64 v6, v8, v6, s[0:1]
.LBB245_5:
	s_or_b64 exec, exec, s[8:9]
	v_cmp_gt_i32_e64 s[0:1], s10, v1
	s_and_saveexec_b64 s[8:9], s[0:1]
	s_cbranch_execz .LBB245_7
; %bb.6:
	v_add_u32_e32 v4, s2, v1
	v_mov_b32_e32 v5, 0
	v_lshl_add_u64 v[4:5], v[4:5], 3, s[6:7]
	global_load_dwordx2 v[4:5], v[4:5], off
	s_mov_b32 s0, 0
	s_brev_b32 s1, 8
	v_mov_b32_e32 v3, 0x100
	v_mov_b32_e32 v14, 0x260
	v_add_u32_e32 v1, 0x100, v1
	s_waitcnt vmcnt(0)
	v_cmp_gt_f64_e64 s[0:1], s[0:1], v[4:5]
	s_nop 1
	v_cndmask_b32_e64 v3, 0, v3, s[0:1]
	v_ldexp_f64 v[4:5], v[4:5], v3
	v_rsq_f64_e32 v[8:9], v[4:5]
	v_mov_b32_e32 v3, 0xffffff80
	v_cndmask_b32_e64 v3, 0, v3, s[0:1]
	v_cmp_class_f64_e64 s[0:1], v[4:5], v14
	v_mul_f64 v[10:11], v[4:5], v[8:9]
	v_mul_f64 v[8:9], v[8:9], 0.5
	v_fma_f64 v[12:13], -v[8:9], v[10:11], 0.5
	v_fmac_f64_e32 v[10:11], v[10:11], v[12:13]
	v_fmac_f64_e32 v[8:9], v[8:9], v[12:13]
	v_fma_f64 v[12:13], -v[10:11], v[10:11], v[4:5]
	v_fmac_f64_e32 v[10:11], v[12:13], v[8:9]
	v_fma_f64 v[12:13], -v[10:11], v[10:11], v[4:5]
	v_fmac_f64_e32 v[10:11], v[12:13], v[8:9]
	v_ldexp_f64 v[8:9], v[10:11], v3
	v_cndmask_b32_e64 v5, v9, v5, s[0:1]
	v_cndmask_b32_e64 v4, v8, v4, s[0:1]
.LBB245_7:
	s_or_b64 exec, exec, s[8:9]
	v_cmp_gt_i32_e64 s[0:1], s10, v1
	v_mov_b64_e32 v[8:9], 0
	v_mov_b64_e32 v[10:11], 0
	s_and_saveexec_b64 s[8:9], s[0:1]
	s_cbranch_execz .LBB245_9
; %bb.8:
	v_add_u32_e32 v10, s2, v1
	v_mov_b32_e32 v11, 0
	v_lshl_add_u64 v[10:11], v[10:11], 3, s[6:7]
	global_load_dwordx2 v[10:11], v[10:11], off
	s_mov_b32 s0, 0
	s_brev_b32 s1, 8
	v_mov_b32_e32 v3, 0x100
	v_mov_b32_e32 v18, 0x260
	v_add_u32_e32 v1, 0x100, v1
	s_waitcnt vmcnt(0)
	v_cmp_gt_f64_e64 s[0:1], s[0:1], v[10:11]
	s_nop 1
	v_cndmask_b32_e64 v3, 0, v3, s[0:1]
	v_ldexp_f64 v[10:11], v[10:11], v3
	v_rsq_f64_e32 v[12:13], v[10:11]
	v_mov_b32_e32 v3, 0xffffff80
	v_cndmask_b32_e64 v3, 0, v3, s[0:1]
	v_cmp_class_f64_e64 s[0:1], v[10:11], v18
	v_mul_f64 v[14:15], v[10:11], v[12:13]
	v_mul_f64 v[12:13], v[12:13], 0.5
	v_fma_f64 v[16:17], -v[12:13], v[14:15], 0.5
	v_fmac_f64_e32 v[14:15], v[14:15], v[16:17]
	v_fmac_f64_e32 v[12:13], v[12:13], v[16:17]
	v_fma_f64 v[16:17], -v[14:15], v[14:15], v[10:11]
	v_fmac_f64_e32 v[14:15], v[16:17], v[12:13]
	v_fma_f64 v[16:17], -v[14:15], v[14:15], v[10:11]
	v_fmac_f64_e32 v[14:15], v[16:17], v[12:13]
	v_ldexp_f64 v[12:13], v[14:15], v3
	v_cndmask_b32_e64 v11, v13, v11, s[0:1]
	v_cndmask_b32_e64 v10, v12, v10, s[0:1]
.LBB245_9:
	s_or_b64 exec, exec, s[8:9]
	v_cmp_gt_i32_e64 s[0:1], s10, v1
	s_and_saveexec_b64 s[8:9], s[0:1]
	s_cbranch_execz .LBB245_11
; %bb.10:
	v_add_u32_e32 v8, s2, v1
	v_mov_b32_e32 v9, 0
	v_lshl_add_u64 v[8:9], v[8:9], 3, s[6:7]
	global_load_dwordx2 v[8:9], v[8:9], off
	s_mov_b32 s0, 0
	s_brev_b32 s1, 8
	v_mov_b32_e32 v1, 0x100
	v_mov_b32_e32 v3, 0x260
	s_waitcnt vmcnt(0)
	v_cmp_gt_f64_e64 s[0:1], s[0:1], v[8:9]
	s_nop 1
	v_cndmask_b32_e64 v1, 0, v1, s[0:1]
	v_ldexp_f64 v[8:9], v[8:9], v1
	v_rsq_f64_e32 v[12:13], v[8:9]
	v_mov_b32_e32 v1, 0xffffff80
	v_cndmask_b32_e64 v1, 0, v1, s[0:1]
	v_cmp_class_f64_e64 s[0:1], v[8:9], v3
	v_mul_f64 v[14:15], v[8:9], v[12:13]
	v_mul_f64 v[12:13], v[12:13], 0.5
	v_fma_f64 v[16:17], -v[12:13], v[14:15], 0.5
	v_fmac_f64_e32 v[14:15], v[14:15], v[16:17]
	v_fmac_f64_e32 v[12:13], v[12:13], v[16:17]
	v_fma_f64 v[16:17], -v[14:15], v[14:15], v[8:9]
	v_fmac_f64_e32 v[14:15], v[16:17], v[12:13]
	v_fma_f64 v[16:17], -v[14:15], v[14:15], v[8:9]
	v_fmac_f64_e32 v[14:15], v[16:17], v[12:13]
	v_ldexp_f64 v[12:13], v[14:15], v1
	v_cndmask_b32_e64 v9, v13, v9, s[0:1]
	v_cndmask_b32_e64 v8, v12, v8, s[0:1]
.LBB245_11:
	s_or_b64 exec, exec, s[8:9]
	v_or_b32_e32 v1, 0x100, v0
	v_cmp_gt_i32_e64 s[0:1], s10, v1
	v_or_b32_e32 v3, 0x200, v0
	v_cndmask_b32_e32 v15, 0, v7, vcc
	v_cndmask_b32_e64 v13, 0, v5, s[0:1]
	v_cndmask_b32_e64 v12, 0, v4, s[0:1]
	v_cmp_gt_i32_e64 s[0:1], s10, v3
	v_or_b32_e32 v3, 0x300, v0
	v_cndmask_b32_e32 v14, 0, v6, vcc
	v_cndmask_b32_e64 v7, 0, v11, s[0:1]
	v_cndmask_b32_e64 v6, 0, v10, s[0:1]
	v_cmp_gt_i32_e64 s[0:1], s10, v3
	s_nop 1
	v_cndmask_b32_e64 v5, 0, v9, s[0:1]
	v_cndmask_b32_e64 v4, 0, v8, s[0:1]
	s_and_saveexec_b64 s[0:1], vcc
	s_cbranch_execnz .LBB245_17
; %bb.12:
	s_or_b64 exec, exec, s[0:1]
	v_cmp_gt_i32_e32 vcc, s10, v0
	s_and_saveexec_b64 s[0:1], vcc
	s_cbranch_execnz .LBB245_18
.LBB245_13:
	s_or_b64 exec, exec, s[0:1]
	v_cmp_gt_i32_e32 vcc, s10, v0
	s_and_saveexec_b64 s[0:1], vcc
	s_cbranch_execnz .LBB245_19
.LBB245_14:
	s_or_b64 exec, exec, s[0:1]
	v_cmp_gt_i32_e32 vcc, s10, v0
	s_and_saveexec_b64 s[0:1], vcc
	s_cbranch_execz .LBB245_16
.LBB245_15:
	v_add_u32_e32 v0, s2, v0
	v_mov_b32_e32 v1, 0
	v_lshl_add_u64 v[0:1], v[0:1], 3, s[4:5]
	global_store_dwordx2 v[0:1], v[4:5], off
.LBB245_16:
	s_endpgm
.LBB245_17:
	v_mov_b32_e32 v3, 0
	v_lshl_add_u64 v[2:3], v[2:3], 3, s[4:5]
	v_mov_b32_e32 v0, v1
	global_store_dwordx2 v[2:3], v[14:15], off
	s_or_b64 exec, exec, s[0:1]
	v_cmp_gt_i32_e32 vcc, s10, v0
	s_and_saveexec_b64 s[0:1], vcc
	s_cbranch_execz .LBB245_13
.LBB245_18:
	v_add_u32_e32 v2, s2, v0
	v_mov_b32_e32 v3, 0
	v_lshl_add_u64 v[2:3], v[2:3], 3, s[4:5]
	v_add_u32_e32 v0, 0x100, v0
	global_store_dwordx2 v[2:3], v[12:13], off
	s_or_b64 exec, exec, s[0:1]
	v_cmp_gt_i32_e32 vcc, s10, v0
	s_and_saveexec_b64 s[0:1], vcc
	s_cbranch_execz .LBB245_14
.LBB245_19:
	v_add_u32_e32 v2, s2, v0
	v_mov_b32_e32 v3, 0
	v_lshl_add_u64 v[2:3], v[2:3], 3, s[4:5]
	v_add_u32_e32 v0, 0x100, v0
	global_store_dwordx2 v[2:3], v[6:7], off
	s_or_b64 exec, exec, s[0:1]
	v_cmp_gt_i32_e32 vcc, s10, v0
	s_and_saveexec_b64 s[0:1], vcc
	s_cbranch_execnz .LBB245_15
	s_branch .LBB245_16
	.section	.rodata,"a",@progbits
	.p2align	6, 0x0
	.amdhsa_kernel _ZN2at6native29vectorized_elementwise_kernelILi2EZZZNS0_16sqrt_kernel_cudaERNS_18TensorIteratorBaseEENKUlvE0_clEvENKUlvE_clEvEUldE_St5arrayIPcLm2EEEEviT0_T1_
		.amdhsa_group_segment_fixed_size 0
		.amdhsa_private_segment_fixed_size 0
		.amdhsa_kernarg_size 24
		.amdhsa_user_sgpr_count 2
		.amdhsa_user_sgpr_dispatch_ptr 0
		.amdhsa_user_sgpr_queue_ptr 0
		.amdhsa_user_sgpr_kernarg_segment_ptr 1
		.amdhsa_user_sgpr_dispatch_id 0
		.amdhsa_user_sgpr_kernarg_preload_length 0
		.amdhsa_user_sgpr_kernarg_preload_offset 0
		.amdhsa_user_sgpr_private_segment_size 0
		.amdhsa_uses_dynamic_stack 0
		.amdhsa_enable_private_segment 0
		.amdhsa_system_sgpr_workgroup_id_x 1
		.amdhsa_system_sgpr_workgroup_id_y 0
		.amdhsa_system_sgpr_workgroup_id_z 0
		.amdhsa_system_sgpr_workgroup_info 0
		.amdhsa_system_vgpr_workitem_id 0
		.amdhsa_next_free_vgpr 41
		.amdhsa_next_free_sgpr 14
		.amdhsa_accum_offset 44
		.amdhsa_reserve_vcc 1
		.amdhsa_float_round_mode_32 0
		.amdhsa_float_round_mode_16_64 0
		.amdhsa_float_denorm_mode_32 3
		.amdhsa_float_denorm_mode_16_64 3
		.amdhsa_dx10_clamp 1
		.amdhsa_ieee_mode 1
		.amdhsa_fp16_overflow 0
		.amdhsa_tg_split 0
		.amdhsa_exception_fp_ieee_invalid_op 0
		.amdhsa_exception_fp_denorm_src 0
		.amdhsa_exception_fp_ieee_div_zero 0
		.amdhsa_exception_fp_ieee_overflow 0
		.amdhsa_exception_fp_ieee_underflow 0
		.amdhsa_exception_fp_ieee_inexact 0
		.amdhsa_exception_int_div_zero 0
	.end_amdhsa_kernel
	.section	.text._ZN2at6native29vectorized_elementwise_kernelILi2EZZZNS0_16sqrt_kernel_cudaERNS_18TensorIteratorBaseEENKUlvE0_clEvENKUlvE_clEvEUldE_St5arrayIPcLm2EEEEviT0_T1_,"axG",@progbits,_ZN2at6native29vectorized_elementwise_kernelILi2EZZZNS0_16sqrt_kernel_cudaERNS_18TensorIteratorBaseEENKUlvE0_clEvENKUlvE_clEvEUldE_St5arrayIPcLm2EEEEviT0_T1_,comdat
.Lfunc_end245:
	.size	_ZN2at6native29vectorized_elementwise_kernelILi2EZZZNS0_16sqrt_kernel_cudaERNS_18TensorIteratorBaseEENKUlvE0_clEvENKUlvE_clEvEUldE_St5arrayIPcLm2EEEEviT0_T1_, .Lfunc_end245-_ZN2at6native29vectorized_elementwise_kernelILi2EZZZNS0_16sqrt_kernel_cudaERNS_18TensorIteratorBaseEENKUlvE0_clEvENKUlvE_clEvEUldE_St5arrayIPcLm2EEEEviT0_T1_
                                        ; -- End function
	.set _ZN2at6native29vectorized_elementwise_kernelILi2EZZZNS0_16sqrt_kernel_cudaERNS_18TensorIteratorBaseEENKUlvE0_clEvENKUlvE_clEvEUldE_St5arrayIPcLm2EEEEviT0_T1_.num_vgpr, 41
	.set _ZN2at6native29vectorized_elementwise_kernelILi2EZZZNS0_16sqrt_kernel_cudaERNS_18TensorIteratorBaseEENKUlvE0_clEvENKUlvE_clEvEUldE_St5arrayIPcLm2EEEEviT0_T1_.num_agpr, 0
	.set _ZN2at6native29vectorized_elementwise_kernelILi2EZZZNS0_16sqrt_kernel_cudaERNS_18TensorIteratorBaseEENKUlvE0_clEvENKUlvE_clEvEUldE_St5arrayIPcLm2EEEEviT0_T1_.numbered_sgpr, 14
	.set _ZN2at6native29vectorized_elementwise_kernelILi2EZZZNS0_16sqrt_kernel_cudaERNS_18TensorIteratorBaseEENKUlvE0_clEvENKUlvE_clEvEUldE_St5arrayIPcLm2EEEEviT0_T1_.num_named_barrier, 0
	.set _ZN2at6native29vectorized_elementwise_kernelILi2EZZZNS0_16sqrt_kernel_cudaERNS_18TensorIteratorBaseEENKUlvE0_clEvENKUlvE_clEvEUldE_St5arrayIPcLm2EEEEviT0_T1_.private_seg_size, 0
	.set _ZN2at6native29vectorized_elementwise_kernelILi2EZZZNS0_16sqrt_kernel_cudaERNS_18TensorIteratorBaseEENKUlvE0_clEvENKUlvE_clEvEUldE_St5arrayIPcLm2EEEEviT0_T1_.uses_vcc, 1
	.set _ZN2at6native29vectorized_elementwise_kernelILi2EZZZNS0_16sqrt_kernel_cudaERNS_18TensorIteratorBaseEENKUlvE0_clEvENKUlvE_clEvEUldE_St5arrayIPcLm2EEEEviT0_T1_.uses_flat_scratch, 0
	.set _ZN2at6native29vectorized_elementwise_kernelILi2EZZZNS0_16sqrt_kernel_cudaERNS_18TensorIteratorBaseEENKUlvE0_clEvENKUlvE_clEvEUldE_St5arrayIPcLm2EEEEviT0_T1_.has_dyn_sized_stack, 0
	.set _ZN2at6native29vectorized_elementwise_kernelILi2EZZZNS0_16sqrt_kernel_cudaERNS_18TensorIteratorBaseEENKUlvE0_clEvENKUlvE_clEvEUldE_St5arrayIPcLm2EEEEviT0_T1_.has_recursion, 0
	.set _ZN2at6native29vectorized_elementwise_kernelILi2EZZZNS0_16sqrt_kernel_cudaERNS_18TensorIteratorBaseEENKUlvE0_clEvENKUlvE_clEvEUldE_St5arrayIPcLm2EEEEviT0_T1_.has_indirect_call, 0
	.section	.AMDGPU.csdata,"",@progbits
; Kernel info:
; codeLenInByte = 1840
; TotalNumSgprs: 20
; NumVgprs: 41
; NumAgprs: 0
; TotalNumVgprs: 41
; ScratchSize: 0
; MemoryBound: 0
; FloatMode: 240
; IeeeMode: 1
; LDSByteSize: 0 bytes/workgroup (compile time only)
; SGPRBlocks: 2
; VGPRBlocks: 5
; NumSGPRsForWavesPerEU: 20
; NumVGPRsForWavesPerEU: 41
; AccumOffset: 44
; Occupancy: 8
; WaveLimiterHint : 1
; COMPUTE_PGM_RSRC2:SCRATCH_EN: 0
; COMPUTE_PGM_RSRC2:USER_SGPR: 2
; COMPUTE_PGM_RSRC2:TRAP_HANDLER: 0
; COMPUTE_PGM_RSRC2:TGID_X_EN: 1
; COMPUTE_PGM_RSRC2:TGID_Y_EN: 0
; COMPUTE_PGM_RSRC2:TGID_Z_EN: 0
; COMPUTE_PGM_RSRC2:TIDIG_COMP_CNT: 0
; COMPUTE_PGM_RSRC3_GFX90A:ACCUM_OFFSET: 10
; COMPUTE_PGM_RSRC3_GFX90A:TG_SPLIT: 0
	.section	.text._ZN2at6native27unrolled_elementwise_kernelIZZZNS0_16sqrt_kernel_cudaERNS_18TensorIteratorBaseEENKUlvE0_clEvENKUlvE_clEvEUldE_St5arrayIPcLm2EELi4E23TrivialOffsetCalculatorILi1EjESB_NS0_6memory15LoadWithoutCastENSC_16StoreWithoutCastEEEviT_T0_T2_T3_T4_T5_,"axG",@progbits,_ZN2at6native27unrolled_elementwise_kernelIZZZNS0_16sqrt_kernel_cudaERNS_18TensorIteratorBaseEENKUlvE0_clEvENKUlvE_clEvEUldE_St5arrayIPcLm2EELi4E23TrivialOffsetCalculatorILi1EjESB_NS0_6memory15LoadWithoutCastENSC_16StoreWithoutCastEEEviT_T0_T2_T3_T4_T5_,comdat
	.globl	_ZN2at6native27unrolled_elementwise_kernelIZZZNS0_16sqrt_kernel_cudaERNS_18TensorIteratorBaseEENKUlvE0_clEvENKUlvE_clEvEUldE_St5arrayIPcLm2EELi4E23TrivialOffsetCalculatorILi1EjESB_NS0_6memory15LoadWithoutCastENSC_16StoreWithoutCastEEEviT_T0_T2_T3_T4_T5_ ; -- Begin function _ZN2at6native27unrolled_elementwise_kernelIZZZNS0_16sqrt_kernel_cudaERNS_18TensorIteratorBaseEENKUlvE0_clEvENKUlvE_clEvEUldE_St5arrayIPcLm2EELi4E23TrivialOffsetCalculatorILi1EjESB_NS0_6memory15LoadWithoutCastENSC_16StoreWithoutCastEEEviT_T0_T2_T3_T4_T5_
	.p2align	8
	.type	_ZN2at6native27unrolled_elementwise_kernelIZZZNS0_16sqrt_kernel_cudaERNS_18TensorIteratorBaseEENKUlvE0_clEvENKUlvE_clEvEUldE_St5arrayIPcLm2EELi4E23TrivialOffsetCalculatorILi1EjESB_NS0_6memory15LoadWithoutCastENSC_16StoreWithoutCastEEEviT_T0_T2_T3_T4_T5_,@function
_ZN2at6native27unrolled_elementwise_kernelIZZZNS0_16sqrt_kernel_cudaERNS_18TensorIteratorBaseEENKUlvE0_clEvENKUlvE_clEvEUldE_St5arrayIPcLm2EELi4E23TrivialOffsetCalculatorILi1EjESB_NS0_6memory15LoadWithoutCastENSC_16StoreWithoutCastEEEviT_T0_T2_T3_T4_T5_: ; @_ZN2at6native27unrolled_elementwise_kernelIZZZNS0_16sqrt_kernel_cudaERNS_18TensorIteratorBaseEENKUlvE0_clEvENKUlvE_clEvEUldE_St5arrayIPcLm2EELi4E23TrivialOffsetCalculatorILi1EjESB_NS0_6memory15LoadWithoutCastENSC_16StoreWithoutCastEEEviT_T0_T2_T3_T4_T5_
; %bb.0:
	s_load_dword s3, s[0:1], 0x0
	s_load_dwordx4 s[4:7], s[0:1], 0x8
	s_lshl_b32 s8, s2, 10
	v_mov_b64_e32 v[4:5], 0
	v_or_b32_e32 v2, s8, v0
	s_waitcnt lgkmcnt(0)
	s_sub_i32 s9, s3, s8
	v_cmp_gt_i32_e32 vcc, s9, v0
	v_mov_b64_e32 v[6:7], 0
	v_mov_b32_e32 v1, v0
	s_and_saveexec_b64 s[2:3], vcc
	s_cbranch_execz .LBB246_2
; %bb.1:
	v_mov_b32_e32 v3, 0
	v_lshl_add_u64 v[6:7], v[2:3], 3, s[6:7]
	global_load_dwordx2 v[6:7], v[6:7], off
	s_mov_b32 s0, 0
	s_brev_b32 s1, 8
	v_mov_b32_e32 v3, 0x100
	v_mov_b32_e32 v14, 0x260
	v_or_b32_e32 v1, 0x100, v0
	s_waitcnt vmcnt(0)
	v_cmp_gt_f64_e64 s[0:1], s[0:1], v[6:7]
	s_nop 1
	v_cndmask_b32_e64 v3, 0, v3, s[0:1]
	v_ldexp_f64 v[6:7], v[6:7], v3
	v_rsq_f64_e32 v[8:9], v[6:7]
	v_mov_b32_e32 v3, 0xffffff80
	v_cndmask_b32_e64 v3, 0, v3, s[0:1]
	v_cmp_class_f64_e64 s[0:1], v[6:7], v14
	v_mul_f64 v[10:11], v[6:7], v[8:9]
	v_mul_f64 v[8:9], v[8:9], 0.5
	v_fma_f64 v[12:13], -v[8:9], v[10:11], 0.5
	v_fmac_f64_e32 v[10:11], v[10:11], v[12:13]
	v_fmac_f64_e32 v[8:9], v[8:9], v[12:13]
	v_fma_f64 v[12:13], -v[10:11], v[10:11], v[6:7]
	v_fmac_f64_e32 v[10:11], v[12:13], v[8:9]
	v_fma_f64 v[12:13], -v[10:11], v[10:11], v[6:7]
	v_fmac_f64_e32 v[10:11], v[12:13], v[8:9]
	v_ldexp_f64 v[8:9], v[10:11], v3
	v_cndmask_b32_e64 v7, v9, v7, s[0:1]
	v_cndmask_b32_e64 v6, v8, v6, s[0:1]
.LBB246_2:
	s_or_b64 exec, exec, s[2:3]
	v_cmp_gt_i32_e64 s[0:1], s9, v1
	s_and_saveexec_b64 s[2:3], s[0:1]
	s_cbranch_execz .LBB246_4
; %bb.3:
	v_add_u32_e32 v4, s8, v1
	v_mov_b32_e32 v5, 0
	v_lshl_add_u64 v[4:5], v[4:5], 3, s[6:7]
	global_load_dwordx2 v[4:5], v[4:5], off
	s_mov_b32 s0, 0
	s_brev_b32 s1, 8
	v_mov_b32_e32 v3, 0x100
	v_mov_b32_e32 v14, 0x260
	v_add_u32_e32 v1, 0x100, v1
	s_waitcnt vmcnt(0)
	v_cmp_gt_f64_e64 s[0:1], s[0:1], v[4:5]
	s_nop 1
	v_cndmask_b32_e64 v3, 0, v3, s[0:1]
	v_ldexp_f64 v[4:5], v[4:5], v3
	v_rsq_f64_e32 v[8:9], v[4:5]
	v_mov_b32_e32 v3, 0xffffff80
	v_cndmask_b32_e64 v3, 0, v3, s[0:1]
	v_cmp_class_f64_e64 s[0:1], v[4:5], v14
	v_mul_f64 v[10:11], v[4:5], v[8:9]
	v_mul_f64 v[8:9], v[8:9], 0.5
	v_fma_f64 v[12:13], -v[8:9], v[10:11], 0.5
	v_fmac_f64_e32 v[10:11], v[10:11], v[12:13]
	v_fmac_f64_e32 v[8:9], v[8:9], v[12:13]
	v_fma_f64 v[12:13], -v[10:11], v[10:11], v[4:5]
	v_fmac_f64_e32 v[10:11], v[12:13], v[8:9]
	v_fma_f64 v[12:13], -v[10:11], v[10:11], v[4:5]
	v_fmac_f64_e32 v[10:11], v[12:13], v[8:9]
	v_ldexp_f64 v[8:9], v[10:11], v3
	v_cndmask_b32_e64 v5, v9, v5, s[0:1]
	v_cndmask_b32_e64 v4, v8, v4, s[0:1]
.LBB246_4:
	s_or_b64 exec, exec, s[2:3]
	v_cmp_gt_i32_e64 s[0:1], s9, v1
	v_mov_b64_e32 v[8:9], 0
	v_mov_b64_e32 v[10:11], 0
	s_and_saveexec_b64 s[2:3], s[0:1]
	s_cbranch_execz .LBB246_6
; %bb.5:
	v_add_u32_e32 v10, s8, v1
	v_mov_b32_e32 v11, 0
	v_lshl_add_u64 v[10:11], v[10:11], 3, s[6:7]
	global_load_dwordx2 v[10:11], v[10:11], off
	s_mov_b32 s0, 0
	s_brev_b32 s1, 8
	v_mov_b32_e32 v3, 0x100
	v_mov_b32_e32 v18, 0x260
	v_add_u32_e32 v1, 0x100, v1
	s_waitcnt vmcnt(0)
	v_cmp_gt_f64_e64 s[0:1], s[0:1], v[10:11]
	s_nop 1
	v_cndmask_b32_e64 v3, 0, v3, s[0:1]
	v_ldexp_f64 v[10:11], v[10:11], v3
	v_rsq_f64_e32 v[12:13], v[10:11]
	v_mov_b32_e32 v3, 0xffffff80
	v_cndmask_b32_e64 v3, 0, v3, s[0:1]
	v_cmp_class_f64_e64 s[0:1], v[10:11], v18
	v_mul_f64 v[14:15], v[10:11], v[12:13]
	v_mul_f64 v[12:13], v[12:13], 0.5
	v_fma_f64 v[16:17], -v[12:13], v[14:15], 0.5
	v_fmac_f64_e32 v[14:15], v[14:15], v[16:17]
	v_fmac_f64_e32 v[12:13], v[12:13], v[16:17]
	v_fma_f64 v[16:17], -v[14:15], v[14:15], v[10:11]
	v_fmac_f64_e32 v[14:15], v[16:17], v[12:13]
	v_fma_f64 v[16:17], -v[14:15], v[14:15], v[10:11]
	v_fmac_f64_e32 v[14:15], v[16:17], v[12:13]
	v_ldexp_f64 v[12:13], v[14:15], v3
	v_cndmask_b32_e64 v11, v13, v11, s[0:1]
	v_cndmask_b32_e64 v10, v12, v10, s[0:1]
.LBB246_6:
	s_or_b64 exec, exec, s[2:3]
	v_cmp_gt_i32_e64 s[0:1], s9, v1
	s_and_saveexec_b64 s[2:3], s[0:1]
	s_cbranch_execz .LBB246_8
; %bb.7:
	v_add_u32_e32 v8, s8, v1
	v_mov_b32_e32 v9, 0
	v_lshl_add_u64 v[8:9], v[8:9], 3, s[6:7]
	global_load_dwordx2 v[8:9], v[8:9], off
	s_mov_b32 s0, 0
	s_brev_b32 s1, 8
	v_mov_b32_e32 v1, 0x100
	v_mov_b32_e32 v3, 0x260
	s_waitcnt vmcnt(0)
	v_cmp_gt_f64_e64 s[0:1], s[0:1], v[8:9]
	s_nop 1
	v_cndmask_b32_e64 v1, 0, v1, s[0:1]
	v_ldexp_f64 v[8:9], v[8:9], v1
	v_rsq_f64_e32 v[12:13], v[8:9]
	v_mov_b32_e32 v1, 0xffffff80
	v_cndmask_b32_e64 v1, 0, v1, s[0:1]
	v_cmp_class_f64_e64 s[0:1], v[8:9], v3
	v_mul_f64 v[14:15], v[8:9], v[12:13]
	v_mul_f64 v[12:13], v[12:13], 0.5
	v_fma_f64 v[16:17], -v[12:13], v[14:15], 0.5
	v_fmac_f64_e32 v[14:15], v[14:15], v[16:17]
	v_fmac_f64_e32 v[12:13], v[12:13], v[16:17]
	v_fma_f64 v[16:17], -v[14:15], v[14:15], v[8:9]
	v_fmac_f64_e32 v[14:15], v[16:17], v[12:13]
	v_fma_f64 v[16:17], -v[14:15], v[14:15], v[8:9]
	v_fmac_f64_e32 v[14:15], v[16:17], v[12:13]
	v_ldexp_f64 v[12:13], v[14:15], v1
	v_cndmask_b32_e64 v9, v13, v9, s[0:1]
	v_cndmask_b32_e64 v8, v12, v8, s[0:1]
.LBB246_8:
	s_or_b64 exec, exec, s[2:3]
	v_or_b32_e32 v1, 0x100, v0
	v_cmp_gt_i32_e64 s[0:1], s9, v1
	v_or_b32_e32 v3, 0x200, v0
	v_cndmask_b32_e32 v15, 0, v7, vcc
	v_cndmask_b32_e64 v13, 0, v5, s[0:1]
	v_cndmask_b32_e64 v12, 0, v4, s[0:1]
	v_cmp_gt_i32_e64 s[0:1], s9, v3
	v_or_b32_e32 v3, 0x300, v0
	v_cndmask_b32_e32 v14, 0, v6, vcc
	v_cndmask_b32_e64 v7, 0, v11, s[0:1]
	v_cndmask_b32_e64 v6, 0, v10, s[0:1]
	v_cmp_gt_i32_e64 s[0:1], s9, v3
	s_nop 1
	v_cndmask_b32_e64 v5, 0, v9, s[0:1]
	v_cndmask_b32_e64 v4, 0, v8, s[0:1]
	s_and_saveexec_b64 s[0:1], vcc
	s_cbranch_execnz .LBB246_13
; %bb.9:
	s_or_b64 exec, exec, s[0:1]
	v_cmp_gt_i32_e32 vcc, s9, v0
	s_and_saveexec_b64 s[0:1], vcc
	s_cbranch_execnz .LBB246_14
.LBB246_10:
	s_or_b64 exec, exec, s[0:1]
	v_cmp_gt_i32_e32 vcc, s9, v0
	s_and_saveexec_b64 s[0:1], vcc
	s_cbranch_execnz .LBB246_15
.LBB246_11:
	s_or_b64 exec, exec, s[0:1]
	v_cmp_gt_i32_e32 vcc, s9, v0
	s_and_saveexec_b64 s[0:1], vcc
	s_cbranch_execnz .LBB246_16
.LBB246_12:
	s_endpgm
.LBB246_13:
	v_mov_b32_e32 v3, 0
	v_lshl_add_u64 v[2:3], v[2:3], 3, s[4:5]
	v_mov_b32_e32 v0, v1
	global_store_dwordx2 v[2:3], v[14:15], off
	s_or_b64 exec, exec, s[0:1]
	v_cmp_gt_i32_e32 vcc, s9, v0
	s_and_saveexec_b64 s[0:1], vcc
	s_cbranch_execz .LBB246_10
.LBB246_14:
	v_add_u32_e32 v2, 0x100, v0
	v_add_u32_e32 v0, s8, v0
	v_mov_b32_e32 v1, 0
	v_lshl_add_u64 v[0:1], v[0:1], 3, s[4:5]
	global_store_dwordx2 v[0:1], v[12:13], off
	v_mov_b32_e32 v0, v2
	s_or_b64 exec, exec, s[0:1]
	v_cmp_gt_i32_e32 vcc, s9, v0
	s_and_saveexec_b64 s[0:1], vcc
	s_cbranch_execz .LBB246_11
.LBB246_15:
	v_add_u32_e32 v2, 0x100, v0
	v_add_u32_e32 v0, s8, v0
	v_mov_b32_e32 v1, 0
	v_lshl_add_u64 v[0:1], v[0:1], 3, s[4:5]
	global_store_dwordx2 v[0:1], v[6:7], off
	v_mov_b32_e32 v0, v2
	s_or_b64 exec, exec, s[0:1]
	v_cmp_gt_i32_e32 vcc, s9, v0
	s_and_saveexec_b64 s[0:1], vcc
	s_cbranch_execz .LBB246_12
.LBB246_16:
	v_add_u32_e32 v0, s8, v0
	v_mov_b32_e32 v1, 0
	v_lshl_add_u64 v[0:1], v[0:1], 3, s[4:5]
	global_store_dwordx2 v[0:1], v[4:5], off
	s_endpgm
	.section	.rodata,"a",@progbits
	.p2align	6, 0x0
	.amdhsa_kernel _ZN2at6native27unrolled_elementwise_kernelIZZZNS0_16sqrt_kernel_cudaERNS_18TensorIteratorBaseEENKUlvE0_clEvENKUlvE_clEvEUldE_St5arrayIPcLm2EELi4E23TrivialOffsetCalculatorILi1EjESB_NS0_6memory15LoadWithoutCastENSC_16StoreWithoutCastEEEviT_T0_T2_T3_T4_T5_
		.amdhsa_group_segment_fixed_size 0
		.amdhsa_private_segment_fixed_size 0
		.amdhsa_kernarg_size 28
		.amdhsa_user_sgpr_count 2
		.amdhsa_user_sgpr_dispatch_ptr 0
		.amdhsa_user_sgpr_queue_ptr 0
		.amdhsa_user_sgpr_kernarg_segment_ptr 1
		.amdhsa_user_sgpr_dispatch_id 0
		.amdhsa_user_sgpr_kernarg_preload_length 0
		.amdhsa_user_sgpr_kernarg_preload_offset 0
		.amdhsa_user_sgpr_private_segment_size 0
		.amdhsa_uses_dynamic_stack 0
		.amdhsa_enable_private_segment 0
		.amdhsa_system_sgpr_workgroup_id_x 1
		.amdhsa_system_sgpr_workgroup_id_y 0
		.amdhsa_system_sgpr_workgroup_id_z 0
		.amdhsa_system_sgpr_workgroup_info 0
		.amdhsa_system_vgpr_workitem_id 0
		.amdhsa_next_free_vgpr 19
		.amdhsa_next_free_sgpr 10
		.amdhsa_accum_offset 20
		.amdhsa_reserve_vcc 1
		.amdhsa_float_round_mode_32 0
		.amdhsa_float_round_mode_16_64 0
		.amdhsa_float_denorm_mode_32 3
		.amdhsa_float_denorm_mode_16_64 3
		.amdhsa_dx10_clamp 1
		.amdhsa_ieee_mode 1
		.amdhsa_fp16_overflow 0
		.amdhsa_tg_split 0
		.amdhsa_exception_fp_ieee_invalid_op 0
		.amdhsa_exception_fp_denorm_src 0
		.amdhsa_exception_fp_ieee_div_zero 0
		.amdhsa_exception_fp_ieee_overflow 0
		.amdhsa_exception_fp_ieee_underflow 0
		.amdhsa_exception_fp_ieee_inexact 0
		.amdhsa_exception_int_div_zero 0
	.end_amdhsa_kernel
	.section	.text._ZN2at6native27unrolled_elementwise_kernelIZZZNS0_16sqrt_kernel_cudaERNS_18TensorIteratorBaseEENKUlvE0_clEvENKUlvE_clEvEUldE_St5arrayIPcLm2EELi4E23TrivialOffsetCalculatorILi1EjESB_NS0_6memory15LoadWithoutCastENSC_16StoreWithoutCastEEEviT_T0_T2_T3_T4_T5_,"axG",@progbits,_ZN2at6native27unrolled_elementwise_kernelIZZZNS0_16sqrt_kernel_cudaERNS_18TensorIteratorBaseEENKUlvE0_clEvENKUlvE_clEvEUldE_St5arrayIPcLm2EELi4E23TrivialOffsetCalculatorILi1EjESB_NS0_6memory15LoadWithoutCastENSC_16StoreWithoutCastEEEviT_T0_T2_T3_T4_T5_,comdat
.Lfunc_end246:
	.size	_ZN2at6native27unrolled_elementwise_kernelIZZZNS0_16sqrt_kernel_cudaERNS_18TensorIteratorBaseEENKUlvE0_clEvENKUlvE_clEvEUldE_St5arrayIPcLm2EELi4E23TrivialOffsetCalculatorILi1EjESB_NS0_6memory15LoadWithoutCastENSC_16StoreWithoutCastEEEviT_T0_T2_T3_T4_T5_, .Lfunc_end246-_ZN2at6native27unrolled_elementwise_kernelIZZZNS0_16sqrt_kernel_cudaERNS_18TensorIteratorBaseEENKUlvE0_clEvENKUlvE_clEvEUldE_St5arrayIPcLm2EELi4E23TrivialOffsetCalculatorILi1EjESB_NS0_6memory15LoadWithoutCastENSC_16StoreWithoutCastEEEviT_T0_T2_T3_T4_T5_
                                        ; -- End function
	.set _ZN2at6native27unrolled_elementwise_kernelIZZZNS0_16sqrt_kernel_cudaERNS_18TensorIteratorBaseEENKUlvE0_clEvENKUlvE_clEvEUldE_St5arrayIPcLm2EELi4E23TrivialOffsetCalculatorILi1EjESB_NS0_6memory15LoadWithoutCastENSC_16StoreWithoutCastEEEviT_T0_T2_T3_T4_T5_.num_vgpr, 19
	.set _ZN2at6native27unrolled_elementwise_kernelIZZZNS0_16sqrt_kernel_cudaERNS_18TensorIteratorBaseEENKUlvE0_clEvENKUlvE_clEvEUldE_St5arrayIPcLm2EELi4E23TrivialOffsetCalculatorILi1EjESB_NS0_6memory15LoadWithoutCastENSC_16StoreWithoutCastEEEviT_T0_T2_T3_T4_T5_.num_agpr, 0
	.set _ZN2at6native27unrolled_elementwise_kernelIZZZNS0_16sqrt_kernel_cudaERNS_18TensorIteratorBaseEENKUlvE0_clEvENKUlvE_clEvEUldE_St5arrayIPcLm2EELi4E23TrivialOffsetCalculatorILi1EjESB_NS0_6memory15LoadWithoutCastENSC_16StoreWithoutCastEEEviT_T0_T2_T3_T4_T5_.numbered_sgpr, 10
	.set _ZN2at6native27unrolled_elementwise_kernelIZZZNS0_16sqrt_kernel_cudaERNS_18TensorIteratorBaseEENKUlvE0_clEvENKUlvE_clEvEUldE_St5arrayIPcLm2EELi4E23TrivialOffsetCalculatorILi1EjESB_NS0_6memory15LoadWithoutCastENSC_16StoreWithoutCastEEEviT_T0_T2_T3_T4_T5_.num_named_barrier, 0
	.set _ZN2at6native27unrolled_elementwise_kernelIZZZNS0_16sqrt_kernel_cudaERNS_18TensorIteratorBaseEENKUlvE0_clEvENKUlvE_clEvEUldE_St5arrayIPcLm2EELi4E23TrivialOffsetCalculatorILi1EjESB_NS0_6memory15LoadWithoutCastENSC_16StoreWithoutCastEEEviT_T0_T2_T3_T4_T5_.private_seg_size, 0
	.set _ZN2at6native27unrolled_elementwise_kernelIZZZNS0_16sqrt_kernel_cudaERNS_18TensorIteratorBaseEENKUlvE0_clEvENKUlvE_clEvEUldE_St5arrayIPcLm2EELi4E23TrivialOffsetCalculatorILi1EjESB_NS0_6memory15LoadWithoutCastENSC_16StoreWithoutCastEEEviT_T0_T2_T3_T4_T5_.uses_vcc, 1
	.set _ZN2at6native27unrolled_elementwise_kernelIZZZNS0_16sqrt_kernel_cudaERNS_18TensorIteratorBaseEENKUlvE0_clEvENKUlvE_clEvEUldE_St5arrayIPcLm2EELi4E23TrivialOffsetCalculatorILi1EjESB_NS0_6memory15LoadWithoutCastENSC_16StoreWithoutCastEEEviT_T0_T2_T3_T4_T5_.uses_flat_scratch, 0
	.set _ZN2at6native27unrolled_elementwise_kernelIZZZNS0_16sqrt_kernel_cudaERNS_18TensorIteratorBaseEENKUlvE0_clEvENKUlvE_clEvEUldE_St5arrayIPcLm2EELi4E23TrivialOffsetCalculatorILi1EjESB_NS0_6memory15LoadWithoutCastENSC_16StoreWithoutCastEEEviT_T0_T2_T3_T4_T5_.has_dyn_sized_stack, 0
	.set _ZN2at6native27unrolled_elementwise_kernelIZZZNS0_16sqrt_kernel_cudaERNS_18TensorIteratorBaseEENKUlvE0_clEvENKUlvE_clEvEUldE_St5arrayIPcLm2EELi4E23TrivialOffsetCalculatorILi1EjESB_NS0_6memory15LoadWithoutCastENSC_16StoreWithoutCastEEEviT_T0_T2_T3_T4_T5_.has_recursion, 0
	.set _ZN2at6native27unrolled_elementwise_kernelIZZZNS0_16sqrt_kernel_cudaERNS_18TensorIteratorBaseEENKUlvE0_clEvENKUlvE_clEvEUldE_St5arrayIPcLm2EELi4E23TrivialOffsetCalculatorILi1EjESB_NS0_6memory15LoadWithoutCastENSC_16StoreWithoutCastEEEviT_T0_T2_T3_T4_T5_.has_indirect_call, 0
	.section	.AMDGPU.csdata,"",@progbits
; Kernel info:
; codeLenInByte = 1240
; TotalNumSgprs: 16
; NumVgprs: 19
; NumAgprs: 0
; TotalNumVgprs: 19
; ScratchSize: 0
; MemoryBound: 0
; FloatMode: 240
; IeeeMode: 1
; LDSByteSize: 0 bytes/workgroup (compile time only)
; SGPRBlocks: 1
; VGPRBlocks: 2
; NumSGPRsForWavesPerEU: 16
; NumVGPRsForWavesPerEU: 19
; AccumOffset: 20
; Occupancy: 8
; WaveLimiterHint : 0
; COMPUTE_PGM_RSRC2:SCRATCH_EN: 0
; COMPUTE_PGM_RSRC2:USER_SGPR: 2
; COMPUTE_PGM_RSRC2:TRAP_HANDLER: 0
; COMPUTE_PGM_RSRC2:TGID_X_EN: 1
; COMPUTE_PGM_RSRC2:TGID_Y_EN: 0
; COMPUTE_PGM_RSRC2:TGID_Z_EN: 0
; COMPUTE_PGM_RSRC2:TIDIG_COMP_CNT: 0
; COMPUTE_PGM_RSRC3_GFX90A:ACCUM_OFFSET: 4
; COMPUTE_PGM_RSRC3_GFX90A:TG_SPLIT: 0
	.section	.text._ZN2at6native32elementwise_kernel_manual_unrollILi128ELi4EZNS0_22gpu_kernel_impl_nocastIZZZNS0_16sqrt_kernel_cudaERNS_18TensorIteratorBaseEENKUlvE0_clEvENKUlvE_clEvEUldE_EEvS4_RKT_EUlibE_EEviT1_,"axG",@progbits,_ZN2at6native32elementwise_kernel_manual_unrollILi128ELi4EZNS0_22gpu_kernel_impl_nocastIZZZNS0_16sqrt_kernel_cudaERNS_18TensorIteratorBaseEENKUlvE0_clEvENKUlvE_clEvEUldE_EEvS4_RKT_EUlibE_EEviT1_,comdat
	.globl	_ZN2at6native32elementwise_kernel_manual_unrollILi128ELi4EZNS0_22gpu_kernel_impl_nocastIZZZNS0_16sqrt_kernel_cudaERNS_18TensorIteratorBaseEENKUlvE0_clEvENKUlvE_clEvEUldE_EEvS4_RKT_EUlibE_EEviT1_ ; -- Begin function _ZN2at6native32elementwise_kernel_manual_unrollILi128ELi4EZNS0_22gpu_kernel_impl_nocastIZZZNS0_16sqrt_kernel_cudaERNS_18TensorIteratorBaseEENKUlvE0_clEvENKUlvE_clEvEUldE_EEvS4_RKT_EUlibE_EEviT1_
	.p2align	8
	.type	_ZN2at6native32elementwise_kernel_manual_unrollILi128ELi4EZNS0_22gpu_kernel_impl_nocastIZZZNS0_16sqrt_kernel_cudaERNS_18TensorIteratorBaseEENKUlvE0_clEvENKUlvE_clEvEUldE_EEvS4_RKT_EUlibE_EEviT1_,@function
_ZN2at6native32elementwise_kernel_manual_unrollILi128ELi4EZNS0_22gpu_kernel_impl_nocastIZZZNS0_16sqrt_kernel_cudaERNS_18TensorIteratorBaseEENKUlvE0_clEvENKUlvE_clEvEUldE_EEvS4_RKT_EUlibE_EEviT1_: ; @_ZN2at6native32elementwise_kernel_manual_unrollILi128ELi4EZNS0_22gpu_kernel_impl_nocastIZZZNS0_16sqrt_kernel_cudaERNS_18TensorIteratorBaseEENKUlvE0_clEvENKUlvE_clEvEUldE_EEvS4_RKT_EUlibE_EEviT1_
; %bb.0:
	s_load_dword s55, s[0:1], 0x0
	s_load_dword s33, s[0:1], 0x8
	s_add_u32 s34, s0, 8
	s_addc_u32 s35, s1, 0
	v_lshl_or_b32 v8, s2, 9, v0
	v_or_b32_e32 v16, 0x180, v8
	s_waitcnt lgkmcnt(0)
	s_add_i32 s54, s33, -1
	s_cmp_gt_u32 s54, 1
	v_cmp_le_i32_e32 vcc, s55, v16
	s_cselect_b64 s[36:37], -1, 0
	s_and_saveexec_b64 s[0:1], vcc
	s_xor_b64 s[38:39], exec, s[0:1]
	s_cbranch_execz .LBB247_8
; %bb.1:
	s_load_dwordx4 s[24:27], s[34:35], 0x4
	s_load_dwordx2 s[40:41], s[34:35], 0x14
	s_load_dwordx4 s[20:23], s[34:35], 0xc4
	s_load_dwordx4 s[16:19], s[34:35], 0x148
	s_cmp_lg_u32 s33, 0
	s_cselect_b64 s[46:47], -1, 0
	s_add_u32 s44, s34, 0xc4
	s_addc_u32 s45, s35, 0
	s_min_u32 s56, s54, 15
	s_cmp_gt_u32 s33, 1
	s_cselect_b64 s[42:43], -1, 0
	v_cmp_gt_i32_e32 vcc, s55, v8
	s_and_saveexec_b64 s[48:49], vcc
	s_cbranch_execz .LBB247_15
; %bb.2:
	s_andn2_b64 vcc, exec, s[36:37]
	s_cbranch_vccnz .LBB247_23
; %bb.3:
	s_andn2_b64 vcc, exec, s[46:47]
	s_cbranch_vccnz .LBB247_75
; %bb.4:
	s_add_i32 s58, s56, 1
	s_cmp_eq_u32 s54, 2
	s_cbranch_scc1 .LBB247_77
; %bb.5:
	s_and_b32 s57, s58, 28
	s_mov_b32 s59, 0
	v_mov_b32_e32 v0, 0
	v_mov_b32_e32 v2, 0
	s_mov_b64 s[50:51], s[34:35]
	s_mov_b64 s[52:53], s[44:45]
	v_mov_b32_e32 v4, v8
.LBB247_6:                              ; =>This Inner Loop Header: Depth=1
	s_load_dwordx8 s[8:15], s[50:51], 0x4
	s_load_dwordx4 s[28:31], s[50:51], 0x24
	s_load_dwordx8 s[0:7], s[52:53], 0x0
	s_add_u32 s50, s50, 48
	s_addc_u32 s51, s51, 0
	s_waitcnt lgkmcnt(0)
	v_mul_hi_u32 v1, s9, v4
	v_add_u32_e32 v1, v4, v1
	v_lshrrev_b32_e32 v1, s10, v1
	v_mul_lo_u32 v3, v1, s8
	v_mul_hi_u32 v5, s12, v1
	v_sub_u32_e32 v3, v4, v3
	v_add_u32_e32 v4, v1, v5
	v_lshrrev_b32_e32 v4, s13, v4
	v_mul_lo_u32 v6, v4, s11
	v_mul_hi_u32 v7, s15, v4
	v_sub_u32_e32 v1, v1, v6
	v_add_u32_e32 v6, v4, v7
	v_mul_lo_u32 v5, v3, s1
	v_mul_lo_u32 v3, v3, s0
	;; [unrolled: 1-line block ×4, first 2 shown]
	v_lshrrev_b32_e32 v6, s28, v6
	v_add3_u32 v0, v3, v0, v1
	v_mul_hi_u32 v3, s30, v6
	v_add3_u32 v1, v5, v2, v7
	v_mul_lo_u32 v2, v6, s14
	v_add_u32_e32 v3, v6, v3
	v_sub_u32_e32 v2, v4, v2
	v_lshrrev_b32_e32 v4, s31, v3
	s_add_i32 s59, s59, 4
	v_mul_lo_u32 v3, v4, s29
	s_add_u32 s52, s52, 32
	v_sub_u32_e32 v3, v6, v3
	s_addc_u32 s53, s53, 0
	v_mul_lo_u32 v5, v2, s4
	v_mul_lo_u32 v2, v2, s5
	;; [unrolled: 1-line block ×4, first 2 shown]
	s_cmp_lg_u32 s57, s59
	v_add3_u32 v2, v2, v1, v3
	v_add3_u32 v0, v5, v0, v6
	s_cbranch_scc1 .LBB247_6
; %bb.7:
	v_mov_b32_e32 v1, v2
	s_branch .LBB247_78
.LBB247_8:
	s_andn2_saveexec_b64 s[0:1], s[38:39]
	s_cbranch_execz .LBB247_104
.LBB247_9:
	v_cndmask_b32_e64 v0, 0, 1, s[36:37]
	v_cmp_ne_u32_e64 s[0:1], 1, v0
	s_andn2_b64 vcc, exec, s[36:37]
	s_cbranch_vccnz .LBB247_22
; %bb.10:
	s_cmp_lg_u32 s33, 0
	s_waitcnt lgkmcnt(0)
	s_mov_b32 s26, 0
	s_cbranch_scc0 .LBB247_25
; %bb.11:
	s_min_u32 s27, s54, 15
	s_add_i32 s27, s27, 1
	s_cmp_eq_u32 s54, 2
	s_cbranch_scc1 .LBB247_26
; %bb.12:
	s_and_b32 s26, s27, 28
	s_add_u32 s2, s34, 0xc4
	s_addc_u32 s3, s35, 0
	s_mov_b32 s28, 0
	v_mov_b32_e32 v0, 0
	v_mov_b32_e32 v2, 0
	s_mov_b64 s[24:25], s[34:35]
	v_mov_b32_e32 v4, v8
.LBB247_13:                             ; =>This Inner Loop Header: Depth=1
	s_load_dwordx8 s[12:19], s[24:25], 0x4
	s_load_dwordx4 s[20:23], s[24:25], 0x24
	s_load_dwordx8 s[4:11], s[2:3], 0x0
	s_add_u32 s24, s24, 48
	s_addc_u32 s25, s25, 0
	s_waitcnt lgkmcnt(0)
	v_mul_hi_u32 v1, s13, v4
	v_add_u32_e32 v1, v4, v1
	v_lshrrev_b32_e32 v1, s14, v1
	v_mul_lo_u32 v3, v1, s12
	v_mul_hi_u32 v5, s16, v1
	v_sub_u32_e32 v3, v4, v3
	v_add_u32_e32 v4, v1, v5
	v_lshrrev_b32_e32 v4, s17, v4
	v_mul_lo_u32 v6, v4, s15
	v_mul_hi_u32 v7, s19, v4
	v_sub_u32_e32 v1, v1, v6
	v_add_u32_e32 v6, v4, v7
	v_mul_lo_u32 v5, v3, s5
	v_mul_lo_u32 v3, v3, s4
	;; [unrolled: 1-line block ×4, first 2 shown]
	v_lshrrev_b32_e32 v6, s20, v6
	v_add3_u32 v0, v3, v0, v1
	v_mul_hi_u32 v3, s22, v6
	v_add3_u32 v1, v5, v2, v7
	v_mul_lo_u32 v2, v6, s18
	v_add_u32_e32 v3, v6, v3
	v_sub_u32_e32 v2, v4, v2
	v_lshrrev_b32_e32 v4, s23, v3
	s_add_i32 s28, s28, 4
	v_mul_lo_u32 v3, v4, s21
	s_add_u32 s2, s2, 32
	v_sub_u32_e32 v3, v6, v3
	s_addc_u32 s3, s3, 0
	v_mul_lo_u32 v5, v2, s8
	v_mul_lo_u32 v2, v2, s9
	;; [unrolled: 1-line block ×4, first 2 shown]
	s_cmp_lg_u32 s26, s28
	v_add3_u32 v2, v2, v1, v3
	v_add3_u32 v0, v5, v0, v6
	s_cbranch_scc1 .LBB247_13
; %bb.14:
	v_mov_b32_e32 v1, v2
	s_and_b32 s6, s27, 3
	s_cmp_eq_u32 s6, 0
	s_cbranch_scc0 .LBB247_27
	s_branch .LBB247_29
.LBB247_15:
	s_or_b64 exec, exec, s[48:49]
	v_cmp_gt_i32_e32 vcc, s55, v8
	s_and_saveexec_b64 s[48:49], vcc
	s_cbranch_execz .LBB247_85
.LBB247_16:
	s_andn2_b64 vcc, exec, s[36:37]
	s_cbranch_vccnz .LBB247_24
; %bb.17:
	s_andn2_b64 vcc, exec, s[46:47]
	s_cbranch_vccnz .LBB247_76
; %bb.18:
	s_add_i32 s58, s56, 1
	s_cmp_eq_u32 s54, 2
	s_cbranch_scc1 .LBB247_94
; %bb.19:
	s_and_b32 s57, s58, 28
	s_mov_b32 s59, 0
	v_mov_b32_e32 v0, 0
	v_mov_b32_e32 v2, 0
	s_mov_b64 s[50:51], s[34:35]
	s_mov_b64 s[52:53], s[44:45]
	v_mov_b32_e32 v4, v8
.LBB247_20:                             ; =>This Inner Loop Header: Depth=1
	s_load_dwordx8 s[8:15], s[50:51], 0x4
	s_load_dwordx4 s[28:31], s[50:51], 0x24
	s_load_dwordx8 s[0:7], s[52:53], 0x0
	s_add_u32 s50, s50, 48
	s_addc_u32 s51, s51, 0
	s_waitcnt lgkmcnt(0)
	v_mul_hi_u32 v1, s9, v4
	v_add_u32_e32 v1, v4, v1
	v_lshrrev_b32_e32 v1, s10, v1
	v_mul_lo_u32 v3, v1, s8
	v_mul_hi_u32 v5, s12, v1
	v_sub_u32_e32 v3, v4, v3
	v_add_u32_e32 v4, v1, v5
	v_lshrrev_b32_e32 v4, s13, v4
	v_mul_lo_u32 v6, v4, s11
	v_mul_hi_u32 v7, s15, v4
	v_sub_u32_e32 v1, v1, v6
	v_add_u32_e32 v6, v4, v7
	v_mul_lo_u32 v5, v3, s1
	v_mul_lo_u32 v3, v3, s0
	v_mul_lo_u32 v7, v1, s3
	v_mul_lo_u32 v1, v1, s2
	v_lshrrev_b32_e32 v6, s28, v6
	v_add3_u32 v0, v3, v0, v1
	v_mul_hi_u32 v3, s30, v6
	v_add3_u32 v1, v5, v2, v7
	v_mul_lo_u32 v2, v6, s14
	v_add_u32_e32 v3, v6, v3
	v_sub_u32_e32 v2, v4, v2
	v_lshrrev_b32_e32 v4, s31, v3
	s_add_i32 s59, s59, 4
	v_mul_lo_u32 v3, v4, s29
	s_add_u32 s52, s52, 32
	v_sub_u32_e32 v3, v6, v3
	s_addc_u32 s53, s53, 0
	v_mul_lo_u32 v5, v2, s4
	v_mul_lo_u32 v2, v2, s5
	;; [unrolled: 1-line block ×4, first 2 shown]
	s_cmp_eq_u32 s57, s59
	v_add3_u32 v2, v2, v1, v3
	v_add3_u32 v0, v5, v0, v6
	s_cbranch_scc0 .LBB247_20
; %bb.21:
	v_mov_b32_e32 v1, v2
	s_branch .LBB247_95
.LBB247_22:
                                        ; implicit-def: $vgpr2
                                        ; implicit-def: $vgpr0
	s_branch .LBB247_30
.LBB247_23:
                                        ; implicit-def: $vgpr2
                                        ; implicit-def: $vgpr0
	s_branch .LBB247_82
.LBB247_24:
                                        ; implicit-def: $vgpr2
                                        ; implicit-def: $vgpr0
	s_branch .LBB247_99
.LBB247_25:
	v_mov_b32_e32 v2, 0
	v_mov_b32_e32 v0, 0
	s_branch .LBB247_29
.LBB247_26:
	v_mov_b32_e32 v0, 0
                                        ; implicit-def: $vgpr2
	v_mov_b32_e32 v1, v0
	v_mov_b32_e32 v4, v8
	s_and_b32 s6, s27, 3
	s_cmp_eq_u32 s6, 0
	s_cbranch_scc1 .LBB247_29
.LBB247_27:
	s_lshl_b32 s2, s26, 3
	s_add_u32 s2, s34, s2
	s_addc_u32 s3, s35, 0
	s_add_u32 s2, s2, 0xc4
	s_addc_u32 s3, s3, 0
	s_mul_i32 s4, s26, 12
	s_add_u32 s4, s34, s4
	s_addc_u32 s5, s35, 0
.LBB247_28:                             ; =>This Inner Loop Header: Depth=1
	s_load_dwordx2 s[8:9], s[4:5], 0x4
	s_load_dword s7, s[4:5], 0xc
	s_load_dwordx2 s[10:11], s[2:3], 0x0
	v_mov_b32_e32 v2, v1
	s_add_u32 s4, s4, 12
	s_waitcnt lgkmcnt(0)
	v_mul_hi_u32 v1, s9, v4
	v_add_u32_e32 v1, v4, v1
	v_lshrrev_b32_e32 v1, s7, v1
	s_addc_u32 s5, s5, 0
	v_mul_lo_u32 v3, v1, s8
	s_add_u32 s2, s2, 8
	v_sub_u32_e32 v5, v4, v3
	s_addc_u32 s3, s3, 0
	s_add_i32 s6, s6, -1
	v_mov_b32_e32 v4, v1
	v_mad_u64_u32 v[2:3], s[8:9], v5, s11, v[2:3]
	v_mad_u64_u32 v[0:1], s[8:9], v5, s10, v[0:1]
	s_cmp_lg_u32 s6, 0
	v_mov_b32_e32 v1, v2
	s_cbranch_scc1 .LBB247_28
.LBB247_29:
	s_cbranch_execnz .LBB247_32
.LBB247_30:
	s_load_dwordx4 s[4:7], s[34:35], 0x4
	s_load_dwordx2 s[2:3], s[34:35], 0xc4
	s_cmp_lt_u32 s33, 2
	s_waitcnt lgkmcnt(0)
	v_mul_hi_u32 v0, s5, v8
	v_add_u32_e32 v0, v8, v0
	v_lshrrev_b32_e32 v1, s6, v0
	v_mul_lo_u32 v0, v1, s4
	v_sub_u32_e32 v0, v8, v0
	v_mul_lo_u32 v2, v0, s3
	v_mul_lo_u32 v0, v0, s2
	s_cbranch_scc1 .LBB247_32
; %bb.31:
	s_load_dwordx4 s[4:7], s[34:35], 0x10
	s_load_dwordx2 s[2:3], s[34:35], 0xcc
	s_waitcnt lgkmcnt(0)
	v_mul_hi_u32 v3, s5, v1
	v_add_u32_e32 v3, v1, v3
	v_lshrrev_b32_e32 v3, s6, v3
	v_mul_lo_u32 v3, v3, s4
	v_sub_u32_e32 v3, v1, v3
	v_mad_u64_u32 v[0:1], s[4:5], v3, s2, v[0:1]
	v_mad_u64_u32 v[2:3], s[2:3], v3, s3, v[2:3]
.LBB247_32:
	s_and_b64 vcc, exec, s[0:1]
	v_add_u32_e32 v3, 0x80, v8
	s_cbranch_vccnz .LBB247_38
; %bb.33:
	s_cmp_lg_u32 s33, 0
	s_waitcnt lgkmcnt(0)
	s_mov_b32 s26, 0
	s_cbranch_scc0 .LBB247_39
; %bb.34:
	s_min_u32 s27, s54, 15
	s_add_i32 s27, s27, 1
	s_cmp_eq_u32 s54, 2
	s_cbranch_scc1 .LBB247_40
; %bb.35:
	s_and_b32 s26, s27, 28
	s_add_u32 s2, s34, 0xc4
	s_addc_u32 s3, s35, 0
	s_mov_b32 s28, 0
	v_mov_b32_e32 v4, 0
	v_mov_b32_e32 v6, 0
	s_mov_b64 s[24:25], s[34:35]
	v_mov_b32_e32 v9, v3
.LBB247_36:                             ; =>This Inner Loop Header: Depth=1
	s_load_dwordx8 s[12:19], s[24:25], 0x4
	s_load_dwordx4 s[20:23], s[24:25], 0x24
	s_load_dwordx8 s[4:11], s[2:3], 0x0
	s_add_u32 s24, s24, 48
	s_addc_u32 s25, s25, 0
	s_waitcnt lgkmcnt(0)
	v_mul_hi_u32 v1, s13, v9
	v_add_u32_e32 v1, v9, v1
	v_lshrrev_b32_e32 v1, s14, v1
	v_mul_hi_u32 v7, s16, v1
	v_add_u32_e32 v7, v1, v7
	v_lshrrev_b32_e32 v7, s17, v7
	v_mul_lo_u32 v5, v1, s12
	v_mul_lo_u32 v10, v7, s15
	v_mul_hi_u32 v11, s19, v7
	v_sub_u32_e32 v5, v9, v5
	v_sub_u32_e32 v1, v1, v10
	v_add_u32_e32 v10, v7, v11
	v_mul_lo_u32 v9, v5, s5
	v_mul_lo_u32 v5, v5, s4
	;; [unrolled: 1-line block ×4, first 2 shown]
	v_lshrrev_b32_e32 v10, s20, v10
	v_add3_u32 v1, v5, v4, v1
	v_add3_u32 v4, v9, v6, v11
	v_mul_hi_u32 v6, s22, v10
	v_add_u32_e32 v6, v10, v6
	v_lshrrev_b32_e32 v9, s23, v6
	s_add_i32 s28, s28, 4
	v_mul_lo_u32 v5, v10, s18
	v_mul_lo_u32 v6, v9, s21
	s_add_u32 s2, s2, 32
	v_sub_u32_e32 v5, v7, v5
	v_sub_u32_e32 v6, v10, v6
	s_addc_u32 s3, s3, 0
	v_mul_lo_u32 v7, v5, s8
	v_mul_lo_u32 v5, v5, s9
	;; [unrolled: 1-line block ×4, first 2 shown]
	s_cmp_lg_u32 s26, s28
	v_add3_u32 v6, v5, v4, v6
	v_add3_u32 v4, v7, v1, v10
	s_cbranch_scc1 .LBB247_36
; %bb.37:
	v_mov_b32_e32 v1, v6
	s_and_b32 s6, s27, 3
	s_cmp_eq_u32 s6, 0
	s_cbranch_scc0 .LBB247_41
	s_branch .LBB247_43
.LBB247_38:
                                        ; implicit-def: $vgpr6
                                        ; implicit-def: $vgpr4
	s_branch .LBB247_44
.LBB247_39:
	v_mov_b32_e32 v6, 0
	v_mov_b32_e32 v4, 0
	s_branch .LBB247_43
.LBB247_40:
	v_mov_b32_e32 v4, 0
                                        ; implicit-def: $vgpr6
	v_mov_b32_e32 v1, v4
	v_mov_b32_e32 v9, v3
	s_and_b32 s6, s27, 3
	s_cmp_eq_u32 s6, 0
	s_cbranch_scc1 .LBB247_43
.LBB247_41:
	s_lshl_b32 s2, s26, 3
	s_add_u32 s2, s34, s2
	s_addc_u32 s3, s35, 0
	s_add_u32 s2, s2, 0xc4
	s_addc_u32 s3, s3, 0
	s_mul_i32 s4, s26, 12
	s_add_u32 s4, s34, s4
	s_addc_u32 s5, s35, 0
.LBB247_42:                             ; =>This Inner Loop Header: Depth=1
	s_load_dwordx2 s[8:9], s[4:5], 0x4
	s_load_dword s7, s[4:5], 0xc
	s_load_dwordx2 s[10:11], s[2:3], 0x0
	v_mov_b32_e32 v6, v1
	s_add_u32 s4, s4, 12
	s_waitcnt lgkmcnt(0)
	v_mul_hi_u32 v1, s9, v9
	v_add_u32_e32 v1, v9, v1
	v_lshrrev_b32_e32 v1, s7, v1
	s_addc_u32 s5, s5, 0
	v_mul_lo_u32 v5, v1, s8
	s_add_u32 s2, s2, 8
	v_sub_u32_e32 v5, v9, v5
	s_addc_u32 s3, s3, 0
	s_add_i32 s6, s6, -1
	v_mad_u64_u32 v[6:7], s[8:9], v5, s11, v[6:7]
	s_cmp_lg_u32 s6, 0
	v_mov_b32_e32 v9, v1
	v_mad_u64_u32 v[4:5], s[8:9], v5, s10, v[4:5]
	v_mov_b32_e32 v1, v6
	s_cbranch_scc1 .LBB247_42
.LBB247_43:
	s_cbranch_execnz .LBB247_46
.LBB247_44:
	s_load_dwordx4 s[4:7], s[34:35], 0x4
	s_load_dwordx2 s[2:3], s[34:35], 0xc4
	s_cmp_lt_u32 s33, 2
	s_waitcnt lgkmcnt(0)
	v_mul_hi_u32 v1, s5, v3
	v_add_u32_e32 v1, v3, v1
	v_lshrrev_b32_e32 v1, s6, v1
	v_mul_lo_u32 v4, v1, s4
	v_sub_u32_e32 v3, v3, v4
	v_mul_lo_u32 v6, v3, s3
	v_mul_lo_u32 v4, v3, s2
	s_cbranch_scc1 .LBB247_46
; %bb.45:
	s_load_dwordx4 s[4:7], s[34:35], 0x10
	s_load_dwordx2 s[2:3], s[34:35], 0xcc
	s_waitcnt lgkmcnt(0)
	v_mul_hi_u32 v3, s5, v1
	v_add_u32_e32 v3, v1, v3
	v_lshrrev_b32_e32 v3, s6, v3
	v_mul_lo_u32 v3, v3, s4
	v_sub_u32_e32 v1, v1, v3
	v_mad_u64_u32 v[4:5], s[4:5], v1, s2, v[4:5]
	v_mad_u64_u32 v[6:7], s[2:3], v1, s3, v[6:7]
.LBB247_46:
	s_and_b64 vcc, exec, s[0:1]
	v_add_u32_e32 v3, 0x100, v8
	s_cbranch_vccnz .LBB247_52
; %bb.47:
	s_cmp_lg_u32 s33, 0
	s_waitcnt lgkmcnt(0)
	s_mov_b32 s26, 0
	s_cbranch_scc0 .LBB247_53
; %bb.48:
	s_min_u32 s27, s54, 15
	s_add_i32 s27, s27, 1
	s_cmp_eq_u32 s54, 2
	s_cbranch_scc1 .LBB247_54
; %bb.49:
	s_and_b32 s26, s27, 28
	s_add_u32 s2, s34, 0xc4
	s_addc_u32 s3, s35, 0
	s_mov_b32 s28, 0
	v_mov_b32_e32 v8, 0
	v_mov_b32_e32 v10, 0
	s_mov_b64 s[24:25], s[34:35]
	v_mov_b32_e32 v5, v3
.LBB247_50:                             ; =>This Inner Loop Header: Depth=1
	s_load_dwordx8 s[12:19], s[24:25], 0x4
	s_load_dwordx4 s[20:23], s[24:25], 0x24
	s_load_dwordx8 s[4:11], s[2:3], 0x0
	s_add_u32 s24, s24, 48
	s_addc_u32 s25, s25, 0
	s_waitcnt lgkmcnt(0)
	v_mul_hi_u32 v1, s13, v5
	v_add_u32_e32 v1, v5, v1
	v_lshrrev_b32_e32 v1, s14, v1
	v_mul_lo_u32 v7, v1, s12
	v_mul_hi_u32 v9, s16, v1
	v_sub_u32_e32 v5, v5, v7
	v_add_u32_e32 v7, v1, v9
	v_lshrrev_b32_e32 v7, s17, v7
	v_mul_lo_u32 v11, v7, s15
	v_mul_hi_u32 v12, s19, v7
	v_sub_u32_e32 v1, v1, v11
	v_add_u32_e32 v11, v7, v12
	v_mul_lo_u32 v9, v5, s5
	v_mul_lo_u32 v5, v5, s4
	;; [unrolled: 1-line block ×4, first 2 shown]
	v_lshrrev_b32_e32 v11, s20, v11
	v_add3_u32 v1, v5, v8, v1
	v_add3_u32 v8, v9, v10, v12
	v_mul_lo_u32 v5, v11, s18
	v_mul_hi_u32 v9, s22, v11
	v_sub_u32_e32 v5, v7, v5
	v_add_u32_e32 v7, v11, v9
	v_mul_lo_u32 v9, v5, s8
	v_mul_lo_u32 v10, v5, s9
	v_lshrrev_b32_e32 v5, s23, v7
	s_add_i32 s28, s28, 4
	v_mul_lo_u32 v7, v5, s21
	s_add_u32 s2, s2, 32
	v_sub_u32_e32 v7, v11, v7
	s_addc_u32 s3, s3, 0
	v_mul_lo_u32 v11, v7, s10
	v_mul_lo_u32 v7, v7, s11
	s_cmp_lg_u32 s26, s28
	v_add3_u32 v10, v10, v8, v7
	v_add3_u32 v8, v9, v1, v11
	s_cbranch_scc1 .LBB247_50
; %bb.51:
	v_mov_b32_e32 v1, v10
	s_and_b32 s6, s27, 3
	s_cmp_eq_u32 s6, 0
	s_cbranch_scc0 .LBB247_55
	s_branch .LBB247_57
.LBB247_52:
                                        ; implicit-def: $vgpr10
                                        ; implicit-def: $vgpr8
	s_branch .LBB247_58
.LBB247_53:
	v_mov_b32_e32 v10, 0
	v_mov_b32_e32 v8, 0
	s_branch .LBB247_57
.LBB247_54:
	v_mov_b32_e32 v8, 0
                                        ; implicit-def: $vgpr10
	v_mov_b32_e32 v1, v8
	v_mov_b32_e32 v5, v3
	s_and_b32 s6, s27, 3
	s_cmp_eq_u32 s6, 0
	s_cbranch_scc1 .LBB247_57
.LBB247_55:
	s_lshl_b32 s2, s26, 3
	s_add_u32 s2, s34, s2
	s_addc_u32 s3, s35, 0
	s_add_u32 s2, s2, 0xc4
	s_addc_u32 s3, s3, 0
	s_mul_i32 s4, s26, 12
	s_add_u32 s4, s34, s4
	s_addc_u32 s5, s35, 0
.LBB247_56:                             ; =>This Inner Loop Header: Depth=1
	s_load_dwordx2 s[8:9], s[4:5], 0x4
	s_load_dword s7, s[4:5], 0xc
	s_load_dwordx2 s[10:11], s[2:3], 0x0
	v_mov_b32_e32 v10, v1
	s_add_u32 s4, s4, 12
	s_waitcnt lgkmcnt(0)
	v_mul_hi_u32 v1, s9, v5
	v_add_u32_e32 v1, v5, v1
	v_lshrrev_b32_e32 v1, s7, v1
	s_addc_u32 s5, s5, 0
	v_mul_lo_u32 v7, v1, s8
	s_add_u32 s2, s2, 8
	v_sub_u32_e32 v7, v5, v7
	s_addc_u32 s3, s3, 0
	s_add_i32 s6, s6, -1
	v_mad_u64_u32 v[10:11], s[8:9], v7, s11, v[10:11]
	s_cmp_lg_u32 s6, 0
	v_mov_b32_e32 v5, v1
	v_mad_u64_u32 v[8:9], s[8:9], v7, s10, v[8:9]
	v_mov_b32_e32 v1, v10
	s_cbranch_scc1 .LBB247_56
.LBB247_57:
	s_cbranch_execnz .LBB247_60
.LBB247_58:
	s_load_dwordx4 s[4:7], s[34:35], 0x4
	s_load_dwordx2 s[2:3], s[34:35], 0xc4
	s_cmp_lt_u32 s33, 2
	s_waitcnt lgkmcnt(0)
	v_mul_hi_u32 v1, s5, v3
	v_add_u32_e32 v1, v3, v1
	v_lshrrev_b32_e32 v1, s6, v1
	v_mul_lo_u32 v5, v1, s4
	v_sub_u32_e32 v3, v3, v5
	v_mul_lo_u32 v10, v3, s3
	v_mul_lo_u32 v8, v3, s2
	s_cbranch_scc1 .LBB247_60
; %bb.59:
	s_load_dwordx4 s[4:7], s[34:35], 0x10
	s_load_dwordx2 s[2:3], s[34:35], 0xcc
	s_waitcnt lgkmcnt(0)
	v_mul_hi_u32 v3, s5, v1
	v_add_u32_e32 v3, v1, v3
	v_lshrrev_b32_e32 v3, s6, v3
	v_mul_lo_u32 v3, v3, s4
	v_sub_u32_e32 v1, v1, v3
	v_mad_u64_u32 v[8:9], s[4:5], v1, s2, v[8:9]
	v_mad_u64_u32 v[10:11], s[2:3], v1, s3, v[10:11]
.LBB247_60:
	s_and_b64 vcc, exec, s[0:1]
	s_cbranch_vccnz .LBB247_66
; %bb.61:
	s_cmp_lg_u32 s33, 0
	s_waitcnt lgkmcnt(0)
	s_mov_b32 s24, 0
	s_cbranch_scc0 .LBB247_67
; %bb.62:
	s_min_u32 s25, s54, 15
	s_add_i32 s25, s25, 1
	s_cmp_eq_u32 s54, 2
	s_cbranch_scc1 .LBB247_68
; %bb.63:
	s_and_b32 s24, s25, 28
	s_add_u32 s20, s34, 0xc4
	s_addc_u32 s21, s35, 0
	s_mov_b32 s26, 0
	v_mov_b32_e32 v12, 0
	v_mov_b32_e32 v14, 0
	s_mov_b64 s[22:23], s[34:35]
	v_mov_b32_e32 v3, v16
.LBB247_64:                             ; =>This Inner Loop Header: Depth=1
	s_load_dwordx8 s[8:15], s[22:23], 0x4
	s_load_dwordx4 s[16:19], s[22:23], 0x24
	s_load_dwordx8 s[0:7], s[20:21], 0x0
	s_add_u32 s22, s22, 48
	s_addc_u32 s23, s23, 0
	s_waitcnt lgkmcnt(0)
	v_mul_hi_u32 v1, s9, v3
	v_add_u32_e32 v1, v3, v1
	v_lshrrev_b32_e32 v1, s10, v1
	v_mul_lo_u32 v5, v1, s8
	v_mul_hi_u32 v7, s12, v1
	v_sub_u32_e32 v3, v3, v5
	v_add_u32_e32 v5, v1, v7
	v_lshrrev_b32_e32 v5, s13, v5
	v_mul_lo_u32 v9, v5, s11
	v_mul_hi_u32 v11, s15, v5
	v_sub_u32_e32 v1, v1, v9
	v_add_u32_e32 v9, v5, v11
	v_mul_lo_u32 v7, v3, s1
	v_mul_lo_u32 v3, v3, s0
	;; [unrolled: 1-line block ×4, first 2 shown]
	v_lshrrev_b32_e32 v9, s16, v9
	v_add3_u32 v1, v3, v12, v1
	v_add3_u32 v7, v7, v14, v11
	v_mul_lo_u32 v3, v9, s14
	v_mul_hi_u32 v11, s18, v9
	v_sub_u32_e32 v3, v5, v3
	v_add_u32_e32 v5, v9, v11
	v_mul_lo_u32 v11, v3, s4
	v_mul_lo_u32 v12, v3, s5
	v_lshrrev_b32_e32 v3, s19, v5
	s_add_i32 s26, s26, 4
	v_mul_lo_u32 v5, v3, s17
	s_add_u32 s20, s20, 32
	v_sub_u32_e32 v5, v9, v5
	s_addc_u32 s21, s21, 0
	v_mul_lo_u32 v9, v5, s6
	v_mul_lo_u32 v5, v5, s7
	s_cmp_lg_u32 s24, s26
	v_add3_u32 v14, v12, v7, v5
	v_add3_u32 v12, v11, v1, v9
	s_cbranch_scc1 .LBB247_64
; %bb.65:
	v_mov_b32_e32 v1, v14
	s_and_b32 s4, s25, 3
	s_cmp_eq_u32 s4, 0
	s_cbranch_scc0 .LBB247_69
	s_branch .LBB247_71
.LBB247_66:
                                        ; implicit-def: $vgpr14
                                        ; implicit-def: $vgpr12
	s_branch .LBB247_72
.LBB247_67:
	v_mov_b32_e32 v14, 0
	v_mov_b32_e32 v12, 0
	s_branch .LBB247_71
.LBB247_68:
	v_mov_b32_e32 v12, 0
                                        ; implicit-def: $vgpr14
	v_mov_b32_e32 v1, v12
	v_mov_b32_e32 v3, v16
	s_and_b32 s4, s25, 3
	s_cmp_eq_u32 s4, 0
	s_cbranch_scc1 .LBB247_71
.LBB247_69:
	s_lshl_b32 s0, s24, 3
	s_add_u32 s0, s34, s0
	s_addc_u32 s1, s35, 0
	s_add_u32 s0, s0, 0xc4
	s_addc_u32 s1, s1, 0
	s_mul_i32 s2, s24, 12
	s_add_u32 s2, s34, s2
	s_addc_u32 s3, s35, 0
.LBB247_70:                             ; =>This Inner Loop Header: Depth=1
	s_load_dwordx2 s[6:7], s[2:3], 0x4
	s_load_dword s5, s[2:3], 0xc
	s_load_dwordx2 s[8:9], s[0:1], 0x0
	v_mov_b32_e32 v14, v1
	s_add_u32 s2, s2, 12
	s_waitcnt lgkmcnt(0)
	v_mul_hi_u32 v1, s7, v3
	v_add_u32_e32 v1, v3, v1
	v_lshrrev_b32_e32 v1, s5, v1
	s_addc_u32 s3, s3, 0
	v_mul_lo_u32 v5, v1, s6
	s_add_u32 s0, s0, 8
	v_sub_u32_e32 v5, v3, v5
	s_addc_u32 s1, s1, 0
	s_add_i32 s4, s4, -1
	v_mad_u64_u32 v[14:15], s[6:7], v5, s9, v[14:15]
	s_cmp_lg_u32 s4, 0
	v_mov_b32_e32 v3, v1
	v_mad_u64_u32 v[12:13], s[6:7], v5, s8, v[12:13]
	v_mov_b32_e32 v1, v14
	s_cbranch_scc1 .LBB247_70
.LBB247_71:
	s_cbranch_execnz .LBB247_74
.LBB247_72:
	s_load_dwordx4 s[0:3], s[34:35], 0x4
	s_load_dwordx2 s[4:5], s[34:35], 0xc4
	s_cmp_lt_u32 s33, 2
	s_waitcnt lgkmcnt(0)
	v_mul_hi_u32 v1, s1, v16
	v_add_u32_e32 v1, v16, v1
	v_lshrrev_b32_e32 v1, s2, v1
	v_mul_lo_u32 v3, v1, s0
	v_sub_u32_e32 v3, v16, v3
	v_mul_lo_u32 v14, v3, s5
	v_mul_lo_u32 v12, v3, s4
	s_cbranch_scc1 .LBB247_74
; %bb.73:
	s_load_dwordx4 s[0:3], s[34:35], 0x10
	s_load_dwordx2 s[4:5], s[34:35], 0xcc
	s_waitcnt lgkmcnt(0)
	v_mul_hi_u32 v3, s1, v1
	v_add_u32_e32 v3, v1, v3
	v_lshrrev_b32_e32 v3, s2, v3
	v_mul_lo_u32 v3, v3, s0
	v_sub_u32_e32 v1, v1, v3
	v_mad_u64_u32 v[12:13], s[0:1], v1, s4, v[12:13]
	v_mad_u64_u32 v[14:15], s[0:1], v1, s5, v[14:15]
.LBB247_74:
	s_load_dwordx4 s[8:11], s[34:35], 0x148
	s_mov_b32 s4, 0
	s_brev_b32 s5, 8
	v_mov_b32_e32 v1, 0x100
	v_mov_b32_e32 v5, 0xffffff80
	s_waitcnt lgkmcnt(0)
	global_load_dwordx2 v[16:17], v2, s[10:11]
	global_load_dwordx2 v[18:19], v6, s[10:11]
	;; [unrolled: 1-line block ×4, first 2 shown]
	v_mov_b32_e32 v9, 0x260
	s_waitcnt vmcnt(3)
	v_cmp_gt_f64_e32 vcc, s[4:5], v[16:17]
	s_nop 1
	v_cndmask_b32_e32 v2, 0, v1, vcc
	s_waitcnt vmcnt(2)
	v_cmp_gt_f64_e64 s[0:1], s[4:5], v[18:19]
	s_waitcnt vmcnt(1)
	v_cmp_gt_f64_e64 s[2:3], s[4:5], v[20:21]
	v_ldexp_f64 v[2:3], v[16:17], v2
	v_cndmask_b32_e64 v6, 0, v1, s[0:1]
	v_cndmask_b32_e64 v10, 0, v1, s[2:3]
	s_waitcnt vmcnt(0)
	v_cmp_gt_f64_e64 s[4:5], s[4:5], v[22:23]
	v_ldexp_f64 v[6:7], v[18:19], v6
	v_rsq_f64_e32 v[16:17], v[2:3]
	v_cndmask_b32_e64 v1, 0, v1, s[4:5]
	v_ldexp_f64 v[10:11], v[20:21], v10
	v_rsq_f64_e32 v[18:19], v[6:7]
	v_ldexp_f64 v[14:15], v[22:23], v1
	v_rsq_f64_e32 v[20:21], v[10:11]
	v_rsq_f64_e32 v[22:23], v[14:15]
	v_mul_f64 v[24:25], v[2:3], v[16:17]
	v_mul_f64 v[16:17], v[16:17], 0.5
	v_mul_f64 v[26:27], v[6:7], v[18:19]
	v_mul_f64 v[18:19], v[18:19], 0.5
	v_fma_f64 v[32:33], -v[16:17], v[24:25], 0.5
	v_mul_f64 v[28:29], v[10:11], v[20:21]
	v_mul_f64 v[20:21], v[20:21], 0.5
	v_fma_f64 v[34:35], -v[18:19], v[26:27], 0.5
	v_fmac_f64_e32 v[24:25], v[24:25], v[32:33]
	v_mul_f64 v[30:31], v[14:15], v[22:23]
	v_mul_f64 v[22:23], v[22:23], 0.5
	v_fma_f64 v[36:37], -v[20:21], v[28:29], 0.5
	v_fmac_f64_e32 v[16:17], v[16:17], v[32:33]
	v_fmac_f64_e32 v[26:27], v[26:27], v[34:35]
	v_fma_f64 v[32:33], -v[24:25], v[24:25], v[2:3]
	v_fma_f64 v[38:39], -v[22:23], v[30:31], 0.5
	v_fmac_f64_e32 v[18:19], v[18:19], v[34:35]
	v_fmac_f64_e32 v[28:29], v[28:29], v[36:37]
	v_fma_f64 v[34:35], -v[26:27], v[26:27], v[6:7]
	v_fmac_f64_e32 v[24:25], v[32:33], v[16:17]
	v_fmac_f64_e32 v[20:21], v[20:21], v[36:37]
	;; [unrolled: 1-line block ×3, first 2 shown]
	v_fma_f64 v[36:37], -v[28:29], v[28:29], v[10:11]
	v_fmac_f64_e32 v[26:27], v[34:35], v[18:19]
	v_fma_f64 v[32:33], -v[24:25], v[24:25], v[2:3]
	v_cndmask_b32_e32 v13, 0, v5, vcc
	v_fmac_f64_e32 v[22:23], v[22:23], v[38:39]
	v_fma_f64 v[38:39], -v[30:31], v[30:31], v[14:15]
	v_fmac_f64_e32 v[28:29], v[36:37], v[20:21]
	v_fma_f64 v[34:35], -v[26:27], v[26:27], v[6:7]
	v_fmac_f64_e32 v[24:25], v[32:33], v[16:17]
	v_cndmask_b32_e64 v40, 0, v5, s[0:1]
	v_fmac_f64_e32 v[30:31], v[38:39], v[22:23]
	v_fma_f64 v[36:37], -v[28:29], v[28:29], v[10:11]
	v_fmac_f64_e32 v[26:27], v[34:35], v[18:19]
	v_ldexp_f64 v[16:17], v[24:25], v13
	v_cmp_class_f64_e32 vcc, v[2:3], v9
	v_cndmask_b32_e64 v41, 0, v5, s[2:3]
	v_fma_f64 v[38:39], -v[30:31], v[30:31], v[14:15]
	v_fmac_f64_e32 v[28:29], v[36:37], v[20:21]
	v_ldexp_f64 v[18:19], v[26:27], v40
	v_cndmask_b32_e32 v3, v17, v3, vcc
	v_cndmask_b32_e32 v2, v16, v2, vcc
	v_cmp_class_f64_e32 vcc, v[6:7], v9
	v_cndmask_b32_e64 v1, 0, v5, s[4:5]
	v_fmac_f64_e32 v[30:31], v[38:39], v[22:23]
	v_ldexp_f64 v[20:21], v[28:29], v41
	v_cndmask_b32_e32 v7, v19, v7, vcc
	v_cndmask_b32_e32 v6, v18, v6, vcc
	v_cmp_class_f64_e32 vcc, v[10:11], v9
	v_ldexp_f64 v[22:23], v[30:31], v1
	s_nop 0
	v_cndmask_b32_e32 v11, v21, v11, vcc
	v_cndmask_b32_e32 v10, v20, v10, vcc
	v_cmp_class_f64_e32 vcc, v[14:15], v9
	s_nop 1
	v_cndmask_b32_e32 v15, v23, v15, vcc
	v_cndmask_b32_e32 v14, v22, v14, vcc
	global_store_dwordx2 v0, v[2:3], s[8:9]
	global_store_dwordx2 v4, v[6:7], s[8:9]
	;; [unrolled: 1-line block ×4, first 2 shown]
	s_endpgm
.LBB247_75:
	v_mov_b32_e32 v2, 0
	v_mov_b32_e32 v0, 0
	s_branch .LBB247_81
.LBB247_76:
	v_mov_b32_e32 v2, 0
	v_mov_b32_e32 v0, 0
	s_branch .LBB247_98
.LBB247_77:
	v_mov_b32_e32 v0, 0
	s_mov_b32 s57, 0
	v_mov_b32_e32 v1, v0
                                        ; implicit-def: $vgpr2
	v_mov_b32_e32 v4, v8
.LBB247_78:
	s_and_b32 s4, s58, 3
	s_cmp_eq_u32 s4, 0
	s_cbranch_scc1 .LBB247_81
; %bb.79:
	s_lshl_b32 s0, s57, 3
	s_add_u32 s0, s34, s0
	s_addc_u32 s1, s35, 0
	s_add_u32 s0, s0, 0xc4
	s_addc_u32 s1, s1, 0
	s_mul_i32 s2, s57, 12
	s_add_u32 s2, s34, s2
	s_addc_u32 s3, s35, 0
.LBB247_80:                             ; =>This Inner Loop Header: Depth=1
	s_load_dwordx2 s[6:7], s[2:3], 0x4
	s_load_dword s5, s[2:3], 0xc
	s_load_dwordx2 s[8:9], s[0:1], 0x0
	v_mov_b32_e32 v2, v1
	s_add_u32 s2, s2, 12
	s_waitcnt lgkmcnt(0)
	v_mul_hi_u32 v1, s7, v4
	v_add_u32_e32 v1, v4, v1
	v_lshrrev_b32_e32 v1, s5, v1
	s_addc_u32 s3, s3, 0
	v_mul_lo_u32 v3, v1, s6
	s_add_u32 s0, s0, 8
	v_sub_u32_e32 v5, v4, v3
	s_addc_u32 s1, s1, 0
	s_add_i32 s4, s4, -1
	v_mov_b32_e32 v4, v1
	v_mad_u64_u32 v[2:3], s[6:7], v5, s9, v[2:3]
	v_mad_u64_u32 v[0:1], s[6:7], v5, s8, v[0:1]
	s_cmp_lg_u32 s4, 0
	v_mov_b32_e32 v1, v2
	s_cbranch_scc1 .LBB247_80
.LBB247_81:
	s_cbranch_execnz .LBB247_84
.LBB247_82:
	s_waitcnt lgkmcnt(0)
	v_mul_hi_u32 v0, s25, v8
	v_add_u32_e32 v0, v8, v0
	v_lshrrev_b32_e32 v1, s26, v0
	v_mul_lo_u32 v0, v1, s24
	v_sub_u32_e32 v0, v8, v0
	v_mul_lo_u32 v2, v0, s21
	s_andn2_b64 vcc, exec, s[42:43]
	v_mul_lo_u32 v0, v0, s20
	s_cbranch_vccnz .LBB247_84
; %bb.83:
	v_mul_hi_u32 v3, s40, v1
	v_add_u32_e32 v3, v1, v3
	v_lshrrev_b32_e32 v3, s41, v3
	v_mul_lo_u32 v3, v3, s27
	v_sub_u32_e32 v3, v1, v3
	v_mad_u64_u32 v[0:1], s[0:1], v3, s22, v[0:1]
	v_mad_u64_u32 v[2:3], s[0:1], v3, s23, v[2:3]
.LBB247_84:
	s_waitcnt lgkmcnt(0)
	global_load_dwordx2 v[2:3], v2, s[18:19]
	s_mov_b32 s0, 0
	s_brev_b32 s1, 8
	v_mov_b32_e32 v1, 0x100
	v_mov_b32_e32 v9, 0x260
	v_add_u32_e32 v8, 0x80, v8
	s_waitcnt vmcnt(0)
	v_cmp_gt_f64_e32 vcc, s[0:1], v[2:3]
	s_nop 1
	v_cndmask_b32_e32 v1, 0, v1, vcc
	v_ldexp_f64 v[2:3], v[2:3], v1
	v_rsq_f64_e32 v[4:5], v[2:3]
	v_mov_b32_e32 v1, 0xffffff80
	v_cndmask_b32_e32 v1, 0, v1, vcc
	v_cmp_class_f64_e32 vcc, v[2:3], v9
	v_mul_f64 v[6:7], v[2:3], v[4:5]
	v_mul_f64 v[4:5], v[4:5], 0.5
	v_fma_f64 v[10:11], -v[4:5], v[6:7], 0.5
	v_fmac_f64_e32 v[6:7], v[6:7], v[10:11]
	v_fmac_f64_e32 v[4:5], v[4:5], v[10:11]
	v_fma_f64 v[10:11], -v[6:7], v[6:7], v[2:3]
	v_fmac_f64_e32 v[6:7], v[10:11], v[4:5]
	v_fma_f64 v[10:11], -v[6:7], v[6:7], v[2:3]
	v_fmac_f64_e32 v[6:7], v[10:11], v[4:5]
	v_ldexp_f64 v[4:5], v[6:7], v1
	v_cndmask_b32_e32 v3, v5, v3, vcc
	v_cndmask_b32_e32 v2, v4, v2, vcc
	global_store_dwordx2 v0, v[2:3], s[16:17]
	s_or_b64 exec, exec, s[48:49]
	v_cmp_gt_i32_e32 vcc, s55, v8
	s_and_saveexec_b64 s[48:49], vcc
	s_cbranch_execnz .LBB247_16
.LBB247_85:
	s_or_b64 exec, exec, s[48:49]
	v_cmp_gt_i32_e32 vcc, s55, v8
	s_and_saveexec_b64 s[48:49], vcc
	s_cbranch_execz .LBB247_102
.LBB247_86:
	s_andn2_b64 vcc, exec, s[36:37]
	s_cbranch_vccnz .LBB247_92
; %bb.87:
	s_andn2_b64 vcc, exec, s[46:47]
	s_cbranch_vccnz .LBB247_93
; %bb.88:
	s_add_i32 s58, s56, 1
	s_cmp_eq_u32 s54, 2
	s_cbranch_scc1 .LBB247_105
; %bb.89:
	s_and_b32 s57, s58, 28
	s_mov_b32 s59, 0
	v_mov_b32_e32 v0, 0
	v_mov_b32_e32 v2, 0
	s_mov_b64 s[50:51], s[34:35]
	s_mov_b64 s[52:53], s[44:45]
	v_mov_b32_e32 v4, v8
.LBB247_90:                             ; =>This Inner Loop Header: Depth=1
	s_load_dwordx8 s[8:15], s[50:51], 0x4
	s_load_dwordx4 s[28:31], s[50:51], 0x24
	s_load_dwordx8 s[0:7], s[52:53], 0x0
	s_add_u32 s50, s50, 48
	s_addc_u32 s51, s51, 0
	s_waitcnt lgkmcnt(0)
	v_mul_hi_u32 v1, s9, v4
	v_add_u32_e32 v1, v4, v1
	v_lshrrev_b32_e32 v1, s10, v1
	v_mul_lo_u32 v3, v1, s8
	v_mul_hi_u32 v5, s12, v1
	v_sub_u32_e32 v3, v4, v3
	v_add_u32_e32 v4, v1, v5
	v_lshrrev_b32_e32 v4, s13, v4
	v_mul_lo_u32 v6, v4, s11
	v_mul_hi_u32 v7, s15, v4
	v_sub_u32_e32 v1, v1, v6
	v_add_u32_e32 v6, v4, v7
	v_mul_lo_u32 v5, v3, s1
	v_mul_lo_u32 v3, v3, s0
	;; [unrolled: 1-line block ×4, first 2 shown]
	v_lshrrev_b32_e32 v6, s28, v6
	v_add3_u32 v0, v3, v0, v1
	v_mul_hi_u32 v3, s30, v6
	v_add3_u32 v1, v5, v2, v7
	v_mul_lo_u32 v2, v6, s14
	v_add_u32_e32 v3, v6, v3
	v_sub_u32_e32 v2, v4, v2
	v_lshrrev_b32_e32 v4, s31, v3
	s_add_i32 s59, s59, 4
	v_mul_lo_u32 v3, v4, s29
	s_add_u32 s52, s52, 32
	v_sub_u32_e32 v3, v6, v3
	s_addc_u32 s53, s53, 0
	v_mul_lo_u32 v5, v2, s4
	v_mul_lo_u32 v2, v2, s5
	;; [unrolled: 1-line block ×4, first 2 shown]
	s_cmp_eq_u32 s57, s59
	v_add3_u32 v2, v2, v1, v3
	v_add3_u32 v0, v5, v0, v6
	s_cbranch_scc0 .LBB247_90
; %bb.91:
	v_mov_b32_e32 v1, v2
	s_branch .LBB247_106
.LBB247_92:
                                        ; implicit-def: $vgpr2
                                        ; implicit-def: $vgpr0
	s_branch .LBB247_110
.LBB247_93:
	v_mov_b32_e32 v2, 0
	v_mov_b32_e32 v0, 0
	s_branch .LBB247_109
.LBB247_94:
	v_mov_b32_e32 v0, 0
	s_mov_b32 s57, 0
	v_mov_b32_e32 v1, v0
                                        ; implicit-def: $vgpr2
	v_mov_b32_e32 v4, v8
.LBB247_95:
	s_and_b32 s4, s58, 3
	s_cmp_eq_u32 s4, 0
	s_cbranch_scc1 .LBB247_98
; %bb.96:
	s_lshl_b32 s0, s57, 3
	s_add_u32 s0, s34, s0
	s_addc_u32 s1, s35, 0
	s_add_u32 s0, s0, 0xc4
	s_addc_u32 s1, s1, 0
	s_mul_i32 s2, s57, 12
	s_add_u32 s2, s34, s2
	s_addc_u32 s3, s35, 0
.LBB247_97:                             ; =>This Inner Loop Header: Depth=1
	s_load_dwordx2 s[6:7], s[2:3], 0x4
	s_load_dword s5, s[2:3], 0xc
	s_load_dwordx2 s[8:9], s[0:1], 0x0
	v_mov_b32_e32 v2, v1
	s_add_u32 s2, s2, 12
	s_waitcnt lgkmcnt(0)
	v_mul_hi_u32 v1, s7, v4
	v_add_u32_e32 v1, v4, v1
	v_lshrrev_b32_e32 v1, s5, v1
	s_addc_u32 s3, s3, 0
	v_mul_lo_u32 v3, v1, s6
	s_add_u32 s0, s0, 8
	v_sub_u32_e32 v5, v4, v3
	s_addc_u32 s1, s1, 0
	s_add_i32 s4, s4, -1
	v_mov_b32_e32 v4, v1
	v_mad_u64_u32 v[2:3], s[6:7], v5, s9, v[2:3]
	v_mad_u64_u32 v[0:1], s[6:7], v5, s8, v[0:1]
	s_cmp_lg_u32 s4, 0
	v_mov_b32_e32 v1, v2
	s_cbranch_scc1 .LBB247_97
.LBB247_98:
	s_cbranch_execnz .LBB247_101
.LBB247_99:
	s_waitcnt lgkmcnt(0)
	v_mul_hi_u32 v0, s25, v8
	v_add_u32_e32 v0, v8, v0
	v_lshrrev_b32_e32 v1, s26, v0
	v_mul_lo_u32 v0, v1, s24
	v_sub_u32_e32 v0, v8, v0
	v_mul_lo_u32 v2, v0, s21
	s_andn2_b64 vcc, exec, s[42:43]
	v_mul_lo_u32 v0, v0, s20
	s_cbranch_vccnz .LBB247_101
; %bb.100:
	v_mul_hi_u32 v3, s40, v1
	v_add_u32_e32 v3, v1, v3
	v_lshrrev_b32_e32 v3, s41, v3
	v_mul_lo_u32 v3, v3, s27
	v_sub_u32_e32 v3, v1, v3
	v_mad_u64_u32 v[0:1], s[0:1], v3, s22, v[0:1]
	v_mad_u64_u32 v[2:3], s[0:1], v3, s23, v[2:3]
.LBB247_101:
	s_waitcnt lgkmcnt(0)
	global_load_dwordx2 v[2:3], v2, s[18:19]
	s_mov_b32 s0, 0
	s_brev_b32 s1, 8
	v_mov_b32_e32 v1, 0x100
	v_mov_b32_e32 v9, 0x260
	v_add_u32_e32 v8, 0x80, v8
	s_waitcnt vmcnt(0)
	v_cmp_gt_f64_e32 vcc, s[0:1], v[2:3]
	s_nop 1
	v_cndmask_b32_e32 v1, 0, v1, vcc
	v_ldexp_f64 v[2:3], v[2:3], v1
	v_rsq_f64_e32 v[4:5], v[2:3]
	v_mov_b32_e32 v1, 0xffffff80
	v_cndmask_b32_e32 v1, 0, v1, vcc
	v_cmp_class_f64_e32 vcc, v[2:3], v9
	v_mul_f64 v[6:7], v[2:3], v[4:5]
	v_mul_f64 v[4:5], v[4:5], 0.5
	v_fma_f64 v[10:11], -v[4:5], v[6:7], 0.5
	v_fmac_f64_e32 v[6:7], v[6:7], v[10:11]
	v_fmac_f64_e32 v[4:5], v[4:5], v[10:11]
	v_fma_f64 v[10:11], -v[6:7], v[6:7], v[2:3]
	v_fmac_f64_e32 v[6:7], v[10:11], v[4:5]
	v_fma_f64 v[10:11], -v[6:7], v[6:7], v[2:3]
	v_fmac_f64_e32 v[6:7], v[10:11], v[4:5]
	v_ldexp_f64 v[4:5], v[6:7], v1
	v_cndmask_b32_e32 v3, v5, v3, vcc
	v_cndmask_b32_e32 v2, v4, v2, vcc
	global_store_dwordx2 v0, v[2:3], s[16:17]
	s_or_b64 exec, exec, s[48:49]
	v_cmp_gt_i32_e32 vcc, s55, v8
	s_and_saveexec_b64 s[48:49], vcc
	s_cbranch_execnz .LBB247_86
.LBB247_102:
	s_or_b64 exec, exec, s[48:49]
	v_cmp_gt_i32_e32 vcc, s55, v8
	s_and_saveexec_b64 s[48:49], vcc
	s_cbranch_execnz .LBB247_113
.LBB247_103:
	s_or_b64 exec, exec, s[48:49]
                                        ; implicit-def: $vgpr16
                                        ; implicit-def: $vgpr8
	s_andn2_saveexec_b64 s[0:1], s[38:39]
	s_cbranch_execnz .LBB247_9
.LBB247_104:
	s_endpgm
.LBB247_105:
	v_mov_b32_e32 v0, 0
	s_mov_b32 s57, 0
	v_mov_b32_e32 v1, v0
                                        ; implicit-def: $vgpr2
	v_mov_b32_e32 v4, v8
.LBB247_106:
	s_and_b32 s4, s58, 3
	s_cmp_eq_u32 s4, 0
	s_cbranch_scc1 .LBB247_109
; %bb.107:
	s_lshl_b32 s0, s57, 3
	s_add_u32 s0, s34, s0
	s_addc_u32 s1, s35, 0
	s_add_u32 s0, s0, 0xc4
	s_addc_u32 s1, s1, 0
	s_mul_i32 s2, s57, 12
	s_add_u32 s2, s34, s2
	s_addc_u32 s3, s35, 0
.LBB247_108:                            ; =>This Inner Loop Header: Depth=1
	s_load_dwordx2 s[6:7], s[2:3], 0x4
	s_load_dword s5, s[2:3], 0xc
	s_load_dwordx2 s[8:9], s[0:1], 0x0
	v_mov_b32_e32 v2, v1
	s_add_u32 s2, s2, 12
	s_waitcnt lgkmcnt(0)
	v_mul_hi_u32 v1, s7, v4
	v_add_u32_e32 v1, v4, v1
	v_lshrrev_b32_e32 v1, s5, v1
	s_addc_u32 s3, s3, 0
	v_mul_lo_u32 v3, v1, s6
	s_add_u32 s0, s0, 8
	v_sub_u32_e32 v5, v4, v3
	s_addc_u32 s1, s1, 0
	s_add_i32 s4, s4, -1
	v_mov_b32_e32 v4, v1
	v_mad_u64_u32 v[2:3], s[6:7], v5, s9, v[2:3]
	v_mad_u64_u32 v[0:1], s[6:7], v5, s8, v[0:1]
	s_cmp_lg_u32 s4, 0
	v_mov_b32_e32 v1, v2
	s_cbranch_scc1 .LBB247_108
.LBB247_109:
	s_cbranch_execnz .LBB247_112
.LBB247_110:
	s_waitcnt lgkmcnt(0)
	v_mul_hi_u32 v0, s25, v8
	v_add_u32_e32 v0, v8, v0
	v_lshrrev_b32_e32 v1, s26, v0
	v_mul_lo_u32 v0, v1, s24
	v_sub_u32_e32 v0, v8, v0
	v_mul_lo_u32 v2, v0, s21
	s_andn2_b64 vcc, exec, s[42:43]
	v_mul_lo_u32 v0, v0, s20
	s_cbranch_vccnz .LBB247_112
; %bb.111:
	v_mul_hi_u32 v3, s40, v1
	v_add_u32_e32 v3, v1, v3
	v_lshrrev_b32_e32 v3, s41, v3
	v_mul_lo_u32 v3, v3, s27
	v_sub_u32_e32 v3, v1, v3
	v_mad_u64_u32 v[0:1], s[0:1], v3, s22, v[0:1]
	v_mad_u64_u32 v[2:3], s[0:1], v3, s23, v[2:3]
.LBB247_112:
	s_waitcnt lgkmcnt(0)
	global_load_dwordx2 v[2:3], v2, s[18:19]
	s_mov_b32 s0, 0
	s_brev_b32 s1, 8
	v_mov_b32_e32 v1, 0x100
	v_mov_b32_e32 v9, 0x260
	v_add_u32_e32 v8, 0x80, v8
	s_waitcnt vmcnt(0)
	v_cmp_gt_f64_e32 vcc, s[0:1], v[2:3]
	s_nop 1
	v_cndmask_b32_e32 v1, 0, v1, vcc
	v_ldexp_f64 v[2:3], v[2:3], v1
	v_rsq_f64_e32 v[4:5], v[2:3]
	v_mov_b32_e32 v1, 0xffffff80
	v_cndmask_b32_e32 v1, 0, v1, vcc
	v_cmp_class_f64_e32 vcc, v[2:3], v9
	v_mul_f64 v[6:7], v[2:3], v[4:5]
	v_mul_f64 v[4:5], v[4:5], 0.5
	v_fma_f64 v[10:11], -v[4:5], v[6:7], 0.5
	v_fmac_f64_e32 v[6:7], v[6:7], v[10:11]
	v_fmac_f64_e32 v[4:5], v[4:5], v[10:11]
	v_fma_f64 v[10:11], -v[6:7], v[6:7], v[2:3]
	v_fmac_f64_e32 v[6:7], v[10:11], v[4:5]
	v_fma_f64 v[10:11], -v[6:7], v[6:7], v[2:3]
	v_fmac_f64_e32 v[6:7], v[10:11], v[4:5]
	v_ldexp_f64 v[4:5], v[6:7], v1
	v_cndmask_b32_e32 v3, v5, v3, vcc
	v_cndmask_b32_e32 v2, v4, v2, vcc
	global_store_dwordx2 v0, v[2:3], s[16:17]
	s_or_b64 exec, exec, s[48:49]
	v_cmp_gt_i32_e32 vcc, s55, v8
	s_and_saveexec_b64 s[48:49], vcc
	s_cbranch_execz .LBB247_103
.LBB247_113:
	s_andn2_b64 vcc, exec, s[36:37]
	s_cbranch_vccnz .LBB247_119
; %bb.114:
	s_andn2_b64 vcc, exec, s[46:47]
	s_cbranch_vccnz .LBB247_120
; %bb.115:
	s_add_i32 s56, s56, 1
	s_cmp_eq_u32 s54, 2
	s_cbranch_scc1 .LBB247_121
; %bb.116:
	s_and_b32 s50, s56, 28
	s_mov_b32 s51, 0
	v_mov_b32_e32 v0, 0
	v_mov_b32_e32 v2, 0
	s_mov_b64 s[46:47], s[34:35]
	v_mov_b32_e32 v4, v8
.LBB247_117:                            ; =>This Inner Loop Header: Depth=1
	s_load_dwordx8 s[8:15], s[46:47], 0x4
	s_load_dwordx4 s[28:31], s[46:47], 0x24
	s_load_dwordx8 s[0:7], s[44:45], 0x0
	s_add_u32 s46, s46, 48
	s_addc_u32 s47, s47, 0
	s_waitcnt lgkmcnt(0)
	v_mul_hi_u32 v1, s9, v4
	v_add_u32_e32 v1, v4, v1
	v_lshrrev_b32_e32 v1, s10, v1
	v_mul_lo_u32 v3, v1, s8
	v_mul_hi_u32 v5, s12, v1
	v_sub_u32_e32 v3, v4, v3
	v_add_u32_e32 v4, v1, v5
	v_lshrrev_b32_e32 v4, s13, v4
	v_mul_lo_u32 v6, v4, s11
	v_mul_hi_u32 v7, s15, v4
	v_sub_u32_e32 v1, v1, v6
	v_add_u32_e32 v6, v4, v7
	v_mul_lo_u32 v5, v3, s1
	v_mul_lo_u32 v3, v3, s0
	;; [unrolled: 1-line block ×4, first 2 shown]
	v_lshrrev_b32_e32 v6, s28, v6
	v_add3_u32 v0, v3, v0, v1
	v_mul_hi_u32 v3, s30, v6
	v_add3_u32 v1, v5, v2, v7
	v_mul_lo_u32 v2, v6, s14
	v_add_u32_e32 v3, v6, v3
	v_sub_u32_e32 v2, v4, v2
	v_lshrrev_b32_e32 v4, s31, v3
	s_add_i32 s51, s51, 4
	v_mul_lo_u32 v3, v4, s29
	s_add_u32 s44, s44, 32
	v_sub_u32_e32 v3, v6, v3
	s_addc_u32 s45, s45, 0
	v_mul_lo_u32 v5, v2, s4
	v_mul_lo_u32 v2, v2, s5
	v_mul_lo_u32 v6, v3, s6
	v_mul_lo_u32 v3, v3, s7
	s_cmp_eq_u32 s50, s51
	v_add3_u32 v2, v2, v1, v3
	v_add3_u32 v0, v5, v0, v6
	s_cbranch_scc0 .LBB247_117
; %bb.118:
	v_mov_b32_e32 v1, v2
	s_branch .LBB247_122
.LBB247_119:
                                        ; implicit-def: $vgpr2
                                        ; implicit-def: $vgpr0
	s_branch .LBB247_126
.LBB247_120:
	v_mov_b32_e32 v2, 0
	v_mov_b32_e32 v0, 0
	s_branch .LBB247_125
.LBB247_121:
	v_mov_b32_e32 v0, 0
	s_mov_b32 s50, 0
	v_mov_b32_e32 v1, v0
                                        ; implicit-def: $vgpr2
	v_mov_b32_e32 v4, v8
.LBB247_122:
	s_and_b32 s4, s56, 3
	s_cmp_eq_u32 s4, 0
	s_cbranch_scc1 .LBB247_125
; %bb.123:
	s_lshl_b32 s0, s50, 3
	s_add_u32 s0, s34, s0
	s_addc_u32 s1, s35, 0
	s_add_u32 s0, s0, 0xc4
	s_addc_u32 s1, s1, 0
	s_mul_i32 s2, s50, 12
	s_add_u32 s2, s34, s2
	s_addc_u32 s3, s35, 0
.LBB247_124:                            ; =>This Inner Loop Header: Depth=1
	s_load_dwordx2 s[6:7], s[2:3], 0x4
	s_load_dword s5, s[2:3], 0xc
	s_load_dwordx2 s[8:9], s[0:1], 0x0
	v_mov_b32_e32 v2, v1
	s_add_u32 s2, s2, 12
	s_waitcnt lgkmcnt(0)
	v_mul_hi_u32 v1, s7, v4
	v_add_u32_e32 v1, v4, v1
	v_lshrrev_b32_e32 v1, s5, v1
	s_addc_u32 s3, s3, 0
	v_mul_lo_u32 v3, v1, s6
	s_add_u32 s0, s0, 8
	v_sub_u32_e32 v5, v4, v3
	s_addc_u32 s1, s1, 0
	s_add_i32 s4, s4, -1
	v_mov_b32_e32 v4, v1
	v_mad_u64_u32 v[2:3], s[6:7], v5, s9, v[2:3]
	v_mad_u64_u32 v[0:1], s[6:7], v5, s8, v[0:1]
	s_cmp_lg_u32 s4, 0
	v_mov_b32_e32 v1, v2
	s_cbranch_scc1 .LBB247_124
.LBB247_125:
	s_cbranch_execnz .LBB247_128
.LBB247_126:
	s_waitcnt lgkmcnt(0)
	v_mul_hi_u32 v0, s25, v8
	v_add_u32_e32 v0, v8, v0
	v_lshrrev_b32_e32 v1, s26, v0
	v_mul_lo_u32 v0, v1, s24
	v_sub_u32_e32 v0, v8, v0
	v_mul_lo_u32 v2, v0, s21
	s_andn2_b64 vcc, exec, s[42:43]
	v_mul_lo_u32 v0, v0, s20
	s_cbranch_vccnz .LBB247_128
; %bb.127:
	v_mul_hi_u32 v3, s40, v1
	v_add_u32_e32 v3, v1, v3
	v_lshrrev_b32_e32 v3, s41, v3
	v_mul_lo_u32 v3, v3, s27
	v_sub_u32_e32 v3, v1, v3
	v_mad_u64_u32 v[0:1], s[0:1], v3, s22, v[0:1]
	v_mad_u64_u32 v[2:3], s[0:1], v3, s23, v[2:3]
.LBB247_128:
	s_waitcnt lgkmcnt(0)
	global_load_dwordx2 v[2:3], v2, s[18:19]
	s_mov_b32 s0, 0
	s_brev_b32 s1, 8
	v_mov_b32_e32 v1, 0x100
	v_mov_b32_e32 v10, 0x260
	s_waitcnt vmcnt(0)
	v_cmp_gt_f64_e32 vcc, s[0:1], v[2:3]
	s_nop 1
	v_cndmask_b32_e32 v1, 0, v1, vcc
	v_ldexp_f64 v[2:3], v[2:3], v1
	v_rsq_f64_e32 v[4:5], v[2:3]
	v_mov_b32_e32 v1, 0xffffff80
	v_cndmask_b32_e32 v1, 0, v1, vcc
	v_cmp_class_f64_e32 vcc, v[2:3], v10
	v_mul_f64 v[6:7], v[2:3], v[4:5]
	v_mul_f64 v[4:5], v[4:5], 0.5
	v_fma_f64 v[8:9], -v[4:5], v[6:7], 0.5
	v_fmac_f64_e32 v[6:7], v[6:7], v[8:9]
	v_fmac_f64_e32 v[4:5], v[4:5], v[8:9]
	v_fma_f64 v[8:9], -v[6:7], v[6:7], v[2:3]
	v_fmac_f64_e32 v[6:7], v[8:9], v[4:5]
	v_fma_f64 v[8:9], -v[6:7], v[6:7], v[2:3]
	v_fmac_f64_e32 v[6:7], v[8:9], v[4:5]
	v_ldexp_f64 v[4:5], v[6:7], v1
	v_cndmask_b32_e32 v3, v5, v3, vcc
	v_cndmask_b32_e32 v2, v4, v2, vcc
	global_store_dwordx2 v0, v[2:3], s[16:17]
	s_or_b64 exec, exec, s[48:49]
                                        ; implicit-def: $vgpr16
                                        ; implicit-def: $vgpr8
	s_andn2_saveexec_b64 s[0:1], s[38:39]
	s_cbranch_execz .LBB247_104
	s_branch .LBB247_9
	.section	.rodata,"a",@progbits
	.p2align	6, 0x0
	.amdhsa_kernel _ZN2at6native32elementwise_kernel_manual_unrollILi128ELi4EZNS0_22gpu_kernel_impl_nocastIZZZNS0_16sqrt_kernel_cudaERNS_18TensorIteratorBaseEENKUlvE0_clEvENKUlvE_clEvEUldE_EEvS4_RKT_EUlibE_EEviT1_
		.amdhsa_group_segment_fixed_size 0
		.amdhsa_private_segment_fixed_size 0
		.amdhsa_kernarg_size 360
		.amdhsa_user_sgpr_count 2
		.amdhsa_user_sgpr_dispatch_ptr 0
		.amdhsa_user_sgpr_queue_ptr 0
		.amdhsa_user_sgpr_kernarg_segment_ptr 1
		.amdhsa_user_sgpr_dispatch_id 0
		.amdhsa_user_sgpr_kernarg_preload_length 0
		.amdhsa_user_sgpr_kernarg_preload_offset 0
		.amdhsa_user_sgpr_private_segment_size 0
		.amdhsa_uses_dynamic_stack 0
		.amdhsa_enable_private_segment 0
		.amdhsa_system_sgpr_workgroup_id_x 1
		.amdhsa_system_sgpr_workgroup_id_y 0
		.amdhsa_system_sgpr_workgroup_id_z 0
		.amdhsa_system_sgpr_workgroup_info 0
		.amdhsa_system_vgpr_workitem_id 0
		.amdhsa_next_free_vgpr 42
		.amdhsa_next_free_sgpr 60
		.amdhsa_accum_offset 44
		.amdhsa_reserve_vcc 1
		.amdhsa_float_round_mode_32 0
		.amdhsa_float_round_mode_16_64 0
		.amdhsa_float_denorm_mode_32 3
		.amdhsa_float_denorm_mode_16_64 3
		.amdhsa_dx10_clamp 1
		.amdhsa_ieee_mode 1
		.amdhsa_fp16_overflow 0
		.amdhsa_tg_split 0
		.amdhsa_exception_fp_ieee_invalid_op 0
		.amdhsa_exception_fp_denorm_src 0
		.amdhsa_exception_fp_ieee_div_zero 0
		.amdhsa_exception_fp_ieee_overflow 0
		.amdhsa_exception_fp_ieee_underflow 0
		.amdhsa_exception_fp_ieee_inexact 0
		.amdhsa_exception_int_div_zero 0
	.end_amdhsa_kernel
	.section	.text._ZN2at6native32elementwise_kernel_manual_unrollILi128ELi4EZNS0_22gpu_kernel_impl_nocastIZZZNS0_16sqrt_kernel_cudaERNS_18TensorIteratorBaseEENKUlvE0_clEvENKUlvE_clEvEUldE_EEvS4_RKT_EUlibE_EEviT1_,"axG",@progbits,_ZN2at6native32elementwise_kernel_manual_unrollILi128ELi4EZNS0_22gpu_kernel_impl_nocastIZZZNS0_16sqrt_kernel_cudaERNS_18TensorIteratorBaseEENKUlvE0_clEvENKUlvE_clEvEUldE_EEvS4_RKT_EUlibE_EEviT1_,comdat
.Lfunc_end247:
	.size	_ZN2at6native32elementwise_kernel_manual_unrollILi128ELi4EZNS0_22gpu_kernel_impl_nocastIZZZNS0_16sqrt_kernel_cudaERNS_18TensorIteratorBaseEENKUlvE0_clEvENKUlvE_clEvEUldE_EEvS4_RKT_EUlibE_EEviT1_, .Lfunc_end247-_ZN2at6native32elementwise_kernel_manual_unrollILi128ELi4EZNS0_22gpu_kernel_impl_nocastIZZZNS0_16sqrt_kernel_cudaERNS_18TensorIteratorBaseEENKUlvE0_clEvENKUlvE_clEvEUldE_EEvS4_RKT_EUlibE_EEviT1_
                                        ; -- End function
	.set _ZN2at6native32elementwise_kernel_manual_unrollILi128ELi4EZNS0_22gpu_kernel_impl_nocastIZZZNS0_16sqrt_kernel_cudaERNS_18TensorIteratorBaseEENKUlvE0_clEvENKUlvE_clEvEUldE_EEvS4_RKT_EUlibE_EEviT1_.num_vgpr, 42
	.set _ZN2at6native32elementwise_kernel_manual_unrollILi128ELi4EZNS0_22gpu_kernel_impl_nocastIZZZNS0_16sqrt_kernel_cudaERNS_18TensorIteratorBaseEENKUlvE0_clEvENKUlvE_clEvEUldE_EEvS4_RKT_EUlibE_EEviT1_.num_agpr, 0
	.set _ZN2at6native32elementwise_kernel_manual_unrollILi128ELi4EZNS0_22gpu_kernel_impl_nocastIZZZNS0_16sqrt_kernel_cudaERNS_18TensorIteratorBaseEENKUlvE0_clEvENKUlvE_clEvEUldE_EEvS4_RKT_EUlibE_EEviT1_.numbered_sgpr, 60
	.set _ZN2at6native32elementwise_kernel_manual_unrollILi128ELi4EZNS0_22gpu_kernel_impl_nocastIZZZNS0_16sqrt_kernel_cudaERNS_18TensorIteratorBaseEENKUlvE0_clEvENKUlvE_clEvEUldE_EEvS4_RKT_EUlibE_EEviT1_.num_named_barrier, 0
	.set _ZN2at6native32elementwise_kernel_manual_unrollILi128ELi4EZNS0_22gpu_kernel_impl_nocastIZZZNS0_16sqrt_kernel_cudaERNS_18TensorIteratorBaseEENKUlvE0_clEvENKUlvE_clEvEUldE_EEvS4_RKT_EUlibE_EEviT1_.private_seg_size, 0
	.set _ZN2at6native32elementwise_kernel_manual_unrollILi128ELi4EZNS0_22gpu_kernel_impl_nocastIZZZNS0_16sqrt_kernel_cudaERNS_18TensorIteratorBaseEENKUlvE0_clEvENKUlvE_clEvEUldE_EEvS4_RKT_EUlibE_EEviT1_.uses_vcc, 1
	.set _ZN2at6native32elementwise_kernel_manual_unrollILi128ELi4EZNS0_22gpu_kernel_impl_nocastIZZZNS0_16sqrt_kernel_cudaERNS_18TensorIteratorBaseEENKUlvE0_clEvENKUlvE_clEvEUldE_EEvS4_RKT_EUlibE_EEviT1_.uses_flat_scratch, 0
	.set _ZN2at6native32elementwise_kernel_manual_unrollILi128ELi4EZNS0_22gpu_kernel_impl_nocastIZZZNS0_16sqrt_kernel_cudaERNS_18TensorIteratorBaseEENKUlvE0_clEvENKUlvE_clEvEUldE_EEvS4_RKT_EUlibE_EEviT1_.has_dyn_sized_stack, 0
	.set _ZN2at6native32elementwise_kernel_manual_unrollILi128ELi4EZNS0_22gpu_kernel_impl_nocastIZZZNS0_16sqrt_kernel_cudaERNS_18TensorIteratorBaseEENKUlvE0_clEvENKUlvE_clEvEUldE_EEvS4_RKT_EUlibE_EEviT1_.has_recursion, 0
	.set _ZN2at6native32elementwise_kernel_manual_unrollILi128ELi4EZNS0_22gpu_kernel_impl_nocastIZZZNS0_16sqrt_kernel_cudaERNS_18TensorIteratorBaseEENKUlvE0_clEvENKUlvE_clEvEUldE_EEvS4_RKT_EUlibE_EEviT1_.has_indirect_call, 0
	.section	.AMDGPU.csdata,"",@progbits
; Kernel info:
; codeLenInByte = 6800
; TotalNumSgprs: 66
; NumVgprs: 42
; NumAgprs: 0
; TotalNumVgprs: 42
; ScratchSize: 0
; MemoryBound: 0
; FloatMode: 240
; IeeeMode: 1
; LDSByteSize: 0 bytes/workgroup (compile time only)
; SGPRBlocks: 8
; VGPRBlocks: 5
; NumSGPRsForWavesPerEU: 66
; NumVGPRsForWavesPerEU: 42
; AccumOffset: 44
; Occupancy: 8
; WaveLimiterHint : 1
; COMPUTE_PGM_RSRC2:SCRATCH_EN: 0
; COMPUTE_PGM_RSRC2:USER_SGPR: 2
; COMPUTE_PGM_RSRC2:TRAP_HANDLER: 0
; COMPUTE_PGM_RSRC2:TGID_X_EN: 1
; COMPUTE_PGM_RSRC2:TGID_Y_EN: 0
; COMPUTE_PGM_RSRC2:TGID_Z_EN: 0
; COMPUTE_PGM_RSRC2:TIDIG_COMP_CNT: 0
; COMPUTE_PGM_RSRC3_GFX90A:ACCUM_OFFSET: 10
; COMPUTE_PGM_RSRC3_GFX90A:TG_SPLIT: 0
	.section	.text._ZN2at6native32elementwise_kernel_manual_unrollILi128ELi4EZNS0_15gpu_kernel_implIZZZNS0_16sqrt_kernel_cudaERNS_18TensorIteratorBaseEENKUlvE0_clEvENKUlvE_clEvEUldE_EEvS4_RKT_EUlibE_EEviT1_,"axG",@progbits,_ZN2at6native32elementwise_kernel_manual_unrollILi128ELi4EZNS0_15gpu_kernel_implIZZZNS0_16sqrt_kernel_cudaERNS_18TensorIteratorBaseEENKUlvE0_clEvENKUlvE_clEvEUldE_EEvS4_RKT_EUlibE_EEviT1_,comdat
	.globl	_ZN2at6native32elementwise_kernel_manual_unrollILi128ELi4EZNS0_15gpu_kernel_implIZZZNS0_16sqrt_kernel_cudaERNS_18TensorIteratorBaseEENKUlvE0_clEvENKUlvE_clEvEUldE_EEvS4_RKT_EUlibE_EEviT1_ ; -- Begin function _ZN2at6native32elementwise_kernel_manual_unrollILi128ELi4EZNS0_15gpu_kernel_implIZZZNS0_16sqrt_kernel_cudaERNS_18TensorIteratorBaseEENKUlvE0_clEvENKUlvE_clEvEUldE_EEvS4_RKT_EUlibE_EEviT1_
	.p2align	8
	.type	_ZN2at6native32elementwise_kernel_manual_unrollILi128ELi4EZNS0_15gpu_kernel_implIZZZNS0_16sqrt_kernel_cudaERNS_18TensorIteratorBaseEENKUlvE0_clEvENKUlvE_clEvEUldE_EEvS4_RKT_EUlibE_EEviT1_,@function
_ZN2at6native32elementwise_kernel_manual_unrollILi128ELi4EZNS0_15gpu_kernel_implIZZZNS0_16sqrt_kernel_cudaERNS_18TensorIteratorBaseEENKUlvE0_clEvENKUlvE_clEvEUldE_EEvS4_RKT_EUlibE_EEviT1_: ; @_ZN2at6native32elementwise_kernel_manual_unrollILi128ELi4EZNS0_15gpu_kernel_implIZZZNS0_16sqrt_kernel_cudaERNS_18TensorIteratorBaseEENKUlvE0_clEvENKUlvE_clEvEUldE_EEvS4_RKT_EUlibE_EEviT1_
; %bb.0:
	v_mov_b32_e32 v1, 0
	global_load_ushort v1, v1, s[0:1] offset:33
	s_load_dwordx4 s[4:7], s[0:1], 0x8
	s_load_dwordx2 s[8:9], s[0:1], 0x18
	s_load_dword s38, s[0:1], 0x0
	v_lshl_or_b32 v10, s2, 9, v0
	v_or_b32_e32 v0, 0x180, v10
	s_mov_b64 s[10:11], 0
	s_mov_b64 s[12:13], 0
	s_waitcnt lgkmcnt(0)
	v_cmp_le_i32_e32 vcc, s38, v0
	s_waitcnt vmcnt(0)
	v_readfirstlane_b32 s33, v1
	s_and_b32 s0, 0xffff, s33
	s_lshr_b32 s42, s0, 8
	s_and_saveexec_b64 s[0:1], vcc
	s_xor_b64 s[2:3], exec, s[0:1]
	s_cbranch_execz .LBB248_1027
; %bb.1:
	v_cmp_gt_i32_e32 vcc, s38, v10
	s_mov_b64 s[18:19], -1
	s_mov_b64 s[20:21], 0
	s_mov_b64 s[14:15], 0
	s_and_saveexec_b64 s[16:17], vcc
	s_cbranch_execz .LBB248_252
; %bb.2:
	v_mul_lo_u32 v0, v10, s9
	v_ashrrev_i32_e32 v1, 31, v0
	s_and_b32 s22, 0xffff, s42
	s_cmp_lt_i32 s22, 11
	v_lshl_add_u64 v[0:1], s[6:7], 0, v[0:1]
	s_cbranch_scc1 .LBB248_9
; %bb.3:
	s_cmp_gt_i32 s22, 25
	s_cbranch_scc0 .LBB248_18
; %bb.4:
	s_cmp_gt_i32 s22, 28
	s_cbranch_scc0 .LBB248_22
	;; [unrolled: 3-line block ×4, first 2 shown]
; %bb.7:
	s_cmp_eq_u32 s22, 46
	s_cbranch_scc0 .LBB248_28
; %bb.8:
	global_load_dword v2, v[0:1], off
	s_mov_b64 s[0:1], -1
	s_waitcnt vmcnt(0)
	v_lshlrev_b32_e32 v2, 16, v2
	v_cvt_f64_f32_e32 v[2:3], v2
	s_branch .LBB248_30
.LBB248_9:
                                        ; implicit-def: $vgpr2_vgpr3
	s_mov_b64 s[0:1], 0
	s_cbranch_execnz .LBB248_203
.LBB248_10:
	s_andn2_b64 vcc, exec, s[0:1]
	s_cbranch_vccnz .LBB248_250
.LBB248_11:
	s_mov_b32 s0, 0
	s_brev_b32 s1, 8
	v_mov_b32_e32 v0, 0x100
	s_waitcnt vmcnt(0)
	v_cmp_gt_f64_e32 vcc, s[0:1], v[2:3]
	s_and_b32 s24, s33, 0xff
	s_cmp_lt_i32 s24, 11
	v_cndmask_b32_e32 v0, 0, v0, vcc
	v_ldexp_f64 v[0:1], v[2:3], v0
	v_rsq_f64_e32 v[4:5], v[0:1]
	s_nop 0
	v_mul_f64 v[6:7], v[0:1], v[4:5]
	v_mul_f64 v[4:5], v[4:5], 0.5
	v_fma_f64 v[8:9], -v[4:5], v[6:7], 0.5
	v_fmac_f64_e32 v[6:7], v[6:7], v[8:9]
	v_fma_f64 v[12:13], -v[6:7], v[6:7], v[0:1]
	v_fmac_f64_e32 v[4:5], v[4:5], v[8:9]
	v_fmac_f64_e32 v[6:7], v[12:13], v[4:5]
	v_fma_f64 v[8:9], -v[6:7], v[6:7], v[0:1]
	v_fmac_f64_e32 v[6:7], v[8:9], v[4:5]
	v_mov_b32_e32 v4, 0xffffff80
	v_cndmask_b32_e32 v4, 0, v4, vcc
	v_ldexp_f64 v[4:5], v[6:7], v4
	v_mov_b32_e32 v6, 0x260
	v_cmp_class_f64_e32 vcc, v[0:1], v6
	s_nop 1
	v_cndmask_b32_e32 v0, v4, v0, vcc
	v_mul_lo_u32 v4, v10, s8
	v_cndmask_b32_e32 v1, v5, v1, vcc
	v_ashrrev_i32_e32 v5, 31, v4
	v_lshl_add_u64 v[4:5], s[4:5], 0, v[4:5]
	s_cbranch_scc1 .LBB248_19
; %bb.12:
	s_and_b32 s25, 0xffff, s24
	s_cmp_gt_i32 s25, 25
	s_cbranch_scc0 .LBB248_23
; %bb.13:
	s_cmp_gt_i32 s25, 28
	s_cbranch_scc0 .LBB248_25
; %bb.14:
	;; [unrolled: 3-line block ×4, first 2 shown]
	s_mov_b64 s[18:19], 0
	s_mov_b64 s[0:1], -1
	s_cmp_eq_u32 s25, 46
	s_mov_b64 s[12:13], 0
	s_cbranch_scc0 .LBB248_34
; %bb.17:
	v_cvt_f32_f64_e32 v6, v[0:1]
	v_bfe_u32 v7, v6, 16, 1
	s_movk_i32 s0, 0x7fff
	v_add3_u32 v7, v6, v7, s0
	v_cmp_o_f32_e32 vcc, v6, v6
	v_mov_b32_e32 v6, 0x7fc0
	s_mov_b64 s[12:13], -1
	v_cndmask_b32_sdwa v6, v6, v7, vcc dst_sel:DWORD dst_unused:UNUSED_PAD src0_sel:DWORD src1_sel:WORD_1
	global_store_dword v[4:5], v6, off
	s_mov_b64 s[0:1], 0
	s_branch .LBB248_34
.LBB248_18:
	s_mov_b64 s[0:1], 0
                                        ; implicit-def: $vgpr2_vgpr3
	s_cbranch_execnz .LBB248_170
	s_branch .LBB248_202
.LBB248_19:
	s_mov_b64 s[0:1], 0
	s_mov_b64 s[12:13], 0
	s_cbranch_execnz .LBB248_103
.LBB248_20:
	s_andn2_b64 vcc, exec, s[12:13]
	s_cbranch_vccnz .LBB248_141
.LBB248_21:
	v_add_u32_e32 v10, 0x80, v10
	s_mov_b64 s[18:19], -1
	s_branch .LBB248_251
.LBB248_22:
	s_mov_b64 s[12:13], -1
	s_mov_b64 s[0:1], 0
                                        ; implicit-def: $vgpr2_vgpr3
	s_branch .LBB248_149
.LBB248_23:
	s_mov_b64 s[18:19], -1
	s_mov_b64 s[0:1], 0
	s_mov_b64 s[12:13], 0
	s_branch .LBB248_61
.LBB248_24:
	s_mov_b64 s[12:13], -1
	s_mov_b64 s[0:1], 0
                                        ; implicit-def: $vgpr2_vgpr3
	s_branch .LBB248_144
.LBB248_25:
	s_mov_b64 s[18:19], -1
	s_mov_b64 s[0:1], 0
	s_mov_b64 s[12:13], 0
	s_branch .LBB248_44
.LBB248_26:
	s_mov_b64 s[12:13], -1
	s_branch .LBB248_29
.LBB248_27:
	s_mov_b64 s[18:19], -1
	s_mov_b64 s[0:1], 0
	s_mov_b64 s[12:13], 0
	s_branch .LBB248_40
.LBB248_28:
	s_mov_b64 s[14:15], -1
.LBB248_29:
	s_mov_b64 s[0:1], 0
                                        ; implicit-def: $vgpr2_vgpr3
.LBB248_30:
	s_and_b64 vcc, exec, s[12:13]
	s_cbranch_vccz .LBB248_143
; %bb.31:
	s_cmp_eq_u32 s22, 44
	s_cbranch_scc0 .LBB248_142
; %bb.32:
	global_load_ubyte v4, v[0:1], off
	s_movk_i32 s12, 0xff
	v_bfrev_b32_e32 v5, 4
	v_mov_b32_e32 v6, 0x7ff80000
	v_bfrev_b32_e32 v7, 28
	s_mov_b64 s[0:1], -1
	s_mov_b64 s[14:15], 0
	s_waitcnt vmcnt(0)
	v_lshlrev_b32_e32 v2, 23, v4
	v_cvt_f64_f32_e32 v[2:3], v2
	v_cmp_ne_u32_e32 vcc, s12, v4
	s_nop 1
	v_cndmask_b32_e32 v2, v5, v2, vcc
	v_cndmask_b32_e32 v3, v6, v3, vcc
	v_cmp_ne_u32_e32 vcc, 0, v4
	s_nop 1
	v_cndmask_b32_e32 v3, v7, v3, vcc
	v_cndmask_b32_e32 v2, 0, v2, vcc
	s_branch .LBB248_143
.LBB248_33:
	s_mov_b64 s[18:19], -1
	s_mov_b64 s[0:1], 0
	s_mov_b64 s[12:13], 0
.LBB248_34:
	s_and_b64 vcc, exec, s[18:19]
	s_cbranch_vccz .LBB248_39
; %bb.35:
	s_cmp_eq_u32 s25, 44
	s_mov_b64 s[0:1], -1
	s_cbranch_scc0 .LBB248_39
; %bb.36:
	v_cvt_f32_f64_e32 v6, v[0:1]
	v_bfe_u32 v7, v6, 23, 8
	s_movk_i32 s0, 0xff
	v_cmp_ne_u32_e32 vcc, s0, v7
	v_mov_b32_e32 v8, 0xff
	s_and_saveexec_b64 s[12:13], vcc
; %bb.37:
	s_mov_b32 s0, 0x3fffff
	v_lshrrev_b32_e32 v8, 23, v6
	v_and_b32_e32 v9, 0x400000, v6
	v_and_or_b32 v6, v6, s0, v7
	v_cmp_ne_u32_e32 vcc, 0, v9
	v_cmp_ne_u32_e64 s[0:1], 0, v6
	s_and_b64 s[0:1], vcc, s[0:1]
	s_nop 0
	v_cndmask_b32_e64 v6, 0, 1, s[0:1]
	v_add_u32_e32 v8, v8, v6
; %bb.38:
	s_or_b64 exec, exec, s[12:13]
	s_mov_b64 s[12:13], -1
	s_mov_b64 s[0:1], 0
	global_store_byte v[4:5], v8, off
.LBB248_39:
	s_mov_b64 s[18:19], 0
.LBB248_40:
	s_and_b64 vcc, exec, s[18:19]
	s_cbranch_vccz .LBB248_43
; %bb.41:
	s_cmp_eq_u32 s25, 29
	s_mov_b64 s[0:1], -1
	s_cbranch_scc0 .LBB248_43
; %bb.42:
	v_trunc_f64_e32 v[6:7], v[0:1]
	s_movk_i32 s0, 0xffe0
	v_ldexp_f64 v[8:9], v[6:7], s0
	v_floor_f64_e32 v[8:9], v[8:9]
	v_fmac_f64_e32 v[6:7], 0xc1f00000, v[8:9]
	v_cvt_u32_f64_e32 v13, v[8:9]
	v_cvt_u32_f64_e32 v12, v[6:7]
	global_store_dwordx2 v[4:5], v[12:13], off
	s_mov_b64 s[12:13], -1
	s_mov_b64 s[0:1], 0
.LBB248_43:
	s_mov_b64 s[18:19], 0
.LBB248_44:
	s_and_b64 vcc, exec, s[18:19]
	s_cbranch_vccz .LBB248_60
; %bb.45:
	s_cmp_lt_i32 s25, 27
	s_mov_b64 s[12:13], -1
	s_cbranch_scc1 .LBB248_51
; %bb.46:
	s_cmp_gt_i32 s25, 27
	v_cvt_u32_f64_e32 v6, v[0:1]
	s_cbranch_scc0 .LBB248_48
; %bb.47:
	s_mov_b64 s[12:13], 0
	global_store_dword v[4:5], v6, off
.LBB248_48:
	s_andn2_b64 vcc, exec, s[12:13]
	s_cbranch_vccnz .LBB248_50
; %bb.49:
	global_store_short v[4:5], v6, off
.LBB248_50:
	s_mov_b64 s[12:13], 0
.LBB248_51:
	s_andn2_b64 vcc, exec, s[12:13]
	s_cbranch_vccnz .LBB248_59
; %bb.52:
	v_cvt_f32_f64_e32 v6, v[0:1]
	v_and_b32_e32 v7, 0x7fffffff, v6
	s_mov_b32 s12, 0x43800000
	v_cmp_gt_u32_e32 vcc, s12, v7
	v_mov_b32_e32 v8, 0x80
	s_and_saveexec_b64 s[12:13], vcc
	s_cbranch_execz .LBB248_58
; %bb.53:
	s_mov_b32 s18, 0x3bffffff
	v_cmp_lt_u32_e32 vcc, s18, v7
	s_mov_b64 s[18:19], 0
                                        ; implicit-def: $vgpr7
	s_and_saveexec_b64 s[22:23], vcc
	s_xor_b64 s[22:23], exec, s[22:23]
	s_cbranch_execz .LBB248_279
; %bb.54:
	v_bfe_u32 v7, v6, 20, 1
	s_mov_b32 s26, 0x487ffff
	v_add3_u32 v7, v6, v7, s26
	s_mov_b64 s[18:19], exec
	v_lshrrev_b32_e32 v7, 20, v7
	s_andn2_saveexec_b64 s[22:23], s[22:23]
	s_cbranch_execnz .LBB248_280
.LBB248_55:
	s_or_b64 exec, exec, s[22:23]
	v_mov_b32_e32 v8, 0
	s_and_saveexec_b64 s[22:23], s[18:19]
.LBB248_56:
	v_lshrrev_b32_e32 v6, 24, v6
	s_movk_i32 s18, 0x80
	v_and_or_b32 v8, v6, s18, v7
.LBB248_57:
	s_or_b64 exec, exec, s[22:23]
.LBB248_58:
	s_or_b64 exec, exec, s[12:13]
	global_store_byte v[4:5], v8, off
.LBB248_59:
	s_mov_b64 s[12:13], -1
.LBB248_60:
	s_mov_b64 s[18:19], 0
.LBB248_61:
	s_and_b64 vcc, exec, s[18:19]
	s_cbranch_vccz .LBB248_102
; %bb.62:
	s_cmp_gt_i32 s25, 22
	s_mov_b64 s[18:19], -1
	s_cbranch_scc0 .LBB248_94
; %bb.63:
	s_cmp_lt_i32 s25, 24
	s_mov_b64 s[12:13], -1
	s_cbranch_scc1 .LBB248_83
; %bb.64:
	s_cmp_gt_i32 s25, 24
	s_cbranch_scc0 .LBB248_72
; %bb.65:
	v_cvt_f32_f64_e32 v6, v[0:1]
	v_and_b32_e32 v7, 0x7fffffff, v6
	s_mov_b32 s12, 0x47800000
	v_cmp_gt_u32_e32 vcc, s12, v7
	v_mov_b32_e32 v8, 0x80
	s_and_saveexec_b64 s[12:13], vcc
	s_cbranch_execz .LBB248_71
; %bb.66:
	s_mov_b32 s18, 0x37ffffff
	v_cmp_lt_u32_e32 vcc, s18, v7
	s_mov_b64 s[18:19], 0
                                        ; implicit-def: $vgpr7
	s_and_saveexec_b64 s[22:23], vcc
	s_xor_b64 s[22:23], exec, s[22:23]
	s_cbranch_execz .LBB248_283
; %bb.67:
	v_bfe_u32 v7, v6, 21, 1
	s_mov_b32 s26, 0x88fffff
	v_add3_u32 v7, v6, v7, s26
	s_mov_b64 s[18:19], exec
	v_lshrrev_b32_e32 v7, 21, v7
	s_andn2_saveexec_b64 s[22:23], s[22:23]
	s_cbranch_execnz .LBB248_284
.LBB248_68:
	s_or_b64 exec, exec, s[22:23]
	v_mov_b32_e32 v8, 0
	s_and_saveexec_b64 s[22:23], s[18:19]
.LBB248_69:
	v_lshrrev_b32_e32 v6, 24, v6
	s_movk_i32 s18, 0x80
	v_and_or_b32 v8, v6, s18, v7
.LBB248_70:
	s_or_b64 exec, exec, s[22:23]
.LBB248_71:
	s_or_b64 exec, exec, s[12:13]
	s_mov_b64 s[12:13], 0
	global_store_byte v[4:5], v8, off
.LBB248_72:
	s_and_b64 vcc, exec, s[12:13]
	s_cbranch_vccz .LBB248_82
; %bb.73:
	v_cvt_f32_f64_e32 v6, v[0:1]
	v_and_b32_e32 v8, 0x7fffffff, v6
	s_mov_b32 s12, 0x43f00000
	v_cmp_gt_u32_e32 vcc, s12, v8
                                        ; implicit-def: $vgpr7
	s_and_saveexec_b64 s[12:13], vcc
	s_xor_b64 s[12:13], exec, s[12:13]
	s_cbranch_execz .LBB248_79
; %bb.74:
	s_mov_b32 s18, 0x3c7fffff
	v_cmp_lt_u32_e32 vcc, s18, v8
                                        ; implicit-def: $vgpr7
	s_and_saveexec_b64 s[18:19], vcc
	s_xor_b64 s[18:19], exec, s[18:19]
; %bb.75:
	v_bfe_u32 v7, v6, 20, 1
	s_mov_b32 s22, 0x407ffff
	v_add3_u32 v7, v6, v7, s22
	v_lshrrev_b32_e32 v8, 20, v7
	v_and_b32_e32 v7, 0xff00000, v7
	s_mov_b32 s22, 0x7f00000
	v_mov_b32_e32 v9, 0x7e
	v_cmp_ne_u32_e32 vcc, s22, v7
	s_nop 1
	v_cndmask_b32_e32 v7, v9, v8, vcc
; %bb.76:
	s_andn2_saveexec_b64 s[18:19], s[18:19]
; %bb.77:
	s_mov_b32 s22, 0x46800000
	v_add_f32_e64 v7, |v6|, s22
; %bb.78:
	s_or_b64 exec, exec, s[18:19]
                                        ; implicit-def: $vgpr8
.LBB248_79:
	s_andn2_saveexec_b64 s[12:13], s[12:13]
; %bb.80:
	s_mov_b32 s18, 0x7f800000
	v_mov_b32_e32 v7, 0x7e
	v_mov_b32_e32 v9, 0x7f
	v_cmp_lt_u32_e32 vcc, s18, v8
	s_nop 1
	v_cndmask_b32_e32 v7, v7, v9, vcc
; %bb.81:
	s_or_b64 exec, exec, s[12:13]
	v_lshrrev_b32_e32 v6, 24, v6
	s_movk_i32 s12, 0x80
	v_and_or_b32 v6, v6, s12, v7
	global_store_byte v[4:5], v6, off
.LBB248_82:
	s_mov_b64 s[12:13], 0
.LBB248_83:
	s_andn2_b64 vcc, exec, s[12:13]
	s_cbranch_vccnz .LBB248_93
; %bb.84:
	v_cvt_f32_f64_e32 v6, v[0:1]
	v_and_b32_e32 v8, 0x7fffffff, v6
	s_mov_b32 s12, 0x47800000
	v_cmp_gt_u32_e32 vcc, s12, v8
                                        ; implicit-def: $vgpr7
	s_and_saveexec_b64 s[12:13], vcc
	s_xor_b64 s[12:13], exec, s[12:13]
	s_cbranch_execz .LBB248_90
; %bb.85:
	s_mov_b32 s18, 0x387fffff
	v_cmp_lt_u32_e32 vcc, s18, v8
                                        ; implicit-def: $vgpr7
	s_and_saveexec_b64 s[18:19], vcc
	s_xor_b64 s[18:19], exec, s[18:19]
; %bb.86:
	v_bfe_u32 v7, v6, 21, 1
	s_mov_b32 s22, 0x80fffff
	v_add3_u32 v7, v6, v7, s22
	v_lshrrev_b32_e32 v7, 21, v7
; %bb.87:
	s_andn2_saveexec_b64 s[18:19], s[18:19]
; %bb.88:
	s_mov_b32 s22, 0x43000000
	v_add_f32_e64 v7, |v6|, s22
; %bb.89:
	s_or_b64 exec, exec, s[18:19]
                                        ; implicit-def: $vgpr8
.LBB248_90:
	s_andn2_saveexec_b64 s[12:13], s[12:13]
; %bb.91:
	s_mov_b32 s18, 0x7f800000
	v_mov_b32_e32 v7, 0x7c
	v_mov_b32_e32 v9, 0x7f
	v_cmp_lt_u32_e32 vcc, s18, v8
	s_nop 1
	v_cndmask_b32_e32 v7, v7, v9, vcc
; %bb.92:
	s_or_b64 exec, exec, s[12:13]
	v_lshrrev_b32_e32 v6, 24, v6
	s_movk_i32 s12, 0x80
	v_and_or_b32 v6, v6, s12, v7
	global_store_byte v[4:5], v6, off
.LBB248_93:
	s_mov_b64 s[18:19], 0
	s_mov_b64 s[12:13], -1
.LBB248_94:
	s_andn2_b64 vcc, exec, s[18:19]
	s_cbranch_vccnz .LBB248_102
; %bb.95:
	s_cmp_gt_i32 s25, 14
	s_mov_b64 s[18:19], -1
	s_cbranch_scc0 .LBB248_99
; %bb.96:
	s_cmp_eq_u32 s25, 15
	s_mov_b64 s[0:1], -1
	s_cbranch_scc0 .LBB248_98
; %bb.97:
	v_cvt_f32_f64_e32 v6, v[0:1]
	v_bfe_u32 v7, v6, 16, 1
	s_movk_i32 s0, 0x7fff
	v_add3_u32 v7, v6, v7, s0
	v_cmp_o_f32_e32 vcc, v6, v6
	v_mov_b32_e32 v6, 0x7fc0
	s_mov_b64 s[12:13], -1
	v_cndmask_b32_sdwa v6, v6, v7, vcc dst_sel:DWORD dst_unused:UNUSED_PAD src0_sel:DWORD src1_sel:WORD_1
	global_store_short v[4:5], v6, off
	s_mov_b64 s[0:1], 0
.LBB248_98:
	s_mov_b64 s[18:19], 0
.LBB248_99:
	s_and_b64 vcc, exec, s[18:19]
	s_cbranch_vccz .LBB248_102
; %bb.100:
	s_cmp_eq_u32 s25, 11
	s_mov_b64 s[0:1], -1
	s_cbranch_scc0 .LBB248_102
; %bb.101:
	v_cmp_neq_f64_e32 vcc, 0, v[2:3]
	s_mov_b64 s[0:1], 0
	s_mov_b64 s[12:13], -1
	v_cndmask_b32_e64 v2, 0, 1, vcc
	global_store_byte v[4:5], v2, off
.LBB248_102:
	s_branch .LBB248_20
.LBB248_103:
	s_and_b32 s18, 0xffff, s24
	s_cmp_lt_i32 s18, 5
	s_mov_b64 s[12:13], -1
	s_cbranch_scc1 .LBB248_124
; %bb.104:
	s_cmp_lt_i32 s18, 8
	s_cbranch_scc1 .LBB248_114
; %bb.105:
	s_cmp_lt_i32 s18, 9
	s_cbranch_scc1 .LBB248_111
; %bb.106:
	s_cmp_gt_i32 s18, 9
	s_cbranch_scc0 .LBB248_108
; %bb.107:
	v_mov_b32_e32 v2, 0
	v_mov_b32_e32 v3, v2
	global_store_dwordx4 v[4:5], v[0:3], off
	s_mov_b64 s[12:13], 0
.LBB248_108:
	s_andn2_b64 vcc, exec, s[12:13]
	s_cbranch_vccnz .LBB248_110
; %bb.109:
	v_cvt_f32_f64_e32 v2, v[0:1]
	v_mov_b32_e32 v3, 0
	global_store_dwordx2 v[4:5], v[2:3], off
.LBB248_110:
	s_mov_b64 s[12:13], 0
.LBB248_111:
	s_andn2_b64 vcc, exec, s[12:13]
	s_cbranch_vccnz .LBB248_113
; %bb.112:
	s_movk_i32 s12, 0x1ff
	v_and_or_b32 v2, v1, s12, v0
	v_cmp_ne_u32_e32 vcc, 0, v2
	v_lshrrev_b32_e32 v3, 8, v1
	s_movk_i32 s12, 0xffe
	v_cndmask_b32_e64 v2, 0, 1, vcc
	v_bfe_u32 v6, v1, 20, 11
	v_and_or_b32 v2, v3, s12, v2
	v_sub_u32_e32 v7, 0x3f1, v6
	v_or_b32_e32 v3, 0x1000, v2
	v_med3_i32 v7, v7, 0, 13
	v_lshrrev_b32_e32 v8, v7, v3
	v_lshlrev_b32_e32 v7, v7, v8
	v_cmp_ne_u32_e32 vcc, v7, v3
	v_add_u32_e32 v6, 0xfffffc10, v6
	v_lshl_or_b32 v7, v6, 12, v2
	v_cndmask_b32_e64 v3, 0, 1, vcc
	v_or_b32_e32 v3, v8, v3
	v_cmp_gt_i32_e32 vcc, 1, v6
	s_movk_i32 s12, 0x40f
	s_nop 0
	v_cndmask_b32_e32 v3, v7, v3, vcc
	v_and_b32_e32 v7, 7, v3
	v_cmp_lt_i32_e32 vcc, 5, v7
	v_lshrrev_b32_e32 v3, 2, v3
	s_nop 0
	v_cndmask_b32_e64 v8, 0, 1, vcc
	v_cmp_eq_u32_e32 vcc, 3, v7
	s_nop 1
	v_cndmask_b32_e64 v7, 0, 1, vcc
	v_or_b32_e32 v7, v7, v8
	v_add_u32_e32 v3, v3, v7
	v_mov_b32_e32 v7, 0x7c00
	v_cmp_gt_i32_e32 vcc, 31, v6
	v_mov_b32_e32 v8, 0x7e00
	s_nop 0
	v_cndmask_b32_e32 v3, v7, v3, vcc
	v_cmp_ne_u32_e32 vcc, 0, v2
	s_nop 1
	v_cndmask_b32_e32 v2, v7, v8, vcc
	v_cmp_eq_u32_e32 vcc, s12, v6
	s_mov_b32 s12, 0x8000
	s_nop 0
	v_cndmask_b32_e32 v2, v3, v2, vcc
	v_and_b32_sdwa v3, v1, s12 dst_sel:DWORD dst_unused:UNUSED_PAD src0_sel:WORD_1 src1_sel:DWORD
	s_mov_b32 s12, 0xffff
	v_bitop3_b32 v2, v3, s12, v2 bitop3:0xc8
	global_store_dword v[4:5], v2, off
.LBB248_113:
	s_mov_b64 s[12:13], 0
.LBB248_114:
	s_andn2_b64 vcc, exec, s[12:13]
	s_cbranch_vccnz .LBB248_123
; %bb.115:
	s_cmp_lt_i32 s18, 6
	s_mov_b64 s[12:13], -1
	s_cbranch_scc1 .LBB248_121
; %bb.116:
	s_cmp_gt_i32 s18, 6
	s_cbranch_scc0 .LBB248_118
; %bb.117:
	global_store_dwordx2 v[4:5], v[0:1], off
	s_mov_b64 s[12:13], 0
.LBB248_118:
	s_andn2_b64 vcc, exec, s[12:13]
	s_cbranch_vccnz .LBB248_120
; %bb.119:
	v_cvt_f32_f64_e32 v2, v[0:1]
	global_store_dword v[4:5], v2, off
.LBB248_120:
	s_mov_b64 s[12:13], 0
.LBB248_121:
	s_andn2_b64 vcc, exec, s[12:13]
	s_cbranch_vccnz .LBB248_123
; %bb.122:
	s_movk_i32 s12, 0x1ff
	v_and_or_b32 v2, v1, s12, v0
	v_cmp_ne_u32_e32 vcc, 0, v2
	v_lshrrev_b32_e32 v3, 8, v1
	s_movk_i32 s12, 0xffe
	v_cndmask_b32_e64 v2, 0, 1, vcc
	v_bfe_u32 v6, v1, 20, 11
	v_and_or_b32 v2, v3, s12, v2
	v_sub_u32_e32 v7, 0x3f1, v6
	v_or_b32_e32 v3, 0x1000, v2
	v_med3_i32 v7, v7, 0, 13
	v_lshrrev_b32_e32 v8, v7, v3
	v_lshlrev_b32_e32 v7, v7, v8
	v_cmp_ne_u32_e32 vcc, v7, v3
	v_add_u32_e32 v6, 0xfffffc10, v6
	v_lshl_or_b32 v7, v6, 12, v2
	v_cndmask_b32_e64 v3, 0, 1, vcc
	v_or_b32_e32 v3, v8, v3
	v_cmp_gt_i32_e32 vcc, 1, v6
	s_movk_i32 s12, 0x40f
	s_nop 0
	v_cndmask_b32_e32 v3, v7, v3, vcc
	v_and_b32_e32 v7, 7, v3
	v_cmp_lt_i32_e32 vcc, 5, v7
	v_lshrrev_b32_e32 v3, 2, v3
	s_nop 0
	v_cndmask_b32_e64 v8, 0, 1, vcc
	v_cmp_eq_u32_e32 vcc, 3, v7
	s_nop 1
	v_cndmask_b32_e64 v7, 0, 1, vcc
	v_or_b32_e32 v7, v7, v8
	v_add_u32_e32 v3, v3, v7
	v_mov_b32_e32 v7, 0x7c00
	v_cmp_gt_i32_e32 vcc, 31, v6
	v_mov_b32_e32 v8, 0x7e00
	s_nop 0
	v_cndmask_b32_e32 v3, v7, v3, vcc
	v_cmp_ne_u32_e32 vcc, 0, v2
	s_nop 1
	v_cndmask_b32_e32 v2, v7, v8, vcc
	v_cmp_eq_u32_e32 vcc, s12, v6
	s_mov_b32 s12, 0x8000
	s_nop 0
	v_cndmask_b32_e32 v2, v3, v2, vcc
	v_lshrrev_b32_e32 v3, 16, v1
	v_and_or_b32 v2, v3, s12, v2
	global_store_short v[4:5], v2, off
.LBB248_123:
	s_mov_b64 s[12:13], 0
.LBB248_124:
	s_andn2_b64 vcc, exec, s[12:13]
	s_cbranch_vccnz .LBB248_140
; %bb.125:
	s_cmp_lt_i32 s18, 2
	s_mov_b64 s[12:13], -1
	s_cbranch_scc1 .LBB248_135
; %bb.126:
	s_cmp_lt_i32 s18, 3
	s_cbranch_scc1 .LBB248_132
; %bb.127:
	s_cmp_gt_i32 s18, 3
	s_cbranch_scc0 .LBB248_129
; %bb.128:
	v_trunc_f64_e32 v[2:3], v[0:1]
	s_movk_i32 s12, 0xffe0
	v_ldexp_f64 v[6:7], v[2:3], s12
	v_floor_f64_e32 v[6:7], v[6:7]
	v_fmac_f64_e32 v[2:3], 0xc1f00000, v[6:7]
	v_cvt_i32_f64_e32 v9, v[6:7]
	v_cvt_u32_f64_e32 v8, v[2:3]
	global_store_dwordx2 v[4:5], v[8:9], off
	s_mov_b64 s[12:13], 0
.LBB248_129:
	s_andn2_b64 vcc, exec, s[12:13]
	s_cbranch_vccnz .LBB248_131
; %bb.130:
	v_cvt_i32_f64_e32 v2, v[0:1]
	global_store_dword v[4:5], v2, off
.LBB248_131:
	s_mov_b64 s[12:13], 0
.LBB248_132:
	s_andn2_b64 vcc, exec, s[12:13]
	s_cbranch_vccnz .LBB248_134
; %bb.133:
	v_cvt_i32_f64_e32 v2, v[0:1]
	global_store_short v[4:5], v2, off
.LBB248_134:
	s_mov_b64 s[12:13], 0
.LBB248_135:
	s_andn2_b64 vcc, exec, s[12:13]
	s_cbranch_vccnz .LBB248_140
; %bb.136:
	s_cmp_gt_i32 s18, 0
	s_mov_b64 s[12:13], -1
	s_cbranch_scc0 .LBB248_138
; %bb.137:
	v_cvt_i32_f64_e32 v2, v[0:1]
	global_store_byte v[4:5], v2, off
	s_mov_b64 s[12:13], 0
.LBB248_138:
	s_andn2_b64 vcc, exec, s[12:13]
	s_cbranch_vccnz .LBB248_140
; %bb.139:
	v_trunc_f64_e32 v[0:1], v[0:1]
	s_movk_i32 s12, 0xffe0
	v_ldexp_f64 v[2:3], v[0:1], s12
	v_floor_f64_e32 v[2:3], v[2:3]
	v_fmac_f64_e32 v[0:1], 0xc1f00000, v[2:3]
	v_cvt_u32_f64_e32 v0, v[0:1]
	global_store_byte v[4:5], v0, off
.LBB248_140:
	s_branch .LBB248_21
.LBB248_141:
	s_mov_b64 s[18:19], 0
                                        ; implicit-def: $vgpr10
	s_branch .LBB248_251
.LBB248_142:
	s_mov_b64 s[14:15], -1
                                        ; implicit-def: $vgpr2_vgpr3
.LBB248_143:
	s_mov_b64 s[12:13], 0
.LBB248_144:
	s_and_b64 vcc, exec, s[12:13]
	s_cbranch_vccz .LBB248_148
; %bb.145:
	s_cmp_eq_u32 s22, 29
	s_cbranch_scc0 .LBB248_147
; %bb.146:
	global_load_dwordx2 v[2:3], v[0:1], off
	s_mov_b64 s[0:1], -1
	s_mov_b64 s[14:15], 0
	s_mov_b64 s[12:13], 0
	s_waitcnt vmcnt(0)
	v_cvt_f64_u32_e32 v[4:5], v3
	v_cvt_f64_u32_e32 v[2:3], v2
	v_ldexp_f64 v[4:5], v[4:5], 32
	v_add_f64 v[2:3], v[4:5], v[2:3]
	s_branch .LBB248_149
.LBB248_147:
	s_mov_b64 s[14:15], -1
                                        ; implicit-def: $vgpr2_vgpr3
.LBB248_148:
	s_mov_b64 s[12:13], 0
.LBB248_149:
	s_and_b64 vcc, exec, s[12:13]
	s_cbranch_vccz .LBB248_169
; %bb.150:
	s_cmp_lt_i32 s22, 27
	s_cbranch_scc1 .LBB248_153
; %bb.151:
	s_cmp_gt_i32 s22, 27
	s_cbranch_scc0 .LBB248_154
; %bb.152:
	global_load_dword v2, v[0:1], off
	s_mov_b64 s[0:1], 0
	s_waitcnt vmcnt(0)
	v_cvt_f64_u32_e32 v[2:3], v2
	s_branch .LBB248_155
.LBB248_153:
	s_mov_b64 s[0:1], -1
                                        ; implicit-def: $vgpr2_vgpr3
	s_branch .LBB248_158
.LBB248_154:
	s_mov_b64 s[0:1], -1
                                        ; implicit-def: $vgpr2_vgpr3
.LBB248_155:
	s_andn2_b64 vcc, exec, s[0:1]
	s_cbranch_vccnz .LBB248_157
; %bb.156:
	global_load_ushort v2, v[0:1], off
	s_waitcnt vmcnt(0)
	v_cvt_f64_u32_e32 v[2:3], v2
.LBB248_157:
	s_mov_b64 s[0:1], 0
.LBB248_158:
	s_andn2_b64 vcc, exec, s[0:1]
	s_cbranch_vccnz .LBB248_168
; %bb.159:
	global_load_ubyte v4, v[0:1], off
	s_movk_i32 s0, 0x7f
	s_waitcnt vmcnt(0)
	v_cmp_lt_i16_e32 vcc, s0, v4
	s_mov_b64 s[0:1], 0
	s_and_saveexec_b64 s[12:13], vcc
	s_xor_b64 s[12:13], exec, s[12:13]
	s_cbranch_execz .LBB248_163
; %bb.160:
	s_movk_i32 s0, 0x80
	v_cmp_eq_u16_e32 vcc, s0, v4
	s_mov_b64 s[0:1], -1
	s_and_saveexec_b64 s[18:19], vcc
; %bb.161:
	s_xor_b64 s[0:1], exec, -1
; %bb.162:
	s_or_b64 exec, exec, s[18:19]
	s_and_b64 s[0:1], s[0:1], exec
.LBB248_163:
	s_or_saveexec_b64 s[12:13], s[12:13]
	v_bfrev_b32_e32 v2, 4
	v_mov_b32_e32 v3, 0x7ff80000
	s_xor_b64 exec, exec, s[12:13]
; %bb.164:
	v_cmp_ne_u16_e32 vcc, 0, v4
	s_andn2_b64 s[0:1], s[0:1], exec
	s_and_b64 s[18:19], vcc, exec
	v_mov_b64_e32 v[2:3], 0
	s_or_b64 s[0:1], s[0:1], s[18:19]
; %bb.165:
	s_or_b64 exec, exec, s[12:13]
	s_and_saveexec_b64 s[12:13], s[0:1]
	s_cbranch_execz .LBB248_167
; %bb.166:
	v_and_b32_e32 v3, 0xffff, v4
	v_lshlrev_b32_e32 v2, 24, v4
	v_and_b32_e32 v4, 7, v3
	v_ffbh_u32_e32 v6, v4
	v_min_u32_e32 v6, 32, v6
	v_subrev_u32_e32 v7, 28, v6
	v_bfe_u32 v5, v3, 3, 4
	v_lshlrev_b32_e32 v3, v7, v3
	v_sub_u32_e32 v6, 29, v6
	v_and_b32_e32 v3, 7, v3
	v_cmp_eq_u32_e32 vcc, 0, v5
	v_and_b32_e32 v2, 0x80000000, v2
	s_nop 0
	v_cndmask_b32_e32 v5, v5, v6, vcc
	v_cndmask_b32_e32 v3, v4, v3, vcc
	v_mov_b32_e32 v4, 0x3b800000
	v_lshlrev_b32_e32 v3, 20, v3
	v_lshl_add_u32 v4, v5, 23, v4
	v_or3_b32 v2, v2, v4, v3
	v_cvt_f64_f32_e32 v[2:3], v2
.LBB248_167:
	s_or_b64 exec, exec, s[12:13]
.LBB248_168:
	s_mov_b64 s[0:1], -1
.LBB248_169:
	s_branch .LBB248_202
.LBB248_170:
	s_cmp_gt_i32 s22, 22
	s_cbranch_scc0 .LBB248_182
; %bb.171:
	s_cmp_lt_i32 s22, 24
	s_cbranch_scc1 .LBB248_183
; %bb.172:
	s_cmp_gt_i32 s22, 24
	s_cbranch_scc0 .LBB248_184
; %bb.173:
	global_load_ubyte v4, v[0:1], off
	s_movk_i32 s0, 0x7f
	s_waitcnt vmcnt(0)
	v_cmp_lt_i16_e32 vcc, s0, v4
	s_mov_b64 s[0:1], 0
	s_and_saveexec_b64 s[12:13], vcc
	s_xor_b64 s[12:13], exec, s[12:13]
	s_cbranch_execz .LBB248_177
; %bb.174:
	s_movk_i32 s0, 0x80
	v_cmp_eq_u16_e32 vcc, s0, v4
	s_mov_b64 s[0:1], -1
	s_and_saveexec_b64 s[18:19], vcc
; %bb.175:
	s_xor_b64 s[0:1], exec, -1
; %bb.176:
	s_or_b64 exec, exec, s[18:19]
	s_and_b64 s[0:1], s[0:1], exec
.LBB248_177:
	s_or_saveexec_b64 s[12:13], s[12:13]
	v_bfrev_b32_e32 v2, 4
	v_mov_b32_e32 v3, 0x7ff80000
	s_xor_b64 exec, exec, s[12:13]
; %bb.178:
	v_cmp_ne_u16_e32 vcc, 0, v4
	s_andn2_b64 s[0:1], s[0:1], exec
	s_and_b64 s[18:19], vcc, exec
	v_mov_b64_e32 v[2:3], 0
	s_or_b64 s[0:1], s[0:1], s[18:19]
; %bb.179:
	s_or_b64 exec, exec, s[12:13]
	s_and_saveexec_b64 s[12:13], s[0:1]
	s_cbranch_execz .LBB248_181
; %bb.180:
	v_and_b32_e32 v3, 0xffff, v4
	v_lshlrev_b32_e32 v2, 24, v4
	v_and_b32_e32 v4, 3, v3
	v_ffbh_u32_e32 v6, v4
	v_min_u32_e32 v6, 32, v6
	v_subrev_u32_e32 v7, 29, v6
	v_bfe_u32 v5, v3, 2, 5
	v_lshlrev_b32_e32 v3, v7, v3
	v_sub_u32_e32 v6, 30, v6
	v_and_b32_e32 v3, 3, v3
	v_cmp_eq_u32_e32 vcc, 0, v5
	v_and_b32_e32 v2, 0x80000000, v2
	s_nop 0
	v_cndmask_b32_e32 v5, v5, v6, vcc
	v_cndmask_b32_e32 v3, v4, v3, vcc
	v_mov_b32_e32 v4, 0x37800000
	v_lshlrev_b32_e32 v3, 21, v3
	v_lshl_add_u32 v4, v5, 23, v4
	v_or3_b32 v2, v2, v4, v3
	v_cvt_f64_f32_e32 v[2:3], v2
.LBB248_181:
	s_or_b64 exec, exec, s[12:13]
	s_mov_b64 s[0:1], 0
	s_branch .LBB248_185
.LBB248_182:
	s_mov_b64 s[12:13], -1
                                        ; implicit-def: $vgpr2_vgpr3
	s_branch .LBB248_191
.LBB248_183:
	s_mov_b64 s[0:1], -1
                                        ; implicit-def: $vgpr2_vgpr3
	s_branch .LBB248_188
.LBB248_184:
	s_mov_b64 s[0:1], -1
                                        ; implicit-def: $vgpr2_vgpr3
.LBB248_185:
	s_and_b64 vcc, exec, s[0:1]
	s_cbranch_vccz .LBB248_187
; %bb.186:
	global_load_ubyte v2, v[0:1], off
	s_mov_b32 s0, 0x7f800000
	s_waitcnt vmcnt(0)
	v_lshlrev_b32_e32 v2, 24, v2
	v_and_b32_e32 v3, 0x7f000000, v2
	v_ffbh_u32_e32 v4, v3
	v_min_u32_e32 v4, 32, v4
	v_sub_u32_e64 v4, v4, 4 clamp
	v_lshlrev_b32_e32 v6, v4, v3
	v_lshlrev_b32_e32 v4, 23, v4
	v_lshrrev_b32_e32 v6, 4, v6
	v_add_u32_e32 v5, 0x1000000, v3
	v_sub_u32_e32 v4, v6, v4
	v_ashrrev_i32_e32 v5, 8, v5
	v_add_u32_e32 v4, 0x3c000000, v4
	v_and_or_b32 v4, v5, s0, v4
	v_cmp_ne_u32_e32 vcc, 0, v3
	s_brev_b32 s0, 1
	s_nop 0
	v_cndmask_b32_e32 v3, 0, v4, vcc
	v_and_or_b32 v2, v2, s0, v3
	v_cvt_f64_f32_e32 v[2:3], v2
.LBB248_187:
	s_mov_b64 s[0:1], 0
.LBB248_188:
	s_andn2_b64 vcc, exec, s[0:1]
	s_cbranch_vccnz .LBB248_190
; %bb.189:
	global_load_ubyte v2, v[0:1], off
	s_movk_i32 s0, 0x7f00
	s_brev_b32 s1, 16
	s_waitcnt vmcnt(0)
	v_lshlrev_b16_e32 v3, 8, v2
	v_lshlrev_b32_e32 v2, 25, v2
	v_lshrrev_b32_e32 v4, 4, v2
	v_and_or_b32 v5, v3, s0, 0.5
	v_or_b32_e32 v4, 0x70000000, v4
	v_add_f32_e32 v5, -0.5, v5
	v_mul_f32_e32 v4, 0x7800000, v4
	v_cmp_gt_u32_e32 vcc, s1, v2
	v_bfe_i32 v3, v3, 0, 16
	s_brev_b32 s0, 1
	v_cndmask_b32_e32 v2, v4, v5, vcc
	v_and_or_b32 v2, v3, s0, v2
	v_cvt_f64_f32_e32 v[2:3], v2
.LBB248_190:
	s_mov_b64 s[12:13], 0
	s_mov_b64 s[0:1], -1
.LBB248_191:
	s_andn2_b64 vcc, exec, s[12:13]
	s_cbranch_vccnz .LBB248_202
; %bb.192:
	s_cmp_gt_i32 s22, 14
	s_cbranch_scc0 .LBB248_195
; %bb.193:
	s_cmp_eq_u32 s22, 15
	s_cbranch_scc0 .LBB248_196
; %bb.194:
	global_load_ushort v2, v[0:1], off
	s_mov_b64 s[0:1], -1
	s_mov_b64 s[14:15], 0
	s_waitcnt vmcnt(0)
	v_lshlrev_b32_e32 v2, 16, v2
	v_cvt_f64_f32_e32 v[2:3], v2
	s_branch .LBB248_197
.LBB248_195:
	s_mov_b64 s[12:13], -1
                                        ; implicit-def: $vgpr2_vgpr3
	s_branch .LBB248_198
.LBB248_196:
	s_mov_b64 s[14:15], -1
                                        ; implicit-def: $vgpr2_vgpr3
.LBB248_197:
	s_mov_b64 s[12:13], 0
.LBB248_198:
	s_and_b64 vcc, exec, s[12:13]
	s_cbranch_vccz .LBB248_202
; %bb.199:
	s_cmp_eq_u32 s22, 11
	s_cbranch_scc0 .LBB248_201
; %bb.200:
	global_load_ubyte v3, v[0:1], off
	v_mov_b32_e32 v4, 0x3ff00000
	v_mov_b32_e32 v2, 0
	s_mov_b64 s[0:1], -1
	s_mov_b64 s[14:15], 0
	s_waitcnt vmcnt(0)
	v_cmp_ne_u16_e32 vcc, 0, v3
	s_nop 1
	v_cndmask_b32_e32 v3, 0, v4, vcc
	s_branch .LBB248_202
.LBB248_201:
	s_mov_b64 s[14:15], -1
                                        ; implicit-def: $vgpr2_vgpr3
.LBB248_202:
	s_branch .LBB248_10
.LBB248_203:
	s_cmp_lt_i32 s22, 5
	s_cbranch_scc1 .LBB248_208
; %bb.204:
	s_cmp_lt_i32 s22, 8
	s_cbranch_scc1 .LBB248_209
; %bb.205:
	;; [unrolled: 3-line block ×3, first 2 shown]
	s_cmp_gt_i32 s22, 9
	s_cbranch_scc0 .LBB248_211
; %bb.207:
	global_load_dwordx2 v[2:3], v[0:1], off
	s_mov_b64 s[0:1], 0
	s_branch .LBB248_212
.LBB248_208:
                                        ; implicit-def: $vgpr2_vgpr3
	s_branch .LBB248_230
.LBB248_209:
	s_mov_b64 s[0:1], -1
                                        ; implicit-def: $vgpr2_vgpr3
	s_branch .LBB248_218
.LBB248_210:
	s_mov_b64 s[0:1], -1
                                        ; implicit-def: $vgpr2_vgpr3
	s_branch .LBB248_215
.LBB248_211:
	s_mov_b64 s[0:1], -1
                                        ; implicit-def: $vgpr2_vgpr3
.LBB248_212:
	s_andn2_b64 vcc, exec, s[0:1]
	s_cbranch_vccnz .LBB248_214
; %bb.213:
	global_load_dword v2, v[0:1], off
	s_waitcnt vmcnt(0)
	v_cvt_f64_f32_e32 v[2:3], v2
.LBB248_214:
	s_mov_b64 s[0:1], 0
.LBB248_215:
	s_andn2_b64 vcc, exec, s[0:1]
	s_cbranch_vccnz .LBB248_217
; %bb.216:
	global_load_dword v2, v[0:1], off
	s_waitcnt vmcnt(0)
	v_cvt_f32_f16_e32 v2, v2
	v_cvt_f64_f32_e32 v[2:3], v2
.LBB248_217:
	s_mov_b64 s[0:1], 0
.LBB248_218:
	s_andn2_b64 vcc, exec, s[0:1]
	s_cbranch_vccnz .LBB248_229
; %bb.219:
	s_cmp_lt_i32 s22, 6
	s_cbranch_scc1 .LBB248_222
; %bb.220:
	s_cmp_gt_i32 s22, 6
	s_cbranch_scc0 .LBB248_223
; %bb.221:
	global_load_dwordx2 v[2:3], v[0:1], off
	s_mov_b64 s[0:1], 0
	s_branch .LBB248_224
.LBB248_222:
	s_mov_b64 s[0:1], -1
                                        ; implicit-def: $vgpr2_vgpr3
	s_branch .LBB248_227
.LBB248_223:
	s_mov_b64 s[0:1], -1
                                        ; implicit-def: $vgpr2_vgpr3
.LBB248_224:
	s_andn2_b64 vcc, exec, s[0:1]
	s_cbranch_vccnz .LBB248_226
; %bb.225:
	global_load_dword v2, v[0:1], off
	s_waitcnt vmcnt(0)
	v_cvt_f64_f32_e32 v[2:3], v2
.LBB248_226:
	s_mov_b64 s[0:1], 0
.LBB248_227:
	s_andn2_b64 vcc, exec, s[0:1]
	s_cbranch_vccnz .LBB248_229
; %bb.228:
	global_load_ushort v2, v[0:1], off
	s_waitcnt vmcnt(0)
	v_cvt_f32_f16_e32 v2, v2
	v_cvt_f64_f32_e32 v[2:3], v2
.LBB248_229:
	s_cbranch_execnz .LBB248_249
.LBB248_230:
	s_cmp_lt_i32 s22, 2
	s_cbranch_scc1 .LBB248_234
; %bb.231:
	s_cmp_lt_i32 s22, 3
	s_cbranch_scc1 .LBB248_235
; %bb.232:
	s_cmp_gt_i32 s22, 3
	s_cbranch_scc0 .LBB248_236
; %bb.233:
	global_load_dwordx2 v[2:3], v[0:1], off
	s_mov_b64 s[0:1], 0
	s_waitcnt vmcnt(0)
	v_cvt_f64_i32_e32 v[4:5], v3
	v_cvt_f64_u32_e32 v[2:3], v2
	v_ldexp_f64 v[4:5], v[4:5], 32
	v_add_f64 v[2:3], v[4:5], v[2:3]
	s_branch .LBB248_237
.LBB248_234:
	s_mov_b64 s[0:1], -1
                                        ; implicit-def: $vgpr2_vgpr3
	s_branch .LBB248_243
.LBB248_235:
	s_mov_b64 s[0:1], -1
                                        ; implicit-def: $vgpr2_vgpr3
	s_branch .LBB248_240
.LBB248_236:
	s_mov_b64 s[0:1], -1
                                        ; implicit-def: $vgpr2_vgpr3
.LBB248_237:
	s_andn2_b64 vcc, exec, s[0:1]
	s_cbranch_vccnz .LBB248_239
; %bb.238:
	global_load_dword v2, v[0:1], off
	s_waitcnt vmcnt(0)
	v_cvt_f64_i32_e32 v[2:3], v2
.LBB248_239:
	s_mov_b64 s[0:1], 0
.LBB248_240:
	s_andn2_b64 vcc, exec, s[0:1]
	s_cbranch_vccnz .LBB248_242
; %bb.241:
	global_load_sshort v2, v[0:1], off
	s_waitcnt vmcnt(0)
	v_cvt_f64_i32_e32 v[2:3], v2
.LBB248_242:
	s_mov_b64 s[0:1], 0
.LBB248_243:
	s_andn2_b64 vcc, exec, s[0:1]
	s_cbranch_vccnz .LBB248_249
; %bb.244:
	s_cmp_gt_i32 s22, 0
	s_cbranch_scc0 .LBB248_246
; %bb.245:
	global_load_sbyte v2, v[0:1], off
	s_mov_b64 s[0:1], 0
	s_waitcnt vmcnt(0)
	v_cvt_f64_i32_e32 v[2:3], v2
	s_branch .LBB248_247
.LBB248_246:
	s_mov_b64 s[0:1], -1
                                        ; implicit-def: $vgpr2_vgpr3
.LBB248_247:
	s_andn2_b64 vcc, exec, s[0:1]
	s_cbranch_vccnz .LBB248_249
; %bb.248:
	global_load_ubyte v0, v[0:1], off
	s_waitcnt vmcnt(0)
	v_cvt_f64_u32_e32 v[2:3], v0
.LBB248_249:
	s_branch .LBB248_11
.LBB248_250:
	s_mov_b64 s[0:1], 0
                                        ; implicit-def: $vgpr10
	s_mov_b64 s[18:19], 0
.LBB248_251:
	s_and_b64 s[12:13], s[0:1], exec
	s_and_b64 s[14:15], s[14:15], exec
	s_orn2_b64 s[18:19], s[18:19], exec
.LBB248_252:
	s_or_b64 exec, exec, s[16:17]
	s_mov_b64 s[22:23], 0
	s_mov_b64 s[0:1], 0
                                        ; implicit-def: $vgpr0_vgpr1
                                        ; implicit-def: $vgpr2_vgpr3
	s_and_saveexec_b64 s[16:17], s[18:19]
	s_cbranch_execz .LBB248_261
; %bb.253:
	v_cmp_gt_i32_e32 vcc, s38, v10
	s_mov_b64 s[0:1], -1
	s_mov_b64 s[18:19], s[14:15]
	s_mov_b64 s[20:21], s[12:13]
	s_and_saveexec_b64 s[22:23], vcc
	s_cbranch_execz .LBB248_513
; %bb.254:
	v_mul_lo_u32 v0, v10, s9
	v_ashrrev_i32_e32 v1, 31, v0
	s_and_b32 s26, 0xffff, s42
	s_cmp_lt_i32 s26, 11
	v_lshl_add_u64 v[0:1], s[6:7], 0, v[0:1]
	s_cbranch_scc1 .LBB248_264
; %bb.255:
	s_cmp_gt_i32 s26, 25
	s_cbranch_scc0 .LBB248_273
; %bb.256:
	s_cmp_gt_i32 s26, 28
	s_cbranch_scc0 .LBB248_275
	;; [unrolled: 3-line block ×4, first 2 shown]
; %bb.259:
	s_cmp_eq_u32 s26, 46
	s_mov_b64 s[20:21], 0
	s_cbranch_scc0 .LBB248_285
; %bb.260:
	global_load_dword v2, v[0:1], off
	s_mov_b64 s[18:19], 0
	s_waitcnt vmcnt(0)
	v_lshlrev_b32_e32 v2, 16, v2
	v_cvt_f64_f32_e32 v[2:3], v2
	s_branch .LBB248_286
.LBB248_261:
	s_or_b64 exec, exec, s[16:17]
	s_mov_b64 s[16:17], 0
	s_and_saveexec_b64 s[18:19], s[14:15]
	s_cbranch_execnz .LBB248_859
.LBB248_262:
	s_or_b64 exec, exec, s[18:19]
	s_and_saveexec_b64 s[14:15], s[20:21]
	s_xor_b64 s[14:15], exec, s[14:15]
	s_cbranch_execz .LBB248_860
.LBB248_263:
	global_load_ubyte v3, v[0:1], off
	v_mov_b32_e32 v4, 0x3ff00000
	s_waitcnt vmcnt(1)
	v_mov_b32_e32 v2, 0
	s_or_b64 s[0:1], s[0:1], exec
	s_waitcnt vmcnt(0)
	v_cmp_ne_u16_e32 vcc, 0, v3
	s_nop 1
	v_cndmask_b32_e32 v3, 0, v4, vcc
	s_or_b64 exec, exec, s[14:15]
	s_and_saveexec_b64 s[14:15], s[22:23]
	s_cbranch_execz .LBB248_906
	s_branch .LBB248_861
.LBB248_264:
	s_mov_b64 s[0:1], 0
                                        ; implicit-def: $vgpr2_vgpr3
	s_mov_b64 s[18:19], s[14:15]
	s_cbranch_execnz .LBB248_463
.LBB248_265:
	s_andn2_b64 vcc, exec, s[0:1]
	s_cbranch_vccnz .LBB248_511
.LBB248_266:
	s_mov_b32 s0, 0
	s_brev_b32 s1, 8
	v_mov_b32_e32 v0, 0x100
	s_waitcnt vmcnt(0)
	v_cmp_gt_f64_e32 vcc, s[0:1], v[2:3]
	s_and_b32 s28, s33, 0xff
	s_cmp_lt_i32 s28, 11
	v_cndmask_b32_e32 v0, 0, v0, vcc
	v_ldexp_f64 v[0:1], v[2:3], v0
	v_rsq_f64_e32 v[4:5], v[0:1]
	s_nop 0
	v_mul_f64 v[6:7], v[0:1], v[4:5]
	v_mul_f64 v[4:5], v[4:5], 0.5
	v_fma_f64 v[8:9], -v[4:5], v[6:7], 0.5
	v_fmac_f64_e32 v[6:7], v[6:7], v[8:9]
	v_fma_f64 v[12:13], -v[6:7], v[6:7], v[0:1]
	v_fmac_f64_e32 v[4:5], v[4:5], v[8:9]
	v_fmac_f64_e32 v[6:7], v[12:13], v[4:5]
	v_fma_f64 v[8:9], -v[6:7], v[6:7], v[0:1]
	v_fmac_f64_e32 v[6:7], v[8:9], v[4:5]
	v_mov_b32_e32 v4, 0xffffff80
	v_cndmask_b32_e32 v4, 0, v4, vcc
	v_ldexp_f64 v[4:5], v[6:7], v4
	v_mov_b32_e32 v6, 0x260
	v_cmp_class_f64_e32 vcc, v[0:1], v6
	s_nop 1
	v_cndmask_b32_e32 v0, v4, v0, vcc
	v_mul_lo_u32 v4, v10, s8
	v_cndmask_b32_e32 v1, v5, v1, vcc
	v_ashrrev_i32_e32 v5, 31, v4
	v_lshl_add_u64 v[4:5], s[4:5], 0, v[4:5]
	s_cbranch_scc1 .LBB248_274
; %bb.267:
	s_and_b32 s29, 0xffff, s28
	s_cmp_gt_i32 s29, 25
	s_cbranch_scc0 .LBB248_276
; %bb.268:
	s_cmp_gt_i32 s29, 28
	s_cbranch_scc0 .LBB248_278
; %bb.269:
	;; [unrolled: 3-line block ×4, first 2 shown]
	s_mov_b64 s[24:25], 0
	s_mov_b64 s[0:1], -1
	s_cmp_eq_u32 s29, 46
	s_mov_b64 s[20:21], 0
	s_cbranch_scc0 .LBB248_290
; %bb.272:
	v_cvt_f32_f64_e32 v6, v[0:1]
	v_bfe_u32 v7, v6, 16, 1
	s_movk_i32 s0, 0x7fff
	v_add3_u32 v7, v6, v7, s0
	v_cmp_o_f32_e32 vcc, v6, v6
	v_mov_b32_e32 v6, 0x7fc0
	s_mov_b64 s[20:21], -1
	v_cndmask_b32_sdwa v6, v6, v7, vcc dst_sel:DWORD dst_unused:UNUSED_PAD src0_sel:DWORD src1_sel:WORD_1
	global_store_dword v[4:5], v6, off
	s_mov_b64 s[0:1], 0
	s_branch .LBB248_290
.LBB248_273:
	s_mov_b64 s[20:21], -1
	s_mov_b64 s[0:1], 0
	s_mov_b64 s[18:19], s[14:15]
                                        ; implicit-def: $vgpr2_vgpr3
	s_branch .LBB248_429
.LBB248_274:
	s_mov_b64 s[24:25], -1
	s_mov_b64 s[20:21], 0
	s_mov_b64 s[0:1], s[12:13]
	s_branch .LBB248_359
.LBB248_275:
	s_mov_b64 s[20:21], -1
	s_mov_b64 s[0:1], 0
	s_mov_b64 s[18:19], s[14:15]
                                        ; implicit-def: $vgpr2_vgpr3
	s_branch .LBB248_408
.LBB248_276:
	s_mov_b64 s[24:25], -1
	s_mov_b64 s[20:21], 0
	s_mov_b64 s[0:1], s[12:13]
	s_branch .LBB248_317
.LBB248_277:
	s_mov_b64 s[20:21], -1
	s_mov_b64 s[0:1], 0
	s_mov_b64 s[18:19], s[14:15]
                                        ; implicit-def: $vgpr2_vgpr3
	s_branch .LBB248_403
.LBB248_278:
	s_mov_b64 s[24:25], -1
	s_mov_b64 s[20:21], 0
	s_mov_b64 s[0:1], s[12:13]
	s_branch .LBB248_300
.LBB248_279:
	s_andn2_saveexec_b64 s[22:23], s[22:23]
	s_cbranch_execz .LBB248_55
.LBB248_280:
	s_mov_b32 s26, 0x46000000
	v_add_f32_e64 v7, |v6|, s26
	v_and_b32_e32 v7, 0xff, v7
	v_cmp_ne_u32_e32 vcc, 0, v7
	s_andn2_b64 s[18:19], s[18:19], exec
	s_and_b64 s[26:27], vcc, exec
	s_or_b64 s[18:19], s[18:19], s[26:27]
	s_or_b64 exec, exec, s[22:23]
	v_mov_b32_e32 v8, 0
	s_and_saveexec_b64 s[22:23], s[18:19]
	s_cbranch_execnz .LBB248_56
	s_branch .LBB248_57
.LBB248_281:
	s_mov_b64 s[20:21], -1
	s_mov_b64 s[0:1], 0
	s_mov_b64 s[18:19], s[14:15]
                                        ; implicit-def: $vgpr2_vgpr3
	s_branch .LBB248_286
.LBB248_282:
	s_mov_b64 s[24:25], -1
	s_mov_b64 s[20:21], 0
	s_mov_b64 s[0:1], s[12:13]
	s_branch .LBB248_296
.LBB248_283:
	s_andn2_saveexec_b64 s[22:23], s[22:23]
	s_cbranch_execz .LBB248_68
.LBB248_284:
	s_mov_b32 s26, 0x42800000
	v_add_f32_e64 v7, |v6|, s26
	v_and_b32_e32 v7, 0xff, v7
	v_cmp_ne_u32_e32 vcc, 0, v7
	s_andn2_b64 s[18:19], s[18:19], exec
	s_and_b64 s[26:27], vcc, exec
	s_or_b64 s[18:19], s[18:19], s[26:27]
	s_or_b64 exec, exec, s[22:23]
	v_mov_b32_e32 v8, 0
	s_and_saveexec_b64 s[22:23], s[18:19]
	s_cbranch_execnz .LBB248_69
	s_branch .LBB248_70
.LBB248_285:
	s_mov_b64 s[18:19], -1
                                        ; implicit-def: $vgpr2_vgpr3
	s_mov_b64 s[0:1], 0
.LBB248_286:
	s_and_b64 vcc, exec, s[20:21]
	s_cbranch_vccz .LBB248_402
; %bb.287:
	s_cmp_eq_u32 s26, 44
	s_cbranch_scc0 .LBB248_401
; %bb.288:
	global_load_ubyte v4, v[0:1], off
	s_movk_i32 s18, 0xff
	v_bfrev_b32_e32 v5, 4
	v_mov_b32_e32 v6, 0x7ff80000
	v_bfrev_b32_e32 v7, 28
	s_mov_b64 s[0:1], -1
	s_waitcnt vmcnt(0)
	v_lshlrev_b32_e32 v2, 23, v4
	v_cvt_f64_f32_e32 v[2:3], v2
	v_cmp_ne_u32_e32 vcc, s18, v4
	s_mov_b64 s[18:19], 0
	s_nop 0
	v_cndmask_b32_e32 v2, v5, v2, vcc
	v_cndmask_b32_e32 v3, v6, v3, vcc
	v_cmp_ne_u32_e32 vcc, 0, v4
	s_nop 1
	v_cndmask_b32_e32 v3, v7, v3, vcc
	v_cndmask_b32_e32 v2, 0, v2, vcc
	s_branch .LBB248_402
.LBB248_289:
	s_mov_b64 s[24:25], -1
	s_mov_b64 s[20:21], 0
	s_mov_b64 s[0:1], s[12:13]
.LBB248_290:
	s_and_b64 vcc, exec, s[24:25]
	s_cbranch_vccz .LBB248_295
; %bb.291:
	s_cmp_eq_u32 s29, 44
	s_mov_b64 s[0:1], -1
	s_cbranch_scc0 .LBB248_295
; %bb.292:
	v_cvt_f32_f64_e32 v6, v[0:1]
	v_bfe_u32 v7, v6, 23, 8
	s_movk_i32 s0, 0xff
	v_cmp_ne_u32_e32 vcc, s0, v7
	v_mov_b32_e32 v8, 0xff
	s_and_saveexec_b64 s[20:21], vcc
; %bb.293:
	s_mov_b32 s0, 0x3fffff
	v_lshrrev_b32_e32 v8, 23, v6
	v_and_b32_e32 v9, 0x400000, v6
	v_and_or_b32 v6, v6, s0, v7
	v_cmp_ne_u32_e32 vcc, 0, v9
	v_cmp_ne_u32_e64 s[0:1], 0, v6
	s_and_b64 s[0:1], vcc, s[0:1]
	s_nop 0
	v_cndmask_b32_e64 v6, 0, 1, s[0:1]
	v_add_u32_e32 v8, v8, v6
; %bb.294:
	s_or_b64 exec, exec, s[20:21]
	s_mov_b64 s[20:21], -1
	s_mov_b64 s[0:1], 0
	global_store_byte v[4:5], v8, off
.LBB248_295:
	s_mov_b64 s[24:25], 0
.LBB248_296:
	s_and_b64 vcc, exec, s[24:25]
	s_cbranch_vccz .LBB248_299
; %bb.297:
	s_cmp_eq_u32 s29, 29
	s_mov_b64 s[0:1], -1
	s_cbranch_scc0 .LBB248_299
; %bb.298:
	v_trunc_f64_e32 v[6:7], v[0:1]
	s_movk_i32 s0, 0xffe0
	v_ldexp_f64 v[8:9], v[6:7], s0
	v_floor_f64_e32 v[8:9], v[8:9]
	v_fmac_f64_e32 v[6:7], 0xc1f00000, v[8:9]
	v_cvt_u32_f64_e32 v13, v[8:9]
	v_cvt_u32_f64_e32 v12, v[6:7]
	global_store_dwordx2 v[4:5], v[12:13], off
	s_mov_b64 s[20:21], -1
	s_mov_b64 s[0:1], 0
.LBB248_299:
	s_mov_b64 s[24:25], 0
.LBB248_300:
	s_and_b64 vcc, exec, s[24:25]
	s_cbranch_vccz .LBB248_316
; %bb.301:
	s_cmp_lt_i32 s29, 27
	s_mov_b64 s[20:21], -1
	s_cbranch_scc1 .LBB248_307
; %bb.302:
	s_cmp_gt_i32 s29, 27
	v_cvt_u32_f64_e32 v6, v[0:1]
	s_cbranch_scc0 .LBB248_304
; %bb.303:
	s_mov_b64 s[20:21], 0
	global_store_dword v[4:5], v6, off
.LBB248_304:
	s_andn2_b64 vcc, exec, s[20:21]
	s_cbranch_vccnz .LBB248_306
; %bb.305:
	global_store_short v[4:5], v6, off
.LBB248_306:
	s_mov_b64 s[20:21], 0
.LBB248_307:
	s_andn2_b64 vcc, exec, s[20:21]
	s_cbranch_vccnz .LBB248_315
; %bb.308:
	v_cvt_f32_f64_e32 v6, v[0:1]
	v_and_b32_e32 v7, 0x7fffffff, v6
	s_mov_b32 s20, 0x43800000
	v_cmp_gt_u32_e32 vcc, s20, v7
	v_mov_b32_e32 v8, 0x80
	s_and_saveexec_b64 s[20:21], vcc
	s_cbranch_execz .LBB248_314
; %bb.309:
	s_mov_b32 s24, 0x3bffffff
	v_cmp_lt_u32_e32 vcc, s24, v7
	s_mov_b64 s[24:25], 0
                                        ; implicit-def: $vgpr7
	s_and_saveexec_b64 s[26:27], vcc
	s_xor_b64 s[26:27], exec, s[26:27]
	s_cbranch_execz .LBB248_526
; %bb.310:
	v_bfe_u32 v7, v6, 20, 1
	s_mov_b32 s30, 0x487ffff
	v_add3_u32 v7, v6, v7, s30
	s_mov_b64 s[24:25], exec
	v_lshrrev_b32_e32 v7, 20, v7
	s_andn2_saveexec_b64 s[26:27], s[26:27]
	s_cbranch_execnz .LBB248_527
.LBB248_311:
	s_or_b64 exec, exec, s[26:27]
	v_mov_b32_e32 v8, 0
	s_and_saveexec_b64 s[26:27], s[24:25]
.LBB248_312:
	v_lshrrev_b32_e32 v6, 24, v6
	s_movk_i32 s24, 0x80
	v_and_or_b32 v8, v6, s24, v7
.LBB248_313:
	s_or_b64 exec, exec, s[26:27]
.LBB248_314:
	s_or_b64 exec, exec, s[20:21]
	global_store_byte v[4:5], v8, off
.LBB248_315:
	s_mov_b64 s[20:21], -1
.LBB248_316:
	s_mov_b64 s[24:25], 0
.LBB248_317:
	s_and_b64 vcc, exec, s[24:25]
	s_cbranch_vccz .LBB248_358
; %bb.318:
	s_cmp_gt_i32 s29, 22
	s_mov_b64 s[24:25], -1
	s_cbranch_scc0 .LBB248_350
; %bb.319:
	s_cmp_lt_i32 s29, 24
	s_mov_b64 s[20:21], -1
	s_cbranch_scc1 .LBB248_339
; %bb.320:
	s_cmp_gt_i32 s29, 24
	s_cbranch_scc0 .LBB248_328
; %bb.321:
	v_cvt_f32_f64_e32 v6, v[0:1]
	v_and_b32_e32 v7, 0x7fffffff, v6
	s_mov_b32 s20, 0x47800000
	v_cmp_gt_u32_e32 vcc, s20, v7
	v_mov_b32_e32 v8, 0x80
	s_and_saveexec_b64 s[20:21], vcc
	s_cbranch_execz .LBB248_327
; %bb.322:
	s_mov_b32 s24, 0x37ffffff
	v_cmp_lt_u32_e32 vcc, s24, v7
	s_mov_b64 s[24:25], 0
                                        ; implicit-def: $vgpr7
	s_and_saveexec_b64 s[26:27], vcc
	s_xor_b64 s[26:27], exec, s[26:27]
	s_cbranch_execz .LBB248_529
; %bb.323:
	v_bfe_u32 v7, v6, 21, 1
	s_mov_b32 s30, 0x88fffff
	v_add3_u32 v7, v6, v7, s30
	s_mov_b64 s[24:25], exec
	v_lshrrev_b32_e32 v7, 21, v7
	s_andn2_saveexec_b64 s[26:27], s[26:27]
	s_cbranch_execnz .LBB248_530
.LBB248_324:
	s_or_b64 exec, exec, s[26:27]
	v_mov_b32_e32 v8, 0
	s_and_saveexec_b64 s[26:27], s[24:25]
.LBB248_325:
	v_lshrrev_b32_e32 v6, 24, v6
	s_movk_i32 s24, 0x80
	v_and_or_b32 v8, v6, s24, v7
.LBB248_326:
	s_or_b64 exec, exec, s[26:27]
.LBB248_327:
	s_or_b64 exec, exec, s[20:21]
	s_mov_b64 s[20:21], 0
	global_store_byte v[4:5], v8, off
.LBB248_328:
	s_and_b64 vcc, exec, s[20:21]
	s_cbranch_vccz .LBB248_338
; %bb.329:
	v_cvt_f32_f64_e32 v6, v[0:1]
	v_and_b32_e32 v8, 0x7fffffff, v6
	s_mov_b32 s20, 0x43f00000
	v_cmp_gt_u32_e32 vcc, s20, v8
                                        ; implicit-def: $vgpr7
	s_and_saveexec_b64 s[20:21], vcc
	s_xor_b64 s[20:21], exec, s[20:21]
	s_cbranch_execz .LBB248_335
; %bb.330:
	s_mov_b32 s24, 0x3c7fffff
	v_cmp_lt_u32_e32 vcc, s24, v8
                                        ; implicit-def: $vgpr7
	s_and_saveexec_b64 s[24:25], vcc
	s_xor_b64 s[24:25], exec, s[24:25]
; %bb.331:
	v_bfe_u32 v7, v6, 20, 1
	s_mov_b32 s26, 0x407ffff
	v_add3_u32 v7, v6, v7, s26
	v_lshrrev_b32_e32 v8, 20, v7
	v_and_b32_e32 v7, 0xff00000, v7
	s_mov_b32 s26, 0x7f00000
	v_mov_b32_e32 v9, 0x7e
	v_cmp_ne_u32_e32 vcc, s26, v7
	s_nop 1
	v_cndmask_b32_e32 v7, v9, v8, vcc
; %bb.332:
	s_andn2_saveexec_b64 s[24:25], s[24:25]
; %bb.333:
	s_mov_b32 s26, 0x46800000
	v_add_f32_e64 v7, |v6|, s26
; %bb.334:
	s_or_b64 exec, exec, s[24:25]
                                        ; implicit-def: $vgpr8
.LBB248_335:
	s_andn2_saveexec_b64 s[20:21], s[20:21]
; %bb.336:
	s_mov_b32 s24, 0x7f800000
	v_mov_b32_e32 v7, 0x7e
	v_mov_b32_e32 v9, 0x7f
	v_cmp_lt_u32_e32 vcc, s24, v8
	s_nop 1
	v_cndmask_b32_e32 v7, v7, v9, vcc
; %bb.337:
	s_or_b64 exec, exec, s[20:21]
	v_lshrrev_b32_e32 v6, 24, v6
	s_movk_i32 s20, 0x80
	v_and_or_b32 v6, v6, s20, v7
	global_store_byte v[4:5], v6, off
.LBB248_338:
	s_mov_b64 s[20:21], 0
.LBB248_339:
	s_andn2_b64 vcc, exec, s[20:21]
	s_cbranch_vccnz .LBB248_349
; %bb.340:
	v_cvt_f32_f64_e32 v6, v[0:1]
	v_and_b32_e32 v8, 0x7fffffff, v6
	s_mov_b32 s20, 0x47800000
	v_cmp_gt_u32_e32 vcc, s20, v8
                                        ; implicit-def: $vgpr7
	s_and_saveexec_b64 s[20:21], vcc
	s_xor_b64 s[20:21], exec, s[20:21]
	s_cbranch_execz .LBB248_346
; %bb.341:
	s_mov_b32 s24, 0x387fffff
	v_cmp_lt_u32_e32 vcc, s24, v8
                                        ; implicit-def: $vgpr7
	s_and_saveexec_b64 s[24:25], vcc
	s_xor_b64 s[24:25], exec, s[24:25]
; %bb.342:
	v_bfe_u32 v7, v6, 21, 1
	s_mov_b32 s26, 0x80fffff
	v_add3_u32 v7, v6, v7, s26
	v_lshrrev_b32_e32 v7, 21, v7
; %bb.343:
	s_andn2_saveexec_b64 s[24:25], s[24:25]
; %bb.344:
	s_mov_b32 s26, 0x43000000
	v_add_f32_e64 v7, |v6|, s26
; %bb.345:
	s_or_b64 exec, exec, s[24:25]
                                        ; implicit-def: $vgpr8
.LBB248_346:
	s_andn2_saveexec_b64 s[20:21], s[20:21]
; %bb.347:
	s_mov_b32 s24, 0x7f800000
	v_mov_b32_e32 v7, 0x7c
	v_mov_b32_e32 v9, 0x7f
	v_cmp_lt_u32_e32 vcc, s24, v8
	s_nop 1
	v_cndmask_b32_e32 v7, v7, v9, vcc
; %bb.348:
	s_or_b64 exec, exec, s[20:21]
	v_lshrrev_b32_e32 v6, 24, v6
	s_movk_i32 s20, 0x80
	v_and_or_b32 v6, v6, s20, v7
	global_store_byte v[4:5], v6, off
.LBB248_349:
	s_mov_b64 s[24:25], 0
	s_mov_b64 s[20:21], -1
.LBB248_350:
	s_andn2_b64 vcc, exec, s[24:25]
	s_cbranch_vccnz .LBB248_358
; %bb.351:
	s_cmp_gt_i32 s29, 14
	s_mov_b64 s[24:25], -1
	s_cbranch_scc0 .LBB248_355
; %bb.352:
	s_cmp_eq_u32 s29, 15
	s_mov_b64 s[0:1], -1
	s_cbranch_scc0 .LBB248_354
; %bb.353:
	v_cvt_f32_f64_e32 v6, v[0:1]
	v_bfe_u32 v7, v6, 16, 1
	s_movk_i32 s0, 0x7fff
	v_add3_u32 v7, v6, v7, s0
	v_cmp_o_f32_e32 vcc, v6, v6
	v_mov_b32_e32 v6, 0x7fc0
	s_mov_b64 s[20:21], -1
	v_cndmask_b32_sdwa v6, v6, v7, vcc dst_sel:DWORD dst_unused:UNUSED_PAD src0_sel:DWORD src1_sel:WORD_1
	global_store_short v[4:5], v6, off
	s_mov_b64 s[0:1], 0
.LBB248_354:
	s_mov_b64 s[24:25], 0
.LBB248_355:
	s_and_b64 vcc, exec, s[24:25]
	s_cbranch_vccz .LBB248_358
; %bb.356:
	s_cmp_eq_u32 s29, 11
	s_mov_b64 s[0:1], -1
	s_cbranch_scc0 .LBB248_358
; %bb.357:
	v_cmp_neq_f64_e32 vcc, 0, v[2:3]
	s_mov_b64 s[0:1], 0
	s_mov_b64 s[20:21], -1
	v_cndmask_b32_e64 v2, 0, 1, vcc
	global_store_byte v[4:5], v2, off
.LBB248_358:
	s_mov_b64 s[24:25], 0
.LBB248_359:
	s_and_b64 vcc, exec, s[24:25]
	s_cbranch_vccz .LBB248_398
; %bb.360:
	s_and_b32 s24, 0xffff, s28
	s_cmp_lt_i32 s24, 5
	s_mov_b64 s[20:21], -1
	s_cbranch_scc1 .LBB248_381
; %bb.361:
	s_cmp_lt_i32 s24, 8
	s_cbranch_scc1 .LBB248_371
; %bb.362:
	s_cmp_lt_i32 s24, 9
	s_cbranch_scc1 .LBB248_368
; %bb.363:
	s_cmp_gt_i32 s24, 9
	s_cbranch_scc0 .LBB248_365
; %bb.364:
	v_mov_b32_e32 v2, 0
	v_mov_b32_e32 v3, v2
	s_mov_b64 s[20:21], 0
	global_store_dwordx4 v[4:5], v[0:3], off
.LBB248_365:
	s_andn2_b64 vcc, exec, s[20:21]
	s_cbranch_vccnz .LBB248_367
; %bb.366:
	v_cvt_f32_f64_e32 v2, v[0:1]
	v_mov_b32_e32 v3, 0
	global_store_dwordx2 v[4:5], v[2:3], off
.LBB248_367:
	s_mov_b64 s[20:21], 0
.LBB248_368:
	s_andn2_b64 vcc, exec, s[20:21]
	s_cbranch_vccnz .LBB248_370
; %bb.369:
	s_movk_i32 s20, 0x1ff
	v_and_or_b32 v2, v1, s20, v0
	v_cmp_ne_u32_e32 vcc, 0, v2
	v_lshrrev_b32_e32 v3, 8, v1
	s_movk_i32 s20, 0xffe
	v_cndmask_b32_e64 v2, 0, 1, vcc
	v_bfe_u32 v6, v1, 20, 11
	v_and_or_b32 v2, v3, s20, v2
	v_sub_u32_e32 v7, 0x3f1, v6
	v_or_b32_e32 v3, 0x1000, v2
	v_med3_i32 v7, v7, 0, 13
	v_lshrrev_b32_e32 v8, v7, v3
	v_lshlrev_b32_e32 v7, v7, v8
	v_cmp_ne_u32_e32 vcc, v7, v3
	v_add_u32_e32 v6, 0xfffffc10, v6
	v_lshl_or_b32 v7, v6, 12, v2
	v_cndmask_b32_e64 v3, 0, 1, vcc
	v_or_b32_e32 v3, v8, v3
	v_cmp_gt_i32_e32 vcc, 1, v6
	s_movk_i32 s20, 0x40f
	s_nop 0
	v_cndmask_b32_e32 v3, v7, v3, vcc
	v_and_b32_e32 v7, 7, v3
	v_cmp_lt_i32_e32 vcc, 5, v7
	v_lshrrev_b32_e32 v3, 2, v3
	s_nop 0
	v_cndmask_b32_e64 v8, 0, 1, vcc
	v_cmp_eq_u32_e32 vcc, 3, v7
	s_nop 1
	v_cndmask_b32_e64 v7, 0, 1, vcc
	v_or_b32_e32 v7, v7, v8
	v_add_u32_e32 v3, v3, v7
	v_mov_b32_e32 v7, 0x7c00
	v_cmp_gt_i32_e32 vcc, 31, v6
	v_mov_b32_e32 v8, 0x7e00
	s_nop 0
	v_cndmask_b32_e32 v3, v7, v3, vcc
	v_cmp_ne_u32_e32 vcc, 0, v2
	s_nop 1
	v_cndmask_b32_e32 v2, v7, v8, vcc
	v_cmp_eq_u32_e32 vcc, s20, v6
	s_mov_b32 s20, 0x8000
	s_nop 0
	v_cndmask_b32_e32 v2, v3, v2, vcc
	v_and_b32_sdwa v3, v1, s20 dst_sel:DWORD dst_unused:UNUSED_PAD src0_sel:WORD_1 src1_sel:DWORD
	s_mov_b32 s20, 0xffff
	v_bitop3_b32 v2, v3, s20, v2 bitop3:0xc8
	global_store_dword v[4:5], v2, off
.LBB248_370:
	s_mov_b64 s[20:21], 0
.LBB248_371:
	s_andn2_b64 vcc, exec, s[20:21]
	s_cbranch_vccnz .LBB248_380
; %bb.372:
	s_cmp_lt_i32 s24, 6
	s_mov_b64 s[20:21], -1
	s_cbranch_scc1 .LBB248_378
; %bb.373:
	s_cmp_gt_i32 s24, 6
	s_cbranch_scc0 .LBB248_375
; %bb.374:
	s_mov_b64 s[20:21], 0
	global_store_dwordx2 v[4:5], v[0:1], off
.LBB248_375:
	s_andn2_b64 vcc, exec, s[20:21]
	s_cbranch_vccnz .LBB248_377
; %bb.376:
	v_cvt_f32_f64_e32 v2, v[0:1]
	global_store_dword v[4:5], v2, off
.LBB248_377:
	s_mov_b64 s[20:21], 0
.LBB248_378:
	s_andn2_b64 vcc, exec, s[20:21]
	s_cbranch_vccnz .LBB248_380
; %bb.379:
	s_movk_i32 s20, 0x1ff
	v_and_or_b32 v2, v1, s20, v0
	v_cmp_ne_u32_e32 vcc, 0, v2
	v_lshrrev_b32_e32 v3, 8, v1
	s_movk_i32 s20, 0xffe
	v_cndmask_b32_e64 v2, 0, 1, vcc
	v_bfe_u32 v6, v1, 20, 11
	v_and_or_b32 v2, v3, s20, v2
	v_sub_u32_e32 v7, 0x3f1, v6
	v_or_b32_e32 v3, 0x1000, v2
	v_med3_i32 v7, v7, 0, 13
	v_lshrrev_b32_e32 v8, v7, v3
	v_lshlrev_b32_e32 v7, v7, v8
	v_cmp_ne_u32_e32 vcc, v7, v3
	v_add_u32_e32 v6, 0xfffffc10, v6
	v_lshl_or_b32 v7, v6, 12, v2
	v_cndmask_b32_e64 v3, 0, 1, vcc
	v_or_b32_e32 v3, v8, v3
	v_cmp_gt_i32_e32 vcc, 1, v6
	s_movk_i32 s20, 0x40f
	s_nop 0
	v_cndmask_b32_e32 v3, v7, v3, vcc
	v_and_b32_e32 v7, 7, v3
	v_cmp_lt_i32_e32 vcc, 5, v7
	v_lshrrev_b32_e32 v3, 2, v3
	s_nop 0
	v_cndmask_b32_e64 v8, 0, 1, vcc
	v_cmp_eq_u32_e32 vcc, 3, v7
	s_nop 1
	v_cndmask_b32_e64 v7, 0, 1, vcc
	v_or_b32_e32 v7, v7, v8
	v_add_u32_e32 v3, v3, v7
	v_mov_b32_e32 v7, 0x7c00
	v_cmp_gt_i32_e32 vcc, 31, v6
	v_mov_b32_e32 v8, 0x7e00
	s_nop 0
	v_cndmask_b32_e32 v3, v7, v3, vcc
	v_cmp_ne_u32_e32 vcc, 0, v2
	s_nop 1
	v_cndmask_b32_e32 v2, v7, v8, vcc
	v_cmp_eq_u32_e32 vcc, s20, v6
	s_mov_b32 s20, 0x8000
	s_nop 0
	v_cndmask_b32_e32 v2, v3, v2, vcc
	v_lshrrev_b32_e32 v3, 16, v1
	v_and_or_b32 v2, v3, s20, v2
	global_store_short v[4:5], v2, off
.LBB248_380:
	s_mov_b64 s[20:21], 0
.LBB248_381:
	s_andn2_b64 vcc, exec, s[20:21]
	s_cbranch_vccnz .LBB248_397
; %bb.382:
	s_cmp_lt_i32 s24, 2
	s_mov_b64 s[20:21], -1
	s_cbranch_scc1 .LBB248_392
; %bb.383:
	s_cmp_lt_i32 s24, 3
	s_cbranch_scc1 .LBB248_389
; %bb.384:
	s_cmp_gt_i32 s24, 3
	s_cbranch_scc0 .LBB248_386
; %bb.385:
	v_trunc_f64_e32 v[2:3], v[0:1]
	s_movk_i32 s20, 0xffe0
	v_ldexp_f64 v[6:7], v[2:3], s20
	v_floor_f64_e32 v[6:7], v[6:7]
	v_fmac_f64_e32 v[2:3], 0xc1f00000, v[6:7]
	v_cvt_i32_f64_e32 v9, v[6:7]
	v_cvt_u32_f64_e32 v8, v[2:3]
	s_mov_b64 s[20:21], 0
	global_store_dwordx2 v[4:5], v[8:9], off
.LBB248_386:
	s_andn2_b64 vcc, exec, s[20:21]
	s_cbranch_vccnz .LBB248_388
; %bb.387:
	v_cvt_i32_f64_e32 v2, v[0:1]
	global_store_dword v[4:5], v2, off
.LBB248_388:
	s_mov_b64 s[20:21], 0
.LBB248_389:
	s_andn2_b64 vcc, exec, s[20:21]
	s_cbranch_vccnz .LBB248_391
; %bb.390:
	v_cvt_i32_f64_e32 v2, v[0:1]
	global_store_short v[4:5], v2, off
.LBB248_391:
	s_mov_b64 s[20:21], 0
.LBB248_392:
	s_andn2_b64 vcc, exec, s[20:21]
	s_cbranch_vccnz .LBB248_397
; %bb.393:
	s_cmp_gt_i32 s24, 0
	s_mov_b64 s[20:21], -1
	s_cbranch_scc0 .LBB248_395
; %bb.394:
	v_cvt_i32_f64_e32 v2, v[0:1]
	s_mov_b64 s[20:21], 0
	global_store_byte v[4:5], v2, off
.LBB248_395:
	s_andn2_b64 vcc, exec, s[20:21]
	s_cbranch_vccnz .LBB248_397
; %bb.396:
	v_trunc_f64_e32 v[0:1], v[0:1]
	s_movk_i32 s20, 0xffe0
	v_ldexp_f64 v[2:3], v[0:1], s20
	v_floor_f64_e32 v[2:3], v[2:3]
	v_fmac_f64_e32 v[0:1], 0xc1f00000, v[2:3]
	v_cvt_u32_f64_e32 v0, v[0:1]
	global_store_byte v[4:5], v0, off
.LBB248_397:
	s_mov_b64 s[20:21], -1
.LBB248_398:
	s_andn2_b64 vcc, exec, s[20:21]
	s_cbranch_vccnz .LBB248_400
; %bb.399:
	v_add_u32_e32 v10, 0x80, v10
	s_mov_b64 s[24:25], -1
	s_branch .LBB248_512
.LBB248_400:
	s_mov_b64 s[24:25], 0
                                        ; implicit-def: $vgpr10
	s_branch .LBB248_512
.LBB248_401:
	s_mov_b64 s[18:19], -1
                                        ; implicit-def: $vgpr2_vgpr3
.LBB248_402:
	s_mov_b64 s[20:21], 0
.LBB248_403:
	s_and_b64 vcc, exec, s[20:21]
	s_cbranch_vccz .LBB248_407
; %bb.404:
	s_cmp_eq_u32 s26, 29
	s_cbranch_scc0 .LBB248_406
; %bb.405:
	global_load_dwordx2 v[2:3], v[0:1], off
	s_mov_b64 s[0:1], -1
	s_mov_b64 s[18:19], 0
	s_mov_b64 s[20:21], 0
	s_waitcnt vmcnt(0)
	v_cvt_f64_u32_e32 v[4:5], v3
	v_cvt_f64_u32_e32 v[2:3], v2
	v_ldexp_f64 v[4:5], v[4:5], 32
	v_add_f64 v[2:3], v[4:5], v[2:3]
	s_branch .LBB248_408
.LBB248_406:
	s_mov_b64 s[18:19], -1
                                        ; implicit-def: $vgpr2_vgpr3
.LBB248_407:
	s_mov_b64 s[20:21], 0
.LBB248_408:
	s_and_b64 vcc, exec, s[20:21]
	s_cbranch_vccz .LBB248_428
; %bb.409:
	s_cmp_lt_i32 s26, 27
	s_cbranch_scc1 .LBB248_412
; %bb.410:
	s_cmp_gt_i32 s26, 27
	s_cbranch_scc0 .LBB248_413
; %bb.411:
	global_load_dword v2, v[0:1], off
	s_mov_b64 s[0:1], 0
	s_waitcnt vmcnt(0)
	v_cvt_f64_u32_e32 v[2:3], v2
	s_branch .LBB248_414
.LBB248_412:
	s_mov_b64 s[0:1], -1
                                        ; implicit-def: $vgpr2_vgpr3
	s_branch .LBB248_417
.LBB248_413:
	s_mov_b64 s[0:1], -1
                                        ; implicit-def: $vgpr2_vgpr3
.LBB248_414:
	s_andn2_b64 vcc, exec, s[0:1]
	s_cbranch_vccnz .LBB248_416
; %bb.415:
	global_load_ushort v2, v[0:1], off
	s_waitcnt vmcnt(0)
	v_cvt_f64_u32_e32 v[2:3], v2
.LBB248_416:
	s_mov_b64 s[0:1], 0
.LBB248_417:
	s_andn2_b64 vcc, exec, s[0:1]
	s_cbranch_vccnz .LBB248_427
; %bb.418:
	global_load_ubyte v4, v[0:1], off
	s_movk_i32 s0, 0x7f
	s_waitcnt vmcnt(0)
	v_cmp_lt_i16_e32 vcc, s0, v4
	s_mov_b64 s[0:1], 0
	s_and_saveexec_b64 s[20:21], vcc
	s_xor_b64 s[20:21], exec, s[20:21]
	s_cbranch_execz .LBB248_422
; %bb.419:
	s_movk_i32 s0, 0x80
	v_cmp_eq_u16_e32 vcc, s0, v4
	s_mov_b64 s[0:1], -1
	s_and_saveexec_b64 s[24:25], vcc
; %bb.420:
	s_xor_b64 s[0:1], exec, -1
; %bb.421:
	s_or_b64 exec, exec, s[24:25]
	s_and_b64 s[0:1], s[0:1], exec
.LBB248_422:
	s_or_saveexec_b64 s[20:21], s[20:21]
	v_bfrev_b32_e32 v2, 4
	v_mov_b32_e32 v3, 0x7ff80000
	s_xor_b64 exec, exec, s[20:21]
; %bb.423:
	v_cmp_ne_u16_e32 vcc, 0, v4
	s_andn2_b64 s[0:1], s[0:1], exec
	s_and_b64 s[24:25], vcc, exec
	v_mov_b64_e32 v[2:3], 0
	s_or_b64 s[0:1], s[0:1], s[24:25]
; %bb.424:
	s_or_b64 exec, exec, s[20:21]
	s_and_saveexec_b64 s[20:21], s[0:1]
	s_cbranch_execz .LBB248_426
; %bb.425:
	v_and_b32_e32 v3, 0xffff, v4
	v_lshlrev_b32_e32 v2, 24, v4
	v_and_b32_e32 v4, 7, v3
	v_ffbh_u32_e32 v6, v4
	v_min_u32_e32 v6, 32, v6
	v_subrev_u32_e32 v7, 28, v6
	v_bfe_u32 v5, v3, 3, 4
	v_lshlrev_b32_e32 v3, v7, v3
	v_sub_u32_e32 v6, 29, v6
	v_and_b32_e32 v3, 7, v3
	v_cmp_eq_u32_e32 vcc, 0, v5
	v_and_b32_e32 v2, 0x80000000, v2
	s_nop 0
	v_cndmask_b32_e32 v5, v5, v6, vcc
	v_cndmask_b32_e32 v3, v4, v3, vcc
	v_mov_b32_e32 v4, 0x3b800000
	v_lshlrev_b32_e32 v3, 20, v3
	v_lshl_add_u32 v4, v5, 23, v4
	v_or3_b32 v2, v2, v4, v3
	v_cvt_f64_f32_e32 v[2:3], v2
.LBB248_426:
	s_or_b64 exec, exec, s[20:21]
.LBB248_427:
	s_mov_b64 s[0:1], -1
.LBB248_428:
	s_mov_b64 s[20:21], 0
.LBB248_429:
	s_and_b64 vcc, exec, s[20:21]
	s_cbranch_vccz .LBB248_462
; %bb.430:
	s_cmp_gt_i32 s26, 22
	s_cbranch_scc0 .LBB248_442
; %bb.431:
	s_cmp_lt_i32 s26, 24
	s_cbranch_scc1 .LBB248_443
; %bb.432:
	s_cmp_gt_i32 s26, 24
	s_cbranch_scc0 .LBB248_444
; %bb.433:
	global_load_ubyte v4, v[0:1], off
	s_movk_i32 s0, 0x7f
	s_waitcnt vmcnt(0)
	v_cmp_lt_i16_e32 vcc, s0, v4
	s_mov_b64 s[0:1], 0
	s_and_saveexec_b64 s[20:21], vcc
	s_xor_b64 s[20:21], exec, s[20:21]
	s_cbranch_execz .LBB248_437
; %bb.434:
	s_movk_i32 s0, 0x80
	v_cmp_eq_u16_e32 vcc, s0, v4
	s_mov_b64 s[0:1], -1
	s_and_saveexec_b64 s[24:25], vcc
; %bb.435:
	s_xor_b64 s[0:1], exec, -1
; %bb.436:
	s_or_b64 exec, exec, s[24:25]
	s_and_b64 s[0:1], s[0:1], exec
.LBB248_437:
	s_or_saveexec_b64 s[20:21], s[20:21]
	v_bfrev_b32_e32 v2, 4
	v_mov_b32_e32 v3, 0x7ff80000
	s_xor_b64 exec, exec, s[20:21]
; %bb.438:
	v_cmp_ne_u16_e32 vcc, 0, v4
	s_andn2_b64 s[0:1], s[0:1], exec
	s_and_b64 s[24:25], vcc, exec
	v_mov_b64_e32 v[2:3], 0
	s_or_b64 s[0:1], s[0:1], s[24:25]
; %bb.439:
	s_or_b64 exec, exec, s[20:21]
	s_and_saveexec_b64 s[20:21], s[0:1]
	s_cbranch_execz .LBB248_441
; %bb.440:
	v_and_b32_e32 v3, 0xffff, v4
	v_lshlrev_b32_e32 v2, 24, v4
	v_and_b32_e32 v4, 3, v3
	v_ffbh_u32_e32 v6, v4
	v_min_u32_e32 v6, 32, v6
	v_subrev_u32_e32 v7, 29, v6
	v_bfe_u32 v5, v3, 2, 5
	v_lshlrev_b32_e32 v3, v7, v3
	v_sub_u32_e32 v6, 30, v6
	v_and_b32_e32 v3, 3, v3
	v_cmp_eq_u32_e32 vcc, 0, v5
	v_and_b32_e32 v2, 0x80000000, v2
	s_nop 0
	v_cndmask_b32_e32 v5, v5, v6, vcc
	v_cndmask_b32_e32 v3, v4, v3, vcc
	v_mov_b32_e32 v4, 0x37800000
	v_lshlrev_b32_e32 v3, 21, v3
	v_lshl_add_u32 v4, v5, 23, v4
	v_or3_b32 v2, v2, v4, v3
	v_cvt_f64_f32_e32 v[2:3], v2
.LBB248_441:
	s_or_b64 exec, exec, s[20:21]
	s_mov_b64 s[0:1], 0
	s_branch .LBB248_445
.LBB248_442:
	s_mov_b64 s[20:21], -1
                                        ; implicit-def: $vgpr2_vgpr3
	s_branch .LBB248_451
.LBB248_443:
	s_mov_b64 s[0:1], -1
                                        ; implicit-def: $vgpr2_vgpr3
	s_branch .LBB248_448
.LBB248_444:
	s_mov_b64 s[0:1], -1
                                        ; implicit-def: $vgpr2_vgpr3
.LBB248_445:
	s_and_b64 vcc, exec, s[0:1]
	s_cbranch_vccz .LBB248_447
; %bb.446:
	global_load_ubyte v2, v[0:1], off
	s_mov_b32 s0, 0x7f800000
	s_waitcnt vmcnt(0)
	v_lshlrev_b32_e32 v2, 24, v2
	v_and_b32_e32 v3, 0x7f000000, v2
	v_ffbh_u32_e32 v4, v3
	v_min_u32_e32 v4, 32, v4
	v_sub_u32_e64 v4, v4, 4 clamp
	v_lshlrev_b32_e32 v6, v4, v3
	v_lshlrev_b32_e32 v4, 23, v4
	v_lshrrev_b32_e32 v6, 4, v6
	v_add_u32_e32 v5, 0x1000000, v3
	v_sub_u32_e32 v4, v6, v4
	v_ashrrev_i32_e32 v5, 8, v5
	v_add_u32_e32 v4, 0x3c000000, v4
	v_and_or_b32 v4, v5, s0, v4
	v_cmp_ne_u32_e32 vcc, 0, v3
	s_brev_b32 s0, 1
	s_nop 0
	v_cndmask_b32_e32 v3, 0, v4, vcc
	v_and_or_b32 v2, v2, s0, v3
	v_cvt_f64_f32_e32 v[2:3], v2
.LBB248_447:
	s_mov_b64 s[0:1], 0
.LBB248_448:
	s_andn2_b64 vcc, exec, s[0:1]
	s_cbranch_vccnz .LBB248_450
; %bb.449:
	global_load_ubyte v2, v[0:1], off
	s_movk_i32 s0, 0x7f00
	s_brev_b32 s1, 16
	s_waitcnt vmcnt(0)
	v_lshlrev_b16_e32 v3, 8, v2
	v_lshlrev_b32_e32 v2, 25, v2
	v_lshrrev_b32_e32 v4, 4, v2
	v_and_or_b32 v5, v3, s0, 0.5
	v_or_b32_e32 v4, 0x70000000, v4
	v_add_f32_e32 v5, -0.5, v5
	v_mul_f32_e32 v4, 0x7800000, v4
	v_cmp_gt_u32_e32 vcc, s1, v2
	v_bfe_i32 v3, v3, 0, 16
	s_brev_b32 s0, 1
	v_cndmask_b32_e32 v2, v4, v5, vcc
	v_and_or_b32 v2, v3, s0, v2
	v_cvt_f64_f32_e32 v[2:3], v2
.LBB248_450:
	s_mov_b64 s[20:21], 0
	s_mov_b64 s[0:1], -1
.LBB248_451:
	s_andn2_b64 vcc, exec, s[20:21]
	s_cbranch_vccnz .LBB248_462
; %bb.452:
	s_cmp_gt_i32 s26, 14
	s_cbranch_scc0 .LBB248_455
; %bb.453:
	s_cmp_eq_u32 s26, 15
	s_cbranch_scc0 .LBB248_456
; %bb.454:
	global_load_ushort v2, v[0:1], off
	s_mov_b64 s[0:1], -1
	s_mov_b64 s[18:19], 0
	s_waitcnt vmcnt(0)
	v_lshlrev_b32_e32 v2, 16, v2
	v_cvt_f64_f32_e32 v[2:3], v2
	s_branch .LBB248_457
.LBB248_455:
	s_mov_b64 s[20:21], -1
                                        ; implicit-def: $vgpr2_vgpr3
	s_branch .LBB248_458
.LBB248_456:
	s_mov_b64 s[18:19], -1
                                        ; implicit-def: $vgpr2_vgpr3
.LBB248_457:
	s_mov_b64 s[20:21], 0
.LBB248_458:
	s_and_b64 vcc, exec, s[20:21]
	s_cbranch_vccz .LBB248_462
; %bb.459:
	s_cmp_eq_u32 s26, 11
	s_cbranch_scc0 .LBB248_461
; %bb.460:
	global_load_ubyte v3, v[0:1], off
	v_mov_b32_e32 v4, 0x3ff00000
	s_waitcnt vmcnt(1)
	v_mov_b32_e32 v2, 0
	s_mov_b64 s[0:1], -1
	s_mov_b64 s[18:19], 0
	s_waitcnt vmcnt(0)
	v_cmp_ne_u16_e32 vcc, 0, v3
	s_nop 1
	v_cndmask_b32_e32 v3, 0, v4, vcc
	s_branch .LBB248_462
.LBB248_461:
	s_mov_b64 s[18:19], -1
                                        ; implicit-def: $vgpr2_vgpr3
.LBB248_462:
	s_branch .LBB248_265
.LBB248_463:
	s_cmp_lt_i32 s26, 5
	s_cbranch_scc1 .LBB248_468
; %bb.464:
	s_cmp_lt_i32 s26, 8
	s_cbranch_scc1 .LBB248_469
; %bb.465:
	;; [unrolled: 3-line block ×3, first 2 shown]
	s_cmp_gt_i32 s26, 9
	s_cbranch_scc0 .LBB248_471
; %bb.467:
	global_load_dwordx2 v[2:3], v[0:1], off
	s_mov_b64 s[0:1], 0
	s_branch .LBB248_472
.LBB248_468:
	s_mov_b64 s[0:1], -1
                                        ; implicit-def: $vgpr2_vgpr3
	s_branch .LBB248_490
.LBB248_469:
	s_mov_b64 s[0:1], -1
                                        ; implicit-def: $vgpr2_vgpr3
	s_branch .LBB248_478
.LBB248_470:
	s_mov_b64 s[0:1], -1
                                        ; implicit-def: $vgpr2_vgpr3
	s_branch .LBB248_475
.LBB248_471:
	s_mov_b64 s[0:1], -1
                                        ; implicit-def: $vgpr2_vgpr3
.LBB248_472:
	s_andn2_b64 vcc, exec, s[0:1]
	s_cbranch_vccnz .LBB248_474
; %bb.473:
	global_load_dword v2, v[0:1], off
	s_waitcnt vmcnt(0)
	v_cvt_f64_f32_e32 v[2:3], v2
.LBB248_474:
	s_mov_b64 s[0:1], 0
.LBB248_475:
	s_andn2_b64 vcc, exec, s[0:1]
	s_cbranch_vccnz .LBB248_477
; %bb.476:
	global_load_dword v2, v[0:1], off
	s_waitcnt vmcnt(0)
	v_cvt_f32_f16_e32 v2, v2
	v_cvt_f64_f32_e32 v[2:3], v2
.LBB248_477:
	s_mov_b64 s[0:1], 0
.LBB248_478:
	s_andn2_b64 vcc, exec, s[0:1]
	s_cbranch_vccnz .LBB248_489
; %bb.479:
	s_cmp_lt_i32 s26, 6
	s_cbranch_scc1 .LBB248_482
; %bb.480:
	s_cmp_gt_i32 s26, 6
	s_cbranch_scc0 .LBB248_483
; %bb.481:
	global_load_dwordx2 v[2:3], v[0:1], off
	s_mov_b64 s[0:1], 0
	s_branch .LBB248_484
.LBB248_482:
	s_mov_b64 s[0:1], -1
                                        ; implicit-def: $vgpr2_vgpr3
	s_branch .LBB248_487
.LBB248_483:
	s_mov_b64 s[0:1], -1
                                        ; implicit-def: $vgpr2_vgpr3
.LBB248_484:
	s_andn2_b64 vcc, exec, s[0:1]
	s_cbranch_vccnz .LBB248_486
; %bb.485:
	global_load_dword v2, v[0:1], off
	s_waitcnt vmcnt(0)
	v_cvt_f64_f32_e32 v[2:3], v2
.LBB248_486:
	s_mov_b64 s[0:1], 0
.LBB248_487:
	s_andn2_b64 vcc, exec, s[0:1]
	s_cbranch_vccnz .LBB248_489
; %bb.488:
	global_load_ushort v2, v[0:1], off
	s_waitcnt vmcnt(0)
	v_cvt_f32_f16_e32 v2, v2
	v_cvt_f64_f32_e32 v[2:3], v2
.LBB248_489:
	s_mov_b64 s[0:1], 0
.LBB248_490:
	s_andn2_b64 vcc, exec, s[0:1]
	s_cbranch_vccnz .LBB248_510
; %bb.491:
	s_cmp_lt_i32 s26, 2
	s_cbranch_scc1 .LBB248_495
; %bb.492:
	s_cmp_lt_i32 s26, 3
	s_cbranch_scc1 .LBB248_496
; %bb.493:
	s_cmp_gt_i32 s26, 3
	s_cbranch_scc0 .LBB248_497
; %bb.494:
	global_load_dwordx2 v[2:3], v[0:1], off
	s_mov_b64 s[0:1], 0
	s_waitcnt vmcnt(0)
	v_cvt_f64_i32_e32 v[4:5], v3
	v_cvt_f64_u32_e32 v[2:3], v2
	v_ldexp_f64 v[4:5], v[4:5], 32
	v_add_f64 v[2:3], v[4:5], v[2:3]
	s_branch .LBB248_498
.LBB248_495:
	s_mov_b64 s[0:1], -1
                                        ; implicit-def: $vgpr2_vgpr3
	s_branch .LBB248_504
.LBB248_496:
	s_mov_b64 s[0:1], -1
                                        ; implicit-def: $vgpr2_vgpr3
	s_branch .LBB248_501
.LBB248_497:
	s_mov_b64 s[0:1], -1
                                        ; implicit-def: $vgpr2_vgpr3
.LBB248_498:
	s_andn2_b64 vcc, exec, s[0:1]
	s_cbranch_vccnz .LBB248_500
; %bb.499:
	global_load_dword v2, v[0:1], off
	s_waitcnt vmcnt(0)
	v_cvt_f64_i32_e32 v[2:3], v2
.LBB248_500:
	s_mov_b64 s[0:1], 0
.LBB248_501:
	s_andn2_b64 vcc, exec, s[0:1]
	s_cbranch_vccnz .LBB248_503
; %bb.502:
	global_load_sshort v2, v[0:1], off
	s_waitcnt vmcnt(0)
	v_cvt_f64_i32_e32 v[2:3], v2
.LBB248_503:
	s_mov_b64 s[0:1], 0
.LBB248_504:
	s_andn2_b64 vcc, exec, s[0:1]
	s_cbranch_vccnz .LBB248_510
; %bb.505:
	s_cmp_gt_i32 s26, 0
	s_cbranch_scc0 .LBB248_507
; %bb.506:
	global_load_sbyte v2, v[0:1], off
	s_mov_b64 s[0:1], 0
	s_waitcnt vmcnt(0)
	v_cvt_f64_i32_e32 v[2:3], v2
	s_branch .LBB248_508
.LBB248_507:
	s_mov_b64 s[0:1], -1
                                        ; implicit-def: $vgpr2_vgpr3
.LBB248_508:
	s_andn2_b64 vcc, exec, s[0:1]
	s_cbranch_vccnz .LBB248_510
; %bb.509:
	global_load_ubyte v0, v[0:1], off
	s_waitcnt vmcnt(0)
	v_cvt_f64_u32_e32 v[2:3], v0
.LBB248_510:
	s_branch .LBB248_266
.LBB248_511:
	s_mov_b64 s[24:25], 0
                                        ; implicit-def: $vgpr10
	s_mov_b64 s[0:1], s[12:13]
.LBB248_512:
	s_andn2_b64 s[20:21], s[12:13], exec
	s_and_b64 s[0:1], s[0:1], exec
	s_or_b64 s[20:21], s[20:21], s[0:1]
	s_andn2_b64 s[0:1], s[14:15], exec
	s_and_b64 s[18:19], s[18:19], exec
	s_or_b64 s[18:19], s[0:1], s[18:19]
	s_orn2_b64 s[0:1], s[24:25], exec
.LBB248_513:
	s_or_b64 exec, exec, s[22:23]
	s_mov_b64 s[24:25], 0
	s_mov_b64 s[26:27], 0
	s_mov_b64 s[28:29], 0
                                        ; implicit-def: $vgpr0_vgpr1
                                        ; implicit-def: $vgpr2_vgpr3
	s_and_saveexec_b64 s[22:23], s[0:1]
	s_cbranch_execz .LBB248_858
; %bb.514:
	v_cmp_gt_i32_e32 vcc, s38, v10
	s_mov_b64 s[34:35], -1
	s_mov_b64 s[0:1], s[18:19]
	s_mov_b64 s[28:29], s[20:21]
	s_and_saveexec_b64 s[24:25], vcc
	s_cbranch_execz .LBB248_772
; %bb.515:
	v_mul_lo_u32 v0, v10, s9
	v_ashrrev_i32_e32 v1, 31, v0
	s_and_b32 s34, 0xffff, s42
	s_cmp_lt_i32 s34, 11
	v_lshl_add_u64 v[0:1], s[6:7], 0, v[0:1]
	s_cbranch_scc1 .LBB248_522
; %bb.516:
	s_cmp_gt_i32 s34, 25
	s_cbranch_scc0 .LBB248_523
; %bb.517:
	s_cmp_gt_i32 s34, 28
	s_cbranch_scc0 .LBB248_524
	;; [unrolled: 3-line block ×4, first 2 shown]
; %bb.520:
	s_cmp_eq_u32 s34, 46
	s_mov_b64 s[28:29], 0
	s_cbranch_scc0 .LBB248_531
; %bb.521:
	global_load_dword v2, v[0:1], off
	s_mov_b64 s[0:1], -1
	s_waitcnt vmcnt(0)
	v_lshlrev_b32_e32 v2, 16, v2
	v_cvt_f64_f32_e32 v[2:3], v2
	s_branch .LBB248_532
.LBB248_522:
	s_mov_b64 s[28:29], -1
	s_mov_b64 s[0:1], 0
                                        ; implicit-def: $vgpr2_vgpr3
	s_mov_b64 s[26:27], s[18:19]
	s_branch .LBB248_597
.LBB248_523:
	s_mov_b64 s[28:29], -1
	s_mov_b64 s[0:1], 0
	s_mov_b64 s[26:27], s[18:19]
                                        ; implicit-def: $vgpr2_vgpr3
	s_branch .LBB248_563
.LBB248_524:
	s_mov_b64 s[28:29], -1
	s_mov_b64 s[0:1], 0
	s_mov_b64 s[26:27], s[18:19]
                                        ; implicit-def: $vgpr2_vgpr3
	s_branch .LBB248_542
.LBB248_525:
	s_mov_b64 s[28:29], -1
	s_mov_b64 s[0:1], 0
	s_mov_b64 s[26:27], s[18:19]
                                        ; implicit-def: $vgpr2_vgpr3
	s_branch .LBB248_537
.LBB248_526:
	s_andn2_saveexec_b64 s[26:27], s[26:27]
	s_cbranch_execz .LBB248_311
.LBB248_527:
	s_mov_b32 s30, 0x46000000
	v_add_f32_e64 v7, |v6|, s30
	v_and_b32_e32 v7, 0xff, v7
	v_cmp_ne_u32_e32 vcc, 0, v7
	s_andn2_b64 s[24:25], s[24:25], exec
	s_and_b64 s[30:31], vcc, exec
	s_or_b64 s[24:25], s[24:25], s[30:31]
	s_or_b64 exec, exec, s[26:27]
	v_mov_b32_e32 v8, 0
	s_and_saveexec_b64 s[26:27], s[24:25]
	s_cbranch_execnz .LBB248_312
	s_branch .LBB248_313
.LBB248_528:
	s_mov_b64 s[28:29], -1
	s_mov_b64 s[0:1], 0
	s_mov_b64 s[26:27], s[18:19]
                                        ; implicit-def: $vgpr2_vgpr3
	s_branch .LBB248_532
.LBB248_529:
	s_andn2_saveexec_b64 s[26:27], s[26:27]
	s_cbranch_execz .LBB248_324
.LBB248_530:
	s_mov_b32 s30, 0x42800000
	v_add_f32_e64 v7, |v6|, s30
	v_and_b32_e32 v7, 0xff, v7
	v_cmp_ne_u32_e32 vcc, 0, v7
	s_andn2_b64 s[24:25], s[24:25], exec
	s_and_b64 s[30:31], vcc, exec
	s_or_b64 s[24:25], s[24:25], s[30:31]
	s_or_b64 exec, exec, s[26:27]
	v_mov_b32_e32 v8, 0
	s_and_saveexec_b64 s[26:27], s[24:25]
	s_cbranch_execnz .LBB248_325
	s_branch .LBB248_326
.LBB248_531:
	s_mov_b64 s[26:27], -1
                                        ; implicit-def: $vgpr2_vgpr3
	s_mov_b64 s[0:1], 0
.LBB248_532:
	s_and_b64 vcc, exec, s[28:29]
	s_cbranch_vccz .LBB248_536
; %bb.533:
	s_cmp_eq_u32 s34, 44
	s_cbranch_scc0 .LBB248_535
; %bb.534:
	global_load_ubyte v4, v[0:1], off
	s_movk_i32 s26, 0xff
	v_bfrev_b32_e32 v5, 4
	v_mov_b32_e32 v6, 0x7ff80000
	v_bfrev_b32_e32 v7, 28
	s_mov_b64 s[0:1], -1
	s_waitcnt vmcnt(0)
	v_lshlrev_b32_e32 v2, 23, v4
	v_cvt_f64_f32_e32 v[2:3], v2
	v_cmp_ne_u32_e32 vcc, s26, v4
	s_mov_b64 s[26:27], 0
	s_nop 0
	v_cndmask_b32_e32 v2, v5, v2, vcc
	v_cndmask_b32_e32 v3, v6, v3, vcc
	v_cmp_ne_u32_e32 vcc, 0, v4
	s_nop 1
	v_cndmask_b32_e32 v3, v7, v3, vcc
	v_cndmask_b32_e32 v2, 0, v2, vcc
	s_branch .LBB248_536
.LBB248_535:
	s_mov_b64 s[26:27], -1
                                        ; implicit-def: $vgpr2_vgpr3
.LBB248_536:
	s_mov_b64 s[28:29], 0
.LBB248_537:
	s_and_b64 vcc, exec, s[28:29]
	s_cbranch_vccz .LBB248_541
; %bb.538:
	s_cmp_eq_u32 s34, 29
	s_cbranch_scc0 .LBB248_540
; %bb.539:
	global_load_dwordx2 v[2:3], v[0:1], off
	s_mov_b64 s[0:1], -1
	s_mov_b64 s[26:27], 0
	s_mov_b64 s[28:29], 0
	s_waitcnt vmcnt(0)
	v_cvt_f64_u32_e32 v[4:5], v3
	v_cvt_f64_u32_e32 v[2:3], v2
	v_ldexp_f64 v[4:5], v[4:5], 32
	v_add_f64 v[2:3], v[4:5], v[2:3]
	s_branch .LBB248_542
.LBB248_540:
	s_mov_b64 s[26:27], -1
                                        ; implicit-def: $vgpr2_vgpr3
.LBB248_541:
	s_mov_b64 s[28:29], 0
.LBB248_542:
	s_and_b64 vcc, exec, s[28:29]
	s_cbranch_vccz .LBB248_562
; %bb.543:
	s_cmp_lt_i32 s34, 27
	s_cbranch_scc1 .LBB248_546
; %bb.544:
	s_cmp_gt_i32 s34, 27
	s_cbranch_scc0 .LBB248_547
; %bb.545:
	global_load_dword v2, v[0:1], off
	s_mov_b64 s[0:1], 0
	s_waitcnt vmcnt(0)
	v_cvt_f64_u32_e32 v[2:3], v2
	s_branch .LBB248_548
.LBB248_546:
	s_mov_b64 s[0:1], -1
                                        ; implicit-def: $vgpr2_vgpr3
	s_branch .LBB248_551
.LBB248_547:
	s_mov_b64 s[0:1], -1
                                        ; implicit-def: $vgpr2_vgpr3
.LBB248_548:
	s_andn2_b64 vcc, exec, s[0:1]
	s_cbranch_vccnz .LBB248_550
; %bb.549:
	global_load_ushort v2, v[0:1], off
	s_waitcnt vmcnt(0)
	v_cvt_f64_u32_e32 v[2:3], v2
.LBB248_550:
	s_mov_b64 s[0:1], 0
.LBB248_551:
	s_andn2_b64 vcc, exec, s[0:1]
	s_cbranch_vccnz .LBB248_561
; %bb.552:
	global_load_ubyte v4, v[0:1], off
	s_movk_i32 s0, 0x7f
	s_waitcnt vmcnt(0)
	v_cmp_lt_i16_e32 vcc, s0, v4
	s_mov_b64 s[0:1], 0
	s_and_saveexec_b64 s[28:29], vcc
	s_xor_b64 s[28:29], exec, s[28:29]
	s_cbranch_execz .LBB248_556
; %bb.553:
	s_movk_i32 s0, 0x80
	v_cmp_eq_u16_e32 vcc, s0, v4
	s_mov_b64 s[0:1], -1
	s_and_saveexec_b64 s[30:31], vcc
; %bb.554:
	s_xor_b64 s[0:1], exec, -1
; %bb.555:
	s_or_b64 exec, exec, s[30:31]
	s_and_b64 s[0:1], s[0:1], exec
.LBB248_556:
	s_or_saveexec_b64 s[28:29], s[28:29]
	v_bfrev_b32_e32 v2, 4
	v_mov_b32_e32 v3, 0x7ff80000
	s_xor_b64 exec, exec, s[28:29]
; %bb.557:
	v_cmp_ne_u16_e32 vcc, 0, v4
	s_andn2_b64 s[0:1], s[0:1], exec
	s_and_b64 s[30:31], vcc, exec
	v_mov_b64_e32 v[2:3], 0
	s_or_b64 s[0:1], s[0:1], s[30:31]
; %bb.558:
	s_or_b64 exec, exec, s[28:29]
	s_and_saveexec_b64 s[28:29], s[0:1]
	s_cbranch_execz .LBB248_560
; %bb.559:
	v_and_b32_e32 v3, 0xffff, v4
	v_lshlrev_b32_e32 v2, 24, v4
	v_and_b32_e32 v4, 7, v3
	v_ffbh_u32_e32 v6, v4
	v_min_u32_e32 v6, 32, v6
	v_subrev_u32_e32 v7, 28, v6
	v_bfe_u32 v5, v3, 3, 4
	v_lshlrev_b32_e32 v3, v7, v3
	v_sub_u32_e32 v6, 29, v6
	v_and_b32_e32 v3, 7, v3
	v_cmp_eq_u32_e32 vcc, 0, v5
	v_and_b32_e32 v2, 0x80000000, v2
	s_nop 0
	v_cndmask_b32_e32 v5, v5, v6, vcc
	v_cndmask_b32_e32 v3, v4, v3, vcc
	v_mov_b32_e32 v4, 0x3b800000
	v_lshlrev_b32_e32 v3, 20, v3
	v_lshl_add_u32 v4, v5, 23, v4
	v_or3_b32 v2, v2, v4, v3
	v_cvt_f64_f32_e32 v[2:3], v2
.LBB248_560:
	s_or_b64 exec, exec, s[28:29]
.LBB248_561:
	s_mov_b64 s[0:1], -1
.LBB248_562:
	s_mov_b64 s[28:29], 0
.LBB248_563:
	s_and_b64 vcc, exec, s[28:29]
	s_cbranch_vccz .LBB248_596
; %bb.564:
	s_cmp_gt_i32 s34, 22
	s_cbranch_scc0 .LBB248_576
; %bb.565:
	s_cmp_lt_i32 s34, 24
	s_cbranch_scc1 .LBB248_577
; %bb.566:
	s_cmp_gt_i32 s34, 24
	s_cbranch_scc0 .LBB248_578
; %bb.567:
	global_load_ubyte v4, v[0:1], off
	s_movk_i32 s0, 0x7f
	s_waitcnt vmcnt(0)
	v_cmp_lt_i16_e32 vcc, s0, v4
	s_mov_b64 s[0:1], 0
	s_and_saveexec_b64 s[28:29], vcc
	s_xor_b64 s[28:29], exec, s[28:29]
	s_cbranch_execz .LBB248_571
; %bb.568:
	s_movk_i32 s0, 0x80
	v_cmp_eq_u16_e32 vcc, s0, v4
	s_mov_b64 s[0:1], -1
	s_and_saveexec_b64 s[30:31], vcc
; %bb.569:
	s_xor_b64 s[0:1], exec, -1
; %bb.570:
	s_or_b64 exec, exec, s[30:31]
	s_and_b64 s[0:1], s[0:1], exec
.LBB248_571:
	s_or_saveexec_b64 s[28:29], s[28:29]
	v_bfrev_b32_e32 v2, 4
	v_mov_b32_e32 v3, 0x7ff80000
	s_xor_b64 exec, exec, s[28:29]
; %bb.572:
	v_cmp_ne_u16_e32 vcc, 0, v4
	s_andn2_b64 s[0:1], s[0:1], exec
	s_and_b64 s[30:31], vcc, exec
	v_mov_b64_e32 v[2:3], 0
	s_or_b64 s[0:1], s[0:1], s[30:31]
; %bb.573:
	s_or_b64 exec, exec, s[28:29]
	s_and_saveexec_b64 s[28:29], s[0:1]
	s_cbranch_execz .LBB248_575
; %bb.574:
	v_and_b32_e32 v3, 0xffff, v4
	v_lshlrev_b32_e32 v2, 24, v4
	v_and_b32_e32 v4, 3, v3
	v_ffbh_u32_e32 v6, v4
	v_min_u32_e32 v6, 32, v6
	v_subrev_u32_e32 v7, 29, v6
	v_bfe_u32 v5, v3, 2, 5
	v_lshlrev_b32_e32 v3, v7, v3
	v_sub_u32_e32 v6, 30, v6
	v_and_b32_e32 v3, 3, v3
	v_cmp_eq_u32_e32 vcc, 0, v5
	v_and_b32_e32 v2, 0x80000000, v2
	s_nop 0
	v_cndmask_b32_e32 v5, v5, v6, vcc
	v_cndmask_b32_e32 v3, v4, v3, vcc
	v_mov_b32_e32 v4, 0x37800000
	v_lshlrev_b32_e32 v3, 21, v3
	v_lshl_add_u32 v4, v5, 23, v4
	v_or3_b32 v2, v2, v4, v3
	v_cvt_f64_f32_e32 v[2:3], v2
.LBB248_575:
	s_or_b64 exec, exec, s[28:29]
	s_mov_b64 s[0:1], 0
	s_branch .LBB248_579
.LBB248_576:
	s_mov_b64 s[28:29], -1
                                        ; implicit-def: $vgpr2_vgpr3
	s_branch .LBB248_585
.LBB248_577:
	s_mov_b64 s[0:1], -1
                                        ; implicit-def: $vgpr2_vgpr3
	s_branch .LBB248_582
.LBB248_578:
	s_mov_b64 s[0:1], -1
                                        ; implicit-def: $vgpr2_vgpr3
.LBB248_579:
	s_and_b64 vcc, exec, s[0:1]
	s_cbranch_vccz .LBB248_581
; %bb.580:
	global_load_ubyte v2, v[0:1], off
	s_mov_b32 s0, 0x7f800000
	s_waitcnt vmcnt(0)
	v_lshlrev_b32_e32 v2, 24, v2
	v_and_b32_e32 v3, 0x7f000000, v2
	v_ffbh_u32_e32 v4, v3
	v_min_u32_e32 v4, 32, v4
	v_sub_u32_e64 v4, v4, 4 clamp
	v_lshlrev_b32_e32 v6, v4, v3
	v_lshlrev_b32_e32 v4, 23, v4
	v_lshrrev_b32_e32 v6, 4, v6
	v_add_u32_e32 v5, 0x1000000, v3
	v_sub_u32_e32 v4, v6, v4
	v_ashrrev_i32_e32 v5, 8, v5
	v_add_u32_e32 v4, 0x3c000000, v4
	v_and_or_b32 v4, v5, s0, v4
	v_cmp_ne_u32_e32 vcc, 0, v3
	s_brev_b32 s0, 1
	s_nop 0
	v_cndmask_b32_e32 v3, 0, v4, vcc
	v_and_or_b32 v2, v2, s0, v3
	v_cvt_f64_f32_e32 v[2:3], v2
.LBB248_581:
	s_mov_b64 s[0:1], 0
.LBB248_582:
	s_andn2_b64 vcc, exec, s[0:1]
	s_cbranch_vccnz .LBB248_584
; %bb.583:
	global_load_ubyte v2, v[0:1], off
	s_movk_i32 s0, 0x7f00
	s_brev_b32 s1, 16
	s_waitcnt vmcnt(0)
	v_lshlrev_b16_e32 v3, 8, v2
	v_lshlrev_b32_e32 v2, 25, v2
	v_lshrrev_b32_e32 v4, 4, v2
	v_and_or_b32 v5, v3, s0, 0.5
	v_or_b32_e32 v4, 0x70000000, v4
	v_add_f32_e32 v5, -0.5, v5
	v_mul_f32_e32 v4, 0x7800000, v4
	v_cmp_gt_u32_e32 vcc, s1, v2
	v_bfe_i32 v3, v3, 0, 16
	s_brev_b32 s0, 1
	v_cndmask_b32_e32 v2, v4, v5, vcc
	v_and_or_b32 v2, v3, s0, v2
	v_cvt_f64_f32_e32 v[2:3], v2
.LBB248_584:
	s_mov_b64 s[28:29], 0
	s_mov_b64 s[0:1], -1
.LBB248_585:
	s_andn2_b64 vcc, exec, s[28:29]
	s_cbranch_vccnz .LBB248_596
; %bb.586:
	s_cmp_gt_i32 s34, 14
	s_cbranch_scc0 .LBB248_589
; %bb.587:
	s_cmp_eq_u32 s34, 15
	s_cbranch_scc0 .LBB248_590
; %bb.588:
	global_load_ushort v2, v[0:1], off
	s_mov_b64 s[0:1], -1
	s_mov_b64 s[26:27], 0
	s_waitcnt vmcnt(0)
	v_lshlrev_b32_e32 v2, 16, v2
	v_cvt_f64_f32_e32 v[2:3], v2
	s_branch .LBB248_591
.LBB248_589:
	s_mov_b64 s[28:29], -1
                                        ; implicit-def: $vgpr2_vgpr3
	s_branch .LBB248_592
.LBB248_590:
	s_mov_b64 s[26:27], -1
                                        ; implicit-def: $vgpr2_vgpr3
.LBB248_591:
	s_mov_b64 s[28:29], 0
.LBB248_592:
	s_and_b64 vcc, exec, s[28:29]
	s_cbranch_vccz .LBB248_596
; %bb.593:
	s_cmp_eq_u32 s34, 11
	s_cbranch_scc0 .LBB248_595
; %bb.594:
	global_load_ubyte v3, v[0:1], off
	v_mov_b32_e32 v4, 0x3ff00000
	s_waitcnt vmcnt(1)
	v_mov_b32_e32 v2, 0
	s_mov_b64 s[0:1], -1
	s_mov_b64 s[26:27], 0
	s_waitcnt vmcnt(0)
	v_cmp_ne_u16_e32 vcc, 0, v3
	s_nop 1
	v_cndmask_b32_e32 v3, 0, v4, vcc
	s_branch .LBB248_596
.LBB248_595:
	s_mov_b64 s[26:27], -1
                                        ; implicit-def: $vgpr2_vgpr3
.LBB248_596:
	s_mov_b64 s[28:29], 0
.LBB248_597:
	s_and_b64 vcc, exec, s[28:29]
	s_cbranch_vccz .LBB248_646
; %bb.598:
	s_cmp_lt_i32 s34, 5
	s_cbranch_scc1 .LBB248_603
; %bb.599:
	s_cmp_lt_i32 s34, 8
	s_cbranch_scc1 .LBB248_604
	;; [unrolled: 3-line block ×3, first 2 shown]
; %bb.601:
	s_cmp_gt_i32 s34, 9
	s_cbranch_scc0 .LBB248_606
; %bb.602:
	global_load_dwordx2 v[2:3], v[0:1], off
	s_mov_b64 s[0:1], 0
	s_branch .LBB248_607
.LBB248_603:
	s_mov_b64 s[0:1], -1
                                        ; implicit-def: $vgpr2_vgpr3
	s_branch .LBB248_625
.LBB248_604:
	s_mov_b64 s[0:1], -1
                                        ; implicit-def: $vgpr2_vgpr3
	s_branch .LBB248_613
.LBB248_605:
	s_mov_b64 s[0:1], -1
                                        ; implicit-def: $vgpr2_vgpr3
	s_branch .LBB248_610
.LBB248_606:
	s_mov_b64 s[0:1], -1
                                        ; implicit-def: $vgpr2_vgpr3
.LBB248_607:
	s_andn2_b64 vcc, exec, s[0:1]
	s_cbranch_vccnz .LBB248_609
; %bb.608:
	global_load_dword v2, v[0:1], off
	s_waitcnt vmcnt(0)
	v_cvt_f64_f32_e32 v[2:3], v2
.LBB248_609:
	s_mov_b64 s[0:1], 0
.LBB248_610:
	s_andn2_b64 vcc, exec, s[0:1]
	s_cbranch_vccnz .LBB248_612
; %bb.611:
	global_load_dword v2, v[0:1], off
	s_waitcnt vmcnt(0)
	v_cvt_f32_f16_e32 v2, v2
	v_cvt_f64_f32_e32 v[2:3], v2
.LBB248_612:
	s_mov_b64 s[0:1], 0
.LBB248_613:
	s_andn2_b64 vcc, exec, s[0:1]
	s_cbranch_vccnz .LBB248_624
; %bb.614:
	s_cmp_lt_i32 s34, 6
	s_cbranch_scc1 .LBB248_617
; %bb.615:
	s_cmp_gt_i32 s34, 6
	s_cbranch_scc0 .LBB248_618
; %bb.616:
	global_load_dwordx2 v[2:3], v[0:1], off
	s_mov_b64 s[0:1], 0
	s_branch .LBB248_619
.LBB248_617:
	s_mov_b64 s[0:1], -1
                                        ; implicit-def: $vgpr2_vgpr3
	s_branch .LBB248_622
.LBB248_618:
	s_mov_b64 s[0:1], -1
                                        ; implicit-def: $vgpr2_vgpr3
.LBB248_619:
	s_andn2_b64 vcc, exec, s[0:1]
	s_cbranch_vccnz .LBB248_621
; %bb.620:
	global_load_dword v2, v[0:1], off
	s_waitcnt vmcnt(0)
	v_cvt_f64_f32_e32 v[2:3], v2
.LBB248_621:
	s_mov_b64 s[0:1], 0
.LBB248_622:
	s_andn2_b64 vcc, exec, s[0:1]
	s_cbranch_vccnz .LBB248_624
; %bb.623:
	global_load_ushort v2, v[0:1], off
	s_waitcnt vmcnt(0)
	v_cvt_f32_f16_e32 v2, v2
	v_cvt_f64_f32_e32 v[2:3], v2
.LBB248_624:
	s_mov_b64 s[0:1], 0
.LBB248_625:
	s_andn2_b64 vcc, exec, s[0:1]
	s_cbranch_vccnz .LBB248_645
; %bb.626:
	s_cmp_lt_i32 s34, 2
	s_cbranch_scc1 .LBB248_630
; %bb.627:
	s_cmp_lt_i32 s34, 3
	s_cbranch_scc1 .LBB248_631
; %bb.628:
	s_cmp_gt_i32 s34, 3
	s_cbranch_scc0 .LBB248_632
; %bb.629:
	global_load_dwordx2 v[2:3], v[0:1], off
	s_mov_b64 s[0:1], 0
	s_waitcnt vmcnt(0)
	v_cvt_f64_i32_e32 v[4:5], v3
	v_cvt_f64_u32_e32 v[2:3], v2
	v_ldexp_f64 v[4:5], v[4:5], 32
	v_add_f64 v[2:3], v[4:5], v[2:3]
	s_branch .LBB248_633
.LBB248_630:
	s_mov_b64 s[0:1], -1
                                        ; implicit-def: $vgpr2_vgpr3
	s_branch .LBB248_639
.LBB248_631:
	s_mov_b64 s[0:1], -1
                                        ; implicit-def: $vgpr2_vgpr3
	s_branch .LBB248_636
.LBB248_632:
	s_mov_b64 s[0:1], -1
                                        ; implicit-def: $vgpr2_vgpr3
.LBB248_633:
	s_andn2_b64 vcc, exec, s[0:1]
	s_cbranch_vccnz .LBB248_635
; %bb.634:
	global_load_dword v2, v[0:1], off
	s_waitcnt vmcnt(0)
	v_cvt_f64_i32_e32 v[2:3], v2
.LBB248_635:
	s_mov_b64 s[0:1], 0
.LBB248_636:
	s_andn2_b64 vcc, exec, s[0:1]
	s_cbranch_vccnz .LBB248_638
; %bb.637:
	global_load_sshort v2, v[0:1], off
	s_waitcnt vmcnt(0)
	v_cvt_f64_i32_e32 v[2:3], v2
.LBB248_638:
	s_mov_b64 s[0:1], 0
.LBB248_639:
	s_andn2_b64 vcc, exec, s[0:1]
	s_cbranch_vccnz .LBB248_645
; %bb.640:
	s_cmp_gt_i32 s34, 0
	s_cbranch_scc0 .LBB248_642
; %bb.641:
	global_load_sbyte v2, v[0:1], off
	s_mov_b64 s[0:1], 0
	s_waitcnt vmcnt(0)
	v_cvt_f64_i32_e32 v[2:3], v2
	s_branch .LBB248_643
.LBB248_642:
	s_mov_b64 s[0:1], -1
                                        ; implicit-def: $vgpr2_vgpr3
.LBB248_643:
	s_andn2_b64 vcc, exec, s[0:1]
	s_cbranch_vccnz .LBB248_645
; %bb.644:
	global_load_ubyte v0, v[0:1], off
	s_waitcnt vmcnt(0)
	v_cvt_f64_u32_e32 v[2:3], v0
.LBB248_645:
	s_mov_b64 s[0:1], -1
.LBB248_646:
	s_andn2_b64 vcc, exec, s[0:1]
	s_cbranch_vccnz .LBB248_654
; %bb.647:
	s_mov_b32 s0, 0
	s_brev_b32 s1, 8
	v_mov_b32_e32 v0, 0x100
	s_waitcnt vmcnt(0)
	v_cmp_gt_f64_e32 vcc, s[0:1], v[2:3]
	s_and_b32 s36, s33, 0xff
	s_cmp_lt_i32 s36, 11
	v_cndmask_b32_e32 v0, 0, v0, vcc
	v_ldexp_f64 v[0:1], v[2:3], v0
	v_rsq_f64_e32 v[4:5], v[0:1]
	s_nop 0
	v_mul_f64 v[6:7], v[0:1], v[4:5]
	v_mul_f64 v[4:5], v[4:5], 0.5
	v_fma_f64 v[8:9], -v[4:5], v[6:7], 0.5
	v_fmac_f64_e32 v[6:7], v[6:7], v[8:9]
	v_fma_f64 v[12:13], -v[6:7], v[6:7], v[0:1]
	v_fmac_f64_e32 v[4:5], v[4:5], v[8:9]
	v_fmac_f64_e32 v[6:7], v[12:13], v[4:5]
	v_fma_f64 v[8:9], -v[6:7], v[6:7], v[0:1]
	v_fmac_f64_e32 v[6:7], v[8:9], v[4:5]
	v_mov_b32_e32 v4, 0xffffff80
	v_cndmask_b32_e32 v4, 0, v4, vcc
	v_ldexp_f64 v[4:5], v[6:7], v4
	v_mov_b32_e32 v6, 0x260
	v_cmp_class_f64_e32 vcc, v[0:1], v6
	s_nop 1
	v_cndmask_b32_e32 v0, v4, v0, vcc
	v_mul_lo_u32 v4, v10, s8
	v_cndmask_b32_e32 v1, v5, v1, vcc
	v_ashrrev_i32_e32 v5, 31, v4
	v_lshl_add_u64 v[4:5], s[4:5], 0, v[4:5]
	s_cbranch_scc1 .LBB248_655
; %bb.648:
	s_and_b32 s37, 0xffff, s36
	s_cmp_gt_i32 s37, 25
	s_cbranch_scc0 .LBB248_656
; %bb.649:
	s_cmp_gt_i32 s37, 28
	s_cbranch_scc0 .LBB248_657
; %bb.650:
	;; [unrolled: 3-line block ×4, first 2 shown]
	s_mov_b64 s[30:31], 0
	s_mov_b64 s[0:1], -1
	s_cmp_eq_u32 s37, 46
	s_mov_b64 s[28:29], 0
	s_cbranch_scc0 .LBB248_660
; %bb.653:
	v_cvt_f32_f64_e32 v6, v[0:1]
	v_bfe_u32 v7, v6, 16, 1
	s_movk_i32 s0, 0x7fff
	v_add3_u32 v7, v6, v7, s0
	v_cmp_o_f32_e32 vcc, v6, v6
	v_mov_b32_e32 v6, 0x7fc0
	s_mov_b64 s[28:29], -1
	v_cndmask_b32_sdwa v6, v6, v7, vcc dst_sel:DWORD dst_unused:UNUSED_PAD src0_sel:DWORD src1_sel:WORD_1
	global_store_dword v[4:5], v6, off
	s_mov_b64 s[0:1], 0
	s_branch .LBB248_660
.LBB248_654:
	s_mov_b64 s[30:31], 0
                                        ; implicit-def: $vgpr10
	s_mov_b64 s[0:1], s[20:21]
	s_branch .LBB248_771
.LBB248_655:
	s_mov_b64 s[30:31], -1
	s_mov_b64 s[28:29], 0
	s_mov_b64 s[0:1], s[20:21]
	s_branch .LBB248_729
.LBB248_656:
	s_mov_b64 s[30:31], -1
	s_mov_b64 s[28:29], 0
	s_mov_b64 s[0:1], s[20:21]
	s_branch .LBB248_687
.LBB248_657:
	s_mov_b64 s[30:31], -1
	s_mov_b64 s[28:29], 0
	s_mov_b64 s[0:1], s[20:21]
	s_branch .LBB248_670
.LBB248_658:
	s_mov_b64 s[30:31], -1
	s_mov_b64 s[28:29], 0
	s_mov_b64 s[0:1], s[20:21]
	s_branch .LBB248_666
.LBB248_659:
	s_mov_b64 s[30:31], -1
	s_mov_b64 s[28:29], 0
	s_mov_b64 s[0:1], s[20:21]
.LBB248_660:
	s_and_b64 vcc, exec, s[30:31]
	s_cbranch_vccz .LBB248_665
; %bb.661:
	s_cmp_eq_u32 s37, 44
	s_mov_b64 s[0:1], -1
	s_cbranch_scc0 .LBB248_665
; %bb.662:
	v_cvt_f32_f64_e32 v6, v[0:1]
	v_bfe_u32 v7, v6, 23, 8
	s_movk_i32 s0, 0xff
	v_cmp_ne_u32_e32 vcc, s0, v7
	v_mov_b32_e32 v8, 0xff
	s_and_saveexec_b64 s[28:29], vcc
; %bb.663:
	s_mov_b32 s0, 0x3fffff
	v_lshrrev_b32_e32 v8, 23, v6
	v_and_b32_e32 v9, 0x400000, v6
	v_and_or_b32 v6, v6, s0, v7
	v_cmp_ne_u32_e32 vcc, 0, v9
	v_cmp_ne_u32_e64 s[0:1], 0, v6
	s_and_b64 s[0:1], vcc, s[0:1]
	s_nop 0
	v_cndmask_b32_e64 v6, 0, 1, s[0:1]
	v_add_u32_e32 v8, v8, v6
; %bb.664:
	s_or_b64 exec, exec, s[28:29]
	s_mov_b64 s[28:29], -1
	s_mov_b64 s[0:1], 0
	global_store_byte v[4:5], v8, off
.LBB248_665:
	s_mov_b64 s[30:31], 0
.LBB248_666:
	s_and_b64 vcc, exec, s[30:31]
	s_cbranch_vccz .LBB248_669
; %bb.667:
	s_cmp_eq_u32 s37, 29
	s_mov_b64 s[0:1], -1
	s_cbranch_scc0 .LBB248_669
; %bb.668:
	v_trunc_f64_e32 v[6:7], v[0:1]
	s_movk_i32 s0, 0xffe0
	v_ldexp_f64 v[8:9], v[6:7], s0
	v_floor_f64_e32 v[8:9], v[8:9]
	v_fmac_f64_e32 v[6:7], 0xc1f00000, v[8:9]
	v_cvt_u32_f64_e32 v13, v[8:9]
	v_cvt_u32_f64_e32 v12, v[6:7]
	global_store_dwordx2 v[4:5], v[12:13], off
	s_mov_b64 s[28:29], -1
	s_mov_b64 s[0:1], 0
.LBB248_669:
	s_mov_b64 s[30:31], 0
.LBB248_670:
	s_and_b64 vcc, exec, s[30:31]
	s_cbranch_vccz .LBB248_686
; %bb.671:
	s_cmp_lt_i32 s37, 27
	s_mov_b64 s[28:29], -1
	s_cbranch_scc1 .LBB248_677
; %bb.672:
	s_cmp_gt_i32 s37, 27
	v_cvt_u32_f64_e32 v6, v[0:1]
	s_cbranch_scc0 .LBB248_674
; %bb.673:
	s_mov_b64 s[28:29], 0
	global_store_dword v[4:5], v6, off
.LBB248_674:
	s_andn2_b64 vcc, exec, s[28:29]
	s_cbranch_vccnz .LBB248_676
; %bb.675:
	global_store_short v[4:5], v6, off
.LBB248_676:
	s_mov_b64 s[28:29], 0
.LBB248_677:
	s_andn2_b64 vcc, exec, s[28:29]
	s_cbranch_vccnz .LBB248_685
; %bb.678:
	v_cvt_f32_f64_e32 v6, v[0:1]
	v_and_b32_e32 v7, 0x7fffffff, v6
	s_mov_b32 s28, 0x43800000
	v_cmp_gt_u32_e32 vcc, s28, v7
	v_mov_b32_e32 v8, 0x80
	s_and_saveexec_b64 s[28:29], vcc
	s_cbranch_execz .LBB248_684
; %bb.679:
	s_mov_b32 s30, 0x3bffffff
	v_cmp_lt_u32_e32 vcc, s30, v7
	s_mov_b64 s[30:31], 0
                                        ; implicit-def: $vgpr7
	s_and_saveexec_b64 s[34:35], vcc
	s_xor_b64 s[34:35], exec, s[34:35]
	s_cbranch_execz .LBB248_785
; %bb.680:
	v_bfe_u32 v7, v6, 20, 1
	s_mov_b32 s39, 0x487ffff
	v_add3_u32 v7, v6, v7, s39
	s_mov_b64 s[30:31], exec
	v_lshrrev_b32_e32 v7, 20, v7
	s_andn2_saveexec_b64 s[34:35], s[34:35]
	s_cbranch_execnz .LBB248_786
.LBB248_681:
	s_or_b64 exec, exec, s[34:35]
	v_mov_b32_e32 v8, 0
	s_and_saveexec_b64 s[34:35], s[30:31]
.LBB248_682:
	v_lshrrev_b32_e32 v6, 24, v6
	s_movk_i32 s30, 0x80
	v_and_or_b32 v8, v6, s30, v7
.LBB248_683:
	s_or_b64 exec, exec, s[34:35]
.LBB248_684:
	s_or_b64 exec, exec, s[28:29]
	global_store_byte v[4:5], v8, off
.LBB248_685:
	s_mov_b64 s[28:29], -1
.LBB248_686:
	s_mov_b64 s[30:31], 0
.LBB248_687:
	s_and_b64 vcc, exec, s[30:31]
	s_cbranch_vccz .LBB248_728
; %bb.688:
	s_cmp_gt_i32 s37, 22
	s_mov_b64 s[30:31], -1
	s_cbranch_scc0 .LBB248_720
; %bb.689:
	s_cmp_lt_i32 s37, 24
	s_mov_b64 s[28:29], -1
	s_cbranch_scc1 .LBB248_709
; %bb.690:
	s_cmp_gt_i32 s37, 24
	s_cbranch_scc0 .LBB248_698
; %bb.691:
	v_cvt_f32_f64_e32 v6, v[0:1]
	v_and_b32_e32 v7, 0x7fffffff, v6
	s_mov_b32 s28, 0x47800000
	v_cmp_gt_u32_e32 vcc, s28, v7
	v_mov_b32_e32 v8, 0x80
	s_and_saveexec_b64 s[28:29], vcc
	s_cbranch_execz .LBB248_697
; %bb.692:
	s_mov_b32 s30, 0x37ffffff
	v_cmp_lt_u32_e32 vcc, s30, v7
	s_mov_b64 s[30:31], 0
                                        ; implicit-def: $vgpr7
	s_and_saveexec_b64 s[34:35], vcc
	s_xor_b64 s[34:35], exec, s[34:35]
	s_cbranch_execz .LBB248_788
; %bb.693:
	v_bfe_u32 v7, v6, 21, 1
	s_mov_b32 s39, 0x88fffff
	v_add3_u32 v7, v6, v7, s39
	s_mov_b64 s[30:31], exec
	v_lshrrev_b32_e32 v7, 21, v7
	s_andn2_saveexec_b64 s[34:35], s[34:35]
	s_cbranch_execnz .LBB248_789
.LBB248_694:
	s_or_b64 exec, exec, s[34:35]
	v_mov_b32_e32 v8, 0
	s_and_saveexec_b64 s[34:35], s[30:31]
.LBB248_695:
	v_lshrrev_b32_e32 v6, 24, v6
	s_movk_i32 s30, 0x80
	v_and_or_b32 v8, v6, s30, v7
.LBB248_696:
	s_or_b64 exec, exec, s[34:35]
.LBB248_697:
	s_or_b64 exec, exec, s[28:29]
	s_mov_b64 s[28:29], 0
	global_store_byte v[4:5], v8, off
.LBB248_698:
	s_and_b64 vcc, exec, s[28:29]
	s_cbranch_vccz .LBB248_708
; %bb.699:
	v_cvt_f32_f64_e32 v6, v[0:1]
	v_and_b32_e32 v8, 0x7fffffff, v6
	s_mov_b32 s28, 0x43f00000
	v_cmp_gt_u32_e32 vcc, s28, v8
                                        ; implicit-def: $vgpr7
	s_and_saveexec_b64 s[28:29], vcc
	s_xor_b64 s[28:29], exec, s[28:29]
	s_cbranch_execz .LBB248_705
; %bb.700:
	s_mov_b32 s30, 0x3c7fffff
	v_cmp_lt_u32_e32 vcc, s30, v8
                                        ; implicit-def: $vgpr7
	s_and_saveexec_b64 s[30:31], vcc
	s_xor_b64 s[30:31], exec, s[30:31]
; %bb.701:
	v_bfe_u32 v7, v6, 20, 1
	s_mov_b32 s34, 0x407ffff
	v_add3_u32 v7, v6, v7, s34
	v_lshrrev_b32_e32 v8, 20, v7
	v_and_b32_e32 v7, 0xff00000, v7
	s_mov_b32 s34, 0x7f00000
	v_mov_b32_e32 v9, 0x7e
	v_cmp_ne_u32_e32 vcc, s34, v7
	s_nop 1
	v_cndmask_b32_e32 v7, v9, v8, vcc
; %bb.702:
	s_andn2_saveexec_b64 s[30:31], s[30:31]
; %bb.703:
	s_mov_b32 s34, 0x46800000
	v_add_f32_e64 v7, |v6|, s34
; %bb.704:
	s_or_b64 exec, exec, s[30:31]
                                        ; implicit-def: $vgpr8
.LBB248_705:
	s_andn2_saveexec_b64 s[28:29], s[28:29]
; %bb.706:
	s_mov_b32 s30, 0x7f800000
	v_mov_b32_e32 v7, 0x7e
	v_mov_b32_e32 v9, 0x7f
	v_cmp_lt_u32_e32 vcc, s30, v8
	s_nop 1
	v_cndmask_b32_e32 v7, v7, v9, vcc
; %bb.707:
	s_or_b64 exec, exec, s[28:29]
	v_lshrrev_b32_e32 v6, 24, v6
	s_movk_i32 s28, 0x80
	v_and_or_b32 v6, v6, s28, v7
	global_store_byte v[4:5], v6, off
.LBB248_708:
	s_mov_b64 s[28:29], 0
.LBB248_709:
	s_andn2_b64 vcc, exec, s[28:29]
	s_cbranch_vccnz .LBB248_719
; %bb.710:
	v_cvt_f32_f64_e32 v6, v[0:1]
	v_and_b32_e32 v8, 0x7fffffff, v6
	s_mov_b32 s28, 0x47800000
	v_cmp_gt_u32_e32 vcc, s28, v8
                                        ; implicit-def: $vgpr7
	s_and_saveexec_b64 s[28:29], vcc
	s_xor_b64 s[28:29], exec, s[28:29]
	s_cbranch_execz .LBB248_716
; %bb.711:
	s_mov_b32 s30, 0x387fffff
	v_cmp_lt_u32_e32 vcc, s30, v8
                                        ; implicit-def: $vgpr7
	s_and_saveexec_b64 s[30:31], vcc
	s_xor_b64 s[30:31], exec, s[30:31]
; %bb.712:
	v_bfe_u32 v7, v6, 21, 1
	s_mov_b32 s34, 0x80fffff
	v_add3_u32 v7, v6, v7, s34
	v_lshrrev_b32_e32 v7, 21, v7
; %bb.713:
	s_andn2_saveexec_b64 s[30:31], s[30:31]
; %bb.714:
	s_mov_b32 s34, 0x43000000
	v_add_f32_e64 v7, |v6|, s34
; %bb.715:
	s_or_b64 exec, exec, s[30:31]
                                        ; implicit-def: $vgpr8
.LBB248_716:
	s_andn2_saveexec_b64 s[28:29], s[28:29]
; %bb.717:
	s_mov_b32 s30, 0x7f800000
	v_mov_b32_e32 v7, 0x7c
	v_mov_b32_e32 v9, 0x7f
	v_cmp_lt_u32_e32 vcc, s30, v8
	s_nop 1
	v_cndmask_b32_e32 v7, v7, v9, vcc
; %bb.718:
	s_or_b64 exec, exec, s[28:29]
	v_lshrrev_b32_e32 v6, 24, v6
	s_movk_i32 s28, 0x80
	v_and_or_b32 v6, v6, s28, v7
	global_store_byte v[4:5], v6, off
.LBB248_719:
	s_mov_b64 s[30:31], 0
	s_mov_b64 s[28:29], -1
.LBB248_720:
	s_andn2_b64 vcc, exec, s[30:31]
	s_cbranch_vccnz .LBB248_728
; %bb.721:
	s_cmp_gt_i32 s37, 14
	s_mov_b64 s[30:31], -1
	s_cbranch_scc0 .LBB248_725
; %bb.722:
	s_cmp_eq_u32 s37, 15
	s_mov_b64 s[0:1], -1
	s_cbranch_scc0 .LBB248_724
; %bb.723:
	v_cvt_f32_f64_e32 v6, v[0:1]
	v_bfe_u32 v7, v6, 16, 1
	s_movk_i32 s0, 0x7fff
	v_add3_u32 v7, v6, v7, s0
	v_cmp_o_f32_e32 vcc, v6, v6
	v_mov_b32_e32 v6, 0x7fc0
	s_mov_b64 s[28:29], -1
	v_cndmask_b32_sdwa v6, v6, v7, vcc dst_sel:DWORD dst_unused:UNUSED_PAD src0_sel:DWORD src1_sel:WORD_1
	global_store_short v[4:5], v6, off
	s_mov_b64 s[0:1], 0
.LBB248_724:
	s_mov_b64 s[30:31], 0
.LBB248_725:
	s_and_b64 vcc, exec, s[30:31]
	s_cbranch_vccz .LBB248_728
; %bb.726:
	s_cmp_eq_u32 s37, 11
	s_mov_b64 s[0:1], -1
	s_cbranch_scc0 .LBB248_728
; %bb.727:
	v_cmp_neq_f64_e32 vcc, 0, v[2:3]
	s_mov_b64 s[0:1], 0
	s_mov_b64 s[28:29], -1
	v_cndmask_b32_e64 v2, 0, 1, vcc
	global_store_byte v[4:5], v2, off
.LBB248_728:
	s_mov_b64 s[30:31], 0
.LBB248_729:
	s_and_b64 vcc, exec, s[30:31]
	s_cbranch_vccz .LBB248_768
; %bb.730:
	s_and_b32 s30, 0xffff, s36
	s_cmp_lt_i32 s30, 5
	s_mov_b64 s[28:29], -1
	s_cbranch_scc1 .LBB248_751
; %bb.731:
	s_cmp_lt_i32 s30, 8
	s_cbranch_scc1 .LBB248_741
; %bb.732:
	s_cmp_lt_i32 s30, 9
	s_cbranch_scc1 .LBB248_738
; %bb.733:
	s_cmp_gt_i32 s30, 9
	s_cbranch_scc0 .LBB248_735
; %bb.734:
	v_mov_b32_e32 v2, 0
	v_mov_b32_e32 v3, v2
	s_mov_b64 s[28:29], 0
	global_store_dwordx4 v[4:5], v[0:3], off
.LBB248_735:
	s_andn2_b64 vcc, exec, s[28:29]
	s_cbranch_vccnz .LBB248_737
; %bb.736:
	v_cvt_f32_f64_e32 v2, v[0:1]
	v_mov_b32_e32 v3, 0
	global_store_dwordx2 v[4:5], v[2:3], off
.LBB248_737:
	s_mov_b64 s[28:29], 0
.LBB248_738:
	s_andn2_b64 vcc, exec, s[28:29]
	s_cbranch_vccnz .LBB248_740
; %bb.739:
	s_movk_i32 s28, 0x1ff
	v_and_or_b32 v2, v1, s28, v0
	v_cmp_ne_u32_e32 vcc, 0, v2
	v_lshrrev_b32_e32 v3, 8, v1
	s_movk_i32 s28, 0xffe
	v_cndmask_b32_e64 v2, 0, 1, vcc
	v_bfe_u32 v6, v1, 20, 11
	v_and_or_b32 v2, v3, s28, v2
	v_sub_u32_e32 v7, 0x3f1, v6
	v_or_b32_e32 v3, 0x1000, v2
	v_med3_i32 v7, v7, 0, 13
	v_lshrrev_b32_e32 v8, v7, v3
	v_lshlrev_b32_e32 v7, v7, v8
	v_cmp_ne_u32_e32 vcc, v7, v3
	v_add_u32_e32 v6, 0xfffffc10, v6
	v_lshl_or_b32 v7, v6, 12, v2
	v_cndmask_b32_e64 v3, 0, 1, vcc
	v_or_b32_e32 v3, v8, v3
	v_cmp_gt_i32_e32 vcc, 1, v6
	s_movk_i32 s28, 0x40f
	s_nop 0
	v_cndmask_b32_e32 v3, v7, v3, vcc
	v_and_b32_e32 v7, 7, v3
	v_cmp_lt_i32_e32 vcc, 5, v7
	v_lshrrev_b32_e32 v3, 2, v3
	s_nop 0
	v_cndmask_b32_e64 v8, 0, 1, vcc
	v_cmp_eq_u32_e32 vcc, 3, v7
	s_nop 1
	v_cndmask_b32_e64 v7, 0, 1, vcc
	v_or_b32_e32 v7, v7, v8
	v_add_u32_e32 v3, v3, v7
	v_mov_b32_e32 v7, 0x7c00
	v_cmp_gt_i32_e32 vcc, 31, v6
	v_mov_b32_e32 v8, 0x7e00
	s_nop 0
	v_cndmask_b32_e32 v3, v7, v3, vcc
	v_cmp_ne_u32_e32 vcc, 0, v2
	s_nop 1
	v_cndmask_b32_e32 v2, v7, v8, vcc
	v_cmp_eq_u32_e32 vcc, s28, v6
	s_mov_b32 s28, 0x8000
	s_nop 0
	v_cndmask_b32_e32 v2, v3, v2, vcc
	v_and_b32_sdwa v3, v1, s28 dst_sel:DWORD dst_unused:UNUSED_PAD src0_sel:WORD_1 src1_sel:DWORD
	s_mov_b32 s28, 0xffff
	v_bitop3_b32 v2, v3, s28, v2 bitop3:0xc8
	global_store_dword v[4:5], v2, off
.LBB248_740:
	s_mov_b64 s[28:29], 0
.LBB248_741:
	s_andn2_b64 vcc, exec, s[28:29]
	s_cbranch_vccnz .LBB248_750
; %bb.742:
	s_cmp_lt_i32 s30, 6
	s_mov_b64 s[28:29], -1
	s_cbranch_scc1 .LBB248_748
; %bb.743:
	s_cmp_gt_i32 s30, 6
	s_cbranch_scc0 .LBB248_745
; %bb.744:
	s_mov_b64 s[28:29], 0
	global_store_dwordx2 v[4:5], v[0:1], off
.LBB248_745:
	s_andn2_b64 vcc, exec, s[28:29]
	s_cbranch_vccnz .LBB248_747
; %bb.746:
	v_cvt_f32_f64_e32 v2, v[0:1]
	global_store_dword v[4:5], v2, off
.LBB248_747:
	s_mov_b64 s[28:29], 0
.LBB248_748:
	s_andn2_b64 vcc, exec, s[28:29]
	s_cbranch_vccnz .LBB248_750
; %bb.749:
	s_movk_i32 s28, 0x1ff
	v_and_or_b32 v2, v1, s28, v0
	v_cmp_ne_u32_e32 vcc, 0, v2
	v_lshrrev_b32_e32 v3, 8, v1
	s_movk_i32 s28, 0xffe
	v_cndmask_b32_e64 v2, 0, 1, vcc
	v_bfe_u32 v6, v1, 20, 11
	v_and_or_b32 v2, v3, s28, v2
	v_sub_u32_e32 v7, 0x3f1, v6
	v_or_b32_e32 v3, 0x1000, v2
	v_med3_i32 v7, v7, 0, 13
	v_lshrrev_b32_e32 v8, v7, v3
	v_lshlrev_b32_e32 v7, v7, v8
	v_cmp_ne_u32_e32 vcc, v7, v3
	v_add_u32_e32 v6, 0xfffffc10, v6
	v_lshl_or_b32 v7, v6, 12, v2
	v_cndmask_b32_e64 v3, 0, 1, vcc
	v_or_b32_e32 v3, v8, v3
	v_cmp_gt_i32_e32 vcc, 1, v6
	s_movk_i32 s28, 0x40f
	s_nop 0
	v_cndmask_b32_e32 v3, v7, v3, vcc
	v_and_b32_e32 v7, 7, v3
	v_cmp_lt_i32_e32 vcc, 5, v7
	v_lshrrev_b32_e32 v3, 2, v3
	s_nop 0
	v_cndmask_b32_e64 v8, 0, 1, vcc
	v_cmp_eq_u32_e32 vcc, 3, v7
	s_nop 1
	v_cndmask_b32_e64 v7, 0, 1, vcc
	v_or_b32_e32 v7, v7, v8
	v_add_u32_e32 v3, v3, v7
	v_mov_b32_e32 v7, 0x7c00
	v_cmp_gt_i32_e32 vcc, 31, v6
	v_mov_b32_e32 v8, 0x7e00
	s_nop 0
	v_cndmask_b32_e32 v3, v7, v3, vcc
	v_cmp_ne_u32_e32 vcc, 0, v2
	s_nop 1
	v_cndmask_b32_e32 v2, v7, v8, vcc
	v_cmp_eq_u32_e32 vcc, s28, v6
	s_mov_b32 s28, 0x8000
	s_nop 0
	v_cndmask_b32_e32 v2, v3, v2, vcc
	v_lshrrev_b32_e32 v3, 16, v1
	v_and_or_b32 v2, v3, s28, v2
	global_store_short v[4:5], v2, off
.LBB248_750:
	s_mov_b64 s[28:29], 0
.LBB248_751:
	s_andn2_b64 vcc, exec, s[28:29]
	s_cbranch_vccnz .LBB248_767
; %bb.752:
	s_cmp_lt_i32 s30, 2
	s_mov_b64 s[28:29], -1
	s_cbranch_scc1 .LBB248_762
; %bb.753:
	s_cmp_lt_i32 s30, 3
	s_cbranch_scc1 .LBB248_759
; %bb.754:
	s_cmp_gt_i32 s30, 3
	s_cbranch_scc0 .LBB248_756
; %bb.755:
	v_trunc_f64_e32 v[2:3], v[0:1]
	s_movk_i32 s28, 0xffe0
	v_ldexp_f64 v[6:7], v[2:3], s28
	v_floor_f64_e32 v[6:7], v[6:7]
	v_fmac_f64_e32 v[2:3], 0xc1f00000, v[6:7]
	v_cvt_i32_f64_e32 v9, v[6:7]
	v_cvt_u32_f64_e32 v8, v[2:3]
	s_mov_b64 s[28:29], 0
	global_store_dwordx2 v[4:5], v[8:9], off
.LBB248_756:
	s_andn2_b64 vcc, exec, s[28:29]
	s_cbranch_vccnz .LBB248_758
; %bb.757:
	v_cvt_i32_f64_e32 v2, v[0:1]
	global_store_dword v[4:5], v2, off
.LBB248_758:
	s_mov_b64 s[28:29], 0
.LBB248_759:
	s_andn2_b64 vcc, exec, s[28:29]
	s_cbranch_vccnz .LBB248_761
; %bb.760:
	v_cvt_i32_f64_e32 v2, v[0:1]
	global_store_short v[4:5], v2, off
.LBB248_761:
	s_mov_b64 s[28:29], 0
.LBB248_762:
	s_andn2_b64 vcc, exec, s[28:29]
	s_cbranch_vccnz .LBB248_767
; %bb.763:
	s_cmp_gt_i32 s30, 0
	s_mov_b64 s[28:29], -1
	s_cbranch_scc0 .LBB248_765
; %bb.764:
	v_cvt_i32_f64_e32 v2, v[0:1]
	s_mov_b64 s[28:29], 0
	global_store_byte v[4:5], v2, off
.LBB248_765:
	s_andn2_b64 vcc, exec, s[28:29]
	s_cbranch_vccnz .LBB248_767
; %bb.766:
	v_trunc_f64_e32 v[0:1], v[0:1]
	s_movk_i32 s28, 0xffe0
	v_ldexp_f64 v[2:3], v[0:1], s28
	v_floor_f64_e32 v[2:3], v[2:3]
	v_fmac_f64_e32 v[0:1], 0xc1f00000, v[2:3]
	v_cvt_u32_f64_e32 v0, v[0:1]
	global_store_byte v[4:5], v0, off
.LBB248_767:
	s_mov_b64 s[28:29], -1
.LBB248_768:
	s_andn2_b64 vcc, exec, s[28:29]
	s_cbranch_vccnz .LBB248_770
; %bb.769:
	v_add_u32_e32 v10, 0x80, v10
	s_mov_b64 s[30:31], -1
	s_branch .LBB248_771
.LBB248_770:
	s_mov_b64 s[30:31], 0
                                        ; implicit-def: $vgpr10
.LBB248_771:
	s_andn2_b64 s[28:29], s[20:21], exec
	s_and_b64 s[0:1], s[0:1], exec
	s_or_b64 s[28:29], s[28:29], s[0:1]
	s_andn2_b64 s[0:1], s[18:19], exec
	s_and_b64 s[26:27], s[26:27], exec
	s_or_b64 s[0:1], s[0:1], s[26:27]
	s_orn2_b64 s[34:35], s[30:31], exec
.LBB248_772:
	s_or_b64 exec, exec, s[24:25]
	s_mov_b64 s[30:31], 0
	s_mov_b64 s[26:27], 0
	;; [unrolled: 1-line block ×3, first 2 shown]
                                        ; implicit-def: $vgpr0_vgpr1
                                        ; implicit-def: $vgpr2_vgpr3
	s_and_saveexec_b64 s[24:25], s[34:35]
	s_cbranch_execz .LBB248_857
; %bb.773:
	v_cmp_gt_i32_e32 vcc, s38, v10
	s_mov_b64 s[34:35], 0
	s_mov_b64 s[38:39], s[0:1]
	;; [unrolled: 1-line block ×3, first 2 shown]
                                        ; implicit-def: $vgpr0_vgpr1
                                        ; implicit-def: $vgpr2_vgpr3
	s_and_saveexec_b64 s[26:27], vcc
	s_cbranch_execz .LBB248_856
; %bb.774:
	v_mul_lo_u32 v0, v10, s9
	v_ashrrev_i32_e32 v1, 31, v0
	s_and_b32 s43, 0xffff, s42
	s_cmp_lt_i32 s43, 11
	v_lshl_add_u64 v[0:1], s[6:7], 0, v[0:1]
	s_cbranch_scc1 .LBB248_781
; %bb.775:
	s_cmp_gt_i32 s43, 25
	s_cbranch_scc0 .LBB248_782
; %bb.776:
	s_cmp_gt_i32 s43, 28
	s_cbranch_scc0 .LBB248_783
	;; [unrolled: 3-line block ×4, first 2 shown]
; %bb.779:
	s_cmp_eq_u32 s43, 46
	s_mov_b64 s[38:39], 0
	s_cbranch_scc0 .LBB248_790
; %bb.780:
	global_load_dword v2, v[0:1], off
	s_mov_b64 s[36:37], -1
	s_waitcnt vmcnt(0)
	v_lshlrev_b32_e32 v2, 16, v2
	v_cvt_f64_f32_e32 v[2:3], v2
	s_branch .LBB248_792
.LBB248_781:
	s_mov_b64 s[38:39], -1
                                        ; implicit-def: $vgpr2_vgpr3
	s_mov_b64 s[30:31], s[0:1]
	s_branch .LBB248_855
.LBB248_782:
	s_mov_b64 s[38:39], -1
	s_mov_b64 s[30:31], s[0:1]
                                        ; implicit-def: $vgpr2_vgpr3
	s_branch .LBB248_823
.LBB248_783:
	s_mov_b64 s[38:39], -1
	s_mov_b64 s[30:31], s[0:1]
                                        ; implicit-def: $vgpr2_vgpr3
	s_branch .LBB248_802
.LBB248_784:
	s_mov_b64 s[38:39], -1
	s_mov_b64 s[30:31], s[0:1]
                                        ; implicit-def: $vgpr2_vgpr3
	s_branch .LBB248_797
.LBB248_785:
	s_andn2_saveexec_b64 s[34:35], s[34:35]
	s_cbranch_execz .LBB248_681
.LBB248_786:
	s_mov_b32 s39, 0x46000000
	v_add_f32_e64 v7, |v6|, s39
	v_and_b32_e32 v7, 0xff, v7
	v_cmp_ne_u32_e32 vcc, 0, v7
	s_andn2_b64 s[30:31], s[30:31], exec
	s_and_b64 s[40:41], vcc, exec
	s_or_b64 s[30:31], s[30:31], s[40:41]
	s_or_b64 exec, exec, s[34:35]
	v_mov_b32_e32 v8, 0
	s_and_saveexec_b64 s[34:35], s[30:31]
	s_cbranch_execnz .LBB248_682
	s_branch .LBB248_683
.LBB248_787:
	s_mov_b64 s[38:39], -1
	s_mov_b64 s[30:31], s[0:1]
	s_branch .LBB248_791
.LBB248_788:
	s_andn2_saveexec_b64 s[34:35], s[34:35]
	s_cbranch_execz .LBB248_694
.LBB248_789:
	s_mov_b32 s39, 0x42800000
	v_add_f32_e64 v7, |v6|, s39
	v_and_b32_e32 v7, 0xff, v7
	v_cmp_ne_u32_e32 vcc, 0, v7
	s_andn2_b64 s[30:31], s[30:31], exec
	s_and_b64 s[40:41], vcc, exec
	s_or_b64 s[30:31], s[30:31], s[40:41]
	s_or_b64 exec, exec, s[34:35]
	v_mov_b32_e32 v8, 0
	s_and_saveexec_b64 s[34:35], s[30:31]
	s_cbranch_execnz .LBB248_695
	s_branch .LBB248_696
.LBB248_790:
	s_mov_b64 s[30:31], -1
.LBB248_791:
                                        ; implicit-def: $vgpr2_vgpr3
.LBB248_792:
	s_and_b64 vcc, exec, s[38:39]
	s_cbranch_vccz .LBB248_796
; %bb.793:
	s_cmp_eq_u32 s43, 44
	s_cbranch_scc0 .LBB248_795
; %bb.794:
	global_load_ubyte v4, v[0:1], off
	s_movk_i32 s36, 0xff
	v_bfrev_b32_e32 v5, 4
	v_mov_b32_e32 v6, 0x7ff80000
	v_bfrev_b32_e32 v7, 28
	s_mov_b64 s[30:31], 0
	s_waitcnt vmcnt(0)
	v_lshlrev_b32_e32 v2, 23, v4
	v_cvt_f64_f32_e32 v[2:3], v2
	v_cmp_ne_u32_e32 vcc, s36, v4
	s_mov_b64 s[36:37], -1
	s_nop 0
	v_cndmask_b32_e32 v2, v5, v2, vcc
	v_cndmask_b32_e32 v3, v6, v3, vcc
	v_cmp_ne_u32_e32 vcc, 0, v4
	s_nop 1
	v_cndmask_b32_e32 v3, v7, v3, vcc
	v_cndmask_b32_e32 v2, 0, v2, vcc
	s_branch .LBB248_796
.LBB248_795:
	s_mov_b64 s[30:31], -1
                                        ; implicit-def: $vgpr2_vgpr3
.LBB248_796:
	s_mov_b64 s[38:39], 0
.LBB248_797:
	s_and_b64 vcc, exec, s[38:39]
	s_cbranch_vccz .LBB248_801
; %bb.798:
	s_cmp_eq_u32 s43, 29
	s_cbranch_scc0 .LBB248_800
; %bb.799:
	global_load_dwordx2 v[2:3], v[0:1], off
	s_mov_b64 s[30:31], 0
	s_mov_b64 s[36:37], -1
	s_mov_b64 s[38:39], 0
	s_waitcnt vmcnt(0)
	v_cvt_f64_u32_e32 v[4:5], v3
	v_cvt_f64_u32_e32 v[2:3], v2
	v_ldexp_f64 v[4:5], v[4:5], 32
	v_add_f64 v[2:3], v[4:5], v[2:3]
	s_branch .LBB248_802
.LBB248_800:
	s_mov_b64 s[30:31], -1
                                        ; implicit-def: $vgpr2_vgpr3
.LBB248_801:
	s_mov_b64 s[38:39], 0
.LBB248_802:
	s_and_b64 vcc, exec, s[38:39]
	s_cbranch_vccz .LBB248_822
; %bb.803:
	s_cmp_lt_i32 s43, 27
	s_cbranch_scc1 .LBB248_806
; %bb.804:
	s_cmp_gt_i32 s43, 27
	s_cbranch_scc0 .LBB248_807
; %bb.805:
	global_load_dword v2, v[0:1], off
	s_mov_b64 s[36:37], 0
	s_waitcnt vmcnt(0)
	v_cvt_f64_u32_e32 v[2:3], v2
	s_branch .LBB248_808
.LBB248_806:
	s_mov_b64 s[36:37], -1
                                        ; implicit-def: $vgpr2_vgpr3
	s_branch .LBB248_811
.LBB248_807:
	s_mov_b64 s[36:37], -1
                                        ; implicit-def: $vgpr2_vgpr3
.LBB248_808:
	s_andn2_b64 vcc, exec, s[36:37]
	s_cbranch_vccnz .LBB248_810
; %bb.809:
	global_load_ushort v2, v[0:1], off
	s_waitcnt vmcnt(0)
	v_cvt_f64_u32_e32 v[2:3], v2
.LBB248_810:
	s_mov_b64 s[36:37], 0
.LBB248_811:
	s_andn2_b64 vcc, exec, s[36:37]
	s_cbranch_vccnz .LBB248_821
; %bb.812:
	global_load_ubyte v4, v[0:1], off
	s_movk_i32 s36, 0x7f
	s_waitcnt vmcnt(0)
	v_cmp_lt_i16_e32 vcc, s36, v4
	s_mov_b64 s[36:37], 0
	s_and_saveexec_b64 s[38:39], vcc
	s_xor_b64 s[38:39], exec, s[38:39]
	s_cbranch_execz .LBB248_816
; %bb.813:
	s_movk_i32 s36, 0x80
	v_cmp_eq_u16_e32 vcc, s36, v4
	s_mov_b64 s[36:37], -1
	s_and_saveexec_b64 s[40:41], vcc
; %bb.814:
	s_xor_b64 s[36:37], exec, -1
; %bb.815:
	s_or_b64 exec, exec, s[40:41]
	s_and_b64 s[36:37], s[36:37], exec
.LBB248_816:
	s_or_saveexec_b64 s[38:39], s[38:39]
	v_bfrev_b32_e32 v2, 4
	v_mov_b32_e32 v3, 0x7ff80000
	s_xor_b64 exec, exec, s[38:39]
; %bb.817:
	v_cmp_ne_u16_e32 vcc, 0, v4
	s_andn2_b64 s[36:37], s[36:37], exec
	s_and_b64 s[40:41], vcc, exec
	v_mov_b64_e32 v[2:3], 0
	s_or_b64 s[36:37], s[36:37], s[40:41]
; %bb.818:
	s_or_b64 exec, exec, s[38:39]
	s_and_saveexec_b64 s[38:39], s[36:37]
	s_cbranch_execz .LBB248_820
; %bb.819:
	v_and_b32_e32 v3, 0xffff, v4
	v_lshlrev_b32_e32 v2, 24, v4
	v_and_b32_e32 v4, 7, v3
	v_ffbh_u32_e32 v6, v4
	v_min_u32_e32 v6, 32, v6
	v_subrev_u32_e32 v7, 28, v6
	v_bfe_u32 v5, v3, 3, 4
	v_lshlrev_b32_e32 v3, v7, v3
	v_sub_u32_e32 v6, 29, v6
	v_and_b32_e32 v3, 7, v3
	v_cmp_eq_u32_e32 vcc, 0, v5
	v_and_b32_e32 v2, 0x80000000, v2
	s_nop 0
	v_cndmask_b32_e32 v5, v5, v6, vcc
	v_cndmask_b32_e32 v3, v4, v3, vcc
	v_mov_b32_e32 v4, 0x3b800000
	v_lshlrev_b32_e32 v3, 20, v3
	v_lshl_add_u32 v4, v5, 23, v4
	v_or3_b32 v2, v2, v4, v3
	v_cvt_f64_f32_e32 v[2:3], v2
.LBB248_820:
	s_or_b64 exec, exec, s[38:39]
.LBB248_821:
	s_mov_b64 s[36:37], -1
.LBB248_822:
	s_mov_b64 s[38:39], 0
.LBB248_823:
	s_and_b64 vcc, exec, s[38:39]
	s_cbranch_vccz .LBB248_854
; %bb.824:
	s_cmp_gt_i32 s43, 22
	s_cbranch_scc0 .LBB248_836
; %bb.825:
	s_cmp_lt_i32 s43, 24
	s_cbranch_scc1 .LBB248_837
; %bb.826:
	s_cmp_gt_i32 s43, 24
	s_cbranch_scc0 .LBB248_838
; %bb.827:
	global_load_ubyte v4, v[0:1], off
	s_movk_i32 s34, 0x7f
	s_waitcnt vmcnt(0)
	v_cmp_lt_i16_e32 vcc, s34, v4
	s_mov_b64 s[34:35], 0
	s_and_saveexec_b64 s[36:37], vcc
	s_xor_b64 s[36:37], exec, s[36:37]
	s_cbranch_execz .LBB248_831
; %bb.828:
	s_movk_i32 s34, 0x80
	v_cmp_eq_u16_e32 vcc, s34, v4
	s_mov_b64 s[34:35], -1
	s_and_saveexec_b64 s[38:39], vcc
; %bb.829:
	s_xor_b64 s[34:35], exec, -1
; %bb.830:
	s_or_b64 exec, exec, s[38:39]
	s_and_b64 s[34:35], s[34:35], exec
.LBB248_831:
	s_or_saveexec_b64 s[36:37], s[36:37]
	v_bfrev_b32_e32 v2, 4
	v_mov_b32_e32 v3, 0x7ff80000
	s_xor_b64 exec, exec, s[36:37]
; %bb.832:
	v_cmp_ne_u16_e32 vcc, 0, v4
	s_andn2_b64 s[34:35], s[34:35], exec
	s_and_b64 s[38:39], vcc, exec
	v_mov_b64_e32 v[2:3], 0
	s_or_b64 s[34:35], s[34:35], s[38:39]
; %bb.833:
	s_or_b64 exec, exec, s[36:37]
	s_and_saveexec_b64 s[36:37], s[34:35]
	s_cbranch_execz .LBB248_835
; %bb.834:
	v_and_b32_e32 v3, 0xffff, v4
	v_lshlrev_b32_e32 v2, 24, v4
	v_and_b32_e32 v4, 3, v3
	v_ffbh_u32_e32 v6, v4
	v_min_u32_e32 v6, 32, v6
	v_subrev_u32_e32 v7, 29, v6
	v_bfe_u32 v5, v3, 2, 5
	v_lshlrev_b32_e32 v3, v7, v3
	v_sub_u32_e32 v6, 30, v6
	v_and_b32_e32 v3, 3, v3
	v_cmp_eq_u32_e32 vcc, 0, v5
	v_and_b32_e32 v2, 0x80000000, v2
	s_nop 0
	v_cndmask_b32_e32 v5, v5, v6, vcc
	v_cndmask_b32_e32 v3, v4, v3, vcc
	v_mov_b32_e32 v4, 0x37800000
	v_lshlrev_b32_e32 v3, 21, v3
	v_lshl_add_u32 v4, v5, 23, v4
	v_or3_b32 v2, v2, v4, v3
	v_cvt_f64_f32_e32 v[2:3], v2
.LBB248_835:
	s_or_b64 exec, exec, s[36:37]
	s_mov_b64 s[34:35], 0
	s_branch .LBB248_839
.LBB248_836:
	s_mov_b64 s[34:35], -1
                                        ; implicit-def: $vgpr2_vgpr3
	s_branch .LBB248_845
.LBB248_837:
	s_mov_b64 s[34:35], -1
                                        ; implicit-def: $vgpr2_vgpr3
	s_branch .LBB248_842
.LBB248_838:
	s_mov_b64 s[34:35], -1
                                        ; implicit-def: $vgpr2_vgpr3
.LBB248_839:
	s_and_b64 vcc, exec, s[34:35]
	s_cbranch_vccz .LBB248_841
; %bb.840:
	global_load_ubyte v2, v[0:1], off
	s_mov_b32 s34, 0x7f800000
	s_waitcnt vmcnt(0)
	v_lshlrev_b32_e32 v2, 24, v2
	v_and_b32_e32 v3, 0x7f000000, v2
	v_ffbh_u32_e32 v4, v3
	v_min_u32_e32 v4, 32, v4
	v_sub_u32_e64 v4, v4, 4 clamp
	v_lshlrev_b32_e32 v6, v4, v3
	v_lshlrev_b32_e32 v4, 23, v4
	v_lshrrev_b32_e32 v6, 4, v6
	v_add_u32_e32 v5, 0x1000000, v3
	v_sub_u32_e32 v4, v6, v4
	v_ashrrev_i32_e32 v5, 8, v5
	v_add_u32_e32 v4, 0x3c000000, v4
	v_and_or_b32 v4, v5, s34, v4
	v_cmp_ne_u32_e32 vcc, 0, v3
	s_brev_b32 s34, 1
	s_nop 0
	v_cndmask_b32_e32 v3, 0, v4, vcc
	v_and_or_b32 v2, v2, s34, v3
	v_cvt_f64_f32_e32 v[2:3], v2
.LBB248_841:
	s_mov_b64 s[34:35], 0
.LBB248_842:
	s_andn2_b64 vcc, exec, s[34:35]
	s_cbranch_vccnz .LBB248_844
; %bb.843:
	global_load_ubyte v2, v[0:1], off
	s_movk_i32 s34, 0x7f00
	s_brev_b32 s35, 16
	s_waitcnt vmcnt(0)
	v_lshlrev_b16_e32 v3, 8, v2
	v_lshlrev_b32_e32 v2, 25, v2
	v_lshrrev_b32_e32 v4, 4, v2
	v_and_or_b32 v5, v3, s34, 0.5
	v_or_b32_e32 v4, 0x70000000, v4
	v_add_f32_e32 v5, -0.5, v5
	v_mul_f32_e32 v4, 0x7800000, v4
	v_cmp_gt_u32_e32 vcc, s35, v2
	v_bfe_i32 v3, v3, 0, 16
	s_brev_b32 s34, 1
	v_cndmask_b32_e32 v2, v4, v5, vcc
	v_and_or_b32 v2, v3, s34, v2
	v_cvt_f64_f32_e32 v[2:3], v2
.LBB248_844:
	s_mov_b64 s[34:35], 0
	s_mov_b64 s[36:37], -1
.LBB248_845:
	s_andn2_b64 vcc, exec, s[34:35]
	s_mov_b64 s[34:35], 0
	s_cbranch_vccnz .LBB248_854
; %bb.846:
	s_cmp_gt_i32 s43, 14
	s_cbranch_scc0 .LBB248_849
; %bb.847:
	s_cmp_eq_u32 s43, 15
	s_cbranch_scc0 .LBB248_850
; %bb.848:
	global_load_ushort v2, v[0:1], off
	s_mov_b64 s[30:31], 0
	s_mov_b64 s[36:37], -1
	s_waitcnt vmcnt(0)
	v_lshlrev_b32_e32 v2, 16, v2
	v_cvt_f64_f32_e32 v[2:3], v2
	s_branch .LBB248_851
.LBB248_849:
	s_mov_b64 s[38:39], -1
                                        ; implicit-def: $vgpr2_vgpr3
	s_branch .LBB248_852
.LBB248_850:
	s_mov_b64 s[30:31], -1
                                        ; implicit-def: $vgpr2_vgpr3
.LBB248_851:
	s_mov_b64 s[38:39], 0
.LBB248_852:
	s_and_b64 vcc, exec, s[38:39]
	s_cbranch_vccz .LBB248_854
; %bb.853:
	s_cmp_lg_u32 s43, 11
	s_cselect_b64 s[38:39], -1, 0
	s_andn2_b64 s[30:31], s[30:31], exec
	s_and_b64 s[38:39], s[38:39], exec
	s_mov_b64 s[34:35], -1
	s_or_b64 s[30:31], s[30:31], s[38:39]
.LBB248_854:
	s_mov_b64 s[38:39], 0
.LBB248_855:
	s_and_b64 s[40:41], s[38:39], exec
	s_andn2_b64 s[38:39], s[0:1], exec
	s_and_b64 s[30:31], s[30:31], exec
	s_and_b64 s[36:37], s[36:37], exec
	;; [unrolled: 1-line block ×3, first 2 shown]
	s_or_b64 s[38:39], s[38:39], s[30:31]
.LBB248_856:
	s_or_b64 exec, exec, s[26:27]
	s_and_b64 s[30:31], s[34:35], exec
	s_andn2_b64 s[0:1], s[0:1], exec
	s_and_b64 s[34:35], s[38:39], exec
	s_and_b64 s[36:37], s[36:37], exec
	;; [unrolled: 1-line block ×3, first 2 shown]
	s_or_b64 s[0:1], s[0:1], s[34:35]
.LBB248_857:
	s_or_b64 exec, exec, s[24:25]
	s_andn2_b64 s[20:21], s[20:21], exec
	s_and_b64 s[24:25], s[28:29], exec
	s_andn2_b64 s[18:19], s[18:19], exec
	s_and_b64 s[0:1], s[0:1], exec
	s_or_b64 s[20:21], s[20:21], s[24:25]
	s_and_b64 s[28:29], s[36:37], exec
	s_and_b64 s[26:27], s[26:27], exec
	;; [unrolled: 1-line block ×3, first 2 shown]
	s_or_b64 s[18:19], s[18:19], s[0:1]
.LBB248_858:
	s_or_b64 exec, exec, s[22:23]
	s_andn2_b64 s[0:1], s[12:13], exec
	s_and_b64 s[12:13], s[20:21], exec
	s_andn2_b64 s[14:15], s[14:15], exec
	s_and_b64 s[18:19], s[18:19], exec
	s_or_b64 s[12:13], s[0:1], s[12:13]
	s_and_b64 s[0:1], s[28:29], exec
	s_and_b64 s[22:23], s[26:27], exec
	;; [unrolled: 1-line block ×3, first 2 shown]
	s_or_b64 s[14:15], s[14:15], s[18:19]
	s_or_b64 exec, exec, s[16:17]
	s_mov_b64 s[16:17], 0
	s_and_saveexec_b64 s[18:19], s[14:15]
	s_cbranch_execz .LBB248_262
.LBB248_859:
	s_mov_b64 s[16:17], exec
	s_andn2_b64 s[20:21], s[20:21], exec
	s_trap 2
	s_or_b64 exec, exec, s[18:19]
	s_and_saveexec_b64 s[14:15], s[20:21]
	s_xor_b64 s[14:15], exec, s[14:15]
	s_cbranch_execnz .LBB248_263
.LBB248_860:
	s_or_b64 exec, exec, s[14:15]
	s_and_saveexec_b64 s[14:15], s[22:23]
	s_cbranch_execz .LBB248_906
.LBB248_861:
	s_sext_i32_i16 s18, s42
	s_cmp_lt_i32 s18, 5
	s_cbranch_scc1 .LBB248_866
; %bb.862:
	s_cmp_lt_i32 s18, 8
	s_cbranch_scc1 .LBB248_867
; %bb.863:
	;; [unrolled: 3-line block ×3, first 2 shown]
	s_cmp_gt_i32 s18, 9
	s_cbranch_scc0 .LBB248_869
; %bb.865:
	global_load_dwordx2 v[2:3], v[0:1], off
	s_mov_b64 s[18:19], 0
	s_branch .LBB248_870
.LBB248_866:
                                        ; implicit-def: $vgpr2_vgpr3
	s_branch .LBB248_887
.LBB248_867:
                                        ; implicit-def: $vgpr2_vgpr3
	s_branch .LBB248_876
.LBB248_868:
	s_mov_b64 s[18:19], -1
                                        ; implicit-def: $vgpr2_vgpr3
	s_branch .LBB248_873
.LBB248_869:
	s_mov_b64 s[18:19], -1
                                        ; implicit-def: $vgpr2_vgpr3
.LBB248_870:
	s_andn2_b64 vcc, exec, s[18:19]
	s_cbranch_vccnz .LBB248_872
; %bb.871:
	global_load_dword v2, v[0:1], off
	s_waitcnt vmcnt(0)
	v_cvt_f64_f32_e32 v[2:3], v2
.LBB248_872:
	s_mov_b64 s[18:19], 0
.LBB248_873:
	s_andn2_b64 vcc, exec, s[18:19]
	s_cbranch_vccnz .LBB248_875
; %bb.874:
	global_load_dword v2, v[0:1], off
	s_waitcnt vmcnt(0)
	v_cvt_f32_f16_e32 v2, v2
	v_cvt_f64_f32_e32 v[2:3], v2
.LBB248_875:
	s_cbranch_execnz .LBB248_886
.LBB248_876:
	s_sext_i32_i16 s18, s42
	s_cmp_lt_i32 s18, 6
	s_cbranch_scc1 .LBB248_879
; %bb.877:
	s_cmp_gt_i32 s18, 6
	s_cbranch_scc0 .LBB248_880
; %bb.878:
	global_load_dwordx2 v[2:3], v[0:1], off
	s_mov_b64 s[18:19], 0
	s_branch .LBB248_881
.LBB248_879:
	s_mov_b64 s[18:19], -1
                                        ; implicit-def: $vgpr2_vgpr3
	s_branch .LBB248_884
.LBB248_880:
	s_mov_b64 s[18:19], -1
                                        ; implicit-def: $vgpr2_vgpr3
.LBB248_881:
	s_andn2_b64 vcc, exec, s[18:19]
	s_cbranch_vccnz .LBB248_883
; %bb.882:
	global_load_dword v2, v[0:1], off
	s_waitcnt vmcnt(0)
	v_cvt_f64_f32_e32 v[2:3], v2
.LBB248_883:
	s_mov_b64 s[18:19], 0
.LBB248_884:
	s_andn2_b64 vcc, exec, s[18:19]
	s_cbranch_vccnz .LBB248_886
; %bb.885:
	global_load_ushort v2, v[0:1], off
	s_waitcnt vmcnt(0)
	v_cvt_f32_f16_e32 v2, v2
	v_cvt_f64_f32_e32 v[2:3], v2
.LBB248_886:
	s_cbranch_execnz .LBB248_905
.LBB248_887:
	s_sext_i32_i16 s18, s42
	s_cmp_lt_i32 s18, 2
	s_cbranch_scc1 .LBB248_891
; %bb.888:
	s_cmp_lt_i32 s18, 3
	s_cbranch_scc1 .LBB248_892
; %bb.889:
	s_cmp_gt_i32 s18, 3
	s_cbranch_scc0 .LBB248_893
; %bb.890:
	global_load_dwordx2 v[2:3], v[0:1], off
	s_mov_b64 s[18:19], 0
	s_waitcnt vmcnt(0)
	v_cvt_f64_i32_e32 v[4:5], v3
	v_cvt_f64_u32_e32 v[2:3], v2
	v_ldexp_f64 v[4:5], v[4:5], 32
	v_add_f64 v[2:3], v[4:5], v[2:3]
	s_branch .LBB248_894
.LBB248_891:
                                        ; implicit-def: $vgpr2_vgpr3
	s_branch .LBB248_900
.LBB248_892:
	s_mov_b64 s[18:19], -1
                                        ; implicit-def: $vgpr2_vgpr3
	s_branch .LBB248_897
.LBB248_893:
	s_mov_b64 s[18:19], -1
                                        ; implicit-def: $vgpr2_vgpr3
.LBB248_894:
	s_andn2_b64 vcc, exec, s[18:19]
	s_cbranch_vccnz .LBB248_896
; %bb.895:
	global_load_dword v2, v[0:1], off
	s_waitcnt vmcnt(0)
	v_cvt_f64_i32_e32 v[2:3], v2
.LBB248_896:
	s_mov_b64 s[18:19], 0
.LBB248_897:
	s_andn2_b64 vcc, exec, s[18:19]
	s_cbranch_vccnz .LBB248_899
; %bb.898:
	global_load_sshort v2, v[0:1], off
	s_waitcnt vmcnt(0)
	v_cvt_f64_i32_e32 v[2:3], v2
.LBB248_899:
	s_cbranch_execnz .LBB248_905
.LBB248_900:
	s_sext_i32_i16 s18, s42
	s_cmp_gt_i32 s18, 0
	s_cbranch_scc0 .LBB248_902
; %bb.901:
	global_load_sbyte v2, v[0:1], off
	s_mov_b64 s[18:19], 0
	s_waitcnt vmcnt(0)
	v_cvt_f64_i32_e32 v[2:3], v2
	s_branch .LBB248_903
.LBB248_902:
	s_mov_b64 s[18:19], -1
                                        ; implicit-def: $vgpr2_vgpr3
.LBB248_903:
	s_andn2_b64 vcc, exec, s[18:19]
	s_cbranch_vccnz .LBB248_905
; %bb.904:
	global_load_ubyte v0, v[0:1], off
	s_waitcnt vmcnt(0)
	v_cvt_f64_u32_e32 v[2:3], v0
.LBB248_905:
	s_or_b64 s[0:1], s[0:1], exec
.LBB248_906:
	s_or_b64 exec, exec, s[14:15]
	s_mov_b64 s[20:21], 0
	s_mov_b64 s[18:19], 0
                                        ; implicit-def: $sgpr26
                                        ; implicit-def: $vgpr4_vgpr5
                                        ; implicit-def: $vgpr0_vgpr1
	s_and_saveexec_b64 s[14:15], s[0:1]
	s_cbranch_execz .LBB248_981
; %bb.907:
	s_mov_b32 s0, 0
	s_brev_b32 s1, 8
	v_mov_b32_e32 v0, 0x100
	s_waitcnt vmcnt(0)
	v_cmp_gt_f64_e32 vcc, s[0:1], v[2:3]
	s_and_b32 s26, s33, 0xff
	s_cmp_lt_i32 s26, 11
	v_cndmask_b32_e32 v0, 0, v0, vcc
	v_ldexp_f64 v[0:1], v[2:3], v0
	v_rsq_f64_e32 v[4:5], v[0:1]
	s_nop 0
	v_mul_f64 v[6:7], v[0:1], v[4:5]
	v_mul_f64 v[4:5], v[4:5], 0.5
	v_fma_f64 v[8:9], -v[4:5], v[6:7], 0.5
	v_fmac_f64_e32 v[6:7], v[6:7], v[8:9]
	v_fma_f64 v[12:13], -v[6:7], v[6:7], v[0:1]
	v_fmac_f64_e32 v[4:5], v[4:5], v[8:9]
	v_fmac_f64_e32 v[6:7], v[12:13], v[4:5]
	v_fma_f64 v[8:9], -v[6:7], v[6:7], v[0:1]
	v_fmac_f64_e32 v[6:7], v[8:9], v[4:5]
	v_mov_b32_e32 v4, 0xffffff80
	v_cndmask_b32_e32 v4, 0, v4, vcc
	v_ldexp_f64 v[4:5], v[6:7], v4
	v_mov_b32_e32 v6, 0x260
	v_cmp_class_f64_e32 vcc, v[0:1], v6
	s_nop 1
	v_cndmask_b32_e32 v0, v4, v0, vcc
	v_mul_lo_u32 v4, v10, s8
	v_cndmask_b32_e32 v1, v5, v1, vcc
	v_ashrrev_i32_e32 v5, 31, v4
	v_lshl_add_u64 v[4:5], s[4:5], 0, v[4:5]
	s_cbranch_scc1 .LBB248_984
; %bb.908:
	s_and_b32 s27, 0xffff, s26
	s_mov_b64 s[20:21], -1
	s_cmp_gt_i32 s27, 25
	s_mov_b64 s[0:1], s[12:13]
	s_cbranch_scc0 .LBB248_941
; %bb.909:
	s_mov_b64 s[18:19], -1
	s_cmp_gt_i32 s27, 28
	s_mov_b64 s[0:1], s[12:13]
	s_cbranch_scc0 .LBB248_925
; %bb.910:
	s_cmp_gt_i32 s27, 43
	s_mov_b64 s[0:1], s[12:13]
	s_cbranch_scc0 .LBB248_921
; %bb.911:
	s_cmp_gt_i32 s27, 45
	s_mov_b64 s[0:1], s[12:13]
	s_cbranch_scc0 .LBB248_915
; %bb.912:
	s_cmp_eq_u32 s27, 46
	s_mov_b64 s[0:1], -1
	s_cbranch_scc0 .LBB248_914
; %bb.913:
	v_cvt_f32_f64_e32 v6, v[0:1]
	v_bfe_u32 v7, v6, 16, 1
	s_movk_i32 s0, 0x7fff
	v_add3_u32 v7, v6, v7, s0
	v_cmp_o_f32_e32 vcc, v6, v6
	v_mov_b32_e32 v6, 0x7fc0
	s_mov_b64 s[0:1], 0
	v_cndmask_b32_sdwa v6, v6, v7, vcc dst_sel:DWORD dst_unused:UNUSED_PAD src0_sel:DWORD src1_sel:WORD_1
	global_store_dword v[4:5], v6, off
.LBB248_914:
	s_mov_b64 s[18:19], 0
.LBB248_915:
	s_and_b64 vcc, exec, s[18:19]
	s_cbranch_vccz .LBB248_920
; %bb.916:
	s_cmp_eq_u32 s27, 44
	s_mov_b64 s[0:1], -1
	s_cbranch_scc0 .LBB248_920
; %bb.917:
	v_cvt_f32_f64_e32 v6, v[0:1]
	v_bfe_u32 v7, v6, 23, 8
	s_movk_i32 s0, 0xff
	v_cmp_ne_u32_e32 vcc, s0, v7
	v_mov_b32_e32 v8, 0xff
	s_and_saveexec_b64 s[18:19], vcc
; %bb.918:
	s_mov_b32 s0, 0x3fffff
	v_lshrrev_b32_e32 v8, 23, v6
	v_and_b32_e32 v9, 0x400000, v6
	v_and_or_b32 v6, v6, s0, v7
	v_cmp_ne_u32_e32 vcc, 0, v9
	v_cmp_ne_u32_e64 s[0:1], 0, v6
	s_and_b64 s[0:1], vcc, s[0:1]
	s_nop 0
	v_cndmask_b32_e64 v6, 0, 1, s[0:1]
	v_add_u32_e32 v8, v8, v6
; %bb.919:
	s_or_b64 exec, exec, s[18:19]
	s_mov_b64 s[0:1], 0
	global_store_byte v[4:5], v8, off
.LBB248_920:
	s_mov_b64 s[18:19], 0
.LBB248_921:
	s_and_b64 vcc, exec, s[18:19]
	s_cbranch_vccz .LBB248_924
; %bb.922:
	s_cmp_eq_u32 s27, 29
	s_mov_b64 s[0:1], -1
	s_cbranch_scc0 .LBB248_924
; %bb.923:
	v_trunc_f64_e32 v[6:7], v[0:1]
	s_movk_i32 s0, 0xffe0
	v_ldexp_f64 v[8:9], v[6:7], s0
	v_floor_f64_e32 v[8:9], v[8:9]
	v_fmac_f64_e32 v[6:7], 0xc1f00000, v[8:9]
	v_cvt_u32_f64_e32 v11, v[8:9]
	v_cvt_u32_f64_e32 v10, v[6:7]
	global_store_dwordx2 v[4:5], v[10:11], off
	s_mov_b64 s[0:1], 0
.LBB248_924:
	s_mov_b64 s[18:19], 0
.LBB248_925:
	s_and_b64 vcc, exec, s[18:19]
	s_cbranch_vccz .LBB248_940
; %bb.926:
	s_cmp_lt_i32 s27, 27
	s_mov_b64 s[18:19], -1
	s_cbranch_scc1 .LBB248_932
; %bb.927:
	s_cmp_gt_i32 s27, 27
	v_cvt_u32_f64_e32 v6, v[0:1]
	s_cbranch_scc0 .LBB248_929
; %bb.928:
	s_mov_b64 s[18:19], 0
	global_store_dword v[4:5], v6, off
.LBB248_929:
	s_andn2_b64 vcc, exec, s[18:19]
	s_cbranch_vccnz .LBB248_931
; %bb.930:
	global_store_short v[4:5], v6, off
.LBB248_931:
	s_mov_b64 s[18:19], 0
.LBB248_932:
	s_andn2_b64 vcc, exec, s[18:19]
	s_cbranch_vccnz .LBB248_940
; %bb.933:
	v_cvt_f32_f64_e32 v6, v[0:1]
	v_and_b32_e32 v7, 0x7fffffff, v6
	s_mov_b32 s18, 0x43800000
	v_cmp_gt_u32_e32 vcc, s18, v7
	v_mov_b32_e32 v8, 0x80
	s_and_saveexec_b64 s[18:19], vcc
	s_cbranch_execz .LBB248_939
; %bb.934:
	s_mov_b32 s20, 0x3bffffff
	v_cmp_lt_u32_e32 vcc, s20, v7
	s_mov_b64 s[20:21], 0
                                        ; implicit-def: $vgpr7
	s_and_saveexec_b64 s[22:23], vcc
	s_xor_b64 s[22:23], exec, s[22:23]
	s_cbranch_execz .LBB248_1041
; %bb.935:
	v_bfe_u32 v7, v6, 20, 1
	s_mov_b32 s24, 0x487ffff
	v_add3_u32 v7, v6, v7, s24
	s_mov_b64 s[20:21], exec
	v_lshrrev_b32_e32 v7, 20, v7
	s_andn2_saveexec_b64 s[22:23], s[22:23]
	s_cbranch_execnz .LBB248_1042
.LBB248_936:
	s_or_b64 exec, exec, s[22:23]
	v_mov_b32_e32 v8, 0
	s_and_saveexec_b64 s[22:23], s[20:21]
.LBB248_937:
	v_lshrrev_b32_e32 v6, 24, v6
	s_movk_i32 s20, 0x80
	v_and_or_b32 v8, v6, s20, v7
.LBB248_938:
	s_or_b64 exec, exec, s[22:23]
.LBB248_939:
	s_or_b64 exec, exec, s[18:19]
	global_store_byte v[4:5], v8, off
.LBB248_940:
	s_mov_b64 s[20:21], 0
.LBB248_941:
	s_mov_b64 s[18:19], 0
	s_and_b64 vcc, exec, s[20:21]
	s_cbranch_vccz .LBB248_985
; %bb.942:
	s_cmp_gt_i32 s27, 22
	s_mov_b64 s[20:21], -1
	s_cbranch_scc0 .LBB248_974
; %bb.943:
	s_cmp_lt_i32 s27, 24
	s_cbranch_scc1 .LBB248_963
; %bb.944:
	s_cmp_gt_i32 s27, 24
	s_cbranch_scc0 .LBB248_952
; %bb.945:
	v_cvt_f32_f64_e32 v6, v[0:1]
	v_and_b32_e32 v7, 0x7fffffff, v6
	s_mov_b32 s20, 0x47800000
	v_cmp_gt_u32_e32 vcc, s20, v7
	v_mov_b32_e32 v8, 0x80
	s_and_saveexec_b64 s[20:21], vcc
	s_cbranch_execz .LBB248_951
; %bb.946:
	s_mov_b32 s22, 0x37ffffff
	v_cmp_lt_u32_e32 vcc, s22, v7
	s_mov_b64 s[22:23], 0
                                        ; implicit-def: $vgpr7
	s_and_saveexec_b64 s[24:25], vcc
	s_xor_b64 s[24:25], exec, s[24:25]
	s_cbranch_execz .LBB248_1166
; %bb.947:
	v_bfe_u32 v7, v6, 21, 1
	s_mov_b32 s28, 0x88fffff
	v_add3_u32 v7, v6, v7, s28
	s_mov_b64 s[22:23], exec
	v_lshrrev_b32_e32 v7, 21, v7
	s_andn2_saveexec_b64 s[24:25], s[24:25]
	s_cbranch_execnz .LBB248_1167
.LBB248_948:
	s_or_b64 exec, exec, s[24:25]
	v_mov_b32_e32 v8, 0
	s_and_saveexec_b64 s[24:25], s[22:23]
.LBB248_949:
	v_lshrrev_b32_e32 v6, 24, v6
	s_movk_i32 s22, 0x80
	v_and_or_b32 v8, v6, s22, v7
.LBB248_950:
	s_or_b64 exec, exec, s[24:25]
.LBB248_951:
	s_or_b64 exec, exec, s[20:21]
	s_mov_b64 s[20:21], 0
	global_store_byte v[4:5], v8, off
.LBB248_952:
	s_and_b64 vcc, exec, s[20:21]
	s_cbranch_vccz .LBB248_962
; %bb.953:
	v_cvt_f32_f64_e32 v6, v[0:1]
	v_and_b32_e32 v8, 0x7fffffff, v6
	s_mov_b32 s20, 0x43f00000
	v_cmp_gt_u32_e32 vcc, s20, v8
                                        ; implicit-def: $vgpr7
	s_and_saveexec_b64 s[20:21], vcc
	s_xor_b64 s[20:21], exec, s[20:21]
	s_cbranch_execz .LBB248_959
; %bb.954:
	s_mov_b32 s22, 0x3c7fffff
	v_cmp_lt_u32_e32 vcc, s22, v8
                                        ; implicit-def: $vgpr7
	s_and_saveexec_b64 s[22:23], vcc
	s_xor_b64 s[22:23], exec, s[22:23]
; %bb.955:
	v_bfe_u32 v7, v6, 20, 1
	s_mov_b32 s24, 0x407ffff
	v_add3_u32 v7, v6, v7, s24
	v_lshrrev_b32_e32 v8, 20, v7
	v_and_b32_e32 v7, 0xff00000, v7
	s_mov_b32 s24, 0x7f00000
	v_mov_b32_e32 v9, 0x7e
	v_cmp_ne_u32_e32 vcc, s24, v7
	s_nop 1
	v_cndmask_b32_e32 v7, v9, v8, vcc
; %bb.956:
	s_andn2_saveexec_b64 s[22:23], s[22:23]
; %bb.957:
	s_mov_b32 s24, 0x46800000
	v_add_f32_e64 v7, |v6|, s24
; %bb.958:
	s_or_b64 exec, exec, s[22:23]
                                        ; implicit-def: $vgpr8
.LBB248_959:
	s_andn2_saveexec_b64 s[20:21], s[20:21]
; %bb.960:
	s_mov_b32 s22, 0x7f800000
	v_mov_b32_e32 v7, 0x7e
	v_mov_b32_e32 v9, 0x7f
	v_cmp_lt_u32_e32 vcc, s22, v8
	s_nop 1
	v_cndmask_b32_e32 v7, v7, v9, vcc
; %bb.961:
	s_or_b64 exec, exec, s[20:21]
	v_lshrrev_b32_e32 v6, 24, v6
	s_movk_i32 s20, 0x80
	v_and_or_b32 v6, v6, s20, v7
	global_store_byte v[4:5], v6, off
.LBB248_962:
	s_mov_b64 s[20:21], 0
.LBB248_963:
	s_andn2_b64 vcc, exec, s[20:21]
	s_cbranch_vccnz .LBB248_973
; %bb.964:
	v_cvt_f32_f64_e32 v6, v[0:1]
	v_and_b32_e32 v8, 0x7fffffff, v6
	s_mov_b32 s20, 0x47800000
	v_cmp_gt_u32_e32 vcc, s20, v8
                                        ; implicit-def: $vgpr7
	s_and_saveexec_b64 s[20:21], vcc
	s_xor_b64 s[20:21], exec, s[20:21]
	s_cbranch_execz .LBB248_970
; %bb.965:
	s_mov_b32 s22, 0x387fffff
	v_cmp_lt_u32_e32 vcc, s22, v8
                                        ; implicit-def: $vgpr7
	s_and_saveexec_b64 s[22:23], vcc
	s_xor_b64 s[22:23], exec, s[22:23]
; %bb.966:
	v_bfe_u32 v7, v6, 21, 1
	s_mov_b32 s24, 0x80fffff
	v_add3_u32 v7, v6, v7, s24
	v_lshrrev_b32_e32 v7, 21, v7
; %bb.967:
	s_andn2_saveexec_b64 s[22:23], s[22:23]
; %bb.968:
	s_mov_b32 s24, 0x43000000
	v_add_f32_e64 v7, |v6|, s24
; %bb.969:
	s_or_b64 exec, exec, s[22:23]
                                        ; implicit-def: $vgpr8
.LBB248_970:
	s_andn2_saveexec_b64 s[20:21], s[20:21]
; %bb.971:
	s_mov_b32 s22, 0x7f800000
	v_mov_b32_e32 v7, 0x7c
	v_mov_b32_e32 v9, 0x7f
	v_cmp_lt_u32_e32 vcc, s22, v8
	s_nop 1
	v_cndmask_b32_e32 v7, v7, v9, vcc
; %bb.972:
	s_or_b64 exec, exec, s[20:21]
	v_lshrrev_b32_e32 v6, 24, v6
	s_movk_i32 s20, 0x80
	v_and_or_b32 v6, v6, s20, v7
	global_store_byte v[4:5], v6, off
.LBB248_973:
	s_mov_b64 s[20:21], 0
.LBB248_974:
	s_andn2_b64 vcc, exec, s[20:21]
	s_mov_b64 s[20:21], 0
	s_cbranch_vccnz .LBB248_986
; %bb.975:
	s_cmp_gt_i32 s27, 14
	s_mov_b64 s[22:23], -1
	s_cbranch_scc0 .LBB248_979
; %bb.976:
	s_cmp_eq_u32 s27, 15
	s_mov_b64 s[0:1], -1
	s_cbranch_scc0 .LBB248_978
; %bb.977:
	v_cvt_f32_f64_e32 v6, v[0:1]
	v_bfe_u32 v7, v6, 16, 1
	s_movk_i32 s0, 0x7fff
	v_add3_u32 v7, v6, v7, s0
	v_cmp_o_f32_e32 vcc, v6, v6
	v_mov_b32_e32 v6, 0x7fc0
	s_mov_b64 s[0:1], 0
	v_cndmask_b32_sdwa v6, v6, v7, vcc dst_sel:DWORD dst_unused:UNUSED_PAD src0_sel:DWORD src1_sel:WORD_1
	global_store_short v[4:5], v6, off
.LBB248_978:
	s_mov_b64 s[22:23], 0
.LBB248_979:
	s_and_b64 vcc, exec, s[22:23]
	s_cbranch_vccz .LBB248_986
; %bb.980:
	s_cmp_lg_u32 s27, 11
	s_cselect_b64 s[22:23], -1, 0
	s_andn2_b64 s[0:1], s[0:1], exec
	s_and_b64 s[22:23], s[22:23], exec
	s_mov_b64 s[20:21], -1
	s_or_b64 s[0:1], s[0:1], s[22:23]
	s_branch .LBB248_986
.LBB248_981:
	s_or_b64 exec, exec, s[14:15]
	s_and_saveexec_b64 s[0:1], s[12:13]
	s_cbranch_execnz .LBB248_987
.LBB248_982:
	s_or_b64 exec, exec, s[0:1]
	s_and_saveexec_b64 s[0:1], s[20:21]
	s_xor_b64 s[0:1], exec, s[0:1]
	s_cbranch_execz .LBB248_988
.LBB248_983:
	s_waitcnt vmcnt(0)
	v_cmp_neq_f64_e32 vcc, 0, v[2:3]
	s_nop 1
	v_cndmask_b32_e64 v2, 0, 1, vcc
	global_store_byte v[4:5], v2, off
	s_or_b64 exec, exec, s[0:1]
	s_and_saveexec_b64 s[0:1], s[18:19]
	s_xor_b64 s[0:1], exec, s[0:1]
	s_cbranch_execz .LBB248_1026
	s_branch .LBB248_989
.LBB248_984:
	s_mov_b64 s[18:19], -1
	s_mov_b64 s[0:1], s[12:13]
	s_branch .LBB248_986
.LBB248_985:
	s_mov_b64 s[20:21], 0
.LBB248_986:
	s_andn2_b64 s[12:13], s[12:13], exec
	s_and_b64 s[0:1], s[0:1], exec
	s_and_b64 s[18:19], s[18:19], exec
	s_and_b64 s[20:21], s[20:21], exec
	s_or_b64 s[12:13], s[12:13], s[0:1]
	s_or_b64 exec, exec, s[14:15]
	s_and_saveexec_b64 s[0:1], s[12:13]
	s_cbranch_execz .LBB248_982
.LBB248_987:
	s_or_b64 s[16:17], s[16:17], exec
	s_andn2_b64 s[20:21], s[20:21], exec
	s_trap 2
	s_or_b64 exec, exec, s[0:1]
	s_and_saveexec_b64 s[0:1], s[20:21]
	s_xor_b64 s[0:1], exec, s[0:1]
	s_cbranch_execnz .LBB248_983
.LBB248_988:
	s_or_b64 exec, exec, s[0:1]
	s_and_saveexec_b64 s[0:1], s[18:19]
	s_xor_b64 s[0:1], exec, s[0:1]
	s_cbranch_execz .LBB248_1026
.LBB248_989:
	s_sext_i32_i16 s14, s26
	s_cmp_lt_i32 s14, 5
	s_mov_b64 s[12:13], -1
	s_cbranch_scc1 .LBB248_1010
; %bb.990:
	s_cmp_lt_i32 s14, 8
	s_cbranch_scc1 .LBB248_1000
; %bb.991:
	s_cmp_lt_i32 s14, 9
	s_cbranch_scc1 .LBB248_997
; %bb.992:
	s_cmp_gt_i32 s14, 9
	s_cbranch_scc0 .LBB248_994
; %bb.993:
	s_waitcnt vmcnt(0)
	v_mov_b32_e32 v2, 0
	v_mov_b32_e32 v3, v2
	s_mov_b64 s[12:13], 0
	global_store_dwordx4 v[4:5], v[0:3], off
.LBB248_994:
	s_andn2_b64 vcc, exec, s[12:13]
	s_cbranch_vccnz .LBB248_996
; %bb.995:
	s_waitcnt vmcnt(0)
	v_cvt_f32_f64_e32 v2, v[0:1]
	v_mov_b32_e32 v3, 0
	global_store_dwordx2 v[4:5], v[2:3], off
.LBB248_996:
	s_mov_b64 s[12:13], 0
.LBB248_997:
	s_andn2_b64 vcc, exec, s[12:13]
	s_cbranch_vccnz .LBB248_999
; %bb.998:
	s_movk_i32 s12, 0x1ff
	s_waitcnt vmcnt(0)
	v_and_or_b32 v2, v1, s12, v0
	v_cmp_ne_u32_e32 vcc, 0, v2
	v_lshrrev_b32_e32 v3, 8, v1
	s_movk_i32 s12, 0xffe
	v_cndmask_b32_e64 v2, 0, 1, vcc
	v_bfe_u32 v6, v1, 20, 11
	v_and_or_b32 v2, v3, s12, v2
	v_sub_u32_e32 v7, 0x3f1, v6
	v_or_b32_e32 v3, 0x1000, v2
	v_med3_i32 v7, v7, 0, 13
	v_lshrrev_b32_e32 v8, v7, v3
	v_lshlrev_b32_e32 v7, v7, v8
	v_cmp_ne_u32_e32 vcc, v7, v3
	v_add_u32_e32 v6, 0xfffffc10, v6
	v_lshl_or_b32 v7, v6, 12, v2
	v_cndmask_b32_e64 v3, 0, 1, vcc
	v_or_b32_e32 v3, v8, v3
	v_cmp_gt_i32_e32 vcc, 1, v6
	s_movk_i32 s12, 0x40f
	s_nop 0
	v_cndmask_b32_e32 v3, v7, v3, vcc
	v_and_b32_e32 v7, 7, v3
	v_cmp_lt_i32_e32 vcc, 5, v7
	v_lshrrev_b32_e32 v3, 2, v3
	s_nop 0
	v_cndmask_b32_e64 v8, 0, 1, vcc
	v_cmp_eq_u32_e32 vcc, 3, v7
	s_nop 1
	v_cndmask_b32_e64 v7, 0, 1, vcc
	v_or_b32_e32 v7, v7, v8
	v_add_u32_e32 v3, v3, v7
	v_mov_b32_e32 v7, 0x7c00
	v_cmp_gt_i32_e32 vcc, 31, v6
	v_mov_b32_e32 v8, 0x7e00
	s_nop 0
	v_cndmask_b32_e32 v3, v7, v3, vcc
	v_cmp_ne_u32_e32 vcc, 0, v2
	s_nop 1
	v_cndmask_b32_e32 v2, v7, v8, vcc
	v_cmp_eq_u32_e32 vcc, s12, v6
	s_mov_b32 s12, 0x8000
	s_nop 0
	v_cndmask_b32_e32 v2, v3, v2, vcc
	v_and_b32_sdwa v3, v1, s12 dst_sel:DWORD dst_unused:UNUSED_PAD src0_sel:WORD_1 src1_sel:DWORD
	s_mov_b32 s12, 0xffff
	v_bitop3_b32 v2, v3, s12, v2 bitop3:0xc8
	global_store_dword v[4:5], v2, off
.LBB248_999:
	s_mov_b64 s[12:13], 0
.LBB248_1000:
	s_andn2_b64 vcc, exec, s[12:13]
	s_cbranch_vccnz .LBB248_1009
; %bb.1001:
	s_sext_i32_i16 s14, s26
	s_cmp_lt_i32 s14, 6
	s_mov_b64 s[12:13], -1
	s_cbranch_scc1 .LBB248_1007
; %bb.1002:
	s_cmp_gt_i32 s14, 6
	s_cbranch_scc0 .LBB248_1004
; %bb.1003:
	s_mov_b64 s[12:13], 0
	global_store_dwordx2 v[4:5], v[0:1], off
.LBB248_1004:
	s_andn2_b64 vcc, exec, s[12:13]
	s_cbranch_vccnz .LBB248_1006
; %bb.1005:
	s_waitcnt vmcnt(0)
	v_cvt_f32_f64_e32 v2, v[0:1]
	global_store_dword v[4:5], v2, off
.LBB248_1006:
	s_mov_b64 s[12:13], 0
.LBB248_1007:
	s_andn2_b64 vcc, exec, s[12:13]
	s_cbranch_vccnz .LBB248_1009
; %bb.1008:
	s_movk_i32 s12, 0x1ff
	s_waitcnt vmcnt(0)
	v_and_or_b32 v2, v1, s12, v0
	v_cmp_ne_u32_e32 vcc, 0, v2
	v_lshrrev_b32_e32 v3, 8, v1
	s_movk_i32 s12, 0xffe
	v_cndmask_b32_e64 v2, 0, 1, vcc
	v_bfe_u32 v6, v1, 20, 11
	v_and_or_b32 v2, v3, s12, v2
	v_sub_u32_e32 v7, 0x3f1, v6
	v_or_b32_e32 v3, 0x1000, v2
	v_med3_i32 v7, v7, 0, 13
	v_lshrrev_b32_e32 v8, v7, v3
	v_lshlrev_b32_e32 v7, v7, v8
	v_cmp_ne_u32_e32 vcc, v7, v3
	v_add_u32_e32 v6, 0xfffffc10, v6
	v_lshl_or_b32 v7, v6, 12, v2
	v_cndmask_b32_e64 v3, 0, 1, vcc
	v_or_b32_e32 v3, v8, v3
	v_cmp_gt_i32_e32 vcc, 1, v6
	s_movk_i32 s12, 0x40f
	s_nop 0
	v_cndmask_b32_e32 v3, v7, v3, vcc
	v_and_b32_e32 v7, 7, v3
	v_cmp_lt_i32_e32 vcc, 5, v7
	v_lshrrev_b32_e32 v3, 2, v3
	s_nop 0
	v_cndmask_b32_e64 v8, 0, 1, vcc
	v_cmp_eq_u32_e32 vcc, 3, v7
	s_nop 1
	v_cndmask_b32_e64 v7, 0, 1, vcc
	v_or_b32_e32 v7, v7, v8
	v_add_u32_e32 v3, v3, v7
	v_mov_b32_e32 v7, 0x7c00
	v_cmp_gt_i32_e32 vcc, 31, v6
	v_mov_b32_e32 v8, 0x7e00
	s_nop 0
	v_cndmask_b32_e32 v3, v7, v3, vcc
	v_cmp_ne_u32_e32 vcc, 0, v2
	s_nop 1
	v_cndmask_b32_e32 v2, v7, v8, vcc
	v_cmp_eq_u32_e32 vcc, s12, v6
	s_mov_b32 s12, 0x8000
	s_nop 0
	v_cndmask_b32_e32 v2, v3, v2, vcc
	v_lshrrev_b32_e32 v3, 16, v1
	v_and_or_b32 v2, v3, s12, v2
	global_store_short v[4:5], v2, off
.LBB248_1009:
	s_mov_b64 s[12:13], 0
.LBB248_1010:
	s_andn2_b64 vcc, exec, s[12:13]
	s_cbranch_vccnz .LBB248_1026
; %bb.1011:
	s_sext_i32_i16 s14, s26
	s_cmp_lt_i32 s14, 2
	s_mov_b64 s[12:13], -1
	s_cbranch_scc1 .LBB248_1021
; %bb.1012:
	s_cmp_lt_i32 s14, 3
	s_cbranch_scc1 .LBB248_1018
; %bb.1013:
	s_cmp_gt_i32 s14, 3
	s_cbranch_scc0 .LBB248_1015
; %bb.1014:
	s_waitcnt vmcnt(0)
	v_trunc_f64_e32 v[2:3], v[0:1]
	s_movk_i32 s12, 0xffe0
	v_ldexp_f64 v[6:7], v[2:3], s12
	v_floor_f64_e32 v[6:7], v[6:7]
	v_fmac_f64_e32 v[2:3], 0xc1f00000, v[6:7]
	v_cvt_i32_f64_e32 v9, v[6:7]
	v_cvt_u32_f64_e32 v8, v[2:3]
	s_mov_b64 s[12:13], 0
	global_store_dwordx2 v[4:5], v[8:9], off
.LBB248_1015:
	s_andn2_b64 vcc, exec, s[12:13]
	s_cbranch_vccnz .LBB248_1017
; %bb.1016:
	s_waitcnt vmcnt(0)
	v_cvt_i32_f64_e32 v2, v[0:1]
	global_store_dword v[4:5], v2, off
.LBB248_1017:
	s_mov_b64 s[12:13], 0
.LBB248_1018:
	s_andn2_b64 vcc, exec, s[12:13]
	s_cbranch_vccnz .LBB248_1020
; %bb.1019:
	s_waitcnt vmcnt(0)
	v_cvt_i32_f64_e32 v2, v[0:1]
	global_store_short v[4:5], v2, off
.LBB248_1020:
	s_mov_b64 s[12:13], 0
.LBB248_1021:
	s_andn2_b64 vcc, exec, s[12:13]
	s_cbranch_vccnz .LBB248_1026
; %bb.1022:
	s_sext_i32_i16 s12, s26
	s_cmp_gt_i32 s12, 0
	s_mov_b64 s[12:13], -1
	s_cbranch_scc0 .LBB248_1024
; %bb.1023:
	s_waitcnt vmcnt(0)
	v_cvt_i32_f64_e32 v2, v[0:1]
	s_mov_b64 s[12:13], 0
	global_store_byte v[4:5], v2, off
.LBB248_1024:
	s_andn2_b64 vcc, exec, s[12:13]
	s_cbranch_vccnz .LBB248_1026
; %bb.1025:
	v_trunc_f64_e32 v[0:1], v[0:1]
	s_movk_i32 s12, 0xffe0
	s_waitcnt vmcnt(0)
	v_ldexp_f64 v[2:3], v[0:1], s12
	v_floor_f64_e32 v[2:3], v[2:3]
	v_fmac_f64_e32 v[0:1], 0xc1f00000, v[2:3]
	v_cvt_u32_f64_e32 v0, v[0:1]
	global_store_byte v[4:5], v0, off
.LBB248_1026:
	s_or_b64 exec, exec, s[0:1]
	s_and_b64 s[12:13], s[16:17], exec
                                        ; implicit-def: $vgpr10
.LBB248_1027:
	s_or_saveexec_b64 s[2:3], s[2:3]
	s_mov_b64 s[0:1], 0
                                        ; implicit-def: $sgpr20
                                        ; implicit-def: $vgpr6_vgpr7
                                        ; implicit-def: $vgpr0_vgpr1
                                        ; implicit-def: $vgpr4_vgpr5
	s_xor_b64 exec, exec, s[2:3]
	s_cbranch_execz .LBB248_1425
; %bb.1028:
	v_mul_lo_u32 v0, s9, v10
	v_ashrrev_i32_e32 v1, 31, v0
	s_and_b32 s22, 0xffff, s42
	s_cmp_lt_i32 s22, 11
	v_lshl_add_u64 v[4:5], s[6:7], 0, v[0:1]
	s_cbranch_scc1 .LBB248_1035
; %bb.1029:
	s_cmp_gt_i32 s22, 25
	s_cbranch_scc0 .LBB248_1037
; %bb.1030:
	s_cmp_gt_i32 s22, 28
	s_cbranch_scc0 .LBB248_1038
	;; [unrolled: 3-line block ×4, first 2 shown]
; %bb.1033:
	s_cmp_eq_u32 s22, 46
	s_mov_b64 s[14:15], 0
	s_cbranch_scc0 .LBB248_1043
; %bb.1034:
	global_load_dword v1, v[4:5], off
	s_mov_b64 s[16:17], -1
	s_waitcnt vmcnt(0)
	v_lshlrev_b32_e32 v1, 16, v1
	v_cvt_f64_f32_e32 v[2:3], v1
	s_branch .LBB248_1044
.LBB248_1035:
	s_mov_b64 s[16:17], 0
                                        ; implicit-def: $vgpr2_vgpr3
	s_mov_b64 s[14:15], s[12:13]
	s_cbranch_execnz .LBB248_1107
.LBB248_1036:
	s_andn2_b64 vcc, exec, s[16:17]
	s_cbranch_vccz .LBB248_1152
	s_branch .LBB248_1422
.LBB248_1037:
	s_mov_b64 s[16:17], 0
                                        ; implicit-def: $vgpr2_vgpr3
	s_cbranch_execnz .LBB248_1074
	s_branch .LBB248_1103
.LBB248_1038:
	s_mov_b64 s[14:15], -1
	s_mov_b64 s[16:17], 0
                                        ; implicit-def: $vgpr2_vgpr3
	s_branch .LBB248_1053
.LBB248_1039:
	s_mov_b64 s[16:17], 0
                                        ; implicit-def: $vgpr2_vgpr3
	s_cbranch_execnz .LBB248_1049
	s_branch .LBB248_1052
.LBB248_1040:
	s_mov_b64 s[14:15], -1
	s_mov_b64 s[16:17], 0
                                        ; implicit-def: $vgpr2_vgpr3
	s_branch .LBB248_1044
.LBB248_1041:
	s_andn2_saveexec_b64 s[22:23], s[22:23]
	s_cbranch_execz .LBB248_936
.LBB248_1042:
	s_mov_b32 s24, 0x46000000
	v_add_f32_e64 v7, |v6|, s24
	v_and_b32_e32 v7, 0xff, v7
	v_cmp_ne_u32_e32 vcc, 0, v7
	s_andn2_b64 s[20:21], s[20:21], exec
	s_and_b64 s[24:25], vcc, exec
	s_or_b64 s[20:21], s[20:21], s[24:25]
	s_or_b64 exec, exec, s[22:23]
	v_mov_b32_e32 v8, 0
	s_and_saveexec_b64 s[22:23], s[20:21]
	s_cbranch_execnz .LBB248_937
	s_branch .LBB248_938
.LBB248_1043:
	s_mov_b64 s[0:1], -1
                                        ; implicit-def: $vgpr2_vgpr3
	s_mov_b64 s[16:17], 0
.LBB248_1044:
	s_and_b64 vcc, exec, s[14:15]
	s_cbranch_vccz .LBB248_1047
; %bb.1045:
	s_cmp_eq_u32 s22, 44
	s_cbranch_scc0 .LBB248_1048
; %bb.1046:
	global_load_ubyte v1, v[4:5], off
	s_movk_i32 s14, 0xff
	v_bfrev_b32_e32 v6, 4
	v_mov_b32_e32 v7, 0x7ff80000
	v_bfrev_b32_e32 v8, 28
	s_mov_b64 s[0:1], 0
	s_mov_b64 s[16:17], -1
	s_waitcnt vmcnt(0)
	v_lshlrev_b32_e32 v2, 23, v1
	v_cvt_f64_f32_e32 v[2:3], v2
	v_cmp_ne_u32_e32 vcc, s14, v1
	s_nop 1
	v_cndmask_b32_e32 v2, v6, v2, vcc
	v_cndmask_b32_e32 v3, v7, v3, vcc
	v_cmp_ne_u32_e32 vcc, 0, v1
	s_nop 1
	v_cndmask_b32_e32 v3, v8, v3, vcc
	v_cndmask_b32_e32 v2, 0, v2, vcc
.LBB248_1047:
	s_branch .LBB248_1052
.LBB248_1048:
	s_mov_b64 s[0:1], -1
                                        ; implicit-def: $vgpr2_vgpr3
	s_branch .LBB248_1052
.LBB248_1049:
	s_cmp_eq_u32 s22, 29
	s_cbranch_scc0 .LBB248_1051
; %bb.1050:
	global_load_dwordx2 v[2:3], v[4:5], off
	s_mov_b64 s[0:1], 0
	s_mov_b64 s[16:17], -1
	s_mov_b64 s[14:15], 0
	s_waitcnt vmcnt(0)
	v_cvt_f64_u32_e32 v[6:7], v3
	v_cvt_f64_u32_e32 v[2:3], v2
	v_ldexp_f64 v[6:7], v[6:7], 32
	v_add_f64 v[2:3], v[6:7], v[2:3]
	s_branch .LBB248_1053
.LBB248_1051:
	s_mov_b64 s[0:1], -1
                                        ; implicit-def: $vgpr2_vgpr3
.LBB248_1052:
	s_mov_b64 s[14:15], 0
.LBB248_1053:
	s_and_b64 vcc, exec, s[14:15]
	s_cbranch_vccz .LBB248_1073
; %bb.1054:
	s_cmp_lt_i32 s22, 27
	s_cbranch_scc1 .LBB248_1057
; %bb.1055:
	s_cmp_gt_i32 s22, 27
	s_cbranch_scc0 .LBB248_1058
; %bb.1056:
	global_load_dword v1, v[4:5], off
	s_mov_b64 s[14:15], 0
	s_waitcnt vmcnt(0)
	v_cvt_f64_u32_e32 v[2:3], v1
	s_branch .LBB248_1059
.LBB248_1057:
	s_mov_b64 s[14:15], -1
                                        ; implicit-def: $vgpr2_vgpr3
	s_branch .LBB248_1062
.LBB248_1058:
	s_mov_b64 s[14:15], -1
                                        ; implicit-def: $vgpr2_vgpr3
.LBB248_1059:
	s_andn2_b64 vcc, exec, s[14:15]
	s_cbranch_vccnz .LBB248_1061
; %bb.1060:
	global_load_ushort v1, v[4:5], off
	s_waitcnt vmcnt(0)
	v_cvt_f64_u32_e32 v[2:3], v1
.LBB248_1061:
	s_mov_b64 s[14:15], 0
.LBB248_1062:
	s_andn2_b64 vcc, exec, s[14:15]
	s_cbranch_vccnz .LBB248_1072
; %bb.1063:
	global_load_ubyte v1, v[4:5], off
	s_movk_i32 s14, 0x7f
	s_waitcnt vmcnt(0)
	v_cmp_lt_i16_e32 vcc, s14, v1
	s_mov_b64 s[14:15], 0
	s_and_saveexec_b64 s[16:17], vcc
	s_xor_b64 s[16:17], exec, s[16:17]
	s_cbranch_execz .LBB248_1067
; %bb.1064:
	s_movk_i32 s14, 0x80
	v_cmp_eq_u16_e32 vcc, s14, v1
	s_mov_b64 s[14:15], -1
	s_and_saveexec_b64 s[18:19], vcc
; %bb.1065:
	s_xor_b64 s[14:15], exec, -1
; %bb.1066:
	s_or_b64 exec, exec, s[18:19]
	s_and_b64 s[14:15], s[14:15], exec
.LBB248_1067:
	s_or_saveexec_b64 s[16:17], s[16:17]
	v_bfrev_b32_e32 v2, 4
	v_mov_b32_e32 v3, 0x7ff80000
	s_xor_b64 exec, exec, s[16:17]
; %bb.1068:
	v_cmp_ne_u16_e32 vcc, 0, v1
	s_andn2_b64 s[14:15], s[14:15], exec
	s_and_b64 s[18:19], vcc, exec
	v_mov_b64_e32 v[2:3], 0
	s_or_b64 s[14:15], s[14:15], s[18:19]
; %bb.1069:
	s_or_b64 exec, exec, s[16:17]
	s_and_saveexec_b64 s[16:17], s[14:15]
	s_cbranch_execz .LBB248_1071
; %bb.1070:
	v_lshlrev_b32_e32 v2, 24, v1
	v_and_b32_e32 v1, 0xffff, v1
	v_and_b32_e32 v3, 7, v1
	v_ffbh_u32_e32 v7, v3
	v_min_u32_e32 v7, 32, v7
	v_subrev_u32_e32 v8, 28, v7
	v_bfe_u32 v6, v1, 3, 4
	v_lshlrev_b32_e32 v1, v8, v1
	v_sub_u32_e32 v7, 29, v7
	v_and_b32_e32 v1, 7, v1
	v_cmp_eq_u32_e32 vcc, 0, v6
	v_and_b32_e32 v2, 0x80000000, v2
	s_nop 0
	v_cndmask_b32_e32 v6, v6, v7, vcc
	v_cndmask_b32_e32 v1, v3, v1, vcc
	v_mov_b32_e32 v3, 0x3b800000
	v_lshlrev_b32_e32 v1, 20, v1
	v_lshl_add_u32 v3, v6, 23, v3
	v_or3_b32 v1, v2, v3, v1
	v_cvt_f64_f32_e32 v[2:3], v1
.LBB248_1071:
	s_or_b64 exec, exec, s[16:17]
.LBB248_1072:
	s_mov_b64 s[16:17], -1
.LBB248_1073:
	s_branch .LBB248_1103
.LBB248_1074:
	s_cmp_gt_i32 s22, 22
	s_cbranch_scc0 .LBB248_1086
; %bb.1075:
	s_cmp_lt_i32 s22, 24
	s_cbranch_scc1 .LBB248_1087
; %bb.1076:
	s_cmp_gt_i32 s22, 24
	s_cbranch_scc0 .LBB248_1088
; %bb.1077:
	global_load_ubyte v1, v[4:5], off
	s_movk_i32 s10, 0x7f
	s_waitcnt vmcnt(0)
	v_cmp_lt_i16_e32 vcc, s10, v1
	s_mov_b64 s[10:11], 0
	s_and_saveexec_b64 s[14:15], vcc
	s_xor_b64 s[14:15], exec, s[14:15]
	s_cbranch_execz .LBB248_1081
; %bb.1078:
	s_movk_i32 s10, 0x80
	v_cmp_eq_u16_e32 vcc, s10, v1
	s_mov_b64 s[10:11], -1
	s_and_saveexec_b64 s[16:17], vcc
; %bb.1079:
	s_xor_b64 s[10:11], exec, -1
; %bb.1080:
	s_or_b64 exec, exec, s[16:17]
	s_and_b64 s[10:11], s[10:11], exec
.LBB248_1081:
	s_or_saveexec_b64 s[14:15], s[14:15]
	v_bfrev_b32_e32 v2, 4
	v_mov_b32_e32 v3, 0x7ff80000
	s_xor_b64 exec, exec, s[14:15]
; %bb.1082:
	v_cmp_ne_u16_e32 vcc, 0, v1
	s_andn2_b64 s[10:11], s[10:11], exec
	s_and_b64 s[16:17], vcc, exec
	v_mov_b64_e32 v[2:3], 0
	s_or_b64 s[10:11], s[10:11], s[16:17]
; %bb.1083:
	s_or_b64 exec, exec, s[14:15]
	s_and_saveexec_b64 s[14:15], s[10:11]
	s_cbranch_execz .LBB248_1085
; %bb.1084:
	v_lshlrev_b32_e32 v2, 24, v1
	v_and_b32_e32 v1, 0xffff, v1
	v_and_b32_e32 v3, 3, v1
	v_ffbh_u32_e32 v7, v3
	v_min_u32_e32 v7, 32, v7
	v_subrev_u32_e32 v8, 29, v7
	v_bfe_u32 v6, v1, 2, 5
	v_lshlrev_b32_e32 v1, v8, v1
	v_sub_u32_e32 v7, 30, v7
	v_and_b32_e32 v1, 3, v1
	v_cmp_eq_u32_e32 vcc, 0, v6
	v_and_b32_e32 v2, 0x80000000, v2
	s_nop 0
	v_cndmask_b32_e32 v6, v6, v7, vcc
	v_cndmask_b32_e32 v1, v3, v1, vcc
	v_mov_b32_e32 v3, 0x37800000
	v_lshlrev_b32_e32 v1, 21, v1
	v_lshl_add_u32 v3, v6, 23, v3
	v_or3_b32 v1, v2, v3, v1
	v_cvt_f64_f32_e32 v[2:3], v1
.LBB248_1085:
	s_or_b64 exec, exec, s[14:15]
	s_mov_b64 s[10:11], 0
	s_branch .LBB248_1089
.LBB248_1086:
                                        ; implicit-def: $vgpr2_vgpr3
	s_mov_b64 s[10:11], 0
	s_branch .LBB248_1095
.LBB248_1087:
	s_mov_b64 s[10:11], -1
                                        ; implicit-def: $vgpr2_vgpr3
	s_branch .LBB248_1092
.LBB248_1088:
	s_mov_b64 s[10:11], -1
                                        ; implicit-def: $vgpr2_vgpr3
.LBB248_1089:
	s_and_b64 vcc, exec, s[10:11]
	s_cbranch_vccz .LBB248_1091
; %bb.1090:
	global_load_ubyte v1, v[4:5], off
	s_mov_b32 s10, 0x7f800000
	s_waitcnt vmcnt(0)
	v_lshlrev_b32_e32 v1, 24, v1
	v_and_b32_e32 v2, 0x7f000000, v1
	v_ffbh_u32_e32 v3, v2
	v_min_u32_e32 v3, 32, v3
	v_sub_u32_e64 v3, v3, 4 clamp
	v_lshlrev_b32_e32 v7, v3, v2
	v_lshlrev_b32_e32 v3, 23, v3
	v_lshrrev_b32_e32 v7, 4, v7
	v_add_u32_e32 v6, 0x1000000, v2
	v_sub_u32_e32 v3, v7, v3
	v_ashrrev_i32_e32 v6, 8, v6
	v_add_u32_e32 v3, 0x3c000000, v3
	v_and_or_b32 v3, v6, s10, v3
	v_cmp_ne_u32_e32 vcc, 0, v2
	s_brev_b32 s10, 1
	s_nop 0
	v_cndmask_b32_e32 v2, 0, v3, vcc
	v_and_or_b32 v1, v1, s10, v2
	v_cvt_f64_f32_e32 v[2:3], v1
.LBB248_1091:
	s_mov_b64 s[10:11], 0
.LBB248_1092:
	s_andn2_b64 vcc, exec, s[10:11]
	s_cbranch_vccnz .LBB248_1094
; %bb.1093:
	global_load_ubyte v1, v[4:5], off
	s_movk_i32 s10, 0x7f00
	s_brev_b32 s11, 16
	s_waitcnt vmcnt(0)
	v_lshlrev_b16_e32 v2, 8, v1
	v_lshlrev_b32_e32 v1, 25, v1
	v_lshrrev_b32_e32 v3, 4, v1
	v_and_or_b32 v6, v2, s10, 0.5
	v_or_b32_e32 v3, 0x70000000, v3
	v_add_f32_e32 v6, -0.5, v6
	v_mul_f32_e32 v3, 0x7800000, v3
	v_cmp_gt_u32_e32 vcc, s11, v1
	v_bfe_i32 v2, v2, 0, 16
	s_brev_b32 s10, 1
	v_cndmask_b32_e32 v1, v3, v6, vcc
	v_and_or_b32 v1, v2, s10, v1
	v_cvt_f64_f32_e32 v[2:3], v1
.LBB248_1094:
	s_mov_b64 s[16:17], -1
	s_mov_b64 s[10:11], 0
	s_cbranch_execnz .LBB248_1103
.LBB248_1095:
	s_cmp_gt_i32 s22, 14
	s_cbranch_scc0 .LBB248_1098
; %bb.1096:
	s_cmp_eq_u32 s22, 15
	s_cbranch_scc0 .LBB248_1099
; %bb.1097:
	global_load_ushort v1, v[4:5], off
	s_mov_b64 s[0:1], 0
	s_mov_b64 s[16:17], -1
	s_waitcnt vmcnt(0)
	v_lshlrev_b32_e32 v1, 16, v1
	v_cvt_f64_f32_e32 v[2:3], v1
	s_branch .LBB248_1100
.LBB248_1098:
	s_mov_b64 s[14:15], -1
                                        ; implicit-def: $vgpr2_vgpr3
	s_branch .LBB248_1101
.LBB248_1099:
	s_mov_b64 s[0:1], -1
                                        ; implicit-def: $vgpr2_vgpr3
.LBB248_1100:
	s_mov_b64 s[14:15], 0
.LBB248_1101:
	s_and_b64 vcc, exec, s[14:15]
	s_cbranch_vccz .LBB248_1103
; %bb.1102:
	s_cmp_lg_u32 s22, 11
	s_mov_b64 s[10:11], -1
	s_cselect_b64 s[0:1], -1, 0
.LBB248_1103:
	s_and_b64 vcc, exec, s[0:1]
	s_mov_b64 s[14:15], s[12:13]
	s_cbranch_vccnz .LBB248_1164
; %bb.1104:
	s_andn2_b64 vcc, exec, s[10:11]
	s_cbranch_vccnz .LBB248_1106
.LBB248_1105:
	global_load_ubyte v1, v[4:5], off
	s_waitcnt vmcnt(1)
	v_mov_b32_e32 v3, 0x3ff00000
	v_mov_b32_e32 v2, 0
	s_mov_b64 s[16:17], -1
	s_waitcnt vmcnt(0)
	v_cmp_ne_u16_e32 vcc, 0, v1
	s_nop 1
	v_cndmask_b32_e32 v3, 0, v3, vcc
.LBB248_1106:
	s_branch .LBB248_1036
.LBB248_1107:
	s_cmp_lt_i32 s22, 5
	s_cbranch_scc1 .LBB248_1112
; %bb.1108:
	s_cmp_lt_i32 s22, 8
	s_cbranch_scc1 .LBB248_1113
; %bb.1109:
	;; [unrolled: 3-line block ×3, first 2 shown]
	s_cmp_gt_i32 s22, 9
	s_cbranch_scc0 .LBB248_1115
; %bb.1111:
	global_load_dwordx2 v[2:3], v[4:5], off
	s_mov_b64 s[0:1], 0
	s_branch .LBB248_1116
.LBB248_1112:
                                        ; implicit-def: $vgpr2_vgpr3
	s_branch .LBB248_1133
.LBB248_1113:
                                        ; implicit-def: $vgpr2_vgpr3
	s_branch .LBB248_1122
.LBB248_1114:
	s_mov_b64 s[0:1], -1
                                        ; implicit-def: $vgpr2_vgpr3
	s_branch .LBB248_1119
.LBB248_1115:
	s_mov_b64 s[0:1], -1
                                        ; implicit-def: $vgpr2_vgpr3
.LBB248_1116:
	s_andn2_b64 vcc, exec, s[0:1]
	s_cbranch_vccnz .LBB248_1118
; %bb.1117:
	global_load_dword v1, v[4:5], off
	s_waitcnt vmcnt(0)
	v_cvt_f64_f32_e32 v[2:3], v1
.LBB248_1118:
	s_mov_b64 s[0:1], 0
.LBB248_1119:
	s_andn2_b64 vcc, exec, s[0:1]
	s_cbranch_vccnz .LBB248_1121
; %bb.1120:
	global_load_dword v1, v[4:5], off
	s_waitcnt vmcnt(0)
	v_cvt_f32_f16_e32 v1, v1
	v_cvt_f64_f32_e32 v[2:3], v1
.LBB248_1121:
	s_cbranch_execnz .LBB248_1132
.LBB248_1122:
	s_cmp_lt_i32 s22, 6
	s_cbranch_scc1 .LBB248_1125
; %bb.1123:
	s_cmp_gt_i32 s22, 6
	s_cbranch_scc0 .LBB248_1126
; %bb.1124:
	global_load_dwordx2 v[2:3], v[4:5], off
	s_mov_b64 s[0:1], 0
	s_branch .LBB248_1127
.LBB248_1125:
	s_mov_b64 s[0:1], -1
                                        ; implicit-def: $vgpr2_vgpr3
	s_branch .LBB248_1130
.LBB248_1126:
	s_mov_b64 s[0:1], -1
                                        ; implicit-def: $vgpr2_vgpr3
.LBB248_1127:
	s_andn2_b64 vcc, exec, s[0:1]
	s_cbranch_vccnz .LBB248_1129
; %bb.1128:
	global_load_dword v1, v[4:5], off
	s_waitcnt vmcnt(0)
	v_cvt_f64_f32_e32 v[2:3], v1
.LBB248_1129:
	s_mov_b64 s[0:1], 0
.LBB248_1130:
	s_andn2_b64 vcc, exec, s[0:1]
	s_cbranch_vccnz .LBB248_1132
; %bb.1131:
	global_load_ushort v1, v[4:5], off
	s_waitcnt vmcnt(0)
	v_cvt_f32_f16_e32 v1, v1
	v_cvt_f64_f32_e32 v[2:3], v1
.LBB248_1132:
	s_cbranch_execnz .LBB248_1151
.LBB248_1133:
	s_cmp_lt_i32 s22, 2
	s_cbranch_scc1 .LBB248_1137
; %bb.1134:
	s_cmp_lt_i32 s22, 3
	s_cbranch_scc1 .LBB248_1138
; %bb.1135:
	s_cmp_gt_i32 s22, 3
	s_cbranch_scc0 .LBB248_1139
; %bb.1136:
	global_load_dwordx2 v[2:3], v[4:5], off
	s_mov_b64 s[0:1], 0
	s_waitcnt vmcnt(0)
	v_cvt_f64_i32_e32 v[6:7], v3
	v_cvt_f64_u32_e32 v[2:3], v2
	v_ldexp_f64 v[6:7], v[6:7], 32
	v_add_f64 v[2:3], v[6:7], v[2:3]
	s_branch .LBB248_1140
.LBB248_1137:
                                        ; implicit-def: $vgpr2_vgpr3
	s_branch .LBB248_1146
.LBB248_1138:
	s_mov_b64 s[0:1], -1
                                        ; implicit-def: $vgpr2_vgpr3
	s_branch .LBB248_1143
.LBB248_1139:
	s_mov_b64 s[0:1], -1
                                        ; implicit-def: $vgpr2_vgpr3
.LBB248_1140:
	s_andn2_b64 vcc, exec, s[0:1]
	s_cbranch_vccnz .LBB248_1142
; %bb.1141:
	global_load_dword v1, v[4:5], off
	s_waitcnt vmcnt(0)
	v_cvt_f64_i32_e32 v[2:3], v1
.LBB248_1142:
	s_mov_b64 s[0:1], 0
.LBB248_1143:
	s_andn2_b64 vcc, exec, s[0:1]
	s_cbranch_vccnz .LBB248_1145
; %bb.1144:
	global_load_sshort v1, v[4:5], off
	s_waitcnt vmcnt(0)
	v_cvt_f64_i32_e32 v[2:3], v1
.LBB248_1145:
	s_cbranch_execnz .LBB248_1151
.LBB248_1146:
	s_cmp_gt_i32 s22, 0
	s_cbranch_scc0 .LBB248_1148
; %bb.1147:
	global_load_sbyte v1, v[4:5], off
	s_mov_b64 s[0:1], 0
	s_waitcnt vmcnt(0)
	v_cvt_f64_i32_e32 v[2:3], v1
	s_branch .LBB248_1149
.LBB248_1148:
	s_mov_b64 s[0:1], -1
                                        ; implicit-def: $vgpr2_vgpr3
.LBB248_1149:
	s_andn2_b64 vcc, exec, s[0:1]
	s_cbranch_vccnz .LBB248_1151
; %bb.1150:
	global_load_ubyte v1, v[4:5], off
	s_waitcnt vmcnt(0)
	v_cvt_f64_u32_e32 v[2:3], v1
.LBB248_1151:
.LBB248_1152:
	s_lshl_b32 s9, s9, 7
	v_add_u32_e32 v0, s9, v0
	v_ashrrev_i32_e32 v1, 31, v0
	s_cmp_lt_i32 s22, 11
	v_lshl_add_u64 v[4:5], s[6:7], 0, v[0:1]
	s_cbranch_scc1 .LBB248_1159
; %bb.1153:
	s_cmp_gt_i32 s22, 25
	s_mov_b64 s[10:11], 0
	s_cbranch_scc0 .LBB248_1161
; %bb.1154:
	s_cmp_gt_i32 s22, 28
	s_cbranch_scc0 .LBB248_1162
; %bb.1155:
	s_cmp_gt_i32 s22, 43
	;; [unrolled: 3-line block ×3, first 2 shown]
	s_cbranch_scc0 .LBB248_1165
; %bb.1157:
	s_cmp_eq_u32 s22, 46
	s_mov_b64 s[18:19], 0
	s_cbranch_scc0 .LBB248_1168
; %bb.1158:
	global_load_dword v1, v[4:5], off
	s_mov_b64 s[0:1], 0
	s_mov_b64 s[16:17], -1
	s_waitcnt vmcnt(0)
	v_lshlrev_b32_e32 v1, 16, v1
	v_cvt_f64_f32_e32 v[8:9], v1
	s_branch .LBB248_1169
.LBB248_1159:
	s_mov_b64 s[16:17], 0
                                        ; implicit-def: $vgpr8_vgpr9
	s_cbranch_execnz .LBB248_1234
.LBB248_1160:
	s_andn2_b64 vcc, exec, s[16:17]
	s_cbranch_vccz .LBB248_1281
	s_branch .LBB248_1422
.LBB248_1161:
	s_mov_b64 s[16:17], 0
	s_mov_b64 s[0:1], 0
                                        ; implicit-def: $vgpr8_vgpr9
	s_cbranch_execnz .LBB248_1200
	s_branch .LBB248_1230
.LBB248_1162:
	s_mov_b64 s[18:19], -1
	s_mov_b64 s[16:17], 0
	s_mov_b64 s[0:1], 0
                                        ; implicit-def: $vgpr8_vgpr9
	s_branch .LBB248_1179
.LBB248_1163:
	s_mov_b64 s[18:19], -1
	s_mov_b64 s[16:17], 0
	s_mov_b64 s[0:1], 0
                                        ; implicit-def: $vgpr8_vgpr9
	s_branch .LBB248_1174
.LBB248_1164:
	s_or_b64 s[14:15], s[12:13], exec
	s_trap 2
	s_cbranch_execz .LBB248_1105
	s_branch .LBB248_1106
.LBB248_1165:
	s_mov_b64 s[18:19], -1
	s_mov_b64 s[16:17], 0
	s_mov_b64 s[0:1], 0
                                        ; implicit-def: $vgpr8_vgpr9
	s_branch .LBB248_1169
.LBB248_1166:
	s_andn2_saveexec_b64 s[24:25], s[24:25]
	s_cbranch_execz .LBB248_948
.LBB248_1167:
	s_mov_b32 s28, 0x42800000
	v_add_f32_e64 v7, |v6|, s28
	v_and_b32_e32 v7, 0xff, v7
	v_cmp_ne_u32_e32 vcc, 0, v7
	s_andn2_b64 s[22:23], s[22:23], exec
	s_and_b64 s[28:29], vcc, exec
	s_or_b64 s[22:23], s[22:23], s[28:29]
	s_or_b64 exec, exec, s[24:25]
	v_mov_b32_e32 v8, 0
	s_and_saveexec_b64 s[24:25], s[22:23]
	s_cbranch_execnz .LBB248_949
	s_branch .LBB248_950
.LBB248_1168:
	s_mov_b64 s[0:1], -1
                                        ; implicit-def: $vgpr8_vgpr9
	s_mov_b64 s[16:17], 0
.LBB248_1169:
	s_and_b64 vcc, exec, s[18:19]
	s_cbranch_vccz .LBB248_1173
; %bb.1170:
	s_cmp_eq_u32 s22, 44
	s_cbranch_scc0 .LBB248_1172
; %bb.1171:
	global_load_ubyte v1, v[4:5], off
	s_movk_i32 s16, 0xff
	v_bfrev_b32_e32 v8, 4
	v_mov_b32_e32 v9, 0x7ff80000
	v_bfrev_b32_e32 v11, 28
	s_mov_b64 s[0:1], 0
	s_waitcnt vmcnt(0)
	v_lshlrev_b32_e32 v6, 23, v1
	v_cvt_f64_f32_e32 v[6:7], v6
	v_cmp_ne_u32_e32 vcc, s16, v1
	s_mov_b64 s[16:17], -1
	s_nop 0
	v_cndmask_b32_e32 v6, v8, v6, vcc
	v_cndmask_b32_e32 v7, v9, v7, vcc
	v_cmp_ne_u32_e32 vcc, 0, v1
	s_nop 1
	v_cndmask_b32_e32 v9, v11, v7, vcc
	v_cndmask_b32_e32 v8, 0, v6, vcc
	s_branch .LBB248_1173
.LBB248_1172:
	s_mov_b64 s[0:1], -1
                                        ; implicit-def: $vgpr8_vgpr9
.LBB248_1173:
	s_mov_b64 s[18:19], 0
.LBB248_1174:
	s_and_b64 vcc, exec, s[18:19]
	s_cbranch_vccz .LBB248_1178
; %bb.1175:
	s_cmp_eq_u32 s22, 29
	s_cbranch_scc0 .LBB248_1177
; %bb.1176:
	global_load_dwordx2 v[6:7], v[4:5], off
	s_mov_b64 s[0:1], 0
	s_mov_b64 s[16:17], -1
	s_mov_b64 s[18:19], 0
	s_waitcnt vmcnt(0)
	v_cvt_f64_u32_e32 v[8:9], v7
	v_cvt_f64_u32_e32 v[6:7], v6
	v_ldexp_f64 v[8:9], v[8:9], 32
	v_add_f64 v[8:9], v[8:9], v[6:7]
	s_branch .LBB248_1179
.LBB248_1177:
	s_mov_b64 s[0:1], -1
                                        ; implicit-def: $vgpr8_vgpr9
.LBB248_1178:
	s_mov_b64 s[18:19], 0
.LBB248_1179:
	s_and_b64 vcc, exec, s[18:19]
	s_cbranch_vccz .LBB248_1199
; %bb.1180:
	s_cmp_lt_i32 s22, 27
	s_cbranch_scc1 .LBB248_1183
; %bb.1181:
	s_cmp_gt_i32 s22, 27
	s_cbranch_scc0 .LBB248_1184
; %bb.1182:
	global_load_dword v1, v[4:5], off
	s_mov_b64 s[16:17], 0
	s_waitcnt vmcnt(0)
	v_cvt_f64_u32_e32 v[8:9], v1
	s_branch .LBB248_1185
.LBB248_1183:
	s_mov_b64 s[16:17], -1
                                        ; implicit-def: $vgpr8_vgpr9
	s_branch .LBB248_1188
.LBB248_1184:
	s_mov_b64 s[16:17], -1
                                        ; implicit-def: $vgpr8_vgpr9
.LBB248_1185:
	s_andn2_b64 vcc, exec, s[16:17]
	s_cbranch_vccnz .LBB248_1187
; %bb.1186:
	global_load_ushort v1, v[4:5], off
	s_waitcnt vmcnt(0)
	v_cvt_f64_u32_e32 v[8:9], v1
.LBB248_1187:
	s_mov_b64 s[16:17], 0
.LBB248_1188:
	s_andn2_b64 vcc, exec, s[16:17]
	s_cbranch_vccnz .LBB248_1198
; %bb.1189:
	global_load_ubyte v1, v[4:5], off
	s_movk_i32 s16, 0x7f
	s_waitcnt vmcnt(0)
	v_cmp_lt_i16_e32 vcc, s16, v1
	s_mov_b64 s[16:17], 0
	s_and_saveexec_b64 s[18:19], vcc
	s_xor_b64 s[18:19], exec, s[18:19]
	s_cbranch_execz .LBB248_1193
; %bb.1190:
	s_movk_i32 s16, 0x80
	v_cmp_eq_u16_e32 vcc, s16, v1
	s_mov_b64 s[16:17], -1
	s_and_saveexec_b64 s[20:21], vcc
; %bb.1191:
	s_xor_b64 s[16:17], exec, -1
; %bb.1192:
	s_or_b64 exec, exec, s[20:21]
	s_and_b64 s[16:17], s[16:17], exec
.LBB248_1193:
	s_or_saveexec_b64 s[18:19], s[18:19]
	v_bfrev_b32_e32 v8, 4
	v_mov_b32_e32 v9, 0x7ff80000
	s_xor_b64 exec, exec, s[18:19]
; %bb.1194:
	v_cmp_ne_u16_e32 vcc, 0, v1
	s_andn2_b64 s[16:17], s[16:17], exec
	s_and_b64 s[20:21], vcc, exec
	v_mov_b64_e32 v[8:9], 0
	s_or_b64 s[16:17], s[16:17], s[20:21]
; %bb.1195:
	s_or_b64 exec, exec, s[18:19]
	s_and_saveexec_b64 s[18:19], s[16:17]
	s_cbranch_execz .LBB248_1197
; %bb.1196:
	v_lshlrev_b32_e32 v6, 24, v1
	v_and_b32_e32 v1, 0xffff, v1
	v_and_b32_e32 v7, 7, v1
	v_ffbh_u32_e32 v9, v7
	v_min_u32_e32 v9, 32, v9
	v_subrev_u32_e32 v11, 28, v9
	v_bfe_u32 v8, v1, 3, 4
	v_lshlrev_b32_e32 v1, v11, v1
	v_sub_u32_e32 v9, 29, v9
	v_and_b32_e32 v1, 7, v1
	v_cmp_eq_u32_e32 vcc, 0, v8
	v_and_b32_e32 v6, 0x80000000, v6
	s_nop 0
	v_cndmask_b32_e32 v8, v8, v9, vcc
	v_cndmask_b32_e32 v1, v7, v1, vcc
	v_mov_b32_e32 v7, 0x3b800000
	v_lshlrev_b32_e32 v1, 20, v1
	v_lshl_add_u32 v7, v8, 23, v7
	v_or3_b32 v1, v6, v7, v1
	v_cvt_f64_f32_e32 v[8:9], v1
.LBB248_1197:
	s_or_b64 exec, exec, s[18:19]
.LBB248_1198:
	s_mov_b64 s[16:17], -1
.LBB248_1199:
	s_branch .LBB248_1230
.LBB248_1200:
	s_cmp_gt_i32 s22, 22
	s_cbranch_scc0 .LBB248_1212
; %bb.1201:
	s_cmp_lt_i32 s22, 24
	s_cbranch_scc1 .LBB248_1213
; %bb.1202:
	s_cmp_gt_i32 s22, 24
	s_cbranch_scc0 .LBB248_1214
; %bb.1203:
	global_load_ubyte v1, v[4:5], off
	s_movk_i32 s10, 0x7f
	s_waitcnt vmcnt(0)
	v_cmp_lt_i16_e32 vcc, s10, v1
	s_mov_b64 s[10:11], 0
	s_and_saveexec_b64 s[16:17], vcc
	s_xor_b64 s[16:17], exec, s[16:17]
	s_cbranch_execz .LBB248_1207
; %bb.1204:
	s_movk_i32 s10, 0x80
	v_cmp_eq_u16_e32 vcc, s10, v1
	s_mov_b64 s[10:11], -1
	s_and_saveexec_b64 s[18:19], vcc
; %bb.1205:
	s_xor_b64 s[10:11], exec, -1
; %bb.1206:
	s_or_b64 exec, exec, s[18:19]
	s_and_b64 s[10:11], s[10:11], exec
.LBB248_1207:
	s_or_saveexec_b64 s[16:17], s[16:17]
	v_bfrev_b32_e32 v8, 4
	v_mov_b32_e32 v9, 0x7ff80000
	s_xor_b64 exec, exec, s[16:17]
; %bb.1208:
	v_cmp_ne_u16_e32 vcc, 0, v1
	s_andn2_b64 s[10:11], s[10:11], exec
	s_and_b64 s[18:19], vcc, exec
	v_mov_b64_e32 v[8:9], 0
	s_or_b64 s[10:11], s[10:11], s[18:19]
; %bb.1209:
	s_or_b64 exec, exec, s[16:17]
	s_and_saveexec_b64 s[16:17], s[10:11]
	s_cbranch_execz .LBB248_1211
; %bb.1210:
	v_lshlrev_b32_e32 v6, 24, v1
	v_and_b32_e32 v1, 0xffff, v1
	v_and_b32_e32 v7, 3, v1
	v_ffbh_u32_e32 v9, v7
	v_min_u32_e32 v9, 32, v9
	v_subrev_u32_e32 v11, 29, v9
	v_bfe_u32 v8, v1, 2, 5
	v_lshlrev_b32_e32 v1, v11, v1
	v_sub_u32_e32 v9, 30, v9
	v_and_b32_e32 v1, 3, v1
	v_cmp_eq_u32_e32 vcc, 0, v8
	v_and_b32_e32 v6, 0x80000000, v6
	s_nop 0
	v_cndmask_b32_e32 v8, v8, v9, vcc
	v_cndmask_b32_e32 v1, v7, v1, vcc
	v_mov_b32_e32 v7, 0x37800000
	v_lshlrev_b32_e32 v1, 21, v1
	v_lshl_add_u32 v7, v8, 23, v7
	v_or3_b32 v1, v6, v7, v1
	v_cvt_f64_f32_e32 v[8:9], v1
.LBB248_1211:
	s_or_b64 exec, exec, s[16:17]
	s_mov_b64 s[10:11], 0
	s_branch .LBB248_1215
.LBB248_1212:
	s_mov_b64 s[10:11], -1
                                        ; implicit-def: $vgpr8_vgpr9
	s_branch .LBB248_1221
.LBB248_1213:
	s_mov_b64 s[10:11], -1
                                        ; implicit-def: $vgpr8_vgpr9
	s_branch .LBB248_1218
.LBB248_1214:
	s_mov_b64 s[10:11], -1
                                        ; implicit-def: $vgpr8_vgpr9
.LBB248_1215:
	s_and_b64 vcc, exec, s[10:11]
	s_cbranch_vccz .LBB248_1217
; %bb.1216:
	global_load_ubyte v1, v[4:5], off
	s_mov_b32 s10, 0x7f800000
	s_waitcnt vmcnt(0)
	v_lshlrev_b32_e32 v1, 24, v1
	v_and_b32_e32 v6, 0x7f000000, v1
	v_ffbh_u32_e32 v7, v6
	v_min_u32_e32 v7, 32, v7
	v_sub_u32_e64 v7, v7, 4 clamp
	v_lshlrev_b32_e32 v9, v7, v6
	v_lshlrev_b32_e32 v7, 23, v7
	v_lshrrev_b32_e32 v9, 4, v9
	v_add_u32_e32 v8, 0x1000000, v6
	v_sub_u32_e32 v7, v9, v7
	v_ashrrev_i32_e32 v8, 8, v8
	v_add_u32_e32 v7, 0x3c000000, v7
	v_and_or_b32 v7, v8, s10, v7
	v_cmp_ne_u32_e32 vcc, 0, v6
	s_brev_b32 s10, 1
	s_nop 0
	v_cndmask_b32_e32 v6, 0, v7, vcc
	v_and_or_b32 v1, v1, s10, v6
	v_cvt_f64_f32_e32 v[8:9], v1
.LBB248_1217:
	s_mov_b64 s[10:11], 0
.LBB248_1218:
	s_andn2_b64 vcc, exec, s[10:11]
	s_cbranch_vccnz .LBB248_1220
; %bb.1219:
	global_load_ubyte v1, v[4:5], off
	s_movk_i32 s10, 0x7f00
	s_brev_b32 s11, 16
	s_waitcnt vmcnt(0)
	v_lshlrev_b16_e32 v6, 8, v1
	v_lshlrev_b32_e32 v1, 25, v1
	v_lshrrev_b32_e32 v7, 4, v1
	v_and_or_b32 v8, v6, s10, 0.5
	v_or_b32_e32 v7, 0x70000000, v7
	v_add_f32_e32 v8, -0.5, v8
	v_mul_f32_e32 v7, 0x7800000, v7
	v_cmp_gt_u32_e32 vcc, s11, v1
	v_bfe_i32 v6, v6, 0, 16
	s_brev_b32 s10, 1
	v_cndmask_b32_e32 v1, v7, v8, vcc
	v_and_or_b32 v1, v6, s10, v1
	v_cvt_f64_f32_e32 v[8:9], v1
.LBB248_1220:
	s_mov_b64 s[10:11], 0
	s_mov_b64 s[16:17], -1
.LBB248_1221:
	s_andn2_b64 vcc, exec, s[10:11]
	s_mov_b64 s[10:11], 0
	s_cbranch_vccnz .LBB248_1230
; %bb.1222:
	s_cmp_gt_i32 s22, 14
	s_cbranch_scc0 .LBB248_1225
; %bb.1223:
	s_cmp_eq_u32 s22, 15
	s_cbranch_scc0 .LBB248_1226
; %bb.1224:
	global_load_ushort v1, v[4:5], off
	s_mov_b64 s[0:1], 0
	s_mov_b64 s[16:17], -1
	s_waitcnt vmcnt(0)
	v_lshlrev_b32_e32 v1, 16, v1
	v_cvt_f64_f32_e32 v[8:9], v1
	s_branch .LBB248_1227
.LBB248_1225:
	s_mov_b64 s[18:19], -1
                                        ; implicit-def: $vgpr8_vgpr9
	s_branch .LBB248_1228
.LBB248_1226:
	s_mov_b64 s[0:1], -1
                                        ; implicit-def: $vgpr8_vgpr9
.LBB248_1227:
	s_mov_b64 s[18:19], 0
.LBB248_1228:
	s_and_b64 vcc, exec, s[18:19]
	s_cbranch_vccz .LBB248_1230
; %bb.1229:
	s_cmp_lg_u32 s22, 11
	s_mov_b64 s[10:11], -1
	s_cselect_b64 s[0:1], -1, 0
.LBB248_1230:
	s_and_b64 vcc, exec, s[0:1]
	s_cbranch_vccnz .LBB248_1303
; %bb.1231:
	s_andn2_b64 vcc, exec, s[10:11]
	s_cbranch_vccnz .LBB248_1233
.LBB248_1232:
	global_load_ubyte v1, v[4:5], off
	v_mov_b32_e32 v6, 0x3ff00000
	v_mov_b32_e32 v8, 0
	s_mov_b64 s[16:17], -1
	s_waitcnt vmcnt(0)
	v_cmp_ne_u16_e32 vcc, 0, v1
	s_nop 1
	v_cndmask_b32_e32 v9, 0, v6, vcc
.LBB248_1233:
	s_branch .LBB248_1160
.LBB248_1234:
	s_cmp_lt_i32 s22, 5
	s_cbranch_scc1 .LBB248_1239
; %bb.1235:
	s_cmp_lt_i32 s22, 8
	s_cbranch_scc1 .LBB248_1240
; %bb.1236:
	;; [unrolled: 3-line block ×3, first 2 shown]
	s_cmp_gt_i32 s22, 9
	s_cbranch_scc0 .LBB248_1242
; %bb.1238:
	global_load_dwordx2 v[8:9], v[4:5], off
	s_mov_b64 s[0:1], 0
	s_branch .LBB248_1243
.LBB248_1239:
                                        ; implicit-def: $vgpr8_vgpr9
	s_branch .LBB248_1261
.LBB248_1240:
	s_mov_b64 s[0:1], -1
                                        ; implicit-def: $vgpr8_vgpr9
	s_branch .LBB248_1249
.LBB248_1241:
	s_mov_b64 s[0:1], -1
                                        ; implicit-def: $vgpr8_vgpr9
	s_branch .LBB248_1246
.LBB248_1242:
	s_mov_b64 s[0:1], -1
                                        ; implicit-def: $vgpr8_vgpr9
.LBB248_1243:
	s_andn2_b64 vcc, exec, s[0:1]
	s_cbranch_vccnz .LBB248_1245
; %bb.1244:
	global_load_dword v1, v[4:5], off
	s_waitcnt vmcnt(0)
	v_cvt_f64_f32_e32 v[8:9], v1
.LBB248_1245:
	s_mov_b64 s[0:1], 0
.LBB248_1246:
	s_andn2_b64 vcc, exec, s[0:1]
	s_cbranch_vccnz .LBB248_1248
; %bb.1247:
	global_load_dword v1, v[4:5], off
	s_waitcnt vmcnt(0)
	v_cvt_f32_f16_e32 v1, v1
	v_cvt_f64_f32_e32 v[8:9], v1
.LBB248_1248:
	s_mov_b64 s[0:1], 0
.LBB248_1249:
	s_andn2_b64 vcc, exec, s[0:1]
	s_cbranch_vccnz .LBB248_1260
; %bb.1250:
	s_cmp_lt_i32 s22, 6
	s_cbranch_scc1 .LBB248_1253
; %bb.1251:
	s_cmp_gt_i32 s22, 6
	s_cbranch_scc0 .LBB248_1254
; %bb.1252:
	global_load_dwordx2 v[8:9], v[4:5], off
	s_mov_b64 s[0:1], 0
	s_branch .LBB248_1255
.LBB248_1253:
	s_mov_b64 s[0:1], -1
                                        ; implicit-def: $vgpr8_vgpr9
	s_branch .LBB248_1258
.LBB248_1254:
	s_mov_b64 s[0:1], -1
                                        ; implicit-def: $vgpr8_vgpr9
.LBB248_1255:
	s_andn2_b64 vcc, exec, s[0:1]
	s_cbranch_vccnz .LBB248_1257
; %bb.1256:
	global_load_dword v1, v[4:5], off
	s_waitcnt vmcnt(0)
	v_cvt_f64_f32_e32 v[8:9], v1
.LBB248_1257:
	s_mov_b64 s[0:1], 0
.LBB248_1258:
	s_andn2_b64 vcc, exec, s[0:1]
	s_cbranch_vccnz .LBB248_1260
; %bb.1259:
	global_load_ushort v1, v[4:5], off
	s_waitcnt vmcnt(0)
	v_cvt_f32_f16_e32 v1, v1
	v_cvt_f64_f32_e32 v[8:9], v1
.LBB248_1260:
	s_cbranch_execnz .LBB248_1280
.LBB248_1261:
	s_cmp_lt_i32 s22, 2
	s_cbranch_scc1 .LBB248_1265
; %bb.1262:
	s_cmp_lt_i32 s22, 3
	s_cbranch_scc1 .LBB248_1266
; %bb.1263:
	s_cmp_gt_i32 s22, 3
	s_cbranch_scc0 .LBB248_1267
; %bb.1264:
	global_load_dwordx2 v[6:7], v[4:5], off
	s_mov_b64 s[0:1], 0
	s_waitcnt vmcnt(0)
	v_cvt_f64_i32_e32 v[8:9], v7
	v_cvt_f64_u32_e32 v[6:7], v6
	v_ldexp_f64 v[8:9], v[8:9], 32
	v_add_f64 v[8:9], v[8:9], v[6:7]
	s_branch .LBB248_1268
.LBB248_1265:
	s_mov_b64 s[0:1], -1
                                        ; implicit-def: $vgpr8_vgpr9
	s_branch .LBB248_1274
.LBB248_1266:
	s_mov_b64 s[0:1], -1
                                        ; implicit-def: $vgpr8_vgpr9
	s_branch .LBB248_1271
.LBB248_1267:
	s_mov_b64 s[0:1], -1
                                        ; implicit-def: $vgpr8_vgpr9
.LBB248_1268:
	s_andn2_b64 vcc, exec, s[0:1]
	s_cbranch_vccnz .LBB248_1270
; %bb.1269:
	global_load_dword v1, v[4:5], off
	s_waitcnt vmcnt(0)
	v_cvt_f64_i32_e32 v[8:9], v1
.LBB248_1270:
	s_mov_b64 s[0:1], 0
.LBB248_1271:
	s_andn2_b64 vcc, exec, s[0:1]
	s_cbranch_vccnz .LBB248_1273
; %bb.1272:
	global_load_sshort v1, v[4:5], off
	s_waitcnt vmcnt(0)
	v_cvt_f64_i32_e32 v[8:9], v1
.LBB248_1273:
	s_mov_b64 s[0:1], 0
.LBB248_1274:
	s_andn2_b64 vcc, exec, s[0:1]
	s_cbranch_vccnz .LBB248_1280
; %bb.1275:
	s_cmp_gt_i32 s22, 0
	s_cbranch_scc0 .LBB248_1277
; %bb.1276:
	global_load_sbyte v1, v[4:5], off
	s_mov_b64 s[0:1], 0
	s_waitcnt vmcnt(0)
	v_cvt_f64_i32_e32 v[8:9], v1
	s_branch .LBB248_1278
.LBB248_1277:
	s_mov_b64 s[0:1], -1
                                        ; implicit-def: $vgpr8_vgpr9
.LBB248_1278:
	s_andn2_b64 vcc, exec, s[0:1]
	s_cbranch_vccnz .LBB248_1280
; %bb.1279:
	global_load_ubyte v1, v[4:5], off
	s_waitcnt vmcnt(0)
	v_cvt_f64_u32_e32 v[8:9], v1
.LBB248_1280:
.LBB248_1281:
	v_add_u32_e32 v0, s9, v0
	v_ashrrev_i32_e32 v1, 31, v0
	s_cmp_lt_i32 s22, 11
	v_lshl_add_u64 v[4:5], s[6:7], 0, v[0:1]
	s_cbranch_scc1 .LBB248_1288
; %bb.1282:
	s_cmp_gt_i32 s22, 25
	s_mov_b64 s[10:11], 0
	s_cbranch_scc0 .LBB248_1297
; %bb.1283:
	s_cmp_gt_i32 s22, 28
	s_cbranch_scc0 .LBB248_1299
; %bb.1284:
	s_cmp_gt_i32 s22, 43
	;; [unrolled: 3-line block ×3, first 2 shown]
	s_cbranch_scc0 .LBB248_1304
; %bb.1286:
	s_cmp_eq_u32 s22, 46
	s_mov_b64 s[18:19], 0
	s_cbranch_scc0 .LBB248_1306
; %bb.1287:
	global_load_dword v1, v[4:5], off
	s_mov_b64 s[0:1], 0
	s_mov_b64 s[16:17], -1
	s_waitcnt vmcnt(0)
	v_lshlrev_b32_e32 v1, 16, v1
	v_cvt_f64_f32_e32 v[6:7], v1
	s_branch .LBB248_1307
.LBB248_1288:
	s_mov_b64 s[16:17], 0
                                        ; implicit-def: $vgpr6_vgpr7
	s_cbranch_execnz .LBB248_1374
.LBB248_1289:
	s_andn2_b64 vcc, exec, s[16:17]
	s_cbranch_vccnz .LBB248_1422
.LBB248_1290:
	v_add_u32_e32 v0, s9, v0
	v_ashrrev_i32_e32 v1, 31, v0
	s_cmp_lt_i32 s22, 11
	v_lshl_add_u64 v[0:1], s[6:7], 0, v[0:1]
	s_cbranch_scc1 .LBB248_1298
; %bb.1291:
	s_cmp_gt_i32 s22, 25
	s_mov_b64 s[6:7], 0
	s_cbranch_scc0 .LBB248_1300
; %bb.1292:
	s_cmp_gt_i32 s22, 28
	s_cbranch_scc0 .LBB248_1302
; %bb.1293:
	s_cmp_gt_i32 s22, 43
	;; [unrolled: 3-line block ×3, first 2 shown]
	s_cbranch_scc0 .LBB248_1310
; %bb.1295:
	s_cmp_eq_u32 s22, 46
	s_mov_b64 s[16:17], 0
	s_cbranch_scc0 .LBB248_1469
; %bb.1296:
	global_load_dword v4, v[0:1], off
	s_mov_b64 s[0:1], 0
	s_mov_b64 s[10:11], -1
	s_waitcnt vmcnt(0)
	v_lshlrev_b32_e32 v4, 16, v4
	v_cvt_f64_f32_e32 v[4:5], v4
	s_branch .LBB248_1470
.LBB248_1297:
	s_mov_b64 s[18:19], -1
	s_mov_b64 s[16:17], 0
	s_mov_b64 s[0:1], 0
                                        ; implicit-def: $vgpr6_vgpr7
	s_branch .LBB248_1339
.LBB248_1298:
	s_mov_b64 s[0:1], -1
	s_mov_b64 s[10:11], 0
                                        ; implicit-def: $vgpr4_vgpr5
	s_branch .LBB248_1536
.LBB248_1299:
	s_mov_b64 s[18:19], -1
	s_mov_b64 s[16:17], 0
	s_mov_b64 s[0:1], 0
                                        ; implicit-def: $vgpr6_vgpr7
	s_branch .LBB248_1318
.LBB248_1300:
	s_mov_b64 s[16:17], -1
	s_mov_b64 s[10:11], 0
	s_mov_b64 s[0:1], 0
                                        ; implicit-def: $vgpr4_vgpr5
	s_branch .LBB248_1501
.LBB248_1301:
	s_mov_b64 s[18:19], -1
	s_mov_b64 s[16:17], 0
	s_mov_b64 s[0:1], 0
                                        ; implicit-def: $vgpr6_vgpr7
	s_branch .LBB248_1313
.LBB248_1302:
	s_mov_b64 s[16:17], -1
	s_mov_b64 s[10:11], 0
	s_mov_b64 s[0:1], 0
                                        ; implicit-def: $vgpr4_vgpr5
	s_branch .LBB248_1480
.LBB248_1303:
	s_trap 2
	s_or_b64 s[14:15], s[14:15], exec
	s_cbranch_execz .LBB248_1232
	s_branch .LBB248_1233
.LBB248_1304:
	s_mov_b64 s[18:19], -1
	s_mov_b64 s[16:17], 0
	s_mov_b64 s[0:1], 0
                                        ; implicit-def: $vgpr6_vgpr7
	s_branch .LBB248_1307
.LBB248_1305:
	s_mov_b64 s[16:17], -1
	s_mov_b64 s[10:11], 0
	s_mov_b64 s[0:1], 0
                                        ; implicit-def: $vgpr4_vgpr5
	s_branch .LBB248_1475
.LBB248_1306:
	s_mov_b64 s[0:1], -1
                                        ; implicit-def: $vgpr6_vgpr7
	s_mov_b64 s[16:17], 0
.LBB248_1307:
	s_and_b64 vcc, exec, s[18:19]
	s_cbranch_vccz .LBB248_1312
; %bb.1308:
	s_cmp_eq_u32 s22, 44
	s_cbranch_scc0 .LBB248_1311
; %bb.1309:
	global_load_ubyte v1, v[4:5], off
	s_movk_i32 s16, 0xff
	v_bfrev_b32_e32 v11, 4
	v_mov_b32_e32 v12, 0x7ff80000
	v_bfrev_b32_e32 v13, 28
	s_mov_b64 s[0:1], 0
	s_waitcnt vmcnt(0)
	v_lshlrev_b32_e32 v6, 23, v1
	v_cvt_f64_f32_e32 v[6:7], v6
	v_cmp_ne_u32_e32 vcc, s16, v1
	s_mov_b64 s[16:17], -1
	s_nop 0
	v_cndmask_b32_e32 v6, v11, v6, vcc
	v_cndmask_b32_e32 v7, v12, v7, vcc
	v_cmp_ne_u32_e32 vcc, 0, v1
	s_nop 1
	v_cndmask_b32_e32 v7, v13, v7, vcc
	v_cndmask_b32_e32 v6, 0, v6, vcc
	s_branch .LBB248_1312
.LBB248_1310:
	s_mov_b64 s[16:17], -1
	s_mov_b64 s[10:11], 0
	s_mov_b64 s[0:1], 0
                                        ; implicit-def: $vgpr4_vgpr5
	s_branch .LBB248_1470
.LBB248_1311:
	s_mov_b64 s[0:1], -1
                                        ; implicit-def: $vgpr6_vgpr7
.LBB248_1312:
	s_mov_b64 s[18:19], 0
.LBB248_1313:
	s_and_b64 vcc, exec, s[18:19]
	s_cbranch_vccz .LBB248_1317
; %bb.1314:
	s_cmp_eq_u32 s22, 29
	s_cbranch_scc0 .LBB248_1316
; %bb.1315:
	global_load_dwordx2 v[6:7], v[4:5], off
	s_mov_b64 s[0:1], 0
	s_mov_b64 s[16:17], -1
	s_mov_b64 s[18:19], 0
	s_waitcnt vmcnt(0)
	v_cvt_f64_u32_e32 v[12:13], v7
	v_cvt_f64_u32_e32 v[6:7], v6
	v_ldexp_f64 v[12:13], v[12:13], 32
	v_add_f64 v[6:7], v[12:13], v[6:7]
	s_branch .LBB248_1318
.LBB248_1316:
	s_mov_b64 s[0:1], -1
                                        ; implicit-def: $vgpr6_vgpr7
.LBB248_1317:
	s_mov_b64 s[18:19], 0
.LBB248_1318:
	s_and_b64 vcc, exec, s[18:19]
	s_cbranch_vccz .LBB248_1338
; %bb.1319:
	s_cmp_lt_i32 s22, 27
	s_cbranch_scc1 .LBB248_1322
; %bb.1320:
	s_cmp_gt_i32 s22, 27
	s_cbranch_scc0 .LBB248_1323
; %bb.1321:
	global_load_dword v1, v[4:5], off
	s_mov_b64 s[16:17], 0
	s_waitcnt vmcnt(0)
	v_cvt_f64_u32_e32 v[6:7], v1
	s_branch .LBB248_1324
.LBB248_1322:
	s_mov_b64 s[16:17], -1
                                        ; implicit-def: $vgpr6_vgpr7
	s_branch .LBB248_1327
.LBB248_1323:
	s_mov_b64 s[16:17], -1
                                        ; implicit-def: $vgpr6_vgpr7
.LBB248_1324:
	s_andn2_b64 vcc, exec, s[16:17]
	s_cbranch_vccnz .LBB248_1326
; %bb.1325:
	global_load_ushort v1, v[4:5], off
	s_waitcnt vmcnt(0)
	v_cvt_f64_u32_e32 v[6:7], v1
.LBB248_1326:
	s_mov_b64 s[16:17], 0
.LBB248_1327:
	s_andn2_b64 vcc, exec, s[16:17]
	s_cbranch_vccnz .LBB248_1337
; %bb.1328:
	global_load_ubyte v1, v[4:5], off
	s_movk_i32 s16, 0x7f
	s_waitcnt vmcnt(0)
	v_cmp_lt_i16_e32 vcc, s16, v1
	s_mov_b64 s[16:17], 0
	s_and_saveexec_b64 s[18:19], vcc
	s_xor_b64 s[18:19], exec, s[18:19]
	s_cbranch_execz .LBB248_1332
; %bb.1329:
	s_movk_i32 s16, 0x80
	v_cmp_eq_u16_e32 vcc, s16, v1
	s_mov_b64 s[16:17], -1
	s_and_saveexec_b64 s[20:21], vcc
; %bb.1330:
	s_xor_b64 s[16:17], exec, -1
; %bb.1331:
	s_or_b64 exec, exec, s[20:21]
	s_and_b64 s[16:17], s[16:17], exec
.LBB248_1332:
	s_or_saveexec_b64 s[18:19], s[18:19]
	v_bfrev_b32_e32 v6, 4
	v_mov_b32_e32 v7, 0x7ff80000
	s_xor_b64 exec, exec, s[18:19]
; %bb.1333:
	v_cmp_ne_u16_e32 vcc, 0, v1
	s_andn2_b64 s[16:17], s[16:17], exec
	s_and_b64 s[20:21], vcc, exec
	v_mov_b64_e32 v[6:7], 0
	s_or_b64 s[16:17], s[16:17], s[20:21]
; %bb.1334:
	s_or_b64 exec, exec, s[18:19]
	s_and_saveexec_b64 s[18:19], s[16:17]
	s_cbranch_execz .LBB248_1336
; %bb.1335:
	v_lshlrev_b32_e32 v6, 24, v1
	v_and_b32_e32 v1, 0xffff, v1
	v_and_b32_e32 v7, 7, v1
	v_ffbh_u32_e32 v12, v7
	v_min_u32_e32 v12, 32, v12
	v_subrev_u32_e32 v13, 28, v12
	v_bfe_u32 v11, v1, 3, 4
	v_lshlrev_b32_e32 v1, v13, v1
	v_sub_u32_e32 v12, 29, v12
	v_and_b32_e32 v1, 7, v1
	v_cmp_eq_u32_e32 vcc, 0, v11
	v_and_b32_e32 v6, 0x80000000, v6
	s_nop 0
	v_cndmask_b32_e32 v11, v11, v12, vcc
	v_cndmask_b32_e32 v1, v7, v1, vcc
	v_mov_b32_e32 v7, 0x3b800000
	v_lshlrev_b32_e32 v1, 20, v1
	v_lshl_add_u32 v7, v11, 23, v7
	v_or3_b32 v1, v6, v7, v1
	v_cvt_f64_f32_e32 v[6:7], v1
.LBB248_1336:
	s_or_b64 exec, exec, s[18:19]
.LBB248_1337:
	s_mov_b64 s[16:17], -1
.LBB248_1338:
	s_mov_b64 s[18:19], 0
.LBB248_1339:
	s_and_b64 vcc, exec, s[18:19]
	s_cbranch_vccz .LBB248_1370
; %bb.1340:
	s_cmp_gt_i32 s22, 22
	s_cbranch_scc0 .LBB248_1352
; %bb.1341:
	s_cmp_lt_i32 s22, 24
	s_cbranch_scc1 .LBB248_1353
; %bb.1342:
	s_cmp_gt_i32 s22, 24
	s_cbranch_scc0 .LBB248_1354
; %bb.1343:
	global_load_ubyte v1, v[4:5], off
	s_movk_i32 s10, 0x7f
	s_waitcnt vmcnt(0)
	v_cmp_lt_i16_e32 vcc, s10, v1
	s_mov_b64 s[10:11], 0
	s_and_saveexec_b64 s[16:17], vcc
	s_xor_b64 s[16:17], exec, s[16:17]
	s_cbranch_execz .LBB248_1347
; %bb.1344:
	s_movk_i32 s10, 0x80
	v_cmp_eq_u16_e32 vcc, s10, v1
	s_mov_b64 s[10:11], -1
	s_and_saveexec_b64 s[18:19], vcc
; %bb.1345:
	s_xor_b64 s[10:11], exec, -1
; %bb.1346:
	s_or_b64 exec, exec, s[18:19]
	s_and_b64 s[10:11], s[10:11], exec
.LBB248_1347:
	s_or_saveexec_b64 s[16:17], s[16:17]
	v_bfrev_b32_e32 v6, 4
	v_mov_b32_e32 v7, 0x7ff80000
	s_xor_b64 exec, exec, s[16:17]
; %bb.1348:
	v_cmp_ne_u16_e32 vcc, 0, v1
	s_andn2_b64 s[10:11], s[10:11], exec
	s_and_b64 s[18:19], vcc, exec
	v_mov_b64_e32 v[6:7], 0
	s_or_b64 s[10:11], s[10:11], s[18:19]
; %bb.1349:
	s_or_b64 exec, exec, s[16:17]
	s_and_saveexec_b64 s[16:17], s[10:11]
	s_cbranch_execz .LBB248_1351
; %bb.1350:
	v_lshlrev_b32_e32 v6, 24, v1
	v_and_b32_e32 v1, 0xffff, v1
	v_and_b32_e32 v7, 3, v1
	v_ffbh_u32_e32 v12, v7
	v_min_u32_e32 v12, 32, v12
	v_subrev_u32_e32 v13, 29, v12
	v_bfe_u32 v11, v1, 2, 5
	v_lshlrev_b32_e32 v1, v13, v1
	v_sub_u32_e32 v12, 30, v12
	v_and_b32_e32 v1, 3, v1
	v_cmp_eq_u32_e32 vcc, 0, v11
	v_and_b32_e32 v6, 0x80000000, v6
	s_nop 0
	v_cndmask_b32_e32 v11, v11, v12, vcc
	v_cndmask_b32_e32 v1, v7, v1, vcc
	v_mov_b32_e32 v7, 0x37800000
	v_lshlrev_b32_e32 v1, 21, v1
	v_lshl_add_u32 v7, v11, 23, v7
	v_or3_b32 v1, v6, v7, v1
	v_cvt_f64_f32_e32 v[6:7], v1
.LBB248_1351:
	s_or_b64 exec, exec, s[16:17]
	s_mov_b64 s[10:11], 0
	s_branch .LBB248_1355
.LBB248_1352:
	s_mov_b64 s[10:11], -1
                                        ; implicit-def: $vgpr6_vgpr7
	s_branch .LBB248_1361
.LBB248_1353:
	s_mov_b64 s[10:11], -1
                                        ; implicit-def: $vgpr6_vgpr7
	s_branch .LBB248_1358
.LBB248_1354:
	s_mov_b64 s[10:11], -1
                                        ; implicit-def: $vgpr6_vgpr7
.LBB248_1355:
	s_and_b64 vcc, exec, s[10:11]
	s_cbranch_vccz .LBB248_1357
; %bb.1356:
	global_load_ubyte v1, v[4:5], off
	s_mov_b32 s10, 0x7f800000
	s_waitcnt vmcnt(0)
	v_lshlrev_b32_e32 v1, 24, v1
	v_and_b32_e32 v6, 0x7f000000, v1
	v_ffbh_u32_e32 v7, v6
	v_min_u32_e32 v7, 32, v7
	v_sub_u32_e64 v7, v7, 4 clamp
	v_lshlrev_b32_e32 v12, v7, v6
	v_lshlrev_b32_e32 v7, 23, v7
	v_lshrrev_b32_e32 v12, 4, v12
	v_add_u32_e32 v11, 0x1000000, v6
	v_sub_u32_e32 v7, v12, v7
	v_ashrrev_i32_e32 v11, 8, v11
	v_add_u32_e32 v7, 0x3c000000, v7
	v_and_or_b32 v7, v11, s10, v7
	v_cmp_ne_u32_e32 vcc, 0, v6
	s_brev_b32 s10, 1
	s_nop 0
	v_cndmask_b32_e32 v6, 0, v7, vcc
	v_and_or_b32 v1, v1, s10, v6
	v_cvt_f64_f32_e32 v[6:7], v1
.LBB248_1357:
	s_mov_b64 s[10:11], 0
.LBB248_1358:
	s_andn2_b64 vcc, exec, s[10:11]
	s_cbranch_vccnz .LBB248_1360
; %bb.1359:
	global_load_ubyte v1, v[4:5], off
	s_movk_i32 s10, 0x7f00
	s_brev_b32 s11, 16
	s_waitcnt vmcnt(0)
	v_lshlrev_b16_e32 v6, 8, v1
	v_lshlrev_b32_e32 v1, 25, v1
	v_lshrrev_b32_e32 v7, 4, v1
	v_and_or_b32 v11, v6, s10, 0.5
	v_or_b32_e32 v7, 0x70000000, v7
	v_add_f32_e32 v11, -0.5, v11
	v_mul_f32_e32 v7, 0x7800000, v7
	v_cmp_gt_u32_e32 vcc, s11, v1
	v_bfe_i32 v6, v6, 0, 16
	s_brev_b32 s10, 1
	v_cndmask_b32_e32 v1, v7, v11, vcc
	v_and_or_b32 v1, v6, s10, v1
	v_cvt_f64_f32_e32 v[6:7], v1
.LBB248_1360:
	s_mov_b64 s[10:11], 0
	s_mov_b64 s[16:17], -1
.LBB248_1361:
	s_andn2_b64 vcc, exec, s[10:11]
	s_mov_b64 s[10:11], 0
	s_cbranch_vccnz .LBB248_1370
; %bb.1362:
	s_cmp_gt_i32 s22, 14
	s_cbranch_scc0 .LBB248_1365
; %bb.1363:
	s_cmp_eq_u32 s22, 15
	s_cbranch_scc0 .LBB248_1366
; %bb.1364:
	global_load_ushort v1, v[4:5], off
	s_mov_b64 s[0:1], 0
	s_mov_b64 s[16:17], -1
	s_waitcnt vmcnt(0)
	v_lshlrev_b32_e32 v1, 16, v1
	v_cvt_f64_f32_e32 v[6:7], v1
	s_branch .LBB248_1367
.LBB248_1365:
	s_mov_b64 s[18:19], -1
                                        ; implicit-def: $vgpr6_vgpr7
	s_branch .LBB248_1368
.LBB248_1366:
	s_mov_b64 s[0:1], -1
                                        ; implicit-def: $vgpr6_vgpr7
.LBB248_1367:
	s_mov_b64 s[18:19], 0
.LBB248_1368:
	s_and_b64 vcc, exec, s[18:19]
	s_cbranch_vccz .LBB248_1370
; %bb.1369:
	s_cmp_lg_u32 s22, 11
	s_mov_b64 s[10:11], -1
	s_cselect_b64 s[0:1], -1, 0
.LBB248_1370:
	s_and_b64 vcc, exec, s[0:1]
	s_cbranch_vccnz .LBB248_1468
; %bb.1371:
	s_andn2_b64 vcc, exec, s[10:11]
	s_cbranch_vccnz .LBB248_1373
.LBB248_1372:
	global_load_ubyte v1, v[4:5], off
	v_mov_b32_e32 v7, 0x3ff00000
	v_mov_b32_e32 v6, 0
	s_mov_b64 s[16:17], -1
	s_waitcnt vmcnt(0)
	v_cmp_ne_u16_e32 vcc, 0, v1
	s_nop 1
	v_cndmask_b32_e32 v7, 0, v7, vcc
.LBB248_1373:
	s_branch .LBB248_1289
.LBB248_1374:
	s_cmp_lt_i32 s22, 5
	s_cbranch_scc1 .LBB248_1379
; %bb.1375:
	s_cmp_lt_i32 s22, 8
	s_cbranch_scc1 .LBB248_1380
; %bb.1376:
	;; [unrolled: 3-line block ×3, first 2 shown]
	s_cmp_gt_i32 s22, 9
	s_cbranch_scc0 .LBB248_1382
; %bb.1378:
	global_load_dwordx2 v[6:7], v[4:5], off
	s_mov_b64 s[0:1], 0
	s_branch .LBB248_1383
.LBB248_1379:
	s_mov_b64 s[0:1], -1
                                        ; implicit-def: $vgpr6_vgpr7
	s_branch .LBB248_1401
.LBB248_1380:
	s_mov_b64 s[0:1], -1
                                        ; implicit-def: $vgpr6_vgpr7
	s_branch .LBB248_1389
.LBB248_1381:
	s_mov_b64 s[0:1], -1
                                        ; implicit-def: $vgpr6_vgpr7
	s_branch .LBB248_1386
.LBB248_1382:
	s_mov_b64 s[0:1], -1
                                        ; implicit-def: $vgpr6_vgpr7
.LBB248_1383:
	s_andn2_b64 vcc, exec, s[0:1]
	s_cbranch_vccnz .LBB248_1385
; %bb.1384:
	global_load_dword v1, v[4:5], off
	s_waitcnt vmcnt(0)
	v_cvt_f64_f32_e32 v[6:7], v1
.LBB248_1385:
	s_mov_b64 s[0:1], 0
.LBB248_1386:
	s_andn2_b64 vcc, exec, s[0:1]
	s_cbranch_vccnz .LBB248_1388
; %bb.1387:
	global_load_dword v1, v[4:5], off
	s_waitcnt vmcnt(0)
	v_cvt_f32_f16_e32 v1, v1
	v_cvt_f64_f32_e32 v[6:7], v1
.LBB248_1388:
	s_mov_b64 s[0:1], 0
.LBB248_1389:
	s_andn2_b64 vcc, exec, s[0:1]
	s_cbranch_vccnz .LBB248_1400
; %bb.1390:
	s_cmp_lt_i32 s22, 6
	s_cbranch_scc1 .LBB248_1393
; %bb.1391:
	s_cmp_gt_i32 s22, 6
	s_cbranch_scc0 .LBB248_1394
; %bb.1392:
	global_load_dwordx2 v[6:7], v[4:5], off
	s_mov_b64 s[0:1], 0
	s_branch .LBB248_1395
.LBB248_1393:
	s_mov_b64 s[0:1], -1
                                        ; implicit-def: $vgpr6_vgpr7
	s_branch .LBB248_1398
.LBB248_1394:
	s_mov_b64 s[0:1], -1
                                        ; implicit-def: $vgpr6_vgpr7
.LBB248_1395:
	s_andn2_b64 vcc, exec, s[0:1]
	s_cbranch_vccnz .LBB248_1397
; %bb.1396:
	global_load_dword v1, v[4:5], off
	s_waitcnt vmcnt(0)
	v_cvt_f64_f32_e32 v[6:7], v1
.LBB248_1397:
	s_mov_b64 s[0:1], 0
.LBB248_1398:
	s_andn2_b64 vcc, exec, s[0:1]
	s_cbranch_vccnz .LBB248_1400
; %bb.1399:
	global_load_ushort v1, v[4:5], off
	s_waitcnt vmcnt(0)
	v_cvt_f32_f16_e32 v1, v1
	v_cvt_f64_f32_e32 v[6:7], v1
.LBB248_1400:
	s_mov_b64 s[0:1], 0
.LBB248_1401:
	s_andn2_b64 vcc, exec, s[0:1]
	s_cbranch_vccnz .LBB248_1421
; %bb.1402:
	s_cmp_lt_i32 s22, 2
	s_cbranch_scc1 .LBB248_1406
; %bb.1403:
	s_cmp_lt_i32 s22, 3
	s_cbranch_scc1 .LBB248_1407
; %bb.1404:
	s_cmp_gt_i32 s22, 3
	s_cbranch_scc0 .LBB248_1408
; %bb.1405:
	global_load_dwordx2 v[6:7], v[4:5], off
	s_mov_b64 s[0:1], 0
	s_waitcnt vmcnt(0)
	v_cvt_f64_i32_e32 v[12:13], v7
	v_cvt_f64_u32_e32 v[6:7], v6
	v_ldexp_f64 v[12:13], v[12:13], 32
	v_add_f64 v[6:7], v[12:13], v[6:7]
	s_branch .LBB248_1409
.LBB248_1406:
	s_mov_b64 s[0:1], -1
                                        ; implicit-def: $vgpr6_vgpr7
	s_branch .LBB248_1415
.LBB248_1407:
	s_mov_b64 s[0:1], -1
                                        ; implicit-def: $vgpr6_vgpr7
	s_branch .LBB248_1412
.LBB248_1408:
	s_mov_b64 s[0:1], -1
                                        ; implicit-def: $vgpr6_vgpr7
.LBB248_1409:
	s_andn2_b64 vcc, exec, s[0:1]
	s_cbranch_vccnz .LBB248_1411
; %bb.1410:
	global_load_dword v1, v[4:5], off
	s_waitcnt vmcnt(0)
	v_cvt_f64_i32_e32 v[6:7], v1
.LBB248_1411:
	s_mov_b64 s[0:1], 0
.LBB248_1412:
	s_andn2_b64 vcc, exec, s[0:1]
	s_cbranch_vccnz .LBB248_1414
; %bb.1413:
	global_load_sshort v1, v[4:5], off
	s_waitcnt vmcnt(0)
	v_cvt_f64_i32_e32 v[6:7], v1
.LBB248_1414:
	s_mov_b64 s[0:1], 0
.LBB248_1415:
	s_andn2_b64 vcc, exec, s[0:1]
	s_cbranch_vccnz .LBB248_1421
; %bb.1416:
	s_cmp_gt_i32 s22, 0
	s_cbranch_scc0 .LBB248_1418
; %bb.1417:
	global_load_sbyte v1, v[4:5], off
	s_mov_b64 s[0:1], 0
	s_waitcnt vmcnt(0)
	v_cvt_f64_i32_e32 v[6:7], v1
	s_branch .LBB248_1419
.LBB248_1418:
	s_mov_b64 s[0:1], -1
                                        ; implicit-def: $vgpr6_vgpr7
.LBB248_1419:
	s_andn2_b64 vcc, exec, s[0:1]
	s_cbranch_vccnz .LBB248_1421
; %bb.1420:
	global_load_ubyte v1, v[4:5], off
	s_waitcnt vmcnt(0)
	v_cvt_f64_u32_e32 v[6:7], v1
.LBB248_1421:
	s_branch .LBB248_1290
.LBB248_1422:
	s_mov_b64 s[0:1], 0
                                        ; implicit-def: $sgpr20
                                        ; implicit-def: $vgpr6_vgpr7
                                        ; implicit-def: $vgpr0_vgpr1
                                        ; implicit-def: $vgpr4_vgpr5
.LBB248_1423:
	s_mov_b64 s[4:5], 0
.LBB248_1424:
	s_and_b64 s[10:11], s[4:5], exec
	s_andn2_b64 s[4:5], s[12:13], exec
	s_and_b64 s[6:7], s[14:15], exec
	s_and_b64 s[0:1], s[0:1], exec
	s_or_b64 s[12:13], s[4:5], s[6:7]
.LBB248_1425:
	s_or_b64 exec, exec, s[2:3]
	s_and_saveexec_b64 s[2:3], s[12:13]
	s_cbranch_execz .LBB248_1428
; %bb.1426:
	; divergent unreachable
	s_or_b64 exec, exec, s[2:3]
	s_and_saveexec_b64 s[2:3], s[10:11]
	s_xor_b64 s[2:3], exec, s[2:3]
	s_cbranch_execnz .LBB248_1429
.LBB248_1427:
	s_or_b64 exec, exec, s[2:3]
	s_and_saveexec_b64 s[2:3], s[0:1]
	s_cbranch_execnz .LBB248_1430
	s_branch .LBB248_1467
.LBB248_1428:
	s_or_b64 exec, exec, s[2:3]
	s_and_saveexec_b64 s[2:3], s[10:11]
	s_xor_b64 s[2:3], exec, s[2:3]
	s_cbranch_execz .LBB248_1427
.LBB248_1429:
	s_waitcnt vmcnt(0)
	v_cmp_neq_f64_e32 vcc, 0, v[4:5]
	s_nop 1
	v_cndmask_b32_e64 v2, 0, 1, vcc
	global_store_byte v[6:7], v2, off
	s_or_b64 exec, exec, s[2:3]
	s_and_saveexec_b64 s[2:3], s[0:1]
	s_cbranch_execz .LBB248_1467
.LBB248_1430:
	s_sext_i32_i16 s2, s20
	s_cmp_lt_i32 s2, 5
	s_mov_b64 s[0:1], -1
	s_cbranch_scc1 .LBB248_1451
; %bb.1431:
	s_cmp_lt_i32 s2, 8
	s_cbranch_scc1 .LBB248_1441
; %bb.1432:
	s_cmp_lt_i32 s2, 9
	s_cbranch_scc1 .LBB248_1438
; %bb.1433:
	s_cmp_gt_i32 s2, 9
	s_cbranch_scc0 .LBB248_1435
; %bb.1434:
	s_waitcnt vmcnt(0)
	v_mov_b32_e32 v2, 0
	v_mov_b32_e32 v3, v2
	global_store_dwordx4 v[6:7], v[0:3], off
	s_mov_b64 s[0:1], 0
.LBB248_1435:
	s_andn2_b64 vcc, exec, s[0:1]
	s_cbranch_vccnz .LBB248_1437
; %bb.1436:
	s_waitcnt vmcnt(0)
	v_cvt_f32_f64_e32 v2, v[0:1]
	v_mov_b32_e32 v3, 0
	global_store_dwordx2 v[6:7], v[2:3], off
.LBB248_1437:
	s_mov_b64 s[0:1], 0
.LBB248_1438:
	s_andn2_b64 vcc, exec, s[0:1]
	s_cbranch_vccnz .LBB248_1440
; %bb.1439:
	s_movk_i32 s0, 0x1ff
	s_waitcnt vmcnt(0)
	v_and_or_b32 v2, v1, s0, v0
	v_cmp_ne_u32_e32 vcc, 0, v2
	v_lshrrev_b32_e32 v3, 8, v1
	s_movk_i32 s0, 0xffe
	v_cndmask_b32_e64 v2, 0, 1, vcc
	v_bfe_u32 v4, v1, 20, 11
	v_and_or_b32 v2, v3, s0, v2
	v_sub_u32_e32 v5, 0x3f1, v4
	v_or_b32_e32 v3, 0x1000, v2
	v_med3_i32 v5, v5, 0, 13
	v_lshrrev_b32_e32 v8, v5, v3
	v_lshlrev_b32_e32 v5, v5, v8
	v_cmp_ne_u32_e32 vcc, v5, v3
	v_add_u32_e32 v4, 0xfffffc10, v4
	v_lshl_or_b32 v5, v4, 12, v2
	v_cndmask_b32_e64 v3, 0, 1, vcc
	v_or_b32_e32 v3, v8, v3
	v_cmp_gt_i32_e32 vcc, 1, v4
	s_movk_i32 s0, 0x40f
	s_nop 0
	v_cndmask_b32_e32 v3, v5, v3, vcc
	v_and_b32_e32 v5, 7, v3
	v_cmp_lt_i32_e32 vcc, 5, v5
	v_lshrrev_b32_e32 v3, 2, v3
	s_nop 0
	v_cndmask_b32_e64 v8, 0, 1, vcc
	v_cmp_eq_u32_e32 vcc, 3, v5
	s_nop 1
	v_cndmask_b32_e64 v5, 0, 1, vcc
	v_or_b32_e32 v5, v5, v8
	v_add_u32_e32 v3, v3, v5
	v_mov_b32_e32 v5, 0x7c00
	v_cmp_gt_i32_e32 vcc, 31, v4
	v_mov_b32_e32 v8, 0x7e00
	s_nop 0
	v_cndmask_b32_e32 v3, v5, v3, vcc
	v_cmp_ne_u32_e32 vcc, 0, v2
	s_nop 1
	v_cndmask_b32_e32 v2, v5, v8, vcc
	v_cmp_eq_u32_e32 vcc, s0, v4
	s_mov_b32 s0, 0x8000
	s_nop 0
	v_cndmask_b32_e32 v2, v3, v2, vcc
	v_and_b32_sdwa v3, v1, s0 dst_sel:DWORD dst_unused:UNUSED_PAD src0_sel:WORD_1 src1_sel:DWORD
	s_mov_b32 s0, 0xffff
	v_bitop3_b32 v2, v3, s0, v2 bitop3:0xc8
	global_store_dword v[6:7], v2, off
.LBB248_1440:
	s_mov_b64 s[0:1], 0
.LBB248_1441:
	s_andn2_b64 vcc, exec, s[0:1]
	s_cbranch_vccnz .LBB248_1450
; %bb.1442:
	s_sext_i32_i16 s2, s20
	s_cmp_lt_i32 s2, 6
	s_mov_b64 s[0:1], -1
	s_cbranch_scc1 .LBB248_1448
; %bb.1443:
	s_cmp_gt_i32 s2, 6
	s_cbranch_scc0 .LBB248_1445
; %bb.1444:
	s_waitcnt vmcnt(0)
	global_store_dwordx2 v[6:7], v[0:1], off
	s_mov_b64 s[0:1], 0
.LBB248_1445:
	s_andn2_b64 vcc, exec, s[0:1]
	s_cbranch_vccnz .LBB248_1447
; %bb.1446:
	s_waitcnt vmcnt(0)
	v_cvt_f32_f64_e32 v2, v[0:1]
	global_store_dword v[6:7], v2, off
.LBB248_1447:
	s_mov_b64 s[0:1], 0
.LBB248_1448:
	s_andn2_b64 vcc, exec, s[0:1]
	s_cbranch_vccnz .LBB248_1450
; %bb.1449:
	s_movk_i32 s0, 0x1ff
	s_waitcnt vmcnt(0)
	v_and_or_b32 v2, v1, s0, v0
	v_cmp_ne_u32_e32 vcc, 0, v2
	v_lshrrev_b32_e32 v3, 8, v1
	s_movk_i32 s0, 0xffe
	v_cndmask_b32_e64 v2, 0, 1, vcc
	v_bfe_u32 v4, v1, 20, 11
	v_and_or_b32 v2, v3, s0, v2
	v_sub_u32_e32 v5, 0x3f1, v4
	v_or_b32_e32 v3, 0x1000, v2
	v_med3_i32 v5, v5, 0, 13
	v_lshrrev_b32_e32 v8, v5, v3
	v_lshlrev_b32_e32 v5, v5, v8
	v_cmp_ne_u32_e32 vcc, v5, v3
	v_add_u32_e32 v4, 0xfffffc10, v4
	v_lshl_or_b32 v5, v4, 12, v2
	v_cndmask_b32_e64 v3, 0, 1, vcc
	v_or_b32_e32 v3, v8, v3
	v_cmp_gt_i32_e32 vcc, 1, v4
	s_movk_i32 s0, 0x40f
	s_nop 0
	v_cndmask_b32_e32 v3, v5, v3, vcc
	v_and_b32_e32 v5, 7, v3
	v_cmp_lt_i32_e32 vcc, 5, v5
	v_lshrrev_b32_e32 v3, 2, v3
	s_nop 0
	v_cndmask_b32_e64 v8, 0, 1, vcc
	v_cmp_eq_u32_e32 vcc, 3, v5
	s_nop 1
	v_cndmask_b32_e64 v5, 0, 1, vcc
	v_or_b32_e32 v5, v5, v8
	v_add_u32_e32 v3, v3, v5
	v_mov_b32_e32 v5, 0x7c00
	v_cmp_gt_i32_e32 vcc, 31, v4
	v_mov_b32_e32 v8, 0x7e00
	s_nop 0
	v_cndmask_b32_e32 v3, v5, v3, vcc
	v_cmp_ne_u32_e32 vcc, 0, v2
	s_nop 1
	v_cndmask_b32_e32 v2, v5, v8, vcc
	v_cmp_eq_u32_e32 vcc, s0, v4
	s_mov_b32 s0, 0x8000
	s_nop 0
	v_cndmask_b32_e32 v2, v3, v2, vcc
	v_lshrrev_b32_e32 v3, 16, v1
	v_and_or_b32 v2, v3, s0, v2
	global_store_short v[6:7], v2, off
.LBB248_1450:
	s_mov_b64 s[0:1], 0
.LBB248_1451:
	s_andn2_b64 vcc, exec, s[0:1]
	s_cbranch_vccnz .LBB248_1467
; %bb.1452:
	s_sext_i32_i16 s2, s20
	s_cmp_lt_i32 s2, 2
	s_mov_b64 s[0:1], -1
	s_cbranch_scc1 .LBB248_1462
; %bb.1453:
	s_cmp_lt_i32 s2, 3
	s_cbranch_scc1 .LBB248_1459
; %bb.1454:
	s_cmp_gt_i32 s2, 3
	s_cbranch_scc0 .LBB248_1456
; %bb.1455:
	s_waitcnt vmcnt(0)
	v_trunc_f64_e32 v[2:3], v[0:1]
	s_movk_i32 s0, 0xffe0
	v_ldexp_f64 v[4:5], v[2:3], s0
	v_floor_f64_e32 v[4:5], v[4:5]
	v_fmac_f64_e32 v[2:3], 0xc1f00000, v[4:5]
	v_cvt_i32_f64_e32 v9, v[4:5]
	v_cvt_u32_f64_e32 v8, v[2:3]
	global_store_dwordx2 v[6:7], v[8:9], off
	s_mov_b64 s[0:1], 0
.LBB248_1456:
	s_andn2_b64 vcc, exec, s[0:1]
	s_cbranch_vccnz .LBB248_1458
; %bb.1457:
	s_waitcnt vmcnt(0)
	v_cvt_i32_f64_e32 v2, v[0:1]
	global_store_dword v[6:7], v2, off
.LBB248_1458:
	s_mov_b64 s[0:1], 0
.LBB248_1459:
	s_andn2_b64 vcc, exec, s[0:1]
	s_cbranch_vccnz .LBB248_1461
; %bb.1460:
	s_waitcnt vmcnt(0)
	v_cvt_i32_f64_e32 v2, v[0:1]
	global_store_short v[6:7], v2, off
.LBB248_1461:
	s_mov_b64 s[0:1], 0
.LBB248_1462:
	s_andn2_b64 vcc, exec, s[0:1]
	s_cbranch_vccnz .LBB248_1467
; %bb.1463:
	s_sext_i32_i16 s0, s20
	s_cmp_gt_i32 s0, 0
	s_mov_b64 s[0:1], -1
	s_cbranch_scc0 .LBB248_1465
; %bb.1464:
	s_waitcnt vmcnt(0)
	v_cvt_i32_f64_e32 v2, v[0:1]
	global_store_byte v[6:7], v2, off
	s_mov_b64 s[0:1], 0
.LBB248_1465:
	s_andn2_b64 vcc, exec, s[0:1]
	s_cbranch_vccnz .LBB248_1467
; %bb.1466:
	v_trunc_f64_e32 v[0:1], v[0:1]
	s_movk_i32 s0, 0xffe0
	s_waitcnt vmcnt(0)
	v_ldexp_f64 v[2:3], v[0:1], s0
	v_floor_f64_e32 v[2:3], v[2:3]
	v_fmac_f64_e32 v[0:1], 0xc1f00000, v[2:3]
	v_cvt_u32_f64_e32 v0, v[0:1]
	global_store_byte v[6:7], v0, off
	s_endpgm
.LBB248_1467:
	s_endpgm
.LBB248_1468:
	s_trap 2
	s_or_b64 s[14:15], s[14:15], exec
	s_cbranch_execz .LBB248_1372
	s_branch .LBB248_1373
.LBB248_1469:
	s_mov_b64 s[0:1], -1
                                        ; implicit-def: $vgpr4_vgpr5
	s_mov_b64 s[10:11], 0
.LBB248_1470:
	s_and_b64 vcc, exec, s[16:17]
	s_cbranch_vccz .LBB248_1474
; %bb.1471:
	s_cmp_eq_u32 s22, 44
	s_cbranch_scc0 .LBB248_1473
; %bb.1472:
	global_load_ubyte v11, v[0:1], off
	s_movk_i32 s9, 0xff
	v_bfrev_b32_e32 v12, 4
	v_mov_b32_e32 v13, 0x7ff80000
	v_bfrev_b32_e32 v14, 28
	s_mov_b64 s[0:1], 0
	s_mov_b64 s[10:11], -1
	s_waitcnt vmcnt(0)
	v_lshlrev_b32_e32 v4, 23, v11
	v_cvt_f64_f32_e32 v[4:5], v4
	v_cmp_ne_u32_e32 vcc, s9, v11
	s_nop 1
	v_cndmask_b32_e32 v4, v12, v4, vcc
	v_cndmask_b32_e32 v5, v13, v5, vcc
	v_cmp_ne_u32_e32 vcc, 0, v11
	s_nop 1
	v_cndmask_b32_e32 v5, v14, v5, vcc
	v_cndmask_b32_e32 v4, 0, v4, vcc
	s_branch .LBB248_1474
.LBB248_1473:
	s_mov_b64 s[0:1], -1
                                        ; implicit-def: $vgpr4_vgpr5
.LBB248_1474:
	s_mov_b64 s[16:17], 0
.LBB248_1475:
	s_and_b64 vcc, exec, s[16:17]
	s_cbranch_vccz .LBB248_1479
; %bb.1476:
	s_cmp_eq_u32 s22, 29
	s_cbranch_scc0 .LBB248_1478
; %bb.1477:
	global_load_dwordx2 v[4:5], v[0:1], off
	s_mov_b64 s[0:1], 0
	s_mov_b64 s[10:11], -1
	s_mov_b64 s[16:17], 0
	s_waitcnt vmcnt(0)
	v_cvt_f64_u32_e32 v[12:13], v5
	v_cvt_f64_u32_e32 v[4:5], v4
	v_ldexp_f64 v[12:13], v[12:13], 32
	v_add_f64 v[4:5], v[12:13], v[4:5]
	s_branch .LBB248_1480
.LBB248_1478:
	s_mov_b64 s[0:1], -1
                                        ; implicit-def: $vgpr4_vgpr5
.LBB248_1479:
	s_mov_b64 s[16:17], 0
.LBB248_1480:
	s_and_b64 vcc, exec, s[16:17]
	s_cbranch_vccz .LBB248_1500
; %bb.1481:
	s_cmp_lt_i32 s22, 27
	s_cbranch_scc1 .LBB248_1484
; %bb.1482:
	s_cmp_gt_i32 s22, 27
	s_cbranch_scc0 .LBB248_1485
; %bb.1483:
	global_load_dword v4, v[0:1], off
	s_mov_b64 s[10:11], 0
	s_waitcnt vmcnt(0)
	v_cvt_f64_u32_e32 v[4:5], v4
	s_branch .LBB248_1486
.LBB248_1484:
	s_mov_b64 s[10:11], -1
                                        ; implicit-def: $vgpr4_vgpr5
	s_branch .LBB248_1489
.LBB248_1485:
	s_mov_b64 s[10:11], -1
                                        ; implicit-def: $vgpr4_vgpr5
.LBB248_1486:
	s_andn2_b64 vcc, exec, s[10:11]
	s_cbranch_vccnz .LBB248_1488
; %bb.1487:
	global_load_ushort v4, v[0:1], off
	s_waitcnt vmcnt(0)
	v_cvt_f64_u32_e32 v[4:5], v4
.LBB248_1488:
	s_mov_b64 s[10:11], 0
.LBB248_1489:
	s_andn2_b64 vcc, exec, s[10:11]
	s_cbranch_vccnz .LBB248_1499
; %bb.1490:
	global_load_ubyte v11, v[0:1], off
	s_movk_i32 s9, 0x7f
	s_mov_b64 s[10:11], 0
	s_waitcnt vmcnt(0)
	v_cmp_lt_i16_e32 vcc, s9, v11
	s_and_saveexec_b64 s[16:17], vcc
	s_xor_b64 s[16:17], exec, s[16:17]
	s_cbranch_execz .LBB248_1494
; %bb.1491:
	s_movk_i32 s9, 0x80
	v_cmp_eq_u16_e32 vcc, s9, v11
	s_mov_b64 s[10:11], -1
	s_and_saveexec_b64 s[18:19], vcc
; %bb.1492:
	s_xor_b64 s[10:11], exec, -1
; %bb.1493:
	s_or_b64 exec, exec, s[18:19]
	s_and_b64 s[10:11], s[10:11], exec
.LBB248_1494:
	s_or_saveexec_b64 s[16:17], s[16:17]
	v_bfrev_b32_e32 v4, 4
	v_mov_b32_e32 v5, 0x7ff80000
	s_xor_b64 exec, exec, s[16:17]
; %bb.1495:
	v_cmp_ne_u16_e32 vcc, 0, v11
	s_andn2_b64 s[10:11], s[10:11], exec
	s_and_b64 s[18:19], vcc, exec
	v_mov_b64_e32 v[4:5], 0
	s_or_b64 s[10:11], s[10:11], s[18:19]
; %bb.1496:
	s_or_b64 exec, exec, s[16:17]
	s_and_saveexec_b64 s[16:17], s[10:11]
	s_cbranch_execz .LBB248_1498
; %bb.1497:
	v_and_b32_e32 v5, 0xffff, v11
	v_lshlrev_b32_e32 v4, 24, v11
	v_and_b32_e32 v11, 7, v5
	v_ffbh_u32_e32 v13, v11
	v_min_u32_e32 v13, 32, v13
	v_subrev_u32_e32 v14, 28, v13
	v_bfe_u32 v12, v5, 3, 4
	v_lshlrev_b32_e32 v5, v14, v5
	v_sub_u32_e32 v13, 29, v13
	v_and_b32_e32 v5, 7, v5
	v_cmp_eq_u32_e32 vcc, 0, v12
	v_and_b32_e32 v4, 0x80000000, v4
	s_nop 0
	v_cndmask_b32_e32 v12, v12, v13, vcc
	v_cndmask_b32_e32 v5, v11, v5, vcc
	v_mov_b32_e32 v11, 0x3b800000
	v_lshlrev_b32_e32 v5, 20, v5
	v_lshl_add_u32 v11, v12, 23, v11
	v_or3_b32 v4, v4, v11, v5
	v_cvt_f64_f32_e32 v[4:5], v4
.LBB248_1498:
	s_or_b64 exec, exec, s[16:17]
.LBB248_1499:
	s_mov_b64 s[10:11], -1
.LBB248_1500:
	s_mov_b64 s[16:17], 0
.LBB248_1501:
	s_and_b64 vcc, exec, s[16:17]
	s_cbranch_vccz .LBB248_1532
; %bb.1502:
	s_cmp_gt_i32 s22, 22
	s_cbranch_scc0 .LBB248_1514
; %bb.1503:
	s_cmp_lt_i32 s22, 24
	s_cbranch_scc1 .LBB248_1515
; %bb.1504:
	s_cmp_gt_i32 s22, 24
	s_cbranch_scc0 .LBB248_1516
; %bb.1505:
	global_load_ubyte v11, v[0:1], off
	s_movk_i32 s6, 0x7f
	s_waitcnt vmcnt(0)
	v_cmp_lt_i16_e32 vcc, s6, v11
	s_mov_b64 s[6:7], 0
	s_and_saveexec_b64 s[10:11], vcc
	s_xor_b64 s[10:11], exec, s[10:11]
	s_cbranch_execz .LBB248_1509
; %bb.1506:
	s_movk_i32 s6, 0x80
	v_cmp_eq_u16_e32 vcc, s6, v11
	s_mov_b64 s[6:7], -1
	s_and_saveexec_b64 s[16:17], vcc
; %bb.1507:
	s_xor_b64 s[6:7], exec, -1
; %bb.1508:
	s_or_b64 exec, exec, s[16:17]
	s_and_b64 s[6:7], s[6:7], exec
.LBB248_1509:
	s_or_saveexec_b64 s[10:11], s[10:11]
	v_bfrev_b32_e32 v4, 4
	v_mov_b32_e32 v5, 0x7ff80000
	s_xor_b64 exec, exec, s[10:11]
; %bb.1510:
	v_cmp_ne_u16_e32 vcc, 0, v11
	s_andn2_b64 s[6:7], s[6:7], exec
	s_and_b64 s[16:17], vcc, exec
	v_mov_b64_e32 v[4:5], 0
	s_or_b64 s[6:7], s[6:7], s[16:17]
; %bb.1511:
	s_or_b64 exec, exec, s[10:11]
	s_and_saveexec_b64 s[10:11], s[6:7]
	s_cbranch_execz .LBB248_1513
; %bb.1512:
	v_and_b32_e32 v5, 0xffff, v11
	v_lshlrev_b32_e32 v4, 24, v11
	v_and_b32_e32 v11, 3, v5
	v_ffbh_u32_e32 v13, v11
	v_min_u32_e32 v13, 32, v13
	v_subrev_u32_e32 v14, 29, v13
	v_bfe_u32 v12, v5, 2, 5
	v_lshlrev_b32_e32 v5, v14, v5
	v_sub_u32_e32 v13, 30, v13
	v_and_b32_e32 v5, 3, v5
	v_cmp_eq_u32_e32 vcc, 0, v12
	v_and_b32_e32 v4, 0x80000000, v4
	s_nop 0
	v_cndmask_b32_e32 v12, v12, v13, vcc
	v_cndmask_b32_e32 v5, v11, v5, vcc
	v_mov_b32_e32 v11, 0x37800000
	v_lshlrev_b32_e32 v5, 21, v5
	v_lshl_add_u32 v11, v12, 23, v11
	v_or3_b32 v4, v4, v11, v5
	v_cvt_f64_f32_e32 v[4:5], v4
.LBB248_1513:
	s_or_b64 exec, exec, s[10:11]
	s_mov_b64 s[6:7], 0
	s_branch .LBB248_1517
.LBB248_1514:
	s_mov_b64 s[6:7], -1
                                        ; implicit-def: $vgpr4_vgpr5
	s_branch .LBB248_1523
.LBB248_1515:
	s_mov_b64 s[6:7], -1
                                        ; implicit-def: $vgpr4_vgpr5
	s_branch .LBB248_1520
.LBB248_1516:
	s_mov_b64 s[6:7], -1
                                        ; implicit-def: $vgpr4_vgpr5
.LBB248_1517:
	s_and_b64 vcc, exec, s[6:7]
	s_cbranch_vccz .LBB248_1519
; %bb.1518:
	global_load_ubyte v4, v[0:1], off
	s_mov_b32 s6, 0x7f800000
	s_waitcnt vmcnt(0)
	v_lshlrev_b32_e32 v4, 24, v4
	v_and_b32_e32 v5, 0x7f000000, v4
	v_ffbh_u32_e32 v11, v5
	v_min_u32_e32 v11, 32, v11
	v_sub_u32_e64 v11, v11, 4 clamp
	v_lshlrev_b32_e32 v13, v11, v5
	v_lshlrev_b32_e32 v11, 23, v11
	v_lshrrev_b32_e32 v13, 4, v13
	v_add_u32_e32 v12, 0x1000000, v5
	v_sub_u32_e32 v11, v13, v11
	v_ashrrev_i32_e32 v12, 8, v12
	v_add_u32_e32 v11, 0x3c000000, v11
	v_and_or_b32 v11, v12, s6, v11
	v_cmp_ne_u32_e32 vcc, 0, v5
	s_brev_b32 s6, 1
	s_nop 0
	v_cndmask_b32_e32 v5, 0, v11, vcc
	v_and_or_b32 v4, v4, s6, v5
	v_cvt_f64_f32_e32 v[4:5], v4
.LBB248_1519:
	s_mov_b64 s[6:7], 0
.LBB248_1520:
	s_andn2_b64 vcc, exec, s[6:7]
	s_cbranch_vccnz .LBB248_1522
; %bb.1521:
	global_load_ubyte v4, v[0:1], off
	s_movk_i32 s6, 0x7f00
	s_brev_b32 s7, 16
	s_waitcnt vmcnt(0)
	v_lshlrev_b16_e32 v5, 8, v4
	v_lshlrev_b32_e32 v4, 25, v4
	v_lshrrev_b32_e32 v11, 4, v4
	v_and_or_b32 v12, v5, s6, 0.5
	v_or_b32_e32 v11, 0x70000000, v11
	v_add_f32_e32 v12, -0.5, v12
	v_mul_f32_e32 v11, 0x7800000, v11
	v_cmp_gt_u32_e32 vcc, s7, v4
	v_bfe_i32 v5, v5, 0, 16
	s_brev_b32 s6, 1
	v_cndmask_b32_e32 v4, v11, v12, vcc
	v_and_or_b32 v4, v5, s6, v4
	v_cvt_f64_f32_e32 v[4:5], v4
.LBB248_1522:
	s_mov_b64 s[6:7], 0
	s_mov_b64 s[10:11], -1
.LBB248_1523:
	s_andn2_b64 vcc, exec, s[6:7]
	s_mov_b64 s[6:7], 0
	s_cbranch_vccnz .LBB248_1532
; %bb.1524:
	s_cmp_gt_i32 s22, 14
	s_cbranch_scc0 .LBB248_1527
; %bb.1525:
	s_cmp_eq_u32 s22, 15
	s_cbranch_scc0 .LBB248_1528
; %bb.1526:
	global_load_ushort v4, v[0:1], off
	s_mov_b64 s[0:1], 0
	s_mov_b64 s[10:11], -1
	s_waitcnt vmcnt(0)
	v_lshlrev_b32_e32 v4, 16, v4
	v_cvt_f64_f32_e32 v[4:5], v4
	s_branch .LBB248_1529
.LBB248_1527:
	s_mov_b64 s[16:17], -1
                                        ; implicit-def: $vgpr4_vgpr5
	s_branch .LBB248_1530
.LBB248_1528:
	s_mov_b64 s[0:1], -1
                                        ; implicit-def: $vgpr4_vgpr5
.LBB248_1529:
	s_mov_b64 s[16:17], 0
.LBB248_1530:
	s_and_b64 vcc, exec, s[16:17]
	s_cbranch_vccz .LBB248_1532
; %bb.1531:
	s_cmp_lg_u32 s22, 11
	s_mov_b64 s[6:7], -1
	s_cselect_b64 s[0:1], -1, 0
.LBB248_1532:
	s_and_b64 vcc, exec, s[0:1]
	s_cbranch_vccnz .LBB248_2021
; %bb.1533:
	s_andn2_b64 vcc, exec, s[6:7]
	s_cbranch_vccnz .LBB248_1535
.LBB248_1534:
	global_load_ubyte v5, v[0:1], off
	v_mov_b32_e32 v11, 0x3ff00000
	v_mov_b32_e32 v4, 0
	s_mov_b64 s[10:11], -1
	s_waitcnt vmcnt(0)
	v_cmp_ne_u16_e32 vcc, 0, v5
	s_nop 1
	v_cndmask_b32_e32 v5, 0, v11, vcc
.LBB248_1535:
	s_mov_b64 s[0:1], 0
.LBB248_1536:
	s_and_b64 vcc, exec, s[0:1]
	s_cbranch_vccz .LBB248_1585
; %bb.1537:
	s_cmp_lt_i32 s22, 5
	s_cbranch_scc1 .LBB248_1542
; %bb.1538:
	s_cmp_lt_i32 s22, 8
	s_cbranch_scc1 .LBB248_1543
	;; [unrolled: 3-line block ×3, first 2 shown]
; %bb.1540:
	s_cmp_gt_i32 s22, 9
	s_cbranch_scc0 .LBB248_1545
; %bb.1541:
	global_load_dwordx2 v[4:5], v[0:1], off
	s_mov_b64 s[0:1], 0
	s_branch .LBB248_1546
.LBB248_1542:
	s_mov_b64 s[0:1], -1
                                        ; implicit-def: $vgpr4_vgpr5
	s_branch .LBB248_1564
.LBB248_1543:
	s_mov_b64 s[0:1], -1
                                        ; implicit-def: $vgpr4_vgpr5
	s_branch .LBB248_1552
.LBB248_1544:
	s_mov_b64 s[0:1], -1
                                        ; implicit-def: $vgpr4_vgpr5
	s_branch .LBB248_1549
.LBB248_1545:
	s_mov_b64 s[0:1], -1
                                        ; implicit-def: $vgpr4_vgpr5
.LBB248_1546:
	s_andn2_b64 vcc, exec, s[0:1]
	s_cbranch_vccnz .LBB248_1548
; %bb.1547:
	global_load_dword v4, v[0:1], off
	s_waitcnt vmcnt(0)
	v_cvt_f64_f32_e32 v[4:5], v4
.LBB248_1548:
	s_mov_b64 s[0:1], 0
.LBB248_1549:
	s_andn2_b64 vcc, exec, s[0:1]
	s_cbranch_vccnz .LBB248_1551
; %bb.1550:
	global_load_dword v4, v[0:1], off
	s_waitcnt vmcnt(0)
	v_cvt_f32_f16_e32 v4, v4
	v_cvt_f64_f32_e32 v[4:5], v4
.LBB248_1551:
	s_mov_b64 s[0:1], 0
.LBB248_1552:
	s_andn2_b64 vcc, exec, s[0:1]
	s_cbranch_vccnz .LBB248_1563
; %bb.1553:
	s_cmp_lt_i32 s22, 6
	s_cbranch_scc1 .LBB248_1556
; %bb.1554:
	s_cmp_gt_i32 s22, 6
	s_cbranch_scc0 .LBB248_1557
; %bb.1555:
	global_load_dwordx2 v[4:5], v[0:1], off
	s_mov_b64 s[0:1], 0
	s_branch .LBB248_1558
.LBB248_1556:
	s_mov_b64 s[0:1], -1
                                        ; implicit-def: $vgpr4_vgpr5
	s_branch .LBB248_1561
.LBB248_1557:
	s_mov_b64 s[0:1], -1
                                        ; implicit-def: $vgpr4_vgpr5
.LBB248_1558:
	s_andn2_b64 vcc, exec, s[0:1]
	s_cbranch_vccnz .LBB248_1560
; %bb.1559:
	global_load_dword v4, v[0:1], off
	s_waitcnt vmcnt(0)
	v_cvt_f64_f32_e32 v[4:5], v4
.LBB248_1560:
	s_mov_b64 s[0:1], 0
.LBB248_1561:
	s_andn2_b64 vcc, exec, s[0:1]
	s_cbranch_vccnz .LBB248_1563
; %bb.1562:
	global_load_ushort v4, v[0:1], off
	s_waitcnt vmcnt(0)
	v_cvt_f32_f16_e32 v4, v4
	v_cvt_f64_f32_e32 v[4:5], v4
.LBB248_1563:
	s_mov_b64 s[0:1], 0
.LBB248_1564:
	s_andn2_b64 vcc, exec, s[0:1]
	s_cbranch_vccnz .LBB248_1584
; %bb.1565:
	s_cmp_lt_i32 s22, 2
	s_cbranch_scc1 .LBB248_1569
; %bb.1566:
	s_cmp_lt_i32 s22, 3
	s_cbranch_scc1 .LBB248_1570
; %bb.1567:
	s_cmp_gt_i32 s22, 3
	s_cbranch_scc0 .LBB248_1571
; %bb.1568:
	global_load_dwordx2 v[4:5], v[0:1], off
	s_mov_b64 s[0:1], 0
	s_waitcnt vmcnt(0)
	v_cvt_f64_i32_e32 v[12:13], v5
	v_cvt_f64_u32_e32 v[4:5], v4
	v_ldexp_f64 v[12:13], v[12:13], 32
	v_add_f64 v[4:5], v[12:13], v[4:5]
	s_branch .LBB248_1572
.LBB248_1569:
	s_mov_b64 s[0:1], -1
                                        ; implicit-def: $vgpr4_vgpr5
	s_branch .LBB248_1578
.LBB248_1570:
	s_mov_b64 s[0:1], -1
                                        ; implicit-def: $vgpr4_vgpr5
	s_branch .LBB248_1575
.LBB248_1571:
	s_mov_b64 s[0:1], -1
                                        ; implicit-def: $vgpr4_vgpr5
.LBB248_1572:
	s_andn2_b64 vcc, exec, s[0:1]
	s_cbranch_vccnz .LBB248_1574
; %bb.1573:
	global_load_dword v4, v[0:1], off
	s_waitcnt vmcnt(0)
	v_cvt_f64_i32_e32 v[4:5], v4
.LBB248_1574:
	s_mov_b64 s[0:1], 0
.LBB248_1575:
	s_andn2_b64 vcc, exec, s[0:1]
	s_cbranch_vccnz .LBB248_1577
; %bb.1576:
	global_load_sshort v4, v[0:1], off
	s_waitcnt vmcnt(0)
	v_cvt_f64_i32_e32 v[4:5], v4
.LBB248_1577:
	s_mov_b64 s[0:1], 0
.LBB248_1578:
	s_andn2_b64 vcc, exec, s[0:1]
	s_cbranch_vccnz .LBB248_1584
; %bb.1579:
	s_cmp_gt_i32 s22, 0
	s_cbranch_scc0 .LBB248_1581
; %bb.1580:
	global_load_sbyte v4, v[0:1], off
	s_mov_b64 s[0:1], 0
	s_waitcnt vmcnt(0)
	v_cvt_f64_i32_e32 v[4:5], v4
	s_branch .LBB248_1582
.LBB248_1581:
	s_mov_b64 s[0:1], -1
                                        ; implicit-def: $vgpr4_vgpr5
.LBB248_1582:
	s_andn2_b64 vcc, exec, s[0:1]
	s_cbranch_vccnz .LBB248_1584
; %bb.1583:
	global_load_ubyte v0, v[0:1], off
	s_waitcnt vmcnt(0)
	v_cvt_f64_u32_e32 v[4:5], v0
.LBB248_1584:
	s_mov_b64 s[10:11], -1
.LBB248_1585:
	s_andn2_b64 vcc, exec, s[10:11]
	s_cbranch_vccnz .LBB248_2019
; %bb.1586:
	s_mov_b32 s0, 0
	s_brev_b32 s1, 8
	v_mov_b32_e32 v0, 0x100
	s_waitcnt vmcnt(0)
	v_cmp_gt_f64_e32 vcc, s[0:1], v[2:3]
	v_mov_b32_e32 v11, 0xffffff80
	v_mul_lo_u32 v10, s8, v10
	v_cndmask_b32_e32 v0, 0, v0, vcc
	v_ldexp_f64 v[0:1], v[2:3], v0
	v_rsq_f64_e32 v[12:13], v[0:1]
	v_cndmask_b32_e32 v11, 0, v11, vcc
	s_and_b32 s20, s33, 0xff
	s_cmp_lt_i32 s20, 11
	v_mul_f64 v[14:15], v[0:1], v[12:13]
	v_mul_f64 v[12:13], v[12:13], 0.5
	v_fma_f64 v[16:17], -v[12:13], v[14:15], 0.5
	v_fmac_f64_e32 v[14:15], v[14:15], v[16:17]
	v_fma_f64 v[18:19], -v[14:15], v[14:15], v[0:1]
	v_fmac_f64_e32 v[12:13], v[12:13], v[16:17]
	v_fmac_f64_e32 v[14:15], v[18:19], v[12:13]
	v_fma_f64 v[16:17], -v[14:15], v[14:15], v[0:1]
	v_fmac_f64_e32 v[14:15], v[16:17], v[12:13]
	v_ldexp_f64 v[12:13], v[14:15], v11
	v_mov_b32_e32 v11, 0x260
	v_cmp_class_f64_e32 vcc, v[0:1], v11
	v_ashrrev_i32_e32 v11, 31, v10
	s_nop 0
	v_cndmask_b32_e32 v1, v13, v1, vcc
	v_cndmask_b32_e32 v0, v12, v0, vcc
	v_lshl_add_u64 v[12:13], s[4:5], 0, v[10:11]
	s_cbranch_scc1 .LBB248_1664
; %bb.1587:
	s_and_b32 s9, 0xffff, s20
	s_mov_b64 s[16:17], -1
	s_mov_b64 s[6:7], 0
	s_cmp_gt_i32 s9, 25
	s_mov_b64 s[10:11], 0
	s_mov_b64 s[0:1], 0
	s_cbranch_scc0 .LBB248_1620
; %bb.1588:
	s_cmp_gt_i32 s9, 28
	s_cbranch_scc0 .LBB248_1603
; %bb.1589:
	s_cmp_gt_i32 s9, 43
	;; [unrolled: 3-line block ×3, first 2 shown]
	s_cbranch_scc0 .LBB248_1593
; %bb.1591:
	s_mov_b64 s[0:1], -1
	s_mov_b64 s[16:17], 0
	s_cmp_eq_u32 s9, 46
	s_cbranch_scc0 .LBB248_1593
; %bb.1592:
	v_cvt_f32_f64_e32 v11, v[0:1]
	v_bfe_u32 v14, v11, 16, 1
	s_movk_i32 s0, 0x7fff
	v_add3_u32 v14, v11, v14, s0
	v_cmp_o_f32_e32 vcc, v11, v11
	v_mov_b32_e32 v11, 0x7fc0
	s_mov_b64 s[0:1], 0
	v_cndmask_b32_sdwa v11, v11, v14, vcc dst_sel:DWORD dst_unused:UNUSED_PAD src0_sel:DWORD src1_sel:WORD_1
	global_store_dword v[12:13], v11, off
	s_mov_b64 s[10:11], -1
.LBB248_1593:
	s_and_b64 vcc, exec, s[16:17]
	s_cbranch_vccz .LBB248_1598
; %bb.1594:
	s_cmp_eq_u32 s9, 44
	s_mov_b64 s[0:1], -1
	s_cbranch_scc0 .LBB248_1598
; %bb.1595:
	v_cvt_f32_f64_e32 v11, v[0:1]
	v_bfe_u32 v14, v11, 23, 8
	s_movk_i32 s0, 0xff
	v_cmp_ne_u32_e32 vcc, s0, v14
	v_mov_b32_e32 v15, 0xff
	s_and_saveexec_b64 s[10:11], vcc
; %bb.1596:
	s_mov_b32 s0, 0x3fffff
	v_lshrrev_b32_e32 v15, 23, v11
	v_and_b32_e32 v16, 0x400000, v11
	v_and_or_b32 v11, v11, s0, v14
	v_cmp_ne_u32_e32 vcc, 0, v16
	v_cmp_ne_u32_e64 s[0:1], 0, v11
	s_and_b64 s[0:1], vcc, s[0:1]
	s_nop 0
	v_cndmask_b32_e64 v11, 0, 1, s[0:1]
	v_add_u32_e32 v15, v15, v11
; %bb.1597:
	s_or_b64 exec, exec, s[10:11]
	s_mov_b64 s[0:1], 0
	s_mov_b64 s[10:11], -1
	global_store_byte v[12:13], v15, off
.LBB248_1598:
	s_mov_b64 s[16:17], 0
.LBB248_1599:
	s_and_b64 vcc, exec, s[16:17]
	s_cbranch_vccz .LBB248_1602
; %bb.1600:
	s_cmp_eq_u32 s9, 29
	s_mov_b64 s[0:1], -1
	s_cbranch_scc0 .LBB248_1602
; %bb.1601:
	v_trunc_f64_e32 v[14:15], v[0:1]
	s_movk_i32 s0, 0xffe0
	v_ldexp_f64 v[16:17], v[14:15], s0
	v_floor_f64_e32 v[16:17], v[16:17]
	v_fmac_f64_e32 v[14:15], 0xc1f00000, v[16:17]
	v_cvt_u32_f64_e32 v19, v[16:17]
	v_cvt_u32_f64_e32 v18, v[14:15]
	global_store_dwordx2 v[12:13], v[18:19], off
	s_mov_b64 s[0:1], 0
	s_mov_b64 s[10:11], -1
.LBB248_1602:
	s_mov_b64 s[16:17], 0
.LBB248_1603:
	s_and_b64 vcc, exec, s[16:17]
	s_cbranch_vccz .LBB248_1619
; %bb.1604:
	s_cmp_lt_i32 s9, 27
	s_mov_b64 s[10:11], -1
	s_cbranch_scc1 .LBB248_1610
; %bb.1605:
	s_cmp_gt_i32 s9, 27
	v_cvt_u32_f64_e32 v11, v[0:1]
	s_cbranch_scc0 .LBB248_1607
; %bb.1606:
	s_mov_b64 s[10:11], 0
	global_store_dword v[12:13], v11, off
.LBB248_1607:
	s_andn2_b64 vcc, exec, s[10:11]
	s_cbranch_vccnz .LBB248_1609
; %bb.1608:
	global_store_short v[12:13], v11, off
.LBB248_1609:
	s_mov_b64 s[10:11], 0
.LBB248_1610:
	s_andn2_b64 vcc, exec, s[10:11]
	s_cbranch_vccnz .LBB248_1618
; %bb.1611:
	v_cvt_f32_f64_e32 v11, v[0:1]
	v_and_b32_e32 v14, 0x7fffffff, v11
	s_mov_b32 s10, 0x43800000
	v_cmp_gt_u32_e32 vcc, s10, v14
	v_mov_b32_e32 v15, 0x80
	s_and_saveexec_b64 s[10:11], vcc
	s_cbranch_execz .LBB248_1617
; %bb.1612:
	s_mov_b32 s16, 0x3bffffff
	v_cmp_lt_u32_e32 vcc, s16, v14
	s_mov_b64 s[16:17], 0
                                        ; implicit-def: $vgpr14
	s_and_saveexec_b64 s[18:19], vcc
	s_xor_b64 s[18:19], exec, s[18:19]
	s_cbranch_execz .LBB248_2022
; %bb.1613:
	v_bfe_u32 v14, v11, 20, 1
	s_mov_b32 s21, 0x487ffff
	v_add3_u32 v14, v11, v14, s21
	s_mov_b64 s[16:17], exec
	v_lshrrev_b32_e32 v14, 20, v14
	s_andn2_saveexec_b64 s[18:19], s[18:19]
	s_cbranch_execnz .LBB248_2023
.LBB248_1614:
	s_or_b64 exec, exec, s[18:19]
	v_mov_b32_e32 v15, 0
	s_and_saveexec_b64 s[18:19], s[16:17]
.LBB248_1615:
	v_lshrrev_b32_e32 v11, 24, v11
	s_movk_i32 s16, 0x80
	v_and_or_b32 v15, v11, s16, v14
.LBB248_1616:
	s_or_b64 exec, exec, s[18:19]
.LBB248_1617:
	s_or_b64 exec, exec, s[10:11]
	global_store_byte v[12:13], v15, off
.LBB248_1618:
	s_mov_b64 s[10:11], -1
.LBB248_1619:
	s_mov_b64 s[16:17], 0
.LBB248_1620:
	s_and_b64 vcc, exec, s[16:17]
	s_cbranch_vccz .LBB248_1660
; %bb.1621:
	s_cmp_gt_i32 s9, 22
	s_mov_b64 s[6:7], -1
	s_cbranch_scc0 .LBB248_1653
; %bb.1622:
	s_cmp_lt_i32 s9, 24
	s_cbranch_scc1 .LBB248_1642
; %bb.1623:
	s_cmp_gt_i32 s9, 24
	s_cbranch_scc0 .LBB248_1631
; %bb.1624:
	v_cvt_f32_f64_e32 v11, v[0:1]
	v_and_b32_e32 v14, 0x7fffffff, v11
	s_mov_b32 s6, 0x47800000
	v_cmp_gt_u32_e32 vcc, s6, v14
	v_mov_b32_e32 v15, 0x80
	s_and_saveexec_b64 s[6:7], vcc
	s_cbranch_execz .LBB248_1630
; %bb.1625:
	s_mov_b32 s10, 0x37ffffff
	v_cmp_lt_u32_e32 vcc, s10, v14
	s_mov_b64 s[10:11], 0
                                        ; implicit-def: $vgpr14
	s_and_saveexec_b64 s[16:17], vcc
	s_xor_b64 s[16:17], exec, s[16:17]
	s_cbranch_execz .LBB248_2025
; %bb.1626:
	v_bfe_u32 v14, v11, 21, 1
	s_mov_b32 s18, 0x88fffff
	v_add3_u32 v14, v11, v14, s18
	s_mov_b64 s[10:11], exec
	v_lshrrev_b32_e32 v14, 21, v14
	s_andn2_saveexec_b64 s[16:17], s[16:17]
	s_cbranch_execnz .LBB248_2026
.LBB248_1627:
	s_or_b64 exec, exec, s[16:17]
	v_mov_b32_e32 v15, 0
	s_and_saveexec_b64 s[16:17], s[10:11]
.LBB248_1628:
	v_lshrrev_b32_e32 v11, 24, v11
	s_movk_i32 s10, 0x80
	v_and_or_b32 v15, v11, s10, v14
.LBB248_1629:
	s_or_b64 exec, exec, s[16:17]
.LBB248_1630:
	s_or_b64 exec, exec, s[6:7]
	s_mov_b64 s[6:7], 0
	global_store_byte v[12:13], v15, off
.LBB248_1631:
	s_and_b64 vcc, exec, s[6:7]
	s_cbranch_vccz .LBB248_1641
; %bb.1632:
	v_cvt_f32_f64_e32 v11, v[0:1]
	v_and_b32_e32 v15, 0x7fffffff, v11
	s_mov_b32 s6, 0x43f00000
	v_cmp_gt_u32_e32 vcc, s6, v15
                                        ; implicit-def: $vgpr14
	s_and_saveexec_b64 s[6:7], vcc
	s_xor_b64 s[6:7], exec, s[6:7]
	s_cbranch_execz .LBB248_1638
; %bb.1633:
	s_mov_b32 s10, 0x3c7fffff
	v_cmp_lt_u32_e32 vcc, s10, v15
                                        ; implicit-def: $vgpr14
	s_and_saveexec_b64 s[10:11], vcc
	s_xor_b64 s[10:11], exec, s[10:11]
; %bb.1634:
	v_bfe_u32 v14, v11, 20, 1
	s_mov_b32 s16, 0x407ffff
	v_add3_u32 v14, v11, v14, s16
	v_lshrrev_b32_e32 v15, 20, v14
	v_and_b32_e32 v14, 0xff00000, v14
	s_mov_b32 s16, 0x7f00000
	v_mov_b32_e32 v16, 0x7e
	v_cmp_ne_u32_e32 vcc, s16, v14
	s_nop 1
	v_cndmask_b32_e32 v14, v16, v15, vcc
; %bb.1635:
	s_andn2_saveexec_b64 s[10:11], s[10:11]
; %bb.1636:
	s_mov_b32 s16, 0x46800000
	v_add_f32_e64 v14, |v11|, s16
; %bb.1637:
	s_or_b64 exec, exec, s[10:11]
                                        ; implicit-def: $vgpr15
.LBB248_1638:
	s_andn2_saveexec_b64 s[6:7], s[6:7]
; %bb.1639:
	s_mov_b32 s10, 0x7f800000
	v_mov_b32_e32 v14, 0x7e
	v_mov_b32_e32 v16, 0x7f
	v_cmp_lt_u32_e32 vcc, s10, v15
	s_nop 1
	v_cndmask_b32_e32 v14, v14, v16, vcc
; %bb.1640:
	s_or_b64 exec, exec, s[6:7]
	v_lshrrev_b32_e32 v11, 24, v11
	s_movk_i32 s6, 0x80
	v_and_or_b32 v11, v11, s6, v14
	global_store_byte v[12:13], v11, off
.LBB248_1641:
	s_mov_b64 s[6:7], 0
.LBB248_1642:
	s_andn2_b64 vcc, exec, s[6:7]
	s_cbranch_vccnz .LBB248_1652
; %bb.1643:
	v_cvt_f32_f64_e32 v11, v[0:1]
	v_and_b32_e32 v15, 0x7fffffff, v11
	s_mov_b32 s6, 0x47800000
	v_cmp_gt_u32_e32 vcc, s6, v15
                                        ; implicit-def: $vgpr14
	s_and_saveexec_b64 s[6:7], vcc
	s_xor_b64 s[6:7], exec, s[6:7]
	s_cbranch_execz .LBB248_1649
; %bb.1644:
	s_mov_b32 s10, 0x387fffff
	v_cmp_lt_u32_e32 vcc, s10, v15
                                        ; implicit-def: $vgpr14
	s_and_saveexec_b64 s[10:11], vcc
	s_xor_b64 s[10:11], exec, s[10:11]
; %bb.1645:
	v_bfe_u32 v14, v11, 21, 1
	s_mov_b32 s16, 0x80fffff
	v_add3_u32 v14, v11, v14, s16
	v_lshrrev_b32_e32 v14, 21, v14
; %bb.1646:
	s_andn2_saveexec_b64 s[10:11], s[10:11]
; %bb.1647:
	s_mov_b32 s16, 0x43000000
	v_add_f32_e64 v14, |v11|, s16
; %bb.1648:
	s_or_b64 exec, exec, s[10:11]
                                        ; implicit-def: $vgpr15
.LBB248_1649:
	s_andn2_saveexec_b64 s[6:7], s[6:7]
; %bb.1650:
	s_mov_b32 s10, 0x7f800000
	v_mov_b32_e32 v14, 0x7c
	v_mov_b32_e32 v16, 0x7f
	v_cmp_lt_u32_e32 vcc, s10, v15
	s_nop 1
	v_cndmask_b32_e32 v14, v14, v16, vcc
; %bb.1651:
	s_or_b64 exec, exec, s[6:7]
	v_lshrrev_b32_e32 v11, 24, v11
	s_movk_i32 s6, 0x80
	v_and_or_b32 v11, v11, s6, v14
	global_store_byte v[12:13], v11, off
.LBB248_1652:
	s_mov_b64 s[6:7], 0
	s_mov_b64 s[10:11], -1
.LBB248_1653:
	s_andn2_b64 vcc, exec, s[6:7]
	s_mov_b64 s[6:7], 0
	s_cbranch_vccnz .LBB248_1660
; %bb.1654:
	s_cmp_gt_i32 s9, 14
	s_mov_b64 s[16:17], -1
	s_cbranch_scc0 .LBB248_1658
; %bb.1655:
	s_cmp_eq_u32 s9, 15
	s_mov_b64 s[0:1], -1
	s_cbranch_scc0 .LBB248_1657
; %bb.1656:
	v_cvt_f32_f64_e32 v11, v[0:1]
	v_bfe_u32 v14, v11, 16, 1
	s_movk_i32 s0, 0x7fff
	v_add3_u32 v14, v11, v14, s0
	v_cmp_o_f32_e32 vcc, v11, v11
	v_mov_b32_e32 v11, 0x7fc0
	s_mov_b64 s[0:1], 0
	v_cndmask_b32_sdwa v11, v11, v14, vcc dst_sel:DWORD dst_unused:UNUSED_PAD src0_sel:DWORD src1_sel:WORD_1
	global_store_short v[12:13], v11, off
	s_mov_b64 s[10:11], -1
.LBB248_1657:
	s_mov_b64 s[16:17], 0
.LBB248_1658:
	s_and_b64 vcc, exec, s[16:17]
	s_cbranch_vccz .LBB248_1660
; %bb.1659:
	s_cmp_lg_u32 s9, 11
	s_mov_b64 s[6:7], -1
	s_cselect_b64 s[0:1], -1, 0
.LBB248_1660:
	s_and_b64 vcc, exec, s[0:1]
	s_cbranch_vccnz .LBB248_2024
; %bb.1661:
	s_andn2_b64 vcc, exec, s[6:7]
	s_cbranch_vccnz .LBB248_1663
.LBB248_1662:
	v_cmp_neq_f64_e32 vcc, 0, v[2:3]
	s_mov_b64 s[10:11], -1
	s_nop 0
	v_cndmask_b32_e64 v2, 0, 1, vcc
	global_store_byte v[12:13], v2, off
.LBB248_1663:
	s_mov_b64 s[0:1], 0
	s_branch .LBB248_1665
.LBB248_1664:
	s_mov_b64 s[0:1], -1
	s_mov_b64 s[10:11], 0
.LBB248_1665:
	s_and_b64 vcc, exec, s[0:1]
	s_cbranch_vccz .LBB248_1704
; %bb.1666:
	s_and_b32 s6, 0xffff, s20
	s_cmp_lt_i32 s6, 5
	s_mov_b64 s[0:1], -1
	s_cbranch_scc1 .LBB248_1687
; %bb.1667:
	s_cmp_lt_i32 s6, 8
	s_cbranch_scc1 .LBB248_1677
; %bb.1668:
	s_cmp_lt_i32 s6, 9
	s_cbranch_scc1 .LBB248_1674
; %bb.1669:
	s_cmp_gt_i32 s6, 9
	s_cbranch_scc0 .LBB248_1671
; %bb.1670:
	v_mov_b32_e32 v2, 0
	v_mov_b32_e32 v3, v2
	global_store_dwordx4 v[12:13], v[0:3], off
	s_mov_b64 s[0:1], 0
.LBB248_1671:
	s_andn2_b64 vcc, exec, s[0:1]
	s_cbranch_vccnz .LBB248_1673
; %bb.1672:
	v_cvt_f32_f64_e32 v2, v[0:1]
	v_mov_b32_e32 v3, 0
	global_store_dwordx2 v[12:13], v[2:3], off
.LBB248_1673:
	s_mov_b64 s[0:1], 0
.LBB248_1674:
	s_andn2_b64 vcc, exec, s[0:1]
	s_cbranch_vccnz .LBB248_1676
; %bb.1675:
	s_movk_i32 s0, 0x1ff
	v_and_or_b32 v2, v1, s0, v0
	v_cmp_ne_u32_e32 vcc, 0, v2
	v_lshrrev_b32_e32 v3, 8, v1
	s_movk_i32 s0, 0xffe
	v_cndmask_b32_e64 v2, 0, 1, vcc
	v_bfe_u32 v11, v1, 20, 11
	v_and_or_b32 v2, v3, s0, v2
	v_sub_u32_e32 v14, 0x3f1, v11
	v_or_b32_e32 v3, 0x1000, v2
	v_med3_i32 v14, v14, 0, 13
	v_lshrrev_b32_e32 v15, v14, v3
	v_lshlrev_b32_e32 v14, v14, v15
	v_cmp_ne_u32_e32 vcc, v14, v3
	v_add_u32_e32 v11, 0xfffffc10, v11
	v_lshl_or_b32 v14, v11, 12, v2
	v_cndmask_b32_e64 v3, 0, 1, vcc
	v_or_b32_e32 v3, v15, v3
	v_cmp_gt_i32_e32 vcc, 1, v11
	s_movk_i32 s0, 0x40f
	s_nop 0
	v_cndmask_b32_e32 v3, v14, v3, vcc
	v_and_b32_e32 v14, 7, v3
	v_cmp_lt_i32_e32 vcc, 5, v14
	v_lshrrev_b32_e32 v3, 2, v3
	s_nop 0
	v_cndmask_b32_e64 v15, 0, 1, vcc
	v_cmp_eq_u32_e32 vcc, 3, v14
	s_nop 1
	v_cndmask_b32_e64 v14, 0, 1, vcc
	v_or_b32_e32 v14, v14, v15
	v_add_u32_e32 v3, v3, v14
	v_mov_b32_e32 v14, 0x7c00
	v_cmp_gt_i32_e32 vcc, 31, v11
	v_mov_b32_e32 v15, 0x7e00
	s_nop 0
	v_cndmask_b32_e32 v3, v14, v3, vcc
	v_cmp_ne_u32_e32 vcc, 0, v2
	s_nop 1
	v_cndmask_b32_e32 v2, v14, v15, vcc
	v_cmp_eq_u32_e32 vcc, s0, v11
	s_mov_b32 s0, 0x8000
	s_nop 0
	v_cndmask_b32_e32 v2, v3, v2, vcc
	v_and_b32_sdwa v3, v1, s0 dst_sel:DWORD dst_unused:UNUSED_PAD src0_sel:WORD_1 src1_sel:DWORD
	s_mov_b32 s0, 0xffff
	v_bitop3_b32 v2, v3, s0, v2 bitop3:0xc8
	global_store_dword v[12:13], v2, off
.LBB248_1676:
	s_mov_b64 s[0:1], 0
.LBB248_1677:
	s_andn2_b64 vcc, exec, s[0:1]
	s_cbranch_vccnz .LBB248_1686
; %bb.1678:
	s_cmp_lt_i32 s6, 6
	s_mov_b64 s[0:1], -1
	s_cbranch_scc1 .LBB248_1684
; %bb.1679:
	s_cmp_gt_i32 s6, 6
	s_cbranch_scc0 .LBB248_1681
; %bb.1680:
	global_store_dwordx2 v[12:13], v[0:1], off
	s_mov_b64 s[0:1], 0
.LBB248_1681:
	s_andn2_b64 vcc, exec, s[0:1]
	s_cbranch_vccnz .LBB248_1683
; %bb.1682:
	v_cvt_f32_f64_e32 v2, v[0:1]
	global_store_dword v[12:13], v2, off
.LBB248_1683:
	s_mov_b64 s[0:1], 0
.LBB248_1684:
	s_andn2_b64 vcc, exec, s[0:1]
	s_cbranch_vccnz .LBB248_1686
; %bb.1685:
	s_movk_i32 s0, 0x1ff
	v_and_or_b32 v2, v1, s0, v0
	v_cmp_ne_u32_e32 vcc, 0, v2
	v_lshrrev_b32_e32 v3, 8, v1
	s_movk_i32 s0, 0xffe
	v_cndmask_b32_e64 v2, 0, 1, vcc
	v_bfe_u32 v11, v1, 20, 11
	v_and_or_b32 v2, v3, s0, v2
	v_sub_u32_e32 v14, 0x3f1, v11
	v_or_b32_e32 v3, 0x1000, v2
	v_med3_i32 v14, v14, 0, 13
	v_lshrrev_b32_e32 v15, v14, v3
	v_lshlrev_b32_e32 v14, v14, v15
	v_cmp_ne_u32_e32 vcc, v14, v3
	v_add_u32_e32 v11, 0xfffffc10, v11
	v_lshl_or_b32 v14, v11, 12, v2
	v_cndmask_b32_e64 v3, 0, 1, vcc
	v_or_b32_e32 v3, v15, v3
	v_cmp_gt_i32_e32 vcc, 1, v11
	s_movk_i32 s0, 0x40f
	s_nop 0
	v_cndmask_b32_e32 v3, v14, v3, vcc
	v_and_b32_e32 v14, 7, v3
	v_cmp_lt_i32_e32 vcc, 5, v14
	v_lshrrev_b32_e32 v3, 2, v3
	s_nop 0
	v_cndmask_b32_e64 v15, 0, 1, vcc
	v_cmp_eq_u32_e32 vcc, 3, v14
	s_nop 1
	v_cndmask_b32_e64 v14, 0, 1, vcc
	v_or_b32_e32 v14, v14, v15
	v_add_u32_e32 v3, v3, v14
	v_mov_b32_e32 v14, 0x7c00
	v_cmp_gt_i32_e32 vcc, 31, v11
	v_mov_b32_e32 v15, 0x7e00
	s_nop 0
	v_cndmask_b32_e32 v3, v14, v3, vcc
	v_cmp_ne_u32_e32 vcc, 0, v2
	s_nop 1
	v_cndmask_b32_e32 v2, v14, v15, vcc
	v_cmp_eq_u32_e32 vcc, s0, v11
	s_mov_b32 s0, 0x8000
	s_nop 0
	v_cndmask_b32_e32 v2, v3, v2, vcc
	v_lshrrev_b32_e32 v3, 16, v1
	v_and_or_b32 v2, v3, s0, v2
	global_store_short v[12:13], v2, off
.LBB248_1686:
	s_mov_b64 s[0:1], 0
.LBB248_1687:
	s_andn2_b64 vcc, exec, s[0:1]
	s_cbranch_vccnz .LBB248_1703
; %bb.1688:
	s_cmp_lt_i32 s6, 2
	s_mov_b64 s[0:1], -1
	s_cbranch_scc1 .LBB248_1698
; %bb.1689:
	s_cmp_lt_i32 s6, 3
	s_cbranch_scc1 .LBB248_1695
; %bb.1690:
	s_cmp_gt_i32 s6, 3
	s_cbranch_scc0 .LBB248_1692
; %bb.1691:
	v_trunc_f64_e32 v[2:3], v[0:1]
	s_movk_i32 s0, 0xffe0
	v_ldexp_f64 v[14:15], v[2:3], s0
	v_floor_f64_e32 v[14:15], v[14:15]
	v_fmac_f64_e32 v[2:3], 0xc1f00000, v[14:15]
	v_cvt_i32_f64_e32 v17, v[14:15]
	v_cvt_u32_f64_e32 v16, v[2:3]
	global_store_dwordx2 v[12:13], v[16:17], off
	s_mov_b64 s[0:1], 0
.LBB248_1692:
	s_andn2_b64 vcc, exec, s[0:1]
	s_cbranch_vccnz .LBB248_1694
; %bb.1693:
	v_cvt_i32_f64_e32 v2, v[0:1]
	global_store_dword v[12:13], v2, off
.LBB248_1694:
	s_mov_b64 s[0:1], 0
.LBB248_1695:
	s_andn2_b64 vcc, exec, s[0:1]
	s_cbranch_vccnz .LBB248_1697
; %bb.1696:
	v_cvt_i32_f64_e32 v2, v[0:1]
	global_store_short v[12:13], v2, off
.LBB248_1697:
	s_mov_b64 s[0:1], 0
.LBB248_1698:
	s_andn2_b64 vcc, exec, s[0:1]
	s_cbranch_vccnz .LBB248_1703
; %bb.1699:
	s_cmp_gt_i32 s6, 0
	s_mov_b64 s[0:1], -1
	s_cbranch_scc0 .LBB248_1701
; %bb.1700:
	v_cvt_i32_f64_e32 v2, v[0:1]
	global_store_byte v[12:13], v2, off
	s_mov_b64 s[0:1], 0
.LBB248_1701:
	s_andn2_b64 vcc, exec, s[0:1]
	s_cbranch_vccnz .LBB248_1703
; %bb.1702:
	v_trunc_f64_e32 v[0:1], v[0:1]
	s_movk_i32 s0, 0xffe0
	v_ldexp_f64 v[2:3], v[0:1], s0
	v_floor_f64_e32 v[2:3], v[2:3]
	v_fmac_f64_e32 v[0:1], 0xc1f00000, v[2:3]
	v_cvt_u32_f64_e32 v0, v[0:1]
	global_store_byte v[12:13], v0, off
.LBB248_1703:
	s_mov_b64 s[10:11], -1
.LBB248_1704:
	s_andn2_b64 vcc, exec, s[10:11]
	s_cbranch_vccnz .LBB248_2019
; %bb.1705:
	s_mov_b32 s0, 0
	s_brev_b32 s1, 8
	v_mov_b32_e32 v0, 0x100
	v_cmp_gt_f64_e32 vcc, s[0:1], v[8:9]
	s_lshl_b32 s18, s8, 7
	v_mov_b32_e32 v11, 0x260
	v_cndmask_b32_e32 v0, 0, v0, vcc
	v_ldexp_f64 v[0:1], v[8:9], v0
	v_rsq_f64_e32 v[2:3], v[0:1]
	v_add_u32_e32 v10, s18, v10
	s_cmp_lt_i32 s20, 11
	v_mul_f64 v[12:13], v[0:1], v[2:3]
	v_mul_f64 v[2:3], v[2:3], 0.5
	v_fma_f64 v[14:15], -v[2:3], v[12:13], 0.5
	v_fmac_f64_e32 v[12:13], v[12:13], v[14:15]
	v_fma_f64 v[16:17], -v[12:13], v[12:13], v[0:1]
	v_fmac_f64_e32 v[2:3], v[2:3], v[14:15]
	v_fmac_f64_e32 v[12:13], v[16:17], v[2:3]
	v_fma_f64 v[14:15], -v[12:13], v[12:13], v[0:1]
	v_fmac_f64_e32 v[12:13], v[14:15], v[2:3]
	v_mov_b32_e32 v2, 0xffffff80
	v_cndmask_b32_e32 v2, 0, v2, vcc
	v_ldexp_f64 v[2:3], v[12:13], v2
	v_cmp_class_f64_e32 vcc, v[0:1], v11
	v_ashrrev_i32_e32 v11, 31, v10
	v_lshl_add_u64 v[12:13], s[4:5], 0, v[10:11]
	v_cndmask_b32_e32 v1, v3, v1, vcc
	v_cndmask_b32_e32 v0, v2, v0, vcc
	s_cbranch_scc1 .LBB248_1783
; %bb.1706:
	s_and_b32 s19, 0xffff, s20
	s_mov_b64 s[10:11], -1
	s_mov_b64 s[6:7], 0
	s_cmp_gt_i32 s19, 25
	s_mov_b64 s[8:9], 0
	s_mov_b64 s[0:1], 0
	s_cbranch_scc0 .LBB248_1739
; %bb.1707:
	s_cmp_gt_i32 s19, 28
	s_cbranch_scc0 .LBB248_1722
; %bb.1708:
	s_cmp_gt_i32 s19, 43
	;; [unrolled: 3-line block ×3, first 2 shown]
	s_cbranch_scc0 .LBB248_1712
; %bb.1710:
	s_mov_b64 s[0:1], -1
	s_mov_b64 s[10:11], 0
	s_cmp_eq_u32 s19, 46
	s_cbranch_scc0 .LBB248_1712
; %bb.1711:
	v_cvt_f32_f64_e32 v2, v[0:1]
	v_bfe_u32 v3, v2, 16, 1
	s_movk_i32 s0, 0x7fff
	v_add3_u32 v3, v2, v3, s0
	v_cmp_o_f32_e32 vcc, v2, v2
	v_mov_b32_e32 v2, 0x7fc0
	s_mov_b64 s[0:1], 0
	v_cndmask_b32_sdwa v2, v2, v3, vcc dst_sel:DWORD dst_unused:UNUSED_PAD src0_sel:DWORD src1_sel:WORD_1
	global_store_dword v[12:13], v2, off
	s_mov_b64 s[8:9], -1
.LBB248_1712:
	s_and_b64 vcc, exec, s[10:11]
	s_cbranch_vccz .LBB248_1717
; %bb.1713:
	s_cmp_eq_u32 s19, 44
	s_mov_b64 s[0:1], -1
	s_cbranch_scc0 .LBB248_1717
; %bb.1714:
	v_cvt_f32_f64_e32 v2, v[0:1]
	v_bfe_u32 v3, v2, 23, 8
	s_movk_i32 s0, 0xff
	v_cmp_ne_u32_e32 vcc, s0, v3
	v_mov_b32_e32 v11, 0xff
	s_and_saveexec_b64 s[8:9], vcc
; %bb.1715:
	s_mov_b32 s0, 0x3fffff
	v_lshrrev_b32_e32 v11, 23, v2
	v_and_b32_e32 v14, 0x400000, v2
	v_and_or_b32 v2, v2, s0, v3
	v_cmp_ne_u32_e32 vcc, 0, v14
	v_cmp_ne_u32_e64 s[0:1], 0, v2
	s_and_b64 s[0:1], vcc, s[0:1]
	s_nop 0
	v_cndmask_b32_e64 v2, 0, 1, s[0:1]
	v_add_u32_e32 v11, v11, v2
; %bb.1716:
	s_or_b64 exec, exec, s[8:9]
	s_mov_b64 s[0:1], 0
	s_mov_b64 s[8:9], -1
	global_store_byte v[12:13], v11, off
.LBB248_1717:
	s_mov_b64 s[10:11], 0
.LBB248_1718:
	s_and_b64 vcc, exec, s[10:11]
	s_cbranch_vccz .LBB248_1721
; %bb.1719:
	s_cmp_eq_u32 s19, 29
	s_mov_b64 s[0:1], -1
	s_cbranch_scc0 .LBB248_1721
; %bb.1720:
	v_trunc_f64_e32 v[2:3], v[0:1]
	s_movk_i32 s0, 0xffe0
	v_ldexp_f64 v[14:15], v[2:3], s0
	v_floor_f64_e32 v[14:15], v[14:15]
	v_fmac_f64_e32 v[2:3], 0xc1f00000, v[14:15]
	v_cvt_u32_f64_e32 v17, v[14:15]
	v_cvt_u32_f64_e32 v16, v[2:3]
	global_store_dwordx2 v[12:13], v[16:17], off
	s_mov_b64 s[0:1], 0
	s_mov_b64 s[8:9], -1
.LBB248_1721:
	s_mov_b64 s[10:11], 0
.LBB248_1722:
	s_and_b64 vcc, exec, s[10:11]
	s_cbranch_vccz .LBB248_1738
; %bb.1723:
	s_cmp_lt_i32 s19, 27
	s_mov_b64 s[8:9], -1
	s_cbranch_scc1 .LBB248_1729
; %bb.1724:
	s_cmp_gt_i32 s19, 27
	v_cvt_u32_f64_e32 v2, v[0:1]
	s_cbranch_scc0 .LBB248_1726
; %bb.1725:
	s_mov_b64 s[8:9], 0
	global_store_dword v[12:13], v2, off
.LBB248_1726:
	s_andn2_b64 vcc, exec, s[8:9]
	s_cbranch_vccnz .LBB248_1728
; %bb.1727:
	global_store_short v[12:13], v2, off
.LBB248_1728:
	s_mov_b64 s[8:9], 0
.LBB248_1729:
	s_andn2_b64 vcc, exec, s[8:9]
	s_cbranch_vccnz .LBB248_1737
; %bb.1730:
	v_cvt_f32_f64_e32 v2, v[0:1]
	v_and_b32_e32 v3, 0x7fffffff, v2
	s_mov_b32 s8, 0x43800000
	v_cmp_gt_u32_e32 vcc, s8, v3
	v_mov_b32_e32 v11, 0x80
	s_and_saveexec_b64 s[8:9], vcc
	s_cbranch_execz .LBB248_1736
; %bb.1731:
	s_mov_b32 s10, 0x3bffffff
	v_cmp_lt_u32_e32 vcc, s10, v3
	s_mov_b64 s[10:11], 0
                                        ; implicit-def: $vgpr3
	s_and_saveexec_b64 s[16:17], vcc
	s_xor_b64 s[16:17], exec, s[16:17]
	s_cbranch_execz .LBB248_2027
; %bb.1732:
	v_bfe_u32 v3, v2, 20, 1
	s_mov_b32 s21, 0x487ffff
	v_add3_u32 v3, v2, v3, s21
	s_mov_b64 s[10:11], exec
	v_lshrrev_b32_e32 v3, 20, v3
	s_andn2_saveexec_b64 s[16:17], s[16:17]
	s_cbranch_execnz .LBB248_2028
.LBB248_1733:
	s_or_b64 exec, exec, s[16:17]
	v_mov_b32_e32 v11, 0
	s_and_saveexec_b64 s[16:17], s[10:11]
.LBB248_1734:
	v_lshrrev_b32_e32 v2, 24, v2
	s_movk_i32 s10, 0x80
	v_and_or_b32 v11, v2, s10, v3
.LBB248_1735:
	s_or_b64 exec, exec, s[16:17]
.LBB248_1736:
	s_or_b64 exec, exec, s[8:9]
	global_store_byte v[12:13], v11, off
.LBB248_1737:
	s_mov_b64 s[8:9], -1
.LBB248_1738:
	s_mov_b64 s[10:11], 0
.LBB248_1739:
	s_and_b64 vcc, exec, s[10:11]
	s_cbranch_vccz .LBB248_1779
; %bb.1740:
	s_cmp_gt_i32 s19, 22
	s_mov_b64 s[6:7], -1
	s_cbranch_scc0 .LBB248_1772
; %bb.1741:
	s_cmp_lt_i32 s19, 24
	s_cbranch_scc1 .LBB248_1761
; %bb.1742:
	s_cmp_gt_i32 s19, 24
	s_cbranch_scc0 .LBB248_1750
; %bb.1743:
	v_cvt_f32_f64_e32 v2, v[0:1]
	v_and_b32_e32 v3, 0x7fffffff, v2
	s_mov_b32 s6, 0x47800000
	v_cmp_gt_u32_e32 vcc, s6, v3
	v_mov_b32_e32 v11, 0x80
	s_and_saveexec_b64 s[6:7], vcc
	s_cbranch_execz .LBB248_1749
; %bb.1744:
	s_mov_b32 s8, 0x37ffffff
	v_cmp_lt_u32_e32 vcc, s8, v3
	s_mov_b64 s[8:9], 0
                                        ; implicit-def: $vgpr3
	s_and_saveexec_b64 s[10:11], vcc
	s_xor_b64 s[10:11], exec, s[10:11]
	s_cbranch_execz .LBB248_2030
; %bb.1745:
	v_bfe_u32 v3, v2, 21, 1
	s_mov_b32 s16, 0x88fffff
	v_add3_u32 v3, v2, v3, s16
	s_mov_b64 s[8:9], exec
	v_lshrrev_b32_e32 v3, 21, v3
	s_andn2_saveexec_b64 s[10:11], s[10:11]
	s_cbranch_execnz .LBB248_2031
.LBB248_1746:
	s_or_b64 exec, exec, s[10:11]
	v_mov_b32_e32 v11, 0
	s_and_saveexec_b64 s[10:11], s[8:9]
.LBB248_1747:
	v_lshrrev_b32_e32 v2, 24, v2
	s_movk_i32 s8, 0x80
	v_and_or_b32 v11, v2, s8, v3
.LBB248_1748:
	s_or_b64 exec, exec, s[10:11]
.LBB248_1749:
	s_or_b64 exec, exec, s[6:7]
	s_mov_b64 s[6:7], 0
	global_store_byte v[12:13], v11, off
.LBB248_1750:
	s_and_b64 vcc, exec, s[6:7]
	s_cbranch_vccz .LBB248_1760
; %bb.1751:
	v_cvt_f32_f64_e32 v2, v[0:1]
	v_and_b32_e32 v11, 0x7fffffff, v2
	s_mov_b32 s6, 0x43f00000
	v_cmp_gt_u32_e32 vcc, s6, v11
                                        ; implicit-def: $vgpr3
	s_and_saveexec_b64 s[6:7], vcc
	s_xor_b64 s[6:7], exec, s[6:7]
	s_cbranch_execz .LBB248_1757
; %bb.1752:
	s_mov_b32 s8, 0x3c7fffff
	v_cmp_lt_u32_e32 vcc, s8, v11
                                        ; implicit-def: $vgpr3
	s_and_saveexec_b64 s[8:9], vcc
	s_xor_b64 s[8:9], exec, s[8:9]
; %bb.1753:
	v_bfe_u32 v3, v2, 20, 1
	s_mov_b32 s10, 0x407ffff
	v_add3_u32 v3, v2, v3, s10
	v_lshrrev_b32_e32 v11, 20, v3
	v_and_b32_e32 v3, 0xff00000, v3
	s_mov_b32 s10, 0x7f00000
	v_mov_b32_e32 v14, 0x7e
	v_cmp_ne_u32_e32 vcc, s10, v3
	s_nop 1
	v_cndmask_b32_e32 v3, v14, v11, vcc
; %bb.1754:
	s_andn2_saveexec_b64 s[8:9], s[8:9]
; %bb.1755:
	s_mov_b32 s10, 0x46800000
	v_add_f32_e64 v3, |v2|, s10
; %bb.1756:
	s_or_b64 exec, exec, s[8:9]
                                        ; implicit-def: $vgpr11
.LBB248_1757:
	s_andn2_saveexec_b64 s[6:7], s[6:7]
; %bb.1758:
	s_mov_b32 s8, 0x7f800000
	v_mov_b32_e32 v3, 0x7e
	v_mov_b32_e32 v14, 0x7f
	v_cmp_lt_u32_e32 vcc, s8, v11
	s_nop 1
	v_cndmask_b32_e32 v3, v3, v14, vcc
; %bb.1759:
	s_or_b64 exec, exec, s[6:7]
	v_lshrrev_b32_e32 v2, 24, v2
	s_movk_i32 s6, 0x80
	v_and_or_b32 v2, v2, s6, v3
	global_store_byte v[12:13], v2, off
.LBB248_1760:
	s_mov_b64 s[6:7], 0
.LBB248_1761:
	s_andn2_b64 vcc, exec, s[6:7]
	s_cbranch_vccnz .LBB248_1771
; %bb.1762:
	v_cvt_f32_f64_e32 v2, v[0:1]
	v_and_b32_e32 v11, 0x7fffffff, v2
	s_mov_b32 s6, 0x47800000
	v_cmp_gt_u32_e32 vcc, s6, v11
                                        ; implicit-def: $vgpr3
	s_and_saveexec_b64 s[6:7], vcc
	s_xor_b64 s[6:7], exec, s[6:7]
	s_cbranch_execz .LBB248_1768
; %bb.1763:
	s_mov_b32 s8, 0x387fffff
	v_cmp_lt_u32_e32 vcc, s8, v11
                                        ; implicit-def: $vgpr3
	s_and_saveexec_b64 s[8:9], vcc
	s_xor_b64 s[8:9], exec, s[8:9]
; %bb.1764:
	v_bfe_u32 v3, v2, 21, 1
	s_mov_b32 s10, 0x80fffff
	v_add3_u32 v3, v2, v3, s10
	v_lshrrev_b32_e32 v3, 21, v3
; %bb.1765:
	s_andn2_saveexec_b64 s[8:9], s[8:9]
; %bb.1766:
	s_mov_b32 s10, 0x43000000
	v_add_f32_e64 v3, |v2|, s10
; %bb.1767:
	s_or_b64 exec, exec, s[8:9]
                                        ; implicit-def: $vgpr11
.LBB248_1768:
	s_andn2_saveexec_b64 s[6:7], s[6:7]
; %bb.1769:
	s_mov_b32 s8, 0x7f800000
	v_mov_b32_e32 v3, 0x7c
	v_mov_b32_e32 v14, 0x7f
	v_cmp_lt_u32_e32 vcc, s8, v11
	s_nop 1
	v_cndmask_b32_e32 v3, v3, v14, vcc
; %bb.1770:
	s_or_b64 exec, exec, s[6:7]
	v_lshrrev_b32_e32 v2, 24, v2
	s_movk_i32 s6, 0x80
	v_and_or_b32 v2, v2, s6, v3
	global_store_byte v[12:13], v2, off
.LBB248_1771:
	s_mov_b64 s[6:7], 0
	s_mov_b64 s[8:9], -1
.LBB248_1772:
	s_andn2_b64 vcc, exec, s[6:7]
	s_mov_b64 s[6:7], 0
	s_cbranch_vccnz .LBB248_1779
; %bb.1773:
	s_cmp_gt_i32 s19, 14
	s_mov_b64 s[10:11], -1
	s_cbranch_scc0 .LBB248_1777
; %bb.1774:
	s_cmp_eq_u32 s19, 15
	s_mov_b64 s[0:1], -1
	s_cbranch_scc0 .LBB248_1776
; %bb.1775:
	v_cvt_f32_f64_e32 v2, v[0:1]
	v_bfe_u32 v3, v2, 16, 1
	s_movk_i32 s0, 0x7fff
	v_add3_u32 v3, v2, v3, s0
	v_cmp_o_f32_e32 vcc, v2, v2
	v_mov_b32_e32 v2, 0x7fc0
	s_mov_b64 s[0:1], 0
	v_cndmask_b32_sdwa v2, v2, v3, vcc dst_sel:DWORD dst_unused:UNUSED_PAD src0_sel:DWORD src1_sel:WORD_1
	global_store_short v[12:13], v2, off
	s_mov_b64 s[8:9], -1
.LBB248_1776:
	s_mov_b64 s[10:11], 0
.LBB248_1777:
	s_and_b64 vcc, exec, s[10:11]
	s_cbranch_vccz .LBB248_1779
; %bb.1778:
	s_cmp_lg_u32 s19, 11
	s_mov_b64 s[6:7], -1
	s_cselect_b64 s[0:1], -1, 0
.LBB248_1779:
	s_and_b64 vcc, exec, s[0:1]
	s_cbranch_vccnz .LBB248_2029
; %bb.1780:
	s_andn2_b64 vcc, exec, s[6:7]
	s_cbranch_vccnz .LBB248_1782
.LBB248_1781:
	v_cmp_neq_f64_e32 vcc, 0, v[8:9]
	s_mov_b64 s[8:9], -1
	s_nop 0
	v_cndmask_b32_e64 v2, 0, 1, vcc
	global_store_byte v[12:13], v2, off
.LBB248_1782:
	s_mov_b64 s[0:1], 0
	s_branch .LBB248_1784
.LBB248_1783:
	s_mov_b64 s[0:1], -1
	s_mov_b64 s[8:9], 0
.LBB248_1784:
	s_and_b64 vcc, exec, s[0:1]
	s_cbranch_vccz .LBB248_1823
; %bb.1785:
	s_and_b32 s6, 0xffff, s20
	s_cmp_lt_i32 s6, 5
	s_mov_b64 s[0:1], -1
	s_cbranch_scc1 .LBB248_1806
; %bb.1786:
	s_cmp_lt_i32 s6, 8
	s_cbranch_scc1 .LBB248_1796
; %bb.1787:
	s_cmp_lt_i32 s6, 9
	s_cbranch_scc1 .LBB248_1793
; %bb.1788:
	s_cmp_gt_i32 s6, 9
	s_cbranch_scc0 .LBB248_1790
; %bb.1789:
	v_mov_b32_e32 v2, 0
	v_mov_b32_e32 v3, v2
	global_store_dwordx4 v[12:13], v[0:3], off
	s_mov_b64 s[0:1], 0
.LBB248_1790:
	s_andn2_b64 vcc, exec, s[0:1]
	s_cbranch_vccnz .LBB248_1792
; %bb.1791:
	v_cvt_f32_f64_e32 v2, v[0:1]
	v_mov_b32_e32 v3, 0
	global_store_dwordx2 v[12:13], v[2:3], off
.LBB248_1792:
	s_mov_b64 s[0:1], 0
.LBB248_1793:
	s_andn2_b64 vcc, exec, s[0:1]
	s_cbranch_vccnz .LBB248_1795
; %bb.1794:
	s_movk_i32 s0, 0x1ff
	v_and_or_b32 v2, v1, s0, v0
	v_cmp_ne_u32_e32 vcc, 0, v2
	v_lshrrev_b32_e32 v3, 8, v1
	s_movk_i32 s0, 0xffe
	v_cndmask_b32_e64 v2, 0, 1, vcc
	v_bfe_u32 v8, v1, 20, 11
	v_and_or_b32 v2, v3, s0, v2
	v_sub_u32_e32 v9, 0x3f1, v8
	v_or_b32_e32 v3, 0x1000, v2
	v_med3_i32 v9, v9, 0, 13
	v_lshrrev_b32_e32 v11, v9, v3
	v_lshlrev_b32_e32 v9, v9, v11
	v_cmp_ne_u32_e32 vcc, v9, v3
	v_add_u32_e32 v8, 0xfffffc10, v8
	v_lshl_or_b32 v9, v8, 12, v2
	v_cndmask_b32_e64 v3, 0, 1, vcc
	v_or_b32_e32 v3, v11, v3
	v_cmp_gt_i32_e32 vcc, 1, v8
	s_movk_i32 s0, 0x40f
	s_nop 0
	v_cndmask_b32_e32 v3, v9, v3, vcc
	v_and_b32_e32 v9, 7, v3
	v_cmp_lt_i32_e32 vcc, 5, v9
	v_lshrrev_b32_e32 v3, 2, v3
	s_nop 0
	v_cndmask_b32_e64 v11, 0, 1, vcc
	v_cmp_eq_u32_e32 vcc, 3, v9
	s_nop 1
	v_cndmask_b32_e64 v9, 0, 1, vcc
	v_or_b32_e32 v9, v9, v11
	v_add_u32_e32 v3, v3, v9
	v_mov_b32_e32 v9, 0x7c00
	v_cmp_gt_i32_e32 vcc, 31, v8
	v_mov_b32_e32 v11, 0x7e00
	s_nop 0
	v_cndmask_b32_e32 v3, v9, v3, vcc
	v_cmp_ne_u32_e32 vcc, 0, v2
	s_nop 1
	v_cndmask_b32_e32 v2, v9, v11, vcc
	v_cmp_eq_u32_e32 vcc, s0, v8
	s_mov_b32 s0, 0x8000
	s_nop 0
	v_cndmask_b32_e32 v2, v3, v2, vcc
	v_and_b32_sdwa v3, v1, s0 dst_sel:DWORD dst_unused:UNUSED_PAD src0_sel:WORD_1 src1_sel:DWORD
	s_mov_b32 s0, 0xffff
	v_bitop3_b32 v2, v3, s0, v2 bitop3:0xc8
	global_store_dword v[12:13], v2, off
.LBB248_1795:
	s_mov_b64 s[0:1], 0
.LBB248_1796:
	s_andn2_b64 vcc, exec, s[0:1]
	s_cbranch_vccnz .LBB248_1805
; %bb.1797:
	s_cmp_lt_i32 s6, 6
	s_mov_b64 s[0:1], -1
	s_cbranch_scc1 .LBB248_1803
; %bb.1798:
	s_cmp_gt_i32 s6, 6
	s_cbranch_scc0 .LBB248_1800
; %bb.1799:
	global_store_dwordx2 v[12:13], v[0:1], off
	s_mov_b64 s[0:1], 0
.LBB248_1800:
	s_andn2_b64 vcc, exec, s[0:1]
	s_cbranch_vccnz .LBB248_1802
; %bb.1801:
	v_cvt_f32_f64_e32 v2, v[0:1]
	global_store_dword v[12:13], v2, off
.LBB248_1802:
	s_mov_b64 s[0:1], 0
.LBB248_1803:
	s_andn2_b64 vcc, exec, s[0:1]
	s_cbranch_vccnz .LBB248_1805
; %bb.1804:
	s_movk_i32 s0, 0x1ff
	v_and_or_b32 v2, v1, s0, v0
	v_cmp_ne_u32_e32 vcc, 0, v2
	v_lshrrev_b32_e32 v3, 8, v1
	s_movk_i32 s0, 0xffe
	v_cndmask_b32_e64 v2, 0, 1, vcc
	v_bfe_u32 v8, v1, 20, 11
	v_and_or_b32 v2, v3, s0, v2
	v_sub_u32_e32 v9, 0x3f1, v8
	v_or_b32_e32 v3, 0x1000, v2
	v_med3_i32 v9, v9, 0, 13
	v_lshrrev_b32_e32 v11, v9, v3
	v_lshlrev_b32_e32 v9, v9, v11
	v_cmp_ne_u32_e32 vcc, v9, v3
	v_add_u32_e32 v8, 0xfffffc10, v8
	v_lshl_or_b32 v9, v8, 12, v2
	v_cndmask_b32_e64 v3, 0, 1, vcc
	v_or_b32_e32 v3, v11, v3
	v_cmp_gt_i32_e32 vcc, 1, v8
	s_movk_i32 s0, 0x40f
	s_nop 0
	v_cndmask_b32_e32 v3, v9, v3, vcc
	v_and_b32_e32 v9, 7, v3
	v_cmp_lt_i32_e32 vcc, 5, v9
	v_lshrrev_b32_e32 v3, 2, v3
	s_nop 0
	v_cndmask_b32_e64 v11, 0, 1, vcc
	v_cmp_eq_u32_e32 vcc, 3, v9
	s_nop 1
	v_cndmask_b32_e64 v9, 0, 1, vcc
	v_or_b32_e32 v9, v9, v11
	v_add_u32_e32 v3, v3, v9
	v_mov_b32_e32 v9, 0x7c00
	v_cmp_gt_i32_e32 vcc, 31, v8
	v_mov_b32_e32 v11, 0x7e00
	s_nop 0
	v_cndmask_b32_e32 v3, v9, v3, vcc
	v_cmp_ne_u32_e32 vcc, 0, v2
	s_nop 1
	v_cndmask_b32_e32 v2, v9, v11, vcc
	v_cmp_eq_u32_e32 vcc, s0, v8
	s_mov_b32 s0, 0x8000
	s_nop 0
	v_cndmask_b32_e32 v2, v3, v2, vcc
	v_lshrrev_b32_e32 v3, 16, v1
	v_and_or_b32 v2, v3, s0, v2
	global_store_short v[12:13], v2, off
.LBB248_1805:
	s_mov_b64 s[0:1], 0
.LBB248_1806:
	s_andn2_b64 vcc, exec, s[0:1]
	s_cbranch_vccnz .LBB248_1822
; %bb.1807:
	s_cmp_lt_i32 s6, 2
	s_mov_b64 s[0:1], -1
	s_cbranch_scc1 .LBB248_1817
; %bb.1808:
	s_cmp_lt_i32 s6, 3
	s_cbranch_scc1 .LBB248_1814
; %bb.1809:
	s_cmp_gt_i32 s6, 3
	s_cbranch_scc0 .LBB248_1811
; %bb.1810:
	v_trunc_f64_e32 v[2:3], v[0:1]
	s_movk_i32 s0, 0xffe0
	v_ldexp_f64 v[8:9], v[2:3], s0
	v_floor_f64_e32 v[8:9], v[8:9]
	v_fmac_f64_e32 v[2:3], 0xc1f00000, v[8:9]
	v_cvt_i32_f64_e32 v15, v[8:9]
	v_cvt_u32_f64_e32 v14, v[2:3]
	global_store_dwordx2 v[12:13], v[14:15], off
	s_mov_b64 s[0:1], 0
.LBB248_1811:
	s_andn2_b64 vcc, exec, s[0:1]
	s_cbranch_vccnz .LBB248_1813
; %bb.1812:
	v_cvt_i32_f64_e32 v2, v[0:1]
	global_store_dword v[12:13], v2, off
.LBB248_1813:
	s_mov_b64 s[0:1], 0
.LBB248_1814:
	s_andn2_b64 vcc, exec, s[0:1]
	s_cbranch_vccnz .LBB248_1816
; %bb.1815:
	v_cvt_i32_f64_e32 v2, v[0:1]
	global_store_short v[12:13], v2, off
.LBB248_1816:
	s_mov_b64 s[0:1], 0
.LBB248_1817:
	s_andn2_b64 vcc, exec, s[0:1]
	s_cbranch_vccnz .LBB248_1822
; %bb.1818:
	s_cmp_gt_i32 s6, 0
	s_mov_b64 s[0:1], -1
	s_cbranch_scc0 .LBB248_1820
; %bb.1819:
	v_cvt_i32_f64_e32 v2, v[0:1]
	global_store_byte v[12:13], v2, off
	s_mov_b64 s[0:1], 0
.LBB248_1820:
	s_andn2_b64 vcc, exec, s[0:1]
	s_cbranch_vccnz .LBB248_1822
; %bb.1821:
	v_trunc_f64_e32 v[0:1], v[0:1]
	s_movk_i32 s0, 0xffe0
	v_ldexp_f64 v[2:3], v[0:1], s0
	v_floor_f64_e32 v[2:3], v[2:3]
	v_fmac_f64_e32 v[0:1], 0xc1f00000, v[2:3]
	v_cvt_u32_f64_e32 v0, v[0:1]
	global_store_byte v[12:13], v0, off
.LBB248_1822:
	s_mov_b64 s[8:9], -1
.LBB248_1823:
	s_andn2_b64 vcc, exec, s[8:9]
	s_cbranch_vccnz .LBB248_2019
; %bb.1824:
	s_mov_b32 s0, 0
	s_brev_b32 s1, 8
	v_mov_b32_e32 v0, 0x100
	v_cmp_gt_f64_e32 vcc, s[0:1], v[6:7]
	s_cmp_lt_i32 s20, 11
	s_nop 0
	v_cndmask_b32_e32 v0, 0, v0, vcc
	v_ldexp_f64 v[0:1], v[6:7], v0
	v_rsq_f64_e32 v[2:3], v[0:1]
	s_nop 0
	v_mul_f64 v[8:9], v[0:1], v[2:3]
	v_mul_f64 v[2:3], v[2:3], 0.5
	v_fma_f64 v[12:13], -v[2:3], v[8:9], 0.5
	v_fmac_f64_e32 v[8:9], v[8:9], v[12:13]
	v_fma_f64 v[14:15], -v[8:9], v[8:9], v[0:1]
	v_fmac_f64_e32 v[2:3], v[2:3], v[12:13]
	v_fmac_f64_e32 v[8:9], v[14:15], v[2:3]
	v_fma_f64 v[12:13], -v[8:9], v[8:9], v[0:1]
	v_fmac_f64_e32 v[8:9], v[12:13], v[2:3]
	v_mov_b32_e32 v2, 0xffffff80
	v_cndmask_b32_e32 v2, 0, v2, vcc
	v_ldexp_f64 v[2:3], v[8:9], v2
	v_mov_b32_e32 v8, 0x260
	v_cmp_class_f64_e32 vcc, v[0:1], v8
	v_add_u32_e32 v8, s18, v10
	v_ashrrev_i32_e32 v9, 31, v8
	v_cndmask_b32_e32 v1, v3, v1, vcc
	v_cndmask_b32_e32 v0, v2, v0, vcc
	v_lshl_add_u64 v[10:11], s[4:5], 0, v[8:9]
	s_cbranch_scc1 .LBB248_1902
; %bb.1825:
	s_and_b32 s19, 0xffff, s20
	s_mov_b64 s[10:11], -1
	s_mov_b64 s[6:7], 0
	s_cmp_gt_i32 s19, 25
	s_mov_b64 s[8:9], 0
	s_mov_b64 s[0:1], 0
	s_cbranch_scc0 .LBB248_1858
; %bb.1826:
	s_cmp_gt_i32 s19, 28
	s_cbranch_scc0 .LBB248_1841
; %bb.1827:
	s_cmp_gt_i32 s19, 43
	;; [unrolled: 3-line block ×3, first 2 shown]
	s_cbranch_scc0 .LBB248_1831
; %bb.1829:
	s_mov_b64 s[0:1], -1
	s_mov_b64 s[10:11], 0
	s_cmp_eq_u32 s19, 46
	s_cbranch_scc0 .LBB248_1831
; %bb.1830:
	v_cvt_f32_f64_e32 v2, v[0:1]
	v_bfe_u32 v3, v2, 16, 1
	s_movk_i32 s0, 0x7fff
	v_add3_u32 v3, v2, v3, s0
	v_cmp_o_f32_e32 vcc, v2, v2
	v_mov_b32_e32 v2, 0x7fc0
	s_mov_b64 s[0:1], 0
	v_cndmask_b32_sdwa v2, v2, v3, vcc dst_sel:DWORD dst_unused:UNUSED_PAD src0_sel:DWORD src1_sel:WORD_1
	global_store_dword v[10:11], v2, off
	s_mov_b64 s[8:9], -1
.LBB248_1831:
	s_and_b64 vcc, exec, s[10:11]
	s_cbranch_vccz .LBB248_1836
; %bb.1832:
	s_cmp_eq_u32 s19, 44
	s_mov_b64 s[0:1], -1
	s_cbranch_scc0 .LBB248_1836
; %bb.1833:
	v_cvt_f32_f64_e32 v2, v[0:1]
	v_bfe_u32 v3, v2, 23, 8
	s_movk_i32 s0, 0xff
	v_cmp_ne_u32_e32 vcc, s0, v3
	v_mov_b32_e32 v9, 0xff
	s_and_saveexec_b64 s[8:9], vcc
; %bb.1834:
	s_mov_b32 s0, 0x3fffff
	v_lshrrev_b32_e32 v9, 23, v2
	v_and_b32_e32 v12, 0x400000, v2
	v_and_or_b32 v2, v2, s0, v3
	v_cmp_ne_u32_e32 vcc, 0, v12
	v_cmp_ne_u32_e64 s[0:1], 0, v2
	s_and_b64 s[0:1], vcc, s[0:1]
	s_nop 0
	v_cndmask_b32_e64 v2, 0, 1, s[0:1]
	v_add_u32_e32 v9, v9, v2
; %bb.1835:
	s_or_b64 exec, exec, s[8:9]
	s_mov_b64 s[0:1], 0
	s_mov_b64 s[8:9], -1
	global_store_byte v[10:11], v9, off
.LBB248_1836:
	s_mov_b64 s[10:11], 0
.LBB248_1837:
	s_and_b64 vcc, exec, s[10:11]
	s_cbranch_vccz .LBB248_1840
; %bb.1838:
	s_cmp_eq_u32 s19, 29
	s_mov_b64 s[0:1], -1
	s_cbranch_scc0 .LBB248_1840
; %bb.1839:
	v_trunc_f64_e32 v[2:3], v[0:1]
	s_movk_i32 s0, 0xffe0
	v_ldexp_f64 v[12:13], v[2:3], s0
	v_floor_f64_e32 v[12:13], v[12:13]
	v_fmac_f64_e32 v[2:3], 0xc1f00000, v[12:13]
	v_cvt_u32_f64_e32 v15, v[12:13]
	v_cvt_u32_f64_e32 v14, v[2:3]
	global_store_dwordx2 v[10:11], v[14:15], off
	s_mov_b64 s[0:1], 0
	s_mov_b64 s[8:9], -1
.LBB248_1840:
	s_mov_b64 s[10:11], 0
.LBB248_1841:
	s_and_b64 vcc, exec, s[10:11]
	s_cbranch_vccz .LBB248_1857
; %bb.1842:
	s_cmp_lt_i32 s19, 27
	s_mov_b64 s[8:9], -1
	s_cbranch_scc1 .LBB248_1848
; %bb.1843:
	s_cmp_gt_i32 s19, 27
	v_cvt_u32_f64_e32 v2, v[0:1]
	s_cbranch_scc0 .LBB248_1845
; %bb.1844:
	s_mov_b64 s[8:9], 0
	global_store_dword v[10:11], v2, off
.LBB248_1845:
	s_andn2_b64 vcc, exec, s[8:9]
	s_cbranch_vccnz .LBB248_1847
; %bb.1846:
	global_store_short v[10:11], v2, off
.LBB248_1847:
	s_mov_b64 s[8:9], 0
.LBB248_1848:
	s_andn2_b64 vcc, exec, s[8:9]
	s_cbranch_vccnz .LBB248_1856
; %bb.1849:
	v_cvt_f32_f64_e32 v2, v[0:1]
	v_and_b32_e32 v3, 0x7fffffff, v2
	s_mov_b32 s8, 0x43800000
	v_cmp_gt_u32_e32 vcc, s8, v3
	v_mov_b32_e32 v9, 0x80
	s_and_saveexec_b64 s[8:9], vcc
	s_cbranch_execz .LBB248_1855
; %bb.1850:
	s_mov_b32 s10, 0x3bffffff
	v_cmp_lt_u32_e32 vcc, s10, v3
	s_mov_b64 s[10:11], 0
                                        ; implicit-def: $vgpr3
	s_and_saveexec_b64 s[16:17], vcc
	s_xor_b64 s[16:17], exec, s[16:17]
	s_cbranch_execz .LBB248_2032
; %bb.1851:
	v_bfe_u32 v3, v2, 20, 1
	s_mov_b32 s21, 0x487ffff
	v_add3_u32 v3, v2, v3, s21
	s_mov_b64 s[10:11], exec
	v_lshrrev_b32_e32 v3, 20, v3
	s_andn2_saveexec_b64 s[16:17], s[16:17]
	s_cbranch_execnz .LBB248_2033
.LBB248_1852:
	s_or_b64 exec, exec, s[16:17]
	v_mov_b32_e32 v9, 0
	s_and_saveexec_b64 s[16:17], s[10:11]
.LBB248_1853:
	v_lshrrev_b32_e32 v2, 24, v2
	s_movk_i32 s10, 0x80
	v_and_or_b32 v9, v2, s10, v3
.LBB248_1854:
	s_or_b64 exec, exec, s[16:17]
.LBB248_1855:
	s_or_b64 exec, exec, s[8:9]
	global_store_byte v[10:11], v9, off
.LBB248_1856:
	s_mov_b64 s[8:9], -1
.LBB248_1857:
	s_mov_b64 s[10:11], 0
.LBB248_1858:
	s_and_b64 vcc, exec, s[10:11]
	s_cbranch_vccz .LBB248_1898
; %bb.1859:
	s_cmp_gt_i32 s19, 22
	s_mov_b64 s[6:7], -1
	s_cbranch_scc0 .LBB248_1891
; %bb.1860:
	s_cmp_lt_i32 s19, 24
	s_cbranch_scc1 .LBB248_1880
; %bb.1861:
	s_cmp_gt_i32 s19, 24
	s_cbranch_scc0 .LBB248_1869
; %bb.1862:
	v_cvt_f32_f64_e32 v2, v[0:1]
	v_and_b32_e32 v3, 0x7fffffff, v2
	s_mov_b32 s6, 0x47800000
	v_cmp_gt_u32_e32 vcc, s6, v3
	v_mov_b32_e32 v9, 0x80
	s_and_saveexec_b64 s[6:7], vcc
	s_cbranch_execz .LBB248_1868
; %bb.1863:
	s_mov_b32 s8, 0x37ffffff
	v_cmp_lt_u32_e32 vcc, s8, v3
	s_mov_b64 s[8:9], 0
                                        ; implicit-def: $vgpr3
	s_and_saveexec_b64 s[10:11], vcc
	s_xor_b64 s[10:11], exec, s[10:11]
	s_cbranch_execz .LBB248_2035
; %bb.1864:
	v_bfe_u32 v3, v2, 21, 1
	s_mov_b32 s16, 0x88fffff
	v_add3_u32 v3, v2, v3, s16
	s_mov_b64 s[8:9], exec
	v_lshrrev_b32_e32 v3, 21, v3
	s_andn2_saveexec_b64 s[10:11], s[10:11]
	s_cbranch_execnz .LBB248_2036
.LBB248_1865:
	s_or_b64 exec, exec, s[10:11]
	v_mov_b32_e32 v9, 0
	s_and_saveexec_b64 s[10:11], s[8:9]
.LBB248_1866:
	v_lshrrev_b32_e32 v2, 24, v2
	s_movk_i32 s8, 0x80
	v_and_or_b32 v9, v2, s8, v3
.LBB248_1867:
	s_or_b64 exec, exec, s[10:11]
.LBB248_1868:
	s_or_b64 exec, exec, s[6:7]
	s_mov_b64 s[6:7], 0
	global_store_byte v[10:11], v9, off
.LBB248_1869:
	s_and_b64 vcc, exec, s[6:7]
	s_cbranch_vccz .LBB248_1879
; %bb.1870:
	v_cvt_f32_f64_e32 v2, v[0:1]
	v_and_b32_e32 v9, 0x7fffffff, v2
	s_mov_b32 s6, 0x43f00000
	v_cmp_gt_u32_e32 vcc, s6, v9
                                        ; implicit-def: $vgpr3
	s_and_saveexec_b64 s[6:7], vcc
	s_xor_b64 s[6:7], exec, s[6:7]
	s_cbranch_execz .LBB248_1876
; %bb.1871:
	s_mov_b32 s8, 0x3c7fffff
	v_cmp_lt_u32_e32 vcc, s8, v9
                                        ; implicit-def: $vgpr3
	s_and_saveexec_b64 s[8:9], vcc
	s_xor_b64 s[8:9], exec, s[8:9]
; %bb.1872:
	v_bfe_u32 v3, v2, 20, 1
	s_mov_b32 s10, 0x407ffff
	v_add3_u32 v3, v2, v3, s10
	v_lshrrev_b32_e32 v9, 20, v3
	v_and_b32_e32 v3, 0xff00000, v3
	s_mov_b32 s10, 0x7f00000
	v_mov_b32_e32 v12, 0x7e
	v_cmp_ne_u32_e32 vcc, s10, v3
	s_nop 1
	v_cndmask_b32_e32 v3, v12, v9, vcc
; %bb.1873:
	s_andn2_saveexec_b64 s[8:9], s[8:9]
; %bb.1874:
	s_mov_b32 s10, 0x46800000
	v_add_f32_e64 v3, |v2|, s10
; %bb.1875:
	s_or_b64 exec, exec, s[8:9]
                                        ; implicit-def: $vgpr9
.LBB248_1876:
	s_andn2_saveexec_b64 s[6:7], s[6:7]
; %bb.1877:
	s_mov_b32 s8, 0x7f800000
	v_mov_b32_e32 v3, 0x7e
	v_mov_b32_e32 v12, 0x7f
	v_cmp_lt_u32_e32 vcc, s8, v9
	s_nop 1
	v_cndmask_b32_e32 v3, v3, v12, vcc
; %bb.1878:
	s_or_b64 exec, exec, s[6:7]
	v_lshrrev_b32_e32 v2, 24, v2
	s_movk_i32 s6, 0x80
	v_and_or_b32 v2, v2, s6, v3
	global_store_byte v[10:11], v2, off
.LBB248_1879:
	s_mov_b64 s[6:7], 0
.LBB248_1880:
	s_andn2_b64 vcc, exec, s[6:7]
	s_cbranch_vccnz .LBB248_1890
; %bb.1881:
	v_cvt_f32_f64_e32 v2, v[0:1]
	v_and_b32_e32 v9, 0x7fffffff, v2
	s_mov_b32 s6, 0x47800000
	v_cmp_gt_u32_e32 vcc, s6, v9
                                        ; implicit-def: $vgpr3
	s_and_saveexec_b64 s[6:7], vcc
	s_xor_b64 s[6:7], exec, s[6:7]
	s_cbranch_execz .LBB248_1887
; %bb.1882:
	s_mov_b32 s8, 0x387fffff
	v_cmp_lt_u32_e32 vcc, s8, v9
                                        ; implicit-def: $vgpr3
	s_and_saveexec_b64 s[8:9], vcc
	s_xor_b64 s[8:9], exec, s[8:9]
; %bb.1883:
	v_bfe_u32 v3, v2, 21, 1
	s_mov_b32 s10, 0x80fffff
	v_add3_u32 v3, v2, v3, s10
	v_lshrrev_b32_e32 v3, 21, v3
; %bb.1884:
	s_andn2_saveexec_b64 s[8:9], s[8:9]
; %bb.1885:
	s_mov_b32 s10, 0x43000000
	v_add_f32_e64 v3, |v2|, s10
; %bb.1886:
	s_or_b64 exec, exec, s[8:9]
                                        ; implicit-def: $vgpr9
.LBB248_1887:
	s_andn2_saveexec_b64 s[6:7], s[6:7]
; %bb.1888:
	s_mov_b32 s8, 0x7f800000
	v_mov_b32_e32 v3, 0x7c
	v_mov_b32_e32 v12, 0x7f
	v_cmp_lt_u32_e32 vcc, s8, v9
	s_nop 1
	v_cndmask_b32_e32 v3, v3, v12, vcc
; %bb.1889:
	s_or_b64 exec, exec, s[6:7]
	v_lshrrev_b32_e32 v2, 24, v2
	s_movk_i32 s6, 0x80
	v_and_or_b32 v2, v2, s6, v3
	global_store_byte v[10:11], v2, off
.LBB248_1890:
	s_mov_b64 s[6:7], 0
	s_mov_b64 s[8:9], -1
.LBB248_1891:
	s_andn2_b64 vcc, exec, s[6:7]
	s_mov_b64 s[6:7], 0
	s_cbranch_vccnz .LBB248_1898
; %bb.1892:
	s_cmp_gt_i32 s19, 14
	s_mov_b64 s[10:11], -1
	s_cbranch_scc0 .LBB248_1896
; %bb.1893:
	s_cmp_eq_u32 s19, 15
	s_mov_b64 s[0:1], -1
	s_cbranch_scc0 .LBB248_1895
; %bb.1894:
	v_cvt_f32_f64_e32 v2, v[0:1]
	v_bfe_u32 v3, v2, 16, 1
	s_movk_i32 s0, 0x7fff
	v_add3_u32 v3, v2, v3, s0
	v_cmp_o_f32_e32 vcc, v2, v2
	v_mov_b32_e32 v2, 0x7fc0
	s_mov_b64 s[0:1], 0
	v_cndmask_b32_sdwa v2, v2, v3, vcc dst_sel:DWORD dst_unused:UNUSED_PAD src0_sel:DWORD src1_sel:WORD_1
	global_store_short v[10:11], v2, off
	s_mov_b64 s[8:9], -1
.LBB248_1895:
	s_mov_b64 s[10:11], 0
.LBB248_1896:
	s_and_b64 vcc, exec, s[10:11]
	s_cbranch_vccz .LBB248_1898
; %bb.1897:
	s_cmp_lg_u32 s19, 11
	s_mov_b64 s[6:7], -1
	s_cselect_b64 s[0:1], -1, 0
.LBB248_1898:
	s_and_b64 vcc, exec, s[0:1]
	s_cbranch_vccnz .LBB248_2034
; %bb.1899:
	s_andn2_b64 vcc, exec, s[6:7]
	s_cbranch_vccnz .LBB248_1901
.LBB248_1900:
	v_cmp_neq_f64_e32 vcc, 0, v[6:7]
	s_mov_b64 s[8:9], -1
	s_nop 0
	v_cndmask_b32_e64 v2, 0, 1, vcc
	global_store_byte v[10:11], v2, off
.LBB248_1901:
	s_mov_b64 s[0:1], 0
	s_branch .LBB248_1903
.LBB248_1902:
	s_mov_b64 s[0:1], -1
	s_mov_b64 s[8:9], 0
.LBB248_1903:
	s_and_b64 vcc, exec, s[0:1]
	s_cbranch_vccz .LBB248_1942
; %bb.1904:
	s_and_b32 s6, 0xffff, s20
	s_cmp_lt_i32 s6, 5
	s_mov_b64 s[0:1], -1
	s_cbranch_scc1 .LBB248_1925
; %bb.1905:
	s_cmp_lt_i32 s6, 8
	s_cbranch_scc1 .LBB248_1915
; %bb.1906:
	s_cmp_lt_i32 s6, 9
	s_cbranch_scc1 .LBB248_1912
; %bb.1907:
	s_cmp_gt_i32 s6, 9
	s_cbranch_scc0 .LBB248_1909
; %bb.1908:
	v_mov_b32_e32 v2, 0
	v_mov_b32_e32 v3, v2
	global_store_dwordx4 v[10:11], v[0:3], off
	s_mov_b64 s[0:1], 0
.LBB248_1909:
	s_andn2_b64 vcc, exec, s[0:1]
	s_cbranch_vccnz .LBB248_1911
; %bb.1910:
	v_cvt_f32_f64_e32 v2, v[0:1]
	v_mov_b32_e32 v3, 0
	global_store_dwordx2 v[10:11], v[2:3], off
.LBB248_1911:
	s_mov_b64 s[0:1], 0
.LBB248_1912:
	s_andn2_b64 vcc, exec, s[0:1]
	s_cbranch_vccnz .LBB248_1914
; %bb.1913:
	s_movk_i32 s0, 0x1ff
	v_and_or_b32 v2, v1, s0, v0
	v_cmp_ne_u32_e32 vcc, 0, v2
	v_lshrrev_b32_e32 v3, 8, v1
	s_movk_i32 s0, 0xffe
	v_cndmask_b32_e64 v2, 0, 1, vcc
	v_bfe_u32 v6, v1, 20, 11
	v_and_or_b32 v2, v3, s0, v2
	v_sub_u32_e32 v7, 0x3f1, v6
	v_or_b32_e32 v3, 0x1000, v2
	v_med3_i32 v7, v7, 0, 13
	v_lshrrev_b32_e32 v9, v7, v3
	v_lshlrev_b32_e32 v7, v7, v9
	v_cmp_ne_u32_e32 vcc, v7, v3
	v_add_u32_e32 v6, 0xfffffc10, v6
	v_lshl_or_b32 v7, v6, 12, v2
	v_cndmask_b32_e64 v3, 0, 1, vcc
	v_or_b32_e32 v3, v9, v3
	v_cmp_gt_i32_e32 vcc, 1, v6
	s_movk_i32 s0, 0x40f
	s_nop 0
	v_cndmask_b32_e32 v3, v7, v3, vcc
	v_and_b32_e32 v7, 7, v3
	v_cmp_lt_i32_e32 vcc, 5, v7
	v_lshrrev_b32_e32 v3, 2, v3
	s_nop 0
	v_cndmask_b32_e64 v9, 0, 1, vcc
	v_cmp_eq_u32_e32 vcc, 3, v7
	s_nop 1
	v_cndmask_b32_e64 v7, 0, 1, vcc
	v_or_b32_e32 v7, v7, v9
	v_add_u32_e32 v3, v3, v7
	v_mov_b32_e32 v7, 0x7c00
	v_cmp_gt_i32_e32 vcc, 31, v6
	v_mov_b32_e32 v9, 0x7e00
	s_nop 0
	v_cndmask_b32_e32 v3, v7, v3, vcc
	v_cmp_ne_u32_e32 vcc, 0, v2
	s_nop 1
	v_cndmask_b32_e32 v2, v7, v9, vcc
	v_cmp_eq_u32_e32 vcc, s0, v6
	s_mov_b32 s0, 0x8000
	s_nop 0
	v_cndmask_b32_e32 v2, v3, v2, vcc
	v_and_b32_sdwa v3, v1, s0 dst_sel:DWORD dst_unused:UNUSED_PAD src0_sel:WORD_1 src1_sel:DWORD
	s_mov_b32 s0, 0xffff
	v_bitop3_b32 v2, v3, s0, v2 bitop3:0xc8
	global_store_dword v[10:11], v2, off
.LBB248_1914:
	s_mov_b64 s[0:1], 0
.LBB248_1915:
	s_andn2_b64 vcc, exec, s[0:1]
	s_cbranch_vccnz .LBB248_1924
; %bb.1916:
	s_cmp_lt_i32 s6, 6
	s_mov_b64 s[0:1], -1
	s_cbranch_scc1 .LBB248_1922
; %bb.1917:
	s_cmp_gt_i32 s6, 6
	s_cbranch_scc0 .LBB248_1919
; %bb.1918:
	global_store_dwordx2 v[10:11], v[0:1], off
	s_mov_b64 s[0:1], 0
.LBB248_1919:
	s_andn2_b64 vcc, exec, s[0:1]
	s_cbranch_vccnz .LBB248_1921
; %bb.1920:
	v_cvt_f32_f64_e32 v2, v[0:1]
	global_store_dword v[10:11], v2, off
.LBB248_1921:
	s_mov_b64 s[0:1], 0
.LBB248_1922:
	s_andn2_b64 vcc, exec, s[0:1]
	s_cbranch_vccnz .LBB248_1924
; %bb.1923:
	s_movk_i32 s0, 0x1ff
	v_and_or_b32 v2, v1, s0, v0
	v_cmp_ne_u32_e32 vcc, 0, v2
	v_lshrrev_b32_e32 v3, 8, v1
	s_movk_i32 s0, 0xffe
	v_cndmask_b32_e64 v2, 0, 1, vcc
	v_bfe_u32 v6, v1, 20, 11
	v_and_or_b32 v2, v3, s0, v2
	v_sub_u32_e32 v7, 0x3f1, v6
	v_or_b32_e32 v3, 0x1000, v2
	v_med3_i32 v7, v7, 0, 13
	v_lshrrev_b32_e32 v9, v7, v3
	v_lshlrev_b32_e32 v7, v7, v9
	v_cmp_ne_u32_e32 vcc, v7, v3
	v_add_u32_e32 v6, 0xfffffc10, v6
	v_lshl_or_b32 v7, v6, 12, v2
	v_cndmask_b32_e64 v3, 0, 1, vcc
	v_or_b32_e32 v3, v9, v3
	v_cmp_gt_i32_e32 vcc, 1, v6
	s_movk_i32 s0, 0x40f
	s_nop 0
	v_cndmask_b32_e32 v3, v7, v3, vcc
	v_and_b32_e32 v7, 7, v3
	v_cmp_lt_i32_e32 vcc, 5, v7
	v_lshrrev_b32_e32 v3, 2, v3
	s_nop 0
	v_cndmask_b32_e64 v9, 0, 1, vcc
	v_cmp_eq_u32_e32 vcc, 3, v7
	s_nop 1
	v_cndmask_b32_e64 v7, 0, 1, vcc
	v_or_b32_e32 v7, v7, v9
	v_add_u32_e32 v3, v3, v7
	v_mov_b32_e32 v7, 0x7c00
	v_cmp_gt_i32_e32 vcc, 31, v6
	v_mov_b32_e32 v9, 0x7e00
	s_nop 0
	v_cndmask_b32_e32 v3, v7, v3, vcc
	v_cmp_ne_u32_e32 vcc, 0, v2
	s_nop 1
	v_cndmask_b32_e32 v2, v7, v9, vcc
	v_cmp_eq_u32_e32 vcc, s0, v6
	s_mov_b32 s0, 0x8000
	s_nop 0
	v_cndmask_b32_e32 v2, v3, v2, vcc
	v_lshrrev_b32_e32 v3, 16, v1
	v_and_or_b32 v2, v3, s0, v2
	global_store_short v[10:11], v2, off
.LBB248_1924:
	s_mov_b64 s[0:1], 0
.LBB248_1925:
	s_andn2_b64 vcc, exec, s[0:1]
	s_cbranch_vccnz .LBB248_1941
; %bb.1926:
	s_cmp_lt_i32 s6, 2
	s_mov_b64 s[0:1], -1
	s_cbranch_scc1 .LBB248_1936
; %bb.1927:
	s_cmp_lt_i32 s6, 3
	s_cbranch_scc1 .LBB248_1933
; %bb.1928:
	s_cmp_gt_i32 s6, 3
	s_cbranch_scc0 .LBB248_1930
; %bb.1929:
	v_trunc_f64_e32 v[2:3], v[0:1]
	s_movk_i32 s0, 0xffe0
	v_ldexp_f64 v[6:7], v[2:3], s0
	v_floor_f64_e32 v[6:7], v[6:7]
	v_fmac_f64_e32 v[2:3], 0xc1f00000, v[6:7]
	v_cvt_i32_f64_e32 v13, v[6:7]
	v_cvt_u32_f64_e32 v12, v[2:3]
	global_store_dwordx2 v[10:11], v[12:13], off
	s_mov_b64 s[0:1], 0
.LBB248_1930:
	s_andn2_b64 vcc, exec, s[0:1]
	s_cbranch_vccnz .LBB248_1932
; %bb.1931:
	v_cvt_i32_f64_e32 v2, v[0:1]
	global_store_dword v[10:11], v2, off
.LBB248_1932:
	s_mov_b64 s[0:1], 0
.LBB248_1933:
	s_andn2_b64 vcc, exec, s[0:1]
	s_cbranch_vccnz .LBB248_1935
; %bb.1934:
	v_cvt_i32_f64_e32 v2, v[0:1]
	global_store_short v[10:11], v2, off
.LBB248_1935:
	s_mov_b64 s[0:1], 0
.LBB248_1936:
	s_andn2_b64 vcc, exec, s[0:1]
	s_cbranch_vccnz .LBB248_1941
; %bb.1937:
	s_cmp_gt_i32 s6, 0
	s_mov_b64 s[0:1], -1
	s_cbranch_scc0 .LBB248_1939
; %bb.1938:
	v_cvt_i32_f64_e32 v2, v[0:1]
	global_store_byte v[10:11], v2, off
	s_mov_b64 s[0:1], 0
.LBB248_1939:
	s_andn2_b64 vcc, exec, s[0:1]
	s_cbranch_vccnz .LBB248_1941
; %bb.1940:
	v_trunc_f64_e32 v[0:1], v[0:1]
	s_movk_i32 s0, 0xffe0
	v_ldexp_f64 v[2:3], v[0:1], s0
	v_floor_f64_e32 v[2:3], v[2:3]
	v_fmac_f64_e32 v[0:1], 0xc1f00000, v[2:3]
	v_cvt_u32_f64_e32 v0, v[0:1]
	global_store_byte v[10:11], v0, off
.LBB248_1941:
	s_mov_b64 s[8:9], -1
.LBB248_1942:
	s_andn2_b64 vcc, exec, s[8:9]
	s_cbranch_vccnz .LBB248_2019
; %bb.1943:
	s_mov_b32 s0, 0
	s_brev_b32 s1, 8
	v_mov_b32_e32 v0, 0x100
	v_cmp_gt_f64_e32 vcc, s[0:1], v[4:5]
	s_cmp_lt_i32 s20, 11
	s_nop 0
	v_cndmask_b32_e32 v0, 0, v0, vcc
	v_ldexp_f64 v[0:1], v[4:5], v0
	v_rsq_f64_e32 v[2:3], v[0:1]
	s_nop 0
	v_mul_f64 v[6:7], v[0:1], v[2:3]
	v_mul_f64 v[2:3], v[2:3], 0.5
	v_fma_f64 v[10:11], -v[2:3], v[6:7], 0.5
	v_fmac_f64_e32 v[6:7], v[6:7], v[10:11]
	v_fma_f64 v[12:13], -v[6:7], v[6:7], v[0:1]
	v_fmac_f64_e32 v[2:3], v[2:3], v[10:11]
	v_fmac_f64_e32 v[6:7], v[12:13], v[2:3]
	v_fma_f64 v[10:11], -v[6:7], v[6:7], v[0:1]
	v_fmac_f64_e32 v[6:7], v[10:11], v[2:3]
	v_mov_b32_e32 v2, 0xffffff80
	v_cndmask_b32_e32 v2, 0, v2, vcc
	v_ldexp_f64 v[2:3], v[6:7], v2
	v_mov_b32_e32 v6, 0x260
	v_cmp_class_f64_e32 vcc, v[0:1], v6
	s_nop 1
	v_cndmask_b32_e32 v0, v2, v0, vcc
	v_add_u32_e32 v2, s18, v8
	v_cndmask_b32_e32 v1, v3, v1, vcc
	v_ashrrev_i32_e32 v3, 31, v2
	v_lshl_add_u64 v[6:7], s[4:5], 0, v[2:3]
	s_cbranch_scc1 .LBB248_2020
; %bb.1944:
	s_and_b32 s16, 0xffff, s20
	s_mov_b64 s[6:7], -1
	s_mov_b64 s[4:5], 0
	s_cmp_gt_i32 s16, 25
	s_mov_b64 s[0:1], 0
	s_cbranch_scc0 .LBB248_1977
; %bb.1945:
	s_cmp_gt_i32 s16, 28
	s_cbranch_scc0 .LBB248_1961
; %bb.1946:
	s_cmp_gt_i32 s16, 43
	;; [unrolled: 3-line block ×3, first 2 shown]
	s_cbranch_scc0 .LBB248_1951
; %bb.1948:
	s_cmp_eq_u32 s16, 46
	s_mov_b64 s[0:1], -1
	s_cbranch_scc0 .LBB248_1950
; %bb.1949:
	v_cvt_f32_f64_e32 v2, v[0:1]
	v_bfe_u32 v3, v2, 16, 1
	s_movk_i32 s0, 0x7fff
	v_add3_u32 v3, v2, v3, s0
	v_cmp_o_f32_e32 vcc, v2, v2
	v_mov_b32_e32 v2, 0x7fc0
	s_mov_b64 s[0:1], 0
	v_cndmask_b32_sdwa v2, v2, v3, vcc dst_sel:DWORD dst_unused:UNUSED_PAD src0_sel:DWORD src1_sel:WORD_1
	global_store_dword v[6:7], v2, off
.LBB248_1950:
	s_mov_b64 s[6:7], 0
.LBB248_1951:
	s_and_b64 vcc, exec, s[6:7]
	s_cbranch_vccz .LBB248_1956
; %bb.1952:
	s_cmp_eq_u32 s16, 44
	s_mov_b64 s[0:1], -1
	s_cbranch_scc0 .LBB248_1956
; %bb.1953:
	v_cvt_f32_f64_e32 v2, v[0:1]
	v_bfe_u32 v3, v2, 23, 8
	s_movk_i32 s0, 0xff
	v_cmp_ne_u32_e32 vcc, s0, v3
	v_mov_b32_e32 v8, 0xff
	s_and_saveexec_b64 s[6:7], vcc
; %bb.1954:
	s_mov_b32 s0, 0x3fffff
	v_lshrrev_b32_e32 v8, 23, v2
	v_and_b32_e32 v9, 0x400000, v2
	v_and_or_b32 v2, v2, s0, v3
	v_cmp_ne_u32_e32 vcc, 0, v9
	v_cmp_ne_u32_e64 s[0:1], 0, v2
	s_and_b64 s[0:1], vcc, s[0:1]
	s_nop 0
	v_cndmask_b32_e64 v2, 0, 1, s[0:1]
	v_add_u32_e32 v8, v8, v2
; %bb.1955:
	s_or_b64 exec, exec, s[6:7]
	s_mov_b64 s[0:1], 0
	global_store_byte v[6:7], v8, off
.LBB248_1956:
	s_mov_b64 s[6:7], 0
.LBB248_1957:
	s_and_b64 vcc, exec, s[6:7]
	s_cbranch_vccz .LBB248_1960
; %bb.1958:
	s_cmp_eq_u32 s16, 29
	s_mov_b64 s[0:1], -1
	s_cbranch_scc0 .LBB248_1960
; %bb.1959:
	v_trunc_f64_e32 v[2:3], v[0:1]
	s_movk_i32 s0, 0xffe0
	v_ldexp_f64 v[8:9], v[2:3], s0
	v_floor_f64_e32 v[8:9], v[8:9]
	v_fmac_f64_e32 v[2:3], 0xc1f00000, v[8:9]
	v_cvt_u32_f64_e32 v11, v[8:9]
	v_cvt_u32_f64_e32 v10, v[2:3]
	global_store_dwordx2 v[6:7], v[10:11], off
	s_mov_b64 s[0:1], 0
.LBB248_1960:
	s_mov_b64 s[6:7], 0
.LBB248_1961:
	s_and_b64 vcc, exec, s[6:7]
	s_cbranch_vccz .LBB248_1976
; %bb.1962:
	s_cmp_lt_i32 s16, 27
	s_mov_b64 s[6:7], -1
	s_cbranch_scc1 .LBB248_1968
; %bb.1963:
	s_cmp_gt_i32 s16, 27
	v_cvt_u32_f64_e32 v2, v[0:1]
	s_cbranch_scc0 .LBB248_1965
; %bb.1964:
	global_store_dword v[6:7], v2, off
	s_mov_b64 s[6:7], 0
.LBB248_1965:
	s_andn2_b64 vcc, exec, s[6:7]
	s_cbranch_vccnz .LBB248_1967
; %bb.1966:
	global_store_short v[6:7], v2, off
.LBB248_1967:
	s_mov_b64 s[6:7], 0
.LBB248_1968:
	s_andn2_b64 vcc, exec, s[6:7]
	s_cbranch_vccnz .LBB248_1976
; %bb.1969:
	v_cvt_f32_f64_e32 v2, v[0:1]
	v_and_b32_e32 v3, 0x7fffffff, v2
	s_mov_b32 s6, 0x43800000
	v_cmp_gt_u32_e32 vcc, s6, v3
	v_mov_b32_e32 v8, 0x80
	s_and_saveexec_b64 s[6:7], vcc
	s_cbranch_execz .LBB248_1975
; %bb.1970:
	s_mov_b32 s8, 0x3bffffff
	v_cmp_lt_u32_e32 vcc, s8, v3
	s_mov_b64 s[8:9], 0
                                        ; implicit-def: $vgpr3
	s_and_saveexec_b64 s[10:11], vcc
	s_xor_b64 s[10:11], exec, s[10:11]
	s_cbranch_execz .LBB248_2037
; %bb.1971:
	v_bfe_u32 v3, v2, 20, 1
	s_mov_b32 s17, 0x487ffff
	v_add3_u32 v3, v2, v3, s17
	s_mov_b64 s[8:9], exec
	v_lshrrev_b32_e32 v3, 20, v3
	s_andn2_saveexec_b64 s[10:11], s[10:11]
	s_cbranch_execnz .LBB248_2038
.LBB248_1972:
	s_or_b64 exec, exec, s[10:11]
	v_mov_b32_e32 v8, 0
	s_and_saveexec_b64 s[10:11], s[8:9]
.LBB248_1973:
	v_lshrrev_b32_e32 v2, 24, v2
	s_movk_i32 s8, 0x80
	v_and_or_b32 v8, v2, s8, v3
.LBB248_1974:
	s_or_b64 exec, exec, s[10:11]
.LBB248_1975:
	s_or_b64 exec, exec, s[6:7]
	global_store_byte v[6:7], v8, off
.LBB248_1976:
	s_mov_b64 s[6:7], 0
.LBB248_1977:
	s_and_b64 vcc, exec, s[6:7]
	s_cbranch_vccz .LBB248_2017
; %bb.1978:
	s_cmp_gt_i32 s16, 22
	s_mov_b64 s[4:5], -1
	s_cbranch_scc0 .LBB248_2010
; %bb.1979:
	s_cmp_lt_i32 s16, 24
	s_cbranch_scc1 .LBB248_1999
; %bb.1980:
	s_cmp_gt_i32 s16, 24
	s_cbranch_scc0 .LBB248_1988
; %bb.1981:
	v_cvt_f32_f64_e32 v2, v[0:1]
	v_and_b32_e32 v3, 0x7fffffff, v2
	s_mov_b32 s4, 0x47800000
	v_cmp_gt_u32_e32 vcc, s4, v3
	v_mov_b32_e32 v8, 0x80
	s_and_saveexec_b64 s[4:5], vcc
	s_cbranch_execz .LBB248_1987
; %bb.1982:
	s_mov_b32 s6, 0x37ffffff
	v_cmp_lt_u32_e32 vcc, s6, v3
	s_mov_b64 s[6:7], 0
                                        ; implicit-def: $vgpr3
	s_and_saveexec_b64 s[8:9], vcc
	s_xor_b64 s[8:9], exec, s[8:9]
	s_cbranch_execz .LBB248_2040
; %bb.1983:
	v_bfe_u32 v3, v2, 21, 1
	s_mov_b32 s10, 0x88fffff
	v_add3_u32 v3, v2, v3, s10
	s_mov_b64 s[6:7], exec
	v_lshrrev_b32_e32 v3, 21, v3
	s_andn2_saveexec_b64 s[8:9], s[8:9]
	s_cbranch_execnz .LBB248_2041
.LBB248_1984:
	s_or_b64 exec, exec, s[8:9]
	v_mov_b32_e32 v8, 0
	s_and_saveexec_b64 s[8:9], s[6:7]
.LBB248_1985:
	v_lshrrev_b32_e32 v2, 24, v2
	s_movk_i32 s6, 0x80
	v_and_or_b32 v8, v2, s6, v3
.LBB248_1986:
	s_or_b64 exec, exec, s[8:9]
.LBB248_1987:
	s_or_b64 exec, exec, s[4:5]
	s_mov_b64 s[4:5], 0
	global_store_byte v[6:7], v8, off
.LBB248_1988:
	s_and_b64 vcc, exec, s[4:5]
	s_cbranch_vccz .LBB248_1998
; %bb.1989:
	v_cvt_f32_f64_e32 v2, v[0:1]
	v_and_b32_e32 v8, 0x7fffffff, v2
	s_mov_b32 s4, 0x43f00000
	v_cmp_gt_u32_e32 vcc, s4, v8
                                        ; implicit-def: $vgpr3
	s_and_saveexec_b64 s[4:5], vcc
	s_xor_b64 s[4:5], exec, s[4:5]
	s_cbranch_execz .LBB248_1995
; %bb.1990:
	s_mov_b32 s6, 0x3c7fffff
	v_cmp_lt_u32_e32 vcc, s6, v8
                                        ; implicit-def: $vgpr3
	s_and_saveexec_b64 s[6:7], vcc
	s_xor_b64 s[6:7], exec, s[6:7]
; %bb.1991:
	v_bfe_u32 v3, v2, 20, 1
	s_mov_b32 s8, 0x407ffff
	v_add3_u32 v3, v2, v3, s8
	v_lshrrev_b32_e32 v8, 20, v3
	v_and_b32_e32 v3, 0xff00000, v3
	s_mov_b32 s8, 0x7f00000
	v_mov_b32_e32 v9, 0x7e
	v_cmp_ne_u32_e32 vcc, s8, v3
	s_nop 1
	v_cndmask_b32_e32 v3, v9, v8, vcc
; %bb.1992:
	s_andn2_saveexec_b64 s[6:7], s[6:7]
; %bb.1993:
	s_mov_b32 s8, 0x46800000
	v_add_f32_e64 v3, |v2|, s8
; %bb.1994:
	s_or_b64 exec, exec, s[6:7]
                                        ; implicit-def: $vgpr8
.LBB248_1995:
	s_andn2_saveexec_b64 s[4:5], s[4:5]
; %bb.1996:
	s_mov_b32 s6, 0x7f800000
	v_mov_b32_e32 v3, 0x7e
	v_mov_b32_e32 v9, 0x7f
	v_cmp_lt_u32_e32 vcc, s6, v8
	s_nop 1
	v_cndmask_b32_e32 v3, v3, v9, vcc
; %bb.1997:
	s_or_b64 exec, exec, s[4:5]
	v_lshrrev_b32_e32 v2, 24, v2
	s_movk_i32 s4, 0x80
	v_and_or_b32 v2, v2, s4, v3
	global_store_byte v[6:7], v2, off
.LBB248_1998:
	s_mov_b64 s[4:5], 0
.LBB248_1999:
	s_andn2_b64 vcc, exec, s[4:5]
	s_cbranch_vccnz .LBB248_2009
; %bb.2000:
	v_cvt_f32_f64_e32 v2, v[0:1]
	v_and_b32_e32 v8, 0x7fffffff, v2
	s_mov_b32 s4, 0x47800000
	v_cmp_gt_u32_e32 vcc, s4, v8
                                        ; implicit-def: $vgpr3
	s_and_saveexec_b64 s[4:5], vcc
	s_xor_b64 s[4:5], exec, s[4:5]
	s_cbranch_execz .LBB248_2006
; %bb.2001:
	s_mov_b32 s6, 0x387fffff
	v_cmp_lt_u32_e32 vcc, s6, v8
                                        ; implicit-def: $vgpr3
	s_and_saveexec_b64 s[6:7], vcc
	s_xor_b64 s[6:7], exec, s[6:7]
; %bb.2002:
	v_bfe_u32 v3, v2, 21, 1
	s_mov_b32 s8, 0x80fffff
	v_add3_u32 v3, v2, v3, s8
	v_lshrrev_b32_e32 v3, 21, v3
; %bb.2003:
	s_andn2_saveexec_b64 s[6:7], s[6:7]
; %bb.2004:
	s_mov_b32 s8, 0x43000000
	v_add_f32_e64 v3, |v2|, s8
; %bb.2005:
	s_or_b64 exec, exec, s[6:7]
                                        ; implicit-def: $vgpr8
.LBB248_2006:
	s_andn2_saveexec_b64 s[4:5], s[4:5]
; %bb.2007:
	s_mov_b32 s6, 0x7f800000
	v_mov_b32_e32 v3, 0x7c
	v_mov_b32_e32 v9, 0x7f
	v_cmp_lt_u32_e32 vcc, s6, v8
	s_nop 1
	v_cndmask_b32_e32 v3, v3, v9, vcc
; %bb.2008:
	s_or_b64 exec, exec, s[4:5]
	v_lshrrev_b32_e32 v2, 24, v2
	s_movk_i32 s4, 0x80
	v_and_or_b32 v2, v2, s4, v3
	global_store_byte v[6:7], v2, off
.LBB248_2009:
	s_mov_b64 s[4:5], 0
.LBB248_2010:
	s_andn2_b64 vcc, exec, s[4:5]
	s_mov_b64 s[4:5], 0
	s_cbranch_vccnz .LBB248_2017
; %bb.2011:
	s_cmp_gt_i32 s16, 14
	s_mov_b64 s[6:7], -1
	s_cbranch_scc0 .LBB248_2015
; %bb.2012:
	s_cmp_eq_u32 s16, 15
	s_mov_b64 s[0:1], -1
	s_cbranch_scc0 .LBB248_2014
; %bb.2013:
	v_cvt_f32_f64_e32 v2, v[0:1]
	v_bfe_u32 v3, v2, 16, 1
	s_movk_i32 s0, 0x7fff
	v_add3_u32 v3, v2, v3, s0
	v_cmp_o_f32_e32 vcc, v2, v2
	v_mov_b32_e32 v2, 0x7fc0
	s_mov_b64 s[0:1], 0
	v_cndmask_b32_sdwa v2, v2, v3, vcc dst_sel:DWORD dst_unused:UNUSED_PAD src0_sel:DWORD src1_sel:WORD_1
	global_store_short v[6:7], v2, off
.LBB248_2014:
	s_mov_b64 s[6:7], 0
.LBB248_2015:
	s_and_b64 vcc, exec, s[6:7]
	s_cbranch_vccz .LBB248_2017
; %bb.2016:
	s_cmp_lg_u32 s16, 11
	s_mov_b64 s[4:5], -1
	s_cselect_b64 s[0:1], -1, 0
.LBB248_2017:
	s_and_b64 vcc, exec, s[0:1]
	s_cbranch_vccnz .LBB248_2039
.LBB248_2018:
	s_mov_b64 s[0:1], 0
	s_branch .LBB248_1424
.LBB248_2019:
	s_mov_b64 s[0:1], 0
                                        ; implicit-def: $sgpr20
                                        ; implicit-def: $vgpr6_vgpr7
                                        ; implicit-def: $vgpr0_vgpr1
	s_branch .LBB248_1423
.LBB248_2020:
	s_mov_b64 s[4:5], 0
	s_mov_b64 s[0:1], -1
	s_branch .LBB248_1424
.LBB248_2021:
	s_trap 2
	s_or_b64 s[14:15], s[14:15], exec
	s_cbranch_execz .LBB248_1534
	s_branch .LBB248_1535
.LBB248_2022:
	s_andn2_saveexec_b64 s[18:19], s[18:19]
	s_cbranch_execz .LBB248_1614
.LBB248_2023:
	s_mov_b32 s21, 0x46000000
	v_add_f32_e64 v14, |v11|, s21
	v_and_b32_e32 v14, 0xff, v14
	v_cmp_ne_u32_e32 vcc, 0, v14
	s_andn2_b64 s[16:17], s[16:17], exec
	s_and_b64 s[22:23], vcc, exec
	s_or_b64 s[16:17], s[16:17], s[22:23]
	s_or_b64 exec, exec, s[18:19]
	v_mov_b32_e32 v15, 0
	s_and_saveexec_b64 s[18:19], s[16:17]
	s_cbranch_execnz .LBB248_1615
	s_branch .LBB248_1616
.LBB248_2024:
	s_trap 2
	s_or_b64 s[14:15], s[14:15], exec
	s_cbranch_execz .LBB248_1662
	s_branch .LBB248_1663
.LBB248_2025:
	s_andn2_saveexec_b64 s[16:17], s[16:17]
	s_cbranch_execz .LBB248_1627
.LBB248_2026:
	s_mov_b32 s18, 0x42800000
	v_add_f32_e64 v14, |v11|, s18
	v_and_b32_e32 v14, 0xff, v14
	v_cmp_ne_u32_e32 vcc, 0, v14
	s_andn2_b64 s[10:11], s[10:11], exec
	s_and_b64 s[18:19], vcc, exec
	s_or_b64 s[10:11], s[10:11], s[18:19]
	s_or_b64 exec, exec, s[16:17]
	v_mov_b32_e32 v15, 0
	s_and_saveexec_b64 s[16:17], s[10:11]
	s_cbranch_execnz .LBB248_1628
	s_branch .LBB248_1629
.LBB248_2027:
	s_andn2_saveexec_b64 s[16:17], s[16:17]
	s_cbranch_execz .LBB248_1733
.LBB248_2028:
	s_mov_b32 s21, 0x46000000
	v_add_f32_e64 v3, |v2|, s21
	v_and_b32_e32 v3, 0xff, v3
	v_cmp_ne_u32_e32 vcc, 0, v3
	s_andn2_b64 s[10:11], s[10:11], exec
	s_and_b64 s[22:23], vcc, exec
	s_or_b64 s[10:11], s[10:11], s[22:23]
	s_or_b64 exec, exec, s[16:17]
	v_mov_b32_e32 v11, 0
	s_and_saveexec_b64 s[16:17], s[10:11]
	s_cbranch_execnz .LBB248_1734
	s_branch .LBB248_1735
.LBB248_2029:
	s_trap 2
	s_or_b64 s[14:15], s[14:15], exec
	s_cbranch_execz .LBB248_1781
	s_branch .LBB248_1782
.LBB248_2030:
	s_andn2_saveexec_b64 s[10:11], s[10:11]
	s_cbranch_execz .LBB248_1746
.LBB248_2031:
	s_mov_b32 s16, 0x42800000
	v_add_f32_e64 v3, |v2|, s16
	v_and_b32_e32 v3, 0xff, v3
	v_cmp_ne_u32_e32 vcc, 0, v3
	s_andn2_b64 s[8:9], s[8:9], exec
	s_and_b64 s[16:17], vcc, exec
	s_or_b64 s[8:9], s[8:9], s[16:17]
	s_or_b64 exec, exec, s[10:11]
	v_mov_b32_e32 v11, 0
	s_and_saveexec_b64 s[10:11], s[8:9]
	s_cbranch_execnz .LBB248_1747
	s_branch .LBB248_1748
.LBB248_2032:
	s_andn2_saveexec_b64 s[16:17], s[16:17]
	s_cbranch_execz .LBB248_1852
.LBB248_2033:
	s_mov_b32 s21, 0x46000000
	v_add_f32_e64 v3, |v2|, s21
	v_and_b32_e32 v3, 0xff, v3
	v_cmp_ne_u32_e32 vcc, 0, v3
	s_andn2_b64 s[10:11], s[10:11], exec
	s_and_b64 s[22:23], vcc, exec
	s_or_b64 s[10:11], s[10:11], s[22:23]
	s_or_b64 exec, exec, s[16:17]
	v_mov_b32_e32 v9, 0
	s_and_saveexec_b64 s[16:17], s[10:11]
	s_cbranch_execnz .LBB248_1853
	s_branch .LBB248_1854
.LBB248_2034:
	s_trap 2
	s_or_b64 s[14:15], s[14:15], exec
	s_cbranch_execz .LBB248_1900
	s_branch .LBB248_1901
.LBB248_2035:
	s_andn2_saveexec_b64 s[10:11], s[10:11]
	s_cbranch_execz .LBB248_1865
.LBB248_2036:
	s_mov_b32 s16, 0x42800000
	v_add_f32_e64 v3, |v2|, s16
	v_and_b32_e32 v3, 0xff, v3
	v_cmp_ne_u32_e32 vcc, 0, v3
	s_andn2_b64 s[8:9], s[8:9], exec
	s_and_b64 s[16:17], vcc, exec
	s_or_b64 s[8:9], s[8:9], s[16:17]
	s_or_b64 exec, exec, s[10:11]
	v_mov_b32_e32 v9, 0
	s_and_saveexec_b64 s[10:11], s[8:9]
	s_cbranch_execnz .LBB248_1866
	s_branch .LBB248_1867
.LBB248_2037:
	s_andn2_saveexec_b64 s[10:11], s[10:11]
	s_cbranch_execz .LBB248_1972
.LBB248_2038:
	s_mov_b32 s17, 0x46000000
	v_add_f32_e64 v3, |v2|, s17
	v_and_b32_e32 v3, 0xff, v3
	v_cmp_ne_u32_e32 vcc, 0, v3
	s_andn2_b64 s[8:9], s[8:9], exec
	s_and_b64 s[18:19], vcc, exec
	s_or_b64 s[8:9], s[8:9], s[18:19]
	s_or_b64 exec, exec, s[10:11]
	v_mov_b32_e32 v8, 0
	s_and_saveexec_b64 s[10:11], s[8:9]
	s_cbranch_execnz .LBB248_1973
	s_branch .LBB248_1974
.LBB248_2039:
	s_mov_b64 s[4:5], 0
	s_or_b64 s[14:15], s[14:15], exec
	s_trap 2
	s_branch .LBB248_2018
.LBB248_2040:
	s_andn2_saveexec_b64 s[8:9], s[8:9]
	s_cbranch_execz .LBB248_1984
.LBB248_2041:
	s_mov_b32 s10, 0x42800000
	v_add_f32_e64 v3, |v2|, s10
	v_and_b32_e32 v3, 0xff, v3
	v_cmp_ne_u32_e32 vcc, 0, v3
	s_andn2_b64 s[6:7], s[6:7], exec
	s_and_b64 s[10:11], vcc, exec
	s_or_b64 s[6:7], s[6:7], s[10:11]
	s_or_b64 exec, exec, s[8:9]
	v_mov_b32_e32 v8, 0
	s_and_saveexec_b64 s[8:9], s[6:7]
	s_cbranch_execnz .LBB248_1985
	s_branch .LBB248_1986
	.section	.rodata,"a",@progbits
	.p2align	6, 0x0
	.amdhsa_kernel _ZN2at6native32elementwise_kernel_manual_unrollILi128ELi4EZNS0_15gpu_kernel_implIZZZNS0_16sqrt_kernel_cudaERNS_18TensorIteratorBaseEENKUlvE0_clEvENKUlvE_clEvEUldE_EEvS4_RKT_EUlibE_EEviT1_
		.amdhsa_group_segment_fixed_size 0
		.amdhsa_private_segment_fixed_size 0
		.amdhsa_kernarg_size 40
		.amdhsa_user_sgpr_count 2
		.amdhsa_user_sgpr_dispatch_ptr 0
		.amdhsa_user_sgpr_queue_ptr 0
		.amdhsa_user_sgpr_kernarg_segment_ptr 1
		.amdhsa_user_sgpr_dispatch_id 0
		.amdhsa_user_sgpr_kernarg_preload_length 0
		.amdhsa_user_sgpr_kernarg_preload_offset 0
		.amdhsa_user_sgpr_private_segment_size 0
		.amdhsa_uses_dynamic_stack 0
		.amdhsa_enable_private_segment 0
		.amdhsa_system_sgpr_workgroup_id_x 1
		.amdhsa_system_sgpr_workgroup_id_y 0
		.amdhsa_system_sgpr_workgroup_id_z 0
		.amdhsa_system_sgpr_workgroup_info 0
		.amdhsa_system_vgpr_workitem_id 0
		.amdhsa_next_free_vgpr 20
		.amdhsa_next_free_sgpr 44
		.amdhsa_accum_offset 20
		.amdhsa_reserve_vcc 1
		.amdhsa_float_round_mode_32 0
		.amdhsa_float_round_mode_16_64 0
		.amdhsa_float_denorm_mode_32 3
		.amdhsa_float_denorm_mode_16_64 3
		.amdhsa_dx10_clamp 1
		.amdhsa_ieee_mode 1
		.amdhsa_fp16_overflow 0
		.amdhsa_tg_split 0
		.amdhsa_exception_fp_ieee_invalid_op 0
		.amdhsa_exception_fp_denorm_src 0
		.amdhsa_exception_fp_ieee_div_zero 0
		.amdhsa_exception_fp_ieee_overflow 0
		.amdhsa_exception_fp_ieee_underflow 0
		.amdhsa_exception_fp_ieee_inexact 0
		.amdhsa_exception_int_div_zero 0
	.end_amdhsa_kernel
	.section	.text._ZN2at6native32elementwise_kernel_manual_unrollILi128ELi4EZNS0_15gpu_kernel_implIZZZNS0_16sqrt_kernel_cudaERNS_18TensorIteratorBaseEENKUlvE0_clEvENKUlvE_clEvEUldE_EEvS4_RKT_EUlibE_EEviT1_,"axG",@progbits,_ZN2at6native32elementwise_kernel_manual_unrollILi128ELi4EZNS0_15gpu_kernel_implIZZZNS0_16sqrt_kernel_cudaERNS_18TensorIteratorBaseEENKUlvE0_clEvENKUlvE_clEvEUldE_EEvS4_RKT_EUlibE_EEviT1_,comdat
.Lfunc_end248:
	.size	_ZN2at6native32elementwise_kernel_manual_unrollILi128ELi4EZNS0_15gpu_kernel_implIZZZNS0_16sqrt_kernel_cudaERNS_18TensorIteratorBaseEENKUlvE0_clEvENKUlvE_clEvEUldE_EEvS4_RKT_EUlibE_EEviT1_, .Lfunc_end248-_ZN2at6native32elementwise_kernel_manual_unrollILi128ELi4EZNS0_15gpu_kernel_implIZZZNS0_16sqrt_kernel_cudaERNS_18TensorIteratorBaseEENKUlvE0_clEvENKUlvE_clEvEUldE_EEvS4_RKT_EUlibE_EEviT1_
                                        ; -- End function
	.set _ZN2at6native32elementwise_kernel_manual_unrollILi128ELi4EZNS0_15gpu_kernel_implIZZZNS0_16sqrt_kernel_cudaERNS_18TensorIteratorBaseEENKUlvE0_clEvENKUlvE_clEvEUldE_EEvS4_RKT_EUlibE_EEviT1_.num_vgpr, 20
	.set _ZN2at6native32elementwise_kernel_manual_unrollILi128ELi4EZNS0_15gpu_kernel_implIZZZNS0_16sqrt_kernel_cudaERNS_18TensorIteratorBaseEENKUlvE0_clEvENKUlvE_clEvEUldE_EEvS4_RKT_EUlibE_EEviT1_.num_agpr, 0
	.set _ZN2at6native32elementwise_kernel_manual_unrollILi128ELi4EZNS0_15gpu_kernel_implIZZZNS0_16sqrt_kernel_cudaERNS_18TensorIteratorBaseEENKUlvE0_clEvENKUlvE_clEvEUldE_EEvS4_RKT_EUlibE_EEviT1_.numbered_sgpr, 44
	.set _ZN2at6native32elementwise_kernel_manual_unrollILi128ELi4EZNS0_15gpu_kernel_implIZZZNS0_16sqrt_kernel_cudaERNS_18TensorIteratorBaseEENKUlvE0_clEvENKUlvE_clEvEUldE_EEvS4_RKT_EUlibE_EEviT1_.num_named_barrier, 0
	.set _ZN2at6native32elementwise_kernel_manual_unrollILi128ELi4EZNS0_15gpu_kernel_implIZZZNS0_16sqrt_kernel_cudaERNS_18TensorIteratorBaseEENKUlvE0_clEvENKUlvE_clEvEUldE_EEvS4_RKT_EUlibE_EEviT1_.private_seg_size, 0
	.set _ZN2at6native32elementwise_kernel_manual_unrollILi128ELi4EZNS0_15gpu_kernel_implIZZZNS0_16sqrt_kernel_cudaERNS_18TensorIteratorBaseEENKUlvE0_clEvENKUlvE_clEvEUldE_EEvS4_RKT_EUlibE_EEviT1_.uses_vcc, 1
	.set _ZN2at6native32elementwise_kernel_manual_unrollILi128ELi4EZNS0_15gpu_kernel_implIZZZNS0_16sqrt_kernel_cudaERNS_18TensorIteratorBaseEENKUlvE0_clEvENKUlvE_clEvEUldE_EEvS4_RKT_EUlibE_EEviT1_.uses_flat_scratch, 0
	.set _ZN2at6native32elementwise_kernel_manual_unrollILi128ELi4EZNS0_15gpu_kernel_implIZZZNS0_16sqrt_kernel_cudaERNS_18TensorIteratorBaseEENKUlvE0_clEvENKUlvE_clEvEUldE_EEvS4_RKT_EUlibE_EEviT1_.has_dyn_sized_stack, 0
	.set _ZN2at6native32elementwise_kernel_manual_unrollILi128ELi4EZNS0_15gpu_kernel_implIZZZNS0_16sqrt_kernel_cudaERNS_18TensorIteratorBaseEENKUlvE0_clEvENKUlvE_clEvEUldE_EEvS4_RKT_EUlibE_EEviT1_.has_recursion, 0
	.set _ZN2at6native32elementwise_kernel_manual_unrollILi128ELi4EZNS0_15gpu_kernel_implIZZZNS0_16sqrt_kernel_cudaERNS_18TensorIteratorBaseEENKUlvE0_clEvENKUlvE_clEvEUldE_EEvS4_RKT_EUlibE_EEviT1_.has_indirect_call, 0
	.section	.AMDGPU.csdata,"",@progbits
; Kernel info:
; codeLenInByte = 36812
; TotalNumSgprs: 50
; NumVgprs: 20
; NumAgprs: 0
; TotalNumVgprs: 20
; ScratchSize: 0
; MemoryBound: 1
; FloatMode: 240
; IeeeMode: 1
; LDSByteSize: 0 bytes/workgroup (compile time only)
; SGPRBlocks: 6
; VGPRBlocks: 2
; NumSGPRsForWavesPerEU: 50
; NumVGPRsForWavesPerEU: 20
; AccumOffset: 20
; Occupancy: 8
; WaveLimiterHint : 0
; COMPUTE_PGM_RSRC2:SCRATCH_EN: 0
; COMPUTE_PGM_RSRC2:USER_SGPR: 2
; COMPUTE_PGM_RSRC2:TRAP_HANDLER: 0
; COMPUTE_PGM_RSRC2:TGID_X_EN: 1
; COMPUTE_PGM_RSRC2:TGID_Y_EN: 0
; COMPUTE_PGM_RSRC2:TGID_Z_EN: 0
; COMPUTE_PGM_RSRC2:TIDIG_COMP_CNT: 0
; COMPUTE_PGM_RSRC3_GFX90A:ACCUM_OFFSET: 4
; COMPUTE_PGM_RSRC3_GFX90A:TG_SPLIT: 0
	.section	.text._ZN2at6native32elementwise_kernel_manual_unrollILi128ELi4EZNS0_15gpu_kernel_implIZZZNS0_16sqrt_kernel_cudaERNS_18TensorIteratorBaseEENKUlvE0_clEvENKUlvE_clEvEUldE_EEvS4_RKT_EUlibE0_EEviT1_,"axG",@progbits,_ZN2at6native32elementwise_kernel_manual_unrollILi128ELi4EZNS0_15gpu_kernel_implIZZZNS0_16sqrt_kernel_cudaERNS_18TensorIteratorBaseEENKUlvE0_clEvENKUlvE_clEvEUldE_EEvS4_RKT_EUlibE0_EEviT1_,comdat
	.globl	_ZN2at6native32elementwise_kernel_manual_unrollILi128ELi4EZNS0_15gpu_kernel_implIZZZNS0_16sqrt_kernel_cudaERNS_18TensorIteratorBaseEENKUlvE0_clEvENKUlvE_clEvEUldE_EEvS4_RKT_EUlibE0_EEviT1_ ; -- Begin function _ZN2at6native32elementwise_kernel_manual_unrollILi128ELi4EZNS0_15gpu_kernel_implIZZZNS0_16sqrt_kernel_cudaERNS_18TensorIteratorBaseEENKUlvE0_clEvENKUlvE_clEvEUldE_EEvS4_RKT_EUlibE0_EEviT1_
	.p2align	8
	.type	_ZN2at6native32elementwise_kernel_manual_unrollILi128ELi4EZNS0_15gpu_kernel_implIZZZNS0_16sqrt_kernel_cudaERNS_18TensorIteratorBaseEENKUlvE0_clEvENKUlvE_clEvEUldE_EEvS4_RKT_EUlibE0_EEviT1_,@function
_ZN2at6native32elementwise_kernel_manual_unrollILi128ELi4EZNS0_15gpu_kernel_implIZZZNS0_16sqrt_kernel_cudaERNS_18TensorIteratorBaseEENKUlvE0_clEvENKUlvE_clEvEUldE_EEvS4_RKT_EUlibE0_EEviT1_: ; @_ZN2at6native32elementwise_kernel_manual_unrollILi128ELi4EZNS0_15gpu_kernel_implIZZZNS0_16sqrt_kernel_cudaERNS_18TensorIteratorBaseEENKUlvE0_clEvENKUlvE_clEvEUldE_EEvS4_RKT_EUlibE0_EEviT1_
; %bb.0:
	s_load_dword s70, s[0:1], 0x0
	s_load_dword s33, s[0:1], 0x8
	s_add_u32 s34, s0, 8
	s_addc_u32 s35, s1, 0
	v_lshl_or_b32 v6, s2, 9, v0
	v_or_b32_e32 v16, 0x180, v6
	s_waitcnt lgkmcnt(0)
	s_add_i32 s72, s33, -1
	s_cmp_gt_u32 s72, 1
	v_cmp_le_i32_e32 vcc, s70, v16
	s_cselect_b64 s[42:43], -1, 0
	s_mov_b64 s[40:41], 0
	s_mov_b64 s[24:25], 0
	s_and_saveexec_b64 s[2:3], vcc
	s_xor_b64 s[44:45], exec, s[2:3]
	s_cbranch_execz .LBB249_1090
; %bb.1:
	v_mov_b32_e32 v0, 0
	global_load_ushort v0, v0, s[34:35] offset:345
	s_load_dwordx4 s[28:31], s[34:35], 0x4
	s_load_dwordx2 s[46:47], s[34:35], 0x14
	s_load_dwordx4 s[24:27], s[34:35], 0xc4
	s_load_dwordx4 s[20:23], s[34:35], 0x148
	s_cmp_lg_u32 s33, 0
	s_cselect_b64 s[52:53], -1, 0
	s_add_u32 s50, s34, 0xc4
	s_addc_u32 s51, s35, 0
	s_min_u32 s75, s72, 15
	s_cmp_gt_u32 s33, 1
	s_cselect_b64 s[48:49], -1, 0
	v_cmp_gt_i32_e32 vcc, s70, v6
	s_mov_b64 s[4:5], -1
	s_mov_b64 s[62:63], 0
	s_mov_b64 s[56:57], 0
	;; [unrolled: 1-line block ×3, first 2 shown]
	s_waitcnt vmcnt(0)
	v_readfirstlane_b32 s73, v0
	s_and_b32 s2, 0xffff, s73
	s_lshr_b32 s74, s2, 8
	s_and_saveexec_b64 s[58:59], vcc
	s_cbranch_execz .LBB249_267
; %bb.2:
	s_andn2_b64 vcc, exec, s[42:43]
	s_cbranch_vccnz .LBB249_8
; %bb.3:
	s_andn2_b64 vcc, exec, s[52:53]
	s_cbranch_vccnz .LBB249_9
; %bb.4:
	s_add_i32 s57, s75, 1
	s_cmp_eq_u32 s72, 2
	s_cbranch_scc1 .LBB249_10
; %bb.5:
	s_and_b32 s56, s57, 28
	s_mov_b32 s60, 0
	v_mov_b32_e32 v4, 0
	v_mov_b32_e32 v0, 0
	s_mov_b64 s[2:3], s[34:35]
	s_mov_b64 s[54:55], s[50:51]
	v_mov_b32_e32 v2, v6
.LBB249_6:                              ; =>This Inner Loop Header: Depth=1
	s_load_dwordx8 s[12:19], s[2:3], 0x4
	s_load_dwordx4 s[36:39], s[2:3], 0x24
	s_load_dwordx8 s[4:11], s[54:55], 0x0
	s_add_u32 s2, s2, 48
	s_addc_u32 s3, s3, 0
	s_waitcnt lgkmcnt(0)
	v_mul_hi_u32 v1, s13, v2
	v_add_u32_e32 v1, v2, v1
	v_lshrrev_b32_e32 v1, s14, v1
	v_mul_lo_u32 v3, v1, s12
	v_mul_hi_u32 v5, s16, v1
	v_sub_u32_e32 v2, v2, v3
	v_add_u32_e32 v3, v1, v5
	v_lshrrev_b32_e32 v3, s17, v3
	v_mul_lo_u32 v7, v3, s15
	v_mul_hi_u32 v8, s19, v3
	v_sub_u32_e32 v1, v1, v7
	v_add_u32_e32 v7, v3, v8
	v_mul_lo_u32 v5, v2, s5
	v_mul_lo_u32 v2, v2, s4
	;; [unrolled: 1-line block ×4, first 2 shown]
	v_lshrrev_b32_e32 v7, s36, v7
	v_add3_u32 v1, v2, v4, v1
	v_mul_lo_u32 v2, v7, s18
	v_mul_hi_u32 v4, s38, v7
	v_sub_u32_e32 v2, v3, v2
	v_add_u32_e32 v3, v7, v4
	v_add3_u32 v0, v5, v0, v8
	v_mul_lo_u32 v4, v2, s8
	v_mul_lo_u32 v5, v2, s9
	v_lshrrev_b32_e32 v2, s39, v3
	s_add_i32 s60, s60, 4
	v_mul_lo_u32 v3, v2, s37
	s_add_u32 s54, s54, 32
	v_sub_u32_e32 v3, v7, v3
	s_addc_u32 s55, s55, 0
	v_mul_lo_u32 v7, v3, s10
	v_mul_lo_u32 v3, v3, s11
	s_cmp_lg_u32 s56, s60
	v_add3_u32 v0, v5, v0, v3
	v_add3_u32 v4, v4, v1, v7
	s_cbranch_scc1 .LBB249_6
; %bb.7:
	v_mov_b32_e32 v1, v0
	s_branch .LBB249_11
.LBB249_8:
                                        ; implicit-def: $vgpr0
                                        ; implicit-def: $vgpr4
	s_branch .LBB249_15
.LBB249_9:
	v_mov_b32_e32 v0, 0
	v_mov_b32_e32 v4, 0
	s_branch .LBB249_14
.LBB249_10:
	v_mov_b32_e32 v4, 0
	s_mov_b32 s56, 0
	v_mov_b32_e32 v1, v4
                                        ; implicit-def: $vgpr0
	v_mov_b32_e32 v2, v6
.LBB249_11:
	s_and_b32 s6, s57, 3
	s_cmp_eq_u32 s6, 0
	s_cbranch_scc1 .LBB249_14
; %bb.12:
	s_lshl_b32 s2, s56, 3
	s_add_u32 s2, s34, s2
	s_addc_u32 s3, s35, 0
	s_add_u32 s2, s2, 0xc4
	s_addc_u32 s3, s3, 0
	s_mul_i32 s4, s56, 12
	s_add_u32 s4, s34, s4
	s_addc_u32 s5, s35, 0
.LBB249_13:                             ; =>This Inner Loop Header: Depth=1
	s_load_dwordx2 s[8:9], s[4:5], 0x4
	s_load_dword s7, s[4:5], 0xc
	s_load_dwordx2 s[10:11], s[2:3], 0x0
	v_mov_b32_e32 v0, v1
	s_add_u32 s4, s4, 12
	s_waitcnt lgkmcnt(0)
	v_mul_hi_u32 v1, s9, v2
	v_add_u32_e32 v1, v2, v1
	v_lshrrev_b32_e32 v1, s7, v1
	s_addc_u32 s5, s5, 0
	v_mul_lo_u32 v3, v1, s8
	s_add_u32 s2, s2, 8
	v_sub_u32_e32 v3, v2, v3
	s_addc_u32 s3, s3, 0
	s_add_i32 s6, s6, -1
	v_mov_b32_e32 v2, v1
	v_mad_u64_u32 v[0:1], s[8:9], v3, s11, v[0:1]
	s_cmp_lg_u32 s6, 0
	v_mad_u64_u32 v[4:5], s[8:9], v3, s10, v[4:5]
	v_mov_b32_e32 v1, v0
	s_cbranch_scc1 .LBB249_13
.LBB249_14:
	s_cbranch_execnz .LBB249_17
.LBB249_15:
	s_waitcnt lgkmcnt(0)
	v_mul_hi_u32 v0, s29, v6
	v_add_u32_e32 v0, v6, v0
	v_lshrrev_b32_e32 v1, s30, v0
	v_mul_lo_u32 v0, v1, s28
	v_sub_u32_e32 v2, v6, v0
	v_mul_lo_u32 v0, v2, s25
	s_andn2_b64 vcc, exec, s[48:49]
	v_mul_lo_u32 v4, v2, s24
	s_cbranch_vccnz .LBB249_17
; %bb.16:
	v_mul_hi_u32 v2, s46, v1
	v_add_u32_e32 v2, v1, v2
	v_lshrrev_b32_e32 v2, s47, v2
	v_mul_lo_u32 v2, v2, s31
	v_sub_u32_e32 v1, v1, v2
	v_mad_u64_u32 v[4:5], s[2:3], v1, s26, v[4:5]
	v_mad_u64_u32 v[0:1], s[2:3], v1, s27, v[0:1]
.LBB249_17:
	v_mov_b32_e32 v1, 0
	s_and_b32 s10, 0xffff, s74
	s_cmp_lt_i32 s10, 11
	s_waitcnt lgkmcnt(0)
	v_lshl_add_u64 v[0:1], s[22:23], 0, v[0:1]
	s_cbranch_scc1 .LBB249_24
; %bb.18:
	s_cmp_gt_i32 s10, 25
	s_cbranch_scc0 .LBB249_33
; %bb.19:
	s_cmp_gt_i32 s10, 28
	s_cbranch_scc0 .LBB249_36
	;; [unrolled: 3-line block ×4, first 2 shown]
; %bb.22:
	s_cmp_eq_u32 s10, 46
	s_mov_b64 s[6:7], 0
	s_cbranch_scc0 .LBB249_42
; %bb.23:
	global_load_dword v2, v[0:1], off
	s_mov_b64 s[2:3], -1
	s_mov_b64 s[4:5], 0
	s_waitcnt vmcnt(0)
	v_lshlrev_b32_e32 v2, 16, v2
	v_cvt_f64_f32_e32 v[2:3], v2
	s_branch .LBB249_44
.LBB249_24:
	s_mov_b64 s[4:5], 0
                                        ; implicit-def: $vgpr2_vgpr3
	s_mov_b64 s[2:3], 0
	s_cbranch_execnz .LBB249_217
.LBB249_25:
	s_andn2_b64 vcc, exec, s[2:3]
	s_cbranch_vccnz .LBB249_264
.LBB249_26:
	s_mov_b32 s2, 0
	s_brev_b32 s3, 8
	v_mov_b32_e32 v0, 0x100
	s_waitcnt vmcnt(0)
	v_cmp_gt_f64_e32 vcc, s[2:3], v[2:3]
	v_mov_b32_e32 v5, 0xffffff80
	s_and_b32 s12, s73, 0xff
	v_cndmask_b32_e32 v0, 0, v0, vcc
	v_ldexp_f64 v[0:1], v[2:3], v0
	v_rsq_f64_e32 v[8:9], v[0:1]
	v_cndmask_b32_e32 v5, 0, v5, vcc
	s_cmp_lt_i32 s12, 11
	v_mul_f64 v[10:11], v[0:1], v[8:9]
	v_mul_f64 v[8:9], v[8:9], 0.5
	v_fma_f64 v[12:13], -v[8:9], v[10:11], 0.5
	v_fmac_f64_e32 v[10:11], v[10:11], v[12:13]
	v_fma_f64 v[14:15], -v[10:11], v[10:11], v[0:1]
	v_fmac_f64_e32 v[8:9], v[8:9], v[12:13]
	v_fmac_f64_e32 v[10:11], v[14:15], v[8:9]
	v_fma_f64 v[12:13], -v[10:11], v[10:11], v[0:1]
	v_fmac_f64_e32 v[10:11], v[12:13], v[8:9]
	v_ldexp_f64 v[8:9], v[10:11], v5
	v_mov_b32_e32 v5, 0x260
	v_cmp_class_f64_e32 vcc, v[0:1], v5
	v_mov_b32_e32 v5, 0
	v_lshl_add_u64 v[4:5], s[20:21], 0, v[4:5]
	v_cndmask_b32_e32 v1, v9, v1, vcc
	v_cndmask_b32_e32 v0, v8, v0, vcc
	s_cbranch_scc1 .LBB249_34
; %bb.27:
	s_and_b32 s13, 0xffff, s12
	s_cmp_gt_i32 s13, 25
	s_cbranch_scc0 .LBB249_37
; %bb.28:
	s_cmp_gt_i32 s13, 28
	s_cbranch_scc0 .LBB249_39
; %bb.29:
	;; [unrolled: 3-line block ×4, first 2 shown]
	s_mov_b64 s[8:9], 0
	s_mov_b64 s[2:3], -1
	s_cmp_eq_u32 s13, 46
	s_mov_b64 s[6:7], 0
	s_cbranch_scc0 .LBB249_48
; %bb.32:
	v_cvt_f32_f64_e32 v7, v[0:1]
	v_bfe_u32 v8, v7, 16, 1
	s_movk_i32 s2, 0x7fff
	v_add3_u32 v8, v7, v8, s2
	v_cmp_o_f32_e32 vcc, v7, v7
	v_mov_b32_e32 v7, 0x7fc0
	s_mov_b64 s[6:7], -1
	v_cndmask_b32_sdwa v7, v7, v8, vcc dst_sel:DWORD dst_unused:UNUSED_PAD src0_sel:DWORD src1_sel:WORD_1
	global_store_dword v[4:5], v7, off
	s_mov_b64 s[2:3], 0
	s_branch .LBB249_48
.LBB249_33:
	s_mov_b64 s[4:5], 0
	s_mov_b64 s[2:3], 0
                                        ; implicit-def: $vgpr2_vgpr3
	s_cbranch_execnz .LBB249_184
	s_branch .LBB249_216
.LBB249_34:
	s_mov_b64 s[2:3], 0
	s_mov_b64 s[6:7], 0
	s_cbranch_execnz .LBB249_117
.LBB249_35:
	s_andn2_b64 vcc, exec, s[6:7]
	s_cbranch_vccnz .LBB249_265
	s_branch .LBB249_155
.LBB249_36:
	s_mov_b64 s[6:7], -1
	s_mov_b64 s[4:5], 0
	s_mov_b64 s[2:3], 0
                                        ; implicit-def: $vgpr2_vgpr3
	s_branch .LBB249_163
.LBB249_37:
	s_mov_b64 s[8:9], -1
	s_mov_b64 s[2:3], 0
	s_mov_b64 s[6:7], 0
	s_branch .LBB249_75
.LBB249_38:
	s_mov_b64 s[6:7], -1
	s_mov_b64 s[4:5], 0
	s_mov_b64 s[2:3], 0
                                        ; implicit-def: $vgpr2_vgpr3
	s_branch .LBB249_158
.LBB249_39:
	s_mov_b64 s[8:9], -1
	s_mov_b64 s[2:3], 0
	s_mov_b64 s[6:7], 0
	s_branch .LBB249_58
.LBB249_40:
	s_mov_b64 s[6:7], -1
	s_mov_b64 s[4:5], 0
	s_branch .LBB249_43
.LBB249_41:
	s_mov_b64 s[8:9], -1
	s_mov_b64 s[2:3], 0
	s_mov_b64 s[6:7], 0
	s_branch .LBB249_54
.LBB249_42:
	s_mov_b64 s[4:5], -1
.LBB249_43:
	s_mov_b64 s[2:3], 0
                                        ; implicit-def: $vgpr2_vgpr3
.LBB249_44:
	s_and_b64 vcc, exec, s[6:7]
	s_cbranch_vccz .LBB249_157
; %bb.45:
	s_cmp_eq_u32 s10, 44
	s_cbranch_scc0 .LBB249_156
; %bb.46:
	global_load_ubyte v5, v[0:1], off
	s_movk_i32 s4, 0xff
	v_bfrev_b32_e32 v7, 4
	v_mov_b32_e32 v8, 0x7ff80000
	v_bfrev_b32_e32 v9, 28
	s_mov_b64 s[2:3], -1
	s_waitcnt vmcnt(0)
	v_lshlrev_b32_e32 v2, 23, v5
	v_cvt_f64_f32_e32 v[2:3], v2
	v_cmp_ne_u32_e32 vcc, s4, v5
	s_mov_b64 s[4:5], 0
	s_nop 0
	v_cndmask_b32_e32 v2, v7, v2, vcc
	v_cndmask_b32_e32 v3, v8, v3, vcc
	v_cmp_ne_u32_e32 vcc, 0, v5
	s_nop 1
	v_cndmask_b32_e32 v3, v9, v3, vcc
	v_cndmask_b32_e32 v2, 0, v2, vcc
	s_branch .LBB249_157
.LBB249_47:
	s_mov_b64 s[8:9], -1
	s_mov_b64 s[2:3], 0
	s_mov_b64 s[6:7], 0
.LBB249_48:
	s_and_b64 vcc, exec, s[8:9]
	s_cbranch_vccz .LBB249_53
; %bb.49:
	s_cmp_eq_u32 s13, 44
	s_mov_b64 s[2:3], -1
	s_cbranch_scc0 .LBB249_53
; %bb.50:
	v_cvt_f32_f64_e32 v7, v[0:1]
	v_bfe_u32 v8, v7, 23, 8
	s_movk_i32 s2, 0xff
	v_cmp_ne_u32_e32 vcc, s2, v8
	v_mov_b32_e32 v9, 0xff
	s_and_saveexec_b64 s[6:7], vcc
; %bb.51:
	s_mov_b32 s2, 0x3fffff
	v_lshrrev_b32_e32 v9, 23, v7
	v_and_b32_e32 v10, 0x400000, v7
	v_and_or_b32 v7, v7, s2, v8
	v_cmp_ne_u32_e32 vcc, 0, v10
	v_cmp_ne_u32_e64 s[2:3], 0, v7
	s_and_b64 s[2:3], vcc, s[2:3]
	s_nop 0
	v_cndmask_b32_e64 v7, 0, 1, s[2:3]
	v_add_u32_e32 v9, v9, v7
; %bb.52:
	s_or_b64 exec, exec, s[6:7]
	s_mov_b64 s[6:7], -1
	s_mov_b64 s[2:3], 0
	global_store_byte v[4:5], v9, off
.LBB249_53:
	s_mov_b64 s[8:9], 0
.LBB249_54:
	s_and_b64 vcc, exec, s[8:9]
	s_cbranch_vccz .LBB249_57
; %bb.55:
	s_cmp_eq_u32 s13, 29
	s_mov_b64 s[2:3], -1
	s_cbranch_scc0 .LBB249_57
; %bb.56:
	v_trunc_f64_e32 v[8:9], v[0:1]
	s_movk_i32 s2, 0xffe0
	v_ldexp_f64 v[10:11], v[8:9], s2
	v_floor_f64_e32 v[10:11], v[10:11]
	v_fmac_f64_e32 v[8:9], 0xc1f00000, v[10:11]
	v_cvt_u32_f64_e32 v13, v[10:11]
	v_cvt_u32_f64_e32 v12, v[8:9]
	global_store_dwordx2 v[4:5], v[12:13], off
	s_mov_b64 s[6:7], -1
	s_mov_b64 s[2:3], 0
.LBB249_57:
	s_mov_b64 s[8:9], 0
.LBB249_58:
	s_and_b64 vcc, exec, s[8:9]
	s_cbranch_vccz .LBB249_74
; %bb.59:
	s_cmp_lt_i32 s13, 27
	s_mov_b64 s[6:7], -1
	s_cbranch_scc1 .LBB249_65
; %bb.60:
	s_cmp_gt_i32 s13, 27
	v_cvt_u32_f64_e32 v7, v[0:1]
	s_cbranch_scc0 .LBB249_62
; %bb.61:
	s_mov_b64 s[6:7], 0
	global_store_dword v[4:5], v7, off
.LBB249_62:
	s_andn2_b64 vcc, exec, s[6:7]
	s_cbranch_vccnz .LBB249_64
; %bb.63:
	global_store_short v[4:5], v7, off
.LBB249_64:
	s_mov_b64 s[6:7], 0
.LBB249_65:
	s_andn2_b64 vcc, exec, s[6:7]
	s_cbranch_vccnz .LBB249_73
; %bb.66:
	v_cvt_f32_f64_e32 v7, v[0:1]
	v_and_b32_e32 v8, 0x7fffffff, v7
	s_mov_b32 s6, 0x43800000
	v_cmp_gt_u32_e32 vcc, s6, v8
	v_mov_b32_e32 v9, 0x80
	s_and_saveexec_b64 s[6:7], vcc
	s_cbranch_execz .LBB249_72
; %bb.67:
	s_mov_b32 s8, 0x3bffffff
	v_cmp_lt_u32_e32 vcc, s8, v8
	s_mov_b64 s[8:9], 0
                                        ; implicit-def: $vgpr8
	s_and_saveexec_b64 s[10:11], vcc
	s_xor_b64 s[10:11], exec, s[10:11]
	s_cbranch_execz .LBB249_309
; %bb.68:
	v_bfe_u32 v8, v7, 20, 1
	s_mov_b32 s14, 0x487ffff
	v_add3_u32 v8, v7, v8, s14
	s_mov_b64 s[8:9], exec
	v_lshrrev_b32_e32 v8, 20, v8
	s_andn2_saveexec_b64 s[10:11], s[10:11]
	s_cbranch_execnz .LBB249_310
.LBB249_69:
	s_or_b64 exec, exec, s[10:11]
	v_mov_b32_e32 v9, 0
	s_and_saveexec_b64 s[10:11], s[8:9]
.LBB249_70:
	v_lshrrev_b32_e32 v7, 24, v7
	s_movk_i32 s8, 0x80
	v_and_or_b32 v9, v7, s8, v8
.LBB249_71:
	s_or_b64 exec, exec, s[10:11]
.LBB249_72:
	s_or_b64 exec, exec, s[6:7]
	global_store_byte v[4:5], v9, off
.LBB249_73:
	s_mov_b64 s[6:7], -1
.LBB249_74:
	s_mov_b64 s[8:9], 0
.LBB249_75:
	s_and_b64 vcc, exec, s[8:9]
	s_cbranch_vccz .LBB249_116
; %bb.76:
	s_cmp_gt_i32 s13, 22
	s_mov_b64 s[8:9], -1
	s_cbranch_scc0 .LBB249_108
; %bb.77:
	s_cmp_lt_i32 s13, 24
	s_mov_b64 s[6:7], -1
	s_cbranch_scc1 .LBB249_97
; %bb.78:
	s_cmp_gt_i32 s13, 24
	s_cbranch_scc0 .LBB249_86
; %bb.79:
	v_cvt_f32_f64_e32 v7, v[0:1]
	v_and_b32_e32 v8, 0x7fffffff, v7
	s_mov_b32 s6, 0x47800000
	v_cmp_gt_u32_e32 vcc, s6, v8
	v_mov_b32_e32 v9, 0x80
	s_and_saveexec_b64 s[6:7], vcc
	s_cbranch_execz .LBB249_85
; %bb.80:
	s_mov_b32 s8, 0x37ffffff
	v_cmp_lt_u32_e32 vcc, s8, v8
	s_mov_b64 s[8:9], 0
                                        ; implicit-def: $vgpr8
	s_and_saveexec_b64 s[10:11], vcc
	s_xor_b64 s[10:11], exec, s[10:11]
	s_cbranch_execz .LBB249_313
; %bb.81:
	v_bfe_u32 v8, v7, 21, 1
	s_mov_b32 s14, 0x88fffff
	v_add3_u32 v8, v7, v8, s14
	s_mov_b64 s[8:9], exec
	v_lshrrev_b32_e32 v8, 21, v8
	s_andn2_saveexec_b64 s[10:11], s[10:11]
	s_cbranch_execnz .LBB249_314
.LBB249_82:
	s_or_b64 exec, exec, s[10:11]
	v_mov_b32_e32 v9, 0
	s_and_saveexec_b64 s[10:11], s[8:9]
.LBB249_83:
	v_lshrrev_b32_e32 v7, 24, v7
	s_movk_i32 s8, 0x80
	v_and_or_b32 v9, v7, s8, v8
.LBB249_84:
	s_or_b64 exec, exec, s[10:11]
.LBB249_85:
	s_or_b64 exec, exec, s[6:7]
	s_mov_b64 s[6:7], 0
	global_store_byte v[4:5], v9, off
.LBB249_86:
	s_and_b64 vcc, exec, s[6:7]
	s_cbranch_vccz .LBB249_96
; %bb.87:
	v_cvt_f32_f64_e32 v7, v[0:1]
	v_and_b32_e32 v9, 0x7fffffff, v7
	s_mov_b32 s6, 0x43f00000
	v_cmp_gt_u32_e32 vcc, s6, v9
                                        ; implicit-def: $vgpr8
	s_and_saveexec_b64 s[6:7], vcc
	s_xor_b64 s[6:7], exec, s[6:7]
	s_cbranch_execz .LBB249_93
; %bb.88:
	s_mov_b32 s8, 0x3c7fffff
	v_cmp_lt_u32_e32 vcc, s8, v9
                                        ; implicit-def: $vgpr8
	s_and_saveexec_b64 s[8:9], vcc
	s_xor_b64 s[8:9], exec, s[8:9]
; %bb.89:
	v_bfe_u32 v8, v7, 20, 1
	s_mov_b32 s10, 0x407ffff
	v_add3_u32 v8, v7, v8, s10
	v_lshrrev_b32_e32 v9, 20, v8
	v_and_b32_e32 v8, 0xff00000, v8
	s_mov_b32 s10, 0x7f00000
	v_mov_b32_e32 v10, 0x7e
	v_cmp_ne_u32_e32 vcc, s10, v8
	s_nop 1
	v_cndmask_b32_e32 v8, v10, v9, vcc
; %bb.90:
	s_andn2_saveexec_b64 s[8:9], s[8:9]
; %bb.91:
	s_mov_b32 s10, 0x46800000
	v_add_f32_e64 v8, |v7|, s10
; %bb.92:
	s_or_b64 exec, exec, s[8:9]
                                        ; implicit-def: $vgpr9
.LBB249_93:
	s_andn2_saveexec_b64 s[6:7], s[6:7]
; %bb.94:
	s_mov_b32 s8, 0x7f800000
	v_mov_b32_e32 v8, 0x7e
	v_mov_b32_e32 v10, 0x7f
	v_cmp_lt_u32_e32 vcc, s8, v9
	s_nop 1
	v_cndmask_b32_e32 v8, v8, v10, vcc
; %bb.95:
	s_or_b64 exec, exec, s[6:7]
	v_lshrrev_b32_e32 v7, 24, v7
	s_movk_i32 s6, 0x80
	v_and_or_b32 v7, v7, s6, v8
	global_store_byte v[4:5], v7, off
.LBB249_96:
	s_mov_b64 s[6:7], 0
.LBB249_97:
	s_andn2_b64 vcc, exec, s[6:7]
	s_cbranch_vccnz .LBB249_107
; %bb.98:
	v_cvt_f32_f64_e32 v7, v[0:1]
	v_and_b32_e32 v9, 0x7fffffff, v7
	s_mov_b32 s6, 0x47800000
	v_cmp_gt_u32_e32 vcc, s6, v9
                                        ; implicit-def: $vgpr8
	s_and_saveexec_b64 s[6:7], vcc
	s_xor_b64 s[6:7], exec, s[6:7]
	s_cbranch_execz .LBB249_104
; %bb.99:
	s_mov_b32 s8, 0x387fffff
	v_cmp_lt_u32_e32 vcc, s8, v9
                                        ; implicit-def: $vgpr8
	s_and_saveexec_b64 s[8:9], vcc
	s_xor_b64 s[8:9], exec, s[8:9]
; %bb.100:
	v_bfe_u32 v8, v7, 21, 1
	s_mov_b32 s10, 0x80fffff
	v_add3_u32 v8, v7, v8, s10
	v_lshrrev_b32_e32 v8, 21, v8
; %bb.101:
	s_andn2_saveexec_b64 s[8:9], s[8:9]
; %bb.102:
	s_mov_b32 s10, 0x43000000
	v_add_f32_e64 v8, |v7|, s10
; %bb.103:
	s_or_b64 exec, exec, s[8:9]
                                        ; implicit-def: $vgpr9
.LBB249_104:
	s_andn2_saveexec_b64 s[6:7], s[6:7]
; %bb.105:
	s_mov_b32 s8, 0x7f800000
	v_mov_b32_e32 v8, 0x7c
	v_mov_b32_e32 v10, 0x7f
	v_cmp_lt_u32_e32 vcc, s8, v9
	s_nop 1
	v_cndmask_b32_e32 v8, v8, v10, vcc
; %bb.106:
	s_or_b64 exec, exec, s[6:7]
	v_lshrrev_b32_e32 v7, 24, v7
	s_movk_i32 s6, 0x80
	v_and_or_b32 v7, v7, s6, v8
	global_store_byte v[4:5], v7, off
.LBB249_107:
	s_mov_b64 s[8:9], 0
	s_mov_b64 s[6:7], -1
.LBB249_108:
	s_andn2_b64 vcc, exec, s[8:9]
	s_cbranch_vccnz .LBB249_116
; %bb.109:
	s_cmp_gt_i32 s13, 14
	s_mov_b64 s[8:9], -1
	s_cbranch_scc0 .LBB249_113
; %bb.110:
	s_cmp_eq_u32 s13, 15
	s_mov_b64 s[2:3], -1
	s_cbranch_scc0 .LBB249_112
; %bb.111:
	v_cvt_f32_f64_e32 v7, v[0:1]
	v_bfe_u32 v8, v7, 16, 1
	s_movk_i32 s2, 0x7fff
	v_add3_u32 v8, v7, v8, s2
	v_cmp_o_f32_e32 vcc, v7, v7
	v_mov_b32_e32 v7, 0x7fc0
	s_mov_b64 s[6:7], -1
	v_cndmask_b32_sdwa v7, v7, v8, vcc dst_sel:DWORD dst_unused:UNUSED_PAD src0_sel:DWORD src1_sel:WORD_1
	global_store_short v[4:5], v7, off
	s_mov_b64 s[2:3], 0
.LBB249_112:
	s_mov_b64 s[8:9], 0
.LBB249_113:
	s_and_b64 vcc, exec, s[8:9]
	s_cbranch_vccz .LBB249_116
; %bb.114:
	s_cmp_eq_u32 s13, 11
	s_mov_b64 s[2:3], -1
	s_cbranch_scc0 .LBB249_116
; %bb.115:
	v_cmp_neq_f64_e32 vcc, 0, v[2:3]
	s_mov_b64 s[2:3], 0
	s_mov_b64 s[6:7], -1
	v_cndmask_b32_e64 v2, 0, 1, vcc
	global_store_byte v[4:5], v2, off
.LBB249_116:
	s_branch .LBB249_35
.LBB249_117:
	s_and_b32 s8, 0xffff, s12
	s_cmp_lt_i32 s8, 5
	s_mov_b64 s[6:7], -1
	s_cbranch_scc1 .LBB249_138
; %bb.118:
	s_cmp_lt_i32 s8, 8
	s_cbranch_scc1 .LBB249_128
; %bb.119:
	s_cmp_lt_i32 s8, 9
	s_cbranch_scc1 .LBB249_125
; %bb.120:
	s_cmp_gt_i32 s8, 9
	s_cbranch_scc0 .LBB249_122
; %bb.121:
	v_mov_b32_e32 v2, 0
	v_mov_b32_e32 v3, v2
	global_store_dwordx4 v[4:5], v[0:3], off
	s_mov_b64 s[6:7], 0
.LBB249_122:
	s_andn2_b64 vcc, exec, s[6:7]
	s_cbranch_vccnz .LBB249_124
; %bb.123:
	v_cvt_f32_f64_e32 v2, v[0:1]
	v_mov_b32_e32 v3, 0
	global_store_dwordx2 v[4:5], v[2:3], off
.LBB249_124:
	s_mov_b64 s[6:7], 0
.LBB249_125:
	s_andn2_b64 vcc, exec, s[6:7]
	s_cbranch_vccnz .LBB249_127
; %bb.126:
	s_movk_i32 s6, 0x1ff
	v_and_or_b32 v2, v1, s6, v0
	v_cmp_ne_u32_e32 vcc, 0, v2
	v_lshrrev_b32_e32 v3, 8, v1
	s_movk_i32 s6, 0xffe
	v_cndmask_b32_e64 v2, 0, 1, vcc
	v_bfe_u32 v7, v1, 20, 11
	v_and_or_b32 v2, v3, s6, v2
	v_sub_u32_e32 v8, 0x3f1, v7
	v_or_b32_e32 v3, 0x1000, v2
	v_med3_i32 v8, v8, 0, 13
	v_lshrrev_b32_e32 v9, v8, v3
	v_lshlrev_b32_e32 v8, v8, v9
	v_cmp_ne_u32_e32 vcc, v8, v3
	v_add_u32_e32 v7, 0xfffffc10, v7
	v_lshl_or_b32 v8, v7, 12, v2
	v_cndmask_b32_e64 v3, 0, 1, vcc
	v_or_b32_e32 v3, v9, v3
	v_cmp_gt_i32_e32 vcc, 1, v7
	s_movk_i32 s6, 0x40f
	s_nop 0
	v_cndmask_b32_e32 v3, v8, v3, vcc
	v_and_b32_e32 v8, 7, v3
	v_cmp_lt_i32_e32 vcc, 5, v8
	v_lshrrev_b32_e32 v3, 2, v3
	s_nop 0
	v_cndmask_b32_e64 v9, 0, 1, vcc
	v_cmp_eq_u32_e32 vcc, 3, v8
	s_nop 1
	v_cndmask_b32_e64 v8, 0, 1, vcc
	v_or_b32_e32 v8, v8, v9
	v_add_u32_e32 v3, v3, v8
	v_mov_b32_e32 v8, 0x7c00
	v_cmp_gt_i32_e32 vcc, 31, v7
	v_mov_b32_e32 v9, 0x7e00
	s_nop 0
	v_cndmask_b32_e32 v3, v8, v3, vcc
	v_cmp_ne_u32_e32 vcc, 0, v2
	s_nop 1
	v_cndmask_b32_e32 v2, v8, v9, vcc
	v_cmp_eq_u32_e32 vcc, s6, v7
	s_mov_b32 s6, 0x8000
	s_nop 0
	v_cndmask_b32_e32 v2, v3, v2, vcc
	v_and_b32_sdwa v3, v1, s6 dst_sel:DWORD dst_unused:UNUSED_PAD src0_sel:WORD_1 src1_sel:DWORD
	s_mov_b32 s6, 0xffff
	v_bitop3_b32 v2, v3, s6, v2 bitop3:0xc8
	global_store_dword v[4:5], v2, off
.LBB249_127:
	s_mov_b64 s[6:7], 0
.LBB249_128:
	s_andn2_b64 vcc, exec, s[6:7]
	s_cbranch_vccnz .LBB249_137
; %bb.129:
	s_cmp_lt_i32 s8, 6
	s_mov_b64 s[6:7], -1
	s_cbranch_scc1 .LBB249_135
; %bb.130:
	s_cmp_gt_i32 s8, 6
	s_cbranch_scc0 .LBB249_132
; %bb.131:
	global_store_dwordx2 v[4:5], v[0:1], off
	s_mov_b64 s[6:7], 0
.LBB249_132:
	s_andn2_b64 vcc, exec, s[6:7]
	s_cbranch_vccnz .LBB249_134
; %bb.133:
	v_cvt_f32_f64_e32 v2, v[0:1]
	global_store_dword v[4:5], v2, off
.LBB249_134:
	s_mov_b64 s[6:7], 0
.LBB249_135:
	s_andn2_b64 vcc, exec, s[6:7]
	s_cbranch_vccnz .LBB249_137
; %bb.136:
	s_movk_i32 s6, 0x1ff
	v_and_or_b32 v2, v1, s6, v0
	v_cmp_ne_u32_e32 vcc, 0, v2
	v_lshrrev_b32_e32 v3, 8, v1
	s_movk_i32 s6, 0xffe
	v_cndmask_b32_e64 v2, 0, 1, vcc
	v_bfe_u32 v7, v1, 20, 11
	v_and_or_b32 v2, v3, s6, v2
	v_sub_u32_e32 v8, 0x3f1, v7
	v_or_b32_e32 v3, 0x1000, v2
	v_med3_i32 v8, v8, 0, 13
	v_lshrrev_b32_e32 v9, v8, v3
	v_lshlrev_b32_e32 v8, v8, v9
	v_cmp_ne_u32_e32 vcc, v8, v3
	v_add_u32_e32 v7, 0xfffffc10, v7
	v_lshl_or_b32 v8, v7, 12, v2
	v_cndmask_b32_e64 v3, 0, 1, vcc
	v_or_b32_e32 v3, v9, v3
	v_cmp_gt_i32_e32 vcc, 1, v7
	s_movk_i32 s6, 0x40f
	s_nop 0
	v_cndmask_b32_e32 v3, v8, v3, vcc
	v_and_b32_e32 v8, 7, v3
	v_cmp_lt_i32_e32 vcc, 5, v8
	v_lshrrev_b32_e32 v3, 2, v3
	s_nop 0
	v_cndmask_b32_e64 v9, 0, 1, vcc
	v_cmp_eq_u32_e32 vcc, 3, v8
	s_nop 1
	v_cndmask_b32_e64 v8, 0, 1, vcc
	v_or_b32_e32 v8, v8, v9
	v_add_u32_e32 v3, v3, v8
	v_mov_b32_e32 v8, 0x7c00
	v_cmp_gt_i32_e32 vcc, 31, v7
	v_mov_b32_e32 v9, 0x7e00
	s_nop 0
	v_cndmask_b32_e32 v3, v8, v3, vcc
	v_cmp_ne_u32_e32 vcc, 0, v2
	s_nop 1
	v_cndmask_b32_e32 v2, v8, v9, vcc
	v_cmp_eq_u32_e32 vcc, s6, v7
	s_mov_b32 s6, 0x8000
	s_nop 0
	v_cndmask_b32_e32 v2, v3, v2, vcc
	v_lshrrev_b32_e32 v3, 16, v1
	v_and_or_b32 v2, v3, s6, v2
	global_store_short v[4:5], v2, off
.LBB249_137:
	s_mov_b64 s[6:7], 0
.LBB249_138:
	s_andn2_b64 vcc, exec, s[6:7]
	s_cbranch_vccnz .LBB249_154
; %bb.139:
	s_cmp_lt_i32 s8, 2
	s_mov_b64 s[6:7], -1
	s_cbranch_scc1 .LBB249_149
; %bb.140:
	s_cmp_lt_i32 s8, 3
	s_cbranch_scc1 .LBB249_146
; %bb.141:
	s_cmp_gt_i32 s8, 3
	s_cbranch_scc0 .LBB249_143
; %bb.142:
	v_trunc_f64_e32 v[2:3], v[0:1]
	s_movk_i32 s6, 0xffe0
	v_ldexp_f64 v[8:9], v[2:3], s6
	v_floor_f64_e32 v[8:9], v[8:9]
	v_fmac_f64_e32 v[2:3], 0xc1f00000, v[8:9]
	v_cvt_i32_f64_e32 v11, v[8:9]
	v_cvt_u32_f64_e32 v10, v[2:3]
	global_store_dwordx2 v[4:5], v[10:11], off
	s_mov_b64 s[6:7], 0
.LBB249_143:
	s_andn2_b64 vcc, exec, s[6:7]
	s_cbranch_vccnz .LBB249_145
; %bb.144:
	v_cvt_i32_f64_e32 v2, v[0:1]
	global_store_dword v[4:5], v2, off
.LBB249_145:
	s_mov_b64 s[6:7], 0
.LBB249_146:
	s_andn2_b64 vcc, exec, s[6:7]
	s_cbranch_vccnz .LBB249_148
; %bb.147:
	v_cvt_i32_f64_e32 v2, v[0:1]
	global_store_short v[4:5], v2, off
.LBB249_148:
	s_mov_b64 s[6:7], 0
.LBB249_149:
	s_andn2_b64 vcc, exec, s[6:7]
	s_cbranch_vccnz .LBB249_154
; %bb.150:
	s_cmp_gt_i32 s8, 0
	s_mov_b64 s[6:7], -1
	s_cbranch_scc0 .LBB249_152
; %bb.151:
	v_cvt_i32_f64_e32 v2, v[0:1]
	global_store_byte v[4:5], v2, off
	s_mov_b64 s[6:7], 0
.LBB249_152:
	s_andn2_b64 vcc, exec, s[6:7]
	s_cbranch_vccnz .LBB249_154
; %bb.153:
	v_trunc_f64_e32 v[0:1], v[0:1]
	s_movk_i32 s6, 0xffe0
	v_ldexp_f64 v[2:3], v[0:1], s6
	v_floor_f64_e32 v[2:3], v[2:3]
	v_fmac_f64_e32 v[0:1], 0xc1f00000, v[2:3]
	v_cvt_u32_f64_e32 v0, v[0:1]
	global_store_byte v[4:5], v0, off
.LBB249_154:
.LBB249_155:
	v_add_u32_e32 v6, 0x80, v6
	s_mov_b64 s[6:7], -1
	s_branch .LBB249_266
.LBB249_156:
	s_mov_b64 s[4:5], -1
                                        ; implicit-def: $vgpr2_vgpr3
.LBB249_157:
	s_mov_b64 s[6:7], 0
.LBB249_158:
	s_and_b64 vcc, exec, s[6:7]
	s_cbranch_vccz .LBB249_162
; %bb.159:
	s_cmp_eq_u32 s10, 29
	s_cbranch_scc0 .LBB249_161
; %bb.160:
	global_load_dwordx2 v[2:3], v[0:1], off
	s_mov_b64 s[2:3], -1
	s_mov_b64 s[4:5], 0
	s_mov_b64 s[6:7], 0
	s_waitcnt vmcnt(0)
	v_cvt_f64_u32_e32 v[8:9], v3
	v_cvt_f64_u32_e32 v[2:3], v2
	v_ldexp_f64 v[8:9], v[8:9], 32
	v_add_f64 v[2:3], v[8:9], v[2:3]
	s_branch .LBB249_163
.LBB249_161:
	s_mov_b64 s[4:5], -1
                                        ; implicit-def: $vgpr2_vgpr3
.LBB249_162:
	s_mov_b64 s[6:7], 0
.LBB249_163:
	s_and_b64 vcc, exec, s[6:7]
	s_cbranch_vccz .LBB249_183
; %bb.164:
	s_cmp_lt_i32 s10, 27
	s_cbranch_scc1 .LBB249_167
; %bb.165:
	s_cmp_gt_i32 s10, 27
	s_cbranch_scc0 .LBB249_168
; %bb.166:
	global_load_dword v2, v[0:1], off
	s_mov_b64 s[2:3], 0
	s_waitcnt vmcnt(0)
	v_cvt_f64_u32_e32 v[2:3], v2
	s_branch .LBB249_169
.LBB249_167:
	s_mov_b64 s[2:3], -1
                                        ; implicit-def: $vgpr2_vgpr3
	s_branch .LBB249_172
.LBB249_168:
	s_mov_b64 s[2:3], -1
                                        ; implicit-def: $vgpr2_vgpr3
.LBB249_169:
	s_andn2_b64 vcc, exec, s[2:3]
	s_cbranch_vccnz .LBB249_171
; %bb.170:
	global_load_ushort v2, v[0:1], off
	s_waitcnt vmcnt(0)
	v_cvt_f64_u32_e32 v[2:3], v2
.LBB249_171:
	s_mov_b64 s[2:3], 0
.LBB249_172:
	s_andn2_b64 vcc, exec, s[2:3]
	s_cbranch_vccnz .LBB249_182
; %bb.173:
	global_load_ubyte v5, v[0:1], off
	s_movk_i32 s2, 0x7f
	s_waitcnt vmcnt(0)
	v_cmp_lt_i16_e32 vcc, s2, v5
	s_mov_b64 s[2:3], 0
	s_and_saveexec_b64 s[6:7], vcc
	s_xor_b64 s[6:7], exec, s[6:7]
	s_cbranch_execz .LBB249_177
; %bb.174:
	s_movk_i32 s2, 0x80
	v_cmp_eq_u16_e32 vcc, s2, v5
	s_mov_b64 s[2:3], -1
	s_and_saveexec_b64 s[8:9], vcc
; %bb.175:
	s_xor_b64 s[2:3], exec, -1
; %bb.176:
	s_or_b64 exec, exec, s[8:9]
	s_and_b64 s[2:3], s[2:3], exec
.LBB249_177:
	s_or_saveexec_b64 s[6:7], s[6:7]
	v_bfrev_b32_e32 v2, 4
	v_mov_b32_e32 v3, 0x7ff80000
	s_xor_b64 exec, exec, s[6:7]
; %bb.178:
	v_cmp_ne_u16_e32 vcc, 0, v5
	s_andn2_b64 s[2:3], s[2:3], exec
	s_and_b64 s[8:9], vcc, exec
	v_mov_b64_e32 v[2:3], 0
	s_or_b64 s[2:3], s[2:3], s[8:9]
; %bb.179:
	s_or_b64 exec, exec, s[6:7]
	s_and_saveexec_b64 s[6:7], s[2:3]
	s_cbranch_execz .LBB249_181
; %bb.180:
	v_and_b32_e32 v3, 0xffff, v5
	v_lshlrev_b32_e32 v2, 24, v5
	v_and_b32_e32 v5, 7, v3
	v_ffbh_u32_e32 v8, v5
	v_min_u32_e32 v8, 32, v8
	v_subrev_u32_e32 v9, 28, v8
	v_bfe_u32 v7, v3, 3, 4
	v_lshlrev_b32_e32 v3, v9, v3
	v_sub_u32_e32 v8, 29, v8
	v_and_b32_e32 v3, 7, v3
	v_cmp_eq_u32_e32 vcc, 0, v7
	v_and_b32_e32 v2, 0x80000000, v2
	s_nop 0
	v_cndmask_b32_e32 v7, v7, v8, vcc
	v_cndmask_b32_e32 v3, v5, v3, vcc
	v_mov_b32_e32 v5, 0x3b800000
	v_lshlrev_b32_e32 v3, 20, v3
	v_lshl_add_u32 v5, v7, 23, v5
	v_or3_b32 v2, v2, v5, v3
	v_cvt_f64_f32_e32 v[2:3], v2
.LBB249_181:
	s_or_b64 exec, exec, s[6:7]
.LBB249_182:
	s_mov_b64 s[2:3], -1
.LBB249_183:
	s_branch .LBB249_216
.LBB249_184:
	s_cmp_gt_i32 s10, 22
	s_cbranch_scc0 .LBB249_196
; %bb.185:
	s_cmp_lt_i32 s10, 24
	s_cbranch_scc1 .LBB249_197
; %bb.186:
	s_cmp_gt_i32 s10, 24
	s_cbranch_scc0 .LBB249_198
; %bb.187:
	global_load_ubyte v5, v[0:1], off
	s_movk_i32 s2, 0x7f
	s_waitcnt vmcnt(0)
	v_cmp_lt_i16_e32 vcc, s2, v5
	s_mov_b64 s[2:3], 0
	s_and_saveexec_b64 s[6:7], vcc
	s_xor_b64 s[6:7], exec, s[6:7]
	s_cbranch_execz .LBB249_191
; %bb.188:
	s_movk_i32 s2, 0x80
	v_cmp_eq_u16_e32 vcc, s2, v5
	s_mov_b64 s[2:3], -1
	s_and_saveexec_b64 s[8:9], vcc
; %bb.189:
	s_xor_b64 s[2:3], exec, -1
; %bb.190:
	s_or_b64 exec, exec, s[8:9]
	s_and_b64 s[2:3], s[2:3], exec
.LBB249_191:
	s_or_saveexec_b64 s[6:7], s[6:7]
	v_bfrev_b32_e32 v2, 4
	v_mov_b32_e32 v3, 0x7ff80000
	s_xor_b64 exec, exec, s[6:7]
; %bb.192:
	v_cmp_ne_u16_e32 vcc, 0, v5
	s_andn2_b64 s[2:3], s[2:3], exec
	s_and_b64 s[8:9], vcc, exec
	v_mov_b64_e32 v[2:3], 0
	s_or_b64 s[2:3], s[2:3], s[8:9]
; %bb.193:
	s_or_b64 exec, exec, s[6:7]
	s_and_saveexec_b64 s[6:7], s[2:3]
	s_cbranch_execz .LBB249_195
; %bb.194:
	v_and_b32_e32 v3, 0xffff, v5
	v_lshlrev_b32_e32 v2, 24, v5
	v_and_b32_e32 v5, 3, v3
	v_ffbh_u32_e32 v8, v5
	v_min_u32_e32 v8, 32, v8
	v_subrev_u32_e32 v9, 29, v8
	v_bfe_u32 v7, v3, 2, 5
	v_lshlrev_b32_e32 v3, v9, v3
	v_sub_u32_e32 v8, 30, v8
	v_and_b32_e32 v3, 3, v3
	v_cmp_eq_u32_e32 vcc, 0, v7
	v_and_b32_e32 v2, 0x80000000, v2
	s_nop 0
	v_cndmask_b32_e32 v7, v7, v8, vcc
	v_cndmask_b32_e32 v3, v5, v3, vcc
	v_mov_b32_e32 v5, 0x37800000
	v_lshlrev_b32_e32 v3, 21, v3
	v_lshl_add_u32 v5, v7, 23, v5
	v_or3_b32 v2, v2, v5, v3
	v_cvt_f64_f32_e32 v[2:3], v2
.LBB249_195:
	s_or_b64 exec, exec, s[6:7]
	s_mov_b64 s[2:3], 0
	s_branch .LBB249_199
.LBB249_196:
	s_mov_b64 s[6:7], -1
                                        ; implicit-def: $vgpr2_vgpr3
	s_branch .LBB249_205
.LBB249_197:
	s_mov_b64 s[2:3], -1
                                        ; implicit-def: $vgpr2_vgpr3
	s_branch .LBB249_202
.LBB249_198:
	s_mov_b64 s[2:3], -1
                                        ; implicit-def: $vgpr2_vgpr3
.LBB249_199:
	s_and_b64 vcc, exec, s[2:3]
	s_cbranch_vccz .LBB249_201
; %bb.200:
	global_load_ubyte v2, v[0:1], off
	s_mov_b32 s2, 0x7f800000
	s_waitcnt vmcnt(0)
	v_lshlrev_b32_e32 v2, 24, v2
	v_and_b32_e32 v3, 0x7f000000, v2
	v_ffbh_u32_e32 v5, v3
	v_min_u32_e32 v5, 32, v5
	v_sub_u32_e64 v5, v5, 4 clamp
	v_lshlrev_b32_e32 v8, v5, v3
	v_lshlrev_b32_e32 v5, 23, v5
	v_lshrrev_b32_e32 v8, 4, v8
	v_add_u32_e32 v7, 0x1000000, v3
	v_sub_u32_e32 v5, v8, v5
	v_ashrrev_i32_e32 v7, 8, v7
	v_add_u32_e32 v5, 0x3c000000, v5
	v_and_or_b32 v5, v7, s2, v5
	v_cmp_ne_u32_e32 vcc, 0, v3
	s_brev_b32 s2, 1
	s_nop 0
	v_cndmask_b32_e32 v3, 0, v5, vcc
	v_and_or_b32 v2, v2, s2, v3
	v_cvt_f64_f32_e32 v[2:3], v2
.LBB249_201:
	s_mov_b64 s[2:3], 0
.LBB249_202:
	s_andn2_b64 vcc, exec, s[2:3]
	s_cbranch_vccnz .LBB249_204
; %bb.203:
	global_load_ubyte v2, v[0:1], off
	s_movk_i32 s2, 0x7f00
	s_brev_b32 s3, 16
	s_waitcnt vmcnt(0)
	v_lshlrev_b16_e32 v3, 8, v2
	v_lshlrev_b32_e32 v2, 25, v2
	v_lshrrev_b32_e32 v5, 4, v2
	v_and_or_b32 v7, v3, s2, 0.5
	v_or_b32_e32 v5, 0x70000000, v5
	v_add_f32_e32 v7, -0.5, v7
	v_mul_f32_e32 v5, 0x7800000, v5
	v_cmp_gt_u32_e32 vcc, s3, v2
	v_bfe_i32 v3, v3, 0, 16
	s_brev_b32 s2, 1
	v_cndmask_b32_e32 v2, v5, v7, vcc
	v_and_or_b32 v2, v3, s2, v2
	v_cvt_f64_f32_e32 v[2:3], v2
.LBB249_204:
	s_mov_b64 s[6:7], 0
	s_mov_b64 s[2:3], -1
.LBB249_205:
	s_andn2_b64 vcc, exec, s[6:7]
	s_cbranch_vccnz .LBB249_216
; %bb.206:
	s_cmp_gt_i32 s10, 14
	s_cbranch_scc0 .LBB249_209
; %bb.207:
	s_cmp_eq_u32 s10, 15
	s_cbranch_scc0 .LBB249_210
; %bb.208:
	global_load_ushort v2, v[0:1], off
	s_mov_b64 s[2:3], -1
	s_mov_b64 s[4:5], 0
	s_waitcnt vmcnt(0)
	v_lshlrev_b32_e32 v2, 16, v2
	v_cvt_f64_f32_e32 v[2:3], v2
	s_branch .LBB249_211
.LBB249_209:
	s_mov_b64 s[6:7], -1
                                        ; implicit-def: $vgpr2_vgpr3
	s_branch .LBB249_212
.LBB249_210:
	s_mov_b64 s[4:5], -1
                                        ; implicit-def: $vgpr2_vgpr3
.LBB249_211:
	s_mov_b64 s[6:7], 0
.LBB249_212:
	s_and_b64 vcc, exec, s[6:7]
	s_cbranch_vccz .LBB249_216
; %bb.213:
	s_cmp_eq_u32 s10, 11
	s_cbranch_scc0 .LBB249_215
; %bb.214:
	global_load_ubyte v3, v[0:1], off
	v_mov_b32_e32 v5, 0x3ff00000
	v_mov_b32_e32 v2, 0
	s_mov_b64 s[2:3], -1
	s_mov_b64 s[4:5], 0
	s_waitcnt vmcnt(0)
	v_cmp_ne_u16_e32 vcc, 0, v3
	s_nop 1
	v_cndmask_b32_e32 v3, 0, v5, vcc
	s_branch .LBB249_216
.LBB249_215:
	s_mov_b64 s[4:5], -1
                                        ; implicit-def: $vgpr2_vgpr3
.LBB249_216:
	s_branch .LBB249_25
.LBB249_217:
	s_cmp_lt_i32 s10, 5
	s_cbranch_scc1 .LBB249_222
; %bb.218:
	s_cmp_lt_i32 s10, 8
	s_cbranch_scc1 .LBB249_223
; %bb.219:
	;; [unrolled: 3-line block ×3, first 2 shown]
	s_cmp_gt_i32 s10, 9
	s_cbranch_scc0 .LBB249_225
; %bb.221:
	global_load_dwordx2 v[2:3], v[0:1], off
	s_mov_b64 s[2:3], 0
	s_branch .LBB249_226
.LBB249_222:
                                        ; implicit-def: $vgpr2_vgpr3
	s_branch .LBB249_244
.LBB249_223:
	s_mov_b64 s[2:3], -1
                                        ; implicit-def: $vgpr2_vgpr3
	s_branch .LBB249_232
.LBB249_224:
	s_mov_b64 s[2:3], -1
                                        ; implicit-def: $vgpr2_vgpr3
	s_branch .LBB249_229
.LBB249_225:
	s_mov_b64 s[2:3], -1
                                        ; implicit-def: $vgpr2_vgpr3
.LBB249_226:
	s_andn2_b64 vcc, exec, s[2:3]
	s_cbranch_vccnz .LBB249_228
; %bb.227:
	global_load_dword v2, v[0:1], off
	s_waitcnt vmcnt(0)
	v_cvt_f64_f32_e32 v[2:3], v2
.LBB249_228:
	s_mov_b64 s[2:3], 0
.LBB249_229:
	s_andn2_b64 vcc, exec, s[2:3]
	s_cbranch_vccnz .LBB249_231
; %bb.230:
	global_load_dword v2, v[0:1], off
	s_waitcnt vmcnt(0)
	v_cvt_f32_f16_e32 v2, v2
	v_cvt_f64_f32_e32 v[2:3], v2
.LBB249_231:
	s_mov_b64 s[2:3], 0
.LBB249_232:
	s_andn2_b64 vcc, exec, s[2:3]
	s_cbranch_vccnz .LBB249_243
; %bb.233:
	s_cmp_lt_i32 s10, 6
	s_cbranch_scc1 .LBB249_236
; %bb.234:
	s_cmp_gt_i32 s10, 6
	s_cbranch_scc0 .LBB249_237
; %bb.235:
	global_load_dwordx2 v[2:3], v[0:1], off
	s_mov_b64 s[2:3], 0
	s_branch .LBB249_238
.LBB249_236:
	s_mov_b64 s[2:3], -1
                                        ; implicit-def: $vgpr2_vgpr3
	s_branch .LBB249_241
.LBB249_237:
	s_mov_b64 s[2:3], -1
                                        ; implicit-def: $vgpr2_vgpr3
.LBB249_238:
	s_andn2_b64 vcc, exec, s[2:3]
	s_cbranch_vccnz .LBB249_240
; %bb.239:
	global_load_dword v2, v[0:1], off
	s_waitcnt vmcnt(0)
	v_cvt_f64_f32_e32 v[2:3], v2
.LBB249_240:
	s_mov_b64 s[2:3], 0
.LBB249_241:
	s_andn2_b64 vcc, exec, s[2:3]
	s_cbranch_vccnz .LBB249_243
; %bb.242:
	global_load_ushort v2, v[0:1], off
	s_waitcnt vmcnt(0)
	v_cvt_f32_f16_e32 v2, v2
	v_cvt_f64_f32_e32 v[2:3], v2
.LBB249_243:
	s_cbranch_execnz .LBB249_263
.LBB249_244:
	s_cmp_lt_i32 s10, 2
	s_cbranch_scc1 .LBB249_248
; %bb.245:
	s_cmp_lt_i32 s10, 3
	s_cbranch_scc1 .LBB249_249
; %bb.246:
	s_cmp_gt_i32 s10, 3
	s_cbranch_scc0 .LBB249_250
; %bb.247:
	global_load_dwordx2 v[2:3], v[0:1], off
	s_mov_b64 s[2:3], 0
	s_waitcnt vmcnt(0)
	v_cvt_f64_i32_e32 v[8:9], v3
	v_cvt_f64_u32_e32 v[2:3], v2
	v_ldexp_f64 v[8:9], v[8:9], 32
	v_add_f64 v[2:3], v[8:9], v[2:3]
	s_branch .LBB249_251
.LBB249_248:
	s_mov_b64 s[2:3], -1
                                        ; implicit-def: $vgpr2_vgpr3
	s_branch .LBB249_257
.LBB249_249:
	s_mov_b64 s[2:3], -1
                                        ; implicit-def: $vgpr2_vgpr3
	s_branch .LBB249_254
.LBB249_250:
	s_mov_b64 s[2:3], -1
                                        ; implicit-def: $vgpr2_vgpr3
.LBB249_251:
	s_andn2_b64 vcc, exec, s[2:3]
	s_cbranch_vccnz .LBB249_253
; %bb.252:
	global_load_dword v2, v[0:1], off
	s_waitcnt vmcnt(0)
	v_cvt_f64_i32_e32 v[2:3], v2
.LBB249_253:
	s_mov_b64 s[2:3], 0
.LBB249_254:
	s_andn2_b64 vcc, exec, s[2:3]
	s_cbranch_vccnz .LBB249_256
; %bb.255:
	global_load_sshort v2, v[0:1], off
	s_waitcnt vmcnt(0)
	v_cvt_f64_i32_e32 v[2:3], v2
.LBB249_256:
	s_mov_b64 s[2:3], 0
.LBB249_257:
	s_andn2_b64 vcc, exec, s[2:3]
	s_cbranch_vccnz .LBB249_263
; %bb.258:
	s_cmp_gt_i32 s10, 0
	s_cbranch_scc0 .LBB249_260
; %bb.259:
	global_load_sbyte v2, v[0:1], off
	s_mov_b64 s[2:3], 0
	s_waitcnt vmcnt(0)
	v_cvt_f64_i32_e32 v[2:3], v2
	s_branch .LBB249_261
.LBB249_260:
	s_mov_b64 s[2:3], -1
                                        ; implicit-def: $vgpr2_vgpr3
.LBB249_261:
	s_andn2_b64 vcc, exec, s[2:3]
	s_cbranch_vccnz .LBB249_263
; %bb.262:
	global_load_ubyte v0, v[0:1], off
	s_waitcnt vmcnt(0)
	v_cvt_f64_u32_e32 v[2:3], v0
.LBB249_263:
	s_branch .LBB249_26
.LBB249_264:
	s_mov_b64 s[2:3], 0
.LBB249_265:
	s_mov_b64 s[6:7], 0
                                        ; implicit-def: $vgpr6
.LBB249_266:
	s_and_b64 s[54:55], s[2:3], exec
	s_and_b64 s[56:57], s[4:5], exec
	s_orn2_b64 s[4:5], s[6:7], exec
.LBB249_267:
	s_or_b64 exec, exec, s[58:59]
	s_mov_b64 s[8:9], 0
	s_mov_b64 s[2:3], 0
                                        ; implicit-def: $vgpr0_vgpr1
                                        ; implicit-def: $vgpr4
                                        ; implicit-def: $vgpr2_vgpr3
	s_and_saveexec_b64 s[58:59], s[4:5]
	s_cbranch_execz .LBB249_275
; %bb.268:
	v_cmp_gt_i32_e32 vcc, s70, v6
	s_mov_b64 s[2:3], -1
	s_mov_b64 s[60:61], s[56:57]
	s_mov_b64 s[62:63], s[54:55]
	s_and_saveexec_b64 s[64:65], vcc
	s_cbranch_execz .LBB249_544
; %bb.269:
	s_andn2_b64 vcc, exec, s[42:43]
	s_cbranch_vccnz .LBB249_278
; %bb.270:
	s_andn2_b64 vcc, exec, s[52:53]
	s_cbranch_vccnz .LBB249_279
; %bb.271:
	s_add_i32 s63, s75, 1
	s_cmp_eq_u32 s72, 2
	s_cbranch_scc1 .LBB249_280
; %bb.272:
	s_and_b32 s62, s63, 28
	s_mov_b32 s66, 0
	v_mov_b32_e32 v4, 0
	v_mov_b32_e32 v0, 0
	s_mov_b64 s[2:3], s[34:35]
	s_mov_b64 s[60:61], s[50:51]
	s_waitcnt vmcnt(0)
	v_mov_b32_e32 v2, v6
.LBB249_273:                            ; =>This Inner Loop Header: Depth=1
	s_load_dwordx8 s[12:19], s[2:3], 0x4
	s_load_dwordx4 s[36:39], s[2:3], 0x24
	s_load_dwordx8 s[4:11], s[60:61], 0x0
	s_add_u32 s2, s2, 48
	s_addc_u32 s3, s3, 0
	s_waitcnt lgkmcnt(0)
	v_mul_hi_u32 v1, s13, v2
	v_add_u32_e32 v1, v2, v1
	v_lshrrev_b32_e32 v1, s14, v1
	v_mul_lo_u32 v3, v1, s12
	v_mul_hi_u32 v5, s16, v1
	v_sub_u32_e32 v2, v2, v3
	v_add_u32_e32 v3, v1, v5
	v_lshrrev_b32_e32 v3, s17, v3
	v_mul_lo_u32 v7, v3, s15
	v_mul_hi_u32 v8, s19, v3
	v_sub_u32_e32 v1, v1, v7
	v_add_u32_e32 v7, v3, v8
	v_mul_lo_u32 v5, v2, s5
	v_mul_lo_u32 v2, v2, s4
	;; [unrolled: 1-line block ×4, first 2 shown]
	v_lshrrev_b32_e32 v7, s36, v7
	v_add3_u32 v1, v2, v4, v1
	v_mul_lo_u32 v2, v7, s18
	v_mul_hi_u32 v4, s38, v7
	v_sub_u32_e32 v2, v3, v2
	v_add_u32_e32 v3, v7, v4
	v_add3_u32 v0, v5, v0, v8
	v_mul_lo_u32 v4, v2, s8
	v_mul_lo_u32 v5, v2, s9
	v_lshrrev_b32_e32 v2, s39, v3
	s_add_i32 s66, s66, 4
	v_mul_lo_u32 v3, v2, s37
	s_add_u32 s60, s60, 32
	v_sub_u32_e32 v3, v7, v3
	s_addc_u32 s61, s61, 0
	v_mul_lo_u32 v7, v3, s10
	v_mul_lo_u32 v3, v3, s11
	s_cmp_eq_u32 s62, s66
	v_add3_u32 v0, v5, v0, v3
	v_add3_u32 v4, v4, v1, v7
	s_cbranch_scc0 .LBB249_273
; %bb.274:
	v_mov_b32_e32 v1, v0
	s_branch .LBB249_281
.LBB249_275:
	s_or_b64 exec, exec, s[58:59]
	s_mov_b64 s[4:5], 0
	s_and_saveexec_b64 s[6:7], s[56:57]
	s_cbranch_execnz .LBB249_922
.LBB249_276:
	s_or_b64 exec, exec, s[6:7]
	s_and_saveexec_b64 s[6:7], s[62:63]
	s_xor_b64 s[6:7], exec, s[6:7]
	s_cbranch_execz .LBB249_923
.LBB249_277:
	global_load_ubyte v3, v[0:1], off
	v_mov_b32_e32 v5, 0x3ff00000
	s_waitcnt vmcnt(1)
	v_mov_b32_e32 v2, 0
	s_or_b64 s[2:3], s[2:3], exec
	s_waitcnt vmcnt(0)
	v_cmp_ne_u16_e32 vcc, 0, v3
	s_nop 1
	v_cndmask_b32_e32 v3, 0, v5, vcc
	s_or_b64 exec, exec, s[6:7]
	s_and_saveexec_b64 s[6:7], s[8:9]
	s_cbranch_execz .LBB249_969
	s_branch .LBB249_924
.LBB249_278:
                                        ; implicit-def: $vgpr0
                                        ; implicit-def: $vgpr4
	s_andn2_b64 vcc, exec, s[2:3]
	s_cbranch_vccz .LBB249_285
	s_branch .LBB249_287
.LBB249_279:
	v_mov_b32_e32 v0, 0
	v_mov_b32_e32 v4, 0
	s_branch .LBB249_284
.LBB249_280:
	v_mov_b32_e32 v4, 0
	s_mov_b32 s62, 0
	v_mov_b32_e32 v1, v4
                                        ; implicit-def: $vgpr0
	s_waitcnt vmcnt(0)
	v_mov_b32_e32 v2, v6
.LBB249_281:
	s_and_b32 s6, s63, 3
	s_cmp_eq_u32 s6, 0
	s_cbranch_scc1 .LBB249_284
; %bb.282:
	s_lshl_b32 s2, s62, 3
	s_add_u32 s2, s34, s2
	s_addc_u32 s3, s35, 0
	s_add_u32 s2, s2, 0xc4
	s_addc_u32 s3, s3, 0
	s_mul_i32 s4, s62, 12
	s_add_u32 s4, s34, s4
	s_addc_u32 s5, s35, 0
.LBB249_283:                            ; =>This Inner Loop Header: Depth=1
	s_load_dwordx2 s[8:9], s[4:5], 0x4
	s_load_dword s7, s[4:5], 0xc
	s_load_dwordx2 s[10:11], s[2:3], 0x0
	v_mov_b32_e32 v0, v1
	s_add_u32 s4, s4, 12
	s_waitcnt lgkmcnt(0)
	v_mul_hi_u32 v1, s9, v2
	v_add_u32_e32 v1, v2, v1
	v_lshrrev_b32_e32 v1, s7, v1
	s_addc_u32 s5, s5, 0
	v_mul_lo_u32 v3, v1, s8
	s_add_u32 s2, s2, 8
	v_sub_u32_e32 v3, v2, v3
	s_addc_u32 s3, s3, 0
	s_add_i32 s6, s6, -1
	v_mov_b32_e32 v2, v1
	v_mad_u64_u32 v[0:1], s[8:9], v3, s11, v[0:1]
	s_cmp_lg_u32 s6, 0
	v_mad_u64_u32 v[4:5], s[8:9], v3, s10, v[4:5]
	v_mov_b32_e32 v1, v0
	s_cbranch_scc1 .LBB249_283
.LBB249_284:
	s_cbranch_execnz .LBB249_287
.LBB249_285:
	s_waitcnt lgkmcnt(0)
	v_mul_hi_u32 v0, s29, v6
	v_add_u32_e32 v0, v6, v0
	v_lshrrev_b32_e32 v1, s30, v0
	v_mul_lo_u32 v0, v1, s28
	s_waitcnt vmcnt(0)
	v_sub_u32_e32 v2, v6, v0
	v_mul_lo_u32 v0, v2, s25
	s_andn2_b64 vcc, exec, s[48:49]
	v_mul_lo_u32 v4, v2, s24
	s_cbranch_vccnz .LBB249_287
; %bb.286:
	v_mul_hi_u32 v2, s46, v1
	v_add_u32_e32 v2, v1, v2
	v_lshrrev_b32_e32 v2, s47, v2
	v_mul_lo_u32 v2, v2, s31
	v_sub_u32_e32 v1, v1, v2
	v_mad_u64_u32 v[4:5], s[2:3], v1, s26, v[4:5]
	v_mad_u64_u32 v[0:1], s[2:3], v1, s27, v[0:1]
.LBB249_287:
	v_mov_b32_e32 v1, 0
	s_and_b32 s10, 0xffff, s74
	s_cmp_lt_i32 s10, 11
	s_waitcnt lgkmcnt(0)
	v_lshl_add_u64 v[0:1], s[22:23], 0, v[0:1]
	s_cbranch_scc1 .LBB249_294
; %bb.288:
	s_cmp_gt_i32 s10, 25
	s_cbranch_scc0 .LBB249_303
; %bb.289:
	s_cmp_gt_i32 s10, 28
	s_cbranch_scc0 .LBB249_305
	;; [unrolled: 3-line block ×4, first 2 shown]
; %bb.292:
	s_cmp_eq_u32 s10, 46
	s_mov_b64 s[6:7], 0
	s_cbranch_scc0 .LBB249_315
; %bb.293:
	global_load_dword v2, v[0:1], off
	s_mov_b64 s[2:3], -1
	s_mov_b64 s[4:5], 0
	s_waitcnt vmcnt(0)
	v_lshlrev_b32_e32 v2, 16, v2
	v_cvt_f64_f32_e32 v[2:3], v2
	s_branch .LBB249_316
.LBB249_294:
	s_mov_b64 s[2:3], 0
                                        ; implicit-def: $vgpr2_vgpr3
	s_mov_b64 s[4:5], s[56:57]
	s_cbranch_execnz .LBB249_493
.LBB249_295:
	s_andn2_b64 vcc, exec, s[2:3]
	s_cbranch_vccnz .LBB249_541
.LBB249_296:
	s_mov_b32 s2, 0
	s_brev_b32 s3, 8
	v_mov_b32_e32 v0, 0x100
	s_waitcnt vmcnt(0)
	v_cmp_gt_f64_e32 vcc, s[2:3], v[2:3]
	v_mov_b32_e32 v5, 0xffffff80
	s_and_b32 s12, s73, 0xff
	v_cndmask_b32_e32 v0, 0, v0, vcc
	v_ldexp_f64 v[0:1], v[2:3], v0
	v_rsq_f64_e32 v[8:9], v[0:1]
	v_cndmask_b32_e32 v5, 0, v5, vcc
	s_cmp_lt_i32 s12, 11
	v_mul_f64 v[10:11], v[0:1], v[8:9]
	v_mul_f64 v[8:9], v[8:9], 0.5
	v_fma_f64 v[12:13], -v[8:9], v[10:11], 0.5
	v_fmac_f64_e32 v[10:11], v[10:11], v[12:13]
	v_fma_f64 v[14:15], -v[10:11], v[10:11], v[0:1]
	v_fmac_f64_e32 v[8:9], v[8:9], v[12:13]
	v_fmac_f64_e32 v[10:11], v[14:15], v[8:9]
	v_fma_f64 v[12:13], -v[10:11], v[10:11], v[0:1]
	v_fmac_f64_e32 v[10:11], v[12:13], v[8:9]
	v_ldexp_f64 v[8:9], v[10:11], v5
	v_mov_b32_e32 v5, 0x260
	v_cmp_class_f64_e32 vcc, v[0:1], v5
	v_mov_b32_e32 v5, 0
	v_lshl_add_u64 v[4:5], s[20:21], 0, v[4:5]
	v_cndmask_b32_e32 v1, v9, v1, vcc
	v_cndmask_b32_e32 v0, v8, v0, vcc
	s_cbranch_scc1 .LBB249_304
; %bb.297:
	s_and_b32 s13, 0xffff, s12
	s_cmp_gt_i32 s13, 25
	s_cbranch_scc0 .LBB249_306
; %bb.298:
	s_cmp_gt_i32 s13, 28
	s_cbranch_scc0 .LBB249_308
; %bb.299:
	;; [unrolled: 3-line block ×4, first 2 shown]
	s_mov_b64 s[8:9], 0
	s_mov_b64 s[2:3], -1
	s_cmp_eq_u32 s13, 46
	s_mov_b64 s[6:7], 0
	s_cbranch_scc0 .LBB249_320
; %bb.302:
	v_cvt_f32_f64_e32 v7, v[0:1]
	v_bfe_u32 v8, v7, 16, 1
	s_movk_i32 s2, 0x7fff
	v_add3_u32 v8, v7, v8, s2
	v_cmp_o_f32_e32 vcc, v7, v7
	v_mov_b32_e32 v7, 0x7fc0
	s_mov_b64 s[6:7], -1
	v_cndmask_b32_sdwa v7, v7, v8, vcc dst_sel:DWORD dst_unused:UNUSED_PAD src0_sel:DWORD src1_sel:WORD_1
	global_store_dword v[4:5], v7, off
	s_mov_b64 s[2:3], 0
	s_branch .LBB249_320
.LBB249_303:
	s_mov_b64 s[6:7], -1
	s_mov_b64 s[2:3], 0
	s_mov_b64 s[4:5], s[56:57]
                                        ; implicit-def: $vgpr2_vgpr3
	s_branch .LBB249_459
.LBB249_304:
	s_mov_b64 s[8:9], -1
	s_mov_b64 s[6:7], 0
	s_mov_b64 s[2:3], s[54:55]
	s_branch .LBB249_389
.LBB249_305:
	s_mov_b64 s[6:7], -1
	s_mov_b64 s[2:3], 0
	s_mov_b64 s[4:5], s[56:57]
                                        ; implicit-def: $vgpr2_vgpr3
	s_branch .LBB249_438
.LBB249_306:
	s_mov_b64 s[8:9], -1
	s_mov_b64 s[6:7], 0
	s_mov_b64 s[2:3], s[54:55]
	s_branch .LBB249_347
.LBB249_307:
	s_mov_b64 s[6:7], -1
	s_mov_b64 s[2:3], 0
	s_mov_b64 s[4:5], s[56:57]
                                        ; implicit-def: $vgpr2_vgpr3
	s_branch .LBB249_433
.LBB249_308:
	s_mov_b64 s[8:9], -1
	s_mov_b64 s[6:7], 0
	s_mov_b64 s[2:3], s[54:55]
	s_branch .LBB249_330
.LBB249_309:
	s_andn2_saveexec_b64 s[10:11], s[10:11]
	s_cbranch_execz .LBB249_69
.LBB249_310:
	s_mov_b32 s14, 0x46000000
	v_add_f32_e64 v8, |v7|, s14
	v_and_b32_e32 v8, 0xff, v8
	v_cmp_ne_u32_e32 vcc, 0, v8
	s_andn2_b64 s[8:9], s[8:9], exec
	s_and_b64 s[14:15], vcc, exec
	s_or_b64 s[8:9], s[8:9], s[14:15]
	s_or_b64 exec, exec, s[10:11]
	v_mov_b32_e32 v9, 0
	s_and_saveexec_b64 s[10:11], s[8:9]
	s_cbranch_execnz .LBB249_70
	s_branch .LBB249_71
.LBB249_311:
	s_mov_b64 s[6:7], -1
	s_mov_b64 s[2:3], 0
	s_mov_b64 s[4:5], s[56:57]
                                        ; implicit-def: $vgpr2_vgpr3
	s_branch .LBB249_316
.LBB249_312:
	s_mov_b64 s[8:9], -1
	s_mov_b64 s[6:7], 0
	s_mov_b64 s[2:3], s[54:55]
	s_branch .LBB249_326
.LBB249_313:
	s_andn2_saveexec_b64 s[10:11], s[10:11]
	s_cbranch_execz .LBB249_82
.LBB249_314:
	s_mov_b32 s14, 0x42800000
	v_add_f32_e64 v8, |v7|, s14
	v_and_b32_e32 v8, 0xff, v8
	v_cmp_ne_u32_e32 vcc, 0, v8
	s_andn2_b64 s[8:9], s[8:9], exec
	s_and_b64 s[14:15], vcc, exec
	s_or_b64 s[8:9], s[8:9], s[14:15]
	s_or_b64 exec, exec, s[10:11]
	v_mov_b32_e32 v9, 0
	s_and_saveexec_b64 s[10:11], s[8:9]
	s_cbranch_execnz .LBB249_83
	s_branch .LBB249_84
.LBB249_315:
	s_mov_b64 s[4:5], -1
                                        ; implicit-def: $vgpr2_vgpr3
	s_mov_b64 s[2:3], 0
.LBB249_316:
	s_and_b64 vcc, exec, s[6:7]
	s_cbranch_vccz .LBB249_432
; %bb.317:
	s_cmp_eq_u32 s10, 44
	s_cbranch_scc0 .LBB249_431
; %bb.318:
	global_load_ubyte v5, v[0:1], off
	s_movk_i32 s4, 0xff
	v_bfrev_b32_e32 v7, 4
	v_mov_b32_e32 v8, 0x7ff80000
	v_bfrev_b32_e32 v9, 28
	s_mov_b64 s[2:3], -1
	s_waitcnt vmcnt(0)
	v_lshlrev_b32_e32 v2, 23, v5
	v_cvt_f64_f32_e32 v[2:3], v2
	v_cmp_ne_u32_e32 vcc, s4, v5
	s_mov_b64 s[4:5], 0
	s_nop 0
	v_cndmask_b32_e32 v2, v7, v2, vcc
	v_cndmask_b32_e32 v3, v8, v3, vcc
	v_cmp_ne_u32_e32 vcc, 0, v5
	s_nop 1
	v_cndmask_b32_e32 v3, v9, v3, vcc
	v_cndmask_b32_e32 v2, 0, v2, vcc
	s_branch .LBB249_432
.LBB249_319:
	s_mov_b64 s[8:9], -1
	s_mov_b64 s[6:7], 0
	s_mov_b64 s[2:3], s[54:55]
.LBB249_320:
	s_and_b64 vcc, exec, s[8:9]
	s_cbranch_vccz .LBB249_325
; %bb.321:
	s_cmp_eq_u32 s13, 44
	s_mov_b64 s[2:3], -1
	s_cbranch_scc0 .LBB249_325
; %bb.322:
	v_cvt_f32_f64_e32 v7, v[0:1]
	v_bfe_u32 v8, v7, 23, 8
	s_movk_i32 s2, 0xff
	v_cmp_ne_u32_e32 vcc, s2, v8
	v_mov_b32_e32 v9, 0xff
	s_and_saveexec_b64 s[6:7], vcc
; %bb.323:
	s_mov_b32 s2, 0x3fffff
	v_lshrrev_b32_e32 v9, 23, v7
	v_and_b32_e32 v10, 0x400000, v7
	v_and_or_b32 v7, v7, s2, v8
	v_cmp_ne_u32_e32 vcc, 0, v10
	v_cmp_ne_u32_e64 s[2:3], 0, v7
	s_and_b64 s[2:3], vcc, s[2:3]
	s_nop 0
	v_cndmask_b32_e64 v7, 0, 1, s[2:3]
	v_add_u32_e32 v9, v9, v7
; %bb.324:
	s_or_b64 exec, exec, s[6:7]
	s_mov_b64 s[6:7], -1
	s_mov_b64 s[2:3], 0
	global_store_byte v[4:5], v9, off
.LBB249_325:
	s_mov_b64 s[8:9], 0
.LBB249_326:
	s_and_b64 vcc, exec, s[8:9]
	s_cbranch_vccz .LBB249_329
; %bb.327:
	s_cmp_eq_u32 s13, 29
	s_mov_b64 s[2:3], -1
	s_cbranch_scc0 .LBB249_329
; %bb.328:
	v_trunc_f64_e32 v[8:9], v[0:1]
	s_movk_i32 s2, 0xffe0
	v_ldexp_f64 v[10:11], v[8:9], s2
	v_floor_f64_e32 v[10:11], v[10:11]
	v_fmac_f64_e32 v[8:9], 0xc1f00000, v[10:11]
	v_cvt_u32_f64_e32 v13, v[10:11]
	v_cvt_u32_f64_e32 v12, v[8:9]
	global_store_dwordx2 v[4:5], v[12:13], off
	s_mov_b64 s[6:7], -1
	s_mov_b64 s[2:3], 0
.LBB249_329:
	s_mov_b64 s[8:9], 0
.LBB249_330:
	s_and_b64 vcc, exec, s[8:9]
	s_cbranch_vccz .LBB249_346
; %bb.331:
	s_cmp_lt_i32 s13, 27
	s_mov_b64 s[6:7], -1
	s_cbranch_scc1 .LBB249_337
; %bb.332:
	s_cmp_gt_i32 s13, 27
	v_cvt_u32_f64_e32 v7, v[0:1]
	s_cbranch_scc0 .LBB249_334
; %bb.333:
	s_mov_b64 s[6:7], 0
	global_store_dword v[4:5], v7, off
.LBB249_334:
	s_andn2_b64 vcc, exec, s[6:7]
	s_cbranch_vccnz .LBB249_336
; %bb.335:
	global_store_short v[4:5], v7, off
.LBB249_336:
	s_mov_b64 s[6:7], 0
.LBB249_337:
	s_andn2_b64 vcc, exec, s[6:7]
	s_cbranch_vccnz .LBB249_345
; %bb.338:
	v_cvt_f32_f64_e32 v7, v[0:1]
	v_and_b32_e32 v8, 0x7fffffff, v7
	s_mov_b32 s6, 0x43800000
	v_cmp_gt_u32_e32 vcc, s6, v8
	v_mov_b32_e32 v9, 0x80
	s_and_saveexec_b64 s[6:7], vcc
	s_cbranch_execz .LBB249_344
; %bb.339:
	s_mov_b32 s8, 0x3bffffff
	v_cmp_lt_u32_e32 vcc, s8, v8
	s_mov_b64 s[8:9], 0
                                        ; implicit-def: $vgpr8
	s_and_saveexec_b64 s[10:11], vcc
	s_xor_b64 s[10:11], exec, s[10:11]
	s_cbranch_execz .LBB249_573
; %bb.340:
	v_bfe_u32 v8, v7, 20, 1
	s_mov_b32 s14, 0x487ffff
	v_add3_u32 v8, v7, v8, s14
	s_mov_b64 s[8:9], exec
	v_lshrrev_b32_e32 v8, 20, v8
	s_andn2_saveexec_b64 s[10:11], s[10:11]
	s_cbranch_execnz .LBB249_574
.LBB249_341:
	s_or_b64 exec, exec, s[10:11]
	v_mov_b32_e32 v9, 0
	s_and_saveexec_b64 s[10:11], s[8:9]
.LBB249_342:
	v_lshrrev_b32_e32 v7, 24, v7
	s_movk_i32 s8, 0x80
	v_and_or_b32 v9, v7, s8, v8
.LBB249_343:
	s_or_b64 exec, exec, s[10:11]
.LBB249_344:
	s_or_b64 exec, exec, s[6:7]
	global_store_byte v[4:5], v9, off
.LBB249_345:
	s_mov_b64 s[6:7], -1
.LBB249_346:
	s_mov_b64 s[8:9], 0
.LBB249_347:
	s_and_b64 vcc, exec, s[8:9]
	s_cbranch_vccz .LBB249_388
; %bb.348:
	s_cmp_gt_i32 s13, 22
	s_mov_b64 s[8:9], -1
	s_cbranch_scc0 .LBB249_380
; %bb.349:
	s_cmp_lt_i32 s13, 24
	s_mov_b64 s[6:7], -1
	s_cbranch_scc1 .LBB249_369
; %bb.350:
	s_cmp_gt_i32 s13, 24
	s_cbranch_scc0 .LBB249_358
; %bb.351:
	v_cvt_f32_f64_e32 v7, v[0:1]
	v_and_b32_e32 v8, 0x7fffffff, v7
	s_mov_b32 s6, 0x47800000
	v_cmp_gt_u32_e32 vcc, s6, v8
	v_mov_b32_e32 v9, 0x80
	s_and_saveexec_b64 s[6:7], vcc
	s_cbranch_execz .LBB249_357
; %bb.352:
	s_mov_b32 s8, 0x37ffffff
	v_cmp_lt_u32_e32 vcc, s8, v8
	s_mov_b64 s[8:9], 0
                                        ; implicit-def: $vgpr8
	s_and_saveexec_b64 s[10:11], vcc
	s_xor_b64 s[10:11], exec, s[10:11]
	s_cbranch_execz .LBB249_576
; %bb.353:
	v_bfe_u32 v8, v7, 21, 1
	s_mov_b32 s14, 0x88fffff
	v_add3_u32 v8, v7, v8, s14
	s_mov_b64 s[8:9], exec
	v_lshrrev_b32_e32 v8, 21, v8
	s_andn2_saveexec_b64 s[10:11], s[10:11]
	s_cbranch_execnz .LBB249_577
.LBB249_354:
	s_or_b64 exec, exec, s[10:11]
	v_mov_b32_e32 v9, 0
	s_and_saveexec_b64 s[10:11], s[8:9]
.LBB249_355:
	v_lshrrev_b32_e32 v7, 24, v7
	s_movk_i32 s8, 0x80
	v_and_or_b32 v9, v7, s8, v8
.LBB249_356:
	s_or_b64 exec, exec, s[10:11]
.LBB249_357:
	s_or_b64 exec, exec, s[6:7]
	s_mov_b64 s[6:7], 0
	global_store_byte v[4:5], v9, off
.LBB249_358:
	s_and_b64 vcc, exec, s[6:7]
	s_cbranch_vccz .LBB249_368
; %bb.359:
	v_cvt_f32_f64_e32 v7, v[0:1]
	v_and_b32_e32 v9, 0x7fffffff, v7
	s_mov_b32 s6, 0x43f00000
	v_cmp_gt_u32_e32 vcc, s6, v9
                                        ; implicit-def: $vgpr8
	s_and_saveexec_b64 s[6:7], vcc
	s_xor_b64 s[6:7], exec, s[6:7]
	s_cbranch_execz .LBB249_365
; %bb.360:
	s_mov_b32 s8, 0x3c7fffff
	v_cmp_lt_u32_e32 vcc, s8, v9
                                        ; implicit-def: $vgpr8
	s_and_saveexec_b64 s[8:9], vcc
	s_xor_b64 s[8:9], exec, s[8:9]
; %bb.361:
	v_bfe_u32 v8, v7, 20, 1
	s_mov_b32 s10, 0x407ffff
	v_add3_u32 v8, v7, v8, s10
	v_lshrrev_b32_e32 v9, 20, v8
	v_and_b32_e32 v8, 0xff00000, v8
	s_mov_b32 s10, 0x7f00000
	v_mov_b32_e32 v10, 0x7e
	v_cmp_ne_u32_e32 vcc, s10, v8
	s_nop 1
	v_cndmask_b32_e32 v8, v10, v9, vcc
; %bb.362:
	s_andn2_saveexec_b64 s[8:9], s[8:9]
; %bb.363:
	s_mov_b32 s10, 0x46800000
	v_add_f32_e64 v8, |v7|, s10
; %bb.364:
	s_or_b64 exec, exec, s[8:9]
                                        ; implicit-def: $vgpr9
.LBB249_365:
	s_andn2_saveexec_b64 s[6:7], s[6:7]
; %bb.366:
	s_mov_b32 s8, 0x7f800000
	v_mov_b32_e32 v8, 0x7e
	v_mov_b32_e32 v10, 0x7f
	v_cmp_lt_u32_e32 vcc, s8, v9
	s_nop 1
	v_cndmask_b32_e32 v8, v8, v10, vcc
; %bb.367:
	s_or_b64 exec, exec, s[6:7]
	v_lshrrev_b32_e32 v7, 24, v7
	s_movk_i32 s6, 0x80
	v_and_or_b32 v7, v7, s6, v8
	global_store_byte v[4:5], v7, off
.LBB249_368:
	s_mov_b64 s[6:7], 0
.LBB249_369:
	s_andn2_b64 vcc, exec, s[6:7]
	s_cbranch_vccnz .LBB249_379
; %bb.370:
	v_cvt_f32_f64_e32 v7, v[0:1]
	v_and_b32_e32 v9, 0x7fffffff, v7
	s_mov_b32 s6, 0x47800000
	v_cmp_gt_u32_e32 vcc, s6, v9
                                        ; implicit-def: $vgpr8
	s_and_saveexec_b64 s[6:7], vcc
	s_xor_b64 s[6:7], exec, s[6:7]
	s_cbranch_execz .LBB249_376
; %bb.371:
	s_mov_b32 s8, 0x387fffff
	v_cmp_lt_u32_e32 vcc, s8, v9
                                        ; implicit-def: $vgpr8
	s_and_saveexec_b64 s[8:9], vcc
	s_xor_b64 s[8:9], exec, s[8:9]
; %bb.372:
	v_bfe_u32 v8, v7, 21, 1
	s_mov_b32 s10, 0x80fffff
	v_add3_u32 v8, v7, v8, s10
	v_lshrrev_b32_e32 v8, 21, v8
; %bb.373:
	s_andn2_saveexec_b64 s[8:9], s[8:9]
; %bb.374:
	s_mov_b32 s10, 0x43000000
	v_add_f32_e64 v8, |v7|, s10
; %bb.375:
	s_or_b64 exec, exec, s[8:9]
                                        ; implicit-def: $vgpr9
.LBB249_376:
	s_andn2_saveexec_b64 s[6:7], s[6:7]
; %bb.377:
	s_mov_b32 s8, 0x7f800000
	v_mov_b32_e32 v8, 0x7c
	v_mov_b32_e32 v10, 0x7f
	v_cmp_lt_u32_e32 vcc, s8, v9
	s_nop 1
	v_cndmask_b32_e32 v8, v8, v10, vcc
; %bb.378:
	s_or_b64 exec, exec, s[6:7]
	v_lshrrev_b32_e32 v7, 24, v7
	s_movk_i32 s6, 0x80
	v_and_or_b32 v7, v7, s6, v8
	global_store_byte v[4:5], v7, off
.LBB249_379:
	s_mov_b64 s[8:9], 0
	s_mov_b64 s[6:7], -1
.LBB249_380:
	s_andn2_b64 vcc, exec, s[8:9]
	s_cbranch_vccnz .LBB249_388
; %bb.381:
	s_cmp_gt_i32 s13, 14
	s_mov_b64 s[8:9], -1
	s_cbranch_scc0 .LBB249_385
; %bb.382:
	s_cmp_eq_u32 s13, 15
	s_mov_b64 s[2:3], -1
	s_cbranch_scc0 .LBB249_384
; %bb.383:
	v_cvt_f32_f64_e32 v7, v[0:1]
	v_bfe_u32 v8, v7, 16, 1
	s_movk_i32 s2, 0x7fff
	v_add3_u32 v8, v7, v8, s2
	v_cmp_o_f32_e32 vcc, v7, v7
	v_mov_b32_e32 v7, 0x7fc0
	s_mov_b64 s[6:7], -1
	v_cndmask_b32_sdwa v7, v7, v8, vcc dst_sel:DWORD dst_unused:UNUSED_PAD src0_sel:DWORD src1_sel:WORD_1
	global_store_short v[4:5], v7, off
	s_mov_b64 s[2:3], 0
.LBB249_384:
	s_mov_b64 s[8:9], 0
.LBB249_385:
	s_and_b64 vcc, exec, s[8:9]
	s_cbranch_vccz .LBB249_388
; %bb.386:
	s_cmp_eq_u32 s13, 11
	s_mov_b64 s[2:3], -1
	s_cbranch_scc0 .LBB249_388
; %bb.387:
	v_cmp_neq_f64_e32 vcc, 0, v[2:3]
	s_mov_b64 s[2:3], 0
	s_mov_b64 s[6:7], -1
	v_cndmask_b32_e64 v2, 0, 1, vcc
	global_store_byte v[4:5], v2, off
.LBB249_388:
	s_mov_b64 s[8:9], 0
.LBB249_389:
	s_and_b64 vcc, exec, s[8:9]
	s_cbranch_vccz .LBB249_428
; %bb.390:
	s_and_b32 s8, 0xffff, s12
	s_cmp_lt_i32 s8, 5
	s_mov_b64 s[6:7], -1
	s_cbranch_scc1 .LBB249_411
; %bb.391:
	s_cmp_lt_i32 s8, 8
	s_cbranch_scc1 .LBB249_401
; %bb.392:
	s_cmp_lt_i32 s8, 9
	s_cbranch_scc1 .LBB249_398
; %bb.393:
	s_cmp_gt_i32 s8, 9
	s_cbranch_scc0 .LBB249_395
; %bb.394:
	v_mov_b32_e32 v2, 0
	v_mov_b32_e32 v3, v2
	s_mov_b64 s[6:7], 0
	global_store_dwordx4 v[4:5], v[0:3], off
.LBB249_395:
	s_andn2_b64 vcc, exec, s[6:7]
	s_cbranch_vccnz .LBB249_397
; %bb.396:
	v_cvt_f32_f64_e32 v2, v[0:1]
	v_mov_b32_e32 v3, 0
	global_store_dwordx2 v[4:5], v[2:3], off
.LBB249_397:
	s_mov_b64 s[6:7], 0
.LBB249_398:
	s_andn2_b64 vcc, exec, s[6:7]
	s_cbranch_vccnz .LBB249_400
; %bb.399:
	s_movk_i32 s6, 0x1ff
	v_and_or_b32 v2, v1, s6, v0
	v_cmp_ne_u32_e32 vcc, 0, v2
	v_lshrrev_b32_e32 v3, 8, v1
	s_movk_i32 s6, 0xffe
	v_cndmask_b32_e64 v2, 0, 1, vcc
	v_bfe_u32 v7, v1, 20, 11
	v_and_or_b32 v2, v3, s6, v2
	v_sub_u32_e32 v8, 0x3f1, v7
	v_or_b32_e32 v3, 0x1000, v2
	v_med3_i32 v8, v8, 0, 13
	v_lshrrev_b32_e32 v9, v8, v3
	v_lshlrev_b32_e32 v8, v8, v9
	v_cmp_ne_u32_e32 vcc, v8, v3
	v_add_u32_e32 v7, 0xfffffc10, v7
	v_lshl_or_b32 v8, v7, 12, v2
	v_cndmask_b32_e64 v3, 0, 1, vcc
	v_or_b32_e32 v3, v9, v3
	v_cmp_gt_i32_e32 vcc, 1, v7
	s_movk_i32 s6, 0x40f
	s_nop 0
	v_cndmask_b32_e32 v3, v8, v3, vcc
	v_and_b32_e32 v8, 7, v3
	v_cmp_lt_i32_e32 vcc, 5, v8
	v_lshrrev_b32_e32 v3, 2, v3
	s_nop 0
	v_cndmask_b32_e64 v9, 0, 1, vcc
	v_cmp_eq_u32_e32 vcc, 3, v8
	s_nop 1
	v_cndmask_b32_e64 v8, 0, 1, vcc
	v_or_b32_e32 v8, v8, v9
	v_add_u32_e32 v3, v3, v8
	v_mov_b32_e32 v8, 0x7c00
	v_cmp_gt_i32_e32 vcc, 31, v7
	v_mov_b32_e32 v9, 0x7e00
	s_nop 0
	v_cndmask_b32_e32 v3, v8, v3, vcc
	v_cmp_ne_u32_e32 vcc, 0, v2
	s_nop 1
	v_cndmask_b32_e32 v2, v8, v9, vcc
	v_cmp_eq_u32_e32 vcc, s6, v7
	s_mov_b32 s6, 0x8000
	s_nop 0
	v_cndmask_b32_e32 v2, v3, v2, vcc
	v_and_b32_sdwa v3, v1, s6 dst_sel:DWORD dst_unused:UNUSED_PAD src0_sel:WORD_1 src1_sel:DWORD
	s_mov_b32 s6, 0xffff
	v_bitop3_b32 v2, v3, s6, v2 bitop3:0xc8
	global_store_dword v[4:5], v2, off
.LBB249_400:
	s_mov_b64 s[6:7], 0
.LBB249_401:
	s_andn2_b64 vcc, exec, s[6:7]
	s_cbranch_vccnz .LBB249_410
; %bb.402:
	s_cmp_lt_i32 s8, 6
	s_mov_b64 s[6:7], -1
	s_cbranch_scc1 .LBB249_408
; %bb.403:
	s_cmp_gt_i32 s8, 6
	s_cbranch_scc0 .LBB249_405
; %bb.404:
	s_mov_b64 s[6:7], 0
	global_store_dwordx2 v[4:5], v[0:1], off
.LBB249_405:
	s_andn2_b64 vcc, exec, s[6:7]
	s_cbranch_vccnz .LBB249_407
; %bb.406:
	v_cvt_f32_f64_e32 v2, v[0:1]
	global_store_dword v[4:5], v2, off
.LBB249_407:
	s_mov_b64 s[6:7], 0
.LBB249_408:
	s_andn2_b64 vcc, exec, s[6:7]
	s_cbranch_vccnz .LBB249_410
; %bb.409:
	s_movk_i32 s6, 0x1ff
	v_and_or_b32 v2, v1, s6, v0
	v_cmp_ne_u32_e32 vcc, 0, v2
	v_lshrrev_b32_e32 v3, 8, v1
	s_movk_i32 s6, 0xffe
	v_cndmask_b32_e64 v2, 0, 1, vcc
	v_bfe_u32 v7, v1, 20, 11
	v_and_or_b32 v2, v3, s6, v2
	v_sub_u32_e32 v8, 0x3f1, v7
	v_or_b32_e32 v3, 0x1000, v2
	v_med3_i32 v8, v8, 0, 13
	v_lshrrev_b32_e32 v9, v8, v3
	v_lshlrev_b32_e32 v8, v8, v9
	v_cmp_ne_u32_e32 vcc, v8, v3
	v_add_u32_e32 v7, 0xfffffc10, v7
	v_lshl_or_b32 v8, v7, 12, v2
	v_cndmask_b32_e64 v3, 0, 1, vcc
	v_or_b32_e32 v3, v9, v3
	v_cmp_gt_i32_e32 vcc, 1, v7
	s_movk_i32 s6, 0x40f
	s_nop 0
	v_cndmask_b32_e32 v3, v8, v3, vcc
	v_and_b32_e32 v8, 7, v3
	v_cmp_lt_i32_e32 vcc, 5, v8
	v_lshrrev_b32_e32 v3, 2, v3
	s_nop 0
	v_cndmask_b32_e64 v9, 0, 1, vcc
	v_cmp_eq_u32_e32 vcc, 3, v8
	s_nop 1
	v_cndmask_b32_e64 v8, 0, 1, vcc
	v_or_b32_e32 v8, v8, v9
	v_add_u32_e32 v3, v3, v8
	v_mov_b32_e32 v8, 0x7c00
	v_cmp_gt_i32_e32 vcc, 31, v7
	v_mov_b32_e32 v9, 0x7e00
	s_nop 0
	v_cndmask_b32_e32 v3, v8, v3, vcc
	v_cmp_ne_u32_e32 vcc, 0, v2
	s_nop 1
	v_cndmask_b32_e32 v2, v8, v9, vcc
	v_cmp_eq_u32_e32 vcc, s6, v7
	s_mov_b32 s6, 0x8000
	s_nop 0
	v_cndmask_b32_e32 v2, v3, v2, vcc
	v_lshrrev_b32_e32 v3, 16, v1
	v_and_or_b32 v2, v3, s6, v2
	global_store_short v[4:5], v2, off
.LBB249_410:
	s_mov_b64 s[6:7], 0
.LBB249_411:
	s_andn2_b64 vcc, exec, s[6:7]
	s_cbranch_vccnz .LBB249_427
; %bb.412:
	s_cmp_lt_i32 s8, 2
	s_mov_b64 s[6:7], -1
	s_cbranch_scc1 .LBB249_422
; %bb.413:
	s_cmp_lt_i32 s8, 3
	s_cbranch_scc1 .LBB249_419
; %bb.414:
	s_cmp_gt_i32 s8, 3
	s_cbranch_scc0 .LBB249_416
; %bb.415:
	v_trunc_f64_e32 v[2:3], v[0:1]
	s_movk_i32 s6, 0xffe0
	v_ldexp_f64 v[8:9], v[2:3], s6
	v_floor_f64_e32 v[8:9], v[8:9]
	v_fmac_f64_e32 v[2:3], 0xc1f00000, v[8:9]
	v_cvt_i32_f64_e32 v11, v[8:9]
	v_cvt_u32_f64_e32 v10, v[2:3]
	s_mov_b64 s[6:7], 0
	global_store_dwordx2 v[4:5], v[10:11], off
.LBB249_416:
	s_andn2_b64 vcc, exec, s[6:7]
	s_cbranch_vccnz .LBB249_418
; %bb.417:
	v_cvt_i32_f64_e32 v2, v[0:1]
	global_store_dword v[4:5], v2, off
.LBB249_418:
	s_mov_b64 s[6:7], 0
.LBB249_419:
	s_andn2_b64 vcc, exec, s[6:7]
	s_cbranch_vccnz .LBB249_421
; %bb.420:
	v_cvt_i32_f64_e32 v2, v[0:1]
	global_store_short v[4:5], v2, off
.LBB249_421:
	s_mov_b64 s[6:7], 0
.LBB249_422:
	s_andn2_b64 vcc, exec, s[6:7]
	s_cbranch_vccnz .LBB249_427
; %bb.423:
	s_cmp_gt_i32 s8, 0
	s_mov_b64 s[6:7], -1
	s_cbranch_scc0 .LBB249_425
; %bb.424:
	v_cvt_i32_f64_e32 v2, v[0:1]
	s_mov_b64 s[6:7], 0
	global_store_byte v[4:5], v2, off
.LBB249_425:
	s_andn2_b64 vcc, exec, s[6:7]
	s_cbranch_vccnz .LBB249_427
; %bb.426:
	v_trunc_f64_e32 v[0:1], v[0:1]
	s_movk_i32 s6, 0xffe0
	v_ldexp_f64 v[2:3], v[0:1], s6
	v_floor_f64_e32 v[2:3], v[2:3]
	v_fmac_f64_e32 v[0:1], 0xc1f00000, v[2:3]
	v_cvt_u32_f64_e32 v0, v[0:1]
	global_store_byte v[4:5], v0, off
.LBB249_427:
	s_mov_b64 s[6:7], -1
.LBB249_428:
	s_andn2_b64 vcc, exec, s[6:7]
	s_cbranch_vccnz .LBB249_430
; %bb.429:
	v_add_u32_e32 v6, 0x80, v6
	s_mov_b64 s[6:7], -1
	s_branch .LBB249_543
.LBB249_430:
	s_mov_b64 s[6:7], 0
	s_branch .LBB249_542
.LBB249_431:
	s_mov_b64 s[4:5], -1
                                        ; implicit-def: $vgpr2_vgpr3
.LBB249_432:
	s_mov_b64 s[6:7], 0
.LBB249_433:
	s_and_b64 vcc, exec, s[6:7]
	s_cbranch_vccz .LBB249_437
; %bb.434:
	s_cmp_eq_u32 s10, 29
	s_cbranch_scc0 .LBB249_436
; %bb.435:
	global_load_dwordx2 v[2:3], v[0:1], off
	s_mov_b64 s[2:3], -1
	s_mov_b64 s[4:5], 0
	s_mov_b64 s[6:7], 0
	s_waitcnt vmcnt(0)
	v_cvt_f64_u32_e32 v[8:9], v3
	v_cvt_f64_u32_e32 v[2:3], v2
	v_ldexp_f64 v[8:9], v[8:9], 32
	v_add_f64 v[2:3], v[8:9], v[2:3]
	s_branch .LBB249_438
.LBB249_436:
	s_mov_b64 s[4:5], -1
                                        ; implicit-def: $vgpr2_vgpr3
.LBB249_437:
	s_mov_b64 s[6:7], 0
.LBB249_438:
	s_and_b64 vcc, exec, s[6:7]
	s_cbranch_vccz .LBB249_458
; %bb.439:
	s_cmp_lt_i32 s10, 27
	s_cbranch_scc1 .LBB249_442
; %bb.440:
	s_cmp_gt_i32 s10, 27
	s_cbranch_scc0 .LBB249_443
; %bb.441:
	global_load_dword v2, v[0:1], off
	s_mov_b64 s[2:3], 0
	s_waitcnt vmcnt(0)
	v_cvt_f64_u32_e32 v[2:3], v2
	s_branch .LBB249_444
.LBB249_442:
	s_mov_b64 s[2:3], -1
                                        ; implicit-def: $vgpr2_vgpr3
	s_branch .LBB249_447
.LBB249_443:
	s_mov_b64 s[2:3], -1
                                        ; implicit-def: $vgpr2_vgpr3
.LBB249_444:
	s_andn2_b64 vcc, exec, s[2:3]
	s_cbranch_vccnz .LBB249_446
; %bb.445:
	global_load_ushort v2, v[0:1], off
	s_waitcnt vmcnt(0)
	v_cvt_f64_u32_e32 v[2:3], v2
.LBB249_446:
	s_mov_b64 s[2:3], 0
.LBB249_447:
	s_andn2_b64 vcc, exec, s[2:3]
	s_cbranch_vccnz .LBB249_457
; %bb.448:
	global_load_ubyte v5, v[0:1], off
	s_movk_i32 s2, 0x7f
	s_waitcnt vmcnt(0)
	v_cmp_lt_i16_e32 vcc, s2, v5
	s_mov_b64 s[2:3], 0
	s_and_saveexec_b64 s[6:7], vcc
	s_xor_b64 s[6:7], exec, s[6:7]
	s_cbranch_execz .LBB249_452
; %bb.449:
	s_movk_i32 s2, 0x80
	v_cmp_eq_u16_e32 vcc, s2, v5
	s_mov_b64 s[2:3], -1
	s_and_saveexec_b64 s[8:9], vcc
; %bb.450:
	s_xor_b64 s[2:3], exec, -1
; %bb.451:
	s_or_b64 exec, exec, s[8:9]
	s_and_b64 s[2:3], s[2:3], exec
.LBB249_452:
	s_or_saveexec_b64 s[6:7], s[6:7]
	v_bfrev_b32_e32 v2, 4
	v_mov_b32_e32 v3, 0x7ff80000
	s_xor_b64 exec, exec, s[6:7]
; %bb.453:
	v_cmp_ne_u16_e32 vcc, 0, v5
	s_andn2_b64 s[2:3], s[2:3], exec
	s_and_b64 s[8:9], vcc, exec
	v_mov_b64_e32 v[2:3], 0
	s_or_b64 s[2:3], s[2:3], s[8:9]
; %bb.454:
	s_or_b64 exec, exec, s[6:7]
	s_and_saveexec_b64 s[6:7], s[2:3]
	s_cbranch_execz .LBB249_456
; %bb.455:
	v_and_b32_e32 v3, 0xffff, v5
	v_lshlrev_b32_e32 v2, 24, v5
	v_and_b32_e32 v5, 7, v3
	v_ffbh_u32_e32 v8, v5
	v_min_u32_e32 v8, 32, v8
	v_subrev_u32_e32 v9, 28, v8
	v_bfe_u32 v7, v3, 3, 4
	v_lshlrev_b32_e32 v3, v9, v3
	v_sub_u32_e32 v8, 29, v8
	v_and_b32_e32 v3, 7, v3
	v_cmp_eq_u32_e32 vcc, 0, v7
	v_and_b32_e32 v2, 0x80000000, v2
	s_nop 0
	v_cndmask_b32_e32 v7, v7, v8, vcc
	v_cndmask_b32_e32 v3, v5, v3, vcc
	v_mov_b32_e32 v5, 0x3b800000
	v_lshlrev_b32_e32 v3, 20, v3
	v_lshl_add_u32 v5, v7, 23, v5
	v_or3_b32 v2, v2, v5, v3
	v_cvt_f64_f32_e32 v[2:3], v2
.LBB249_456:
	s_or_b64 exec, exec, s[6:7]
.LBB249_457:
	s_mov_b64 s[2:3], -1
.LBB249_458:
	s_mov_b64 s[6:7], 0
.LBB249_459:
	s_and_b64 vcc, exec, s[6:7]
	s_cbranch_vccz .LBB249_492
; %bb.460:
	s_cmp_gt_i32 s10, 22
	s_cbranch_scc0 .LBB249_472
; %bb.461:
	s_cmp_lt_i32 s10, 24
	s_cbranch_scc1 .LBB249_473
; %bb.462:
	s_cmp_gt_i32 s10, 24
	s_cbranch_scc0 .LBB249_474
; %bb.463:
	global_load_ubyte v5, v[0:1], off
	s_movk_i32 s2, 0x7f
	s_waitcnt vmcnt(0)
	v_cmp_lt_i16_e32 vcc, s2, v5
	s_mov_b64 s[2:3], 0
	s_and_saveexec_b64 s[6:7], vcc
	s_xor_b64 s[6:7], exec, s[6:7]
	s_cbranch_execz .LBB249_467
; %bb.464:
	s_movk_i32 s2, 0x80
	v_cmp_eq_u16_e32 vcc, s2, v5
	s_mov_b64 s[2:3], -1
	s_and_saveexec_b64 s[8:9], vcc
; %bb.465:
	s_xor_b64 s[2:3], exec, -1
; %bb.466:
	s_or_b64 exec, exec, s[8:9]
	s_and_b64 s[2:3], s[2:3], exec
.LBB249_467:
	s_or_saveexec_b64 s[6:7], s[6:7]
	v_bfrev_b32_e32 v2, 4
	v_mov_b32_e32 v3, 0x7ff80000
	s_xor_b64 exec, exec, s[6:7]
; %bb.468:
	v_cmp_ne_u16_e32 vcc, 0, v5
	s_andn2_b64 s[2:3], s[2:3], exec
	s_and_b64 s[8:9], vcc, exec
	v_mov_b64_e32 v[2:3], 0
	s_or_b64 s[2:3], s[2:3], s[8:9]
; %bb.469:
	s_or_b64 exec, exec, s[6:7]
	s_and_saveexec_b64 s[6:7], s[2:3]
	s_cbranch_execz .LBB249_471
; %bb.470:
	v_and_b32_e32 v3, 0xffff, v5
	v_lshlrev_b32_e32 v2, 24, v5
	v_and_b32_e32 v5, 3, v3
	v_ffbh_u32_e32 v8, v5
	v_min_u32_e32 v8, 32, v8
	v_subrev_u32_e32 v9, 29, v8
	v_bfe_u32 v7, v3, 2, 5
	v_lshlrev_b32_e32 v3, v9, v3
	v_sub_u32_e32 v8, 30, v8
	v_and_b32_e32 v3, 3, v3
	v_cmp_eq_u32_e32 vcc, 0, v7
	v_and_b32_e32 v2, 0x80000000, v2
	s_nop 0
	v_cndmask_b32_e32 v7, v7, v8, vcc
	v_cndmask_b32_e32 v3, v5, v3, vcc
	v_mov_b32_e32 v5, 0x37800000
	v_lshlrev_b32_e32 v3, 21, v3
	v_lshl_add_u32 v5, v7, 23, v5
	v_or3_b32 v2, v2, v5, v3
	v_cvt_f64_f32_e32 v[2:3], v2
.LBB249_471:
	s_or_b64 exec, exec, s[6:7]
	s_mov_b64 s[2:3], 0
	s_branch .LBB249_475
.LBB249_472:
	s_mov_b64 s[6:7], -1
                                        ; implicit-def: $vgpr2_vgpr3
	s_branch .LBB249_481
.LBB249_473:
	s_mov_b64 s[2:3], -1
                                        ; implicit-def: $vgpr2_vgpr3
	s_branch .LBB249_478
.LBB249_474:
	s_mov_b64 s[2:3], -1
                                        ; implicit-def: $vgpr2_vgpr3
.LBB249_475:
	s_and_b64 vcc, exec, s[2:3]
	s_cbranch_vccz .LBB249_477
; %bb.476:
	global_load_ubyte v2, v[0:1], off
	s_mov_b32 s2, 0x7f800000
	s_waitcnt vmcnt(0)
	v_lshlrev_b32_e32 v2, 24, v2
	v_and_b32_e32 v3, 0x7f000000, v2
	v_ffbh_u32_e32 v5, v3
	v_min_u32_e32 v5, 32, v5
	v_sub_u32_e64 v5, v5, 4 clamp
	v_lshlrev_b32_e32 v8, v5, v3
	v_lshlrev_b32_e32 v5, 23, v5
	v_lshrrev_b32_e32 v8, 4, v8
	v_add_u32_e32 v7, 0x1000000, v3
	v_sub_u32_e32 v5, v8, v5
	v_ashrrev_i32_e32 v7, 8, v7
	v_add_u32_e32 v5, 0x3c000000, v5
	v_and_or_b32 v5, v7, s2, v5
	v_cmp_ne_u32_e32 vcc, 0, v3
	s_brev_b32 s2, 1
	s_nop 0
	v_cndmask_b32_e32 v3, 0, v5, vcc
	v_and_or_b32 v2, v2, s2, v3
	v_cvt_f64_f32_e32 v[2:3], v2
.LBB249_477:
	s_mov_b64 s[2:3], 0
.LBB249_478:
	s_andn2_b64 vcc, exec, s[2:3]
	s_cbranch_vccnz .LBB249_480
; %bb.479:
	global_load_ubyte v2, v[0:1], off
	s_movk_i32 s2, 0x7f00
	s_brev_b32 s3, 16
	s_waitcnt vmcnt(0)
	v_lshlrev_b16_e32 v3, 8, v2
	v_lshlrev_b32_e32 v2, 25, v2
	v_lshrrev_b32_e32 v5, 4, v2
	v_and_or_b32 v7, v3, s2, 0.5
	v_or_b32_e32 v5, 0x70000000, v5
	v_add_f32_e32 v7, -0.5, v7
	v_mul_f32_e32 v5, 0x7800000, v5
	v_cmp_gt_u32_e32 vcc, s3, v2
	v_bfe_i32 v3, v3, 0, 16
	s_brev_b32 s2, 1
	v_cndmask_b32_e32 v2, v5, v7, vcc
	v_and_or_b32 v2, v3, s2, v2
	v_cvt_f64_f32_e32 v[2:3], v2
.LBB249_480:
	s_mov_b64 s[6:7], 0
	s_mov_b64 s[2:3], -1
.LBB249_481:
	s_andn2_b64 vcc, exec, s[6:7]
	s_cbranch_vccnz .LBB249_492
; %bb.482:
	s_cmp_gt_i32 s10, 14
	s_cbranch_scc0 .LBB249_485
; %bb.483:
	s_cmp_eq_u32 s10, 15
	s_cbranch_scc0 .LBB249_486
; %bb.484:
	global_load_ushort v2, v[0:1], off
	s_mov_b64 s[2:3], -1
	s_mov_b64 s[4:5], 0
	s_waitcnt vmcnt(0)
	v_lshlrev_b32_e32 v2, 16, v2
	v_cvt_f64_f32_e32 v[2:3], v2
	s_branch .LBB249_487
.LBB249_485:
	s_mov_b64 s[6:7], -1
                                        ; implicit-def: $vgpr2_vgpr3
	s_branch .LBB249_488
.LBB249_486:
	s_mov_b64 s[4:5], -1
                                        ; implicit-def: $vgpr2_vgpr3
.LBB249_487:
	s_mov_b64 s[6:7], 0
.LBB249_488:
	s_and_b64 vcc, exec, s[6:7]
	s_cbranch_vccz .LBB249_492
; %bb.489:
	s_cmp_eq_u32 s10, 11
	s_cbranch_scc0 .LBB249_491
; %bb.490:
	global_load_ubyte v3, v[0:1], off
	v_mov_b32_e32 v5, 0x3ff00000
	s_waitcnt vmcnt(1)
	v_mov_b32_e32 v2, 0
	s_mov_b64 s[2:3], -1
	s_mov_b64 s[4:5], 0
	s_waitcnt vmcnt(0)
	v_cmp_ne_u16_e32 vcc, 0, v3
	s_nop 1
	v_cndmask_b32_e32 v3, 0, v5, vcc
	s_branch .LBB249_492
.LBB249_491:
	s_mov_b64 s[4:5], -1
                                        ; implicit-def: $vgpr2_vgpr3
.LBB249_492:
	s_branch .LBB249_295
.LBB249_493:
	s_cmp_lt_i32 s10, 5
	s_cbranch_scc1 .LBB249_498
; %bb.494:
	s_cmp_lt_i32 s10, 8
	s_cbranch_scc1 .LBB249_499
; %bb.495:
	;; [unrolled: 3-line block ×3, first 2 shown]
	s_cmp_gt_i32 s10, 9
	s_cbranch_scc0 .LBB249_501
; %bb.497:
	global_load_dwordx2 v[2:3], v[0:1], off
	s_mov_b64 s[2:3], 0
	s_branch .LBB249_502
.LBB249_498:
	s_mov_b64 s[2:3], -1
                                        ; implicit-def: $vgpr2_vgpr3
	s_branch .LBB249_520
.LBB249_499:
	s_mov_b64 s[2:3], -1
                                        ; implicit-def: $vgpr2_vgpr3
	s_branch .LBB249_508
.LBB249_500:
	s_mov_b64 s[2:3], -1
                                        ; implicit-def: $vgpr2_vgpr3
	s_branch .LBB249_505
.LBB249_501:
	s_mov_b64 s[2:3], -1
                                        ; implicit-def: $vgpr2_vgpr3
.LBB249_502:
	s_andn2_b64 vcc, exec, s[2:3]
	s_cbranch_vccnz .LBB249_504
; %bb.503:
	global_load_dword v2, v[0:1], off
	s_waitcnt vmcnt(0)
	v_cvt_f64_f32_e32 v[2:3], v2
.LBB249_504:
	s_mov_b64 s[2:3], 0
.LBB249_505:
	s_andn2_b64 vcc, exec, s[2:3]
	s_cbranch_vccnz .LBB249_507
; %bb.506:
	global_load_dword v2, v[0:1], off
	s_waitcnt vmcnt(0)
	v_cvt_f32_f16_e32 v2, v2
	v_cvt_f64_f32_e32 v[2:3], v2
.LBB249_507:
	s_mov_b64 s[2:3], 0
.LBB249_508:
	s_andn2_b64 vcc, exec, s[2:3]
	s_cbranch_vccnz .LBB249_519
; %bb.509:
	s_cmp_lt_i32 s10, 6
	s_cbranch_scc1 .LBB249_512
; %bb.510:
	s_cmp_gt_i32 s10, 6
	s_cbranch_scc0 .LBB249_513
; %bb.511:
	global_load_dwordx2 v[2:3], v[0:1], off
	s_mov_b64 s[2:3], 0
	s_branch .LBB249_514
.LBB249_512:
	s_mov_b64 s[2:3], -1
                                        ; implicit-def: $vgpr2_vgpr3
	s_branch .LBB249_517
.LBB249_513:
	s_mov_b64 s[2:3], -1
                                        ; implicit-def: $vgpr2_vgpr3
.LBB249_514:
	s_andn2_b64 vcc, exec, s[2:3]
	s_cbranch_vccnz .LBB249_516
; %bb.515:
	global_load_dword v2, v[0:1], off
	s_waitcnt vmcnt(0)
	v_cvt_f64_f32_e32 v[2:3], v2
.LBB249_516:
	s_mov_b64 s[2:3], 0
.LBB249_517:
	s_andn2_b64 vcc, exec, s[2:3]
	s_cbranch_vccnz .LBB249_519
; %bb.518:
	global_load_ushort v2, v[0:1], off
	s_waitcnt vmcnt(0)
	v_cvt_f32_f16_e32 v2, v2
	v_cvt_f64_f32_e32 v[2:3], v2
.LBB249_519:
	s_mov_b64 s[2:3], 0
.LBB249_520:
	s_andn2_b64 vcc, exec, s[2:3]
	s_cbranch_vccnz .LBB249_540
; %bb.521:
	s_cmp_lt_i32 s10, 2
	s_cbranch_scc1 .LBB249_525
; %bb.522:
	s_cmp_lt_i32 s10, 3
	s_cbranch_scc1 .LBB249_526
; %bb.523:
	s_cmp_gt_i32 s10, 3
	s_cbranch_scc0 .LBB249_527
; %bb.524:
	global_load_dwordx2 v[2:3], v[0:1], off
	s_mov_b64 s[2:3], 0
	s_waitcnt vmcnt(0)
	v_cvt_f64_i32_e32 v[8:9], v3
	v_cvt_f64_u32_e32 v[2:3], v2
	v_ldexp_f64 v[8:9], v[8:9], 32
	v_add_f64 v[2:3], v[8:9], v[2:3]
	s_branch .LBB249_528
.LBB249_525:
	s_mov_b64 s[2:3], -1
                                        ; implicit-def: $vgpr2_vgpr3
	s_branch .LBB249_534
.LBB249_526:
	s_mov_b64 s[2:3], -1
                                        ; implicit-def: $vgpr2_vgpr3
	s_branch .LBB249_531
.LBB249_527:
	s_mov_b64 s[2:3], -1
                                        ; implicit-def: $vgpr2_vgpr3
.LBB249_528:
	s_andn2_b64 vcc, exec, s[2:3]
	s_cbranch_vccnz .LBB249_530
; %bb.529:
	global_load_dword v2, v[0:1], off
	s_waitcnt vmcnt(0)
	v_cvt_f64_i32_e32 v[2:3], v2
.LBB249_530:
	s_mov_b64 s[2:3], 0
.LBB249_531:
	s_andn2_b64 vcc, exec, s[2:3]
	s_cbranch_vccnz .LBB249_533
; %bb.532:
	global_load_sshort v2, v[0:1], off
	s_waitcnt vmcnt(0)
	v_cvt_f64_i32_e32 v[2:3], v2
.LBB249_533:
	s_mov_b64 s[2:3], 0
.LBB249_534:
	s_andn2_b64 vcc, exec, s[2:3]
	s_cbranch_vccnz .LBB249_540
; %bb.535:
	s_cmp_gt_i32 s10, 0
	s_cbranch_scc0 .LBB249_537
; %bb.536:
	global_load_sbyte v2, v[0:1], off
	s_mov_b64 s[2:3], 0
	s_waitcnt vmcnt(0)
	v_cvt_f64_i32_e32 v[2:3], v2
	s_branch .LBB249_538
.LBB249_537:
	s_mov_b64 s[2:3], -1
                                        ; implicit-def: $vgpr2_vgpr3
.LBB249_538:
	s_andn2_b64 vcc, exec, s[2:3]
	s_cbranch_vccnz .LBB249_540
; %bb.539:
	global_load_ubyte v0, v[0:1], off
	s_waitcnt vmcnt(0)
	v_cvt_f64_u32_e32 v[2:3], v0
.LBB249_540:
	s_branch .LBB249_296
.LBB249_541:
	s_mov_b64 s[6:7], 0
	s_mov_b64 s[2:3], s[54:55]
.LBB249_542:
                                        ; implicit-def: $vgpr6
.LBB249_543:
	s_andn2_b64 s[8:9], s[54:55], exec
	s_and_b64 s[2:3], s[2:3], exec
	s_or_b64 s[62:63], s[8:9], s[2:3]
	s_andn2_b64 s[2:3], s[56:57], exec
	s_and_b64 s[4:5], s[4:5], exec
	s_or_b64 s[60:61], s[2:3], s[4:5]
	s_orn2_b64 s[2:3], s[6:7], exec
.LBB249_544:
	s_or_b64 exec, exec, s[64:65]
	s_mov_b64 s[4:5], 0
	s_mov_b64 s[6:7], 0
	;; [unrolled: 1-line block ×3, first 2 shown]
                                        ; implicit-def: $vgpr0_vgpr1
                                        ; implicit-def: $vgpr4
                                        ; implicit-def: $vgpr2_vgpr3
	s_and_saveexec_b64 s[64:65], s[2:3]
	s_cbranch_execz .LBB249_921
; %bb.545:
	v_cmp_gt_i32_e32 vcc, s70, v6
	s_mov_b64 s[6:7], -1
	s_mov_b64 s[2:3], s[60:61]
	s_mov_b64 s[68:69], s[62:63]
	s_and_saveexec_b64 s[66:67], vcc
	s_cbranch_execz .LBB249_820
; %bb.546:
	s_andn2_b64 vcc, exec, s[42:43]
	s_cbranch_vccnz .LBB249_552
; %bb.547:
	s_andn2_b64 vcc, exec, s[52:53]
	s_cbranch_vccnz .LBB249_553
; %bb.548:
	s_add_i32 s76, s75, 1
	s_cmp_eq_u32 s72, 2
	s_cbranch_scc1 .LBB249_554
; %bb.549:
	s_and_b32 s71, s76, 28
	s_mov_b32 s77, 0
	v_mov_b32_e32 v4, 0
	v_mov_b32_e32 v0, 0
	s_mov_b64 s[2:3], s[34:35]
	s_mov_b64 s[68:69], s[50:51]
	s_waitcnt vmcnt(0)
	v_mov_b32_e32 v2, v6
.LBB249_550:                            ; =>This Inner Loop Header: Depth=1
	s_load_dwordx8 s[12:19], s[2:3], 0x4
	s_load_dwordx4 s[36:39], s[2:3], 0x24
	s_load_dwordx8 s[4:11], s[68:69], 0x0
	s_add_u32 s2, s2, 48
	s_addc_u32 s3, s3, 0
	s_waitcnt lgkmcnt(0)
	v_mul_hi_u32 v1, s13, v2
	v_add_u32_e32 v1, v2, v1
	v_lshrrev_b32_e32 v1, s14, v1
	v_mul_lo_u32 v3, v1, s12
	v_mul_hi_u32 v5, s16, v1
	v_sub_u32_e32 v2, v2, v3
	v_add_u32_e32 v3, v1, v5
	v_lshrrev_b32_e32 v3, s17, v3
	v_mul_lo_u32 v7, v3, s15
	v_mul_hi_u32 v8, s19, v3
	v_sub_u32_e32 v1, v1, v7
	v_add_u32_e32 v7, v3, v8
	v_mul_lo_u32 v5, v2, s5
	v_mul_lo_u32 v2, v2, s4
	;; [unrolled: 1-line block ×4, first 2 shown]
	v_lshrrev_b32_e32 v7, s36, v7
	v_add3_u32 v1, v2, v4, v1
	v_mul_lo_u32 v2, v7, s18
	v_mul_hi_u32 v4, s38, v7
	v_sub_u32_e32 v2, v3, v2
	v_add_u32_e32 v3, v7, v4
	v_add3_u32 v0, v5, v0, v8
	v_mul_lo_u32 v4, v2, s8
	v_mul_lo_u32 v5, v2, s9
	v_lshrrev_b32_e32 v2, s39, v3
	s_add_i32 s77, s77, 4
	v_mul_lo_u32 v3, v2, s37
	s_add_u32 s68, s68, 32
	v_sub_u32_e32 v3, v7, v3
	s_addc_u32 s69, s69, 0
	v_mul_lo_u32 v7, v3, s10
	v_mul_lo_u32 v3, v3, s11
	s_cmp_eq_u32 s71, s77
	v_add3_u32 v0, v5, v0, v3
	v_add3_u32 v4, v4, v1, v7
	s_cbranch_scc0 .LBB249_550
; %bb.551:
	v_mov_b32_e32 v1, v0
	s_branch .LBB249_555
.LBB249_552:
	s_mov_b64 s[2:3], -1
                                        ; implicit-def: $vgpr0
                                        ; implicit-def: $vgpr4
	s_branch .LBB249_559
.LBB249_553:
	v_mov_b32_e32 v0, 0
	v_mov_b32_e32 v4, 0
	s_branch .LBB249_558
.LBB249_554:
	v_mov_b32_e32 v4, 0
	s_mov_b32 s71, 0
	v_mov_b32_e32 v1, v4
                                        ; implicit-def: $vgpr0
	s_waitcnt vmcnt(0)
	v_mov_b32_e32 v2, v6
.LBB249_555:
	s_and_b32 s6, s76, 3
	s_cmp_eq_u32 s6, 0
	s_cbranch_scc1 .LBB249_558
; %bb.556:
	s_lshl_b32 s2, s71, 3
	s_add_u32 s2, s34, s2
	s_addc_u32 s3, s35, 0
	s_add_u32 s2, s2, 0xc4
	s_addc_u32 s3, s3, 0
	s_mul_i32 s4, s71, 12
	s_add_u32 s4, s34, s4
	s_addc_u32 s5, s35, 0
.LBB249_557:                            ; =>This Inner Loop Header: Depth=1
	s_load_dwordx2 s[8:9], s[4:5], 0x4
	s_load_dword s7, s[4:5], 0xc
	s_load_dwordx2 s[10:11], s[2:3], 0x0
	v_mov_b32_e32 v0, v1
	s_add_u32 s4, s4, 12
	s_waitcnt lgkmcnt(0)
	v_mul_hi_u32 v1, s9, v2
	v_add_u32_e32 v1, v2, v1
	v_lshrrev_b32_e32 v1, s7, v1
	s_addc_u32 s5, s5, 0
	v_mul_lo_u32 v3, v1, s8
	s_add_u32 s2, s2, 8
	v_sub_u32_e32 v3, v2, v3
	s_addc_u32 s3, s3, 0
	s_add_i32 s6, s6, -1
	v_mov_b32_e32 v2, v1
	v_mad_u64_u32 v[0:1], s[8:9], v3, s11, v[0:1]
	s_cmp_lg_u32 s6, 0
	v_mad_u64_u32 v[4:5], s[8:9], v3, s10, v[4:5]
	v_mov_b32_e32 v1, v0
	s_cbranch_scc1 .LBB249_557
.LBB249_558:
	s_mov_b64 s[2:3], 0
.LBB249_559:
	s_andn2_b64 vcc, exec, s[2:3]
	s_cbranch_vccnz .LBB249_562
; %bb.560:
	s_waitcnt lgkmcnt(0)
	v_mul_hi_u32 v0, s29, v6
	v_add_u32_e32 v0, v6, v0
	v_lshrrev_b32_e32 v1, s30, v0
	v_mul_lo_u32 v0, v1, s28
	s_waitcnt vmcnt(0)
	v_sub_u32_e32 v2, v6, v0
	v_mul_lo_u32 v0, v2, s25
	s_andn2_b64 vcc, exec, s[48:49]
	v_mul_lo_u32 v4, v2, s24
	s_cbranch_vccnz .LBB249_562
; %bb.561:
	v_mul_hi_u32 v2, s46, v1
	v_add_u32_e32 v2, v1, v2
	v_lshrrev_b32_e32 v2, s47, v2
	v_mul_lo_u32 v2, v2, s31
	v_sub_u32_e32 v1, v1, v2
	v_mad_u64_u32 v[4:5], s[2:3], v1, s26, v[4:5]
	v_mad_u64_u32 v[0:1], s[2:3], v1, s27, v[0:1]
.LBB249_562:
	v_mov_b32_e32 v1, 0
	s_and_b32 s10, 0xffff, s74
	s_cmp_lt_i32 s10, 11
	s_waitcnt lgkmcnt(0)
	v_lshl_add_u64 v[0:1], s[22:23], 0, v[0:1]
	s_cbranch_scc1 .LBB249_569
; %bb.563:
	s_cmp_gt_i32 s10, 25
	s_cbranch_scc0 .LBB249_570
; %bb.564:
	s_cmp_gt_i32 s10, 28
	s_cbranch_scc0 .LBB249_571
	;; [unrolled: 3-line block ×4, first 2 shown]
; %bb.567:
	s_cmp_eq_u32 s10, 46
	s_mov_b64 s[6:7], 0
	s_cbranch_scc0 .LBB249_578
; %bb.568:
	global_load_dword v2, v[0:1], off
	s_mov_b64 s[2:3], -1
	s_mov_b64 s[4:5], 0
	s_waitcnt vmcnt(0)
	v_lshlrev_b32_e32 v2, 16, v2
	v_cvt_f64_f32_e32 v[2:3], v2
	s_branch .LBB249_579
.LBB249_569:
	s_mov_b64 s[6:7], -1
	s_mov_b64 s[2:3], 0
                                        ; implicit-def: $vgpr2_vgpr3
	s_mov_b64 s[4:5], s[60:61]
	s_branch .LBB249_644
.LBB249_570:
	s_mov_b64 s[6:7], -1
	s_mov_b64 s[2:3], 0
	s_mov_b64 s[4:5], s[60:61]
                                        ; implicit-def: $vgpr2_vgpr3
	s_branch .LBB249_610
.LBB249_571:
	s_mov_b64 s[6:7], -1
	s_mov_b64 s[2:3], 0
	s_mov_b64 s[4:5], s[60:61]
                                        ; implicit-def: $vgpr2_vgpr3
	s_branch .LBB249_589
.LBB249_572:
	s_mov_b64 s[6:7], -1
	s_mov_b64 s[2:3], 0
	s_mov_b64 s[4:5], s[60:61]
                                        ; implicit-def: $vgpr2_vgpr3
	s_branch .LBB249_584
.LBB249_573:
	s_andn2_saveexec_b64 s[10:11], s[10:11]
	s_cbranch_execz .LBB249_341
.LBB249_574:
	s_mov_b32 s14, 0x46000000
	v_add_f32_e64 v8, |v7|, s14
	v_and_b32_e32 v8, 0xff, v8
	v_cmp_ne_u32_e32 vcc, 0, v8
	s_andn2_b64 s[8:9], s[8:9], exec
	s_and_b64 s[14:15], vcc, exec
	s_or_b64 s[8:9], s[8:9], s[14:15]
	s_or_b64 exec, exec, s[10:11]
	v_mov_b32_e32 v9, 0
	s_and_saveexec_b64 s[10:11], s[8:9]
	s_cbranch_execnz .LBB249_342
	s_branch .LBB249_343
.LBB249_575:
	s_mov_b64 s[6:7], -1
	s_mov_b64 s[2:3], 0
	s_mov_b64 s[4:5], s[60:61]
                                        ; implicit-def: $vgpr2_vgpr3
	s_branch .LBB249_579
.LBB249_576:
	s_andn2_saveexec_b64 s[10:11], s[10:11]
	s_cbranch_execz .LBB249_354
.LBB249_577:
	s_mov_b32 s14, 0x42800000
	v_add_f32_e64 v8, |v7|, s14
	v_and_b32_e32 v8, 0xff, v8
	v_cmp_ne_u32_e32 vcc, 0, v8
	s_andn2_b64 s[8:9], s[8:9], exec
	s_and_b64 s[14:15], vcc, exec
	s_or_b64 s[8:9], s[8:9], s[14:15]
	s_or_b64 exec, exec, s[10:11]
	v_mov_b32_e32 v9, 0
	s_and_saveexec_b64 s[10:11], s[8:9]
	s_cbranch_execnz .LBB249_355
	s_branch .LBB249_356
.LBB249_578:
	s_mov_b64 s[4:5], -1
                                        ; implicit-def: $vgpr2_vgpr3
	s_mov_b64 s[2:3], 0
.LBB249_579:
	s_and_b64 vcc, exec, s[6:7]
	s_cbranch_vccz .LBB249_583
; %bb.580:
	s_cmp_eq_u32 s10, 44
	s_cbranch_scc0 .LBB249_582
; %bb.581:
	global_load_ubyte v5, v[0:1], off
	s_movk_i32 s4, 0xff
	v_bfrev_b32_e32 v7, 4
	v_mov_b32_e32 v8, 0x7ff80000
	v_bfrev_b32_e32 v9, 28
	s_mov_b64 s[2:3], -1
	s_waitcnt vmcnt(0)
	v_lshlrev_b32_e32 v2, 23, v5
	v_cvt_f64_f32_e32 v[2:3], v2
	v_cmp_ne_u32_e32 vcc, s4, v5
	s_mov_b64 s[4:5], 0
	s_nop 0
	v_cndmask_b32_e32 v2, v7, v2, vcc
	v_cndmask_b32_e32 v3, v8, v3, vcc
	v_cmp_ne_u32_e32 vcc, 0, v5
	s_nop 1
	v_cndmask_b32_e32 v3, v9, v3, vcc
	v_cndmask_b32_e32 v2, 0, v2, vcc
	s_branch .LBB249_583
.LBB249_582:
	s_mov_b64 s[4:5], -1
                                        ; implicit-def: $vgpr2_vgpr3
.LBB249_583:
	s_mov_b64 s[6:7], 0
.LBB249_584:
	s_and_b64 vcc, exec, s[6:7]
	s_cbranch_vccz .LBB249_588
; %bb.585:
	s_cmp_eq_u32 s10, 29
	s_cbranch_scc0 .LBB249_587
; %bb.586:
	global_load_dwordx2 v[2:3], v[0:1], off
	s_mov_b64 s[2:3], -1
	s_mov_b64 s[4:5], 0
	s_mov_b64 s[6:7], 0
	s_waitcnt vmcnt(0)
	v_cvt_f64_u32_e32 v[8:9], v3
	v_cvt_f64_u32_e32 v[2:3], v2
	v_ldexp_f64 v[8:9], v[8:9], 32
	v_add_f64 v[2:3], v[8:9], v[2:3]
	s_branch .LBB249_589
.LBB249_587:
	s_mov_b64 s[4:5], -1
                                        ; implicit-def: $vgpr2_vgpr3
.LBB249_588:
	s_mov_b64 s[6:7], 0
.LBB249_589:
	s_and_b64 vcc, exec, s[6:7]
	s_cbranch_vccz .LBB249_609
; %bb.590:
	s_cmp_lt_i32 s10, 27
	s_cbranch_scc1 .LBB249_593
; %bb.591:
	s_cmp_gt_i32 s10, 27
	s_cbranch_scc0 .LBB249_594
; %bb.592:
	global_load_dword v2, v[0:1], off
	s_mov_b64 s[2:3], 0
	s_waitcnt vmcnt(0)
	v_cvt_f64_u32_e32 v[2:3], v2
	s_branch .LBB249_595
.LBB249_593:
	s_mov_b64 s[2:3], -1
                                        ; implicit-def: $vgpr2_vgpr3
	s_branch .LBB249_598
.LBB249_594:
	s_mov_b64 s[2:3], -1
                                        ; implicit-def: $vgpr2_vgpr3
.LBB249_595:
	s_andn2_b64 vcc, exec, s[2:3]
	s_cbranch_vccnz .LBB249_597
; %bb.596:
	global_load_ushort v2, v[0:1], off
	s_waitcnt vmcnt(0)
	v_cvt_f64_u32_e32 v[2:3], v2
.LBB249_597:
	s_mov_b64 s[2:3], 0
.LBB249_598:
	s_andn2_b64 vcc, exec, s[2:3]
	s_cbranch_vccnz .LBB249_608
; %bb.599:
	global_load_ubyte v5, v[0:1], off
	s_movk_i32 s2, 0x7f
	s_waitcnt vmcnt(0)
	v_cmp_lt_i16_e32 vcc, s2, v5
	s_mov_b64 s[2:3], 0
	s_and_saveexec_b64 s[6:7], vcc
	s_xor_b64 s[6:7], exec, s[6:7]
	s_cbranch_execz .LBB249_603
; %bb.600:
	s_movk_i32 s2, 0x80
	v_cmp_eq_u16_e32 vcc, s2, v5
	s_mov_b64 s[2:3], -1
	s_and_saveexec_b64 s[8:9], vcc
; %bb.601:
	s_xor_b64 s[2:3], exec, -1
; %bb.602:
	s_or_b64 exec, exec, s[8:9]
	s_and_b64 s[2:3], s[2:3], exec
.LBB249_603:
	s_or_saveexec_b64 s[6:7], s[6:7]
	v_bfrev_b32_e32 v2, 4
	v_mov_b32_e32 v3, 0x7ff80000
	s_xor_b64 exec, exec, s[6:7]
; %bb.604:
	v_cmp_ne_u16_e32 vcc, 0, v5
	s_andn2_b64 s[2:3], s[2:3], exec
	s_and_b64 s[8:9], vcc, exec
	v_mov_b64_e32 v[2:3], 0
	s_or_b64 s[2:3], s[2:3], s[8:9]
; %bb.605:
	s_or_b64 exec, exec, s[6:7]
	s_and_saveexec_b64 s[6:7], s[2:3]
	s_cbranch_execz .LBB249_607
; %bb.606:
	v_and_b32_e32 v3, 0xffff, v5
	v_lshlrev_b32_e32 v2, 24, v5
	v_and_b32_e32 v5, 7, v3
	v_ffbh_u32_e32 v8, v5
	v_min_u32_e32 v8, 32, v8
	v_subrev_u32_e32 v9, 28, v8
	v_bfe_u32 v7, v3, 3, 4
	v_lshlrev_b32_e32 v3, v9, v3
	v_sub_u32_e32 v8, 29, v8
	v_and_b32_e32 v3, 7, v3
	v_cmp_eq_u32_e32 vcc, 0, v7
	v_and_b32_e32 v2, 0x80000000, v2
	s_nop 0
	v_cndmask_b32_e32 v7, v7, v8, vcc
	v_cndmask_b32_e32 v3, v5, v3, vcc
	v_mov_b32_e32 v5, 0x3b800000
	v_lshlrev_b32_e32 v3, 20, v3
	v_lshl_add_u32 v5, v7, 23, v5
	v_or3_b32 v2, v2, v5, v3
	v_cvt_f64_f32_e32 v[2:3], v2
.LBB249_607:
	s_or_b64 exec, exec, s[6:7]
.LBB249_608:
	s_mov_b64 s[2:3], -1
.LBB249_609:
	s_mov_b64 s[6:7], 0
.LBB249_610:
	s_and_b64 vcc, exec, s[6:7]
	s_cbranch_vccz .LBB249_643
; %bb.611:
	s_cmp_gt_i32 s10, 22
	s_cbranch_scc0 .LBB249_623
; %bb.612:
	s_cmp_lt_i32 s10, 24
	s_cbranch_scc1 .LBB249_624
; %bb.613:
	s_cmp_gt_i32 s10, 24
	s_cbranch_scc0 .LBB249_625
; %bb.614:
	global_load_ubyte v5, v[0:1], off
	s_movk_i32 s2, 0x7f
	s_waitcnt vmcnt(0)
	v_cmp_lt_i16_e32 vcc, s2, v5
	s_mov_b64 s[2:3], 0
	s_and_saveexec_b64 s[6:7], vcc
	s_xor_b64 s[6:7], exec, s[6:7]
	s_cbranch_execz .LBB249_618
; %bb.615:
	s_movk_i32 s2, 0x80
	v_cmp_eq_u16_e32 vcc, s2, v5
	s_mov_b64 s[2:3], -1
	s_and_saveexec_b64 s[8:9], vcc
; %bb.616:
	s_xor_b64 s[2:3], exec, -1
; %bb.617:
	s_or_b64 exec, exec, s[8:9]
	s_and_b64 s[2:3], s[2:3], exec
.LBB249_618:
	s_or_saveexec_b64 s[6:7], s[6:7]
	v_bfrev_b32_e32 v2, 4
	v_mov_b32_e32 v3, 0x7ff80000
	s_xor_b64 exec, exec, s[6:7]
; %bb.619:
	v_cmp_ne_u16_e32 vcc, 0, v5
	s_andn2_b64 s[2:3], s[2:3], exec
	s_and_b64 s[8:9], vcc, exec
	v_mov_b64_e32 v[2:3], 0
	s_or_b64 s[2:3], s[2:3], s[8:9]
; %bb.620:
	s_or_b64 exec, exec, s[6:7]
	s_and_saveexec_b64 s[6:7], s[2:3]
	s_cbranch_execz .LBB249_622
; %bb.621:
	v_and_b32_e32 v3, 0xffff, v5
	v_lshlrev_b32_e32 v2, 24, v5
	v_and_b32_e32 v5, 3, v3
	v_ffbh_u32_e32 v8, v5
	v_min_u32_e32 v8, 32, v8
	v_subrev_u32_e32 v9, 29, v8
	v_bfe_u32 v7, v3, 2, 5
	v_lshlrev_b32_e32 v3, v9, v3
	v_sub_u32_e32 v8, 30, v8
	v_and_b32_e32 v3, 3, v3
	v_cmp_eq_u32_e32 vcc, 0, v7
	v_and_b32_e32 v2, 0x80000000, v2
	s_nop 0
	v_cndmask_b32_e32 v7, v7, v8, vcc
	v_cndmask_b32_e32 v3, v5, v3, vcc
	v_mov_b32_e32 v5, 0x37800000
	v_lshlrev_b32_e32 v3, 21, v3
	v_lshl_add_u32 v5, v7, 23, v5
	v_or3_b32 v2, v2, v5, v3
	v_cvt_f64_f32_e32 v[2:3], v2
.LBB249_622:
	s_or_b64 exec, exec, s[6:7]
	s_mov_b64 s[2:3], 0
	s_branch .LBB249_626
.LBB249_623:
	s_mov_b64 s[6:7], -1
                                        ; implicit-def: $vgpr2_vgpr3
	s_branch .LBB249_632
.LBB249_624:
	s_mov_b64 s[2:3], -1
                                        ; implicit-def: $vgpr2_vgpr3
	s_branch .LBB249_629
.LBB249_625:
	s_mov_b64 s[2:3], -1
                                        ; implicit-def: $vgpr2_vgpr3
.LBB249_626:
	s_and_b64 vcc, exec, s[2:3]
	s_cbranch_vccz .LBB249_628
; %bb.627:
	global_load_ubyte v2, v[0:1], off
	s_mov_b32 s2, 0x7f800000
	s_waitcnt vmcnt(0)
	v_lshlrev_b32_e32 v2, 24, v2
	v_and_b32_e32 v3, 0x7f000000, v2
	v_ffbh_u32_e32 v5, v3
	v_min_u32_e32 v5, 32, v5
	v_sub_u32_e64 v5, v5, 4 clamp
	v_lshlrev_b32_e32 v8, v5, v3
	v_lshlrev_b32_e32 v5, 23, v5
	v_lshrrev_b32_e32 v8, 4, v8
	v_add_u32_e32 v7, 0x1000000, v3
	v_sub_u32_e32 v5, v8, v5
	v_ashrrev_i32_e32 v7, 8, v7
	v_add_u32_e32 v5, 0x3c000000, v5
	v_and_or_b32 v5, v7, s2, v5
	v_cmp_ne_u32_e32 vcc, 0, v3
	s_brev_b32 s2, 1
	s_nop 0
	v_cndmask_b32_e32 v3, 0, v5, vcc
	v_and_or_b32 v2, v2, s2, v3
	v_cvt_f64_f32_e32 v[2:3], v2
.LBB249_628:
	s_mov_b64 s[2:3], 0
.LBB249_629:
	s_andn2_b64 vcc, exec, s[2:3]
	s_cbranch_vccnz .LBB249_631
; %bb.630:
	global_load_ubyte v2, v[0:1], off
	s_movk_i32 s2, 0x7f00
	s_brev_b32 s3, 16
	s_waitcnt vmcnt(0)
	v_lshlrev_b16_e32 v3, 8, v2
	v_lshlrev_b32_e32 v2, 25, v2
	v_lshrrev_b32_e32 v5, 4, v2
	v_and_or_b32 v7, v3, s2, 0.5
	v_or_b32_e32 v5, 0x70000000, v5
	v_add_f32_e32 v7, -0.5, v7
	v_mul_f32_e32 v5, 0x7800000, v5
	v_cmp_gt_u32_e32 vcc, s3, v2
	v_bfe_i32 v3, v3, 0, 16
	s_brev_b32 s2, 1
	v_cndmask_b32_e32 v2, v5, v7, vcc
	v_and_or_b32 v2, v3, s2, v2
	v_cvt_f64_f32_e32 v[2:3], v2
.LBB249_631:
	s_mov_b64 s[6:7], 0
	s_mov_b64 s[2:3], -1
.LBB249_632:
	s_andn2_b64 vcc, exec, s[6:7]
	s_cbranch_vccnz .LBB249_643
; %bb.633:
	s_cmp_gt_i32 s10, 14
	s_cbranch_scc0 .LBB249_636
; %bb.634:
	s_cmp_eq_u32 s10, 15
	s_cbranch_scc0 .LBB249_637
; %bb.635:
	global_load_ushort v2, v[0:1], off
	s_mov_b64 s[2:3], -1
	s_mov_b64 s[4:5], 0
	s_waitcnt vmcnt(0)
	v_lshlrev_b32_e32 v2, 16, v2
	v_cvt_f64_f32_e32 v[2:3], v2
	s_branch .LBB249_638
.LBB249_636:
	s_mov_b64 s[6:7], -1
                                        ; implicit-def: $vgpr2_vgpr3
	s_branch .LBB249_639
.LBB249_637:
	s_mov_b64 s[4:5], -1
                                        ; implicit-def: $vgpr2_vgpr3
.LBB249_638:
	s_mov_b64 s[6:7], 0
.LBB249_639:
	s_and_b64 vcc, exec, s[6:7]
	s_cbranch_vccz .LBB249_643
; %bb.640:
	s_cmp_eq_u32 s10, 11
	s_cbranch_scc0 .LBB249_642
; %bb.641:
	global_load_ubyte v3, v[0:1], off
	v_mov_b32_e32 v5, 0x3ff00000
	s_waitcnt vmcnt(1)
	v_mov_b32_e32 v2, 0
	s_mov_b64 s[2:3], -1
	s_mov_b64 s[4:5], 0
	s_waitcnt vmcnt(0)
	v_cmp_ne_u16_e32 vcc, 0, v3
	s_nop 1
	v_cndmask_b32_e32 v3, 0, v5, vcc
	s_branch .LBB249_643
.LBB249_642:
	s_mov_b64 s[4:5], -1
                                        ; implicit-def: $vgpr2_vgpr3
.LBB249_643:
	s_mov_b64 s[6:7], 0
.LBB249_644:
	s_and_b64 vcc, exec, s[6:7]
	s_cbranch_vccz .LBB249_693
; %bb.645:
	s_cmp_lt_i32 s10, 5
	s_cbranch_scc1 .LBB249_650
; %bb.646:
	s_cmp_lt_i32 s10, 8
	s_cbranch_scc1 .LBB249_651
	;; [unrolled: 3-line block ×3, first 2 shown]
; %bb.648:
	s_cmp_gt_i32 s10, 9
	s_cbranch_scc0 .LBB249_653
; %bb.649:
	global_load_dwordx2 v[2:3], v[0:1], off
	s_mov_b64 s[2:3], 0
	s_branch .LBB249_654
.LBB249_650:
	s_mov_b64 s[2:3], -1
                                        ; implicit-def: $vgpr2_vgpr3
	s_branch .LBB249_672
.LBB249_651:
	s_mov_b64 s[2:3], -1
                                        ; implicit-def: $vgpr2_vgpr3
	s_branch .LBB249_660
.LBB249_652:
	s_mov_b64 s[2:3], -1
                                        ; implicit-def: $vgpr2_vgpr3
	s_branch .LBB249_657
.LBB249_653:
	s_mov_b64 s[2:3], -1
                                        ; implicit-def: $vgpr2_vgpr3
.LBB249_654:
	s_andn2_b64 vcc, exec, s[2:3]
	s_cbranch_vccnz .LBB249_656
; %bb.655:
	global_load_dword v2, v[0:1], off
	s_waitcnt vmcnt(0)
	v_cvt_f64_f32_e32 v[2:3], v2
.LBB249_656:
	s_mov_b64 s[2:3], 0
.LBB249_657:
	s_andn2_b64 vcc, exec, s[2:3]
	s_cbranch_vccnz .LBB249_659
; %bb.658:
	global_load_dword v2, v[0:1], off
	s_waitcnt vmcnt(0)
	v_cvt_f32_f16_e32 v2, v2
	v_cvt_f64_f32_e32 v[2:3], v2
.LBB249_659:
	s_mov_b64 s[2:3], 0
.LBB249_660:
	s_andn2_b64 vcc, exec, s[2:3]
	s_cbranch_vccnz .LBB249_671
; %bb.661:
	s_cmp_lt_i32 s10, 6
	s_cbranch_scc1 .LBB249_664
; %bb.662:
	s_cmp_gt_i32 s10, 6
	s_cbranch_scc0 .LBB249_665
; %bb.663:
	global_load_dwordx2 v[2:3], v[0:1], off
	s_mov_b64 s[2:3], 0
	s_branch .LBB249_666
.LBB249_664:
	s_mov_b64 s[2:3], -1
                                        ; implicit-def: $vgpr2_vgpr3
	s_branch .LBB249_669
.LBB249_665:
	s_mov_b64 s[2:3], -1
                                        ; implicit-def: $vgpr2_vgpr3
.LBB249_666:
	s_andn2_b64 vcc, exec, s[2:3]
	s_cbranch_vccnz .LBB249_668
; %bb.667:
	global_load_dword v2, v[0:1], off
	s_waitcnt vmcnt(0)
	v_cvt_f64_f32_e32 v[2:3], v2
.LBB249_668:
	s_mov_b64 s[2:3], 0
.LBB249_669:
	s_andn2_b64 vcc, exec, s[2:3]
	s_cbranch_vccnz .LBB249_671
; %bb.670:
	global_load_ushort v2, v[0:1], off
	s_waitcnt vmcnt(0)
	v_cvt_f32_f16_e32 v2, v2
	v_cvt_f64_f32_e32 v[2:3], v2
.LBB249_671:
	s_mov_b64 s[2:3], 0
.LBB249_672:
	s_andn2_b64 vcc, exec, s[2:3]
	s_cbranch_vccnz .LBB249_692
; %bb.673:
	s_cmp_lt_i32 s10, 2
	s_cbranch_scc1 .LBB249_677
; %bb.674:
	s_cmp_lt_i32 s10, 3
	s_cbranch_scc1 .LBB249_678
; %bb.675:
	s_cmp_gt_i32 s10, 3
	s_cbranch_scc0 .LBB249_679
; %bb.676:
	global_load_dwordx2 v[2:3], v[0:1], off
	s_mov_b64 s[2:3], 0
	s_waitcnt vmcnt(0)
	v_cvt_f64_i32_e32 v[8:9], v3
	v_cvt_f64_u32_e32 v[2:3], v2
	v_ldexp_f64 v[8:9], v[8:9], 32
	v_add_f64 v[2:3], v[8:9], v[2:3]
	s_branch .LBB249_680
.LBB249_677:
	s_mov_b64 s[2:3], -1
                                        ; implicit-def: $vgpr2_vgpr3
	s_branch .LBB249_686
.LBB249_678:
	s_mov_b64 s[2:3], -1
                                        ; implicit-def: $vgpr2_vgpr3
	s_branch .LBB249_683
.LBB249_679:
	s_mov_b64 s[2:3], -1
                                        ; implicit-def: $vgpr2_vgpr3
.LBB249_680:
	s_andn2_b64 vcc, exec, s[2:3]
	s_cbranch_vccnz .LBB249_682
; %bb.681:
	global_load_dword v2, v[0:1], off
	s_waitcnt vmcnt(0)
	v_cvt_f64_i32_e32 v[2:3], v2
.LBB249_682:
	s_mov_b64 s[2:3], 0
.LBB249_683:
	s_andn2_b64 vcc, exec, s[2:3]
	s_cbranch_vccnz .LBB249_685
; %bb.684:
	global_load_sshort v2, v[0:1], off
	s_waitcnt vmcnt(0)
	v_cvt_f64_i32_e32 v[2:3], v2
.LBB249_685:
	s_mov_b64 s[2:3], 0
.LBB249_686:
	s_andn2_b64 vcc, exec, s[2:3]
	s_cbranch_vccnz .LBB249_692
; %bb.687:
	s_cmp_gt_i32 s10, 0
	s_cbranch_scc0 .LBB249_689
; %bb.688:
	global_load_sbyte v2, v[0:1], off
	s_mov_b64 s[2:3], 0
	s_waitcnt vmcnt(0)
	v_cvt_f64_i32_e32 v[2:3], v2
	s_branch .LBB249_690
.LBB249_689:
	s_mov_b64 s[2:3], -1
                                        ; implicit-def: $vgpr2_vgpr3
.LBB249_690:
	s_andn2_b64 vcc, exec, s[2:3]
	s_cbranch_vccnz .LBB249_692
; %bb.691:
	global_load_ubyte v0, v[0:1], off
	s_waitcnt vmcnt(0)
	v_cvt_f64_u32_e32 v[2:3], v0
.LBB249_692:
	s_mov_b64 s[2:3], -1
.LBB249_693:
	s_andn2_b64 vcc, exec, s[2:3]
	s_cbranch_vccnz .LBB249_701
; %bb.694:
	s_mov_b32 s2, 0
	s_brev_b32 s3, 8
	v_mov_b32_e32 v0, 0x100
	s_waitcnt vmcnt(0)
	v_cmp_gt_f64_e32 vcc, s[2:3], v[2:3]
	v_mov_b32_e32 v5, 0xffffff80
	s_and_b32 s12, s73, 0xff
	v_cndmask_b32_e32 v0, 0, v0, vcc
	v_ldexp_f64 v[0:1], v[2:3], v0
	v_rsq_f64_e32 v[8:9], v[0:1]
	v_cndmask_b32_e32 v5, 0, v5, vcc
	s_cmp_lt_i32 s12, 11
	v_mul_f64 v[10:11], v[0:1], v[8:9]
	v_mul_f64 v[8:9], v[8:9], 0.5
	v_fma_f64 v[12:13], -v[8:9], v[10:11], 0.5
	v_fmac_f64_e32 v[10:11], v[10:11], v[12:13]
	v_fma_f64 v[14:15], -v[10:11], v[10:11], v[0:1]
	v_fmac_f64_e32 v[8:9], v[8:9], v[12:13]
	v_fmac_f64_e32 v[10:11], v[14:15], v[8:9]
	v_fma_f64 v[12:13], -v[10:11], v[10:11], v[0:1]
	v_fmac_f64_e32 v[10:11], v[12:13], v[8:9]
	v_ldexp_f64 v[8:9], v[10:11], v5
	v_mov_b32_e32 v5, 0x260
	v_cmp_class_f64_e32 vcc, v[0:1], v5
	v_mov_b32_e32 v5, 0
	v_lshl_add_u64 v[4:5], s[20:21], 0, v[4:5]
	v_cndmask_b32_e32 v1, v9, v1, vcc
	v_cndmask_b32_e32 v0, v8, v0, vcc
	s_cbranch_scc1 .LBB249_702
; %bb.695:
	s_and_b32 s13, 0xffff, s12
	s_cmp_gt_i32 s13, 25
	s_cbranch_scc0 .LBB249_703
; %bb.696:
	s_cmp_gt_i32 s13, 28
	s_cbranch_scc0 .LBB249_704
; %bb.697:
	;; [unrolled: 3-line block ×4, first 2 shown]
	s_mov_b64 s[8:9], 0
	s_mov_b64 s[2:3], -1
	s_cmp_eq_u32 s13, 46
	s_mov_b64 s[6:7], 0
	s_cbranch_scc0 .LBB249_707
; %bb.700:
	v_cvt_f32_f64_e32 v7, v[0:1]
	v_bfe_u32 v8, v7, 16, 1
	s_movk_i32 s2, 0x7fff
	v_add3_u32 v8, v7, v8, s2
	v_cmp_o_f32_e32 vcc, v7, v7
	v_mov_b32_e32 v7, 0x7fc0
	s_mov_b64 s[6:7], -1
	v_cndmask_b32_sdwa v7, v7, v8, vcc dst_sel:DWORD dst_unused:UNUSED_PAD src0_sel:DWORD src1_sel:WORD_1
	global_store_dword v[4:5], v7, off
	s_mov_b64 s[2:3], 0
	s_branch .LBB249_707
.LBB249_701:
	s_mov_b64 s[6:7], 0
	s_mov_b64 s[2:3], s[62:63]
	s_branch .LBB249_818
.LBB249_702:
	s_mov_b64 s[8:9], -1
	s_mov_b64 s[6:7], 0
	s_mov_b64 s[2:3], s[62:63]
	s_branch .LBB249_776
.LBB249_703:
	s_mov_b64 s[8:9], -1
	s_mov_b64 s[6:7], 0
	s_mov_b64 s[2:3], s[62:63]
	s_branch .LBB249_734
.LBB249_704:
	s_mov_b64 s[8:9], -1
	s_mov_b64 s[6:7], 0
	s_mov_b64 s[2:3], s[62:63]
	s_branch .LBB249_717
.LBB249_705:
	s_mov_b64 s[8:9], -1
	s_mov_b64 s[6:7], 0
	s_mov_b64 s[2:3], s[62:63]
	s_branch .LBB249_713
.LBB249_706:
	s_mov_b64 s[8:9], -1
	s_mov_b64 s[6:7], 0
	s_mov_b64 s[2:3], s[62:63]
.LBB249_707:
	s_and_b64 vcc, exec, s[8:9]
	s_cbranch_vccz .LBB249_712
; %bb.708:
	s_cmp_eq_u32 s13, 44
	s_mov_b64 s[2:3], -1
	s_cbranch_scc0 .LBB249_712
; %bb.709:
	v_cvt_f32_f64_e32 v7, v[0:1]
	v_bfe_u32 v8, v7, 23, 8
	s_movk_i32 s2, 0xff
	v_cmp_ne_u32_e32 vcc, s2, v8
	v_mov_b32_e32 v9, 0xff
	s_and_saveexec_b64 s[6:7], vcc
; %bb.710:
	s_mov_b32 s2, 0x3fffff
	v_lshrrev_b32_e32 v9, 23, v7
	v_and_b32_e32 v10, 0x400000, v7
	v_and_or_b32 v7, v7, s2, v8
	v_cmp_ne_u32_e32 vcc, 0, v10
	v_cmp_ne_u32_e64 s[2:3], 0, v7
	s_and_b64 s[2:3], vcc, s[2:3]
	s_nop 0
	v_cndmask_b32_e64 v7, 0, 1, s[2:3]
	v_add_u32_e32 v9, v9, v7
; %bb.711:
	s_or_b64 exec, exec, s[6:7]
	s_mov_b64 s[6:7], -1
	s_mov_b64 s[2:3], 0
	global_store_byte v[4:5], v9, off
.LBB249_712:
	s_mov_b64 s[8:9], 0
.LBB249_713:
	s_and_b64 vcc, exec, s[8:9]
	s_cbranch_vccz .LBB249_716
; %bb.714:
	s_cmp_eq_u32 s13, 29
	s_mov_b64 s[2:3], -1
	s_cbranch_scc0 .LBB249_716
; %bb.715:
	v_trunc_f64_e32 v[8:9], v[0:1]
	s_movk_i32 s2, 0xffe0
	v_ldexp_f64 v[10:11], v[8:9], s2
	v_floor_f64_e32 v[10:11], v[10:11]
	v_fmac_f64_e32 v[8:9], 0xc1f00000, v[10:11]
	v_cvt_u32_f64_e32 v13, v[10:11]
	v_cvt_u32_f64_e32 v12, v[8:9]
	global_store_dwordx2 v[4:5], v[12:13], off
	s_mov_b64 s[6:7], -1
	s_mov_b64 s[2:3], 0
.LBB249_716:
	s_mov_b64 s[8:9], 0
.LBB249_717:
	s_and_b64 vcc, exec, s[8:9]
	s_cbranch_vccz .LBB249_733
; %bb.718:
	s_cmp_lt_i32 s13, 27
	s_mov_b64 s[6:7], -1
	s_cbranch_scc1 .LBB249_724
; %bb.719:
	s_cmp_gt_i32 s13, 27
	v_cvt_u32_f64_e32 v7, v[0:1]
	s_cbranch_scc0 .LBB249_721
; %bb.720:
	s_mov_b64 s[6:7], 0
	global_store_dword v[4:5], v7, off
.LBB249_721:
	s_andn2_b64 vcc, exec, s[6:7]
	s_cbranch_vccnz .LBB249_723
; %bb.722:
	global_store_short v[4:5], v7, off
.LBB249_723:
	s_mov_b64 s[6:7], 0
.LBB249_724:
	s_andn2_b64 vcc, exec, s[6:7]
	s_cbranch_vccnz .LBB249_732
; %bb.725:
	v_cvt_f32_f64_e32 v7, v[0:1]
	v_and_b32_e32 v8, 0x7fffffff, v7
	s_mov_b32 s6, 0x43800000
	v_cmp_gt_u32_e32 vcc, s6, v8
	v_mov_b32_e32 v9, 0x80
	s_and_saveexec_b64 s[6:7], vcc
	s_cbranch_execz .LBB249_731
; %bb.726:
	s_mov_b32 s8, 0x3bffffff
	v_cmp_lt_u32_e32 vcc, s8, v8
	s_mov_b64 s[8:9], 0
                                        ; implicit-def: $vgpr8
	s_and_saveexec_b64 s[10:11], vcc
	s_xor_b64 s[10:11], exec, s[10:11]
	s_cbranch_execz .LBB249_849
; %bb.727:
	v_bfe_u32 v8, v7, 20, 1
	s_mov_b32 s14, 0x487ffff
	v_add3_u32 v8, v7, v8, s14
	s_mov_b64 s[8:9], exec
	v_lshrrev_b32_e32 v8, 20, v8
	s_andn2_saveexec_b64 s[10:11], s[10:11]
	s_cbranch_execnz .LBB249_850
.LBB249_728:
	s_or_b64 exec, exec, s[10:11]
	v_mov_b32_e32 v9, 0
	s_and_saveexec_b64 s[10:11], s[8:9]
.LBB249_729:
	v_lshrrev_b32_e32 v7, 24, v7
	s_movk_i32 s8, 0x80
	v_and_or_b32 v9, v7, s8, v8
.LBB249_730:
	s_or_b64 exec, exec, s[10:11]
.LBB249_731:
	s_or_b64 exec, exec, s[6:7]
	global_store_byte v[4:5], v9, off
.LBB249_732:
	s_mov_b64 s[6:7], -1
.LBB249_733:
	s_mov_b64 s[8:9], 0
.LBB249_734:
	s_and_b64 vcc, exec, s[8:9]
	s_cbranch_vccz .LBB249_775
; %bb.735:
	s_cmp_gt_i32 s13, 22
	s_mov_b64 s[8:9], -1
	s_cbranch_scc0 .LBB249_767
; %bb.736:
	s_cmp_lt_i32 s13, 24
	s_mov_b64 s[6:7], -1
	s_cbranch_scc1 .LBB249_756
; %bb.737:
	s_cmp_gt_i32 s13, 24
	s_cbranch_scc0 .LBB249_745
; %bb.738:
	v_cvt_f32_f64_e32 v7, v[0:1]
	v_and_b32_e32 v8, 0x7fffffff, v7
	s_mov_b32 s6, 0x47800000
	v_cmp_gt_u32_e32 vcc, s6, v8
	v_mov_b32_e32 v9, 0x80
	s_and_saveexec_b64 s[6:7], vcc
	s_cbranch_execz .LBB249_744
; %bb.739:
	s_mov_b32 s8, 0x37ffffff
	v_cmp_lt_u32_e32 vcc, s8, v8
	s_mov_b64 s[8:9], 0
                                        ; implicit-def: $vgpr8
	s_and_saveexec_b64 s[10:11], vcc
	s_xor_b64 s[10:11], exec, s[10:11]
	s_cbranch_execz .LBB249_852
; %bb.740:
	v_bfe_u32 v8, v7, 21, 1
	s_mov_b32 s14, 0x88fffff
	v_add3_u32 v8, v7, v8, s14
	s_mov_b64 s[8:9], exec
	v_lshrrev_b32_e32 v8, 21, v8
	s_andn2_saveexec_b64 s[10:11], s[10:11]
	s_cbranch_execnz .LBB249_853
.LBB249_741:
	s_or_b64 exec, exec, s[10:11]
	v_mov_b32_e32 v9, 0
	s_and_saveexec_b64 s[10:11], s[8:9]
.LBB249_742:
	v_lshrrev_b32_e32 v7, 24, v7
	s_movk_i32 s8, 0x80
	v_and_or_b32 v9, v7, s8, v8
.LBB249_743:
	s_or_b64 exec, exec, s[10:11]
.LBB249_744:
	s_or_b64 exec, exec, s[6:7]
	s_mov_b64 s[6:7], 0
	global_store_byte v[4:5], v9, off
.LBB249_745:
	s_and_b64 vcc, exec, s[6:7]
	s_cbranch_vccz .LBB249_755
; %bb.746:
	v_cvt_f32_f64_e32 v7, v[0:1]
	v_and_b32_e32 v9, 0x7fffffff, v7
	s_mov_b32 s6, 0x43f00000
	v_cmp_gt_u32_e32 vcc, s6, v9
                                        ; implicit-def: $vgpr8
	s_and_saveexec_b64 s[6:7], vcc
	s_xor_b64 s[6:7], exec, s[6:7]
	s_cbranch_execz .LBB249_752
; %bb.747:
	s_mov_b32 s8, 0x3c7fffff
	v_cmp_lt_u32_e32 vcc, s8, v9
                                        ; implicit-def: $vgpr8
	s_and_saveexec_b64 s[8:9], vcc
	s_xor_b64 s[8:9], exec, s[8:9]
; %bb.748:
	v_bfe_u32 v8, v7, 20, 1
	s_mov_b32 s10, 0x407ffff
	v_add3_u32 v8, v7, v8, s10
	v_lshrrev_b32_e32 v9, 20, v8
	v_and_b32_e32 v8, 0xff00000, v8
	s_mov_b32 s10, 0x7f00000
	v_mov_b32_e32 v10, 0x7e
	v_cmp_ne_u32_e32 vcc, s10, v8
	s_nop 1
	v_cndmask_b32_e32 v8, v10, v9, vcc
; %bb.749:
	s_andn2_saveexec_b64 s[8:9], s[8:9]
; %bb.750:
	s_mov_b32 s10, 0x46800000
	v_add_f32_e64 v8, |v7|, s10
; %bb.751:
	s_or_b64 exec, exec, s[8:9]
                                        ; implicit-def: $vgpr9
.LBB249_752:
	s_andn2_saveexec_b64 s[6:7], s[6:7]
; %bb.753:
	s_mov_b32 s8, 0x7f800000
	v_mov_b32_e32 v8, 0x7e
	v_mov_b32_e32 v10, 0x7f
	v_cmp_lt_u32_e32 vcc, s8, v9
	s_nop 1
	v_cndmask_b32_e32 v8, v8, v10, vcc
; %bb.754:
	s_or_b64 exec, exec, s[6:7]
	v_lshrrev_b32_e32 v7, 24, v7
	s_movk_i32 s6, 0x80
	v_and_or_b32 v7, v7, s6, v8
	global_store_byte v[4:5], v7, off
.LBB249_755:
	s_mov_b64 s[6:7], 0
.LBB249_756:
	s_andn2_b64 vcc, exec, s[6:7]
	s_cbranch_vccnz .LBB249_766
; %bb.757:
	v_cvt_f32_f64_e32 v7, v[0:1]
	v_and_b32_e32 v9, 0x7fffffff, v7
	s_mov_b32 s6, 0x47800000
	v_cmp_gt_u32_e32 vcc, s6, v9
                                        ; implicit-def: $vgpr8
	s_and_saveexec_b64 s[6:7], vcc
	s_xor_b64 s[6:7], exec, s[6:7]
	s_cbranch_execz .LBB249_763
; %bb.758:
	s_mov_b32 s8, 0x387fffff
	v_cmp_lt_u32_e32 vcc, s8, v9
                                        ; implicit-def: $vgpr8
	s_and_saveexec_b64 s[8:9], vcc
	s_xor_b64 s[8:9], exec, s[8:9]
; %bb.759:
	v_bfe_u32 v8, v7, 21, 1
	s_mov_b32 s10, 0x80fffff
	v_add3_u32 v8, v7, v8, s10
	v_lshrrev_b32_e32 v8, 21, v8
; %bb.760:
	s_andn2_saveexec_b64 s[8:9], s[8:9]
; %bb.761:
	s_mov_b32 s10, 0x43000000
	v_add_f32_e64 v8, |v7|, s10
; %bb.762:
	s_or_b64 exec, exec, s[8:9]
                                        ; implicit-def: $vgpr9
.LBB249_763:
	s_andn2_saveexec_b64 s[6:7], s[6:7]
; %bb.764:
	s_mov_b32 s8, 0x7f800000
	v_mov_b32_e32 v8, 0x7c
	v_mov_b32_e32 v10, 0x7f
	v_cmp_lt_u32_e32 vcc, s8, v9
	s_nop 1
	v_cndmask_b32_e32 v8, v8, v10, vcc
; %bb.765:
	s_or_b64 exec, exec, s[6:7]
	v_lshrrev_b32_e32 v7, 24, v7
	s_movk_i32 s6, 0x80
	v_and_or_b32 v7, v7, s6, v8
	global_store_byte v[4:5], v7, off
.LBB249_766:
	s_mov_b64 s[8:9], 0
	s_mov_b64 s[6:7], -1
.LBB249_767:
	s_andn2_b64 vcc, exec, s[8:9]
	s_cbranch_vccnz .LBB249_775
; %bb.768:
	s_cmp_gt_i32 s13, 14
	s_mov_b64 s[8:9], -1
	s_cbranch_scc0 .LBB249_772
; %bb.769:
	s_cmp_eq_u32 s13, 15
	s_mov_b64 s[2:3], -1
	s_cbranch_scc0 .LBB249_771
; %bb.770:
	v_cvt_f32_f64_e32 v7, v[0:1]
	v_bfe_u32 v8, v7, 16, 1
	s_movk_i32 s2, 0x7fff
	v_add3_u32 v8, v7, v8, s2
	v_cmp_o_f32_e32 vcc, v7, v7
	v_mov_b32_e32 v7, 0x7fc0
	s_mov_b64 s[6:7], -1
	v_cndmask_b32_sdwa v7, v7, v8, vcc dst_sel:DWORD dst_unused:UNUSED_PAD src0_sel:DWORD src1_sel:WORD_1
	global_store_short v[4:5], v7, off
	s_mov_b64 s[2:3], 0
.LBB249_771:
	s_mov_b64 s[8:9], 0
.LBB249_772:
	s_and_b64 vcc, exec, s[8:9]
	s_cbranch_vccz .LBB249_775
; %bb.773:
	s_cmp_eq_u32 s13, 11
	s_mov_b64 s[2:3], -1
	s_cbranch_scc0 .LBB249_775
; %bb.774:
	v_cmp_neq_f64_e32 vcc, 0, v[2:3]
	s_mov_b64 s[2:3], 0
	s_mov_b64 s[6:7], -1
	v_cndmask_b32_e64 v2, 0, 1, vcc
	global_store_byte v[4:5], v2, off
.LBB249_775:
	s_mov_b64 s[8:9], 0
.LBB249_776:
	s_and_b64 vcc, exec, s[8:9]
	s_cbranch_vccz .LBB249_815
; %bb.777:
	s_and_b32 s8, 0xffff, s12
	s_cmp_lt_i32 s8, 5
	s_mov_b64 s[6:7], -1
	s_cbranch_scc1 .LBB249_798
; %bb.778:
	s_cmp_lt_i32 s8, 8
	s_cbranch_scc1 .LBB249_788
; %bb.779:
	s_cmp_lt_i32 s8, 9
	s_cbranch_scc1 .LBB249_785
; %bb.780:
	s_cmp_gt_i32 s8, 9
	s_cbranch_scc0 .LBB249_782
; %bb.781:
	v_mov_b32_e32 v2, 0
	v_mov_b32_e32 v3, v2
	s_mov_b64 s[6:7], 0
	global_store_dwordx4 v[4:5], v[0:3], off
.LBB249_782:
	s_andn2_b64 vcc, exec, s[6:7]
	s_cbranch_vccnz .LBB249_784
; %bb.783:
	v_cvt_f32_f64_e32 v2, v[0:1]
	v_mov_b32_e32 v3, 0
	global_store_dwordx2 v[4:5], v[2:3], off
.LBB249_784:
	s_mov_b64 s[6:7], 0
.LBB249_785:
	s_andn2_b64 vcc, exec, s[6:7]
	s_cbranch_vccnz .LBB249_787
; %bb.786:
	s_movk_i32 s6, 0x1ff
	v_and_or_b32 v2, v1, s6, v0
	v_cmp_ne_u32_e32 vcc, 0, v2
	v_lshrrev_b32_e32 v3, 8, v1
	s_movk_i32 s6, 0xffe
	v_cndmask_b32_e64 v2, 0, 1, vcc
	v_bfe_u32 v7, v1, 20, 11
	v_and_or_b32 v2, v3, s6, v2
	v_sub_u32_e32 v8, 0x3f1, v7
	v_or_b32_e32 v3, 0x1000, v2
	v_med3_i32 v8, v8, 0, 13
	v_lshrrev_b32_e32 v9, v8, v3
	v_lshlrev_b32_e32 v8, v8, v9
	v_cmp_ne_u32_e32 vcc, v8, v3
	v_add_u32_e32 v7, 0xfffffc10, v7
	v_lshl_or_b32 v8, v7, 12, v2
	v_cndmask_b32_e64 v3, 0, 1, vcc
	v_or_b32_e32 v3, v9, v3
	v_cmp_gt_i32_e32 vcc, 1, v7
	s_movk_i32 s6, 0x40f
	s_nop 0
	v_cndmask_b32_e32 v3, v8, v3, vcc
	v_and_b32_e32 v8, 7, v3
	v_cmp_lt_i32_e32 vcc, 5, v8
	v_lshrrev_b32_e32 v3, 2, v3
	s_nop 0
	v_cndmask_b32_e64 v9, 0, 1, vcc
	v_cmp_eq_u32_e32 vcc, 3, v8
	s_nop 1
	v_cndmask_b32_e64 v8, 0, 1, vcc
	v_or_b32_e32 v8, v8, v9
	v_add_u32_e32 v3, v3, v8
	v_mov_b32_e32 v8, 0x7c00
	v_cmp_gt_i32_e32 vcc, 31, v7
	v_mov_b32_e32 v9, 0x7e00
	s_nop 0
	v_cndmask_b32_e32 v3, v8, v3, vcc
	v_cmp_ne_u32_e32 vcc, 0, v2
	s_nop 1
	v_cndmask_b32_e32 v2, v8, v9, vcc
	v_cmp_eq_u32_e32 vcc, s6, v7
	s_mov_b32 s6, 0x8000
	s_nop 0
	v_cndmask_b32_e32 v2, v3, v2, vcc
	v_and_b32_sdwa v3, v1, s6 dst_sel:DWORD dst_unused:UNUSED_PAD src0_sel:WORD_1 src1_sel:DWORD
	s_mov_b32 s6, 0xffff
	v_bitop3_b32 v2, v3, s6, v2 bitop3:0xc8
	global_store_dword v[4:5], v2, off
.LBB249_787:
	s_mov_b64 s[6:7], 0
.LBB249_788:
	s_andn2_b64 vcc, exec, s[6:7]
	s_cbranch_vccnz .LBB249_797
; %bb.789:
	s_cmp_lt_i32 s8, 6
	s_mov_b64 s[6:7], -1
	s_cbranch_scc1 .LBB249_795
; %bb.790:
	s_cmp_gt_i32 s8, 6
	s_cbranch_scc0 .LBB249_792
; %bb.791:
	s_mov_b64 s[6:7], 0
	global_store_dwordx2 v[4:5], v[0:1], off
.LBB249_792:
	s_andn2_b64 vcc, exec, s[6:7]
	s_cbranch_vccnz .LBB249_794
; %bb.793:
	v_cvt_f32_f64_e32 v2, v[0:1]
	global_store_dword v[4:5], v2, off
.LBB249_794:
	s_mov_b64 s[6:7], 0
.LBB249_795:
	s_andn2_b64 vcc, exec, s[6:7]
	s_cbranch_vccnz .LBB249_797
; %bb.796:
	s_movk_i32 s6, 0x1ff
	v_and_or_b32 v2, v1, s6, v0
	v_cmp_ne_u32_e32 vcc, 0, v2
	v_lshrrev_b32_e32 v3, 8, v1
	s_movk_i32 s6, 0xffe
	v_cndmask_b32_e64 v2, 0, 1, vcc
	v_bfe_u32 v7, v1, 20, 11
	v_and_or_b32 v2, v3, s6, v2
	v_sub_u32_e32 v8, 0x3f1, v7
	v_or_b32_e32 v3, 0x1000, v2
	v_med3_i32 v8, v8, 0, 13
	v_lshrrev_b32_e32 v9, v8, v3
	v_lshlrev_b32_e32 v8, v8, v9
	v_cmp_ne_u32_e32 vcc, v8, v3
	v_add_u32_e32 v7, 0xfffffc10, v7
	v_lshl_or_b32 v8, v7, 12, v2
	v_cndmask_b32_e64 v3, 0, 1, vcc
	v_or_b32_e32 v3, v9, v3
	v_cmp_gt_i32_e32 vcc, 1, v7
	s_movk_i32 s6, 0x40f
	s_nop 0
	v_cndmask_b32_e32 v3, v8, v3, vcc
	v_and_b32_e32 v8, 7, v3
	v_cmp_lt_i32_e32 vcc, 5, v8
	v_lshrrev_b32_e32 v3, 2, v3
	s_nop 0
	v_cndmask_b32_e64 v9, 0, 1, vcc
	v_cmp_eq_u32_e32 vcc, 3, v8
	s_nop 1
	v_cndmask_b32_e64 v8, 0, 1, vcc
	v_or_b32_e32 v8, v8, v9
	v_add_u32_e32 v3, v3, v8
	v_mov_b32_e32 v8, 0x7c00
	v_cmp_gt_i32_e32 vcc, 31, v7
	v_mov_b32_e32 v9, 0x7e00
	s_nop 0
	v_cndmask_b32_e32 v3, v8, v3, vcc
	v_cmp_ne_u32_e32 vcc, 0, v2
	s_nop 1
	v_cndmask_b32_e32 v2, v8, v9, vcc
	v_cmp_eq_u32_e32 vcc, s6, v7
	s_mov_b32 s6, 0x8000
	s_nop 0
	v_cndmask_b32_e32 v2, v3, v2, vcc
	v_lshrrev_b32_e32 v3, 16, v1
	v_and_or_b32 v2, v3, s6, v2
	global_store_short v[4:5], v2, off
.LBB249_797:
	s_mov_b64 s[6:7], 0
.LBB249_798:
	s_andn2_b64 vcc, exec, s[6:7]
	s_cbranch_vccnz .LBB249_814
; %bb.799:
	s_cmp_lt_i32 s8, 2
	s_mov_b64 s[6:7], -1
	s_cbranch_scc1 .LBB249_809
; %bb.800:
	s_cmp_lt_i32 s8, 3
	s_cbranch_scc1 .LBB249_806
; %bb.801:
	s_cmp_gt_i32 s8, 3
	s_cbranch_scc0 .LBB249_803
; %bb.802:
	v_trunc_f64_e32 v[2:3], v[0:1]
	s_movk_i32 s6, 0xffe0
	v_ldexp_f64 v[8:9], v[2:3], s6
	v_floor_f64_e32 v[8:9], v[8:9]
	v_fmac_f64_e32 v[2:3], 0xc1f00000, v[8:9]
	v_cvt_i32_f64_e32 v11, v[8:9]
	v_cvt_u32_f64_e32 v10, v[2:3]
	s_mov_b64 s[6:7], 0
	global_store_dwordx2 v[4:5], v[10:11], off
.LBB249_803:
	s_andn2_b64 vcc, exec, s[6:7]
	s_cbranch_vccnz .LBB249_805
; %bb.804:
	v_cvt_i32_f64_e32 v2, v[0:1]
	global_store_dword v[4:5], v2, off
.LBB249_805:
	s_mov_b64 s[6:7], 0
.LBB249_806:
	s_andn2_b64 vcc, exec, s[6:7]
	s_cbranch_vccnz .LBB249_808
; %bb.807:
	v_cvt_i32_f64_e32 v2, v[0:1]
	global_store_short v[4:5], v2, off
.LBB249_808:
	s_mov_b64 s[6:7], 0
.LBB249_809:
	s_andn2_b64 vcc, exec, s[6:7]
	s_cbranch_vccnz .LBB249_814
; %bb.810:
	s_cmp_gt_i32 s8, 0
	s_mov_b64 s[6:7], -1
	s_cbranch_scc0 .LBB249_812
; %bb.811:
	v_cvt_i32_f64_e32 v2, v[0:1]
	s_mov_b64 s[6:7], 0
	global_store_byte v[4:5], v2, off
.LBB249_812:
	s_andn2_b64 vcc, exec, s[6:7]
	s_cbranch_vccnz .LBB249_814
; %bb.813:
	v_trunc_f64_e32 v[0:1], v[0:1]
	s_movk_i32 s6, 0xffe0
	v_ldexp_f64 v[2:3], v[0:1], s6
	v_floor_f64_e32 v[2:3], v[2:3]
	v_fmac_f64_e32 v[0:1], 0xc1f00000, v[2:3]
	v_cvt_u32_f64_e32 v0, v[0:1]
	global_store_byte v[4:5], v0, off
.LBB249_814:
	s_mov_b64 s[6:7], -1
.LBB249_815:
	s_andn2_b64 vcc, exec, s[6:7]
	s_cbranch_vccnz .LBB249_817
; %bb.816:
	v_add_u32_e32 v6, 0x80, v6
	s_mov_b64 s[6:7], -1
	s_branch .LBB249_819
.LBB249_817:
	s_mov_b64 s[6:7], 0
.LBB249_818:
                                        ; implicit-def: $vgpr6
.LBB249_819:
	s_andn2_b64 s[8:9], s[62:63], exec
	s_and_b64 s[2:3], s[2:3], exec
	s_or_b64 s[68:69], s[8:9], s[2:3]
	s_andn2_b64 s[2:3], s[60:61], exec
	s_and_b64 s[4:5], s[4:5], exec
	s_or_b64 s[2:3], s[2:3], s[4:5]
	s_orn2_b64 s[6:7], s[6:7], exec
.LBB249_820:
	s_or_b64 exec, exec, s[66:67]
	s_mov_b64 s[4:5], 0
	s_mov_b64 s[10:11], 0
	;; [unrolled: 1-line block ×3, first 2 shown]
                                        ; implicit-def: $vgpr0_vgpr1
                                        ; implicit-def: $vgpr4
                                        ; implicit-def: $vgpr2_vgpr3
	s_and_saveexec_b64 s[66:67], s[6:7]
	s_cbranch_execz .LBB249_920
; %bb.821:
	v_cmp_gt_i32_e32 vcc, s70, v6
	s_mov_b64 s[6:7], 0
	s_mov_b64 s[12:13], s[2:3]
                                        ; implicit-def: $vgpr0_vgpr1
                                        ; implicit-def: $vgpr4
                                        ; implicit-def: $vgpr2_vgpr3
	s_and_saveexec_b64 s[70:71], vcc
	s_cbranch_execz .LBB249_919
; %bb.822:
	s_andn2_b64 vcc, exec, s[42:43]
	s_cbranch_vccnz .LBB249_828
; %bb.823:
	s_andn2_b64 vcc, exec, s[52:53]
	s_cbranch_vccnz .LBB249_829
; %bb.824:
	s_add_i32 s76, s75, 1
	s_cmp_eq_u32 s72, 2
	s_cbranch_scc1 .LBB249_830
; %bb.825:
	s_and_b32 s75, s76, 28
	s_mov_b32 s77, 0
	v_mov_b32_e32 v4, 0
	v_mov_b32_e32 v0, 0
	s_mov_b64 s[52:53], s[34:35]
	s_waitcnt vmcnt(0)
	v_mov_b32_e32 v2, v6
.LBB249_826:                            ; =>This Inner Loop Header: Depth=1
	s_load_dwordx8 s[12:19], s[52:53], 0x4
	s_load_dwordx4 s[36:39], s[52:53], 0x24
	s_load_dwordx8 s[4:11], s[50:51], 0x0
	s_add_u32 s52, s52, 48
	s_addc_u32 s53, s53, 0
	s_waitcnt lgkmcnt(0)
	v_mul_hi_u32 v1, s13, v2
	v_add_u32_e32 v1, v2, v1
	v_lshrrev_b32_e32 v1, s14, v1
	v_mul_lo_u32 v3, v1, s12
	v_mul_hi_u32 v5, s16, v1
	v_sub_u32_e32 v2, v2, v3
	v_add_u32_e32 v3, v1, v5
	v_lshrrev_b32_e32 v3, s17, v3
	v_mul_lo_u32 v7, v3, s15
	v_mul_hi_u32 v8, s19, v3
	v_sub_u32_e32 v1, v1, v7
	v_add_u32_e32 v7, v3, v8
	v_mul_lo_u32 v5, v2, s5
	v_mul_lo_u32 v2, v2, s4
	;; [unrolled: 1-line block ×4, first 2 shown]
	v_lshrrev_b32_e32 v7, s36, v7
	v_add3_u32 v1, v2, v4, v1
	v_mul_lo_u32 v2, v7, s18
	v_mul_hi_u32 v4, s38, v7
	v_sub_u32_e32 v2, v3, v2
	v_add_u32_e32 v3, v7, v4
	v_add3_u32 v0, v5, v0, v8
	v_mul_lo_u32 v4, v2, s8
	v_mul_lo_u32 v5, v2, s9
	v_lshrrev_b32_e32 v2, s39, v3
	s_add_i32 s77, s77, 4
	v_mul_lo_u32 v3, v2, s37
	s_add_u32 s50, s50, 32
	v_sub_u32_e32 v3, v7, v3
	s_addc_u32 s51, s51, 0
	v_mul_lo_u32 v7, v3, s10
	v_mul_lo_u32 v3, v3, s11
	s_cmp_eq_u32 s75, s77
	v_add3_u32 v0, v5, v0, v3
	v_add3_u32 v4, v4, v1, v7
	s_cbranch_scc0 .LBB249_826
; %bb.827:
	v_mov_b32_e32 v1, v0
	s_branch .LBB249_831
.LBB249_828:
	s_mov_b64 s[4:5], -1
                                        ; implicit-def: $vgpr0
                                        ; implicit-def: $vgpr4
	s_branch .LBB249_835
.LBB249_829:
	v_mov_b32_e32 v0, 0
	v_mov_b32_e32 v4, 0
	s_branch .LBB249_834
.LBB249_830:
	v_mov_b32_e32 v4, 0
	s_mov_b32 s75, 0
	v_mov_b32_e32 v1, v4
                                        ; implicit-def: $vgpr0
	s_waitcnt vmcnt(0)
	v_mov_b32_e32 v2, v6
.LBB249_831:
	s_and_b32 s8, s76, 3
	s_cmp_eq_u32 s8, 0
	s_cbranch_scc1 .LBB249_834
; %bb.832:
	s_lshl_b32 s4, s75, 3
	s_add_u32 s4, s34, s4
	s_addc_u32 s5, s35, 0
	s_add_u32 s4, s4, 0xc4
	s_addc_u32 s5, s5, 0
	s_mul_i32 s6, s75, 12
	s_add_u32 s6, s34, s6
	s_addc_u32 s7, s35, 0
.LBB249_833:                            ; =>This Inner Loop Header: Depth=1
	s_load_dwordx2 s[10:11], s[6:7], 0x4
	s_load_dword s9, s[6:7], 0xc
	s_load_dwordx2 s[12:13], s[4:5], 0x0
	v_mov_b32_e32 v0, v1
	s_add_u32 s6, s6, 12
	s_waitcnt lgkmcnt(0)
	v_mul_hi_u32 v1, s11, v2
	v_add_u32_e32 v1, v2, v1
	v_lshrrev_b32_e32 v1, s9, v1
	s_addc_u32 s7, s7, 0
	v_mul_lo_u32 v3, v1, s10
	s_add_u32 s4, s4, 8
	v_sub_u32_e32 v3, v2, v3
	s_addc_u32 s5, s5, 0
	s_add_i32 s8, s8, -1
	v_mov_b32_e32 v2, v1
	v_mad_u64_u32 v[0:1], s[10:11], v3, s13, v[0:1]
	s_cmp_lg_u32 s8, 0
	v_mad_u64_u32 v[4:5], s[10:11], v3, s12, v[4:5]
	v_mov_b32_e32 v1, v0
	s_cbranch_scc1 .LBB249_833
.LBB249_834:
	s_mov_b64 s[4:5], 0
.LBB249_835:
	s_andn2_b64 vcc, exec, s[4:5]
	s_cbranch_vccnz .LBB249_838
; %bb.836:
	s_waitcnt lgkmcnt(0)
	v_mul_hi_u32 v0, s29, v6
	v_add_u32_e32 v0, v6, v0
	v_lshrrev_b32_e32 v1, s30, v0
	v_mul_lo_u32 v0, v1, s28
	s_waitcnt vmcnt(0)
	v_sub_u32_e32 v2, v6, v0
	v_mul_lo_u32 v0, v2, s25
	s_andn2_b64 vcc, exec, s[48:49]
	v_mul_lo_u32 v4, v2, s24
	s_cbranch_vccnz .LBB249_838
; %bb.837:
	v_mul_hi_u32 v2, s46, v1
	v_add_u32_e32 v2, v1, v2
	v_lshrrev_b32_e32 v2, s47, v2
	v_mul_lo_u32 v2, v2, s31
	v_sub_u32_e32 v1, v1, v2
	v_mad_u64_u32 v[4:5], s[4:5], v1, s26, v[4:5]
	v_mad_u64_u32 v[0:1], s[4:5], v1, s27, v[0:1]
.LBB249_838:
	v_mov_b32_e32 v1, 0
	s_and_b32 s14, 0xffff, s74
	s_cmp_lt_i32 s14, 11
	s_waitcnt lgkmcnt(0)
	v_lshl_add_u64 v[0:1], s[22:23], 0, v[0:1]
	s_cbranch_scc1 .LBB249_845
; %bb.839:
	s_cmp_gt_i32 s14, 25
	s_mov_b64 s[6:7], 0
	s_cbranch_scc0 .LBB249_846
; %bb.840:
	s_cmp_gt_i32 s14, 28
	s_cbranch_scc0 .LBB249_847
; %bb.841:
	s_cmp_gt_i32 s14, 43
	;; [unrolled: 3-line block ×3, first 2 shown]
	s_cbranch_scc0 .LBB249_851
; %bb.843:
	s_cmp_eq_u32 s14, 46
	s_mov_b64 s[10:11], 0
	s_cbranch_scc0 .LBB249_854
; %bb.844:
	global_load_dword v2, v[0:1], off
	s_mov_b64 s[4:5], 0
	s_mov_b64 s[8:9], -1
	s_waitcnt vmcnt(0)
	v_lshlrev_b32_e32 v2, 16, v2
	v_cvt_f64_f32_e32 v[2:3], v2
	s_branch .LBB249_855
.LBB249_845:
	s_mov_b64 s[10:11], -1
	s_mov_b64 s[8:9], 0
	s_mov_b64 s[6:7], 0
	;; [unrolled: 1-line block ×3, first 2 shown]
                                        ; implicit-def: $vgpr2_vgpr3
	s_branch .LBB249_918
.LBB249_846:
	s_mov_b64 s[10:11], -1
	s_mov_b64 s[8:9], 0
	s_mov_b64 s[4:5], s[2:3]
                                        ; implicit-def: $vgpr2_vgpr3
	s_branch .LBB249_886
.LBB249_847:
	s_mov_b64 s[10:11], -1
	s_mov_b64 s[8:9], 0
	s_mov_b64 s[4:5], s[2:3]
                                        ; implicit-def: $vgpr2_vgpr3
	s_branch .LBB249_865
.LBB249_848:
	s_mov_b64 s[10:11], -1
	s_mov_b64 s[8:9], 0
	s_mov_b64 s[4:5], s[2:3]
                                        ; implicit-def: $vgpr2_vgpr3
	s_branch .LBB249_860
.LBB249_849:
	s_andn2_saveexec_b64 s[10:11], s[10:11]
	s_cbranch_execz .LBB249_728
.LBB249_850:
	s_mov_b32 s14, 0x46000000
	v_add_f32_e64 v8, |v7|, s14
	v_and_b32_e32 v8, 0xff, v8
	v_cmp_ne_u32_e32 vcc, 0, v8
	s_andn2_b64 s[8:9], s[8:9], exec
	s_and_b64 s[14:15], vcc, exec
	s_or_b64 s[8:9], s[8:9], s[14:15]
	s_or_b64 exec, exec, s[10:11]
	v_mov_b32_e32 v9, 0
	s_and_saveexec_b64 s[10:11], s[8:9]
	s_cbranch_execnz .LBB249_729
	s_branch .LBB249_730
.LBB249_851:
	s_mov_b64 s[10:11], -1
	s_mov_b64 s[8:9], 0
	s_mov_b64 s[4:5], s[2:3]
                                        ; implicit-def: $vgpr2_vgpr3
	s_branch .LBB249_855
.LBB249_852:
	s_andn2_saveexec_b64 s[10:11], s[10:11]
	s_cbranch_execz .LBB249_741
.LBB249_853:
	s_mov_b32 s14, 0x42800000
	v_add_f32_e64 v8, |v7|, s14
	v_and_b32_e32 v8, 0xff, v8
	v_cmp_ne_u32_e32 vcc, 0, v8
	s_andn2_b64 s[8:9], s[8:9], exec
	s_and_b64 s[14:15], vcc, exec
	s_or_b64 s[8:9], s[8:9], s[14:15]
	s_or_b64 exec, exec, s[10:11]
	v_mov_b32_e32 v9, 0
	s_and_saveexec_b64 s[10:11], s[8:9]
	s_cbranch_execnz .LBB249_742
	s_branch .LBB249_743
.LBB249_854:
	s_mov_b64 s[4:5], -1
                                        ; implicit-def: $vgpr2_vgpr3
	s_mov_b64 s[8:9], 0
.LBB249_855:
	s_and_b64 vcc, exec, s[10:11]
	s_cbranch_vccz .LBB249_859
; %bb.856:
	s_cmp_eq_u32 s14, 44
	s_cbranch_scc0 .LBB249_858
; %bb.857:
	global_load_ubyte v5, v[0:1], off
	s_movk_i32 s8, 0xff
	v_bfrev_b32_e32 v6, 4
	v_mov_b32_e32 v7, 0x7ff80000
	v_bfrev_b32_e32 v8, 28
	s_mov_b64 s[4:5], 0
	s_waitcnt vmcnt(0)
	v_lshlrev_b32_e32 v2, 23, v5
	v_cvt_f64_f32_e32 v[2:3], v2
	v_cmp_ne_u32_e32 vcc, s8, v5
	s_mov_b64 s[8:9], -1
	s_nop 0
	v_cndmask_b32_e32 v2, v6, v2, vcc
	v_cndmask_b32_e32 v3, v7, v3, vcc
	v_cmp_ne_u32_e32 vcc, 0, v5
	s_nop 1
	v_cndmask_b32_e32 v3, v8, v3, vcc
	v_cndmask_b32_e32 v2, 0, v2, vcc
	s_branch .LBB249_859
.LBB249_858:
	s_mov_b64 s[4:5], -1
                                        ; implicit-def: $vgpr2_vgpr3
.LBB249_859:
	s_mov_b64 s[10:11], 0
.LBB249_860:
	s_and_b64 vcc, exec, s[10:11]
	s_cbranch_vccz .LBB249_864
; %bb.861:
	s_cmp_eq_u32 s14, 29
	s_cbranch_scc0 .LBB249_863
; %bb.862:
	global_load_dwordx2 v[2:3], v[0:1], off
	s_mov_b64 s[4:5], 0
	s_mov_b64 s[8:9], -1
	s_mov_b64 s[10:11], 0
	s_waitcnt vmcnt(0)
	v_cvt_f64_u32_e32 v[6:7], v3
	v_cvt_f64_u32_e32 v[2:3], v2
	v_ldexp_f64 v[6:7], v[6:7], 32
	v_add_f64 v[2:3], v[6:7], v[2:3]
	s_branch .LBB249_865
.LBB249_863:
	s_mov_b64 s[4:5], -1
                                        ; implicit-def: $vgpr2_vgpr3
.LBB249_864:
	s_mov_b64 s[10:11], 0
.LBB249_865:
	s_and_b64 vcc, exec, s[10:11]
	s_cbranch_vccz .LBB249_885
; %bb.866:
	s_cmp_lt_i32 s14, 27
	s_cbranch_scc1 .LBB249_869
; %bb.867:
	s_cmp_gt_i32 s14, 27
	s_cbranch_scc0 .LBB249_870
; %bb.868:
	global_load_dword v2, v[0:1], off
	s_mov_b64 s[8:9], 0
	s_waitcnt vmcnt(0)
	v_cvt_f64_u32_e32 v[2:3], v2
	s_branch .LBB249_871
.LBB249_869:
	s_mov_b64 s[8:9], -1
                                        ; implicit-def: $vgpr2_vgpr3
	s_branch .LBB249_874
.LBB249_870:
	s_mov_b64 s[8:9], -1
                                        ; implicit-def: $vgpr2_vgpr3
.LBB249_871:
	s_andn2_b64 vcc, exec, s[8:9]
	s_cbranch_vccnz .LBB249_873
; %bb.872:
	global_load_ushort v2, v[0:1], off
	s_waitcnt vmcnt(0)
	v_cvt_f64_u32_e32 v[2:3], v2
.LBB249_873:
	s_mov_b64 s[8:9], 0
.LBB249_874:
	s_andn2_b64 vcc, exec, s[8:9]
	s_cbranch_vccnz .LBB249_884
; %bb.875:
	global_load_ubyte v5, v[0:1], off
	s_movk_i32 s8, 0x7f
	s_waitcnt vmcnt(0)
	v_cmp_lt_i16_e32 vcc, s8, v5
	s_mov_b64 s[8:9], 0
	s_and_saveexec_b64 s[10:11], vcc
	s_xor_b64 s[10:11], exec, s[10:11]
	s_cbranch_execz .LBB249_879
; %bb.876:
	s_movk_i32 s8, 0x80
	v_cmp_eq_u16_e32 vcc, s8, v5
	s_mov_b64 s[8:9], -1
	s_and_saveexec_b64 s[12:13], vcc
; %bb.877:
	s_xor_b64 s[8:9], exec, -1
; %bb.878:
	s_or_b64 exec, exec, s[12:13]
	s_and_b64 s[8:9], s[8:9], exec
.LBB249_879:
	s_or_saveexec_b64 s[10:11], s[10:11]
	v_bfrev_b32_e32 v2, 4
	v_mov_b32_e32 v3, 0x7ff80000
	s_xor_b64 exec, exec, s[10:11]
; %bb.880:
	v_cmp_ne_u16_e32 vcc, 0, v5
	s_andn2_b64 s[8:9], s[8:9], exec
	s_and_b64 s[12:13], vcc, exec
	v_mov_b64_e32 v[2:3], 0
	s_or_b64 s[8:9], s[8:9], s[12:13]
; %bb.881:
	s_or_b64 exec, exec, s[10:11]
	s_and_saveexec_b64 s[10:11], s[8:9]
	s_cbranch_execz .LBB249_883
; %bb.882:
	v_and_b32_e32 v3, 0xffff, v5
	v_lshlrev_b32_e32 v2, 24, v5
	v_and_b32_e32 v5, 7, v3
	v_ffbh_u32_e32 v7, v5
	v_min_u32_e32 v7, 32, v7
	v_subrev_u32_e32 v8, 28, v7
	v_bfe_u32 v6, v3, 3, 4
	v_lshlrev_b32_e32 v3, v8, v3
	v_sub_u32_e32 v7, 29, v7
	v_and_b32_e32 v3, 7, v3
	v_cmp_eq_u32_e32 vcc, 0, v6
	v_and_b32_e32 v2, 0x80000000, v2
	s_nop 0
	v_cndmask_b32_e32 v6, v6, v7, vcc
	v_cndmask_b32_e32 v3, v5, v3, vcc
	v_mov_b32_e32 v5, 0x3b800000
	v_lshlrev_b32_e32 v3, 20, v3
	v_lshl_add_u32 v5, v6, 23, v5
	v_or3_b32 v2, v2, v5, v3
	v_cvt_f64_f32_e32 v[2:3], v2
.LBB249_883:
	s_or_b64 exec, exec, s[10:11]
.LBB249_884:
	s_mov_b64 s[8:9], -1
.LBB249_885:
	s_mov_b64 s[10:11], 0
.LBB249_886:
	s_and_b64 vcc, exec, s[10:11]
	s_cbranch_vccz .LBB249_917
; %bb.887:
	s_cmp_gt_i32 s14, 22
	s_cbranch_scc0 .LBB249_899
; %bb.888:
	s_cmp_lt_i32 s14, 24
	s_cbranch_scc1 .LBB249_900
; %bb.889:
	s_cmp_gt_i32 s14, 24
	s_cbranch_scc0 .LBB249_901
; %bb.890:
	global_load_ubyte v5, v[0:1], off
	s_movk_i32 s6, 0x7f
	s_waitcnt vmcnt(0)
	v_cmp_lt_i16_e32 vcc, s6, v5
	s_mov_b64 s[6:7], 0
	s_and_saveexec_b64 s[8:9], vcc
	s_xor_b64 s[8:9], exec, s[8:9]
	s_cbranch_execz .LBB249_894
; %bb.891:
	s_movk_i32 s6, 0x80
	v_cmp_eq_u16_e32 vcc, s6, v5
	s_mov_b64 s[6:7], -1
	s_and_saveexec_b64 s[10:11], vcc
; %bb.892:
	s_xor_b64 s[6:7], exec, -1
; %bb.893:
	s_or_b64 exec, exec, s[10:11]
	s_and_b64 s[6:7], s[6:7], exec
.LBB249_894:
	s_or_saveexec_b64 s[8:9], s[8:9]
	v_bfrev_b32_e32 v2, 4
	v_mov_b32_e32 v3, 0x7ff80000
	s_xor_b64 exec, exec, s[8:9]
; %bb.895:
	v_cmp_ne_u16_e32 vcc, 0, v5
	s_andn2_b64 s[6:7], s[6:7], exec
	s_and_b64 s[10:11], vcc, exec
	v_mov_b64_e32 v[2:3], 0
	s_or_b64 s[6:7], s[6:7], s[10:11]
; %bb.896:
	s_or_b64 exec, exec, s[8:9]
	s_and_saveexec_b64 s[8:9], s[6:7]
	s_cbranch_execz .LBB249_898
; %bb.897:
	v_and_b32_e32 v3, 0xffff, v5
	v_lshlrev_b32_e32 v2, 24, v5
	v_and_b32_e32 v5, 3, v3
	v_ffbh_u32_e32 v7, v5
	v_min_u32_e32 v7, 32, v7
	v_subrev_u32_e32 v8, 29, v7
	v_bfe_u32 v6, v3, 2, 5
	v_lshlrev_b32_e32 v3, v8, v3
	v_sub_u32_e32 v7, 30, v7
	v_and_b32_e32 v3, 3, v3
	v_cmp_eq_u32_e32 vcc, 0, v6
	v_and_b32_e32 v2, 0x80000000, v2
	s_nop 0
	v_cndmask_b32_e32 v6, v6, v7, vcc
	v_cndmask_b32_e32 v3, v5, v3, vcc
	v_mov_b32_e32 v5, 0x37800000
	v_lshlrev_b32_e32 v3, 21, v3
	v_lshl_add_u32 v5, v6, 23, v5
	v_or3_b32 v2, v2, v5, v3
	v_cvt_f64_f32_e32 v[2:3], v2
.LBB249_898:
	s_or_b64 exec, exec, s[8:9]
	s_mov_b64 s[6:7], 0
	s_branch .LBB249_902
.LBB249_899:
	s_mov_b64 s[6:7], -1
                                        ; implicit-def: $vgpr2_vgpr3
	s_branch .LBB249_908
.LBB249_900:
	s_mov_b64 s[6:7], -1
                                        ; implicit-def: $vgpr2_vgpr3
	s_branch .LBB249_905
.LBB249_901:
	s_mov_b64 s[6:7], -1
                                        ; implicit-def: $vgpr2_vgpr3
.LBB249_902:
	s_and_b64 vcc, exec, s[6:7]
	s_cbranch_vccz .LBB249_904
; %bb.903:
	global_load_ubyte v2, v[0:1], off
	s_mov_b32 s6, 0x7f800000
	s_waitcnt vmcnt(0)
	v_lshlrev_b32_e32 v2, 24, v2
	v_and_b32_e32 v3, 0x7f000000, v2
	v_ffbh_u32_e32 v5, v3
	v_min_u32_e32 v5, 32, v5
	v_sub_u32_e64 v5, v5, 4 clamp
	v_lshlrev_b32_e32 v7, v5, v3
	v_lshlrev_b32_e32 v5, 23, v5
	v_lshrrev_b32_e32 v7, 4, v7
	v_add_u32_e32 v6, 0x1000000, v3
	v_sub_u32_e32 v5, v7, v5
	v_ashrrev_i32_e32 v6, 8, v6
	v_add_u32_e32 v5, 0x3c000000, v5
	v_and_or_b32 v5, v6, s6, v5
	v_cmp_ne_u32_e32 vcc, 0, v3
	s_brev_b32 s6, 1
	s_nop 0
	v_cndmask_b32_e32 v3, 0, v5, vcc
	v_and_or_b32 v2, v2, s6, v3
	v_cvt_f64_f32_e32 v[2:3], v2
.LBB249_904:
	s_mov_b64 s[6:7], 0
.LBB249_905:
	s_andn2_b64 vcc, exec, s[6:7]
	s_cbranch_vccnz .LBB249_907
; %bb.906:
	global_load_ubyte v2, v[0:1], off
	s_movk_i32 s6, 0x7f00
	s_brev_b32 s7, 16
	s_waitcnt vmcnt(0)
	v_lshlrev_b16_e32 v3, 8, v2
	v_lshlrev_b32_e32 v2, 25, v2
	v_lshrrev_b32_e32 v5, 4, v2
	v_and_or_b32 v6, v3, s6, 0.5
	v_or_b32_e32 v5, 0x70000000, v5
	v_add_f32_e32 v6, -0.5, v6
	v_mul_f32_e32 v5, 0x7800000, v5
	v_cmp_gt_u32_e32 vcc, s7, v2
	v_bfe_i32 v3, v3, 0, 16
	s_brev_b32 s6, 1
	v_cndmask_b32_e32 v2, v5, v6, vcc
	v_and_or_b32 v2, v3, s6, v2
	v_cvt_f64_f32_e32 v[2:3], v2
.LBB249_907:
	s_mov_b64 s[6:7], 0
	s_mov_b64 s[8:9], -1
.LBB249_908:
	s_andn2_b64 vcc, exec, s[6:7]
	s_mov_b64 s[6:7], 0
	s_cbranch_vccnz .LBB249_917
; %bb.909:
	s_cmp_gt_i32 s14, 14
	s_cbranch_scc0 .LBB249_912
; %bb.910:
	s_cmp_eq_u32 s14, 15
	s_cbranch_scc0 .LBB249_913
; %bb.911:
	global_load_ushort v2, v[0:1], off
	s_mov_b64 s[4:5], 0
	s_mov_b64 s[8:9], -1
	s_waitcnt vmcnt(0)
	v_lshlrev_b32_e32 v2, 16, v2
	v_cvt_f64_f32_e32 v[2:3], v2
	s_branch .LBB249_914
.LBB249_912:
	s_mov_b64 s[10:11], -1
                                        ; implicit-def: $vgpr2_vgpr3
	s_branch .LBB249_915
.LBB249_913:
	s_mov_b64 s[4:5], -1
                                        ; implicit-def: $vgpr2_vgpr3
.LBB249_914:
	s_mov_b64 s[10:11], 0
.LBB249_915:
	s_and_b64 vcc, exec, s[10:11]
	s_cbranch_vccz .LBB249_917
; %bb.916:
	s_cmp_lg_u32 s14, 11
	s_cselect_b64 s[10:11], -1, 0
	s_andn2_b64 s[4:5], s[4:5], exec
	s_and_b64 s[10:11], s[10:11], exec
	s_mov_b64 s[6:7], -1
	s_or_b64 s[4:5], s[4:5], s[10:11]
.LBB249_917:
	s_mov_b64 s[10:11], 0
.LBB249_918:
	s_andn2_b64 s[12:13], s[2:3], exec
	s_and_b64 s[4:5], s[4:5], exec
	s_and_b64 s[8:9], s[8:9], exec
	;; [unrolled: 1-line block ×4, first 2 shown]
	s_or_b64 s[12:13], s[12:13], s[4:5]
.LBB249_919:
	s_or_b64 exec, exec, s[70:71]
	s_and_b64 s[4:5], s[6:7], exec
	s_andn2_b64 s[2:3], s[2:3], exec
	s_and_b64 s[6:7], s[12:13], exec
	s_and_b64 s[8:9], s[8:9], exec
	;; [unrolled: 1-line block ×3, first 2 shown]
	s_or_b64 s[2:3], s[2:3], s[6:7]
.LBB249_920:
	s_or_b64 exec, exec, s[66:67]
	s_andn2_b64 s[6:7], s[62:63], exec
	s_and_b64 s[12:13], s[68:69], exec
	s_or_b64 s[62:63], s[6:7], s[12:13]
	s_and_b64 s[6:7], s[10:11], exec
	s_andn2_b64 s[10:11], s[60:61], exec
	s_and_b64 s[2:3], s[2:3], exec
	s_and_b64 s[8:9], s[8:9], exec
	;; [unrolled: 1-line block ×3, first 2 shown]
	s_or_b64 s[60:61], s[10:11], s[2:3]
.LBB249_921:
	s_or_b64 exec, exec, s[64:65]
	s_andn2_b64 s[2:3], s[54:55], exec
	s_and_b64 s[10:11], s[62:63], exec
	s_or_b64 s[54:55], s[2:3], s[10:11]
	s_and_b64 s[2:3], s[8:9], exec
	s_and_b64 s[8:9], s[6:7], exec
	;; [unrolled: 1-line block ×3, first 2 shown]
	s_andn2_b64 s[4:5], s[56:57], exec
	s_and_b64 s[6:7], s[60:61], exec
	s_or_b64 s[56:57], s[4:5], s[6:7]
	s_or_b64 exec, exec, s[58:59]
	s_mov_b64 s[4:5], 0
	s_and_saveexec_b64 s[6:7], s[56:57]
	s_cbranch_execz .LBB249_276
.LBB249_922:
	s_mov_b64 s[4:5], exec
	s_andn2_b64 s[62:63], s[62:63], exec
	s_trap 2
	s_or_b64 exec, exec, s[6:7]
	s_and_saveexec_b64 s[6:7], s[62:63]
	s_xor_b64 s[6:7], exec, s[6:7]
	s_cbranch_execnz .LBB249_277
.LBB249_923:
	s_or_b64 exec, exec, s[6:7]
	s_and_saveexec_b64 s[6:7], s[8:9]
	s_cbranch_execz .LBB249_969
.LBB249_924:
	s_sext_i32_i16 s8, s74
	s_cmp_lt_i32 s8, 5
	s_cbranch_scc1 .LBB249_929
; %bb.925:
	s_cmp_lt_i32 s8, 8
	s_cbranch_scc1 .LBB249_930
; %bb.926:
	s_cmp_lt_i32 s8, 9
	s_cbranch_scc1 .LBB249_931
; %bb.927:
	s_cmp_gt_i32 s8, 9
	s_cbranch_scc0 .LBB249_932
; %bb.928:
	global_load_dwordx2 v[2:3], v[0:1], off
	s_mov_b64 s[8:9], 0
	s_branch .LBB249_933
.LBB249_929:
                                        ; implicit-def: $vgpr2_vgpr3
	s_branch .LBB249_950
.LBB249_930:
                                        ; implicit-def: $vgpr2_vgpr3
	s_branch .LBB249_939
.LBB249_931:
	s_mov_b64 s[8:9], -1
                                        ; implicit-def: $vgpr2_vgpr3
	s_branch .LBB249_936
.LBB249_932:
	s_mov_b64 s[8:9], -1
                                        ; implicit-def: $vgpr2_vgpr3
.LBB249_933:
	s_andn2_b64 vcc, exec, s[8:9]
	s_cbranch_vccnz .LBB249_935
; %bb.934:
	global_load_dword v2, v[0:1], off
	s_waitcnt vmcnt(0)
	v_cvt_f64_f32_e32 v[2:3], v2
.LBB249_935:
	s_mov_b64 s[8:9], 0
.LBB249_936:
	s_andn2_b64 vcc, exec, s[8:9]
	s_cbranch_vccnz .LBB249_938
; %bb.937:
	global_load_dword v2, v[0:1], off
	s_waitcnt vmcnt(0)
	v_cvt_f32_f16_e32 v2, v2
	v_cvt_f64_f32_e32 v[2:3], v2
.LBB249_938:
	s_cbranch_execnz .LBB249_949
.LBB249_939:
	s_sext_i32_i16 s8, s74
	s_cmp_lt_i32 s8, 6
	s_cbranch_scc1 .LBB249_942
; %bb.940:
	s_cmp_gt_i32 s8, 6
	s_cbranch_scc0 .LBB249_943
; %bb.941:
	global_load_dwordx2 v[2:3], v[0:1], off
	s_mov_b64 s[8:9], 0
	s_branch .LBB249_944
.LBB249_942:
	s_mov_b64 s[8:9], -1
                                        ; implicit-def: $vgpr2_vgpr3
	s_branch .LBB249_947
.LBB249_943:
	s_mov_b64 s[8:9], -1
                                        ; implicit-def: $vgpr2_vgpr3
.LBB249_944:
	s_andn2_b64 vcc, exec, s[8:9]
	s_cbranch_vccnz .LBB249_946
; %bb.945:
	global_load_dword v2, v[0:1], off
	s_waitcnt vmcnt(0)
	v_cvt_f64_f32_e32 v[2:3], v2
.LBB249_946:
	s_mov_b64 s[8:9], 0
.LBB249_947:
	s_andn2_b64 vcc, exec, s[8:9]
	s_cbranch_vccnz .LBB249_949
; %bb.948:
	global_load_ushort v2, v[0:1], off
	s_waitcnt vmcnt(0)
	v_cvt_f32_f16_e32 v2, v2
	v_cvt_f64_f32_e32 v[2:3], v2
.LBB249_949:
	s_cbranch_execnz .LBB249_968
.LBB249_950:
	s_sext_i32_i16 s8, s74
	s_cmp_lt_i32 s8, 2
	s_cbranch_scc1 .LBB249_954
; %bb.951:
	s_cmp_lt_i32 s8, 3
	s_cbranch_scc1 .LBB249_955
; %bb.952:
	s_cmp_gt_i32 s8, 3
	s_cbranch_scc0 .LBB249_956
; %bb.953:
	global_load_dwordx2 v[2:3], v[0:1], off
	s_mov_b64 s[8:9], 0
	s_waitcnt vmcnt(0)
	v_cvt_f64_i32_e32 v[6:7], v3
	v_cvt_f64_u32_e32 v[2:3], v2
	v_ldexp_f64 v[6:7], v[6:7], 32
	v_add_f64 v[2:3], v[6:7], v[2:3]
	s_branch .LBB249_957
.LBB249_954:
                                        ; implicit-def: $vgpr2_vgpr3
	s_branch .LBB249_963
.LBB249_955:
	s_mov_b64 s[8:9], -1
                                        ; implicit-def: $vgpr2_vgpr3
	s_branch .LBB249_960
.LBB249_956:
	s_mov_b64 s[8:9], -1
                                        ; implicit-def: $vgpr2_vgpr3
.LBB249_957:
	s_andn2_b64 vcc, exec, s[8:9]
	s_cbranch_vccnz .LBB249_959
; %bb.958:
	global_load_dword v2, v[0:1], off
	s_waitcnt vmcnt(0)
	v_cvt_f64_i32_e32 v[2:3], v2
.LBB249_959:
	s_mov_b64 s[8:9], 0
.LBB249_960:
	s_andn2_b64 vcc, exec, s[8:9]
	s_cbranch_vccnz .LBB249_962
; %bb.961:
	global_load_sshort v2, v[0:1], off
	s_waitcnt vmcnt(0)
	v_cvt_f64_i32_e32 v[2:3], v2
.LBB249_962:
	s_cbranch_execnz .LBB249_968
.LBB249_963:
	s_sext_i32_i16 s8, s74
	s_cmp_gt_i32 s8, 0
	s_cbranch_scc0 .LBB249_965
; %bb.964:
	global_load_sbyte v2, v[0:1], off
	s_mov_b64 s[8:9], 0
	s_waitcnt vmcnt(0)
	v_cvt_f64_i32_e32 v[2:3], v2
	s_branch .LBB249_966
.LBB249_965:
	s_mov_b64 s[8:9], -1
                                        ; implicit-def: $vgpr2_vgpr3
.LBB249_966:
	s_andn2_b64 vcc, exec, s[8:9]
	s_cbranch_vccnz .LBB249_968
; %bb.967:
	global_load_ubyte v0, v[0:1], off
	s_waitcnt vmcnt(0)
	v_cvt_f64_u32_e32 v[2:3], v0
.LBB249_968:
	s_or_b64 s[2:3], s[2:3], exec
.LBB249_969:
	s_or_b64 exec, exec, s[6:7]
	s_mov_b64 s[10:11], 0
	s_mov_b64 s[8:9], 0
                                        ; implicit-def: $sgpr16
                                        ; implicit-def: $vgpr6_vgpr7
                                        ; implicit-def: $vgpr0_vgpr1
	s_and_saveexec_b64 s[6:7], s[2:3]
	s_cbranch_execz .LBB249_1044
; %bb.970:
	s_mov_b32 s2, 0
	s_brev_b32 s3, 8
	v_mov_b32_e32 v0, 0x100
	s_waitcnt vmcnt(0)
	v_cmp_gt_f64_e32 vcc, s[2:3], v[2:3]
	v_mov_b32_e32 v5, 0xffffff80
	s_and_b32 s16, s73, 0xff
	v_cndmask_b32_e32 v0, 0, v0, vcc
	v_ldexp_f64 v[0:1], v[2:3], v0
	v_rsq_f64_e32 v[6:7], v[0:1]
	v_cndmask_b32_e32 v5, 0, v5, vcc
	s_cmp_lt_i32 s16, 11
	v_mul_f64 v[8:9], v[0:1], v[6:7]
	v_mul_f64 v[6:7], v[6:7], 0.5
	v_fma_f64 v[10:11], -v[6:7], v[8:9], 0.5
	v_fmac_f64_e32 v[8:9], v[8:9], v[10:11]
	v_fma_f64 v[12:13], -v[8:9], v[8:9], v[0:1]
	v_fmac_f64_e32 v[6:7], v[6:7], v[10:11]
	v_fmac_f64_e32 v[8:9], v[12:13], v[6:7]
	v_fma_f64 v[10:11], -v[8:9], v[8:9], v[0:1]
	v_fmac_f64_e32 v[8:9], v[10:11], v[6:7]
	v_ldexp_f64 v[6:7], v[8:9], v5
	v_mov_b32_e32 v5, 0x260
	v_cmp_class_f64_e32 vcc, v[0:1], v5
	v_mov_b32_e32 v5, 0
	s_nop 0
	v_cndmask_b32_e32 v1, v7, v1, vcc
	v_cndmask_b32_e32 v0, v6, v0, vcc
	s_waitcnt lgkmcnt(0)
	v_lshl_add_u64 v[6:7], s[20:21], 0, v[4:5]
	s_cbranch_scc1 .LBB249_1047
; %bb.971:
	s_and_b32 s17, 0xffff, s16
	s_mov_b64 s[10:11], -1
	s_cmp_gt_i32 s17, 25
	s_mov_b64 s[2:3], s[54:55]
	s_cbranch_scc0 .LBB249_1004
; %bb.972:
	s_mov_b64 s[8:9], -1
	s_cmp_gt_i32 s17, 28
	s_mov_b64 s[2:3], s[54:55]
	s_cbranch_scc0 .LBB249_988
; %bb.973:
	s_cmp_gt_i32 s17, 43
	s_mov_b64 s[2:3], s[54:55]
	s_cbranch_scc0 .LBB249_984
; %bb.974:
	;; [unrolled: 4-line block ×3, first 2 shown]
	s_cmp_eq_u32 s17, 46
	s_mov_b64 s[2:3], -1
	s_cbranch_scc0 .LBB249_977
; %bb.976:
	v_cvt_f32_f64_e32 v4, v[0:1]
	v_bfe_u32 v5, v4, 16, 1
	s_movk_i32 s2, 0x7fff
	v_add3_u32 v5, v4, v5, s2
	v_cmp_o_f32_e32 vcc, v4, v4
	v_mov_b32_e32 v4, 0x7fc0
	s_mov_b64 s[2:3], 0
	v_cndmask_b32_sdwa v4, v4, v5, vcc dst_sel:DWORD dst_unused:UNUSED_PAD src0_sel:DWORD src1_sel:WORD_1
	global_store_dword v[6:7], v4, off
.LBB249_977:
	s_mov_b64 s[8:9], 0
.LBB249_978:
	s_and_b64 vcc, exec, s[8:9]
	s_cbranch_vccz .LBB249_983
; %bb.979:
	s_cmp_eq_u32 s17, 44
	s_mov_b64 s[2:3], -1
	s_cbranch_scc0 .LBB249_983
; %bb.980:
	v_cvt_f32_f64_e32 v4, v[0:1]
	v_bfe_u32 v5, v4, 23, 8
	s_movk_i32 s2, 0xff
	v_cmp_ne_u32_e32 vcc, s2, v5
	v_mov_b32_e32 v8, 0xff
	s_and_saveexec_b64 s[8:9], vcc
; %bb.981:
	s_mov_b32 s2, 0x3fffff
	v_lshrrev_b32_e32 v8, 23, v4
	v_and_b32_e32 v9, 0x400000, v4
	v_and_or_b32 v4, v4, s2, v5
	v_cmp_ne_u32_e32 vcc, 0, v9
	v_cmp_ne_u32_e64 s[2:3], 0, v4
	s_and_b64 s[2:3], vcc, s[2:3]
	s_nop 0
	v_cndmask_b32_e64 v4, 0, 1, s[2:3]
	v_add_u32_e32 v8, v8, v4
; %bb.982:
	s_or_b64 exec, exec, s[8:9]
	s_mov_b64 s[2:3], 0
	global_store_byte v[6:7], v8, off
.LBB249_983:
	s_mov_b64 s[8:9], 0
.LBB249_984:
	s_and_b64 vcc, exec, s[8:9]
	s_cbranch_vccz .LBB249_987
; %bb.985:
	s_cmp_eq_u32 s17, 29
	s_mov_b64 s[2:3], -1
	s_cbranch_scc0 .LBB249_987
; %bb.986:
	v_trunc_f64_e32 v[4:5], v[0:1]
	s_movk_i32 s2, 0xffe0
	v_ldexp_f64 v[8:9], v[4:5], s2
	v_floor_f64_e32 v[8:9], v[8:9]
	v_fmac_f64_e32 v[4:5], 0xc1f00000, v[8:9]
	v_cvt_u32_f64_e32 v11, v[8:9]
	v_cvt_u32_f64_e32 v10, v[4:5]
	global_store_dwordx2 v[6:7], v[10:11], off
	s_mov_b64 s[2:3], 0
.LBB249_987:
	s_mov_b64 s[8:9], 0
.LBB249_988:
	s_and_b64 vcc, exec, s[8:9]
	s_cbranch_vccz .LBB249_1003
; %bb.989:
	s_cmp_lt_i32 s17, 27
	s_mov_b64 s[8:9], -1
	s_cbranch_scc1 .LBB249_995
; %bb.990:
	s_cmp_gt_i32 s17, 27
	s_cbranch_scc0 .LBB249_992
; %bb.991:
	v_cvt_u32_f64_e32 v4, v[0:1]
	s_mov_b64 s[8:9], 0
	global_store_dword v[6:7], v4, off
.LBB249_992:
	s_andn2_b64 vcc, exec, s[8:9]
	s_cbranch_vccnz .LBB249_994
; %bb.993:
	v_cvt_u32_f64_e32 v4, v[0:1]
	global_store_short v[6:7], v4, off
.LBB249_994:
	s_mov_b64 s[8:9], 0
.LBB249_995:
	s_andn2_b64 vcc, exec, s[8:9]
	s_cbranch_vccnz .LBB249_1003
; %bb.996:
	v_cvt_f32_f64_e32 v4, v[0:1]
	v_and_b32_e32 v5, 0x7fffffff, v4
	s_mov_b32 s8, 0x43800000
	v_cmp_gt_u32_e32 vcc, s8, v5
	v_mov_b32_e32 v8, 0x80
	s_and_saveexec_b64 s[8:9], vcc
	s_cbranch_execz .LBB249_1002
; %bb.997:
	s_mov_b32 s10, 0x3bffffff
	v_cmp_lt_u32_e32 vcc, s10, v5
	s_mov_b64 s[10:11], 0
                                        ; implicit-def: $vgpr5
	s_and_saveexec_b64 s[12:13], vcc
	s_xor_b64 s[12:13], exec, s[12:13]
	s_cbranch_execz .LBB249_1160
; %bb.998:
	v_bfe_u32 v5, v4, 20, 1
	s_mov_b32 s14, 0x487ffff
	v_add3_u32 v5, v4, v5, s14
	s_mov_b64 s[10:11], exec
	v_lshrrev_b32_e32 v5, 20, v5
	s_andn2_saveexec_b64 s[12:13], s[12:13]
	s_cbranch_execnz .LBB249_1161
.LBB249_999:
	s_or_b64 exec, exec, s[12:13]
	v_mov_b32_e32 v8, 0
	s_and_saveexec_b64 s[12:13], s[10:11]
.LBB249_1000:
	v_lshrrev_b32_e32 v4, 24, v4
	s_movk_i32 s10, 0x80
	v_and_or_b32 v8, v4, s10, v5
.LBB249_1001:
	s_or_b64 exec, exec, s[12:13]
.LBB249_1002:
	s_or_b64 exec, exec, s[8:9]
	global_store_byte v[6:7], v8, off
.LBB249_1003:
	s_mov_b64 s[10:11], 0
.LBB249_1004:
	s_mov_b64 s[8:9], 0
	s_and_b64 vcc, exec, s[10:11]
	s_cbranch_vccz .LBB249_1048
; %bb.1005:
	s_cmp_gt_i32 s17, 22
	s_mov_b64 s[10:11], -1
	s_cbranch_scc0 .LBB249_1037
; %bb.1006:
	s_cmp_lt_i32 s17, 24
	s_cbranch_scc1 .LBB249_1026
; %bb.1007:
	s_cmp_gt_i32 s17, 24
	s_cbranch_scc0 .LBB249_1015
; %bb.1008:
	v_cvt_f32_f64_e32 v4, v[0:1]
	v_and_b32_e32 v5, 0x7fffffff, v4
	s_mov_b32 s10, 0x47800000
	v_cmp_gt_u32_e32 vcc, s10, v5
	v_mov_b32_e32 v8, 0x80
	s_and_saveexec_b64 s[10:11], vcc
	s_cbranch_execz .LBB249_1014
; %bb.1009:
	s_mov_b32 s12, 0x37ffffff
	v_cmp_lt_u32_e32 vcc, s12, v5
	s_mov_b64 s[12:13], 0
                                        ; implicit-def: $vgpr5
	s_and_saveexec_b64 s[14:15], vcc
	s_xor_b64 s[14:15], exec, s[14:15]
	s_cbranch_execz .LBB249_1285
; %bb.1010:
	v_bfe_u32 v5, v4, 21, 1
	s_mov_b32 s18, 0x88fffff
	v_add3_u32 v5, v4, v5, s18
	s_mov_b64 s[12:13], exec
	v_lshrrev_b32_e32 v5, 21, v5
	s_andn2_saveexec_b64 s[14:15], s[14:15]
	s_cbranch_execnz .LBB249_1286
.LBB249_1011:
	s_or_b64 exec, exec, s[14:15]
	v_mov_b32_e32 v8, 0
	s_and_saveexec_b64 s[14:15], s[12:13]
.LBB249_1012:
	v_lshrrev_b32_e32 v4, 24, v4
	s_movk_i32 s12, 0x80
	v_and_or_b32 v8, v4, s12, v5
.LBB249_1013:
	s_or_b64 exec, exec, s[14:15]
.LBB249_1014:
	s_or_b64 exec, exec, s[10:11]
	s_mov_b64 s[10:11], 0
	global_store_byte v[6:7], v8, off
.LBB249_1015:
	s_and_b64 vcc, exec, s[10:11]
	s_cbranch_vccz .LBB249_1025
; %bb.1016:
	v_cvt_f32_f64_e32 v4, v[0:1]
	v_and_b32_e32 v8, 0x7fffffff, v4
	s_mov_b32 s10, 0x43f00000
	v_cmp_gt_u32_e32 vcc, s10, v8
                                        ; implicit-def: $vgpr5
	s_and_saveexec_b64 s[10:11], vcc
	s_xor_b64 s[10:11], exec, s[10:11]
	s_cbranch_execz .LBB249_1022
; %bb.1017:
	s_mov_b32 s12, 0x3c7fffff
	v_cmp_lt_u32_e32 vcc, s12, v8
                                        ; implicit-def: $vgpr5
	s_and_saveexec_b64 s[12:13], vcc
	s_xor_b64 s[12:13], exec, s[12:13]
; %bb.1018:
	v_bfe_u32 v5, v4, 20, 1
	s_mov_b32 s14, 0x407ffff
	v_add3_u32 v5, v4, v5, s14
	v_lshrrev_b32_e32 v8, 20, v5
	v_and_b32_e32 v5, 0xff00000, v5
	s_mov_b32 s14, 0x7f00000
	v_mov_b32_e32 v9, 0x7e
	v_cmp_ne_u32_e32 vcc, s14, v5
	s_nop 1
	v_cndmask_b32_e32 v5, v9, v8, vcc
; %bb.1019:
	s_andn2_saveexec_b64 s[12:13], s[12:13]
; %bb.1020:
	s_mov_b32 s14, 0x46800000
	v_add_f32_e64 v5, |v4|, s14
; %bb.1021:
	s_or_b64 exec, exec, s[12:13]
                                        ; implicit-def: $vgpr8
.LBB249_1022:
	s_andn2_saveexec_b64 s[10:11], s[10:11]
; %bb.1023:
	s_mov_b32 s12, 0x7f800000
	v_mov_b32_e32 v5, 0x7e
	v_mov_b32_e32 v9, 0x7f
	v_cmp_lt_u32_e32 vcc, s12, v8
	s_nop 1
	v_cndmask_b32_e32 v5, v5, v9, vcc
; %bb.1024:
	s_or_b64 exec, exec, s[10:11]
	v_lshrrev_b32_e32 v4, 24, v4
	s_movk_i32 s10, 0x80
	v_and_or_b32 v4, v4, s10, v5
	global_store_byte v[6:7], v4, off
.LBB249_1025:
	s_mov_b64 s[10:11], 0
.LBB249_1026:
	s_andn2_b64 vcc, exec, s[10:11]
	s_cbranch_vccnz .LBB249_1036
; %bb.1027:
	v_cvt_f32_f64_e32 v4, v[0:1]
	v_and_b32_e32 v8, 0x7fffffff, v4
	s_mov_b32 s10, 0x47800000
	v_cmp_gt_u32_e32 vcc, s10, v8
                                        ; implicit-def: $vgpr5
	s_and_saveexec_b64 s[10:11], vcc
	s_xor_b64 s[10:11], exec, s[10:11]
	s_cbranch_execz .LBB249_1033
; %bb.1028:
	s_mov_b32 s12, 0x387fffff
	v_cmp_lt_u32_e32 vcc, s12, v8
                                        ; implicit-def: $vgpr5
	s_and_saveexec_b64 s[12:13], vcc
	s_xor_b64 s[12:13], exec, s[12:13]
; %bb.1029:
	v_bfe_u32 v5, v4, 21, 1
	s_mov_b32 s14, 0x80fffff
	v_add3_u32 v5, v4, v5, s14
	v_lshrrev_b32_e32 v5, 21, v5
; %bb.1030:
	s_andn2_saveexec_b64 s[12:13], s[12:13]
; %bb.1031:
	s_mov_b32 s14, 0x43000000
	v_add_f32_e64 v5, |v4|, s14
; %bb.1032:
	s_or_b64 exec, exec, s[12:13]
                                        ; implicit-def: $vgpr8
.LBB249_1033:
	s_andn2_saveexec_b64 s[10:11], s[10:11]
; %bb.1034:
	s_mov_b32 s12, 0x7f800000
	v_mov_b32_e32 v5, 0x7c
	v_mov_b32_e32 v9, 0x7f
	v_cmp_lt_u32_e32 vcc, s12, v8
	s_nop 1
	v_cndmask_b32_e32 v5, v5, v9, vcc
; %bb.1035:
	s_or_b64 exec, exec, s[10:11]
	v_lshrrev_b32_e32 v4, 24, v4
	s_movk_i32 s10, 0x80
	v_and_or_b32 v4, v4, s10, v5
	global_store_byte v[6:7], v4, off
.LBB249_1036:
	s_mov_b64 s[10:11], 0
.LBB249_1037:
	s_andn2_b64 vcc, exec, s[10:11]
	s_mov_b64 s[10:11], 0
	s_cbranch_vccnz .LBB249_1049
; %bb.1038:
	s_cmp_gt_i32 s17, 14
	s_mov_b64 s[12:13], -1
	s_cbranch_scc0 .LBB249_1042
; %bb.1039:
	s_cmp_eq_u32 s17, 15
	s_mov_b64 s[2:3], -1
	s_cbranch_scc0 .LBB249_1041
; %bb.1040:
	v_cvt_f32_f64_e32 v4, v[0:1]
	v_bfe_u32 v5, v4, 16, 1
	s_movk_i32 s2, 0x7fff
	v_add3_u32 v5, v4, v5, s2
	v_cmp_o_f32_e32 vcc, v4, v4
	v_mov_b32_e32 v4, 0x7fc0
	s_mov_b64 s[2:3], 0
	v_cndmask_b32_sdwa v4, v4, v5, vcc dst_sel:DWORD dst_unused:UNUSED_PAD src0_sel:DWORD src1_sel:WORD_1
	global_store_short v[6:7], v4, off
.LBB249_1041:
	s_mov_b64 s[12:13], 0
.LBB249_1042:
	s_and_b64 vcc, exec, s[12:13]
	s_cbranch_vccz .LBB249_1049
; %bb.1043:
	s_cmp_lg_u32 s17, 11
	s_cselect_b64 s[12:13], -1, 0
	s_andn2_b64 s[2:3], s[2:3], exec
	s_and_b64 s[12:13], s[12:13], exec
	s_mov_b64 s[10:11], -1
	s_or_b64 s[2:3], s[2:3], s[12:13]
	s_branch .LBB249_1049
.LBB249_1044:
	s_or_b64 exec, exec, s[6:7]
	s_and_saveexec_b64 s[2:3], s[54:55]
	s_cbranch_execnz .LBB249_1050
.LBB249_1045:
	s_or_b64 exec, exec, s[2:3]
	s_and_saveexec_b64 s[2:3], s[10:11]
	s_xor_b64 s[2:3], exec, s[2:3]
	s_cbranch_execz .LBB249_1051
.LBB249_1046:
	s_waitcnt vmcnt(0)
	v_cmp_neq_f64_e32 vcc, 0, v[2:3]
	s_nop 1
	v_cndmask_b32_e64 v2, 0, 1, vcc
	global_store_byte v[6:7], v2, off
	s_or_b64 exec, exec, s[2:3]
	s_and_saveexec_b64 s[2:3], s[8:9]
	s_xor_b64 s[2:3], exec, s[2:3]
	s_cbranch_execz .LBB249_1089
	s_branch .LBB249_1052
.LBB249_1047:
	s_mov_b64 s[8:9], -1
	s_mov_b64 s[2:3], s[54:55]
	s_branch .LBB249_1049
.LBB249_1048:
	s_mov_b64 s[10:11], 0
.LBB249_1049:
	s_andn2_b64 s[12:13], s[54:55], exec
	s_and_b64 s[2:3], s[2:3], exec
	s_and_b64 s[8:9], s[8:9], exec
	;; [unrolled: 1-line block ×3, first 2 shown]
	s_or_b64 s[54:55], s[12:13], s[2:3]
	s_or_b64 exec, exec, s[6:7]
	s_and_saveexec_b64 s[2:3], s[54:55]
	s_cbranch_execz .LBB249_1045
.LBB249_1050:
	s_or_b64 s[4:5], s[4:5], exec
	s_andn2_b64 s[10:11], s[10:11], exec
	s_trap 2
	s_or_b64 exec, exec, s[2:3]
	s_and_saveexec_b64 s[2:3], s[10:11]
	s_xor_b64 s[2:3], exec, s[2:3]
	s_cbranch_execnz .LBB249_1046
.LBB249_1051:
	s_or_b64 exec, exec, s[2:3]
	s_and_saveexec_b64 s[2:3], s[8:9]
	s_xor_b64 s[2:3], exec, s[2:3]
	s_cbranch_execz .LBB249_1089
.LBB249_1052:
	s_sext_i32_i16 s8, s16
	s_cmp_lt_i32 s8, 5
	s_mov_b64 s[6:7], -1
	s_cbranch_scc1 .LBB249_1073
; %bb.1053:
	s_cmp_lt_i32 s8, 8
	s_cbranch_scc1 .LBB249_1063
; %bb.1054:
	s_cmp_lt_i32 s8, 9
	s_cbranch_scc1 .LBB249_1060
; %bb.1055:
	s_cmp_gt_i32 s8, 9
	s_cbranch_scc0 .LBB249_1057
; %bb.1056:
	s_waitcnt vmcnt(0)
	v_mov_b32_e32 v2, 0
	v_mov_b32_e32 v3, v2
	s_mov_b64 s[6:7], 0
	global_store_dwordx4 v[6:7], v[0:3], off
.LBB249_1057:
	s_andn2_b64 vcc, exec, s[6:7]
	s_cbranch_vccnz .LBB249_1059
; %bb.1058:
	s_waitcnt vmcnt(0)
	v_cvt_f32_f64_e32 v2, v[0:1]
	v_mov_b32_e32 v3, 0
	global_store_dwordx2 v[6:7], v[2:3], off
.LBB249_1059:
	s_mov_b64 s[6:7], 0
.LBB249_1060:
	s_andn2_b64 vcc, exec, s[6:7]
	s_cbranch_vccnz .LBB249_1062
; %bb.1061:
	s_movk_i32 s6, 0x1ff
	s_waitcnt vmcnt(0)
	v_and_or_b32 v2, v1, s6, v0
	v_cmp_ne_u32_e32 vcc, 0, v2
	v_lshrrev_b32_e32 v3, 8, v1
	s_movk_i32 s6, 0xffe
	v_cndmask_b32_e64 v2, 0, 1, vcc
	v_bfe_u32 v4, v1, 20, 11
	v_and_or_b32 v2, v3, s6, v2
	v_sub_u32_e32 v5, 0x3f1, v4
	v_or_b32_e32 v3, 0x1000, v2
	v_med3_i32 v5, v5, 0, 13
	v_lshrrev_b32_e32 v8, v5, v3
	v_lshlrev_b32_e32 v5, v5, v8
	v_cmp_ne_u32_e32 vcc, v5, v3
	v_add_u32_e32 v4, 0xfffffc10, v4
	v_lshl_or_b32 v5, v4, 12, v2
	v_cndmask_b32_e64 v3, 0, 1, vcc
	v_or_b32_e32 v3, v8, v3
	v_cmp_gt_i32_e32 vcc, 1, v4
	s_movk_i32 s6, 0x40f
	s_nop 0
	v_cndmask_b32_e32 v3, v5, v3, vcc
	v_and_b32_e32 v5, 7, v3
	v_cmp_lt_i32_e32 vcc, 5, v5
	v_lshrrev_b32_e32 v3, 2, v3
	s_nop 0
	v_cndmask_b32_e64 v8, 0, 1, vcc
	v_cmp_eq_u32_e32 vcc, 3, v5
	s_nop 1
	v_cndmask_b32_e64 v5, 0, 1, vcc
	v_or_b32_e32 v5, v5, v8
	v_add_u32_e32 v3, v3, v5
	v_mov_b32_e32 v5, 0x7c00
	v_cmp_gt_i32_e32 vcc, 31, v4
	v_mov_b32_e32 v8, 0x7e00
	s_nop 0
	v_cndmask_b32_e32 v3, v5, v3, vcc
	v_cmp_ne_u32_e32 vcc, 0, v2
	s_nop 1
	v_cndmask_b32_e32 v2, v5, v8, vcc
	v_cmp_eq_u32_e32 vcc, s6, v4
	s_mov_b32 s6, 0x8000
	s_nop 0
	v_cndmask_b32_e32 v2, v3, v2, vcc
	v_and_b32_sdwa v3, v1, s6 dst_sel:DWORD dst_unused:UNUSED_PAD src0_sel:WORD_1 src1_sel:DWORD
	s_mov_b32 s6, 0xffff
	v_bitop3_b32 v2, v3, s6, v2 bitop3:0xc8
	global_store_dword v[6:7], v2, off
.LBB249_1062:
	s_mov_b64 s[6:7], 0
.LBB249_1063:
	s_andn2_b64 vcc, exec, s[6:7]
	s_cbranch_vccnz .LBB249_1072
; %bb.1064:
	s_sext_i32_i16 s8, s16
	s_cmp_lt_i32 s8, 6
	s_mov_b64 s[6:7], -1
	s_cbranch_scc1 .LBB249_1070
; %bb.1065:
	s_cmp_gt_i32 s8, 6
	s_cbranch_scc0 .LBB249_1067
; %bb.1066:
	s_mov_b64 s[6:7], 0
	global_store_dwordx2 v[6:7], v[0:1], off
.LBB249_1067:
	s_andn2_b64 vcc, exec, s[6:7]
	s_cbranch_vccnz .LBB249_1069
; %bb.1068:
	s_waitcnt vmcnt(0)
	v_cvt_f32_f64_e32 v2, v[0:1]
	global_store_dword v[6:7], v2, off
.LBB249_1069:
	s_mov_b64 s[6:7], 0
.LBB249_1070:
	s_andn2_b64 vcc, exec, s[6:7]
	s_cbranch_vccnz .LBB249_1072
; %bb.1071:
	s_movk_i32 s6, 0x1ff
	s_waitcnt vmcnt(0)
	v_and_or_b32 v2, v1, s6, v0
	v_cmp_ne_u32_e32 vcc, 0, v2
	v_lshrrev_b32_e32 v3, 8, v1
	s_movk_i32 s6, 0xffe
	v_cndmask_b32_e64 v2, 0, 1, vcc
	v_bfe_u32 v4, v1, 20, 11
	v_and_or_b32 v2, v3, s6, v2
	v_sub_u32_e32 v5, 0x3f1, v4
	v_or_b32_e32 v3, 0x1000, v2
	v_med3_i32 v5, v5, 0, 13
	v_lshrrev_b32_e32 v8, v5, v3
	v_lshlrev_b32_e32 v5, v5, v8
	v_cmp_ne_u32_e32 vcc, v5, v3
	v_add_u32_e32 v4, 0xfffffc10, v4
	v_lshl_or_b32 v5, v4, 12, v2
	v_cndmask_b32_e64 v3, 0, 1, vcc
	v_or_b32_e32 v3, v8, v3
	v_cmp_gt_i32_e32 vcc, 1, v4
	s_movk_i32 s6, 0x40f
	s_nop 0
	v_cndmask_b32_e32 v3, v5, v3, vcc
	v_and_b32_e32 v5, 7, v3
	v_cmp_lt_i32_e32 vcc, 5, v5
	v_lshrrev_b32_e32 v3, 2, v3
	s_nop 0
	v_cndmask_b32_e64 v8, 0, 1, vcc
	v_cmp_eq_u32_e32 vcc, 3, v5
	s_nop 1
	v_cndmask_b32_e64 v5, 0, 1, vcc
	v_or_b32_e32 v5, v5, v8
	v_add_u32_e32 v3, v3, v5
	v_mov_b32_e32 v5, 0x7c00
	v_cmp_gt_i32_e32 vcc, 31, v4
	v_mov_b32_e32 v8, 0x7e00
	s_nop 0
	v_cndmask_b32_e32 v3, v5, v3, vcc
	v_cmp_ne_u32_e32 vcc, 0, v2
	s_nop 1
	v_cndmask_b32_e32 v2, v5, v8, vcc
	v_cmp_eq_u32_e32 vcc, s6, v4
	s_mov_b32 s6, 0x8000
	s_nop 0
	v_cndmask_b32_e32 v2, v3, v2, vcc
	v_lshrrev_b32_e32 v3, 16, v1
	v_and_or_b32 v2, v3, s6, v2
	global_store_short v[6:7], v2, off
.LBB249_1072:
	s_mov_b64 s[6:7], 0
.LBB249_1073:
	s_andn2_b64 vcc, exec, s[6:7]
	s_cbranch_vccnz .LBB249_1089
; %bb.1074:
	s_sext_i32_i16 s8, s16
	s_cmp_lt_i32 s8, 2
	s_mov_b64 s[6:7], -1
	s_cbranch_scc1 .LBB249_1084
; %bb.1075:
	s_cmp_lt_i32 s8, 3
	s_cbranch_scc1 .LBB249_1081
; %bb.1076:
	s_cmp_gt_i32 s8, 3
	s_cbranch_scc0 .LBB249_1078
; %bb.1077:
	s_waitcnt vmcnt(0)
	v_trunc_f64_e32 v[2:3], v[0:1]
	s_movk_i32 s6, 0xffe0
	v_ldexp_f64 v[4:5], v[2:3], s6
	v_floor_f64_e32 v[4:5], v[4:5]
	v_fmac_f64_e32 v[2:3], 0xc1f00000, v[4:5]
	v_cvt_i32_f64_e32 v9, v[4:5]
	v_cvt_u32_f64_e32 v8, v[2:3]
	s_mov_b64 s[6:7], 0
	global_store_dwordx2 v[6:7], v[8:9], off
.LBB249_1078:
	s_andn2_b64 vcc, exec, s[6:7]
	s_cbranch_vccnz .LBB249_1080
; %bb.1079:
	s_waitcnt vmcnt(0)
	v_cvt_i32_f64_e32 v2, v[0:1]
	global_store_dword v[6:7], v2, off
.LBB249_1080:
	s_mov_b64 s[6:7], 0
.LBB249_1081:
	s_andn2_b64 vcc, exec, s[6:7]
	s_cbranch_vccnz .LBB249_1083
; %bb.1082:
	s_waitcnt vmcnt(0)
	v_cvt_i32_f64_e32 v2, v[0:1]
	global_store_short v[6:7], v2, off
.LBB249_1083:
	s_mov_b64 s[6:7], 0
.LBB249_1084:
	s_andn2_b64 vcc, exec, s[6:7]
	s_cbranch_vccnz .LBB249_1089
; %bb.1085:
	s_sext_i32_i16 s6, s16
	s_cmp_gt_i32 s6, 0
	s_mov_b64 s[6:7], -1
	s_cbranch_scc0 .LBB249_1087
; %bb.1086:
	s_waitcnt vmcnt(0)
	v_cvt_i32_f64_e32 v2, v[0:1]
	s_mov_b64 s[6:7], 0
	global_store_byte v[6:7], v2, off
.LBB249_1087:
	s_andn2_b64 vcc, exec, s[6:7]
	s_cbranch_vccnz .LBB249_1089
; %bb.1088:
	v_trunc_f64_e32 v[0:1], v[0:1]
	s_movk_i32 s6, 0xffe0
	s_waitcnt vmcnt(0)
	v_ldexp_f64 v[2:3], v[0:1], s6
	v_floor_f64_e32 v[2:3], v[2:3]
	v_fmac_f64_e32 v[0:1], 0xc1f00000, v[2:3]
	v_cvt_u32_f64_e32 v0, v[0:1]
	global_store_byte v[6:7], v0, off
.LBB249_1089:
	s_or_b64 exec, exec, s[2:3]
	s_waitcnt lgkmcnt(0)
	s_and_b64 s[24:25], s[4:5], exec
                                        ; implicit-def: $vgpr16
                                        ; implicit-def: $vgpr6
.LBB249_1090:
	s_or_saveexec_b64 s[26:27], s[44:45]
	s_mov_b64 s[6:7], 0
                                        ; implicit-def: $vgpr4_vgpr5
                                        ; implicit-def: $sgpr14
                                        ; implicit-def: $vgpr0_vgpr1
                                        ; implicit-def: $vgpr10_vgpr11
	s_xor_b64 exec, exec, s[26:27]
	s_cbranch_execz .LBB249_1544
; %bb.1091:
	v_cndmask_b32_e64 v0, 0, 1, s[42:43]
	v_cmp_ne_u32_e64 s[2:3], 1, v0
	s_andn2_b64 vcc, exec, s[42:43]
	s_cbranch_vccnz .LBB249_1097
; %bb.1092:
	s_cmp_lg_u32 s33, 0
	s_mov_b32 s36, 0
	s_cbranch_scc0 .LBB249_1098
; %bb.1093:
	s_min_u32 s37, s72, 15
	s_add_i32 s37, s37, 1
	s_cmp_eq_u32 s72, 2
	s_cbranch_scc1 .LBB249_1099
; %bb.1094:
	s_and_b32 s36, s37, 28
	s_add_u32 s28, s34, 0xc4
	s_addc_u32 s29, s35, 0
	s_mov_b32 s38, 0
	s_waitcnt vmcnt(0)
	v_mov_b32_e32 v2, 0
	v_mov_b32_e32 v14, 0
	s_mov_b64 s[30:31], s[34:35]
	v_mov_b32_e32 v0, v6
.LBB249_1095:                           ; =>This Inner Loop Header: Depth=1
	s_load_dwordx8 s[12:19], s[30:31], 0x4
	s_load_dwordx4 s[20:23], s[30:31], 0x24
	s_load_dwordx8 s[4:11], s[28:29], 0x0
	s_add_u32 s30, s30, 48
	s_addc_u32 s31, s31, 0
	s_waitcnt lgkmcnt(0)
	v_mul_hi_u32 v1, s13, v0
	v_add_u32_e32 v1, v0, v1
	v_lshrrev_b32_e32 v1, s14, v1
	v_mul_lo_u32 v3, v1, s12
	v_mul_hi_u32 v4, s16, v1
	v_sub_u32_e32 v0, v0, v3
	v_add_u32_e32 v3, v1, v4
	v_lshrrev_b32_e32 v3, s17, v3
	v_mul_lo_u32 v5, v3, s15
	v_mul_hi_u32 v7, s19, v3
	v_sub_u32_e32 v1, v1, v5
	v_add_u32_e32 v5, v3, v7
	v_mul_lo_u32 v4, v0, s5
	v_mul_lo_u32 v0, v0, s4
	;; [unrolled: 1-line block ×4, first 2 shown]
	v_lshrrev_b32_e32 v5, s20, v5
	v_add3_u32 v1, v0, v2, v1
	v_add3_u32 v2, v4, v14, v7
	v_mul_lo_u32 v0, v5, s18
	v_mul_hi_u32 v4, s22, v5
	v_sub_u32_e32 v0, v3, v0
	v_add_u32_e32 v3, v5, v4
	v_mul_lo_u32 v4, v0, s8
	v_mul_lo_u32 v7, v0, s9
	v_lshrrev_b32_e32 v0, s23, v3
	s_add_i32 s38, s38, 4
	v_mul_lo_u32 v3, v0, s21
	s_add_u32 s28, s28, 32
	v_sub_u32_e32 v3, v5, v3
	s_addc_u32 s29, s29, 0
	v_mul_lo_u32 v5, v3, s10
	v_mul_lo_u32 v3, v3, s11
	s_cmp_lg_u32 s36, s38
	v_add3_u32 v14, v7, v2, v3
	v_add3_u32 v2, v4, v1, v5
	s_cbranch_scc1 .LBB249_1095
; %bb.1096:
	v_mov_b32_e32 v1, v14
	s_and_b32 s8, s37, 3
	s_cmp_eq_u32 s8, 0
	s_cbranch_scc0 .LBB249_1100
	s_branch .LBB249_1102
.LBB249_1097:
                                        ; implicit-def: $vgpr14
                                        ; implicit-def: $vgpr2
	s_branch .LBB249_1103
.LBB249_1098:
	v_mov_b32_e32 v14, 0
	s_waitcnt vmcnt(0)
	v_mov_b32_e32 v2, 0
	s_branch .LBB249_1102
.LBB249_1099:
	s_waitcnt vmcnt(0)
	v_mov_b32_e32 v2, 0
                                        ; implicit-def: $vgpr14
	v_mov_b32_e32 v1, v2
	v_mov_b32_e32 v0, v6
	s_and_b32 s8, s37, 3
	s_cmp_eq_u32 s8, 0
	s_cbranch_scc1 .LBB249_1102
.LBB249_1100:
	s_lshl_b32 s4, s36, 3
	s_add_u32 s4, s34, s4
	s_addc_u32 s5, s35, 0
	s_add_u32 s4, s4, 0xc4
	s_addc_u32 s5, s5, 0
	s_mul_i32 s6, s36, 12
	s_add_u32 s6, s34, s6
	s_addc_u32 s7, s35, 0
.LBB249_1101:                           ; =>This Inner Loop Header: Depth=1
	s_load_dwordx2 s[10:11], s[6:7], 0x4
	s_load_dword s9, s[6:7], 0xc
	s_load_dwordx2 s[12:13], s[4:5], 0x0
	v_mov_b32_e32 v4, v1
	s_add_u32 s6, s6, 12
	s_waitcnt lgkmcnt(0)
	v_mul_hi_u32 v1, s11, v0
	v_add_u32_e32 v1, v0, v1
	v_lshrrev_b32_e32 v1, s9, v1
	s_addc_u32 s7, s7, 0
	v_mul_lo_u32 v3, v1, s10
	s_add_u32 s4, s4, 8
	v_sub_u32_e32 v3, v0, v3
	s_addc_u32 s5, s5, 0
	s_add_i32 s8, s8, -1
	v_mad_u64_u32 v[14:15], s[10:11], v3, s13, v[4:5]
	s_cmp_lg_u32 s8, 0
	v_mov_b32_e32 v0, v1
	v_mad_u64_u32 v[2:3], s[10:11], v3, s12, v[2:3]
	v_mov_b32_e32 v1, v14
	s_cbranch_scc1 .LBB249_1101
.LBB249_1102:
	s_cbranch_execnz .LBB249_1105
.LBB249_1103:
	s_load_dwordx4 s[4:7], s[34:35], 0x4
	s_load_dwordx2 s[8:9], s[34:35], 0xc4
	s_cmp_lt_u32 s33, 2
	s_waitcnt lgkmcnt(0)
	v_mul_hi_u32 v0, s5, v6
	v_add_u32_e32 v0, v6, v0
	v_lshrrev_b32_e32 v0, s6, v0
	v_mul_lo_u32 v1, v0, s4
	v_sub_u32_e32 v1, v6, v1
	v_mul_lo_u32 v14, v1, s9
	s_waitcnt vmcnt(0)
	v_mul_lo_u32 v2, v1, s8
	s_cbranch_scc1 .LBB249_1105
; %bb.1104:
	s_load_dwordx4 s[4:7], s[34:35], 0x10
	s_load_dwordx2 s[8:9], s[34:35], 0xcc
	s_waitcnt lgkmcnt(0)
	v_mul_hi_u32 v1, s5, v0
	v_add_u32_e32 v1, v0, v1
	v_lshrrev_b32_e32 v1, s6, v1
	v_mul_lo_u32 v1, v1, s4
	v_sub_u32_e32 v0, v0, v1
	v_mad_u64_u32 v[2:3], s[4:5], v0, s8, v[2:3]
	v_mad_u64_u32 v[14:15], s[4:5], v0, s9, v[14:15]
.LBB249_1105:
	s_and_b64 vcc, exec, s[2:3]
	v_add_u32_e32 v0, 0x80, v6
	s_cbranch_vccnz .LBB249_1111
; %bb.1106:
	s_cmp_lg_u32 s33, 0
	s_mov_b32 s36, 0
	s_cbranch_scc0 .LBB249_1112
; %bb.1107:
	s_min_u32 s37, s72, 15
	s_add_i32 s37, s37, 1
	s_cmp_eq_u32 s72, 2
	s_cbranch_scc1 .LBB249_1113
; %bb.1108:
	s_and_b32 s36, s37, 28
	s_add_u32 s28, s34, 0xc4
	s_addc_u32 s29, s35, 0
	s_mov_b32 s38, 0
	v_mov_b32_e32 v8, 0
	v_mov_b32_e32 v12, 0
	s_mov_b64 s[30:31], s[34:35]
	s_waitcnt vmcnt(0)
	v_mov_b32_e32 v3, v0
.LBB249_1109:                           ; =>This Inner Loop Header: Depth=1
	s_load_dwordx8 s[12:19], s[30:31], 0x4
	s_load_dwordx4 s[20:23], s[30:31], 0x24
	s_load_dwordx8 s[4:11], s[28:29], 0x0
	s_add_u32 s30, s30, 48
	s_addc_u32 s31, s31, 0
	s_waitcnt lgkmcnt(0)
	v_mul_hi_u32 v1, s13, v3
	v_add_u32_e32 v1, v3, v1
	v_lshrrev_b32_e32 v1, s14, v1
	v_mul_lo_u32 v4, v1, s12
	v_mul_hi_u32 v5, s16, v1
	v_sub_u32_e32 v3, v3, v4
	v_add_u32_e32 v4, v1, v5
	v_lshrrev_b32_e32 v4, s17, v4
	v_mul_lo_u32 v7, v4, s15
	v_mul_hi_u32 v9, s19, v4
	v_sub_u32_e32 v1, v1, v7
	v_add_u32_e32 v7, v4, v9
	v_mul_lo_u32 v5, v3, s5
	v_mul_lo_u32 v3, v3, s4
	;; [unrolled: 1-line block ×4, first 2 shown]
	v_lshrrev_b32_e32 v7, s20, v7
	v_add3_u32 v1, v3, v8, v1
	v_mul_lo_u32 v3, v7, s18
	v_mul_hi_u32 v8, s22, v7
	v_sub_u32_e32 v3, v4, v3
	v_add_u32_e32 v4, v7, v8
	v_add3_u32 v5, v5, v12, v9
	v_mul_lo_u32 v8, v3, s8
	v_mul_lo_u32 v9, v3, s9
	v_lshrrev_b32_e32 v3, s23, v4
	s_add_i32 s38, s38, 4
	v_mul_lo_u32 v4, v3, s21
	s_add_u32 s28, s28, 32
	v_sub_u32_e32 v4, v7, v4
	s_addc_u32 s29, s29, 0
	v_mul_lo_u32 v7, v4, s10
	v_mul_lo_u32 v4, v4, s11
	s_cmp_lg_u32 s36, s38
	v_add3_u32 v12, v9, v5, v4
	v_add3_u32 v8, v8, v1, v7
	s_cbranch_scc1 .LBB249_1109
; %bb.1110:
	v_mov_b32_e32 v1, v12
	s_and_b32 s8, s37, 3
	s_cmp_eq_u32 s8, 0
	s_cbranch_scc0 .LBB249_1114
	s_branch .LBB249_1116
.LBB249_1111:
                                        ; implicit-def: $vgpr12
                                        ; implicit-def: $vgpr8
	s_branch .LBB249_1117
.LBB249_1112:
	v_mov_b32_e32 v12, 0
	v_mov_b32_e32 v8, 0
	s_branch .LBB249_1116
.LBB249_1113:
	v_mov_b32_e32 v8, 0
                                        ; implicit-def: $vgpr12
	v_mov_b32_e32 v1, v8
	s_waitcnt vmcnt(0)
	v_mov_b32_e32 v3, v0
	s_and_b32 s8, s37, 3
	s_cmp_eq_u32 s8, 0
	s_cbranch_scc1 .LBB249_1116
.LBB249_1114:
	s_lshl_b32 s4, s36, 3
	s_add_u32 s4, s34, s4
	s_addc_u32 s5, s35, 0
	s_add_u32 s4, s4, 0xc4
	s_addc_u32 s5, s5, 0
	s_mul_i32 s6, s36, 12
	s_add_u32 s6, s34, s6
	s_addc_u32 s7, s35, 0
.LBB249_1115:                           ; =>This Inner Loop Header: Depth=1
	s_load_dwordx2 s[10:11], s[6:7], 0x4
	s_load_dword s9, s[6:7], 0xc
	s_load_dwordx2 s[12:13], s[4:5], 0x0
	v_mov_b32_e32 v4, v1
	s_add_u32 s6, s6, 12
	s_waitcnt lgkmcnt(0)
	v_mul_hi_u32 v1, s11, v3
	v_add_u32_e32 v1, v3, v1
	v_lshrrev_b32_e32 v1, s9, v1
	s_addc_u32 s7, s7, 0
	v_mul_lo_u32 v5, v1, s10
	s_add_u32 s4, s4, 8
	v_sub_u32_e32 v5, v3, v5
	s_addc_u32 s5, s5, 0
	s_add_i32 s8, s8, -1
	v_mad_u64_u32 v[12:13], s[10:11], v5, s13, v[4:5]
	s_cmp_lg_u32 s8, 0
	v_mov_b32_e32 v3, v1
	v_mad_u64_u32 v[8:9], s[10:11], v5, s12, v[8:9]
	v_mov_b32_e32 v1, v12
	s_cbranch_scc1 .LBB249_1115
.LBB249_1116:
	s_cbranch_execnz .LBB249_1119
.LBB249_1117:
	s_load_dwordx4 s[4:7], s[34:35], 0x4
	s_load_dwordx2 s[8:9], s[34:35], 0xc4
	s_cmp_lt_u32 s33, 2
	s_waitcnt lgkmcnt(0)
	v_mul_hi_u32 v1, s5, v0
	v_add_u32_e32 v1, v0, v1
	v_lshrrev_b32_e32 v1, s6, v1
	s_waitcnt vmcnt(0)
	v_mul_lo_u32 v3, v1, s4
	v_sub_u32_e32 v0, v0, v3
	v_mul_lo_u32 v12, v0, s9
	v_mul_lo_u32 v8, v0, s8
	s_cbranch_scc1 .LBB249_1119
; %bb.1118:
	s_load_dwordx4 s[4:7], s[34:35], 0x10
	s_load_dwordx2 s[8:9], s[34:35], 0xcc
	s_waitcnt lgkmcnt(0)
	v_mul_hi_u32 v0, s5, v1
	v_add_u32_e32 v0, v1, v0
	v_lshrrev_b32_e32 v0, s6, v0
	v_mul_lo_u32 v0, v0, s4
	v_sub_u32_e32 v0, v1, v0
	v_mad_u64_u32 v[8:9], s[4:5], v0, s8, v[8:9]
	v_mad_u64_u32 v[12:13], s[4:5], v0, s9, v[12:13]
.LBB249_1119:
	s_and_b64 vcc, exec, s[2:3]
	v_add_u32_e32 v0, 0x100, v6
	s_cbranch_vccnz .LBB249_1125
; %bb.1120:
	s_cmp_lg_u32 s33, 0
	s_mov_b32 s36, 0
	s_cbranch_scc0 .LBB249_1126
; %bb.1121:
	s_min_u32 s37, s72, 15
	s_add_i32 s37, s37, 1
	s_cmp_eq_u32 s72, 2
	s_cbranch_scc1 .LBB249_1127
; %bb.1122:
	s_and_b32 s36, s37, 28
	s_add_u32 s28, s34, 0xc4
	s_addc_u32 s29, s35, 0
	s_mov_b32 s38, 0
	v_mov_b32_e32 v6, 0
	v_mov_b32_e32 v10, 0
	s_mov_b64 s[30:31], s[34:35]
	s_waitcnt vmcnt(0)
	v_mov_b32_e32 v3, v0
.LBB249_1123:                           ; =>This Inner Loop Header: Depth=1
	s_load_dwordx8 s[12:19], s[30:31], 0x4
	s_load_dwordx4 s[20:23], s[30:31], 0x24
	s_load_dwordx8 s[4:11], s[28:29], 0x0
	s_add_u32 s30, s30, 48
	s_addc_u32 s31, s31, 0
	s_waitcnt lgkmcnt(0)
	v_mul_hi_u32 v1, s13, v3
	v_add_u32_e32 v1, v3, v1
	v_lshrrev_b32_e32 v1, s14, v1
	v_mul_lo_u32 v4, v1, s12
	v_mul_hi_u32 v5, s16, v1
	v_sub_u32_e32 v3, v3, v4
	v_add_u32_e32 v4, v1, v5
	v_lshrrev_b32_e32 v4, s17, v4
	v_mul_lo_u32 v7, v4, s15
	v_mul_hi_u32 v9, s19, v4
	v_sub_u32_e32 v1, v1, v7
	v_add_u32_e32 v7, v4, v9
	v_mul_lo_u32 v5, v3, s5
	v_mul_lo_u32 v3, v3, s4
	v_mul_lo_u32 v9, v1, s7
	v_mul_lo_u32 v1, v1, s6
	v_lshrrev_b32_e32 v7, s20, v7
	v_add3_u32 v1, v3, v6, v1
	v_mul_lo_u32 v3, v7, s18
	v_mul_hi_u32 v6, s22, v7
	v_sub_u32_e32 v3, v4, v3
	v_add_u32_e32 v4, v7, v6
	v_add3_u32 v5, v5, v10, v9
	v_mul_lo_u32 v6, v3, s8
	v_mul_lo_u32 v9, v3, s9
	v_lshrrev_b32_e32 v3, s23, v4
	s_add_i32 s38, s38, 4
	v_mul_lo_u32 v4, v3, s21
	s_add_u32 s28, s28, 32
	v_sub_u32_e32 v4, v7, v4
	s_addc_u32 s29, s29, 0
	v_mul_lo_u32 v7, v4, s10
	v_mul_lo_u32 v4, v4, s11
	s_cmp_lg_u32 s36, s38
	v_add3_u32 v10, v9, v5, v4
	v_add3_u32 v6, v6, v1, v7
	s_cbranch_scc1 .LBB249_1123
; %bb.1124:
	v_mov_b32_e32 v1, v10
	s_and_b32 s8, s37, 3
	s_cmp_eq_u32 s8, 0
	s_cbranch_scc0 .LBB249_1128
	s_branch .LBB249_1130
.LBB249_1125:
                                        ; implicit-def: $vgpr10
                                        ; implicit-def: $vgpr6
	s_branch .LBB249_1131
.LBB249_1126:
	v_mov_b32_e32 v10, 0
	v_mov_b32_e32 v6, 0
	s_branch .LBB249_1130
.LBB249_1127:
	v_mov_b32_e32 v6, 0
                                        ; implicit-def: $vgpr10
	v_mov_b32_e32 v1, v6
	s_waitcnt vmcnt(0)
	v_mov_b32_e32 v3, v0
	s_and_b32 s8, s37, 3
	s_cmp_eq_u32 s8, 0
	s_cbranch_scc1 .LBB249_1130
.LBB249_1128:
	s_lshl_b32 s4, s36, 3
	s_add_u32 s4, s34, s4
	s_addc_u32 s5, s35, 0
	s_add_u32 s4, s4, 0xc4
	s_addc_u32 s5, s5, 0
	s_mul_i32 s6, s36, 12
	s_add_u32 s6, s34, s6
	s_addc_u32 s7, s35, 0
.LBB249_1129:                           ; =>This Inner Loop Header: Depth=1
	s_load_dwordx2 s[10:11], s[6:7], 0x4
	s_load_dword s9, s[6:7], 0xc
	s_load_dwordx2 s[12:13], s[4:5], 0x0
	v_mov_b32_e32 v4, v1
	s_add_u32 s6, s6, 12
	s_waitcnt lgkmcnt(0)
	v_mul_hi_u32 v1, s11, v3
	v_add_u32_e32 v1, v3, v1
	v_lshrrev_b32_e32 v1, s9, v1
	s_addc_u32 s7, s7, 0
	v_mul_lo_u32 v5, v1, s10
	s_add_u32 s4, s4, 8
	v_sub_u32_e32 v5, v3, v5
	s_addc_u32 s5, s5, 0
	s_add_i32 s8, s8, -1
	v_mad_u64_u32 v[10:11], s[10:11], v5, s13, v[4:5]
	s_cmp_lg_u32 s8, 0
	v_mov_b32_e32 v3, v1
	v_mad_u64_u32 v[6:7], s[10:11], v5, s12, v[6:7]
	v_mov_b32_e32 v1, v10
	s_cbranch_scc1 .LBB249_1129
.LBB249_1130:
	s_cbranch_execnz .LBB249_1133
.LBB249_1131:
	s_load_dwordx4 s[4:7], s[34:35], 0x4
	s_load_dwordx2 s[8:9], s[34:35], 0xc4
	s_cmp_lt_u32 s33, 2
	s_waitcnt lgkmcnt(0)
	v_mul_hi_u32 v1, s5, v0
	v_add_u32_e32 v1, v0, v1
	v_lshrrev_b32_e32 v1, s6, v1
	s_waitcnt vmcnt(0)
	v_mul_lo_u32 v3, v1, s4
	v_sub_u32_e32 v0, v0, v3
	v_mul_lo_u32 v10, v0, s9
	v_mul_lo_u32 v6, v0, s8
	s_cbranch_scc1 .LBB249_1133
; %bb.1132:
	s_load_dwordx4 s[4:7], s[34:35], 0x10
	s_load_dwordx2 s[8:9], s[34:35], 0xcc
	s_waitcnt lgkmcnt(0)
	v_mul_hi_u32 v0, s5, v1
	v_add_u32_e32 v0, v1, v0
	v_lshrrev_b32_e32 v0, s6, v0
	v_mul_lo_u32 v0, v0, s4
	v_sub_u32_e32 v0, v1, v0
	v_mad_u64_u32 v[6:7], s[4:5], v0, s8, v[6:7]
	v_mad_u64_u32 v[10:11], s[4:5], v0, s9, v[10:11]
.LBB249_1133:
	s_and_b64 vcc, exec, s[2:3]
	s_cbranch_vccnz .LBB249_1139
; %bb.1134:
	s_cmp_lg_u32 s33, 0
	s_mov_b32 s30, 0
	s_cbranch_scc0 .LBB249_1140
; %bb.1135:
	s_min_u32 s31, s72, 15
	s_add_i32 s31, s31, 1
	s_cmp_eq_u32 s72, 2
	s_cbranch_scc1 .LBB249_1141
; %bb.1136:
	s_and_b32 s30, s31, 28
	s_add_u32 s2, s34, 0xc4
	s_addc_u32 s3, s35, 0
	s_mov_b32 s36, 0
	v_mov_b32_e32 v4, 0
	v_mov_b32_e32 v0, 0
	s_mov_b64 s[28:29], s[34:35]
	s_waitcnt vmcnt(0)
	v_mov_b32_e32 v3, v16
.LBB249_1137:                           ; =>This Inner Loop Header: Depth=1
	s_load_dwordx8 s[12:19], s[28:29], 0x4
	s_load_dwordx4 s[20:23], s[28:29], 0x24
	s_load_dwordx8 s[4:11], s[2:3], 0x0
	s_add_u32 s28, s28, 48
	s_addc_u32 s29, s29, 0
	s_waitcnt lgkmcnt(0)
	v_mul_hi_u32 v1, s13, v3
	v_add_u32_e32 v1, v3, v1
	v_lshrrev_b32_e32 v1, s14, v1
	v_mul_lo_u32 v5, v1, s12
	v_mul_hi_u32 v7, s16, v1
	v_sub_u32_e32 v3, v3, v5
	v_add_u32_e32 v5, v1, v7
	v_lshrrev_b32_e32 v5, s17, v5
	v_mul_lo_u32 v9, v5, s15
	v_mul_hi_u32 v11, s19, v5
	v_sub_u32_e32 v1, v1, v9
	v_add_u32_e32 v9, v5, v11
	v_mul_lo_u32 v7, v3, s5
	v_mul_lo_u32 v3, v3, s4
	;; [unrolled: 1-line block ×4, first 2 shown]
	v_lshrrev_b32_e32 v9, s20, v9
	v_add3_u32 v1, v3, v4, v1
	v_mul_lo_u32 v3, v9, s18
	v_mul_hi_u32 v4, s22, v9
	v_sub_u32_e32 v3, v5, v3
	v_add_u32_e32 v4, v9, v4
	v_add3_u32 v0, v7, v0, v11
	v_mul_lo_u32 v5, v3, s8
	v_mul_lo_u32 v7, v3, s9
	v_lshrrev_b32_e32 v3, s23, v4
	s_add_i32 s36, s36, 4
	v_mul_lo_u32 v4, v3, s21
	s_add_u32 s2, s2, 32
	v_sub_u32_e32 v4, v9, v4
	s_addc_u32 s3, s3, 0
	v_mul_lo_u32 v9, v4, s10
	v_mul_lo_u32 v4, v4, s11
	s_cmp_lg_u32 s30, s36
	v_add3_u32 v0, v7, v0, v4
	v_add3_u32 v4, v5, v1, v9
	s_cbranch_scc1 .LBB249_1137
; %bb.1138:
	v_mov_b32_e32 v1, v0
	s_and_b32 s6, s31, 3
	s_cmp_eq_u32 s6, 0
	s_cbranch_scc0 .LBB249_1142
	s_branch .LBB249_1144
.LBB249_1139:
                                        ; implicit-def: $vgpr0
                                        ; implicit-def: $vgpr4
	s_branch .LBB249_1145
.LBB249_1140:
	v_mov_b32_e32 v0, 0
	v_mov_b32_e32 v4, 0
	s_branch .LBB249_1144
.LBB249_1141:
	v_mov_b32_e32 v4, 0
                                        ; implicit-def: $vgpr0
	v_mov_b32_e32 v1, v4
	s_waitcnt vmcnt(0)
	v_mov_b32_e32 v3, v16
	s_and_b32 s6, s31, 3
	s_cmp_eq_u32 s6, 0
	s_cbranch_scc1 .LBB249_1144
.LBB249_1142:
	s_lshl_b32 s2, s30, 3
	s_add_u32 s2, s34, s2
	s_addc_u32 s3, s35, 0
	s_add_u32 s2, s2, 0xc4
	s_addc_u32 s3, s3, 0
	s_mul_i32 s4, s30, 12
	s_add_u32 s4, s34, s4
	s_addc_u32 s5, s35, 0
.LBB249_1143:                           ; =>This Inner Loop Header: Depth=1
	s_load_dwordx2 s[8:9], s[4:5], 0x4
	s_load_dword s7, s[4:5], 0xc
	s_load_dwordx2 s[10:11], s[2:3], 0x0
	v_mov_b32_e32 v0, v1
	s_add_u32 s4, s4, 12
	s_waitcnt lgkmcnt(0)
	v_mul_hi_u32 v1, s9, v3
	v_add_u32_e32 v1, v3, v1
	v_lshrrev_b32_e32 v1, s7, v1
	s_addc_u32 s5, s5, 0
	v_mul_lo_u32 v5, v1, s8
	s_add_u32 s2, s2, 8
	v_sub_u32_e32 v5, v3, v5
	s_addc_u32 s3, s3, 0
	s_add_i32 s6, s6, -1
	v_mov_b32_e32 v3, v1
	v_mad_u64_u32 v[0:1], s[8:9], v5, s11, v[0:1]
	s_cmp_lg_u32 s6, 0
	v_mad_u64_u32 v[4:5], s[8:9], v5, s10, v[4:5]
	v_mov_b32_e32 v1, v0
	s_cbranch_scc1 .LBB249_1143
.LBB249_1144:
	s_cbranch_execnz .LBB249_1147
.LBB249_1145:
	s_load_dwordx4 s[4:7], s[34:35], 0x4
	s_load_dwordx2 s[2:3], s[34:35], 0xc4
	s_cmp_lt_u32 s33, 2
	s_waitcnt lgkmcnt(0)
	v_mul_hi_u32 v0, s5, v16
	v_add_u32_e32 v0, v16, v0
	v_lshrrev_b32_e32 v1, s6, v0
	v_mul_lo_u32 v0, v1, s4
	s_waitcnt vmcnt(0)
	v_sub_u32_e32 v3, v16, v0
	v_mul_lo_u32 v0, v3, s3
	v_mul_lo_u32 v4, v3, s2
	s_cbranch_scc1 .LBB249_1147
; %bb.1146:
	s_load_dwordx4 s[4:7], s[34:35], 0x10
	s_load_dwordx2 s[2:3], s[34:35], 0xcc
	s_waitcnt lgkmcnt(0)
	v_mul_hi_u32 v3, s5, v1
	v_add_u32_e32 v3, v1, v3
	v_lshrrev_b32_e32 v3, s6, v3
	v_mul_lo_u32 v3, v3, s4
	v_sub_u32_e32 v1, v1, v3
	v_mad_u64_u32 v[4:5], s[4:5], v1, s2, v[4:5]
	v_mad_u64_u32 v[0:1], s[2:3], v1, s3, v[0:1]
.LBB249_1147:
	s_load_dword s16, s[0:1], 0x160
	s_load_dwordx4 s[4:7], s[34:35], 0x148
	v_mov_b32_e32 v15, 0
	s_waitcnt lgkmcnt(0)
	s_bfe_u32 s14, s16, 0x80010
	s_cmp_lt_i32 s14, 11
	v_lshl_add_u64 v[14:15], s[6:7], 0, v[14:15]
	s_cbranch_scc1 .LBB249_1154
; %bb.1148:
	s_and_b32 s15, 0xffff, s14
	s_cmp_gt_i32 s15, 25
	s_mov_b64 s[8:9], 0
	s_cbranch_scc0 .LBB249_1156
; %bb.1149:
	s_cmp_gt_i32 s15, 28
	s_cbranch_scc0 .LBB249_1157
; %bb.1150:
	s_cmp_gt_i32 s15, 43
	;; [unrolled: 3-line block ×3, first 2 shown]
	s_cbranch_scc0 .LBB249_1159
; %bb.1152:
	s_cmp_eq_u32 s15, 46
	s_mov_b64 s[2:3], 0
	s_cbranch_scc0 .LBB249_1162
; %bb.1153:
	global_load_dword v1, v[14:15], off
	s_mov_b64 s[0:1], 0
	s_mov_b64 s[10:11], -1
	s_waitcnt vmcnt(0)
	v_lshlrev_b32_e32 v1, 16, v1
	v_cvt_f64_f32_e32 v[16:17], v1
	s_branch .LBB249_1163
.LBB249_1154:
	s_mov_b64 s[10:11], 0
                                        ; implicit-def: $vgpr16_vgpr17
	s_mov_b64 s[2:3], s[24:25]
	s_cbranch_execnz .LBB249_1226
.LBB249_1155:
	s_andn2_b64 vcc, exec, s[10:11]
	s_cbranch_vccz .LBB249_1271
	s_branch .LBB249_1541
.LBB249_1156:
	s_mov_b64 s[10:11], 0
	s_mov_b64 s[0:1], 0
                                        ; implicit-def: $vgpr16_vgpr17
	s_cbranch_execnz .LBB249_1193
	s_branch .LBB249_1222
.LBB249_1157:
	s_mov_b64 s[2:3], -1
	s_mov_b64 s[10:11], 0
	s_mov_b64 s[0:1], 0
                                        ; implicit-def: $vgpr16_vgpr17
	s_branch .LBB249_1172
.LBB249_1158:
	s_mov_b64 s[10:11], 0
	s_mov_b64 s[0:1], 0
                                        ; implicit-def: $vgpr16_vgpr17
	s_cbranch_execnz .LBB249_1168
	s_branch .LBB249_1171
.LBB249_1159:
	s_mov_b64 s[2:3], -1
	s_mov_b64 s[10:11], 0
	s_mov_b64 s[0:1], 0
                                        ; implicit-def: $vgpr16_vgpr17
	s_branch .LBB249_1163
.LBB249_1160:
	s_andn2_saveexec_b64 s[12:13], s[12:13]
	s_cbranch_execz .LBB249_999
.LBB249_1161:
	s_mov_b32 s14, 0x46000000
	v_add_f32_e64 v5, |v4|, s14
	v_and_b32_e32 v5, 0xff, v5
	v_cmp_ne_u32_e32 vcc, 0, v5
	s_andn2_b64 s[10:11], s[10:11], exec
	s_and_b64 s[14:15], vcc, exec
	s_or_b64 s[10:11], s[10:11], s[14:15]
	s_or_b64 exec, exec, s[12:13]
	v_mov_b32_e32 v8, 0
	s_and_saveexec_b64 s[12:13], s[10:11]
	s_cbranch_execnz .LBB249_1000
	s_branch .LBB249_1001
.LBB249_1162:
	s_mov_b64 s[0:1], -1
                                        ; implicit-def: $vgpr16_vgpr17
	s_mov_b64 s[10:11], 0
.LBB249_1163:
	s_and_b64 vcc, exec, s[2:3]
	s_cbranch_vccz .LBB249_1166
; %bb.1164:
	s_cmp_eq_u32 s15, 44
	s_cbranch_scc0 .LBB249_1167
; %bb.1165:
	global_load_ubyte v1, v[14:15], off
	s_movk_i32 s2, 0xff
	s_waitcnt vmcnt(1)
	v_bfrev_b32_e32 v3, 4
	v_mov_b32_e32 v5, 0x7ff80000
	v_bfrev_b32_e32 v7, 28
	s_mov_b64 s[0:1], 0
	s_mov_b64 s[10:11], -1
	s_waitcnt vmcnt(0)
	v_lshlrev_b32_e32 v9, 23, v1
	v_cvt_f64_f32_e32 v[16:17], v9
	v_cmp_ne_u32_e32 vcc, s2, v1
	s_nop 1
	v_cndmask_b32_e32 v3, v3, v16, vcc
	v_cndmask_b32_e32 v5, v5, v17, vcc
	v_cmp_ne_u32_e32 vcc, 0, v1
	s_nop 1
	v_cndmask_b32_e32 v17, v7, v5, vcc
	v_cndmask_b32_e32 v16, 0, v3, vcc
.LBB249_1166:
	s_branch .LBB249_1171
.LBB249_1167:
	s_mov_b64 s[0:1], -1
                                        ; implicit-def: $vgpr16_vgpr17
	s_branch .LBB249_1171
.LBB249_1168:
	s_cmp_eq_u32 s15, 29
	s_cbranch_scc0 .LBB249_1170
; %bb.1169:
	global_load_dwordx2 v[16:17], v[14:15], off
	s_mov_b64 s[0:1], 0
	s_mov_b64 s[10:11], -1
	s_mov_b64 s[2:3], 0
	s_waitcnt vmcnt(0)
	v_cvt_f64_u32_e32 v[18:19], v17
	v_cvt_f64_u32_e32 v[16:17], v16
	v_ldexp_f64 v[18:19], v[18:19], 32
	v_add_f64 v[16:17], v[18:19], v[16:17]
	s_branch .LBB249_1172
.LBB249_1170:
	s_mov_b64 s[0:1], -1
                                        ; implicit-def: $vgpr16_vgpr17
.LBB249_1171:
	s_mov_b64 s[2:3], 0
.LBB249_1172:
	s_and_b64 vcc, exec, s[2:3]
	s_cbranch_vccz .LBB249_1192
; %bb.1173:
	s_cmp_lt_i32 s15, 27
	s_cbranch_scc1 .LBB249_1176
; %bb.1174:
	s_cmp_gt_i32 s15, 27
	s_cbranch_scc0 .LBB249_1177
; %bb.1175:
	global_load_dword v1, v[14:15], off
	s_mov_b64 s[2:3], 0
	s_waitcnt vmcnt(0)
	v_cvt_f64_u32_e32 v[16:17], v1
	s_branch .LBB249_1178
.LBB249_1176:
	s_mov_b64 s[2:3], -1
                                        ; implicit-def: $vgpr16_vgpr17
	s_branch .LBB249_1181
.LBB249_1177:
	s_mov_b64 s[2:3], -1
                                        ; implicit-def: $vgpr16_vgpr17
.LBB249_1178:
	s_andn2_b64 vcc, exec, s[2:3]
	s_cbranch_vccnz .LBB249_1180
; %bb.1179:
	global_load_ushort v1, v[14:15], off
	s_waitcnt vmcnt(0)
	v_cvt_f64_u32_e32 v[16:17], v1
.LBB249_1180:
	s_mov_b64 s[2:3], 0
.LBB249_1181:
	s_andn2_b64 vcc, exec, s[2:3]
	s_cbranch_vccnz .LBB249_1191
; %bb.1182:
	global_load_ubyte v1, v[14:15], off
	s_movk_i32 s2, 0x7f
	s_waitcnt vmcnt(0)
	v_cmp_lt_i16_e32 vcc, s2, v1
	s_mov_b64 s[2:3], 0
	s_and_saveexec_b64 s[10:11], vcc
	s_xor_b64 s[10:11], exec, s[10:11]
	s_cbranch_execz .LBB249_1186
; %bb.1183:
	s_movk_i32 s2, 0x80
	v_cmp_eq_u16_e32 vcc, s2, v1
	s_mov_b64 s[2:3], -1
	s_and_saveexec_b64 s[12:13], vcc
; %bb.1184:
	s_xor_b64 s[2:3], exec, -1
; %bb.1185:
	s_or_b64 exec, exec, s[12:13]
	s_and_b64 s[2:3], s[2:3], exec
.LBB249_1186:
	s_or_saveexec_b64 s[10:11], s[10:11]
	v_bfrev_b32_e32 v16, 4
	v_mov_b32_e32 v17, 0x7ff80000
	s_xor_b64 exec, exec, s[10:11]
; %bb.1187:
	v_cmp_ne_u16_e32 vcc, 0, v1
	s_andn2_b64 s[2:3], s[2:3], exec
	s_and_b64 s[12:13], vcc, exec
	v_mov_b64_e32 v[16:17], 0
	s_or_b64 s[2:3], s[2:3], s[12:13]
; %bb.1188:
	s_or_b64 exec, exec, s[10:11]
	s_and_saveexec_b64 s[10:11], s[2:3]
	s_cbranch_execz .LBB249_1190
; %bb.1189:
	v_lshlrev_b32_e32 v3, 24, v1
	v_and_b32_e32 v1, 0xffff, v1
	v_and_b32_e32 v5, 7, v1
	v_ffbh_u32_e32 v9, v5
	v_min_u32_e32 v9, 32, v9
	v_subrev_u32_e32 v11, 28, v9
	v_bfe_u32 v7, v1, 3, 4
	v_lshlrev_b32_e32 v1, v11, v1
	v_sub_u32_e32 v9, 29, v9
	v_and_b32_e32 v1, 7, v1
	v_cmp_eq_u32_e32 vcc, 0, v7
	v_and_b32_e32 v3, 0x80000000, v3
	s_nop 0
	v_cndmask_b32_e32 v7, v7, v9, vcc
	v_cndmask_b32_e32 v1, v5, v1, vcc
	v_mov_b32_e32 v5, 0x3b800000
	v_lshlrev_b32_e32 v1, 20, v1
	v_lshl_add_u32 v5, v7, 23, v5
	v_or3_b32 v1, v3, v5, v1
	v_cvt_f64_f32_e32 v[16:17], v1
.LBB249_1190:
	s_or_b64 exec, exec, s[10:11]
.LBB249_1191:
	s_mov_b64 s[10:11], -1
.LBB249_1192:
	s_branch .LBB249_1222
.LBB249_1193:
	s_cmp_gt_i32 s15, 22
	s_cbranch_scc0 .LBB249_1205
; %bb.1194:
	s_cmp_lt_i32 s15, 24
	s_cbranch_scc1 .LBB249_1206
; %bb.1195:
	s_cmp_gt_i32 s15, 24
	s_cbranch_scc0 .LBB249_1207
; %bb.1196:
	global_load_ubyte v1, v[14:15], off
	s_movk_i32 s2, 0x7f
	s_waitcnt vmcnt(0)
	v_cmp_lt_i16_e32 vcc, s2, v1
	s_mov_b64 s[2:3], 0
	s_and_saveexec_b64 s[8:9], vcc
	s_xor_b64 s[8:9], exec, s[8:9]
	s_cbranch_execz .LBB249_1200
; %bb.1197:
	s_movk_i32 s2, 0x80
	v_cmp_eq_u16_e32 vcc, s2, v1
	s_mov_b64 s[2:3], -1
	s_and_saveexec_b64 s[10:11], vcc
; %bb.1198:
	s_xor_b64 s[2:3], exec, -1
; %bb.1199:
	s_or_b64 exec, exec, s[10:11]
	s_and_b64 s[2:3], s[2:3], exec
.LBB249_1200:
	s_or_saveexec_b64 s[8:9], s[8:9]
	v_bfrev_b32_e32 v16, 4
	v_mov_b32_e32 v17, 0x7ff80000
	s_xor_b64 exec, exec, s[8:9]
; %bb.1201:
	v_cmp_ne_u16_e32 vcc, 0, v1
	s_andn2_b64 s[2:3], s[2:3], exec
	s_and_b64 s[10:11], vcc, exec
	v_mov_b64_e32 v[16:17], 0
	s_or_b64 s[2:3], s[2:3], s[10:11]
; %bb.1202:
	s_or_b64 exec, exec, s[8:9]
	s_and_saveexec_b64 s[8:9], s[2:3]
	s_cbranch_execz .LBB249_1204
; %bb.1203:
	v_lshlrev_b32_e32 v3, 24, v1
	v_and_b32_e32 v1, 0xffff, v1
	v_and_b32_e32 v5, 3, v1
	v_ffbh_u32_e32 v9, v5
	v_min_u32_e32 v9, 32, v9
	v_subrev_u32_e32 v11, 29, v9
	v_bfe_u32 v7, v1, 2, 5
	v_lshlrev_b32_e32 v1, v11, v1
	v_sub_u32_e32 v9, 30, v9
	v_and_b32_e32 v1, 3, v1
	v_cmp_eq_u32_e32 vcc, 0, v7
	v_and_b32_e32 v3, 0x80000000, v3
	s_nop 0
	v_cndmask_b32_e32 v7, v7, v9, vcc
	v_cndmask_b32_e32 v1, v5, v1, vcc
	v_mov_b32_e32 v5, 0x37800000
	v_lshlrev_b32_e32 v1, 21, v1
	v_lshl_add_u32 v5, v7, 23, v5
	v_or3_b32 v1, v3, v5, v1
	v_cvt_f64_f32_e32 v[16:17], v1
.LBB249_1204:
	s_or_b64 exec, exec, s[8:9]
	s_mov_b64 s[2:3], 0
	s_branch .LBB249_1208
.LBB249_1205:
                                        ; implicit-def: $vgpr16_vgpr17
	s_mov_b64 s[8:9], 0
	s_branch .LBB249_1214
.LBB249_1206:
	s_mov_b64 s[2:3], -1
                                        ; implicit-def: $vgpr16_vgpr17
	s_branch .LBB249_1211
.LBB249_1207:
	s_mov_b64 s[2:3], -1
                                        ; implicit-def: $vgpr16_vgpr17
.LBB249_1208:
	s_and_b64 vcc, exec, s[2:3]
	s_cbranch_vccz .LBB249_1210
; %bb.1209:
	global_load_ubyte v1, v[14:15], off
	s_mov_b32 s2, 0x7f800000
	s_waitcnt vmcnt(0)
	v_lshlrev_b32_e32 v1, 24, v1
	v_and_b32_e32 v3, 0x7f000000, v1
	v_ffbh_u32_e32 v5, v3
	v_min_u32_e32 v5, 32, v5
	v_sub_u32_e64 v5, v5, 4 clamp
	v_lshlrev_b32_e32 v9, v5, v3
	v_lshlrev_b32_e32 v5, 23, v5
	v_lshrrev_b32_e32 v9, 4, v9
	v_add_u32_e32 v7, 0x1000000, v3
	v_sub_u32_e32 v5, v9, v5
	v_ashrrev_i32_e32 v7, 8, v7
	v_add_u32_e32 v5, 0x3c000000, v5
	v_and_or_b32 v5, v7, s2, v5
	v_cmp_ne_u32_e32 vcc, 0, v3
	s_brev_b32 s2, 1
	s_nop 0
	v_cndmask_b32_e32 v3, 0, v5, vcc
	v_and_or_b32 v1, v1, s2, v3
	v_cvt_f64_f32_e32 v[16:17], v1
.LBB249_1210:
	s_mov_b64 s[2:3], 0
.LBB249_1211:
	s_andn2_b64 vcc, exec, s[2:3]
	s_cbranch_vccnz .LBB249_1213
; %bb.1212:
	global_load_ubyte v1, v[14:15], off
	s_movk_i32 s2, 0x7f00
	s_brev_b32 s3, 16
	s_waitcnt vmcnt(0)
	v_lshlrev_b16_e32 v3, 8, v1
	v_lshlrev_b32_e32 v1, 25, v1
	v_lshrrev_b32_e32 v5, 4, v1
	v_and_or_b32 v7, v3, s2, 0.5
	v_or_b32_e32 v5, 0x70000000, v5
	v_add_f32_e32 v7, -0.5, v7
	v_mul_f32_e32 v5, 0x7800000, v5
	v_cmp_gt_u32_e32 vcc, s3, v1
	v_bfe_i32 v3, v3, 0, 16
	s_brev_b32 s2, 1
	v_cndmask_b32_e32 v1, v5, v7, vcc
	v_and_or_b32 v1, v3, s2, v1
	v_cvt_f64_f32_e32 v[16:17], v1
.LBB249_1213:
	s_mov_b64 s[10:11], -1
	s_mov_b64 s[8:9], 0
	s_cbranch_execnz .LBB249_1222
.LBB249_1214:
	s_cmp_gt_i32 s15, 14
	s_cbranch_scc0 .LBB249_1217
; %bb.1215:
	s_cmp_eq_u32 s15, 15
	s_cbranch_scc0 .LBB249_1218
; %bb.1216:
	global_load_ushort v1, v[14:15], off
	s_mov_b64 s[0:1], 0
	s_mov_b64 s[10:11], -1
	s_waitcnt vmcnt(0)
	v_lshlrev_b32_e32 v1, 16, v1
	v_cvt_f64_f32_e32 v[16:17], v1
	s_branch .LBB249_1219
.LBB249_1217:
	s_mov_b64 s[2:3], -1
                                        ; implicit-def: $vgpr16_vgpr17
	s_branch .LBB249_1220
.LBB249_1218:
	s_mov_b64 s[0:1], -1
                                        ; implicit-def: $vgpr16_vgpr17
.LBB249_1219:
	s_mov_b64 s[2:3], 0
.LBB249_1220:
	s_and_b64 vcc, exec, s[2:3]
	s_cbranch_vccz .LBB249_1222
; %bb.1221:
	s_cmp_lg_u32 s15, 11
	s_mov_b64 s[8:9], -1
	s_cselect_b64 s[0:1], -1, 0
.LBB249_1222:
	s_and_b64 vcc, exec, s[0:1]
	s_mov_b64 s[2:3], s[24:25]
	s_cbranch_vccnz .LBB249_1283
; %bb.1223:
	s_andn2_b64 vcc, exec, s[8:9]
	s_cbranch_vccnz .LBB249_1225
.LBB249_1224:
	global_load_ubyte v1, v[14:15], off
	s_waitcnt vmcnt(1)
	v_mov_b32_e32 v3, 0x3ff00000
	v_mov_b32_e32 v16, 0
	s_mov_b64 s[10:11], -1
	s_waitcnt vmcnt(0)
	v_cmp_ne_u16_e32 vcc, 0, v1
	s_nop 1
	v_cndmask_b32_e32 v17, 0, v3, vcc
.LBB249_1225:
	s_branch .LBB249_1155
.LBB249_1226:
	s_and_b32 s8, 0xffff, s14
	s_cmp_lt_i32 s8, 5
	s_cbranch_scc1 .LBB249_1231
; %bb.1227:
	s_cmp_lt_i32 s8, 8
	s_cbranch_scc1 .LBB249_1232
; %bb.1228:
	;; [unrolled: 3-line block ×3, first 2 shown]
	s_cmp_gt_i32 s8, 9
	s_cbranch_scc0 .LBB249_1234
; %bb.1230:
	global_load_dwordx2 v[16:17], v[14:15], off
	s_mov_b64 s[0:1], 0
	s_branch .LBB249_1235
.LBB249_1231:
                                        ; implicit-def: $vgpr16_vgpr17
	s_branch .LBB249_1252
.LBB249_1232:
                                        ; implicit-def: $vgpr16_vgpr17
	s_branch .LBB249_1241
.LBB249_1233:
	s_mov_b64 s[0:1], -1
                                        ; implicit-def: $vgpr16_vgpr17
	s_branch .LBB249_1238
.LBB249_1234:
	s_mov_b64 s[0:1], -1
                                        ; implicit-def: $vgpr16_vgpr17
.LBB249_1235:
	s_andn2_b64 vcc, exec, s[0:1]
	s_cbranch_vccnz .LBB249_1237
; %bb.1236:
	global_load_dword v1, v[14:15], off
	s_waitcnt vmcnt(0)
	v_cvt_f64_f32_e32 v[16:17], v1
.LBB249_1237:
	s_mov_b64 s[0:1], 0
.LBB249_1238:
	s_andn2_b64 vcc, exec, s[0:1]
	s_cbranch_vccnz .LBB249_1240
; %bb.1239:
	global_load_dword v1, v[14:15], off
	s_waitcnt vmcnt(0)
	v_cvt_f32_f16_e32 v1, v1
	v_cvt_f64_f32_e32 v[16:17], v1
.LBB249_1240:
	s_cbranch_execnz .LBB249_1251
.LBB249_1241:
	s_cmp_lt_i32 s8, 6
	s_cbranch_scc1 .LBB249_1244
; %bb.1242:
	s_cmp_gt_i32 s8, 6
	s_cbranch_scc0 .LBB249_1245
; %bb.1243:
	global_load_dwordx2 v[16:17], v[14:15], off
	s_mov_b64 s[0:1], 0
	s_branch .LBB249_1246
.LBB249_1244:
	s_mov_b64 s[0:1], -1
                                        ; implicit-def: $vgpr16_vgpr17
	s_branch .LBB249_1249
.LBB249_1245:
	s_mov_b64 s[0:1], -1
                                        ; implicit-def: $vgpr16_vgpr17
.LBB249_1246:
	s_andn2_b64 vcc, exec, s[0:1]
	s_cbranch_vccnz .LBB249_1248
; %bb.1247:
	global_load_dword v1, v[14:15], off
	s_waitcnt vmcnt(0)
	v_cvt_f64_f32_e32 v[16:17], v1
.LBB249_1248:
	s_mov_b64 s[0:1], 0
.LBB249_1249:
	s_andn2_b64 vcc, exec, s[0:1]
	s_cbranch_vccnz .LBB249_1251
; %bb.1250:
	global_load_ushort v1, v[14:15], off
	s_waitcnt vmcnt(0)
	v_cvt_f32_f16_e32 v1, v1
	v_cvt_f64_f32_e32 v[16:17], v1
.LBB249_1251:
	s_cbranch_execnz .LBB249_1270
.LBB249_1252:
	s_cmp_lt_i32 s8, 2
	s_cbranch_scc1 .LBB249_1256
; %bb.1253:
	s_cmp_lt_i32 s8, 3
	s_cbranch_scc1 .LBB249_1257
; %bb.1254:
	s_cmp_gt_i32 s8, 3
	s_cbranch_scc0 .LBB249_1258
; %bb.1255:
	global_load_dwordx2 v[16:17], v[14:15], off
	s_mov_b64 s[0:1], 0
	s_waitcnt vmcnt(0)
	v_cvt_f64_i32_e32 v[18:19], v17
	v_cvt_f64_u32_e32 v[16:17], v16
	v_ldexp_f64 v[18:19], v[18:19], 32
	v_add_f64 v[16:17], v[18:19], v[16:17]
	s_branch .LBB249_1259
.LBB249_1256:
                                        ; implicit-def: $vgpr16_vgpr17
	s_branch .LBB249_1265
.LBB249_1257:
	s_mov_b64 s[0:1], -1
                                        ; implicit-def: $vgpr16_vgpr17
	s_branch .LBB249_1262
.LBB249_1258:
	s_mov_b64 s[0:1], -1
                                        ; implicit-def: $vgpr16_vgpr17
.LBB249_1259:
	s_andn2_b64 vcc, exec, s[0:1]
	s_cbranch_vccnz .LBB249_1261
; %bb.1260:
	global_load_dword v1, v[14:15], off
	s_waitcnt vmcnt(0)
	v_cvt_f64_i32_e32 v[16:17], v1
.LBB249_1261:
	s_mov_b64 s[0:1], 0
.LBB249_1262:
	s_andn2_b64 vcc, exec, s[0:1]
	s_cbranch_vccnz .LBB249_1264
; %bb.1263:
	global_load_sshort v1, v[14:15], off
	s_waitcnt vmcnt(0)
	v_cvt_f64_i32_e32 v[16:17], v1
.LBB249_1264:
	s_cbranch_execnz .LBB249_1270
.LBB249_1265:
	s_cmp_gt_i32 s8, 0
	s_cbranch_scc0 .LBB249_1267
; %bb.1266:
	global_load_sbyte v1, v[14:15], off
	s_mov_b64 s[0:1], 0
	s_waitcnt vmcnt(0)
	v_cvt_f64_i32_e32 v[16:17], v1
	s_branch .LBB249_1268
.LBB249_1267:
	s_mov_b64 s[0:1], -1
                                        ; implicit-def: $vgpr16_vgpr17
.LBB249_1268:
	s_andn2_b64 vcc, exec, s[0:1]
	s_cbranch_vccnz .LBB249_1270
; %bb.1269:
	global_load_ubyte v1, v[14:15], off
	s_waitcnt vmcnt(0)
	v_cvt_f64_u32_e32 v[16:17], v1
.LBB249_1270:
.LBB249_1271:
	s_lshr_b32 s0, s16, 16
	v_mov_b32_e32 v13, 0
	s_and_b32 s17, s0, 0xff
	s_cmp_lt_i32 s17, 11
	v_lshl_add_u64 v[12:13], s[6:7], 0, v[12:13]
	s_cbranch_scc1 .LBB249_1278
; %bb.1272:
	s_and_b32 s18, 0xffff, s17
	s_cmp_gt_i32 s18, 25
	s_mov_b64 s[8:9], 0
	s_cbranch_scc0 .LBB249_1280
; %bb.1273:
	s_cmp_gt_i32 s18, 28
	s_cbranch_scc0 .LBB249_1281
; %bb.1274:
	s_cmp_gt_i32 s18, 43
	;; [unrolled: 3-line block ×3, first 2 shown]
	s_cbranch_scc0 .LBB249_1284
; %bb.1276:
	s_cmp_eq_u32 s18, 46
	s_mov_b64 s[12:13], 0
	s_cbranch_scc0 .LBB249_1287
; %bb.1277:
	global_load_dword v1, v[12:13], off
	s_mov_b64 s[0:1], 0
	s_mov_b64 s[10:11], -1
	s_waitcnt vmcnt(0)
	v_lshlrev_b32_e32 v1, 16, v1
	v_cvt_f64_f32_e32 v[14:15], v1
	s_branch .LBB249_1288
.LBB249_1278:
	s_mov_b64 s[10:11], 0
                                        ; implicit-def: $vgpr14_vgpr15
	s_cbranch_execnz .LBB249_1353
.LBB249_1279:
	s_andn2_b64 vcc, exec, s[10:11]
	s_cbranch_vccz .LBB249_1400
	s_branch .LBB249_1541
.LBB249_1280:
	s_mov_b64 s[10:11], 0
	s_mov_b64 s[0:1], 0
                                        ; implicit-def: $vgpr14_vgpr15
	s_cbranch_execnz .LBB249_1319
	s_branch .LBB249_1349
.LBB249_1281:
	s_mov_b64 s[12:13], -1
	s_mov_b64 s[10:11], 0
	s_mov_b64 s[0:1], 0
                                        ; implicit-def: $vgpr14_vgpr15
	s_branch .LBB249_1298
.LBB249_1282:
	s_mov_b64 s[12:13], -1
	s_mov_b64 s[10:11], 0
	s_mov_b64 s[0:1], 0
                                        ; implicit-def: $vgpr14_vgpr15
	s_branch .LBB249_1293
.LBB249_1283:
	s_or_b64 s[2:3], s[24:25], exec
	s_trap 2
	s_cbranch_execz .LBB249_1224
	s_branch .LBB249_1225
.LBB249_1284:
	s_mov_b64 s[12:13], -1
	s_mov_b64 s[10:11], 0
	s_mov_b64 s[0:1], 0
                                        ; implicit-def: $vgpr14_vgpr15
	s_branch .LBB249_1288
.LBB249_1285:
	s_andn2_saveexec_b64 s[14:15], s[14:15]
	s_cbranch_execz .LBB249_1011
.LBB249_1286:
	s_mov_b32 s18, 0x42800000
	v_add_f32_e64 v5, |v4|, s18
	v_and_b32_e32 v5, 0xff, v5
	v_cmp_ne_u32_e32 vcc, 0, v5
	s_andn2_b64 s[12:13], s[12:13], exec
	s_and_b64 s[18:19], vcc, exec
	s_or_b64 s[12:13], s[12:13], s[18:19]
	s_or_b64 exec, exec, s[14:15]
	v_mov_b32_e32 v8, 0
	s_and_saveexec_b64 s[14:15], s[12:13]
	s_cbranch_execnz .LBB249_1012
	s_branch .LBB249_1013
.LBB249_1287:
	s_mov_b64 s[0:1], -1
                                        ; implicit-def: $vgpr14_vgpr15
	s_mov_b64 s[10:11], 0
.LBB249_1288:
	s_and_b64 vcc, exec, s[12:13]
	s_cbranch_vccz .LBB249_1292
; %bb.1289:
	s_cmp_eq_u32 s18, 44
	s_cbranch_scc0 .LBB249_1291
; %bb.1290:
	global_load_ubyte v1, v[12:13], off
	s_movk_i32 s10, 0xff
	s_waitcnt vmcnt(1)
	v_bfrev_b32_e32 v3, 4
	v_mov_b32_e32 v5, 0x7ff80000
	v_bfrev_b32_e32 v7, 28
	s_mov_b64 s[0:1], 0
	s_waitcnt vmcnt(0)
	v_lshlrev_b32_e32 v9, 23, v1
	v_cvt_f64_f32_e32 v[14:15], v9
	v_cmp_ne_u32_e32 vcc, s10, v1
	s_mov_b64 s[10:11], -1
	s_nop 0
	v_cndmask_b32_e32 v3, v3, v14, vcc
	v_cndmask_b32_e32 v5, v5, v15, vcc
	v_cmp_ne_u32_e32 vcc, 0, v1
	s_nop 1
	v_cndmask_b32_e32 v15, v7, v5, vcc
	v_cndmask_b32_e32 v14, 0, v3, vcc
	s_branch .LBB249_1292
.LBB249_1291:
	s_mov_b64 s[0:1], -1
                                        ; implicit-def: $vgpr14_vgpr15
.LBB249_1292:
	s_mov_b64 s[12:13], 0
.LBB249_1293:
	s_and_b64 vcc, exec, s[12:13]
	s_cbranch_vccz .LBB249_1297
; %bb.1294:
	s_cmp_eq_u32 s18, 29
	s_cbranch_scc0 .LBB249_1296
; %bb.1295:
	global_load_dwordx2 v[14:15], v[12:13], off
	s_mov_b64 s[0:1], 0
	s_mov_b64 s[10:11], -1
	s_mov_b64 s[12:13], 0
	s_waitcnt vmcnt(0)
	v_cvt_f64_u32_e32 v[18:19], v15
	v_cvt_f64_u32_e32 v[14:15], v14
	v_ldexp_f64 v[18:19], v[18:19], 32
	v_add_f64 v[14:15], v[18:19], v[14:15]
	s_branch .LBB249_1298
.LBB249_1296:
	s_mov_b64 s[0:1], -1
                                        ; implicit-def: $vgpr14_vgpr15
.LBB249_1297:
	s_mov_b64 s[12:13], 0
.LBB249_1298:
	s_and_b64 vcc, exec, s[12:13]
	s_cbranch_vccz .LBB249_1318
; %bb.1299:
	s_cmp_lt_i32 s18, 27
	s_cbranch_scc1 .LBB249_1302
; %bb.1300:
	s_cmp_gt_i32 s18, 27
	s_cbranch_scc0 .LBB249_1303
; %bb.1301:
	global_load_dword v1, v[12:13], off
	s_mov_b64 s[10:11], 0
	s_waitcnt vmcnt(0)
	v_cvt_f64_u32_e32 v[14:15], v1
	s_branch .LBB249_1304
.LBB249_1302:
	s_mov_b64 s[10:11], -1
                                        ; implicit-def: $vgpr14_vgpr15
	s_branch .LBB249_1307
.LBB249_1303:
	s_mov_b64 s[10:11], -1
                                        ; implicit-def: $vgpr14_vgpr15
.LBB249_1304:
	s_andn2_b64 vcc, exec, s[10:11]
	s_cbranch_vccnz .LBB249_1306
; %bb.1305:
	global_load_ushort v1, v[12:13], off
	s_waitcnt vmcnt(0)
	v_cvt_f64_u32_e32 v[14:15], v1
.LBB249_1306:
	s_mov_b64 s[10:11], 0
.LBB249_1307:
	s_andn2_b64 vcc, exec, s[10:11]
	s_cbranch_vccnz .LBB249_1317
; %bb.1308:
	global_load_ubyte v1, v[12:13], off
	s_movk_i32 s10, 0x7f
	s_waitcnt vmcnt(0)
	v_cmp_lt_i16_e32 vcc, s10, v1
	s_mov_b64 s[10:11], 0
	s_and_saveexec_b64 s[12:13], vcc
	s_xor_b64 s[12:13], exec, s[12:13]
	s_cbranch_execz .LBB249_1312
; %bb.1309:
	s_movk_i32 s10, 0x80
	v_cmp_eq_u16_e32 vcc, s10, v1
	s_mov_b64 s[10:11], -1
	s_and_saveexec_b64 s[14:15], vcc
; %bb.1310:
	s_xor_b64 s[10:11], exec, -1
; %bb.1311:
	s_or_b64 exec, exec, s[14:15]
	s_and_b64 s[10:11], s[10:11], exec
.LBB249_1312:
	s_or_saveexec_b64 s[12:13], s[12:13]
	v_bfrev_b32_e32 v14, 4
	v_mov_b32_e32 v15, 0x7ff80000
	s_xor_b64 exec, exec, s[12:13]
; %bb.1313:
	v_cmp_ne_u16_e32 vcc, 0, v1
	s_andn2_b64 s[10:11], s[10:11], exec
	s_and_b64 s[14:15], vcc, exec
	v_mov_b64_e32 v[14:15], 0
	s_or_b64 s[10:11], s[10:11], s[14:15]
; %bb.1314:
	s_or_b64 exec, exec, s[12:13]
	s_and_saveexec_b64 s[12:13], s[10:11]
	s_cbranch_execz .LBB249_1316
; %bb.1315:
	v_lshlrev_b32_e32 v3, 24, v1
	v_and_b32_e32 v1, 0xffff, v1
	v_and_b32_e32 v5, 7, v1
	v_ffbh_u32_e32 v9, v5
	v_min_u32_e32 v9, 32, v9
	v_subrev_u32_e32 v11, 28, v9
	v_bfe_u32 v7, v1, 3, 4
	v_lshlrev_b32_e32 v1, v11, v1
	v_sub_u32_e32 v9, 29, v9
	v_and_b32_e32 v1, 7, v1
	v_cmp_eq_u32_e32 vcc, 0, v7
	v_and_b32_e32 v3, 0x80000000, v3
	s_nop 0
	v_cndmask_b32_e32 v7, v7, v9, vcc
	v_cndmask_b32_e32 v1, v5, v1, vcc
	v_mov_b32_e32 v5, 0x3b800000
	v_lshlrev_b32_e32 v1, 20, v1
	v_lshl_add_u32 v5, v7, 23, v5
	v_or3_b32 v1, v3, v5, v1
	v_cvt_f64_f32_e32 v[14:15], v1
.LBB249_1316:
	s_or_b64 exec, exec, s[12:13]
.LBB249_1317:
	s_mov_b64 s[10:11], -1
.LBB249_1318:
	s_branch .LBB249_1349
.LBB249_1319:
	s_cmp_gt_i32 s18, 22
	s_cbranch_scc0 .LBB249_1331
; %bb.1320:
	s_cmp_lt_i32 s18, 24
	s_cbranch_scc1 .LBB249_1332
; %bb.1321:
	s_cmp_gt_i32 s18, 24
	s_cbranch_scc0 .LBB249_1333
; %bb.1322:
	global_load_ubyte v1, v[12:13], off
	s_movk_i32 s8, 0x7f
	s_waitcnt vmcnt(0)
	v_cmp_lt_i16_e32 vcc, s8, v1
	s_mov_b64 s[8:9], 0
	s_and_saveexec_b64 s[10:11], vcc
	s_xor_b64 s[10:11], exec, s[10:11]
	s_cbranch_execz .LBB249_1326
; %bb.1323:
	s_movk_i32 s8, 0x80
	v_cmp_eq_u16_e32 vcc, s8, v1
	s_mov_b64 s[8:9], -1
	s_and_saveexec_b64 s[12:13], vcc
; %bb.1324:
	s_xor_b64 s[8:9], exec, -1
; %bb.1325:
	s_or_b64 exec, exec, s[12:13]
	s_and_b64 s[8:9], s[8:9], exec
.LBB249_1326:
	s_or_saveexec_b64 s[10:11], s[10:11]
	v_bfrev_b32_e32 v14, 4
	v_mov_b32_e32 v15, 0x7ff80000
	s_xor_b64 exec, exec, s[10:11]
; %bb.1327:
	v_cmp_ne_u16_e32 vcc, 0, v1
	s_andn2_b64 s[8:9], s[8:9], exec
	s_and_b64 s[12:13], vcc, exec
	v_mov_b64_e32 v[14:15], 0
	s_or_b64 s[8:9], s[8:9], s[12:13]
; %bb.1328:
	s_or_b64 exec, exec, s[10:11]
	s_and_saveexec_b64 s[10:11], s[8:9]
	s_cbranch_execz .LBB249_1330
; %bb.1329:
	v_lshlrev_b32_e32 v3, 24, v1
	v_and_b32_e32 v1, 0xffff, v1
	v_and_b32_e32 v5, 3, v1
	v_ffbh_u32_e32 v9, v5
	v_min_u32_e32 v9, 32, v9
	v_subrev_u32_e32 v11, 29, v9
	v_bfe_u32 v7, v1, 2, 5
	v_lshlrev_b32_e32 v1, v11, v1
	v_sub_u32_e32 v9, 30, v9
	v_and_b32_e32 v1, 3, v1
	v_cmp_eq_u32_e32 vcc, 0, v7
	v_and_b32_e32 v3, 0x80000000, v3
	s_nop 0
	v_cndmask_b32_e32 v7, v7, v9, vcc
	v_cndmask_b32_e32 v1, v5, v1, vcc
	v_mov_b32_e32 v5, 0x37800000
	v_lshlrev_b32_e32 v1, 21, v1
	v_lshl_add_u32 v5, v7, 23, v5
	v_or3_b32 v1, v3, v5, v1
	v_cvt_f64_f32_e32 v[14:15], v1
.LBB249_1330:
	s_or_b64 exec, exec, s[10:11]
	s_mov_b64 s[8:9], 0
	s_branch .LBB249_1334
.LBB249_1331:
	s_mov_b64 s[8:9], -1
                                        ; implicit-def: $vgpr14_vgpr15
	s_branch .LBB249_1340
.LBB249_1332:
	s_mov_b64 s[8:9], -1
                                        ; implicit-def: $vgpr14_vgpr15
	s_branch .LBB249_1337
.LBB249_1333:
	s_mov_b64 s[8:9], -1
                                        ; implicit-def: $vgpr14_vgpr15
.LBB249_1334:
	s_and_b64 vcc, exec, s[8:9]
	s_cbranch_vccz .LBB249_1336
; %bb.1335:
	global_load_ubyte v1, v[12:13], off
	s_mov_b32 s8, 0x7f800000
	s_waitcnt vmcnt(0)
	v_lshlrev_b32_e32 v1, 24, v1
	v_and_b32_e32 v3, 0x7f000000, v1
	v_ffbh_u32_e32 v5, v3
	v_min_u32_e32 v5, 32, v5
	v_sub_u32_e64 v5, v5, 4 clamp
	v_lshlrev_b32_e32 v9, v5, v3
	v_lshlrev_b32_e32 v5, 23, v5
	v_lshrrev_b32_e32 v9, 4, v9
	v_add_u32_e32 v7, 0x1000000, v3
	v_sub_u32_e32 v5, v9, v5
	v_ashrrev_i32_e32 v7, 8, v7
	v_add_u32_e32 v5, 0x3c000000, v5
	v_and_or_b32 v5, v7, s8, v5
	v_cmp_ne_u32_e32 vcc, 0, v3
	s_brev_b32 s8, 1
	s_nop 0
	v_cndmask_b32_e32 v3, 0, v5, vcc
	v_and_or_b32 v1, v1, s8, v3
	v_cvt_f64_f32_e32 v[14:15], v1
.LBB249_1336:
	s_mov_b64 s[8:9], 0
.LBB249_1337:
	s_andn2_b64 vcc, exec, s[8:9]
	s_cbranch_vccnz .LBB249_1339
; %bb.1338:
	global_load_ubyte v1, v[12:13], off
	s_movk_i32 s8, 0x7f00
	s_brev_b32 s9, 16
	s_waitcnt vmcnt(0)
	v_lshlrev_b16_e32 v3, 8, v1
	v_lshlrev_b32_e32 v1, 25, v1
	v_lshrrev_b32_e32 v5, 4, v1
	v_and_or_b32 v7, v3, s8, 0.5
	v_or_b32_e32 v5, 0x70000000, v5
	v_add_f32_e32 v7, -0.5, v7
	v_mul_f32_e32 v5, 0x7800000, v5
	v_cmp_gt_u32_e32 vcc, s9, v1
	v_bfe_i32 v3, v3, 0, 16
	s_brev_b32 s8, 1
	v_cndmask_b32_e32 v1, v5, v7, vcc
	v_and_or_b32 v1, v3, s8, v1
	v_cvt_f64_f32_e32 v[14:15], v1
.LBB249_1339:
	s_mov_b64 s[8:9], 0
	s_mov_b64 s[10:11], -1
.LBB249_1340:
	s_andn2_b64 vcc, exec, s[8:9]
	s_mov_b64 s[8:9], 0
	s_cbranch_vccnz .LBB249_1349
; %bb.1341:
	s_cmp_gt_i32 s18, 14
	s_cbranch_scc0 .LBB249_1344
; %bb.1342:
	s_cmp_eq_u32 s18, 15
	s_cbranch_scc0 .LBB249_1345
; %bb.1343:
	global_load_ushort v1, v[12:13], off
	s_mov_b64 s[0:1], 0
	s_mov_b64 s[10:11], -1
	s_waitcnt vmcnt(0)
	v_lshlrev_b32_e32 v1, 16, v1
	v_cvt_f64_f32_e32 v[14:15], v1
	s_branch .LBB249_1346
.LBB249_1344:
	s_mov_b64 s[12:13], -1
                                        ; implicit-def: $vgpr14_vgpr15
	s_branch .LBB249_1347
.LBB249_1345:
	s_mov_b64 s[0:1], -1
                                        ; implicit-def: $vgpr14_vgpr15
.LBB249_1346:
	s_mov_b64 s[12:13], 0
.LBB249_1347:
	s_and_b64 vcc, exec, s[12:13]
	s_cbranch_vccz .LBB249_1349
; %bb.1348:
	s_cmp_lg_u32 s18, 11
	s_mov_b64 s[8:9], -1
	s_cselect_b64 s[0:1], -1, 0
.LBB249_1349:
	s_and_b64 vcc, exec, s[0:1]
	s_cbranch_vccnz .LBB249_1422
; %bb.1350:
	s_andn2_b64 vcc, exec, s[8:9]
	s_cbranch_vccnz .LBB249_1352
.LBB249_1351:
	global_load_ubyte v1, v[12:13], off
	s_waitcnt vmcnt(1)
	v_mov_b32_e32 v3, 0x3ff00000
	v_mov_b32_e32 v14, 0
	s_mov_b64 s[10:11], -1
	s_waitcnt vmcnt(0)
	v_cmp_ne_u16_e32 vcc, 0, v1
	s_nop 1
	v_cndmask_b32_e32 v15, 0, v3, vcc
.LBB249_1352:
	s_branch .LBB249_1279
.LBB249_1353:
	s_and_b32 s8, 0xffff, s17
	s_cmp_lt_i32 s8, 5
	s_cbranch_scc1 .LBB249_1358
; %bb.1354:
	s_cmp_lt_i32 s8, 8
	s_cbranch_scc1 .LBB249_1359
; %bb.1355:
	;; [unrolled: 3-line block ×3, first 2 shown]
	s_cmp_gt_i32 s8, 9
	s_cbranch_scc0 .LBB249_1361
; %bb.1357:
	global_load_dwordx2 v[14:15], v[12:13], off
	s_mov_b64 s[0:1], 0
	s_branch .LBB249_1362
.LBB249_1358:
                                        ; implicit-def: $vgpr14_vgpr15
	s_branch .LBB249_1380
.LBB249_1359:
	s_mov_b64 s[0:1], -1
                                        ; implicit-def: $vgpr14_vgpr15
	s_branch .LBB249_1368
.LBB249_1360:
	s_mov_b64 s[0:1], -1
                                        ; implicit-def: $vgpr14_vgpr15
	s_branch .LBB249_1365
.LBB249_1361:
	s_mov_b64 s[0:1], -1
                                        ; implicit-def: $vgpr14_vgpr15
.LBB249_1362:
	s_andn2_b64 vcc, exec, s[0:1]
	s_cbranch_vccnz .LBB249_1364
; %bb.1363:
	global_load_dword v1, v[12:13], off
	s_waitcnt vmcnt(0)
	v_cvt_f64_f32_e32 v[14:15], v1
.LBB249_1364:
	s_mov_b64 s[0:1], 0
.LBB249_1365:
	s_andn2_b64 vcc, exec, s[0:1]
	s_cbranch_vccnz .LBB249_1367
; %bb.1366:
	global_load_dword v1, v[12:13], off
	s_waitcnt vmcnt(0)
	v_cvt_f32_f16_e32 v1, v1
	v_cvt_f64_f32_e32 v[14:15], v1
.LBB249_1367:
	s_mov_b64 s[0:1], 0
.LBB249_1368:
	s_andn2_b64 vcc, exec, s[0:1]
	s_cbranch_vccnz .LBB249_1379
; %bb.1369:
	s_cmp_lt_i32 s8, 6
	s_cbranch_scc1 .LBB249_1372
; %bb.1370:
	s_cmp_gt_i32 s8, 6
	s_cbranch_scc0 .LBB249_1373
; %bb.1371:
	global_load_dwordx2 v[14:15], v[12:13], off
	s_mov_b64 s[0:1], 0
	s_branch .LBB249_1374
.LBB249_1372:
	s_mov_b64 s[0:1], -1
                                        ; implicit-def: $vgpr14_vgpr15
	s_branch .LBB249_1377
.LBB249_1373:
	s_mov_b64 s[0:1], -1
                                        ; implicit-def: $vgpr14_vgpr15
.LBB249_1374:
	s_andn2_b64 vcc, exec, s[0:1]
	s_cbranch_vccnz .LBB249_1376
; %bb.1375:
	global_load_dword v1, v[12:13], off
	s_waitcnt vmcnt(0)
	v_cvt_f64_f32_e32 v[14:15], v1
.LBB249_1376:
	s_mov_b64 s[0:1], 0
.LBB249_1377:
	s_andn2_b64 vcc, exec, s[0:1]
	s_cbranch_vccnz .LBB249_1379
; %bb.1378:
	global_load_ushort v1, v[12:13], off
	s_waitcnt vmcnt(0)
	v_cvt_f32_f16_e32 v1, v1
	v_cvt_f64_f32_e32 v[14:15], v1
.LBB249_1379:
	s_cbranch_execnz .LBB249_1399
.LBB249_1380:
	s_cmp_lt_i32 s8, 2
	s_cbranch_scc1 .LBB249_1384
; %bb.1381:
	s_cmp_lt_i32 s8, 3
	s_cbranch_scc1 .LBB249_1385
; %bb.1382:
	s_cmp_gt_i32 s8, 3
	s_cbranch_scc0 .LBB249_1386
; %bb.1383:
	global_load_dwordx2 v[14:15], v[12:13], off
	s_mov_b64 s[0:1], 0
	s_waitcnt vmcnt(0)
	v_cvt_f64_i32_e32 v[18:19], v15
	v_cvt_f64_u32_e32 v[14:15], v14
	v_ldexp_f64 v[18:19], v[18:19], 32
	v_add_f64 v[14:15], v[18:19], v[14:15]
	s_branch .LBB249_1387
.LBB249_1384:
	s_mov_b64 s[0:1], -1
                                        ; implicit-def: $vgpr14_vgpr15
	s_branch .LBB249_1393
.LBB249_1385:
	s_mov_b64 s[0:1], -1
                                        ; implicit-def: $vgpr14_vgpr15
	s_branch .LBB249_1390
.LBB249_1386:
	s_mov_b64 s[0:1], -1
                                        ; implicit-def: $vgpr14_vgpr15
.LBB249_1387:
	s_andn2_b64 vcc, exec, s[0:1]
	s_cbranch_vccnz .LBB249_1389
; %bb.1388:
	global_load_dword v1, v[12:13], off
	s_waitcnt vmcnt(0)
	v_cvt_f64_i32_e32 v[14:15], v1
.LBB249_1389:
	s_mov_b64 s[0:1], 0
.LBB249_1390:
	s_andn2_b64 vcc, exec, s[0:1]
	s_cbranch_vccnz .LBB249_1392
; %bb.1391:
	global_load_sshort v1, v[12:13], off
	s_waitcnt vmcnt(0)
	v_cvt_f64_i32_e32 v[14:15], v1
.LBB249_1392:
	s_mov_b64 s[0:1], 0
.LBB249_1393:
	s_andn2_b64 vcc, exec, s[0:1]
	s_cbranch_vccnz .LBB249_1399
; %bb.1394:
	s_cmp_gt_i32 s8, 0
	s_cbranch_scc0 .LBB249_1396
; %bb.1395:
	global_load_sbyte v1, v[12:13], off
	s_mov_b64 s[0:1], 0
	s_waitcnt vmcnt(0)
	v_cvt_f64_i32_e32 v[14:15], v1
	s_branch .LBB249_1397
.LBB249_1396:
	s_mov_b64 s[0:1], -1
                                        ; implicit-def: $vgpr14_vgpr15
.LBB249_1397:
	s_andn2_b64 vcc, exec, s[0:1]
	s_cbranch_vccnz .LBB249_1399
; %bb.1398:
	global_load_ubyte v1, v[12:13], off
	s_waitcnt vmcnt(0)
	v_cvt_f64_u32_e32 v[14:15], v1
.LBB249_1399:
.LBB249_1400:
	v_mov_b32_e32 v11, 0
	s_cmp_lt_i32 s17, 11
	v_lshl_add_u64 v[10:11], s[6:7], 0, v[10:11]
	s_cbranch_scc1 .LBB249_1407
; %bb.1401:
	s_and_b32 s18, 0xffff, s17
	s_cmp_gt_i32 s18, 25
	s_mov_b64 s[8:9], 0
	s_cbranch_scc0 .LBB249_1416
; %bb.1402:
	s_cmp_gt_i32 s18, 28
	s_cbranch_scc0 .LBB249_1418
; %bb.1403:
	s_cmp_gt_i32 s18, 43
	;; [unrolled: 3-line block ×3, first 2 shown]
	s_cbranch_scc0 .LBB249_1423
; %bb.1405:
	s_cmp_eq_u32 s18, 46
	s_mov_b64 s[12:13], 0
	s_cbranch_scc0 .LBB249_1425
; %bb.1406:
	global_load_dword v1, v[10:11], off
	s_mov_b64 s[0:1], 0
	s_mov_b64 s[10:11], -1
	s_waitcnt vmcnt(0)
	v_lshlrev_b32_e32 v1, 16, v1
	v_cvt_f64_f32_e32 v[12:13], v1
	s_branch .LBB249_1426
.LBB249_1407:
	s_mov_b64 s[10:11], 0
                                        ; implicit-def: $vgpr12_vgpr13
	s_cbranch_execnz .LBB249_1493
.LBB249_1408:
	s_andn2_b64 vcc, exec, s[10:11]
	s_cbranch_vccnz .LBB249_1541
.LBB249_1409:
	v_mov_b32_e32 v1, 0
	s_cmp_lt_i32 s17, 11
	v_lshl_add_u64 v[0:1], s[6:7], 0, v[0:1]
	s_cbranch_scc1 .LBB249_1417
; %bb.1410:
	s_and_b32 s14, 0xffff, s17
	s_cmp_gt_i32 s14, 25
	s_mov_b64 s[6:7], 0
	s_cbranch_scc0 .LBB249_1419
; %bb.1411:
	s_cmp_gt_i32 s14, 28
	s_cbranch_scc0 .LBB249_1421
; %bb.1412:
	s_cmp_gt_i32 s14, 43
	;; [unrolled: 3-line block ×3, first 2 shown]
	s_cbranch_scc0 .LBB249_1429
; %bb.1414:
	s_cmp_eq_u32 s14, 46
	s_mov_b64 s[10:11], 0
	s_cbranch_scc0 .LBB249_1588
; %bb.1415:
	global_load_dword v3, v[0:1], off
	s_mov_b64 s[0:1], 0
	s_mov_b64 s[8:9], -1
	s_waitcnt vmcnt(0)
	v_lshlrev_b32_e32 v3, 16, v3
	v_cvt_f64_f32_e32 v[10:11], v3
	s_branch .LBB249_1589
.LBB249_1416:
	s_mov_b64 s[12:13], -1
	s_mov_b64 s[10:11], 0
	s_mov_b64 s[0:1], 0
                                        ; implicit-def: $vgpr12_vgpr13
	s_branch .LBB249_1458
.LBB249_1417:
	s_mov_b64 s[0:1], -1
	s_mov_b64 s[8:9], 0
                                        ; implicit-def: $vgpr10_vgpr11
	s_branch .LBB249_1655
.LBB249_1418:
	s_mov_b64 s[12:13], -1
	s_mov_b64 s[10:11], 0
	s_mov_b64 s[0:1], 0
                                        ; implicit-def: $vgpr12_vgpr13
	s_branch .LBB249_1437
.LBB249_1419:
	s_mov_b64 s[10:11], -1
	s_mov_b64 s[8:9], 0
	s_mov_b64 s[0:1], 0
                                        ; implicit-def: $vgpr10_vgpr11
	s_branch .LBB249_1620
.LBB249_1420:
	s_mov_b64 s[12:13], -1
	s_mov_b64 s[10:11], 0
	s_mov_b64 s[0:1], 0
                                        ; implicit-def: $vgpr12_vgpr13
	s_branch .LBB249_1432
.LBB249_1421:
	s_mov_b64 s[10:11], -1
	s_mov_b64 s[8:9], 0
	s_mov_b64 s[0:1], 0
                                        ; implicit-def: $vgpr10_vgpr11
	s_branch .LBB249_1599
.LBB249_1422:
	s_trap 2
	s_or_b64 s[2:3], s[2:3], exec
	s_cbranch_execz .LBB249_1351
	s_branch .LBB249_1352
.LBB249_1423:
	s_mov_b64 s[12:13], -1
	s_mov_b64 s[10:11], 0
	s_mov_b64 s[0:1], 0
                                        ; implicit-def: $vgpr12_vgpr13
	s_branch .LBB249_1426
.LBB249_1424:
	s_mov_b64 s[10:11], -1
	s_mov_b64 s[8:9], 0
	s_mov_b64 s[0:1], 0
                                        ; implicit-def: $vgpr10_vgpr11
	s_branch .LBB249_1594
.LBB249_1425:
	s_mov_b64 s[0:1], -1
                                        ; implicit-def: $vgpr12_vgpr13
	s_mov_b64 s[10:11], 0
.LBB249_1426:
	s_and_b64 vcc, exec, s[12:13]
	s_cbranch_vccz .LBB249_1431
; %bb.1427:
	s_cmp_eq_u32 s18, 44
	s_cbranch_scc0 .LBB249_1430
; %bb.1428:
	global_load_ubyte v1, v[10:11], off
	s_movk_i32 s10, 0xff
	s_waitcnt vmcnt(1)
	v_bfrev_b32_e32 v3, 4
	v_mov_b32_e32 v5, 0x7ff80000
	v_bfrev_b32_e32 v7, 28
	s_mov_b64 s[0:1], 0
	s_waitcnt vmcnt(0)
	v_lshlrev_b32_e32 v9, 23, v1
	v_cvt_f64_f32_e32 v[12:13], v9
	v_cmp_ne_u32_e32 vcc, s10, v1
	s_mov_b64 s[10:11], -1
	s_nop 0
	v_cndmask_b32_e32 v3, v3, v12, vcc
	v_cndmask_b32_e32 v5, v5, v13, vcc
	v_cmp_ne_u32_e32 vcc, 0, v1
	s_nop 1
	v_cndmask_b32_e32 v13, v7, v5, vcc
	v_cndmask_b32_e32 v12, 0, v3, vcc
	s_branch .LBB249_1431
.LBB249_1429:
	s_mov_b64 s[10:11], -1
	s_mov_b64 s[8:9], 0
	s_mov_b64 s[0:1], 0
                                        ; implicit-def: $vgpr10_vgpr11
	s_branch .LBB249_1589
.LBB249_1430:
	s_mov_b64 s[0:1], -1
                                        ; implicit-def: $vgpr12_vgpr13
.LBB249_1431:
	s_mov_b64 s[12:13], 0
.LBB249_1432:
	s_and_b64 vcc, exec, s[12:13]
	s_cbranch_vccz .LBB249_1436
; %bb.1433:
	s_cmp_eq_u32 s18, 29
	s_cbranch_scc0 .LBB249_1435
; %bb.1434:
	global_load_dwordx2 v[12:13], v[10:11], off
	s_mov_b64 s[0:1], 0
	s_mov_b64 s[10:11], -1
	s_mov_b64 s[12:13], 0
	s_waitcnt vmcnt(0)
	v_cvt_f64_u32_e32 v[18:19], v13
	v_cvt_f64_u32_e32 v[12:13], v12
	v_ldexp_f64 v[18:19], v[18:19], 32
	v_add_f64 v[12:13], v[18:19], v[12:13]
	s_branch .LBB249_1437
.LBB249_1435:
	s_mov_b64 s[0:1], -1
                                        ; implicit-def: $vgpr12_vgpr13
.LBB249_1436:
	s_mov_b64 s[12:13], 0
.LBB249_1437:
	s_and_b64 vcc, exec, s[12:13]
	s_cbranch_vccz .LBB249_1457
; %bb.1438:
	s_cmp_lt_i32 s18, 27
	s_cbranch_scc1 .LBB249_1441
; %bb.1439:
	s_cmp_gt_i32 s18, 27
	s_cbranch_scc0 .LBB249_1442
; %bb.1440:
	global_load_dword v1, v[10:11], off
	s_mov_b64 s[10:11], 0
	s_waitcnt vmcnt(0)
	v_cvt_f64_u32_e32 v[12:13], v1
	s_branch .LBB249_1443
.LBB249_1441:
	s_mov_b64 s[10:11], -1
                                        ; implicit-def: $vgpr12_vgpr13
	s_branch .LBB249_1446
.LBB249_1442:
	s_mov_b64 s[10:11], -1
                                        ; implicit-def: $vgpr12_vgpr13
.LBB249_1443:
	s_andn2_b64 vcc, exec, s[10:11]
	s_cbranch_vccnz .LBB249_1445
; %bb.1444:
	global_load_ushort v1, v[10:11], off
	s_waitcnt vmcnt(0)
	v_cvt_f64_u32_e32 v[12:13], v1
.LBB249_1445:
	s_mov_b64 s[10:11], 0
.LBB249_1446:
	s_andn2_b64 vcc, exec, s[10:11]
	s_cbranch_vccnz .LBB249_1456
; %bb.1447:
	global_load_ubyte v1, v[10:11], off
	s_movk_i32 s10, 0x7f
	s_waitcnt vmcnt(0)
	v_cmp_lt_i16_e32 vcc, s10, v1
	s_mov_b64 s[10:11], 0
	s_and_saveexec_b64 s[12:13], vcc
	s_xor_b64 s[12:13], exec, s[12:13]
	s_cbranch_execz .LBB249_1451
; %bb.1448:
	s_movk_i32 s10, 0x80
	v_cmp_eq_u16_e32 vcc, s10, v1
	s_mov_b64 s[10:11], -1
	s_and_saveexec_b64 s[14:15], vcc
; %bb.1449:
	s_xor_b64 s[10:11], exec, -1
; %bb.1450:
	s_or_b64 exec, exec, s[14:15]
	s_and_b64 s[10:11], s[10:11], exec
.LBB249_1451:
	s_or_saveexec_b64 s[12:13], s[12:13]
	v_bfrev_b32_e32 v12, 4
	v_mov_b32_e32 v13, 0x7ff80000
	s_xor_b64 exec, exec, s[12:13]
; %bb.1452:
	v_cmp_ne_u16_e32 vcc, 0, v1
	s_andn2_b64 s[10:11], s[10:11], exec
	s_and_b64 s[14:15], vcc, exec
	v_mov_b64_e32 v[12:13], 0
	s_or_b64 s[10:11], s[10:11], s[14:15]
; %bb.1453:
	s_or_b64 exec, exec, s[12:13]
	s_and_saveexec_b64 s[12:13], s[10:11]
	s_cbranch_execz .LBB249_1455
; %bb.1454:
	v_lshlrev_b32_e32 v3, 24, v1
	v_and_b32_e32 v1, 0xffff, v1
	v_and_b32_e32 v5, 7, v1
	v_ffbh_u32_e32 v9, v5
	v_min_u32_e32 v9, 32, v9
	v_subrev_u32_e32 v12, 28, v9
	v_bfe_u32 v7, v1, 3, 4
	v_lshlrev_b32_e32 v1, v12, v1
	v_sub_u32_e32 v9, 29, v9
	v_and_b32_e32 v1, 7, v1
	v_cmp_eq_u32_e32 vcc, 0, v7
	v_and_b32_e32 v3, 0x80000000, v3
	s_nop 0
	v_cndmask_b32_e32 v7, v7, v9, vcc
	v_cndmask_b32_e32 v1, v5, v1, vcc
	v_mov_b32_e32 v5, 0x3b800000
	v_lshlrev_b32_e32 v1, 20, v1
	v_lshl_add_u32 v5, v7, 23, v5
	v_or3_b32 v1, v3, v5, v1
	v_cvt_f64_f32_e32 v[12:13], v1
.LBB249_1455:
	s_or_b64 exec, exec, s[12:13]
.LBB249_1456:
	s_mov_b64 s[10:11], -1
.LBB249_1457:
	s_mov_b64 s[12:13], 0
.LBB249_1458:
	s_and_b64 vcc, exec, s[12:13]
	s_cbranch_vccz .LBB249_1489
; %bb.1459:
	s_cmp_gt_i32 s18, 22
	s_cbranch_scc0 .LBB249_1471
; %bb.1460:
	s_cmp_lt_i32 s18, 24
	s_cbranch_scc1 .LBB249_1472
; %bb.1461:
	s_cmp_gt_i32 s18, 24
	s_cbranch_scc0 .LBB249_1473
; %bb.1462:
	global_load_ubyte v1, v[10:11], off
	s_movk_i32 s8, 0x7f
	s_waitcnt vmcnt(0)
	v_cmp_lt_i16_e32 vcc, s8, v1
	s_mov_b64 s[8:9], 0
	s_and_saveexec_b64 s[10:11], vcc
	s_xor_b64 s[10:11], exec, s[10:11]
	s_cbranch_execz .LBB249_1466
; %bb.1463:
	s_movk_i32 s8, 0x80
	v_cmp_eq_u16_e32 vcc, s8, v1
	s_mov_b64 s[8:9], -1
	s_and_saveexec_b64 s[12:13], vcc
; %bb.1464:
	s_xor_b64 s[8:9], exec, -1
; %bb.1465:
	s_or_b64 exec, exec, s[12:13]
	s_and_b64 s[8:9], s[8:9], exec
.LBB249_1466:
	s_or_saveexec_b64 s[10:11], s[10:11]
	v_bfrev_b32_e32 v12, 4
	v_mov_b32_e32 v13, 0x7ff80000
	s_xor_b64 exec, exec, s[10:11]
; %bb.1467:
	v_cmp_ne_u16_e32 vcc, 0, v1
	s_andn2_b64 s[8:9], s[8:9], exec
	s_and_b64 s[12:13], vcc, exec
	v_mov_b64_e32 v[12:13], 0
	s_or_b64 s[8:9], s[8:9], s[12:13]
; %bb.1468:
	s_or_b64 exec, exec, s[10:11]
	s_and_saveexec_b64 s[10:11], s[8:9]
	s_cbranch_execz .LBB249_1470
; %bb.1469:
	v_lshlrev_b32_e32 v3, 24, v1
	v_and_b32_e32 v1, 0xffff, v1
	v_and_b32_e32 v5, 3, v1
	v_ffbh_u32_e32 v9, v5
	v_min_u32_e32 v9, 32, v9
	v_subrev_u32_e32 v12, 29, v9
	v_bfe_u32 v7, v1, 2, 5
	v_lshlrev_b32_e32 v1, v12, v1
	v_sub_u32_e32 v9, 30, v9
	v_and_b32_e32 v1, 3, v1
	v_cmp_eq_u32_e32 vcc, 0, v7
	v_and_b32_e32 v3, 0x80000000, v3
	s_nop 0
	v_cndmask_b32_e32 v7, v7, v9, vcc
	v_cndmask_b32_e32 v1, v5, v1, vcc
	v_mov_b32_e32 v5, 0x37800000
	v_lshlrev_b32_e32 v1, 21, v1
	v_lshl_add_u32 v5, v7, 23, v5
	v_or3_b32 v1, v3, v5, v1
	v_cvt_f64_f32_e32 v[12:13], v1
.LBB249_1470:
	s_or_b64 exec, exec, s[10:11]
	s_mov_b64 s[8:9], 0
	s_branch .LBB249_1474
.LBB249_1471:
	s_mov_b64 s[8:9], -1
                                        ; implicit-def: $vgpr12_vgpr13
	s_branch .LBB249_1480
.LBB249_1472:
	s_mov_b64 s[8:9], -1
                                        ; implicit-def: $vgpr12_vgpr13
	s_branch .LBB249_1477
.LBB249_1473:
	s_mov_b64 s[8:9], -1
                                        ; implicit-def: $vgpr12_vgpr13
.LBB249_1474:
	s_and_b64 vcc, exec, s[8:9]
	s_cbranch_vccz .LBB249_1476
; %bb.1475:
	global_load_ubyte v1, v[10:11], off
	s_mov_b32 s8, 0x7f800000
	s_waitcnt vmcnt(0)
	v_lshlrev_b32_e32 v1, 24, v1
	v_and_b32_e32 v3, 0x7f000000, v1
	v_ffbh_u32_e32 v5, v3
	v_min_u32_e32 v5, 32, v5
	v_sub_u32_e64 v5, v5, 4 clamp
	v_lshlrev_b32_e32 v9, v5, v3
	v_lshlrev_b32_e32 v5, 23, v5
	v_lshrrev_b32_e32 v9, 4, v9
	v_add_u32_e32 v7, 0x1000000, v3
	v_sub_u32_e32 v5, v9, v5
	v_ashrrev_i32_e32 v7, 8, v7
	v_add_u32_e32 v5, 0x3c000000, v5
	v_and_or_b32 v5, v7, s8, v5
	v_cmp_ne_u32_e32 vcc, 0, v3
	s_brev_b32 s8, 1
	s_nop 0
	v_cndmask_b32_e32 v3, 0, v5, vcc
	v_and_or_b32 v1, v1, s8, v3
	v_cvt_f64_f32_e32 v[12:13], v1
.LBB249_1476:
	s_mov_b64 s[8:9], 0
.LBB249_1477:
	s_andn2_b64 vcc, exec, s[8:9]
	s_cbranch_vccnz .LBB249_1479
; %bb.1478:
	global_load_ubyte v1, v[10:11], off
	s_movk_i32 s8, 0x7f00
	s_brev_b32 s9, 16
	s_waitcnt vmcnt(0)
	v_lshlrev_b16_e32 v3, 8, v1
	v_lshlrev_b32_e32 v1, 25, v1
	v_lshrrev_b32_e32 v5, 4, v1
	v_and_or_b32 v7, v3, s8, 0.5
	v_or_b32_e32 v5, 0x70000000, v5
	v_add_f32_e32 v7, -0.5, v7
	v_mul_f32_e32 v5, 0x7800000, v5
	v_cmp_gt_u32_e32 vcc, s9, v1
	v_bfe_i32 v3, v3, 0, 16
	s_brev_b32 s8, 1
	v_cndmask_b32_e32 v1, v5, v7, vcc
	v_and_or_b32 v1, v3, s8, v1
	v_cvt_f64_f32_e32 v[12:13], v1
.LBB249_1479:
	s_mov_b64 s[8:9], 0
	s_mov_b64 s[10:11], -1
.LBB249_1480:
	s_andn2_b64 vcc, exec, s[8:9]
	s_mov_b64 s[8:9], 0
	s_cbranch_vccnz .LBB249_1489
; %bb.1481:
	s_cmp_gt_i32 s18, 14
	s_cbranch_scc0 .LBB249_1484
; %bb.1482:
	s_cmp_eq_u32 s18, 15
	s_cbranch_scc0 .LBB249_1485
; %bb.1483:
	global_load_ushort v1, v[10:11], off
	s_mov_b64 s[0:1], 0
	s_mov_b64 s[10:11], -1
	s_waitcnt vmcnt(0)
	v_lshlrev_b32_e32 v1, 16, v1
	v_cvt_f64_f32_e32 v[12:13], v1
	s_branch .LBB249_1486
.LBB249_1484:
	s_mov_b64 s[12:13], -1
                                        ; implicit-def: $vgpr12_vgpr13
	s_branch .LBB249_1487
.LBB249_1485:
	s_mov_b64 s[0:1], -1
                                        ; implicit-def: $vgpr12_vgpr13
.LBB249_1486:
	s_mov_b64 s[12:13], 0
.LBB249_1487:
	s_and_b64 vcc, exec, s[12:13]
	s_cbranch_vccz .LBB249_1489
; %bb.1488:
	s_cmp_lg_u32 s18, 11
	s_mov_b64 s[8:9], -1
	s_cselect_b64 s[0:1], -1, 0
.LBB249_1489:
	s_and_b64 vcc, exec, s[0:1]
	s_cbranch_vccnz .LBB249_1587
; %bb.1490:
	s_andn2_b64 vcc, exec, s[8:9]
	s_cbranch_vccnz .LBB249_1492
.LBB249_1491:
	global_load_ubyte v1, v[10:11], off
	s_waitcnt vmcnt(1)
	v_mov_b32_e32 v3, 0x3ff00000
	v_mov_b32_e32 v12, 0
	s_mov_b64 s[10:11], -1
	s_waitcnt vmcnt(0)
	v_cmp_ne_u16_e32 vcc, 0, v1
	s_nop 1
	v_cndmask_b32_e32 v13, 0, v3, vcc
.LBB249_1492:
	s_branch .LBB249_1408
.LBB249_1493:
	s_and_b32 s8, 0xffff, s17
	s_cmp_lt_i32 s8, 5
	s_cbranch_scc1 .LBB249_1498
; %bb.1494:
	s_cmp_lt_i32 s8, 8
	s_cbranch_scc1 .LBB249_1499
; %bb.1495:
	;; [unrolled: 3-line block ×3, first 2 shown]
	s_cmp_gt_i32 s8, 9
	s_cbranch_scc0 .LBB249_1501
; %bb.1497:
	global_load_dwordx2 v[12:13], v[10:11], off
	s_mov_b64 s[0:1], 0
	s_branch .LBB249_1502
.LBB249_1498:
	s_mov_b64 s[0:1], -1
                                        ; implicit-def: $vgpr12_vgpr13
	s_branch .LBB249_1520
.LBB249_1499:
	s_mov_b64 s[0:1], -1
                                        ; implicit-def: $vgpr12_vgpr13
	s_branch .LBB249_1508
.LBB249_1500:
	s_mov_b64 s[0:1], -1
                                        ; implicit-def: $vgpr12_vgpr13
	s_branch .LBB249_1505
.LBB249_1501:
	s_mov_b64 s[0:1], -1
                                        ; implicit-def: $vgpr12_vgpr13
.LBB249_1502:
	s_andn2_b64 vcc, exec, s[0:1]
	s_cbranch_vccnz .LBB249_1504
; %bb.1503:
	global_load_dword v1, v[10:11], off
	s_waitcnt vmcnt(0)
	v_cvt_f64_f32_e32 v[12:13], v1
.LBB249_1504:
	s_mov_b64 s[0:1], 0
.LBB249_1505:
	s_andn2_b64 vcc, exec, s[0:1]
	s_cbranch_vccnz .LBB249_1507
; %bb.1506:
	global_load_dword v1, v[10:11], off
	s_waitcnt vmcnt(0)
	v_cvt_f32_f16_e32 v1, v1
	v_cvt_f64_f32_e32 v[12:13], v1
.LBB249_1507:
	s_mov_b64 s[0:1], 0
.LBB249_1508:
	s_andn2_b64 vcc, exec, s[0:1]
	s_cbranch_vccnz .LBB249_1519
; %bb.1509:
	s_cmp_lt_i32 s8, 6
	s_cbranch_scc1 .LBB249_1512
; %bb.1510:
	s_cmp_gt_i32 s8, 6
	s_cbranch_scc0 .LBB249_1513
; %bb.1511:
	global_load_dwordx2 v[12:13], v[10:11], off
	s_mov_b64 s[0:1], 0
	s_branch .LBB249_1514
.LBB249_1512:
	s_mov_b64 s[0:1], -1
                                        ; implicit-def: $vgpr12_vgpr13
	s_branch .LBB249_1517
.LBB249_1513:
	s_mov_b64 s[0:1], -1
                                        ; implicit-def: $vgpr12_vgpr13
.LBB249_1514:
	s_andn2_b64 vcc, exec, s[0:1]
	s_cbranch_vccnz .LBB249_1516
; %bb.1515:
	global_load_dword v1, v[10:11], off
	s_waitcnt vmcnt(0)
	v_cvt_f64_f32_e32 v[12:13], v1
.LBB249_1516:
	s_mov_b64 s[0:1], 0
.LBB249_1517:
	s_andn2_b64 vcc, exec, s[0:1]
	s_cbranch_vccnz .LBB249_1519
; %bb.1518:
	global_load_ushort v1, v[10:11], off
	s_waitcnt vmcnt(0)
	v_cvt_f32_f16_e32 v1, v1
	v_cvt_f64_f32_e32 v[12:13], v1
.LBB249_1519:
	s_mov_b64 s[0:1], 0
.LBB249_1520:
	s_andn2_b64 vcc, exec, s[0:1]
	s_cbranch_vccnz .LBB249_1540
; %bb.1521:
	s_cmp_lt_i32 s8, 2
	s_cbranch_scc1 .LBB249_1525
; %bb.1522:
	s_cmp_lt_i32 s8, 3
	s_cbranch_scc1 .LBB249_1526
; %bb.1523:
	s_cmp_gt_i32 s8, 3
	s_cbranch_scc0 .LBB249_1527
; %bb.1524:
	global_load_dwordx2 v[12:13], v[10:11], off
	s_mov_b64 s[0:1], 0
	s_waitcnt vmcnt(0)
	v_cvt_f64_i32_e32 v[18:19], v13
	v_cvt_f64_u32_e32 v[12:13], v12
	v_ldexp_f64 v[18:19], v[18:19], 32
	v_add_f64 v[12:13], v[18:19], v[12:13]
	s_branch .LBB249_1528
.LBB249_1525:
	s_mov_b64 s[0:1], -1
                                        ; implicit-def: $vgpr12_vgpr13
	s_branch .LBB249_1534
.LBB249_1526:
	s_mov_b64 s[0:1], -1
                                        ; implicit-def: $vgpr12_vgpr13
	s_branch .LBB249_1531
.LBB249_1527:
	s_mov_b64 s[0:1], -1
                                        ; implicit-def: $vgpr12_vgpr13
.LBB249_1528:
	s_andn2_b64 vcc, exec, s[0:1]
	s_cbranch_vccnz .LBB249_1530
; %bb.1529:
	global_load_dword v1, v[10:11], off
	s_waitcnt vmcnt(0)
	v_cvt_f64_i32_e32 v[12:13], v1
.LBB249_1530:
	s_mov_b64 s[0:1], 0
.LBB249_1531:
	s_andn2_b64 vcc, exec, s[0:1]
	s_cbranch_vccnz .LBB249_1533
; %bb.1532:
	global_load_sshort v1, v[10:11], off
	s_waitcnt vmcnt(0)
	v_cvt_f64_i32_e32 v[12:13], v1
.LBB249_1533:
	s_mov_b64 s[0:1], 0
.LBB249_1534:
	s_andn2_b64 vcc, exec, s[0:1]
	s_cbranch_vccnz .LBB249_1540
; %bb.1535:
	s_cmp_gt_i32 s8, 0
	s_cbranch_scc0 .LBB249_1537
; %bb.1536:
	global_load_sbyte v1, v[10:11], off
	s_mov_b64 s[0:1], 0
	s_waitcnt vmcnt(0)
	v_cvt_f64_i32_e32 v[12:13], v1
	s_branch .LBB249_1538
.LBB249_1537:
	s_mov_b64 s[0:1], -1
                                        ; implicit-def: $vgpr12_vgpr13
.LBB249_1538:
	s_andn2_b64 vcc, exec, s[0:1]
	s_cbranch_vccnz .LBB249_1540
; %bb.1539:
	global_load_ubyte v1, v[10:11], off
	s_waitcnt vmcnt(0)
	v_cvt_f64_u32_e32 v[12:13], v1
.LBB249_1540:
	s_branch .LBB249_1409
.LBB249_1541:
	s_mov_b64 s[0:1], 0
                                        ; implicit-def: $vgpr4_vgpr5
                                        ; implicit-def: $sgpr14
                                        ; implicit-def: $vgpr0_vgpr1
                                        ; implicit-def: $vgpr10_vgpr11
.LBB249_1542:
	s_mov_b64 s[4:5], 0
.LBB249_1543:
	s_and_b64 s[6:7], s[0:1], exec
	s_andn2_b64 s[0:1], s[24:25], exec
	s_and_b64 s[2:3], s[2:3], exec
	s_and_b64 s[40:41], s[4:5], exec
	s_or_b64 s[24:25], s[0:1], s[2:3]
.LBB249_1544:
	s_or_b64 exec, exec, s[26:27]
	s_and_saveexec_b64 s[0:1], s[24:25]
	s_cbranch_execz .LBB249_1547
; %bb.1545:
	; divergent unreachable
	s_or_b64 exec, exec, s[0:1]
	s_and_saveexec_b64 s[0:1], s[40:41]
	s_xor_b64 s[0:1], exec, s[0:1]
	s_cbranch_execnz .LBB249_1548
.LBB249_1546:
	s_or_b64 exec, exec, s[0:1]
	s_and_saveexec_b64 s[0:1], s[6:7]
	s_cbranch_execnz .LBB249_1549
	s_branch .LBB249_1586
.LBB249_1547:
	s_or_b64 exec, exec, s[0:1]
	s_and_saveexec_b64 s[0:1], s[40:41]
	s_xor_b64 s[0:1], exec, s[0:1]
	s_cbranch_execz .LBB249_1546
.LBB249_1548:
	s_waitcnt vmcnt(0)
	v_cmp_neq_f64_e32 vcc, 0, v[10:11]
	s_nop 1
	v_cndmask_b32_e64 v2, 0, 1, vcc
	global_store_byte v[4:5], v2, off
	s_or_b64 exec, exec, s[0:1]
	s_and_saveexec_b64 s[0:1], s[6:7]
	s_cbranch_execz .LBB249_1586
.LBB249_1549:
	s_sext_i32_i16 s2, s14
	s_cmp_lt_i32 s2, 5
	s_mov_b64 s[0:1], -1
	s_cbranch_scc1 .LBB249_1570
; %bb.1550:
	s_cmp_lt_i32 s2, 8
	s_cbranch_scc1 .LBB249_1560
; %bb.1551:
	s_cmp_lt_i32 s2, 9
	s_cbranch_scc1 .LBB249_1557
; %bb.1552:
	s_cmp_gt_i32 s2, 9
	s_cbranch_scc0 .LBB249_1554
; %bb.1553:
	s_waitcnt vmcnt(0)
	v_mov_b32_e32 v2, 0
	v_mov_b32_e32 v3, v2
	global_store_dwordx4 v[4:5], v[0:3], off
	s_mov_b64 s[0:1], 0
.LBB249_1554:
	s_andn2_b64 vcc, exec, s[0:1]
	s_cbranch_vccnz .LBB249_1556
; %bb.1555:
	s_waitcnt vmcnt(0)
	v_cvt_f32_f64_e32 v2, v[0:1]
	v_mov_b32_e32 v3, 0
	global_store_dwordx2 v[4:5], v[2:3], off
.LBB249_1556:
	s_mov_b64 s[0:1], 0
.LBB249_1557:
	s_andn2_b64 vcc, exec, s[0:1]
	s_cbranch_vccnz .LBB249_1559
; %bb.1558:
	s_movk_i32 s0, 0x1ff
	s_waitcnt vmcnt(0)
	v_and_or_b32 v2, v1, s0, v0
	v_cmp_ne_u32_e32 vcc, 0, v2
	v_lshrrev_b32_e32 v3, 8, v1
	s_movk_i32 s0, 0xffe
	v_cndmask_b32_e64 v2, 0, 1, vcc
	v_bfe_u32 v6, v1, 20, 11
	v_and_or_b32 v2, v3, s0, v2
	v_sub_u32_e32 v7, 0x3f1, v6
	v_or_b32_e32 v3, 0x1000, v2
	v_med3_i32 v7, v7, 0, 13
	v_lshrrev_b32_e32 v8, v7, v3
	v_lshlrev_b32_e32 v7, v7, v8
	v_cmp_ne_u32_e32 vcc, v7, v3
	v_add_u32_e32 v6, 0xfffffc10, v6
	v_lshl_or_b32 v7, v6, 12, v2
	v_cndmask_b32_e64 v3, 0, 1, vcc
	v_or_b32_e32 v3, v8, v3
	v_cmp_gt_i32_e32 vcc, 1, v6
	s_movk_i32 s0, 0x40f
	s_nop 0
	v_cndmask_b32_e32 v3, v7, v3, vcc
	v_and_b32_e32 v7, 7, v3
	v_cmp_lt_i32_e32 vcc, 5, v7
	v_lshrrev_b32_e32 v3, 2, v3
	s_nop 0
	v_cndmask_b32_e64 v8, 0, 1, vcc
	v_cmp_eq_u32_e32 vcc, 3, v7
	s_nop 1
	v_cndmask_b32_e64 v7, 0, 1, vcc
	v_or_b32_e32 v7, v7, v8
	v_add_u32_e32 v3, v3, v7
	v_mov_b32_e32 v7, 0x7c00
	v_cmp_gt_i32_e32 vcc, 31, v6
	v_mov_b32_e32 v8, 0x7e00
	s_nop 0
	v_cndmask_b32_e32 v3, v7, v3, vcc
	v_cmp_ne_u32_e32 vcc, 0, v2
	s_nop 1
	v_cndmask_b32_e32 v2, v7, v8, vcc
	v_cmp_eq_u32_e32 vcc, s0, v6
	s_mov_b32 s0, 0x8000
	s_nop 0
	v_cndmask_b32_e32 v2, v3, v2, vcc
	v_and_b32_sdwa v3, v1, s0 dst_sel:DWORD dst_unused:UNUSED_PAD src0_sel:WORD_1 src1_sel:DWORD
	s_mov_b32 s0, 0xffff
	v_bitop3_b32 v2, v3, s0, v2 bitop3:0xc8
	global_store_dword v[4:5], v2, off
.LBB249_1559:
	s_mov_b64 s[0:1], 0
.LBB249_1560:
	s_andn2_b64 vcc, exec, s[0:1]
	s_cbranch_vccnz .LBB249_1569
; %bb.1561:
	s_sext_i32_i16 s2, s14
	s_cmp_lt_i32 s2, 6
	s_mov_b64 s[0:1], -1
	s_cbranch_scc1 .LBB249_1567
; %bb.1562:
	s_cmp_gt_i32 s2, 6
	s_cbranch_scc0 .LBB249_1564
; %bb.1563:
	global_store_dwordx2 v[4:5], v[0:1], off
	s_mov_b64 s[0:1], 0
.LBB249_1564:
	s_andn2_b64 vcc, exec, s[0:1]
	s_cbranch_vccnz .LBB249_1566
; %bb.1565:
	s_waitcnt vmcnt(0)
	v_cvt_f32_f64_e32 v2, v[0:1]
	global_store_dword v[4:5], v2, off
.LBB249_1566:
	s_mov_b64 s[0:1], 0
.LBB249_1567:
	s_andn2_b64 vcc, exec, s[0:1]
	s_cbranch_vccnz .LBB249_1569
; %bb.1568:
	s_movk_i32 s0, 0x1ff
	s_waitcnt vmcnt(0)
	v_and_or_b32 v2, v1, s0, v0
	v_cmp_ne_u32_e32 vcc, 0, v2
	v_lshrrev_b32_e32 v3, 8, v1
	s_movk_i32 s0, 0xffe
	v_cndmask_b32_e64 v2, 0, 1, vcc
	v_bfe_u32 v6, v1, 20, 11
	v_and_or_b32 v2, v3, s0, v2
	v_sub_u32_e32 v7, 0x3f1, v6
	v_or_b32_e32 v3, 0x1000, v2
	v_med3_i32 v7, v7, 0, 13
	v_lshrrev_b32_e32 v8, v7, v3
	v_lshlrev_b32_e32 v7, v7, v8
	v_cmp_ne_u32_e32 vcc, v7, v3
	v_add_u32_e32 v6, 0xfffffc10, v6
	v_lshl_or_b32 v7, v6, 12, v2
	v_cndmask_b32_e64 v3, 0, 1, vcc
	v_or_b32_e32 v3, v8, v3
	v_cmp_gt_i32_e32 vcc, 1, v6
	s_movk_i32 s0, 0x40f
	s_nop 0
	v_cndmask_b32_e32 v3, v7, v3, vcc
	v_and_b32_e32 v7, 7, v3
	v_cmp_lt_i32_e32 vcc, 5, v7
	v_lshrrev_b32_e32 v3, 2, v3
	s_nop 0
	v_cndmask_b32_e64 v8, 0, 1, vcc
	v_cmp_eq_u32_e32 vcc, 3, v7
	s_nop 1
	v_cndmask_b32_e64 v7, 0, 1, vcc
	v_or_b32_e32 v7, v7, v8
	v_add_u32_e32 v3, v3, v7
	v_mov_b32_e32 v7, 0x7c00
	v_cmp_gt_i32_e32 vcc, 31, v6
	v_mov_b32_e32 v8, 0x7e00
	s_nop 0
	v_cndmask_b32_e32 v3, v7, v3, vcc
	v_cmp_ne_u32_e32 vcc, 0, v2
	s_nop 1
	v_cndmask_b32_e32 v2, v7, v8, vcc
	v_cmp_eq_u32_e32 vcc, s0, v6
	s_mov_b32 s0, 0x8000
	s_nop 0
	v_cndmask_b32_e32 v2, v3, v2, vcc
	v_lshrrev_b32_e32 v3, 16, v1
	v_and_or_b32 v2, v3, s0, v2
	global_store_short v[4:5], v2, off
.LBB249_1569:
	s_mov_b64 s[0:1], 0
.LBB249_1570:
	s_andn2_b64 vcc, exec, s[0:1]
	s_cbranch_vccnz .LBB249_1586
; %bb.1571:
	s_sext_i32_i16 s2, s14
	s_cmp_lt_i32 s2, 2
	s_mov_b64 s[0:1], -1
	s_cbranch_scc1 .LBB249_1581
; %bb.1572:
	s_cmp_lt_i32 s2, 3
	s_cbranch_scc1 .LBB249_1578
; %bb.1573:
	s_cmp_gt_i32 s2, 3
	s_cbranch_scc0 .LBB249_1575
; %bb.1574:
	s_waitcnt vmcnt(0)
	v_trunc_f64_e32 v[2:3], v[0:1]
	s_movk_i32 s0, 0xffe0
	v_ldexp_f64 v[6:7], v[2:3], s0
	v_floor_f64_e32 v[6:7], v[6:7]
	v_fmac_f64_e32 v[2:3], 0xc1f00000, v[6:7]
	v_cvt_i32_f64_e32 v9, v[6:7]
	v_cvt_u32_f64_e32 v8, v[2:3]
	global_store_dwordx2 v[4:5], v[8:9], off
	s_mov_b64 s[0:1], 0
.LBB249_1575:
	s_andn2_b64 vcc, exec, s[0:1]
	s_cbranch_vccnz .LBB249_1577
; %bb.1576:
	s_waitcnt vmcnt(0)
	v_cvt_i32_f64_e32 v2, v[0:1]
	global_store_dword v[4:5], v2, off
.LBB249_1577:
	s_mov_b64 s[0:1], 0
.LBB249_1578:
	s_andn2_b64 vcc, exec, s[0:1]
	s_cbranch_vccnz .LBB249_1580
; %bb.1579:
	s_waitcnt vmcnt(0)
	v_cvt_i32_f64_e32 v2, v[0:1]
	global_store_short v[4:5], v2, off
.LBB249_1580:
	s_mov_b64 s[0:1], 0
.LBB249_1581:
	s_andn2_b64 vcc, exec, s[0:1]
	s_cbranch_vccnz .LBB249_1586
; %bb.1582:
	s_sext_i32_i16 s0, s14
	s_cmp_gt_i32 s0, 0
	s_mov_b64 s[0:1], -1
	s_cbranch_scc0 .LBB249_1584
; %bb.1583:
	s_waitcnt vmcnt(0)
	v_cvt_i32_f64_e32 v2, v[0:1]
	global_store_byte v[4:5], v2, off
	s_mov_b64 s[0:1], 0
.LBB249_1584:
	s_andn2_b64 vcc, exec, s[0:1]
	s_cbranch_vccnz .LBB249_1586
; %bb.1585:
	v_trunc_f64_e32 v[0:1], v[0:1]
	s_movk_i32 s0, 0xffe0
	s_waitcnt vmcnt(0)
	v_ldexp_f64 v[2:3], v[0:1], s0
	v_floor_f64_e32 v[2:3], v[2:3]
	v_fmac_f64_e32 v[0:1], 0xc1f00000, v[2:3]
	v_cvt_u32_f64_e32 v0, v[0:1]
	global_store_byte v[4:5], v0, off
	s_endpgm
.LBB249_1586:
	s_endpgm
.LBB249_1587:
	s_trap 2
	s_or_b64 s[2:3], s[2:3], exec
	s_cbranch_execz .LBB249_1491
	s_branch .LBB249_1492
.LBB249_1588:
	s_mov_b64 s[0:1], -1
                                        ; implicit-def: $vgpr10_vgpr11
	s_mov_b64 s[8:9], 0
.LBB249_1589:
	s_and_b64 vcc, exec, s[10:11]
	s_cbranch_vccz .LBB249_1593
; %bb.1590:
	s_cmp_eq_u32 s14, 44
	s_cbranch_scc0 .LBB249_1592
; %bb.1591:
	global_load_ubyte v3, v[0:1], off
	s_movk_i32 s8, 0xff
	v_bfrev_b32_e32 v5, 4
	v_mov_b32_e32 v7, 0x7ff80000
	v_bfrev_b32_e32 v9, 28
	s_mov_b64 s[0:1], 0
	s_waitcnt vmcnt(0)
	v_lshlrev_b32_e32 v10, 23, v3
	v_cvt_f64_f32_e32 v[10:11], v10
	v_cmp_ne_u32_e32 vcc, s8, v3
	s_mov_b64 s[8:9], -1
	s_nop 0
	v_cndmask_b32_e32 v5, v5, v10, vcc
	v_cndmask_b32_e32 v7, v7, v11, vcc
	v_cmp_ne_u32_e32 vcc, 0, v3
	s_nop 1
	v_cndmask_b32_e32 v11, v9, v7, vcc
	v_cndmask_b32_e32 v10, 0, v5, vcc
	s_branch .LBB249_1593
.LBB249_1592:
	s_mov_b64 s[0:1], -1
                                        ; implicit-def: $vgpr10_vgpr11
.LBB249_1593:
	s_mov_b64 s[10:11], 0
.LBB249_1594:
	s_and_b64 vcc, exec, s[10:11]
	s_cbranch_vccz .LBB249_1598
; %bb.1595:
	s_cmp_eq_u32 s14, 29
	s_cbranch_scc0 .LBB249_1597
; %bb.1596:
	global_load_dwordx2 v[10:11], v[0:1], off
	s_mov_b64 s[0:1], 0
	s_mov_b64 s[8:9], -1
	s_mov_b64 s[10:11], 0
	s_waitcnt vmcnt(0)
	v_cvt_f64_u32_e32 v[18:19], v11
	v_cvt_f64_u32_e32 v[10:11], v10
	v_ldexp_f64 v[18:19], v[18:19], 32
	v_add_f64 v[10:11], v[18:19], v[10:11]
	s_branch .LBB249_1599
.LBB249_1597:
	s_mov_b64 s[0:1], -1
                                        ; implicit-def: $vgpr10_vgpr11
.LBB249_1598:
	s_mov_b64 s[10:11], 0
.LBB249_1599:
	s_and_b64 vcc, exec, s[10:11]
	s_cbranch_vccz .LBB249_1619
; %bb.1600:
	s_cmp_lt_i32 s14, 27
	s_cbranch_scc1 .LBB249_1603
; %bb.1601:
	s_cmp_gt_i32 s14, 27
	s_cbranch_scc0 .LBB249_1604
; %bb.1602:
	global_load_dword v3, v[0:1], off
	s_mov_b64 s[8:9], 0
	s_waitcnt vmcnt(0)
	v_cvt_f64_u32_e32 v[10:11], v3
	s_branch .LBB249_1605
.LBB249_1603:
	s_mov_b64 s[8:9], -1
                                        ; implicit-def: $vgpr10_vgpr11
	s_branch .LBB249_1608
.LBB249_1604:
	s_mov_b64 s[8:9], -1
                                        ; implicit-def: $vgpr10_vgpr11
.LBB249_1605:
	s_andn2_b64 vcc, exec, s[8:9]
	s_cbranch_vccnz .LBB249_1607
; %bb.1606:
	global_load_ushort v3, v[0:1], off
	s_waitcnt vmcnt(0)
	v_cvt_f64_u32_e32 v[10:11], v3
.LBB249_1607:
	s_mov_b64 s[8:9], 0
.LBB249_1608:
	s_andn2_b64 vcc, exec, s[8:9]
	s_cbranch_vccnz .LBB249_1618
; %bb.1609:
	global_load_ubyte v3, v[0:1], off
	s_movk_i32 s8, 0x7f
	s_waitcnt vmcnt(0)
	v_cmp_lt_i16_e32 vcc, s8, v3
	s_mov_b64 s[8:9], 0
	s_and_saveexec_b64 s[10:11], vcc
	s_xor_b64 s[10:11], exec, s[10:11]
	s_cbranch_execz .LBB249_1613
; %bb.1610:
	s_movk_i32 s8, 0x80
	v_cmp_eq_u16_e32 vcc, s8, v3
	s_mov_b64 s[8:9], -1
	s_and_saveexec_b64 s[12:13], vcc
; %bb.1611:
	s_xor_b64 s[8:9], exec, -1
; %bb.1612:
	s_or_b64 exec, exec, s[12:13]
	s_and_b64 s[8:9], s[8:9], exec
.LBB249_1613:
	s_or_saveexec_b64 s[10:11], s[10:11]
	v_bfrev_b32_e32 v10, 4
	v_mov_b32_e32 v11, 0x7ff80000
	s_xor_b64 exec, exec, s[10:11]
; %bb.1614:
	v_cmp_ne_u16_e32 vcc, 0, v3
	s_andn2_b64 s[8:9], s[8:9], exec
	s_and_b64 s[12:13], vcc, exec
	v_mov_b64_e32 v[10:11], 0
	s_or_b64 s[8:9], s[8:9], s[12:13]
; %bb.1615:
	s_or_b64 exec, exec, s[10:11]
	s_and_saveexec_b64 s[10:11], s[8:9]
	s_cbranch_execz .LBB249_1617
; %bb.1616:
	v_lshlrev_b32_e32 v5, 24, v3
	v_and_b32_e32 v3, 0xffff, v3
	v_and_b32_e32 v7, 7, v3
	v_ffbh_u32_e32 v10, v7
	v_min_u32_e32 v10, 32, v10
	v_subrev_u32_e32 v11, 28, v10
	v_bfe_u32 v9, v3, 3, 4
	v_lshlrev_b32_e32 v3, v11, v3
	v_sub_u32_e32 v10, 29, v10
	v_and_b32_e32 v3, 7, v3
	v_cmp_eq_u32_e32 vcc, 0, v9
	v_and_b32_e32 v5, 0x80000000, v5
	s_nop 0
	v_cndmask_b32_e32 v9, v9, v10, vcc
	v_cndmask_b32_e32 v3, v7, v3, vcc
	v_mov_b32_e32 v7, 0x3b800000
	v_lshlrev_b32_e32 v3, 20, v3
	v_lshl_add_u32 v7, v9, 23, v7
	v_or3_b32 v3, v5, v7, v3
	v_cvt_f64_f32_e32 v[10:11], v3
.LBB249_1617:
	s_or_b64 exec, exec, s[10:11]
.LBB249_1618:
	s_mov_b64 s[8:9], -1
.LBB249_1619:
	s_mov_b64 s[10:11], 0
.LBB249_1620:
	s_and_b64 vcc, exec, s[10:11]
	s_cbranch_vccz .LBB249_1651
; %bb.1621:
	s_cmp_gt_i32 s14, 22
	s_cbranch_scc0 .LBB249_1633
; %bb.1622:
	s_cmp_lt_i32 s14, 24
	s_cbranch_scc1 .LBB249_1634
; %bb.1623:
	s_cmp_gt_i32 s14, 24
	s_cbranch_scc0 .LBB249_1635
; %bb.1624:
	global_load_ubyte v3, v[0:1], off
	s_movk_i32 s6, 0x7f
	s_waitcnt vmcnt(0)
	v_cmp_lt_i16_e32 vcc, s6, v3
	s_mov_b64 s[6:7], 0
	s_and_saveexec_b64 s[8:9], vcc
	s_xor_b64 s[8:9], exec, s[8:9]
	s_cbranch_execz .LBB249_1628
; %bb.1625:
	s_movk_i32 s6, 0x80
	v_cmp_eq_u16_e32 vcc, s6, v3
	s_mov_b64 s[6:7], -1
	s_and_saveexec_b64 s[10:11], vcc
; %bb.1626:
	s_xor_b64 s[6:7], exec, -1
; %bb.1627:
	s_or_b64 exec, exec, s[10:11]
	s_and_b64 s[6:7], s[6:7], exec
.LBB249_1628:
	s_or_saveexec_b64 s[8:9], s[8:9]
	v_bfrev_b32_e32 v10, 4
	v_mov_b32_e32 v11, 0x7ff80000
	s_xor_b64 exec, exec, s[8:9]
; %bb.1629:
	v_cmp_ne_u16_e32 vcc, 0, v3
	s_andn2_b64 s[6:7], s[6:7], exec
	s_and_b64 s[10:11], vcc, exec
	v_mov_b64_e32 v[10:11], 0
	s_or_b64 s[6:7], s[6:7], s[10:11]
; %bb.1630:
	s_or_b64 exec, exec, s[8:9]
	s_and_saveexec_b64 s[8:9], s[6:7]
	s_cbranch_execz .LBB249_1632
; %bb.1631:
	v_lshlrev_b32_e32 v5, 24, v3
	v_and_b32_e32 v3, 0xffff, v3
	v_and_b32_e32 v7, 3, v3
	v_ffbh_u32_e32 v10, v7
	v_min_u32_e32 v10, 32, v10
	v_subrev_u32_e32 v11, 29, v10
	v_bfe_u32 v9, v3, 2, 5
	v_lshlrev_b32_e32 v3, v11, v3
	v_sub_u32_e32 v10, 30, v10
	v_and_b32_e32 v3, 3, v3
	v_cmp_eq_u32_e32 vcc, 0, v9
	v_and_b32_e32 v5, 0x80000000, v5
	s_nop 0
	v_cndmask_b32_e32 v9, v9, v10, vcc
	v_cndmask_b32_e32 v3, v7, v3, vcc
	v_mov_b32_e32 v7, 0x37800000
	v_lshlrev_b32_e32 v3, 21, v3
	v_lshl_add_u32 v7, v9, 23, v7
	v_or3_b32 v3, v5, v7, v3
	v_cvt_f64_f32_e32 v[10:11], v3
.LBB249_1632:
	s_or_b64 exec, exec, s[8:9]
	s_mov_b64 s[6:7], 0
	s_branch .LBB249_1636
.LBB249_1633:
	s_mov_b64 s[6:7], -1
                                        ; implicit-def: $vgpr10_vgpr11
	s_branch .LBB249_1642
.LBB249_1634:
	s_mov_b64 s[6:7], -1
                                        ; implicit-def: $vgpr10_vgpr11
	s_branch .LBB249_1639
.LBB249_1635:
	s_mov_b64 s[6:7], -1
                                        ; implicit-def: $vgpr10_vgpr11
.LBB249_1636:
	s_and_b64 vcc, exec, s[6:7]
	s_cbranch_vccz .LBB249_1638
; %bb.1637:
	global_load_ubyte v3, v[0:1], off
	s_mov_b32 s6, 0x7f800000
	s_waitcnt vmcnt(0)
	v_lshlrev_b32_e32 v3, 24, v3
	v_and_b32_e32 v5, 0x7f000000, v3
	v_ffbh_u32_e32 v7, v5
	v_min_u32_e32 v7, 32, v7
	v_sub_u32_e64 v7, v7, 4 clamp
	v_lshlrev_b32_e32 v10, v7, v5
	v_lshlrev_b32_e32 v7, 23, v7
	v_lshrrev_b32_e32 v10, 4, v10
	v_add_u32_e32 v9, 0x1000000, v5
	v_sub_u32_e32 v7, v10, v7
	v_ashrrev_i32_e32 v9, 8, v9
	v_add_u32_e32 v7, 0x3c000000, v7
	v_and_or_b32 v7, v9, s6, v7
	v_cmp_ne_u32_e32 vcc, 0, v5
	s_brev_b32 s6, 1
	s_nop 0
	v_cndmask_b32_e32 v5, 0, v7, vcc
	v_and_or_b32 v3, v3, s6, v5
	v_cvt_f64_f32_e32 v[10:11], v3
.LBB249_1638:
	s_mov_b64 s[6:7], 0
.LBB249_1639:
	s_andn2_b64 vcc, exec, s[6:7]
	s_cbranch_vccnz .LBB249_1641
; %bb.1640:
	global_load_ubyte v3, v[0:1], off
	s_movk_i32 s6, 0x7f00
	s_brev_b32 s7, 16
	s_waitcnt vmcnt(0)
	v_lshlrev_b16_e32 v5, 8, v3
	v_lshlrev_b32_e32 v3, 25, v3
	v_lshrrev_b32_e32 v7, 4, v3
	v_and_or_b32 v9, v5, s6, 0.5
	v_or_b32_e32 v7, 0x70000000, v7
	v_add_f32_e32 v9, -0.5, v9
	v_mul_f32_e32 v7, 0x7800000, v7
	v_cmp_gt_u32_e32 vcc, s7, v3
	v_bfe_i32 v5, v5, 0, 16
	s_brev_b32 s6, 1
	v_cndmask_b32_e32 v3, v7, v9, vcc
	v_and_or_b32 v3, v5, s6, v3
	v_cvt_f64_f32_e32 v[10:11], v3
.LBB249_1641:
	s_mov_b64 s[6:7], 0
	s_mov_b64 s[8:9], -1
.LBB249_1642:
	s_andn2_b64 vcc, exec, s[6:7]
	s_mov_b64 s[6:7], 0
	s_cbranch_vccnz .LBB249_1651
; %bb.1643:
	s_cmp_gt_i32 s14, 14
	s_cbranch_scc0 .LBB249_1646
; %bb.1644:
	s_cmp_eq_u32 s14, 15
	s_cbranch_scc0 .LBB249_1647
; %bb.1645:
	global_load_ushort v3, v[0:1], off
	s_mov_b64 s[0:1], 0
	s_mov_b64 s[8:9], -1
	s_waitcnt vmcnt(0)
	v_lshlrev_b32_e32 v3, 16, v3
	v_cvt_f64_f32_e32 v[10:11], v3
	s_branch .LBB249_1648
.LBB249_1646:
	s_mov_b64 s[10:11], -1
                                        ; implicit-def: $vgpr10_vgpr11
	s_branch .LBB249_1649
.LBB249_1647:
	s_mov_b64 s[0:1], -1
                                        ; implicit-def: $vgpr10_vgpr11
.LBB249_1648:
	s_mov_b64 s[10:11], 0
.LBB249_1649:
	s_and_b64 vcc, exec, s[10:11]
	s_cbranch_vccz .LBB249_1651
; %bb.1650:
	s_cmp_lg_u32 s14, 11
	s_mov_b64 s[6:7], -1
	s_cselect_b64 s[0:1], -1, 0
.LBB249_1651:
	s_and_b64 vcc, exec, s[0:1]
	s_cbranch_vccnz .LBB249_2140
; %bb.1652:
	s_andn2_b64 vcc, exec, s[6:7]
	s_cbranch_vccnz .LBB249_1654
.LBB249_1653:
	global_load_ubyte v3, v[0:1], off
	v_mov_b32_e32 v5, 0x3ff00000
	v_mov_b32_e32 v10, 0
	s_mov_b64 s[8:9], -1
	s_waitcnt vmcnt(0)
	v_cmp_ne_u16_e32 vcc, 0, v3
	s_nop 1
	v_cndmask_b32_e32 v11, 0, v5, vcc
.LBB249_1654:
	s_mov_b64 s[0:1], 0
.LBB249_1655:
	s_and_b64 vcc, exec, s[0:1]
	s_cbranch_vccz .LBB249_1704
; %bb.1656:
	s_and_b32 s6, 0xffff, s17
	s_cmp_lt_i32 s6, 5
	s_cbranch_scc1 .LBB249_1661
; %bb.1657:
	s_cmp_lt_i32 s6, 8
	s_cbranch_scc1 .LBB249_1662
; %bb.1658:
	;; [unrolled: 3-line block ×3, first 2 shown]
	s_cmp_gt_i32 s6, 9
	s_cbranch_scc0 .LBB249_1664
; %bb.1660:
	global_load_dwordx2 v[10:11], v[0:1], off
	s_mov_b64 s[0:1], 0
	s_branch .LBB249_1665
.LBB249_1661:
	s_mov_b64 s[0:1], -1
                                        ; implicit-def: $vgpr10_vgpr11
	s_branch .LBB249_1683
.LBB249_1662:
	s_mov_b64 s[0:1], -1
                                        ; implicit-def: $vgpr10_vgpr11
	s_branch .LBB249_1671
.LBB249_1663:
	s_mov_b64 s[0:1], -1
                                        ; implicit-def: $vgpr10_vgpr11
	s_branch .LBB249_1668
.LBB249_1664:
	s_mov_b64 s[0:1], -1
                                        ; implicit-def: $vgpr10_vgpr11
.LBB249_1665:
	s_andn2_b64 vcc, exec, s[0:1]
	s_cbranch_vccnz .LBB249_1667
; %bb.1666:
	global_load_dword v3, v[0:1], off
	s_waitcnt vmcnt(0)
	v_cvt_f64_f32_e32 v[10:11], v3
.LBB249_1667:
	s_mov_b64 s[0:1], 0
.LBB249_1668:
	s_andn2_b64 vcc, exec, s[0:1]
	s_cbranch_vccnz .LBB249_1670
; %bb.1669:
	global_load_dword v3, v[0:1], off
	s_waitcnt vmcnt(0)
	v_cvt_f32_f16_e32 v3, v3
	v_cvt_f64_f32_e32 v[10:11], v3
.LBB249_1670:
	s_mov_b64 s[0:1], 0
.LBB249_1671:
	s_andn2_b64 vcc, exec, s[0:1]
	s_cbranch_vccnz .LBB249_1682
; %bb.1672:
	s_cmp_lt_i32 s6, 6
	s_cbranch_scc1 .LBB249_1675
; %bb.1673:
	s_cmp_gt_i32 s6, 6
	s_cbranch_scc0 .LBB249_1676
; %bb.1674:
	global_load_dwordx2 v[10:11], v[0:1], off
	s_mov_b64 s[0:1], 0
	s_branch .LBB249_1677
.LBB249_1675:
	s_mov_b64 s[0:1], -1
                                        ; implicit-def: $vgpr10_vgpr11
	s_branch .LBB249_1680
.LBB249_1676:
	s_mov_b64 s[0:1], -1
                                        ; implicit-def: $vgpr10_vgpr11
.LBB249_1677:
	s_andn2_b64 vcc, exec, s[0:1]
	s_cbranch_vccnz .LBB249_1679
; %bb.1678:
	global_load_dword v3, v[0:1], off
	s_waitcnt vmcnt(0)
	v_cvt_f64_f32_e32 v[10:11], v3
.LBB249_1679:
	s_mov_b64 s[0:1], 0
.LBB249_1680:
	s_andn2_b64 vcc, exec, s[0:1]
	s_cbranch_vccnz .LBB249_1682
; %bb.1681:
	global_load_ushort v3, v[0:1], off
	s_waitcnt vmcnt(0)
	v_cvt_f32_f16_e32 v3, v3
	v_cvt_f64_f32_e32 v[10:11], v3
.LBB249_1682:
	s_mov_b64 s[0:1], 0
.LBB249_1683:
	s_andn2_b64 vcc, exec, s[0:1]
	s_cbranch_vccnz .LBB249_1703
; %bb.1684:
	s_cmp_lt_i32 s6, 2
	s_cbranch_scc1 .LBB249_1688
; %bb.1685:
	s_cmp_lt_i32 s6, 3
	s_cbranch_scc1 .LBB249_1689
; %bb.1686:
	s_cmp_gt_i32 s6, 3
	s_cbranch_scc0 .LBB249_1690
; %bb.1687:
	global_load_dwordx2 v[10:11], v[0:1], off
	s_mov_b64 s[0:1], 0
	s_waitcnt vmcnt(0)
	v_cvt_f64_i32_e32 v[18:19], v11
	v_cvt_f64_u32_e32 v[10:11], v10
	v_ldexp_f64 v[18:19], v[18:19], 32
	v_add_f64 v[10:11], v[18:19], v[10:11]
	s_branch .LBB249_1691
.LBB249_1688:
	s_mov_b64 s[0:1], -1
                                        ; implicit-def: $vgpr10_vgpr11
	s_branch .LBB249_1697
.LBB249_1689:
	s_mov_b64 s[0:1], -1
                                        ; implicit-def: $vgpr10_vgpr11
	s_branch .LBB249_1694
.LBB249_1690:
	s_mov_b64 s[0:1], -1
                                        ; implicit-def: $vgpr10_vgpr11
.LBB249_1691:
	s_andn2_b64 vcc, exec, s[0:1]
	s_cbranch_vccnz .LBB249_1693
; %bb.1692:
	global_load_dword v3, v[0:1], off
	s_waitcnt vmcnt(0)
	v_cvt_f64_i32_e32 v[10:11], v3
.LBB249_1693:
	s_mov_b64 s[0:1], 0
.LBB249_1694:
	s_andn2_b64 vcc, exec, s[0:1]
	s_cbranch_vccnz .LBB249_1696
; %bb.1695:
	global_load_sshort v3, v[0:1], off
	s_waitcnt vmcnt(0)
	v_cvt_f64_i32_e32 v[10:11], v3
.LBB249_1696:
	s_mov_b64 s[0:1], 0
.LBB249_1697:
	s_andn2_b64 vcc, exec, s[0:1]
	s_cbranch_vccnz .LBB249_1703
; %bb.1698:
	s_cmp_gt_i32 s6, 0
	s_cbranch_scc0 .LBB249_1700
; %bb.1699:
	global_load_sbyte v3, v[0:1], off
	s_mov_b64 s[0:1], 0
	s_waitcnt vmcnt(0)
	v_cvt_f64_i32_e32 v[10:11], v3
	s_branch .LBB249_1701
.LBB249_1700:
	s_mov_b64 s[0:1], -1
                                        ; implicit-def: $vgpr10_vgpr11
.LBB249_1701:
	s_andn2_b64 vcc, exec, s[0:1]
	s_cbranch_vccnz .LBB249_1703
; %bb.1702:
	global_load_ubyte v0, v[0:1], off
	s_waitcnt vmcnt(0)
	v_cvt_f64_u32_e32 v[10:11], v0
.LBB249_1703:
	s_mov_b64 s[8:9], -1
.LBB249_1704:
	s_andn2_b64 vcc, exec, s[8:9]
	s_cbranch_vccnz .LBB249_2138
; %bb.1705:
	s_mov_b32 s0, 0
	s_brev_b32 s1, 8
	v_mov_b32_e32 v0, 0x100
	s_waitcnt vmcnt(0)
	v_cmp_gt_f64_e32 vcc, s[0:1], v[16:17]
	v_mov_b32_e32 v3, 0xffffff80
	s_bfe_u32 s14, s16, 0x80008
	v_cndmask_b32_e32 v0, 0, v0, vcc
	v_ldexp_f64 v[0:1], v[16:17], v0
	v_rsq_f64_e32 v[18:19], v[0:1]
	v_cndmask_b32_e32 v3, 0, v3, vcc
	s_cmp_lt_i32 s14, 11
	v_mul_f64 v[20:21], v[0:1], v[18:19]
	v_mul_f64 v[18:19], v[18:19], 0.5
	v_fma_f64 v[22:23], -v[18:19], v[20:21], 0.5
	v_fmac_f64_e32 v[20:21], v[20:21], v[22:23]
	v_fma_f64 v[24:25], -v[20:21], v[20:21], v[0:1]
	v_fmac_f64_e32 v[18:19], v[18:19], v[22:23]
	v_fmac_f64_e32 v[20:21], v[24:25], v[18:19]
	v_fma_f64 v[22:23], -v[20:21], v[20:21], v[0:1]
	v_fmac_f64_e32 v[20:21], v[22:23], v[18:19]
	v_ldexp_f64 v[18:19], v[20:21], v3
	v_mov_b32_e32 v3, 0x260
	v_cmp_class_f64_e32 vcc, v[0:1], v3
	v_mov_b32_e32 v3, 0
	s_nop 0
	v_cndmask_b32_e32 v1, v19, v1, vcc
	v_cndmask_b32_e32 v0, v18, v0, vcc
	v_lshl_add_u64 v[18:19], s[4:5], 0, v[2:3]
	s_cbranch_scc1 .LBB249_1783
; %bb.1706:
	s_and_b32 s15, 0xffff, s14
	s_mov_b64 s[10:11], -1
	s_mov_b64 s[6:7], 0
	s_cmp_gt_i32 s15, 25
	s_mov_b64 s[8:9], 0
	s_mov_b64 s[0:1], 0
	s_cbranch_scc0 .LBB249_1739
; %bb.1707:
	s_cmp_gt_i32 s15, 28
	s_cbranch_scc0 .LBB249_1722
; %bb.1708:
	s_cmp_gt_i32 s15, 43
	;; [unrolled: 3-line block ×3, first 2 shown]
	s_cbranch_scc0 .LBB249_1712
; %bb.1710:
	s_mov_b64 s[0:1], -1
	s_mov_b64 s[10:11], 0
	s_cmp_eq_u32 s15, 46
	s_cbranch_scc0 .LBB249_1712
; %bb.1711:
	v_cvt_f32_f64_e32 v2, v[0:1]
	v_bfe_u32 v3, v2, 16, 1
	s_movk_i32 s0, 0x7fff
	v_add3_u32 v3, v2, v3, s0
	v_cmp_o_f32_e32 vcc, v2, v2
	v_mov_b32_e32 v2, 0x7fc0
	s_mov_b64 s[0:1], 0
	v_cndmask_b32_sdwa v2, v2, v3, vcc dst_sel:DWORD dst_unused:UNUSED_PAD src0_sel:DWORD src1_sel:WORD_1
	global_store_dword v[18:19], v2, off
	s_mov_b64 s[8:9], -1
.LBB249_1712:
	s_and_b64 vcc, exec, s[10:11]
	s_cbranch_vccz .LBB249_1717
; %bb.1713:
	s_cmp_eq_u32 s15, 44
	s_mov_b64 s[0:1], -1
	s_cbranch_scc0 .LBB249_1717
; %bb.1714:
	v_cvt_f32_f64_e32 v2, v[0:1]
	v_bfe_u32 v3, v2, 23, 8
	s_movk_i32 s0, 0xff
	v_cmp_ne_u32_e32 vcc, s0, v3
	v_mov_b32_e32 v5, 0xff
	s_and_saveexec_b64 s[8:9], vcc
; %bb.1715:
	s_mov_b32 s0, 0x3fffff
	v_lshrrev_b32_e32 v5, 23, v2
	v_and_b32_e32 v7, 0x400000, v2
	v_and_or_b32 v2, v2, s0, v3
	v_cmp_ne_u32_e32 vcc, 0, v7
	v_cmp_ne_u32_e64 s[0:1], 0, v2
	s_and_b64 s[0:1], vcc, s[0:1]
	s_nop 0
	v_cndmask_b32_e64 v2, 0, 1, s[0:1]
	v_add_u32_e32 v5, v5, v2
; %bb.1716:
	s_or_b64 exec, exec, s[8:9]
	s_mov_b64 s[0:1], 0
	s_mov_b64 s[8:9], -1
	global_store_byte v[18:19], v5, off
.LBB249_1717:
	s_mov_b64 s[10:11], 0
.LBB249_1718:
	s_and_b64 vcc, exec, s[10:11]
	s_cbranch_vccz .LBB249_1721
; %bb.1719:
	s_cmp_eq_u32 s15, 29
	s_mov_b64 s[0:1], -1
	s_cbranch_scc0 .LBB249_1721
; %bb.1720:
	v_trunc_f64_e32 v[2:3], v[0:1]
	s_movk_i32 s0, 0xffe0
	v_ldexp_f64 v[20:21], v[2:3], s0
	v_floor_f64_e32 v[20:21], v[20:21]
	v_fmac_f64_e32 v[2:3], 0xc1f00000, v[20:21]
	v_cvt_u32_f64_e32 v23, v[20:21]
	v_cvt_u32_f64_e32 v22, v[2:3]
	global_store_dwordx2 v[18:19], v[22:23], off
	s_mov_b64 s[0:1], 0
	s_mov_b64 s[8:9], -1
.LBB249_1721:
	s_mov_b64 s[10:11], 0
.LBB249_1722:
	s_and_b64 vcc, exec, s[10:11]
	s_cbranch_vccz .LBB249_1738
; %bb.1723:
	s_cmp_lt_i32 s15, 27
	s_mov_b64 s[8:9], -1
	s_cbranch_scc1 .LBB249_1729
; %bb.1724:
	s_cmp_gt_i32 s15, 27
	v_cvt_u32_f64_e32 v2, v[0:1]
	s_cbranch_scc0 .LBB249_1726
; %bb.1725:
	s_mov_b64 s[8:9], 0
	global_store_dword v[18:19], v2, off
.LBB249_1726:
	s_andn2_b64 vcc, exec, s[8:9]
	s_cbranch_vccnz .LBB249_1728
; %bb.1727:
	global_store_short v[18:19], v2, off
.LBB249_1728:
	s_mov_b64 s[8:9], 0
.LBB249_1729:
	s_andn2_b64 vcc, exec, s[8:9]
	s_cbranch_vccnz .LBB249_1737
; %bb.1730:
	v_cvt_f32_f64_e32 v2, v[0:1]
	v_and_b32_e32 v3, 0x7fffffff, v2
	s_mov_b32 s8, 0x43800000
	v_cmp_gt_u32_e32 vcc, s8, v3
	v_mov_b32_e32 v5, 0x80
	s_and_saveexec_b64 s[8:9], vcc
	s_cbranch_execz .LBB249_1736
; %bb.1731:
	s_mov_b32 s10, 0x3bffffff
	v_cmp_lt_u32_e32 vcc, s10, v3
	s_mov_b64 s[10:11], 0
                                        ; implicit-def: $vgpr3
	s_and_saveexec_b64 s[12:13], vcc
	s_xor_b64 s[12:13], exec, s[12:13]
	s_cbranch_execz .LBB249_2141
; %bb.1732:
	v_bfe_u32 v3, v2, 20, 1
	s_mov_b32 s17, 0x487ffff
	v_add3_u32 v3, v2, v3, s17
	s_mov_b64 s[10:11], exec
	v_lshrrev_b32_e32 v3, 20, v3
	s_andn2_saveexec_b64 s[12:13], s[12:13]
	s_cbranch_execnz .LBB249_2142
.LBB249_1733:
	s_or_b64 exec, exec, s[12:13]
	v_mov_b32_e32 v5, 0
	s_and_saveexec_b64 s[12:13], s[10:11]
.LBB249_1734:
	v_lshrrev_b32_e32 v2, 24, v2
	s_movk_i32 s10, 0x80
	v_and_or_b32 v5, v2, s10, v3
.LBB249_1735:
	s_or_b64 exec, exec, s[12:13]
.LBB249_1736:
	s_or_b64 exec, exec, s[8:9]
	global_store_byte v[18:19], v5, off
.LBB249_1737:
	s_mov_b64 s[8:9], -1
.LBB249_1738:
	s_mov_b64 s[10:11], 0
.LBB249_1739:
	s_and_b64 vcc, exec, s[10:11]
	s_cbranch_vccz .LBB249_1779
; %bb.1740:
	s_cmp_gt_i32 s15, 22
	s_mov_b64 s[6:7], -1
	s_cbranch_scc0 .LBB249_1772
; %bb.1741:
	s_cmp_lt_i32 s15, 24
	s_cbranch_scc1 .LBB249_1761
; %bb.1742:
	s_cmp_gt_i32 s15, 24
	s_cbranch_scc0 .LBB249_1750
; %bb.1743:
	v_cvt_f32_f64_e32 v2, v[0:1]
	v_and_b32_e32 v3, 0x7fffffff, v2
	s_mov_b32 s6, 0x47800000
	v_cmp_gt_u32_e32 vcc, s6, v3
	v_mov_b32_e32 v5, 0x80
	s_and_saveexec_b64 s[6:7], vcc
	s_cbranch_execz .LBB249_1749
; %bb.1744:
	s_mov_b32 s8, 0x37ffffff
	v_cmp_lt_u32_e32 vcc, s8, v3
	s_mov_b64 s[8:9], 0
                                        ; implicit-def: $vgpr3
	s_and_saveexec_b64 s[10:11], vcc
	s_xor_b64 s[10:11], exec, s[10:11]
	s_cbranch_execz .LBB249_2144
; %bb.1745:
	v_bfe_u32 v3, v2, 21, 1
	s_mov_b32 s12, 0x88fffff
	v_add3_u32 v3, v2, v3, s12
	s_mov_b64 s[8:9], exec
	v_lshrrev_b32_e32 v3, 21, v3
	s_andn2_saveexec_b64 s[10:11], s[10:11]
	s_cbranch_execnz .LBB249_2145
.LBB249_1746:
	s_or_b64 exec, exec, s[10:11]
	v_mov_b32_e32 v5, 0
	s_and_saveexec_b64 s[10:11], s[8:9]
.LBB249_1747:
	v_lshrrev_b32_e32 v2, 24, v2
	s_movk_i32 s8, 0x80
	v_and_or_b32 v5, v2, s8, v3
.LBB249_1748:
	s_or_b64 exec, exec, s[10:11]
.LBB249_1749:
	s_or_b64 exec, exec, s[6:7]
	s_mov_b64 s[6:7], 0
	global_store_byte v[18:19], v5, off
.LBB249_1750:
	s_and_b64 vcc, exec, s[6:7]
	s_cbranch_vccz .LBB249_1760
; %bb.1751:
	v_cvt_f32_f64_e32 v2, v[0:1]
	v_and_b32_e32 v5, 0x7fffffff, v2
	s_mov_b32 s6, 0x43f00000
	v_cmp_gt_u32_e32 vcc, s6, v5
                                        ; implicit-def: $vgpr3
	s_and_saveexec_b64 s[6:7], vcc
	s_xor_b64 s[6:7], exec, s[6:7]
	s_cbranch_execz .LBB249_1757
; %bb.1752:
	s_mov_b32 s8, 0x3c7fffff
	v_cmp_lt_u32_e32 vcc, s8, v5
                                        ; implicit-def: $vgpr3
	s_and_saveexec_b64 s[8:9], vcc
	s_xor_b64 s[8:9], exec, s[8:9]
; %bb.1753:
	v_bfe_u32 v3, v2, 20, 1
	s_mov_b32 s10, 0x407ffff
	v_add3_u32 v3, v2, v3, s10
	v_lshrrev_b32_e32 v5, 20, v3
	v_and_b32_e32 v3, 0xff00000, v3
	s_mov_b32 s10, 0x7f00000
	v_mov_b32_e32 v7, 0x7e
	v_cmp_ne_u32_e32 vcc, s10, v3
	s_nop 1
	v_cndmask_b32_e32 v3, v7, v5, vcc
; %bb.1754:
	s_andn2_saveexec_b64 s[8:9], s[8:9]
; %bb.1755:
	s_mov_b32 s10, 0x46800000
	v_add_f32_e64 v3, |v2|, s10
; %bb.1756:
	s_or_b64 exec, exec, s[8:9]
                                        ; implicit-def: $vgpr5
.LBB249_1757:
	s_andn2_saveexec_b64 s[6:7], s[6:7]
; %bb.1758:
	s_mov_b32 s8, 0x7f800000
	v_mov_b32_e32 v3, 0x7e
	v_mov_b32_e32 v7, 0x7f
	v_cmp_lt_u32_e32 vcc, s8, v5
	s_nop 1
	v_cndmask_b32_e32 v3, v3, v7, vcc
; %bb.1759:
	s_or_b64 exec, exec, s[6:7]
	v_lshrrev_b32_e32 v2, 24, v2
	s_movk_i32 s6, 0x80
	v_and_or_b32 v2, v2, s6, v3
	global_store_byte v[18:19], v2, off
.LBB249_1760:
	s_mov_b64 s[6:7], 0
.LBB249_1761:
	s_andn2_b64 vcc, exec, s[6:7]
	s_cbranch_vccnz .LBB249_1771
; %bb.1762:
	v_cvt_f32_f64_e32 v2, v[0:1]
	v_and_b32_e32 v5, 0x7fffffff, v2
	s_mov_b32 s6, 0x47800000
	v_cmp_gt_u32_e32 vcc, s6, v5
                                        ; implicit-def: $vgpr3
	s_and_saveexec_b64 s[6:7], vcc
	s_xor_b64 s[6:7], exec, s[6:7]
	s_cbranch_execz .LBB249_1768
; %bb.1763:
	s_mov_b32 s8, 0x387fffff
	v_cmp_lt_u32_e32 vcc, s8, v5
                                        ; implicit-def: $vgpr3
	s_and_saveexec_b64 s[8:9], vcc
	s_xor_b64 s[8:9], exec, s[8:9]
; %bb.1764:
	v_bfe_u32 v3, v2, 21, 1
	s_mov_b32 s10, 0x80fffff
	v_add3_u32 v3, v2, v3, s10
	v_lshrrev_b32_e32 v3, 21, v3
; %bb.1765:
	s_andn2_saveexec_b64 s[8:9], s[8:9]
; %bb.1766:
	s_mov_b32 s10, 0x43000000
	v_add_f32_e64 v3, |v2|, s10
; %bb.1767:
	s_or_b64 exec, exec, s[8:9]
                                        ; implicit-def: $vgpr5
.LBB249_1768:
	s_andn2_saveexec_b64 s[6:7], s[6:7]
; %bb.1769:
	s_mov_b32 s8, 0x7f800000
	v_mov_b32_e32 v3, 0x7c
	v_mov_b32_e32 v7, 0x7f
	v_cmp_lt_u32_e32 vcc, s8, v5
	s_nop 1
	v_cndmask_b32_e32 v3, v3, v7, vcc
; %bb.1770:
	s_or_b64 exec, exec, s[6:7]
	v_lshrrev_b32_e32 v2, 24, v2
	s_movk_i32 s6, 0x80
	v_and_or_b32 v2, v2, s6, v3
	global_store_byte v[18:19], v2, off
.LBB249_1771:
	s_mov_b64 s[6:7], 0
	s_mov_b64 s[8:9], -1
.LBB249_1772:
	s_andn2_b64 vcc, exec, s[6:7]
	s_mov_b64 s[6:7], 0
	s_cbranch_vccnz .LBB249_1779
; %bb.1773:
	s_cmp_gt_i32 s15, 14
	s_mov_b64 s[10:11], -1
	s_cbranch_scc0 .LBB249_1777
; %bb.1774:
	s_cmp_eq_u32 s15, 15
	s_mov_b64 s[0:1], -1
	s_cbranch_scc0 .LBB249_1776
; %bb.1775:
	v_cvt_f32_f64_e32 v2, v[0:1]
	v_bfe_u32 v3, v2, 16, 1
	s_movk_i32 s0, 0x7fff
	v_add3_u32 v3, v2, v3, s0
	v_cmp_o_f32_e32 vcc, v2, v2
	v_mov_b32_e32 v2, 0x7fc0
	s_mov_b64 s[0:1], 0
	v_cndmask_b32_sdwa v2, v2, v3, vcc dst_sel:DWORD dst_unused:UNUSED_PAD src0_sel:DWORD src1_sel:WORD_1
	global_store_short v[18:19], v2, off
	s_mov_b64 s[8:9], -1
.LBB249_1776:
	s_mov_b64 s[10:11], 0
.LBB249_1777:
	s_and_b64 vcc, exec, s[10:11]
	s_cbranch_vccz .LBB249_1779
; %bb.1778:
	s_cmp_lg_u32 s15, 11
	s_mov_b64 s[6:7], -1
	s_cselect_b64 s[0:1], -1, 0
.LBB249_1779:
	s_and_b64 vcc, exec, s[0:1]
	s_cbranch_vccnz .LBB249_2143
; %bb.1780:
	s_andn2_b64 vcc, exec, s[6:7]
	s_cbranch_vccnz .LBB249_1782
.LBB249_1781:
	v_cmp_neq_f64_e32 vcc, 0, v[16:17]
	s_mov_b64 s[8:9], -1
	s_nop 0
	v_cndmask_b32_e64 v2, 0, 1, vcc
	global_store_byte v[18:19], v2, off
.LBB249_1782:
	s_mov_b64 s[0:1], 0
	s_branch .LBB249_1784
.LBB249_1783:
	s_mov_b64 s[0:1], -1
	s_mov_b64 s[8:9], 0
.LBB249_1784:
	s_and_b64 vcc, exec, s[0:1]
	s_cbranch_vccz .LBB249_1823
; %bb.1785:
	s_and_b32 s6, 0xffff, s14
	s_cmp_lt_i32 s6, 5
	s_mov_b64 s[0:1], -1
	s_cbranch_scc1 .LBB249_1806
; %bb.1786:
	s_cmp_lt_i32 s6, 8
	s_cbranch_scc1 .LBB249_1796
; %bb.1787:
	s_cmp_lt_i32 s6, 9
	s_cbranch_scc1 .LBB249_1793
; %bb.1788:
	s_cmp_gt_i32 s6, 9
	s_cbranch_scc0 .LBB249_1790
; %bb.1789:
	v_mov_b32_e32 v2, 0
	v_mov_b32_e32 v3, v2
	global_store_dwordx4 v[18:19], v[0:3], off
	s_mov_b64 s[0:1], 0
.LBB249_1790:
	s_andn2_b64 vcc, exec, s[0:1]
	s_cbranch_vccnz .LBB249_1792
; %bb.1791:
	v_cvt_f32_f64_e32 v2, v[0:1]
	v_mov_b32_e32 v3, 0
	global_store_dwordx2 v[18:19], v[2:3], off
.LBB249_1792:
	s_mov_b64 s[0:1], 0
.LBB249_1793:
	s_andn2_b64 vcc, exec, s[0:1]
	s_cbranch_vccnz .LBB249_1795
; %bb.1794:
	s_movk_i32 s0, 0x1ff
	v_and_or_b32 v2, v1, s0, v0
	v_cmp_ne_u32_e32 vcc, 0, v2
	v_lshrrev_b32_e32 v3, 8, v1
	s_movk_i32 s0, 0xffe
	v_cndmask_b32_e64 v2, 0, 1, vcc
	v_bfe_u32 v5, v1, 20, 11
	v_and_or_b32 v2, v3, s0, v2
	v_sub_u32_e32 v7, 0x3f1, v5
	v_or_b32_e32 v3, 0x1000, v2
	v_med3_i32 v7, v7, 0, 13
	v_lshrrev_b32_e32 v9, v7, v3
	v_lshlrev_b32_e32 v7, v7, v9
	v_cmp_ne_u32_e32 vcc, v7, v3
	v_add_u32_e32 v5, 0xfffffc10, v5
	v_lshl_or_b32 v7, v5, 12, v2
	v_cndmask_b32_e64 v3, 0, 1, vcc
	v_or_b32_e32 v3, v9, v3
	v_cmp_gt_i32_e32 vcc, 1, v5
	s_movk_i32 s0, 0x40f
	s_nop 0
	v_cndmask_b32_e32 v3, v7, v3, vcc
	v_and_b32_e32 v7, 7, v3
	v_cmp_lt_i32_e32 vcc, 5, v7
	v_lshrrev_b32_e32 v3, 2, v3
	s_nop 0
	v_cndmask_b32_e64 v9, 0, 1, vcc
	v_cmp_eq_u32_e32 vcc, 3, v7
	s_nop 1
	v_cndmask_b32_e64 v7, 0, 1, vcc
	v_or_b32_e32 v7, v7, v9
	v_add_u32_e32 v3, v3, v7
	v_mov_b32_e32 v7, 0x7c00
	v_cmp_gt_i32_e32 vcc, 31, v5
	v_mov_b32_e32 v9, 0x7e00
	s_nop 0
	v_cndmask_b32_e32 v3, v7, v3, vcc
	v_cmp_ne_u32_e32 vcc, 0, v2
	s_nop 1
	v_cndmask_b32_e32 v2, v7, v9, vcc
	v_cmp_eq_u32_e32 vcc, s0, v5
	s_mov_b32 s0, 0x8000
	s_nop 0
	v_cndmask_b32_e32 v2, v3, v2, vcc
	v_and_b32_sdwa v3, v1, s0 dst_sel:DWORD dst_unused:UNUSED_PAD src0_sel:WORD_1 src1_sel:DWORD
	s_mov_b32 s0, 0xffff
	v_bitop3_b32 v2, v3, s0, v2 bitop3:0xc8
	global_store_dword v[18:19], v2, off
.LBB249_1795:
	s_mov_b64 s[0:1], 0
.LBB249_1796:
	s_andn2_b64 vcc, exec, s[0:1]
	s_cbranch_vccnz .LBB249_1805
; %bb.1797:
	s_cmp_lt_i32 s6, 6
	s_mov_b64 s[0:1], -1
	s_cbranch_scc1 .LBB249_1803
; %bb.1798:
	s_cmp_gt_i32 s6, 6
	s_cbranch_scc0 .LBB249_1800
; %bb.1799:
	global_store_dwordx2 v[18:19], v[0:1], off
	s_mov_b64 s[0:1], 0
.LBB249_1800:
	s_andn2_b64 vcc, exec, s[0:1]
	s_cbranch_vccnz .LBB249_1802
; %bb.1801:
	v_cvt_f32_f64_e32 v2, v[0:1]
	global_store_dword v[18:19], v2, off
.LBB249_1802:
	s_mov_b64 s[0:1], 0
.LBB249_1803:
	s_andn2_b64 vcc, exec, s[0:1]
	s_cbranch_vccnz .LBB249_1805
; %bb.1804:
	s_movk_i32 s0, 0x1ff
	v_and_or_b32 v2, v1, s0, v0
	v_cmp_ne_u32_e32 vcc, 0, v2
	v_lshrrev_b32_e32 v3, 8, v1
	s_movk_i32 s0, 0xffe
	v_cndmask_b32_e64 v2, 0, 1, vcc
	v_bfe_u32 v5, v1, 20, 11
	v_and_or_b32 v2, v3, s0, v2
	v_sub_u32_e32 v7, 0x3f1, v5
	v_or_b32_e32 v3, 0x1000, v2
	v_med3_i32 v7, v7, 0, 13
	v_lshrrev_b32_e32 v9, v7, v3
	v_lshlrev_b32_e32 v7, v7, v9
	v_cmp_ne_u32_e32 vcc, v7, v3
	v_add_u32_e32 v5, 0xfffffc10, v5
	v_lshl_or_b32 v7, v5, 12, v2
	v_cndmask_b32_e64 v3, 0, 1, vcc
	v_or_b32_e32 v3, v9, v3
	v_cmp_gt_i32_e32 vcc, 1, v5
	s_movk_i32 s0, 0x40f
	s_nop 0
	v_cndmask_b32_e32 v3, v7, v3, vcc
	v_and_b32_e32 v7, 7, v3
	v_cmp_lt_i32_e32 vcc, 5, v7
	v_lshrrev_b32_e32 v3, 2, v3
	s_nop 0
	v_cndmask_b32_e64 v9, 0, 1, vcc
	v_cmp_eq_u32_e32 vcc, 3, v7
	s_nop 1
	v_cndmask_b32_e64 v7, 0, 1, vcc
	v_or_b32_e32 v7, v7, v9
	v_add_u32_e32 v3, v3, v7
	v_mov_b32_e32 v7, 0x7c00
	v_cmp_gt_i32_e32 vcc, 31, v5
	v_mov_b32_e32 v9, 0x7e00
	s_nop 0
	v_cndmask_b32_e32 v3, v7, v3, vcc
	v_cmp_ne_u32_e32 vcc, 0, v2
	s_nop 1
	v_cndmask_b32_e32 v2, v7, v9, vcc
	v_cmp_eq_u32_e32 vcc, s0, v5
	s_mov_b32 s0, 0x8000
	s_nop 0
	v_cndmask_b32_e32 v2, v3, v2, vcc
	v_lshrrev_b32_e32 v3, 16, v1
	v_and_or_b32 v2, v3, s0, v2
	global_store_short v[18:19], v2, off
.LBB249_1805:
	s_mov_b64 s[0:1], 0
.LBB249_1806:
	s_andn2_b64 vcc, exec, s[0:1]
	s_cbranch_vccnz .LBB249_1822
; %bb.1807:
	s_cmp_lt_i32 s6, 2
	s_mov_b64 s[0:1], -1
	s_cbranch_scc1 .LBB249_1817
; %bb.1808:
	s_cmp_lt_i32 s6, 3
	s_cbranch_scc1 .LBB249_1814
; %bb.1809:
	s_cmp_gt_i32 s6, 3
	s_cbranch_scc0 .LBB249_1811
; %bb.1810:
	v_trunc_f64_e32 v[2:3], v[0:1]
	s_movk_i32 s0, 0xffe0
	v_ldexp_f64 v[16:17], v[2:3], s0
	v_floor_f64_e32 v[16:17], v[16:17]
	v_fmac_f64_e32 v[2:3], 0xc1f00000, v[16:17]
	v_cvt_i32_f64_e32 v21, v[16:17]
	v_cvt_u32_f64_e32 v20, v[2:3]
	global_store_dwordx2 v[18:19], v[20:21], off
	s_mov_b64 s[0:1], 0
.LBB249_1811:
	s_andn2_b64 vcc, exec, s[0:1]
	s_cbranch_vccnz .LBB249_1813
; %bb.1812:
	v_cvt_i32_f64_e32 v2, v[0:1]
	global_store_dword v[18:19], v2, off
.LBB249_1813:
	s_mov_b64 s[0:1], 0
.LBB249_1814:
	s_andn2_b64 vcc, exec, s[0:1]
	s_cbranch_vccnz .LBB249_1816
; %bb.1815:
	v_cvt_i32_f64_e32 v2, v[0:1]
	global_store_short v[18:19], v2, off
.LBB249_1816:
	s_mov_b64 s[0:1], 0
.LBB249_1817:
	s_andn2_b64 vcc, exec, s[0:1]
	s_cbranch_vccnz .LBB249_1822
; %bb.1818:
	s_cmp_gt_i32 s6, 0
	s_mov_b64 s[0:1], -1
	s_cbranch_scc0 .LBB249_1820
; %bb.1819:
	v_cvt_i32_f64_e32 v2, v[0:1]
	global_store_byte v[18:19], v2, off
	s_mov_b64 s[0:1], 0
.LBB249_1820:
	s_andn2_b64 vcc, exec, s[0:1]
	s_cbranch_vccnz .LBB249_1822
; %bb.1821:
	v_trunc_f64_e32 v[0:1], v[0:1]
	s_movk_i32 s0, 0xffe0
	v_ldexp_f64 v[2:3], v[0:1], s0
	v_floor_f64_e32 v[2:3], v[2:3]
	v_fmac_f64_e32 v[0:1], 0xc1f00000, v[2:3]
	v_cvt_u32_f64_e32 v0, v[0:1]
	global_store_byte v[18:19], v0, off
.LBB249_1822:
	s_mov_b64 s[8:9], -1
.LBB249_1823:
	s_andn2_b64 vcc, exec, s[8:9]
	s_cbranch_vccnz .LBB249_2138
; %bb.1824:
	s_mov_b32 s0, 0
	s_brev_b32 s1, 8
	v_mov_b32_e32 v0, 0x100
	v_cmp_gt_f64_e32 vcc, s[0:1], v[14:15]
	s_lshr_b32 s0, s16, 8
	v_mov_b32_e32 v5, 0x260
	v_cndmask_b32_e32 v0, 0, v0, vcc
	v_ldexp_f64 v[0:1], v[14:15], v0
	v_rsq_f64_e32 v[2:3], v[0:1]
	s_and_b32 s14, s0, 0xff
	v_mov_b32_e32 v9, 0
	s_cmp_lt_i32 s14, 11
	v_mul_f64 v[16:17], v[0:1], v[2:3]
	v_mul_f64 v[2:3], v[2:3], 0.5
	v_fma_f64 v[18:19], -v[2:3], v[16:17], 0.5
	v_fmac_f64_e32 v[16:17], v[16:17], v[18:19]
	v_fma_f64 v[20:21], -v[16:17], v[16:17], v[0:1]
	v_fmac_f64_e32 v[2:3], v[2:3], v[18:19]
	v_fmac_f64_e32 v[16:17], v[20:21], v[2:3]
	v_fma_f64 v[18:19], -v[16:17], v[16:17], v[0:1]
	v_fmac_f64_e32 v[16:17], v[18:19], v[2:3]
	v_mov_b32_e32 v2, 0xffffff80
	v_cndmask_b32_e32 v2, 0, v2, vcc
	v_ldexp_f64 v[2:3], v[16:17], v2
	v_cmp_class_f64_e32 vcc, v[0:1], v5
	v_lshl_add_u64 v[8:9], s[4:5], 0, v[8:9]
	s_nop 0
	v_cndmask_b32_e32 v1, v3, v1, vcc
	v_cndmask_b32_e32 v0, v2, v0, vcc
	s_cbranch_scc1 .LBB249_1902
; %bb.1825:
	s_and_b32 s15, 0xffff, s14
	s_mov_b64 s[10:11], -1
	s_mov_b64 s[6:7], 0
	s_cmp_gt_i32 s15, 25
	s_mov_b64 s[8:9], 0
	s_mov_b64 s[0:1], 0
	s_cbranch_scc0 .LBB249_1858
; %bb.1826:
	s_cmp_gt_i32 s15, 28
	s_cbranch_scc0 .LBB249_1841
; %bb.1827:
	s_cmp_gt_i32 s15, 43
	;; [unrolled: 3-line block ×3, first 2 shown]
	s_cbranch_scc0 .LBB249_1831
; %bb.1829:
	s_mov_b64 s[0:1], -1
	s_mov_b64 s[10:11], 0
	s_cmp_eq_u32 s15, 46
	s_cbranch_scc0 .LBB249_1831
; %bb.1830:
	v_cvt_f32_f64_e32 v2, v[0:1]
	v_bfe_u32 v3, v2, 16, 1
	s_movk_i32 s0, 0x7fff
	v_add3_u32 v3, v2, v3, s0
	v_cmp_o_f32_e32 vcc, v2, v2
	v_mov_b32_e32 v2, 0x7fc0
	s_mov_b64 s[0:1], 0
	v_cndmask_b32_sdwa v2, v2, v3, vcc dst_sel:DWORD dst_unused:UNUSED_PAD src0_sel:DWORD src1_sel:WORD_1
	global_store_dword v[8:9], v2, off
	s_mov_b64 s[8:9], -1
.LBB249_1831:
	s_and_b64 vcc, exec, s[10:11]
	s_cbranch_vccz .LBB249_1836
; %bb.1832:
	s_cmp_eq_u32 s15, 44
	s_mov_b64 s[0:1], -1
	s_cbranch_scc0 .LBB249_1836
; %bb.1833:
	v_cvt_f32_f64_e32 v2, v[0:1]
	v_bfe_u32 v3, v2, 23, 8
	s_movk_i32 s0, 0xff
	v_cmp_ne_u32_e32 vcc, s0, v3
	v_mov_b32_e32 v5, 0xff
	s_and_saveexec_b64 s[8:9], vcc
; %bb.1834:
	s_mov_b32 s0, 0x3fffff
	v_lshrrev_b32_e32 v5, 23, v2
	v_and_b32_e32 v7, 0x400000, v2
	v_and_or_b32 v2, v2, s0, v3
	v_cmp_ne_u32_e32 vcc, 0, v7
	v_cmp_ne_u32_e64 s[0:1], 0, v2
	s_and_b64 s[0:1], vcc, s[0:1]
	s_nop 0
	v_cndmask_b32_e64 v2, 0, 1, s[0:1]
	v_add_u32_e32 v5, v5, v2
; %bb.1835:
	s_or_b64 exec, exec, s[8:9]
	s_mov_b64 s[0:1], 0
	s_mov_b64 s[8:9], -1
	global_store_byte v[8:9], v5, off
.LBB249_1836:
	s_mov_b64 s[10:11], 0
.LBB249_1837:
	s_and_b64 vcc, exec, s[10:11]
	s_cbranch_vccz .LBB249_1840
; %bb.1838:
	s_cmp_eq_u32 s15, 29
	s_mov_b64 s[0:1], -1
	s_cbranch_scc0 .LBB249_1840
; %bb.1839:
	v_trunc_f64_e32 v[2:3], v[0:1]
	s_movk_i32 s0, 0xffe0
	v_ldexp_f64 v[16:17], v[2:3], s0
	v_floor_f64_e32 v[16:17], v[16:17]
	v_fmac_f64_e32 v[2:3], 0xc1f00000, v[16:17]
	v_cvt_u32_f64_e32 v19, v[16:17]
	v_cvt_u32_f64_e32 v18, v[2:3]
	global_store_dwordx2 v[8:9], v[18:19], off
	s_mov_b64 s[0:1], 0
	s_mov_b64 s[8:9], -1
.LBB249_1840:
	s_mov_b64 s[10:11], 0
.LBB249_1841:
	s_and_b64 vcc, exec, s[10:11]
	s_cbranch_vccz .LBB249_1857
; %bb.1842:
	s_cmp_lt_i32 s15, 27
	s_mov_b64 s[8:9], -1
	s_cbranch_scc1 .LBB249_1848
; %bb.1843:
	s_cmp_gt_i32 s15, 27
	s_cbranch_scc0 .LBB249_1845
; %bb.1844:
	v_cvt_u32_f64_e32 v2, v[0:1]
	s_mov_b64 s[8:9], 0
	global_store_dword v[8:9], v2, off
.LBB249_1845:
	s_andn2_b64 vcc, exec, s[8:9]
	s_cbranch_vccnz .LBB249_1847
; %bb.1846:
	v_cvt_u32_f64_e32 v2, v[0:1]
	global_store_short v[8:9], v2, off
.LBB249_1847:
	s_mov_b64 s[8:9], 0
.LBB249_1848:
	s_andn2_b64 vcc, exec, s[8:9]
	s_cbranch_vccnz .LBB249_1856
; %bb.1849:
	v_cvt_f32_f64_e32 v2, v[0:1]
	v_and_b32_e32 v3, 0x7fffffff, v2
	s_mov_b32 s8, 0x43800000
	v_cmp_gt_u32_e32 vcc, s8, v3
	v_mov_b32_e32 v5, 0x80
	s_and_saveexec_b64 s[8:9], vcc
	s_cbranch_execz .LBB249_1855
; %bb.1850:
	s_mov_b32 s10, 0x3bffffff
	v_cmp_lt_u32_e32 vcc, s10, v3
	s_mov_b64 s[10:11], 0
                                        ; implicit-def: $vgpr3
	s_and_saveexec_b64 s[12:13], vcc
	s_xor_b64 s[12:13], exec, s[12:13]
	s_cbranch_execz .LBB249_2146
; %bb.1851:
	v_bfe_u32 v3, v2, 20, 1
	s_mov_b32 s16, 0x487ffff
	v_add3_u32 v3, v2, v3, s16
	s_mov_b64 s[10:11], exec
	v_lshrrev_b32_e32 v3, 20, v3
	s_andn2_saveexec_b64 s[12:13], s[12:13]
	s_cbranch_execnz .LBB249_2147
.LBB249_1852:
	s_or_b64 exec, exec, s[12:13]
	v_mov_b32_e32 v5, 0
	s_and_saveexec_b64 s[12:13], s[10:11]
.LBB249_1853:
	v_lshrrev_b32_e32 v2, 24, v2
	s_movk_i32 s10, 0x80
	v_and_or_b32 v5, v2, s10, v3
.LBB249_1854:
	s_or_b64 exec, exec, s[12:13]
.LBB249_1855:
	s_or_b64 exec, exec, s[8:9]
	global_store_byte v[8:9], v5, off
.LBB249_1856:
	s_mov_b64 s[8:9], -1
.LBB249_1857:
	s_mov_b64 s[10:11], 0
.LBB249_1858:
	s_and_b64 vcc, exec, s[10:11]
	s_cbranch_vccz .LBB249_1898
; %bb.1859:
	s_cmp_gt_i32 s15, 22
	s_mov_b64 s[6:7], -1
	s_cbranch_scc0 .LBB249_1891
; %bb.1860:
	s_cmp_lt_i32 s15, 24
	s_cbranch_scc1 .LBB249_1880
; %bb.1861:
	s_cmp_gt_i32 s15, 24
	s_cbranch_scc0 .LBB249_1869
; %bb.1862:
	v_cvt_f32_f64_e32 v2, v[0:1]
	v_and_b32_e32 v3, 0x7fffffff, v2
	s_mov_b32 s6, 0x47800000
	v_cmp_gt_u32_e32 vcc, s6, v3
	v_mov_b32_e32 v5, 0x80
	s_and_saveexec_b64 s[6:7], vcc
	s_cbranch_execz .LBB249_1868
; %bb.1863:
	s_mov_b32 s8, 0x37ffffff
	v_cmp_lt_u32_e32 vcc, s8, v3
	s_mov_b64 s[8:9], 0
                                        ; implicit-def: $vgpr3
	s_and_saveexec_b64 s[10:11], vcc
	s_xor_b64 s[10:11], exec, s[10:11]
	s_cbranch_execz .LBB249_2149
; %bb.1864:
	v_bfe_u32 v3, v2, 21, 1
	s_mov_b32 s12, 0x88fffff
	v_add3_u32 v3, v2, v3, s12
	s_mov_b64 s[8:9], exec
	v_lshrrev_b32_e32 v3, 21, v3
	s_andn2_saveexec_b64 s[10:11], s[10:11]
	s_cbranch_execnz .LBB249_2150
.LBB249_1865:
	s_or_b64 exec, exec, s[10:11]
	v_mov_b32_e32 v5, 0
	s_and_saveexec_b64 s[10:11], s[8:9]
.LBB249_1866:
	v_lshrrev_b32_e32 v2, 24, v2
	s_movk_i32 s8, 0x80
	v_and_or_b32 v5, v2, s8, v3
.LBB249_1867:
	s_or_b64 exec, exec, s[10:11]
.LBB249_1868:
	s_or_b64 exec, exec, s[6:7]
	s_mov_b64 s[6:7], 0
	global_store_byte v[8:9], v5, off
.LBB249_1869:
	s_and_b64 vcc, exec, s[6:7]
	s_cbranch_vccz .LBB249_1879
; %bb.1870:
	v_cvt_f32_f64_e32 v2, v[0:1]
	v_and_b32_e32 v5, 0x7fffffff, v2
	s_mov_b32 s6, 0x43f00000
	v_cmp_gt_u32_e32 vcc, s6, v5
                                        ; implicit-def: $vgpr3
	s_and_saveexec_b64 s[6:7], vcc
	s_xor_b64 s[6:7], exec, s[6:7]
	s_cbranch_execz .LBB249_1876
; %bb.1871:
	s_mov_b32 s8, 0x3c7fffff
	v_cmp_lt_u32_e32 vcc, s8, v5
                                        ; implicit-def: $vgpr3
	s_and_saveexec_b64 s[8:9], vcc
	s_xor_b64 s[8:9], exec, s[8:9]
; %bb.1872:
	v_bfe_u32 v3, v2, 20, 1
	s_mov_b32 s10, 0x407ffff
	v_add3_u32 v3, v2, v3, s10
	v_lshrrev_b32_e32 v5, 20, v3
	v_and_b32_e32 v3, 0xff00000, v3
	s_mov_b32 s10, 0x7f00000
	v_mov_b32_e32 v7, 0x7e
	v_cmp_ne_u32_e32 vcc, s10, v3
	s_nop 1
	v_cndmask_b32_e32 v3, v7, v5, vcc
; %bb.1873:
	s_andn2_saveexec_b64 s[8:9], s[8:9]
; %bb.1874:
	s_mov_b32 s10, 0x46800000
	v_add_f32_e64 v3, |v2|, s10
; %bb.1875:
	s_or_b64 exec, exec, s[8:9]
                                        ; implicit-def: $vgpr5
.LBB249_1876:
	s_andn2_saveexec_b64 s[6:7], s[6:7]
; %bb.1877:
	s_mov_b32 s8, 0x7f800000
	v_mov_b32_e32 v3, 0x7e
	v_mov_b32_e32 v7, 0x7f
	v_cmp_lt_u32_e32 vcc, s8, v5
	s_nop 1
	v_cndmask_b32_e32 v3, v3, v7, vcc
; %bb.1878:
	s_or_b64 exec, exec, s[6:7]
	v_lshrrev_b32_e32 v2, 24, v2
	s_movk_i32 s6, 0x80
	v_and_or_b32 v2, v2, s6, v3
	global_store_byte v[8:9], v2, off
.LBB249_1879:
	s_mov_b64 s[6:7], 0
.LBB249_1880:
	s_andn2_b64 vcc, exec, s[6:7]
	s_cbranch_vccnz .LBB249_1890
; %bb.1881:
	v_cvt_f32_f64_e32 v2, v[0:1]
	v_and_b32_e32 v5, 0x7fffffff, v2
	s_mov_b32 s6, 0x47800000
	v_cmp_gt_u32_e32 vcc, s6, v5
                                        ; implicit-def: $vgpr3
	s_and_saveexec_b64 s[6:7], vcc
	s_xor_b64 s[6:7], exec, s[6:7]
	s_cbranch_execz .LBB249_1887
; %bb.1882:
	s_mov_b32 s8, 0x387fffff
	v_cmp_lt_u32_e32 vcc, s8, v5
                                        ; implicit-def: $vgpr3
	s_and_saveexec_b64 s[8:9], vcc
	s_xor_b64 s[8:9], exec, s[8:9]
; %bb.1883:
	v_bfe_u32 v3, v2, 21, 1
	s_mov_b32 s10, 0x80fffff
	v_add3_u32 v3, v2, v3, s10
	v_lshrrev_b32_e32 v3, 21, v3
; %bb.1884:
	s_andn2_saveexec_b64 s[8:9], s[8:9]
; %bb.1885:
	s_mov_b32 s10, 0x43000000
	v_add_f32_e64 v3, |v2|, s10
; %bb.1886:
	s_or_b64 exec, exec, s[8:9]
                                        ; implicit-def: $vgpr5
.LBB249_1887:
	s_andn2_saveexec_b64 s[6:7], s[6:7]
; %bb.1888:
	s_mov_b32 s8, 0x7f800000
	v_mov_b32_e32 v3, 0x7c
	v_mov_b32_e32 v7, 0x7f
	v_cmp_lt_u32_e32 vcc, s8, v5
	s_nop 1
	v_cndmask_b32_e32 v3, v3, v7, vcc
; %bb.1889:
	s_or_b64 exec, exec, s[6:7]
	v_lshrrev_b32_e32 v2, 24, v2
	s_movk_i32 s6, 0x80
	v_and_or_b32 v2, v2, s6, v3
	global_store_byte v[8:9], v2, off
.LBB249_1890:
	s_mov_b64 s[6:7], 0
	s_mov_b64 s[8:9], -1
.LBB249_1891:
	s_andn2_b64 vcc, exec, s[6:7]
	s_mov_b64 s[6:7], 0
	s_cbranch_vccnz .LBB249_1898
; %bb.1892:
	s_cmp_gt_i32 s15, 14
	s_mov_b64 s[10:11], -1
	s_cbranch_scc0 .LBB249_1896
; %bb.1893:
	s_cmp_eq_u32 s15, 15
	s_mov_b64 s[0:1], -1
	s_cbranch_scc0 .LBB249_1895
; %bb.1894:
	v_cvt_f32_f64_e32 v2, v[0:1]
	v_bfe_u32 v3, v2, 16, 1
	s_movk_i32 s0, 0x7fff
	v_add3_u32 v3, v2, v3, s0
	v_cmp_o_f32_e32 vcc, v2, v2
	v_mov_b32_e32 v2, 0x7fc0
	s_mov_b64 s[0:1], 0
	v_cndmask_b32_sdwa v2, v2, v3, vcc dst_sel:DWORD dst_unused:UNUSED_PAD src0_sel:DWORD src1_sel:WORD_1
	global_store_short v[8:9], v2, off
	s_mov_b64 s[8:9], -1
.LBB249_1895:
	s_mov_b64 s[10:11], 0
.LBB249_1896:
	s_and_b64 vcc, exec, s[10:11]
	s_cbranch_vccz .LBB249_1898
; %bb.1897:
	s_cmp_lg_u32 s15, 11
	s_mov_b64 s[6:7], -1
	s_cselect_b64 s[0:1], -1, 0
.LBB249_1898:
	s_and_b64 vcc, exec, s[0:1]
	s_cbranch_vccnz .LBB249_2148
; %bb.1899:
	s_andn2_b64 vcc, exec, s[6:7]
	s_cbranch_vccnz .LBB249_1901
.LBB249_1900:
	v_cmp_neq_f64_e32 vcc, 0, v[14:15]
	s_mov_b64 s[8:9], -1
	s_nop 0
	v_cndmask_b32_e64 v2, 0, 1, vcc
	global_store_byte v[8:9], v2, off
.LBB249_1901:
	s_mov_b64 s[0:1], 0
	s_branch .LBB249_1903
.LBB249_1902:
	s_mov_b64 s[0:1], -1
	s_mov_b64 s[8:9], 0
.LBB249_1903:
	s_and_b64 vcc, exec, s[0:1]
	s_cbranch_vccz .LBB249_1942
; %bb.1904:
	s_and_b32 s6, 0xffff, s14
	s_cmp_lt_i32 s6, 5
	s_mov_b64 s[0:1], -1
	s_cbranch_scc1 .LBB249_1925
; %bb.1905:
	s_cmp_lt_i32 s6, 8
	s_cbranch_scc1 .LBB249_1915
; %bb.1906:
	s_cmp_lt_i32 s6, 9
	s_cbranch_scc1 .LBB249_1912
; %bb.1907:
	s_cmp_gt_i32 s6, 9
	s_cbranch_scc0 .LBB249_1909
; %bb.1908:
	v_mov_b32_e32 v2, 0
	v_mov_b32_e32 v3, v2
	global_store_dwordx4 v[8:9], v[0:3], off
	s_mov_b64 s[0:1], 0
.LBB249_1909:
	s_andn2_b64 vcc, exec, s[0:1]
	s_cbranch_vccnz .LBB249_1911
; %bb.1910:
	v_cvt_f32_f64_e32 v2, v[0:1]
	v_mov_b32_e32 v3, 0
	global_store_dwordx2 v[8:9], v[2:3], off
.LBB249_1911:
	s_mov_b64 s[0:1], 0
.LBB249_1912:
	s_andn2_b64 vcc, exec, s[0:1]
	s_cbranch_vccnz .LBB249_1914
; %bb.1913:
	s_movk_i32 s0, 0x1ff
	v_and_or_b32 v2, v1, s0, v0
	v_cmp_ne_u32_e32 vcc, 0, v2
	v_lshrrev_b32_e32 v3, 8, v1
	s_movk_i32 s0, 0xffe
	v_cndmask_b32_e64 v2, 0, 1, vcc
	v_bfe_u32 v5, v1, 20, 11
	v_and_or_b32 v2, v3, s0, v2
	v_sub_u32_e32 v7, 0x3f1, v5
	v_or_b32_e32 v3, 0x1000, v2
	v_med3_i32 v7, v7, 0, 13
	v_lshrrev_b32_e32 v14, v7, v3
	v_lshlrev_b32_e32 v7, v7, v14
	v_cmp_ne_u32_e32 vcc, v7, v3
	v_add_u32_e32 v5, 0xfffffc10, v5
	v_lshl_or_b32 v7, v5, 12, v2
	v_cndmask_b32_e64 v3, 0, 1, vcc
	v_or_b32_e32 v3, v14, v3
	v_cmp_gt_i32_e32 vcc, 1, v5
	s_movk_i32 s0, 0x40f
	s_nop 0
	v_cndmask_b32_e32 v3, v7, v3, vcc
	v_and_b32_e32 v7, 7, v3
	v_cmp_lt_i32_e32 vcc, 5, v7
	v_lshrrev_b32_e32 v3, 2, v3
	s_nop 0
	v_cndmask_b32_e64 v14, 0, 1, vcc
	v_cmp_eq_u32_e32 vcc, 3, v7
	s_nop 1
	v_cndmask_b32_e64 v7, 0, 1, vcc
	v_or_b32_e32 v7, v7, v14
	v_add_u32_e32 v3, v3, v7
	v_mov_b32_e32 v7, 0x7c00
	v_cmp_gt_i32_e32 vcc, 31, v5
	v_mov_b32_e32 v14, 0x7e00
	s_nop 0
	v_cndmask_b32_e32 v3, v7, v3, vcc
	v_cmp_ne_u32_e32 vcc, 0, v2
	s_nop 1
	v_cndmask_b32_e32 v2, v7, v14, vcc
	v_cmp_eq_u32_e32 vcc, s0, v5
	s_mov_b32 s0, 0x8000
	s_nop 0
	v_cndmask_b32_e32 v2, v3, v2, vcc
	v_and_b32_sdwa v3, v1, s0 dst_sel:DWORD dst_unused:UNUSED_PAD src0_sel:WORD_1 src1_sel:DWORD
	s_mov_b32 s0, 0xffff
	v_bitop3_b32 v2, v3, s0, v2 bitop3:0xc8
	global_store_dword v[8:9], v2, off
.LBB249_1914:
	s_mov_b64 s[0:1], 0
.LBB249_1915:
	s_andn2_b64 vcc, exec, s[0:1]
	s_cbranch_vccnz .LBB249_1924
; %bb.1916:
	s_cmp_lt_i32 s6, 6
	s_mov_b64 s[0:1], -1
	s_cbranch_scc1 .LBB249_1922
; %bb.1917:
	s_cmp_gt_i32 s6, 6
	s_cbranch_scc0 .LBB249_1919
; %bb.1918:
	global_store_dwordx2 v[8:9], v[0:1], off
	s_mov_b64 s[0:1], 0
.LBB249_1919:
	s_andn2_b64 vcc, exec, s[0:1]
	s_cbranch_vccnz .LBB249_1921
; %bb.1920:
	v_cvt_f32_f64_e32 v2, v[0:1]
	global_store_dword v[8:9], v2, off
.LBB249_1921:
	s_mov_b64 s[0:1], 0
.LBB249_1922:
	s_andn2_b64 vcc, exec, s[0:1]
	s_cbranch_vccnz .LBB249_1924
; %bb.1923:
	s_movk_i32 s0, 0x1ff
	v_and_or_b32 v2, v1, s0, v0
	v_cmp_ne_u32_e32 vcc, 0, v2
	v_lshrrev_b32_e32 v3, 8, v1
	s_movk_i32 s0, 0xffe
	v_cndmask_b32_e64 v2, 0, 1, vcc
	v_bfe_u32 v5, v1, 20, 11
	v_and_or_b32 v2, v3, s0, v2
	v_sub_u32_e32 v7, 0x3f1, v5
	v_or_b32_e32 v3, 0x1000, v2
	v_med3_i32 v7, v7, 0, 13
	v_lshrrev_b32_e32 v14, v7, v3
	v_lshlrev_b32_e32 v7, v7, v14
	v_cmp_ne_u32_e32 vcc, v7, v3
	v_add_u32_e32 v5, 0xfffffc10, v5
	v_lshl_or_b32 v7, v5, 12, v2
	v_cndmask_b32_e64 v3, 0, 1, vcc
	v_or_b32_e32 v3, v14, v3
	v_cmp_gt_i32_e32 vcc, 1, v5
	s_movk_i32 s0, 0x40f
	s_nop 0
	v_cndmask_b32_e32 v3, v7, v3, vcc
	v_and_b32_e32 v7, 7, v3
	v_cmp_lt_i32_e32 vcc, 5, v7
	v_lshrrev_b32_e32 v3, 2, v3
	s_nop 0
	v_cndmask_b32_e64 v14, 0, 1, vcc
	v_cmp_eq_u32_e32 vcc, 3, v7
	s_nop 1
	v_cndmask_b32_e64 v7, 0, 1, vcc
	v_or_b32_e32 v7, v7, v14
	v_add_u32_e32 v3, v3, v7
	v_mov_b32_e32 v7, 0x7c00
	v_cmp_gt_i32_e32 vcc, 31, v5
	v_mov_b32_e32 v14, 0x7e00
	s_nop 0
	v_cndmask_b32_e32 v3, v7, v3, vcc
	v_cmp_ne_u32_e32 vcc, 0, v2
	s_nop 1
	v_cndmask_b32_e32 v2, v7, v14, vcc
	v_cmp_eq_u32_e32 vcc, s0, v5
	s_mov_b32 s0, 0x8000
	s_nop 0
	v_cndmask_b32_e32 v2, v3, v2, vcc
	v_lshrrev_b32_e32 v3, 16, v1
	v_and_or_b32 v2, v3, s0, v2
	global_store_short v[8:9], v2, off
.LBB249_1924:
	s_mov_b64 s[0:1], 0
.LBB249_1925:
	s_andn2_b64 vcc, exec, s[0:1]
	s_cbranch_vccnz .LBB249_1941
; %bb.1926:
	s_cmp_lt_i32 s6, 2
	s_mov_b64 s[0:1], -1
	s_cbranch_scc1 .LBB249_1936
; %bb.1927:
	s_cmp_lt_i32 s6, 3
	s_cbranch_scc1 .LBB249_1933
; %bb.1928:
	s_cmp_gt_i32 s6, 3
	s_cbranch_scc0 .LBB249_1930
; %bb.1929:
	v_trunc_f64_e32 v[2:3], v[0:1]
	s_movk_i32 s0, 0xffe0
	v_ldexp_f64 v[14:15], v[2:3], s0
	v_floor_f64_e32 v[14:15], v[14:15]
	v_fmac_f64_e32 v[2:3], 0xc1f00000, v[14:15]
	v_cvt_i32_f64_e32 v17, v[14:15]
	v_cvt_u32_f64_e32 v16, v[2:3]
	global_store_dwordx2 v[8:9], v[16:17], off
	s_mov_b64 s[0:1], 0
.LBB249_1930:
	s_andn2_b64 vcc, exec, s[0:1]
	s_cbranch_vccnz .LBB249_1932
; %bb.1931:
	v_cvt_i32_f64_e32 v2, v[0:1]
	global_store_dword v[8:9], v2, off
.LBB249_1932:
	s_mov_b64 s[0:1], 0
.LBB249_1933:
	s_andn2_b64 vcc, exec, s[0:1]
	s_cbranch_vccnz .LBB249_1935
; %bb.1934:
	v_cvt_i32_f64_e32 v2, v[0:1]
	global_store_short v[8:9], v2, off
.LBB249_1935:
	s_mov_b64 s[0:1], 0
.LBB249_1936:
	s_andn2_b64 vcc, exec, s[0:1]
	s_cbranch_vccnz .LBB249_1941
; %bb.1937:
	s_cmp_gt_i32 s6, 0
	s_mov_b64 s[0:1], -1
	s_cbranch_scc0 .LBB249_1939
; %bb.1938:
	v_cvt_i32_f64_e32 v2, v[0:1]
	global_store_byte v[8:9], v2, off
	s_mov_b64 s[0:1], 0
.LBB249_1939:
	s_andn2_b64 vcc, exec, s[0:1]
	s_cbranch_vccnz .LBB249_1941
; %bb.1940:
	v_trunc_f64_e32 v[0:1], v[0:1]
	s_movk_i32 s0, 0xffe0
	v_ldexp_f64 v[2:3], v[0:1], s0
	v_floor_f64_e32 v[2:3], v[2:3]
	v_fmac_f64_e32 v[0:1], 0xc1f00000, v[2:3]
	v_cvt_u32_f64_e32 v0, v[0:1]
	global_store_byte v[8:9], v0, off
.LBB249_1941:
	s_mov_b64 s[8:9], -1
.LBB249_1942:
	s_andn2_b64 vcc, exec, s[8:9]
	s_cbranch_vccnz .LBB249_2138
; %bb.1943:
	s_mov_b32 s0, 0
	s_brev_b32 s1, 8
	v_mov_b32_e32 v0, 0x100
	v_cmp_gt_f64_e32 vcc, s[0:1], v[12:13]
	v_mov_b32_e32 v5, 0x260
	v_mov_b32_e32 v7, 0
	v_cndmask_b32_e32 v0, 0, v0, vcc
	v_ldexp_f64 v[0:1], v[12:13], v0
	v_rsq_f64_e32 v[2:3], v[0:1]
	s_cmp_lt_i32 s14, 11
	v_lshl_add_u64 v[6:7], s[4:5], 0, v[6:7]
	v_mul_f64 v[8:9], v[0:1], v[2:3]
	v_mul_f64 v[2:3], v[2:3], 0.5
	v_fma_f64 v[14:15], -v[2:3], v[8:9], 0.5
	v_fmac_f64_e32 v[8:9], v[8:9], v[14:15]
	v_fma_f64 v[16:17], -v[8:9], v[8:9], v[0:1]
	v_fmac_f64_e32 v[2:3], v[2:3], v[14:15]
	v_fmac_f64_e32 v[8:9], v[16:17], v[2:3]
	v_fma_f64 v[14:15], -v[8:9], v[8:9], v[0:1]
	v_fmac_f64_e32 v[8:9], v[14:15], v[2:3]
	v_mov_b32_e32 v2, 0xffffff80
	v_cndmask_b32_e32 v2, 0, v2, vcc
	v_ldexp_f64 v[2:3], v[8:9], v2
	v_cmp_class_f64_e32 vcc, v[0:1], v5
	s_nop 1
	v_cndmask_b32_e32 v1, v3, v1, vcc
	v_cndmask_b32_e32 v0, v2, v0, vcc
	s_cbranch_scc1 .LBB249_2021
; %bb.1944:
	s_and_b32 s15, 0xffff, s14
	s_mov_b64 s[10:11], -1
	s_mov_b64 s[6:7], 0
	s_cmp_gt_i32 s15, 25
	s_mov_b64 s[8:9], 0
	s_mov_b64 s[0:1], 0
	s_cbranch_scc0 .LBB249_1977
; %bb.1945:
	s_cmp_gt_i32 s15, 28
	s_cbranch_scc0 .LBB249_1960
; %bb.1946:
	s_cmp_gt_i32 s15, 43
	;; [unrolled: 3-line block ×3, first 2 shown]
	s_cbranch_scc0 .LBB249_1950
; %bb.1948:
	s_mov_b64 s[0:1], -1
	s_mov_b64 s[10:11], 0
	s_cmp_eq_u32 s15, 46
	s_cbranch_scc0 .LBB249_1950
; %bb.1949:
	v_cvt_f32_f64_e32 v2, v[0:1]
	v_bfe_u32 v3, v2, 16, 1
	s_movk_i32 s0, 0x7fff
	v_add3_u32 v3, v2, v3, s0
	v_cmp_o_f32_e32 vcc, v2, v2
	v_mov_b32_e32 v2, 0x7fc0
	s_mov_b64 s[0:1], 0
	v_cndmask_b32_sdwa v2, v2, v3, vcc dst_sel:DWORD dst_unused:UNUSED_PAD src0_sel:DWORD src1_sel:WORD_1
	global_store_dword v[6:7], v2, off
	s_mov_b64 s[8:9], -1
.LBB249_1950:
	s_and_b64 vcc, exec, s[10:11]
	s_cbranch_vccz .LBB249_1955
; %bb.1951:
	s_cmp_eq_u32 s15, 44
	s_mov_b64 s[0:1], -1
	s_cbranch_scc0 .LBB249_1955
; %bb.1952:
	v_cvt_f32_f64_e32 v2, v[0:1]
	v_bfe_u32 v3, v2, 23, 8
	s_movk_i32 s0, 0xff
	v_cmp_ne_u32_e32 vcc, s0, v3
	v_mov_b32_e32 v5, 0xff
	s_and_saveexec_b64 s[8:9], vcc
; %bb.1953:
	s_mov_b32 s0, 0x3fffff
	v_lshrrev_b32_e32 v5, 23, v2
	v_and_b32_e32 v8, 0x400000, v2
	v_and_or_b32 v2, v2, s0, v3
	v_cmp_ne_u32_e32 vcc, 0, v8
	v_cmp_ne_u32_e64 s[0:1], 0, v2
	s_and_b64 s[0:1], vcc, s[0:1]
	s_nop 0
	v_cndmask_b32_e64 v2, 0, 1, s[0:1]
	v_add_u32_e32 v5, v5, v2
; %bb.1954:
	s_or_b64 exec, exec, s[8:9]
	s_mov_b64 s[0:1], 0
	s_mov_b64 s[8:9], -1
	global_store_byte v[6:7], v5, off
.LBB249_1955:
	s_mov_b64 s[10:11], 0
.LBB249_1956:
	s_and_b64 vcc, exec, s[10:11]
	s_cbranch_vccz .LBB249_1959
; %bb.1957:
	s_cmp_eq_u32 s15, 29
	s_mov_b64 s[0:1], -1
	s_cbranch_scc0 .LBB249_1959
; %bb.1958:
	v_trunc_f64_e32 v[2:3], v[0:1]
	s_movk_i32 s0, 0xffe0
	v_ldexp_f64 v[8:9], v[2:3], s0
	v_floor_f64_e32 v[8:9], v[8:9]
	v_fmac_f64_e32 v[2:3], 0xc1f00000, v[8:9]
	v_cvt_u32_f64_e32 v15, v[8:9]
	v_cvt_u32_f64_e32 v14, v[2:3]
	global_store_dwordx2 v[6:7], v[14:15], off
	s_mov_b64 s[0:1], 0
	s_mov_b64 s[8:9], -1
.LBB249_1959:
	s_mov_b64 s[10:11], 0
.LBB249_1960:
	s_and_b64 vcc, exec, s[10:11]
	s_cbranch_vccz .LBB249_1976
; %bb.1961:
	s_cmp_lt_i32 s15, 27
	s_mov_b64 s[8:9], -1
	s_cbranch_scc1 .LBB249_1967
; %bb.1962:
	s_cmp_gt_i32 s15, 27
	v_cvt_u32_f64_e32 v2, v[0:1]
	s_cbranch_scc0 .LBB249_1964
; %bb.1963:
	s_mov_b64 s[8:9], 0
	global_store_dword v[6:7], v2, off
.LBB249_1964:
	s_andn2_b64 vcc, exec, s[8:9]
	s_cbranch_vccnz .LBB249_1966
; %bb.1965:
	global_store_short v[6:7], v2, off
.LBB249_1966:
	s_mov_b64 s[8:9], 0
.LBB249_1967:
	s_andn2_b64 vcc, exec, s[8:9]
	s_cbranch_vccnz .LBB249_1975
; %bb.1968:
	v_cvt_f32_f64_e32 v2, v[0:1]
	v_and_b32_e32 v3, 0x7fffffff, v2
	s_mov_b32 s8, 0x43800000
	v_cmp_gt_u32_e32 vcc, s8, v3
	v_mov_b32_e32 v5, 0x80
	s_and_saveexec_b64 s[8:9], vcc
	s_cbranch_execz .LBB249_1974
; %bb.1969:
	s_mov_b32 s10, 0x3bffffff
	v_cmp_lt_u32_e32 vcc, s10, v3
	s_mov_b64 s[10:11], 0
                                        ; implicit-def: $vgpr3
	s_and_saveexec_b64 s[12:13], vcc
	s_xor_b64 s[12:13], exec, s[12:13]
	s_cbranch_execz .LBB249_2151
; %bb.1970:
	v_bfe_u32 v3, v2, 20, 1
	s_mov_b32 s16, 0x487ffff
	v_add3_u32 v3, v2, v3, s16
	s_mov_b64 s[10:11], exec
	v_lshrrev_b32_e32 v3, 20, v3
	s_andn2_saveexec_b64 s[12:13], s[12:13]
	s_cbranch_execnz .LBB249_2152
.LBB249_1971:
	s_or_b64 exec, exec, s[12:13]
	v_mov_b32_e32 v5, 0
	s_and_saveexec_b64 s[12:13], s[10:11]
.LBB249_1972:
	v_lshrrev_b32_e32 v2, 24, v2
	s_movk_i32 s10, 0x80
	v_and_or_b32 v5, v2, s10, v3
.LBB249_1973:
	s_or_b64 exec, exec, s[12:13]
.LBB249_1974:
	s_or_b64 exec, exec, s[8:9]
	global_store_byte v[6:7], v5, off
.LBB249_1975:
	s_mov_b64 s[8:9], -1
.LBB249_1976:
	s_mov_b64 s[10:11], 0
.LBB249_1977:
	s_and_b64 vcc, exec, s[10:11]
	s_cbranch_vccz .LBB249_2017
; %bb.1978:
	s_cmp_gt_i32 s15, 22
	s_mov_b64 s[6:7], -1
	s_cbranch_scc0 .LBB249_2010
; %bb.1979:
	s_cmp_lt_i32 s15, 24
	s_cbranch_scc1 .LBB249_1999
; %bb.1980:
	s_cmp_gt_i32 s15, 24
	s_cbranch_scc0 .LBB249_1988
; %bb.1981:
	v_cvt_f32_f64_e32 v2, v[0:1]
	v_and_b32_e32 v3, 0x7fffffff, v2
	s_mov_b32 s6, 0x47800000
	v_cmp_gt_u32_e32 vcc, s6, v3
	v_mov_b32_e32 v5, 0x80
	s_and_saveexec_b64 s[6:7], vcc
	s_cbranch_execz .LBB249_1987
; %bb.1982:
	s_mov_b32 s8, 0x37ffffff
	v_cmp_lt_u32_e32 vcc, s8, v3
	s_mov_b64 s[8:9], 0
                                        ; implicit-def: $vgpr3
	s_and_saveexec_b64 s[10:11], vcc
	s_xor_b64 s[10:11], exec, s[10:11]
	s_cbranch_execz .LBB249_2154
; %bb.1983:
	v_bfe_u32 v3, v2, 21, 1
	s_mov_b32 s12, 0x88fffff
	v_add3_u32 v3, v2, v3, s12
	s_mov_b64 s[8:9], exec
	v_lshrrev_b32_e32 v3, 21, v3
	s_andn2_saveexec_b64 s[10:11], s[10:11]
	s_cbranch_execnz .LBB249_2155
.LBB249_1984:
	s_or_b64 exec, exec, s[10:11]
	v_mov_b32_e32 v5, 0
	s_and_saveexec_b64 s[10:11], s[8:9]
.LBB249_1985:
	v_lshrrev_b32_e32 v2, 24, v2
	s_movk_i32 s8, 0x80
	v_and_or_b32 v5, v2, s8, v3
.LBB249_1986:
	s_or_b64 exec, exec, s[10:11]
.LBB249_1987:
	s_or_b64 exec, exec, s[6:7]
	s_mov_b64 s[6:7], 0
	global_store_byte v[6:7], v5, off
.LBB249_1988:
	s_and_b64 vcc, exec, s[6:7]
	s_cbranch_vccz .LBB249_1998
; %bb.1989:
	v_cvt_f32_f64_e32 v2, v[0:1]
	v_and_b32_e32 v5, 0x7fffffff, v2
	s_mov_b32 s6, 0x43f00000
	v_cmp_gt_u32_e32 vcc, s6, v5
                                        ; implicit-def: $vgpr3
	s_and_saveexec_b64 s[6:7], vcc
	s_xor_b64 s[6:7], exec, s[6:7]
	s_cbranch_execz .LBB249_1995
; %bb.1990:
	s_mov_b32 s8, 0x3c7fffff
	v_cmp_lt_u32_e32 vcc, s8, v5
                                        ; implicit-def: $vgpr3
	s_and_saveexec_b64 s[8:9], vcc
	s_xor_b64 s[8:9], exec, s[8:9]
; %bb.1991:
	v_bfe_u32 v3, v2, 20, 1
	s_mov_b32 s10, 0x407ffff
	v_add3_u32 v3, v2, v3, s10
	v_lshrrev_b32_e32 v5, 20, v3
	v_and_b32_e32 v3, 0xff00000, v3
	s_mov_b32 s10, 0x7f00000
	v_mov_b32_e32 v8, 0x7e
	v_cmp_ne_u32_e32 vcc, s10, v3
	s_nop 1
	v_cndmask_b32_e32 v3, v8, v5, vcc
; %bb.1992:
	s_andn2_saveexec_b64 s[8:9], s[8:9]
; %bb.1993:
	s_mov_b32 s10, 0x46800000
	v_add_f32_e64 v3, |v2|, s10
; %bb.1994:
	s_or_b64 exec, exec, s[8:9]
                                        ; implicit-def: $vgpr5
.LBB249_1995:
	s_andn2_saveexec_b64 s[6:7], s[6:7]
; %bb.1996:
	s_mov_b32 s8, 0x7f800000
	v_mov_b32_e32 v3, 0x7e
	v_mov_b32_e32 v8, 0x7f
	v_cmp_lt_u32_e32 vcc, s8, v5
	s_nop 1
	v_cndmask_b32_e32 v3, v3, v8, vcc
; %bb.1997:
	s_or_b64 exec, exec, s[6:7]
	v_lshrrev_b32_e32 v2, 24, v2
	s_movk_i32 s6, 0x80
	v_and_or_b32 v2, v2, s6, v3
	global_store_byte v[6:7], v2, off
.LBB249_1998:
	s_mov_b64 s[6:7], 0
.LBB249_1999:
	s_andn2_b64 vcc, exec, s[6:7]
	s_cbranch_vccnz .LBB249_2009
; %bb.2000:
	v_cvt_f32_f64_e32 v2, v[0:1]
	v_and_b32_e32 v5, 0x7fffffff, v2
	s_mov_b32 s6, 0x47800000
	v_cmp_gt_u32_e32 vcc, s6, v5
                                        ; implicit-def: $vgpr3
	s_and_saveexec_b64 s[6:7], vcc
	s_xor_b64 s[6:7], exec, s[6:7]
	s_cbranch_execz .LBB249_2006
; %bb.2001:
	s_mov_b32 s8, 0x387fffff
	v_cmp_lt_u32_e32 vcc, s8, v5
                                        ; implicit-def: $vgpr3
	s_and_saveexec_b64 s[8:9], vcc
	s_xor_b64 s[8:9], exec, s[8:9]
; %bb.2002:
	v_bfe_u32 v3, v2, 21, 1
	s_mov_b32 s10, 0x80fffff
	v_add3_u32 v3, v2, v3, s10
	v_lshrrev_b32_e32 v3, 21, v3
; %bb.2003:
	s_andn2_saveexec_b64 s[8:9], s[8:9]
; %bb.2004:
	s_mov_b32 s10, 0x43000000
	v_add_f32_e64 v3, |v2|, s10
; %bb.2005:
	s_or_b64 exec, exec, s[8:9]
                                        ; implicit-def: $vgpr5
.LBB249_2006:
	s_andn2_saveexec_b64 s[6:7], s[6:7]
; %bb.2007:
	s_mov_b32 s8, 0x7f800000
	v_mov_b32_e32 v3, 0x7c
	v_mov_b32_e32 v8, 0x7f
	v_cmp_lt_u32_e32 vcc, s8, v5
	s_nop 1
	v_cndmask_b32_e32 v3, v3, v8, vcc
; %bb.2008:
	s_or_b64 exec, exec, s[6:7]
	v_lshrrev_b32_e32 v2, 24, v2
	s_movk_i32 s6, 0x80
	v_and_or_b32 v2, v2, s6, v3
	global_store_byte v[6:7], v2, off
.LBB249_2009:
	s_mov_b64 s[6:7], 0
	s_mov_b64 s[8:9], -1
.LBB249_2010:
	s_andn2_b64 vcc, exec, s[6:7]
	s_mov_b64 s[6:7], 0
	s_cbranch_vccnz .LBB249_2017
; %bb.2011:
	s_cmp_gt_i32 s15, 14
	s_mov_b64 s[10:11], -1
	s_cbranch_scc0 .LBB249_2015
; %bb.2012:
	s_cmp_eq_u32 s15, 15
	s_mov_b64 s[0:1], -1
	s_cbranch_scc0 .LBB249_2014
; %bb.2013:
	v_cvt_f32_f64_e32 v2, v[0:1]
	v_bfe_u32 v3, v2, 16, 1
	s_movk_i32 s0, 0x7fff
	v_add3_u32 v3, v2, v3, s0
	v_cmp_o_f32_e32 vcc, v2, v2
	v_mov_b32_e32 v2, 0x7fc0
	s_mov_b64 s[0:1], 0
	v_cndmask_b32_sdwa v2, v2, v3, vcc dst_sel:DWORD dst_unused:UNUSED_PAD src0_sel:DWORD src1_sel:WORD_1
	global_store_short v[6:7], v2, off
	s_mov_b64 s[8:9], -1
.LBB249_2014:
	s_mov_b64 s[10:11], 0
.LBB249_2015:
	s_and_b64 vcc, exec, s[10:11]
	s_cbranch_vccz .LBB249_2017
; %bb.2016:
	s_cmp_lg_u32 s15, 11
	s_mov_b64 s[6:7], -1
	s_cselect_b64 s[0:1], -1, 0
.LBB249_2017:
	s_and_b64 vcc, exec, s[0:1]
	s_cbranch_vccnz .LBB249_2153
; %bb.2018:
	s_andn2_b64 vcc, exec, s[6:7]
	s_cbranch_vccnz .LBB249_2020
.LBB249_2019:
	v_cmp_neq_f64_e32 vcc, 0, v[12:13]
	s_mov_b64 s[8:9], -1
	s_nop 0
	v_cndmask_b32_e64 v2, 0, 1, vcc
	global_store_byte v[6:7], v2, off
.LBB249_2020:
	s_mov_b64 s[0:1], 0
	s_branch .LBB249_2022
.LBB249_2021:
	s_mov_b64 s[0:1], -1
	s_mov_b64 s[8:9], 0
.LBB249_2022:
	s_and_b64 vcc, exec, s[0:1]
	s_cbranch_vccz .LBB249_2061
; %bb.2023:
	s_and_b32 s6, 0xffff, s14
	s_cmp_lt_i32 s6, 5
	s_mov_b64 s[0:1], -1
	s_cbranch_scc1 .LBB249_2044
; %bb.2024:
	s_cmp_lt_i32 s6, 8
	s_cbranch_scc1 .LBB249_2034
; %bb.2025:
	s_cmp_lt_i32 s6, 9
	s_cbranch_scc1 .LBB249_2031
; %bb.2026:
	s_cmp_gt_i32 s6, 9
	s_cbranch_scc0 .LBB249_2028
; %bb.2027:
	v_mov_b32_e32 v2, 0
	v_mov_b32_e32 v3, v2
	global_store_dwordx4 v[6:7], v[0:3], off
	s_mov_b64 s[0:1], 0
.LBB249_2028:
	s_andn2_b64 vcc, exec, s[0:1]
	s_cbranch_vccnz .LBB249_2030
; %bb.2029:
	v_cvt_f32_f64_e32 v2, v[0:1]
	v_mov_b32_e32 v3, 0
	global_store_dwordx2 v[6:7], v[2:3], off
.LBB249_2030:
	s_mov_b64 s[0:1], 0
.LBB249_2031:
	s_andn2_b64 vcc, exec, s[0:1]
	s_cbranch_vccnz .LBB249_2033
; %bb.2032:
	s_movk_i32 s0, 0x1ff
	v_and_or_b32 v2, v1, s0, v0
	v_cmp_ne_u32_e32 vcc, 0, v2
	v_lshrrev_b32_e32 v3, 8, v1
	s_movk_i32 s0, 0xffe
	v_cndmask_b32_e64 v2, 0, 1, vcc
	v_bfe_u32 v5, v1, 20, 11
	v_and_or_b32 v2, v3, s0, v2
	v_sub_u32_e32 v8, 0x3f1, v5
	v_or_b32_e32 v3, 0x1000, v2
	v_med3_i32 v8, v8, 0, 13
	v_lshrrev_b32_e32 v9, v8, v3
	v_lshlrev_b32_e32 v8, v8, v9
	v_cmp_ne_u32_e32 vcc, v8, v3
	v_add_u32_e32 v5, 0xfffffc10, v5
	v_lshl_or_b32 v8, v5, 12, v2
	v_cndmask_b32_e64 v3, 0, 1, vcc
	v_or_b32_e32 v3, v9, v3
	v_cmp_gt_i32_e32 vcc, 1, v5
	s_movk_i32 s0, 0x40f
	s_nop 0
	v_cndmask_b32_e32 v3, v8, v3, vcc
	v_and_b32_e32 v8, 7, v3
	v_cmp_lt_i32_e32 vcc, 5, v8
	v_lshrrev_b32_e32 v3, 2, v3
	s_nop 0
	v_cndmask_b32_e64 v9, 0, 1, vcc
	v_cmp_eq_u32_e32 vcc, 3, v8
	s_nop 1
	v_cndmask_b32_e64 v8, 0, 1, vcc
	v_or_b32_e32 v8, v8, v9
	v_add_u32_e32 v3, v3, v8
	v_mov_b32_e32 v8, 0x7c00
	v_cmp_gt_i32_e32 vcc, 31, v5
	v_mov_b32_e32 v9, 0x7e00
	s_nop 0
	v_cndmask_b32_e32 v3, v8, v3, vcc
	v_cmp_ne_u32_e32 vcc, 0, v2
	s_nop 1
	v_cndmask_b32_e32 v2, v8, v9, vcc
	v_cmp_eq_u32_e32 vcc, s0, v5
	s_mov_b32 s0, 0x8000
	s_nop 0
	v_cndmask_b32_e32 v2, v3, v2, vcc
	v_and_b32_sdwa v3, v1, s0 dst_sel:DWORD dst_unused:UNUSED_PAD src0_sel:WORD_1 src1_sel:DWORD
	s_mov_b32 s0, 0xffff
	v_bitop3_b32 v2, v3, s0, v2 bitop3:0xc8
	global_store_dword v[6:7], v2, off
.LBB249_2033:
	s_mov_b64 s[0:1], 0
.LBB249_2034:
	s_andn2_b64 vcc, exec, s[0:1]
	s_cbranch_vccnz .LBB249_2043
; %bb.2035:
	s_cmp_lt_i32 s6, 6
	s_mov_b64 s[0:1], -1
	s_cbranch_scc1 .LBB249_2041
; %bb.2036:
	s_cmp_gt_i32 s6, 6
	s_cbranch_scc0 .LBB249_2038
; %bb.2037:
	global_store_dwordx2 v[6:7], v[0:1], off
	s_mov_b64 s[0:1], 0
.LBB249_2038:
	s_andn2_b64 vcc, exec, s[0:1]
	s_cbranch_vccnz .LBB249_2040
; %bb.2039:
	v_cvt_f32_f64_e32 v2, v[0:1]
	global_store_dword v[6:7], v2, off
.LBB249_2040:
	s_mov_b64 s[0:1], 0
.LBB249_2041:
	s_andn2_b64 vcc, exec, s[0:1]
	s_cbranch_vccnz .LBB249_2043
; %bb.2042:
	s_movk_i32 s0, 0x1ff
	v_and_or_b32 v2, v1, s0, v0
	v_cmp_ne_u32_e32 vcc, 0, v2
	v_lshrrev_b32_e32 v3, 8, v1
	s_movk_i32 s0, 0xffe
	v_cndmask_b32_e64 v2, 0, 1, vcc
	v_bfe_u32 v5, v1, 20, 11
	v_and_or_b32 v2, v3, s0, v2
	v_sub_u32_e32 v8, 0x3f1, v5
	v_or_b32_e32 v3, 0x1000, v2
	v_med3_i32 v8, v8, 0, 13
	v_lshrrev_b32_e32 v9, v8, v3
	v_lshlrev_b32_e32 v8, v8, v9
	v_cmp_ne_u32_e32 vcc, v8, v3
	v_add_u32_e32 v5, 0xfffffc10, v5
	v_lshl_or_b32 v8, v5, 12, v2
	v_cndmask_b32_e64 v3, 0, 1, vcc
	v_or_b32_e32 v3, v9, v3
	v_cmp_gt_i32_e32 vcc, 1, v5
	s_movk_i32 s0, 0x40f
	s_nop 0
	v_cndmask_b32_e32 v3, v8, v3, vcc
	v_and_b32_e32 v8, 7, v3
	v_cmp_lt_i32_e32 vcc, 5, v8
	v_lshrrev_b32_e32 v3, 2, v3
	s_nop 0
	v_cndmask_b32_e64 v9, 0, 1, vcc
	v_cmp_eq_u32_e32 vcc, 3, v8
	s_nop 1
	v_cndmask_b32_e64 v8, 0, 1, vcc
	v_or_b32_e32 v8, v8, v9
	v_add_u32_e32 v3, v3, v8
	v_mov_b32_e32 v8, 0x7c00
	v_cmp_gt_i32_e32 vcc, 31, v5
	v_mov_b32_e32 v9, 0x7e00
	s_nop 0
	v_cndmask_b32_e32 v3, v8, v3, vcc
	v_cmp_ne_u32_e32 vcc, 0, v2
	s_nop 1
	v_cndmask_b32_e32 v2, v8, v9, vcc
	v_cmp_eq_u32_e32 vcc, s0, v5
	s_mov_b32 s0, 0x8000
	s_nop 0
	v_cndmask_b32_e32 v2, v3, v2, vcc
	v_lshrrev_b32_e32 v3, 16, v1
	v_and_or_b32 v2, v3, s0, v2
	global_store_short v[6:7], v2, off
.LBB249_2043:
	s_mov_b64 s[0:1], 0
.LBB249_2044:
	s_andn2_b64 vcc, exec, s[0:1]
	s_cbranch_vccnz .LBB249_2060
; %bb.2045:
	s_cmp_lt_i32 s6, 2
	s_mov_b64 s[0:1], -1
	s_cbranch_scc1 .LBB249_2055
; %bb.2046:
	s_cmp_lt_i32 s6, 3
	s_cbranch_scc1 .LBB249_2052
; %bb.2047:
	s_cmp_gt_i32 s6, 3
	s_cbranch_scc0 .LBB249_2049
; %bb.2048:
	v_trunc_f64_e32 v[2:3], v[0:1]
	s_movk_i32 s0, 0xffe0
	v_ldexp_f64 v[8:9], v[2:3], s0
	v_floor_f64_e32 v[8:9], v[8:9]
	v_fmac_f64_e32 v[2:3], 0xc1f00000, v[8:9]
	v_cvt_i32_f64_e32 v13, v[8:9]
	v_cvt_u32_f64_e32 v12, v[2:3]
	global_store_dwordx2 v[6:7], v[12:13], off
	s_mov_b64 s[0:1], 0
.LBB249_2049:
	s_andn2_b64 vcc, exec, s[0:1]
	s_cbranch_vccnz .LBB249_2051
; %bb.2050:
	v_cvt_i32_f64_e32 v2, v[0:1]
	global_store_dword v[6:7], v2, off
.LBB249_2051:
	s_mov_b64 s[0:1], 0
.LBB249_2052:
	s_andn2_b64 vcc, exec, s[0:1]
	s_cbranch_vccnz .LBB249_2054
; %bb.2053:
	v_cvt_i32_f64_e32 v2, v[0:1]
	global_store_short v[6:7], v2, off
.LBB249_2054:
	s_mov_b64 s[0:1], 0
.LBB249_2055:
	s_andn2_b64 vcc, exec, s[0:1]
	s_cbranch_vccnz .LBB249_2060
; %bb.2056:
	s_cmp_gt_i32 s6, 0
	s_mov_b64 s[0:1], -1
	s_cbranch_scc0 .LBB249_2058
; %bb.2057:
	v_cvt_i32_f64_e32 v2, v[0:1]
	global_store_byte v[6:7], v2, off
	s_mov_b64 s[0:1], 0
.LBB249_2058:
	s_andn2_b64 vcc, exec, s[0:1]
	s_cbranch_vccnz .LBB249_2060
; %bb.2059:
	v_trunc_f64_e32 v[0:1], v[0:1]
	s_movk_i32 s0, 0xffe0
	v_ldexp_f64 v[2:3], v[0:1], s0
	v_floor_f64_e32 v[2:3], v[2:3]
	v_fmac_f64_e32 v[0:1], 0xc1f00000, v[2:3]
	v_cvt_u32_f64_e32 v0, v[0:1]
	global_store_byte v[6:7], v0, off
.LBB249_2060:
	s_mov_b64 s[8:9], -1
.LBB249_2061:
	s_andn2_b64 vcc, exec, s[8:9]
	s_cbranch_vccnz .LBB249_2138
; %bb.2062:
	s_mov_b32 s0, 0
	s_brev_b32 s1, 8
	v_mov_b32_e32 v0, 0x100
	v_cmp_gt_f64_e32 vcc, s[0:1], v[10:11]
	v_mov_b32_e32 v5, 0x260
	s_cmp_lt_i32 s14, 11
	v_cndmask_b32_e32 v0, 0, v0, vcc
	v_ldexp_f64 v[0:1], v[10:11], v0
	v_rsq_f64_e32 v[2:3], v[0:1]
	s_nop 0
	v_mul_f64 v[6:7], v[0:1], v[2:3]
	v_mul_f64 v[2:3], v[2:3], 0.5
	v_fma_f64 v[8:9], -v[2:3], v[6:7], 0.5
	v_fmac_f64_e32 v[6:7], v[6:7], v[8:9]
	v_fma_f64 v[12:13], -v[6:7], v[6:7], v[0:1]
	v_fmac_f64_e32 v[2:3], v[2:3], v[8:9]
	v_fmac_f64_e32 v[6:7], v[12:13], v[2:3]
	v_fma_f64 v[8:9], -v[6:7], v[6:7], v[0:1]
	v_fmac_f64_e32 v[6:7], v[8:9], v[2:3]
	v_mov_b32_e32 v2, 0xffffff80
	v_cndmask_b32_e32 v2, 0, v2, vcc
	v_ldexp_f64 v[2:3], v[6:7], v2
	v_cmp_class_f64_e32 vcc, v[0:1], v5
	v_mov_b32_e32 v5, 0
	v_lshl_add_u64 v[4:5], s[4:5], 0, v[4:5]
	v_cndmask_b32_e32 v1, v3, v1, vcc
	v_cndmask_b32_e32 v0, v2, v0, vcc
	s_cbranch_scc1 .LBB249_2139
; %bb.2063:
	s_and_b32 s12, 0xffff, s14
	s_mov_b64 s[6:7], -1
	s_mov_b64 s[4:5], 0
	s_cmp_gt_i32 s12, 25
	s_mov_b64 s[0:1], 0
	s_cbranch_scc0 .LBB249_2096
; %bb.2064:
	s_cmp_gt_i32 s12, 28
	s_cbranch_scc0 .LBB249_2080
; %bb.2065:
	s_cmp_gt_i32 s12, 43
	;; [unrolled: 3-line block ×3, first 2 shown]
	s_cbranch_scc0 .LBB249_2070
; %bb.2067:
	s_cmp_eq_u32 s12, 46
	s_mov_b64 s[0:1], -1
	s_cbranch_scc0 .LBB249_2069
; %bb.2068:
	v_cvt_f32_f64_e32 v2, v[0:1]
	v_bfe_u32 v3, v2, 16, 1
	s_movk_i32 s0, 0x7fff
	v_add3_u32 v3, v2, v3, s0
	v_cmp_o_f32_e32 vcc, v2, v2
	v_mov_b32_e32 v2, 0x7fc0
	s_mov_b64 s[0:1], 0
	v_cndmask_b32_sdwa v2, v2, v3, vcc dst_sel:DWORD dst_unused:UNUSED_PAD src0_sel:DWORD src1_sel:WORD_1
	global_store_dword v[4:5], v2, off
.LBB249_2069:
	s_mov_b64 s[6:7], 0
.LBB249_2070:
	s_and_b64 vcc, exec, s[6:7]
	s_cbranch_vccz .LBB249_2075
; %bb.2071:
	s_cmp_eq_u32 s12, 44
	s_mov_b64 s[0:1], -1
	s_cbranch_scc0 .LBB249_2075
; %bb.2072:
	v_cvt_f32_f64_e32 v2, v[0:1]
	v_bfe_u32 v3, v2, 23, 8
	s_movk_i32 s0, 0xff
	v_cmp_ne_u32_e32 vcc, s0, v3
	v_mov_b32_e32 v6, 0xff
	s_and_saveexec_b64 s[6:7], vcc
; %bb.2073:
	s_mov_b32 s0, 0x3fffff
	v_lshrrev_b32_e32 v6, 23, v2
	v_and_b32_e32 v7, 0x400000, v2
	v_and_or_b32 v2, v2, s0, v3
	v_cmp_ne_u32_e32 vcc, 0, v7
	v_cmp_ne_u32_e64 s[0:1], 0, v2
	s_and_b64 s[0:1], vcc, s[0:1]
	s_nop 0
	v_cndmask_b32_e64 v2, 0, 1, s[0:1]
	v_add_u32_e32 v6, v6, v2
; %bb.2074:
	s_or_b64 exec, exec, s[6:7]
	s_mov_b64 s[0:1], 0
	global_store_byte v[4:5], v6, off
.LBB249_2075:
	s_mov_b64 s[6:7], 0
.LBB249_2076:
	s_and_b64 vcc, exec, s[6:7]
	s_cbranch_vccz .LBB249_2079
; %bb.2077:
	s_cmp_eq_u32 s12, 29
	s_mov_b64 s[0:1], -1
	s_cbranch_scc0 .LBB249_2079
; %bb.2078:
	v_trunc_f64_e32 v[2:3], v[0:1]
	s_movk_i32 s0, 0xffe0
	v_ldexp_f64 v[6:7], v[2:3], s0
	v_floor_f64_e32 v[6:7], v[6:7]
	v_fmac_f64_e32 v[2:3], 0xc1f00000, v[6:7]
	v_cvt_u32_f64_e32 v9, v[6:7]
	v_cvt_u32_f64_e32 v8, v[2:3]
	global_store_dwordx2 v[4:5], v[8:9], off
	s_mov_b64 s[0:1], 0
.LBB249_2079:
	s_mov_b64 s[6:7], 0
.LBB249_2080:
	s_and_b64 vcc, exec, s[6:7]
	s_cbranch_vccz .LBB249_2095
; %bb.2081:
	s_cmp_lt_i32 s12, 27
	s_mov_b64 s[6:7], -1
	s_cbranch_scc1 .LBB249_2087
; %bb.2082:
	s_cmp_gt_i32 s12, 27
	s_cbranch_scc0 .LBB249_2084
; %bb.2083:
	v_cvt_u32_f64_e32 v2, v[0:1]
	global_store_dword v[4:5], v2, off
	s_mov_b64 s[6:7], 0
.LBB249_2084:
	s_andn2_b64 vcc, exec, s[6:7]
	s_cbranch_vccnz .LBB249_2086
; %bb.2085:
	v_cvt_u32_f64_e32 v2, v[0:1]
	global_store_short v[4:5], v2, off
.LBB249_2086:
	s_mov_b64 s[6:7], 0
.LBB249_2087:
	s_andn2_b64 vcc, exec, s[6:7]
	s_cbranch_vccnz .LBB249_2095
; %bb.2088:
	v_cvt_f32_f64_e32 v2, v[0:1]
	v_and_b32_e32 v3, 0x7fffffff, v2
	s_mov_b32 s6, 0x43800000
	v_cmp_gt_u32_e32 vcc, s6, v3
	v_mov_b32_e32 v6, 0x80
	s_and_saveexec_b64 s[6:7], vcc
	s_cbranch_execz .LBB249_2094
; %bb.2089:
	s_mov_b32 s8, 0x3bffffff
	v_cmp_lt_u32_e32 vcc, s8, v3
	s_mov_b64 s[8:9], 0
                                        ; implicit-def: $vgpr3
	s_and_saveexec_b64 s[10:11], vcc
	s_xor_b64 s[10:11], exec, s[10:11]
	s_cbranch_execz .LBB249_2156
; %bb.2090:
	v_bfe_u32 v3, v2, 20, 1
	s_mov_b32 s13, 0x487ffff
	v_add3_u32 v3, v2, v3, s13
	s_mov_b64 s[8:9], exec
	v_lshrrev_b32_e32 v3, 20, v3
	s_andn2_saveexec_b64 s[10:11], s[10:11]
	s_cbranch_execnz .LBB249_2157
.LBB249_2091:
	s_or_b64 exec, exec, s[10:11]
	v_mov_b32_e32 v6, 0
	s_and_saveexec_b64 s[10:11], s[8:9]
.LBB249_2092:
	v_lshrrev_b32_e32 v2, 24, v2
	s_movk_i32 s8, 0x80
	v_and_or_b32 v6, v2, s8, v3
.LBB249_2093:
	s_or_b64 exec, exec, s[10:11]
.LBB249_2094:
	s_or_b64 exec, exec, s[6:7]
	global_store_byte v[4:5], v6, off
.LBB249_2095:
	s_mov_b64 s[6:7], 0
.LBB249_2096:
	s_and_b64 vcc, exec, s[6:7]
	s_cbranch_vccz .LBB249_2136
; %bb.2097:
	s_cmp_gt_i32 s12, 22
	s_mov_b64 s[4:5], -1
	s_cbranch_scc0 .LBB249_2129
; %bb.2098:
	s_cmp_lt_i32 s12, 24
	s_cbranch_scc1 .LBB249_2118
; %bb.2099:
	s_cmp_gt_i32 s12, 24
	s_cbranch_scc0 .LBB249_2107
; %bb.2100:
	v_cvt_f32_f64_e32 v2, v[0:1]
	v_and_b32_e32 v3, 0x7fffffff, v2
	s_mov_b32 s4, 0x47800000
	v_cmp_gt_u32_e32 vcc, s4, v3
	v_mov_b32_e32 v6, 0x80
	s_and_saveexec_b64 s[4:5], vcc
	s_cbranch_execz .LBB249_2106
; %bb.2101:
	s_mov_b32 s6, 0x37ffffff
	v_cmp_lt_u32_e32 vcc, s6, v3
	s_mov_b64 s[6:7], 0
                                        ; implicit-def: $vgpr3
	s_and_saveexec_b64 s[8:9], vcc
	s_xor_b64 s[8:9], exec, s[8:9]
	s_cbranch_execz .LBB249_2159
; %bb.2102:
	v_bfe_u32 v3, v2, 21, 1
	s_mov_b32 s10, 0x88fffff
	v_add3_u32 v3, v2, v3, s10
	s_mov_b64 s[6:7], exec
	v_lshrrev_b32_e32 v3, 21, v3
	s_andn2_saveexec_b64 s[8:9], s[8:9]
	s_cbranch_execnz .LBB249_2160
.LBB249_2103:
	s_or_b64 exec, exec, s[8:9]
	v_mov_b32_e32 v6, 0
	s_and_saveexec_b64 s[8:9], s[6:7]
.LBB249_2104:
	v_lshrrev_b32_e32 v2, 24, v2
	s_movk_i32 s6, 0x80
	v_and_or_b32 v6, v2, s6, v3
.LBB249_2105:
	s_or_b64 exec, exec, s[8:9]
.LBB249_2106:
	s_or_b64 exec, exec, s[4:5]
	s_mov_b64 s[4:5], 0
	global_store_byte v[4:5], v6, off
.LBB249_2107:
	s_and_b64 vcc, exec, s[4:5]
	s_cbranch_vccz .LBB249_2117
; %bb.2108:
	v_cvt_f32_f64_e32 v2, v[0:1]
	v_and_b32_e32 v6, 0x7fffffff, v2
	s_mov_b32 s4, 0x43f00000
	v_cmp_gt_u32_e32 vcc, s4, v6
                                        ; implicit-def: $vgpr3
	s_and_saveexec_b64 s[4:5], vcc
	s_xor_b64 s[4:5], exec, s[4:5]
	s_cbranch_execz .LBB249_2114
; %bb.2109:
	s_mov_b32 s6, 0x3c7fffff
	v_cmp_lt_u32_e32 vcc, s6, v6
                                        ; implicit-def: $vgpr3
	s_and_saveexec_b64 s[6:7], vcc
	s_xor_b64 s[6:7], exec, s[6:7]
; %bb.2110:
	v_bfe_u32 v3, v2, 20, 1
	s_mov_b32 s8, 0x407ffff
	v_add3_u32 v3, v2, v3, s8
	v_lshrrev_b32_e32 v6, 20, v3
	v_and_b32_e32 v3, 0xff00000, v3
	s_mov_b32 s8, 0x7f00000
	v_mov_b32_e32 v7, 0x7e
	v_cmp_ne_u32_e32 vcc, s8, v3
	s_nop 1
	v_cndmask_b32_e32 v3, v7, v6, vcc
; %bb.2111:
	s_andn2_saveexec_b64 s[6:7], s[6:7]
; %bb.2112:
	s_mov_b32 s8, 0x46800000
	v_add_f32_e64 v3, |v2|, s8
; %bb.2113:
	s_or_b64 exec, exec, s[6:7]
                                        ; implicit-def: $vgpr6
.LBB249_2114:
	s_andn2_saveexec_b64 s[4:5], s[4:5]
; %bb.2115:
	s_mov_b32 s6, 0x7f800000
	v_mov_b32_e32 v3, 0x7e
	v_mov_b32_e32 v7, 0x7f
	v_cmp_lt_u32_e32 vcc, s6, v6
	s_nop 1
	v_cndmask_b32_e32 v3, v3, v7, vcc
; %bb.2116:
	s_or_b64 exec, exec, s[4:5]
	v_lshrrev_b32_e32 v2, 24, v2
	s_movk_i32 s4, 0x80
	v_and_or_b32 v2, v2, s4, v3
	global_store_byte v[4:5], v2, off
.LBB249_2117:
	s_mov_b64 s[4:5], 0
.LBB249_2118:
	s_andn2_b64 vcc, exec, s[4:5]
	s_cbranch_vccnz .LBB249_2128
; %bb.2119:
	v_cvt_f32_f64_e32 v2, v[0:1]
	v_and_b32_e32 v6, 0x7fffffff, v2
	s_mov_b32 s4, 0x47800000
	v_cmp_gt_u32_e32 vcc, s4, v6
                                        ; implicit-def: $vgpr3
	s_and_saveexec_b64 s[4:5], vcc
	s_xor_b64 s[4:5], exec, s[4:5]
	s_cbranch_execz .LBB249_2125
; %bb.2120:
	s_mov_b32 s6, 0x387fffff
	v_cmp_lt_u32_e32 vcc, s6, v6
                                        ; implicit-def: $vgpr3
	s_and_saveexec_b64 s[6:7], vcc
	s_xor_b64 s[6:7], exec, s[6:7]
; %bb.2121:
	v_bfe_u32 v3, v2, 21, 1
	s_mov_b32 s8, 0x80fffff
	v_add3_u32 v3, v2, v3, s8
	v_lshrrev_b32_e32 v3, 21, v3
; %bb.2122:
	s_andn2_saveexec_b64 s[6:7], s[6:7]
; %bb.2123:
	s_mov_b32 s8, 0x43000000
	v_add_f32_e64 v3, |v2|, s8
; %bb.2124:
	s_or_b64 exec, exec, s[6:7]
                                        ; implicit-def: $vgpr6
.LBB249_2125:
	s_andn2_saveexec_b64 s[4:5], s[4:5]
; %bb.2126:
	s_mov_b32 s6, 0x7f800000
	v_mov_b32_e32 v3, 0x7c
	v_mov_b32_e32 v7, 0x7f
	v_cmp_lt_u32_e32 vcc, s6, v6
	s_nop 1
	v_cndmask_b32_e32 v3, v3, v7, vcc
; %bb.2127:
	s_or_b64 exec, exec, s[4:5]
	v_lshrrev_b32_e32 v2, 24, v2
	s_movk_i32 s4, 0x80
	v_and_or_b32 v2, v2, s4, v3
	global_store_byte v[4:5], v2, off
.LBB249_2128:
	s_mov_b64 s[4:5], 0
.LBB249_2129:
	s_andn2_b64 vcc, exec, s[4:5]
	s_mov_b64 s[4:5], 0
	s_cbranch_vccnz .LBB249_2136
; %bb.2130:
	s_cmp_gt_i32 s12, 14
	s_mov_b64 s[6:7], -1
	s_cbranch_scc0 .LBB249_2134
; %bb.2131:
	s_cmp_eq_u32 s12, 15
	s_mov_b64 s[0:1], -1
	s_cbranch_scc0 .LBB249_2133
; %bb.2132:
	v_cvt_f32_f64_e32 v2, v[0:1]
	v_bfe_u32 v3, v2, 16, 1
	s_movk_i32 s0, 0x7fff
	v_add3_u32 v3, v2, v3, s0
	v_cmp_o_f32_e32 vcc, v2, v2
	v_mov_b32_e32 v2, 0x7fc0
	s_mov_b64 s[0:1], 0
	v_cndmask_b32_sdwa v2, v2, v3, vcc dst_sel:DWORD dst_unused:UNUSED_PAD src0_sel:DWORD src1_sel:WORD_1
	global_store_short v[4:5], v2, off
.LBB249_2133:
	s_mov_b64 s[6:7], 0
.LBB249_2134:
	s_and_b64 vcc, exec, s[6:7]
	s_cbranch_vccz .LBB249_2136
; %bb.2135:
	s_cmp_lg_u32 s12, 11
	s_mov_b64 s[4:5], -1
	s_cselect_b64 s[0:1], -1, 0
.LBB249_2136:
	s_and_b64 vcc, exec, s[0:1]
	s_cbranch_vccnz .LBB249_2158
.LBB249_2137:
	s_mov_b64 s[0:1], 0
	s_branch .LBB249_1543
.LBB249_2138:
	s_mov_b64 s[0:1], 0
                                        ; implicit-def: $vgpr4_vgpr5
                                        ; implicit-def: $sgpr14
                                        ; implicit-def: $vgpr0_vgpr1
	s_branch .LBB249_1542
.LBB249_2139:
	s_mov_b64 s[4:5], 0
	s_mov_b64 s[0:1], -1
	s_branch .LBB249_1543
.LBB249_2140:
	s_trap 2
	s_or_b64 s[2:3], s[2:3], exec
	s_cbranch_execz .LBB249_1653
	s_branch .LBB249_1654
.LBB249_2141:
	s_andn2_saveexec_b64 s[12:13], s[12:13]
	s_cbranch_execz .LBB249_1733
.LBB249_2142:
	s_mov_b32 s17, 0x46000000
	v_add_f32_e64 v3, |v2|, s17
	v_and_b32_e32 v3, 0xff, v3
	v_cmp_ne_u32_e32 vcc, 0, v3
	s_andn2_b64 s[10:11], s[10:11], exec
	s_and_b64 s[18:19], vcc, exec
	s_or_b64 s[10:11], s[10:11], s[18:19]
	s_or_b64 exec, exec, s[12:13]
	v_mov_b32_e32 v5, 0
	s_and_saveexec_b64 s[12:13], s[10:11]
	s_cbranch_execnz .LBB249_1734
	s_branch .LBB249_1735
.LBB249_2143:
	s_trap 2
	s_or_b64 s[2:3], s[2:3], exec
	s_cbranch_execz .LBB249_1781
	s_branch .LBB249_1782
.LBB249_2144:
	s_andn2_saveexec_b64 s[10:11], s[10:11]
	s_cbranch_execz .LBB249_1746
.LBB249_2145:
	s_mov_b32 s12, 0x42800000
	v_add_f32_e64 v3, |v2|, s12
	v_and_b32_e32 v3, 0xff, v3
	v_cmp_ne_u32_e32 vcc, 0, v3
	s_andn2_b64 s[8:9], s[8:9], exec
	s_and_b64 s[12:13], vcc, exec
	s_or_b64 s[8:9], s[8:9], s[12:13]
	s_or_b64 exec, exec, s[10:11]
	v_mov_b32_e32 v5, 0
	s_and_saveexec_b64 s[10:11], s[8:9]
	s_cbranch_execnz .LBB249_1747
	s_branch .LBB249_1748
.LBB249_2146:
	s_andn2_saveexec_b64 s[12:13], s[12:13]
	s_cbranch_execz .LBB249_1852
.LBB249_2147:
	s_mov_b32 s16, 0x46000000
	v_add_f32_e64 v3, |v2|, s16
	v_and_b32_e32 v3, 0xff, v3
	v_cmp_ne_u32_e32 vcc, 0, v3
	s_andn2_b64 s[10:11], s[10:11], exec
	s_and_b64 s[16:17], vcc, exec
	s_or_b64 s[10:11], s[10:11], s[16:17]
	s_or_b64 exec, exec, s[12:13]
	v_mov_b32_e32 v5, 0
	s_and_saveexec_b64 s[12:13], s[10:11]
	s_cbranch_execnz .LBB249_1853
	s_branch .LBB249_1854
.LBB249_2148:
	s_trap 2
	s_or_b64 s[2:3], s[2:3], exec
	s_cbranch_execz .LBB249_1900
	s_branch .LBB249_1901
.LBB249_2149:
	s_andn2_saveexec_b64 s[10:11], s[10:11]
	s_cbranch_execz .LBB249_1865
.LBB249_2150:
	s_mov_b32 s12, 0x42800000
	v_add_f32_e64 v3, |v2|, s12
	v_and_b32_e32 v3, 0xff, v3
	v_cmp_ne_u32_e32 vcc, 0, v3
	s_andn2_b64 s[8:9], s[8:9], exec
	s_and_b64 s[12:13], vcc, exec
	s_or_b64 s[8:9], s[8:9], s[12:13]
	s_or_b64 exec, exec, s[10:11]
	v_mov_b32_e32 v5, 0
	s_and_saveexec_b64 s[10:11], s[8:9]
	s_cbranch_execnz .LBB249_1866
	s_branch .LBB249_1867
.LBB249_2151:
	s_andn2_saveexec_b64 s[12:13], s[12:13]
	s_cbranch_execz .LBB249_1971
.LBB249_2152:
	s_mov_b32 s16, 0x46000000
	v_add_f32_e64 v3, |v2|, s16
	v_and_b32_e32 v3, 0xff, v3
	v_cmp_ne_u32_e32 vcc, 0, v3
	s_andn2_b64 s[10:11], s[10:11], exec
	s_and_b64 s[16:17], vcc, exec
	s_or_b64 s[10:11], s[10:11], s[16:17]
	s_or_b64 exec, exec, s[12:13]
	v_mov_b32_e32 v5, 0
	s_and_saveexec_b64 s[12:13], s[10:11]
	s_cbranch_execnz .LBB249_1972
	s_branch .LBB249_1973
.LBB249_2153:
	s_trap 2
	s_or_b64 s[2:3], s[2:3], exec
	s_cbranch_execz .LBB249_2019
	s_branch .LBB249_2020
.LBB249_2154:
	s_andn2_saveexec_b64 s[10:11], s[10:11]
	s_cbranch_execz .LBB249_1984
.LBB249_2155:
	s_mov_b32 s12, 0x42800000
	v_add_f32_e64 v3, |v2|, s12
	v_and_b32_e32 v3, 0xff, v3
	v_cmp_ne_u32_e32 vcc, 0, v3
	s_andn2_b64 s[8:9], s[8:9], exec
	s_and_b64 s[12:13], vcc, exec
	s_or_b64 s[8:9], s[8:9], s[12:13]
	s_or_b64 exec, exec, s[10:11]
	v_mov_b32_e32 v5, 0
	s_and_saveexec_b64 s[10:11], s[8:9]
	s_cbranch_execnz .LBB249_1985
	s_branch .LBB249_1986
.LBB249_2156:
	s_andn2_saveexec_b64 s[10:11], s[10:11]
	s_cbranch_execz .LBB249_2091
.LBB249_2157:
	s_mov_b32 s13, 0x46000000
	v_add_f32_e64 v3, |v2|, s13
	v_and_b32_e32 v3, 0xff, v3
	v_cmp_ne_u32_e32 vcc, 0, v3
	s_andn2_b64 s[8:9], s[8:9], exec
	s_and_b64 s[16:17], vcc, exec
	s_or_b64 s[8:9], s[8:9], s[16:17]
	s_or_b64 exec, exec, s[10:11]
	v_mov_b32_e32 v6, 0
	s_and_saveexec_b64 s[10:11], s[8:9]
	s_cbranch_execnz .LBB249_2092
	s_branch .LBB249_2093
.LBB249_2158:
	s_mov_b64 s[4:5], 0
	s_or_b64 s[2:3], s[2:3], exec
	s_trap 2
	s_branch .LBB249_2137
.LBB249_2159:
	s_andn2_saveexec_b64 s[8:9], s[8:9]
	s_cbranch_execz .LBB249_2103
.LBB249_2160:
	s_mov_b32 s10, 0x42800000
	v_add_f32_e64 v3, |v2|, s10
	v_and_b32_e32 v3, 0xff, v3
	v_cmp_ne_u32_e32 vcc, 0, v3
	s_andn2_b64 s[6:7], s[6:7], exec
	s_and_b64 s[10:11], vcc, exec
	s_or_b64 s[6:7], s[6:7], s[10:11]
	s_or_b64 exec, exec, s[8:9]
	v_mov_b32_e32 v6, 0
	s_and_saveexec_b64 s[8:9], s[6:7]
	s_cbranch_execnz .LBB249_2104
	s_branch .LBB249_2105
	.section	.rodata,"a",@progbits
	.p2align	6, 0x0
	.amdhsa_kernel _ZN2at6native32elementwise_kernel_manual_unrollILi128ELi4EZNS0_15gpu_kernel_implIZZZNS0_16sqrt_kernel_cudaERNS_18TensorIteratorBaseEENKUlvE0_clEvENKUlvE_clEvEUldE_EEvS4_RKT_EUlibE0_EEviT1_
		.amdhsa_group_segment_fixed_size 0
		.amdhsa_private_segment_fixed_size 0
		.amdhsa_kernarg_size 360
		.amdhsa_user_sgpr_count 2
		.amdhsa_user_sgpr_dispatch_ptr 0
		.amdhsa_user_sgpr_queue_ptr 0
		.amdhsa_user_sgpr_kernarg_segment_ptr 1
		.amdhsa_user_sgpr_dispatch_id 0
		.amdhsa_user_sgpr_kernarg_preload_length 0
		.amdhsa_user_sgpr_kernarg_preload_offset 0
		.amdhsa_user_sgpr_private_segment_size 0
		.amdhsa_uses_dynamic_stack 0
		.amdhsa_enable_private_segment 0
		.amdhsa_system_sgpr_workgroup_id_x 1
		.amdhsa_system_sgpr_workgroup_id_y 0
		.amdhsa_system_sgpr_workgroup_id_z 0
		.amdhsa_system_sgpr_workgroup_info 0
		.amdhsa_system_vgpr_workitem_id 0
		.amdhsa_next_free_vgpr 26
		.amdhsa_next_free_sgpr 78
		.amdhsa_accum_offset 28
		.amdhsa_reserve_vcc 1
		.amdhsa_float_round_mode_32 0
		.amdhsa_float_round_mode_16_64 0
		.amdhsa_float_denorm_mode_32 3
		.amdhsa_float_denorm_mode_16_64 3
		.amdhsa_dx10_clamp 1
		.amdhsa_ieee_mode 1
		.amdhsa_fp16_overflow 0
		.amdhsa_tg_split 0
		.amdhsa_exception_fp_ieee_invalid_op 0
		.amdhsa_exception_fp_denorm_src 0
		.amdhsa_exception_fp_ieee_div_zero 0
		.amdhsa_exception_fp_ieee_overflow 0
		.amdhsa_exception_fp_ieee_underflow 0
		.amdhsa_exception_fp_ieee_inexact 0
		.amdhsa_exception_int_div_zero 0
	.end_amdhsa_kernel
	.section	.text._ZN2at6native32elementwise_kernel_manual_unrollILi128ELi4EZNS0_15gpu_kernel_implIZZZNS0_16sqrt_kernel_cudaERNS_18TensorIteratorBaseEENKUlvE0_clEvENKUlvE_clEvEUldE_EEvS4_RKT_EUlibE0_EEviT1_,"axG",@progbits,_ZN2at6native32elementwise_kernel_manual_unrollILi128ELi4EZNS0_15gpu_kernel_implIZZZNS0_16sqrt_kernel_cudaERNS_18TensorIteratorBaseEENKUlvE0_clEvENKUlvE_clEvEUldE_EEvS4_RKT_EUlibE0_EEviT1_,comdat
.Lfunc_end249:
	.size	_ZN2at6native32elementwise_kernel_manual_unrollILi128ELi4EZNS0_15gpu_kernel_implIZZZNS0_16sqrt_kernel_cudaERNS_18TensorIteratorBaseEENKUlvE0_clEvENKUlvE_clEvEUldE_EEvS4_RKT_EUlibE0_EEviT1_, .Lfunc_end249-_ZN2at6native32elementwise_kernel_manual_unrollILi128ELi4EZNS0_15gpu_kernel_implIZZZNS0_16sqrt_kernel_cudaERNS_18TensorIteratorBaseEENKUlvE0_clEvENKUlvE_clEvEUldE_EEvS4_RKT_EUlibE0_EEviT1_
                                        ; -- End function
	.set _ZN2at6native32elementwise_kernel_manual_unrollILi128ELi4EZNS0_15gpu_kernel_implIZZZNS0_16sqrt_kernel_cudaERNS_18TensorIteratorBaseEENKUlvE0_clEvENKUlvE_clEvEUldE_EEvS4_RKT_EUlibE0_EEviT1_.num_vgpr, 26
	.set _ZN2at6native32elementwise_kernel_manual_unrollILi128ELi4EZNS0_15gpu_kernel_implIZZZNS0_16sqrt_kernel_cudaERNS_18TensorIteratorBaseEENKUlvE0_clEvENKUlvE_clEvEUldE_EEvS4_RKT_EUlibE0_EEviT1_.num_agpr, 0
	.set _ZN2at6native32elementwise_kernel_manual_unrollILi128ELi4EZNS0_15gpu_kernel_implIZZZNS0_16sqrt_kernel_cudaERNS_18TensorIteratorBaseEENKUlvE0_clEvENKUlvE_clEvEUldE_EEvS4_RKT_EUlibE0_EEviT1_.numbered_sgpr, 78
	.set _ZN2at6native32elementwise_kernel_manual_unrollILi128ELi4EZNS0_15gpu_kernel_implIZZZNS0_16sqrt_kernel_cudaERNS_18TensorIteratorBaseEENKUlvE0_clEvENKUlvE_clEvEUldE_EEvS4_RKT_EUlibE0_EEviT1_.num_named_barrier, 0
	.set _ZN2at6native32elementwise_kernel_manual_unrollILi128ELi4EZNS0_15gpu_kernel_implIZZZNS0_16sqrt_kernel_cudaERNS_18TensorIteratorBaseEENKUlvE0_clEvENKUlvE_clEvEUldE_EEvS4_RKT_EUlibE0_EEviT1_.private_seg_size, 0
	.set _ZN2at6native32elementwise_kernel_manual_unrollILi128ELi4EZNS0_15gpu_kernel_implIZZZNS0_16sqrt_kernel_cudaERNS_18TensorIteratorBaseEENKUlvE0_clEvENKUlvE_clEvEUldE_EEvS4_RKT_EUlibE0_EEviT1_.uses_vcc, 1
	.set _ZN2at6native32elementwise_kernel_manual_unrollILi128ELi4EZNS0_15gpu_kernel_implIZZZNS0_16sqrt_kernel_cudaERNS_18TensorIteratorBaseEENKUlvE0_clEvENKUlvE_clEvEUldE_EEvS4_RKT_EUlibE0_EEviT1_.uses_flat_scratch, 0
	.set _ZN2at6native32elementwise_kernel_manual_unrollILi128ELi4EZNS0_15gpu_kernel_implIZZZNS0_16sqrt_kernel_cudaERNS_18TensorIteratorBaseEENKUlvE0_clEvENKUlvE_clEvEUldE_EEvS4_RKT_EUlibE0_EEviT1_.has_dyn_sized_stack, 0
	.set _ZN2at6native32elementwise_kernel_manual_unrollILi128ELi4EZNS0_15gpu_kernel_implIZZZNS0_16sqrt_kernel_cudaERNS_18TensorIteratorBaseEENKUlvE0_clEvENKUlvE_clEvEUldE_EEvS4_RKT_EUlibE0_EEviT1_.has_recursion, 0
	.set _ZN2at6native32elementwise_kernel_manual_unrollILi128ELi4EZNS0_15gpu_kernel_implIZZZNS0_16sqrt_kernel_cudaERNS_18TensorIteratorBaseEENKUlvE0_clEvENKUlvE_clEvEUldE_EEvS4_RKT_EUlibE0_EEviT1_.has_indirect_call, 0
	.section	.AMDGPU.csdata,"",@progbits
; Kernel info:
; codeLenInByte = 42368
; TotalNumSgprs: 84
; NumVgprs: 26
; NumAgprs: 0
; TotalNumVgprs: 26
; ScratchSize: 0
; MemoryBound: 1
; FloatMode: 240
; IeeeMode: 1
; LDSByteSize: 0 bytes/workgroup (compile time only)
; SGPRBlocks: 10
; VGPRBlocks: 3
; NumSGPRsForWavesPerEU: 84
; NumVGPRsForWavesPerEU: 26
; AccumOffset: 28
; Occupancy: 8
; WaveLimiterHint : 1
; COMPUTE_PGM_RSRC2:SCRATCH_EN: 0
; COMPUTE_PGM_RSRC2:USER_SGPR: 2
; COMPUTE_PGM_RSRC2:TRAP_HANDLER: 0
; COMPUTE_PGM_RSRC2:TGID_X_EN: 1
; COMPUTE_PGM_RSRC2:TGID_Y_EN: 0
; COMPUTE_PGM_RSRC2:TGID_Z_EN: 0
; COMPUTE_PGM_RSRC2:TIDIG_COMP_CNT: 0
; COMPUTE_PGM_RSRC3_GFX90A:ACCUM_OFFSET: 6
; COMPUTE_PGM_RSRC3_GFX90A:TG_SPLIT: 0
	.section	.text._ZN2at6native29vectorized_elementwise_kernelILi16EZZZNS0_16sqrt_kernel_cudaERNS_18TensorIteratorBaseEENKUlvE0_clEvENKUlvE0_clEvEUlfE_St5arrayIPcLm2EEEEviT0_T1_,"axG",@progbits,_ZN2at6native29vectorized_elementwise_kernelILi16EZZZNS0_16sqrt_kernel_cudaERNS_18TensorIteratorBaseEENKUlvE0_clEvENKUlvE0_clEvEUlfE_St5arrayIPcLm2EEEEviT0_T1_,comdat
	.globl	_ZN2at6native29vectorized_elementwise_kernelILi16EZZZNS0_16sqrt_kernel_cudaERNS_18TensorIteratorBaseEENKUlvE0_clEvENKUlvE0_clEvEUlfE_St5arrayIPcLm2EEEEviT0_T1_ ; -- Begin function _ZN2at6native29vectorized_elementwise_kernelILi16EZZZNS0_16sqrt_kernel_cudaERNS_18TensorIteratorBaseEENKUlvE0_clEvENKUlvE0_clEvEUlfE_St5arrayIPcLm2EEEEviT0_T1_
	.p2align	8
	.type	_ZN2at6native29vectorized_elementwise_kernelILi16EZZZNS0_16sqrt_kernel_cudaERNS_18TensorIteratorBaseEENKUlvE0_clEvENKUlvE0_clEvEUlfE_St5arrayIPcLm2EEEEviT0_T1_,@function
_ZN2at6native29vectorized_elementwise_kernelILi16EZZZNS0_16sqrt_kernel_cudaERNS_18TensorIteratorBaseEENKUlvE0_clEvENKUlvE0_clEvEUlfE_St5arrayIPcLm2EEEEviT0_T1_: ; @_ZN2at6native29vectorized_elementwise_kernelILi16EZZZNS0_16sqrt_kernel_cudaERNS_18TensorIteratorBaseEENKUlvE0_clEvENKUlvE0_clEvEUlfE_St5arrayIPcLm2EEEEviT0_T1_
; %bb.0:
	s_load_dword s3, s[0:1], 0x0
	s_load_dwordx4 s[8:11], s[0:1], 0x8
	s_lshl_b32 s12, s2, 10
	s_mov_b64 s[0:1], -1
	s_waitcnt lgkmcnt(0)
	s_sub_i32 s14, s3, s12
	s_cmpk_gt_i32 s14, 0x3ff
	s_cbranch_scc0 .LBB250_2
; %bb.1:
	s_ashr_i32 s13, s12, 31
	s_lshl_b64 s[0:1], s[12:13], 2
	s_add_u32 s2, s10, s0
	s_addc_u32 s3, s11, s1
	v_lshlrev_b32_e32 v1, 4, v0
	global_load_dwordx4 v[2:5], v1, s[2:3]
	s_mov_b32 s4, 0xf800000
	s_add_u32 s16, s8, s0
	s_addc_u32 s17, s9, s1
	v_mov_b32_e32 v6, 0x260
	s_waitcnt vmcnt(0)
	v_mul_f32_e32 v7, 0x4f800000, v2
	v_cmp_gt_f32_e32 vcc, s4, v2
	v_mul_f32_e32 v8, 0x4f800000, v3
	v_cmp_gt_f32_e64 s[0:1], s4, v3
	v_cndmask_b32_e32 v2, v2, v7, vcc
	v_mul_f32_e32 v9, 0x4f800000, v4
	v_cndmask_b32_e64 v3, v3, v8, s[0:1]
	v_cmp_gt_f32_e64 s[2:3], s4, v4
	v_sqrt_f32_e32 v7, v2
	v_mul_f32_e32 v10, 0x4f800000, v5
	v_cndmask_b32_e64 v4, v4, v9, s[2:3]
	v_cmp_gt_f32_e64 s[4:5], s4, v5
	v_sqrt_f32_e32 v8, v3
	v_sqrt_f32_e32 v9, v4
	v_cndmask_b32_e64 v5, v5, v10, s[4:5]
	v_sqrt_f32_e32 v10, v5
	v_add_u32_e32 v11, -1, v7
	v_add_u32_e32 v13, -1, v8
	v_fma_f32 v19, -v11, v7, v2
	v_add_u32_e32 v12, 1, v7
	v_add_u32_e32 v15, -1, v9
	v_fma_f32 v21, -v13, v8, v3
	v_cmp_ge_f32_e64 s[6:7], 0, v19
	v_add_u32_e32 v14, 1, v8
	v_add_u32_e32 v17, -1, v10
	v_fma_f32 v20, -v12, v7, v2
	v_fma_f32 v23, -v15, v9, v4
	v_cndmask_b32_e64 v7, v7, v11, s[6:7]
	v_cmp_ge_f32_e64 s[6:7], 0, v21
	v_add_u32_e32 v16, 1, v9
	v_fma_f32 v22, -v14, v8, v3
	v_fma_f32 v25, -v17, v10, v5
	v_cndmask_b32_e64 v8, v8, v13, s[6:7]
	v_cmp_ge_f32_e64 s[6:7], 0, v23
	v_add_u32_e32 v18, 1, v10
	v_fma_f32 v24, -v16, v9, v4
	v_cndmask_b32_e64 v9, v9, v15, s[6:7]
	v_cmp_ge_f32_e64 s[6:7], 0, v25
	v_fma_f32 v26, -v18, v10, v5
	s_nop 0
	v_cndmask_b32_e64 v10, v10, v17, s[6:7]
	v_cmp_lt_f32_e64 s[6:7], 0, v20
	s_nop 1
	v_cndmask_b32_e64 v7, v7, v12, s[6:7]
	v_cmp_lt_f32_e64 s[6:7], 0, v22
	v_mul_f32_e32 v11, 0x37800000, v7
	v_cndmask_b32_e32 v7, v7, v11, vcc
	v_cndmask_b32_e64 v8, v8, v14, s[6:7]
	v_cmp_lt_f32_e64 s[6:7], 0, v24
	v_mul_f32_e32 v12, 0x37800000, v8
	v_cmp_class_f32_e32 vcc, v2, v6
	v_cndmask_b32_e64 v9, v9, v16, s[6:7]
	v_cmp_lt_f32_e64 s[6:7], 0, v26
	v_mul_f32_e32 v13, 0x37800000, v9
	v_cndmask_b32_e64 v8, v8, v12, s[0:1]
	v_cndmask_b32_e64 v10, v10, v18, s[6:7]
	v_cndmask_b32_e32 v2, v7, v2, vcc
	v_cmp_class_f32_e32 vcc, v3, v6
	v_mul_f32_e32 v14, 0x37800000, v10
	v_cndmask_b32_e64 v9, v9, v13, s[2:3]
	v_cndmask_b32_e32 v3, v8, v3, vcc
	v_cmp_class_f32_e32 vcc, v4, v6
	v_cndmask_b32_e64 v10, v10, v14, s[4:5]
	s_mov_b64 s[0:1], 0
	v_cndmask_b32_e32 v4, v9, v4, vcc
	v_cmp_class_f32_e32 vcc, v5, v6
	s_nop 1
	v_cndmask_b32_e32 v5, v10, v5, vcc
	global_store_dwordx4 v1, v[2:5], s[16:17]
.LBB250_2:
	s_andn2_b64 vcc, exec, s[0:1]
	s_cbranch_vccnz .LBB250_16
; %bb.3:
	v_cmp_gt_i32_e32 vcc, s14, v0
	v_mov_b32_e32 v1, 0
	v_or_b32_e32 v2, s12, v0
	v_mov_b32_e32 v3, 0
	v_mov_b32_e32 v4, v0
	s_and_saveexec_b64 s[4:5], vcc
	s_cbranch_execz .LBB250_5
; %bb.4:
	v_mov_b32_e32 v3, 0
	v_lshl_add_u64 v[4:5], v[2:3], 2, s[10:11]
	global_load_dword v3, v[4:5], off
	s_mov_b32 s0, 0xf800000
	v_mov_b32_e32 v6, 0x260
	s_waitcnt vmcnt(0)
	v_mul_f32_e32 v4, 0x4f800000, v3
	v_cmp_gt_f32_e64 s[0:1], s0, v3
	s_nop 1
	v_cndmask_b32_e64 v3, v3, v4, s[0:1]
	v_sqrt_f32_e32 v5, v3
	v_or_b32_e32 v4, 0x100, v0
	v_add_u32_e32 v7, -1, v5
	v_add_u32_e32 v8, 1, v5
	v_fma_f32 v9, -v7, v5, v3
	v_fma_f32 v10, -v8, v5, v3
	v_cmp_ge_f32_e64 s[2:3], 0, v9
	s_nop 1
	v_cndmask_b32_e64 v5, v5, v7, s[2:3]
	v_cmp_lt_f32_e64 s[2:3], 0, v10
	s_nop 1
	v_cndmask_b32_e64 v5, v5, v8, s[2:3]
	v_mul_f32_e32 v7, 0x37800000, v5
	v_cndmask_b32_e64 v5, v5, v7, s[0:1]
	v_cmp_class_f32_e64 s[0:1], v3, v6
	s_nop 1
	v_cndmask_b32_e64 v3, v5, v3, s[0:1]
.LBB250_5:
	s_or_b64 exec, exec, s[4:5]
	v_cmp_gt_i32_e64 s[0:1], s14, v4
	s_and_saveexec_b64 s[4:5], s[0:1]
	s_cbranch_execz .LBB250_7
; %bb.6:
	v_add_u32_e32 v6, s12, v4
	v_mov_b32_e32 v7, 0
	v_lshl_add_u64 v[6:7], v[6:7], 2, s[10:11]
	global_load_dword v1, v[6:7], off
	s_mov_b32 s0, 0xf800000
	v_mov_b32_e32 v6, 0x260
	v_add_u32_e32 v4, 0x100, v4
	s_waitcnt vmcnt(0)
	v_mul_f32_e32 v5, 0x4f800000, v1
	v_cmp_gt_f32_e64 s[0:1], s0, v1
	s_nop 1
	v_cndmask_b32_e64 v1, v1, v5, s[0:1]
	v_sqrt_f32_e32 v5, v1
	s_nop 0
	v_add_u32_e32 v7, -1, v5
	v_add_u32_e32 v8, 1, v5
	v_fma_f32 v9, -v7, v5, v1
	v_fma_f32 v10, -v8, v5, v1
	v_cmp_ge_f32_e64 s[2:3], 0, v9
	s_nop 1
	v_cndmask_b32_e64 v5, v5, v7, s[2:3]
	v_cmp_lt_f32_e64 s[2:3], 0, v10
	s_nop 1
	v_cndmask_b32_e64 v5, v5, v8, s[2:3]
	v_mul_f32_e32 v7, 0x37800000, v5
	v_cndmask_b32_e64 v5, v5, v7, s[0:1]
	v_cmp_class_f32_e64 s[0:1], v1, v6
	s_nop 1
	v_cndmask_b32_e64 v1, v5, v1, s[0:1]
.LBB250_7:
	s_or_b64 exec, exec, s[4:5]
	v_cmp_gt_i32_e64 s[0:1], s14, v4
	v_mov_b32_e32 v5, 0
	v_mov_b32_e32 v6, 0
	s_and_saveexec_b64 s[4:5], s[0:1]
	s_cbranch_execz .LBB250_9
; %bb.8:
	v_add_u32_e32 v6, s12, v4
	v_mov_b32_e32 v7, 0
	v_lshl_add_u64 v[6:7], v[6:7], 2, s[10:11]
	global_load_dword v6, v[6:7], off
	s_mov_b32 s0, 0xf800000
	v_mov_b32_e32 v8, 0x260
	v_add_u32_e32 v4, 0x100, v4
	s_waitcnt vmcnt(0)
	v_mul_f32_e32 v7, 0x4f800000, v6
	v_cmp_gt_f32_e64 s[0:1], s0, v6
	s_nop 1
	v_cndmask_b32_e64 v6, v6, v7, s[0:1]
	v_sqrt_f32_e32 v7, v6
	s_nop 0
	v_add_u32_e32 v9, -1, v7
	v_add_u32_e32 v10, 1, v7
	v_fma_f32 v11, -v9, v7, v6
	v_fma_f32 v12, -v10, v7, v6
	v_cmp_ge_f32_e64 s[2:3], 0, v11
	s_nop 1
	v_cndmask_b32_e64 v7, v7, v9, s[2:3]
	v_cmp_lt_f32_e64 s[2:3], 0, v12
	s_nop 1
	v_cndmask_b32_e64 v7, v7, v10, s[2:3]
	v_mul_f32_e32 v9, 0x37800000, v7
	v_cndmask_b32_e64 v7, v7, v9, s[0:1]
	v_cmp_class_f32_e64 s[0:1], v6, v8
	s_nop 1
	v_cndmask_b32_e64 v6, v7, v6, s[0:1]
.LBB250_9:
	s_or_b64 exec, exec, s[4:5]
	v_cmp_gt_i32_e64 s[0:1], s14, v4
	s_and_saveexec_b64 s[4:5], s[0:1]
	s_cbranch_execz .LBB250_11
; %bb.10:
	v_add_u32_e32 v4, s12, v4
	v_mov_b32_e32 v5, 0
	v_lshl_add_u64 v[4:5], v[4:5], 2, s[10:11]
	global_load_dword v4, v[4:5], off
	s_mov_b32 s0, 0xf800000
	v_mov_b32_e32 v7, 0x260
	s_waitcnt vmcnt(0)
	v_mul_f32_e32 v5, 0x4f800000, v4
	v_cmp_gt_f32_e64 s[0:1], s0, v4
	s_nop 1
	v_cndmask_b32_e64 v4, v4, v5, s[0:1]
	v_sqrt_f32_e32 v5, v4
	s_nop 0
	v_add_u32_e32 v8, -1, v5
	v_add_u32_e32 v9, 1, v5
	v_fma_f32 v10, -v8, v5, v4
	v_fma_f32 v11, -v9, v5, v4
	v_cmp_ge_f32_e64 s[2:3], 0, v10
	s_nop 1
	v_cndmask_b32_e64 v5, v5, v8, s[2:3]
	v_cmp_lt_f32_e64 s[2:3], 0, v11
	s_nop 1
	v_cndmask_b32_e64 v5, v5, v9, s[2:3]
	v_mul_f32_e32 v8, 0x37800000, v5
	v_cndmask_b32_e64 v5, v5, v8, s[0:1]
	v_cmp_class_f32_e64 s[0:1], v4, v7
	s_nop 1
	v_cndmask_b32_e64 v5, v5, v4, s[0:1]
.LBB250_11:
	s_or_b64 exec, exec, s[4:5]
	v_or_b32_e32 v8, 0x100, v0
	v_cmp_gt_i32_e64 s[0:1], s14, v8
	v_cndmask_b32_e32 v9, 0, v3, vcc
	s_nop 0
	v_cndmask_b32_e64 v7, 0, v1, s[0:1]
	v_or_b32_e32 v1, 0x200, v0
	v_cmp_gt_i32_e64 s[0:1], s14, v1
	v_or_b32_e32 v1, 0x300, v0
	s_nop 0
	v_cndmask_b32_e64 v4, 0, v6, s[0:1]
	v_cmp_gt_i32_e64 s[0:1], s14, v1
	s_nop 1
	v_cndmask_b32_e64 v1, 0, v5, s[0:1]
	s_and_saveexec_b64 s[0:1], vcc
	s_cbranch_execnz .LBB250_17
; %bb.12:
	s_or_b64 exec, exec, s[0:1]
	v_cmp_gt_i32_e32 vcc, s14, v0
	s_and_saveexec_b64 s[0:1], vcc
	s_cbranch_execnz .LBB250_18
.LBB250_13:
	s_or_b64 exec, exec, s[0:1]
	v_cmp_gt_i32_e32 vcc, s14, v0
	s_and_saveexec_b64 s[0:1], vcc
	s_cbranch_execnz .LBB250_19
.LBB250_14:
	s_or_b64 exec, exec, s[0:1]
	v_cmp_gt_i32_e32 vcc, s14, v0
	s_and_saveexec_b64 s[0:1], vcc
	s_cbranch_execz .LBB250_16
.LBB250_15:
	v_add_u32_e32 v2, s12, v0
	v_mov_b32_e32 v3, 0
	v_lshl_add_u64 v[2:3], v[2:3], 2, s[8:9]
	global_store_dword v[2:3], v1, off
.LBB250_16:
	s_endpgm
.LBB250_17:
	v_mov_b32_e32 v3, 0
	v_lshl_add_u64 v[2:3], v[2:3], 2, s[8:9]
	v_mov_b32_e32 v0, v8
	global_store_dword v[2:3], v9, off
	s_or_b64 exec, exec, s[0:1]
	v_cmp_gt_i32_e32 vcc, s14, v0
	s_and_saveexec_b64 s[0:1], vcc
	s_cbranch_execz .LBB250_13
.LBB250_18:
	v_add_u32_e32 v2, s12, v0
	v_mov_b32_e32 v3, 0
	v_lshl_add_u64 v[2:3], v[2:3], 2, s[8:9]
	v_add_u32_e32 v0, 0x100, v0
	global_store_dword v[2:3], v7, off
	s_or_b64 exec, exec, s[0:1]
	v_cmp_gt_i32_e32 vcc, s14, v0
	s_and_saveexec_b64 s[0:1], vcc
	s_cbranch_execz .LBB250_14
.LBB250_19:
	v_add_u32_e32 v2, s12, v0
	v_mov_b32_e32 v3, 0
	v_lshl_add_u64 v[2:3], v[2:3], 2, s[8:9]
	v_add_u32_e32 v0, 0x100, v0
	global_store_dword v[2:3], v4, off
	s_or_b64 exec, exec, s[0:1]
	v_cmp_gt_i32_e32 vcc, s14, v0
	s_and_saveexec_b64 s[0:1], vcc
	s_cbranch_execnz .LBB250_15
	s_branch .LBB250_16
	.section	.rodata,"a",@progbits
	.p2align	6, 0x0
	.amdhsa_kernel _ZN2at6native29vectorized_elementwise_kernelILi16EZZZNS0_16sqrt_kernel_cudaERNS_18TensorIteratorBaseEENKUlvE0_clEvENKUlvE0_clEvEUlfE_St5arrayIPcLm2EEEEviT0_T1_
		.amdhsa_group_segment_fixed_size 0
		.amdhsa_private_segment_fixed_size 0
		.amdhsa_kernarg_size 24
		.amdhsa_user_sgpr_count 2
		.amdhsa_user_sgpr_dispatch_ptr 0
		.amdhsa_user_sgpr_queue_ptr 0
		.amdhsa_user_sgpr_kernarg_segment_ptr 1
		.amdhsa_user_sgpr_dispatch_id 0
		.amdhsa_user_sgpr_kernarg_preload_length 0
		.amdhsa_user_sgpr_kernarg_preload_offset 0
		.amdhsa_user_sgpr_private_segment_size 0
		.amdhsa_uses_dynamic_stack 0
		.amdhsa_enable_private_segment 0
		.amdhsa_system_sgpr_workgroup_id_x 1
		.amdhsa_system_sgpr_workgroup_id_y 0
		.amdhsa_system_sgpr_workgroup_id_z 0
		.amdhsa_system_sgpr_workgroup_info 0
		.amdhsa_system_vgpr_workitem_id 0
		.amdhsa_next_free_vgpr 27
		.amdhsa_next_free_sgpr 18
		.amdhsa_accum_offset 28
		.amdhsa_reserve_vcc 1
		.amdhsa_float_round_mode_32 0
		.amdhsa_float_round_mode_16_64 0
		.amdhsa_float_denorm_mode_32 3
		.amdhsa_float_denorm_mode_16_64 3
		.amdhsa_dx10_clamp 1
		.amdhsa_ieee_mode 1
		.amdhsa_fp16_overflow 0
		.amdhsa_tg_split 0
		.amdhsa_exception_fp_ieee_invalid_op 0
		.amdhsa_exception_fp_denorm_src 0
		.amdhsa_exception_fp_ieee_div_zero 0
		.amdhsa_exception_fp_ieee_overflow 0
		.amdhsa_exception_fp_ieee_underflow 0
		.amdhsa_exception_fp_ieee_inexact 0
		.amdhsa_exception_int_div_zero 0
	.end_amdhsa_kernel
	.section	.text._ZN2at6native29vectorized_elementwise_kernelILi16EZZZNS0_16sqrt_kernel_cudaERNS_18TensorIteratorBaseEENKUlvE0_clEvENKUlvE0_clEvEUlfE_St5arrayIPcLm2EEEEviT0_T1_,"axG",@progbits,_ZN2at6native29vectorized_elementwise_kernelILi16EZZZNS0_16sqrt_kernel_cudaERNS_18TensorIteratorBaseEENKUlvE0_clEvENKUlvE0_clEvEUlfE_St5arrayIPcLm2EEEEviT0_T1_,comdat
.Lfunc_end250:
	.size	_ZN2at6native29vectorized_elementwise_kernelILi16EZZZNS0_16sqrt_kernel_cudaERNS_18TensorIteratorBaseEENKUlvE0_clEvENKUlvE0_clEvEUlfE_St5arrayIPcLm2EEEEviT0_T1_, .Lfunc_end250-_ZN2at6native29vectorized_elementwise_kernelILi16EZZZNS0_16sqrt_kernel_cudaERNS_18TensorIteratorBaseEENKUlvE0_clEvENKUlvE0_clEvEUlfE_St5arrayIPcLm2EEEEviT0_T1_
                                        ; -- End function
	.set _ZN2at6native29vectorized_elementwise_kernelILi16EZZZNS0_16sqrt_kernel_cudaERNS_18TensorIteratorBaseEENKUlvE0_clEvENKUlvE0_clEvEUlfE_St5arrayIPcLm2EEEEviT0_T1_.num_vgpr, 27
	.set _ZN2at6native29vectorized_elementwise_kernelILi16EZZZNS0_16sqrt_kernel_cudaERNS_18TensorIteratorBaseEENKUlvE0_clEvENKUlvE0_clEvEUlfE_St5arrayIPcLm2EEEEviT0_T1_.num_agpr, 0
	.set _ZN2at6native29vectorized_elementwise_kernelILi16EZZZNS0_16sqrt_kernel_cudaERNS_18TensorIteratorBaseEENKUlvE0_clEvENKUlvE0_clEvEUlfE_St5arrayIPcLm2EEEEviT0_T1_.numbered_sgpr, 18
	.set _ZN2at6native29vectorized_elementwise_kernelILi16EZZZNS0_16sqrt_kernel_cudaERNS_18TensorIteratorBaseEENKUlvE0_clEvENKUlvE0_clEvEUlfE_St5arrayIPcLm2EEEEviT0_T1_.num_named_barrier, 0
	.set _ZN2at6native29vectorized_elementwise_kernelILi16EZZZNS0_16sqrt_kernel_cudaERNS_18TensorIteratorBaseEENKUlvE0_clEvENKUlvE0_clEvEUlfE_St5arrayIPcLm2EEEEviT0_T1_.private_seg_size, 0
	.set _ZN2at6native29vectorized_elementwise_kernelILi16EZZZNS0_16sqrt_kernel_cudaERNS_18TensorIteratorBaseEENKUlvE0_clEvENKUlvE0_clEvEUlfE_St5arrayIPcLm2EEEEviT0_T1_.uses_vcc, 1
	.set _ZN2at6native29vectorized_elementwise_kernelILi16EZZZNS0_16sqrt_kernel_cudaERNS_18TensorIteratorBaseEENKUlvE0_clEvENKUlvE0_clEvEUlfE_St5arrayIPcLm2EEEEviT0_T1_.uses_flat_scratch, 0
	.set _ZN2at6native29vectorized_elementwise_kernelILi16EZZZNS0_16sqrt_kernel_cudaERNS_18TensorIteratorBaseEENKUlvE0_clEvENKUlvE0_clEvEUlfE_St5arrayIPcLm2EEEEviT0_T1_.has_dyn_sized_stack, 0
	.set _ZN2at6native29vectorized_elementwise_kernelILi16EZZZNS0_16sqrt_kernel_cudaERNS_18TensorIteratorBaseEENKUlvE0_clEvENKUlvE0_clEvEUlfE_St5arrayIPcLm2EEEEviT0_T1_.has_recursion, 0
	.set _ZN2at6native29vectorized_elementwise_kernelILi16EZZZNS0_16sqrt_kernel_cudaERNS_18TensorIteratorBaseEENKUlvE0_clEvENKUlvE0_clEvEUlfE_St5arrayIPcLm2EEEEviT0_T1_.has_indirect_call, 0
	.section	.AMDGPU.csdata,"",@progbits
; Kernel info:
; codeLenInByte = 1696
; TotalNumSgprs: 24
; NumVgprs: 27
; NumAgprs: 0
; TotalNumVgprs: 27
; ScratchSize: 0
; MemoryBound: 0
; FloatMode: 240
; IeeeMode: 1
; LDSByteSize: 0 bytes/workgroup (compile time only)
; SGPRBlocks: 2
; VGPRBlocks: 3
; NumSGPRsForWavesPerEU: 24
; NumVGPRsForWavesPerEU: 27
; AccumOffset: 28
; Occupancy: 8
; WaveLimiterHint : 0
; COMPUTE_PGM_RSRC2:SCRATCH_EN: 0
; COMPUTE_PGM_RSRC2:USER_SGPR: 2
; COMPUTE_PGM_RSRC2:TRAP_HANDLER: 0
; COMPUTE_PGM_RSRC2:TGID_X_EN: 1
; COMPUTE_PGM_RSRC2:TGID_Y_EN: 0
; COMPUTE_PGM_RSRC2:TGID_Z_EN: 0
; COMPUTE_PGM_RSRC2:TIDIG_COMP_CNT: 0
; COMPUTE_PGM_RSRC3_GFX90A:ACCUM_OFFSET: 6
; COMPUTE_PGM_RSRC3_GFX90A:TG_SPLIT: 0
	.section	.text._ZN2at6native29vectorized_elementwise_kernelILi8EZZZNS0_16sqrt_kernel_cudaERNS_18TensorIteratorBaseEENKUlvE0_clEvENKUlvE0_clEvEUlfE_St5arrayIPcLm2EEEEviT0_T1_,"axG",@progbits,_ZN2at6native29vectorized_elementwise_kernelILi8EZZZNS0_16sqrt_kernel_cudaERNS_18TensorIteratorBaseEENKUlvE0_clEvENKUlvE0_clEvEUlfE_St5arrayIPcLm2EEEEviT0_T1_,comdat
	.globl	_ZN2at6native29vectorized_elementwise_kernelILi8EZZZNS0_16sqrt_kernel_cudaERNS_18TensorIteratorBaseEENKUlvE0_clEvENKUlvE0_clEvEUlfE_St5arrayIPcLm2EEEEviT0_T1_ ; -- Begin function _ZN2at6native29vectorized_elementwise_kernelILi8EZZZNS0_16sqrt_kernel_cudaERNS_18TensorIteratorBaseEENKUlvE0_clEvENKUlvE0_clEvEUlfE_St5arrayIPcLm2EEEEviT0_T1_
	.p2align	8
	.type	_ZN2at6native29vectorized_elementwise_kernelILi8EZZZNS0_16sqrt_kernel_cudaERNS_18TensorIteratorBaseEENKUlvE0_clEvENKUlvE0_clEvEUlfE_St5arrayIPcLm2EEEEviT0_T1_,@function
_ZN2at6native29vectorized_elementwise_kernelILi8EZZZNS0_16sqrt_kernel_cudaERNS_18TensorIteratorBaseEENKUlvE0_clEvENKUlvE0_clEvEUlfE_St5arrayIPcLm2EEEEviT0_T1_: ; @_ZN2at6native29vectorized_elementwise_kernelILi8EZZZNS0_16sqrt_kernel_cudaERNS_18TensorIteratorBaseEENKUlvE0_clEvENKUlvE0_clEvEUlfE_St5arrayIPcLm2EEEEviT0_T1_
; %bb.0:
	s_load_dword s3, s[0:1], 0x0
	s_load_dwordx4 s[8:11], s[0:1], 0x8
	s_lshl_b32 s12, s2, 10
	s_mov_b64 s[0:1], -1
	s_waitcnt lgkmcnt(0)
	s_sub_i32 s14, s3, s12
	s_cmpk_gt_i32 s14, 0x3ff
	s_cbranch_scc0 .LBB251_2
; %bb.1:
	s_ashr_i32 s13, s12, 31
	s_lshl_b64 s[0:1], s[12:13], 2
	s_add_u32 s2, s10, s0
	s_addc_u32 s3, s11, s1
	v_lshlrev_b32_e32 v1, 4, v0
	global_load_dwordx4 v[2:5], v1, s[2:3]
	s_mov_b32 s4, 0xf800000
	s_add_u32 s16, s8, s0
	s_addc_u32 s17, s9, s1
	v_mov_b32_e32 v6, 0x260
	s_waitcnt vmcnt(0)
	v_mul_f32_e32 v7, 0x4f800000, v2
	v_cmp_gt_f32_e32 vcc, s4, v2
	v_mul_f32_e32 v8, 0x4f800000, v3
	v_cmp_gt_f32_e64 s[0:1], s4, v3
	v_cndmask_b32_e32 v2, v2, v7, vcc
	v_mul_f32_e32 v9, 0x4f800000, v4
	v_cndmask_b32_e64 v3, v3, v8, s[0:1]
	v_cmp_gt_f32_e64 s[2:3], s4, v4
	v_sqrt_f32_e32 v7, v2
	v_mul_f32_e32 v10, 0x4f800000, v5
	v_cndmask_b32_e64 v4, v4, v9, s[2:3]
	v_cmp_gt_f32_e64 s[4:5], s4, v5
	v_sqrt_f32_e32 v8, v3
	v_sqrt_f32_e32 v9, v4
	v_cndmask_b32_e64 v5, v5, v10, s[4:5]
	v_sqrt_f32_e32 v10, v5
	v_add_u32_e32 v11, -1, v7
	v_add_u32_e32 v13, -1, v8
	v_fma_f32 v19, -v11, v7, v2
	v_add_u32_e32 v12, 1, v7
	v_add_u32_e32 v15, -1, v9
	v_fma_f32 v21, -v13, v8, v3
	v_cmp_ge_f32_e64 s[6:7], 0, v19
	v_add_u32_e32 v14, 1, v8
	v_add_u32_e32 v17, -1, v10
	v_fma_f32 v20, -v12, v7, v2
	v_fma_f32 v23, -v15, v9, v4
	v_cndmask_b32_e64 v7, v7, v11, s[6:7]
	v_cmp_ge_f32_e64 s[6:7], 0, v21
	v_add_u32_e32 v16, 1, v9
	v_fma_f32 v22, -v14, v8, v3
	v_fma_f32 v25, -v17, v10, v5
	v_cndmask_b32_e64 v8, v8, v13, s[6:7]
	v_cmp_ge_f32_e64 s[6:7], 0, v23
	v_add_u32_e32 v18, 1, v10
	v_fma_f32 v24, -v16, v9, v4
	v_cndmask_b32_e64 v9, v9, v15, s[6:7]
	v_cmp_ge_f32_e64 s[6:7], 0, v25
	v_fma_f32 v26, -v18, v10, v5
	s_nop 0
	v_cndmask_b32_e64 v10, v10, v17, s[6:7]
	v_cmp_lt_f32_e64 s[6:7], 0, v20
	s_nop 1
	v_cndmask_b32_e64 v7, v7, v12, s[6:7]
	v_cmp_lt_f32_e64 s[6:7], 0, v22
	v_mul_f32_e32 v11, 0x37800000, v7
	v_cndmask_b32_e32 v7, v7, v11, vcc
	v_cndmask_b32_e64 v8, v8, v14, s[6:7]
	v_cmp_lt_f32_e64 s[6:7], 0, v24
	v_mul_f32_e32 v12, 0x37800000, v8
	v_cmp_class_f32_e32 vcc, v2, v6
	v_cndmask_b32_e64 v9, v9, v16, s[6:7]
	v_cmp_lt_f32_e64 s[6:7], 0, v26
	v_mul_f32_e32 v13, 0x37800000, v9
	v_cndmask_b32_e64 v8, v8, v12, s[0:1]
	v_cndmask_b32_e64 v10, v10, v18, s[6:7]
	v_cndmask_b32_e32 v2, v7, v2, vcc
	v_cmp_class_f32_e32 vcc, v3, v6
	v_mul_f32_e32 v14, 0x37800000, v10
	v_cndmask_b32_e64 v9, v9, v13, s[2:3]
	v_cndmask_b32_e32 v3, v8, v3, vcc
	v_cmp_class_f32_e32 vcc, v4, v6
	v_cndmask_b32_e64 v10, v10, v14, s[4:5]
	s_mov_b64 s[0:1], 0
	v_cndmask_b32_e32 v4, v9, v4, vcc
	v_cmp_class_f32_e32 vcc, v5, v6
	s_nop 1
	v_cndmask_b32_e32 v5, v10, v5, vcc
	global_store_dwordx4 v1, v[2:5], s[16:17]
.LBB251_2:
	s_andn2_b64 vcc, exec, s[0:1]
	s_cbranch_vccnz .LBB251_16
; %bb.3:
	v_cmp_gt_i32_e32 vcc, s14, v0
	v_mov_b32_e32 v1, 0
	v_or_b32_e32 v2, s12, v0
	v_mov_b32_e32 v3, 0
	v_mov_b32_e32 v4, v0
	s_and_saveexec_b64 s[4:5], vcc
	s_cbranch_execz .LBB251_5
; %bb.4:
	v_mov_b32_e32 v3, 0
	v_lshl_add_u64 v[4:5], v[2:3], 2, s[10:11]
	global_load_dword v3, v[4:5], off
	s_mov_b32 s0, 0xf800000
	v_mov_b32_e32 v6, 0x260
	s_waitcnt vmcnt(0)
	v_mul_f32_e32 v4, 0x4f800000, v3
	v_cmp_gt_f32_e64 s[0:1], s0, v3
	s_nop 1
	v_cndmask_b32_e64 v3, v3, v4, s[0:1]
	v_sqrt_f32_e32 v5, v3
	v_or_b32_e32 v4, 0x100, v0
	v_add_u32_e32 v7, -1, v5
	v_add_u32_e32 v8, 1, v5
	v_fma_f32 v9, -v7, v5, v3
	v_fma_f32 v10, -v8, v5, v3
	v_cmp_ge_f32_e64 s[2:3], 0, v9
	s_nop 1
	v_cndmask_b32_e64 v5, v5, v7, s[2:3]
	v_cmp_lt_f32_e64 s[2:3], 0, v10
	s_nop 1
	v_cndmask_b32_e64 v5, v5, v8, s[2:3]
	v_mul_f32_e32 v7, 0x37800000, v5
	v_cndmask_b32_e64 v5, v5, v7, s[0:1]
	v_cmp_class_f32_e64 s[0:1], v3, v6
	s_nop 1
	v_cndmask_b32_e64 v3, v5, v3, s[0:1]
.LBB251_5:
	s_or_b64 exec, exec, s[4:5]
	v_cmp_gt_i32_e64 s[0:1], s14, v4
	s_and_saveexec_b64 s[4:5], s[0:1]
	s_cbranch_execz .LBB251_7
; %bb.6:
	v_add_u32_e32 v6, s12, v4
	v_mov_b32_e32 v7, 0
	v_lshl_add_u64 v[6:7], v[6:7], 2, s[10:11]
	global_load_dword v1, v[6:7], off
	s_mov_b32 s0, 0xf800000
	v_mov_b32_e32 v6, 0x260
	v_add_u32_e32 v4, 0x100, v4
	s_waitcnt vmcnt(0)
	v_mul_f32_e32 v5, 0x4f800000, v1
	v_cmp_gt_f32_e64 s[0:1], s0, v1
	s_nop 1
	v_cndmask_b32_e64 v1, v1, v5, s[0:1]
	v_sqrt_f32_e32 v5, v1
	s_nop 0
	v_add_u32_e32 v7, -1, v5
	v_add_u32_e32 v8, 1, v5
	v_fma_f32 v9, -v7, v5, v1
	v_fma_f32 v10, -v8, v5, v1
	v_cmp_ge_f32_e64 s[2:3], 0, v9
	s_nop 1
	v_cndmask_b32_e64 v5, v5, v7, s[2:3]
	v_cmp_lt_f32_e64 s[2:3], 0, v10
	s_nop 1
	v_cndmask_b32_e64 v5, v5, v8, s[2:3]
	v_mul_f32_e32 v7, 0x37800000, v5
	v_cndmask_b32_e64 v5, v5, v7, s[0:1]
	v_cmp_class_f32_e64 s[0:1], v1, v6
	s_nop 1
	v_cndmask_b32_e64 v1, v5, v1, s[0:1]
.LBB251_7:
	s_or_b64 exec, exec, s[4:5]
	v_cmp_gt_i32_e64 s[0:1], s14, v4
	v_mov_b32_e32 v5, 0
	v_mov_b32_e32 v6, 0
	s_and_saveexec_b64 s[4:5], s[0:1]
	s_cbranch_execz .LBB251_9
; %bb.8:
	v_add_u32_e32 v6, s12, v4
	v_mov_b32_e32 v7, 0
	v_lshl_add_u64 v[6:7], v[6:7], 2, s[10:11]
	global_load_dword v6, v[6:7], off
	s_mov_b32 s0, 0xf800000
	v_mov_b32_e32 v8, 0x260
	v_add_u32_e32 v4, 0x100, v4
	s_waitcnt vmcnt(0)
	v_mul_f32_e32 v7, 0x4f800000, v6
	v_cmp_gt_f32_e64 s[0:1], s0, v6
	s_nop 1
	v_cndmask_b32_e64 v6, v6, v7, s[0:1]
	v_sqrt_f32_e32 v7, v6
	s_nop 0
	v_add_u32_e32 v9, -1, v7
	v_add_u32_e32 v10, 1, v7
	v_fma_f32 v11, -v9, v7, v6
	v_fma_f32 v12, -v10, v7, v6
	v_cmp_ge_f32_e64 s[2:3], 0, v11
	s_nop 1
	v_cndmask_b32_e64 v7, v7, v9, s[2:3]
	v_cmp_lt_f32_e64 s[2:3], 0, v12
	s_nop 1
	v_cndmask_b32_e64 v7, v7, v10, s[2:3]
	v_mul_f32_e32 v9, 0x37800000, v7
	v_cndmask_b32_e64 v7, v7, v9, s[0:1]
	v_cmp_class_f32_e64 s[0:1], v6, v8
	s_nop 1
	v_cndmask_b32_e64 v6, v7, v6, s[0:1]
.LBB251_9:
	s_or_b64 exec, exec, s[4:5]
	v_cmp_gt_i32_e64 s[0:1], s14, v4
	s_and_saveexec_b64 s[4:5], s[0:1]
	s_cbranch_execz .LBB251_11
; %bb.10:
	v_add_u32_e32 v4, s12, v4
	v_mov_b32_e32 v5, 0
	v_lshl_add_u64 v[4:5], v[4:5], 2, s[10:11]
	global_load_dword v4, v[4:5], off
	s_mov_b32 s0, 0xf800000
	v_mov_b32_e32 v7, 0x260
	s_waitcnt vmcnt(0)
	v_mul_f32_e32 v5, 0x4f800000, v4
	v_cmp_gt_f32_e64 s[0:1], s0, v4
	s_nop 1
	v_cndmask_b32_e64 v4, v4, v5, s[0:1]
	v_sqrt_f32_e32 v5, v4
	s_nop 0
	v_add_u32_e32 v8, -1, v5
	v_add_u32_e32 v9, 1, v5
	v_fma_f32 v10, -v8, v5, v4
	v_fma_f32 v11, -v9, v5, v4
	v_cmp_ge_f32_e64 s[2:3], 0, v10
	s_nop 1
	v_cndmask_b32_e64 v5, v5, v8, s[2:3]
	v_cmp_lt_f32_e64 s[2:3], 0, v11
	s_nop 1
	v_cndmask_b32_e64 v5, v5, v9, s[2:3]
	v_mul_f32_e32 v8, 0x37800000, v5
	v_cndmask_b32_e64 v5, v5, v8, s[0:1]
	v_cmp_class_f32_e64 s[0:1], v4, v7
	s_nop 1
	v_cndmask_b32_e64 v5, v5, v4, s[0:1]
.LBB251_11:
	s_or_b64 exec, exec, s[4:5]
	v_or_b32_e32 v8, 0x100, v0
	v_cmp_gt_i32_e64 s[0:1], s14, v8
	v_cndmask_b32_e32 v9, 0, v3, vcc
	s_nop 0
	v_cndmask_b32_e64 v7, 0, v1, s[0:1]
	v_or_b32_e32 v1, 0x200, v0
	v_cmp_gt_i32_e64 s[0:1], s14, v1
	v_or_b32_e32 v1, 0x300, v0
	s_nop 0
	v_cndmask_b32_e64 v4, 0, v6, s[0:1]
	v_cmp_gt_i32_e64 s[0:1], s14, v1
	s_nop 1
	v_cndmask_b32_e64 v1, 0, v5, s[0:1]
	s_and_saveexec_b64 s[0:1], vcc
	s_cbranch_execnz .LBB251_17
; %bb.12:
	s_or_b64 exec, exec, s[0:1]
	v_cmp_gt_i32_e32 vcc, s14, v0
	s_and_saveexec_b64 s[0:1], vcc
	s_cbranch_execnz .LBB251_18
.LBB251_13:
	s_or_b64 exec, exec, s[0:1]
	v_cmp_gt_i32_e32 vcc, s14, v0
	s_and_saveexec_b64 s[0:1], vcc
	s_cbranch_execnz .LBB251_19
.LBB251_14:
	s_or_b64 exec, exec, s[0:1]
	v_cmp_gt_i32_e32 vcc, s14, v0
	s_and_saveexec_b64 s[0:1], vcc
	s_cbranch_execz .LBB251_16
.LBB251_15:
	v_add_u32_e32 v2, s12, v0
	v_mov_b32_e32 v3, 0
	v_lshl_add_u64 v[2:3], v[2:3], 2, s[8:9]
	global_store_dword v[2:3], v1, off
.LBB251_16:
	s_endpgm
.LBB251_17:
	v_mov_b32_e32 v3, 0
	v_lshl_add_u64 v[2:3], v[2:3], 2, s[8:9]
	v_mov_b32_e32 v0, v8
	global_store_dword v[2:3], v9, off
	s_or_b64 exec, exec, s[0:1]
	v_cmp_gt_i32_e32 vcc, s14, v0
	s_and_saveexec_b64 s[0:1], vcc
	s_cbranch_execz .LBB251_13
.LBB251_18:
	v_add_u32_e32 v2, s12, v0
	v_mov_b32_e32 v3, 0
	v_lshl_add_u64 v[2:3], v[2:3], 2, s[8:9]
	v_add_u32_e32 v0, 0x100, v0
	global_store_dword v[2:3], v7, off
	s_or_b64 exec, exec, s[0:1]
	v_cmp_gt_i32_e32 vcc, s14, v0
	s_and_saveexec_b64 s[0:1], vcc
	s_cbranch_execz .LBB251_14
.LBB251_19:
	v_add_u32_e32 v2, s12, v0
	v_mov_b32_e32 v3, 0
	v_lshl_add_u64 v[2:3], v[2:3], 2, s[8:9]
	v_add_u32_e32 v0, 0x100, v0
	global_store_dword v[2:3], v4, off
	s_or_b64 exec, exec, s[0:1]
	v_cmp_gt_i32_e32 vcc, s14, v0
	s_and_saveexec_b64 s[0:1], vcc
	s_cbranch_execnz .LBB251_15
	s_branch .LBB251_16
	.section	.rodata,"a",@progbits
	.p2align	6, 0x0
	.amdhsa_kernel _ZN2at6native29vectorized_elementwise_kernelILi8EZZZNS0_16sqrt_kernel_cudaERNS_18TensorIteratorBaseEENKUlvE0_clEvENKUlvE0_clEvEUlfE_St5arrayIPcLm2EEEEviT0_T1_
		.amdhsa_group_segment_fixed_size 0
		.amdhsa_private_segment_fixed_size 0
		.amdhsa_kernarg_size 24
		.amdhsa_user_sgpr_count 2
		.amdhsa_user_sgpr_dispatch_ptr 0
		.amdhsa_user_sgpr_queue_ptr 0
		.amdhsa_user_sgpr_kernarg_segment_ptr 1
		.amdhsa_user_sgpr_dispatch_id 0
		.amdhsa_user_sgpr_kernarg_preload_length 0
		.amdhsa_user_sgpr_kernarg_preload_offset 0
		.amdhsa_user_sgpr_private_segment_size 0
		.amdhsa_uses_dynamic_stack 0
		.amdhsa_enable_private_segment 0
		.amdhsa_system_sgpr_workgroup_id_x 1
		.amdhsa_system_sgpr_workgroup_id_y 0
		.amdhsa_system_sgpr_workgroup_id_z 0
		.amdhsa_system_sgpr_workgroup_info 0
		.amdhsa_system_vgpr_workitem_id 0
		.amdhsa_next_free_vgpr 27
		.amdhsa_next_free_sgpr 18
		.amdhsa_accum_offset 28
		.amdhsa_reserve_vcc 1
		.amdhsa_float_round_mode_32 0
		.amdhsa_float_round_mode_16_64 0
		.amdhsa_float_denorm_mode_32 3
		.amdhsa_float_denorm_mode_16_64 3
		.amdhsa_dx10_clamp 1
		.amdhsa_ieee_mode 1
		.amdhsa_fp16_overflow 0
		.amdhsa_tg_split 0
		.amdhsa_exception_fp_ieee_invalid_op 0
		.amdhsa_exception_fp_denorm_src 0
		.amdhsa_exception_fp_ieee_div_zero 0
		.amdhsa_exception_fp_ieee_overflow 0
		.amdhsa_exception_fp_ieee_underflow 0
		.amdhsa_exception_fp_ieee_inexact 0
		.amdhsa_exception_int_div_zero 0
	.end_amdhsa_kernel
	.section	.text._ZN2at6native29vectorized_elementwise_kernelILi8EZZZNS0_16sqrt_kernel_cudaERNS_18TensorIteratorBaseEENKUlvE0_clEvENKUlvE0_clEvEUlfE_St5arrayIPcLm2EEEEviT0_T1_,"axG",@progbits,_ZN2at6native29vectorized_elementwise_kernelILi8EZZZNS0_16sqrt_kernel_cudaERNS_18TensorIteratorBaseEENKUlvE0_clEvENKUlvE0_clEvEUlfE_St5arrayIPcLm2EEEEviT0_T1_,comdat
.Lfunc_end251:
	.size	_ZN2at6native29vectorized_elementwise_kernelILi8EZZZNS0_16sqrt_kernel_cudaERNS_18TensorIteratorBaseEENKUlvE0_clEvENKUlvE0_clEvEUlfE_St5arrayIPcLm2EEEEviT0_T1_, .Lfunc_end251-_ZN2at6native29vectorized_elementwise_kernelILi8EZZZNS0_16sqrt_kernel_cudaERNS_18TensorIteratorBaseEENKUlvE0_clEvENKUlvE0_clEvEUlfE_St5arrayIPcLm2EEEEviT0_T1_
                                        ; -- End function
	.set _ZN2at6native29vectorized_elementwise_kernelILi8EZZZNS0_16sqrt_kernel_cudaERNS_18TensorIteratorBaseEENKUlvE0_clEvENKUlvE0_clEvEUlfE_St5arrayIPcLm2EEEEviT0_T1_.num_vgpr, 27
	.set _ZN2at6native29vectorized_elementwise_kernelILi8EZZZNS0_16sqrt_kernel_cudaERNS_18TensorIteratorBaseEENKUlvE0_clEvENKUlvE0_clEvEUlfE_St5arrayIPcLm2EEEEviT0_T1_.num_agpr, 0
	.set _ZN2at6native29vectorized_elementwise_kernelILi8EZZZNS0_16sqrt_kernel_cudaERNS_18TensorIteratorBaseEENKUlvE0_clEvENKUlvE0_clEvEUlfE_St5arrayIPcLm2EEEEviT0_T1_.numbered_sgpr, 18
	.set _ZN2at6native29vectorized_elementwise_kernelILi8EZZZNS0_16sqrt_kernel_cudaERNS_18TensorIteratorBaseEENKUlvE0_clEvENKUlvE0_clEvEUlfE_St5arrayIPcLm2EEEEviT0_T1_.num_named_barrier, 0
	.set _ZN2at6native29vectorized_elementwise_kernelILi8EZZZNS0_16sqrt_kernel_cudaERNS_18TensorIteratorBaseEENKUlvE0_clEvENKUlvE0_clEvEUlfE_St5arrayIPcLm2EEEEviT0_T1_.private_seg_size, 0
	.set _ZN2at6native29vectorized_elementwise_kernelILi8EZZZNS0_16sqrt_kernel_cudaERNS_18TensorIteratorBaseEENKUlvE0_clEvENKUlvE0_clEvEUlfE_St5arrayIPcLm2EEEEviT0_T1_.uses_vcc, 1
	.set _ZN2at6native29vectorized_elementwise_kernelILi8EZZZNS0_16sqrt_kernel_cudaERNS_18TensorIteratorBaseEENKUlvE0_clEvENKUlvE0_clEvEUlfE_St5arrayIPcLm2EEEEviT0_T1_.uses_flat_scratch, 0
	.set _ZN2at6native29vectorized_elementwise_kernelILi8EZZZNS0_16sqrt_kernel_cudaERNS_18TensorIteratorBaseEENKUlvE0_clEvENKUlvE0_clEvEUlfE_St5arrayIPcLm2EEEEviT0_T1_.has_dyn_sized_stack, 0
	.set _ZN2at6native29vectorized_elementwise_kernelILi8EZZZNS0_16sqrt_kernel_cudaERNS_18TensorIteratorBaseEENKUlvE0_clEvENKUlvE0_clEvEUlfE_St5arrayIPcLm2EEEEviT0_T1_.has_recursion, 0
	.set _ZN2at6native29vectorized_elementwise_kernelILi8EZZZNS0_16sqrt_kernel_cudaERNS_18TensorIteratorBaseEENKUlvE0_clEvENKUlvE0_clEvEUlfE_St5arrayIPcLm2EEEEviT0_T1_.has_indirect_call, 0
	.section	.AMDGPU.csdata,"",@progbits
; Kernel info:
; codeLenInByte = 1696
; TotalNumSgprs: 24
; NumVgprs: 27
; NumAgprs: 0
; TotalNumVgprs: 27
; ScratchSize: 0
; MemoryBound: 0
; FloatMode: 240
; IeeeMode: 1
; LDSByteSize: 0 bytes/workgroup (compile time only)
; SGPRBlocks: 2
; VGPRBlocks: 3
; NumSGPRsForWavesPerEU: 24
; NumVGPRsForWavesPerEU: 27
; AccumOffset: 28
; Occupancy: 8
; WaveLimiterHint : 0
; COMPUTE_PGM_RSRC2:SCRATCH_EN: 0
; COMPUTE_PGM_RSRC2:USER_SGPR: 2
; COMPUTE_PGM_RSRC2:TRAP_HANDLER: 0
; COMPUTE_PGM_RSRC2:TGID_X_EN: 1
; COMPUTE_PGM_RSRC2:TGID_Y_EN: 0
; COMPUTE_PGM_RSRC2:TGID_Z_EN: 0
; COMPUTE_PGM_RSRC2:TIDIG_COMP_CNT: 0
; COMPUTE_PGM_RSRC3_GFX90A:ACCUM_OFFSET: 6
; COMPUTE_PGM_RSRC3_GFX90A:TG_SPLIT: 0
	.section	.text._ZN2at6native29vectorized_elementwise_kernelILi4EZZZNS0_16sqrt_kernel_cudaERNS_18TensorIteratorBaseEENKUlvE0_clEvENKUlvE0_clEvEUlfE_St5arrayIPcLm2EEEEviT0_T1_,"axG",@progbits,_ZN2at6native29vectorized_elementwise_kernelILi4EZZZNS0_16sqrt_kernel_cudaERNS_18TensorIteratorBaseEENKUlvE0_clEvENKUlvE0_clEvEUlfE_St5arrayIPcLm2EEEEviT0_T1_,comdat
	.globl	_ZN2at6native29vectorized_elementwise_kernelILi4EZZZNS0_16sqrt_kernel_cudaERNS_18TensorIteratorBaseEENKUlvE0_clEvENKUlvE0_clEvEUlfE_St5arrayIPcLm2EEEEviT0_T1_ ; -- Begin function _ZN2at6native29vectorized_elementwise_kernelILi4EZZZNS0_16sqrt_kernel_cudaERNS_18TensorIteratorBaseEENKUlvE0_clEvENKUlvE0_clEvEUlfE_St5arrayIPcLm2EEEEviT0_T1_
	.p2align	8
	.type	_ZN2at6native29vectorized_elementwise_kernelILi4EZZZNS0_16sqrt_kernel_cudaERNS_18TensorIteratorBaseEENKUlvE0_clEvENKUlvE0_clEvEUlfE_St5arrayIPcLm2EEEEviT0_T1_,@function
_ZN2at6native29vectorized_elementwise_kernelILi4EZZZNS0_16sqrt_kernel_cudaERNS_18TensorIteratorBaseEENKUlvE0_clEvENKUlvE0_clEvEUlfE_St5arrayIPcLm2EEEEviT0_T1_: ; @_ZN2at6native29vectorized_elementwise_kernelILi4EZZZNS0_16sqrt_kernel_cudaERNS_18TensorIteratorBaseEENKUlvE0_clEvENKUlvE0_clEvEUlfE_St5arrayIPcLm2EEEEviT0_T1_
; %bb.0:
	s_load_dword s3, s[0:1], 0x0
	s_load_dwordx4 s[8:11], s[0:1], 0x8
	s_lshl_b32 s12, s2, 10
	s_mov_b64 s[0:1], -1
	s_waitcnt lgkmcnt(0)
	s_sub_i32 s14, s3, s12
	s_cmpk_gt_i32 s14, 0x3ff
	s_cbranch_scc0 .LBB252_2
; %bb.1:
	s_ashr_i32 s13, s12, 31
	s_lshl_b64 s[0:1], s[12:13], 2
	s_add_u32 s2, s10, s0
	s_addc_u32 s3, s11, s1
	v_lshlrev_b32_e32 v1, 4, v0
	global_load_dwordx4 v[2:5], v1, s[2:3]
	s_mov_b32 s4, 0xf800000
	s_add_u32 s16, s8, s0
	s_addc_u32 s17, s9, s1
	v_mov_b32_e32 v6, 0x260
	s_waitcnt vmcnt(0)
	v_mul_f32_e32 v7, 0x4f800000, v2
	v_cmp_gt_f32_e32 vcc, s4, v2
	v_mul_f32_e32 v8, 0x4f800000, v3
	v_cmp_gt_f32_e64 s[0:1], s4, v3
	v_cndmask_b32_e32 v2, v2, v7, vcc
	v_mul_f32_e32 v9, 0x4f800000, v4
	v_cndmask_b32_e64 v3, v3, v8, s[0:1]
	v_cmp_gt_f32_e64 s[2:3], s4, v4
	v_sqrt_f32_e32 v7, v2
	v_mul_f32_e32 v10, 0x4f800000, v5
	v_cndmask_b32_e64 v4, v4, v9, s[2:3]
	v_cmp_gt_f32_e64 s[4:5], s4, v5
	v_sqrt_f32_e32 v8, v3
	v_sqrt_f32_e32 v9, v4
	v_cndmask_b32_e64 v5, v5, v10, s[4:5]
	v_sqrt_f32_e32 v10, v5
	v_add_u32_e32 v11, -1, v7
	v_add_u32_e32 v13, -1, v8
	v_fma_f32 v19, -v11, v7, v2
	v_add_u32_e32 v12, 1, v7
	v_add_u32_e32 v15, -1, v9
	v_fma_f32 v21, -v13, v8, v3
	v_cmp_ge_f32_e64 s[6:7], 0, v19
	v_add_u32_e32 v14, 1, v8
	v_add_u32_e32 v17, -1, v10
	v_fma_f32 v20, -v12, v7, v2
	v_fma_f32 v23, -v15, v9, v4
	v_cndmask_b32_e64 v7, v7, v11, s[6:7]
	v_cmp_ge_f32_e64 s[6:7], 0, v21
	v_add_u32_e32 v16, 1, v9
	v_fma_f32 v22, -v14, v8, v3
	v_fma_f32 v25, -v17, v10, v5
	v_cndmask_b32_e64 v8, v8, v13, s[6:7]
	v_cmp_ge_f32_e64 s[6:7], 0, v23
	v_add_u32_e32 v18, 1, v10
	v_fma_f32 v24, -v16, v9, v4
	v_cndmask_b32_e64 v9, v9, v15, s[6:7]
	v_cmp_ge_f32_e64 s[6:7], 0, v25
	v_fma_f32 v26, -v18, v10, v5
	s_nop 0
	v_cndmask_b32_e64 v10, v10, v17, s[6:7]
	v_cmp_lt_f32_e64 s[6:7], 0, v20
	s_nop 1
	v_cndmask_b32_e64 v7, v7, v12, s[6:7]
	v_cmp_lt_f32_e64 s[6:7], 0, v22
	v_mul_f32_e32 v11, 0x37800000, v7
	v_cndmask_b32_e32 v7, v7, v11, vcc
	v_cndmask_b32_e64 v8, v8, v14, s[6:7]
	v_cmp_lt_f32_e64 s[6:7], 0, v24
	v_mul_f32_e32 v12, 0x37800000, v8
	v_cmp_class_f32_e32 vcc, v2, v6
	v_cndmask_b32_e64 v9, v9, v16, s[6:7]
	v_cmp_lt_f32_e64 s[6:7], 0, v26
	v_mul_f32_e32 v13, 0x37800000, v9
	v_cndmask_b32_e64 v8, v8, v12, s[0:1]
	v_cndmask_b32_e64 v10, v10, v18, s[6:7]
	v_cndmask_b32_e32 v2, v7, v2, vcc
	v_cmp_class_f32_e32 vcc, v3, v6
	v_mul_f32_e32 v14, 0x37800000, v10
	v_cndmask_b32_e64 v9, v9, v13, s[2:3]
	v_cndmask_b32_e32 v3, v8, v3, vcc
	v_cmp_class_f32_e32 vcc, v4, v6
	v_cndmask_b32_e64 v10, v10, v14, s[4:5]
	s_mov_b64 s[0:1], 0
	v_cndmask_b32_e32 v4, v9, v4, vcc
	v_cmp_class_f32_e32 vcc, v5, v6
	s_nop 1
	v_cndmask_b32_e32 v5, v10, v5, vcc
	global_store_dwordx4 v1, v[2:5], s[16:17]
.LBB252_2:
	s_andn2_b64 vcc, exec, s[0:1]
	s_cbranch_vccnz .LBB252_16
; %bb.3:
	v_cmp_gt_i32_e32 vcc, s14, v0
	v_mov_b32_e32 v1, 0
	v_or_b32_e32 v2, s12, v0
	v_mov_b32_e32 v3, 0
	v_mov_b32_e32 v4, v0
	s_and_saveexec_b64 s[4:5], vcc
	s_cbranch_execz .LBB252_5
; %bb.4:
	v_mov_b32_e32 v3, 0
	v_lshl_add_u64 v[4:5], v[2:3], 2, s[10:11]
	global_load_dword v3, v[4:5], off
	s_mov_b32 s0, 0xf800000
	v_mov_b32_e32 v6, 0x260
	s_waitcnt vmcnt(0)
	v_mul_f32_e32 v4, 0x4f800000, v3
	v_cmp_gt_f32_e64 s[0:1], s0, v3
	s_nop 1
	v_cndmask_b32_e64 v3, v3, v4, s[0:1]
	v_sqrt_f32_e32 v5, v3
	v_or_b32_e32 v4, 0x100, v0
	v_add_u32_e32 v7, -1, v5
	v_add_u32_e32 v8, 1, v5
	v_fma_f32 v9, -v7, v5, v3
	v_fma_f32 v10, -v8, v5, v3
	v_cmp_ge_f32_e64 s[2:3], 0, v9
	s_nop 1
	v_cndmask_b32_e64 v5, v5, v7, s[2:3]
	v_cmp_lt_f32_e64 s[2:3], 0, v10
	s_nop 1
	v_cndmask_b32_e64 v5, v5, v8, s[2:3]
	v_mul_f32_e32 v7, 0x37800000, v5
	v_cndmask_b32_e64 v5, v5, v7, s[0:1]
	v_cmp_class_f32_e64 s[0:1], v3, v6
	s_nop 1
	v_cndmask_b32_e64 v3, v5, v3, s[0:1]
.LBB252_5:
	s_or_b64 exec, exec, s[4:5]
	v_cmp_gt_i32_e64 s[0:1], s14, v4
	s_and_saveexec_b64 s[4:5], s[0:1]
	s_cbranch_execz .LBB252_7
; %bb.6:
	v_add_u32_e32 v6, s12, v4
	v_mov_b32_e32 v7, 0
	v_lshl_add_u64 v[6:7], v[6:7], 2, s[10:11]
	global_load_dword v1, v[6:7], off
	s_mov_b32 s0, 0xf800000
	v_mov_b32_e32 v6, 0x260
	v_add_u32_e32 v4, 0x100, v4
	s_waitcnt vmcnt(0)
	v_mul_f32_e32 v5, 0x4f800000, v1
	v_cmp_gt_f32_e64 s[0:1], s0, v1
	s_nop 1
	v_cndmask_b32_e64 v1, v1, v5, s[0:1]
	v_sqrt_f32_e32 v5, v1
	s_nop 0
	v_add_u32_e32 v7, -1, v5
	v_add_u32_e32 v8, 1, v5
	v_fma_f32 v9, -v7, v5, v1
	v_fma_f32 v10, -v8, v5, v1
	v_cmp_ge_f32_e64 s[2:3], 0, v9
	s_nop 1
	v_cndmask_b32_e64 v5, v5, v7, s[2:3]
	v_cmp_lt_f32_e64 s[2:3], 0, v10
	s_nop 1
	v_cndmask_b32_e64 v5, v5, v8, s[2:3]
	v_mul_f32_e32 v7, 0x37800000, v5
	v_cndmask_b32_e64 v5, v5, v7, s[0:1]
	v_cmp_class_f32_e64 s[0:1], v1, v6
	s_nop 1
	v_cndmask_b32_e64 v1, v5, v1, s[0:1]
.LBB252_7:
	s_or_b64 exec, exec, s[4:5]
	v_cmp_gt_i32_e64 s[0:1], s14, v4
	v_mov_b32_e32 v5, 0
	v_mov_b32_e32 v6, 0
	s_and_saveexec_b64 s[4:5], s[0:1]
	s_cbranch_execz .LBB252_9
; %bb.8:
	v_add_u32_e32 v6, s12, v4
	v_mov_b32_e32 v7, 0
	v_lshl_add_u64 v[6:7], v[6:7], 2, s[10:11]
	global_load_dword v6, v[6:7], off
	s_mov_b32 s0, 0xf800000
	v_mov_b32_e32 v8, 0x260
	v_add_u32_e32 v4, 0x100, v4
	s_waitcnt vmcnt(0)
	v_mul_f32_e32 v7, 0x4f800000, v6
	v_cmp_gt_f32_e64 s[0:1], s0, v6
	s_nop 1
	v_cndmask_b32_e64 v6, v6, v7, s[0:1]
	v_sqrt_f32_e32 v7, v6
	s_nop 0
	v_add_u32_e32 v9, -1, v7
	v_add_u32_e32 v10, 1, v7
	v_fma_f32 v11, -v9, v7, v6
	v_fma_f32 v12, -v10, v7, v6
	v_cmp_ge_f32_e64 s[2:3], 0, v11
	s_nop 1
	v_cndmask_b32_e64 v7, v7, v9, s[2:3]
	v_cmp_lt_f32_e64 s[2:3], 0, v12
	s_nop 1
	v_cndmask_b32_e64 v7, v7, v10, s[2:3]
	v_mul_f32_e32 v9, 0x37800000, v7
	v_cndmask_b32_e64 v7, v7, v9, s[0:1]
	v_cmp_class_f32_e64 s[0:1], v6, v8
	s_nop 1
	v_cndmask_b32_e64 v6, v7, v6, s[0:1]
.LBB252_9:
	s_or_b64 exec, exec, s[4:5]
	v_cmp_gt_i32_e64 s[0:1], s14, v4
	s_and_saveexec_b64 s[4:5], s[0:1]
	s_cbranch_execz .LBB252_11
; %bb.10:
	v_add_u32_e32 v4, s12, v4
	v_mov_b32_e32 v5, 0
	v_lshl_add_u64 v[4:5], v[4:5], 2, s[10:11]
	global_load_dword v4, v[4:5], off
	s_mov_b32 s0, 0xf800000
	v_mov_b32_e32 v7, 0x260
	s_waitcnt vmcnt(0)
	v_mul_f32_e32 v5, 0x4f800000, v4
	v_cmp_gt_f32_e64 s[0:1], s0, v4
	s_nop 1
	v_cndmask_b32_e64 v4, v4, v5, s[0:1]
	v_sqrt_f32_e32 v5, v4
	s_nop 0
	v_add_u32_e32 v8, -1, v5
	v_add_u32_e32 v9, 1, v5
	v_fma_f32 v10, -v8, v5, v4
	v_fma_f32 v11, -v9, v5, v4
	v_cmp_ge_f32_e64 s[2:3], 0, v10
	s_nop 1
	v_cndmask_b32_e64 v5, v5, v8, s[2:3]
	v_cmp_lt_f32_e64 s[2:3], 0, v11
	s_nop 1
	v_cndmask_b32_e64 v5, v5, v9, s[2:3]
	v_mul_f32_e32 v8, 0x37800000, v5
	v_cndmask_b32_e64 v5, v5, v8, s[0:1]
	v_cmp_class_f32_e64 s[0:1], v4, v7
	s_nop 1
	v_cndmask_b32_e64 v5, v5, v4, s[0:1]
.LBB252_11:
	s_or_b64 exec, exec, s[4:5]
	v_or_b32_e32 v8, 0x100, v0
	v_cmp_gt_i32_e64 s[0:1], s14, v8
	v_cndmask_b32_e32 v9, 0, v3, vcc
	s_nop 0
	v_cndmask_b32_e64 v7, 0, v1, s[0:1]
	v_or_b32_e32 v1, 0x200, v0
	v_cmp_gt_i32_e64 s[0:1], s14, v1
	v_or_b32_e32 v1, 0x300, v0
	s_nop 0
	v_cndmask_b32_e64 v4, 0, v6, s[0:1]
	v_cmp_gt_i32_e64 s[0:1], s14, v1
	s_nop 1
	v_cndmask_b32_e64 v1, 0, v5, s[0:1]
	s_and_saveexec_b64 s[0:1], vcc
	s_cbranch_execnz .LBB252_17
; %bb.12:
	s_or_b64 exec, exec, s[0:1]
	v_cmp_gt_i32_e32 vcc, s14, v0
	s_and_saveexec_b64 s[0:1], vcc
	s_cbranch_execnz .LBB252_18
.LBB252_13:
	s_or_b64 exec, exec, s[0:1]
	v_cmp_gt_i32_e32 vcc, s14, v0
	s_and_saveexec_b64 s[0:1], vcc
	s_cbranch_execnz .LBB252_19
.LBB252_14:
	s_or_b64 exec, exec, s[0:1]
	v_cmp_gt_i32_e32 vcc, s14, v0
	s_and_saveexec_b64 s[0:1], vcc
	s_cbranch_execz .LBB252_16
.LBB252_15:
	v_add_u32_e32 v2, s12, v0
	v_mov_b32_e32 v3, 0
	v_lshl_add_u64 v[2:3], v[2:3], 2, s[8:9]
	global_store_dword v[2:3], v1, off
.LBB252_16:
	s_endpgm
.LBB252_17:
	v_mov_b32_e32 v3, 0
	v_lshl_add_u64 v[2:3], v[2:3], 2, s[8:9]
	v_mov_b32_e32 v0, v8
	global_store_dword v[2:3], v9, off
	s_or_b64 exec, exec, s[0:1]
	v_cmp_gt_i32_e32 vcc, s14, v0
	s_and_saveexec_b64 s[0:1], vcc
	s_cbranch_execz .LBB252_13
.LBB252_18:
	v_add_u32_e32 v2, s12, v0
	v_mov_b32_e32 v3, 0
	v_lshl_add_u64 v[2:3], v[2:3], 2, s[8:9]
	v_add_u32_e32 v0, 0x100, v0
	global_store_dword v[2:3], v7, off
	s_or_b64 exec, exec, s[0:1]
	v_cmp_gt_i32_e32 vcc, s14, v0
	s_and_saveexec_b64 s[0:1], vcc
	s_cbranch_execz .LBB252_14
.LBB252_19:
	v_add_u32_e32 v2, s12, v0
	v_mov_b32_e32 v3, 0
	v_lshl_add_u64 v[2:3], v[2:3], 2, s[8:9]
	v_add_u32_e32 v0, 0x100, v0
	global_store_dword v[2:3], v4, off
	s_or_b64 exec, exec, s[0:1]
	v_cmp_gt_i32_e32 vcc, s14, v0
	s_and_saveexec_b64 s[0:1], vcc
	s_cbranch_execnz .LBB252_15
	s_branch .LBB252_16
	.section	.rodata,"a",@progbits
	.p2align	6, 0x0
	.amdhsa_kernel _ZN2at6native29vectorized_elementwise_kernelILi4EZZZNS0_16sqrt_kernel_cudaERNS_18TensorIteratorBaseEENKUlvE0_clEvENKUlvE0_clEvEUlfE_St5arrayIPcLm2EEEEviT0_T1_
		.amdhsa_group_segment_fixed_size 0
		.amdhsa_private_segment_fixed_size 0
		.amdhsa_kernarg_size 24
		.amdhsa_user_sgpr_count 2
		.amdhsa_user_sgpr_dispatch_ptr 0
		.amdhsa_user_sgpr_queue_ptr 0
		.amdhsa_user_sgpr_kernarg_segment_ptr 1
		.amdhsa_user_sgpr_dispatch_id 0
		.amdhsa_user_sgpr_kernarg_preload_length 0
		.amdhsa_user_sgpr_kernarg_preload_offset 0
		.amdhsa_user_sgpr_private_segment_size 0
		.amdhsa_uses_dynamic_stack 0
		.amdhsa_enable_private_segment 0
		.amdhsa_system_sgpr_workgroup_id_x 1
		.amdhsa_system_sgpr_workgroup_id_y 0
		.amdhsa_system_sgpr_workgroup_id_z 0
		.amdhsa_system_sgpr_workgroup_info 0
		.amdhsa_system_vgpr_workitem_id 0
		.amdhsa_next_free_vgpr 27
		.amdhsa_next_free_sgpr 18
		.amdhsa_accum_offset 28
		.amdhsa_reserve_vcc 1
		.amdhsa_float_round_mode_32 0
		.amdhsa_float_round_mode_16_64 0
		.amdhsa_float_denorm_mode_32 3
		.amdhsa_float_denorm_mode_16_64 3
		.amdhsa_dx10_clamp 1
		.amdhsa_ieee_mode 1
		.amdhsa_fp16_overflow 0
		.amdhsa_tg_split 0
		.amdhsa_exception_fp_ieee_invalid_op 0
		.amdhsa_exception_fp_denorm_src 0
		.amdhsa_exception_fp_ieee_div_zero 0
		.amdhsa_exception_fp_ieee_overflow 0
		.amdhsa_exception_fp_ieee_underflow 0
		.amdhsa_exception_fp_ieee_inexact 0
		.amdhsa_exception_int_div_zero 0
	.end_amdhsa_kernel
	.section	.text._ZN2at6native29vectorized_elementwise_kernelILi4EZZZNS0_16sqrt_kernel_cudaERNS_18TensorIteratorBaseEENKUlvE0_clEvENKUlvE0_clEvEUlfE_St5arrayIPcLm2EEEEviT0_T1_,"axG",@progbits,_ZN2at6native29vectorized_elementwise_kernelILi4EZZZNS0_16sqrt_kernel_cudaERNS_18TensorIteratorBaseEENKUlvE0_clEvENKUlvE0_clEvEUlfE_St5arrayIPcLm2EEEEviT0_T1_,comdat
.Lfunc_end252:
	.size	_ZN2at6native29vectorized_elementwise_kernelILi4EZZZNS0_16sqrt_kernel_cudaERNS_18TensorIteratorBaseEENKUlvE0_clEvENKUlvE0_clEvEUlfE_St5arrayIPcLm2EEEEviT0_T1_, .Lfunc_end252-_ZN2at6native29vectorized_elementwise_kernelILi4EZZZNS0_16sqrt_kernel_cudaERNS_18TensorIteratorBaseEENKUlvE0_clEvENKUlvE0_clEvEUlfE_St5arrayIPcLm2EEEEviT0_T1_
                                        ; -- End function
	.set _ZN2at6native29vectorized_elementwise_kernelILi4EZZZNS0_16sqrt_kernel_cudaERNS_18TensorIteratorBaseEENKUlvE0_clEvENKUlvE0_clEvEUlfE_St5arrayIPcLm2EEEEviT0_T1_.num_vgpr, 27
	.set _ZN2at6native29vectorized_elementwise_kernelILi4EZZZNS0_16sqrt_kernel_cudaERNS_18TensorIteratorBaseEENKUlvE0_clEvENKUlvE0_clEvEUlfE_St5arrayIPcLm2EEEEviT0_T1_.num_agpr, 0
	.set _ZN2at6native29vectorized_elementwise_kernelILi4EZZZNS0_16sqrt_kernel_cudaERNS_18TensorIteratorBaseEENKUlvE0_clEvENKUlvE0_clEvEUlfE_St5arrayIPcLm2EEEEviT0_T1_.numbered_sgpr, 18
	.set _ZN2at6native29vectorized_elementwise_kernelILi4EZZZNS0_16sqrt_kernel_cudaERNS_18TensorIteratorBaseEENKUlvE0_clEvENKUlvE0_clEvEUlfE_St5arrayIPcLm2EEEEviT0_T1_.num_named_barrier, 0
	.set _ZN2at6native29vectorized_elementwise_kernelILi4EZZZNS0_16sqrt_kernel_cudaERNS_18TensorIteratorBaseEENKUlvE0_clEvENKUlvE0_clEvEUlfE_St5arrayIPcLm2EEEEviT0_T1_.private_seg_size, 0
	.set _ZN2at6native29vectorized_elementwise_kernelILi4EZZZNS0_16sqrt_kernel_cudaERNS_18TensorIteratorBaseEENKUlvE0_clEvENKUlvE0_clEvEUlfE_St5arrayIPcLm2EEEEviT0_T1_.uses_vcc, 1
	.set _ZN2at6native29vectorized_elementwise_kernelILi4EZZZNS0_16sqrt_kernel_cudaERNS_18TensorIteratorBaseEENKUlvE0_clEvENKUlvE0_clEvEUlfE_St5arrayIPcLm2EEEEviT0_T1_.uses_flat_scratch, 0
	.set _ZN2at6native29vectorized_elementwise_kernelILi4EZZZNS0_16sqrt_kernel_cudaERNS_18TensorIteratorBaseEENKUlvE0_clEvENKUlvE0_clEvEUlfE_St5arrayIPcLm2EEEEviT0_T1_.has_dyn_sized_stack, 0
	.set _ZN2at6native29vectorized_elementwise_kernelILi4EZZZNS0_16sqrt_kernel_cudaERNS_18TensorIteratorBaseEENKUlvE0_clEvENKUlvE0_clEvEUlfE_St5arrayIPcLm2EEEEviT0_T1_.has_recursion, 0
	.set _ZN2at6native29vectorized_elementwise_kernelILi4EZZZNS0_16sqrt_kernel_cudaERNS_18TensorIteratorBaseEENKUlvE0_clEvENKUlvE0_clEvEUlfE_St5arrayIPcLm2EEEEviT0_T1_.has_indirect_call, 0
	.section	.AMDGPU.csdata,"",@progbits
; Kernel info:
; codeLenInByte = 1696
; TotalNumSgprs: 24
; NumVgprs: 27
; NumAgprs: 0
; TotalNumVgprs: 27
; ScratchSize: 0
; MemoryBound: 0
; FloatMode: 240
; IeeeMode: 1
; LDSByteSize: 0 bytes/workgroup (compile time only)
; SGPRBlocks: 2
; VGPRBlocks: 3
; NumSGPRsForWavesPerEU: 24
; NumVGPRsForWavesPerEU: 27
; AccumOffset: 28
; Occupancy: 8
; WaveLimiterHint : 0
; COMPUTE_PGM_RSRC2:SCRATCH_EN: 0
; COMPUTE_PGM_RSRC2:USER_SGPR: 2
; COMPUTE_PGM_RSRC2:TRAP_HANDLER: 0
; COMPUTE_PGM_RSRC2:TGID_X_EN: 1
; COMPUTE_PGM_RSRC2:TGID_Y_EN: 0
; COMPUTE_PGM_RSRC2:TGID_Z_EN: 0
; COMPUTE_PGM_RSRC2:TIDIG_COMP_CNT: 0
; COMPUTE_PGM_RSRC3_GFX90A:ACCUM_OFFSET: 6
; COMPUTE_PGM_RSRC3_GFX90A:TG_SPLIT: 0
	.section	.text._ZN2at6native29vectorized_elementwise_kernelILi2EZZZNS0_16sqrt_kernel_cudaERNS_18TensorIteratorBaseEENKUlvE0_clEvENKUlvE0_clEvEUlfE_St5arrayIPcLm2EEEEviT0_T1_,"axG",@progbits,_ZN2at6native29vectorized_elementwise_kernelILi2EZZZNS0_16sqrt_kernel_cudaERNS_18TensorIteratorBaseEENKUlvE0_clEvENKUlvE0_clEvEUlfE_St5arrayIPcLm2EEEEviT0_T1_,comdat
	.globl	_ZN2at6native29vectorized_elementwise_kernelILi2EZZZNS0_16sqrt_kernel_cudaERNS_18TensorIteratorBaseEENKUlvE0_clEvENKUlvE0_clEvEUlfE_St5arrayIPcLm2EEEEviT0_T1_ ; -- Begin function _ZN2at6native29vectorized_elementwise_kernelILi2EZZZNS0_16sqrt_kernel_cudaERNS_18TensorIteratorBaseEENKUlvE0_clEvENKUlvE0_clEvEUlfE_St5arrayIPcLm2EEEEviT0_T1_
	.p2align	8
	.type	_ZN2at6native29vectorized_elementwise_kernelILi2EZZZNS0_16sqrt_kernel_cudaERNS_18TensorIteratorBaseEENKUlvE0_clEvENKUlvE0_clEvEUlfE_St5arrayIPcLm2EEEEviT0_T1_,@function
_ZN2at6native29vectorized_elementwise_kernelILi2EZZZNS0_16sqrt_kernel_cudaERNS_18TensorIteratorBaseEENKUlvE0_clEvENKUlvE0_clEvEUlfE_St5arrayIPcLm2EEEEviT0_T1_: ; @_ZN2at6native29vectorized_elementwise_kernelILi2EZZZNS0_16sqrt_kernel_cudaERNS_18TensorIteratorBaseEENKUlvE0_clEvENKUlvE0_clEvEUlfE_St5arrayIPcLm2EEEEviT0_T1_
; %bb.0:
	s_load_dword s3, s[0:1], 0x0
	s_load_dwordx4 s[8:11], s[0:1], 0x8
	s_lshl_b32 s12, s2, 10
	s_mov_b64 s[0:1], -1
	s_waitcnt lgkmcnt(0)
	s_sub_i32 s14, s3, s12
	s_cmpk_gt_i32 s14, 0x3ff
	s_cbranch_scc0 .LBB253_2
; %bb.1:
	s_ashr_i32 s13, s12, 31
	s_lshl_b64 s[0:1], s[12:13], 2
	s_add_u32 s2, s10, s0
	s_addc_u32 s3, s11, s1
	v_lshlrev_b32_e32 v1, 3, v0
	global_load_dwordx2 v[2:3], v1, s[2:3]
	global_load_dwordx2 v[4:5], v1, s[2:3] offset:2048
	s_mov_b32 s4, 0xf800000
	s_add_u32 s16, s8, s0
	s_addc_u32 s17, s9, s1
	v_mov_b32_e32 v6, 0x260
	s_waitcnt vmcnt(1)
	v_mul_f32_e32 v7, 0x4f800000, v2
	v_cmp_gt_f32_e32 vcc, s4, v2
	v_mul_f32_e32 v8, 0x4f800000, v3
	v_cmp_gt_f32_e64 s[0:1], s4, v3
	v_cndmask_b32_e32 v2, v2, v7, vcc
	s_waitcnt vmcnt(0)
	v_mul_f32_e32 v9, 0x4f800000, v4
	v_cndmask_b32_e64 v3, v3, v8, s[0:1]
	v_cmp_gt_f32_e64 s[2:3], s4, v4
	v_sqrt_f32_e32 v7, v2
	v_mul_f32_e32 v10, 0x4f800000, v5
	v_cndmask_b32_e64 v4, v4, v9, s[2:3]
	v_cmp_gt_f32_e64 s[4:5], s4, v5
	v_sqrt_f32_e32 v8, v3
	v_sqrt_f32_e32 v9, v4
	v_cndmask_b32_e64 v5, v5, v10, s[4:5]
	v_sqrt_f32_e32 v10, v5
	v_add_u32_e32 v11, -1, v7
	v_add_u32_e32 v13, -1, v8
	v_fma_f32 v19, -v11, v7, v2
	v_add_u32_e32 v12, 1, v7
	v_add_u32_e32 v15, -1, v9
	v_fma_f32 v21, -v13, v8, v3
	v_cmp_ge_f32_e64 s[6:7], 0, v19
	v_add_u32_e32 v14, 1, v8
	v_add_u32_e32 v17, -1, v10
	v_fma_f32 v20, -v12, v7, v2
	v_fma_f32 v23, -v15, v9, v4
	v_cndmask_b32_e64 v7, v7, v11, s[6:7]
	v_cmp_ge_f32_e64 s[6:7], 0, v21
	v_add_u32_e32 v16, 1, v9
	v_fma_f32 v22, -v14, v8, v3
	v_fma_f32 v25, -v17, v10, v5
	v_cndmask_b32_e64 v8, v8, v13, s[6:7]
	v_cmp_ge_f32_e64 s[6:7], 0, v23
	v_add_u32_e32 v18, 1, v10
	v_fma_f32 v24, -v16, v9, v4
	v_cndmask_b32_e64 v9, v9, v15, s[6:7]
	v_cmp_ge_f32_e64 s[6:7], 0, v25
	v_fma_f32 v26, -v18, v10, v5
	s_nop 0
	v_cndmask_b32_e64 v10, v10, v17, s[6:7]
	v_cmp_lt_f32_e64 s[6:7], 0, v20
	s_nop 1
	v_cndmask_b32_e64 v7, v7, v12, s[6:7]
	v_cmp_lt_f32_e64 s[6:7], 0, v22
	v_mul_f32_e32 v11, 0x37800000, v7
	v_cndmask_b32_e32 v7, v7, v11, vcc
	v_cndmask_b32_e64 v8, v8, v14, s[6:7]
	v_cmp_lt_f32_e64 s[6:7], 0, v24
	v_mul_f32_e32 v12, 0x37800000, v8
	v_cmp_class_f32_e32 vcc, v2, v6
	v_cndmask_b32_e64 v9, v9, v16, s[6:7]
	v_cmp_lt_f32_e64 s[6:7], 0, v26
	v_mul_f32_e32 v13, 0x37800000, v9
	v_cndmask_b32_e64 v8, v8, v12, s[0:1]
	v_cndmask_b32_e64 v10, v10, v18, s[6:7]
	v_cndmask_b32_e32 v2, v7, v2, vcc
	v_cmp_class_f32_e32 vcc, v3, v6
	v_mul_f32_e32 v14, 0x37800000, v10
	v_cndmask_b32_e64 v9, v9, v13, s[2:3]
	v_cndmask_b32_e32 v3, v8, v3, vcc
	v_cmp_class_f32_e32 vcc, v4, v6
	v_cndmask_b32_e64 v10, v10, v14, s[4:5]
	s_mov_b64 s[0:1], 0
	v_cndmask_b32_e32 v4, v9, v4, vcc
	v_cmp_class_f32_e32 vcc, v5, v6
	s_nop 1
	v_cndmask_b32_e32 v5, v10, v5, vcc
	global_store_dwordx2 v1, v[2:3], s[16:17]
	global_store_dwordx2 v1, v[4:5], s[16:17] offset:2048
.LBB253_2:
	s_andn2_b64 vcc, exec, s[0:1]
	s_cbranch_vccnz .LBB253_16
; %bb.3:
	v_cmp_gt_i32_e32 vcc, s14, v0
	v_mov_b32_e32 v1, 0
	v_or_b32_e32 v2, s12, v0
	v_mov_b32_e32 v3, 0
	v_mov_b32_e32 v4, v0
	s_and_saveexec_b64 s[4:5], vcc
	s_cbranch_execz .LBB253_5
; %bb.4:
	v_mov_b32_e32 v3, 0
	v_lshl_add_u64 v[4:5], v[2:3], 2, s[10:11]
	global_load_dword v3, v[4:5], off
	s_mov_b32 s0, 0xf800000
	v_mov_b32_e32 v6, 0x260
	s_waitcnt vmcnt(0)
	v_mul_f32_e32 v4, 0x4f800000, v3
	v_cmp_gt_f32_e64 s[0:1], s0, v3
	s_nop 1
	v_cndmask_b32_e64 v3, v3, v4, s[0:1]
	v_sqrt_f32_e32 v5, v3
	v_or_b32_e32 v4, 0x100, v0
	v_add_u32_e32 v7, -1, v5
	v_add_u32_e32 v8, 1, v5
	v_fma_f32 v9, -v7, v5, v3
	v_fma_f32 v10, -v8, v5, v3
	v_cmp_ge_f32_e64 s[2:3], 0, v9
	s_nop 1
	v_cndmask_b32_e64 v5, v5, v7, s[2:3]
	v_cmp_lt_f32_e64 s[2:3], 0, v10
	s_nop 1
	v_cndmask_b32_e64 v5, v5, v8, s[2:3]
	v_mul_f32_e32 v7, 0x37800000, v5
	v_cndmask_b32_e64 v5, v5, v7, s[0:1]
	v_cmp_class_f32_e64 s[0:1], v3, v6
	s_nop 1
	v_cndmask_b32_e64 v3, v5, v3, s[0:1]
.LBB253_5:
	s_or_b64 exec, exec, s[4:5]
	v_cmp_gt_i32_e64 s[0:1], s14, v4
	s_and_saveexec_b64 s[4:5], s[0:1]
	s_cbranch_execz .LBB253_7
; %bb.6:
	v_add_u32_e32 v6, s12, v4
	v_mov_b32_e32 v7, 0
	v_lshl_add_u64 v[6:7], v[6:7], 2, s[10:11]
	global_load_dword v1, v[6:7], off
	s_mov_b32 s0, 0xf800000
	v_mov_b32_e32 v6, 0x260
	v_add_u32_e32 v4, 0x100, v4
	s_waitcnt vmcnt(0)
	v_mul_f32_e32 v5, 0x4f800000, v1
	v_cmp_gt_f32_e64 s[0:1], s0, v1
	s_nop 1
	v_cndmask_b32_e64 v1, v1, v5, s[0:1]
	v_sqrt_f32_e32 v5, v1
	s_nop 0
	v_add_u32_e32 v7, -1, v5
	v_add_u32_e32 v8, 1, v5
	v_fma_f32 v9, -v7, v5, v1
	v_fma_f32 v10, -v8, v5, v1
	v_cmp_ge_f32_e64 s[2:3], 0, v9
	s_nop 1
	v_cndmask_b32_e64 v5, v5, v7, s[2:3]
	v_cmp_lt_f32_e64 s[2:3], 0, v10
	s_nop 1
	v_cndmask_b32_e64 v5, v5, v8, s[2:3]
	v_mul_f32_e32 v7, 0x37800000, v5
	v_cndmask_b32_e64 v5, v5, v7, s[0:1]
	v_cmp_class_f32_e64 s[0:1], v1, v6
	s_nop 1
	v_cndmask_b32_e64 v1, v5, v1, s[0:1]
.LBB253_7:
	s_or_b64 exec, exec, s[4:5]
	v_cmp_gt_i32_e64 s[0:1], s14, v4
	v_mov_b32_e32 v5, 0
	v_mov_b32_e32 v6, 0
	s_and_saveexec_b64 s[4:5], s[0:1]
	s_cbranch_execz .LBB253_9
; %bb.8:
	v_add_u32_e32 v6, s12, v4
	v_mov_b32_e32 v7, 0
	v_lshl_add_u64 v[6:7], v[6:7], 2, s[10:11]
	global_load_dword v6, v[6:7], off
	s_mov_b32 s0, 0xf800000
	v_mov_b32_e32 v8, 0x260
	v_add_u32_e32 v4, 0x100, v4
	s_waitcnt vmcnt(0)
	v_mul_f32_e32 v7, 0x4f800000, v6
	v_cmp_gt_f32_e64 s[0:1], s0, v6
	s_nop 1
	v_cndmask_b32_e64 v6, v6, v7, s[0:1]
	v_sqrt_f32_e32 v7, v6
	s_nop 0
	v_add_u32_e32 v9, -1, v7
	v_add_u32_e32 v10, 1, v7
	v_fma_f32 v11, -v9, v7, v6
	v_fma_f32 v12, -v10, v7, v6
	v_cmp_ge_f32_e64 s[2:3], 0, v11
	s_nop 1
	v_cndmask_b32_e64 v7, v7, v9, s[2:3]
	v_cmp_lt_f32_e64 s[2:3], 0, v12
	s_nop 1
	v_cndmask_b32_e64 v7, v7, v10, s[2:3]
	v_mul_f32_e32 v9, 0x37800000, v7
	v_cndmask_b32_e64 v7, v7, v9, s[0:1]
	v_cmp_class_f32_e64 s[0:1], v6, v8
	s_nop 1
	v_cndmask_b32_e64 v6, v7, v6, s[0:1]
.LBB253_9:
	s_or_b64 exec, exec, s[4:5]
	v_cmp_gt_i32_e64 s[0:1], s14, v4
	s_and_saveexec_b64 s[4:5], s[0:1]
	s_cbranch_execz .LBB253_11
; %bb.10:
	v_add_u32_e32 v4, s12, v4
	v_mov_b32_e32 v5, 0
	v_lshl_add_u64 v[4:5], v[4:5], 2, s[10:11]
	global_load_dword v4, v[4:5], off
	s_mov_b32 s0, 0xf800000
	v_mov_b32_e32 v7, 0x260
	s_waitcnt vmcnt(0)
	v_mul_f32_e32 v5, 0x4f800000, v4
	v_cmp_gt_f32_e64 s[0:1], s0, v4
	s_nop 1
	v_cndmask_b32_e64 v4, v4, v5, s[0:1]
	v_sqrt_f32_e32 v5, v4
	s_nop 0
	v_add_u32_e32 v8, -1, v5
	v_add_u32_e32 v9, 1, v5
	v_fma_f32 v10, -v8, v5, v4
	v_fma_f32 v11, -v9, v5, v4
	v_cmp_ge_f32_e64 s[2:3], 0, v10
	s_nop 1
	v_cndmask_b32_e64 v5, v5, v8, s[2:3]
	v_cmp_lt_f32_e64 s[2:3], 0, v11
	s_nop 1
	v_cndmask_b32_e64 v5, v5, v9, s[2:3]
	v_mul_f32_e32 v8, 0x37800000, v5
	v_cndmask_b32_e64 v5, v5, v8, s[0:1]
	v_cmp_class_f32_e64 s[0:1], v4, v7
	s_nop 1
	v_cndmask_b32_e64 v5, v5, v4, s[0:1]
.LBB253_11:
	s_or_b64 exec, exec, s[4:5]
	v_or_b32_e32 v8, 0x100, v0
	v_cmp_gt_i32_e64 s[0:1], s14, v8
	v_cndmask_b32_e32 v9, 0, v3, vcc
	s_nop 0
	v_cndmask_b32_e64 v7, 0, v1, s[0:1]
	v_or_b32_e32 v1, 0x200, v0
	v_cmp_gt_i32_e64 s[0:1], s14, v1
	v_or_b32_e32 v1, 0x300, v0
	s_nop 0
	v_cndmask_b32_e64 v4, 0, v6, s[0:1]
	v_cmp_gt_i32_e64 s[0:1], s14, v1
	s_nop 1
	v_cndmask_b32_e64 v1, 0, v5, s[0:1]
	s_and_saveexec_b64 s[0:1], vcc
	s_cbranch_execnz .LBB253_17
; %bb.12:
	s_or_b64 exec, exec, s[0:1]
	v_cmp_gt_i32_e32 vcc, s14, v0
	s_and_saveexec_b64 s[0:1], vcc
	s_cbranch_execnz .LBB253_18
.LBB253_13:
	s_or_b64 exec, exec, s[0:1]
	v_cmp_gt_i32_e32 vcc, s14, v0
	s_and_saveexec_b64 s[0:1], vcc
	s_cbranch_execnz .LBB253_19
.LBB253_14:
	s_or_b64 exec, exec, s[0:1]
	v_cmp_gt_i32_e32 vcc, s14, v0
	s_and_saveexec_b64 s[0:1], vcc
	s_cbranch_execz .LBB253_16
.LBB253_15:
	v_add_u32_e32 v2, s12, v0
	v_mov_b32_e32 v3, 0
	v_lshl_add_u64 v[2:3], v[2:3], 2, s[8:9]
	global_store_dword v[2:3], v1, off
.LBB253_16:
	s_endpgm
.LBB253_17:
	v_mov_b32_e32 v3, 0
	v_lshl_add_u64 v[2:3], v[2:3], 2, s[8:9]
	v_mov_b32_e32 v0, v8
	global_store_dword v[2:3], v9, off
	s_or_b64 exec, exec, s[0:1]
	v_cmp_gt_i32_e32 vcc, s14, v0
	s_and_saveexec_b64 s[0:1], vcc
	s_cbranch_execz .LBB253_13
.LBB253_18:
	v_add_u32_e32 v2, s12, v0
	v_mov_b32_e32 v3, 0
	v_lshl_add_u64 v[2:3], v[2:3], 2, s[8:9]
	v_add_u32_e32 v0, 0x100, v0
	global_store_dword v[2:3], v7, off
	s_or_b64 exec, exec, s[0:1]
	v_cmp_gt_i32_e32 vcc, s14, v0
	s_and_saveexec_b64 s[0:1], vcc
	s_cbranch_execz .LBB253_14
.LBB253_19:
	v_add_u32_e32 v2, s12, v0
	v_mov_b32_e32 v3, 0
	v_lshl_add_u64 v[2:3], v[2:3], 2, s[8:9]
	v_add_u32_e32 v0, 0x100, v0
	global_store_dword v[2:3], v4, off
	s_or_b64 exec, exec, s[0:1]
	v_cmp_gt_i32_e32 vcc, s14, v0
	s_and_saveexec_b64 s[0:1], vcc
	s_cbranch_execnz .LBB253_15
	s_branch .LBB253_16
	.section	.rodata,"a",@progbits
	.p2align	6, 0x0
	.amdhsa_kernel _ZN2at6native29vectorized_elementwise_kernelILi2EZZZNS0_16sqrt_kernel_cudaERNS_18TensorIteratorBaseEENKUlvE0_clEvENKUlvE0_clEvEUlfE_St5arrayIPcLm2EEEEviT0_T1_
		.amdhsa_group_segment_fixed_size 0
		.amdhsa_private_segment_fixed_size 0
		.amdhsa_kernarg_size 24
		.amdhsa_user_sgpr_count 2
		.amdhsa_user_sgpr_dispatch_ptr 0
		.amdhsa_user_sgpr_queue_ptr 0
		.amdhsa_user_sgpr_kernarg_segment_ptr 1
		.amdhsa_user_sgpr_dispatch_id 0
		.amdhsa_user_sgpr_kernarg_preload_length 0
		.amdhsa_user_sgpr_kernarg_preload_offset 0
		.amdhsa_user_sgpr_private_segment_size 0
		.amdhsa_uses_dynamic_stack 0
		.amdhsa_enable_private_segment 0
		.amdhsa_system_sgpr_workgroup_id_x 1
		.amdhsa_system_sgpr_workgroup_id_y 0
		.amdhsa_system_sgpr_workgroup_id_z 0
		.amdhsa_system_sgpr_workgroup_info 0
		.amdhsa_system_vgpr_workitem_id 0
		.amdhsa_next_free_vgpr 27
		.amdhsa_next_free_sgpr 18
		.amdhsa_accum_offset 28
		.amdhsa_reserve_vcc 1
		.amdhsa_float_round_mode_32 0
		.amdhsa_float_round_mode_16_64 0
		.amdhsa_float_denorm_mode_32 3
		.amdhsa_float_denorm_mode_16_64 3
		.amdhsa_dx10_clamp 1
		.amdhsa_ieee_mode 1
		.amdhsa_fp16_overflow 0
		.amdhsa_tg_split 0
		.amdhsa_exception_fp_ieee_invalid_op 0
		.amdhsa_exception_fp_denorm_src 0
		.amdhsa_exception_fp_ieee_div_zero 0
		.amdhsa_exception_fp_ieee_overflow 0
		.amdhsa_exception_fp_ieee_underflow 0
		.amdhsa_exception_fp_ieee_inexact 0
		.amdhsa_exception_int_div_zero 0
	.end_amdhsa_kernel
	.section	.text._ZN2at6native29vectorized_elementwise_kernelILi2EZZZNS0_16sqrt_kernel_cudaERNS_18TensorIteratorBaseEENKUlvE0_clEvENKUlvE0_clEvEUlfE_St5arrayIPcLm2EEEEviT0_T1_,"axG",@progbits,_ZN2at6native29vectorized_elementwise_kernelILi2EZZZNS0_16sqrt_kernel_cudaERNS_18TensorIteratorBaseEENKUlvE0_clEvENKUlvE0_clEvEUlfE_St5arrayIPcLm2EEEEviT0_T1_,comdat
.Lfunc_end253:
	.size	_ZN2at6native29vectorized_elementwise_kernelILi2EZZZNS0_16sqrt_kernel_cudaERNS_18TensorIteratorBaseEENKUlvE0_clEvENKUlvE0_clEvEUlfE_St5arrayIPcLm2EEEEviT0_T1_, .Lfunc_end253-_ZN2at6native29vectorized_elementwise_kernelILi2EZZZNS0_16sqrt_kernel_cudaERNS_18TensorIteratorBaseEENKUlvE0_clEvENKUlvE0_clEvEUlfE_St5arrayIPcLm2EEEEviT0_T1_
                                        ; -- End function
	.set _ZN2at6native29vectorized_elementwise_kernelILi2EZZZNS0_16sqrt_kernel_cudaERNS_18TensorIteratorBaseEENKUlvE0_clEvENKUlvE0_clEvEUlfE_St5arrayIPcLm2EEEEviT0_T1_.num_vgpr, 27
	.set _ZN2at6native29vectorized_elementwise_kernelILi2EZZZNS0_16sqrt_kernel_cudaERNS_18TensorIteratorBaseEENKUlvE0_clEvENKUlvE0_clEvEUlfE_St5arrayIPcLm2EEEEviT0_T1_.num_agpr, 0
	.set _ZN2at6native29vectorized_elementwise_kernelILi2EZZZNS0_16sqrt_kernel_cudaERNS_18TensorIteratorBaseEENKUlvE0_clEvENKUlvE0_clEvEUlfE_St5arrayIPcLm2EEEEviT0_T1_.numbered_sgpr, 18
	.set _ZN2at6native29vectorized_elementwise_kernelILi2EZZZNS0_16sqrt_kernel_cudaERNS_18TensorIteratorBaseEENKUlvE0_clEvENKUlvE0_clEvEUlfE_St5arrayIPcLm2EEEEviT0_T1_.num_named_barrier, 0
	.set _ZN2at6native29vectorized_elementwise_kernelILi2EZZZNS0_16sqrt_kernel_cudaERNS_18TensorIteratorBaseEENKUlvE0_clEvENKUlvE0_clEvEUlfE_St5arrayIPcLm2EEEEviT0_T1_.private_seg_size, 0
	.set _ZN2at6native29vectorized_elementwise_kernelILi2EZZZNS0_16sqrt_kernel_cudaERNS_18TensorIteratorBaseEENKUlvE0_clEvENKUlvE0_clEvEUlfE_St5arrayIPcLm2EEEEviT0_T1_.uses_vcc, 1
	.set _ZN2at6native29vectorized_elementwise_kernelILi2EZZZNS0_16sqrt_kernel_cudaERNS_18TensorIteratorBaseEENKUlvE0_clEvENKUlvE0_clEvEUlfE_St5arrayIPcLm2EEEEviT0_T1_.uses_flat_scratch, 0
	.set _ZN2at6native29vectorized_elementwise_kernelILi2EZZZNS0_16sqrt_kernel_cudaERNS_18TensorIteratorBaseEENKUlvE0_clEvENKUlvE0_clEvEUlfE_St5arrayIPcLm2EEEEviT0_T1_.has_dyn_sized_stack, 0
	.set _ZN2at6native29vectorized_elementwise_kernelILi2EZZZNS0_16sqrt_kernel_cudaERNS_18TensorIteratorBaseEENKUlvE0_clEvENKUlvE0_clEvEUlfE_St5arrayIPcLm2EEEEviT0_T1_.has_recursion, 0
	.set _ZN2at6native29vectorized_elementwise_kernelILi2EZZZNS0_16sqrt_kernel_cudaERNS_18TensorIteratorBaseEENKUlvE0_clEvENKUlvE0_clEvEUlfE_St5arrayIPcLm2EEEEviT0_T1_.has_indirect_call, 0
	.section	.AMDGPU.csdata,"",@progbits
; Kernel info:
; codeLenInByte = 1716
; TotalNumSgprs: 24
; NumVgprs: 27
; NumAgprs: 0
; TotalNumVgprs: 27
; ScratchSize: 0
; MemoryBound: 0
; FloatMode: 240
; IeeeMode: 1
; LDSByteSize: 0 bytes/workgroup (compile time only)
; SGPRBlocks: 2
; VGPRBlocks: 3
; NumSGPRsForWavesPerEU: 24
; NumVGPRsForWavesPerEU: 27
; AccumOffset: 28
; Occupancy: 8
; WaveLimiterHint : 1
; COMPUTE_PGM_RSRC2:SCRATCH_EN: 0
; COMPUTE_PGM_RSRC2:USER_SGPR: 2
; COMPUTE_PGM_RSRC2:TRAP_HANDLER: 0
; COMPUTE_PGM_RSRC2:TGID_X_EN: 1
; COMPUTE_PGM_RSRC2:TGID_Y_EN: 0
; COMPUTE_PGM_RSRC2:TGID_Z_EN: 0
; COMPUTE_PGM_RSRC2:TIDIG_COMP_CNT: 0
; COMPUTE_PGM_RSRC3_GFX90A:ACCUM_OFFSET: 6
; COMPUTE_PGM_RSRC3_GFX90A:TG_SPLIT: 0
	.section	.text._ZN2at6native27unrolled_elementwise_kernelIZZZNS0_16sqrt_kernel_cudaERNS_18TensorIteratorBaseEENKUlvE0_clEvENKUlvE0_clEvEUlfE_St5arrayIPcLm2EELi4E23TrivialOffsetCalculatorILi1EjESB_NS0_6memory15LoadWithoutCastENSC_16StoreWithoutCastEEEviT_T0_T2_T3_T4_T5_,"axG",@progbits,_ZN2at6native27unrolled_elementwise_kernelIZZZNS0_16sqrt_kernel_cudaERNS_18TensorIteratorBaseEENKUlvE0_clEvENKUlvE0_clEvEUlfE_St5arrayIPcLm2EELi4E23TrivialOffsetCalculatorILi1EjESB_NS0_6memory15LoadWithoutCastENSC_16StoreWithoutCastEEEviT_T0_T2_T3_T4_T5_,comdat
	.globl	_ZN2at6native27unrolled_elementwise_kernelIZZZNS0_16sqrt_kernel_cudaERNS_18TensorIteratorBaseEENKUlvE0_clEvENKUlvE0_clEvEUlfE_St5arrayIPcLm2EELi4E23TrivialOffsetCalculatorILi1EjESB_NS0_6memory15LoadWithoutCastENSC_16StoreWithoutCastEEEviT_T0_T2_T3_T4_T5_ ; -- Begin function _ZN2at6native27unrolled_elementwise_kernelIZZZNS0_16sqrt_kernel_cudaERNS_18TensorIteratorBaseEENKUlvE0_clEvENKUlvE0_clEvEUlfE_St5arrayIPcLm2EELi4E23TrivialOffsetCalculatorILi1EjESB_NS0_6memory15LoadWithoutCastENSC_16StoreWithoutCastEEEviT_T0_T2_T3_T4_T5_
	.p2align	8
	.type	_ZN2at6native27unrolled_elementwise_kernelIZZZNS0_16sqrt_kernel_cudaERNS_18TensorIteratorBaseEENKUlvE0_clEvENKUlvE0_clEvEUlfE_St5arrayIPcLm2EELi4E23TrivialOffsetCalculatorILi1EjESB_NS0_6memory15LoadWithoutCastENSC_16StoreWithoutCastEEEviT_T0_T2_T3_T4_T5_,@function
_ZN2at6native27unrolled_elementwise_kernelIZZZNS0_16sqrt_kernel_cudaERNS_18TensorIteratorBaseEENKUlvE0_clEvENKUlvE0_clEvEUlfE_St5arrayIPcLm2EELi4E23TrivialOffsetCalculatorILi1EjESB_NS0_6memory15LoadWithoutCastENSC_16StoreWithoutCastEEEviT_T0_T2_T3_T4_T5_: ; @_ZN2at6native27unrolled_elementwise_kernelIZZZNS0_16sqrt_kernel_cudaERNS_18TensorIteratorBaseEENKUlvE0_clEvENKUlvE0_clEvEUlfE_St5arrayIPcLm2EELi4E23TrivialOffsetCalculatorILi1EjESB_NS0_6memory15LoadWithoutCastENSC_16StoreWithoutCastEEEviT_T0_T2_T3_T4_T5_
; %bb.0:
	s_load_dword s3, s[0:1], 0x0
	s_load_dwordx4 s[4:7], s[0:1], 0x8
	s_lshl_b32 s10, s2, 10
	v_mov_b32_e32 v1, 0
	v_or_b32_e32 v2, s10, v0
	s_waitcnt lgkmcnt(0)
	s_sub_i32 s11, s3, s10
	v_cmp_gt_i32_e32 vcc, s11, v0
	v_mov_b32_e32 v3, 0
	v_mov_b32_e32 v4, v0
	s_and_saveexec_b64 s[8:9], vcc
	s_cbranch_execz .LBB254_2
; %bb.1:
	v_mov_b32_e32 v3, 0
	v_lshl_add_u64 v[4:5], v[2:3], 2, s[6:7]
	global_load_dword v3, v[4:5], off
	s_mov_b32 s0, 0xf800000
	v_mov_b32_e32 v6, 0x260
	s_waitcnt vmcnt(0)
	v_mul_f32_e32 v4, 0x4f800000, v3
	v_cmp_gt_f32_e64 s[0:1], s0, v3
	s_nop 1
	v_cndmask_b32_e64 v3, v3, v4, s[0:1]
	v_sqrt_f32_e32 v5, v3
	v_or_b32_e32 v4, 0x100, v0
	v_add_u32_e32 v7, -1, v5
	v_add_u32_e32 v8, 1, v5
	v_fma_f32 v9, -v7, v5, v3
	v_fma_f32 v10, -v8, v5, v3
	v_cmp_ge_f32_e64 s[2:3], 0, v9
	s_nop 1
	v_cndmask_b32_e64 v5, v5, v7, s[2:3]
	v_cmp_lt_f32_e64 s[2:3], 0, v10
	s_nop 1
	v_cndmask_b32_e64 v5, v5, v8, s[2:3]
	v_mul_f32_e32 v7, 0x37800000, v5
	v_cndmask_b32_e64 v5, v5, v7, s[0:1]
	v_cmp_class_f32_e64 s[0:1], v3, v6
	s_nop 1
	v_cndmask_b32_e64 v3, v5, v3, s[0:1]
.LBB254_2:
	s_or_b64 exec, exec, s[8:9]
	v_cmp_gt_i32_e64 s[0:1], s11, v4
	s_and_saveexec_b64 s[8:9], s[0:1]
	s_cbranch_execz .LBB254_4
; %bb.3:
	v_add_u32_e32 v6, s10, v4
	v_mov_b32_e32 v7, 0
	v_lshl_add_u64 v[6:7], v[6:7], 2, s[6:7]
	global_load_dword v1, v[6:7], off
	s_mov_b32 s0, 0xf800000
	v_mov_b32_e32 v6, 0x260
	v_add_u32_e32 v4, 0x100, v4
	s_waitcnt vmcnt(0)
	v_mul_f32_e32 v5, 0x4f800000, v1
	v_cmp_gt_f32_e64 s[0:1], s0, v1
	s_nop 1
	v_cndmask_b32_e64 v1, v1, v5, s[0:1]
	v_sqrt_f32_e32 v5, v1
	s_nop 0
	v_add_u32_e32 v7, -1, v5
	v_add_u32_e32 v8, 1, v5
	v_fma_f32 v9, -v7, v5, v1
	v_fma_f32 v10, -v8, v5, v1
	v_cmp_ge_f32_e64 s[2:3], 0, v9
	s_nop 1
	v_cndmask_b32_e64 v5, v5, v7, s[2:3]
	v_cmp_lt_f32_e64 s[2:3], 0, v10
	s_nop 1
	v_cndmask_b32_e64 v5, v5, v8, s[2:3]
	v_mul_f32_e32 v7, 0x37800000, v5
	v_cndmask_b32_e64 v5, v5, v7, s[0:1]
	v_cmp_class_f32_e64 s[0:1], v1, v6
	s_nop 1
	v_cndmask_b32_e64 v1, v5, v1, s[0:1]
.LBB254_4:
	s_or_b64 exec, exec, s[8:9]
	v_cmp_gt_i32_e64 s[0:1], s11, v4
	v_mov_b32_e32 v5, 0
	v_mov_b32_e32 v6, 0
	s_and_saveexec_b64 s[8:9], s[0:1]
	s_cbranch_execz .LBB254_6
; %bb.5:
	v_add_u32_e32 v6, s10, v4
	v_mov_b32_e32 v7, 0
	v_lshl_add_u64 v[6:7], v[6:7], 2, s[6:7]
	global_load_dword v6, v[6:7], off
	s_mov_b32 s0, 0xf800000
	v_mov_b32_e32 v8, 0x260
	v_add_u32_e32 v4, 0x100, v4
	s_waitcnt vmcnt(0)
	v_mul_f32_e32 v7, 0x4f800000, v6
	v_cmp_gt_f32_e64 s[0:1], s0, v6
	s_nop 1
	v_cndmask_b32_e64 v6, v6, v7, s[0:1]
	v_sqrt_f32_e32 v7, v6
	s_nop 0
	v_add_u32_e32 v9, -1, v7
	v_add_u32_e32 v10, 1, v7
	v_fma_f32 v11, -v9, v7, v6
	v_fma_f32 v12, -v10, v7, v6
	v_cmp_ge_f32_e64 s[2:3], 0, v11
	s_nop 1
	v_cndmask_b32_e64 v7, v7, v9, s[2:3]
	v_cmp_lt_f32_e64 s[2:3], 0, v12
	s_nop 1
	v_cndmask_b32_e64 v7, v7, v10, s[2:3]
	v_mul_f32_e32 v9, 0x37800000, v7
	v_cndmask_b32_e64 v7, v7, v9, s[0:1]
	v_cmp_class_f32_e64 s[0:1], v6, v8
	s_nop 1
	v_cndmask_b32_e64 v6, v7, v6, s[0:1]
.LBB254_6:
	s_or_b64 exec, exec, s[8:9]
	v_cmp_gt_i32_e64 s[0:1], s11, v4
	s_and_saveexec_b64 s[8:9], s[0:1]
	s_cbranch_execz .LBB254_8
; %bb.7:
	v_add_u32_e32 v4, s10, v4
	v_mov_b32_e32 v5, 0
	v_lshl_add_u64 v[4:5], v[4:5], 2, s[6:7]
	global_load_dword v4, v[4:5], off
	s_mov_b32 s0, 0xf800000
	v_mov_b32_e32 v7, 0x260
	s_waitcnt vmcnt(0)
	v_mul_f32_e32 v5, 0x4f800000, v4
	v_cmp_gt_f32_e64 s[0:1], s0, v4
	s_nop 1
	v_cndmask_b32_e64 v4, v4, v5, s[0:1]
	v_sqrt_f32_e32 v5, v4
	s_nop 0
	v_add_u32_e32 v8, -1, v5
	v_add_u32_e32 v9, 1, v5
	v_fma_f32 v10, -v8, v5, v4
	v_fma_f32 v11, -v9, v5, v4
	v_cmp_ge_f32_e64 s[2:3], 0, v10
	s_nop 1
	v_cndmask_b32_e64 v5, v5, v8, s[2:3]
	v_cmp_lt_f32_e64 s[2:3], 0, v11
	s_nop 1
	v_cndmask_b32_e64 v5, v5, v9, s[2:3]
	v_mul_f32_e32 v8, 0x37800000, v5
	v_cndmask_b32_e64 v5, v5, v8, s[0:1]
	v_cmp_class_f32_e64 s[0:1], v4, v7
	s_nop 1
	v_cndmask_b32_e64 v5, v5, v4, s[0:1]
.LBB254_8:
	s_or_b64 exec, exec, s[8:9]
	v_or_b32_e32 v8, 0x100, v0
	v_cmp_gt_i32_e64 s[0:1], s11, v8
	v_cndmask_b32_e32 v9, 0, v3, vcc
	s_nop 0
	v_cndmask_b32_e64 v7, 0, v1, s[0:1]
	v_or_b32_e32 v1, 0x200, v0
	v_cmp_gt_i32_e64 s[0:1], s11, v1
	v_or_b32_e32 v1, 0x300, v0
	s_nop 0
	v_cndmask_b32_e64 v4, 0, v6, s[0:1]
	v_cmp_gt_i32_e64 s[0:1], s11, v1
	s_nop 1
	v_cndmask_b32_e64 v1, 0, v5, s[0:1]
	s_and_saveexec_b64 s[0:1], vcc
	s_cbranch_execnz .LBB254_13
; %bb.9:
	s_or_b64 exec, exec, s[0:1]
	v_cmp_gt_i32_e32 vcc, s11, v0
	s_and_saveexec_b64 s[0:1], vcc
	s_cbranch_execnz .LBB254_14
.LBB254_10:
	s_or_b64 exec, exec, s[0:1]
	v_cmp_gt_i32_e32 vcc, s11, v0
	s_and_saveexec_b64 s[0:1], vcc
	s_cbranch_execnz .LBB254_15
.LBB254_11:
	s_or_b64 exec, exec, s[0:1]
	v_cmp_gt_i32_e32 vcc, s11, v0
	s_and_saveexec_b64 s[0:1], vcc
	s_cbranch_execnz .LBB254_16
.LBB254_12:
	s_endpgm
.LBB254_13:
	v_mov_b32_e32 v3, 0
	v_lshl_add_u64 v[2:3], v[2:3], 2, s[4:5]
	v_mov_b32_e32 v0, v8
	global_store_dword v[2:3], v9, off
	s_or_b64 exec, exec, s[0:1]
	v_cmp_gt_i32_e32 vcc, s11, v0
	s_and_saveexec_b64 s[0:1], vcc
	s_cbranch_execz .LBB254_10
.LBB254_14:
	v_add_u32_e32 v5, 0x100, v0
	v_add_u32_e32 v2, s10, v0
	v_mov_b32_e32 v3, 0
	v_lshl_add_u64 v[2:3], v[2:3], 2, s[4:5]
	v_mov_b32_e32 v0, v5
	global_store_dword v[2:3], v7, off
	s_or_b64 exec, exec, s[0:1]
	v_cmp_gt_i32_e32 vcc, s11, v0
	s_and_saveexec_b64 s[0:1], vcc
	s_cbranch_execz .LBB254_11
.LBB254_15:
	v_add_u32_e32 v5, 0x100, v0
	v_add_u32_e32 v2, s10, v0
	v_mov_b32_e32 v3, 0
	v_lshl_add_u64 v[2:3], v[2:3], 2, s[4:5]
	v_mov_b32_e32 v0, v5
	global_store_dword v[2:3], v4, off
	s_or_b64 exec, exec, s[0:1]
	v_cmp_gt_i32_e32 vcc, s11, v0
	s_and_saveexec_b64 s[0:1], vcc
	s_cbranch_execz .LBB254_12
.LBB254_16:
	v_add_u32_e32 v2, s10, v0
	v_mov_b32_e32 v3, 0
	v_lshl_add_u64 v[2:3], v[2:3], 2, s[4:5]
	global_store_dword v[2:3], v1, off
	s_endpgm
	.section	.rodata,"a",@progbits
	.p2align	6, 0x0
	.amdhsa_kernel _ZN2at6native27unrolled_elementwise_kernelIZZZNS0_16sqrt_kernel_cudaERNS_18TensorIteratorBaseEENKUlvE0_clEvENKUlvE0_clEvEUlfE_St5arrayIPcLm2EELi4E23TrivialOffsetCalculatorILi1EjESB_NS0_6memory15LoadWithoutCastENSC_16StoreWithoutCastEEEviT_T0_T2_T3_T4_T5_
		.amdhsa_group_segment_fixed_size 0
		.amdhsa_private_segment_fixed_size 0
		.amdhsa_kernarg_size 28
		.amdhsa_user_sgpr_count 2
		.amdhsa_user_sgpr_dispatch_ptr 0
		.amdhsa_user_sgpr_queue_ptr 0
		.amdhsa_user_sgpr_kernarg_segment_ptr 1
		.amdhsa_user_sgpr_dispatch_id 0
		.amdhsa_user_sgpr_kernarg_preload_length 0
		.amdhsa_user_sgpr_kernarg_preload_offset 0
		.amdhsa_user_sgpr_private_segment_size 0
		.amdhsa_uses_dynamic_stack 0
		.amdhsa_enable_private_segment 0
		.amdhsa_system_sgpr_workgroup_id_x 1
		.amdhsa_system_sgpr_workgroup_id_y 0
		.amdhsa_system_sgpr_workgroup_id_z 0
		.amdhsa_system_sgpr_workgroup_info 0
		.amdhsa_system_vgpr_workitem_id 0
		.amdhsa_next_free_vgpr 13
		.amdhsa_next_free_sgpr 12
		.amdhsa_accum_offset 16
		.amdhsa_reserve_vcc 1
		.amdhsa_float_round_mode_32 0
		.amdhsa_float_round_mode_16_64 0
		.amdhsa_float_denorm_mode_32 3
		.amdhsa_float_denorm_mode_16_64 3
		.amdhsa_dx10_clamp 1
		.amdhsa_ieee_mode 1
		.amdhsa_fp16_overflow 0
		.amdhsa_tg_split 0
		.amdhsa_exception_fp_ieee_invalid_op 0
		.amdhsa_exception_fp_denorm_src 0
		.amdhsa_exception_fp_ieee_div_zero 0
		.amdhsa_exception_fp_ieee_overflow 0
		.amdhsa_exception_fp_ieee_underflow 0
		.amdhsa_exception_fp_ieee_inexact 0
		.amdhsa_exception_int_div_zero 0
	.end_amdhsa_kernel
	.section	.text._ZN2at6native27unrolled_elementwise_kernelIZZZNS0_16sqrt_kernel_cudaERNS_18TensorIteratorBaseEENKUlvE0_clEvENKUlvE0_clEvEUlfE_St5arrayIPcLm2EELi4E23TrivialOffsetCalculatorILi1EjESB_NS0_6memory15LoadWithoutCastENSC_16StoreWithoutCastEEEviT_T0_T2_T3_T4_T5_,"axG",@progbits,_ZN2at6native27unrolled_elementwise_kernelIZZZNS0_16sqrt_kernel_cudaERNS_18TensorIteratorBaseEENKUlvE0_clEvENKUlvE0_clEvEUlfE_St5arrayIPcLm2EELi4E23TrivialOffsetCalculatorILi1EjESB_NS0_6memory15LoadWithoutCastENSC_16StoreWithoutCastEEEviT_T0_T2_T3_T4_T5_,comdat
.Lfunc_end254:
	.size	_ZN2at6native27unrolled_elementwise_kernelIZZZNS0_16sqrt_kernel_cudaERNS_18TensorIteratorBaseEENKUlvE0_clEvENKUlvE0_clEvEUlfE_St5arrayIPcLm2EELi4E23TrivialOffsetCalculatorILi1EjESB_NS0_6memory15LoadWithoutCastENSC_16StoreWithoutCastEEEviT_T0_T2_T3_T4_T5_, .Lfunc_end254-_ZN2at6native27unrolled_elementwise_kernelIZZZNS0_16sqrt_kernel_cudaERNS_18TensorIteratorBaseEENKUlvE0_clEvENKUlvE0_clEvEUlfE_St5arrayIPcLm2EELi4E23TrivialOffsetCalculatorILi1EjESB_NS0_6memory15LoadWithoutCastENSC_16StoreWithoutCastEEEviT_T0_T2_T3_T4_T5_
                                        ; -- End function
	.set _ZN2at6native27unrolled_elementwise_kernelIZZZNS0_16sqrt_kernel_cudaERNS_18TensorIteratorBaseEENKUlvE0_clEvENKUlvE0_clEvEUlfE_St5arrayIPcLm2EELi4E23TrivialOffsetCalculatorILi1EjESB_NS0_6memory15LoadWithoutCastENSC_16StoreWithoutCastEEEviT_T0_T2_T3_T4_T5_.num_vgpr, 13
	.set _ZN2at6native27unrolled_elementwise_kernelIZZZNS0_16sqrt_kernel_cudaERNS_18TensorIteratorBaseEENKUlvE0_clEvENKUlvE0_clEvEUlfE_St5arrayIPcLm2EELi4E23TrivialOffsetCalculatorILi1EjESB_NS0_6memory15LoadWithoutCastENSC_16StoreWithoutCastEEEviT_T0_T2_T3_T4_T5_.num_agpr, 0
	.set _ZN2at6native27unrolled_elementwise_kernelIZZZNS0_16sqrt_kernel_cudaERNS_18TensorIteratorBaseEENKUlvE0_clEvENKUlvE0_clEvEUlfE_St5arrayIPcLm2EELi4E23TrivialOffsetCalculatorILi1EjESB_NS0_6memory15LoadWithoutCastENSC_16StoreWithoutCastEEEviT_T0_T2_T3_T4_T5_.numbered_sgpr, 12
	.set _ZN2at6native27unrolled_elementwise_kernelIZZZNS0_16sqrt_kernel_cudaERNS_18TensorIteratorBaseEENKUlvE0_clEvENKUlvE0_clEvEUlfE_St5arrayIPcLm2EELi4E23TrivialOffsetCalculatorILi1EjESB_NS0_6memory15LoadWithoutCastENSC_16StoreWithoutCastEEEviT_T0_T2_T3_T4_T5_.num_named_barrier, 0
	.set _ZN2at6native27unrolled_elementwise_kernelIZZZNS0_16sqrt_kernel_cudaERNS_18TensorIteratorBaseEENKUlvE0_clEvENKUlvE0_clEvEUlfE_St5arrayIPcLm2EELi4E23TrivialOffsetCalculatorILi1EjESB_NS0_6memory15LoadWithoutCastENSC_16StoreWithoutCastEEEviT_T0_T2_T3_T4_T5_.private_seg_size, 0
	.set _ZN2at6native27unrolled_elementwise_kernelIZZZNS0_16sqrt_kernel_cudaERNS_18TensorIteratorBaseEENKUlvE0_clEvENKUlvE0_clEvEUlfE_St5arrayIPcLm2EELi4E23TrivialOffsetCalculatorILi1EjESB_NS0_6memory15LoadWithoutCastENSC_16StoreWithoutCastEEEviT_T0_T2_T3_T4_T5_.uses_vcc, 1
	.set _ZN2at6native27unrolled_elementwise_kernelIZZZNS0_16sqrt_kernel_cudaERNS_18TensorIteratorBaseEENKUlvE0_clEvENKUlvE0_clEvEUlfE_St5arrayIPcLm2EELi4E23TrivialOffsetCalculatorILi1EjESB_NS0_6memory15LoadWithoutCastENSC_16StoreWithoutCastEEEviT_T0_T2_T3_T4_T5_.uses_flat_scratch, 0
	.set _ZN2at6native27unrolled_elementwise_kernelIZZZNS0_16sqrt_kernel_cudaERNS_18TensorIteratorBaseEENKUlvE0_clEvENKUlvE0_clEvEUlfE_St5arrayIPcLm2EELi4E23TrivialOffsetCalculatorILi1EjESB_NS0_6memory15LoadWithoutCastENSC_16StoreWithoutCastEEEviT_T0_T2_T3_T4_T5_.has_dyn_sized_stack, 0
	.set _ZN2at6native27unrolled_elementwise_kernelIZZZNS0_16sqrt_kernel_cudaERNS_18TensorIteratorBaseEENKUlvE0_clEvENKUlvE0_clEvEUlfE_St5arrayIPcLm2EELi4E23TrivialOffsetCalculatorILi1EjESB_NS0_6memory15LoadWithoutCastENSC_16StoreWithoutCastEEEviT_T0_T2_T3_T4_T5_.has_recursion, 0
	.set _ZN2at6native27unrolled_elementwise_kernelIZZZNS0_16sqrt_kernel_cudaERNS_18TensorIteratorBaseEENKUlvE0_clEvENKUlvE0_clEvEUlfE_St5arrayIPcLm2EELi4E23TrivialOffsetCalculatorILi1EjESB_NS0_6memory15LoadWithoutCastENSC_16StoreWithoutCastEEEviT_T0_T2_T3_T4_T5_.has_indirect_call, 0
	.section	.AMDGPU.csdata,"",@progbits
; Kernel info:
; codeLenInByte = 1184
; TotalNumSgprs: 18
; NumVgprs: 13
; NumAgprs: 0
; TotalNumVgprs: 13
; ScratchSize: 0
; MemoryBound: 0
; FloatMode: 240
; IeeeMode: 1
; LDSByteSize: 0 bytes/workgroup (compile time only)
; SGPRBlocks: 2
; VGPRBlocks: 1
; NumSGPRsForWavesPerEU: 18
; NumVGPRsForWavesPerEU: 13
; AccumOffset: 16
; Occupancy: 8
; WaveLimiterHint : 0
; COMPUTE_PGM_RSRC2:SCRATCH_EN: 0
; COMPUTE_PGM_RSRC2:USER_SGPR: 2
; COMPUTE_PGM_RSRC2:TRAP_HANDLER: 0
; COMPUTE_PGM_RSRC2:TGID_X_EN: 1
; COMPUTE_PGM_RSRC2:TGID_Y_EN: 0
; COMPUTE_PGM_RSRC2:TGID_Z_EN: 0
; COMPUTE_PGM_RSRC2:TIDIG_COMP_CNT: 0
; COMPUTE_PGM_RSRC3_GFX90A:ACCUM_OFFSET: 3
; COMPUTE_PGM_RSRC3_GFX90A:TG_SPLIT: 0
	.section	.text._ZN2at6native32elementwise_kernel_manual_unrollILi128ELi4EZNS0_22gpu_kernel_impl_nocastIZZZNS0_16sqrt_kernel_cudaERNS_18TensorIteratorBaseEENKUlvE0_clEvENKUlvE0_clEvEUlfE_EEvS4_RKT_EUlibE_EEviT1_,"axG",@progbits,_ZN2at6native32elementwise_kernel_manual_unrollILi128ELi4EZNS0_22gpu_kernel_impl_nocastIZZZNS0_16sqrt_kernel_cudaERNS_18TensorIteratorBaseEENKUlvE0_clEvENKUlvE0_clEvEUlfE_EEvS4_RKT_EUlibE_EEviT1_,comdat
	.globl	_ZN2at6native32elementwise_kernel_manual_unrollILi128ELi4EZNS0_22gpu_kernel_impl_nocastIZZZNS0_16sqrt_kernel_cudaERNS_18TensorIteratorBaseEENKUlvE0_clEvENKUlvE0_clEvEUlfE_EEvS4_RKT_EUlibE_EEviT1_ ; -- Begin function _ZN2at6native32elementwise_kernel_manual_unrollILi128ELi4EZNS0_22gpu_kernel_impl_nocastIZZZNS0_16sqrt_kernel_cudaERNS_18TensorIteratorBaseEENKUlvE0_clEvENKUlvE0_clEvEUlfE_EEvS4_RKT_EUlibE_EEviT1_
	.p2align	8
	.type	_ZN2at6native32elementwise_kernel_manual_unrollILi128ELi4EZNS0_22gpu_kernel_impl_nocastIZZZNS0_16sqrt_kernel_cudaERNS_18TensorIteratorBaseEENKUlvE0_clEvENKUlvE0_clEvEUlfE_EEvS4_RKT_EUlibE_EEviT1_,@function
_ZN2at6native32elementwise_kernel_manual_unrollILi128ELi4EZNS0_22gpu_kernel_impl_nocastIZZZNS0_16sqrt_kernel_cudaERNS_18TensorIteratorBaseEENKUlvE0_clEvENKUlvE0_clEvEUlfE_EEvS4_RKT_EUlibE_EEviT1_: ; @_ZN2at6native32elementwise_kernel_manual_unrollILi128ELi4EZNS0_22gpu_kernel_impl_nocastIZZZNS0_16sqrt_kernel_cudaERNS_18TensorIteratorBaseEENKUlvE0_clEvENKUlvE0_clEvEUlfE_EEvS4_RKT_EUlibE_EEviT1_
; %bb.0:
	s_load_dword s55, s[0:1], 0x0
	s_load_dword s33, s[0:1], 0x8
	s_add_u32 s34, s0, 8
	s_addc_u32 s35, s1, 0
	v_lshl_or_b32 v8, s2, 9, v0
	v_or_b32_e32 v16, 0x180, v8
	s_waitcnt lgkmcnt(0)
	s_add_i32 s54, s33, -1
	s_cmp_gt_u32 s54, 1
	v_cmp_le_i32_e32 vcc, s55, v16
	s_cselect_b64 s[36:37], -1, 0
	s_and_saveexec_b64 s[0:1], vcc
	s_xor_b64 s[38:39], exec, s[0:1]
	s_cbranch_execz .LBB255_8
; %bb.1:
	s_load_dwordx4 s[24:27], s[34:35], 0x4
	s_load_dwordx2 s[40:41], s[34:35], 0x14
	s_load_dwordx4 s[20:23], s[34:35], 0xc4
	s_load_dwordx4 s[16:19], s[34:35], 0x148
	s_cmp_lg_u32 s33, 0
	s_cselect_b64 s[46:47], -1, 0
	s_add_u32 s44, s34, 0xc4
	s_addc_u32 s45, s35, 0
	s_min_u32 s56, s54, 15
	s_cmp_gt_u32 s33, 1
	s_cselect_b64 s[42:43], -1, 0
	v_cmp_gt_i32_e32 vcc, s55, v8
	s_and_saveexec_b64 s[48:49], vcc
	s_cbranch_execz .LBB255_15
; %bb.2:
	s_andn2_b64 vcc, exec, s[36:37]
	s_cbranch_vccnz .LBB255_23
; %bb.3:
	s_andn2_b64 vcc, exec, s[46:47]
	s_cbranch_vccnz .LBB255_75
; %bb.4:
	s_add_i32 s58, s56, 1
	s_cmp_eq_u32 s54, 2
	s_cbranch_scc1 .LBB255_77
; %bb.5:
	s_and_b32 s57, s58, 28
	s_mov_b32 s59, 0
	v_mov_b32_e32 v0, 0
	v_mov_b32_e32 v2, 0
	s_mov_b64 s[50:51], s[34:35]
	s_mov_b64 s[52:53], s[44:45]
	v_mov_b32_e32 v4, v8
.LBB255_6:                              ; =>This Inner Loop Header: Depth=1
	s_load_dwordx8 s[8:15], s[50:51], 0x4
	s_load_dwordx4 s[28:31], s[50:51], 0x24
	s_load_dwordx8 s[0:7], s[52:53], 0x0
	s_add_u32 s50, s50, 48
	s_addc_u32 s51, s51, 0
	s_waitcnt lgkmcnt(0)
	v_mul_hi_u32 v1, s9, v4
	v_add_u32_e32 v1, v4, v1
	v_lshrrev_b32_e32 v1, s10, v1
	v_mul_lo_u32 v3, v1, s8
	v_mul_hi_u32 v5, s12, v1
	v_sub_u32_e32 v3, v4, v3
	v_add_u32_e32 v4, v1, v5
	v_lshrrev_b32_e32 v4, s13, v4
	v_mul_lo_u32 v6, v4, s11
	v_mul_hi_u32 v7, s15, v4
	v_sub_u32_e32 v1, v1, v6
	v_add_u32_e32 v6, v4, v7
	v_mul_lo_u32 v5, v3, s1
	v_mul_lo_u32 v3, v3, s0
	;; [unrolled: 1-line block ×4, first 2 shown]
	v_lshrrev_b32_e32 v6, s28, v6
	v_add3_u32 v0, v3, v0, v1
	v_mul_hi_u32 v3, s30, v6
	v_add3_u32 v1, v5, v2, v7
	v_mul_lo_u32 v2, v6, s14
	v_add_u32_e32 v3, v6, v3
	v_sub_u32_e32 v2, v4, v2
	v_lshrrev_b32_e32 v4, s31, v3
	s_add_i32 s59, s59, 4
	v_mul_lo_u32 v3, v4, s29
	s_add_u32 s52, s52, 32
	v_sub_u32_e32 v3, v6, v3
	s_addc_u32 s53, s53, 0
	v_mul_lo_u32 v5, v2, s4
	v_mul_lo_u32 v2, v2, s5
	;; [unrolled: 1-line block ×4, first 2 shown]
	s_cmp_lg_u32 s57, s59
	v_add3_u32 v2, v2, v1, v3
	v_add3_u32 v0, v5, v0, v6
	s_cbranch_scc1 .LBB255_6
; %bb.7:
	v_mov_b32_e32 v1, v2
	s_branch .LBB255_78
.LBB255_8:
	s_andn2_saveexec_b64 s[0:1], s[38:39]
	s_cbranch_execz .LBB255_104
.LBB255_9:
	v_cndmask_b32_e64 v0, 0, 1, s[36:37]
	v_cmp_ne_u32_e64 s[0:1], 1, v0
	s_andn2_b64 vcc, exec, s[36:37]
	s_cbranch_vccnz .LBB255_22
; %bb.10:
	s_cmp_lg_u32 s33, 0
	s_waitcnt lgkmcnt(0)
	s_mov_b32 s26, 0
	s_cbranch_scc0 .LBB255_25
; %bb.11:
	s_min_u32 s27, s54, 15
	s_add_i32 s27, s27, 1
	s_cmp_eq_u32 s54, 2
	s_cbranch_scc1 .LBB255_26
; %bb.12:
	s_and_b32 s26, s27, 28
	s_add_u32 s2, s34, 0xc4
	s_addc_u32 s3, s35, 0
	s_mov_b32 s28, 0
	v_mov_b32_e32 v0, 0
	v_mov_b32_e32 v2, 0
	s_mov_b64 s[24:25], s[34:35]
	v_mov_b32_e32 v4, v8
.LBB255_13:                             ; =>This Inner Loop Header: Depth=1
	s_load_dwordx8 s[12:19], s[24:25], 0x4
	s_load_dwordx4 s[20:23], s[24:25], 0x24
	s_load_dwordx8 s[4:11], s[2:3], 0x0
	s_add_u32 s24, s24, 48
	s_addc_u32 s25, s25, 0
	s_waitcnt lgkmcnt(0)
	v_mul_hi_u32 v1, s13, v4
	v_add_u32_e32 v1, v4, v1
	v_lshrrev_b32_e32 v1, s14, v1
	v_mul_lo_u32 v3, v1, s12
	v_mul_hi_u32 v5, s16, v1
	v_sub_u32_e32 v3, v4, v3
	v_add_u32_e32 v4, v1, v5
	v_lshrrev_b32_e32 v4, s17, v4
	v_mul_lo_u32 v6, v4, s15
	v_mul_hi_u32 v7, s19, v4
	v_sub_u32_e32 v1, v1, v6
	v_add_u32_e32 v6, v4, v7
	v_mul_lo_u32 v5, v3, s5
	v_mul_lo_u32 v3, v3, s4
	;; [unrolled: 1-line block ×4, first 2 shown]
	v_lshrrev_b32_e32 v6, s20, v6
	v_add3_u32 v0, v3, v0, v1
	v_mul_hi_u32 v3, s22, v6
	v_add3_u32 v1, v5, v2, v7
	v_mul_lo_u32 v2, v6, s18
	v_add_u32_e32 v3, v6, v3
	v_sub_u32_e32 v2, v4, v2
	v_lshrrev_b32_e32 v4, s23, v3
	s_add_i32 s28, s28, 4
	v_mul_lo_u32 v3, v4, s21
	s_add_u32 s2, s2, 32
	v_sub_u32_e32 v3, v6, v3
	s_addc_u32 s3, s3, 0
	v_mul_lo_u32 v5, v2, s8
	v_mul_lo_u32 v2, v2, s9
	;; [unrolled: 1-line block ×4, first 2 shown]
	s_cmp_lg_u32 s26, s28
	v_add3_u32 v2, v2, v1, v3
	v_add3_u32 v0, v5, v0, v6
	s_cbranch_scc1 .LBB255_13
; %bb.14:
	v_mov_b32_e32 v1, v2
	s_and_b32 s6, s27, 3
	s_cmp_eq_u32 s6, 0
	s_cbranch_scc0 .LBB255_27
	s_branch .LBB255_29
.LBB255_15:
	s_or_b64 exec, exec, s[48:49]
	v_cmp_gt_i32_e32 vcc, s55, v8
	s_and_saveexec_b64 s[48:49], vcc
	s_cbranch_execz .LBB255_85
.LBB255_16:
	s_andn2_b64 vcc, exec, s[36:37]
	s_cbranch_vccnz .LBB255_24
; %bb.17:
	s_andn2_b64 vcc, exec, s[46:47]
	s_cbranch_vccnz .LBB255_76
; %bb.18:
	s_add_i32 s58, s56, 1
	s_cmp_eq_u32 s54, 2
	s_cbranch_scc1 .LBB255_94
; %bb.19:
	s_and_b32 s57, s58, 28
	s_mov_b32 s59, 0
	v_mov_b32_e32 v0, 0
	v_mov_b32_e32 v2, 0
	s_mov_b64 s[50:51], s[34:35]
	s_mov_b64 s[52:53], s[44:45]
	v_mov_b32_e32 v4, v8
.LBB255_20:                             ; =>This Inner Loop Header: Depth=1
	s_load_dwordx8 s[8:15], s[50:51], 0x4
	s_load_dwordx4 s[28:31], s[50:51], 0x24
	s_load_dwordx8 s[0:7], s[52:53], 0x0
	s_add_u32 s50, s50, 48
	s_addc_u32 s51, s51, 0
	s_waitcnt lgkmcnt(0)
	v_mul_hi_u32 v1, s9, v4
	v_add_u32_e32 v1, v4, v1
	v_lshrrev_b32_e32 v1, s10, v1
	v_mul_lo_u32 v3, v1, s8
	v_mul_hi_u32 v5, s12, v1
	v_sub_u32_e32 v3, v4, v3
	v_add_u32_e32 v4, v1, v5
	v_lshrrev_b32_e32 v4, s13, v4
	v_mul_lo_u32 v6, v4, s11
	v_mul_hi_u32 v7, s15, v4
	v_sub_u32_e32 v1, v1, v6
	v_add_u32_e32 v6, v4, v7
	v_mul_lo_u32 v5, v3, s1
	v_mul_lo_u32 v3, v3, s0
	;; [unrolled: 1-line block ×4, first 2 shown]
	v_lshrrev_b32_e32 v6, s28, v6
	v_add3_u32 v0, v3, v0, v1
	v_mul_hi_u32 v3, s30, v6
	v_add3_u32 v1, v5, v2, v7
	v_mul_lo_u32 v2, v6, s14
	v_add_u32_e32 v3, v6, v3
	v_sub_u32_e32 v2, v4, v2
	v_lshrrev_b32_e32 v4, s31, v3
	s_add_i32 s59, s59, 4
	v_mul_lo_u32 v3, v4, s29
	s_add_u32 s52, s52, 32
	v_sub_u32_e32 v3, v6, v3
	s_addc_u32 s53, s53, 0
	v_mul_lo_u32 v5, v2, s4
	v_mul_lo_u32 v2, v2, s5
	v_mul_lo_u32 v6, v3, s6
	v_mul_lo_u32 v3, v3, s7
	s_cmp_eq_u32 s57, s59
	v_add3_u32 v2, v2, v1, v3
	v_add3_u32 v0, v5, v0, v6
	s_cbranch_scc0 .LBB255_20
; %bb.21:
	v_mov_b32_e32 v1, v2
	s_branch .LBB255_95
.LBB255_22:
                                        ; implicit-def: $vgpr2
                                        ; implicit-def: $vgpr0
	s_branch .LBB255_30
.LBB255_23:
                                        ; implicit-def: $vgpr2
                                        ; implicit-def: $vgpr0
	s_branch .LBB255_82
.LBB255_24:
                                        ; implicit-def: $vgpr2
                                        ; implicit-def: $vgpr0
	s_branch .LBB255_99
.LBB255_25:
	v_mov_b32_e32 v2, 0
	v_mov_b32_e32 v0, 0
	s_branch .LBB255_29
.LBB255_26:
	v_mov_b32_e32 v0, 0
                                        ; implicit-def: $vgpr2
	v_mov_b32_e32 v1, v0
	v_mov_b32_e32 v4, v8
	s_and_b32 s6, s27, 3
	s_cmp_eq_u32 s6, 0
	s_cbranch_scc1 .LBB255_29
.LBB255_27:
	s_lshl_b32 s2, s26, 3
	s_add_u32 s2, s34, s2
	s_addc_u32 s3, s35, 0
	s_add_u32 s2, s2, 0xc4
	s_addc_u32 s3, s3, 0
	s_mul_i32 s4, s26, 12
	s_add_u32 s4, s34, s4
	s_addc_u32 s5, s35, 0
.LBB255_28:                             ; =>This Inner Loop Header: Depth=1
	s_load_dwordx2 s[8:9], s[4:5], 0x4
	s_load_dword s7, s[4:5], 0xc
	s_load_dwordx2 s[10:11], s[2:3], 0x0
	v_mov_b32_e32 v2, v1
	s_add_u32 s4, s4, 12
	s_waitcnt lgkmcnt(0)
	v_mul_hi_u32 v1, s9, v4
	v_add_u32_e32 v1, v4, v1
	v_lshrrev_b32_e32 v1, s7, v1
	s_addc_u32 s5, s5, 0
	v_mul_lo_u32 v3, v1, s8
	s_add_u32 s2, s2, 8
	v_sub_u32_e32 v5, v4, v3
	s_addc_u32 s3, s3, 0
	s_add_i32 s6, s6, -1
	v_mov_b32_e32 v4, v1
	v_mad_u64_u32 v[2:3], s[8:9], v5, s11, v[2:3]
	v_mad_u64_u32 v[0:1], s[8:9], v5, s10, v[0:1]
	s_cmp_lg_u32 s6, 0
	v_mov_b32_e32 v1, v2
	s_cbranch_scc1 .LBB255_28
.LBB255_29:
	s_cbranch_execnz .LBB255_32
.LBB255_30:
	s_load_dwordx4 s[4:7], s[34:35], 0x4
	s_load_dwordx2 s[2:3], s[34:35], 0xc4
	s_cmp_lt_u32 s33, 2
	s_waitcnt lgkmcnt(0)
	v_mul_hi_u32 v0, s5, v8
	v_add_u32_e32 v0, v8, v0
	v_lshrrev_b32_e32 v1, s6, v0
	v_mul_lo_u32 v0, v1, s4
	v_sub_u32_e32 v0, v8, v0
	v_mul_lo_u32 v2, v0, s3
	v_mul_lo_u32 v0, v0, s2
	s_cbranch_scc1 .LBB255_32
; %bb.31:
	s_load_dwordx4 s[4:7], s[34:35], 0x10
	s_load_dwordx2 s[2:3], s[34:35], 0xcc
	s_waitcnt lgkmcnt(0)
	v_mul_hi_u32 v3, s5, v1
	v_add_u32_e32 v3, v1, v3
	v_lshrrev_b32_e32 v3, s6, v3
	v_mul_lo_u32 v3, v3, s4
	v_sub_u32_e32 v3, v1, v3
	v_mad_u64_u32 v[0:1], s[4:5], v3, s2, v[0:1]
	v_mad_u64_u32 v[2:3], s[2:3], v3, s3, v[2:3]
.LBB255_32:
	s_and_b64 vcc, exec, s[0:1]
	v_add_u32_e32 v3, 0x80, v8
	s_cbranch_vccnz .LBB255_38
; %bb.33:
	s_cmp_lg_u32 s33, 0
	s_waitcnt lgkmcnt(0)
	s_mov_b32 s26, 0
	s_cbranch_scc0 .LBB255_39
; %bb.34:
	s_min_u32 s27, s54, 15
	s_add_i32 s27, s27, 1
	s_cmp_eq_u32 s54, 2
	s_cbranch_scc1 .LBB255_40
; %bb.35:
	s_and_b32 s26, s27, 28
	s_add_u32 s2, s34, 0xc4
	s_addc_u32 s3, s35, 0
	s_mov_b32 s28, 0
	v_mov_b32_e32 v4, 0
	v_mov_b32_e32 v6, 0
	s_mov_b64 s[24:25], s[34:35]
	v_mov_b32_e32 v9, v3
.LBB255_36:                             ; =>This Inner Loop Header: Depth=1
	s_load_dwordx8 s[12:19], s[24:25], 0x4
	s_load_dwordx4 s[20:23], s[24:25], 0x24
	s_load_dwordx8 s[4:11], s[2:3], 0x0
	s_add_u32 s24, s24, 48
	s_addc_u32 s25, s25, 0
	s_waitcnt lgkmcnt(0)
	v_mul_hi_u32 v1, s13, v9
	v_add_u32_e32 v1, v9, v1
	v_lshrrev_b32_e32 v1, s14, v1
	v_mul_hi_u32 v7, s16, v1
	v_add_u32_e32 v7, v1, v7
	v_lshrrev_b32_e32 v7, s17, v7
	v_mul_lo_u32 v5, v1, s12
	v_mul_lo_u32 v10, v7, s15
	v_mul_hi_u32 v11, s19, v7
	v_sub_u32_e32 v5, v9, v5
	v_sub_u32_e32 v1, v1, v10
	v_add_u32_e32 v10, v7, v11
	v_mul_lo_u32 v9, v5, s5
	v_mul_lo_u32 v5, v5, s4
	;; [unrolled: 1-line block ×4, first 2 shown]
	v_lshrrev_b32_e32 v10, s20, v10
	v_add3_u32 v1, v5, v4, v1
	v_add3_u32 v4, v9, v6, v11
	v_mul_hi_u32 v6, s22, v10
	v_add_u32_e32 v6, v10, v6
	v_lshrrev_b32_e32 v9, s23, v6
	s_add_i32 s28, s28, 4
	v_mul_lo_u32 v5, v10, s18
	v_mul_lo_u32 v6, v9, s21
	s_add_u32 s2, s2, 32
	v_sub_u32_e32 v5, v7, v5
	v_sub_u32_e32 v6, v10, v6
	s_addc_u32 s3, s3, 0
	v_mul_lo_u32 v7, v5, s8
	v_mul_lo_u32 v5, v5, s9
	;; [unrolled: 1-line block ×4, first 2 shown]
	s_cmp_lg_u32 s26, s28
	v_add3_u32 v6, v5, v4, v6
	v_add3_u32 v4, v7, v1, v10
	s_cbranch_scc1 .LBB255_36
; %bb.37:
	v_mov_b32_e32 v1, v6
	s_and_b32 s6, s27, 3
	s_cmp_eq_u32 s6, 0
	s_cbranch_scc0 .LBB255_41
	s_branch .LBB255_43
.LBB255_38:
                                        ; implicit-def: $vgpr6
                                        ; implicit-def: $vgpr4
	s_branch .LBB255_44
.LBB255_39:
	v_mov_b32_e32 v6, 0
	v_mov_b32_e32 v4, 0
	s_branch .LBB255_43
.LBB255_40:
	v_mov_b32_e32 v4, 0
                                        ; implicit-def: $vgpr6
	v_mov_b32_e32 v1, v4
	v_mov_b32_e32 v9, v3
	s_and_b32 s6, s27, 3
	s_cmp_eq_u32 s6, 0
	s_cbranch_scc1 .LBB255_43
.LBB255_41:
	s_lshl_b32 s2, s26, 3
	s_add_u32 s2, s34, s2
	s_addc_u32 s3, s35, 0
	s_add_u32 s2, s2, 0xc4
	s_addc_u32 s3, s3, 0
	s_mul_i32 s4, s26, 12
	s_add_u32 s4, s34, s4
	s_addc_u32 s5, s35, 0
.LBB255_42:                             ; =>This Inner Loop Header: Depth=1
	s_load_dwordx2 s[8:9], s[4:5], 0x4
	s_load_dword s7, s[4:5], 0xc
	s_load_dwordx2 s[10:11], s[2:3], 0x0
	v_mov_b32_e32 v6, v1
	s_add_u32 s4, s4, 12
	s_waitcnt lgkmcnt(0)
	v_mul_hi_u32 v1, s9, v9
	v_add_u32_e32 v1, v9, v1
	v_lshrrev_b32_e32 v1, s7, v1
	s_addc_u32 s5, s5, 0
	v_mul_lo_u32 v5, v1, s8
	s_add_u32 s2, s2, 8
	v_sub_u32_e32 v5, v9, v5
	s_addc_u32 s3, s3, 0
	s_add_i32 s6, s6, -1
	v_mad_u64_u32 v[6:7], s[8:9], v5, s11, v[6:7]
	s_cmp_lg_u32 s6, 0
	v_mov_b32_e32 v9, v1
	v_mad_u64_u32 v[4:5], s[8:9], v5, s10, v[4:5]
	v_mov_b32_e32 v1, v6
	s_cbranch_scc1 .LBB255_42
.LBB255_43:
	s_cbranch_execnz .LBB255_46
.LBB255_44:
	s_load_dwordx4 s[4:7], s[34:35], 0x4
	s_load_dwordx2 s[2:3], s[34:35], 0xc4
	s_cmp_lt_u32 s33, 2
	s_waitcnt lgkmcnt(0)
	v_mul_hi_u32 v1, s5, v3
	v_add_u32_e32 v1, v3, v1
	v_lshrrev_b32_e32 v1, s6, v1
	v_mul_lo_u32 v4, v1, s4
	v_sub_u32_e32 v3, v3, v4
	v_mul_lo_u32 v6, v3, s3
	v_mul_lo_u32 v4, v3, s2
	s_cbranch_scc1 .LBB255_46
; %bb.45:
	s_load_dwordx4 s[4:7], s[34:35], 0x10
	s_load_dwordx2 s[2:3], s[34:35], 0xcc
	s_waitcnt lgkmcnt(0)
	v_mul_hi_u32 v3, s5, v1
	v_add_u32_e32 v3, v1, v3
	v_lshrrev_b32_e32 v3, s6, v3
	v_mul_lo_u32 v3, v3, s4
	v_sub_u32_e32 v1, v1, v3
	v_mad_u64_u32 v[4:5], s[4:5], v1, s2, v[4:5]
	v_mad_u64_u32 v[6:7], s[2:3], v1, s3, v[6:7]
.LBB255_46:
	s_and_b64 vcc, exec, s[0:1]
	v_add_u32_e32 v3, 0x100, v8
	s_cbranch_vccnz .LBB255_52
; %bb.47:
	s_cmp_lg_u32 s33, 0
	s_waitcnt lgkmcnt(0)
	s_mov_b32 s26, 0
	s_cbranch_scc0 .LBB255_53
; %bb.48:
	s_min_u32 s27, s54, 15
	s_add_i32 s27, s27, 1
	s_cmp_eq_u32 s54, 2
	s_cbranch_scc1 .LBB255_54
; %bb.49:
	s_and_b32 s26, s27, 28
	s_add_u32 s2, s34, 0xc4
	s_addc_u32 s3, s35, 0
	s_mov_b32 s28, 0
	v_mov_b32_e32 v8, 0
	v_mov_b32_e32 v10, 0
	s_mov_b64 s[24:25], s[34:35]
	v_mov_b32_e32 v5, v3
.LBB255_50:                             ; =>This Inner Loop Header: Depth=1
	s_load_dwordx8 s[12:19], s[24:25], 0x4
	s_load_dwordx4 s[20:23], s[24:25], 0x24
	s_load_dwordx8 s[4:11], s[2:3], 0x0
	s_add_u32 s24, s24, 48
	s_addc_u32 s25, s25, 0
	s_waitcnt lgkmcnt(0)
	v_mul_hi_u32 v1, s13, v5
	v_add_u32_e32 v1, v5, v1
	v_lshrrev_b32_e32 v1, s14, v1
	v_mul_lo_u32 v7, v1, s12
	v_mul_hi_u32 v9, s16, v1
	v_sub_u32_e32 v5, v5, v7
	v_add_u32_e32 v7, v1, v9
	v_lshrrev_b32_e32 v7, s17, v7
	v_mul_lo_u32 v11, v7, s15
	v_mul_hi_u32 v12, s19, v7
	v_sub_u32_e32 v1, v1, v11
	v_add_u32_e32 v11, v7, v12
	v_mul_lo_u32 v9, v5, s5
	v_mul_lo_u32 v5, v5, s4
	;; [unrolled: 1-line block ×4, first 2 shown]
	v_lshrrev_b32_e32 v11, s20, v11
	v_add3_u32 v1, v5, v8, v1
	v_add3_u32 v8, v9, v10, v12
	v_mul_lo_u32 v5, v11, s18
	v_mul_hi_u32 v9, s22, v11
	v_sub_u32_e32 v5, v7, v5
	v_add_u32_e32 v7, v11, v9
	v_mul_lo_u32 v9, v5, s8
	v_mul_lo_u32 v10, v5, s9
	v_lshrrev_b32_e32 v5, s23, v7
	s_add_i32 s28, s28, 4
	v_mul_lo_u32 v7, v5, s21
	s_add_u32 s2, s2, 32
	v_sub_u32_e32 v7, v11, v7
	s_addc_u32 s3, s3, 0
	v_mul_lo_u32 v11, v7, s10
	v_mul_lo_u32 v7, v7, s11
	s_cmp_lg_u32 s26, s28
	v_add3_u32 v10, v10, v8, v7
	v_add3_u32 v8, v9, v1, v11
	s_cbranch_scc1 .LBB255_50
; %bb.51:
	v_mov_b32_e32 v1, v10
	s_and_b32 s6, s27, 3
	s_cmp_eq_u32 s6, 0
	s_cbranch_scc0 .LBB255_55
	s_branch .LBB255_57
.LBB255_52:
                                        ; implicit-def: $vgpr10
                                        ; implicit-def: $vgpr8
	s_branch .LBB255_58
.LBB255_53:
	v_mov_b32_e32 v10, 0
	v_mov_b32_e32 v8, 0
	s_branch .LBB255_57
.LBB255_54:
	v_mov_b32_e32 v8, 0
                                        ; implicit-def: $vgpr10
	v_mov_b32_e32 v1, v8
	v_mov_b32_e32 v5, v3
	s_and_b32 s6, s27, 3
	s_cmp_eq_u32 s6, 0
	s_cbranch_scc1 .LBB255_57
.LBB255_55:
	s_lshl_b32 s2, s26, 3
	s_add_u32 s2, s34, s2
	s_addc_u32 s3, s35, 0
	s_add_u32 s2, s2, 0xc4
	s_addc_u32 s3, s3, 0
	s_mul_i32 s4, s26, 12
	s_add_u32 s4, s34, s4
	s_addc_u32 s5, s35, 0
.LBB255_56:                             ; =>This Inner Loop Header: Depth=1
	s_load_dwordx2 s[8:9], s[4:5], 0x4
	s_load_dword s7, s[4:5], 0xc
	s_load_dwordx2 s[10:11], s[2:3], 0x0
	v_mov_b32_e32 v10, v1
	s_add_u32 s4, s4, 12
	s_waitcnt lgkmcnt(0)
	v_mul_hi_u32 v1, s9, v5
	v_add_u32_e32 v1, v5, v1
	v_lshrrev_b32_e32 v1, s7, v1
	s_addc_u32 s5, s5, 0
	v_mul_lo_u32 v7, v1, s8
	s_add_u32 s2, s2, 8
	v_sub_u32_e32 v7, v5, v7
	s_addc_u32 s3, s3, 0
	s_add_i32 s6, s6, -1
	v_mad_u64_u32 v[10:11], s[8:9], v7, s11, v[10:11]
	s_cmp_lg_u32 s6, 0
	v_mov_b32_e32 v5, v1
	v_mad_u64_u32 v[8:9], s[8:9], v7, s10, v[8:9]
	v_mov_b32_e32 v1, v10
	s_cbranch_scc1 .LBB255_56
.LBB255_57:
	s_cbranch_execnz .LBB255_60
.LBB255_58:
	s_load_dwordx4 s[4:7], s[34:35], 0x4
	s_load_dwordx2 s[2:3], s[34:35], 0xc4
	s_cmp_lt_u32 s33, 2
	s_waitcnt lgkmcnt(0)
	v_mul_hi_u32 v1, s5, v3
	v_add_u32_e32 v1, v3, v1
	v_lshrrev_b32_e32 v1, s6, v1
	v_mul_lo_u32 v5, v1, s4
	v_sub_u32_e32 v3, v3, v5
	v_mul_lo_u32 v10, v3, s3
	v_mul_lo_u32 v8, v3, s2
	s_cbranch_scc1 .LBB255_60
; %bb.59:
	s_load_dwordx4 s[4:7], s[34:35], 0x10
	s_load_dwordx2 s[2:3], s[34:35], 0xcc
	s_waitcnt lgkmcnt(0)
	v_mul_hi_u32 v3, s5, v1
	v_add_u32_e32 v3, v1, v3
	v_lshrrev_b32_e32 v3, s6, v3
	v_mul_lo_u32 v3, v3, s4
	v_sub_u32_e32 v1, v1, v3
	v_mad_u64_u32 v[8:9], s[4:5], v1, s2, v[8:9]
	v_mad_u64_u32 v[10:11], s[2:3], v1, s3, v[10:11]
.LBB255_60:
	s_and_b64 vcc, exec, s[0:1]
	s_cbranch_vccnz .LBB255_66
; %bb.61:
	s_cmp_lg_u32 s33, 0
	s_waitcnt lgkmcnt(0)
	s_mov_b32 s24, 0
	s_cbranch_scc0 .LBB255_67
; %bb.62:
	s_min_u32 s25, s54, 15
	s_add_i32 s25, s25, 1
	s_cmp_eq_u32 s54, 2
	s_cbranch_scc1 .LBB255_68
; %bb.63:
	s_and_b32 s24, s25, 28
	s_add_u32 s20, s34, 0xc4
	s_addc_u32 s21, s35, 0
	s_mov_b32 s26, 0
	v_mov_b32_e32 v12, 0
	v_mov_b32_e32 v14, 0
	s_mov_b64 s[22:23], s[34:35]
	v_mov_b32_e32 v3, v16
.LBB255_64:                             ; =>This Inner Loop Header: Depth=1
	s_load_dwordx8 s[8:15], s[22:23], 0x4
	s_load_dwordx4 s[16:19], s[22:23], 0x24
	s_load_dwordx8 s[0:7], s[20:21], 0x0
	s_add_u32 s22, s22, 48
	s_addc_u32 s23, s23, 0
	s_waitcnt lgkmcnt(0)
	v_mul_hi_u32 v1, s9, v3
	v_add_u32_e32 v1, v3, v1
	v_lshrrev_b32_e32 v1, s10, v1
	v_mul_lo_u32 v5, v1, s8
	v_mul_hi_u32 v7, s12, v1
	v_sub_u32_e32 v3, v3, v5
	v_add_u32_e32 v5, v1, v7
	v_lshrrev_b32_e32 v5, s13, v5
	v_mul_lo_u32 v9, v5, s11
	v_mul_hi_u32 v11, s15, v5
	v_sub_u32_e32 v1, v1, v9
	v_add_u32_e32 v9, v5, v11
	v_mul_lo_u32 v7, v3, s1
	v_mul_lo_u32 v3, v3, s0
	;; [unrolled: 1-line block ×4, first 2 shown]
	v_lshrrev_b32_e32 v9, s16, v9
	v_add3_u32 v1, v3, v12, v1
	v_add3_u32 v7, v7, v14, v11
	v_mul_lo_u32 v3, v9, s14
	v_mul_hi_u32 v11, s18, v9
	v_sub_u32_e32 v3, v5, v3
	v_add_u32_e32 v5, v9, v11
	v_mul_lo_u32 v11, v3, s4
	v_mul_lo_u32 v12, v3, s5
	v_lshrrev_b32_e32 v3, s19, v5
	s_add_i32 s26, s26, 4
	v_mul_lo_u32 v5, v3, s17
	s_add_u32 s20, s20, 32
	v_sub_u32_e32 v5, v9, v5
	s_addc_u32 s21, s21, 0
	v_mul_lo_u32 v9, v5, s6
	v_mul_lo_u32 v5, v5, s7
	s_cmp_lg_u32 s24, s26
	v_add3_u32 v14, v12, v7, v5
	v_add3_u32 v12, v11, v1, v9
	s_cbranch_scc1 .LBB255_64
; %bb.65:
	v_mov_b32_e32 v1, v14
	s_and_b32 s4, s25, 3
	s_cmp_eq_u32 s4, 0
	s_cbranch_scc0 .LBB255_69
	s_branch .LBB255_71
.LBB255_66:
                                        ; implicit-def: $vgpr14
                                        ; implicit-def: $vgpr12
	s_branch .LBB255_72
.LBB255_67:
	v_mov_b32_e32 v14, 0
	v_mov_b32_e32 v12, 0
	s_branch .LBB255_71
.LBB255_68:
	v_mov_b32_e32 v12, 0
                                        ; implicit-def: $vgpr14
	v_mov_b32_e32 v1, v12
	v_mov_b32_e32 v3, v16
	s_and_b32 s4, s25, 3
	s_cmp_eq_u32 s4, 0
	s_cbranch_scc1 .LBB255_71
.LBB255_69:
	s_lshl_b32 s0, s24, 3
	s_add_u32 s0, s34, s0
	s_addc_u32 s1, s35, 0
	s_add_u32 s0, s0, 0xc4
	s_addc_u32 s1, s1, 0
	s_mul_i32 s2, s24, 12
	s_add_u32 s2, s34, s2
	s_addc_u32 s3, s35, 0
.LBB255_70:                             ; =>This Inner Loop Header: Depth=1
	s_load_dwordx2 s[6:7], s[2:3], 0x4
	s_load_dword s5, s[2:3], 0xc
	s_load_dwordx2 s[8:9], s[0:1], 0x0
	v_mov_b32_e32 v14, v1
	s_add_u32 s2, s2, 12
	s_waitcnt lgkmcnt(0)
	v_mul_hi_u32 v1, s7, v3
	v_add_u32_e32 v1, v3, v1
	v_lshrrev_b32_e32 v1, s5, v1
	s_addc_u32 s3, s3, 0
	v_mul_lo_u32 v5, v1, s6
	s_add_u32 s0, s0, 8
	v_sub_u32_e32 v5, v3, v5
	s_addc_u32 s1, s1, 0
	s_add_i32 s4, s4, -1
	v_mad_u64_u32 v[14:15], s[6:7], v5, s9, v[14:15]
	s_cmp_lg_u32 s4, 0
	v_mov_b32_e32 v3, v1
	v_mad_u64_u32 v[12:13], s[6:7], v5, s8, v[12:13]
	v_mov_b32_e32 v1, v14
	s_cbranch_scc1 .LBB255_70
.LBB255_71:
	s_cbranch_execnz .LBB255_74
.LBB255_72:
	s_load_dwordx4 s[0:3], s[34:35], 0x4
	s_load_dwordx2 s[4:5], s[34:35], 0xc4
	s_cmp_lt_u32 s33, 2
	s_waitcnt lgkmcnt(0)
	v_mul_hi_u32 v1, s1, v16
	v_add_u32_e32 v1, v16, v1
	v_lshrrev_b32_e32 v1, s2, v1
	v_mul_lo_u32 v3, v1, s0
	v_sub_u32_e32 v3, v16, v3
	v_mul_lo_u32 v14, v3, s5
	v_mul_lo_u32 v12, v3, s4
	s_cbranch_scc1 .LBB255_74
; %bb.73:
	s_load_dwordx4 s[0:3], s[34:35], 0x10
	s_load_dwordx2 s[4:5], s[34:35], 0xcc
	s_waitcnt lgkmcnt(0)
	v_mul_hi_u32 v3, s1, v1
	v_add_u32_e32 v3, v1, v3
	v_lshrrev_b32_e32 v3, s2, v3
	v_mul_lo_u32 v3, v3, s0
	v_sub_u32_e32 v1, v1, v3
	v_mad_u64_u32 v[12:13], s[0:1], v1, s4, v[12:13]
	v_mad_u64_u32 v[14:15], s[0:1], v1, s5, v[14:15]
.LBB255_74:
	s_load_dwordx4 s[8:11], s[34:35], 0x148
	s_mov_b32 s4, 0xf800000
	s_waitcnt lgkmcnt(0)
	global_load_dword v1, v2, s[10:11]
	global_load_dword v3, v6, s[10:11]
	global_load_dword v5, v10, s[10:11]
	global_load_dword v7, v14, s[10:11]
	v_mov_b32_e32 v2, 0x260
	s_waitcnt vmcnt(3)
	v_mul_f32_e32 v6, 0x4f800000, v1
	v_cmp_gt_f32_e32 vcc, s4, v1
	s_waitcnt vmcnt(2)
	v_mul_f32_e32 v9, 0x4f800000, v3
	s_waitcnt vmcnt(0)
	v_mul_f32_e32 v11, 0x4f800000, v7
	v_cndmask_b32_e32 v1, v1, v6, vcc
	v_cmp_gt_f32_e64 s[0:1], s4, v3
	v_cmp_gt_f32_e64 s[2:3], s4, v5
	;; [unrolled: 1-line block ×3, first 2 shown]
	v_mul_f32_e32 v10, 0x4f800000, v5
	v_cndmask_b32_e64 v3, v3, v9, s[0:1]
	v_cndmask_b32_e64 v6, v7, v11, s[4:5]
	v_sqrt_f32_e32 v7, v1
	v_cndmask_b32_e64 v5, v5, v10, s[2:3]
	v_sqrt_f32_e32 v9, v3
	v_sqrt_f32_e32 v10, v5
	;; [unrolled: 1-line block ×3, first 2 shown]
	v_add_u32_e32 v13, -1, v7
	v_add_u32_e32 v15, -1, v9
	v_fma_f32 v21, -v13, v7, v1
	v_add_u32_e32 v14, 1, v7
	v_add_u32_e32 v17, -1, v10
	v_fma_f32 v23, -v15, v9, v3
	v_cmp_ge_f32_e64 s[6:7], 0, v21
	v_add_u32_e32 v16, 1, v9
	v_add_u32_e32 v19, -1, v11
	v_fma_f32 v22, -v14, v7, v1
	v_fma_f32 v25, -v17, v10, v5
	v_cndmask_b32_e64 v7, v7, v13, s[6:7]
	v_cmp_ge_f32_e64 s[6:7], 0, v23
	v_add_u32_e32 v18, 1, v10
	v_fma_f32 v24, -v16, v9, v3
	v_fma_f32 v27, -v19, v11, v6
	v_cndmask_b32_e64 v9, v9, v15, s[6:7]
	v_cmp_ge_f32_e64 s[6:7], 0, v25
	v_add_u32_e32 v20, 1, v11
	v_fma_f32 v26, -v18, v10, v5
	v_cndmask_b32_e64 v10, v10, v17, s[6:7]
	v_cmp_ge_f32_e64 s[6:7], 0, v27
	v_fma_f32 v28, -v20, v11, v6
	s_nop 0
	v_cndmask_b32_e64 v11, v11, v19, s[6:7]
	v_cmp_lt_f32_e64 s[6:7], 0, v22
	s_nop 1
	v_cndmask_b32_e64 v7, v7, v14, s[6:7]
	v_cmp_lt_f32_e64 s[6:7], 0, v24
	v_mul_f32_e32 v13, 0x37800000, v7
	v_cndmask_b32_e32 v7, v7, v13, vcc
	v_cndmask_b32_e64 v9, v9, v16, s[6:7]
	v_cmp_lt_f32_e64 s[6:7], 0, v26
	v_mul_f32_e32 v14, 0x37800000, v9
	v_cmp_class_f32_e32 vcc, v1, v2
	v_cndmask_b32_e64 v10, v10, v18, s[6:7]
	v_cmp_lt_f32_e64 s[6:7], 0, v28
	v_mul_f32_e32 v15, 0x37800000, v10
	v_cndmask_b32_e64 v9, v9, v14, s[0:1]
	v_cndmask_b32_e64 v11, v11, v20, s[6:7]
	v_cndmask_b32_e32 v1, v7, v1, vcc
	v_cmp_class_f32_e32 vcc, v3, v2
	v_mul_f32_e32 v16, 0x37800000, v11
	v_cndmask_b32_e64 v10, v10, v15, s[2:3]
	v_cndmask_b32_e32 v3, v9, v3, vcc
	v_cmp_class_f32_e32 vcc, v5, v2
	v_cndmask_b32_e64 v11, v11, v16, s[4:5]
	s_nop 0
	v_cndmask_b32_e32 v5, v10, v5, vcc
	v_cmp_class_f32_e32 vcc, v6, v2
	s_nop 1
	v_cndmask_b32_e32 v2, v11, v6, vcc
	global_store_dword v0, v1, s[8:9]
	global_store_dword v4, v3, s[8:9]
	;; [unrolled: 1-line block ×4, first 2 shown]
	s_endpgm
.LBB255_75:
	v_mov_b32_e32 v2, 0
	v_mov_b32_e32 v0, 0
	s_branch .LBB255_81
.LBB255_76:
	v_mov_b32_e32 v2, 0
	v_mov_b32_e32 v0, 0
	s_branch .LBB255_98
.LBB255_77:
	v_mov_b32_e32 v0, 0
	s_mov_b32 s57, 0
	v_mov_b32_e32 v1, v0
                                        ; implicit-def: $vgpr2
	v_mov_b32_e32 v4, v8
.LBB255_78:
	s_and_b32 s4, s58, 3
	s_cmp_eq_u32 s4, 0
	s_cbranch_scc1 .LBB255_81
; %bb.79:
	s_lshl_b32 s0, s57, 3
	s_add_u32 s0, s34, s0
	s_addc_u32 s1, s35, 0
	s_add_u32 s0, s0, 0xc4
	s_addc_u32 s1, s1, 0
	s_mul_i32 s2, s57, 12
	s_add_u32 s2, s34, s2
	s_addc_u32 s3, s35, 0
.LBB255_80:                             ; =>This Inner Loop Header: Depth=1
	s_load_dwordx2 s[6:7], s[2:3], 0x4
	s_load_dword s5, s[2:3], 0xc
	s_load_dwordx2 s[8:9], s[0:1], 0x0
	v_mov_b32_e32 v2, v1
	s_add_u32 s2, s2, 12
	s_waitcnt lgkmcnt(0)
	v_mul_hi_u32 v1, s7, v4
	v_add_u32_e32 v1, v4, v1
	v_lshrrev_b32_e32 v1, s5, v1
	s_addc_u32 s3, s3, 0
	v_mul_lo_u32 v3, v1, s6
	s_add_u32 s0, s0, 8
	v_sub_u32_e32 v5, v4, v3
	s_addc_u32 s1, s1, 0
	s_add_i32 s4, s4, -1
	v_mov_b32_e32 v4, v1
	v_mad_u64_u32 v[2:3], s[6:7], v5, s9, v[2:3]
	v_mad_u64_u32 v[0:1], s[6:7], v5, s8, v[0:1]
	s_cmp_lg_u32 s4, 0
	v_mov_b32_e32 v1, v2
	s_cbranch_scc1 .LBB255_80
.LBB255_81:
	s_cbranch_execnz .LBB255_84
.LBB255_82:
	s_waitcnt lgkmcnt(0)
	v_mul_hi_u32 v0, s25, v8
	v_add_u32_e32 v0, v8, v0
	v_lshrrev_b32_e32 v1, s26, v0
	v_mul_lo_u32 v0, v1, s24
	v_sub_u32_e32 v0, v8, v0
	v_mul_lo_u32 v2, v0, s21
	s_andn2_b64 vcc, exec, s[42:43]
	v_mul_lo_u32 v0, v0, s20
	s_cbranch_vccnz .LBB255_84
; %bb.83:
	v_mul_hi_u32 v3, s40, v1
	v_add_u32_e32 v3, v1, v3
	v_lshrrev_b32_e32 v3, s41, v3
	v_mul_lo_u32 v3, v3, s27
	v_sub_u32_e32 v3, v1, v3
	v_mad_u64_u32 v[0:1], s[0:1], v3, s22, v[0:1]
	v_mad_u64_u32 v[2:3], s[0:1], v3, s23, v[2:3]
.LBB255_84:
	s_waitcnt lgkmcnt(0)
	global_load_dword v1, v2, s[18:19]
	s_mov_b32 s0, 0xf800000
	v_mov_b32_e32 v3, 0x260
	v_add_u32_e32 v8, 0x80, v8
	s_waitcnt vmcnt(0)
	v_mul_f32_e32 v2, 0x4f800000, v1
	v_cmp_gt_f32_e32 vcc, s0, v1
	s_nop 1
	v_cndmask_b32_e32 v1, v1, v2, vcc
	v_sqrt_f32_e32 v2, v1
	s_nop 0
	v_add_u32_e32 v4, -1, v2
	v_add_u32_e32 v5, 1, v2
	v_fma_f32 v6, -v4, v2, v1
	v_fma_f32 v7, -v5, v2, v1
	v_cmp_ge_f32_e64 s[0:1], 0, v6
	s_nop 1
	v_cndmask_b32_e64 v2, v2, v4, s[0:1]
	v_cmp_lt_f32_e64 s[0:1], 0, v7
	s_nop 1
	v_cndmask_b32_e64 v2, v2, v5, s[0:1]
	v_mul_f32_e32 v4, 0x37800000, v2
	v_cndmask_b32_e32 v2, v2, v4, vcc
	v_cmp_class_f32_e32 vcc, v1, v3
	s_nop 1
	v_cndmask_b32_e32 v1, v2, v1, vcc
	global_store_dword v0, v1, s[16:17]
	s_or_b64 exec, exec, s[48:49]
	v_cmp_gt_i32_e32 vcc, s55, v8
	s_and_saveexec_b64 s[48:49], vcc
	s_cbranch_execnz .LBB255_16
.LBB255_85:
	s_or_b64 exec, exec, s[48:49]
	v_cmp_gt_i32_e32 vcc, s55, v8
	s_and_saveexec_b64 s[48:49], vcc
	s_cbranch_execz .LBB255_102
.LBB255_86:
	s_andn2_b64 vcc, exec, s[36:37]
	s_cbranch_vccnz .LBB255_92
; %bb.87:
	s_andn2_b64 vcc, exec, s[46:47]
	s_cbranch_vccnz .LBB255_93
; %bb.88:
	s_add_i32 s58, s56, 1
	s_cmp_eq_u32 s54, 2
	s_cbranch_scc1 .LBB255_105
; %bb.89:
	s_and_b32 s57, s58, 28
	s_mov_b32 s59, 0
	v_mov_b32_e32 v0, 0
	v_mov_b32_e32 v2, 0
	s_mov_b64 s[50:51], s[34:35]
	s_mov_b64 s[52:53], s[44:45]
	v_mov_b32_e32 v4, v8
.LBB255_90:                             ; =>This Inner Loop Header: Depth=1
	s_load_dwordx8 s[8:15], s[50:51], 0x4
	s_load_dwordx4 s[28:31], s[50:51], 0x24
	s_load_dwordx8 s[0:7], s[52:53], 0x0
	s_add_u32 s50, s50, 48
	s_addc_u32 s51, s51, 0
	s_waitcnt lgkmcnt(0)
	v_mul_hi_u32 v1, s9, v4
	v_add_u32_e32 v1, v4, v1
	v_lshrrev_b32_e32 v1, s10, v1
	v_mul_lo_u32 v3, v1, s8
	v_mul_hi_u32 v5, s12, v1
	v_sub_u32_e32 v3, v4, v3
	v_add_u32_e32 v4, v1, v5
	v_lshrrev_b32_e32 v4, s13, v4
	v_mul_lo_u32 v6, v4, s11
	v_mul_hi_u32 v7, s15, v4
	v_sub_u32_e32 v1, v1, v6
	v_add_u32_e32 v6, v4, v7
	v_mul_lo_u32 v5, v3, s1
	v_mul_lo_u32 v3, v3, s0
	;; [unrolled: 1-line block ×4, first 2 shown]
	v_lshrrev_b32_e32 v6, s28, v6
	v_add3_u32 v0, v3, v0, v1
	v_mul_hi_u32 v3, s30, v6
	v_add3_u32 v1, v5, v2, v7
	v_mul_lo_u32 v2, v6, s14
	v_add_u32_e32 v3, v6, v3
	v_sub_u32_e32 v2, v4, v2
	v_lshrrev_b32_e32 v4, s31, v3
	s_add_i32 s59, s59, 4
	v_mul_lo_u32 v3, v4, s29
	s_add_u32 s52, s52, 32
	v_sub_u32_e32 v3, v6, v3
	s_addc_u32 s53, s53, 0
	v_mul_lo_u32 v5, v2, s4
	v_mul_lo_u32 v2, v2, s5
	;; [unrolled: 1-line block ×4, first 2 shown]
	s_cmp_eq_u32 s57, s59
	v_add3_u32 v2, v2, v1, v3
	v_add3_u32 v0, v5, v0, v6
	s_cbranch_scc0 .LBB255_90
; %bb.91:
	v_mov_b32_e32 v1, v2
	s_branch .LBB255_106
.LBB255_92:
                                        ; implicit-def: $vgpr2
                                        ; implicit-def: $vgpr0
	s_branch .LBB255_110
.LBB255_93:
	v_mov_b32_e32 v2, 0
	v_mov_b32_e32 v0, 0
	s_branch .LBB255_109
.LBB255_94:
	v_mov_b32_e32 v0, 0
	s_mov_b32 s57, 0
	v_mov_b32_e32 v1, v0
                                        ; implicit-def: $vgpr2
	v_mov_b32_e32 v4, v8
.LBB255_95:
	s_and_b32 s4, s58, 3
	s_cmp_eq_u32 s4, 0
	s_cbranch_scc1 .LBB255_98
; %bb.96:
	s_lshl_b32 s0, s57, 3
	s_add_u32 s0, s34, s0
	s_addc_u32 s1, s35, 0
	s_add_u32 s0, s0, 0xc4
	s_addc_u32 s1, s1, 0
	s_mul_i32 s2, s57, 12
	s_add_u32 s2, s34, s2
	s_addc_u32 s3, s35, 0
.LBB255_97:                             ; =>This Inner Loop Header: Depth=1
	s_load_dwordx2 s[6:7], s[2:3], 0x4
	s_load_dword s5, s[2:3], 0xc
	s_load_dwordx2 s[8:9], s[0:1], 0x0
	v_mov_b32_e32 v2, v1
	s_add_u32 s2, s2, 12
	s_waitcnt lgkmcnt(0)
	v_mul_hi_u32 v1, s7, v4
	v_add_u32_e32 v1, v4, v1
	v_lshrrev_b32_e32 v1, s5, v1
	s_addc_u32 s3, s3, 0
	v_mul_lo_u32 v3, v1, s6
	s_add_u32 s0, s0, 8
	v_sub_u32_e32 v5, v4, v3
	s_addc_u32 s1, s1, 0
	s_add_i32 s4, s4, -1
	v_mov_b32_e32 v4, v1
	v_mad_u64_u32 v[2:3], s[6:7], v5, s9, v[2:3]
	v_mad_u64_u32 v[0:1], s[6:7], v5, s8, v[0:1]
	s_cmp_lg_u32 s4, 0
	v_mov_b32_e32 v1, v2
	s_cbranch_scc1 .LBB255_97
.LBB255_98:
	s_cbranch_execnz .LBB255_101
.LBB255_99:
	s_waitcnt lgkmcnt(0)
	v_mul_hi_u32 v0, s25, v8
	v_add_u32_e32 v0, v8, v0
	v_lshrrev_b32_e32 v1, s26, v0
	v_mul_lo_u32 v0, v1, s24
	v_sub_u32_e32 v0, v8, v0
	v_mul_lo_u32 v2, v0, s21
	s_andn2_b64 vcc, exec, s[42:43]
	v_mul_lo_u32 v0, v0, s20
	s_cbranch_vccnz .LBB255_101
; %bb.100:
	v_mul_hi_u32 v3, s40, v1
	v_add_u32_e32 v3, v1, v3
	v_lshrrev_b32_e32 v3, s41, v3
	v_mul_lo_u32 v3, v3, s27
	v_sub_u32_e32 v3, v1, v3
	v_mad_u64_u32 v[0:1], s[0:1], v3, s22, v[0:1]
	v_mad_u64_u32 v[2:3], s[0:1], v3, s23, v[2:3]
.LBB255_101:
	s_waitcnt lgkmcnt(0)
	global_load_dword v1, v2, s[18:19]
	s_mov_b32 s0, 0xf800000
	v_mov_b32_e32 v3, 0x260
	v_add_u32_e32 v8, 0x80, v8
	s_waitcnt vmcnt(0)
	v_mul_f32_e32 v2, 0x4f800000, v1
	v_cmp_gt_f32_e32 vcc, s0, v1
	s_nop 1
	v_cndmask_b32_e32 v1, v1, v2, vcc
	v_sqrt_f32_e32 v2, v1
	s_nop 0
	v_add_u32_e32 v4, -1, v2
	v_add_u32_e32 v5, 1, v2
	v_fma_f32 v6, -v4, v2, v1
	v_fma_f32 v7, -v5, v2, v1
	v_cmp_ge_f32_e64 s[0:1], 0, v6
	s_nop 1
	v_cndmask_b32_e64 v2, v2, v4, s[0:1]
	v_cmp_lt_f32_e64 s[0:1], 0, v7
	s_nop 1
	v_cndmask_b32_e64 v2, v2, v5, s[0:1]
	v_mul_f32_e32 v4, 0x37800000, v2
	v_cndmask_b32_e32 v2, v2, v4, vcc
	v_cmp_class_f32_e32 vcc, v1, v3
	s_nop 1
	v_cndmask_b32_e32 v1, v2, v1, vcc
	global_store_dword v0, v1, s[16:17]
	s_or_b64 exec, exec, s[48:49]
	v_cmp_gt_i32_e32 vcc, s55, v8
	s_and_saveexec_b64 s[48:49], vcc
	s_cbranch_execnz .LBB255_86
.LBB255_102:
	s_or_b64 exec, exec, s[48:49]
	v_cmp_gt_i32_e32 vcc, s55, v8
	s_and_saveexec_b64 s[48:49], vcc
	s_cbranch_execnz .LBB255_113
.LBB255_103:
	s_or_b64 exec, exec, s[48:49]
                                        ; implicit-def: $vgpr16
                                        ; implicit-def: $vgpr8
	s_andn2_saveexec_b64 s[0:1], s[38:39]
	s_cbranch_execnz .LBB255_9
.LBB255_104:
	s_endpgm
.LBB255_105:
	v_mov_b32_e32 v0, 0
	s_mov_b32 s57, 0
	v_mov_b32_e32 v1, v0
                                        ; implicit-def: $vgpr2
	v_mov_b32_e32 v4, v8
.LBB255_106:
	s_and_b32 s4, s58, 3
	s_cmp_eq_u32 s4, 0
	s_cbranch_scc1 .LBB255_109
; %bb.107:
	s_lshl_b32 s0, s57, 3
	s_add_u32 s0, s34, s0
	s_addc_u32 s1, s35, 0
	s_add_u32 s0, s0, 0xc4
	s_addc_u32 s1, s1, 0
	s_mul_i32 s2, s57, 12
	s_add_u32 s2, s34, s2
	s_addc_u32 s3, s35, 0
.LBB255_108:                            ; =>This Inner Loop Header: Depth=1
	s_load_dwordx2 s[6:7], s[2:3], 0x4
	s_load_dword s5, s[2:3], 0xc
	s_load_dwordx2 s[8:9], s[0:1], 0x0
	v_mov_b32_e32 v2, v1
	s_add_u32 s2, s2, 12
	s_waitcnt lgkmcnt(0)
	v_mul_hi_u32 v1, s7, v4
	v_add_u32_e32 v1, v4, v1
	v_lshrrev_b32_e32 v1, s5, v1
	s_addc_u32 s3, s3, 0
	v_mul_lo_u32 v3, v1, s6
	s_add_u32 s0, s0, 8
	v_sub_u32_e32 v5, v4, v3
	s_addc_u32 s1, s1, 0
	s_add_i32 s4, s4, -1
	v_mov_b32_e32 v4, v1
	v_mad_u64_u32 v[2:3], s[6:7], v5, s9, v[2:3]
	v_mad_u64_u32 v[0:1], s[6:7], v5, s8, v[0:1]
	s_cmp_lg_u32 s4, 0
	v_mov_b32_e32 v1, v2
	s_cbranch_scc1 .LBB255_108
.LBB255_109:
	s_cbranch_execnz .LBB255_112
.LBB255_110:
	s_waitcnt lgkmcnt(0)
	v_mul_hi_u32 v0, s25, v8
	v_add_u32_e32 v0, v8, v0
	v_lshrrev_b32_e32 v1, s26, v0
	v_mul_lo_u32 v0, v1, s24
	v_sub_u32_e32 v0, v8, v0
	v_mul_lo_u32 v2, v0, s21
	s_andn2_b64 vcc, exec, s[42:43]
	v_mul_lo_u32 v0, v0, s20
	s_cbranch_vccnz .LBB255_112
; %bb.111:
	v_mul_hi_u32 v3, s40, v1
	v_add_u32_e32 v3, v1, v3
	v_lshrrev_b32_e32 v3, s41, v3
	v_mul_lo_u32 v3, v3, s27
	v_sub_u32_e32 v3, v1, v3
	v_mad_u64_u32 v[0:1], s[0:1], v3, s22, v[0:1]
	v_mad_u64_u32 v[2:3], s[0:1], v3, s23, v[2:3]
.LBB255_112:
	s_waitcnt lgkmcnt(0)
	global_load_dword v1, v2, s[18:19]
	s_mov_b32 s0, 0xf800000
	v_mov_b32_e32 v3, 0x260
	v_add_u32_e32 v8, 0x80, v8
	s_waitcnt vmcnt(0)
	v_mul_f32_e32 v2, 0x4f800000, v1
	v_cmp_gt_f32_e32 vcc, s0, v1
	s_nop 1
	v_cndmask_b32_e32 v1, v1, v2, vcc
	v_sqrt_f32_e32 v2, v1
	s_nop 0
	v_add_u32_e32 v4, -1, v2
	v_add_u32_e32 v5, 1, v2
	v_fma_f32 v6, -v4, v2, v1
	v_fma_f32 v7, -v5, v2, v1
	v_cmp_ge_f32_e64 s[0:1], 0, v6
	s_nop 1
	v_cndmask_b32_e64 v2, v2, v4, s[0:1]
	v_cmp_lt_f32_e64 s[0:1], 0, v7
	s_nop 1
	v_cndmask_b32_e64 v2, v2, v5, s[0:1]
	v_mul_f32_e32 v4, 0x37800000, v2
	v_cndmask_b32_e32 v2, v2, v4, vcc
	v_cmp_class_f32_e32 vcc, v1, v3
	s_nop 1
	v_cndmask_b32_e32 v1, v2, v1, vcc
	global_store_dword v0, v1, s[16:17]
	s_or_b64 exec, exec, s[48:49]
	v_cmp_gt_i32_e32 vcc, s55, v8
	s_and_saveexec_b64 s[48:49], vcc
	s_cbranch_execz .LBB255_103
.LBB255_113:
	s_andn2_b64 vcc, exec, s[36:37]
	s_cbranch_vccnz .LBB255_119
; %bb.114:
	s_andn2_b64 vcc, exec, s[46:47]
	s_cbranch_vccnz .LBB255_120
; %bb.115:
	s_add_i32 s56, s56, 1
	s_cmp_eq_u32 s54, 2
	s_cbranch_scc1 .LBB255_121
; %bb.116:
	s_and_b32 s50, s56, 28
	s_mov_b32 s51, 0
	v_mov_b32_e32 v0, 0
	v_mov_b32_e32 v2, 0
	s_mov_b64 s[46:47], s[34:35]
	v_mov_b32_e32 v4, v8
.LBB255_117:                            ; =>This Inner Loop Header: Depth=1
	s_load_dwordx8 s[8:15], s[46:47], 0x4
	s_load_dwordx4 s[28:31], s[46:47], 0x24
	s_load_dwordx8 s[0:7], s[44:45], 0x0
	s_add_u32 s46, s46, 48
	s_addc_u32 s47, s47, 0
	s_waitcnt lgkmcnt(0)
	v_mul_hi_u32 v1, s9, v4
	v_add_u32_e32 v1, v4, v1
	v_lshrrev_b32_e32 v1, s10, v1
	v_mul_lo_u32 v3, v1, s8
	v_mul_hi_u32 v5, s12, v1
	v_sub_u32_e32 v3, v4, v3
	v_add_u32_e32 v4, v1, v5
	v_lshrrev_b32_e32 v4, s13, v4
	v_mul_lo_u32 v6, v4, s11
	v_mul_hi_u32 v7, s15, v4
	v_sub_u32_e32 v1, v1, v6
	v_add_u32_e32 v6, v4, v7
	v_mul_lo_u32 v5, v3, s1
	v_mul_lo_u32 v3, v3, s0
	;; [unrolled: 1-line block ×4, first 2 shown]
	v_lshrrev_b32_e32 v6, s28, v6
	v_add3_u32 v0, v3, v0, v1
	v_mul_hi_u32 v3, s30, v6
	v_add3_u32 v1, v5, v2, v7
	v_mul_lo_u32 v2, v6, s14
	v_add_u32_e32 v3, v6, v3
	v_sub_u32_e32 v2, v4, v2
	v_lshrrev_b32_e32 v4, s31, v3
	s_add_i32 s51, s51, 4
	v_mul_lo_u32 v3, v4, s29
	s_add_u32 s44, s44, 32
	v_sub_u32_e32 v3, v6, v3
	s_addc_u32 s45, s45, 0
	v_mul_lo_u32 v5, v2, s4
	v_mul_lo_u32 v2, v2, s5
	v_mul_lo_u32 v6, v3, s6
	v_mul_lo_u32 v3, v3, s7
	s_cmp_eq_u32 s50, s51
	v_add3_u32 v2, v2, v1, v3
	v_add3_u32 v0, v5, v0, v6
	s_cbranch_scc0 .LBB255_117
; %bb.118:
	v_mov_b32_e32 v1, v2
	s_branch .LBB255_122
.LBB255_119:
                                        ; implicit-def: $vgpr2
                                        ; implicit-def: $vgpr0
	s_branch .LBB255_126
.LBB255_120:
	v_mov_b32_e32 v2, 0
	v_mov_b32_e32 v0, 0
	s_branch .LBB255_125
.LBB255_121:
	v_mov_b32_e32 v0, 0
	s_mov_b32 s50, 0
	v_mov_b32_e32 v1, v0
                                        ; implicit-def: $vgpr2
	v_mov_b32_e32 v4, v8
.LBB255_122:
	s_and_b32 s4, s56, 3
	s_cmp_eq_u32 s4, 0
	s_cbranch_scc1 .LBB255_125
; %bb.123:
	s_lshl_b32 s0, s50, 3
	s_add_u32 s0, s34, s0
	s_addc_u32 s1, s35, 0
	s_add_u32 s0, s0, 0xc4
	s_addc_u32 s1, s1, 0
	s_mul_i32 s2, s50, 12
	s_add_u32 s2, s34, s2
	s_addc_u32 s3, s35, 0
.LBB255_124:                            ; =>This Inner Loop Header: Depth=1
	s_load_dwordx2 s[6:7], s[2:3], 0x4
	s_load_dword s5, s[2:3], 0xc
	s_load_dwordx2 s[8:9], s[0:1], 0x0
	v_mov_b32_e32 v2, v1
	s_add_u32 s2, s2, 12
	s_waitcnt lgkmcnt(0)
	v_mul_hi_u32 v1, s7, v4
	v_add_u32_e32 v1, v4, v1
	v_lshrrev_b32_e32 v1, s5, v1
	s_addc_u32 s3, s3, 0
	v_mul_lo_u32 v3, v1, s6
	s_add_u32 s0, s0, 8
	v_sub_u32_e32 v5, v4, v3
	s_addc_u32 s1, s1, 0
	s_add_i32 s4, s4, -1
	v_mov_b32_e32 v4, v1
	v_mad_u64_u32 v[2:3], s[6:7], v5, s9, v[2:3]
	v_mad_u64_u32 v[0:1], s[6:7], v5, s8, v[0:1]
	s_cmp_lg_u32 s4, 0
	v_mov_b32_e32 v1, v2
	s_cbranch_scc1 .LBB255_124
.LBB255_125:
	s_cbranch_execnz .LBB255_128
.LBB255_126:
	s_waitcnt lgkmcnt(0)
	v_mul_hi_u32 v0, s25, v8
	v_add_u32_e32 v0, v8, v0
	v_lshrrev_b32_e32 v1, s26, v0
	v_mul_lo_u32 v0, v1, s24
	v_sub_u32_e32 v0, v8, v0
	v_mul_lo_u32 v2, v0, s21
	s_andn2_b64 vcc, exec, s[42:43]
	v_mul_lo_u32 v0, v0, s20
	s_cbranch_vccnz .LBB255_128
; %bb.127:
	v_mul_hi_u32 v3, s40, v1
	v_add_u32_e32 v3, v1, v3
	v_lshrrev_b32_e32 v3, s41, v3
	v_mul_lo_u32 v3, v3, s27
	v_sub_u32_e32 v3, v1, v3
	v_mad_u64_u32 v[0:1], s[0:1], v3, s22, v[0:1]
	v_mad_u64_u32 v[2:3], s[0:1], v3, s23, v[2:3]
.LBB255_128:
	s_waitcnt lgkmcnt(0)
	global_load_dword v1, v2, s[18:19]
	s_mov_b32 s0, 0xf800000
	v_mov_b32_e32 v3, 0x260
	s_waitcnt vmcnt(0)
	v_mul_f32_e32 v2, 0x4f800000, v1
	v_cmp_gt_f32_e32 vcc, s0, v1
	s_nop 1
	v_cndmask_b32_e32 v1, v1, v2, vcc
	v_sqrt_f32_e32 v2, v1
	s_nop 0
	v_add_u32_e32 v4, -1, v2
	v_add_u32_e32 v5, 1, v2
	v_fma_f32 v6, -v4, v2, v1
	v_fma_f32 v7, -v5, v2, v1
	v_cmp_ge_f32_e64 s[0:1], 0, v6
	s_nop 1
	v_cndmask_b32_e64 v2, v2, v4, s[0:1]
	v_cmp_lt_f32_e64 s[0:1], 0, v7
	s_nop 1
	v_cndmask_b32_e64 v2, v2, v5, s[0:1]
	v_mul_f32_e32 v4, 0x37800000, v2
	v_cndmask_b32_e32 v2, v2, v4, vcc
	v_cmp_class_f32_e32 vcc, v1, v3
	s_nop 1
	v_cndmask_b32_e32 v1, v2, v1, vcc
	global_store_dword v0, v1, s[16:17]
	s_or_b64 exec, exec, s[48:49]
                                        ; implicit-def: $vgpr16
                                        ; implicit-def: $vgpr8
	s_andn2_saveexec_b64 s[0:1], s[38:39]
	s_cbranch_execz .LBB255_104
	s_branch .LBB255_9
	.section	.rodata,"a",@progbits
	.p2align	6, 0x0
	.amdhsa_kernel _ZN2at6native32elementwise_kernel_manual_unrollILi128ELi4EZNS0_22gpu_kernel_impl_nocastIZZZNS0_16sqrt_kernel_cudaERNS_18TensorIteratorBaseEENKUlvE0_clEvENKUlvE0_clEvEUlfE_EEvS4_RKT_EUlibE_EEviT1_
		.amdhsa_group_segment_fixed_size 0
		.amdhsa_private_segment_fixed_size 0
		.amdhsa_kernarg_size 360
		.amdhsa_user_sgpr_count 2
		.amdhsa_user_sgpr_dispatch_ptr 0
		.amdhsa_user_sgpr_queue_ptr 0
		.amdhsa_user_sgpr_kernarg_segment_ptr 1
		.amdhsa_user_sgpr_dispatch_id 0
		.amdhsa_user_sgpr_kernarg_preload_length 0
		.amdhsa_user_sgpr_kernarg_preload_offset 0
		.amdhsa_user_sgpr_private_segment_size 0
		.amdhsa_uses_dynamic_stack 0
		.amdhsa_enable_private_segment 0
		.amdhsa_system_sgpr_workgroup_id_x 1
		.amdhsa_system_sgpr_workgroup_id_y 0
		.amdhsa_system_sgpr_workgroup_id_z 0
		.amdhsa_system_sgpr_workgroup_info 0
		.amdhsa_system_vgpr_workitem_id 0
		.amdhsa_next_free_vgpr 29
		.amdhsa_next_free_sgpr 60
		.amdhsa_accum_offset 32
		.amdhsa_reserve_vcc 1
		.amdhsa_float_round_mode_32 0
		.amdhsa_float_round_mode_16_64 0
		.amdhsa_float_denorm_mode_32 3
		.amdhsa_float_denorm_mode_16_64 3
		.amdhsa_dx10_clamp 1
		.amdhsa_ieee_mode 1
		.amdhsa_fp16_overflow 0
		.amdhsa_tg_split 0
		.amdhsa_exception_fp_ieee_invalid_op 0
		.amdhsa_exception_fp_denorm_src 0
		.amdhsa_exception_fp_ieee_div_zero 0
		.amdhsa_exception_fp_ieee_overflow 0
		.amdhsa_exception_fp_ieee_underflow 0
		.amdhsa_exception_fp_ieee_inexact 0
		.amdhsa_exception_int_div_zero 0
	.end_amdhsa_kernel
	.section	.text._ZN2at6native32elementwise_kernel_manual_unrollILi128ELi4EZNS0_22gpu_kernel_impl_nocastIZZZNS0_16sqrt_kernel_cudaERNS_18TensorIteratorBaseEENKUlvE0_clEvENKUlvE0_clEvEUlfE_EEvS4_RKT_EUlibE_EEviT1_,"axG",@progbits,_ZN2at6native32elementwise_kernel_manual_unrollILi128ELi4EZNS0_22gpu_kernel_impl_nocastIZZZNS0_16sqrt_kernel_cudaERNS_18TensorIteratorBaseEENKUlvE0_clEvENKUlvE0_clEvEUlfE_EEvS4_RKT_EUlibE_EEviT1_,comdat
.Lfunc_end255:
	.size	_ZN2at6native32elementwise_kernel_manual_unrollILi128ELi4EZNS0_22gpu_kernel_impl_nocastIZZZNS0_16sqrt_kernel_cudaERNS_18TensorIteratorBaseEENKUlvE0_clEvENKUlvE0_clEvEUlfE_EEvS4_RKT_EUlibE_EEviT1_, .Lfunc_end255-_ZN2at6native32elementwise_kernel_manual_unrollILi128ELi4EZNS0_22gpu_kernel_impl_nocastIZZZNS0_16sqrt_kernel_cudaERNS_18TensorIteratorBaseEENKUlvE0_clEvENKUlvE0_clEvEUlfE_EEvS4_RKT_EUlibE_EEviT1_
                                        ; -- End function
	.set _ZN2at6native32elementwise_kernel_manual_unrollILi128ELi4EZNS0_22gpu_kernel_impl_nocastIZZZNS0_16sqrt_kernel_cudaERNS_18TensorIteratorBaseEENKUlvE0_clEvENKUlvE0_clEvEUlfE_EEvS4_RKT_EUlibE_EEviT1_.num_vgpr, 29
	.set _ZN2at6native32elementwise_kernel_manual_unrollILi128ELi4EZNS0_22gpu_kernel_impl_nocastIZZZNS0_16sqrt_kernel_cudaERNS_18TensorIteratorBaseEENKUlvE0_clEvENKUlvE0_clEvEUlfE_EEvS4_RKT_EUlibE_EEviT1_.num_agpr, 0
	.set _ZN2at6native32elementwise_kernel_manual_unrollILi128ELi4EZNS0_22gpu_kernel_impl_nocastIZZZNS0_16sqrt_kernel_cudaERNS_18TensorIteratorBaseEENKUlvE0_clEvENKUlvE0_clEvEUlfE_EEvS4_RKT_EUlibE_EEviT1_.numbered_sgpr, 60
	.set _ZN2at6native32elementwise_kernel_manual_unrollILi128ELi4EZNS0_22gpu_kernel_impl_nocastIZZZNS0_16sqrt_kernel_cudaERNS_18TensorIteratorBaseEENKUlvE0_clEvENKUlvE0_clEvEUlfE_EEvS4_RKT_EUlibE_EEviT1_.num_named_barrier, 0
	.set _ZN2at6native32elementwise_kernel_manual_unrollILi128ELi4EZNS0_22gpu_kernel_impl_nocastIZZZNS0_16sqrt_kernel_cudaERNS_18TensorIteratorBaseEENKUlvE0_clEvENKUlvE0_clEvEUlfE_EEvS4_RKT_EUlibE_EEviT1_.private_seg_size, 0
	.set _ZN2at6native32elementwise_kernel_manual_unrollILi128ELi4EZNS0_22gpu_kernel_impl_nocastIZZZNS0_16sqrt_kernel_cudaERNS_18TensorIteratorBaseEENKUlvE0_clEvENKUlvE0_clEvEUlfE_EEvS4_RKT_EUlibE_EEviT1_.uses_vcc, 1
	.set _ZN2at6native32elementwise_kernel_manual_unrollILi128ELi4EZNS0_22gpu_kernel_impl_nocastIZZZNS0_16sqrt_kernel_cudaERNS_18TensorIteratorBaseEENKUlvE0_clEvENKUlvE0_clEvEUlfE_EEvS4_RKT_EUlibE_EEviT1_.uses_flat_scratch, 0
	.set _ZN2at6native32elementwise_kernel_manual_unrollILi128ELi4EZNS0_22gpu_kernel_impl_nocastIZZZNS0_16sqrt_kernel_cudaERNS_18TensorIteratorBaseEENKUlvE0_clEvENKUlvE0_clEvEUlfE_EEvS4_RKT_EUlibE_EEviT1_.has_dyn_sized_stack, 0
	.set _ZN2at6native32elementwise_kernel_manual_unrollILi128ELi4EZNS0_22gpu_kernel_impl_nocastIZZZNS0_16sqrt_kernel_cudaERNS_18TensorIteratorBaseEENKUlvE0_clEvENKUlvE0_clEvEUlfE_EEvS4_RKT_EUlibE_EEviT1_.has_recursion, 0
	.set _ZN2at6native32elementwise_kernel_manual_unrollILi128ELi4EZNS0_22gpu_kernel_impl_nocastIZZZNS0_16sqrt_kernel_cudaERNS_18TensorIteratorBaseEENKUlvE0_clEvENKUlvE0_clEvEUlfE_EEvS4_RKT_EUlibE_EEviT1_.has_indirect_call, 0
	.section	.AMDGPU.csdata,"",@progbits
; Kernel info:
; codeLenInByte = 6752
; TotalNumSgprs: 66
; NumVgprs: 29
; NumAgprs: 0
; TotalNumVgprs: 29
; ScratchSize: 0
; MemoryBound: 0
; FloatMode: 240
; IeeeMode: 1
; LDSByteSize: 0 bytes/workgroup (compile time only)
; SGPRBlocks: 8
; VGPRBlocks: 3
; NumSGPRsForWavesPerEU: 66
; NumVGPRsForWavesPerEU: 29
; AccumOffset: 32
; Occupancy: 8
; WaveLimiterHint : 1
; COMPUTE_PGM_RSRC2:SCRATCH_EN: 0
; COMPUTE_PGM_RSRC2:USER_SGPR: 2
; COMPUTE_PGM_RSRC2:TRAP_HANDLER: 0
; COMPUTE_PGM_RSRC2:TGID_X_EN: 1
; COMPUTE_PGM_RSRC2:TGID_Y_EN: 0
; COMPUTE_PGM_RSRC2:TGID_Z_EN: 0
; COMPUTE_PGM_RSRC2:TIDIG_COMP_CNT: 0
; COMPUTE_PGM_RSRC3_GFX90A:ACCUM_OFFSET: 7
; COMPUTE_PGM_RSRC3_GFX90A:TG_SPLIT: 0
	.section	.text._ZN2at6native32elementwise_kernel_manual_unrollILi128ELi4EZNS0_15gpu_kernel_implIZZZNS0_16sqrt_kernel_cudaERNS_18TensorIteratorBaseEENKUlvE0_clEvENKUlvE0_clEvEUlfE_EEvS4_RKT_EUlibE_EEviT1_,"axG",@progbits,_ZN2at6native32elementwise_kernel_manual_unrollILi128ELi4EZNS0_15gpu_kernel_implIZZZNS0_16sqrt_kernel_cudaERNS_18TensorIteratorBaseEENKUlvE0_clEvENKUlvE0_clEvEUlfE_EEvS4_RKT_EUlibE_EEviT1_,comdat
	.globl	_ZN2at6native32elementwise_kernel_manual_unrollILi128ELi4EZNS0_15gpu_kernel_implIZZZNS0_16sqrt_kernel_cudaERNS_18TensorIteratorBaseEENKUlvE0_clEvENKUlvE0_clEvEUlfE_EEvS4_RKT_EUlibE_EEviT1_ ; -- Begin function _ZN2at6native32elementwise_kernel_manual_unrollILi128ELi4EZNS0_15gpu_kernel_implIZZZNS0_16sqrt_kernel_cudaERNS_18TensorIteratorBaseEENKUlvE0_clEvENKUlvE0_clEvEUlfE_EEvS4_RKT_EUlibE_EEviT1_
	.p2align	8
	.type	_ZN2at6native32elementwise_kernel_manual_unrollILi128ELi4EZNS0_15gpu_kernel_implIZZZNS0_16sqrt_kernel_cudaERNS_18TensorIteratorBaseEENKUlvE0_clEvENKUlvE0_clEvEUlfE_EEvS4_RKT_EUlibE_EEviT1_,@function
_ZN2at6native32elementwise_kernel_manual_unrollILi128ELi4EZNS0_15gpu_kernel_implIZZZNS0_16sqrt_kernel_cudaERNS_18TensorIteratorBaseEENKUlvE0_clEvENKUlvE0_clEvEUlfE_EEvS4_RKT_EUlibE_EEviT1_: ; @_ZN2at6native32elementwise_kernel_manual_unrollILi128ELi4EZNS0_15gpu_kernel_implIZZZNS0_16sqrt_kernel_cudaERNS_18TensorIteratorBaseEENKUlvE0_clEvENKUlvE0_clEvEUlfE_EEvS4_RKT_EUlibE_EEviT1_
; %bb.0:
	v_mov_b32_e32 v1, 0
	global_load_ushort v1, v1, s[0:1] offset:33
	s_load_dwordx4 s[4:7], s[0:1], 0x8
	s_load_dwordx2 s[8:9], s[0:1], 0x18
	s_load_dword s38, s[0:1], 0x0
	v_lshl_or_b32 v5, s2, 9, v0
	v_or_b32_e32 v0, 0x180, v5
	s_mov_b64 s[10:11], 0
	s_mov_b64 s[12:13], 0
	s_waitcnt lgkmcnt(0)
	v_cmp_le_i32_e32 vcc, s38, v0
	s_waitcnt vmcnt(0)
	v_readfirstlane_b32 s33, v1
	s_and_b32 s0, 0xffff, s33
	s_lshr_b32 s42, s0, 8
	s_and_saveexec_b64 s[0:1], vcc
	s_xor_b64 s[2:3], exec, s[0:1]
	s_cbranch_execz .LBB256_1027
; %bb.1:
	v_cmp_gt_i32_e32 vcc, s38, v5
	s_mov_b64 s[18:19], -1
	s_mov_b64 s[20:21], 0
	s_mov_b64 s[14:15], 0
	s_and_saveexec_b64 s[16:17], vcc
	s_cbranch_execz .LBB256_252
; %bb.2:
	v_mul_lo_u32 v0, v5, s9
	v_ashrrev_i32_e32 v1, 31, v0
	s_and_b32 s22, 0xffff, s42
	s_cmp_lt_i32 s22, 11
	v_lshl_add_u64 v[0:1], s[6:7], 0, v[0:1]
	s_cbranch_scc1 .LBB256_9
; %bb.3:
	s_cmp_gt_i32 s22, 25
	s_cbranch_scc0 .LBB256_18
; %bb.4:
	s_cmp_gt_i32 s22, 28
	s_cbranch_scc0 .LBB256_22
	;; [unrolled: 3-line block ×4, first 2 shown]
; %bb.7:
	s_cmp_eq_u32 s22, 46
	s_cbranch_scc0 .LBB256_28
; %bb.8:
	global_load_dword v2, v[0:1], off
	s_mov_b64 s[0:1], -1
	s_waitcnt vmcnt(0)
	v_lshlrev_b32_e32 v3, 16, v2
	s_branch .LBB256_30
.LBB256_9:
                                        ; implicit-def: $vgpr3
	s_mov_b64 s[0:1], 0
	s_cbranch_execnz .LBB256_203
.LBB256_10:
	s_andn2_b64 vcc, exec, s[0:1]
	s_cbranch_vccnz .LBB256_250
.LBB256_11:
	s_mov_b32 s0, 0xf800000
	s_waitcnt vmcnt(0)
	v_mul_f32_e32 v0, 0x4f800000, v3
	v_cmp_gt_f32_e32 vcc, s0, v3
	s_and_b32 s24, s33, 0xff
	s_cmp_lt_i32 s24, 11
	v_cndmask_b32_e32 v0, v3, v0, vcc
	v_sqrt_f32_e32 v1, v0
	s_nop 0
	v_add_u32_e32 v2, -1, v1
	v_fma_f32 v4, -v2, v1, v0
	v_cmp_ge_f32_e64 s[0:1], 0, v4
	v_add_u32_e32 v4, 1, v1
	s_nop 0
	v_cndmask_b32_e64 v2, v1, v2, s[0:1]
	v_fma_f32 v1, -v4, v1, v0
	v_cmp_lt_f32_e64 s[0:1], 0, v1
	s_nop 1
	v_cndmask_b32_e64 v1, v2, v4, s[0:1]
	v_mul_f32_e32 v2, 0x37800000, v1
	v_cndmask_b32_e32 v1, v1, v2, vcc
	v_mov_b32_e32 v2, 0x260
	v_cmp_class_f32_e32 vcc, v0, v2
	s_nop 1
	v_cndmask_b32_e32 v2, v1, v0, vcc
	v_mul_lo_u32 v0, v5, s8
	v_ashrrev_i32_e32 v1, 31, v0
	v_lshl_add_u64 v[0:1], s[4:5], 0, v[0:1]
	s_cbranch_scc1 .LBB256_19
; %bb.12:
	s_and_b32 s25, 0xffff, s24
	s_cmp_gt_i32 s25, 25
	s_cbranch_scc0 .LBB256_23
; %bb.13:
	s_cmp_gt_i32 s25, 28
	s_cbranch_scc0 .LBB256_25
; %bb.14:
	;; [unrolled: 3-line block ×4, first 2 shown]
	s_mov_b64 s[18:19], 0
	s_mov_b64 s[0:1], -1
	s_cmp_eq_u32 s25, 46
	s_mov_b64 s[12:13], 0
	s_cbranch_scc0 .LBB256_34
; %bb.17:
	v_bfe_u32 v4, v2, 16, 1
	s_movk_i32 s0, 0x7fff
	v_add3_u32 v4, v2, v4, s0
	v_cmp_le_f32_e32 vcc, 0, v3
	v_mov_b32_e32 v6, 0x7fc0
	s_mov_b64 s[12:13], -1
	v_cndmask_b32_sdwa v4, v6, v4, vcc dst_sel:DWORD dst_unused:UNUSED_PAD src0_sel:DWORD src1_sel:WORD_1
	global_store_dword v[0:1], v4, off
	s_mov_b64 s[0:1], 0
	s_branch .LBB256_34
.LBB256_18:
	s_mov_b64 s[0:1], 0
                                        ; implicit-def: $vgpr3
	s_cbranch_execnz .LBB256_168
	s_branch .LBB256_202
.LBB256_19:
	s_mov_b64 s[0:1], 0
	s_mov_b64 s[12:13], 0
	s_cbranch_execnz .LBB256_103
.LBB256_20:
	s_andn2_b64 vcc, exec, s[12:13]
	s_cbranch_vccnz .LBB256_141
.LBB256_21:
	v_add_u32_e32 v5, 0x80, v5
	s_mov_b64 s[18:19], -1
	s_branch .LBB256_251
.LBB256_22:
	s_mov_b64 s[12:13], -1
	s_mov_b64 s[0:1], 0
                                        ; implicit-def: $vgpr3
	s_branch .LBB256_149
.LBB256_23:
	s_mov_b64 s[18:19], -1
	s_mov_b64 s[0:1], 0
	s_mov_b64 s[12:13], 0
	s_branch .LBB256_61
.LBB256_24:
	s_mov_b64 s[12:13], -1
	s_mov_b64 s[0:1], 0
                                        ; implicit-def: $vgpr3
	s_branch .LBB256_144
.LBB256_25:
	s_mov_b64 s[18:19], -1
	s_mov_b64 s[0:1], 0
	s_mov_b64 s[12:13], 0
	s_branch .LBB256_44
.LBB256_26:
	s_mov_b64 s[12:13], -1
	s_branch .LBB256_29
.LBB256_27:
	s_mov_b64 s[18:19], -1
	s_mov_b64 s[0:1], 0
	s_mov_b64 s[12:13], 0
	s_branch .LBB256_40
.LBB256_28:
	s_mov_b64 s[14:15], -1
.LBB256_29:
	s_mov_b64 s[0:1], 0
                                        ; implicit-def: $vgpr3
.LBB256_30:
	s_and_b64 vcc, exec, s[12:13]
	s_cbranch_vccz .LBB256_143
; %bb.31:
	s_cmp_eq_u32 s22, 44
	s_cbranch_scc0 .LBB256_142
; %bb.32:
	global_load_ubyte v2, v[0:1], off
	s_movk_i32 s12, 0xff
	v_mov_b32_e32 v3, 0x7f800001
	v_mov_b32_e32 v4, 0x400000
	s_mov_b64 s[0:1], -1
	s_mov_b64 s[14:15], 0
	s_waitcnt vmcnt(0)
	v_lshlrev_b32_e32 v6, 23, v2
	v_cmp_ne_u32_e32 vcc, s12, v2
	s_nop 1
	v_cndmask_b32_e32 v3, v3, v6, vcc
	v_cmp_ne_u32_e32 vcc, 0, v2
	s_nop 1
	v_cndmask_b32_e32 v3, v4, v3, vcc
	s_branch .LBB256_143
.LBB256_33:
	s_mov_b64 s[18:19], -1
	s_mov_b64 s[0:1], 0
	s_mov_b64 s[12:13], 0
.LBB256_34:
	s_and_b64 vcc, exec, s[18:19]
	s_cbranch_vccz .LBB256_39
; %bb.35:
	s_cmp_eq_u32 s25, 44
	s_mov_b64 s[0:1], -1
	s_cbranch_scc0 .LBB256_39
; %bb.36:
	v_bfe_u32 v4, v2, 23, 8
	s_movk_i32 s0, 0xff
	v_cmp_ne_u32_e32 vcc, s0, v4
	v_mov_b32_e32 v6, 0xff
	s_and_saveexec_b64 s[12:13], vcc
; %bb.37:
	s_mov_b32 s0, 0x3fffff
	v_and_b32_e32 v7, 0x400000, v2
	v_and_or_b32 v4, v2, s0, v4
	v_cmp_ne_u32_e32 vcc, 0, v7
	v_cmp_ne_u32_e64 s[0:1], 0, v4
	s_and_b64 s[0:1], vcc, s[0:1]
	v_lshrrev_b32_e32 v6, 23, v2
	v_cndmask_b32_e64 v4, 0, 1, s[0:1]
	v_add_u32_e32 v6, v6, v4
; %bb.38:
	s_or_b64 exec, exec, s[12:13]
	s_mov_b64 s[12:13], -1
	s_mov_b64 s[0:1], 0
	global_store_byte v[0:1], v6, off
.LBB256_39:
	s_mov_b64 s[18:19], 0
.LBB256_40:
	s_and_b64 vcc, exec, s[18:19]
	s_cbranch_vccz .LBB256_43
; %bb.41:
	s_cmp_eq_u32 s25, 29
	s_mov_b64 s[0:1], -1
	s_cbranch_scc0 .LBB256_43
; %bb.42:
	v_trunc_f32_e32 v4, v2
	v_mul_f32_e32 v6, 0x2f800000, v4
	v_floor_f32_e32 v6, v6
	v_fmamk_f32 v4, v6, 0xcf800000, v4
	v_cvt_u32_f32_e32 v7, v6
	v_cvt_u32_f32_e32 v6, v4
	s_mov_b64 s[12:13], -1
	s_mov_b64 s[0:1], 0
	s_mov_b64 s[18:19], 0
	global_store_dwordx2 v[0:1], v[6:7], off
	s_branch .LBB256_44
.LBB256_43:
	s_mov_b64 s[18:19], 0
.LBB256_44:
	s_and_b64 vcc, exec, s[18:19]
	s_cbranch_vccz .LBB256_60
; %bb.45:
	s_cmp_lt_i32 s25, 27
	s_mov_b64 s[12:13], -1
	s_cbranch_scc1 .LBB256_51
; %bb.46:
	v_cvt_u32_f32_e32 v4, v2
	s_cmp_gt_i32 s25, 27
	s_cbranch_scc0 .LBB256_48
; %bb.47:
	s_mov_b64 s[12:13], 0
	global_store_dword v[0:1], v4, off
.LBB256_48:
	s_andn2_b64 vcc, exec, s[12:13]
	s_cbranch_vccnz .LBB256_50
; %bb.49:
	global_store_short v[0:1], v4, off
.LBB256_50:
	s_mov_b64 s[12:13], 0
.LBB256_51:
	s_andn2_b64 vcc, exec, s[12:13]
	s_cbranch_vccnz .LBB256_59
; %bb.52:
	v_and_b32_e32 v4, 0x7fffffff, v2
	s_mov_b32 s12, 0x43800000
	v_cmp_gt_u32_e32 vcc, s12, v4
	v_mov_b32_e32 v6, 0x80
	s_and_saveexec_b64 s[12:13], vcc
	s_cbranch_execz .LBB256_58
; %bb.53:
	s_mov_b32 s18, 0x3bffffff
	v_cmp_lt_u32_e32 vcc, s18, v4
	s_mov_b64 s[18:19], 0
                                        ; implicit-def: $vgpr4
	s_and_saveexec_b64 s[22:23], vcc
	s_xor_b64 s[22:23], exec, s[22:23]
	s_cbranch_execz .LBB256_279
; %bb.54:
	v_bfe_u32 v4, v2, 20, 1
	s_mov_b32 s26, 0x487ffff
	v_add3_u32 v4, v2, v4, s26
	s_mov_b64 s[18:19], exec
	v_lshrrev_b32_e32 v4, 20, v4
	s_andn2_saveexec_b64 s[22:23], s[22:23]
	s_cbranch_execnz .LBB256_280
.LBB256_55:
	s_or_b64 exec, exec, s[22:23]
	v_mov_b32_e32 v6, 0
	s_and_saveexec_b64 s[22:23], s[18:19]
.LBB256_56:
	v_lshrrev_b32_e32 v6, 24, v2
	s_movk_i32 s18, 0x80
	v_and_or_b32 v6, v6, s18, v4
.LBB256_57:
	s_or_b64 exec, exec, s[22:23]
.LBB256_58:
	s_or_b64 exec, exec, s[12:13]
	global_store_byte v[0:1], v6, off
.LBB256_59:
	s_mov_b64 s[12:13], -1
.LBB256_60:
	s_mov_b64 s[18:19], 0
.LBB256_61:
	s_and_b64 vcc, exec, s[18:19]
	s_cbranch_vccz .LBB256_102
; %bb.62:
	s_cmp_gt_i32 s25, 22
	s_mov_b64 s[18:19], -1
	s_cbranch_scc0 .LBB256_94
; %bb.63:
	s_cmp_lt_i32 s25, 24
	s_mov_b64 s[12:13], -1
	s_cbranch_scc1 .LBB256_83
; %bb.64:
	s_cmp_gt_i32 s25, 24
	s_cbranch_scc0 .LBB256_72
; %bb.65:
	v_and_b32_e32 v4, 0x7fffffff, v2
	s_mov_b32 s12, 0x47800000
	v_cmp_gt_u32_e32 vcc, s12, v4
	v_mov_b32_e32 v6, 0x80
	s_and_saveexec_b64 s[12:13], vcc
	s_cbranch_execz .LBB256_71
; %bb.66:
	s_mov_b32 s18, 0x37ffffff
	v_cmp_lt_u32_e32 vcc, s18, v4
	s_mov_b64 s[18:19], 0
                                        ; implicit-def: $vgpr4
	s_and_saveexec_b64 s[22:23], vcc
	s_xor_b64 s[22:23], exec, s[22:23]
	s_cbranch_execz .LBB256_283
; %bb.67:
	v_bfe_u32 v4, v2, 21, 1
	s_mov_b32 s26, 0x88fffff
	v_add3_u32 v4, v2, v4, s26
	s_mov_b64 s[18:19], exec
	v_lshrrev_b32_e32 v4, 21, v4
	s_andn2_saveexec_b64 s[22:23], s[22:23]
	s_cbranch_execnz .LBB256_284
.LBB256_68:
	s_or_b64 exec, exec, s[22:23]
	v_mov_b32_e32 v6, 0
	s_and_saveexec_b64 s[22:23], s[18:19]
.LBB256_69:
	v_lshrrev_b32_e32 v6, 24, v2
	s_movk_i32 s18, 0x80
	v_and_or_b32 v6, v6, s18, v4
.LBB256_70:
	s_or_b64 exec, exec, s[22:23]
.LBB256_71:
	s_or_b64 exec, exec, s[12:13]
	s_mov_b64 s[12:13], 0
	global_store_byte v[0:1], v6, off
.LBB256_72:
	s_and_b64 vcc, exec, s[12:13]
	s_cbranch_vccz .LBB256_82
; %bb.73:
	v_and_b32_e32 v6, 0x7fffffff, v2
	s_mov_b32 s12, 0x43f00000
	v_cmp_gt_u32_e32 vcc, s12, v6
                                        ; implicit-def: $vgpr4
	s_and_saveexec_b64 s[12:13], vcc
	s_xor_b64 s[12:13], exec, s[12:13]
	s_cbranch_execz .LBB256_79
; %bb.74:
	s_mov_b32 s18, 0x3c7fffff
	v_cmp_lt_u32_e32 vcc, s18, v6
                                        ; implicit-def: $vgpr4
	s_and_saveexec_b64 s[18:19], vcc
	s_xor_b64 s[18:19], exec, s[18:19]
; %bb.75:
	v_bfe_u32 v4, v2, 20, 1
	s_mov_b32 s22, 0x407ffff
	v_add3_u32 v4, v2, v4, s22
	v_lshrrev_b32_e32 v6, 20, v4
	v_and_b32_e32 v4, 0xff00000, v4
	s_mov_b32 s22, 0x7f00000
	v_mov_b32_e32 v7, 0x7e
	v_cmp_ne_u32_e32 vcc, s22, v4
	s_nop 1
	v_cndmask_b32_e32 v4, v7, v6, vcc
; %bb.76:
	s_andn2_saveexec_b64 s[18:19], s[18:19]
; %bb.77:
	s_mov_b32 s22, 0x46800000
	v_add_f32_e64 v4, |v2|, s22
; %bb.78:
	s_or_b64 exec, exec, s[18:19]
                                        ; implicit-def: $vgpr6
.LBB256_79:
	s_andn2_saveexec_b64 s[12:13], s[12:13]
; %bb.80:
	s_mov_b32 s18, 0x7f800000
	v_mov_b32_e32 v4, 0x7e
	v_mov_b32_e32 v7, 0x7f
	v_cmp_lt_u32_e32 vcc, s18, v6
	s_nop 1
	v_cndmask_b32_e32 v4, v4, v7, vcc
; %bb.81:
	s_or_b64 exec, exec, s[12:13]
	v_lshrrev_b32_e32 v6, 24, v2
	s_movk_i32 s12, 0x80
	v_and_or_b32 v4, v6, s12, v4
	global_store_byte v[0:1], v4, off
.LBB256_82:
	s_mov_b64 s[12:13], 0
.LBB256_83:
	s_andn2_b64 vcc, exec, s[12:13]
	s_cbranch_vccnz .LBB256_93
; %bb.84:
	v_and_b32_e32 v6, 0x7fffffff, v2
	s_mov_b32 s12, 0x47800000
	v_cmp_gt_u32_e32 vcc, s12, v6
                                        ; implicit-def: $vgpr4
	s_and_saveexec_b64 s[12:13], vcc
	s_xor_b64 s[12:13], exec, s[12:13]
	s_cbranch_execz .LBB256_90
; %bb.85:
	s_mov_b32 s18, 0x387fffff
	v_cmp_lt_u32_e32 vcc, s18, v6
                                        ; implicit-def: $vgpr4
	s_and_saveexec_b64 s[18:19], vcc
	s_xor_b64 s[18:19], exec, s[18:19]
; %bb.86:
	v_bfe_u32 v4, v2, 21, 1
	s_mov_b32 s22, 0x80fffff
	v_add3_u32 v4, v2, v4, s22
	v_lshrrev_b32_e32 v4, 21, v4
; %bb.87:
	s_andn2_saveexec_b64 s[18:19], s[18:19]
; %bb.88:
	s_mov_b32 s22, 0x43000000
	v_add_f32_e64 v4, |v2|, s22
; %bb.89:
	s_or_b64 exec, exec, s[18:19]
                                        ; implicit-def: $vgpr6
.LBB256_90:
	s_andn2_saveexec_b64 s[12:13], s[12:13]
; %bb.91:
	s_mov_b32 s18, 0x7f800000
	v_mov_b32_e32 v4, 0x7c
	v_mov_b32_e32 v7, 0x7f
	v_cmp_lt_u32_e32 vcc, s18, v6
	s_nop 1
	v_cndmask_b32_e32 v4, v4, v7, vcc
; %bb.92:
	s_or_b64 exec, exec, s[12:13]
	v_lshrrev_b32_e32 v6, 24, v2
	s_movk_i32 s12, 0x80
	v_and_or_b32 v4, v6, s12, v4
	global_store_byte v[0:1], v4, off
.LBB256_93:
	s_mov_b64 s[18:19], 0
	s_mov_b64 s[12:13], -1
.LBB256_94:
	s_andn2_b64 vcc, exec, s[18:19]
	s_cbranch_vccnz .LBB256_102
; %bb.95:
	s_cmp_gt_i32 s25, 14
	s_mov_b64 s[18:19], -1
	s_cbranch_scc0 .LBB256_99
; %bb.96:
	s_cmp_eq_u32 s25, 15
	s_mov_b64 s[0:1], -1
	s_cbranch_scc0 .LBB256_98
; %bb.97:
	v_bfe_u32 v4, v2, 16, 1
	s_movk_i32 s0, 0x7fff
	v_add3_u32 v4, v2, v4, s0
	v_cmp_le_f32_e32 vcc, 0, v3
	v_mov_b32_e32 v6, 0x7fc0
	s_mov_b64 s[12:13], -1
	v_cndmask_b32_sdwa v4, v6, v4, vcc dst_sel:DWORD dst_unused:UNUSED_PAD src0_sel:DWORD src1_sel:WORD_1
	global_store_short v[0:1], v4, off
	s_mov_b64 s[0:1], 0
.LBB256_98:
	s_mov_b64 s[18:19], 0
.LBB256_99:
	s_and_b64 vcc, exec, s[18:19]
	s_cbranch_vccz .LBB256_102
; %bb.100:
	s_cmp_eq_u32 s25, 11
	s_mov_b64 s[0:1], -1
	s_cbranch_scc0 .LBB256_102
; %bb.101:
	v_cmp_neq_f32_e32 vcc, 0, v3
	s_mov_b64 s[12:13], -1
	s_mov_b64 s[0:1], 0
	v_cndmask_b32_e64 v3, 0, 1, vcc
	global_store_byte v[0:1], v3, off
.LBB256_102:
	s_branch .LBB256_20
.LBB256_103:
	s_and_b32 s18, 0xffff, s24
	s_cmp_lt_i32 s18, 5
	s_mov_b64 s[12:13], -1
	s_cbranch_scc1 .LBB256_124
; %bb.104:
	s_cmp_lt_i32 s18, 8
	s_cbranch_scc1 .LBB256_114
; %bb.105:
	s_cmp_lt_i32 s18, 9
	s_cbranch_scc1 .LBB256_111
; %bb.106:
	s_cmp_gt_i32 s18, 9
	s_cbranch_scc0 .LBB256_108
; %bb.107:
	v_mov_b32_e32 v8, 0
	v_cvt_f64_f32_e32 v[6:7], v2
	v_mov_b32_e32 v9, v8
	global_store_dwordx4 v[0:1], v[6:9], off
	s_mov_b64 s[12:13], 0
.LBB256_108:
	s_andn2_b64 vcc, exec, s[12:13]
	s_cbranch_vccnz .LBB256_110
; %bb.109:
	v_mov_b32_e32 v3, 0
	global_store_dwordx2 v[0:1], v[2:3], off
.LBB256_110:
	s_mov_b64 s[12:13], 0
.LBB256_111:
	s_andn2_b64 vcc, exec, s[12:13]
	s_cbranch_vccnz .LBB256_113
; %bb.112:
	v_cvt_f16_f32_e32 v3, v2
	global_store_dword v[0:1], v3, off
.LBB256_113:
	s_mov_b64 s[12:13], 0
.LBB256_114:
	s_andn2_b64 vcc, exec, s[12:13]
	s_cbranch_vccnz .LBB256_123
; %bb.115:
	s_cmp_lt_i32 s18, 6
	s_mov_b64 s[12:13], -1
	s_cbranch_scc1 .LBB256_121
; %bb.116:
	s_cmp_gt_i32 s18, 6
	s_cbranch_scc0 .LBB256_118
; %bb.117:
	v_cvt_f64_f32_e32 v[6:7], v2
	global_store_dwordx2 v[0:1], v[6:7], off
	s_mov_b64 s[12:13], 0
.LBB256_118:
	s_andn2_b64 vcc, exec, s[12:13]
	s_cbranch_vccnz .LBB256_120
; %bb.119:
	global_store_dword v[0:1], v2, off
.LBB256_120:
	s_mov_b64 s[12:13], 0
.LBB256_121:
	s_andn2_b64 vcc, exec, s[12:13]
	s_cbranch_vccnz .LBB256_123
; %bb.122:
	v_cvt_f16_f32_e32 v3, v2
	global_store_short v[0:1], v3, off
.LBB256_123:
	s_mov_b64 s[12:13], 0
.LBB256_124:
	s_andn2_b64 vcc, exec, s[12:13]
	s_cbranch_vccnz .LBB256_140
; %bb.125:
	s_cmp_lt_i32 s18, 2
	s_mov_b64 s[12:13], -1
	s_cbranch_scc1 .LBB256_135
; %bb.126:
	s_cmp_lt_i32 s18, 3
	s_cbranch_scc1 .LBB256_132
; %bb.127:
	s_cmp_gt_i32 s18, 3
	s_cbranch_scc0 .LBB256_129
; %bb.128:
	v_trunc_f32_e32 v3, v2
	s_mov_b32 s12, 0x2f800000
	v_mul_f32_e64 v4, |v3|, s12
	v_floor_f32_e32 v4, v4
	s_mov_b32 s12, 0xcf800000
	v_cvt_u32_f32_e32 v6, v4
	v_fma_f32 v4, v4, s12, |v3|
	v_cvt_u32_f32_e32 v4, v4
	v_ashrrev_i32_e32 v3, 31, v3
	v_xor_b32_e32 v7, v6, v3
	s_mov_b64 s[12:13], 0
	v_xor_b32_e32 v4, v4, v3
	v_sub_co_u32_e32 v6, vcc, v4, v3
	s_nop 1
	v_subb_co_u32_e32 v7, vcc, v7, v3, vcc
	global_store_dwordx2 v[0:1], v[6:7], off
.LBB256_129:
	s_andn2_b64 vcc, exec, s[12:13]
	s_cbranch_vccnz .LBB256_131
; %bb.130:
	v_cvt_i32_f32_e32 v3, v2
	global_store_dword v[0:1], v3, off
.LBB256_131:
	s_mov_b64 s[12:13], 0
.LBB256_132:
	s_andn2_b64 vcc, exec, s[12:13]
	s_cbranch_vccnz .LBB256_134
; %bb.133:
	v_cvt_i32_f32_e32 v3, v2
	global_store_short v[0:1], v3, off
.LBB256_134:
	s_mov_b64 s[12:13], 0
.LBB256_135:
	s_andn2_b64 vcc, exec, s[12:13]
	s_cbranch_vccnz .LBB256_140
; %bb.136:
	s_cmp_gt_i32 s18, 0
	s_mov_b64 s[12:13], -1
	s_cbranch_scc0 .LBB256_138
; %bb.137:
	v_cvt_i32_f32_e32 v3, v2
	s_mov_b64 s[12:13], 0
	global_store_byte v[0:1], v3, off
.LBB256_138:
	s_andn2_b64 vcc, exec, s[12:13]
	s_cbranch_vccnz .LBB256_140
; %bb.139:
	v_trunc_f32_e32 v2, v2
	s_mov_b32 s12, 0x2f800000
	v_mul_f32_e64 v3, |v2|, s12
	v_floor_f32_e32 v3, v3
	s_mov_b32 s12, 0xcf800000
	v_fma_f32 v3, v3, s12, |v2|
	v_cvt_u32_f32_e32 v3, v3
	v_ashrrev_i32_e32 v2, 31, v2
	v_xor_b32_e32 v3, v3, v2
	v_sub_u32_e32 v2, v3, v2
	global_store_byte v[0:1], v2, off
.LBB256_140:
	s_branch .LBB256_21
.LBB256_141:
	s_mov_b64 s[18:19], 0
                                        ; implicit-def: $vgpr5
	s_branch .LBB256_251
.LBB256_142:
	s_mov_b64 s[14:15], -1
                                        ; implicit-def: $vgpr3
.LBB256_143:
	s_mov_b64 s[12:13], 0
.LBB256_144:
	s_and_b64 vcc, exec, s[12:13]
	s_cbranch_vccz .LBB256_148
; %bb.145:
	s_cmp_eq_u32 s22, 29
	s_cbranch_scc0 .LBB256_147
; %bb.146:
	global_load_dwordx2 v[2:3], v[0:1], off
	s_mov_b64 s[0:1], -1
	s_mov_b64 s[14:15], 0
	s_mov_b64 s[12:13], 0
	s_waitcnt vmcnt(0)
	v_ffbh_u32_e32 v4, v3
	v_min_u32_e32 v4, 32, v4
	v_lshlrev_b64 v[2:3], v4, v[2:3]
	v_min_u32_e32 v2, 1, v2
	v_or_b32_e32 v2, v3, v2
	v_cvt_f32_u32_e32 v2, v2
	v_sub_u32_e32 v3, 32, v4
	v_ldexp_f32 v3, v2, v3
	s_branch .LBB256_149
.LBB256_147:
	s_mov_b64 s[14:15], -1
                                        ; implicit-def: $vgpr3
.LBB256_148:
	s_mov_b64 s[12:13], 0
.LBB256_149:
	s_and_b64 vcc, exec, s[12:13]
	s_cbranch_vccz .LBB256_167
; %bb.150:
	s_cmp_lt_i32 s22, 27
	s_cbranch_scc1 .LBB256_153
; %bb.151:
	s_cmp_gt_i32 s22, 27
	s_cbranch_scc0 .LBB256_154
; %bb.152:
	global_load_dword v2, v[0:1], off
	s_mov_b64 s[0:1], 0
	s_waitcnt vmcnt(0)
	v_cvt_f32_u32_e32 v3, v2
	s_branch .LBB256_155
.LBB256_153:
	s_mov_b64 s[0:1], -1
                                        ; implicit-def: $vgpr3
	s_branch .LBB256_158
.LBB256_154:
	s_mov_b64 s[0:1], -1
                                        ; implicit-def: $vgpr3
.LBB256_155:
	s_andn2_b64 vcc, exec, s[0:1]
	s_cbranch_vccnz .LBB256_157
; %bb.156:
	global_load_ushort v2, v[0:1], off
	s_waitcnt vmcnt(0)
	v_cvt_f32_u32_e32 v3, v2
.LBB256_157:
	s_mov_b64 s[0:1], 0
.LBB256_158:
	s_andn2_b64 vcc, exec, s[0:1]
	s_cbranch_vccnz .LBB256_166
; %bb.159:
	global_load_ubyte v2, v[0:1], off
	s_movk_i32 s0, 0x7f
	s_waitcnt vmcnt(0)
	v_cmp_lt_i16_e32 vcc, s0, v2
	s_mov_b64 s[0:1], 0
	s_and_saveexec_b64 s[12:13], vcc
	s_xor_b64 s[12:13], exec, s[12:13]
	s_cbranch_execz .LBB256_179
; %bb.160:
	s_movk_i32 s0, 0x80
	v_cmp_eq_u16_e32 vcc, s0, v2
	s_mov_b64 s[0:1], -1
	s_and_saveexec_b64 s[18:19], vcc
; %bb.161:
	s_xor_b64 s[0:1], exec, -1
; %bb.162:
	s_or_b64 exec, exec, s[18:19]
	s_and_b64 s[0:1], s[0:1], exec
	s_or_saveexec_b64 s[12:13], s[12:13]
	v_mov_b32_e32 v3, 0x7f800001
	s_xor_b64 exec, exec, s[12:13]
	s_cbranch_execnz .LBB256_180
.LBB256_163:
	s_or_b64 exec, exec, s[12:13]
	s_and_saveexec_b64 s[12:13], s[0:1]
	s_cbranch_execz .LBB256_165
.LBB256_164:
	v_lshlrev_b32_e32 v3, 24, v2
	v_and_b32_e32 v2, 0xffff, v2
	v_and_b32_e32 v4, 7, v2
	v_ffbh_u32_e32 v7, v4
	v_min_u32_e32 v7, 32, v7
	v_subrev_u32_e32 v8, 28, v7
	v_bfe_u32 v6, v2, 3, 4
	v_lshlrev_b32_e32 v2, v8, v2
	v_sub_u32_e32 v7, 29, v7
	v_and_b32_e32 v2, 7, v2
	v_cmp_eq_u32_e32 vcc, 0, v6
	v_and_b32_e32 v3, 0x80000000, v3
	s_nop 0
	v_cndmask_b32_e32 v6, v6, v7, vcc
	v_cndmask_b32_e32 v2, v4, v2, vcc
	v_mov_b32_e32 v4, 0x3b800000
	v_lshlrev_b32_e32 v2, 20, v2
	v_lshl_add_u32 v4, v6, 23, v4
	v_or3_b32 v3, v3, v4, v2
.LBB256_165:
	s_or_b64 exec, exec, s[12:13]
.LBB256_166:
	s_mov_b64 s[0:1], -1
.LBB256_167:
	s_branch .LBB256_202
.LBB256_168:
	s_cmp_gt_i32 s22, 22
	s_cbranch_scc0 .LBB256_178
; %bb.169:
	s_cmp_lt_i32 s22, 24
	s_cbranch_scc1 .LBB256_181
; %bb.170:
	s_cmp_gt_i32 s22, 24
	s_cbranch_scc0 .LBB256_182
; %bb.171:
	global_load_ubyte v2, v[0:1], off
	s_movk_i32 s0, 0x7f
	s_waitcnt vmcnt(0)
	v_cmp_lt_i16_e32 vcc, s0, v2
	s_mov_b64 s[0:1], 0
	s_and_saveexec_b64 s[12:13], vcc
	s_xor_b64 s[12:13], exec, s[12:13]
	s_cbranch_execz .LBB256_194
; %bb.172:
	s_movk_i32 s0, 0x80
	v_cmp_eq_u16_e32 vcc, s0, v2
	s_mov_b64 s[0:1], -1
	s_and_saveexec_b64 s[18:19], vcc
; %bb.173:
	s_xor_b64 s[0:1], exec, -1
; %bb.174:
	s_or_b64 exec, exec, s[18:19]
	s_and_b64 s[0:1], s[0:1], exec
	s_or_saveexec_b64 s[12:13], s[12:13]
	v_mov_b32_e32 v3, 0x7f800001
	s_xor_b64 exec, exec, s[12:13]
	s_cbranch_execnz .LBB256_195
.LBB256_175:
	s_or_b64 exec, exec, s[12:13]
	s_and_saveexec_b64 s[12:13], s[0:1]
	s_cbranch_execz .LBB256_177
.LBB256_176:
	v_lshlrev_b32_e32 v3, 24, v2
	v_and_b32_e32 v2, 0xffff, v2
	v_and_b32_e32 v4, 3, v2
	v_ffbh_u32_e32 v7, v4
	v_min_u32_e32 v7, 32, v7
	v_subrev_u32_e32 v8, 29, v7
	v_bfe_u32 v6, v2, 2, 5
	v_lshlrev_b32_e32 v2, v8, v2
	v_sub_u32_e32 v7, 30, v7
	v_and_b32_e32 v2, 3, v2
	v_cmp_eq_u32_e32 vcc, 0, v6
	v_and_b32_e32 v3, 0x80000000, v3
	s_nop 0
	v_cndmask_b32_e32 v6, v6, v7, vcc
	v_cndmask_b32_e32 v2, v4, v2, vcc
	v_mov_b32_e32 v4, 0x37800000
	v_lshlrev_b32_e32 v2, 21, v2
	v_lshl_add_u32 v4, v6, 23, v4
	v_or3_b32 v3, v3, v4, v2
.LBB256_177:
	s_or_b64 exec, exec, s[12:13]
	s_mov_b64 s[0:1], 0
	s_branch .LBB256_183
.LBB256_178:
	s_mov_b64 s[12:13], -1
                                        ; implicit-def: $vgpr3
	s_branch .LBB256_189
.LBB256_179:
	s_or_saveexec_b64 s[12:13], s[12:13]
	v_mov_b32_e32 v3, 0x7f800001
	s_xor_b64 exec, exec, s[12:13]
	s_cbranch_execz .LBB256_163
.LBB256_180:
	v_cmp_ne_u16_e32 vcc, 0, v2
	s_andn2_b64 s[0:1], s[0:1], exec
	s_and_b64 s[18:19], vcc, exec
	v_mov_b32_e32 v3, 0
	s_or_b64 s[0:1], s[0:1], s[18:19]
	s_or_b64 exec, exec, s[12:13]
	s_and_saveexec_b64 s[12:13], s[0:1]
	s_cbranch_execnz .LBB256_164
	s_branch .LBB256_165
.LBB256_181:
	s_mov_b64 s[0:1], -1
                                        ; implicit-def: $vgpr3
	s_branch .LBB256_186
.LBB256_182:
	s_mov_b64 s[0:1], -1
                                        ; implicit-def: $vgpr3
.LBB256_183:
	s_and_b64 vcc, exec, s[0:1]
	s_cbranch_vccz .LBB256_185
; %bb.184:
	global_load_ubyte v2, v[0:1], off
	s_mov_b32 s0, 0x7f800000
	s_waitcnt vmcnt(0)
	v_lshlrev_b32_e32 v2, 24, v2
	v_and_b32_e32 v3, 0x7f000000, v2
	v_ffbh_u32_e32 v4, v3
	v_min_u32_e32 v4, 32, v4
	v_sub_u32_e64 v4, v4, 4 clamp
	v_lshlrev_b32_e32 v7, v4, v3
	v_lshlrev_b32_e32 v4, 23, v4
	v_lshrrev_b32_e32 v7, 4, v7
	v_add_u32_e32 v6, 0x1000000, v3
	v_sub_u32_e32 v4, v7, v4
	v_ashrrev_i32_e32 v6, 8, v6
	v_add_u32_e32 v4, 0x3c000000, v4
	v_and_or_b32 v4, v6, s0, v4
	v_cmp_ne_u32_e32 vcc, 0, v3
	s_brev_b32 s0, 1
	s_nop 0
	v_cndmask_b32_e32 v3, 0, v4, vcc
	v_and_or_b32 v3, v2, s0, v3
.LBB256_185:
	s_mov_b64 s[0:1], 0
.LBB256_186:
	s_andn2_b64 vcc, exec, s[0:1]
	s_cbranch_vccnz .LBB256_188
; %bb.187:
	global_load_ubyte v2, v[0:1], off
	s_movk_i32 s0, 0x7f00
	s_brev_b32 s1, 16
	s_waitcnt vmcnt(0)
	v_lshlrev_b16_e32 v3, 8, v2
	v_lshlrev_b32_e32 v2, 25, v2
	v_lshrrev_b32_e32 v4, 4, v2
	v_and_or_b32 v6, v3, s0, 0.5
	v_or_b32_e32 v4, 0x70000000, v4
	v_add_f32_e32 v6, -0.5, v6
	v_mul_f32_e32 v4, 0x7800000, v4
	v_cmp_gt_u32_e32 vcc, s1, v2
	v_bfe_i32 v3, v3, 0, 16
	s_brev_b32 s0, 1
	v_cndmask_b32_e32 v2, v4, v6, vcc
	v_and_or_b32 v3, v3, s0, v2
.LBB256_188:
	s_mov_b64 s[12:13], 0
	s_mov_b64 s[0:1], -1
.LBB256_189:
	s_andn2_b64 vcc, exec, s[12:13]
	s_cbranch_vccnz .LBB256_202
; %bb.190:
	s_cmp_gt_i32 s22, 14
	s_cbranch_scc0 .LBB256_193
; %bb.191:
	s_cmp_eq_u32 s22, 15
	s_cbranch_scc0 .LBB256_196
; %bb.192:
	global_load_ushort v2, v[0:1], off
	s_mov_b64 s[0:1], -1
	s_mov_b64 s[14:15], 0
	s_waitcnt vmcnt(0)
	v_lshlrev_b32_e32 v3, 16, v2
	s_branch .LBB256_197
.LBB256_193:
	s_mov_b64 s[12:13], -1
                                        ; implicit-def: $vgpr3
	s_branch .LBB256_198
.LBB256_194:
	s_or_saveexec_b64 s[12:13], s[12:13]
	v_mov_b32_e32 v3, 0x7f800001
	s_xor_b64 exec, exec, s[12:13]
	s_cbranch_execz .LBB256_175
.LBB256_195:
	v_cmp_ne_u16_e32 vcc, 0, v2
	s_andn2_b64 s[0:1], s[0:1], exec
	s_and_b64 s[18:19], vcc, exec
	v_mov_b32_e32 v3, 0
	s_or_b64 s[0:1], s[0:1], s[18:19]
	s_or_b64 exec, exec, s[12:13]
	s_and_saveexec_b64 s[12:13], s[0:1]
	s_cbranch_execnz .LBB256_176
	s_branch .LBB256_177
.LBB256_196:
	s_mov_b64 s[14:15], -1
                                        ; implicit-def: $vgpr3
.LBB256_197:
	s_mov_b64 s[12:13], 0
.LBB256_198:
	s_and_b64 vcc, exec, s[12:13]
	s_cbranch_vccz .LBB256_202
; %bb.199:
	s_cmp_eq_u32 s22, 11
	s_cbranch_scc0 .LBB256_201
; %bb.200:
	global_load_ubyte v2, v[0:1], off
	s_mov_b64 s[0:1], -1
	s_mov_b64 s[14:15], 0
	s_waitcnt vmcnt(0)
	v_cmp_ne_u16_e32 vcc, 0, v2
	s_nop 1
	v_cndmask_b32_e64 v3, 0, 1.0, vcc
	s_branch .LBB256_202
.LBB256_201:
	s_mov_b64 s[14:15], -1
                                        ; implicit-def: $vgpr3
.LBB256_202:
	s_branch .LBB256_10
.LBB256_203:
	s_cmp_lt_i32 s22, 5
	s_cbranch_scc1 .LBB256_208
; %bb.204:
	s_cmp_lt_i32 s22, 8
	s_cbranch_scc1 .LBB256_209
; %bb.205:
	s_cmp_lt_i32 s22, 9
	s_cbranch_scc1 .LBB256_210
; %bb.206:
	s_cmp_gt_i32 s22, 9
	s_cbranch_scc0 .LBB256_211
; %bb.207:
	global_load_dwordx2 v[2:3], v[0:1], off
	s_mov_b64 s[0:1], 0
	s_waitcnt vmcnt(0)
	v_cvt_f32_f64_e32 v3, v[2:3]
	s_branch .LBB256_212
.LBB256_208:
                                        ; implicit-def: $vgpr3
	s_branch .LBB256_230
.LBB256_209:
	s_mov_b64 s[0:1], -1
                                        ; implicit-def: $vgpr3
	s_branch .LBB256_218
.LBB256_210:
	s_mov_b64 s[0:1], -1
                                        ; implicit-def: $vgpr3
	s_branch .LBB256_215
.LBB256_211:
	s_mov_b64 s[0:1], -1
                                        ; implicit-def: $vgpr3
.LBB256_212:
	s_andn2_b64 vcc, exec, s[0:1]
	s_cbranch_vccnz .LBB256_214
; %bb.213:
	global_load_dword v3, v[0:1], off
.LBB256_214:
	s_mov_b64 s[0:1], 0
.LBB256_215:
	s_andn2_b64 vcc, exec, s[0:1]
	s_cbranch_vccnz .LBB256_217
; %bb.216:
	global_load_dword v2, v[0:1], off
	s_waitcnt vmcnt(0)
	v_cvt_f32_f16_e32 v3, v2
.LBB256_217:
	s_mov_b64 s[0:1], 0
.LBB256_218:
	s_andn2_b64 vcc, exec, s[0:1]
	s_cbranch_vccnz .LBB256_229
; %bb.219:
	s_cmp_lt_i32 s22, 6
	s_cbranch_scc1 .LBB256_222
; %bb.220:
	s_cmp_gt_i32 s22, 6
	s_cbranch_scc0 .LBB256_223
; %bb.221:
	global_load_dwordx2 v[2:3], v[0:1], off
	s_mov_b64 s[0:1], 0
	s_waitcnt vmcnt(0)
	v_cvt_f32_f64_e32 v3, v[2:3]
	s_branch .LBB256_224
.LBB256_222:
	s_mov_b64 s[0:1], -1
                                        ; implicit-def: $vgpr3
	s_branch .LBB256_227
.LBB256_223:
	s_mov_b64 s[0:1], -1
                                        ; implicit-def: $vgpr3
.LBB256_224:
	s_andn2_b64 vcc, exec, s[0:1]
	s_cbranch_vccnz .LBB256_226
; %bb.225:
	global_load_dword v3, v[0:1], off
.LBB256_226:
	s_mov_b64 s[0:1], 0
.LBB256_227:
	s_andn2_b64 vcc, exec, s[0:1]
	s_cbranch_vccnz .LBB256_229
; %bb.228:
	global_load_ushort v2, v[0:1], off
	s_waitcnt vmcnt(0)
	v_cvt_f32_f16_e32 v3, v2
.LBB256_229:
	s_cbranch_execnz .LBB256_249
.LBB256_230:
	s_cmp_lt_i32 s22, 2
	s_cbranch_scc1 .LBB256_234
; %bb.231:
	s_cmp_lt_i32 s22, 3
	s_cbranch_scc1 .LBB256_235
; %bb.232:
	s_cmp_gt_i32 s22, 3
	s_cbranch_scc0 .LBB256_236
; %bb.233:
	global_load_dwordx2 v[2:3], v[0:1], off
	s_mov_b64 s[0:1], 0
	s_waitcnt vmcnt(0)
	v_xor_b32_e32 v6, v2, v3
	v_ffbh_i32_e32 v4, v3
	v_ashrrev_i32_e32 v6, 31, v6
	v_add_u32_e32 v4, -1, v4
	v_add_u32_e32 v6, 32, v6
	v_min_u32_e32 v4, v4, v6
	v_lshlrev_b64 v[2:3], v4, v[2:3]
	v_min_u32_e32 v2, 1, v2
	v_or_b32_e32 v2, v3, v2
	v_cvt_f32_i32_e32 v2, v2
	v_sub_u32_e32 v3, 32, v4
	v_ldexp_f32 v3, v2, v3
	s_branch .LBB256_237
.LBB256_234:
	s_mov_b64 s[0:1], -1
                                        ; implicit-def: $vgpr3
	s_branch .LBB256_243
.LBB256_235:
	s_mov_b64 s[0:1], -1
                                        ; implicit-def: $vgpr3
	s_branch .LBB256_240
.LBB256_236:
	s_mov_b64 s[0:1], -1
                                        ; implicit-def: $vgpr3
.LBB256_237:
	s_andn2_b64 vcc, exec, s[0:1]
	s_cbranch_vccnz .LBB256_239
; %bb.238:
	global_load_dword v2, v[0:1], off
	s_waitcnt vmcnt(0)
	v_cvt_f32_i32_e32 v3, v2
.LBB256_239:
	s_mov_b64 s[0:1], 0
.LBB256_240:
	s_andn2_b64 vcc, exec, s[0:1]
	s_cbranch_vccnz .LBB256_242
; %bb.241:
	global_load_sshort v2, v[0:1], off
	s_waitcnt vmcnt(0)
	v_cvt_f32_i32_e32 v3, v2
.LBB256_242:
	s_mov_b64 s[0:1], 0
.LBB256_243:
	s_andn2_b64 vcc, exec, s[0:1]
	s_cbranch_vccnz .LBB256_249
; %bb.244:
	s_cmp_gt_i32 s22, 0
	s_cbranch_scc0 .LBB256_246
; %bb.245:
	global_load_sbyte v2, v[0:1], off
	s_mov_b64 s[0:1], 0
	s_waitcnt vmcnt(0)
	v_cvt_f32_i32_e32 v3, v2
	s_branch .LBB256_247
.LBB256_246:
	s_mov_b64 s[0:1], -1
                                        ; implicit-def: $vgpr3
.LBB256_247:
	s_andn2_b64 vcc, exec, s[0:1]
	s_cbranch_vccnz .LBB256_249
; %bb.248:
	global_load_ubyte v0, v[0:1], off
	s_waitcnt vmcnt(0)
	v_cvt_f32_ubyte0_e32 v3, v0
.LBB256_249:
	s_branch .LBB256_11
.LBB256_250:
	s_mov_b64 s[0:1], 0
                                        ; implicit-def: $vgpr5
	s_mov_b64 s[18:19], 0
.LBB256_251:
	s_and_b64 s[12:13], s[0:1], exec
	s_and_b64 s[14:15], s[14:15], exec
	s_orn2_b64 s[18:19], s[18:19], exec
.LBB256_252:
	s_or_b64 exec, exec, s[16:17]
	s_mov_b64 s[22:23], 0
	s_mov_b64 s[0:1], 0
                                        ; implicit-def: $vgpr0_vgpr1
                                        ; implicit-def: $vgpr3
	s_and_saveexec_b64 s[16:17], s[18:19]
	s_cbranch_execz .LBB256_261
; %bb.253:
	v_cmp_gt_i32_e32 vcc, s38, v5
	s_mov_b64 s[0:1], -1
	s_mov_b64 s[18:19], s[14:15]
	s_mov_b64 s[20:21], s[12:13]
	s_and_saveexec_b64 s[22:23], vcc
	s_cbranch_execz .LBB256_513
; %bb.254:
	v_mul_lo_u32 v0, v5, s9
	v_ashrrev_i32_e32 v1, 31, v0
	s_and_b32 s26, 0xffff, s42
	s_cmp_lt_i32 s26, 11
	v_lshl_add_u64 v[0:1], s[6:7], 0, v[0:1]
	s_cbranch_scc1 .LBB256_264
; %bb.255:
	s_cmp_gt_i32 s26, 25
	s_cbranch_scc0 .LBB256_273
; %bb.256:
	s_cmp_gt_i32 s26, 28
	s_cbranch_scc0 .LBB256_275
	;; [unrolled: 3-line block ×4, first 2 shown]
; %bb.259:
	s_cmp_eq_u32 s26, 46
	s_mov_b64 s[20:21], 0
	s_cbranch_scc0 .LBB256_285
; %bb.260:
	global_load_dword v2, v[0:1], off
	s_mov_b64 s[18:19], 0
	s_waitcnt vmcnt(0)
	v_lshlrev_b32_e32 v3, 16, v2
	s_branch .LBB256_286
.LBB256_261:
	s_or_b64 exec, exec, s[16:17]
	s_mov_b64 s[16:17], 0
	s_and_saveexec_b64 s[18:19], s[14:15]
	s_cbranch_execnz .LBB256_859
.LBB256_262:
	s_or_b64 exec, exec, s[18:19]
	s_and_saveexec_b64 s[14:15], s[20:21]
	s_xor_b64 s[14:15], exec, s[14:15]
	s_cbranch_execz .LBB256_860
.LBB256_263:
	global_load_ubyte v2, v[0:1], off
	s_or_b64 s[0:1], s[0:1], exec
	s_waitcnt vmcnt(0)
	v_cmp_ne_u16_e32 vcc, 0, v2
	s_nop 1
	v_cndmask_b32_e64 v3, 0, 1.0, vcc
	s_or_b64 exec, exec, s[14:15]
	s_and_saveexec_b64 s[14:15], s[22:23]
	s_cbranch_execz .LBB256_906
	s_branch .LBB256_861
.LBB256_264:
	s_mov_b64 s[0:1], 0
                                        ; implicit-def: $vgpr3
	s_mov_b64 s[18:19], s[14:15]
	s_cbranch_execnz .LBB256_463
.LBB256_265:
	s_andn2_b64 vcc, exec, s[0:1]
	s_cbranch_vccnz .LBB256_511
.LBB256_266:
	s_mov_b32 s0, 0xf800000
	s_waitcnt vmcnt(0)
	v_mul_f32_e32 v0, 0x4f800000, v3
	v_cmp_gt_f32_e32 vcc, s0, v3
	s_and_b32 s28, s33, 0xff
	s_cmp_lt_i32 s28, 11
	v_cndmask_b32_e32 v0, v3, v0, vcc
	v_sqrt_f32_e32 v1, v0
	s_nop 0
	v_add_u32_e32 v2, -1, v1
	v_fma_f32 v4, -v2, v1, v0
	v_cmp_ge_f32_e64 s[0:1], 0, v4
	v_add_u32_e32 v4, 1, v1
	s_nop 0
	v_cndmask_b32_e64 v2, v1, v2, s[0:1]
	v_fma_f32 v1, -v4, v1, v0
	v_cmp_lt_f32_e64 s[0:1], 0, v1
	s_nop 1
	v_cndmask_b32_e64 v1, v2, v4, s[0:1]
	v_mul_f32_e32 v2, 0x37800000, v1
	v_cndmask_b32_e32 v1, v1, v2, vcc
	v_mov_b32_e32 v2, 0x260
	v_cmp_class_f32_e32 vcc, v0, v2
	s_nop 1
	v_cndmask_b32_e32 v2, v1, v0, vcc
	v_mul_lo_u32 v0, v5, s8
	v_ashrrev_i32_e32 v1, 31, v0
	v_lshl_add_u64 v[0:1], s[4:5], 0, v[0:1]
	s_cbranch_scc1 .LBB256_274
; %bb.267:
	s_and_b32 s29, 0xffff, s28
	s_cmp_gt_i32 s29, 25
	s_cbranch_scc0 .LBB256_276
; %bb.268:
	s_cmp_gt_i32 s29, 28
	s_cbranch_scc0 .LBB256_278
; %bb.269:
	;; [unrolled: 3-line block ×4, first 2 shown]
	s_mov_b64 s[24:25], 0
	s_mov_b64 s[0:1], -1
	s_cmp_eq_u32 s29, 46
	s_mov_b64 s[20:21], 0
	s_cbranch_scc0 .LBB256_290
; %bb.272:
	v_bfe_u32 v4, v2, 16, 1
	s_movk_i32 s0, 0x7fff
	v_add3_u32 v4, v2, v4, s0
	v_cmp_le_f32_e32 vcc, 0, v3
	v_mov_b32_e32 v6, 0x7fc0
	s_mov_b64 s[20:21], -1
	v_cndmask_b32_sdwa v4, v6, v4, vcc dst_sel:DWORD dst_unused:UNUSED_PAD src0_sel:DWORD src1_sel:WORD_1
	global_store_dword v[0:1], v4, off
	s_mov_b64 s[0:1], 0
	s_branch .LBB256_290
.LBB256_273:
	s_mov_b64 s[20:21], -1
	s_mov_b64 s[0:1], 0
	s_mov_b64 s[18:19], s[14:15]
                                        ; implicit-def: $vgpr3
	s_branch .LBB256_427
.LBB256_274:
	s_mov_b64 s[24:25], -1
	s_mov_b64 s[20:21], 0
	s_mov_b64 s[0:1], s[12:13]
	s_branch .LBB256_359
.LBB256_275:
	s_mov_b64 s[20:21], -1
	s_mov_b64 s[0:1], 0
	s_mov_b64 s[18:19], s[14:15]
                                        ; implicit-def: $vgpr3
	s_branch .LBB256_408
.LBB256_276:
	s_mov_b64 s[24:25], -1
	s_mov_b64 s[20:21], 0
	s_mov_b64 s[0:1], s[12:13]
	s_branch .LBB256_317
.LBB256_277:
	s_mov_b64 s[20:21], -1
	s_mov_b64 s[0:1], 0
	s_mov_b64 s[18:19], s[14:15]
                                        ; implicit-def: $vgpr3
	s_branch .LBB256_403
.LBB256_278:
	s_mov_b64 s[24:25], -1
	s_mov_b64 s[20:21], 0
	s_mov_b64 s[0:1], s[12:13]
	s_branch .LBB256_300
.LBB256_279:
	s_andn2_saveexec_b64 s[22:23], s[22:23]
	s_cbranch_execz .LBB256_55
.LBB256_280:
	s_mov_b32 s26, 0x46000000
	v_add_f32_e64 v4, |v2|, s26
	v_and_b32_e32 v4, 0xff, v4
	v_cmp_ne_u32_e32 vcc, 0, v4
	s_andn2_b64 s[18:19], s[18:19], exec
	s_and_b64 s[26:27], vcc, exec
	s_or_b64 s[18:19], s[18:19], s[26:27]
	s_or_b64 exec, exec, s[22:23]
	v_mov_b32_e32 v6, 0
	s_and_saveexec_b64 s[22:23], s[18:19]
	s_cbranch_execnz .LBB256_56
	s_branch .LBB256_57
.LBB256_281:
	s_mov_b64 s[20:21], -1
	s_mov_b64 s[0:1], 0
	s_mov_b64 s[18:19], s[14:15]
                                        ; implicit-def: $vgpr3
	s_branch .LBB256_286
.LBB256_282:
	s_mov_b64 s[24:25], -1
	s_mov_b64 s[20:21], 0
	s_mov_b64 s[0:1], s[12:13]
	s_branch .LBB256_296
.LBB256_283:
	s_andn2_saveexec_b64 s[22:23], s[22:23]
	s_cbranch_execz .LBB256_68
.LBB256_284:
	s_mov_b32 s26, 0x42800000
	v_add_f32_e64 v4, |v2|, s26
	v_and_b32_e32 v4, 0xff, v4
	v_cmp_ne_u32_e32 vcc, 0, v4
	s_andn2_b64 s[18:19], s[18:19], exec
	s_and_b64 s[26:27], vcc, exec
	s_or_b64 s[18:19], s[18:19], s[26:27]
	s_or_b64 exec, exec, s[22:23]
	v_mov_b32_e32 v6, 0
	s_and_saveexec_b64 s[22:23], s[18:19]
	s_cbranch_execnz .LBB256_69
	s_branch .LBB256_70
.LBB256_285:
	s_mov_b64 s[18:19], -1
                                        ; implicit-def: $vgpr3
	s_mov_b64 s[0:1], 0
.LBB256_286:
	s_and_b64 vcc, exec, s[20:21]
	s_cbranch_vccz .LBB256_402
; %bb.287:
	s_cmp_eq_u32 s26, 44
	s_cbranch_scc0 .LBB256_401
; %bb.288:
	global_load_ubyte v2, v[0:1], off
	s_movk_i32 s18, 0xff
	s_waitcnt vmcnt(1)
	v_mov_b32_e32 v3, 0x7f800001
	v_mov_b32_e32 v4, 0x400000
	s_mov_b64 s[0:1], -1
	s_waitcnt vmcnt(0)
	v_lshlrev_b32_e32 v6, 23, v2
	v_cmp_ne_u32_e32 vcc, s18, v2
	s_mov_b64 s[18:19], 0
	s_nop 0
	v_cndmask_b32_e32 v3, v3, v6, vcc
	v_cmp_ne_u32_e32 vcc, 0, v2
	s_nop 1
	v_cndmask_b32_e32 v3, v4, v3, vcc
	s_branch .LBB256_402
.LBB256_289:
	s_mov_b64 s[24:25], -1
	s_mov_b64 s[20:21], 0
	s_mov_b64 s[0:1], s[12:13]
.LBB256_290:
	s_and_b64 vcc, exec, s[24:25]
	s_cbranch_vccz .LBB256_295
; %bb.291:
	s_cmp_eq_u32 s29, 44
	s_mov_b64 s[0:1], -1
	s_cbranch_scc0 .LBB256_295
; %bb.292:
	v_bfe_u32 v4, v2, 23, 8
	s_movk_i32 s0, 0xff
	v_cmp_ne_u32_e32 vcc, s0, v4
	v_mov_b32_e32 v6, 0xff
	s_and_saveexec_b64 s[20:21], vcc
; %bb.293:
	s_mov_b32 s0, 0x3fffff
	v_and_b32_e32 v7, 0x400000, v2
	v_and_or_b32 v4, v2, s0, v4
	v_cmp_ne_u32_e32 vcc, 0, v7
	v_cmp_ne_u32_e64 s[0:1], 0, v4
	s_and_b64 s[0:1], vcc, s[0:1]
	v_lshrrev_b32_e32 v6, 23, v2
	v_cndmask_b32_e64 v4, 0, 1, s[0:1]
	v_add_u32_e32 v6, v6, v4
; %bb.294:
	s_or_b64 exec, exec, s[20:21]
	s_mov_b64 s[20:21], -1
	s_mov_b64 s[0:1], 0
	global_store_byte v[0:1], v6, off
.LBB256_295:
	s_mov_b64 s[24:25], 0
.LBB256_296:
	s_and_b64 vcc, exec, s[24:25]
	s_cbranch_vccz .LBB256_299
; %bb.297:
	s_cmp_eq_u32 s29, 29
	s_mov_b64 s[0:1], -1
	s_cbranch_scc0 .LBB256_299
; %bb.298:
	v_trunc_f32_e32 v4, v2
	v_mul_f32_e32 v6, 0x2f800000, v4
	v_floor_f32_e32 v6, v6
	v_fmamk_f32 v4, v6, 0xcf800000, v4
	v_cvt_u32_f32_e32 v7, v6
	v_cvt_u32_f32_e32 v6, v4
	s_mov_b64 s[20:21], -1
	s_mov_b64 s[0:1], 0
	s_mov_b64 s[24:25], 0
	global_store_dwordx2 v[0:1], v[6:7], off
	s_branch .LBB256_300
.LBB256_299:
	s_mov_b64 s[24:25], 0
.LBB256_300:
	s_and_b64 vcc, exec, s[24:25]
	s_cbranch_vccz .LBB256_316
; %bb.301:
	s_cmp_lt_i32 s29, 27
	s_mov_b64 s[20:21], -1
	s_cbranch_scc1 .LBB256_307
; %bb.302:
	v_cvt_u32_f32_e32 v4, v2
	s_cmp_gt_i32 s29, 27
	s_cbranch_scc0 .LBB256_304
; %bb.303:
	s_mov_b64 s[20:21], 0
	global_store_dword v[0:1], v4, off
.LBB256_304:
	s_andn2_b64 vcc, exec, s[20:21]
	s_cbranch_vccnz .LBB256_306
; %bb.305:
	global_store_short v[0:1], v4, off
.LBB256_306:
	s_mov_b64 s[20:21], 0
.LBB256_307:
	s_andn2_b64 vcc, exec, s[20:21]
	s_cbranch_vccnz .LBB256_315
; %bb.308:
	v_and_b32_e32 v4, 0x7fffffff, v2
	s_mov_b32 s20, 0x43800000
	v_cmp_gt_u32_e32 vcc, s20, v4
	v_mov_b32_e32 v6, 0x80
	s_and_saveexec_b64 s[20:21], vcc
	s_cbranch_execz .LBB256_314
; %bb.309:
	s_mov_b32 s24, 0x3bffffff
	v_cmp_lt_u32_e32 vcc, s24, v4
	s_mov_b64 s[24:25], 0
                                        ; implicit-def: $vgpr4
	s_and_saveexec_b64 s[26:27], vcc
	s_xor_b64 s[26:27], exec, s[26:27]
	s_cbranch_execz .LBB256_526
; %bb.310:
	v_bfe_u32 v4, v2, 20, 1
	s_mov_b32 s30, 0x487ffff
	v_add3_u32 v4, v2, v4, s30
	s_mov_b64 s[24:25], exec
	v_lshrrev_b32_e32 v4, 20, v4
	s_andn2_saveexec_b64 s[26:27], s[26:27]
	s_cbranch_execnz .LBB256_527
.LBB256_311:
	s_or_b64 exec, exec, s[26:27]
	v_mov_b32_e32 v6, 0
	s_and_saveexec_b64 s[26:27], s[24:25]
.LBB256_312:
	v_lshrrev_b32_e32 v6, 24, v2
	s_movk_i32 s24, 0x80
	v_and_or_b32 v6, v6, s24, v4
.LBB256_313:
	s_or_b64 exec, exec, s[26:27]
.LBB256_314:
	s_or_b64 exec, exec, s[20:21]
	global_store_byte v[0:1], v6, off
.LBB256_315:
	s_mov_b64 s[20:21], -1
.LBB256_316:
	s_mov_b64 s[24:25], 0
.LBB256_317:
	s_and_b64 vcc, exec, s[24:25]
	s_cbranch_vccz .LBB256_358
; %bb.318:
	s_cmp_gt_i32 s29, 22
	s_mov_b64 s[24:25], -1
	s_cbranch_scc0 .LBB256_350
; %bb.319:
	s_cmp_lt_i32 s29, 24
	s_mov_b64 s[20:21], -1
	s_cbranch_scc1 .LBB256_339
; %bb.320:
	s_cmp_gt_i32 s29, 24
	s_cbranch_scc0 .LBB256_328
; %bb.321:
	v_and_b32_e32 v4, 0x7fffffff, v2
	s_mov_b32 s20, 0x47800000
	v_cmp_gt_u32_e32 vcc, s20, v4
	v_mov_b32_e32 v6, 0x80
	s_and_saveexec_b64 s[20:21], vcc
	s_cbranch_execz .LBB256_327
; %bb.322:
	s_mov_b32 s24, 0x37ffffff
	v_cmp_lt_u32_e32 vcc, s24, v4
	s_mov_b64 s[24:25], 0
                                        ; implicit-def: $vgpr4
	s_and_saveexec_b64 s[26:27], vcc
	s_xor_b64 s[26:27], exec, s[26:27]
	s_cbranch_execz .LBB256_529
; %bb.323:
	v_bfe_u32 v4, v2, 21, 1
	s_mov_b32 s30, 0x88fffff
	v_add3_u32 v4, v2, v4, s30
	s_mov_b64 s[24:25], exec
	v_lshrrev_b32_e32 v4, 21, v4
	s_andn2_saveexec_b64 s[26:27], s[26:27]
	s_cbranch_execnz .LBB256_530
.LBB256_324:
	s_or_b64 exec, exec, s[26:27]
	v_mov_b32_e32 v6, 0
	s_and_saveexec_b64 s[26:27], s[24:25]
.LBB256_325:
	v_lshrrev_b32_e32 v6, 24, v2
	s_movk_i32 s24, 0x80
	v_and_or_b32 v6, v6, s24, v4
.LBB256_326:
	s_or_b64 exec, exec, s[26:27]
.LBB256_327:
	s_or_b64 exec, exec, s[20:21]
	s_mov_b64 s[20:21], 0
	global_store_byte v[0:1], v6, off
.LBB256_328:
	s_and_b64 vcc, exec, s[20:21]
	s_cbranch_vccz .LBB256_338
; %bb.329:
	v_and_b32_e32 v6, 0x7fffffff, v2
	s_mov_b32 s20, 0x43f00000
	v_cmp_gt_u32_e32 vcc, s20, v6
                                        ; implicit-def: $vgpr4
	s_and_saveexec_b64 s[20:21], vcc
	s_xor_b64 s[20:21], exec, s[20:21]
	s_cbranch_execz .LBB256_335
; %bb.330:
	s_mov_b32 s24, 0x3c7fffff
	v_cmp_lt_u32_e32 vcc, s24, v6
                                        ; implicit-def: $vgpr4
	s_and_saveexec_b64 s[24:25], vcc
	s_xor_b64 s[24:25], exec, s[24:25]
; %bb.331:
	v_bfe_u32 v4, v2, 20, 1
	s_mov_b32 s26, 0x407ffff
	v_add3_u32 v4, v2, v4, s26
	v_lshrrev_b32_e32 v6, 20, v4
	v_and_b32_e32 v4, 0xff00000, v4
	s_mov_b32 s26, 0x7f00000
	v_mov_b32_e32 v7, 0x7e
	v_cmp_ne_u32_e32 vcc, s26, v4
	s_nop 1
	v_cndmask_b32_e32 v4, v7, v6, vcc
; %bb.332:
	s_andn2_saveexec_b64 s[24:25], s[24:25]
; %bb.333:
	s_mov_b32 s26, 0x46800000
	v_add_f32_e64 v4, |v2|, s26
; %bb.334:
	s_or_b64 exec, exec, s[24:25]
                                        ; implicit-def: $vgpr6
.LBB256_335:
	s_andn2_saveexec_b64 s[20:21], s[20:21]
; %bb.336:
	s_mov_b32 s24, 0x7f800000
	v_mov_b32_e32 v4, 0x7e
	v_mov_b32_e32 v7, 0x7f
	v_cmp_lt_u32_e32 vcc, s24, v6
	s_nop 1
	v_cndmask_b32_e32 v4, v4, v7, vcc
; %bb.337:
	s_or_b64 exec, exec, s[20:21]
	v_lshrrev_b32_e32 v6, 24, v2
	s_movk_i32 s20, 0x80
	v_and_or_b32 v4, v6, s20, v4
	global_store_byte v[0:1], v4, off
.LBB256_338:
	s_mov_b64 s[20:21], 0
.LBB256_339:
	s_andn2_b64 vcc, exec, s[20:21]
	s_cbranch_vccnz .LBB256_349
; %bb.340:
	v_and_b32_e32 v6, 0x7fffffff, v2
	s_mov_b32 s20, 0x47800000
	v_cmp_gt_u32_e32 vcc, s20, v6
                                        ; implicit-def: $vgpr4
	s_and_saveexec_b64 s[20:21], vcc
	s_xor_b64 s[20:21], exec, s[20:21]
	s_cbranch_execz .LBB256_346
; %bb.341:
	s_mov_b32 s24, 0x387fffff
	v_cmp_lt_u32_e32 vcc, s24, v6
                                        ; implicit-def: $vgpr4
	s_and_saveexec_b64 s[24:25], vcc
	s_xor_b64 s[24:25], exec, s[24:25]
; %bb.342:
	v_bfe_u32 v4, v2, 21, 1
	s_mov_b32 s26, 0x80fffff
	v_add3_u32 v4, v2, v4, s26
	v_lshrrev_b32_e32 v4, 21, v4
; %bb.343:
	s_andn2_saveexec_b64 s[24:25], s[24:25]
; %bb.344:
	s_mov_b32 s26, 0x43000000
	v_add_f32_e64 v4, |v2|, s26
; %bb.345:
	s_or_b64 exec, exec, s[24:25]
                                        ; implicit-def: $vgpr6
.LBB256_346:
	s_andn2_saveexec_b64 s[20:21], s[20:21]
; %bb.347:
	s_mov_b32 s24, 0x7f800000
	v_mov_b32_e32 v4, 0x7c
	v_mov_b32_e32 v7, 0x7f
	v_cmp_lt_u32_e32 vcc, s24, v6
	s_nop 1
	v_cndmask_b32_e32 v4, v4, v7, vcc
; %bb.348:
	s_or_b64 exec, exec, s[20:21]
	v_lshrrev_b32_e32 v6, 24, v2
	s_movk_i32 s20, 0x80
	v_and_or_b32 v4, v6, s20, v4
	global_store_byte v[0:1], v4, off
.LBB256_349:
	s_mov_b64 s[24:25], 0
	s_mov_b64 s[20:21], -1
.LBB256_350:
	s_andn2_b64 vcc, exec, s[24:25]
	s_cbranch_vccnz .LBB256_358
; %bb.351:
	s_cmp_gt_i32 s29, 14
	s_mov_b64 s[24:25], -1
	s_cbranch_scc0 .LBB256_355
; %bb.352:
	s_cmp_eq_u32 s29, 15
	s_mov_b64 s[0:1], -1
	s_cbranch_scc0 .LBB256_354
; %bb.353:
	v_bfe_u32 v4, v2, 16, 1
	s_movk_i32 s0, 0x7fff
	v_add3_u32 v4, v2, v4, s0
	v_cmp_le_f32_e32 vcc, 0, v3
	v_mov_b32_e32 v6, 0x7fc0
	s_mov_b64 s[20:21], -1
	v_cndmask_b32_sdwa v4, v6, v4, vcc dst_sel:DWORD dst_unused:UNUSED_PAD src0_sel:DWORD src1_sel:WORD_1
	global_store_short v[0:1], v4, off
	s_mov_b64 s[0:1], 0
.LBB256_354:
	s_mov_b64 s[24:25], 0
.LBB256_355:
	s_and_b64 vcc, exec, s[24:25]
	s_cbranch_vccz .LBB256_358
; %bb.356:
	s_cmp_eq_u32 s29, 11
	s_mov_b64 s[0:1], -1
	s_cbranch_scc0 .LBB256_358
; %bb.357:
	v_cmp_neq_f32_e32 vcc, 0, v3
	s_mov_b64 s[20:21], -1
	s_mov_b64 s[0:1], 0
	v_cndmask_b32_e64 v3, 0, 1, vcc
	global_store_byte v[0:1], v3, off
.LBB256_358:
	s_mov_b64 s[24:25], 0
.LBB256_359:
	s_and_b64 vcc, exec, s[24:25]
	s_cbranch_vccz .LBB256_398
; %bb.360:
	s_and_b32 s24, 0xffff, s28
	s_cmp_lt_i32 s24, 5
	s_mov_b64 s[20:21], -1
	s_cbranch_scc1 .LBB256_381
; %bb.361:
	s_cmp_lt_i32 s24, 8
	s_cbranch_scc1 .LBB256_371
; %bb.362:
	s_cmp_lt_i32 s24, 9
	s_cbranch_scc1 .LBB256_368
; %bb.363:
	s_cmp_gt_i32 s24, 9
	s_cbranch_scc0 .LBB256_365
; %bb.364:
	v_mov_b32_e32 v8, 0
	v_cvt_f64_f32_e32 v[6:7], v2
	v_mov_b32_e32 v9, v8
	s_mov_b64 s[20:21], 0
	global_store_dwordx4 v[0:1], v[6:9], off
.LBB256_365:
	s_andn2_b64 vcc, exec, s[20:21]
	s_cbranch_vccnz .LBB256_367
; %bb.366:
	v_mov_b32_e32 v3, 0
	global_store_dwordx2 v[0:1], v[2:3], off
.LBB256_367:
	s_mov_b64 s[20:21], 0
.LBB256_368:
	s_andn2_b64 vcc, exec, s[20:21]
	s_cbranch_vccnz .LBB256_370
; %bb.369:
	v_cvt_f16_f32_e32 v3, v2
	global_store_dword v[0:1], v3, off
.LBB256_370:
	s_mov_b64 s[20:21], 0
.LBB256_371:
	s_andn2_b64 vcc, exec, s[20:21]
	s_cbranch_vccnz .LBB256_380
; %bb.372:
	s_cmp_lt_i32 s24, 6
	s_mov_b64 s[20:21], -1
	s_cbranch_scc1 .LBB256_378
; %bb.373:
	s_cmp_gt_i32 s24, 6
	s_cbranch_scc0 .LBB256_375
; %bb.374:
	v_cvt_f64_f32_e32 v[6:7], v2
	s_mov_b64 s[20:21], 0
	global_store_dwordx2 v[0:1], v[6:7], off
.LBB256_375:
	s_andn2_b64 vcc, exec, s[20:21]
	s_cbranch_vccnz .LBB256_377
; %bb.376:
	global_store_dword v[0:1], v2, off
.LBB256_377:
	s_mov_b64 s[20:21], 0
.LBB256_378:
	s_andn2_b64 vcc, exec, s[20:21]
	s_cbranch_vccnz .LBB256_380
; %bb.379:
	v_cvt_f16_f32_e32 v3, v2
	global_store_short v[0:1], v3, off
.LBB256_380:
	s_mov_b64 s[20:21], 0
.LBB256_381:
	s_andn2_b64 vcc, exec, s[20:21]
	s_cbranch_vccnz .LBB256_397
; %bb.382:
	s_cmp_lt_i32 s24, 2
	s_mov_b64 s[20:21], -1
	s_cbranch_scc1 .LBB256_392
; %bb.383:
	s_cmp_lt_i32 s24, 3
	s_cbranch_scc1 .LBB256_389
; %bb.384:
	s_cmp_gt_i32 s24, 3
	s_cbranch_scc0 .LBB256_386
; %bb.385:
	v_trunc_f32_e32 v3, v2
	s_mov_b32 s20, 0x2f800000
	v_mul_f32_e64 v4, |v3|, s20
	v_floor_f32_e32 v4, v4
	s_mov_b32 s20, 0xcf800000
	v_cvt_u32_f32_e32 v6, v4
	v_fma_f32 v4, v4, s20, |v3|
	v_cvt_u32_f32_e32 v4, v4
	v_ashrrev_i32_e32 v3, 31, v3
	v_xor_b32_e32 v7, v6, v3
	s_mov_b64 s[20:21], 0
	v_xor_b32_e32 v4, v4, v3
	v_sub_co_u32_e32 v6, vcc, v4, v3
	s_nop 1
	v_subb_co_u32_e32 v7, vcc, v7, v3, vcc
	global_store_dwordx2 v[0:1], v[6:7], off
.LBB256_386:
	s_andn2_b64 vcc, exec, s[20:21]
	s_cbranch_vccnz .LBB256_388
; %bb.387:
	v_cvt_i32_f32_e32 v3, v2
	global_store_dword v[0:1], v3, off
.LBB256_388:
	s_mov_b64 s[20:21], 0
.LBB256_389:
	s_andn2_b64 vcc, exec, s[20:21]
	s_cbranch_vccnz .LBB256_391
; %bb.390:
	v_cvt_i32_f32_e32 v3, v2
	global_store_short v[0:1], v3, off
.LBB256_391:
	s_mov_b64 s[20:21], 0
.LBB256_392:
	s_andn2_b64 vcc, exec, s[20:21]
	s_cbranch_vccnz .LBB256_397
; %bb.393:
	s_cmp_gt_i32 s24, 0
	s_mov_b64 s[20:21], -1
	s_cbranch_scc0 .LBB256_395
; %bb.394:
	v_cvt_i32_f32_e32 v3, v2
	s_mov_b64 s[20:21], 0
	global_store_byte v[0:1], v3, off
.LBB256_395:
	s_andn2_b64 vcc, exec, s[20:21]
	s_cbranch_vccnz .LBB256_397
; %bb.396:
	v_trunc_f32_e32 v2, v2
	s_mov_b32 s20, 0x2f800000
	v_mul_f32_e64 v3, |v2|, s20
	v_floor_f32_e32 v3, v3
	s_mov_b32 s20, 0xcf800000
	v_fma_f32 v3, v3, s20, |v2|
	v_cvt_u32_f32_e32 v3, v3
	v_ashrrev_i32_e32 v2, 31, v2
	v_xor_b32_e32 v3, v3, v2
	v_sub_u32_e32 v2, v3, v2
	global_store_byte v[0:1], v2, off
.LBB256_397:
	s_mov_b64 s[20:21], -1
.LBB256_398:
	s_andn2_b64 vcc, exec, s[20:21]
	s_cbranch_vccnz .LBB256_400
; %bb.399:
	v_add_u32_e32 v5, 0x80, v5
	s_mov_b64 s[24:25], -1
	s_branch .LBB256_512
.LBB256_400:
	s_mov_b64 s[24:25], 0
                                        ; implicit-def: $vgpr5
	s_branch .LBB256_512
.LBB256_401:
	s_mov_b64 s[18:19], -1
                                        ; implicit-def: $vgpr3
.LBB256_402:
	s_mov_b64 s[20:21], 0
.LBB256_403:
	s_and_b64 vcc, exec, s[20:21]
	s_cbranch_vccz .LBB256_407
; %bb.404:
	s_cmp_eq_u32 s26, 29
	s_cbranch_scc0 .LBB256_406
; %bb.405:
	global_load_dwordx2 v[2:3], v[0:1], off
	s_mov_b64 s[0:1], -1
	s_mov_b64 s[18:19], 0
	s_mov_b64 s[20:21], 0
	s_waitcnt vmcnt(0)
	v_ffbh_u32_e32 v4, v3
	v_min_u32_e32 v4, 32, v4
	v_lshlrev_b64 v[2:3], v4, v[2:3]
	v_min_u32_e32 v2, 1, v2
	v_or_b32_e32 v2, v3, v2
	v_cvt_f32_u32_e32 v2, v2
	v_sub_u32_e32 v3, 32, v4
	v_ldexp_f32 v3, v2, v3
	s_branch .LBB256_408
.LBB256_406:
	s_mov_b64 s[18:19], -1
                                        ; implicit-def: $vgpr3
.LBB256_407:
	s_mov_b64 s[20:21], 0
.LBB256_408:
	s_and_b64 vcc, exec, s[20:21]
	s_cbranch_vccz .LBB256_426
; %bb.409:
	s_cmp_lt_i32 s26, 27
	s_cbranch_scc1 .LBB256_412
; %bb.410:
	s_cmp_gt_i32 s26, 27
	s_cbranch_scc0 .LBB256_413
; %bb.411:
	global_load_dword v2, v[0:1], off
	s_mov_b64 s[0:1], 0
	s_waitcnt vmcnt(0)
	v_cvt_f32_u32_e32 v3, v2
	s_branch .LBB256_414
.LBB256_412:
	s_mov_b64 s[0:1], -1
                                        ; implicit-def: $vgpr3
	s_branch .LBB256_417
.LBB256_413:
	s_mov_b64 s[0:1], -1
                                        ; implicit-def: $vgpr3
.LBB256_414:
	s_andn2_b64 vcc, exec, s[0:1]
	s_cbranch_vccnz .LBB256_416
; %bb.415:
	global_load_ushort v2, v[0:1], off
	s_waitcnt vmcnt(0)
	v_cvt_f32_u32_e32 v3, v2
.LBB256_416:
	s_mov_b64 s[0:1], 0
.LBB256_417:
	s_andn2_b64 vcc, exec, s[0:1]
	s_cbranch_vccnz .LBB256_425
; %bb.418:
	global_load_ubyte v2, v[0:1], off
	s_movk_i32 s0, 0x7f
	s_waitcnt vmcnt(0)
	v_cmp_lt_i16_e32 vcc, s0, v2
	s_mov_b64 s[0:1], 0
	s_and_saveexec_b64 s[20:21], vcc
	s_xor_b64 s[20:21], exec, s[20:21]
	s_cbranch_execz .LBB256_439
; %bb.419:
	s_movk_i32 s0, 0x80
	v_cmp_eq_u16_e32 vcc, s0, v2
	s_mov_b64 s[0:1], -1
	s_and_saveexec_b64 s[24:25], vcc
; %bb.420:
	s_xor_b64 s[0:1], exec, -1
; %bb.421:
	s_or_b64 exec, exec, s[24:25]
	s_and_b64 s[0:1], s[0:1], exec
	s_or_saveexec_b64 s[20:21], s[20:21]
	v_mov_b32_e32 v3, 0x7f800001
	s_xor_b64 exec, exec, s[20:21]
	s_cbranch_execnz .LBB256_440
.LBB256_422:
	s_or_b64 exec, exec, s[20:21]
	s_and_saveexec_b64 s[20:21], s[0:1]
	s_cbranch_execz .LBB256_424
.LBB256_423:
	v_lshlrev_b32_e32 v3, 24, v2
	v_and_b32_e32 v2, 0xffff, v2
	v_and_b32_e32 v4, 7, v2
	v_ffbh_u32_e32 v7, v4
	v_min_u32_e32 v7, 32, v7
	v_subrev_u32_e32 v8, 28, v7
	v_bfe_u32 v6, v2, 3, 4
	v_lshlrev_b32_e32 v2, v8, v2
	v_sub_u32_e32 v7, 29, v7
	v_and_b32_e32 v2, 7, v2
	v_cmp_eq_u32_e32 vcc, 0, v6
	v_and_b32_e32 v3, 0x80000000, v3
	s_nop 0
	v_cndmask_b32_e32 v6, v6, v7, vcc
	v_cndmask_b32_e32 v2, v4, v2, vcc
	v_mov_b32_e32 v4, 0x3b800000
	v_lshlrev_b32_e32 v2, 20, v2
	v_lshl_add_u32 v4, v6, 23, v4
	v_or3_b32 v3, v3, v4, v2
.LBB256_424:
	s_or_b64 exec, exec, s[20:21]
.LBB256_425:
	s_mov_b64 s[0:1], -1
.LBB256_426:
	s_mov_b64 s[20:21], 0
.LBB256_427:
	s_and_b64 vcc, exec, s[20:21]
	s_cbranch_vccz .LBB256_462
; %bb.428:
	s_cmp_gt_i32 s26, 22
	s_cbranch_scc0 .LBB256_438
; %bb.429:
	s_cmp_lt_i32 s26, 24
	s_cbranch_scc1 .LBB256_441
; %bb.430:
	s_cmp_gt_i32 s26, 24
	s_cbranch_scc0 .LBB256_442
; %bb.431:
	global_load_ubyte v2, v[0:1], off
	s_movk_i32 s0, 0x7f
	s_waitcnt vmcnt(0)
	v_cmp_lt_i16_e32 vcc, s0, v2
	s_mov_b64 s[0:1], 0
	s_and_saveexec_b64 s[20:21], vcc
	s_xor_b64 s[20:21], exec, s[20:21]
	s_cbranch_execz .LBB256_454
; %bb.432:
	s_movk_i32 s0, 0x80
	v_cmp_eq_u16_e32 vcc, s0, v2
	s_mov_b64 s[0:1], -1
	s_and_saveexec_b64 s[24:25], vcc
; %bb.433:
	s_xor_b64 s[0:1], exec, -1
; %bb.434:
	s_or_b64 exec, exec, s[24:25]
	s_and_b64 s[0:1], s[0:1], exec
	s_or_saveexec_b64 s[20:21], s[20:21]
	v_mov_b32_e32 v3, 0x7f800001
	s_xor_b64 exec, exec, s[20:21]
	s_cbranch_execnz .LBB256_455
.LBB256_435:
	s_or_b64 exec, exec, s[20:21]
	s_and_saveexec_b64 s[20:21], s[0:1]
	s_cbranch_execz .LBB256_437
.LBB256_436:
	v_lshlrev_b32_e32 v3, 24, v2
	v_and_b32_e32 v2, 0xffff, v2
	v_and_b32_e32 v4, 3, v2
	v_ffbh_u32_e32 v7, v4
	v_min_u32_e32 v7, 32, v7
	v_subrev_u32_e32 v8, 29, v7
	v_bfe_u32 v6, v2, 2, 5
	v_lshlrev_b32_e32 v2, v8, v2
	v_sub_u32_e32 v7, 30, v7
	v_and_b32_e32 v2, 3, v2
	v_cmp_eq_u32_e32 vcc, 0, v6
	v_and_b32_e32 v3, 0x80000000, v3
	s_nop 0
	v_cndmask_b32_e32 v6, v6, v7, vcc
	v_cndmask_b32_e32 v2, v4, v2, vcc
	v_mov_b32_e32 v4, 0x37800000
	v_lshlrev_b32_e32 v2, 21, v2
	v_lshl_add_u32 v4, v6, 23, v4
	v_or3_b32 v3, v3, v4, v2
.LBB256_437:
	s_or_b64 exec, exec, s[20:21]
	s_mov_b64 s[0:1], 0
	s_branch .LBB256_443
.LBB256_438:
	s_mov_b64 s[20:21], -1
                                        ; implicit-def: $vgpr3
	s_branch .LBB256_449
.LBB256_439:
	s_or_saveexec_b64 s[20:21], s[20:21]
	v_mov_b32_e32 v3, 0x7f800001
	s_xor_b64 exec, exec, s[20:21]
	s_cbranch_execz .LBB256_422
.LBB256_440:
	v_cmp_ne_u16_e32 vcc, 0, v2
	s_andn2_b64 s[0:1], s[0:1], exec
	s_and_b64 s[24:25], vcc, exec
	v_mov_b32_e32 v3, 0
	s_or_b64 s[0:1], s[0:1], s[24:25]
	s_or_b64 exec, exec, s[20:21]
	s_and_saveexec_b64 s[20:21], s[0:1]
	s_cbranch_execnz .LBB256_423
	s_branch .LBB256_424
.LBB256_441:
	s_mov_b64 s[0:1], -1
                                        ; implicit-def: $vgpr3
	s_branch .LBB256_446
.LBB256_442:
	s_mov_b64 s[0:1], -1
                                        ; implicit-def: $vgpr3
.LBB256_443:
	s_and_b64 vcc, exec, s[0:1]
	s_cbranch_vccz .LBB256_445
; %bb.444:
	global_load_ubyte v2, v[0:1], off
	s_mov_b32 s0, 0x7f800000
	s_waitcnt vmcnt(0)
	v_lshlrev_b32_e32 v2, 24, v2
	v_and_b32_e32 v3, 0x7f000000, v2
	v_ffbh_u32_e32 v4, v3
	v_min_u32_e32 v4, 32, v4
	v_sub_u32_e64 v4, v4, 4 clamp
	v_lshlrev_b32_e32 v7, v4, v3
	v_lshlrev_b32_e32 v4, 23, v4
	v_lshrrev_b32_e32 v7, 4, v7
	v_add_u32_e32 v6, 0x1000000, v3
	v_sub_u32_e32 v4, v7, v4
	v_ashrrev_i32_e32 v6, 8, v6
	v_add_u32_e32 v4, 0x3c000000, v4
	v_and_or_b32 v4, v6, s0, v4
	v_cmp_ne_u32_e32 vcc, 0, v3
	s_brev_b32 s0, 1
	s_nop 0
	v_cndmask_b32_e32 v3, 0, v4, vcc
	v_and_or_b32 v3, v2, s0, v3
.LBB256_445:
	s_mov_b64 s[0:1], 0
.LBB256_446:
	s_andn2_b64 vcc, exec, s[0:1]
	s_cbranch_vccnz .LBB256_448
; %bb.447:
	global_load_ubyte v2, v[0:1], off
	s_movk_i32 s0, 0x7f00
	s_brev_b32 s1, 16
	s_waitcnt vmcnt(0)
	v_lshlrev_b16_e32 v3, 8, v2
	v_lshlrev_b32_e32 v2, 25, v2
	v_lshrrev_b32_e32 v4, 4, v2
	v_and_or_b32 v6, v3, s0, 0.5
	v_or_b32_e32 v4, 0x70000000, v4
	v_add_f32_e32 v6, -0.5, v6
	v_mul_f32_e32 v4, 0x7800000, v4
	v_cmp_gt_u32_e32 vcc, s1, v2
	v_bfe_i32 v3, v3, 0, 16
	s_brev_b32 s0, 1
	v_cndmask_b32_e32 v2, v4, v6, vcc
	v_and_or_b32 v3, v3, s0, v2
.LBB256_448:
	s_mov_b64 s[20:21], 0
	s_mov_b64 s[0:1], -1
.LBB256_449:
	s_andn2_b64 vcc, exec, s[20:21]
	s_cbranch_vccnz .LBB256_462
; %bb.450:
	s_cmp_gt_i32 s26, 14
	s_cbranch_scc0 .LBB256_453
; %bb.451:
	s_cmp_eq_u32 s26, 15
	s_cbranch_scc0 .LBB256_456
; %bb.452:
	global_load_ushort v2, v[0:1], off
	s_mov_b64 s[0:1], -1
	s_mov_b64 s[18:19], 0
	s_waitcnt vmcnt(0)
	v_lshlrev_b32_e32 v3, 16, v2
	s_branch .LBB256_457
.LBB256_453:
	s_mov_b64 s[20:21], -1
                                        ; implicit-def: $vgpr3
	s_branch .LBB256_458
.LBB256_454:
	s_or_saveexec_b64 s[20:21], s[20:21]
	v_mov_b32_e32 v3, 0x7f800001
	s_xor_b64 exec, exec, s[20:21]
	s_cbranch_execz .LBB256_435
.LBB256_455:
	v_cmp_ne_u16_e32 vcc, 0, v2
	s_andn2_b64 s[0:1], s[0:1], exec
	s_and_b64 s[24:25], vcc, exec
	v_mov_b32_e32 v3, 0
	s_or_b64 s[0:1], s[0:1], s[24:25]
	s_or_b64 exec, exec, s[20:21]
	s_and_saveexec_b64 s[20:21], s[0:1]
	s_cbranch_execnz .LBB256_436
	s_branch .LBB256_437
.LBB256_456:
	s_mov_b64 s[18:19], -1
                                        ; implicit-def: $vgpr3
.LBB256_457:
	s_mov_b64 s[20:21], 0
.LBB256_458:
	s_and_b64 vcc, exec, s[20:21]
	s_cbranch_vccz .LBB256_462
; %bb.459:
	s_cmp_eq_u32 s26, 11
	s_cbranch_scc0 .LBB256_461
; %bb.460:
	global_load_ubyte v2, v[0:1], off
	s_mov_b64 s[0:1], -1
	s_mov_b64 s[18:19], 0
	s_waitcnt vmcnt(0)
	v_cmp_ne_u16_e32 vcc, 0, v2
	s_nop 1
	v_cndmask_b32_e64 v3, 0, 1.0, vcc
	s_branch .LBB256_462
.LBB256_461:
	s_mov_b64 s[18:19], -1
                                        ; implicit-def: $vgpr3
.LBB256_462:
	s_branch .LBB256_265
.LBB256_463:
	s_cmp_lt_i32 s26, 5
	s_cbranch_scc1 .LBB256_468
; %bb.464:
	s_cmp_lt_i32 s26, 8
	s_cbranch_scc1 .LBB256_469
; %bb.465:
	;; [unrolled: 3-line block ×3, first 2 shown]
	s_cmp_gt_i32 s26, 9
	s_cbranch_scc0 .LBB256_471
; %bb.467:
	global_load_dwordx2 v[2:3], v[0:1], off
	s_mov_b64 s[0:1], 0
	s_waitcnt vmcnt(0)
	v_cvt_f32_f64_e32 v3, v[2:3]
	s_branch .LBB256_472
.LBB256_468:
	s_mov_b64 s[0:1], -1
                                        ; implicit-def: $vgpr3
	s_branch .LBB256_490
.LBB256_469:
	s_mov_b64 s[0:1], -1
                                        ; implicit-def: $vgpr3
	s_branch .LBB256_478
.LBB256_470:
	s_mov_b64 s[0:1], -1
                                        ; implicit-def: $vgpr3
	s_branch .LBB256_475
.LBB256_471:
	s_mov_b64 s[0:1], -1
                                        ; implicit-def: $vgpr3
.LBB256_472:
	s_andn2_b64 vcc, exec, s[0:1]
	s_cbranch_vccnz .LBB256_474
; %bb.473:
	global_load_dword v3, v[0:1], off
.LBB256_474:
	s_mov_b64 s[0:1], 0
.LBB256_475:
	s_andn2_b64 vcc, exec, s[0:1]
	s_cbranch_vccnz .LBB256_477
; %bb.476:
	global_load_dword v2, v[0:1], off
	s_waitcnt vmcnt(0)
	v_cvt_f32_f16_e32 v3, v2
.LBB256_477:
	s_mov_b64 s[0:1], 0
.LBB256_478:
	s_andn2_b64 vcc, exec, s[0:1]
	s_cbranch_vccnz .LBB256_489
; %bb.479:
	s_cmp_lt_i32 s26, 6
	s_cbranch_scc1 .LBB256_482
; %bb.480:
	s_cmp_gt_i32 s26, 6
	s_cbranch_scc0 .LBB256_483
; %bb.481:
	global_load_dwordx2 v[2:3], v[0:1], off
	s_mov_b64 s[0:1], 0
	s_waitcnt vmcnt(0)
	v_cvt_f32_f64_e32 v3, v[2:3]
	s_branch .LBB256_484
.LBB256_482:
	s_mov_b64 s[0:1], -1
                                        ; implicit-def: $vgpr3
	s_branch .LBB256_487
.LBB256_483:
	s_mov_b64 s[0:1], -1
                                        ; implicit-def: $vgpr3
.LBB256_484:
	s_andn2_b64 vcc, exec, s[0:1]
	s_cbranch_vccnz .LBB256_486
; %bb.485:
	global_load_dword v3, v[0:1], off
.LBB256_486:
	s_mov_b64 s[0:1], 0
.LBB256_487:
	s_andn2_b64 vcc, exec, s[0:1]
	s_cbranch_vccnz .LBB256_489
; %bb.488:
	global_load_ushort v2, v[0:1], off
	s_waitcnt vmcnt(0)
	v_cvt_f32_f16_e32 v3, v2
.LBB256_489:
	s_mov_b64 s[0:1], 0
.LBB256_490:
	s_andn2_b64 vcc, exec, s[0:1]
	s_cbranch_vccnz .LBB256_510
; %bb.491:
	s_cmp_lt_i32 s26, 2
	s_cbranch_scc1 .LBB256_495
; %bb.492:
	s_cmp_lt_i32 s26, 3
	s_cbranch_scc1 .LBB256_496
; %bb.493:
	s_cmp_gt_i32 s26, 3
	s_cbranch_scc0 .LBB256_497
; %bb.494:
	global_load_dwordx2 v[2:3], v[0:1], off
	s_mov_b64 s[0:1], 0
	s_waitcnt vmcnt(0)
	v_xor_b32_e32 v6, v2, v3
	v_ffbh_i32_e32 v4, v3
	v_ashrrev_i32_e32 v6, 31, v6
	v_add_u32_e32 v4, -1, v4
	v_add_u32_e32 v6, 32, v6
	v_min_u32_e32 v4, v4, v6
	v_lshlrev_b64 v[2:3], v4, v[2:3]
	v_min_u32_e32 v2, 1, v2
	v_or_b32_e32 v2, v3, v2
	v_cvt_f32_i32_e32 v2, v2
	v_sub_u32_e32 v3, 32, v4
	v_ldexp_f32 v3, v2, v3
	s_branch .LBB256_498
.LBB256_495:
	s_mov_b64 s[0:1], -1
                                        ; implicit-def: $vgpr3
	s_branch .LBB256_504
.LBB256_496:
	s_mov_b64 s[0:1], -1
                                        ; implicit-def: $vgpr3
	s_branch .LBB256_501
.LBB256_497:
	s_mov_b64 s[0:1], -1
                                        ; implicit-def: $vgpr3
.LBB256_498:
	s_andn2_b64 vcc, exec, s[0:1]
	s_cbranch_vccnz .LBB256_500
; %bb.499:
	global_load_dword v2, v[0:1], off
	s_waitcnt vmcnt(0)
	v_cvt_f32_i32_e32 v3, v2
.LBB256_500:
	s_mov_b64 s[0:1], 0
.LBB256_501:
	s_andn2_b64 vcc, exec, s[0:1]
	s_cbranch_vccnz .LBB256_503
; %bb.502:
	global_load_sshort v2, v[0:1], off
	s_waitcnt vmcnt(0)
	v_cvt_f32_i32_e32 v3, v2
.LBB256_503:
	s_mov_b64 s[0:1], 0
.LBB256_504:
	s_andn2_b64 vcc, exec, s[0:1]
	s_cbranch_vccnz .LBB256_510
; %bb.505:
	s_cmp_gt_i32 s26, 0
	s_cbranch_scc0 .LBB256_507
; %bb.506:
	global_load_sbyte v2, v[0:1], off
	s_mov_b64 s[0:1], 0
	s_waitcnt vmcnt(0)
	v_cvt_f32_i32_e32 v3, v2
	s_branch .LBB256_508
.LBB256_507:
	s_mov_b64 s[0:1], -1
                                        ; implicit-def: $vgpr3
.LBB256_508:
	s_andn2_b64 vcc, exec, s[0:1]
	s_cbranch_vccnz .LBB256_510
; %bb.509:
	global_load_ubyte v0, v[0:1], off
	s_waitcnt vmcnt(0)
	v_cvt_f32_ubyte0_e32 v3, v0
.LBB256_510:
	s_branch .LBB256_266
.LBB256_511:
	s_mov_b64 s[24:25], 0
                                        ; implicit-def: $vgpr5
	s_mov_b64 s[0:1], s[12:13]
.LBB256_512:
	s_andn2_b64 s[20:21], s[12:13], exec
	s_and_b64 s[0:1], s[0:1], exec
	s_or_b64 s[20:21], s[20:21], s[0:1]
	s_andn2_b64 s[0:1], s[14:15], exec
	s_and_b64 s[18:19], s[18:19], exec
	s_or_b64 s[18:19], s[0:1], s[18:19]
	s_orn2_b64 s[0:1], s[24:25], exec
.LBB256_513:
	s_or_b64 exec, exec, s[22:23]
	s_mov_b64 s[24:25], 0
	s_mov_b64 s[26:27], 0
	;; [unrolled: 1-line block ×3, first 2 shown]
                                        ; implicit-def: $vgpr0_vgpr1
                                        ; implicit-def: $vgpr3
	s_and_saveexec_b64 s[22:23], s[0:1]
	s_cbranch_execz .LBB256_858
; %bb.514:
	v_cmp_gt_i32_e32 vcc, s38, v5
	s_mov_b64 s[34:35], -1
	s_mov_b64 s[0:1], s[18:19]
	s_mov_b64 s[28:29], s[20:21]
	s_and_saveexec_b64 s[24:25], vcc
	s_cbranch_execz .LBB256_772
; %bb.515:
	v_mul_lo_u32 v0, v5, s9
	v_ashrrev_i32_e32 v1, 31, v0
	s_and_b32 s34, 0xffff, s42
	s_cmp_lt_i32 s34, 11
	v_lshl_add_u64 v[0:1], s[6:7], 0, v[0:1]
	s_cbranch_scc1 .LBB256_522
; %bb.516:
	s_cmp_gt_i32 s34, 25
	s_cbranch_scc0 .LBB256_523
; %bb.517:
	s_cmp_gt_i32 s34, 28
	s_cbranch_scc0 .LBB256_524
	;; [unrolled: 3-line block ×4, first 2 shown]
; %bb.520:
	s_cmp_eq_u32 s34, 46
	s_mov_b64 s[28:29], 0
	s_cbranch_scc0 .LBB256_531
; %bb.521:
	global_load_dword v2, v[0:1], off
	s_mov_b64 s[0:1], -1
	s_waitcnt vmcnt(0)
	v_lshlrev_b32_e32 v3, 16, v2
	s_branch .LBB256_532
.LBB256_522:
	s_mov_b64 s[28:29], -1
	s_mov_b64 s[0:1], 0
                                        ; implicit-def: $vgpr3
	s_mov_b64 s[26:27], s[18:19]
	s_branch .LBB256_597
.LBB256_523:
	s_mov_b64 s[28:29], -1
	s_mov_b64 s[0:1], 0
	s_mov_b64 s[26:27], s[18:19]
                                        ; implicit-def: $vgpr3
	s_branch .LBB256_561
.LBB256_524:
	s_mov_b64 s[28:29], -1
	s_mov_b64 s[0:1], 0
	s_mov_b64 s[26:27], s[18:19]
                                        ; implicit-def: $vgpr3
	s_branch .LBB256_542
.LBB256_525:
	s_mov_b64 s[28:29], -1
	s_mov_b64 s[0:1], 0
	s_mov_b64 s[26:27], s[18:19]
                                        ; implicit-def: $vgpr3
	s_branch .LBB256_537
.LBB256_526:
	s_andn2_saveexec_b64 s[26:27], s[26:27]
	s_cbranch_execz .LBB256_311
.LBB256_527:
	s_mov_b32 s30, 0x46000000
	v_add_f32_e64 v4, |v2|, s30
	v_and_b32_e32 v4, 0xff, v4
	v_cmp_ne_u32_e32 vcc, 0, v4
	s_andn2_b64 s[24:25], s[24:25], exec
	s_and_b64 s[30:31], vcc, exec
	s_or_b64 s[24:25], s[24:25], s[30:31]
	s_or_b64 exec, exec, s[26:27]
	v_mov_b32_e32 v6, 0
	s_and_saveexec_b64 s[26:27], s[24:25]
	s_cbranch_execnz .LBB256_312
	s_branch .LBB256_313
.LBB256_528:
	s_mov_b64 s[28:29], -1
	s_mov_b64 s[0:1], 0
	s_mov_b64 s[26:27], s[18:19]
                                        ; implicit-def: $vgpr3
	s_branch .LBB256_532
.LBB256_529:
	s_andn2_saveexec_b64 s[26:27], s[26:27]
	s_cbranch_execz .LBB256_324
.LBB256_530:
	s_mov_b32 s30, 0x42800000
	v_add_f32_e64 v4, |v2|, s30
	v_and_b32_e32 v4, 0xff, v4
	v_cmp_ne_u32_e32 vcc, 0, v4
	s_andn2_b64 s[24:25], s[24:25], exec
	s_and_b64 s[30:31], vcc, exec
	s_or_b64 s[24:25], s[24:25], s[30:31]
	s_or_b64 exec, exec, s[26:27]
	v_mov_b32_e32 v6, 0
	s_and_saveexec_b64 s[26:27], s[24:25]
	s_cbranch_execnz .LBB256_325
	s_branch .LBB256_326
.LBB256_531:
	s_mov_b64 s[26:27], -1
                                        ; implicit-def: $vgpr3
	s_mov_b64 s[0:1], 0
.LBB256_532:
	s_and_b64 vcc, exec, s[28:29]
	s_cbranch_vccz .LBB256_536
; %bb.533:
	s_cmp_eq_u32 s34, 44
	s_cbranch_scc0 .LBB256_535
; %bb.534:
	global_load_ubyte v2, v[0:1], off
	s_movk_i32 s26, 0xff
	s_waitcnt vmcnt(1)
	v_mov_b32_e32 v3, 0x7f800001
	v_mov_b32_e32 v4, 0x400000
	s_mov_b64 s[0:1], -1
	s_waitcnt vmcnt(0)
	v_lshlrev_b32_e32 v6, 23, v2
	v_cmp_ne_u32_e32 vcc, s26, v2
	s_mov_b64 s[26:27], 0
	s_nop 0
	v_cndmask_b32_e32 v3, v3, v6, vcc
	v_cmp_ne_u32_e32 vcc, 0, v2
	s_nop 1
	v_cndmask_b32_e32 v3, v4, v3, vcc
	s_branch .LBB256_536
.LBB256_535:
	s_mov_b64 s[26:27], -1
                                        ; implicit-def: $vgpr3
.LBB256_536:
	s_mov_b64 s[28:29], 0
.LBB256_537:
	s_and_b64 vcc, exec, s[28:29]
	s_cbranch_vccz .LBB256_541
; %bb.538:
	s_cmp_eq_u32 s34, 29
	s_cbranch_scc0 .LBB256_540
; %bb.539:
	global_load_dwordx2 v[2:3], v[0:1], off
	s_mov_b64 s[0:1], -1
	s_mov_b64 s[26:27], 0
	s_mov_b64 s[28:29], 0
	s_waitcnt vmcnt(0)
	v_ffbh_u32_e32 v4, v3
	v_min_u32_e32 v4, 32, v4
	v_lshlrev_b64 v[2:3], v4, v[2:3]
	v_min_u32_e32 v2, 1, v2
	v_or_b32_e32 v2, v3, v2
	v_cvt_f32_u32_e32 v2, v2
	v_sub_u32_e32 v3, 32, v4
	v_ldexp_f32 v3, v2, v3
	s_branch .LBB256_542
.LBB256_540:
	s_mov_b64 s[26:27], -1
                                        ; implicit-def: $vgpr3
.LBB256_541:
	s_mov_b64 s[28:29], 0
.LBB256_542:
	s_and_b64 vcc, exec, s[28:29]
	s_cbranch_vccz .LBB256_560
; %bb.543:
	s_cmp_lt_i32 s34, 27
	s_cbranch_scc1 .LBB256_546
; %bb.544:
	s_cmp_gt_i32 s34, 27
	s_cbranch_scc0 .LBB256_547
; %bb.545:
	global_load_dword v2, v[0:1], off
	s_mov_b64 s[0:1], 0
	s_waitcnt vmcnt(0)
	v_cvt_f32_u32_e32 v3, v2
	s_branch .LBB256_548
.LBB256_546:
	s_mov_b64 s[0:1], -1
                                        ; implicit-def: $vgpr3
	s_branch .LBB256_551
.LBB256_547:
	s_mov_b64 s[0:1], -1
                                        ; implicit-def: $vgpr3
.LBB256_548:
	s_andn2_b64 vcc, exec, s[0:1]
	s_cbranch_vccnz .LBB256_550
; %bb.549:
	global_load_ushort v2, v[0:1], off
	s_waitcnt vmcnt(0)
	v_cvt_f32_u32_e32 v3, v2
.LBB256_550:
	s_mov_b64 s[0:1], 0
.LBB256_551:
	s_andn2_b64 vcc, exec, s[0:1]
	s_cbranch_vccnz .LBB256_559
; %bb.552:
	global_load_ubyte v2, v[0:1], off
	s_movk_i32 s0, 0x7f
	s_waitcnt vmcnt(0)
	v_cmp_lt_i16_e32 vcc, s0, v2
	s_mov_b64 s[0:1], 0
	s_and_saveexec_b64 s[28:29], vcc
	s_xor_b64 s[28:29], exec, s[28:29]
	s_cbranch_execz .LBB256_573
; %bb.553:
	s_movk_i32 s0, 0x80
	v_cmp_eq_u16_e32 vcc, s0, v2
	s_mov_b64 s[0:1], -1
	s_and_saveexec_b64 s[30:31], vcc
; %bb.554:
	s_xor_b64 s[0:1], exec, -1
; %bb.555:
	s_or_b64 exec, exec, s[30:31]
	s_and_b64 s[0:1], s[0:1], exec
	s_or_saveexec_b64 s[28:29], s[28:29]
	v_mov_b32_e32 v3, 0x7f800001
	s_xor_b64 exec, exec, s[28:29]
	s_cbranch_execnz .LBB256_574
.LBB256_556:
	s_or_b64 exec, exec, s[28:29]
	s_and_saveexec_b64 s[28:29], s[0:1]
	s_cbranch_execz .LBB256_558
.LBB256_557:
	v_lshlrev_b32_e32 v3, 24, v2
	v_and_b32_e32 v2, 0xffff, v2
	v_and_b32_e32 v4, 7, v2
	v_ffbh_u32_e32 v7, v4
	v_min_u32_e32 v7, 32, v7
	v_subrev_u32_e32 v8, 28, v7
	v_bfe_u32 v6, v2, 3, 4
	v_lshlrev_b32_e32 v2, v8, v2
	v_sub_u32_e32 v7, 29, v7
	v_and_b32_e32 v2, 7, v2
	v_cmp_eq_u32_e32 vcc, 0, v6
	v_and_b32_e32 v3, 0x80000000, v3
	s_nop 0
	v_cndmask_b32_e32 v6, v6, v7, vcc
	v_cndmask_b32_e32 v2, v4, v2, vcc
	v_mov_b32_e32 v4, 0x3b800000
	v_lshlrev_b32_e32 v2, 20, v2
	v_lshl_add_u32 v4, v6, 23, v4
	v_or3_b32 v3, v3, v4, v2
.LBB256_558:
	s_or_b64 exec, exec, s[28:29]
.LBB256_559:
	s_mov_b64 s[0:1], -1
.LBB256_560:
	s_mov_b64 s[28:29], 0
.LBB256_561:
	s_and_b64 vcc, exec, s[28:29]
	s_cbranch_vccz .LBB256_596
; %bb.562:
	s_cmp_gt_i32 s34, 22
	s_cbranch_scc0 .LBB256_572
; %bb.563:
	s_cmp_lt_i32 s34, 24
	s_cbranch_scc1 .LBB256_575
; %bb.564:
	s_cmp_gt_i32 s34, 24
	s_cbranch_scc0 .LBB256_576
; %bb.565:
	global_load_ubyte v2, v[0:1], off
	s_movk_i32 s0, 0x7f
	s_waitcnt vmcnt(0)
	v_cmp_lt_i16_e32 vcc, s0, v2
	s_mov_b64 s[0:1], 0
	s_and_saveexec_b64 s[28:29], vcc
	s_xor_b64 s[28:29], exec, s[28:29]
	s_cbranch_execz .LBB256_588
; %bb.566:
	s_movk_i32 s0, 0x80
	v_cmp_eq_u16_e32 vcc, s0, v2
	s_mov_b64 s[0:1], -1
	s_and_saveexec_b64 s[30:31], vcc
; %bb.567:
	s_xor_b64 s[0:1], exec, -1
; %bb.568:
	s_or_b64 exec, exec, s[30:31]
	s_and_b64 s[0:1], s[0:1], exec
	s_or_saveexec_b64 s[28:29], s[28:29]
	v_mov_b32_e32 v3, 0x7f800001
	s_xor_b64 exec, exec, s[28:29]
	s_cbranch_execnz .LBB256_589
.LBB256_569:
	s_or_b64 exec, exec, s[28:29]
	s_and_saveexec_b64 s[28:29], s[0:1]
	s_cbranch_execz .LBB256_571
.LBB256_570:
	v_lshlrev_b32_e32 v3, 24, v2
	v_and_b32_e32 v2, 0xffff, v2
	v_and_b32_e32 v4, 3, v2
	v_ffbh_u32_e32 v7, v4
	v_min_u32_e32 v7, 32, v7
	v_subrev_u32_e32 v8, 29, v7
	v_bfe_u32 v6, v2, 2, 5
	v_lshlrev_b32_e32 v2, v8, v2
	v_sub_u32_e32 v7, 30, v7
	v_and_b32_e32 v2, 3, v2
	v_cmp_eq_u32_e32 vcc, 0, v6
	v_and_b32_e32 v3, 0x80000000, v3
	s_nop 0
	v_cndmask_b32_e32 v6, v6, v7, vcc
	v_cndmask_b32_e32 v2, v4, v2, vcc
	v_mov_b32_e32 v4, 0x37800000
	v_lshlrev_b32_e32 v2, 21, v2
	v_lshl_add_u32 v4, v6, 23, v4
	v_or3_b32 v3, v3, v4, v2
.LBB256_571:
	s_or_b64 exec, exec, s[28:29]
	s_mov_b64 s[0:1], 0
	s_branch .LBB256_577
.LBB256_572:
	s_mov_b64 s[28:29], -1
                                        ; implicit-def: $vgpr3
	s_branch .LBB256_583
.LBB256_573:
	s_or_saveexec_b64 s[28:29], s[28:29]
	v_mov_b32_e32 v3, 0x7f800001
	s_xor_b64 exec, exec, s[28:29]
	s_cbranch_execz .LBB256_556
.LBB256_574:
	v_cmp_ne_u16_e32 vcc, 0, v2
	s_andn2_b64 s[0:1], s[0:1], exec
	s_and_b64 s[30:31], vcc, exec
	v_mov_b32_e32 v3, 0
	s_or_b64 s[0:1], s[0:1], s[30:31]
	s_or_b64 exec, exec, s[28:29]
	s_and_saveexec_b64 s[28:29], s[0:1]
	s_cbranch_execnz .LBB256_557
	s_branch .LBB256_558
.LBB256_575:
	s_mov_b64 s[0:1], -1
                                        ; implicit-def: $vgpr3
	s_branch .LBB256_580
.LBB256_576:
	s_mov_b64 s[0:1], -1
                                        ; implicit-def: $vgpr3
.LBB256_577:
	s_and_b64 vcc, exec, s[0:1]
	s_cbranch_vccz .LBB256_579
; %bb.578:
	global_load_ubyte v2, v[0:1], off
	s_mov_b32 s0, 0x7f800000
	s_waitcnt vmcnt(0)
	v_lshlrev_b32_e32 v2, 24, v2
	v_and_b32_e32 v3, 0x7f000000, v2
	v_ffbh_u32_e32 v4, v3
	v_min_u32_e32 v4, 32, v4
	v_sub_u32_e64 v4, v4, 4 clamp
	v_lshlrev_b32_e32 v7, v4, v3
	v_lshlrev_b32_e32 v4, 23, v4
	v_lshrrev_b32_e32 v7, 4, v7
	v_add_u32_e32 v6, 0x1000000, v3
	v_sub_u32_e32 v4, v7, v4
	v_ashrrev_i32_e32 v6, 8, v6
	v_add_u32_e32 v4, 0x3c000000, v4
	v_and_or_b32 v4, v6, s0, v4
	v_cmp_ne_u32_e32 vcc, 0, v3
	s_brev_b32 s0, 1
	s_nop 0
	v_cndmask_b32_e32 v3, 0, v4, vcc
	v_and_or_b32 v3, v2, s0, v3
.LBB256_579:
	s_mov_b64 s[0:1], 0
.LBB256_580:
	s_andn2_b64 vcc, exec, s[0:1]
	s_cbranch_vccnz .LBB256_582
; %bb.581:
	global_load_ubyte v2, v[0:1], off
	s_movk_i32 s0, 0x7f00
	s_brev_b32 s1, 16
	s_waitcnt vmcnt(0)
	v_lshlrev_b16_e32 v3, 8, v2
	v_lshlrev_b32_e32 v2, 25, v2
	v_lshrrev_b32_e32 v4, 4, v2
	v_and_or_b32 v6, v3, s0, 0.5
	v_or_b32_e32 v4, 0x70000000, v4
	v_add_f32_e32 v6, -0.5, v6
	v_mul_f32_e32 v4, 0x7800000, v4
	v_cmp_gt_u32_e32 vcc, s1, v2
	v_bfe_i32 v3, v3, 0, 16
	s_brev_b32 s0, 1
	v_cndmask_b32_e32 v2, v4, v6, vcc
	v_and_or_b32 v3, v3, s0, v2
.LBB256_582:
	s_mov_b64 s[28:29], 0
	s_mov_b64 s[0:1], -1
.LBB256_583:
	s_andn2_b64 vcc, exec, s[28:29]
	s_cbranch_vccnz .LBB256_596
; %bb.584:
	s_cmp_gt_i32 s34, 14
	s_cbranch_scc0 .LBB256_587
; %bb.585:
	s_cmp_eq_u32 s34, 15
	s_cbranch_scc0 .LBB256_590
; %bb.586:
	global_load_ushort v2, v[0:1], off
	s_mov_b64 s[0:1], -1
	s_mov_b64 s[26:27], 0
	s_waitcnt vmcnt(0)
	v_lshlrev_b32_e32 v3, 16, v2
	s_branch .LBB256_591
.LBB256_587:
	s_mov_b64 s[28:29], -1
                                        ; implicit-def: $vgpr3
	s_branch .LBB256_592
.LBB256_588:
	s_or_saveexec_b64 s[28:29], s[28:29]
	v_mov_b32_e32 v3, 0x7f800001
	s_xor_b64 exec, exec, s[28:29]
	s_cbranch_execz .LBB256_569
.LBB256_589:
	v_cmp_ne_u16_e32 vcc, 0, v2
	s_andn2_b64 s[0:1], s[0:1], exec
	s_and_b64 s[30:31], vcc, exec
	v_mov_b32_e32 v3, 0
	s_or_b64 s[0:1], s[0:1], s[30:31]
	s_or_b64 exec, exec, s[28:29]
	s_and_saveexec_b64 s[28:29], s[0:1]
	s_cbranch_execnz .LBB256_570
	s_branch .LBB256_571
.LBB256_590:
	s_mov_b64 s[26:27], -1
                                        ; implicit-def: $vgpr3
.LBB256_591:
	s_mov_b64 s[28:29], 0
.LBB256_592:
	s_and_b64 vcc, exec, s[28:29]
	s_cbranch_vccz .LBB256_596
; %bb.593:
	s_cmp_eq_u32 s34, 11
	s_cbranch_scc0 .LBB256_595
; %bb.594:
	global_load_ubyte v2, v[0:1], off
	s_mov_b64 s[0:1], -1
	s_mov_b64 s[26:27], 0
	s_waitcnt vmcnt(0)
	v_cmp_ne_u16_e32 vcc, 0, v2
	s_nop 1
	v_cndmask_b32_e64 v3, 0, 1.0, vcc
	s_branch .LBB256_596
.LBB256_595:
	s_mov_b64 s[26:27], -1
                                        ; implicit-def: $vgpr3
.LBB256_596:
	s_mov_b64 s[28:29], 0
.LBB256_597:
	s_and_b64 vcc, exec, s[28:29]
	s_cbranch_vccz .LBB256_646
; %bb.598:
	s_cmp_lt_i32 s34, 5
	s_cbranch_scc1 .LBB256_603
; %bb.599:
	s_cmp_lt_i32 s34, 8
	s_cbranch_scc1 .LBB256_604
	;; [unrolled: 3-line block ×3, first 2 shown]
; %bb.601:
	s_cmp_gt_i32 s34, 9
	s_cbranch_scc0 .LBB256_606
; %bb.602:
	global_load_dwordx2 v[2:3], v[0:1], off
	s_mov_b64 s[0:1], 0
	s_waitcnt vmcnt(0)
	v_cvt_f32_f64_e32 v3, v[2:3]
	s_branch .LBB256_607
.LBB256_603:
	s_mov_b64 s[0:1], -1
                                        ; implicit-def: $vgpr3
	s_branch .LBB256_625
.LBB256_604:
	s_mov_b64 s[0:1], -1
                                        ; implicit-def: $vgpr3
	s_branch .LBB256_613
.LBB256_605:
	s_mov_b64 s[0:1], -1
                                        ; implicit-def: $vgpr3
	s_branch .LBB256_610
.LBB256_606:
	s_mov_b64 s[0:1], -1
                                        ; implicit-def: $vgpr3
.LBB256_607:
	s_andn2_b64 vcc, exec, s[0:1]
	s_cbranch_vccnz .LBB256_609
; %bb.608:
	global_load_dword v3, v[0:1], off
.LBB256_609:
	s_mov_b64 s[0:1], 0
.LBB256_610:
	s_andn2_b64 vcc, exec, s[0:1]
	s_cbranch_vccnz .LBB256_612
; %bb.611:
	global_load_dword v2, v[0:1], off
	s_waitcnt vmcnt(0)
	v_cvt_f32_f16_e32 v3, v2
.LBB256_612:
	s_mov_b64 s[0:1], 0
.LBB256_613:
	s_andn2_b64 vcc, exec, s[0:1]
	s_cbranch_vccnz .LBB256_624
; %bb.614:
	s_cmp_lt_i32 s34, 6
	s_cbranch_scc1 .LBB256_617
; %bb.615:
	s_cmp_gt_i32 s34, 6
	s_cbranch_scc0 .LBB256_618
; %bb.616:
	global_load_dwordx2 v[2:3], v[0:1], off
	s_mov_b64 s[0:1], 0
	s_waitcnt vmcnt(0)
	v_cvt_f32_f64_e32 v3, v[2:3]
	s_branch .LBB256_619
.LBB256_617:
	s_mov_b64 s[0:1], -1
                                        ; implicit-def: $vgpr3
	s_branch .LBB256_622
.LBB256_618:
	s_mov_b64 s[0:1], -1
                                        ; implicit-def: $vgpr3
.LBB256_619:
	s_andn2_b64 vcc, exec, s[0:1]
	s_cbranch_vccnz .LBB256_621
; %bb.620:
	global_load_dword v3, v[0:1], off
.LBB256_621:
	s_mov_b64 s[0:1], 0
.LBB256_622:
	s_andn2_b64 vcc, exec, s[0:1]
	s_cbranch_vccnz .LBB256_624
; %bb.623:
	global_load_ushort v2, v[0:1], off
	s_waitcnt vmcnt(0)
	v_cvt_f32_f16_e32 v3, v2
.LBB256_624:
	s_mov_b64 s[0:1], 0
.LBB256_625:
	s_andn2_b64 vcc, exec, s[0:1]
	s_cbranch_vccnz .LBB256_645
; %bb.626:
	s_cmp_lt_i32 s34, 2
	s_cbranch_scc1 .LBB256_630
; %bb.627:
	s_cmp_lt_i32 s34, 3
	s_cbranch_scc1 .LBB256_631
; %bb.628:
	s_cmp_gt_i32 s34, 3
	s_cbranch_scc0 .LBB256_632
; %bb.629:
	global_load_dwordx2 v[2:3], v[0:1], off
	s_mov_b64 s[0:1], 0
	s_waitcnt vmcnt(0)
	v_xor_b32_e32 v6, v2, v3
	v_ffbh_i32_e32 v4, v3
	v_ashrrev_i32_e32 v6, 31, v6
	v_add_u32_e32 v4, -1, v4
	v_add_u32_e32 v6, 32, v6
	v_min_u32_e32 v4, v4, v6
	v_lshlrev_b64 v[2:3], v4, v[2:3]
	v_min_u32_e32 v2, 1, v2
	v_or_b32_e32 v2, v3, v2
	v_cvt_f32_i32_e32 v2, v2
	v_sub_u32_e32 v3, 32, v4
	v_ldexp_f32 v3, v2, v3
	s_branch .LBB256_633
.LBB256_630:
	s_mov_b64 s[0:1], -1
                                        ; implicit-def: $vgpr3
	s_branch .LBB256_639
.LBB256_631:
	s_mov_b64 s[0:1], -1
                                        ; implicit-def: $vgpr3
	s_branch .LBB256_636
.LBB256_632:
	s_mov_b64 s[0:1], -1
                                        ; implicit-def: $vgpr3
.LBB256_633:
	s_andn2_b64 vcc, exec, s[0:1]
	s_cbranch_vccnz .LBB256_635
; %bb.634:
	global_load_dword v2, v[0:1], off
	s_waitcnt vmcnt(0)
	v_cvt_f32_i32_e32 v3, v2
.LBB256_635:
	s_mov_b64 s[0:1], 0
.LBB256_636:
	s_andn2_b64 vcc, exec, s[0:1]
	s_cbranch_vccnz .LBB256_638
; %bb.637:
	global_load_sshort v2, v[0:1], off
	s_waitcnt vmcnt(0)
	v_cvt_f32_i32_e32 v3, v2
.LBB256_638:
	s_mov_b64 s[0:1], 0
.LBB256_639:
	s_andn2_b64 vcc, exec, s[0:1]
	s_cbranch_vccnz .LBB256_645
; %bb.640:
	s_cmp_gt_i32 s34, 0
	s_cbranch_scc0 .LBB256_642
; %bb.641:
	global_load_sbyte v2, v[0:1], off
	s_mov_b64 s[0:1], 0
	s_waitcnt vmcnt(0)
	v_cvt_f32_i32_e32 v3, v2
	s_branch .LBB256_643
.LBB256_642:
	s_mov_b64 s[0:1], -1
                                        ; implicit-def: $vgpr3
.LBB256_643:
	s_andn2_b64 vcc, exec, s[0:1]
	s_cbranch_vccnz .LBB256_645
; %bb.644:
	global_load_ubyte v0, v[0:1], off
	s_waitcnt vmcnt(0)
	v_cvt_f32_ubyte0_e32 v3, v0
.LBB256_645:
	s_mov_b64 s[0:1], -1
.LBB256_646:
	s_andn2_b64 vcc, exec, s[0:1]
	s_cbranch_vccnz .LBB256_654
; %bb.647:
	s_mov_b32 s0, 0xf800000
	s_waitcnt vmcnt(0)
	v_mul_f32_e32 v0, 0x4f800000, v3
	v_cmp_gt_f32_e32 vcc, s0, v3
	s_and_b32 s36, s33, 0xff
	s_cmp_lt_i32 s36, 11
	v_cndmask_b32_e32 v0, v3, v0, vcc
	v_sqrt_f32_e32 v1, v0
	s_nop 0
	v_add_u32_e32 v2, -1, v1
	v_fma_f32 v4, -v2, v1, v0
	v_cmp_ge_f32_e64 s[0:1], 0, v4
	v_add_u32_e32 v4, 1, v1
	s_nop 0
	v_cndmask_b32_e64 v2, v1, v2, s[0:1]
	v_fma_f32 v1, -v4, v1, v0
	v_cmp_lt_f32_e64 s[0:1], 0, v1
	s_nop 1
	v_cndmask_b32_e64 v1, v2, v4, s[0:1]
	v_mul_f32_e32 v2, 0x37800000, v1
	v_cndmask_b32_e32 v1, v1, v2, vcc
	v_mov_b32_e32 v2, 0x260
	v_cmp_class_f32_e32 vcc, v0, v2
	s_nop 1
	v_cndmask_b32_e32 v2, v1, v0, vcc
	v_mul_lo_u32 v0, v5, s8
	v_ashrrev_i32_e32 v1, 31, v0
	v_lshl_add_u64 v[0:1], s[4:5], 0, v[0:1]
	s_cbranch_scc1 .LBB256_655
; %bb.648:
	s_and_b32 s37, 0xffff, s36
	s_cmp_gt_i32 s37, 25
	s_cbranch_scc0 .LBB256_656
; %bb.649:
	s_cmp_gt_i32 s37, 28
	s_cbranch_scc0 .LBB256_657
; %bb.650:
	;; [unrolled: 3-line block ×4, first 2 shown]
	s_mov_b64 s[30:31], 0
	s_mov_b64 s[0:1], -1
	s_cmp_eq_u32 s37, 46
	s_mov_b64 s[28:29], 0
	s_cbranch_scc0 .LBB256_660
; %bb.653:
	v_bfe_u32 v4, v2, 16, 1
	s_movk_i32 s0, 0x7fff
	v_add3_u32 v4, v2, v4, s0
	v_cmp_le_f32_e32 vcc, 0, v3
	v_mov_b32_e32 v6, 0x7fc0
	s_mov_b64 s[28:29], -1
	v_cndmask_b32_sdwa v4, v6, v4, vcc dst_sel:DWORD dst_unused:UNUSED_PAD src0_sel:DWORD src1_sel:WORD_1
	global_store_dword v[0:1], v4, off
	s_mov_b64 s[0:1], 0
	s_branch .LBB256_660
.LBB256_654:
	s_mov_b64 s[30:31], 0
                                        ; implicit-def: $vgpr5
	s_mov_b64 s[0:1], s[20:21]
	s_branch .LBB256_771
.LBB256_655:
	s_mov_b64 s[30:31], -1
	s_mov_b64 s[28:29], 0
	s_mov_b64 s[0:1], s[20:21]
	s_branch .LBB256_729
.LBB256_656:
	s_mov_b64 s[30:31], -1
	s_mov_b64 s[28:29], 0
	s_mov_b64 s[0:1], s[20:21]
	s_branch .LBB256_687
.LBB256_657:
	s_mov_b64 s[30:31], -1
	s_mov_b64 s[28:29], 0
	s_mov_b64 s[0:1], s[20:21]
	s_branch .LBB256_670
.LBB256_658:
	s_mov_b64 s[30:31], -1
	s_mov_b64 s[28:29], 0
	s_mov_b64 s[0:1], s[20:21]
	s_branch .LBB256_666
.LBB256_659:
	s_mov_b64 s[30:31], -1
	s_mov_b64 s[28:29], 0
	s_mov_b64 s[0:1], s[20:21]
.LBB256_660:
	s_and_b64 vcc, exec, s[30:31]
	s_cbranch_vccz .LBB256_665
; %bb.661:
	s_cmp_eq_u32 s37, 44
	s_mov_b64 s[0:1], -1
	s_cbranch_scc0 .LBB256_665
; %bb.662:
	v_bfe_u32 v4, v2, 23, 8
	s_movk_i32 s0, 0xff
	v_cmp_ne_u32_e32 vcc, s0, v4
	v_mov_b32_e32 v6, 0xff
	s_and_saveexec_b64 s[28:29], vcc
; %bb.663:
	s_mov_b32 s0, 0x3fffff
	v_and_b32_e32 v7, 0x400000, v2
	v_and_or_b32 v4, v2, s0, v4
	v_cmp_ne_u32_e32 vcc, 0, v7
	v_cmp_ne_u32_e64 s[0:1], 0, v4
	s_and_b64 s[0:1], vcc, s[0:1]
	v_lshrrev_b32_e32 v6, 23, v2
	v_cndmask_b32_e64 v4, 0, 1, s[0:1]
	v_add_u32_e32 v6, v6, v4
; %bb.664:
	s_or_b64 exec, exec, s[28:29]
	s_mov_b64 s[28:29], -1
	s_mov_b64 s[0:1], 0
	global_store_byte v[0:1], v6, off
.LBB256_665:
	s_mov_b64 s[30:31], 0
.LBB256_666:
	s_and_b64 vcc, exec, s[30:31]
	s_cbranch_vccz .LBB256_669
; %bb.667:
	s_cmp_eq_u32 s37, 29
	s_mov_b64 s[0:1], -1
	s_cbranch_scc0 .LBB256_669
; %bb.668:
	v_trunc_f32_e32 v4, v2
	v_mul_f32_e32 v6, 0x2f800000, v4
	v_floor_f32_e32 v6, v6
	v_fmamk_f32 v4, v6, 0xcf800000, v4
	v_cvt_u32_f32_e32 v7, v6
	v_cvt_u32_f32_e32 v6, v4
	s_mov_b64 s[28:29], -1
	s_mov_b64 s[0:1], 0
	s_mov_b64 s[30:31], 0
	global_store_dwordx2 v[0:1], v[6:7], off
	s_branch .LBB256_670
.LBB256_669:
	s_mov_b64 s[30:31], 0
.LBB256_670:
	s_and_b64 vcc, exec, s[30:31]
	s_cbranch_vccz .LBB256_686
; %bb.671:
	s_cmp_lt_i32 s37, 27
	s_mov_b64 s[28:29], -1
	s_cbranch_scc1 .LBB256_677
; %bb.672:
	v_cvt_u32_f32_e32 v4, v2
	s_cmp_gt_i32 s37, 27
	s_cbranch_scc0 .LBB256_674
; %bb.673:
	s_mov_b64 s[28:29], 0
	global_store_dword v[0:1], v4, off
.LBB256_674:
	s_andn2_b64 vcc, exec, s[28:29]
	s_cbranch_vccnz .LBB256_676
; %bb.675:
	global_store_short v[0:1], v4, off
.LBB256_676:
	s_mov_b64 s[28:29], 0
.LBB256_677:
	s_andn2_b64 vcc, exec, s[28:29]
	s_cbranch_vccnz .LBB256_685
; %bb.678:
	v_and_b32_e32 v4, 0x7fffffff, v2
	s_mov_b32 s28, 0x43800000
	v_cmp_gt_u32_e32 vcc, s28, v4
	v_mov_b32_e32 v6, 0x80
	s_and_saveexec_b64 s[28:29], vcc
	s_cbranch_execz .LBB256_684
; %bb.679:
	s_mov_b32 s30, 0x3bffffff
	v_cmp_lt_u32_e32 vcc, s30, v4
	s_mov_b64 s[30:31], 0
                                        ; implicit-def: $vgpr4
	s_and_saveexec_b64 s[34:35], vcc
	s_xor_b64 s[34:35], exec, s[34:35]
	s_cbranch_execz .LBB256_785
; %bb.680:
	v_bfe_u32 v4, v2, 20, 1
	s_mov_b32 s39, 0x487ffff
	v_add3_u32 v4, v2, v4, s39
	s_mov_b64 s[30:31], exec
	v_lshrrev_b32_e32 v4, 20, v4
	s_andn2_saveexec_b64 s[34:35], s[34:35]
	s_cbranch_execnz .LBB256_786
.LBB256_681:
	s_or_b64 exec, exec, s[34:35]
	v_mov_b32_e32 v6, 0
	s_and_saveexec_b64 s[34:35], s[30:31]
.LBB256_682:
	v_lshrrev_b32_e32 v6, 24, v2
	s_movk_i32 s30, 0x80
	v_and_or_b32 v6, v6, s30, v4
.LBB256_683:
	s_or_b64 exec, exec, s[34:35]
.LBB256_684:
	s_or_b64 exec, exec, s[28:29]
	global_store_byte v[0:1], v6, off
.LBB256_685:
	s_mov_b64 s[28:29], -1
.LBB256_686:
	s_mov_b64 s[30:31], 0
.LBB256_687:
	s_and_b64 vcc, exec, s[30:31]
	s_cbranch_vccz .LBB256_728
; %bb.688:
	s_cmp_gt_i32 s37, 22
	s_mov_b64 s[30:31], -1
	s_cbranch_scc0 .LBB256_720
; %bb.689:
	s_cmp_lt_i32 s37, 24
	s_mov_b64 s[28:29], -1
	s_cbranch_scc1 .LBB256_709
; %bb.690:
	s_cmp_gt_i32 s37, 24
	s_cbranch_scc0 .LBB256_698
; %bb.691:
	v_and_b32_e32 v4, 0x7fffffff, v2
	s_mov_b32 s28, 0x47800000
	v_cmp_gt_u32_e32 vcc, s28, v4
	v_mov_b32_e32 v6, 0x80
	s_and_saveexec_b64 s[28:29], vcc
	s_cbranch_execz .LBB256_697
; %bb.692:
	s_mov_b32 s30, 0x37ffffff
	v_cmp_lt_u32_e32 vcc, s30, v4
	s_mov_b64 s[30:31], 0
                                        ; implicit-def: $vgpr4
	s_and_saveexec_b64 s[34:35], vcc
	s_xor_b64 s[34:35], exec, s[34:35]
	s_cbranch_execz .LBB256_788
; %bb.693:
	v_bfe_u32 v4, v2, 21, 1
	s_mov_b32 s39, 0x88fffff
	v_add3_u32 v4, v2, v4, s39
	s_mov_b64 s[30:31], exec
	v_lshrrev_b32_e32 v4, 21, v4
	s_andn2_saveexec_b64 s[34:35], s[34:35]
	s_cbranch_execnz .LBB256_789
.LBB256_694:
	s_or_b64 exec, exec, s[34:35]
	v_mov_b32_e32 v6, 0
	s_and_saveexec_b64 s[34:35], s[30:31]
.LBB256_695:
	v_lshrrev_b32_e32 v6, 24, v2
	s_movk_i32 s30, 0x80
	v_and_or_b32 v6, v6, s30, v4
.LBB256_696:
	s_or_b64 exec, exec, s[34:35]
.LBB256_697:
	s_or_b64 exec, exec, s[28:29]
	s_mov_b64 s[28:29], 0
	global_store_byte v[0:1], v6, off
.LBB256_698:
	s_and_b64 vcc, exec, s[28:29]
	s_cbranch_vccz .LBB256_708
; %bb.699:
	v_and_b32_e32 v6, 0x7fffffff, v2
	s_mov_b32 s28, 0x43f00000
	v_cmp_gt_u32_e32 vcc, s28, v6
                                        ; implicit-def: $vgpr4
	s_and_saveexec_b64 s[28:29], vcc
	s_xor_b64 s[28:29], exec, s[28:29]
	s_cbranch_execz .LBB256_705
; %bb.700:
	s_mov_b32 s30, 0x3c7fffff
	v_cmp_lt_u32_e32 vcc, s30, v6
                                        ; implicit-def: $vgpr4
	s_and_saveexec_b64 s[30:31], vcc
	s_xor_b64 s[30:31], exec, s[30:31]
; %bb.701:
	v_bfe_u32 v4, v2, 20, 1
	s_mov_b32 s34, 0x407ffff
	v_add3_u32 v4, v2, v4, s34
	v_lshrrev_b32_e32 v6, 20, v4
	v_and_b32_e32 v4, 0xff00000, v4
	s_mov_b32 s34, 0x7f00000
	v_mov_b32_e32 v7, 0x7e
	v_cmp_ne_u32_e32 vcc, s34, v4
	s_nop 1
	v_cndmask_b32_e32 v4, v7, v6, vcc
; %bb.702:
	s_andn2_saveexec_b64 s[30:31], s[30:31]
; %bb.703:
	s_mov_b32 s34, 0x46800000
	v_add_f32_e64 v4, |v2|, s34
; %bb.704:
	s_or_b64 exec, exec, s[30:31]
                                        ; implicit-def: $vgpr6
.LBB256_705:
	s_andn2_saveexec_b64 s[28:29], s[28:29]
; %bb.706:
	s_mov_b32 s30, 0x7f800000
	v_mov_b32_e32 v4, 0x7e
	v_mov_b32_e32 v7, 0x7f
	v_cmp_lt_u32_e32 vcc, s30, v6
	s_nop 1
	v_cndmask_b32_e32 v4, v4, v7, vcc
; %bb.707:
	s_or_b64 exec, exec, s[28:29]
	v_lshrrev_b32_e32 v6, 24, v2
	s_movk_i32 s28, 0x80
	v_and_or_b32 v4, v6, s28, v4
	global_store_byte v[0:1], v4, off
.LBB256_708:
	s_mov_b64 s[28:29], 0
.LBB256_709:
	s_andn2_b64 vcc, exec, s[28:29]
	s_cbranch_vccnz .LBB256_719
; %bb.710:
	v_and_b32_e32 v6, 0x7fffffff, v2
	s_mov_b32 s28, 0x47800000
	v_cmp_gt_u32_e32 vcc, s28, v6
                                        ; implicit-def: $vgpr4
	s_and_saveexec_b64 s[28:29], vcc
	s_xor_b64 s[28:29], exec, s[28:29]
	s_cbranch_execz .LBB256_716
; %bb.711:
	s_mov_b32 s30, 0x387fffff
	v_cmp_lt_u32_e32 vcc, s30, v6
                                        ; implicit-def: $vgpr4
	s_and_saveexec_b64 s[30:31], vcc
	s_xor_b64 s[30:31], exec, s[30:31]
; %bb.712:
	v_bfe_u32 v4, v2, 21, 1
	s_mov_b32 s34, 0x80fffff
	v_add3_u32 v4, v2, v4, s34
	v_lshrrev_b32_e32 v4, 21, v4
; %bb.713:
	s_andn2_saveexec_b64 s[30:31], s[30:31]
; %bb.714:
	s_mov_b32 s34, 0x43000000
	v_add_f32_e64 v4, |v2|, s34
; %bb.715:
	s_or_b64 exec, exec, s[30:31]
                                        ; implicit-def: $vgpr6
.LBB256_716:
	s_andn2_saveexec_b64 s[28:29], s[28:29]
; %bb.717:
	s_mov_b32 s30, 0x7f800000
	v_mov_b32_e32 v4, 0x7c
	v_mov_b32_e32 v7, 0x7f
	v_cmp_lt_u32_e32 vcc, s30, v6
	s_nop 1
	v_cndmask_b32_e32 v4, v4, v7, vcc
; %bb.718:
	s_or_b64 exec, exec, s[28:29]
	v_lshrrev_b32_e32 v6, 24, v2
	s_movk_i32 s28, 0x80
	v_and_or_b32 v4, v6, s28, v4
	global_store_byte v[0:1], v4, off
.LBB256_719:
	s_mov_b64 s[30:31], 0
	s_mov_b64 s[28:29], -1
.LBB256_720:
	s_andn2_b64 vcc, exec, s[30:31]
	s_cbranch_vccnz .LBB256_728
; %bb.721:
	s_cmp_gt_i32 s37, 14
	s_mov_b64 s[30:31], -1
	s_cbranch_scc0 .LBB256_725
; %bb.722:
	s_cmp_eq_u32 s37, 15
	s_mov_b64 s[0:1], -1
	s_cbranch_scc0 .LBB256_724
; %bb.723:
	v_bfe_u32 v4, v2, 16, 1
	s_movk_i32 s0, 0x7fff
	v_add3_u32 v4, v2, v4, s0
	v_cmp_le_f32_e32 vcc, 0, v3
	v_mov_b32_e32 v6, 0x7fc0
	s_mov_b64 s[28:29], -1
	v_cndmask_b32_sdwa v4, v6, v4, vcc dst_sel:DWORD dst_unused:UNUSED_PAD src0_sel:DWORD src1_sel:WORD_1
	global_store_short v[0:1], v4, off
	s_mov_b64 s[0:1], 0
.LBB256_724:
	s_mov_b64 s[30:31], 0
.LBB256_725:
	s_and_b64 vcc, exec, s[30:31]
	s_cbranch_vccz .LBB256_728
; %bb.726:
	s_cmp_eq_u32 s37, 11
	s_mov_b64 s[0:1], -1
	s_cbranch_scc0 .LBB256_728
; %bb.727:
	v_cmp_neq_f32_e32 vcc, 0, v3
	s_mov_b64 s[28:29], -1
	s_mov_b64 s[0:1], 0
	v_cndmask_b32_e64 v3, 0, 1, vcc
	global_store_byte v[0:1], v3, off
.LBB256_728:
	s_mov_b64 s[30:31], 0
.LBB256_729:
	s_and_b64 vcc, exec, s[30:31]
	s_cbranch_vccz .LBB256_768
; %bb.730:
	s_and_b32 s30, 0xffff, s36
	s_cmp_lt_i32 s30, 5
	s_mov_b64 s[28:29], -1
	s_cbranch_scc1 .LBB256_751
; %bb.731:
	s_cmp_lt_i32 s30, 8
	s_cbranch_scc1 .LBB256_741
; %bb.732:
	s_cmp_lt_i32 s30, 9
	s_cbranch_scc1 .LBB256_738
; %bb.733:
	s_cmp_gt_i32 s30, 9
	s_cbranch_scc0 .LBB256_735
; %bb.734:
	v_mov_b32_e32 v8, 0
	v_cvt_f64_f32_e32 v[6:7], v2
	v_mov_b32_e32 v9, v8
	s_mov_b64 s[28:29], 0
	global_store_dwordx4 v[0:1], v[6:9], off
.LBB256_735:
	s_andn2_b64 vcc, exec, s[28:29]
	s_cbranch_vccnz .LBB256_737
; %bb.736:
	v_mov_b32_e32 v3, 0
	global_store_dwordx2 v[0:1], v[2:3], off
.LBB256_737:
	s_mov_b64 s[28:29], 0
.LBB256_738:
	s_andn2_b64 vcc, exec, s[28:29]
	s_cbranch_vccnz .LBB256_740
; %bb.739:
	v_cvt_f16_f32_e32 v3, v2
	global_store_dword v[0:1], v3, off
.LBB256_740:
	s_mov_b64 s[28:29], 0
.LBB256_741:
	s_andn2_b64 vcc, exec, s[28:29]
	s_cbranch_vccnz .LBB256_750
; %bb.742:
	s_cmp_lt_i32 s30, 6
	s_mov_b64 s[28:29], -1
	s_cbranch_scc1 .LBB256_748
; %bb.743:
	s_cmp_gt_i32 s30, 6
	s_cbranch_scc0 .LBB256_745
; %bb.744:
	v_cvt_f64_f32_e32 v[6:7], v2
	s_mov_b64 s[28:29], 0
	global_store_dwordx2 v[0:1], v[6:7], off
.LBB256_745:
	s_andn2_b64 vcc, exec, s[28:29]
	s_cbranch_vccnz .LBB256_747
; %bb.746:
	global_store_dword v[0:1], v2, off
.LBB256_747:
	s_mov_b64 s[28:29], 0
.LBB256_748:
	s_andn2_b64 vcc, exec, s[28:29]
	s_cbranch_vccnz .LBB256_750
; %bb.749:
	v_cvt_f16_f32_e32 v3, v2
	global_store_short v[0:1], v3, off
.LBB256_750:
	s_mov_b64 s[28:29], 0
.LBB256_751:
	s_andn2_b64 vcc, exec, s[28:29]
	s_cbranch_vccnz .LBB256_767
; %bb.752:
	s_cmp_lt_i32 s30, 2
	s_mov_b64 s[28:29], -1
	s_cbranch_scc1 .LBB256_762
; %bb.753:
	s_cmp_lt_i32 s30, 3
	s_cbranch_scc1 .LBB256_759
; %bb.754:
	s_cmp_gt_i32 s30, 3
	s_cbranch_scc0 .LBB256_756
; %bb.755:
	v_trunc_f32_e32 v3, v2
	s_mov_b32 s28, 0x2f800000
	v_mul_f32_e64 v4, |v3|, s28
	v_floor_f32_e32 v4, v4
	s_mov_b32 s28, 0xcf800000
	v_cvt_u32_f32_e32 v6, v4
	v_fma_f32 v4, v4, s28, |v3|
	v_cvt_u32_f32_e32 v4, v4
	v_ashrrev_i32_e32 v3, 31, v3
	v_xor_b32_e32 v7, v6, v3
	s_mov_b64 s[28:29], 0
	v_xor_b32_e32 v4, v4, v3
	v_sub_co_u32_e32 v6, vcc, v4, v3
	s_nop 1
	v_subb_co_u32_e32 v7, vcc, v7, v3, vcc
	global_store_dwordx2 v[0:1], v[6:7], off
.LBB256_756:
	s_andn2_b64 vcc, exec, s[28:29]
	s_cbranch_vccnz .LBB256_758
; %bb.757:
	v_cvt_i32_f32_e32 v3, v2
	global_store_dword v[0:1], v3, off
.LBB256_758:
	s_mov_b64 s[28:29], 0
.LBB256_759:
	s_andn2_b64 vcc, exec, s[28:29]
	s_cbranch_vccnz .LBB256_761
; %bb.760:
	v_cvt_i32_f32_e32 v3, v2
	global_store_short v[0:1], v3, off
.LBB256_761:
	s_mov_b64 s[28:29], 0
.LBB256_762:
	s_andn2_b64 vcc, exec, s[28:29]
	s_cbranch_vccnz .LBB256_767
; %bb.763:
	s_cmp_gt_i32 s30, 0
	s_mov_b64 s[28:29], -1
	s_cbranch_scc0 .LBB256_765
; %bb.764:
	v_cvt_i32_f32_e32 v3, v2
	s_mov_b64 s[28:29], 0
	global_store_byte v[0:1], v3, off
.LBB256_765:
	s_andn2_b64 vcc, exec, s[28:29]
	s_cbranch_vccnz .LBB256_767
; %bb.766:
	v_trunc_f32_e32 v2, v2
	s_mov_b32 s28, 0x2f800000
	v_mul_f32_e64 v3, |v2|, s28
	v_floor_f32_e32 v3, v3
	s_mov_b32 s28, 0xcf800000
	v_fma_f32 v3, v3, s28, |v2|
	v_cvt_u32_f32_e32 v3, v3
	v_ashrrev_i32_e32 v2, 31, v2
	v_xor_b32_e32 v3, v3, v2
	v_sub_u32_e32 v2, v3, v2
	global_store_byte v[0:1], v2, off
.LBB256_767:
	s_mov_b64 s[28:29], -1
.LBB256_768:
	s_andn2_b64 vcc, exec, s[28:29]
	s_cbranch_vccnz .LBB256_770
; %bb.769:
	v_add_u32_e32 v5, 0x80, v5
	s_mov_b64 s[30:31], -1
	s_branch .LBB256_771
.LBB256_770:
	s_mov_b64 s[30:31], 0
                                        ; implicit-def: $vgpr5
.LBB256_771:
	s_andn2_b64 s[28:29], s[20:21], exec
	s_and_b64 s[0:1], s[0:1], exec
	s_or_b64 s[28:29], s[28:29], s[0:1]
	s_andn2_b64 s[0:1], s[18:19], exec
	s_and_b64 s[26:27], s[26:27], exec
	s_or_b64 s[0:1], s[0:1], s[26:27]
	s_orn2_b64 s[34:35], s[30:31], exec
.LBB256_772:
	s_or_b64 exec, exec, s[24:25]
	s_mov_b64 s[30:31], 0
	s_mov_b64 s[26:27], 0
	;; [unrolled: 1-line block ×3, first 2 shown]
                                        ; implicit-def: $vgpr0_vgpr1
                                        ; implicit-def: $vgpr3
	s_and_saveexec_b64 s[24:25], s[34:35]
	s_cbranch_execz .LBB256_857
; %bb.773:
	v_cmp_gt_i32_e32 vcc, s38, v5
	s_mov_b64 s[34:35], 0
	s_mov_b64 s[38:39], s[0:1]
	;; [unrolled: 1-line block ×3, first 2 shown]
                                        ; implicit-def: $vgpr0_vgpr1
                                        ; implicit-def: $vgpr3
	s_and_saveexec_b64 s[26:27], vcc
	s_cbranch_execz .LBB256_856
; %bb.774:
	v_mul_lo_u32 v0, v5, s9
	v_ashrrev_i32_e32 v1, 31, v0
	s_and_b32 s43, 0xffff, s42
	s_cmp_lt_i32 s43, 11
	v_lshl_add_u64 v[0:1], s[6:7], 0, v[0:1]
	s_cbranch_scc1 .LBB256_781
; %bb.775:
	s_cmp_gt_i32 s43, 25
	s_cbranch_scc0 .LBB256_782
; %bb.776:
	s_cmp_gt_i32 s43, 28
	s_cbranch_scc0 .LBB256_783
	;; [unrolled: 3-line block ×4, first 2 shown]
; %bb.779:
	s_cmp_eq_u32 s43, 46
	s_mov_b64 s[38:39], 0
	s_cbranch_scc0 .LBB256_790
; %bb.780:
	global_load_dword v2, v[0:1], off
	s_mov_b64 s[36:37], -1
	s_waitcnt vmcnt(0)
	v_lshlrev_b32_e32 v3, 16, v2
	s_branch .LBB256_792
.LBB256_781:
	s_mov_b64 s[38:39], -1
                                        ; implicit-def: $vgpr3
	s_mov_b64 s[30:31], s[0:1]
	s_branch .LBB256_855
.LBB256_782:
	s_mov_b64 s[38:39], -1
	s_mov_b64 s[30:31], s[0:1]
                                        ; implicit-def: $vgpr3
	s_branch .LBB256_821
.LBB256_783:
	s_mov_b64 s[38:39], -1
	s_mov_b64 s[30:31], s[0:1]
                                        ; implicit-def: $vgpr3
	s_branch .LBB256_802
.LBB256_784:
	s_mov_b64 s[38:39], -1
	s_mov_b64 s[30:31], s[0:1]
                                        ; implicit-def: $vgpr3
	s_branch .LBB256_797
.LBB256_785:
	s_andn2_saveexec_b64 s[34:35], s[34:35]
	s_cbranch_execz .LBB256_681
.LBB256_786:
	s_mov_b32 s39, 0x46000000
	v_add_f32_e64 v4, |v2|, s39
	v_and_b32_e32 v4, 0xff, v4
	v_cmp_ne_u32_e32 vcc, 0, v4
	s_andn2_b64 s[30:31], s[30:31], exec
	s_and_b64 s[40:41], vcc, exec
	s_or_b64 s[30:31], s[30:31], s[40:41]
	s_or_b64 exec, exec, s[34:35]
	v_mov_b32_e32 v6, 0
	s_and_saveexec_b64 s[34:35], s[30:31]
	s_cbranch_execnz .LBB256_682
	s_branch .LBB256_683
.LBB256_787:
	s_mov_b64 s[38:39], -1
	s_mov_b64 s[30:31], s[0:1]
	s_branch .LBB256_791
.LBB256_788:
	s_andn2_saveexec_b64 s[34:35], s[34:35]
	s_cbranch_execz .LBB256_694
.LBB256_789:
	s_mov_b32 s39, 0x42800000
	v_add_f32_e64 v4, |v2|, s39
	v_and_b32_e32 v4, 0xff, v4
	v_cmp_ne_u32_e32 vcc, 0, v4
	s_andn2_b64 s[30:31], s[30:31], exec
	s_and_b64 s[40:41], vcc, exec
	s_or_b64 s[30:31], s[30:31], s[40:41]
	s_or_b64 exec, exec, s[34:35]
	v_mov_b32_e32 v6, 0
	s_and_saveexec_b64 s[34:35], s[30:31]
	s_cbranch_execnz .LBB256_695
	s_branch .LBB256_696
.LBB256_790:
	s_mov_b64 s[30:31], -1
.LBB256_791:
                                        ; implicit-def: $vgpr3
.LBB256_792:
	s_and_b64 vcc, exec, s[38:39]
	s_cbranch_vccz .LBB256_796
; %bb.793:
	s_cmp_eq_u32 s43, 44
	s_cbranch_scc0 .LBB256_795
; %bb.794:
	global_load_ubyte v2, v[0:1], off
	s_movk_i32 s36, 0xff
	s_waitcnt vmcnt(1)
	v_mov_b32_e32 v3, 0x7f800001
	v_mov_b32_e32 v4, 0x400000
	s_mov_b64 s[30:31], 0
	s_waitcnt vmcnt(0)
	v_lshlrev_b32_e32 v6, 23, v2
	v_cmp_ne_u32_e32 vcc, s36, v2
	s_mov_b64 s[36:37], -1
	s_nop 0
	v_cndmask_b32_e32 v3, v3, v6, vcc
	v_cmp_ne_u32_e32 vcc, 0, v2
	s_nop 1
	v_cndmask_b32_e32 v3, v4, v3, vcc
	s_branch .LBB256_796
.LBB256_795:
	s_mov_b64 s[30:31], -1
                                        ; implicit-def: $vgpr3
.LBB256_796:
	s_mov_b64 s[38:39], 0
.LBB256_797:
	s_and_b64 vcc, exec, s[38:39]
	s_cbranch_vccz .LBB256_801
; %bb.798:
	s_cmp_eq_u32 s43, 29
	s_cbranch_scc0 .LBB256_800
; %bb.799:
	global_load_dwordx2 v[2:3], v[0:1], off
	s_mov_b64 s[30:31], 0
	s_mov_b64 s[36:37], -1
	s_mov_b64 s[38:39], 0
	s_waitcnt vmcnt(0)
	v_ffbh_u32_e32 v4, v3
	v_min_u32_e32 v4, 32, v4
	v_lshlrev_b64 v[2:3], v4, v[2:3]
	v_min_u32_e32 v2, 1, v2
	v_or_b32_e32 v2, v3, v2
	v_cvt_f32_u32_e32 v2, v2
	v_sub_u32_e32 v3, 32, v4
	v_ldexp_f32 v3, v2, v3
	s_branch .LBB256_802
.LBB256_800:
	s_mov_b64 s[30:31], -1
                                        ; implicit-def: $vgpr3
.LBB256_801:
	s_mov_b64 s[38:39], 0
.LBB256_802:
	s_and_b64 vcc, exec, s[38:39]
	s_cbranch_vccz .LBB256_820
; %bb.803:
	s_cmp_lt_i32 s43, 27
	s_cbranch_scc1 .LBB256_806
; %bb.804:
	s_cmp_gt_i32 s43, 27
	s_cbranch_scc0 .LBB256_807
; %bb.805:
	global_load_dword v2, v[0:1], off
	s_mov_b64 s[36:37], 0
	s_waitcnt vmcnt(0)
	v_cvt_f32_u32_e32 v3, v2
	s_branch .LBB256_808
.LBB256_806:
	s_mov_b64 s[36:37], -1
                                        ; implicit-def: $vgpr3
	s_branch .LBB256_811
.LBB256_807:
	s_mov_b64 s[36:37], -1
                                        ; implicit-def: $vgpr3
.LBB256_808:
	s_andn2_b64 vcc, exec, s[36:37]
	s_cbranch_vccnz .LBB256_810
; %bb.809:
	global_load_ushort v2, v[0:1], off
	s_waitcnt vmcnt(0)
	v_cvt_f32_u32_e32 v3, v2
.LBB256_810:
	s_mov_b64 s[36:37], 0
.LBB256_811:
	s_andn2_b64 vcc, exec, s[36:37]
	s_cbranch_vccnz .LBB256_819
; %bb.812:
	global_load_ubyte v2, v[0:1], off
	s_movk_i32 s36, 0x7f
	s_waitcnt vmcnt(0)
	v_cmp_lt_i16_e32 vcc, s36, v2
	s_mov_b64 s[36:37], 0
	s_and_saveexec_b64 s[38:39], vcc
	s_xor_b64 s[38:39], exec, s[38:39]
	s_cbranch_execz .LBB256_833
; %bb.813:
	s_movk_i32 s36, 0x80
	v_cmp_eq_u16_e32 vcc, s36, v2
	s_mov_b64 s[36:37], -1
	s_and_saveexec_b64 s[40:41], vcc
; %bb.814:
	s_xor_b64 s[36:37], exec, -1
; %bb.815:
	s_or_b64 exec, exec, s[40:41]
	s_and_b64 s[36:37], s[36:37], exec
	s_or_saveexec_b64 s[38:39], s[38:39]
	v_mov_b32_e32 v3, 0x7f800001
	s_xor_b64 exec, exec, s[38:39]
	s_cbranch_execnz .LBB256_834
.LBB256_816:
	s_or_b64 exec, exec, s[38:39]
	s_and_saveexec_b64 s[38:39], s[36:37]
	s_cbranch_execz .LBB256_818
.LBB256_817:
	v_lshlrev_b32_e32 v3, 24, v2
	v_and_b32_e32 v2, 0xffff, v2
	v_and_b32_e32 v4, 7, v2
	v_ffbh_u32_e32 v7, v4
	v_min_u32_e32 v7, 32, v7
	v_subrev_u32_e32 v8, 28, v7
	v_bfe_u32 v6, v2, 3, 4
	v_lshlrev_b32_e32 v2, v8, v2
	v_sub_u32_e32 v7, 29, v7
	v_and_b32_e32 v2, 7, v2
	v_cmp_eq_u32_e32 vcc, 0, v6
	v_and_b32_e32 v3, 0x80000000, v3
	s_nop 0
	v_cndmask_b32_e32 v6, v6, v7, vcc
	v_cndmask_b32_e32 v2, v4, v2, vcc
	v_mov_b32_e32 v4, 0x3b800000
	v_lshlrev_b32_e32 v2, 20, v2
	v_lshl_add_u32 v4, v6, 23, v4
	v_or3_b32 v3, v3, v4, v2
.LBB256_818:
	s_or_b64 exec, exec, s[38:39]
.LBB256_819:
	s_mov_b64 s[36:37], -1
.LBB256_820:
	s_mov_b64 s[38:39], 0
.LBB256_821:
	s_and_b64 vcc, exec, s[38:39]
	s_cbranch_vccz .LBB256_854
; %bb.822:
	s_cmp_gt_i32 s43, 22
	s_cbranch_scc0 .LBB256_832
; %bb.823:
	s_cmp_lt_i32 s43, 24
	s_cbranch_scc1 .LBB256_835
; %bb.824:
	s_cmp_gt_i32 s43, 24
	s_cbranch_scc0 .LBB256_836
; %bb.825:
	global_load_ubyte v2, v[0:1], off
	s_movk_i32 s34, 0x7f
	s_waitcnt vmcnt(0)
	v_cmp_lt_i16_e32 vcc, s34, v2
	s_mov_b64 s[34:35], 0
	s_and_saveexec_b64 s[36:37], vcc
	s_xor_b64 s[36:37], exec, s[36:37]
	s_cbranch_execz .LBB256_848
; %bb.826:
	s_movk_i32 s34, 0x80
	v_cmp_eq_u16_e32 vcc, s34, v2
	s_mov_b64 s[34:35], -1
	s_and_saveexec_b64 s[38:39], vcc
; %bb.827:
	s_xor_b64 s[34:35], exec, -1
; %bb.828:
	s_or_b64 exec, exec, s[38:39]
	s_and_b64 s[34:35], s[34:35], exec
	s_or_saveexec_b64 s[36:37], s[36:37]
	v_mov_b32_e32 v3, 0x7f800001
	s_xor_b64 exec, exec, s[36:37]
	s_cbranch_execnz .LBB256_849
.LBB256_829:
	s_or_b64 exec, exec, s[36:37]
	s_and_saveexec_b64 s[36:37], s[34:35]
	s_cbranch_execz .LBB256_831
.LBB256_830:
	v_lshlrev_b32_e32 v3, 24, v2
	v_and_b32_e32 v2, 0xffff, v2
	v_and_b32_e32 v4, 3, v2
	v_ffbh_u32_e32 v7, v4
	v_min_u32_e32 v7, 32, v7
	v_subrev_u32_e32 v8, 29, v7
	v_bfe_u32 v6, v2, 2, 5
	v_lshlrev_b32_e32 v2, v8, v2
	v_sub_u32_e32 v7, 30, v7
	v_and_b32_e32 v2, 3, v2
	v_cmp_eq_u32_e32 vcc, 0, v6
	v_and_b32_e32 v3, 0x80000000, v3
	s_nop 0
	v_cndmask_b32_e32 v6, v6, v7, vcc
	v_cndmask_b32_e32 v2, v4, v2, vcc
	v_mov_b32_e32 v4, 0x37800000
	v_lshlrev_b32_e32 v2, 21, v2
	v_lshl_add_u32 v4, v6, 23, v4
	v_or3_b32 v3, v3, v4, v2
.LBB256_831:
	s_or_b64 exec, exec, s[36:37]
	s_mov_b64 s[34:35], 0
	s_branch .LBB256_837
.LBB256_832:
	s_mov_b64 s[34:35], -1
                                        ; implicit-def: $vgpr3
	s_branch .LBB256_843
.LBB256_833:
	s_or_saveexec_b64 s[38:39], s[38:39]
	v_mov_b32_e32 v3, 0x7f800001
	s_xor_b64 exec, exec, s[38:39]
	s_cbranch_execz .LBB256_816
.LBB256_834:
	v_cmp_ne_u16_e32 vcc, 0, v2
	s_andn2_b64 s[36:37], s[36:37], exec
	s_and_b64 s[40:41], vcc, exec
	v_mov_b32_e32 v3, 0
	s_or_b64 s[36:37], s[36:37], s[40:41]
	s_or_b64 exec, exec, s[38:39]
	s_and_saveexec_b64 s[38:39], s[36:37]
	s_cbranch_execnz .LBB256_817
	s_branch .LBB256_818
.LBB256_835:
	s_mov_b64 s[34:35], -1
                                        ; implicit-def: $vgpr3
	s_branch .LBB256_840
.LBB256_836:
	s_mov_b64 s[34:35], -1
                                        ; implicit-def: $vgpr3
.LBB256_837:
	s_and_b64 vcc, exec, s[34:35]
	s_cbranch_vccz .LBB256_839
; %bb.838:
	global_load_ubyte v2, v[0:1], off
	s_mov_b32 s34, 0x7f800000
	s_waitcnt vmcnt(0)
	v_lshlrev_b32_e32 v2, 24, v2
	v_and_b32_e32 v3, 0x7f000000, v2
	v_ffbh_u32_e32 v4, v3
	v_min_u32_e32 v4, 32, v4
	v_sub_u32_e64 v4, v4, 4 clamp
	v_lshlrev_b32_e32 v7, v4, v3
	v_lshlrev_b32_e32 v4, 23, v4
	v_lshrrev_b32_e32 v7, 4, v7
	v_add_u32_e32 v6, 0x1000000, v3
	v_sub_u32_e32 v4, v7, v4
	v_ashrrev_i32_e32 v6, 8, v6
	v_add_u32_e32 v4, 0x3c000000, v4
	v_and_or_b32 v4, v6, s34, v4
	v_cmp_ne_u32_e32 vcc, 0, v3
	s_brev_b32 s34, 1
	s_nop 0
	v_cndmask_b32_e32 v3, 0, v4, vcc
	v_and_or_b32 v3, v2, s34, v3
.LBB256_839:
	s_mov_b64 s[34:35], 0
.LBB256_840:
	s_andn2_b64 vcc, exec, s[34:35]
	s_cbranch_vccnz .LBB256_842
; %bb.841:
	global_load_ubyte v2, v[0:1], off
	s_movk_i32 s34, 0x7f00
	s_brev_b32 s35, 16
	s_waitcnt vmcnt(0)
	v_lshlrev_b16_e32 v3, 8, v2
	v_lshlrev_b32_e32 v2, 25, v2
	v_lshrrev_b32_e32 v4, 4, v2
	v_and_or_b32 v6, v3, s34, 0.5
	v_or_b32_e32 v4, 0x70000000, v4
	v_add_f32_e32 v6, -0.5, v6
	v_mul_f32_e32 v4, 0x7800000, v4
	v_cmp_gt_u32_e32 vcc, s35, v2
	v_bfe_i32 v3, v3, 0, 16
	s_brev_b32 s34, 1
	v_cndmask_b32_e32 v2, v4, v6, vcc
	v_and_or_b32 v3, v3, s34, v2
.LBB256_842:
	s_mov_b64 s[34:35], 0
	s_mov_b64 s[36:37], -1
.LBB256_843:
	s_andn2_b64 vcc, exec, s[34:35]
	s_mov_b64 s[34:35], 0
	s_cbranch_vccnz .LBB256_854
; %bb.844:
	s_cmp_gt_i32 s43, 14
	s_cbranch_scc0 .LBB256_847
; %bb.845:
	s_cmp_eq_u32 s43, 15
	s_cbranch_scc0 .LBB256_850
; %bb.846:
	global_load_ushort v2, v[0:1], off
	s_mov_b64 s[30:31], 0
	s_mov_b64 s[36:37], -1
	s_waitcnt vmcnt(0)
	v_lshlrev_b32_e32 v3, 16, v2
	s_branch .LBB256_851
.LBB256_847:
	s_mov_b64 s[38:39], -1
                                        ; implicit-def: $vgpr3
	s_branch .LBB256_852
.LBB256_848:
	s_or_saveexec_b64 s[36:37], s[36:37]
	v_mov_b32_e32 v3, 0x7f800001
	s_xor_b64 exec, exec, s[36:37]
	s_cbranch_execz .LBB256_829
.LBB256_849:
	v_cmp_ne_u16_e32 vcc, 0, v2
	s_andn2_b64 s[34:35], s[34:35], exec
	s_and_b64 s[38:39], vcc, exec
	v_mov_b32_e32 v3, 0
	s_or_b64 s[34:35], s[34:35], s[38:39]
	s_or_b64 exec, exec, s[36:37]
	s_and_saveexec_b64 s[36:37], s[34:35]
	s_cbranch_execnz .LBB256_830
	s_branch .LBB256_831
.LBB256_850:
	s_mov_b64 s[30:31], -1
                                        ; implicit-def: $vgpr3
.LBB256_851:
	s_mov_b64 s[38:39], 0
.LBB256_852:
	s_and_b64 vcc, exec, s[38:39]
	s_cbranch_vccz .LBB256_854
; %bb.853:
	s_cmp_lg_u32 s43, 11
	s_cselect_b64 s[38:39], -1, 0
	s_andn2_b64 s[30:31], s[30:31], exec
	s_and_b64 s[38:39], s[38:39], exec
	s_mov_b64 s[34:35], -1
	s_or_b64 s[30:31], s[30:31], s[38:39]
.LBB256_854:
	s_mov_b64 s[38:39], 0
.LBB256_855:
	s_and_b64 s[40:41], s[38:39], exec
	s_andn2_b64 s[38:39], s[0:1], exec
	s_and_b64 s[30:31], s[30:31], exec
	s_and_b64 s[36:37], s[36:37], exec
	s_and_b64 s[34:35], s[34:35], exec
	s_or_b64 s[38:39], s[38:39], s[30:31]
.LBB256_856:
	s_or_b64 exec, exec, s[26:27]
	s_and_b64 s[30:31], s[34:35], exec
	s_andn2_b64 s[0:1], s[0:1], exec
	s_and_b64 s[34:35], s[38:39], exec
	s_and_b64 s[36:37], s[36:37], exec
	;; [unrolled: 1-line block ×3, first 2 shown]
	s_or_b64 s[0:1], s[0:1], s[34:35]
.LBB256_857:
	s_or_b64 exec, exec, s[24:25]
	s_andn2_b64 s[20:21], s[20:21], exec
	s_and_b64 s[24:25], s[28:29], exec
	s_andn2_b64 s[18:19], s[18:19], exec
	s_and_b64 s[0:1], s[0:1], exec
	s_or_b64 s[20:21], s[20:21], s[24:25]
	s_and_b64 s[28:29], s[36:37], exec
	s_and_b64 s[26:27], s[26:27], exec
	;; [unrolled: 1-line block ×3, first 2 shown]
	s_or_b64 s[18:19], s[18:19], s[0:1]
.LBB256_858:
	s_or_b64 exec, exec, s[22:23]
	s_andn2_b64 s[0:1], s[12:13], exec
	s_and_b64 s[12:13], s[20:21], exec
	s_andn2_b64 s[14:15], s[14:15], exec
	s_and_b64 s[18:19], s[18:19], exec
	s_or_b64 s[12:13], s[0:1], s[12:13]
	s_and_b64 s[0:1], s[28:29], exec
	s_and_b64 s[22:23], s[26:27], exec
	;; [unrolled: 1-line block ×3, first 2 shown]
	s_or_b64 s[14:15], s[14:15], s[18:19]
	s_or_b64 exec, exec, s[16:17]
	s_mov_b64 s[16:17], 0
	s_and_saveexec_b64 s[18:19], s[14:15]
	s_cbranch_execz .LBB256_262
.LBB256_859:
	s_mov_b64 s[16:17], exec
	s_andn2_b64 s[20:21], s[20:21], exec
	s_trap 2
	s_or_b64 exec, exec, s[18:19]
	s_and_saveexec_b64 s[14:15], s[20:21]
	s_xor_b64 s[14:15], exec, s[14:15]
	s_cbranch_execnz .LBB256_263
.LBB256_860:
	s_or_b64 exec, exec, s[14:15]
	s_and_saveexec_b64 s[14:15], s[22:23]
	s_cbranch_execz .LBB256_906
.LBB256_861:
	s_sext_i32_i16 s18, s42
	s_cmp_lt_i32 s18, 5
	s_cbranch_scc1 .LBB256_866
; %bb.862:
	s_cmp_lt_i32 s18, 8
	s_cbranch_scc1 .LBB256_867
; %bb.863:
	;; [unrolled: 3-line block ×3, first 2 shown]
	s_cmp_gt_i32 s18, 9
	s_cbranch_scc0 .LBB256_869
; %bb.865:
	global_load_dwordx2 v[2:3], v[0:1], off
	s_mov_b64 s[18:19], 0
	s_waitcnt vmcnt(0)
	v_cvt_f32_f64_e32 v3, v[2:3]
	s_branch .LBB256_870
.LBB256_866:
                                        ; implicit-def: $vgpr3
	s_branch .LBB256_887
.LBB256_867:
                                        ; implicit-def: $vgpr3
	s_branch .LBB256_876
.LBB256_868:
	s_mov_b64 s[18:19], -1
                                        ; implicit-def: $vgpr3
	s_branch .LBB256_873
.LBB256_869:
	s_mov_b64 s[18:19], -1
                                        ; implicit-def: $vgpr3
.LBB256_870:
	s_andn2_b64 vcc, exec, s[18:19]
	s_cbranch_vccnz .LBB256_872
; %bb.871:
	global_load_dword v3, v[0:1], off
.LBB256_872:
	s_mov_b64 s[18:19], 0
.LBB256_873:
	s_andn2_b64 vcc, exec, s[18:19]
	s_cbranch_vccnz .LBB256_875
; %bb.874:
	global_load_dword v2, v[0:1], off
	s_waitcnt vmcnt(0)
	v_cvt_f32_f16_e32 v3, v2
.LBB256_875:
	s_cbranch_execnz .LBB256_886
.LBB256_876:
	s_sext_i32_i16 s18, s42
	s_cmp_lt_i32 s18, 6
	s_cbranch_scc1 .LBB256_879
; %bb.877:
	s_cmp_gt_i32 s18, 6
	s_cbranch_scc0 .LBB256_880
; %bb.878:
	global_load_dwordx2 v[2:3], v[0:1], off
	s_mov_b64 s[18:19], 0
	s_waitcnt vmcnt(0)
	v_cvt_f32_f64_e32 v3, v[2:3]
	s_branch .LBB256_881
.LBB256_879:
	s_mov_b64 s[18:19], -1
                                        ; implicit-def: $vgpr3
	s_branch .LBB256_884
.LBB256_880:
	s_mov_b64 s[18:19], -1
                                        ; implicit-def: $vgpr3
.LBB256_881:
	s_andn2_b64 vcc, exec, s[18:19]
	s_cbranch_vccnz .LBB256_883
; %bb.882:
	global_load_dword v3, v[0:1], off
.LBB256_883:
	s_mov_b64 s[18:19], 0
.LBB256_884:
	s_andn2_b64 vcc, exec, s[18:19]
	s_cbranch_vccnz .LBB256_886
; %bb.885:
	global_load_ushort v2, v[0:1], off
	s_waitcnt vmcnt(0)
	v_cvt_f32_f16_e32 v3, v2
.LBB256_886:
	s_cbranch_execnz .LBB256_905
.LBB256_887:
	s_sext_i32_i16 s18, s42
	s_cmp_lt_i32 s18, 2
	s_cbranch_scc1 .LBB256_891
; %bb.888:
	s_cmp_lt_i32 s18, 3
	s_cbranch_scc1 .LBB256_892
; %bb.889:
	s_cmp_gt_i32 s18, 3
	s_cbranch_scc0 .LBB256_893
; %bb.890:
	global_load_dwordx2 v[2:3], v[0:1], off
	s_mov_b64 s[18:19], 0
	s_waitcnt vmcnt(0)
	v_xor_b32_e32 v6, v2, v3
	v_ffbh_i32_e32 v4, v3
	v_ashrrev_i32_e32 v6, 31, v6
	v_add_u32_e32 v4, -1, v4
	v_add_u32_e32 v6, 32, v6
	v_min_u32_e32 v4, v4, v6
	v_lshlrev_b64 v[2:3], v4, v[2:3]
	v_min_u32_e32 v2, 1, v2
	v_or_b32_e32 v2, v3, v2
	v_cvt_f32_i32_e32 v2, v2
	v_sub_u32_e32 v3, 32, v4
	v_ldexp_f32 v3, v2, v3
	s_branch .LBB256_894
.LBB256_891:
                                        ; implicit-def: $vgpr3
	s_branch .LBB256_900
.LBB256_892:
	s_mov_b64 s[18:19], -1
                                        ; implicit-def: $vgpr3
	s_branch .LBB256_897
.LBB256_893:
	s_mov_b64 s[18:19], -1
                                        ; implicit-def: $vgpr3
.LBB256_894:
	s_andn2_b64 vcc, exec, s[18:19]
	s_cbranch_vccnz .LBB256_896
; %bb.895:
	global_load_dword v2, v[0:1], off
	s_waitcnt vmcnt(0)
	v_cvt_f32_i32_e32 v3, v2
.LBB256_896:
	s_mov_b64 s[18:19], 0
.LBB256_897:
	s_andn2_b64 vcc, exec, s[18:19]
	s_cbranch_vccnz .LBB256_899
; %bb.898:
	global_load_sshort v2, v[0:1], off
	s_waitcnt vmcnt(0)
	v_cvt_f32_i32_e32 v3, v2
.LBB256_899:
	s_cbranch_execnz .LBB256_905
.LBB256_900:
	s_sext_i32_i16 s18, s42
	s_cmp_gt_i32 s18, 0
	s_cbranch_scc0 .LBB256_902
; %bb.901:
	global_load_sbyte v2, v[0:1], off
	s_mov_b64 s[18:19], 0
	s_waitcnt vmcnt(0)
	v_cvt_f32_i32_e32 v3, v2
	s_branch .LBB256_903
.LBB256_902:
	s_mov_b64 s[18:19], -1
                                        ; implicit-def: $vgpr3
.LBB256_903:
	s_andn2_b64 vcc, exec, s[18:19]
	s_cbranch_vccnz .LBB256_905
; %bb.904:
	global_load_ubyte v0, v[0:1], off
	s_waitcnt vmcnt(0)
	v_cvt_f32_ubyte0_e32 v3, v0
.LBB256_905:
	s_or_b64 s[0:1], s[0:1], exec
.LBB256_906:
	s_or_b64 exec, exec, s[14:15]
	s_mov_b64 s[20:21], 0
	s_mov_b64 s[18:19], 0
                                        ; implicit-def: $sgpr26
                                        ; implicit-def: $vgpr0_vgpr1
                                        ; implicit-def: $vgpr2
	s_and_saveexec_b64 s[14:15], s[0:1]
	s_cbranch_execz .LBB256_924
; %bb.907:
	s_mov_b32 s0, 0xf800000
	s_waitcnt vmcnt(0)
	v_mul_f32_e32 v0, 0x4f800000, v3
	v_cmp_gt_f32_e32 vcc, s0, v3
	s_and_b32 s26, s33, 0xff
	s_cmp_lt_i32 s26, 11
	v_cndmask_b32_e32 v0, v3, v0, vcc
	v_sqrt_f32_e32 v1, v0
	s_nop 0
	v_add_u32_e32 v2, -1, v1
	v_fma_f32 v4, -v2, v1, v0
	v_cmp_ge_f32_e64 s[0:1], 0, v4
	v_add_u32_e32 v4, 1, v1
	s_nop 0
	v_cndmask_b32_e64 v2, v1, v2, s[0:1]
	v_fma_f32 v1, -v4, v1, v0
	v_cmp_lt_f32_e64 s[0:1], 0, v1
	s_nop 1
	v_cndmask_b32_e64 v1, v2, v4, s[0:1]
	v_mul_f32_e32 v2, 0x37800000, v1
	v_cndmask_b32_e32 v1, v1, v2, vcc
	v_mov_b32_e32 v2, 0x260
	v_cmp_class_f32_e32 vcc, v0, v2
	s_nop 1
	v_cndmask_b32_e32 v2, v1, v0, vcc
	v_mul_lo_u32 v0, v5, s8
	v_ashrrev_i32_e32 v1, 31, v0
	v_lshl_add_u64 v[0:1], s[4:5], 0, v[0:1]
	s_cbranch_scc1 .LBB256_927
; %bb.908:
	s_and_b32 s27, 0xffff, s26
	s_mov_b64 s[20:21], -1
	s_cmp_gt_i32 s27, 25
	s_mov_b64 s[0:1], s[12:13]
	s_cbranch_scc0 .LBB256_945
; %bb.909:
	s_mov_b64 s[18:19], -1
	s_cmp_gt_i32 s27, 28
	s_mov_b64 s[0:1], s[12:13]
	s_cbranch_scc0 .LBB256_929
; %bb.910:
	s_cmp_gt_i32 s27, 43
	s_mov_b64 s[0:1], s[12:13]
	s_cbranch_scc0 .LBB256_921
; %bb.911:
	;; [unrolled: 4-line block ×3, first 2 shown]
	s_cmp_eq_u32 s27, 46
	s_mov_b64 s[0:1], -1
	s_cbranch_scc0 .LBB256_914
; %bb.913:
	v_bfe_u32 v4, v2, 16, 1
	s_movk_i32 s0, 0x7fff
	v_add3_u32 v4, v2, v4, s0
	v_cmp_le_f32_e32 vcc, 0, v3
	v_mov_b32_e32 v5, 0x7fc0
	s_mov_b64 s[0:1], 0
	v_cndmask_b32_sdwa v4, v5, v4, vcc dst_sel:DWORD dst_unused:UNUSED_PAD src0_sel:DWORD src1_sel:WORD_1
	global_store_dword v[0:1], v4, off
.LBB256_914:
	s_mov_b64 s[18:19], 0
.LBB256_915:
	s_and_b64 vcc, exec, s[18:19]
	s_cbranch_vccz .LBB256_920
; %bb.916:
	s_cmp_eq_u32 s27, 44
	s_mov_b64 s[0:1], -1
	s_cbranch_scc0 .LBB256_920
; %bb.917:
	v_bfe_u32 v4, v2, 23, 8
	s_movk_i32 s0, 0xff
	v_cmp_ne_u32_e32 vcc, s0, v4
	v_mov_b32_e32 v5, 0xff
	s_and_saveexec_b64 s[18:19], vcc
; %bb.918:
	s_mov_b32 s0, 0x3fffff
	v_and_b32_e32 v6, 0x400000, v2
	v_and_or_b32 v4, v2, s0, v4
	v_cmp_ne_u32_e32 vcc, 0, v6
	v_cmp_ne_u32_e64 s[0:1], 0, v4
	s_and_b64 s[0:1], vcc, s[0:1]
	v_lshrrev_b32_e32 v5, 23, v2
	v_cndmask_b32_e64 v4, 0, 1, s[0:1]
	v_add_u32_e32 v5, v5, v4
; %bb.919:
	s_or_b64 exec, exec, s[18:19]
	s_mov_b64 s[0:1], 0
	global_store_byte v[0:1], v5, off
.LBB256_920:
	s_mov_b64 s[18:19], 0
.LBB256_921:
	s_and_b64 vcc, exec, s[18:19]
	s_cbranch_vccz .LBB256_928
; %bb.922:
	s_cmp_eq_u32 s27, 29
	s_mov_b64 s[0:1], -1
	s_cbranch_scc0 .LBB256_928
; %bb.923:
	v_trunc_f32_e32 v4, v2
	v_mul_f32_e32 v5, 0x2f800000, v4
	v_floor_f32_e32 v6, v5
	v_fmamk_f32 v4, v6, 0xcf800000, v4
	v_cvt_u32_f32_e32 v5, v6
	v_cvt_u32_f32_e32 v4, v4
	s_mov_b64 s[0:1], 0
	s_mov_b64 s[18:19], 0
	global_store_dwordx2 v[0:1], v[4:5], off
	s_branch .LBB256_929
.LBB256_924:
	s_or_b64 exec, exec, s[14:15]
	s_and_saveexec_b64 s[0:1], s[12:13]
	s_cbranch_execnz .LBB256_987
.LBB256_925:
	s_or_b64 exec, exec, s[0:1]
	s_and_saveexec_b64 s[0:1], s[20:21]
	s_xor_b64 s[0:1], exec, s[0:1]
	s_cbranch_execz .LBB256_988
.LBB256_926:
	s_waitcnt vmcnt(0)
	v_cmp_neq_f32_e32 vcc, 0, v3
	s_nop 1
	v_cndmask_b32_e64 v3, 0, 1, vcc
	global_store_byte v[0:1], v3, off
	s_or_b64 exec, exec, s[0:1]
	s_and_saveexec_b64 s[0:1], s[18:19]
	s_xor_b64 s[0:1], exec, s[0:1]
	s_cbranch_execz .LBB256_1026
	s_branch .LBB256_989
.LBB256_927:
	s_mov_b64 s[18:19], -1
	s_mov_b64 s[0:1], s[12:13]
	s_branch .LBB256_986
.LBB256_928:
	s_mov_b64 s[18:19], 0
.LBB256_929:
	s_and_b64 vcc, exec, s[18:19]
	s_cbranch_vccz .LBB256_944
; %bb.930:
	s_cmp_lt_i32 s27, 27
	s_mov_b64 s[18:19], -1
	s_cbranch_scc1 .LBB256_936
; %bb.931:
	v_cvt_u32_f32_e32 v4, v2
	s_cmp_gt_i32 s27, 27
	s_cbranch_scc0 .LBB256_933
; %bb.932:
	s_mov_b64 s[18:19], 0
	global_store_dword v[0:1], v4, off
.LBB256_933:
	s_andn2_b64 vcc, exec, s[18:19]
	s_cbranch_vccnz .LBB256_935
; %bb.934:
	global_store_short v[0:1], v4, off
.LBB256_935:
	s_mov_b64 s[18:19], 0
.LBB256_936:
	s_andn2_b64 vcc, exec, s[18:19]
	s_cbranch_vccnz .LBB256_944
; %bb.937:
	v_and_b32_e32 v4, 0x7fffffff, v2
	s_mov_b32 s18, 0x43800000
	v_cmp_gt_u32_e32 vcc, s18, v4
	v_mov_b32_e32 v5, 0x80
	s_and_saveexec_b64 s[18:19], vcc
	s_cbranch_execz .LBB256_943
; %bb.938:
	s_mov_b32 s20, 0x3bffffff
	v_cmp_lt_u32_e32 vcc, s20, v4
	s_mov_b64 s[20:21], 0
                                        ; implicit-def: $vgpr4
	s_and_saveexec_b64 s[22:23], vcc
	s_xor_b64 s[22:23], exec, s[22:23]
	s_cbranch_execz .LBB256_1041
; %bb.939:
	v_bfe_u32 v4, v2, 20, 1
	s_mov_b32 s24, 0x487ffff
	v_add3_u32 v4, v2, v4, s24
	s_mov_b64 s[20:21], exec
	v_lshrrev_b32_e32 v4, 20, v4
	s_andn2_saveexec_b64 s[22:23], s[22:23]
	s_cbranch_execnz .LBB256_1042
.LBB256_940:
	s_or_b64 exec, exec, s[22:23]
	v_mov_b32_e32 v5, 0
	s_and_saveexec_b64 s[22:23], s[20:21]
.LBB256_941:
	v_lshrrev_b32_e32 v5, 24, v2
	s_movk_i32 s20, 0x80
	v_and_or_b32 v5, v5, s20, v4
.LBB256_942:
	s_or_b64 exec, exec, s[22:23]
.LBB256_943:
	s_or_b64 exec, exec, s[18:19]
	global_store_byte v[0:1], v5, off
.LBB256_944:
	s_mov_b64 s[20:21], 0
.LBB256_945:
	s_mov_b64 s[18:19], 0
	s_and_b64 vcc, exec, s[20:21]
	s_cbranch_vccz .LBB256_985
; %bb.946:
	s_cmp_gt_i32 s27, 22
	s_mov_b64 s[20:21], -1
	s_cbranch_scc0 .LBB256_978
; %bb.947:
	s_cmp_lt_i32 s27, 24
	s_cbranch_scc1 .LBB256_967
; %bb.948:
	s_cmp_gt_i32 s27, 24
	s_cbranch_scc0 .LBB256_956
; %bb.949:
	v_and_b32_e32 v4, 0x7fffffff, v2
	s_mov_b32 s20, 0x47800000
	v_cmp_gt_u32_e32 vcc, s20, v4
	v_mov_b32_e32 v5, 0x80
	s_and_saveexec_b64 s[20:21], vcc
	s_cbranch_execz .LBB256_955
; %bb.950:
	s_mov_b32 s22, 0x37ffffff
	v_cmp_lt_u32_e32 vcc, s22, v4
	s_mov_b64 s[22:23], 0
                                        ; implicit-def: $vgpr4
	s_and_saveexec_b64 s[24:25], vcc
	s_xor_b64 s[24:25], exec, s[24:25]
	s_cbranch_execz .LBB256_1166
; %bb.951:
	v_bfe_u32 v4, v2, 21, 1
	s_mov_b32 s28, 0x88fffff
	v_add3_u32 v4, v2, v4, s28
	s_mov_b64 s[22:23], exec
	v_lshrrev_b32_e32 v4, 21, v4
	s_andn2_saveexec_b64 s[24:25], s[24:25]
	s_cbranch_execnz .LBB256_1167
.LBB256_952:
	s_or_b64 exec, exec, s[24:25]
	v_mov_b32_e32 v5, 0
	s_and_saveexec_b64 s[24:25], s[22:23]
.LBB256_953:
	v_lshrrev_b32_e32 v5, 24, v2
	s_movk_i32 s22, 0x80
	v_and_or_b32 v5, v5, s22, v4
.LBB256_954:
	s_or_b64 exec, exec, s[24:25]
.LBB256_955:
	s_or_b64 exec, exec, s[20:21]
	s_mov_b64 s[20:21], 0
	global_store_byte v[0:1], v5, off
.LBB256_956:
	s_and_b64 vcc, exec, s[20:21]
	s_cbranch_vccz .LBB256_966
; %bb.957:
	v_and_b32_e32 v5, 0x7fffffff, v2
	s_mov_b32 s20, 0x43f00000
	v_cmp_gt_u32_e32 vcc, s20, v5
                                        ; implicit-def: $vgpr4
	s_and_saveexec_b64 s[20:21], vcc
	s_xor_b64 s[20:21], exec, s[20:21]
	s_cbranch_execz .LBB256_963
; %bb.958:
	s_mov_b32 s22, 0x3c7fffff
	v_cmp_lt_u32_e32 vcc, s22, v5
                                        ; implicit-def: $vgpr4
	s_and_saveexec_b64 s[22:23], vcc
	s_xor_b64 s[22:23], exec, s[22:23]
; %bb.959:
	v_bfe_u32 v4, v2, 20, 1
	s_mov_b32 s24, 0x407ffff
	v_add3_u32 v4, v2, v4, s24
	v_lshrrev_b32_e32 v5, 20, v4
	v_and_b32_e32 v4, 0xff00000, v4
	s_mov_b32 s24, 0x7f00000
	v_mov_b32_e32 v6, 0x7e
	v_cmp_ne_u32_e32 vcc, s24, v4
	s_nop 1
	v_cndmask_b32_e32 v4, v6, v5, vcc
; %bb.960:
	s_andn2_saveexec_b64 s[22:23], s[22:23]
; %bb.961:
	s_mov_b32 s24, 0x46800000
	v_add_f32_e64 v4, |v2|, s24
; %bb.962:
	s_or_b64 exec, exec, s[22:23]
                                        ; implicit-def: $vgpr5
.LBB256_963:
	s_andn2_saveexec_b64 s[20:21], s[20:21]
; %bb.964:
	s_mov_b32 s22, 0x7f800000
	v_mov_b32_e32 v4, 0x7e
	v_mov_b32_e32 v6, 0x7f
	v_cmp_lt_u32_e32 vcc, s22, v5
	s_nop 1
	v_cndmask_b32_e32 v4, v4, v6, vcc
; %bb.965:
	s_or_b64 exec, exec, s[20:21]
	v_lshrrev_b32_e32 v5, 24, v2
	s_movk_i32 s20, 0x80
	v_and_or_b32 v4, v5, s20, v4
	global_store_byte v[0:1], v4, off
.LBB256_966:
	s_mov_b64 s[20:21], 0
.LBB256_967:
	s_andn2_b64 vcc, exec, s[20:21]
	s_cbranch_vccnz .LBB256_977
; %bb.968:
	v_and_b32_e32 v5, 0x7fffffff, v2
	s_mov_b32 s20, 0x47800000
	v_cmp_gt_u32_e32 vcc, s20, v5
                                        ; implicit-def: $vgpr4
	s_and_saveexec_b64 s[20:21], vcc
	s_xor_b64 s[20:21], exec, s[20:21]
	s_cbranch_execz .LBB256_974
; %bb.969:
	s_mov_b32 s22, 0x387fffff
	v_cmp_lt_u32_e32 vcc, s22, v5
                                        ; implicit-def: $vgpr4
	s_and_saveexec_b64 s[22:23], vcc
	s_xor_b64 s[22:23], exec, s[22:23]
; %bb.970:
	v_bfe_u32 v4, v2, 21, 1
	s_mov_b32 s24, 0x80fffff
	v_add3_u32 v4, v2, v4, s24
	v_lshrrev_b32_e32 v4, 21, v4
; %bb.971:
	s_andn2_saveexec_b64 s[22:23], s[22:23]
; %bb.972:
	s_mov_b32 s24, 0x43000000
	v_add_f32_e64 v4, |v2|, s24
; %bb.973:
	s_or_b64 exec, exec, s[22:23]
                                        ; implicit-def: $vgpr5
.LBB256_974:
	s_andn2_saveexec_b64 s[20:21], s[20:21]
; %bb.975:
	s_mov_b32 s22, 0x7f800000
	v_mov_b32_e32 v4, 0x7c
	v_mov_b32_e32 v6, 0x7f
	v_cmp_lt_u32_e32 vcc, s22, v5
	s_nop 1
	v_cndmask_b32_e32 v4, v4, v6, vcc
; %bb.976:
	s_or_b64 exec, exec, s[20:21]
	v_lshrrev_b32_e32 v5, 24, v2
	s_movk_i32 s20, 0x80
	v_and_or_b32 v4, v5, s20, v4
	global_store_byte v[0:1], v4, off
.LBB256_977:
	s_mov_b64 s[20:21], 0
.LBB256_978:
	s_andn2_b64 vcc, exec, s[20:21]
	s_mov_b64 s[20:21], 0
	s_cbranch_vccnz .LBB256_986
; %bb.979:
	s_cmp_gt_i32 s27, 14
	s_mov_b64 s[22:23], -1
	s_cbranch_scc0 .LBB256_983
; %bb.980:
	s_cmp_eq_u32 s27, 15
	s_mov_b64 s[0:1], -1
	s_cbranch_scc0 .LBB256_982
; %bb.981:
	v_bfe_u32 v4, v2, 16, 1
	s_movk_i32 s0, 0x7fff
	v_add3_u32 v4, v2, v4, s0
	v_cmp_le_f32_e32 vcc, 0, v3
	v_mov_b32_e32 v5, 0x7fc0
	s_mov_b64 s[0:1], 0
	v_cndmask_b32_sdwa v4, v5, v4, vcc dst_sel:DWORD dst_unused:UNUSED_PAD src0_sel:DWORD src1_sel:WORD_1
	global_store_short v[0:1], v4, off
.LBB256_982:
	s_mov_b64 s[22:23], 0
.LBB256_983:
	s_and_b64 vcc, exec, s[22:23]
	s_cbranch_vccz .LBB256_986
; %bb.984:
	s_cmp_lg_u32 s27, 11
	s_cselect_b64 s[22:23], -1, 0
	s_andn2_b64 s[0:1], s[0:1], exec
	s_and_b64 s[22:23], s[22:23], exec
	s_mov_b64 s[20:21], -1
	s_or_b64 s[0:1], s[0:1], s[22:23]
	s_branch .LBB256_986
.LBB256_985:
	s_mov_b64 s[20:21], 0
.LBB256_986:
	s_andn2_b64 s[12:13], s[12:13], exec
	s_and_b64 s[0:1], s[0:1], exec
	s_and_b64 s[18:19], s[18:19], exec
	;; [unrolled: 1-line block ×3, first 2 shown]
	s_or_b64 s[12:13], s[12:13], s[0:1]
	s_or_b64 exec, exec, s[14:15]
	s_and_saveexec_b64 s[0:1], s[12:13]
	s_cbranch_execz .LBB256_925
.LBB256_987:
	s_or_b64 s[16:17], s[16:17], exec
	s_andn2_b64 s[20:21], s[20:21], exec
	s_trap 2
	s_or_b64 exec, exec, s[0:1]
	s_and_saveexec_b64 s[0:1], s[20:21]
	s_xor_b64 s[0:1], exec, s[0:1]
	s_cbranch_execnz .LBB256_926
.LBB256_988:
	s_or_b64 exec, exec, s[0:1]
	s_and_saveexec_b64 s[0:1], s[18:19]
	s_xor_b64 s[0:1], exec, s[0:1]
	s_cbranch_execz .LBB256_1026
.LBB256_989:
	s_sext_i32_i16 s14, s26
	s_cmp_lt_i32 s14, 5
	s_mov_b64 s[12:13], -1
	s_cbranch_scc1 .LBB256_1010
; %bb.990:
	s_cmp_lt_i32 s14, 8
	s_cbranch_scc1 .LBB256_1000
; %bb.991:
	s_cmp_lt_i32 s14, 9
	s_cbranch_scc1 .LBB256_997
; %bb.992:
	s_cmp_gt_i32 s14, 9
	s_cbranch_scc0 .LBB256_994
; %bb.993:
	v_mov_b32_e32 v6, 0
	v_cvt_f64_f32_e32 v[4:5], v2
	v_mov_b32_e32 v7, v6
	s_mov_b64 s[12:13], 0
	global_store_dwordx4 v[0:1], v[4:7], off
.LBB256_994:
	s_andn2_b64 vcc, exec, s[12:13]
	s_cbranch_vccnz .LBB256_996
; %bb.995:
	s_waitcnt vmcnt(0)
	v_mov_b32_e32 v3, 0
	global_store_dwordx2 v[0:1], v[2:3], off
.LBB256_996:
	s_mov_b64 s[12:13], 0
.LBB256_997:
	s_andn2_b64 vcc, exec, s[12:13]
	s_cbranch_vccnz .LBB256_999
; %bb.998:
	s_waitcnt vmcnt(0)
	v_cvt_f16_f32_e32 v3, v2
	global_store_dword v[0:1], v3, off
.LBB256_999:
	s_mov_b64 s[12:13], 0
.LBB256_1000:
	s_andn2_b64 vcc, exec, s[12:13]
	s_cbranch_vccnz .LBB256_1009
; %bb.1001:
	s_sext_i32_i16 s14, s26
	s_cmp_lt_i32 s14, 6
	s_mov_b64 s[12:13], -1
	s_cbranch_scc1 .LBB256_1007
; %bb.1002:
	s_cmp_gt_i32 s14, 6
	s_cbranch_scc0 .LBB256_1004
; %bb.1003:
	v_cvt_f64_f32_e32 v[4:5], v2
	s_mov_b64 s[12:13], 0
	global_store_dwordx2 v[0:1], v[4:5], off
.LBB256_1004:
	s_andn2_b64 vcc, exec, s[12:13]
	s_cbranch_vccnz .LBB256_1006
; %bb.1005:
	global_store_dword v[0:1], v2, off
.LBB256_1006:
	s_mov_b64 s[12:13], 0
.LBB256_1007:
	s_andn2_b64 vcc, exec, s[12:13]
	s_cbranch_vccnz .LBB256_1009
; %bb.1008:
	s_waitcnt vmcnt(0)
	v_cvt_f16_f32_e32 v3, v2
	global_store_short v[0:1], v3, off
.LBB256_1009:
	s_mov_b64 s[12:13], 0
.LBB256_1010:
	s_andn2_b64 vcc, exec, s[12:13]
	s_cbranch_vccnz .LBB256_1026
; %bb.1011:
	s_sext_i32_i16 s14, s26
	s_cmp_lt_i32 s14, 2
	s_mov_b64 s[12:13], -1
	s_cbranch_scc1 .LBB256_1021
; %bb.1012:
	s_cmp_lt_i32 s14, 3
	s_cbranch_scc1 .LBB256_1018
; %bb.1013:
	s_cmp_gt_i32 s14, 3
	s_cbranch_scc0 .LBB256_1015
; %bb.1014:
	s_waitcnt vmcnt(0)
	v_trunc_f32_e32 v3, v2
	s_mov_b32 s12, 0x2f800000
	v_mul_f32_e64 v4, |v3|, s12
	v_floor_f32_e32 v4, v4
	s_mov_b32 s12, 0xcf800000
	v_cvt_u32_f32_e32 v5, v4
	v_fma_f32 v4, v4, s12, |v3|
	v_cvt_u32_f32_e32 v4, v4
	v_ashrrev_i32_e32 v3, 31, v3
	v_xor_b32_e32 v5, v5, v3
	s_mov_b64 s[12:13], 0
	v_xor_b32_e32 v4, v4, v3
	v_sub_co_u32_e32 v4, vcc, v4, v3
	s_nop 1
	v_subb_co_u32_e32 v5, vcc, v5, v3, vcc
	global_store_dwordx2 v[0:1], v[4:5], off
.LBB256_1015:
	s_andn2_b64 vcc, exec, s[12:13]
	s_cbranch_vccnz .LBB256_1017
; %bb.1016:
	s_waitcnt vmcnt(0)
	v_cvt_i32_f32_e32 v3, v2
	global_store_dword v[0:1], v3, off
.LBB256_1017:
	s_mov_b64 s[12:13], 0
.LBB256_1018:
	s_andn2_b64 vcc, exec, s[12:13]
	s_cbranch_vccnz .LBB256_1020
; %bb.1019:
	s_waitcnt vmcnt(0)
	v_cvt_i32_f32_e32 v3, v2
	global_store_short v[0:1], v3, off
.LBB256_1020:
	s_mov_b64 s[12:13], 0
.LBB256_1021:
	s_andn2_b64 vcc, exec, s[12:13]
	s_cbranch_vccnz .LBB256_1026
; %bb.1022:
	s_sext_i32_i16 s12, s26
	s_cmp_gt_i32 s12, 0
	s_mov_b64 s[12:13], -1
	s_cbranch_scc0 .LBB256_1024
; %bb.1023:
	s_waitcnt vmcnt(0)
	v_cvt_i32_f32_e32 v3, v2
	s_mov_b64 s[12:13], 0
	global_store_byte v[0:1], v3, off
.LBB256_1024:
	s_andn2_b64 vcc, exec, s[12:13]
	s_cbranch_vccnz .LBB256_1026
; %bb.1025:
	v_trunc_f32_e32 v2, v2
	s_mov_b32 s12, 0x2f800000
	s_waitcnt vmcnt(0)
	v_mul_f32_e64 v3, |v2|, s12
	v_floor_f32_e32 v3, v3
	s_mov_b32 s12, 0xcf800000
	v_fma_f32 v3, v3, s12, |v2|
	v_cvt_u32_f32_e32 v3, v3
	v_ashrrev_i32_e32 v2, 31, v2
	v_xor_b32_e32 v3, v3, v2
	v_sub_u32_e32 v2, v3, v2
	global_store_byte v[0:1], v2, off
.LBB256_1026:
	s_or_b64 exec, exec, s[0:1]
	s_and_b64 s[12:13], s[16:17], exec
                                        ; implicit-def: $vgpr5
.LBB256_1027:
	s_or_saveexec_b64 s[2:3], s[2:3]
	s_mov_b64 s[0:1], 0
                                        ; implicit-def: $sgpr20
                                        ; implicit-def: $vgpr0_vgpr1
                                        ; implicit-def: $vgpr2
                                        ; implicit-def: $vgpr6
	s_xor_b64 exec, exec, s[2:3]
	s_cbranch_execz .LBB256_1425
; %bb.1028:
	v_mul_lo_u32 v0, s9, v5
	v_ashrrev_i32_e32 v1, 31, v0
	s_and_b32 s22, 0xffff, s42
	s_cmp_lt_i32 s22, 11
	s_waitcnt vmcnt(0)
	v_lshl_add_u64 v[2:3], s[6:7], 0, v[0:1]
	s_cbranch_scc1 .LBB256_1035
; %bb.1029:
	s_cmp_gt_i32 s22, 25
	s_cbranch_scc0 .LBB256_1037
; %bb.1030:
	s_cmp_gt_i32 s22, 28
	s_cbranch_scc0 .LBB256_1038
	;; [unrolled: 3-line block ×4, first 2 shown]
; %bb.1033:
	s_cmp_eq_u32 s22, 46
	s_mov_b64 s[14:15], 0
	s_cbranch_scc0 .LBB256_1043
; %bb.1034:
	global_load_dword v1, v[2:3], off
	s_mov_b64 s[16:17], -1
	s_waitcnt vmcnt(0)
	v_lshlrev_b32_e32 v9, 16, v1
	s_branch .LBB256_1044
.LBB256_1035:
	s_mov_b64 s[16:17], 0
                                        ; implicit-def: $vgpr9
	s_mov_b64 s[14:15], s[12:13]
	s_cbranch_execnz .LBB256_1107
.LBB256_1036:
	s_andn2_b64 vcc, exec, s[16:17]
	s_cbranch_vccz .LBB256_1152
	s_branch .LBB256_1422
.LBB256_1037:
	s_mov_b64 s[16:17], 0
                                        ; implicit-def: $vgpr9
	s_cbranch_execnz .LBB256_1072
	s_branch .LBB256_1103
.LBB256_1038:
	s_mov_b64 s[14:15], -1
	s_mov_b64 s[16:17], 0
                                        ; implicit-def: $vgpr9
	s_branch .LBB256_1053
.LBB256_1039:
	s_mov_b64 s[16:17], 0
                                        ; implicit-def: $vgpr9
	s_cbranch_execnz .LBB256_1049
	s_branch .LBB256_1052
.LBB256_1040:
	s_mov_b64 s[14:15], -1
	s_mov_b64 s[16:17], 0
                                        ; implicit-def: $vgpr9
	s_branch .LBB256_1044
.LBB256_1041:
	s_andn2_saveexec_b64 s[22:23], s[22:23]
	s_cbranch_execz .LBB256_940
.LBB256_1042:
	s_mov_b32 s24, 0x46000000
	v_add_f32_e64 v4, |v2|, s24
	v_and_b32_e32 v4, 0xff, v4
	v_cmp_ne_u32_e32 vcc, 0, v4
	s_andn2_b64 s[20:21], s[20:21], exec
	s_and_b64 s[24:25], vcc, exec
	s_or_b64 s[20:21], s[20:21], s[24:25]
	s_or_b64 exec, exec, s[22:23]
	v_mov_b32_e32 v5, 0
	s_and_saveexec_b64 s[22:23], s[20:21]
	s_cbranch_execnz .LBB256_941
	s_branch .LBB256_942
.LBB256_1043:
	s_mov_b64 s[0:1], -1
                                        ; implicit-def: $vgpr9
	s_mov_b64 s[16:17], 0
.LBB256_1044:
	s_and_b64 vcc, exec, s[14:15]
	s_cbranch_vccz .LBB256_1047
; %bb.1045:
	s_cmp_eq_u32 s22, 44
	s_cbranch_scc0 .LBB256_1048
; %bb.1046:
	global_load_ubyte v1, v[2:3], off
	s_movk_i32 s14, 0xff
	v_mov_b32_e32 v4, 0x7f800001
	v_mov_b32_e32 v6, 0x400000
	s_mov_b64 s[0:1], 0
	s_mov_b64 s[16:17], -1
	s_waitcnt vmcnt(0)
	v_lshlrev_b32_e32 v7, 23, v1
	v_cmp_ne_u32_e32 vcc, s14, v1
	s_nop 1
	v_cndmask_b32_e32 v4, v4, v7, vcc
	v_cmp_ne_u32_e32 vcc, 0, v1
	s_nop 1
	v_cndmask_b32_e32 v9, v6, v4, vcc
.LBB256_1047:
	s_branch .LBB256_1052
.LBB256_1048:
	s_mov_b64 s[0:1], -1
                                        ; implicit-def: $vgpr9
	s_branch .LBB256_1052
.LBB256_1049:
	s_cmp_eq_u32 s22, 29
	s_cbranch_scc0 .LBB256_1051
; %bb.1050:
	global_load_dwordx2 v[6:7], v[2:3], off
	s_mov_b64 s[0:1], 0
	s_mov_b64 s[16:17], -1
	s_mov_b64 s[14:15], 0
	s_waitcnt vmcnt(0)
	v_ffbh_u32_e32 v1, v7
	v_min_u32_e32 v1, 32, v1
	v_lshlrev_b64 v[6:7], v1, v[6:7]
	v_min_u32_e32 v4, 1, v6
	v_or_b32_e32 v4, v7, v4
	v_cvt_f32_u32_e32 v4, v4
	v_sub_u32_e32 v1, 32, v1
	v_ldexp_f32 v9, v4, v1
	s_branch .LBB256_1053
.LBB256_1051:
	s_mov_b64 s[0:1], -1
                                        ; implicit-def: $vgpr9
.LBB256_1052:
	s_mov_b64 s[14:15], 0
.LBB256_1053:
	s_and_b64 vcc, exec, s[14:15]
	s_cbranch_vccz .LBB256_1071
; %bb.1054:
	s_cmp_lt_i32 s22, 27
	s_cbranch_scc1 .LBB256_1057
; %bb.1055:
	s_cmp_gt_i32 s22, 27
	s_cbranch_scc0 .LBB256_1058
; %bb.1056:
	global_load_dword v1, v[2:3], off
	s_mov_b64 s[14:15], 0
	s_waitcnt vmcnt(0)
	v_cvt_f32_u32_e32 v9, v1
	s_branch .LBB256_1059
.LBB256_1057:
	s_mov_b64 s[14:15], -1
                                        ; implicit-def: $vgpr9
	s_branch .LBB256_1062
.LBB256_1058:
	s_mov_b64 s[14:15], -1
                                        ; implicit-def: $vgpr9
.LBB256_1059:
	s_andn2_b64 vcc, exec, s[14:15]
	s_cbranch_vccnz .LBB256_1061
; %bb.1060:
	global_load_ushort v1, v[2:3], off
	s_waitcnt vmcnt(0)
	v_cvt_f32_u32_e32 v9, v1
.LBB256_1061:
	s_mov_b64 s[14:15], 0
.LBB256_1062:
	s_andn2_b64 vcc, exec, s[14:15]
	s_cbranch_vccnz .LBB256_1070
; %bb.1063:
	global_load_ubyte v1, v[2:3], off
	s_movk_i32 s14, 0x7f
	s_waitcnt vmcnt(0)
	v_cmp_lt_i16_e32 vcc, s14, v1
	s_mov_b64 s[14:15], 0
	s_and_saveexec_b64 s[16:17], vcc
	s_xor_b64 s[16:17], exec, s[16:17]
	s_cbranch_execz .LBB256_1083
; %bb.1064:
	s_movk_i32 s14, 0x80
	v_cmp_eq_u16_e32 vcc, s14, v1
	s_mov_b64 s[14:15], -1
	s_and_saveexec_b64 s[18:19], vcc
; %bb.1065:
	s_xor_b64 s[14:15], exec, -1
; %bb.1066:
	s_or_b64 exec, exec, s[18:19]
	s_and_b64 s[14:15], s[14:15], exec
	s_or_saveexec_b64 s[16:17], s[16:17]
	v_mov_b32_e32 v9, 0x7f800001
	s_xor_b64 exec, exec, s[16:17]
	s_cbranch_execnz .LBB256_1084
.LBB256_1067:
	s_or_b64 exec, exec, s[16:17]
	s_and_saveexec_b64 s[16:17], s[14:15]
	s_cbranch_execz .LBB256_1069
.LBB256_1068:
	v_lshlrev_b32_e32 v4, 24, v1
	v_and_b32_e32 v1, 0xffff, v1
	v_and_b32_e32 v6, 7, v1
	v_ffbh_u32_e32 v8, v6
	v_min_u32_e32 v8, 32, v8
	v_subrev_u32_e32 v9, 28, v8
	v_bfe_u32 v7, v1, 3, 4
	v_lshlrev_b32_e32 v1, v9, v1
	v_sub_u32_e32 v8, 29, v8
	v_and_b32_e32 v1, 7, v1
	v_cmp_eq_u32_e32 vcc, 0, v7
	v_and_b32_e32 v4, 0x80000000, v4
	s_nop 0
	v_cndmask_b32_e32 v7, v7, v8, vcc
	v_cndmask_b32_e32 v1, v6, v1, vcc
	v_mov_b32_e32 v6, 0x3b800000
	v_lshlrev_b32_e32 v1, 20, v1
	v_lshl_add_u32 v6, v7, 23, v6
	v_or3_b32 v9, v4, v6, v1
.LBB256_1069:
	s_or_b64 exec, exec, s[16:17]
.LBB256_1070:
	s_mov_b64 s[16:17], -1
.LBB256_1071:
	s_branch .LBB256_1103
.LBB256_1072:
	s_cmp_gt_i32 s22, 22
	s_cbranch_scc0 .LBB256_1082
; %bb.1073:
	s_cmp_lt_i32 s22, 24
	s_cbranch_scc1 .LBB256_1085
; %bb.1074:
	s_cmp_gt_i32 s22, 24
	s_cbranch_scc0 .LBB256_1086
; %bb.1075:
	global_load_ubyte v1, v[2:3], off
	s_movk_i32 s10, 0x7f
	s_waitcnt vmcnt(0)
	v_cmp_lt_i16_e32 vcc, s10, v1
	s_mov_b64 s[10:11], 0
	s_and_saveexec_b64 s[14:15], vcc
	s_xor_b64 s[14:15], exec, s[14:15]
	s_cbranch_execz .LBB256_1097
; %bb.1076:
	s_movk_i32 s10, 0x80
	v_cmp_eq_u16_e32 vcc, s10, v1
	s_mov_b64 s[10:11], -1
	s_and_saveexec_b64 s[16:17], vcc
; %bb.1077:
	s_xor_b64 s[10:11], exec, -1
; %bb.1078:
	s_or_b64 exec, exec, s[16:17]
	s_and_b64 s[10:11], s[10:11], exec
	s_or_saveexec_b64 s[14:15], s[14:15]
	v_mov_b32_e32 v9, 0x7f800001
	s_xor_b64 exec, exec, s[14:15]
	s_cbranch_execnz .LBB256_1098
.LBB256_1079:
	s_or_b64 exec, exec, s[14:15]
	s_and_saveexec_b64 s[14:15], s[10:11]
	s_cbranch_execz .LBB256_1081
.LBB256_1080:
	v_lshlrev_b32_e32 v4, 24, v1
	v_and_b32_e32 v1, 0xffff, v1
	v_and_b32_e32 v6, 3, v1
	v_ffbh_u32_e32 v8, v6
	v_min_u32_e32 v8, 32, v8
	v_subrev_u32_e32 v9, 29, v8
	v_bfe_u32 v7, v1, 2, 5
	v_lshlrev_b32_e32 v1, v9, v1
	v_sub_u32_e32 v8, 30, v8
	v_and_b32_e32 v1, 3, v1
	v_cmp_eq_u32_e32 vcc, 0, v7
	v_and_b32_e32 v4, 0x80000000, v4
	s_nop 0
	v_cndmask_b32_e32 v7, v7, v8, vcc
	v_cndmask_b32_e32 v1, v6, v1, vcc
	v_mov_b32_e32 v6, 0x37800000
	v_lshlrev_b32_e32 v1, 21, v1
	v_lshl_add_u32 v6, v7, 23, v6
	v_or3_b32 v9, v4, v6, v1
.LBB256_1081:
	s_or_b64 exec, exec, s[14:15]
	s_mov_b64 s[10:11], 0
	s_branch .LBB256_1087
.LBB256_1082:
                                        ; implicit-def: $vgpr9
	s_mov_b64 s[10:11], 0
	s_branch .LBB256_1093
.LBB256_1083:
	s_or_saveexec_b64 s[16:17], s[16:17]
	v_mov_b32_e32 v9, 0x7f800001
	s_xor_b64 exec, exec, s[16:17]
	s_cbranch_execz .LBB256_1067
.LBB256_1084:
	v_cmp_ne_u16_e32 vcc, 0, v1
	s_andn2_b64 s[14:15], s[14:15], exec
	s_and_b64 s[18:19], vcc, exec
	v_mov_b32_e32 v9, 0
	s_or_b64 s[14:15], s[14:15], s[18:19]
	s_or_b64 exec, exec, s[16:17]
	s_and_saveexec_b64 s[16:17], s[14:15]
	s_cbranch_execnz .LBB256_1068
	s_branch .LBB256_1069
.LBB256_1085:
	s_mov_b64 s[10:11], -1
                                        ; implicit-def: $vgpr9
	s_branch .LBB256_1090
.LBB256_1086:
	s_mov_b64 s[10:11], -1
                                        ; implicit-def: $vgpr9
.LBB256_1087:
	s_and_b64 vcc, exec, s[10:11]
	s_cbranch_vccz .LBB256_1089
; %bb.1088:
	global_load_ubyte v1, v[2:3], off
	s_mov_b32 s10, 0x7f800000
	s_waitcnt vmcnt(0)
	v_lshlrev_b32_e32 v1, 24, v1
	v_and_b32_e32 v4, 0x7f000000, v1
	v_ffbh_u32_e32 v6, v4
	v_min_u32_e32 v6, 32, v6
	v_sub_u32_e64 v6, v6, 4 clamp
	v_lshlrev_b32_e32 v8, v6, v4
	v_lshlrev_b32_e32 v6, 23, v6
	v_lshrrev_b32_e32 v8, 4, v8
	v_add_u32_e32 v7, 0x1000000, v4
	v_sub_u32_e32 v6, v8, v6
	v_ashrrev_i32_e32 v7, 8, v7
	v_add_u32_e32 v6, 0x3c000000, v6
	v_and_or_b32 v6, v7, s10, v6
	v_cmp_ne_u32_e32 vcc, 0, v4
	s_brev_b32 s10, 1
	s_nop 0
	v_cndmask_b32_e32 v4, 0, v6, vcc
	v_and_or_b32 v9, v1, s10, v4
.LBB256_1089:
	s_mov_b64 s[10:11], 0
.LBB256_1090:
	s_andn2_b64 vcc, exec, s[10:11]
	s_cbranch_vccnz .LBB256_1092
; %bb.1091:
	global_load_ubyte v1, v[2:3], off
	s_movk_i32 s10, 0x7f00
	s_brev_b32 s11, 16
	s_waitcnt vmcnt(0)
	v_lshlrev_b16_e32 v4, 8, v1
	v_lshlrev_b32_e32 v1, 25, v1
	v_lshrrev_b32_e32 v6, 4, v1
	v_and_or_b32 v7, v4, s10, 0.5
	v_or_b32_e32 v6, 0x70000000, v6
	v_add_f32_e32 v7, -0.5, v7
	v_mul_f32_e32 v6, 0x7800000, v6
	v_cmp_gt_u32_e32 vcc, s11, v1
	v_bfe_i32 v4, v4, 0, 16
	s_brev_b32 s10, 1
	v_cndmask_b32_e32 v1, v6, v7, vcc
	v_and_or_b32 v9, v4, s10, v1
.LBB256_1092:
	s_mov_b64 s[16:17], -1
	s_mov_b64 s[10:11], 0
	s_cbranch_execnz .LBB256_1103
.LBB256_1093:
	s_cmp_gt_i32 s22, 14
	s_cbranch_scc0 .LBB256_1096
; %bb.1094:
	s_cmp_eq_u32 s22, 15
	s_cbranch_scc0 .LBB256_1099
; %bb.1095:
	global_load_ushort v1, v[2:3], off
	s_mov_b64 s[0:1], 0
	s_mov_b64 s[16:17], -1
	s_waitcnt vmcnt(0)
	v_lshlrev_b32_e32 v9, 16, v1
	s_branch .LBB256_1100
.LBB256_1096:
	s_mov_b64 s[14:15], -1
                                        ; implicit-def: $vgpr9
	s_branch .LBB256_1101
.LBB256_1097:
	s_or_saveexec_b64 s[14:15], s[14:15]
	v_mov_b32_e32 v9, 0x7f800001
	s_xor_b64 exec, exec, s[14:15]
	s_cbranch_execz .LBB256_1079
.LBB256_1098:
	v_cmp_ne_u16_e32 vcc, 0, v1
	s_andn2_b64 s[10:11], s[10:11], exec
	s_and_b64 s[16:17], vcc, exec
	v_mov_b32_e32 v9, 0
	s_or_b64 s[10:11], s[10:11], s[16:17]
	s_or_b64 exec, exec, s[14:15]
	s_and_saveexec_b64 s[14:15], s[10:11]
	s_cbranch_execnz .LBB256_1080
	s_branch .LBB256_1081
.LBB256_1099:
	s_mov_b64 s[0:1], -1
                                        ; implicit-def: $vgpr9
.LBB256_1100:
	s_mov_b64 s[14:15], 0
.LBB256_1101:
	s_and_b64 vcc, exec, s[14:15]
	s_cbranch_vccz .LBB256_1103
; %bb.1102:
	s_cmp_lg_u32 s22, 11
	s_mov_b64 s[10:11], -1
	s_cselect_b64 s[0:1], -1, 0
.LBB256_1103:
	s_and_b64 vcc, exec, s[0:1]
	s_mov_b64 s[14:15], s[12:13]
	s_cbranch_vccnz .LBB256_1164
; %bb.1104:
	s_andn2_b64 vcc, exec, s[10:11]
	s_cbranch_vccnz .LBB256_1106
.LBB256_1105:
	global_load_ubyte v1, v[2:3], off
	s_mov_b64 s[16:17], -1
	s_waitcnt vmcnt(0)
	v_cmp_ne_u16_e32 vcc, 0, v1
	s_nop 1
	v_cndmask_b32_e64 v9, 0, 1.0, vcc
.LBB256_1106:
	s_branch .LBB256_1036
.LBB256_1107:
	s_cmp_lt_i32 s22, 5
	s_cbranch_scc1 .LBB256_1112
; %bb.1108:
	s_cmp_lt_i32 s22, 8
	s_cbranch_scc1 .LBB256_1113
; %bb.1109:
	;; [unrolled: 3-line block ×3, first 2 shown]
	s_cmp_gt_i32 s22, 9
	s_cbranch_scc0 .LBB256_1115
; %bb.1111:
	global_load_dwordx2 v[6:7], v[2:3], off
	s_mov_b64 s[0:1], 0
	s_waitcnt vmcnt(0)
	v_cvt_f32_f64_e32 v9, v[6:7]
	s_branch .LBB256_1116
.LBB256_1112:
                                        ; implicit-def: $vgpr9
	s_branch .LBB256_1133
.LBB256_1113:
                                        ; implicit-def: $vgpr9
	s_branch .LBB256_1122
.LBB256_1114:
	s_mov_b64 s[0:1], -1
                                        ; implicit-def: $vgpr9
	s_branch .LBB256_1119
.LBB256_1115:
	s_mov_b64 s[0:1], -1
                                        ; implicit-def: $vgpr9
.LBB256_1116:
	s_andn2_b64 vcc, exec, s[0:1]
	s_cbranch_vccnz .LBB256_1118
; %bb.1117:
	global_load_dword v9, v[2:3], off
.LBB256_1118:
	s_mov_b64 s[0:1], 0
.LBB256_1119:
	s_andn2_b64 vcc, exec, s[0:1]
	s_cbranch_vccnz .LBB256_1121
; %bb.1120:
	global_load_dword v1, v[2:3], off
	s_waitcnt vmcnt(0)
	v_cvt_f32_f16_e32 v9, v1
.LBB256_1121:
	s_cbranch_execnz .LBB256_1132
.LBB256_1122:
	s_cmp_lt_i32 s22, 6
	s_cbranch_scc1 .LBB256_1125
; %bb.1123:
	s_cmp_gt_i32 s22, 6
	s_cbranch_scc0 .LBB256_1126
; %bb.1124:
	global_load_dwordx2 v[6:7], v[2:3], off
	s_mov_b64 s[0:1], 0
	s_waitcnt vmcnt(0)
	v_cvt_f32_f64_e32 v9, v[6:7]
	s_branch .LBB256_1127
.LBB256_1125:
	s_mov_b64 s[0:1], -1
                                        ; implicit-def: $vgpr9
	s_branch .LBB256_1130
.LBB256_1126:
	s_mov_b64 s[0:1], -1
                                        ; implicit-def: $vgpr9
.LBB256_1127:
	s_andn2_b64 vcc, exec, s[0:1]
	s_cbranch_vccnz .LBB256_1129
; %bb.1128:
	global_load_dword v9, v[2:3], off
.LBB256_1129:
	s_mov_b64 s[0:1], 0
.LBB256_1130:
	s_andn2_b64 vcc, exec, s[0:1]
	s_cbranch_vccnz .LBB256_1132
; %bb.1131:
	global_load_ushort v1, v[2:3], off
	s_waitcnt vmcnt(0)
	v_cvt_f32_f16_e32 v9, v1
.LBB256_1132:
	s_cbranch_execnz .LBB256_1151
.LBB256_1133:
	s_cmp_lt_i32 s22, 2
	s_cbranch_scc1 .LBB256_1137
; %bb.1134:
	s_cmp_lt_i32 s22, 3
	s_cbranch_scc1 .LBB256_1138
; %bb.1135:
	s_cmp_gt_i32 s22, 3
	s_cbranch_scc0 .LBB256_1139
; %bb.1136:
	global_load_dwordx2 v[6:7], v[2:3], off
	s_mov_b64 s[0:1], 0
	s_waitcnt vmcnt(0)
	v_xor_b32_e32 v4, v6, v7
	v_ffbh_i32_e32 v1, v7
	v_ashrrev_i32_e32 v4, 31, v4
	v_add_u32_e32 v1, -1, v1
	v_add_u32_e32 v4, 32, v4
	v_min_u32_e32 v1, v1, v4
	v_lshlrev_b64 v[6:7], v1, v[6:7]
	v_min_u32_e32 v4, 1, v6
	v_or_b32_e32 v4, v7, v4
	v_cvt_f32_i32_e32 v4, v4
	v_sub_u32_e32 v1, 32, v1
	v_ldexp_f32 v9, v4, v1
	s_branch .LBB256_1140
.LBB256_1137:
                                        ; implicit-def: $vgpr9
	s_branch .LBB256_1146
.LBB256_1138:
	s_mov_b64 s[0:1], -1
                                        ; implicit-def: $vgpr9
	s_branch .LBB256_1143
.LBB256_1139:
	s_mov_b64 s[0:1], -1
                                        ; implicit-def: $vgpr9
.LBB256_1140:
	s_andn2_b64 vcc, exec, s[0:1]
	s_cbranch_vccnz .LBB256_1142
; %bb.1141:
	global_load_dword v1, v[2:3], off
	s_waitcnt vmcnt(0)
	v_cvt_f32_i32_e32 v9, v1
.LBB256_1142:
	s_mov_b64 s[0:1], 0
.LBB256_1143:
	s_andn2_b64 vcc, exec, s[0:1]
	s_cbranch_vccnz .LBB256_1145
; %bb.1144:
	global_load_sshort v1, v[2:3], off
	s_waitcnt vmcnt(0)
	v_cvt_f32_i32_e32 v9, v1
.LBB256_1145:
	s_cbranch_execnz .LBB256_1151
.LBB256_1146:
	s_cmp_gt_i32 s22, 0
	s_cbranch_scc0 .LBB256_1148
; %bb.1147:
	global_load_sbyte v1, v[2:3], off
	s_mov_b64 s[0:1], 0
	s_waitcnt vmcnt(0)
	v_cvt_f32_i32_e32 v9, v1
	s_branch .LBB256_1149
.LBB256_1148:
	s_mov_b64 s[0:1], -1
                                        ; implicit-def: $vgpr9
.LBB256_1149:
	s_andn2_b64 vcc, exec, s[0:1]
	s_cbranch_vccnz .LBB256_1151
; %bb.1150:
	global_load_ubyte v1, v[2:3], off
	s_waitcnt vmcnt(0)
	v_cvt_f32_ubyte0_e32 v9, v1
.LBB256_1151:
.LBB256_1152:
	s_lshl_b32 s9, s9, 7
	v_add_u32_e32 v0, s9, v0
	v_ashrrev_i32_e32 v1, 31, v0
	s_cmp_lt_i32 s22, 11
	v_lshl_add_u64 v[2:3], s[6:7], 0, v[0:1]
	s_cbranch_scc1 .LBB256_1159
; %bb.1153:
	s_cmp_gt_i32 s22, 25
	s_mov_b64 s[10:11], 0
	s_cbranch_scc0 .LBB256_1161
; %bb.1154:
	s_cmp_gt_i32 s22, 28
	s_cbranch_scc0 .LBB256_1162
; %bb.1155:
	s_cmp_gt_i32 s22, 43
	;; [unrolled: 3-line block ×3, first 2 shown]
	s_cbranch_scc0 .LBB256_1165
; %bb.1157:
	s_cmp_eq_u32 s22, 46
	s_mov_b64 s[18:19], 0
	s_cbranch_scc0 .LBB256_1168
; %bb.1158:
	global_load_dword v1, v[2:3], off
	s_mov_b64 s[0:1], 0
	s_mov_b64 s[16:17], -1
	s_waitcnt vmcnt(0)
	v_lshlrev_b32_e32 v8, 16, v1
	s_branch .LBB256_1169
.LBB256_1159:
	s_mov_b64 s[16:17], 0
                                        ; implicit-def: $vgpr8
	s_cbranch_execnz .LBB256_1234
.LBB256_1160:
	s_andn2_b64 vcc, exec, s[16:17]
	s_cbranch_vccz .LBB256_1281
	s_branch .LBB256_1422
.LBB256_1161:
	s_mov_b64 s[16:17], 0
	s_mov_b64 s[0:1], 0
                                        ; implicit-def: $vgpr8
	s_cbranch_execnz .LBB256_1198
	s_branch .LBB256_1230
.LBB256_1162:
	s_mov_b64 s[18:19], -1
	s_mov_b64 s[16:17], 0
	s_mov_b64 s[0:1], 0
                                        ; implicit-def: $vgpr8
	s_branch .LBB256_1179
.LBB256_1163:
	s_mov_b64 s[18:19], -1
	s_mov_b64 s[16:17], 0
	s_mov_b64 s[0:1], 0
                                        ; implicit-def: $vgpr8
	s_branch .LBB256_1174
.LBB256_1164:
	s_or_b64 s[14:15], s[12:13], exec
	s_trap 2
	s_cbranch_execz .LBB256_1105
	s_branch .LBB256_1106
.LBB256_1165:
	s_mov_b64 s[18:19], -1
	s_mov_b64 s[16:17], 0
	s_mov_b64 s[0:1], 0
                                        ; implicit-def: $vgpr8
	s_branch .LBB256_1169
.LBB256_1166:
	s_andn2_saveexec_b64 s[24:25], s[24:25]
	s_cbranch_execz .LBB256_952
.LBB256_1167:
	s_mov_b32 s28, 0x42800000
	v_add_f32_e64 v4, |v2|, s28
	v_and_b32_e32 v4, 0xff, v4
	v_cmp_ne_u32_e32 vcc, 0, v4
	s_andn2_b64 s[22:23], s[22:23], exec
	s_and_b64 s[28:29], vcc, exec
	s_or_b64 s[22:23], s[22:23], s[28:29]
	s_or_b64 exec, exec, s[24:25]
	v_mov_b32_e32 v5, 0
	s_and_saveexec_b64 s[24:25], s[22:23]
	s_cbranch_execnz .LBB256_953
	s_branch .LBB256_954
.LBB256_1168:
	s_mov_b64 s[0:1], -1
                                        ; implicit-def: $vgpr8
	s_mov_b64 s[16:17], 0
.LBB256_1169:
	s_and_b64 vcc, exec, s[18:19]
	s_cbranch_vccz .LBB256_1173
; %bb.1170:
	s_cmp_eq_u32 s22, 44
	s_cbranch_scc0 .LBB256_1172
; %bb.1171:
	global_load_ubyte v1, v[2:3], off
	s_movk_i32 s16, 0xff
	v_mov_b32_e32 v4, 0x7f800001
	v_mov_b32_e32 v6, 0x400000
	s_mov_b64 s[0:1], 0
	s_waitcnt vmcnt(0)
	v_lshlrev_b32_e32 v7, 23, v1
	v_cmp_ne_u32_e32 vcc, s16, v1
	s_mov_b64 s[16:17], -1
	s_nop 0
	v_cndmask_b32_e32 v4, v4, v7, vcc
	v_cmp_ne_u32_e32 vcc, 0, v1
	s_nop 1
	v_cndmask_b32_e32 v8, v6, v4, vcc
	s_branch .LBB256_1173
.LBB256_1172:
	s_mov_b64 s[0:1], -1
                                        ; implicit-def: $vgpr8
.LBB256_1173:
	s_mov_b64 s[18:19], 0
.LBB256_1174:
	s_and_b64 vcc, exec, s[18:19]
	s_cbranch_vccz .LBB256_1178
; %bb.1175:
	s_cmp_eq_u32 s22, 29
	s_cbranch_scc0 .LBB256_1177
; %bb.1176:
	global_load_dwordx2 v[6:7], v[2:3], off
	s_mov_b64 s[0:1], 0
	s_mov_b64 s[16:17], -1
	s_mov_b64 s[18:19], 0
	s_waitcnt vmcnt(0)
	v_ffbh_u32_e32 v1, v7
	v_min_u32_e32 v1, 32, v1
	v_lshlrev_b64 v[6:7], v1, v[6:7]
	v_min_u32_e32 v4, 1, v6
	v_or_b32_e32 v4, v7, v4
	v_cvt_f32_u32_e32 v4, v4
	v_sub_u32_e32 v1, 32, v1
	v_ldexp_f32 v8, v4, v1
	s_branch .LBB256_1179
.LBB256_1177:
	s_mov_b64 s[0:1], -1
                                        ; implicit-def: $vgpr8
.LBB256_1178:
	s_mov_b64 s[18:19], 0
.LBB256_1179:
	s_and_b64 vcc, exec, s[18:19]
	s_cbranch_vccz .LBB256_1197
; %bb.1180:
	s_cmp_lt_i32 s22, 27
	s_cbranch_scc1 .LBB256_1183
; %bb.1181:
	s_cmp_gt_i32 s22, 27
	s_cbranch_scc0 .LBB256_1184
; %bb.1182:
	global_load_dword v1, v[2:3], off
	s_mov_b64 s[16:17], 0
	s_waitcnt vmcnt(0)
	v_cvt_f32_u32_e32 v8, v1
	s_branch .LBB256_1185
.LBB256_1183:
	s_mov_b64 s[16:17], -1
                                        ; implicit-def: $vgpr8
	s_branch .LBB256_1188
.LBB256_1184:
	s_mov_b64 s[16:17], -1
                                        ; implicit-def: $vgpr8
.LBB256_1185:
	s_andn2_b64 vcc, exec, s[16:17]
	s_cbranch_vccnz .LBB256_1187
; %bb.1186:
	global_load_ushort v1, v[2:3], off
	s_waitcnt vmcnt(0)
	v_cvt_f32_u32_e32 v8, v1
.LBB256_1187:
	s_mov_b64 s[16:17], 0
.LBB256_1188:
	s_andn2_b64 vcc, exec, s[16:17]
	s_cbranch_vccnz .LBB256_1196
; %bb.1189:
	global_load_ubyte v1, v[2:3], off
	s_movk_i32 s16, 0x7f
	s_waitcnt vmcnt(0)
	v_cmp_lt_i16_e32 vcc, s16, v1
	s_mov_b64 s[16:17], 0
	s_and_saveexec_b64 s[18:19], vcc
	s_xor_b64 s[18:19], exec, s[18:19]
	s_cbranch_execz .LBB256_1209
; %bb.1190:
	s_movk_i32 s16, 0x80
	v_cmp_eq_u16_e32 vcc, s16, v1
	s_mov_b64 s[16:17], -1
	s_and_saveexec_b64 s[20:21], vcc
; %bb.1191:
	s_xor_b64 s[16:17], exec, -1
; %bb.1192:
	s_or_b64 exec, exec, s[20:21]
	s_and_b64 s[16:17], s[16:17], exec
	s_or_saveexec_b64 s[18:19], s[18:19]
	v_mov_b32_e32 v8, 0x7f800001
	s_xor_b64 exec, exec, s[18:19]
	s_cbranch_execnz .LBB256_1210
.LBB256_1193:
	s_or_b64 exec, exec, s[18:19]
	s_and_saveexec_b64 s[18:19], s[16:17]
	s_cbranch_execz .LBB256_1195
.LBB256_1194:
	v_lshlrev_b32_e32 v4, 24, v1
	v_and_b32_e32 v1, 0xffff, v1
	v_and_b32_e32 v6, 7, v1
	v_ffbh_u32_e32 v8, v6
	v_min_u32_e32 v8, 32, v8
	v_subrev_u32_e32 v10, 28, v8
	v_bfe_u32 v7, v1, 3, 4
	v_lshlrev_b32_e32 v1, v10, v1
	v_sub_u32_e32 v8, 29, v8
	v_and_b32_e32 v1, 7, v1
	v_cmp_eq_u32_e32 vcc, 0, v7
	v_and_b32_e32 v4, 0x80000000, v4
	s_nop 0
	v_cndmask_b32_e32 v7, v7, v8, vcc
	v_cndmask_b32_e32 v1, v6, v1, vcc
	v_mov_b32_e32 v6, 0x3b800000
	v_lshlrev_b32_e32 v1, 20, v1
	v_lshl_add_u32 v6, v7, 23, v6
	v_or3_b32 v8, v4, v6, v1
.LBB256_1195:
	s_or_b64 exec, exec, s[18:19]
.LBB256_1196:
	s_mov_b64 s[16:17], -1
.LBB256_1197:
	s_branch .LBB256_1230
.LBB256_1198:
	s_cmp_gt_i32 s22, 22
	s_cbranch_scc0 .LBB256_1208
; %bb.1199:
	s_cmp_lt_i32 s22, 24
	s_cbranch_scc1 .LBB256_1211
; %bb.1200:
	s_cmp_gt_i32 s22, 24
	s_cbranch_scc0 .LBB256_1212
; %bb.1201:
	global_load_ubyte v1, v[2:3], off
	s_movk_i32 s10, 0x7f
	s_waitcnt vmcnt(0)
	v_cmp_lt_i16_e32 vcc, s10, v1
	s_mov_b64 s[10:11], 0
	s_and_saveexec_b64 s[16:17], vcc
	s_xor_b64 s[16:17], exec, s[16:17]
	s_cbranch_execz .LBB256_1224
; %bb.1202:
	s_movk_i32 s10, 0x80
	v_cmp_eq_u16_e32 vcc, s10, v1
	s_mov_b64 s[10:11], -1
	s_and_saveexec_b64 s[18:19], vcc
; %bb.1203:
	s_xor_b64 s[10:11], exec, -1
; %bb.1204:
	s_or_b64 exec, exec, s[18:19]
	s_and_b64 s[10:11], s[10:11], exec
	s_or_saveexec_b64 s[16:17], s[16:17]
	v_mov_b32_e32 v8, 0x7f800001
	s_xor_b64 exec, exec, s[16:17]
	s_cbranch_execnz .LBB256_1225
.LBB256_1205:
	s_or_b64 exec, exec, s[16:17]
	s_and_saveexec_b64 s[16:17], s[10:11]
	s_cbranch_execz .LBB256_1207
.LBB256_1206:
	v_lshlrev_b32_e32 v4, 24, v1
	v_and_b32_e32 v1, 0xffff, v1
	v_and_b32_e32 v6, 3, v1
	v_ffbh_u32_e32 v8, v6
	v_min_u32_e32 v8, 32, v8
	v_subrev_u32_e32 v10, 29, v8
	v_bfe_u32 v7, v1, 2, 5
	v_lshlrev_b32_e32 v1, v10, v1
	v_sub_u32_e32 v8, 30, v8
	v_and_b32_e32 v1, 3, v1
	v_cmp_eq_u32_e32 vcc, 0, v7
	v_and_b32_e32 v4, 0x80000000, v4
	s_nop 0
	v_cndmask_b32_e32 v7, v7, v8, vcc
	v_cndmask_b32_e32 v1, v6, v1, vcc
	v_mov_b32_e32 v6, 0x37800000
	v_lshlrev_b32_e32 v1, 21, v1
	v_lshl_add_u32 v6, v7, 23, v6
	v_or3_b32 v8, v4, v6, v1
.LBB256_1207:
	s_or_b64 exec, exec, s[16:17]
	s_mov_b64 s[10:11], 0
	s_branch .LBB256_1213
.LBB256_1208:
	s_mov_b64 s[10:11], -1
                                        ; implicit-def: $vgpr8
	s_branch .LBB256_1219
.LBB256_1209:
	s_or_saveexec_b64 s[18:19], s[18:19]
	v_mov_b32_e32 v8, 0x7f800001
	s_xor_b64 exec, exec, s[18:19]
	s_cbranch_execz .LBB256_1193
.LBB256_1210:
	v_cmp_ne_u16_e32 vcc, 0, v1
	s_andn2_b64 s[16:17], s[16:17], exec
	s_and_b64 s[20:21], vcc, exec
	v_mov_b32_e32 v8, 0
	s_or_b64 s[16:17], s[16:17], s[20:21]
	s_or_b64 exec, exec, s[18:19]
	s_and_saveexec_b64 s[18:19], s[16:17]
	s_cbranch_execnz .LBB256_1194
	s_branch .LBB256_1195
.LBB256_1211:
	s_mov_b64 s[10:11], -1
                                        ; implicit-def: $vgpr8
	s_branch .LBB256_1216
.LBB256_1212:
	s_mov_b64 s[10:11], -1
                                        ; implicit-def: $vgpr8
.LBB256_1213:
	s_and_b64 vcc, exec, s[10:11]
	s_cbranch_vccz .LBB256_1215
; %bb.1214:
	global_load_ubyte v1, v[2:3], off
	s_mov_b32 s10, 0x7f800000
	s_waitcnt vmcnt(0)
	v_lshlrev_b32_e32 v1, 24, v1
	v_and_b32_e32 v4, 0x7f000000, v1
	v_ffbh_u32_e32 v6, v4
	v_min_u32_e32 v6, 32, v6
	v_sub_u32_e64 v6, v6, 4 clamp
	v_lshlrev_b32_e32 v8, v6, v4
	v_lshlrev_b32_e32 v6, 23, v6
	v_lshrrev_b32_e32 v8, 4, v8
	v_add_u32_e32 v7, 0x1000000, v4
	v_sub_u32_e32 v6, v8, v6
	v_ashrrev_i32_e32 v7, 8, v7
	v_add_u32_e32 v6, 0x3c000000, v6
	v_and_or_b32 v6, v7, s10, v6
	v_cmp_ne_u32_e32 vcc, 0, v4
	s_brev_b32 s10, 1
	s_nop 0
	v_cndmask_b32_e32 v4, 0, v6, vcc
	v_and_or_b32 v8, v1, s10, v4
.LBB256_1215:
	s_mov_b64 s[10:11], 0
.LBB256_1216:
	s_andn2_b64 vcc, exec, s[10:11]
	s_cbranch_vccnz .LBB256_1218
; %bb.1217:
	global_load_ubyte v1, v[2:3], off
	s_movk_i32 s10, 0x7f00
	s_brev_b32 s11, 16
	s_waitcnt vmcnt(0)
	v_lshlrev_b16_e32 v4, 8, v1
	v_lshlrev_b32_e32 v1, 25, v1
	v_lshrrev_b32_e32 v6, 4, v1
	v_and_or_b32 v7, v4, s10, 0.5
	v_or_b32_e32 v6, 0x70000000, v6
	v_add_f32_e32 v7, -0.5, v7
	v_mul_f32_e32 v6, 0x7800000, v6
	v_cmp_gt_u32_e32 vcc, s11, v1
	v_bfe_i32 v4, v4, 0, 16
	s_brev_b32 s10, 1
	v_cndmask_b32_e32 v1, v6, v7, vcc
	v_and_or_b32 v8, v4, s10, v1
.LBB256_1218:
	s_mov_b64 s[10:11], 0
	s_mov_b64 s[16:17], -1
.LBB256_1219:
	s_andn2_b64 vcc, exec, s[10:11]
	s_mov_b64 s[10:11], 0
	s_cbranch_vccnz .LBB256_1230
; %bb.1220:
	s_cmp_gt_i32 s22, 14
	s_cbranch_scc0 .LBB256_1223
; %bb.1221:
	s_cmp_eq_u32 s22, 15
	s_cbranch_scc0 .LBB256_1226
; %bb.1222:
	global_load_ushort v1, v[2:3], off
	s_mov_b64 s[0:1], 0
	s_mov_b64 s[16:17], -1
	s_waitcnt vmcnt(0)
	v_lshlrev_b32_e32 v8, 16, v1
	s_branch .LBB256_1227
.LBB256_1223:
	s_mov_b64 s[18:19], -1
                                        ; implicit-def: $vgpr8
	s_branch .LBB256_1228
.LBB256_1224:
	s_or_saveexec_b64 s[16:17], s[16:17]
	v_mov_b32_e32 v8, 0x7f800001
	s_xor_b64 exec, exec, s[16:17]
	s_cbranch_execz .LBB256_1205
.LBB256_1225:
	v_cmp_ne_u16_e32 vcc, 0, v1
	s_andn2_b64 s[10:11], s[10:11], exec
	s_and_b64 s[18:19], vcc, exec
	v_mov_b32_e32 v8, 0
	s_or_b64 s[10:11], s[10:11], s[18:19]
	s_or_b64 exec, exec, s[16:17]
	s_and_saveexec_b64 s[16:17], s[10:11]
	s_cbranch_execnz .LBB256_1206
	s_branch .LBB256_1207
.LBB256_1226:
	s_mov_b64 s[0:1], -1
                                        ; implicit-def: $vgpr8
.LBB256_1227:
	s_mov_b64 s[18:19], 0
.LBB256_1228:
	s_and_b64 vcc, exec, s[18:19]
	s_cbranch_vccz .LBB256_1230
; %bb.1229:
	s_cmp_lg_u32 s22, 11
	s_mov_b64 s[10:11], -1
	s_cselect_b64 s[0:1], -1, 0
.LBB256_1230:
	s_and_b64 vcc, exec, s[0:1]
	s_cbranch_vccnz .LBB256_1303
; %bb.1231:
	s_andn2_b64 vcc, exec, s[10:11]
	s_cbranch_vccnz .LBB256_1233
.LBB256_1232:
	global_load_ubyte v1, v[2:3], off
	s_mov_b64 s[16:17], -1
	s_waitcnt vmcnt(0)
	v_cmp_ne_u16_e32 vcc, 0, v1
	s_nop 1
	v_cndmask_b32_e64 v8, 0, 1.0, vcc
.LBB256_1233:
	s_branch .LBB256_1160
.LBB256_1234:
	s_cmp_lt_i32 s22, 5
	s_cbranch_scc1 .LBB256_1239
; %bb.1235:
	s_cmp_lt_i32 s22, 8
	s_cbranch_scc1 .LBB256_1240
; %bb.1236:
	;; [unrolled: 3-line block ×3, first 2 shown]
	s_cmp_gt_i32 s22, 9
	s_cbranch_scc0 .LBB256_1242
; %bb.1238:
	global_load_dwordx2 v[6:7], v[2:3], off
	s_mov_b64 s[0:1], 0
	s_waitcnt vmcnt(0)
	v_cvt_f32_f64_e32 v8, v[6:7]
	s_branch .LBB256_1243
.LBB256_1239:
                                        ; implicit-def: $vgpr8
	s_branch .LBB256_1261
.LBB256_1240:
	s_mov_b64 s[0:1], -1
                                        ; implicit-def: $vgpr8
	s_branch .LBB256_1249
.LBB256_1241:
	s_mov_b64 s[0:1], -1
                                        ; implicit-def: $vgpr8
	s_branch .LBB256_1246
.LBB256_1242:
	s_mov_b64 s[0:1], -1
                                        ; implicit-def: $vgpr8
.LBB256_1243:
	s_andn2_b64 vcc, exec, s[0:1]
	s_cbranch_vccnz .LBB256_1245
; %bb.1244:
	global_load_dword v8, v[2:3], off
.LBB256_1245:
	s_mov_b64 s[0:1], 0
.LBB256_1246:
	s_andn2_b64 vcc, exec, s[0:1]
	s_cbranch_vccnz .LBB256_1248
; %bb.1247:
	global_load_dword v1, v[2:3], off
	s_waitcnt vmcnt(0)
	v_cvt_f32_f16_e32 v8, v1
.LBB256_1248:
	s_mov_b64 s[0:1], 0
.LBB256_1249:
	s_andn2_b64 vcc, exec, s[0:1]
	s_cbranch_vccnz .LBB256_1260
; %bb.1250:
	s_cmp_lt_i32 s22, 6
	s_cbranch_scc1 .LBB256_1253
; %bb.1251:
	s_cmp_gt_i32 s22, 6
	s_cbranch_scc0 .LBB256_1254
; %bb.1252:
	global_load_dwordx2 v[6:7], v[2:3], off
	s_mov_b64 s[0:1], 0
	s_waitcnt vmcnt(0)
	v_cvt_f32_f64_e32 v8, v[6:7]
	s_branch .LBB256_1255
.LBB256_1253:
	s_mov_b64 s[0:1], -1
                                        ; implicit-def: $vgpr8
	s_branch .LBB256_1258
.LBB256_1254:
	s_mov_b64 s[0:1], -1
                                        ; implicit-def: $vgpr8
.LBB256_1255:
	s_andn2_b64 vcc, exec, s[0:1]
	s_cbranch_vccnz .LBB256_1257
; %bb.1256:
	global_load_dword v8, v[2:3], off
.LBB256_1257:
	s_mov_b64 s[0:1], 0
.LBB256_1258:
	s_andn2_b64 vcc, exec, s[0:1]
	s_cbranch_vccnz .LBB256_1260
; %bb.1259:
	global_load_ushort v1, v[2:3], off
	s_waitcnt vmcnt(0)
	v_cvt_f32_f16_e32 v8, v1
.LBB256_1260:
	s_cbranch_execnz .LBB256_1280
.LBB256_1261:
	s_cmp_lt_i32 s22, 2
	s_cbranch_scc1 .LBB256_1265
; %bb.1262:
	s_cmp_lt_i32 s22, 3
	s_cbranch_scc1 .LBB256_1266
; %bb.1263:
	s_cmp_gt_i32 s22, 3
	s_cbranch_scc0 .LBB256_1267
; %bb.1264:
	global_load_dwordx2 v[6:7], v[2:3], off
	s_mov_b64 s[0:1], 0
	s_waitcnt vmcnt(0)
	v_xor_b32_e32 v4, v6, v7
	v_ffbh_i32_e32 v1, v7
	v_ashrrev_i32_e32 v4, 31, v4
	v_add_u32_e32 v1, -1, v1
	v_add_u32_e32 v4, 32, v4
	v_min_u32_e32 v1, v1, v4
	v_lshlrev_b64 v[6:7], v1, v[6:7]
	v_min_u32_e32 v4, 1, v6
	v_or_b32_e32 v4, v7, v4
	v_cvt_f32_i32_e32 v4, v4
	v_sub_u32_e32 v1, 32, v1
	v_ldexp_f32 v8, v4, v1
	s_branch .LBB256_1268
.LBB256_1265:
	s_mov_b64 s[0:1], -1
                                        ; implicit-def: $vgpr8
	s_branch .LBB256_1274
.LBB256_1266:
	s_mov_b64 s[0:1], -1
                                        ; implicit-def: $vgpr8
	s_branch .LBB256_1271
.LBB256_1267:
	s_mov_b64 s[0:1], -1
                                        ; implicit-def: $vgpr8
.LBB256_1268:
	s_andn2_b64 vcc, exec, s[0:1]
	s_cbranch_vccnz .LBB256_1270
; %bb.1269:
	global_load_dword v1, v[2:3], off
	s_waitcnt vmcnt(0)
	v_cvt_f32_i32_e32 v8, v1
.LBB256_1270:
	s_mov_b64 s[0:1], 0
.LBB256_1271:
	s_andn2_b64 vcc, exec, s[0:1]
	s_cbranch_vccnz .LBB256_1273
; %bb.1272:
	global_load_sshort v1, v[2:3], off
	s_waitcnt vmcnt(0)
	v_cvt_f32_i32_e32 v8, v1
.LBB256_1273:
	s_mov_b64 s[0:1], 0
.LBB256_1274:
	s_andn2_b64 vcc, exec, s[0:1]
	s_cbranch_vccnz .LBB256_1280
; %bb.1275:
	s_cmp_gt_i32 s22, 0
	s_cbranch_scc0 .LBB256_1277
; %bb.1276:
	global_load_sbyte v1, v[2:3], off
	s_mov_b64 s[0:1], 0
	s_waitcnt vmcnt(0)
	v_cvt_f32_i32_e32 v8, v1
	s_branch .LBB256_1278
.LBB256_1277:
	s_mov_b64 s[0:1], -1
                                        ; implicit-def: $vgpr8
.LBB256_1278:
	s_andn2_b64 vcc, exec, s[0:1]
	s_cbranch_vccnz .LBB256_1280
; %bb.1279:
	global_load_ubyte v1, v[2:3], off
	s_waitcnt vmcnt(0)
	v_cvt_f32_ubyte0_e32 v8, v1
.LBB256_1280:
.LBB256_1281:
	v_add_u32_e32 v0, s9, v0
	v_ashrrev_i32_e32 v1, 31, v0
	s_cmp_lt_i32 s22, 11
	v_lshl_add_u64 v[2:3], s[6:7], 0, v[0:1]
	s_cbranch_scc1 .LBB256_1288
; %bb.1282:
	s_cmp_gt_i32 s22, 25
	s_mov_b64 s[10:11], 0
	s_cbranch_scc0 .LBB256_1297
; %bb.1283:
	s_cmp_gt_i32 s22, 28
	s_cbranch_scc0 .LBB256_1299
; %bb.1284:
	s_cmp_gt_i32 s22, 43
	;; [unrolled: 3-line block ×3, first 2 shown]
	s_cbranch_scc0 .LBB256_1304
; %bb.1286:
	s_cmp_eq_u32 s22, 46
	s_mov_b64 s[18:19], 0
	s_cbranch_scc0 .LBB256_1306
; %bb.1287:
	global_load_dword v1, v[2:3], off
	s_mov_b64 s[0:1], 0
	s_mov_b64 s[16:17], -1
	s_waitcnt vmcnt(0)
	v_lshlrev_b32_e32 v7, 16, v1
	s_branch .LBB256_1307
.LBB256_1288:
	s_mov_b64 s[16:17], 0
                                        ; implicit-def: $vgpr7
	s_cbranch_execnz .LBB256_1374
.LBB256_1289:
	s_andn2_b64 vcc, exec, s[16:17]
	s_cbranch_vccnz .LBB256_1422
.LBB256_1290:
	v_add_u32_e32 v0, s9, v0
	v_ashrrev_i32_e32 v1, 31, v0
	s_cmp_lt_i32 s22, 11
	v_lshl_add_u64 v[0:1], s[6:7], 0, v[0:1]
	s_cbranch_scc1 .LBB256_1298
; %bb.1291:
	s_cmp_gt_i32 s22, 25
	s_mov_b64 s[6:7], 0
	s_cbranch_scc0 .LBB256_1300
; %bb.1292:
	s_cmp_gt_i32 s22, 28
	s_cbranch_scc0 .LBB256_1302
; %bb.1293:
	s_cmp_gt_i32 s22, 43
	;; [unrolled: 3-line block ×3, first 2 shown]
	s_cbranch_scc0 .LBB256_1310
; %bb.1295:
	s_cmp_eq_u32 s22, 46
	s_mov_b64 s[16:17], 0
	s_cbranch_scc0 .LBB256_1469
; %bb.1296:
	global_load_dword v2, v[0:1], off
	s_mov_b64 s[0:1], 0
	s_mov_b64 s[10:11], -1
	s_waitcnt vmcnt(0)
	v_lshlrev_b32_e32 v6, 16, v2
	s_branch .LBB256_1470
.LBB256_1297:
	s_mov_b64 s[18:19], -1
	s_mov_b64 s[16:17], 0
	s_mov_b64 s[0:1], 0
                                        ; implicit-def: $vgpr7
	s_branch .LBB256_1337
.LBB256_1298:
	s_mov_b64 s[0:1], -1
	s_mov_b64 s[10:11], 0
                                        ; implicit-def: $vgpr6
	s_branch .LBB256_1536
.LBB256_1299:
	s_mov_b64 s[18:19], -1
	s_mov_b64 s[16:17], 0
	s_mov_b64 s[0:1], 0
                                        ; implicit-def: $vgpr7
	s_branch .LBB256_1318
.LBB256_1300:
	s_mov_b64 s[16:17], -1
	s_mov_b64 s[10:11], 0
	s_mov_b64 s[0:1], 0
                                        ; implicit-def: $vgpr6
	s_branch .LBB256_1499
.LBB256_1301:
	s_mov_b64 s[18:19], -1
	s_mov_b64 s[16:17], 0
	s_mov_b64 s[0:1], 0
                                        ; implicit-def: $vgpr7
	s_branch .LBB256_1313
.LBB256_1302:
	s_mov_b64 s[16:17], -1
	s_mov_b64 s[10:11], 0
	s_mov_b64 s[0:1], 0
                                        ; implicit-def: $vgpr6
	s_branch .LBB256_1480
.LBB256_1303:
	s_trap 2
	s_or_b64 s[14:15], s[14:15], exec
	s_cbranch_execz .LBB256_1232
	s_branch .LBB256_1233
.LBB256_1304:
	s_mov_b64 s[18:19], -1
	s_mov_b64 s[16:17], 0
	s_mov_b64 s[0:1], 0
                                        ; implicit-def: $vgpr7
	s_branch .LBB256_1307
.LBB256_1305:
	s_mov_b64 s[16:17], -1
	s_mov_b64 s[10:11], 0
	s_mov_b64 s[0:1], 0
                                        ; implicit-def: $vgpr6
	s_branch .LBB256_1475
.LBB256_1306:
	s_mov_b64 s[0:1], -1
                                        ; implicit-def: $vgpr7
	s_mov_b64 s[16:17], 0
.LBB256_1307:
	s_and_b64 vcc, exec, s[18:19]
	s_cbranch_vccz .LBB256_1312
; %bb.1308:
	s_cmp_eq_u32 s22, 44
	s_cbranch_scc0 .LBB256_1311
; %bb.1309:
	global_load_ubyte v1, v[2:3], off
	s_movk_i32 s16, 0xff
	v_mov_b32_e32 v4, 0x7f800001
	v_mov_b32_e32 v6, 0x400000
	s_mov_b64 s[0:1], 0
	s_waitcnt vmcnt(0)
	v_lshlrev_b32_e32 v7, 23, v1
	v_cmp_ne_u32_e32 vcc, s16, v1
	s_mov_b64 s[16:17], -1
	s_nop 0
	v_cndmask_b32_e32 v4, v4, v7, vcc
	v_cmp_ne_u32_e32 vcc, 0, v1
	s_nop 1
	v_cndmask_b32_e32 v7, v6, v4, vcc
	s_branch .LBB256_1312
.LBB256_1310:
	s_mov_b64 s[16:17], -1
	s_mov_b64 s[10:11], 0
	s_mov_b64 s[0:1], 0
                                        ; implicit-def: $vgpr6
	s_branch .LBB256_1470
.LBB256_1311:
	s_mov_b64 s[0:1], -1
                                        ; implicit-def: $vgpr7
.LBB256_1312:
	s_mov_b64 s[18:19], 0
.LBB256_1313:
	s_and_b64 vcc, exec, s[18:19]
	s_cbranch_vccz .LBB256_1317
; %bb.1314:
	s_cmp_eq_u32 s22, 29
	s_cbranch_scc0 .LBB256_1316
; %bb.1315:
	global_load_dwordx2 v[6:7], v[2:3], off
	s_mov_b64 s[0:1], 0
	s_mov_b64 s[16:17], -1
	s_mov_b64 s[18:19], 0
	s_waitcnt vmcnt(0)
	v_ffbh_u32_e32 v1, v7
	v_min_u32_e32 v1, 32, v1
	v_lshlrev_b64 v[6:7], v1, v[6:7]
	v_min_u32_e32 v4, 1, v6
	v_or_b32_e32 v4, v7, v4
	v_cvt_f32_u32_e32 v4, v4
	v_sub_u32_e32 v1, 32, v1
	v_ldexp_f32 v7, v4, v1
	s_branch .LBB256_1318
.LBB256_1316:
	s_mov_b64 s[0:1], -1
                                        ; implicit-def: $vgpr7
.LBB256_1317:
	s_mov_b64 s[18:19], 0
.LBB256_1318:
	s_and_b64 vcc, exec, s[18:19]
	s_cbranch_vccz .LBB256_1336
; %bb.1319:
	s_cmp_lt_i32 s22, 27
	s_cbranch_scc1 .LBB256_1322
; %bb.1320:
	s_cmp_gt_i32 s22, 27
	s_cbranch_scc0 .LBB256_1323
; %bb.1321:
	global_load_dword v1, v[2:3], off
	s_mov_b64 s[16:17], 0
	s_waitcnt vmcnt(0)
	v_cvt_f32_u32_e32 v7, v1
	s_branch .LBB256_1324
.LBB256_1322:
	s_mov_b64 s[16:17], -1
                                        ; implicit-def: $vgpr7
	s_branch .LBB256_1327
.LBB256_1323:
	s_mov_b64 s[16:17], -1
                                        ; implicit-def: $vgpr7
.LBB256_1324:
	s_andn2_b64 vcc, exec, s[16:17]
	s_cbranch_vccnz .LBB256_1326
; %bb.1325:
	global_load_ushort v1, v[2:3], off
	s_waitcnt vmcnt(0)
	v_cvt_f32_u32_e32 v7, v1
.LBB256_1326:
	s_mov_b64 s[16:17], 0
.LBB256_1327:
	s_andn2_b64 vcc, exec, s[16:17]
	s_cbranch_vccnz .LBB256_1335
; %bb.1328:
	global_load_ubyte v1, v[2:3], off
	s_movk_i32 s16, 0x7f
	s_waitcnt vmcnt(0)
	v_cmp_lt_i16_e32 vcc, s16, v1
	s_mov_b64 s[16:17], 0
	s_and_saveexec_b64 s[18:19], vcc
	s_xor_b64 s[18:19], exec, s[18:19]
	s_cbranch_execz .LBB256_1349
; %bb.1329:
	s_movk_i32 s16, 0x80
	v_cmp_eq_u16_e32 vcc, s16, v1
	s_mov_b64 s[16:17], -1
	s_and_saveexec_b64 s[20:21], vcc
; %bb.1330:
	s_xor_b64 s[16:17], exec, -1
; %bb.1331:
	s_or_b64 exec, exec, s[20:21]
	s_and_b64 s[16:17], s[16:17], exec
	s_or_saveexec_b64 s[18:19], s[18:19]
	v_mov_b32_e32 v7, 0x7f800001
	s_xor_b64 exec, exec, s[18:19]
	s_cbranch_execnz .LBB256_1350
.LBB256_1332:
	s_or_b64 exec, exec, s[18:19]
	s_and_saveexec_b64 s[18:19], s[16:17]
	s_cbranch_execz .LBB256_1334
.LBB256_1333:
	v_lshlrev_b32_e32 v4, 24, v1
	v_and_b32_e32 v1, 0xffff, v1
	v_and_b32_e32 v6, 7, v1
	v_ffbh_u32_e32 v10, v6
	v_min_u32_e32 v10, 32, v10
	v_subrev_u32_e32 v11, 28, v10
	v_bfe_u32 v7, v1, 3, 4
	v_lshlrev_b32_e32 v1, v11, v1
	v_sub_u32_e32 v10, 29, v10
	v_and_b32_e32 v1, 7, v1
	v_cmp_eq_u32_e32 vcc, 0, v7
	v_and_b32_e32 v4, 0x80000000, v4
	s_nop 0
	v_cndmask_b32_e32 v7, v7, v10, vcc
	v_cndmask_b32_e32 v1, v6, v1, vcc
	v_mov_b32_e32 v6, 0x3b800000
	v_lshlrev_b32_e32 v1, 20, v1
	v_lshl_add_u32 v6, v7, 23, v6
	v_or3_b32 v7, v4, v6, v1
.LBB256_1334:
	s_or_b64 exec, exec, s[18:19]
.LBB256_1335:
	s_mov_b64 s[16:17], -1
.LBB256_1336:
	s_mov_b64 s[18:19], 0
.LBB256_1337:
	s_and_b64 vcc, exec, s[18:19]
	s_cbranch_vccz .LBB256_1370
; %bb.1338:
	s_cmp_gt_i32 s22, 22
	s_cbranch_scc0 .LBB256_1348
; %bb.1339:
	s_cmp_lt_i32 s22, 24
	s_cbranch_scc1 .LBB256_1351
; %bb.1340:
	s_cmp_gt_i32 s22, 24
	s_cbranch_scc0 .LBB256_1352
; %bb.1341:
	global_load_ubyte v1, v[2:3], off
	s_movk_i32 s10, 0x7f
	s_waitcnt vmcnt(0)
	v_cmp_lt_i16_e32 vcc, s10, v1
	s_mov_b64 s[10:11], 0
	s_and_saveexec_b64 s[16:17], vcc
	s_xor_b64 s[16:17], exec, s[16:17]
	s_cbranch_execz .LBB256_1364
; %bb.1342:
	s_movk_i32 s10, 0x80
	v_cmp_eq_u16_e32 vcc, s10, v1
	s_mov_b64 s[10:11], -1
	s_and_saveexec_b64 s[18:19], vcc
; %bb.1343:
	s_xor_b64 s[10:11], exec, -1
; %bb.1344:
	s_or_b64 exec, exec, s[18:19]
	s_and_b64 s[10:11], s[10:11], exec
	s_or_saveexec_b64 s[16:17], s[16:17]
	v_mov_b32_e32 v7, 0x7f800001
	s_xor_b64 exec, exec, s[16:17]
	s_cbranch_execnz .LBB256_1365
.LBB256_1345:
	s_or_b64 exec, exec, s[16:17]
	s_and_saveexec_b64 s[16:17], s[10:11]
	s_cbranch_execz .LBB256_1347
.LBB256_1346:
	v_lshlrev_b32_e32 v4, 24, v1
	v_and_b32_e32 v1, 0xffff, v1
	v_and_b32_e32 v6, 3, v1
	v_ffbh_u32_e32 v10, v6
	v_min_u32_e32 v10, 32, v10
	v_subrev_u32_e32 v11, 29, v10
	v_bfe_u32 v7, v1, 2, 5
	v_lshlrev_b32_e32 v1, v11, v1
	v_sub_u32_e32 v10, 30, v10
	v_and_b32_e32 v1, 3, v1
	v_cmp_eq_u32_e32 vcc, 0, v7
	v_and_b32_e32 v4, 0x80000000, v4
	s_nop 0
	v_cndmask_b32_e32 v7, v7, v10, vcc
	v_cndmask_b32_e32 v1, v6, v1, vcc
	v_mov_b32_e32 v6, 0x37800000
	v_lshlrev_b32_e32 v1, 21, v1
	v_lshl_add_u32 v6, v7, 23, v6
	v_or3_b32 v7, v4, v6, v1
.LBB256_1347:
	s_or_b64 exec, exec, s[16:17]
	s_mov_b64 s[10:11], 0
	s_branch .LBB256_1353
.LBB256_1348:
	s_mov_b64 s[10:11], -1
                                        ; implicit-def: $vgpr7
	s_branch .LBB256_1359
.LBB256_1349:
	s_or_saveexec_b64 s[18:19], s[18:19]
	v_mov_b32_e32 v7, 0x7f800001
	s_xor_b64 exec, exec, s[18:19]
	s_cbranch_execz .LBB256_1332
.LBB256_1350:
	v_cmp_ne_u16_e32 vcc, 0, v1
	s_andn2_b64 s[16:17], s[16:17], exec
	s_and_b64 s[20:21], vcc, exec
	v_mov_b32_e32 v7, 0
	s_or_b64 s[16:17], s[16:17], s[20:21]
	s_or_b64 exec, exec, s[18:19]
	s_and_saveexec_b64 s[18:19], s[16:17]
	s_cbranch_execnz .LBB256_1333
	s_branch .LBB256_1334
.LBB256_1351:
	s_mov_b64 s[10:11], -1
                                        ; implicit-def: $vgpr7
	s_branch .LBB256_1356
.LBB256_1352:
	s_mov_b64 s[10:11], -1
                                        ; implicit-def: $vgpr7
.LBB256_1353:
	s_and_b64 vcc, exec, s[10:11]
	s_cbranch_vccz .LBB256_1355
; %bb.1354:
	global_load_ubyte v1, v[2:3], off
	s_mov_b32 s10, 0x7f800000
	s_waitcnt vmcnt(0)
	v_lshlrev_b32_e32 v1, 24, v1
	v_and_b32_e32 v4, 0x7f000000, v1
	v_ffbh_u32_e32 v6, v4
	v_min_u32_e32 v6, 32, v6
	v_sub_u32_e64 v6, v6, 4 clamp
	v_lshlrev_b32_e32 v10, v6, v4
	v_lshlrev_b32_e32 v6, 23, v6
	v_lshrrev_b32_e32 v10, 4, v10
	v_add_u32_e32 v7, 0x1000000, v4
	v_sub_u32_e32 v6, v10, v6
	v_ashrrev_i32_e32 v7, 8, v7
	v_add_u32_e32 v6, 0x3c000000, v6
	v_and_or_b32 v6, v7, s10, v6
	v_cmp_ne_u32_e32 vcc, 0, v4
	s_brev_b32 s10, 1
	s_nop 0
	v_cndmask_b32_e32 v4, 0, v6, vcc
	v_and_or_b32 v7, v1, s10, v4
.LBB256_1355:
	s_mov_b64 s[10:11], 0
.LBB256_1356:
	s_andn2_b64 vcc, exec, s[10:11]
	s_cbranch_vccnz .LBB256_1358
; %bb.1357:
	global_load_ubyte v1, v[2:3], off
	s_movk_i32 s10, 0x7f00
	s_brev_b32 s11, 16
	s_waitcnt vmcnt(0)
	v_lshlrev_b16_e32 v4, 8, v1
	v_lshlrev_b32_e32 v1, 25, v1
	v_lshrrev_b32_e32 v6, 4, v1
	v_and_or_b32 v7, v4, s10, 0.5
	v_or_b32_e32 v6, 0x70000000, v6
	v_add_f32_e32 v7, -0.5, v7
	v_mul_f32_e32 v6, 0x7800000, v6
	v_cmp_gt_u32_e32 vcc, s11, v1
	v_bfe_i32 v4, v4, 0, 16
	s_brev_b32 s10, 1
	v_cndmask_b32_e32 v1, v6, v7, vcc
	v_and_or_b32 v7, v4, s10, v1
.LBB256_1358:
	s_mov_b64 s[10:11], 0
	s_mov_b64 s[16:17], -1
.LBB256_1359:
	s_andn2_b64 vcc, exec, s[10:11]
	s_mov_b64 s[10:11], 0
	s_cbranch_vccnz .LBB256_1370
; %bb.1360:
	s_cmp_gt_i32 s22, 14
	s_cbranch_scc0 .LBB256_1363
; %bb.1361:
	s_cmp_eq_u32 s22, 15
	s_cbranch_scc0 .LBB256_1366
; %bb.1362:
	global_load_ushort v1, v[2:3], off
	s_mov_b64 s[0:1], 0
	s_mov_b64 s[16:17], -1
	s_waitcnt vmcnt(0)
	v_lshlrev_b32_e32 v7, 16, v1
	s_branch .LBB256_1367
.LBB256_1363:
	s_mov_b64 s[18:19], -1
                                        ; implicit-def: $vgpr7
	s_branch .LBB256_1368
.LBB256_1364:
	s_or_saveexec_b64 s[16:17], s[16:17]
	v_mov_b32_e32 v7, 0x7f800001
	s_xor_b64 exec, exec, s[16:17]
	s_cbranch_execz .LBB256_1345
.LBB256_1365:
	v_cmp_ne_u16_e32 vcc, 0, v1
	s_andn2_b64 s[10:11], s[10:11], exec
	s_and_b64 s[18:19], vcc, exec
	v_mov_b32_e32 v7, 0
	s_or_b64 s[10:11], s[10:11], s[18:19]
	s_or_b64 exec, exec, s[16:17]
	s_and_saveexec_b64 s[16:17], s[10:11]
	s_cbranch_execnz .LBB256_1346
	s_branch .LBB256_1347
.LBB256_1366:
	s_mov_b64 s[0:1], -1
                                        ; implicit-def: $vgpr7
.LBB256_1367:
	s_mov_b64 s[18:19], 0
.LBB256_1368:
	s_and_b64 vcc, exec, s[18:19]
	s_cbranch_vccz .LBB256_1370
; %bb.1369:
	s_cmp_lg_u32 s22, 11
	s_mov_b64 s[10:11], -1
	s_cselect_b64 s[0:1], -1, 0
.LBB256_1370:
	s_and_b64 vcc, exec, s[0:1]
	s_cbranch_vccnz .LBB256_1468
; %bb.1371:
	s_andn2_b64 vcc, exec, s[10:11]
	s_cbranch_vccnz .LBB256_1373
.LBB256_1372:
	global_load_ubyte v1, v[2:3], off
	s_mov_b64 s[16:17], -1
	s_waitcnt vmcnt(0)
	v_cmp_ne_u16_e32 vcc, 0, v1
	s_nop 1
	v_cndmask_b32_e64 v7, 0, 1.0, vcc
.LBB256_1373:
	s_branch .LBB256_1289
.LBB256_1374:
	s_cmp_lt_i32 s22, 5
	s_cbranch_scc1 .LBB256_1379
; %bb.1375:
	s_cmp_lt_i32 s22, 8
	s_cbranch_scc1 .LBB256_1380
; %bb.1376:
	;; [unrolled: 3-line block ×3, first 2 shown]
	s_cmp_gt_i32 s22, 9
	s_cbranch_scc0 .LBB256_1382
; %bb.1378:
	global_load_dwordx2 v[6:7], v[2:3], off
	s_mov_b64 s[0:1], 0
	s_waitcnt vmcnt(0)
	v_cvt_f32_f64_e32 v7, v[6:7]
	s_branch .LBB256_1383
.LBB256_1379:
	s_mov_b64 s[0:1], -1
                                        ; implicit-def: $vgpr7
	s_branch .LBB256_1401
.LBB256_1380:
	s_mov_b64 s[0:1], -1
                                        ; implicit-def: $vgpr7
	s_branch .LBB256_1389
.LBB256_1381:
	s_mov_b64 s[0:1], -1
                                        ; implicit-def: $vgpr7
	s_branch .LBB256_1386
.LBB256_1382:
	s_mov_b64 s[0:1], -1
                                        ; implicit-def: $vgpr7
.LBB256_1383:
	s_andn2_b64 vcc, exec, s[0:1]
	s_cbranch_vccnz .LBB256_1385
; %bb.1384:
	global_load_dword v7, v[2:3], off
.LBB256_1385:
	s_mov_b64 s[0:1], 0
.LBB256_1386:
	s_andn2_b64 vcc, exec, s[0:1]
	s_cbranch_vccnz .LBB256_1388
; %bb.1387:
	global_load_dword v1, v[2:3], off
	s_waitcnt vmcnt(0)
	v_cvt_f32_f16_e32 v7, v1
.LBB256_1388:
	s_mov_b64 s[0:1], 0
.LBB256_1389:
	s_andn2_b64 vcc, exec, s[0:1]
	s_cbranch_vccnz .LBB256_1400
; %bb.1390:
	s_cmp_lt_i32 s22, 6
	s_cbranch_scc1 .LBB256_1393
; %bb.1391:
	s_cmp_gt_i32 s22, 6
	s_cbranch_scc0 .LBB256_1394
; %bb.1392:
	global_load_dwordx2 v[6:7], v[2:3], off
	s_mov_b64 s[0:1], 0
	s_waitcnt vmcnt(0)
	v_cvt_f32_f64_e32 v7, v[6:7]
	s_branch .LBB256_1395
.LBB256_1393:
	s_mov_b64 s[0:1], -1
                                        ; implicit-def: $vgpr7
	s_branch .LBB256_1398
.LBB256_1394:
	s_mov_b64 s[0:1], -1
                                        ; implicit-def: $vgpr7
.LBB256_1395:
	s_andn2_b64 vcc, exec, s[0:1]
	s_cbranch_vccnz .LBB256_1397
; %bb.1396:
	global_load_dword v7, v[2:3], off
.LBB256_1397:
	s_mov_b64 s[0:1], 0
.LBB256_1398:
	s_andn2_b64 vcc, exec, s[0:1]
	s_cbranch_vccnz .LBB256_1400
; %bb.1399:
	global_load_ushort v1, v[2:3], off
	s_waitcnt vmcnt(0)
	v_cvt_f32_f16_e32 v7, v1
.LBB256_1400:
	s_mov_b64 s[0:1], 0
.LBB256_1401:
	s_andn2_b64 vcc, exec, s[0:1]
	s_cbranch_vccnz .LBB256_1421
; %bb.1402:
	s_cmp_lt_i32 s22, 2
	s_cbranch_scc1 .LBB256_1406
; %bb.1403:
	s_cmp_lt_i32 s22, 3
	s_cbranch_scc1 .LBB256_1407
; %bb.1404:
	s_cmp_gt_i32 s22, 3
	s_cbranch_scc0 .LBB256_1408
; %bb.1405:
	global_load_dwordx2 v[6:7], v[2:3], off
	s_mov_b64 s[0:1], 0
	s_waitcnt vmcnt(0)
	v_xor_b32_e32 v4, v6, v7
	v_ffbh_i32_e32 v1, v7
	v_ashrrev_i32_e32 v4, 31, v4
	v_add_u32_e32 v1, -1, v1
	v_add_u32_e32 v4, 32, v4
	v_min_u32_e32 v1, v1, v4
	v_lshlrev_b64 v[6:7], v1, v[6:7]
	v_min_u32_e32 v4, 1, v6
	v_or_b32_e32 v4, v7, v4
	v_cvt_f32_i32_e32 v4, v4
	v_sub_u32_e32 v1, 32, v1
	v_ldexp_f32 v7, v4, v1
	s_branch .LBB256_1409
.LBB256_1406:
	s_mov_b64 s[0:1], -1
                                        ; implicit-def: $vgpr7
	s_branch .LBB256_1415
.LBB256_1407:
	s_mov_b64 s[0:1], -1
                                        ; implicit-def: $vgpr7
	s_branch .LBB256_1412
.LBB256_1408:
	s_mov_b64 s[0:1], -1
                                        ; implicit-def: $vgpr7
.LBB256_1409:
	s_andn2_b64 vcc, exec, s[0:1]
	s_cbranch_vccnz .LBB256_1411
; %bb.1410:
	global_load_dword v1, v[2:3], off
	s_waitcnt vmcnt(0)
	v_cvt_f32_i32_e32 v7, v1
.LBB256_1411:
	s_mov_b64 s[0:1], 0
.LBB256_1412:
	s_andn2_b64 vcc, exec, s[0:1]
	s_cbranch_vccnz .LBB256_1414
; %bb.1413:
	global_load_sshort v1, v[2:3], off
	s_waitcnt vmcnt(0)
	v_cvt_f32_i32_e32 v7, v1
.LBB256_1414:
	s_mov_b64 s[0:1], 0
.LBB256_1415:
	s_andn2_b64 vcc, exec, s[0:1]
	s_cbranch_vccnz .LBB256_1421
; %bb.1416:
	s_cmp_gt_i32 s22, 0
	s_cbranch_scc0 .LBB256_1418
; %bb.1417:
	global_load_sbyte v1, v[2:3], off
	s_mov_b64 s[0:1], 0
	s_waitcnt vmcnt(0)
	v_cvt_f32_i32_e32 v7, v1
	s_branch .LBB256_1419
.LBB256_1418:
	s_mov_b64 s[0:1], -1
                                        ; implicit-def: $vgpr7
.LBB256_1419:
	s_andn2_b64 vcc, exec, s[0:1]
	s_cbranch_vccnz .LBB256_1421
; %bb.1420:
	global_load_ubyte v1, v[2:3], off
	s_waitcnt vmcnt(0)
	v_cvt_f32_ubyte0_e32 v7, v1
.LBB256_1421:
	s_branch .LBB256_1290
.LBB256_1422:
	s_mov_b64 s[0:1], 0
                                        ; implicit-def: $sgpr20
                                        ; implicit-def: $vgpr0_vgpr1
                                        ; implicit-def: $vgpr2
                                        ; implicit-def: $vgpr6
.LBB256_1423:
	s_mov_b64 s[4:5], 0
.LBB256_1424:
	s_and_b64 s[10:11], s[4:5], exec
	s_andn2_b64 s[4:5], s[12:13], exec
	s_and_b64 s[6:7], s[14:15], exec
	s_and_b64 s[0:1], s[0:1], exec
	s_or_b64 s[12:13], s[4:5], s[6:7]
.LBB256_1425:
	s_or_b64 exec, exec, s[2:3]
	s_and_saveexec_b64 s[2:3], s[12:13]
	s_cbranch_execz .LBB256_1428
; %bb.1426:
	; divergent unreachable
	s_or_b64 exec, exec, s[2:3]
	s_and_saveexec_b64 s[2:3], s[10:11]
	s_xor_b64 s[2:3], exec, s[2:3]
	s_cbranch_execnz .LBB256_1429
.LBB256_1427:
	s_or_b64 exec, exec, s[2:3]
	s_and_saveexec_b64 s[2:3], s[0:1]
	s_cbranch_execnz .LBB256_1430
	s_branch .LBB256_1467
.LBB256_1428:
	s_or_b64 exec, exec, s[2:3]
	s_and_saveexec_b64 s[2:3], s[10:11]
	s_xor_b64 s[2:3], exec, s[2:3]
	s_cbranch_execz .LBB256_1427
.LBB256_1429:
	s_waitcnt vmcnt(0)
	v_cmp_neq_f32_e32 vcc, 0, v6
	s_nop 1
	v_cndmask_b32_e64 v3, 0, 1, vcc
	global_store_byte v[0:1], v3, off
	s_or_b64 exec, exec, s[2:3]
	s_and_saveexec_b64 s[2:3], s[0:1]
	s_cbranch_execz .LBB256_1467
.LBB256_1430:
	s_sext_i32_i16 s2, s20
	s_cmp_lt_i32 s2, 5
	s_mov_b64 s[0:1], -1
	s_cbranch_scc1 .LBB256_1451
; %bb.1431:
	s_cmp_lt_i32 s2, 8
	s_cbranch_scc1 .LBB256_1441
; %bb.1432:
	s_cmp_lt_i32 s2, 9
	s_cbranch_scc1 .LBB256_1438
; %bb.1433:
	s_cmp_gt_i32 s2, 9
	s_cbranch_scc0 .LBB256_1435
; %bb.1434:
	s_waitcnt vmcnt(0)
	v_mov_b32_e32 v6, 0
	v_cvt_f64_f32_e32 v[4:5], v2
	v_mov_b32_e32 v7, v6
	global_store_dwordx4 v[0:1], v[4:7], off
	s_mov_b64 s[0:1], 0
.LBB256_1435:
	s_andn2_b64 vcc, exec, s[0:1]
	s_cbranch_vccnz .LBB256_1437
; %bb.1436:
	s_waitcnt vmcnt(0)
	v_mov_b32_e32 v3, 0
	global_store_dwordx2 v[0:1], v[2:3], off
.LBB256_1437:
	s_mov_b64 s[0:1], 0
.LBB256_1438:
	s_andn2_b64 vcc, exec, s[0:1]
	s_cbranch_vccnz .LBB256_1440
; %bb.1439:
	s_waitcnt vmcnt(0)
	v_cvt_f16_f32_e32 v3, v2
	global_store_dword v[0:1], v3, off
.LBB256_1440:
	s_mov_b64 s[0:1], 0
.LBB256_1441:
	s_andn2_b64 vcc, exec, s[0:1]
	s_cbranch_vccnz .LBB256_1450
; %bb.1442:
	s_sext_i32_i16 s2, s20
	s_cmp_lt_i32 s2, 6
	s_mov_b64 s[0:1], -1
	s_cbranch_scc1 .LBB256_1448
; %bb.1443:
	s_cmp_gt_i32 s2, 6
	s_cbranch_scc0 .LBB256_1445
; %bb.1444:
	v_cvt_f64_f32_e32 v[4:5], v2
	global_store_dwordx2 v[0:1], v[4:5], off
	s_mov_b64 s[0:1], 0
.LBB256_1445:
	s_andn2_b64 vcc, exec, s[0:1]
	s_cbranch_vccnz .LBB256_1447
; %bb.1446:
	global_store_dword v[0:1], v2, off
.LBB256_1447:
	s_mov_b64 s[0:1], 0
.LBB256_1448:
	s_andn2_b64 vcc, exec, s[0:1]
	s_cbranch_vccnz .LBB256_1450
; %bb.1449:
	s_waitcnt vmcnt(0)
	v_cvt_f16_f32_e32 v3, v2
	global_store_short v[0:1], v3, off
.LBB256_1450:
	s_mov_b64 s[0:1], 0
.LBB256_1451:
	s_andn2_b64 vcc, exec, s[0:1]
	s_cbranch_vccnz .LBB256_1467
; %bb.1452:
	s_sext_i32_i16 s2, s20
	s_cmp_lt_i32 s2, 2
	s_mov_b64 s[0:1], -1
	s_cbranch_scc1 .LBB256_1462
; %bb.1453:
	s_cmp_lt_i32 s2, 3
	s_cbranch_scc1 .LBB256_1459
; %bb.1454:
	s_cmp_gt_i32 s2, 3
	s_cbranch_scc0 .LBB256_1456
; %bb.1455:
	s_waitcnt vmcnt(0)
	v_trunc_f32_e32 v3, v2
	s_mov_b32 s0, 0x2f800000
	v_mul_f32_e64 v4, |v3|, s0
	v_floor_f32_e32 v4, v4
	s_mov_b32 s0, 0xcf800000
	v_cvt_u32_f32_e32 v5, v4
	v_fma_f32 v4, v4, s0, |v3|
	v_cvt_u32_f32_e32 v4, v4
	v_ashrrev_i32_e32 v3, 31, v3
	v_xor_b32_e32 v5, v5, v3
	s_mov_b64 s[0:1], 0
	v_xor_b32_e32 v4, v4, v3
	v_sub_co_u32_e32 v4, vcc, v4, v3
	s_nop 1
	v_subb_co_u32_e32 v5, vcc, v5, v3, vcc
	global_store_dwordx2 v[0:1], v[4:5], off
.LBB256_1456:
	s_andn2_b64 vcc, exec, s[0:1]
	s_cbranch_vccnz .LBB256_1458
; %bb.1457:
	s_waitcnt vmcnt(0)
	v_cvt_i32_f32_e32 v3, v2
	global_store_dword v[0:1], v3, off
.LBB256_1458:
	s_mov_b64 s[0:1], 0
.LBB256_1459:
	s_andn2_b64 vcc, exec, s[0:1]
	s_cbranch_vccnz .LBB256_1461
; %bb.1460:
	s_waitcnt vmcnt(0)
	v_cvt_i32_f32_e32 v3, v2
	global_store_short v[0:1], v3, off
.LBB256_1461:
	s_mov_b64 s[0:1], 0
.LBB256_1462:
	s_andn2_b64 vcc, exec, s[0:1]
	s_cbranch_vccnz .LBB256_1467
; %bb.1463:
	s_sext_i32_i16 s0, s20
	s_cmp_gt_i32 s0, 0
	s_mov_b64 s[0:1], -1
	s_cbranch_scc0 .LBB256_1465
; %bb.1464:
	s_waitcnt vmcnt(0)
	v_cvt_i32_f32_e32 v3, v2
	s_mov_b64 s[0:1], 0
	global_store_byte v[0:1], v3, off
.LBB256_1465:
	s_andn2_b64 vcc, exec, s[0:1]
	s_cbranch_vccnz .LBB256_1467
; %bb.1466:
	v_trunc_f32_e32 v2, v2
	s_mov_b32 s0, 0x2f800000
	s_waitcnt vmcnt(0)
	v_mul_f32_e64 v3, |v2|, s0
	v_floor_f32_e32 v3, v3
	s_mov_b32 s0, 0xcf800000
	v_fma_f32 v3, v3, s0, |v2|
	v_cvt_u32_f32_e32 v3, v3
	v_ashrrev_i32_e32 v2, 31, v2
	v_xor_b32_e32 v3, v3, v2
	v_sub_u32_e32 v2, v3, v2
	global_store_byte v[0:1], v2, off
	s_endpgm
.LBB256_1467:
	s_endpgm
.LBB256_1468:
	s_trap 2
	s_or_b64 s[14:15], s[14:15], exec
	s_cbranch_execz .LBB256_1372
	s_branch .LBB256_1373
.LBB256_1469:
	s_mov_b64 s[0:1], -1
                                        ; implicit-def: $vgpr6
	s_mov_b64 s[10:11], 0
.LBB256_1470:
	s_and_b64 vcc, exec, s[16:17]
	s_cbranch_vccz .LBB256_1474
; %bb.1471:
	s_cmp_eq_u32 s22, 44
	s_cbranch_scc0 .LBB256_1473
; %bb.1472:
	global_load_ubyte v2, v[0:1], off
	s_movk_i32 s9, 0xff
	v_mov_b32_e32 v3, 0x7f800001
	v_mov_b32_e32 v4, 0x400000
	s_mov_b64 s[0:1], 0
	s_mov_b64 s[10:11], -1
	s_waitcnt vmcnt(0)
	v_lshlrev_b32_e32 v6, 23, v2
	v_cmp_ne_u32_e32 vcc, s9, v2
	s_nop 1
	v_cndmask_b32_e32 v3, v3, v6, vcc
	v_cmp_ne_u32_e32 vcc, 0, v2
	s_nop 1
	v_cndmask_b32_e32 v6, v4, v3, vcc
	s_branch .LBB256_1474
.LBB256_1473:
	s_mov_b64 s[0:1], -1
                                        ; implicit-def: $vgpr6
.LBB256_1474:
	s_mov_b64 s[16:17], 0
.LBB256_1475:
	s_and_b64 vcc, exec, s[16:17]
	s_cbranch_vccz .LBB256_1479
; %bb.1476:
	s_cmp_eq_u32 s22, 29
	s_cbranch_scc0 .LBB256_1478
; %bb.1477:
	global_load_dwordx2 v[2:3], v[0:1], off
	s_mov_b64 s[0:1], 0
	s_mov_b64 s[10:11], -1
	s_mov_b64 s[16:17], 0
	s_waitcnt vmcnt(0)
	v_ffbh_u32_e32 v4, v3
	v_min_u32_e32 v4, 32, v4
	v_lshlrev_b64 v[2:3], v4, v[2:3]
	v_min_u32_e32 v2, 1, v2
	v_or_b32_e32 v2, v3, v2
	v_cvt_f32_u32_e32 v2, v2
	v_sub_u32_e32 v3, 32, v4
	v_ldexp_f32 v6, v2, v3
	s_branch .LBB256_1480
.LBB256_1478:
	s_mov_b64 s[0:1], -1
                                        ; implicit-def: $vgpr6
.LBB256_1479:
	s_mov_b64 s[16:17], 0
.LBB256_1480:
	s_and_b64 vcc, exec, s[16:17]
	s_cbranch_vccz .LBB256_1498
; %bb.1481:
	s_cmp_lt_i32 s22, 27
	s_cbranch_scc1 .LBB256_1484
; %bb.1482:
	s_cmp_gt_i32 s22, 27
	s_cbranch_scc0 .LBB256_1485
; %bb.1483:
	global_load_dword v2, v[0:1], off
	s_mov_b64 s[10:11], 0
	s_waitcnt vmcnt(0)
	v_cvt_f32_u32_e32 v6, v2
	s_branch .LBB256_1486
.LBB256_1484:
	s_mov_b64 s[10:11], -1
                                        ; implicit-def: $vgpr6
	s_branch .LBB256_1489
.LBB256_1485:
	s_mov_b64 s[10:11], -1
                                        ; implicit-def: $vgpr6
.LBB256_1486:
	s_andn2_b64 vcc, exec, s[10:11]
	s_cbranch_vccnz .LBB256_1488
; %bb.1487:
	global_load_ushort v2, v[0:1], off
	s_waitcnt vmcnt(0)
	v_cvt_f32_u32_e32 v6, v2
.LBB256_1488:
	s_mov_b64 s[10:11], 0
.LBB256_1489:
	s_andn2_b64 vcc, exec, s[10:11]
	s_cbranch_vccnz .LBB256_1497
; %bb.1490:
	global_load_ubyte v2, v[0:1], off
	s_movk_i32 s9, 0x7f
	s_mov_b64 s[10:11], 0
	s_waitcnt vmcnt(0)
	v_cmp_lt_i16_e32 vcc, s9, v2
	s_and_saveexec_b64 s[16:17], vcc
	s_xor_b64 s[16:17], exec, s[16:17]
	s_cbranch_execz .LBB256_1511
; %bb.1491:
	s_movk_i32 s9, 0x80
	v_cmp_eq_u16_e32 vcc, s9, v2
	s_mov_b64 s[10:11], -1
	s_and_saveexec_b64 s[18:19], vcc
; %bb.1492:
	s_xor_b64 s[10:11], exec, -1
; %bb.1493:
	s_or_b64 exec, exec, s[18:19]
	s_and_b64 s[10:11], s[10:11], exec
	s_or_saveexec_b64 s[16:17], s[16:17]
	v_mov_b32_e32 v6, 0x7f800001
	s_xor_b64 exec, exec, s[16:17]
	s_cbranch_execnz .LBB256_1512
.LBB256_1494:
	s_or_b64 exec, exec, s[16:17]
	s_and_saveexec_b64 s[16:17], s[10:11]
	s_cbranch_execz .LBB256_1496
.LBB256_1495:
	v_lshlrev_b32_e32 v3, 24, v2
	v_and_b32_e32 v2, 0xffff, v2
	v_and_b32_e32 v4, 7, v2
	v_ffbh_u32_e32 v10, v4
	v_min_u32_e32 v10, 32, v10
	v_subrev_u32_e32 v11, 28, v10
	v_bfe_u32 v6, v2, 3, 4
	v_lshlrev_b32_e32 v2, v11, v2
	v_sub_u32_e32 v10, 29, v10
	v_and_b32_e32 v2, 7, v2
	v_cmp_eq_u32_e32 vcc, 0, v6
	v_and_b32_e32 v3, 0x80000000, v3
	s_nop 0
	v_cndmask_b32_e32 v6, v6, v10, vcc
	v_cndmask_b32_e32 v2, v4, v2, vcc
	v_mov_b32_e32 v4, 0x3b800000
	v_lshlrev_b32_e32 v2, 20, v2
	v_lshl_add_u32 v4, v6, 23, v4
	v_or3_b32 v6, v3, v4, v2
.LBB256_1496:
	s_or_b64 exec, exec, s[16:17]
.LBB256_1497:
	s_mov_b64 s[10:11], -1
.LBB256_1498:
	s_mov_b64 s[16:17], 0
.LBB256_1499:
	s_and_b64 vcc, exec, s[16:17]
	s_cbranch_vccz .LBB256_1532
; %bb.1500:
	s_cmp_gt_i32 s22, 22
	s_cbranch_scc0 .LBB256_1510
; %bb.1501:
	s_cmp_lt_i32 s22, 24
	s_cbranch_scc1 .LBB256_1513
; %bb.1502:
	s_cmp_gt_i32 s22, 24
	s_cbranch_scc0 .LBB256_1514
; %bb.1503:
	global_load_ubyte v2, v[0:1], off
	s_movk_i32 s6, 0x7f
	s_waitcnt vmcnt(0)
	v_cmp_lt_i16_e32 vcc, s6, v2
	s_mov_b64 s[6:7], 0
	s_and_saveexec_b64 s[10:11], vcc
	s_xor_b64 s[10:11], exec, s[10:11]
	s_cbranch_execz .LBB256_1526
; %bb.1504:
	s_movk_i32 s6, 0x80
	v_cmp_eq_u16_e32 vcc, s6, v2
	s_mov_b64 s[6:7], -1
	s_and_saveexec_b64 s[16:17], vcc
; %bb.1505:
	s_xor_b64 s[6:7], exec, -1
; %bb.1506:
	s_or_b64 exec, exec, s[16:17]
	s_and_b64 s[6:7], s[6:7], exec
	s_or_saveexec_b64 s[10:11], s[10:11]
	v_mov_b32_e32 v6, 0x7f800001
	s_xor_b64 exec, exec, s[10:11]
	s_cbranch_execnz .LBB256_1527
.LBB256_1507:
	s_or_b64 exec, exec, s[10:11]
	s_and_saveexec_b64 s[10:11], s[6:7]
	s_cbranch_execz .LBB256_1509
.LBB256_1508:
	v_lshlrev_b32_e32 v3, 24, v2
	v_and_b32_e32 v2, 0xffff, v2
	v_and_b32_e32 v4, 3, v2
	v_ffbh_u32_e32 v10, v4
	v_min_u32_e32 v10, 32, v10
	v_subrev_u32_e32 v11, 29, v10
	v_bfe_u32 v6, v2, 2, 5
	v_lshlrev_b32_e32 v2, v11, v2
	v_sub_u32_e32 v10, 30, v10
	v_and_b32_e32 v2, 3, v2
	v_cmp_eq_u32_e32 vcc, 0, v6
	v_and_b32_e32 v3, 0x80000000, v3
	s_nop 0
	v_cndmask_b32_e32 v6, v6, v10, vcc
	v_cndmask_b32_e32 v2, v4, v2, vcc
	v_mov_b32_e32 v4, 0x37800000
	v_lshlrev_b32_e32 v2, 21, v2
	v_lshl_add_u32 v4, v6, 23, v4
	v_or3_b32 v6, v3, v4, v2
.LBB256_1509:
	s_or_b64 exec, exec, s[10:11]
	s_mov_b64 s[6:7], 0
	s_branch .LBB256_1515
.LBB256_1510:
	s_mov_b64 s[6:7], -1
                                        ; implicit-def: $vgpr6
	s_branch .LBB256_1521
.LBB256_1511:
	s_or_saveexec_b64 s[16:17], s[16:17]
	v_mov_b32_e32 v6, 0x7f800001
	s_xor_b64 exec, exec, s[16:17]
	s_cbranch_execz .LBB256_1494
.LBB256_1512:
	v_cmp_ne_u16_e32 vcc, 0, v2
	s_andn2_b64 s[10:11], s[10:11], exec
	s_and_b64 s[18:19], vcc, exec
	v_mov_b32_e32 v6, 0
	s_or_b64 s[10:11], s[10:11], s[18:19]
	s_or_b64 exec, exec, s[16:17]
	s_and_saveexec_b64 s[16:17], s[10:11]
	s_cbranch_execnz .LBB256_1495
	s_branch .LBB256_1496
.LBB256_1513:
	s_mov_b64 s[6:7], -1
                                        ; implicit-def: $vgpr6
	s_branch .LBB256_1518
.LBB256_1514:
	s_mov_b64 s[6:7], -1
                                        ; implicit-def: $vgpr6
.LBB256_1515:
	s_and_b64 vcc, exec, s[6:7]
	s_cbranch_vccz .LBB256_1517
; %bb.1516:
	global_load_ubyte v2, v[0:1], off
	s_mov_b32 s6, 0x7f800000
	s_waitcnt vmcnt(0)
	v_lshlrev_b32_e32 v2, 24, v2
	v_and_b32_e32 v3, 0x7f000000, v2
	v_ffbh_u32_e32 v4, v3
	v_min_u32_e32 v4, 32, v4
	v_sub_u32_e64 v4, v4, 4 clamp
	v_lshlrev_b32_e32 v10, v4, v3
	v_lshlrev_b32_e32 v4, 23, v4
	v_lshrrev_b32_e32 v10, 4, v10
	v_add_u32_e32 v6, 0x1000000, v3
	v_sub_u32_e32 v4, v10, v4
	v_ashrrev_i32_e32 v6, 8, v6
	v_add_u32_e32 v4, 0x3c000000, v4
	v_and_or_b32 v4, v6, s6, v4
	v_cmp_ne_u32_e32 vcc, 0, v3
	s_brev_b32 s6, 1
	s_nop 0
	v_cndmask_b32_e32 v3, 0, v4, vcc
	v_and_or_b32 v6, v2, s6, v3
.LBB256_1517:
	s_mov_b64 s[6:7], 0
.LBB256_1518:
	s_andn2_b64 vcc, exec, s[6:7]
	s_cbranch_vccnz .LBB256_1520
; %bb.1519:
	global_load_ubyte v2, v[0:1], off
	s_movk_i32 s6, 0x7f00
	s_brev_b32 s7, 16
	s_waitcnt vmcnt(0)
	v_lshlrev_b16_e32 v3, 8, v2
	v_lshlrev_b32_e32 v2, 25, v2
	v_lshrrev_b32_e32 v4, 4, v2
	v_and_or_b32 v6, v3, s6, 0.5
	v_or_b32_e32 v4, 0x70000000, v4
	v_add_f32_e32 v6, -0.5, v6
	v_mul_f32_e32 v4, 0x7800000, v4
	v_cmp_gt_u32_e32 vcc, s7, v2
	v_bfe_i32 v3, v3, 0, 16
	s_brev_b32 s6, 1
	v_cndmask_b32_e32 v2, v4, v6, vcc
	v_and_or_b32 v6, v3, s6, v2
.LBB256_1520:
	s_mov_b64 s[6:7], 0
	s_mov_b64 s[10:11], -1
.LBB256_1521:
	s_andn2_b64 vcc, exec, s[6:7]
	s_mov_b64 s[6:7], 0
	s_cbranch_vccnz .LBB256_1532
; %bb.1522:
	s_cmp_gt_i32 s22, 14
	s_cbranch_scc0 .LBB256_1525
; %bb.1523:
	s_cmp_eq_u32 s22, 15
	s_cbranch_scc0 .LBB256_1528
; %bb.1524:
	global_load_ushort v2, v[0:1], off
	s_mov_b64 s[0:1], 0
	s_mov_b64 s[10:11], -1
	s_waitcnt vmcnt(0)
	v_lshlrev_b32_e32 v6, 16, v2
	s_branch .LBB256_1529
.LBB256_1525:
	s_mov_b64 s[16:17], -1
                                        ; implicit-def: $vgpr6
	s_branch .LBB256_1530
.LBB256_1526:
	s_or_saveexec_b64 s[10:11], s[10:11]
	v_mov_b32_e32 v6, 0x7f800001
	s_xor_b64 exec, exec, s[10:11]
	s_cbranch_execz .LBB256_1507
.LBB256_1527:
	v_cmp_ne_u16_e32 vcc, 0, v2
	s_andn2_b64 s[6:7], s[6:7], exec
	s_and_b64 s[16:17], vcc, exec
	v_mov_b32_e32 v6, 0
	s_or_b64 s[6:7], s[6:7], s[16:17]
	s_or_b64 exec, exec, s[10:11]
	s_and_saveexec_b64 s[10:11], s[6:7]
	s_cbranch_execnz .LBB256_1508
	s_branch .LBB256_1509
.LBB256_1528:
	s_mov_b64 s[0:1], -1
                                        ; implicit-def: $vgpr6
.LBB256_1529:
	s_mov_b64 s[16:17], 0
.LBB256_1530:
	s_and_b64 vcc, exec, s[16:17]
	s_cbranch_vccz .LBB256_1532
; %bb.1531:
	s_cmp_lg_u32 s22, 11
	s_mov_b64 s[6:7], -1
	s_cselect_b64 s[0:1], -1, 0
.LBB256_1532:
	s_and_b64 vcc, exec, s[0:1]
	s_cbranch_vccnz .LBB256_2021
; %bb.1533:
	s_andn2_b64 vcc, exec, s[6:7]
	s_cbranch_vccnz .LBB256_1535
.LBB256_1534:
	global_load_ubyte v2, v[0:1], off
	s_mov_b64 s[10:11], -1
	s_waitcnt vmcnt(0)
	v_cmp_ne_u16_e32 vcc, 0, v2
	s_nop 1
	v_cndmask_b32_e64 v6, 0, 1.0, vcc
.LBB256_1535:
	s_mov_b64 s[0:1], 0
.LBB256_1536:
	s_and_b64 vcc, exec, s[0:1]
	s_cbranch_vccz .LBB256_1585
; %bb.1537:
	s_cmp_lt_i32 s22, 5
	s_cbranch_scc1 .LBB256_1542
; %bb.1538:
	s_cmp_lt_i32 s22, 8
	s_cbranch_scc1 .LBB256_1543
	;; [unrolled: 3-line block ×3, first 2 shown]
; %bb.1540:
	s_cmp_gt_i32 s22, 9
	s_cbranch_scc0 .LBB256_1545
; %bb.1541:
	global_load_dwordx2 v[2:3], v[0:1], off
	s_mov_b64 s[0:1], 0
	s_waitcnt vmcnt(0)
	v_cvt_f32_f64_e32 v6, v[2:3]
	s_branch .LBB256_1546
.LBB256_1542:
	s_mov_b64 s[0:1], -1
                                        ; implicit-def: $vgpr6
	s_branch .LBB256_1564
.LBB256_1543:
	s_mov_b64 s[0:1], -1
                                        ; implicit-def: $vgpr6
	s_branch .LBB256_1552
.LBB256_1544:
	s_mov_b64 s[0:1], -1
                                        ; implicit-def: $vgpr6
	s_branch .LBB256_1549
.LBB256_1545:
	s_mov_b64 s[0:1], -1
                                        ; implicit-def: $vgpr6
.LBB256_1546:
	s_andn2_b64 vcc, exec, s[0:1]
	s_cbranch_vccnz .LBB256_1548
; %bb.1547:
	global_load_dword v6, v[0:1], off
.LBB256_1548:
	s_mov_b64 s[0:1], 0
.LBB256_1549:
	s_andn2_b64 vcc, exec, s[0:1]
	s_cbranch_vccnz .LBB256_1551
; %bb.1550:
	global_load_dword v2, v[0:1], off
	s_waitcnt vmcnt(0)
	v_cvt_f32_f16_e32 v6, v2
.LBB256_1551:
	s_mov_b64 s[0:1], 0
.LBB256_1552:
	s_andn2_b64 vcc, exec, s[0:1]
	s_cbranch_vccnz .LBB256_1563
; %bb.1553:
	s_cmp_lt_i32 s22, 6
	s_cbranch_scc1 .LBB256_1556
; %bb.1554:
	s_cmp_gt_i32 s22, 6
	s_cbranch_scc0 .LBB256_1557
; %bb.1555:
	global_load_dwordx2 v[2:3], v[0:1], off
	s_mov_b64 s[0:1], 0
	s_waitcnt vmcnt(0)
	v_cvt_f32_f64_e32 v6, v[2:3]
	s_branch .LBB256_1558
.LBB256_1556:
	s_mov_b64 s[0:1], -1
                                        ; implicit-def: $vgpr6
	s_branch .LBB256_1561
.LBB256_1557:
	s_mov_b64 s[0:1], -1
                                        ; implicit-def: $vgpr6
.LBB256_1558:
	s_andn2_b64 vcc, exec, s[0:1]
	s_cbranch_vccnz .LBB256_1560
; %bb.1559:
	global_load_dword v6, v[0:1], off
.LBB256_1560:
	s_mov_b64 s[0:1], 0
.LBB256_1561:
	s_andn2_b64 vcc, exec, s[0:1]
	s_cbranch_vccnz .LBB256_1563
; %bb.1562:
	global_load_ushort v2, v[0:1], off
	s_waitcnt vmcnt(0)
	v_cvt_f32_f16_e32 v6, v2
.LBB256_1563:
	s_mov_b64 s[0:1], 0
.LBB256_1564:
	s_andn2_b64 vcc, exec, s[0:1]
	s_cbranch_vccnz .LBB256_1584
; %bb.1565:
	s_cmp_lt_i32 s22, 2
	s_cbranch_scc1 .LBB256_1569
; %bb.1566:
	s_cmp_lt_i32 s22, 3
	s_cbranch_scc1 .LBB256_1570
; %bb.1567:
	s_cmp_gt_i32 s22, 3
	s_cbranch_scc0 .LBB256_1571
; %bb.1568:
	global_load_dwordx2 v[2:3], v[0:1], off
	s_mov_b64 s[0:1], 0
	s_waitcnt vmcnt(0)
	v_xor_b32_e32 v6, v2, v3
	v_ffbh_i32_e32 v4, v3
	v_ashrrev_i32_e32 v6, 31, v6
	v_add_u32_e32 v4, -1, v4
	v_add_u32_e32 v6, 32, v6
	v_min_u32_e32 v4, v4, v6
	v_lshlrev_b64 v[2:3], v4, v[2:3]
	v_min_u32_e32 v2, 1, v2
	v_or_b32_e32 v2, v3, v2
	v_cvt_f32_i32_e32 v2, v2
	v_sub_u32_e32 v3, 32, v4
	v_ldexp_f32 v6, v2, v3
	s_branch .LBB256_1572
.LBB256_1569:
	s_mov_b64 s[0:1], -1
                                        ; implicit-def: $vgpr6
	s_branch .LBB256_1578
.LBB256_1570:
	s_mov_b64 s[0:1], -1
                                        ; implicit-def: $vgpr6
	s_branch .LBB256_1575
.LBB256_1571:
	s_mov_b64 s[0:1], -1
                                        ; implicit-def: $vgpr6
.LBB256_1572:
	s_andn2_b64 vcc, exec, s[0:1]
	s_cbranch_vccnz .LBB256_1574
; %bb.1573:
	global_load_dword v2, v[0:1], off
	s_waitcnt vmcnt(0)
	v_cvt_f32_i32_e32 v6, v2
.LBB256_1574:
	s_mov_b64 s[0:1], 0
.LBB256_1575:
	s_andn2_b64 vcc, exec, s[0:1]
	s_cbranch_vccnz .LBB256_1577
; %bb.1576:
	global_load_sshort v2, v[0:1], off
	s_waitcnt vmcnt(0)
	v_cvt_f32_i32_e32 v6, v2
.LBB256_1577:
	s_mov_b64 s[0:1], 0
.LBB256_1578:
	s_andn2_b64 vcc, exec, s[0:1]
	s_cbranch_vccnz .LBB256_1584
; %bb.1579:
	s_cmp_gt_i32 s22, 0
	s_cbranch_scc0 .LBB256_1581
; %bb.1580:
	global_load_sbyte v2, v[0:1], off
	s_mov_b64 s[0:1], 0
	s_waitcnt vmcnt(0)
	v_cvt_f32_i32_e32 v6, v2
	s_branch .LBB256_1582
.LBB256_1581:
	s_mov_b64 s[0:1], -1
                                        ; implicit-def: $vgpr6
.LBB256_1582:
	s_andn2_b64 vcc, exec, s[0:1]
	s_cbranch_vccnz .LBB256_1584
; %bb.1583:
	global_load_ubyte v0, v[0:1], off
	s_waitcnt vmcnt(0)
	v_cvt_f32_ubyte0_e32 v6, v0
.LBB256_1584:
	s_mov_b64 s[10:11], -1
.LBB256_1585:
	s_andn2_b64 vcc, exec, s[10:11]
	s_cbranch_vccnz .LBB256_2019
; %bb.1586:
	s_mov_b32 s0, 0xf800000
	s_waitcnt vmcnt(0)
	v_mul_f32_e32 v0, 0x4f800000, v9
	v_cmp_gt_f32_e32 vcc, s0, v9
	s_and_b32 s20, s33, 0xff
	s_cmp_lt_i32 s20, 11
	v_cndmask_b32_e32 v0, v9, v0, vcc
	v_sqrt_f32_e32 v1, v0
	s_nop 0
	v_add_u32_e32 v2, -1, v1
	v_fma_f32 v3, -v2, v1, v0
	v_cmp_ge_f32_e64 s[0:1], 0, v3
	v_add_u32_e32 v3, 1, v1
	s_nop 0
	v_cndmask_b32_e64 v2, v1, v2, s[0:1]
	v_fma_f32 v1, -v3, v1, v0
	v_cmp_lt_f32_e64 s[0:1], 0, v1
	s_nop 1
	v_cndmask_b32_e64 v1, v2, v3, s[0:1]
	v_mul_f32_e32 v2, 0x37800000, v1
	v_cndmask_b32_e32 v1, v1, v2, vcc
	v_mov_b32_e32 v2, 0x260
	v_cmp_class_f32_e32 vcc, v0, v2
	s_nop 1
	v_cndmask_b32_e32 v4, v1, v0, vcc
	v_mul_lo_u32 v0, s8, v5
	v_ashrrev_i32_e32 v1, 31, v0
	v_lshl_add_u64 v[2:3], s[4:5], 0, v[0:1]
	s_cbranch_scc1 .LBB256_1664
; %bb.1587:
	s_and_b32 s9, 0xffff, s20
	s_mov_b64 s[16:17], -1
	s_mov_b64 s[6:7], 0
	s_cmp_gt_i32 s9, 25
	s_mov_b64 s[10:11], 0
	s_mov_b64 s[0:1], 0
	s_cbranch_scc0 .LBB256_1620
; %bb.1588:
	s_cmp_gt_i32 s9, 28
	s_cbranch_scc0 .LBB256_1603
; %bb.1589:
	s_cmp_gt_i32 s9, 43
	;; [unrolled: 3-line block ×3, first 2 shown]
	s_cbranch_scc0 .LBB256_1593
; %bb.1591:
	s_mov_b64 s[0:1], -1
	s_mov_b64 s[16:17], 0
	s_cmp_eq_u32 s9, 46
	s_cbranch_scc0 .LBB256_1593
; %bb.1592:
	v_bfe_u32 v1, v4, 16, 1
	s_movk_i32 s0, 0x7fff
	v_add3_u32 v1, v4, v1, s0
	v_cmp_le_f32_e32 vcc, 0, v9
	v_mov_b32_e32 v5, 0x7fc0
	s_mov_b64 s[0:1], 0
	v_cndmask_b32_sdwa v1, v5, v1, vcc dst_sel:DWORD dst_unused:UNUSED_PAD src0_sel:DWORD src1_sel:WORD_1
	global_store_dword v[2:3], v1, off
	s_mov_b64 s[10:11], -1
.LBB256_1593:
	s_and_b64 vcc, exec, s[16:17]
	s_cbranch_vccz .LBB256_1598
; %bb.1594:
	s_cmp_eq_u32 s9, 44
	s_mov_b64 s[0:1], -1
	s_cbranch_scc0 .LBB256_1598
; %bb.1595:
	v_bfe_u32 v1, v4, 23, 8
	s_movk_i32 s0, 0xff
	v_cmp_ne_u32_e32 vcc, s0, v1
	v_mov_b32_e32 v5, 0xff
	s_and_saveexec_b64 s[10:11], vcc
; %bb.1596:
	s_mov_b32 s0, 0x3fffff
	v_and_b32_e32 v10, 0x400000, v4
	v_and_or_b32 v1, v4, s0, v1
	v_cmp_ne_u32_e32 vcc, 0, v10
	v_cmp_ne_u32_e64 s[0:1], 0, v1
	s_and_b64 s[0:1], vcc, s[0:1]
	v_lshrrev_b32_e32 v5, 23, v4
	v_cndmask_b32_e64 v1, 0, 1, s[0:1]
	v_add_u32_e32 v5, v5, v1
; %bb.1597:
	s_or_b64 exec, exec, s[10:11]
	s_mov_b64 s[0:1], 0
	s_mov_b64 s[10:11], -1
	global_store_byte v[2:3], v5, off
.LBB256_1598:
	s_mov_b64 s[16:17], 0
.LBB256_1599:
	s_and_b64 vcc, exec, s[16:17]
	s_cbranch_vccz .LBB256_1602
; %bb.1600:
	s_cmp_eq_u32 s9, 29
	s_mov_b64 s[0:1], -1
	s_cbranch_scc0 .LBB256_1602
; %bb.1601:
	v_trunc_f32_e32 v1, v4
	v_mul_f32_e32 v5, 0x2f800000, v1
	v_floor_f32_e32 v5, v5
	v_fmamk_f32 v1, v5, 0xcf800000, v1
	v_cvt_u32_f32_e32 v11, v5
	v_cvt_u32_f32_e32 v10, v1
	s_mov_b64 s[0:1], 0
	s_mov_b64 s[10:11], -1
	global_store_dwordx2 v[2:3], v[10:11], off
.LBB256_1602:
	s_mov_b64 s[16:17], 0
.LBB256_1603:
	s_and_b64 vcc, exec, s[16:17]
	s_cbranch_vccz .LBB256_1619
; %bb.1604:
	s_cmp_lt_i32 s9, 27
	s_mov_b64 s[10:11], -1
	s_cbranch_scc1 .LBB256_1610
; %bb.1605:
	v_cvt_u32_f32_e32 v1, v4
	s_cmp_gt_i32 s9, 27
	s_cbranch_scc0 .LBB256_1607
; %bb.1606:
	s_mov_b64 s[10:11], 0
	global_store_dword v[2:3], v1, off
.LBB256_1607:
	s_andn2_b64 vcc, exec, s[10:11]
	s_cbranch_vccnz .LBB256_1609
; %bb.1608:
	global_store_short v[2:3], v1, off
.LBB256_1609:
	s_mov_b64 s[10:11], 0
.LBB256_1610:
	s_andn2_b64 vcc, exec, s[10:11]
	s_cbranch_vccnz .LBB256_1618
; %bb.1611:
	v_and_b32_e32 v1, 0x7fffffff, v4
	s_mov_b32 s10, 0x43800000
	v_cmp_gt_u32_e32 vcc, s10, v1
	v_mov_b32_e32 v5, 0x80
	s_and_saveexec_b64 s[10:11], vcc
	s_cbranch_execz .LBB256_1617
; %bb.1612:
	s_mov_b32 s16, 0x3bffffff
	v_cmp_lt_u32_e32 vcc, s16, v1
	s_mov_b64 s[16:17], 0
                                        ; implicit-def: $vgpr1
	s_and_saveexec_b64 s[18:19], vcc
	s_xor_b64 s[18:19], exec, s[18:19]
	s_cbranch_execz .LBB256_2022
; %bb.1613:
	v_bfe_u32 v1, v4, 20, 1
	s_mov_b32 s21, 0x487ffff
	v_add3_u32 v1, v4, v1, s21
	s_mov_b64 s[16:17], exec
	v_lshrrev_b32_e32 v1, 20, v1
	s_andn2_saveexec_b64 s[18:19], s[18:19]
	s_cbranch_execnz .LBB256_2023
.LBB256_1614:
	s_or_b64 exec, exec, s[18:19]
	v_mov_b32_e32 v5, 0
	s_and_saveexec_b64 s[18:19], s[16:17]
.LBB256_1615:
	v_lshrrev_b32_e32 v5, 24, v4
	s_movk_i32 s16, 0x80
	v_and_or_b32 v5, v5, s16, v1
.LBB256_1616:
	s_or_b64 exec, exec, s[18:19]
.LBB256_1617:
	s_or_b64 exec, exec, s[10:11]
	global_store_byte v[2:3], v5, off
.LBB256_1618:
	s_mov_b64 s[10:11], -1
.LBB256_1619:
	s_mov_b64 s[16:17], 0
.LBB256_1620:
	s_and_b64 vcc, exec, s[16:17]
	s_cbranch_vccz .LBB256_1660
; %bb.1621:
	s_cmp_gt_i32 s9, 22
	s_mov_b64 s[6:7], -1
	s_cbranch_scc0 .LBB256_1653
; %bb.1622:
	s_cmp_lt_i32 s9, 24
	s_cbranch_scc1 .LBB256_1642
; %bb.1623:
	s_cmp_gt_i32 s9, 24
	s_cbranch_scc0 .LBB256_1631
; %bb.1624:
	v_and_b32_e32 v1, 0x7fffffff, v4
	s_mov_b32 s6, 0x47800000
	v_cmp_gt_u32_e32 vcc, s6, v1
	v_mov_b32_e32 v5, 0x80
	s_and_saveexec_b64 s[6:7], vcc
	s_cbranch_execz .LBB256_1630
; %bb.1625:
	s_mov_b32 s10, 0x37ffffff
	v_cmp_lt_u32_e32 vcc, s10, v1
	s_mov_b64 s[10:11], 0
                                        ; implicit-def: $vgpr1
	s_and_saveexec_b64 s[16:17], vcc
	s_xor_b64 s[16:17], exec, s[16:17]
	s_cbranch_execz .LBB256_2025
; %bb.1626:
	v_bfe_u32 v1, v4, 21, 1
	s_mov_b32 s18, 0x88fffff
	v_add3_u32 v1, v4, v1, s18
	s_mov_b64 s[10:11], exec
	v_lshrrev_b32_e32 v1, 21, v1
	s_andn2_saveexec_b64 s[16:17], s[16:17]
	s_cbranch_execnz .LBB256_2026
.LBB256_1627:
	s_or_b64 exec, exec, s[16:17]
	v_mov_b32_e32 v5, 0
	s_and_saveexec_b64 s[16:17], s[10:11]
.LBB256_1628:
	v_lshrrev_b32_e32 v5, 24, v4
	s_movk_i32 s10, 0x80
	v_and_or_b32 v5, v5, s10, v1
.LBB256_1629:
	s_or_b64 exec, exec, s[16:17]
.LBB256_1630:
	s_or_b64 exec, exec, s[6:7]
	s_mov_b64 s[6:7], 0
	global_store_byte v[2:3], v5, off
.LBB256_1631:
	s_and_b64 vcc, exec, s[6:7]
	s_cbranch_vccz .LBB256_1641
; %bb.1632:
	v_and_b32_e32 v5, 0x7fffffff, v4
	s_mov_b32 s6, 0x43f00000
	v_cmp_gt_u32_e32 vcc, s6, v5
                                        ; implicit-def: $vgpr1
	s_and_saveexec_b64 s[6:7], vcc
	s_xor_b64 s[6:7], exec, s[6:7]
	s_cbranch_execz .LBB256_1638
; %bb.1633:
	s_mov_b32 s10, 0x3c7fffff
	v_cmp_lt_u32_e32 vcc, s10, v5
                                        ; implicit-def: $vgpr1
	s_and_saveexec_b64 s[10:11], vcc
	s_xor_b64 s[10:11], exec, s[10:11]
; %bb.1634:
	v_bfe_u32 v1, v4, 20, 1
	s_mov_b32 s16, 0x407ffff
	v_add3_u32 v1, v4, v1, s16
	v_lshrrev_b32_e32 v5, 20, v1
	v_and_b32_e32 v1, 0xff00000, v1
	s_mov_b32 s16, 0x7f00000
	v_mov_b32_e32 v10, 0x7e
	v_cmp_ne_u32_e32 vcc, s16, v1
	s_nop 1
	v_cndmask_b32_e32 v1, v10, v5, vcc
; %bb.1635:
	s_andn2_saveexec_b64 s[10:11], s[10:11]
; %bb.1636:
	s_mov_b32 s16, 0x46800000
	v_add_f32_e64 v1, |v4|, s16
; %bb.1637:
	s_or_b64 exec, exec, s[10:11]
                                        ; implicit-def: $vgpr5
.LBB256_1638:
	s_andn2_saveexec_b64 s[6:7], s[6:7]
; %bb.1639:
	s_mov_b32 s10, 0x7f800000
	v_mov_b32_e32 v1, 0x7e
	v_mov_b32_e32 v10, 0x7f
	v_cmp_lt_u32_e32 vcc, s10, v5
	s_nop 1
	v_cndmask_b32_e32 v1, v1, v10, vcc
; %bb.1640:
	s_or_b64 exec, exec, s[6:7]
	v_lshrrev_b32_e32 v5, 24, v4
	s_movk_i32 s6, 0x80
	v_and_or_b32 v1, v5, s6, v1
	global_store_byte v[2:3], v1, off
.LBB256_1641:
	s_mov_b64 s[6:7], 0
.LBB256_1642:
	s_andn2_b64 vcc, exec, s[6:7]
	s_cbranch_vccnz .LBB256_1652
; %bb.1643:
	v_and_b32_e32 v5, 0x7fffffff, v4
	s_mov_b32 s6, 0x47800000
	v_cmp_gt_u32_e32 vcc, s6, v5
                                        ; implicit-def: $vgpr1
	s_and_saveexec_b64 s[6:7], vcc
	s_xor_b64 s[6:7], exec, s[6:7]
	s_cbranch_execz .LBB256_1649
; %bb.1644:
	s_mov_b32 s10, 0x387fffff
	v_cmp_lt_u32_e32 vcc, s10, v5
                                        ; implicit-def: $vgpr1
	s_and_saveexec_b64 s[10:11], vcc
	s_xor_b64 s[10:11], exec, s[10:11]
; %bb.1645:
	v_bfe_u32 v1, v4, 21, 1
	s_mov_b32 s16, 0x80fffff
	v_add3_u32 v1, v4, v1, s16
	v_lshrrev_b32_e32 v1, 21, v1
; %bb.1646:
	s_andn2_saveexec_b64 s[10:11], s[10:11]
; %bb.1647:
	s_mov_b32 s16, 0x43000000
	v_add_f32_e64 v1, |v4|, s16
; %bb.1648:
	s_or_b64 exec, exec, s[10:11]
                                        ; implicit-def: $vgpr5
.LBB256_1649:
	s_andn2_saveexec_b64 s[6:7], s[6:7]
; %bb.1650:
	s_mov_b32 s10, 0x7f800000
	v_mov_b32_e32 v1, 0x7c
	v_mov_b32_e32 v10, 0x7f
	v_cmp_lt_u32_e32 vcc, s10, v5
	s_nop 1
	v_cndmask_b32_e32 v1, v1, v10, vcc
; %bb.1651:
	s_or_b64 exec, exec, s[6:7]
	v_lshrrev_b32_e32 v5, 24, v4
	s_movk_i32 s6, 0x80
	v_and_or_b32 v1, v5, s6, v1
	global_store_byte v[2:3], v1, off
.LBB256_1652:
	s_mov_b64 s[6:7], 0
	s_mov_b64 s[10:11], -1
.LBB256_1653:
	s_andn2_b64 vcc, exec, s[6:7]
	s_mov_b64 s[6:7], 0
	s_cbranch_vccnz .LBB256_1660
; %bb.1654:
	s_cmp_gt_i32 s9, 14
	s_mov_b64 s[16:17], -1
	s_cbranch_scc0 .LBB256_1658
; %bb.1655:
	s_cmp_eq_u32 s9, 15
	s_mov_b64 s[0:1], -1
	s_cbranch_scc0 .LBB256_1657
; %bb.1656:
	v_bfe_u32 v1, v4, 16, 1
	s_movk_i32 s0, 0x7fff
	v_add3_u32 v1, v4, v1, s0
	v_cmp_le_f32_e32 vcc, 0, v9
	v_mov_b32_e32 v5, 0x7fc0
	s_mov_b64 s[0:1], 0
	v_cndmask_b32_sdwa v1, v5, v1, vcc dst_sel:DWORD dst_unused:UNUSED_PAD src0_sel:DWORD src1_sel:WORD_1
	global_store_short v[2:3], v1, off
	s_mov_b64 s[10:11], -1
.LBB256_1657:
	s_mov_b64 s[16:17], 0
.LBB256_1658:
	s_and_b64 vcc, exec, s[16:17]
	s_cbranch_vccz .LBB256_1660
; %bb.1659:
	s_cmp_lg_u32 s9, 11
	s_mov_b64 s[6:7], -1
	s_cselect_b64 s[0:1], -1, 0
.LBB256_1660:
	s_and_b64 vcc, exec, s[0:1]
	s_cbranch_vccnz .LBB256_2024
; %bb.1661:
	s_andn2_b64 vcc, exec, s[6:7]
	s_cbranch_vccnz .LBB256_1663
.LBB256_1662:
	v_cmp_neq_f32_e32 vcc, 0, v9
	s_mov_b64 s[10:11], -1
	s_nop 0
	v_cndmask_b32_e64 v1, 0, 1, vcc
	global_store_byte v[2:3], v1, off
.LBB256_1663:
	s_mov_b64 s[0:1], 0
	s_branch .LBB256_1665
.LBB256_1664:
	s_mov_b64 s[0:1], -1
	s_mov_b64 s[10:11], 0
.LBB256_1665:
	s_and_b64 vcc, exec, s[0:1]
	s_cbranch_vccz .LBB256_1704
; %bb.1666:
	s_and_b32 s6, 0xffff, s20
	s_cmp_lt_i32 s6, 5
	s_mov_b64 s[0:1], -1
	s_cbranch_scc1 .LBB256_1687
; %bb.1667:
	s_cmp_lt_i32 s6, 8
	s_cbranch_scc1 .LBB256_1677
; %bb.1668:
	s_cmp_lt_i32 s6, 9
	s_cbranch_scc1 .LBB256_1674
; %bb.1669:
	s_cmp_gt_i32 s6, 9
	s_cbranch_scc0 .LBB256_1671
; %bb.1670:
	v_mov_b32_e32 v12, 0
	v_cvt_f64_f32_e32 v[10:11], v4
	v_mov_b32_e32 v13, v12
	global_store_dwordx4 v[2:3], v[10:13], off
	s_mov_b64 s[0:1], 0
.LBB256_1671:
	s_andn2_b64 vcc, exec, s[0:1]
	s_cbranch_vccnz .LBB256_1673
; %bb.1672:
	v_mov_b32_e32 v5, 0
	global_store_dwordx2 v[2:3], v[4:5], off
.LBB256_1673:
	s_mov_b64 s[0:1], 0
.LBB256_1674:
	s_andn2_b64 vcc, exec, s[0:1]
	s_cbranch_vccnz .LBB256_1676
; %bb.1675:
	v_cvt_f16_f32_e32 v1, v4
	global_store_dword v[2:3], v1, off
.LBB256_1676:
	s_mov_b64 s[0:1], 0
.LBB256_1677:
	s_andn2_b64 vcc, exec, s[0:1]
	s_cbranch_vccnz .LBB256_1686
; %bb.1678:
	s_cmp_lt_i32 s6, 6
	s_mov_b64 s[0:1], -1
	s_cbranch_scc1 .LBB256_1684
; %bb.1679:
	s_cmp_gt_i32 s6, 6
	s_cbranch_scc0 .LBB256_1681
; %bb.1680:
	v_cvt_f64_f32_e32 v[10:11], v4
	global_store_dwordx2 v[2:3], v[10:11], off
	s_mov_b64 s[0:1], 0
.LBB256_1681:
	s_andn2_b64 vcc, exec, s[0:1]
	s_cbranch_vccnz .LBB256_1683
; %bb.1682:
	global_store_dword v[2:3], v4, off
.LBB256_1683:
	s_mov_b64 s[0:1], 0
.LBB256_1684:
	s_andn2_b64 vcc, exec, s[0:1]
	s_cbranch_vccnz .LBB256_1686
; %bb.1685:
	v_cvt_f16_f32_e32 v1, v4
	global_store_short v[2:3], v1, off
.LBB256_1686:
	s_mov_b64 s[0:1], 0
.LBB256_1687:
	s_andn2_b64 vcc, exec, s[0:1]
	s_cbranch_vccnz .LBB256_1703
; %bb.1688:
	s_cmp_lt_i32 s6, 2
	s_mov_b64 s[0:1], -1
	s_cbranch_scc1 .LBB256_1698
; %bb.1689:
	s_cmp_lt_i32 s6, 3
	s_cbranch_scc1 .LBB256_1695
; %bb.1690:
	s_cmp_gt_i32 s6, 3
	s_cbranch_scc0 .LBB256_1692
; %bb.1691:
	v_trunc_f32_e32 v1, v4
	s_mov_b32 s0, 0x2f800000
	v_mul_f32_e64 v5, |v1|, s0
	v_floor_f32_e32 v5, v5
	s_mov_b32 s0, 0xcf800000
	v_cvt_u32_f32_e32 v9, v5
	v_fma_f32 v5, v5, s0, |v1|
	v_cvt_u32_f32_e32 v5, v5
	v_ashrrev_i32_e32 v1, 31, v1
	v_xor_b32_e32 v9, v9, v1
	s_mov_b64 s[0:1], 0
	v_xor_b32_e32 v5, v5, v1
	v_sub_co_u32_e32 v10, vcc, v5, v1
	s_nop 1
	v_subb_co_u32_e32 v11, vcc, v9, v1, vcc
	global_store_dwordx2 v[2:3], v[10:11], off
.LBB256_1692:
	s_andn2_b64 vcc, exec, s[0:1]
	s_cbranch_vccnz .LBB256_1694
; %bb.1693:
	v_cvt_i32_f32_e32 v1, v4
	global_store_dword v[2:3], v1, off
.LBB256_1694:
	s_mov_b64 s[0:1], 0
.LBB256_1695:
	s_andn2_b64 vcc, exec, s[0:1]
	s_cbranch_vccnz .LBB256_1697
; %bb.1696:
	v_cvt_i32_f32_e32 v1, v4
	global_store_short v[2:3], v1, off
.LBB256_1697:
	s_mov_b64 s[0:1], 0
.LBB256_1698:
	s_andn2_b64 vcc, exec, s[0:1]
	s_cbranch_vccnz .LBB256_1703
; %bb.1699:
	s_cmp_gt_i32 s6, 0
	s_mov_b64 s[0:1], -1
	s_cbranch_scc0 .LBB256_1701
; %bb.1700:
	v_cvt_i32_f32_e32 v1, v4
	s_mov_b64 s[0:1], 0
	global_store_byte v[2:3], v1, off
.LBB256_1701:
	s_andn2_b64 vcc, exec, s[0:1]
	s_cbranch_vccnz .LBB256_1703
; %bb.1702:
	v_trunc_f32_e32 v1, v4
	s_mov_b32 s0, 0x2f800000
	v_mul_f32_e64 v4, |v1|, s0
	v_floor_f32_e32 v4, v4
	s_mov_b32 s0, 0xcf800000
	v_fma_f32 v4, v4, s0, |v1|
	v_cvt_u32_f32_e32 v4, v4
	v_ashrrev_i32_e32 v1, 31, v1
	v_xor_b32_e32 v4, v4, v1
	v_sub_u32_e32 v1, v4, v1
	global_store_byte v[2:3], v1, off
.LBB256_1703:
	s_mov_b64 s[10:11], -1
.LBB256_1704:
	s_andn2_b64 vcc, exec, s[10:11]
	s_cbranch_vccnz .LBB256_2019
; %bb.1705:
	s_mov_b32 s0, 0xf800000
	v_mul_f32_e32 v1, 0x4f800000, v8
	v_cmp_gt_f32_e32 vcc, s0, v8
	s_lshl_b32 s18, s8, 7
	v_add_u32_e32 v0, s18, v0
	v_cndmask_b32_e32 v1, v8, v1, vcc
	v_sqrt_f32_e32 v2, v1
	s_cmp_lt_i32 s20, 11
	v_add_u32_e32 v3, -1, v2
	v_fma_f32 v4, -v3, v2, v1
	v_cmp_ge_f32_e64 s[0:1], 0, v4
	v_add_u32_e32 v4, 1, v2
	s_nop 0
	v_cndmask_b32_e64 v3, v2, v3, s[0:1]
	v_fma_f32 v2, -v4, v2, v1
	v_cmp_lt_f32_e64 s[0:1], 0, v2
	s_nop 1
	v_cndmask_b32_e64 v2, v3, v4, s[0:1]
	v_mul_f32_e32 v3, 0x37800000, v2
	v_cndmask_b32_e32 v2, v2, v3, vcc
	v_mov_b32_e32 v3, 0x260
	v_cmp_class_f32_e32 vcc, v1, v3
	s_nop 1
	v_cndmask_b32_e32 v4, v2, v1, vcc
	v_ashrrev_i32_e32 v1, 31, v0
	v_lshl_add_u64 v[2:3], s[4:5], 0, v[0:1]
	s_cbranch_scc1 .LBB256_1783
; %bb.1706:
	s_and_b32 s19, 0xffff, s20
	s_mov_b64 s[10:11], -1
	s_mov_b64 s[6:7], 0
	s_cmp_gt_i32 s19, 25
	s_mov_b64 s[8:9], 0
	s_mov_b64 s[0:1], 0
	s_cbranch_scc0 .LBB256_1739
; %bb.1707:
	s_cmp_gt_i32 s19, 28
	s_cbranch_scc0 .LBB256_1722
; %bb.1708:
	s_cmp_gt_i32 s19, 43
	;; [unrolled: 3-line block ×3, first 2 shown]
	s_cbranch_scc0 .LBB256_1712
; %bb.1710:
	s_mov_b64 s[0:1], -1
	s_mov_b64 s[10:11], 0
	s_cmp_eq_u32 s19, 46
	s_cbranch_scc0 .LBB256_1712
; %bb.1711:
	v_bfe_u32 v1, v4, 16, 1
	s_movk_i32 s0, 0x7fff
	v_add3_u32 v1, v4, v1, s0
	v_cmp_le_f32_e32 vcc, 0, v8
	v_mov_b32_e32 v5, 0x7fc0
	s_mov_b64 s[0:1], 0
	v_cndmask_b32_sdwa v1, v5, v1, vcc dst_sel:DWORD dst_unused:UNUSED_PAD src0_sel:DWORD src1_sel:WORD_1
	global_store_dword v[2:3], v1, off
	s_mov_b64 s[8:9], -1
.LBB256_1712:
	s_and_b64 vcc, exec, s[10:11]
	s_cbranch_vccz .LBB256_1717
; %bb.1713:
	s_cmp_eq_u32 s19, 44
	s_mov_b64 s[0:1], -1
	s_cbranch_scc0 .LBB256_1717
; %bb.1714:
	v_bfe_u32 v1, v4, 23, 8
	s_movk_i32 s0, 0xff
	v_cmp_ne_u32_e32 vcc, s0, v1
	v_mov_b32_e32 v5, 0xff
	s_and_saveexec_b64 s[8:9], vcc
; %bb.1715:
	s_mov_b32 s0, 0x3fffff
	v_and_b32_e32 v9, 0x400000, v4
	v_and_or_b32 v1, v4, s0, v1
	v_cmp_ne_u32_e32 vcc, 0, v9
	v_cmp_ne_u32_e64 s[0:1], 0, v1
	s_and_b64 s[0:1], vcc, s[0:1]
	v_lshrrev_b32_e32 v5, 23, v4
	v_cndmask_b32_e64 v1, 0, 1, s[0:1]
	v_add_u32_e32 v5, v5, v1
; %bb.1716:
	s_or_b64 exec, exec, s[8:9]
	s_mov_b64 s[0:1], 0
	s_mov_b64 s[8:9], -1
	global_store_byte v[2:3], v5, off
.LBB256_1717:
	s_mov_b64 s[10:11], 0
.LBB256_1718:
	s_and_b64 vcc, exec, s[10:11]
	s_cbranch_vccz .LBB256_1721
; %bb.1719:
	s_cmp_eq_u32 s19, 29
	s_mov_b64 s[0:1], -1
	s_cbranch_scc0 .LBB256_1721
; %bb.1720:
	v_trunc_f32_e32 v1, v4
	v_mul_f32_e32 v5, 0x2f800000, v1
	v_floor_f32_e32 v5, v5
	v_fmamk_f32 v1, v5, 0xcf800000, v1
	v_cvt_u32_f32_e32 v11, v5
	v_cvt_u32_f32_e32 v10, v1
	s_mov_b64 s[0:1], 0
	s_mov_b64 s[8:9], -1
	global_store_dwordx2 v[2:3], v[10:11], off
.LBB256_1721:
	s_mov_b64 s[10:11], 0
.LBB256_1722:
	s_and_b64 vcc, exec, s[10:11]
	s_cbranch_vccz .LBB256_1738
; %bb.1723:
	s_cmp_lt_i32 s19, 27
	s_mov_b64 s[8:9], -1
	s_cbranch_scc1 .LBB256_1729
; %bb.1724:
	v_cvt_u32_f32_e32 v1, v4
	s_cmp_gt_i32 s19, 27
	s_cbranch_scc0 .LBB256_1726
; %bb.1725:
	s_mov_b64 s[8:9], 0
	global_store_dword v[2:3], v1, off
.LBB256_1726:
	s_andn2_b64 vcc, exec, s[8:9]
	s_cbranch_vccnz .LBB256_1728
; %bb.1727:
	global_store_short v[2:3], v1, off
.LBB256_1728:
	s_mov_b64 s[8:9], 0
.LBB256_1729:
	s_andn2_b64 vcc, exec, s[8:9]
	s_cbranch_vccnz .LBB256_1737
; %bb.1730:
	v_and_b32_e32 v1, 0x7fffffff, v4
	s_mov_b32 s8, 0x43800000
	v_cmp_gt_u32_e32 vcc, s8, v1
	v_mov_b32_e32 v5, 0x80
	s_and_saveexec_b64 s[8:9], vcc
	s_cbranch_execz .LBB256_1736
; %bb.1731:
	s_mov_b32 s10, 0x3bffffff
	v_cmp_lt_u32_e32 vcc, s10, v1
	s_mov_b64 s[10:11], 0
                                        ; implicit-def: $vgpr1
	s_and_saveexec_b64 s[16:17], vcc
	s_xor_b64 s[16:17], exec, s[16:17]
	s_cbranch_execz .LBB256_2027
; %bb.1732:
	v_bfe_u32 v1, v4, 20, 1
	s_mov_b32 s21, 0x487ffff
	v_add3_u32 v1, v4, v1, s21
	s_mov_b64 s[10:11], exec
	v_lshrrev_b32_e32 v1, 20, v1
	s_andn2_saveexec_b64 s[16:17], s[16:17]
	s_cbranch_execnz .LBB256_2028
.LBB256_1733:
	s_or_b64 exec, exec, s[16:17]
	v_mov_b32_e32 v5, 0
	s_and_saveexec_b64 s[16:17], s[10:11]
.LBB256_1734:
	v_lshrrev_b32_e32 v5, 24, v4
	s_movk_i32 s10, 0x80
	v_and_or_b32 v5, v5, s10, v1
.LBB256_1735:
	s_or_b64 exec, exec, s[16:17]
.LBB256_1736:
	s_or_b64 exec, exec, s[8:9]
	global_store_byte v[2:3], v5, off
.LBB256_1737:
	s_mov_b64 s[8:9], -1
.LBB256_1738:
	s_mov_b64 s[10:11], 0
.LBB256_1739:
	s_and_b64 vcc, exec, s[10:11]
	s_cbranch_vccz .LBB256_1779
; %bb.1740:
	s_cmp_gt_i32 s19, 22
	s_mov_b64 s[6:7], -1
	s_cbranch_scc0 .LBB256_1772
; %bb.1741:
	s_cmp_lt_i32 s19, 24
	s_cbranch_scc1 .LBB256_1761
; %bb.1742:
	s_cmp_gt_i32 s19, 24
	s_cbranch_scc0 .LBB256_1750
; %bb.1743:
	v_and_b32_e32 v1, 0x7fffffff, v4
	s_mov_b32 s6, 0x47800000
	v_cmp_gt_u32_e32 vcc, s6, v1
	v_mov_b32_e32 v5, 0x80
	s_and_saveexec_b64 s[6:7], vcc
	s_cbranch_execz .LBB256_1749
; %bb.1744:
	s_mov_b32 s8, 0x37ffffff
	v_cmp_lt_u32_e32 vcc, s8, v1
	s_mov_b64 s[8:9], 0
                                        ; implicit-def: $vgpr1
	s_and_saveexec_b64 s[10:11], vcc
	s_xor_b64 s[10:11], exec, s[10:11]
	s_cbranch_execz .LBB256_2030
; %bb.1745:
	v_bfe_u32 v1, v4, 21, 1
	s_mov_b32 s16, 0x88fffff
	v_add3_u32 v1, v4, v1, s16
	s_mov_b64 s[8:9], exec
	v_lshrrev_b32_e32 v1, 21, v1
	s_andn2_saveexec_b64 s[10:11], s[10:11]
	s_cbranch_execnz .LBB256_2031
.LBB256_1746:
	s_or_b64 exec, exec, s[10:11]
	v_mov_b32_e32 v5, 0
	s_and_saveexec_b64 s[10:11], s[8:9]
.LBB256_1747:
	v_lshrrev_b32_e32 v5, 24, v4
	s_movk_i32 s8, 0x80
	v_and_or_b32 v5, v5, s8, v1
.LBB256_1748:
	s_or_b64 exec, exec, s[10:11]
.LBB256_1749:
	s_or_b64 exec, exec, s[6:7]
	s_mov_b64 s[6:7], 0
	global_store_byte v[2:3], v5, off
.LBB256_1750:
	s_and_b64 vcc, exec, s[6:7]
	s_cbranch_vccz .LBB256_1760
; %bb.1751:
	v_and_b32_e32 v5, 0x7fffffff, v4
	s_mov_b32 s6, 0x43f00000
	v_cmp_gt_u32_e32 vcc, s6, v5
                                        ; implicit-def: $vgpr1
	s_and_saveexec_b64 s[6:7], vcc
	s_xor_b64 s[6:7], exec, s[6:7]
	s_cbranch_execz .LBB256_1757
; %bb.1752:
	s_mov_b32 s8, 0x3c7fffff
	v_cmp_lt_u32_e32 vcc, s8, v5
                                        ; implicit-def: $vgpr1
	s_and_saveexec_b64 s[8:9], vcc
	s_xor_b64 s[8:9], exec, s[8:9]
; %bb.1753:
	v_bfe_u32 v1, v4, 20, 1
	s_mov_b32 s10, 0x407ffff
	v_add3_u32 v1, v4, v1, s10
	v_lshrrev_b32_e32 v5, 20, v1
	v_and_b32_e32 v1, 0xff00000, v1
	s_mov_b32 s10, 0x7f00000
	v_mov_b32_e32 v9, 0x7e
	v_cmp_ne_u32_e32 vcc, s10, v1
	s_nop 1
	v_cndmask_b32_e32 v1, v9, v5, vcc
; %bb.1754:
	s_andn2_saveexec_b64 s[8:9], s[8:9]
; %bb.1755:
	s_mov_b32 s10, 0x46800000
	v_add_f32_e64 v1, |v4|, s10
; %bb.1756:
	s_or_b64 exec, exec, s[8:9]
                                        ; implicit-def: $vgpr5
.LBB256_1757:
	s_andn2_saveexec_b64 s[6:7], s[6:7]
; %bb.1758:
	s_mov_b32 s8, 0x7f800000
	v_mov_b32_e32 v1, 0x7e
	v_mov_b32_e32 v9, 0x7f
	v_cmp_lt_u32_e32 vcc, s8, v5
	s_nop 1
	v_cndmask_b32_e32 v1, v1, v9, vcc
; %bb.1759:
	s_or_b64 exec, exec, s[6:7]
	v_lshrrev_b32_e32 v5, 24, v4
	s_movk_i32 s6, 0x80
	v_and_or_b32 v1, v5, s6, v1
	global_store_byte v[2:3], v1, off
.LBB256_1760:
	s_mov_b64 s[6:7], 0
.LBB256_1761:
	s_andn2_b64 vcc, exec, s[6:7]
	s_cbranch_vccnz .LBB256_1771
; %bb.1762:
	v_and_b32_e32 v5, 0x7fffffff, v4
	s_mov_b32 s6, 0x47800000
	v_cmp_gt_u32_e32 vcc, s6, v5
                                        ; implicit-def: $vgpr1
	s_and_saveexec_b64 s[6:7], vcc
	s_xor_b64 s[6:7], exec, s[6:7]
	s_cbranch_execz .LBB256_1768
; %bb.1763:
	s_mov_b32 s8, 0x387fffff
	v_cmp_lt_u32_e32 vcc, s8, v5
                                        ; implicit-def: $vgpr1
	s_and_saveexec_b64 s[8:9], vcc
	s_xor_b64 s[8:9], exec, s[8:9]
; %bb.1764:
	v_bfe_u32 v1, v4, 21, 1
	s_mov_b32 s10, 0x80fffff
	v_add3_u32 v1, v4, v1, s10
	v_lshrrev_b32_e32 v1, 21, v1
; %bb.1765:
	s_andn2_saveexec_b64 s[8:9], s[8:9]
; %bb.1766:
	s_mov_b32 s10, 0x43000000
	v_add_f32_e64 v1, |v4|, s10
; %bb.1767:
	s_or_b64 exec, exec, s[8:9]
                                        ; implicit-def: $vgpr5
.LBB256_1768:
	s_andn2_saveexec_b64 s[6:7], s[6:7]
; %bb.1769:
	s_mov_b32 s8, 0x7f800000
	v_mov_b32_e32 v1, 0x7c
	v_mov_b32_e32 v9, 0x7f
	v_cmp_lt_u32_e32 vcc, s8, v5
	s_nop 1
	v_cndmask_b32_e32 v1, v1, v9, vcc
; %bb.1770:
	s_or_b64 exec, exec, s[6:7]
	v_lshrrev_b32_e32 v5, 24, v4
	s_movk_i32 s6, 0x80
	v_and_or_b32 v1, v5, s6, v1
	global_store_byte v[2:3], v1, off
.LBB256_1771:
	s_mov_b64 s[6:7], 0
	s_mov_b64 s[8:9], -1
.LBB256_1772:
	s_andn2_b64 vcc, exec, s[6:7]
	s_mov_b64 s[6:7], 0
	s_cbranch_vccnz .LBB256_1779
; %bb.1773:
	s_cmp_gt_i32 s19, 14
	s_mov_b64 s[10:11], -1
	s_cbranch_scc0 .LBB256_1777
; %bb.1774:
	s_cmp_eq_u32 s19, 15
	s_mov_b64 s[0:1], -1
	s_cbranch_scc0 .LBB256_1776
; %bb.1775:
	v_bfe_u32 v1, v4, 16, 1
	s_movk_i32 s0, 0x7fff
	v_add3_u32 v1, v4, v1, s0
	v_cmp_le_f32_e32 vcc, 0, v8
	v_mov_b32_e32 v5, 0x7fc0
	s_mov_b64 s[0:1], 0
	v_cndmask_b32_sdwa v1, v5, v1, vcc dst_sel:DWORD dst_unused:UNUSED_PAD src0_sel:DWORD src1_sel:WORD_1
	global_store_short v[2:3], v1, off
	s_mov_b64 s[8:9], -1
.LBB256_1776:
	s_mov_b64 s[10:11], 0
.LBB256_1777:
	s_and_b64 vcc, exec, s[10:11]
	s_cbranch_vccz .LBB256_1779
; %bb.1778:
	s_cmp_lg_u32 s19, 11
	s_mov_b64 s[6:7], -1
	s_cselect_b64 s[0:1], -1, 0
.LBB256_1779:
	s_and_b64 vcc, exec, s[0:1]
	s_cbranch_vccnz .LBB256_2029
; %bb.1780:
	s_andn2_b64 vcc, exec, s[6:7]
	s_cbranch_vccnz .LBB256_1782
.LBB256_1781:
	v_cmp_neq_f32_e32 vcc, 0, v8
	s_mov_b64 s[8:9], -1
	s_nop 0
	v_cndmask_b32_e64 v1, 0, 1, vcc
	global_store_byte v[2:3], v1, off
.LBB256_1782:
	s_mov_b64 s[0:1], 0
	s_branch .LBB256_1784
.LBB256_1783:
	s_mov_b64 s[0:1], -1
	s_mov_b64 s[8:9], 0
.LBB256_1784:
	s_and_b64 vcc, exec, s[0:1]
	s_cbranch_vccz .LBB256_1823
; %bb.1785:
	s_and_b32 s6, 0xffff, s20
	s_cmp_lt_i32 s6, 5
	s_mov_b64 s[0:1], -1
	s_cbranch_scc1 .LBB256_1806
; %bb.1786:
	s_cmp_lt_i32 s6, 8
	s_cbranch_scc1 .LBB256_1796
; %bb.1787:
	s_cmp_lt_i32 s6, 9
	s_cbranch_scc1 .LBB256_1793
; %bb.1788:
	s_cmp_gt_i32 s6, 9
	s_cbranch_scc0 .LBB256_1790
; %bb.1789:
	v_mov_b32_e32 v10, 0
	v_cvt_f64_f32_e32 v[8:9], v4
	v_mov_b32_e32 v11, v10
	global_store_dwordx4 v[2:3], v[8:11], off
	s_mov_b64 s[0:1], 0
.LBB256_1790:
	s_andn2_b64 vcc, exec, s[0:1]
	s_cbranch_vccnz .LBB256_1792
; %bb.1791:
	v_mov_b32_e32 v5, 0
	global_store_dwordx2 v[2:3], v[4:5], off
.LBB256_1792:
	s_mov_b64 s[0:1], 0
.LBB256_1793:
	s_andn2_b64 vcc, exec, s[0:1]
	s_cbranch_vccnz .LBB256_1795
; %bb.1794:
	v_cvt_f16_f32_e32 v1, v4
	global_store_dword v[2:3], v1, off
.LBB256_1795:
	s_mov_b64 s[0:1], 0
.LBB256_1796:
	s_andn2_b64 vcc, exec, s[0:1]
	s_cbranch_vccnz .LBB256_1805
; %bb.1797:
	s_cmp_lt_i32 s6, 6
	s_mov_b64 s[0:1], -1
	s_cbranch_scc1 .LBB256_1803
; %bb.1798:
	s_cmp_gt_i32 s6, 6
	s_cbranch_scc0 .LBB256_1800
; %bb.1799:
	v_cvt_f64_f32_e32 v[8:9], v4
	global_store_dwordx2 v[2:3], v[8:9], off
	s_mov_b64 s[0:1], 0
.LBB256_1800:
	s_andn2_b64 vcc, exec, s[0:1]
	s_cbranch_vccnz .LBB256_1802
; %bb.1801:
	global_store_dword v[2:3], v4, off
.LBB256_1802:
	s_mov_b64 s[0:1], 0
.LBB256_1803:
	s_andn2_b64 vcc, exec, s[0:1]
	s_cbranch_vccnz .LBB256_1805
; %bb.1804:
	v_cvt_f16_f32_e32 v1, v4
	global_store_short v[2:3], v1, off
.LBB256_1805:
	s_mov_b64 s[0:1], 0
.LBB256_1806:
	s_andn2_b64 vcc, exec, s[0:1]
	s_cbranch_vccnz .LBB256_1822
; %bb.1807:
	s_cmp_lt_i32 s6, 2
	s_mov_b64 s[0:1], -1
	s_cbranch_scc1 .LBB256_1817
; %bb.1808:
	s_cmp_lt_i32 s6, 3
	s_cbranch_scc1 .LBB256_1814
; %bb.1809:
	s_cmp_gt_i32 s6, 3
	s_cbranch_scc0 .LBB256_1811
; %bb.1810:
	v_trunc_f32_e32 v1, v4
	s_mov_b32 s0, 0x2f800000
	v_mul_f32_e64 v5, |v1|, s0
	v_floor_f32_e32 v5, v5
	s_mov_b32 s0, 0xcf800000
	v_cvt_u32_f32_e32 v8, v5
	v_fma_f32 v5, v5, s0, |v1|
	v_cvt_u32_f32_e32 v5, v5
	v_ashrrev_i32_e32 v1, 31, v1
	v_xor_b32_e32 v9, v8, v1
	s_mov_b64 s[0:1], 0
	v_xor_b32_e32 v5, v5, v1
	v_sub_co_u32_e32 v8, vcc, v5, v1
	s_nop 1
	v_subb_co_u32_e32 v9, vcc, v9, v1, vcc
	global_store_dwordx2 v[2:3], v[8:9], off
.LBB256_1811:
	s_andn2_b64 vcc, exec, s[0:1]
	s_cbranch_vccnz .LBB256_1813
; %bb.1812:
	v_cvt_i32_f32_e32 v1, v4
	global_store_dword v[2:3], v1, off
.LBB256_1813:
	s_mov_b64 s[0:1], 0
.LBB256_1814:
	s_andn2_b64 vcc, exec, s[0:1]
	s_cbranch_vccnz .LBB256_1816
; %bb.1815:
	v_cvt_i32_f32_e32 v1, v4
	global_store_short v[2:3], v1, off
.LBB256_1816:
	s_mov_b64 s[0:1], 0
.LBB256_1817:
	s_andn2_b64 vcc, exec, s[0:1]
	s_cbranch_vccnz .LBB256_1822
; %bb.1818:
	s_cmp_gt_i32 s6, 0
	s_mov_b64 s[0:1], -1
	s_cbranch_scc0 .LBB256_1820
; %bb.1819:
	v_cvt_i32_f32_e32 v1, v4
	s_mov_b64 s[0:1], 0
	global_store_byte v[2:3], v1, off
.LBB256_1820:
	s_andn2_b64 vcc, exec, s[0:1]
	s_cbranch_vccnz .LBB256_1822
; %bb.1821:
	v_trunc_f32_e32 v1, v4
	s_mov_b32 s0, 0x2f800000
	v_mul_f32_e64 v4, |v1|, s0
	v_floor_f32_e32 v4, v4
	s_mov_b32 s0, 0xcf800000
	v_fma_f32 v4, v4, s0, |v1|
	v_cvt_u32_f32_e32 v4, v4
	v_ashrrev_i32_e32 v1, 31, v1
	v_xor_b32_e32 v4, v4, v1
	v_sub_u32_e32 v1, v4, v1
	global_store_byte v[2:3], v1, off
.LBB256_1822:
	s_mov_b64 s[8:9], -1
.LBB256_1823:
	s_andn2_b64 vcc, exec, s[8:9]
	s_cbranch_vccnz .LBB256_2019
; %bb.1824:
	s_mov_b32 s0, 0xf800000
	v_mul_f32_e32 v1, 0x4f800000, v7
	v_cmp_gt_f32_e32 vcc, s0, v7
	v_add_u32_e32 v0, s18, v0
	s_cmp_lt_i32 s20, 11
	v_cndmask_b32_e32 v1, v7, v1, vcc
	v_sqrt_f32_e32 v2, v1
	s_nop 0
	v_add_u32_e32 v3, -1, v2
	v_fma_f32 v4, -v3, v2, v1
	v_cmp_ge_f32_e64 s[0:1], 0, v4
	v_add_u32_e32 v4, 1, v2
	s_nop 0
	v_cndmask_b32_e64 v3, v2, v3, s[0:1]
	v_fma_f32 v2, -v4, v2, v1
	v_cmp_lt_f32_e64 s[0:1], 0, v2
	s_nop 1
	v_cndmask_b32_e64 v2, v3, v4, s[0:1]
	v_mul_f32_e32 v3, 0x37800000, v2
	v_cndmask_b32_e32 v2, v2, v3, vcc
	v_mov_b32_e32 v3, 0x260
	v_cmp_class_f32_e32 vcc, v1, v3
	s_nop 1
	v_cndmask_b32_e32 v4, v2, v1, vcc
	v_ashrrev_i32_e32 v1, 31, v0
	v_lshl_add_u64 v[2:3], s[4:5], 0, v[0:1]
	s_cbranch_scc1 .LBB256_1902
; %bb.1825:
	s_and_b32 s19, 0xffff, s20
	s_mov_b64 s[10:11], -1
	s_mov_b64 s[6:7], 0
	s_cmp_gt_i32 s19, 25
	s_mov_b64 s[8:9], 0
	s_mov_b64 s[0:1], 0
	s_cbranch_scc0 .LBB256_1858
; %bb.1826:
	s_cmp_gt_i32 s19, 28
	s_cbranch_scc0 .LBB256_1841
; %bb.1827:
	s_cmp_gt_i32 s19, 43
	;; [unrolled: 3-line block ×3, first 2 shown]
	s_cbranch_scc0 .LBB256_1831
; %bb.1829:
	s_mov_b64 s[0:1], -1
	s_mov_b64 s[10:11], 0
	s_cmp_eq_u32 s19, 46
	s_cbranch_scc0 .LBB256_1831
; %bb.1830:
	v_bfe_u32 v1, v4, 16, 1
	s_movk_i32 s0, 0x7fff
	v_add3_u32 v1, v4, v1, s0
	v_cmp_le_f32_e32 vcc, 0, v7
	v_mov_b32_e32 v5, 0x7fc0
	s_mov_b64 s[0:1], 0
	v_cndmask_b32_sdwa v1, v5, v1, vcc dst_sel:DWORD dst_unused:UNUSED_PAD src0_sel:DWORD src1_sel:WORD_1
	global_store_dword v[2:3], v1, off
	s_mov_b64 s[8:9], -1
.LBB256_1831:
	s_and_b64 vcc, exec, s[10:11]
	s_cbranch_vccz .LBB256_1836
; %bb.1832:
	s_cmp_eq_u32 s19, 44
	s_mov_b64 s[0:1], -1
	s_cbranch_scc0 .LBB256_1836
; %bb.1833:
	v_bfe_u32 v1, v4, 23, 8
	s_movk_i32 s0, 0xff
	v_cmp_ne_u32_e32 vcc, s0, v1
	v_mov_b32_e32 v5, 0xff
	s_and_saveexec_b64 s[8:9], vcc
; %bb.1834:
	s_mov_b32 s0, 0x3fffff
	v_and_b32_e32 v8, 0x400000, v4
	v_and_or_b32 v1, v4, s0, v1
	v_cmp_ne_u32_e32 vcc, 0, v8
	v_cmp_ne_u32_e64 s[0:1], 0, v1
	s_and_b64 s[0:1], vcc, s[0:1]
	v_lshrrev_b32_e32 v5, 23, v4
	v_cndmask_b32_e64 v1, 0, 1, s[0:1]
	v_add_u32_e32 v5, v5, v1
; %bb.1835:
	s_or_b64 exec, exec, s[8:9]
	s_mov_b64 s[0:1], 0
	s_mov_b64 s[8:9], -1
	global_store_byte v[2:3], v5, off
.LBB256_1836:
	s_mov_b64 s[10:11], 0
.LBB256_1837:
	s_and_b64 vcc, exec, s[10:11]
	s_cbranch_vccz .LBB256_1840
; %bb.1838:
	s_cmp_eq_u32 s19, 29
	s_mov_b64 s[0:1], -1
	s_cbranch_scc0 .LBB256_1840
; %bb.1839:
	v_trunc_f32_e32 v1, v4
	v_mul_f32_e32 v5, 0x2f800000, v1
	v_floor_f32_e32 v5, v5
	v_fmamk_f32 v1, v5, 0xcf800000, v1
	v_cvt_u32_f32_e32 v9, v5
	v_cvt_u32_f32_e32 v8, v1
	s_mov_b64 s[0:1], 0
	s_mov_b64 s[8:9], -1
	global_store_dwordx2 v[2:3], v[8:9], off
.LBB256_1840:
	s_mov_b64 s[10:11], 0
.LBB256_1841:
	s_and_b64 vcc, exec, s[10:11]
	s_cbranch_vccz .LBB256_1857
; %bb.1842:
	s_cmp_lt_i32 s19, 27
	s_mov_b64 s[8:9], -1
	s_cbranch_scc1 .LBB256_1848
; %bb.1843:
	v_cvt_u32_f32_e32 v1, v4
	s_cmp_gt_i32 s19, 27
	s_cbranch_scc0 .LBB256_1845
; %bb.1844:
	s_mov_b64 s[8:9], 0
	global_store_dword v[2:3], v1, off
.LBB256_1845:
	s_andn2_b64 vcc, exec, s[8:9]
	s_cbranch_vccnz .LBB256_1847
; %bb.1846:
	global_store_short v[2:3], v1, off
.LBB256_1847:
	s_mov_b64 s[8:9], 0
.LBB256_1848:
	s_andn2_b64 vcc, exec, s[8:9]
	s_cbranch_vccnz .LBB256_1856
; %bb.1849:
	v_and_b32_e32 v1, 0x7fffffff, v4
	s_mov_b32 s8, 0x43800000
	v_cmp_gt_u32_e32 vcc, s8, v1
	v_mov_b32_e32 v5, 0x80
	s_and_saveexec_b64 s[8:9], vcc
	s_cbranch_execz .LBB256_1855
; %bb.1850:
	s_mov_b32 s10, 0x3bffffff
	v_cmp_lt_u32_e32 vcc, s10, v1
	s_mov_b64 s[10:11], 0
                                        ; implicit-def: $vgpr1
	s_and_saveexec_b64 s[16:17], vcc
	s_xor_b64 s[16:17], exec, s[16:17]
	s_cbranch_execz .LBB256_2032
; %bb.1851:
	v_bfe_u32 v1, v4, 20, 1
	s_mov_b32 s21, 0x487ffff
	v_add3_u32 v1, v4, v1, s21
	s_mov_b64 s[10:11], exec
	v_lshrrev_b32_e32 v1, 20, v1
	s_andn2_saveexec_b64 s[16:17], s[16:17]
	s_cbranch_execnz .LBB256_2033
.LBB256_1852:
	s_or_b64 exec, exec, s[16:17]
	v_mov_b32_e32 v5, 0
	s_and_saveexec_b64 s[16:17], s[10:11]
.LBB256_1853:
	v_lshrrev_b32_e32 v5, 24, v4
	s_movk_i32 s10, 0x80
	v_and_or_b32 v5, v5, s10, v1
.LBB256_1854:
	s_or_b64 exec, exec, s[16:17]
.LBB256_1855:
	s_or_b64 exec, exec, s[8:9]
	global_store_byte v[2:3], v5, off
.LBB256_1856:
	s_mov_b64 s[8:9], -1
.LBB256_1857:
	s_mov_b64 s[10:11], 0
.LBB256_1858:
	s_and_b64 vcc, exec, s[10:11]
	s_cbranch_vccz .LBB256_1898
; %bb.1859:
	s_cmp_gt_i32 s19, 22
	s_mov_b64 s[6:7], -1
	s_cbranch_scc0 .LBB256_1891
; %bb.1860:
	s_cmp_lt_i32 s19, 24
	s_cbranch_scc1 .LBB256_1880
; %bb.1861:
	s_cmp_gt_i32 s19, 24
	s_cbranch_scc0 .LBB256_1869
; %bb.1862:
	v_and_b32_e32 v1, 0x7fffffff, v4
	s_mov_b32 s6, 0x47800000
	v_cmp_gt_u32_e32 vcc, s6, v1
	v_mov_b32_e32 v5, 0x80
	s_and_saveexec_b64 s[6:7], vcc
	s_cbranch_execz .LBB256_1868
; %bb.1863:
	s_mov_b32 s8, 0x37ffffff
	v_cmp_lt_u32_e32 vcc, s8, v1
	s_mov_b64 s[8:9], 0
                                        ; implicit-def: $vgpr1
	s_and_saveexec_b64 s[10:11], vcc
	s_xor_b64 s[10:11], exec, s[10:11]
	s_cbranch_execz .LBB256_2035
; %bb.1864:
	v_bfe_u32 v1, v4, 21, 1
	s_mov_b32 s16, 0x88fffff
	v_add3_u32 v1, v4, v1, s16
	s_mov_b64 s[8:9], exec
	v_lshrrev_b32_e32 v1, 21, v1
	s_andn2_saveexec_b64 s[10:11], s[10:11]
	s_cbranch_execnz .LBB256_2036
.LBB256_1865:
	s_or_b64 exec, exec, s[10:11]
	v_mov_b32_e32 v5, 0
	s_and_saveexec_b64 s[10:11], s[8:9]
.LBB256_1866:
	v_lshrrev_b32_e32 v5, 24, v4
	s_movk_i32 s8, 0x80
	v_and_or_b32 v5, v5, s8, v1
.LBB256_1867:
	s_or_b64 exec, exec, s[10:11]
.LBB256_1868:
	s_or_b64 exec, exec, s[6:7]
	s_mov_b64 s[6:7], 0
	global_store_byte v[2:3], v5, off
.LBB256_1869:
	s_and_b64 vcc, exec, s[6:7]
	s_cbranch_vccz .LBB256_1879
; %bb.1870:
	v_and_b32_e32 v5, 0x7fffffff, v4
	s_mov_b32 s6, 0x43f00000
	v_cmp_gt_u32_e32 vcc, s6, v5
                                        ; implicit-def: $vgpr1
	s_and_saveexec_b64 s[6:7], vcc
	s_xor_b64 s[6:7], exec, s[6:7]
	s_cbranch_execz .LBB256_1876
; %bb.1871:
	s_mov_b32 s8, 0x3c7fffff
	v_cmp_lt_u32_e32 vcc, s8, v5
                                        ; implicit-def: $vgpr1
	s_and_saveexec_b64 s[8:9], vcc
	s_xor_b64 s[8:9], exec, s[8:9]
; %bb.1872:
	v_bfe_u32 v1, v4, 20, 1
	s_mov_b32 s10, 0x407ffff
	v_add3_u32 v1, v4, v1, s10
	v_lshrrev_b32_e32 v5, 20, v1
	v_and_b32_e32 v1, 0xff00000, v1
	s_mov_b32 s10, 0x7f00000
	v_mov_b32_e32 v8, 0x7e
	v_cmp_ne_u32_e32 vcc, s10, v1
	s_nop 1
	v_cndmask_b32_e32 v1, v8, v5, vcc
; %bb.1873:
	s_andn2_saveexec_b64 s[8:9], s[8:9]
; %bb.1874:
	s_mov_b32 s10, 0x46800000
	v_add_f32_e64 v1, |v4|, s10
; %bb.1875:
	s_or_b64 exec, exec, s[8:9]
                                        ; implicit-def: $vgpr5
.LBB256_1876:
	s_andn2_saveexec_b64 s[6:7], s[6:7]
; %bb.1877:
	s_mov_b32 s8, 0x7f800000
	v_mov_b32_e32 v1, 0x7e
	v_mov_b32_e32 v8, 0x7f
	v_cmp_lt_u32_e32 vcc, s8, v5
	s_nop 1
	v_cndmask_b32_e32 v1, v1, v8, vcc
; %bb.1878:
	s_or_b64 exec, exec, s[6:7]
	v_lshrrev_b32_e32 v5, 24, v4
	s_movk_i32 s6, 0x80
	v_and_or_b32 v1, v5, s6, v1
	global_store_byte v[2:3], v1, off
.LBB256_1879:
	s_mov_b64 s[6:7], 0
.LBB256_1880:
	s_andn2_b64 vcc, exec, s[6:7]
	s_cbranch_vccnz .LBB256_1890
; %bb.1881:
	v_and_b32_e32 v5, 0x7fffffff, v4
	s_mov_b32 s6, 0x47800000
	v_cmp_gt_u32_e32 vcc, s6, v5
                                        ; implicit-def: $vgpr1
	s_and_saveexec_b64 s[6:7], vcc
	s_xor_b64 s[6:7], exec, s[6:7]
	s_cbranch_execz .LBB256_1887
; %bb.1882:
	s_mov_b32 s8, 0x387fffff
	v_cmp_lt_u32_e32 vcc, s8, v5
                                        ; implicit-def: $vgpr1
	s_and_saveexec_b64 s[8:9], vcc
	s_xor_b64 s[8:9], exec, s[8:9]
; %bb.1883:
	v_bfe_u32 v1, v4, 21, 1
	s_mov_b32 s10, 0x80fffff
	v_add3_u32 v1, v4, v1, s10
	v_lshrrev_b32_e32 v1, 21, v1
; %bb.1884:
	s_andn2_saveexec_b64 s[8:9], s[8:9]
; %bb.1885:
	s_mov_b32 s10, 0x43000000
	v_add_f32_e64 v1, |v4|, s10
; %bb.1886:
	s_or_b64 exec, exec, s[8:9]
                                        ; implicit-def: $vgpr5
.LBB256_1887:
	s_andn2_saveexec_b64 s[6:7], s[6:7]
; %bb.1888:
	s_mov_b32 s8, 0x7f800000
	v_mov_b32_e32 v1, 0x7c
	v_mov_b32_e32 v8, 0x7f
	v_cmp_lt_u32_e32 vcc, s8, v5
	s_nop 1
	v_cndmask_b32_e32 v1, v1, v8, vcc
; %bb.1889:
	s_or_b64 exec, exec, s[6:7]
	v_lshrrev_b32_e32 v5, 24, v4
	s_movk_i32 s6, 0x80
	v_and_or_b32 v1, v5, s6, v1
	global_store_byte v[2:3], v1, off
.LBB256_1890:
	s_mov_b64 s[6:7], 0
	s_mov_b64 s[8:9], -1
.LBB256_1891:
	s_andn2_b64 vcc, exec, s[6:7]
	s_mov_b64 s[6:7], 0
	s_cbranch_vccnz .LBB256_1898
; %bb.1892:
	s_cmp_gt_i32 s19, 14
	s_mov_b64 s[10:11], -1
	s_cbranch_scc0 .LBB256_1896
; %bb.1893:
	s_cmp_eq_u32 s19, 15
	s_mov_b64 s[0:1], -1
	s_cbranch_scc0 .LBB256_1895
; %bb.1894:
	v_bfe_u32 v1, v4, 16, 1
	s_movk_i32 s0, 0x7fff
	v_add3_u32 v1, v4, v1, s0
	v_cmp_le_f32_e32 vcc, 0, v7
	v_mov_b32_e32 v5, 0x7fc0
	s_mov_b64 s[0:1], 0
	v_cndmask_b32_sdwa v1, v5, v1, vcc dst_sel:DWORD dst_unused:UNUSED_PAD src0_sel:DWORD src1_sel:WORD_1
	global_store_short v[2:3], v1, off
	s_mov_b64 s[8:9], -1
.LBB256_1895:
	s_mov_b64 s[10:11], 0
.LBB256_1896:
	s_and_b64 vcc, exec, s[10:11]
	s_cbranch_vccz .LBB256_1898
; %bb.1897:
	s_cmp_lg_u32 s19, 11
	s_mov_b64 s[6:7], -1
	s_cselect_b64 s[0:1], -1, 0
.LBB256_1898:
	s_and_b64 vcc, exec, s[0:1]
	s_cbranch_vccnz .LBB256_2034
; %bb.1899:
	s_andn2_b64 vcc, exec, s[6:7]
	s_cbranch_vccnz .LBB256_1901
.LBB256_1900:
	v_cmp_neq_f32_e32 vcc, 0, v7
	s_mov_b64 s[8:9], -1
	s_nop 0
	v_cndmask_b32_e64 v1, 0, 1, vcc
	global_store_byte v[2:3], v1, off
.LBB256_1901:
	s_mov_b64 s[0:1], 0
	s_branch .LBB256_1903
.LBB256_1902:
	s_mov_b64 s[0:1], -1
	s_mov_b64 s[8:9], 0
.LBB256_1903:
	s_and_b64 vcc, exec, s[0:1]
	s_cbranch_vccz .LBB256_1942
; %bb.1904:
	s_and_b32 s6, 0xffff, s20
	s_cmp_lt_i32 s6, 5
	s_mov_b64 s[0:1], -1
	s_cbranch_scc1 .LBB256_1925
; %bb.1905:
	s_cmp_lt_i32 s6, 8
	s_cbranch_scc1 .LBB256_1915
; %bb.1906:
	s_cmp_lt_i32 s6, 9
	s_cbranch_scc1 .LBB256_1912
; %bb.1907:
	s_cmp_gt_i32 s6, 9
	s_cbranch_scc0 .LBB256_1909
; %bb.1908:
	v_mov_b32_e32 v10, 0
	v_cvt_f64_f32_e32 v[8:9], v4
	v_mov_b32_e32 v11, v10
	global_store_dwordx4 v[2:3], v[8:11], off
	s_mov_b64 s[0:1], 0
.LBB256_1909:
	s_andn2_b64 vcc, exec, s[0:1]
	s_cbranch_vccnz .LBB256_1911
; %bb.1910:
	v_mov_b32_e32 v5, 0
	global_store_dwordx2 v[2:3], v[4:5], off
.LBB256_1911:
	s_mov_b64 s[0:1], 0
.LBB256_1912:
	s_andn2_b64 vcc, exec, s[0:1]
	s_cbranch_vccnz .LBB256_1914
; %bb.1913:
	v_cvt_f16_f32_e32 v1, v4
	global_store_dword v[2:3], v1, off
.LBB256_1914:
	s_mov_b64 s[0:1], 0
.LBB256_1915:
	s_andn2_b64 vcc, exec, s[0:1]
	s_cbranch_vccnz .LBB256_1924
; %bb.1916:
	s_cmp_lt_i32 s6, 6
	s_mov_b64 s[0:1], -1
	s_cbranch_scc1 .LBB256_1922
; %bb.1917:
	s_cmp_gt_i32 s6, 6
	s_cbranch_scc0 .LBB256_1919
; %bb.1918:
	v_cvt_f64_f32_e32 v[8:9], v4
	global_store_dwordx2 v[2:3], v[8:9], off
	s_mov_b64 s[0:1], 0
.LBB256_1919:
	s_andn2_b64 vcc, exec, s[0:1]
	s_cbranch_vccnz .LBB256_1921
; %bb.1920:
	global_store_dword v[2:3], v4, off
.LBB256_1921:
	s_mov_b64 s[0:1], 0
.LBB256_1922:
	s_andn2_b64 vcc, exec, s[0:1]
	s_cbranch_vccnz .LBB256_1924
; %bb.1923:
	v_cvt_f16_f32_e32 v1, v4
	global_store_short v[2:3], v1, off
.LBB256_1924:
	s_mov_b64 s[0:1], 0
.LBB256_1925:
	s_andn2_b64 vcc, exec, s[0:1]
	s_cbranch_vccnz .LBB256_1941
; %bb.1926:
	s_cmp_lt_i32 s6, 2
	s_mov_b64 s[0:1], -1
	s_cbranch_scc1 .LBB256_1936
; %bb.1927:
	s_cmp_lt_i32 s6, 3
	s_cbranch_scc1 .LBB256_1933
; %bb.1928:
	s_cmp_gt_i32 s6, 3
	s_cbranch_scc0 .LBB256_1930
; %bb.1929:
	v_trunc_f32_e32 v1, v4
	s_mov_b32 s0, 0x2f800000
	v_mul_f32_e64 v5, |v1|, s0
	v_floor_f32_e32 v5, v5
	s_mov_b32 s0, 0xcf800000
	v_cvt_u32_f32_e32 v7, v5
	v_fma_f32 v5, v5, s0, |v1|
	v_cvt_u32_f32_e32 v5, v5
	v_ashrrev_i32_e32 v1, 31, v1
	v_xor_b32_e32 v7, v7, v1
	s_mov_b64 s[0:1], 0
	v_xor_b32_e32 v5, v5, v1
	v_sub_co_u32_e32 v8, vcc, v5, v1
	s_nop 1
	v_subb_co_u32_e32 v9, vcc, v7, v1, vcc
	global_store_dwordx2 v[2:3], v[8:9], off
.LBB256_1930:
	s_andn2_b64 vcc, exec, s[0:1]
	s_cbranch_vccnz .LBB256_1932
; %bb.1931:
	v_cvt_i32_f32_e32 v1, v4
	global_store_dword v[2:3], v1, off
.LBB256_1932:
	s_mov_b64 s[0:1], 0
.LBB256_1933:
	s_andn2_b64 vcc, exec, s[0:1]
	s_cbranch_vccnz .LBB256_1935
; %bb.1934:
	v_cvt_i32_f32_e32 v1, v4
	global_store_short v[2:3], v1, off
.LBB256_1935:
	s_mov_b64 s[0:1], 0
.LBB256_1936:
	s_andn2_b64 vcc, exec, s[0:1]
	s_cbranch_vccnz .LBB256_1941
; %bb.1937:
	s_cmp_gt_i32 s6, 0
	s_mov_b64 s[0:1], -1
	s_cbranch_scc0 .LBB256_1939
; %bb.1938:
	v_cvt_i32_f32_e32 v1, v4
	s_mov_b64 s[0:1], 0
	global_store_byte v[2:3], v1, off
.LBB256_1939:
	s_andn2_b64 vcc, exec, s[0:1]
	s_cbranch_vccnz .LBB256_1941
; %bb.1940:
	v_trunc_f32_e32 v1, v4
	s_mov_b32 s0, 0x2f800000
	v_mul_f32_e64 v4, |v1|, s0
	v_floor_f32_e32 v4, v4
	s_mov_b32 s0, 0xcf800000
	v_fma_f32 v4, v4, s0, |v1|
	v_cvt_u32_f32_e32 v4, v4
	v_ashrrev_i32_e32 v1, 31, v1
	v_xor_b32_e32 v4, v4, v1
	v_sub_u32_e32 v1, v4, v1
	global_store_byte v[2:3], v1, off
.LBB256_1941:
	s_mov_b64 s[8:9], -1
.LBB256_1942:
	s_andn2_b64 vcc, exec, s[8:9]
	s_cbranch_vccnz .LBB256_2019
; %bb.1943:
	s_mov_b32 s0, 0xf800000
	v_mul_f32_e32 v1, 0x4f800000, v6
	v_cmp_gt_f32_e32 vcc, s0, v6
	v_add_u32_e32 v0, s18, v0
	s_cmp_lt_i32 s20, 11
	v_cndmask_b32_e32 v1, v6, v1, vcc
	v_sqrt_f32_e32 v2, v1
	s_nop 0
	v_add_u32_e32 v3, -1, v2
	v_fma_f32 v4, -v3, v2, v1
	v_cmp_ge_f32_e64 s[0:1], 0, v4
	v_add_u32_e32 v4, 1, v2
	s_nop 0
	v_cndmask_b32_e64 v3, v2, v3, s[0:1]
	v_fma_f32 v2, -v4, v2, v1
	v_cmp_lt_f32_e64 s[0:1], 0, v2
	s_nop 1
	v_cndmask_b32_e64 v2, v3, v4, s[0:1]
	v_mul_f32_e32 v3, 0x37800000, v2
	v_cndmask_b32_e32 v2, v2, v3, vcc
	v_mov_b32_e32 v3, 0x260
	v_cmp_class_f32_e32 vcc, v1, v3
	s_nop 1
	v_cndmask_b32_e32 v2, v2, v1, vcc
	v_ashrrev_i32_e32 v1, 31, v0
	v_lshl_add_u64 v[0:1], s[4:5], 0, v[0:1]
	s_cbranch_scc1 .LBB256_2020
; %bb.1944:
	s_and_b32 s16, 0xffff, s20
	s_mov_b64 s[6:7], -1
	s_mov_b64 s[4:5], 0
	s_cmp_gt_i32 s16, 25
	s_mov_b64 s[0:1], 0
	s_cbranch_scc0 .LBB256_1977
; %bb.1945:
	s_cmp_gt_i32 s16, 28
	s_cbranch_scc0 .LBB256_1961
; %bb.1946:
	s_cmp_gt_i32 s16, 43
	;; [unrolled: 3-line block ×3, first 2 shown]
	s_cbranch_scc0 .LBB256_1951
; %bb.1948:
	s_cmp_eq_u32 s16, 46
	s_mov_b64 s[0:1], -1
	s_cbranch_scc0 .LBB256_1950
; %bb.1949:
	v_bfe_u32 v3, v2, 16, 1
	s_movk_i32 s0, 0x7fff
	v_add3_u32 v3, v2, v3, s0
	v_cmp_le_f32_e32 vcc, 0, v6
	v_mov_b32_e32 v4, 0x7fc0
	s_mov_b64 s[0:1], 0
	v_cndmask_b32_sdwa v3, v4, v3, vcc dst_sel:DWORD dst_unused:UNUSED_PAD src0_sel:DWORD src1_sel:WORD_1
	global_store_dword v[0:1], v3, off
.LBB256_1950:
	s_mov_b64 s[6:7], 0
.LBB256_1951:
	s_and_b64 vcc, exec, s[6:7]
	s_cbranch_vccz .LBB256_1956
; %bb.1952:
	s_cmp_eq_u32 s16, 44
	s_mov_b64 s[0:1], -1
	s_cbranch_scc0 .LBB256_1956
; %bb.1953:
	v_bfe_u32 v3, v2, 23, 8
	s_movk_i32 s0, 0xff
	v_cmp_ne_u32_e32 vcc, s0, v3
	v_mov_b32_e32 v4, 0xff
	s_and_saveexec_b64 s[6:7], vcc
; %bb.1954:
	s_mov_b32 s0, 0x3fffff
	v_and_b32_e32 v5, 0x400000, v2
	v_and_or_b32 v3, v2, s0, v3
	v_cmp_ne_u32_e32 vcc, 0, v5
	v_cmp_ne_u32_e64 s[0:1], 0, v3
	s_and_b64 s[0:1], vcc, s[0:1]
	v_lshrrev_b32_e32 v4, 23, v2
	v_cndmask_b32_e64 v3, 0, 1, s[0:1]
	v_add_u32_e32 v4, v4, v3
; %bb.1955:
	s_or_b64 exec, exec, s[6:7]
	s_mov_b64 s[0:1], 0
	global_store_byte v[0:1], v4, off
.LBB256_1956:
	s_mov_b64 s[6:7], 0
.LBB256_1957:
	s_and_b64 vcc, exec, s[6:7]
	s_cbranch_vccz .LBB256_1960
; %bb.1958:
	s_cmp_eq_u32 s16, 29
	s_mov_b64 s[0:1], -1
	s_cbranch_scc0 .LBB256_1960
; %bb.1959:
	v_trunc_f32_e32 v3, v2
	v_mul_f32_e32 v4, 0x2f800000, v3
	v_floor_f32_e32 v4, v4
	v_fmamk_f32 v3, v4, 0xcf800000, v3
	v_cvt_u32_f32_e32 v5, v4
	v_cvt_u32_f32_e32 v4, v3
	s_mov_b64 s[0:1], 0
	global_store_dwordx2 v[0:1], v[4:5], off
.LBB256_1960:
	s_mov_b64 s[6:7], 0
.LBB256_1961:
	s_and_b64 vcc, exec, s[6:7]
	s_cbranch_vccz .LBB256_1976
; %bb.1962:
	s_cmp_lt_i32 s16, 27
	s_mov_b64 s[6:7], -1
	s_cbranch_scc1 .LBB256_1968
; %bb.1963:
	v_cvt_u32_f32_e32 v3, v2
	s_cmp_gt_i32 s16, 27
	s_cbranch_scc0 .LBB256_1965
; %bb.1964:
	global_store_dword v[0:1], v3, off
	s_mov_b64 s[6:7], 0
.LBB256_1965:
	s_andn2_b64 vcc, exec, s[6:7]
	s_cbranch_vccnz .LBB256_1967
; %bb.1966:
	global_store_short v[0:1], v3, off
.LBB256_1967:
	s_mov_b64 s[6:7], 0
.LBB256_1968:
	s_andn2_b64 vcc, exec, s[6:7]
	s_cbranch_vccnz .LBB256_1976
; %bb.1969:
	v_and_b32_e32 v3, 0x7fffffff, v2
	s_mov_b32 s6, 0x43800000
	v_cmp_gt_u32_e32 vcc, s6, v3
	v_mov_b32_e32 v4, 0x80
	s_and_saveexec_b64 s[6:7], vcc
	s_cbranch_execz .LBB256_1975
; %bb.1970:
	s_mov_b32 s8, 0x3bffffff
	v_cmp_lt_u32_e32 vcc, s8, v3
	s_mov_b64 s[8:9], 0
                                        ; implicit-def: $vgpr3
	s_and_saveexec_b64 s[10:11], vcc
	s_xor_b64 s[10:11], exec, s[10:11]
	s_cbranch_execz .LBB256_2037
; %bb.1971:
	v_bfe_u32 v3, v2, 20, 1
	s_mov_b32 s17, 0x487ffff
	v_add3_u32 v3, v2, v3, s17
	s_mov_b64 s[8:9], exec
	v_lshrrev_b32_e32 v3, 20, v3
	s_andn2_saveexec_b64 s[10:11], s[10:11]
	s_cbranch_execnz .LBB256_2038
.LBB256_1972:
	s_or_b64 exec, exec, s[10:11]
	v_mov_b32_e32 v4, 0
	s_and_saveexec_b64 s[10:11], s[8:9]
.LBB256_1973:
	v_lshrrev_b32_e32 v4, 24, v2
	s_movk_i32 s8, 0x80
	v_and_or_b32 v4, v4, s8, v3
.LBB256_1974:
	s_or_b64 exec, exec, s[10:11]
.LBB256_1975:
	s_or_b64 exec, exec, s[6:7]
	global_store_byte v[0:1], v4, off
.LBB256_1976:
	s_mov_b64 s[6:7], 0
.LBB256_1977:
	s_and_b64 vcc, exec, s[6:7]
	s_cbranch_vccz .LBB256_2017
; %bb.1978:
	s_cmp_gt_i32 s16, 22
	s_mov_b64 s[4:5], -1
	s_cbranch_scc0 .LBB256_2010
; %bb.1979:
	s_cmp_lt_i32 s16, 24
	s_cbranch_scc1 .LBB256_1999
; %bb.1980:
	s_cmp_gt_i32 s16, 24
	s_cbranch_scc0 .LBB256_1988
; %bb.1981:
	v_and_b32_e32 v3, 0x7fffffff, v2
	s_mov_b32 s4, 0x47800000
	v_cmp_gt_u32_e32 vcc, s4, v3
	v_mov_b32_e32 v4, 0x80
	s_and_saveexec_b64 s[4:5], vcc
	s_cbranch_execz .LBB256_1987
; %bb.1982:
	s_mov_b32 s6, 0x37ffffff
	v_cmp_lt_u32_e32 vcc, s6, v3
	s_mov_b64 s[6:7], 0
                                        ; implicit-def: $vgpr3
	s_and_saveexec_b64 s[8:9], vcc
	s_xor_b64 s[8:9], exec, s[8:9]
	s_cbranch_execz .LBB256_2040
; %bb.1983:
	v_bfe_u32 v3, v2, 21, 1
	s_mov_b32 s10, 0x88fffff
	v_add3_u32 v3, v2, v3, s10
	s_mov_b64 s[6:7], exec
	v_lshrrev_b32_e32 v3, 21, v3
	s_andn2_saveexec_b64 s[8:9], s[8:9]
	s_cbranch_execnz .LBB256_2041
.LBB256_1984:
	s_or_b64 exec, exec, s[8:9]
	v_mov_b32_e32 v4, 0
	s_and_saveexec_b64 s[8:9], s[6:7]
.LBB256_1985:
	v_lshrrev_b32_e32 v4, 24, v2
	s_movk_i32 s6, 0x80
	v_and_or_b32 v4, v4, s6, v3
.LBB256_1986:
	s_or_b64 exec, exec, s[8:9]
.LBB256_1987:
	s_or_b64 exec, exec, s[4:5]
	s_mov_b64 s[4:5], 0
	global_store_byte v[0:1], v4, off
.LBB256_1988:
	s_and_b64 vcc, exec, s[4:5]
	s_cbranch_vccz .LBB256_1998
; %bb.1989:
	v_and_b32_e32 v4, 0x7fffffff, v2
	s_mov_b32 s4, 0x43f00000
	v_cmp_gt_u32_e32 vcc, s4, v4
                                        ; implicit-def: $vgpr3
	s_and_saveexec_b64 s[4:5], vcc
	s_xor_b64 s[4:5], exec, s[4:5]
	s_cbranch_execz .LBB256_1995
; %bb.1990:
	s_mov_b32 s6, 0x3c7fffff
	v_cmp_lt_u32_e32 vcc, s6, v4
                                        ; implicit-def: $vgpr3
	s_and_saveexec_b64 s[6:7], vcc
	s_xor_b64 s[6:7], exec, s[6:7]
; %bb.1991:
	v_bfe_u32 v3, v2, 20, 1
	s_mov_b32 s8, 0x407ffff
	v_add3_u32 v3, v2, v3, s8
	v_lshrrev_b32_e32 v4, 20, v3
	v_and_b32_e32 v3, 0xff00000, v3
	s_mov_b32 s8, 0x7f00000
	v_mov_b32_e32 v5, 0x7e
	v_cmp_ne_u32_e32 vcc, s8, v3
	s_nop 1
	v_cndmask_b32_e32 v3, v5, v4, vcc
; %bb.1992:
	s_andn2_saveexec_b64 s[6:7], s[6:7]
; %bb.1993:
	s_mov_b32 s8, 0x46800000
	v_add_f32_e64 v3, |v2|, s8
; %bb.1994:
	s_or_b64 exec, exec, s[6:7]
                                        ; implicit-def: $vgpr4
.LBB256_1995:
	s_andn2_saveexec_b64 s[4:5], s[4:5]
; %bb.1996:
	s_mov_b32 s6, 0x7f800000
	v_mov_b32_e32 v3, 0x7e
	v_mov_b32_e32 v5, 0x7f
	v_cmp_lt_u32_e32 vcc, s6, v4
	s_nop 1
	v_cndmask_b32_e32 v3, v3, v5, vcc
; %bb.1997:
	s_or_b64 exec, exec, s[4:5]
	v_lshrrev_b32_e32 v4, 24, v2
	s_movk_i32 s4, 0x80
	v_and_or_b32 v3, v4, s4, v3
	global_store_byte v[0:1], v3, off
.LBB256_1998:
	s_mov_b64 s[4:5], 0
.LBB256_1999:
	s_andn2_b64 vcc, exec, s[4:5]
	s_cbranch_vccnz .LBB256_2009
; %bb.2000:
	v_and_b32_e32 v4, 0x7fffffff, v2
	s_mov_b32 s4, 0x47800000
	v_cmp_gt_u32_e32 vcc, s4, v4
                                        ; implicit-def: $vgpr3
	s_and_saveexec_b64 s[4:5], vcc
	s_xor_b64 s[4:5], exec, s[4:5]
	s_cbranch_execz .LBB256_2006
; %bb.2001:
	s_mov_b32 s6, 0x387fffff
	v_cmp_lt_u32_e32 vcc, s6, v4
                                        ; implicit-def: $vgpr3
	s_and_saveexec_b64 s[6:7], vcc
	s_xor_b64 s[6:7], exec, s[6:7]
; %bb.2002:
	v_bfe_u32 v3, v2, 21, 1
	s_mov_b32 s8, 0x80fffff
	v_add3_u32 v3, v2, v3, s8
	v_lshrrev_b32_e32 v3, 21, v3
; %bb.2003:
	s_andn2_saveexec_b64 s[6:7], s[6:7]
; %bb.2004:
	s_mov_b32 s8, 0x43000000
	v_add_f32_e64 v3, |v2|, s8
; %bb.2005:
	s_or_b64 exec, exec, s[6:7]
                                        ; implicit-def: $vgpr4
.LBB256_2006:
	s_andn2_saveexec_b64 s[4:5], s[4:5]
; %bb.2007:
	s_mov_b32 s6, 0x7f800000
	v_mov_b32_e32 v3, 0x7c
	v_mov_b32_e32 v5, 0x7f
	v_cmp_lt_u32_e32 vcc, s6, v4
	s_nop 1
	v_cndmask_b32_e32 v3, v3, v5, vcc
; %bb.2008:
	s_or_b64 exec, exec, s[4:5]
	v_lshrrev_b32_e32 v4, 24, v2
	s_movk_i32 s4, 0x80
	v_and_or_b32 v3, v4, s4, v3
	global_store_byte v[0:1], v3, off
.LBB256_2009:
	s_mov_b64 s[4:5], 0
.LBB256_2010:
	s_andn2_b64 vcc, exec, s[4:5]
	s_mov_b64 s[4:5], 0
	s_cbranch_vccnz .LBB256_2017
; %bb.2011:
	s_cmp_gt_i32 s16, 14
	s_mov_b64 s[6:7], -1
	s_cbranch_scc0 .LBB256_2015
; %bb.2012:
	s_cmp_eq_u32 s16, 15
	s_mov_b64 s[0:1], -1
	s_cbranch_scc0 .LBB256_2014
; %bb.2013:
	v_bfe_u32 v3, v2, 16, 1
	s_movk_i32 s0, 0x7fff
	v_add3_u32 v3, v2, v3, s0
	v_cmp_le_f32_e32 vcc, 0, v6
	v_mov_b32_e32 v4, 0x7fc0
	s_mov_b64 s[0:1], 0
	v_cndmask_b32_sdwa v3, v4, v3, vcc dst_sel:DWORD dst_unused:UNUSED_PAD src0_sel:DWORD src1_sel:WORD_1
	global_store_short v[0:1], v3, off
.LBB256_2014:
	s_mov_b64 s[6:7], 0
.LBB256_2015:
	s_and_b64 vcc, exec, s[6:7]
	s_cbranch_vccz .LBB256_2017
; %bb.2016:
	s_cmp_lg_u32 s16, 11
	s_mov_b64 s[4:5], -1
	s_cselect_b64 s[0:1], -1, 0
.LBB256_2017:
	s_and_b64 vcc, exec, s[0:1]
	s_cbranch_vccnz .LBB256_2039
.LBB256_2018:
	s_mov_b64 s[0:1], 0
	s_branch .LBB256_1424
.LBB256_2019:
	s_mov_b64 s[0:1], 0
                                        ; implicit-def: $sgpr20
                                        ; implicit-def: $vgpr0_vgpr1
                                        ; implicit-def: $vgpr2
	s_branch .LBB256_1423
.LBB256_2020:
	s_mov_b64 s[4:5], 0
	s_mov_b64 s[0:1], -1
	s_branch .LBB256_1424
.LBB256_2021:
	s_trap 2
	s_or_b64 s[14:15], s[14:15], exec
	s_cbranch_execz .LBB256_1534
	s_branch .LBB256_1535
.LBB256_2022:
	s_andn2_saveexec_b64 s[18:19], s[18:19]
	s_cbranch_execz .LBB256_1614
.LBB256_2023:
	s_mov_b32 s21, 0x46000000
	v_add_f32_e64 v1, |v4|, s21
	v_and_b32_e32 v1, 0xff, v1
	v_cmp_ne_u32_e32 vcc, 0, v1
	s_andn2_b64 s[16:17], s[16:17], exec
	s_and_b64 s[22:23], vcc, exec
	s_or_b64 s[16:17], s[16:17], s[22:23]
	s_or_b64 exec, exec, s[18:19]
	v_mov_b32_e32 v5, 0
	s_and_saveexec_b64 s[18:19], s[16:17]
	s_cbranch_execnz .LBB256_1615
	s_branch .LBB256_1616
.LBB256_2024:
	s_trap 2
	s_or_b64 s[14:15], s[14:15], exec
	s_cbranch_execz .LBB256_1662
	s_branch .LBB256_1663
.LBB256_2025:
	s_andn2_saveexec_b64 s[16:17], s[16:17]
	s_cbranch_execz .LBB256_1627
.LBB256_2026:
	s_mov_b32 s18, 0x42800000
	v_add_f32_e64 v1, |v4|, s18
	v_and_b32_e32 v1, 0xff, v1
	v_cmp_ne_u32_e32 vcc, 0, v1
	s_andn2_b64 s[10:11], s[10:11], exec
	s_and_b64 s[18:19], vcc, exec
	s_or_b64 s[10:11], s[10:11], s[18:19]
	s_or_b64 exec, exec, s[16:17]
	v_mov_b32_e32 v5, 0
	s_and_saveexec_b64 s[16:17], s[10:11]
	s_cbranch_execnz .LBB256_1628
	s_branch .LBB256_1629
.LBB256_2027:
	s_andn2_saveexec_b64 s[16:17], s[16:17]
	s_cbranch_execz .LBB256_1733
.LBB256_2028:
	s_mov_b32 s21, 0x46000000
	v_add_f32_e64 v1, |v4|, s21
	v_and_b32_e32 v1, 0xff, v1
	v_cmp_ne_u32_e32 vcc, 0, v1
	s_andn2_b64 s[10:11], s[10:11], exec
	s_and_b64 s[22:23], vcc, exec
	s_or_b64 s[10:11], s[10:11], s[22:23]
	s_or_b64 exec, exec, s[16:17]
	v_mov_b32_e32 v5, 0
	s_and_saveexec_b64 s[16:17], s[10:11]
	s_cbranch_execnz .LBB256_1734
	s_branch .LBB256_1735
.LBB256_2029:
	s_trap 2
	s_or_b64 s[14:15], s[14:15], exec
	s_cbranch_execz .LBB256_1781
	s_branch .LBB256_1782
.LBB256_2030:
	s_andn2_saveexec_b64 s[10:11], s[10:11]
	s_cbranch_execz .LBB256_1746
.LBB256_2031:
	s_mov_b32 s16, 0x42800000
	v_add_f32_e64 v1, |v4|, s16
	v_and_b32_e32 v1, 0xff, v1
	v_cmp_ne_u32_e32 vcc, 0, v1
	s_andn2_b64 s[8:9], s[8:9], exec
	s_and_b64 s[16:17], vcc, exec
	s_or_b64 s[8:9], s[8:9], s[16:17]
	s_or_b64 exec, exec, s[10:11]
	v_mov_b32_e32 v5, 0
	s_and_saveexec_b64 s[10:11], s[8:9]
	s_cbranch_execnz .LBB256_1747
	s_branch .LBB256_1748
.LBB256_2032:
	s_andn2_saveexec_b64 s[16:17], s[16:17]
	s_cbranch_execz .LBB256_1852
.LBB256_2033:
	s_mov_b32 s21, 0x46000000
	v_add_f32_e64 v1, |v4|, s21
	v_and_b32_e32 v1, 0xff, v1
	v_cmp_ne_u32_e32 vcc, 0, v1
	s_andn2_b64 s[10:11], s[10:11], exec
	s_and_b64 s[22:23], vcc, exec
	s_or_b64 s[10:11], s[10:11], s[22:23]
	s_or_b64 exec, exec, s[16:17]
	v_mov_b32_e32 v5, 0
	s_and_saveexec_b64 s[16:17], s[10:11]
	s_cbranch_execnz .LBB256_1853
	s_branch .LBB256_1854
.LBB256_2034:
	s_trap 2
	s_or_b64 s[14:15], s[14:15], exec
	s_cbranch_execz .LBB256_1900
	s_branch .LBB256_1901
.LBB256_2035:
	s_andn2_saveexec_b64 s[10:11], s[10:11]
	s_cbranch_execz .LBB256_1865
.LBB256_2036:
	s_mov_b32 s16, 0x42800000
	v_add_f32_e64 v1, |v4|, s16
	v_and_b32_e32 v1, 0xff, v1
	v_cmp_ne_u32_e32 vcc, 0, v1
	s_andn2_b64 s[8:9], s[8:9], exec
	s_and_b64 s[16:17], vcc, exec
	s_or_b64 s[8:9], s[8:9], s[16:17]
	s_or_b64 exec, exec, s[10:11]
	v_mov_b32_e32 v5, 0
	s_and_saveexec_b64 s[10:11], s[8:9]
	s_cbranch_execnz .LBB256_1866
	s_branch .LBB256_1867
.LBB256_2037:
	s_andn2_saveexec_b64 s[10:11], s[10:11]
	s_cbranch_execz .LBB256_1972
.LBB256_2038:
	s_mov_b32 s17, 0x46000000
	v_add_f32_e64 v3, |v2|, s17
	v_and_b32_e32 v3, 0xff, v3
	v_cmp_ne_u32_e32 vcc, 0, v3
	s_andn2_b64 s[8:9], s[8:9], exec
	s_and_b64 s[18:19], vcc, exec
	s_or_b64 s[8:9], s[8:9], s[18:19]
	s_or_b64 exec, exec, s[10:11]
	v_mov_b32_e32 v4, 0
	s_and_saveexec_b64 s[10:11], s[8:9]
	s_cbranch_execnz .LBB256_1973
	s_branch .LBB256_1974
.LBB256_2039:
	s_mov_b64 s[4:5], 0
	s_or_b64 s[14:15], s[14:15], exec
	s_trap 2
	s_branch .LBB256_2018
.LBB256_2040:
	s_andn2_saveexec_b64 s[8:9], s[8:9]
	s_cbranch_execz .LBB256_1984
.LBB256_2041:
	s_mov_b32 s10, 0x42800000
	v_add_f32_e64 v3, |v2|, s10
	v_and_b32_e32 v3, 0xff, v3
	v_cmp_ne_u32_e32 vcc, 0, v3
	s_andn2_b64 s[6:7], s[6:7], exec
	s_and_b64 s[10:11], vcc, exec
	s_or_b64 s[6:7], s[6:7], s[10:11]
	s_or_b64 exec, exec, s[8:9]
	v_mov_b32_e32 v4, 0
	s_and_saveexec_b64 s[8:9], s[6:7]
	s_cbranch_execnz .LBB256_1985
	s_branch .LBB256_1986
	.section	.rodata,"a",@progbits
	.p2align	6, 0x0
	.amdhsa_kernel _ZN2at6native32elementwise_kernel_manual_unrollILi128ELi4EZNS0_15gpu_kernel_implIZZZNS0_16sqrt_kernel_cudaERNS_18TensorIteratorBaseEENKUlvE0_clEvENKUlvE0_clEvEUlfE_EEvS4_RKT_EUlibE_EEviT1_
		.amdhsa_group_segment_fixed_size 0
		.amdhsa_private_segment_fixed_size 0
		.amdhsa_kernarg_size 40
		.amdhsa_user_sgpr_count 2
		.amdhsa_user_sgpr_dispatch_ptr 0
		.amdhsa_user_sgpr_queue_ptr 0
		.amdhsa_user_sgpr_kernarg_segment_ptr 1
		.amdhsa_user_sgpr_dispatch_id 0
		.amdhsa_user_sgpr_kernarg_preload_length 0
		.amdhsa_user_sgpr_kernarg_preload_offset 0
		.amdhsa_user_sgpr_private_segment_size 0
		.amdhsa_uses_dynamic_stack 0
		.amdhsa_enable_private_segment 0
		.amdhsa_system_sgpr_workgroup_id_x 1
		.amdhsa_system_sgpr_workgroup_id_y 0
		.amdhsa_system_sgpr_workgroup_id_z 0
		.amdhsa_system_sgpr_workgroup_info 0
		.amdhsa_system_vgpr_workitem_id 0
		.amdhsa_next_free_vgpr 14
		.amdhsa_next_free_sgpr 44
		.amdhsa_accum_offset 16
		.amdhsa_reserve_vcc 1
		.amdhsa_float_round_mode_32 0
		.amdhsa_float_round_mode_16_64 0
		.amdhsa_float_denorm_mode_32 3
		.amdhsa_float_denorm_mode_16_64 3
		.amdhsa_dx10_clamp 1
		.amdhsa_ieee_mode 1
		.amdhsa_fp16_overflow 0
		.amdhsa_tg_split 0
		.amdhsa_exception_fp_ieee_invalid_op 0
		.amdhsa_exception_fp_denorm_src 0
		.amdhsa_exception_fp_ieee_div_zero 0
		.amdhsa_exception_fp_ieee_overflow 0
		.amdhsa_exception_fp_ieee_underflow 0
		.amdhsa_exception_fp_ieee_inexact 0
		.amdhsa_exception_int_div_zero 0
	.end_amdhsa_kernel
	.section	.text._ZN2at6native32elementwise_kernel_manual_unrollILi128ELi4EZNS0_15gpu_kernel_implIZZZNS0_16sqrt_kernel_cudaERNS_18TensorIteratorBaseEENKUlvE0_clEvENKUlvE0_clEvEUlfE_EEvS4_RKT_EUlibE_EEviT1_,"axG",@progbits,_ZN2at6native32elementwise_kernel_manual_unrollILi128ELi4EZNS0_15gpu_kernel_implIZZZNS0_16sqrt_kernel_cudaERNS_18TensorIteratorBaseEENKUlvE0_clEvENKUlvE0_clEvEUlfE_EEvS4_RKT_EUlibE_EEviT1_,comdat
.Lfunc_end256:
	.size	_ZN2at6native32elementwise_kernel_manual_unrollILi128ELi4EZNS0_15gpu_kernel_implIZZZNS0_16sqrt_kernel_cudaERNS_18TensorIteratorBaseEENKUlvE0_clEvENKUlvE0_clEvEUlfE_EEvS4_RKT_EUlibE_EEviT1_, .Lfunc_end256-_ZN2at6native32elementwise_kernel_manual_unrollILi128ELi4EZNS0_15gpu_kernel_implIZZZNS0_16sqrt_kernel_cudaERNS_18TensorIteratorBaseEENKUlvE0_clEvENKUlvE0_clEvEUlfE_EEvS4_RKT_EUlibE_EEviT1_
                                        ; -- End function
	.set _ZN2at6native32elementwise_kernel_manual_unrollILi128ELi4EZNS0_15gpu_kernel_implIZZZNS0_16sqrt_kernel_cudaERNS_18TensorIteratorBaseEENKUlvE0_clEvENKUlvE0_clEvEUlfE_EEvS4_RKT_EUlibE_EEviT1_.num_vgpr, 14
	.set _ZN2at6native32elementwise_kernel_manual_unrollILi128ELi4EZNS0_15gpu_kernel_implIZZZNS0_16sqrt_kernel_cudaERNS_18TensorIteratorBaseEENKUlvE0_clEvENKUlvE0_clEvEUlfE_EEvS4_RKT_EUlibE_EEviT1_.num_agpr, 0
	.set _ZN2at6native32elementwise_kernel_manual_unrollILi128ELi4EZNS0_15gpu_kernel_implIZZZNS0_16sqrt_kernel_cudaERNS_18TensorIteratorBaseEENKUlvE0_clEvENKUlvE0_clEvEUlfE_EEvS4_RKT_EUlibE_EEviT1_.numbered_sgpr, 44
	.set _ZN2at6native32elementwise_kernel_manual_unrollILi128ELi4EZNS0_15gpu_kernel_implIZZZNS0_16sqrt_kernel_cudaERNS_18TensorIteratorBaseEENKUlvE0_clEvENKUlvE0_clEvEUlfE_EEvS4_RKT_EUlibE_EEviT1_.num_named_barrier, 0
	.set _ZN2at6native32elementwise_kernel_manual_unrollILi128ELi4EZNS0_15gpu_kernel_implIZZZNS0_16sqrt_kernel_cudaERNS_18TensorIteratorBaseEENKUlvE0_clEvENKUlvE0_clEvEUlfE_EEvS4_RKT_EUlibE_EEviT1_.private_seg_size, 0
	.set _ZN2at6native32elementwise_kernel_manual_unrollILi128ELi4EZNS0_15gpu_kernel_implIZZZNS0_16sqrt_kernel_cudaERNS_18TensorIteratorBaseEENKUlvE0_clEvENKUlvE0_clEvEUlfE_EEvS4_RKT_EUlibE_EEviT1_.uses_vcc, 1
	.set _ZN2at6native32elementwise_kernel_manual_unrollILi128ELi4EZNS0_15gpu_kernel_implIZZZNS0_16sqrt_kernel_cudaERNS_18TensorIteratorBaseEENKUlvE0_clEvENKUlvE0_clEvEUlfE_EEvS4_RKT_EUlibE_EEviT1_.uses_flat_scratch, 0
	.set _ZN2at6native32elementwise_kernel_manual_unrollILi128ELi4EZNS0_15gpu_kernel_implIZZZNS0_16sqrt_kernel_cudaERNS_18TensorIteratorBaseEENKUlvE0_clEvENKUlvE0_clEvEUlfE_EEvS4_RKT_EUlibE_EEviT1_.has_dyn_sized_stack, 0
	.set _ZN2at6native32elementwise_kernel_manual_unrollILi128ELi4EZNS0_15gpu_kernel_implIZZZNS0_16sqrt_kernel_cudaERNS_18TensorIteratorBaseEENKUlvE0_clEvENKUlvE0_clEvEUlfE_EEvS4_RKT_EUlibE_EEviT1_.has_recursion, 0
	.set _ZN2at6native32elementwise_kernel_manual_unrollILi128ELi4EZNS0_15gpu_kernel_implIZZZNS0_16sqrt_kernel_cudaERNS_18TensorIteratorBaseEENKUlvE0_clEvENKUlvE0_clEvEUlfE_EEvS4_RKT_EUlibE_EEviT1_.has_indirect_call, 0
	.section	.AMDGPU.csdata,"",@progbits
; Kernel info:
; codeLenInByte = 33472
; TotalNumSgprs: 50
; NumVgprs: 14
; NumAgprs: 0
; TotalNumVgprs: 14
; ScratchSize: 0
; MemoryBound: 1
; FloatMode: 240
; IeeeMode: 1
; LDSByteSize: 0 bytes/workgroup (compile time only)
; SGPRBlocks: 6
; VGPRBlocks: 1
; NumSGPRsForWavesPerEU: 50
; NumVGPRsForWavesPerEU: 14
; AccumOffset: 16
; Occupancy: 8
; WaveLimiterHint : 0
; COMPUTE_PGM_RSRC2:SCRATCH_EN: 0
; COMPUTE_PGM_RSRC2:USER_SGPR: 2
; COMPUTE_PGM_RSRC2:TRAP_HANDLER: 0
; COMPUTE_PGM_RSRC2:TGID_X_EN: 1
; COMPUTE_PGM_RSRC2:TGID_Y_EN: 0
; COMPUTE_PGM_RSRC2:TGID_Z_EN: 0
; COMPUTE_PGM_RSRC2:TIDIG_COMP_CNT: 0
; COMPUTE_PGM_RSRC3_GFX90A:ACCUM_OFFSET: 3
; COMPUTE_PGM_RSRC3_GFX90A:TG_SPLIT: 0
	.section	.text._ZN2at6native32elementwise_kernel_manual_unrollILi128ELi4EZNS0_15gpu_kernel_implIZZZNS0_16sqrt_kernel_cudaERNS_18TensorIteratorBaseEENKUlvE0_clEvENKUlvE0_clEvEUlfE_EEvS4_RKT_EUlibE0_EEviT1_,"axG",@progbits,_ZN2at6native32elementwise_kernel_manual_unrollILi128ELi4EZNS0_15gpu_kernel_implIZZZNS0_16sqrt_kernel_cudaERNS_18TensorIteratorBaseEENKUlvE0_clEvENKUlvE0_clEvEUlfE_EEvS4_RKT_EUlibE0_EEviT1_,comdat
	.globl	_ZN2at6native32elementwise_kernel_manual_unrollILi128ELi4EZNS0_15gpu_kernel_implIZZZNS0_16sqrt_kernel_cudaERNS_18TensorIteratorBaseEENKUlvE0_clEvENKUlvE0_clEvEUlfE_EEvS4_RKT_EUlibE0_EEviT1_ ; -- Begin function _ZN2at6native32elementwise_kernel_manual_unrollILi128ELi4EZNS0_15gpu_kernel_implIZZZNS0_16sqrt_kernel_cudaERNS_18TensorIteratorBaseEENKUlvE0_clEvENKUlvE0_clEvEUlfE_EEvS4_RKT_EUlibE0_EEviT1_
	.p2align	8
	.type	_ZN2at6native32elementwise_kernel_manual_unrollILi128ELi4EZNS0_15gpu_kernel_implIZZZNS0_16sqrt_kernel_cudaERNS_18TensorIteratorBaseEENKUlvE0_clEvENKUlvE0_clEvEUlfE_EEvS4_RKT_EUlibE0_EEviT1_,@function
_ZN2at6native32elementwise_kernel_manual_unrollILi128ELi4EZNS0_15gpu_kernel_implIZZZNS0_16sqrt_kernel_cudaERNS_18TensorIteratorBaseEENKUlvE0_clEvENKUlvE0_clEvEUlfE_EEvS4_RKT_EUlibE0_EEviT1_: ; @_ZN2at6native32elementwise_kernel_manual_unrollILi128ELi4EZNS0_15gpu_kernel_implIZZZNS0_16sqrt_kernel_cudaERNS_18TensorIteratorBaseEENKUlvE0_clEvENKUlvE0_clEvEUlfE_EEvS4_RKT_EUlibE0_EEviT1_
; %bb.0:
	s_load_dword s70, s[0:1], 0x0
	s_load_dword s33, s[0:1], 0x8
	s_add_u32 s34, s0, 8
	s_addc_u32 s35, s1, 0
	v_lshl_or_b32 v8, s2, 9, v0
	v_or_b32_e32 v16, 0x180, v8
	s_waitcnt lgkmcnt(0)
	s_add_i32 s72, s33, -1
	s_cmp_gt_u32 s72, 1
	v_cmp_le_i32_e32 vcc, s70, v16
	s_cselect_b64 s[42:43], -1, 0
	s_mov_b64 s[40:41], 0
	s_mov_b64 s[24:25], 0
	s_and_saveexec_b64 s[2:3], vcc
	s_xor_b64 s[44:45], exec, s[2:3]
	s_cbranch_execz .LBB257_1090
; %bb.1:
	v_mov_b32_e32 v0, 0
	global_load_ushort v0, v0, s[34:35] offset:345
	s_load_dwordx4 s[28:31], s[34:35], 0x4
	s_load_dwordx2 s[46:47], s[34:35], 0x14
	s_load_dwordx4 s[24:27], s[34:35], 0xc4
	s_load_dwordx4 s[20:23], s[34:35], 0x148
	s_cmp_lg_u32 s33, 0
	s_cselect_b64 s[52:53], -1, 0
	s_add_u32 s50, s34, 0xc4
	s_addc_u32 s51, s35, 0
	s_min_u32 s75, s72, 15
	s_cmp_gt_u32 s33, 1
	s_cselect_b64 s[48:49], -1, 0
	v_cmp_gt_i32_e32 vcc, s70, v8
	s_mov_b64 s[4:5], -1
	s_mov_b64 s[62:63], 0
	s_mov_b64 s[56:57], 0
	;; [unrolled: 1-line block ×3, first 2 shown]
	s_waitcnt vmcnt(0)
	v_readfirstlane_b32 s73, v0
	s_and_b32 s2, 0xffff, s73
	s_lshr_b32 s74, s2, 8
	s_and_saveexec_b64 s[58:59], vcc
	s_cbranch_execz .LBB257_267
; %bb.2:
	s_andn2_b64 vcc, exec, s[42:43]
	s_cbranch_vccnz .LBB257_8
; %bb.3:
	s_andn2_b64 vcc, exec, s[52:53]
	s_cbranch_vccnz .LBB257_9
; %bb.4:
	s_add_i32 s57, s75, 1
	s_cmp_eq_u32 s72, 2
	s_cbranch_scc1 .LBB257_10
; %bb.5:
	s_and_b32 s56, s57, 28
	s_mov_b32 s60, 0
	v_mov_b32_e32 v0, 0
	v_mov_b32_e32 v2, 0
	s_mov_b64 s[2:3], s[34:35]
	s_mov_b64 s[54:55], s[50:51]
	v_mov_b32_e32 v4, v8
.LBB257_6:                              ; =>This Inner Loop Header: Depth=1
	s_load_dwordx8 s[12:19], s[2:3], 0x4
	s_load_dwordx4 s[36:39], s[2:3], 0x24
	s_load_dwordx8 s[4:11], s[54:55], 0x0
	s_add_u32 s2, s2, 48
	s_addc_u32 s3, s3, 0
	s_waitcnt lgkmcnt(0)
	v_mul_hi_u32 v1, s13, v4
	v_add_u32_e32 v1, v4, v1
	v_lshrrev_b32_e32 v1, s14, v1
	v_mul_lo_u32 v3, v1, s12
	v_mul_hi_u32 v5, s16, v1
	v_sub_u32_e32 v3, v4, v3
	v_add_u32_e32 v4, v1, v5
	v_lshrrev_b32_e32 v4, s17, v4
	v_mul_lo_u32 v6, v4, s15
	v_mul_hi_u32 v7, s19, v4
	v_sub_u32_e32 v1, v1, v6
	v_add_u32_e32 v6, v4, v7
	v_mul_lo_u32 v5, v3, s5
	v_mul_lo_u32 v3, v3, s4
	;; [unrolled: 1-line block ×4, first 2 shown]
	v_lshrrev_b32_e32 v6, s36, v6
	v_add3_u32 v0, v3, v0, v1
	v_mul_hi_u32 v3, s38, v6
	v_add3_u32 v1, v5, v2, v7
	v_mul_lo_u32 v2, v6, s18
	v_add_u32_e32 v3, v6, v3
	v_sub_u32_e32 v2, v4, v2
	v_lshrrev_b32_e32 v4, s39, v3
	s_add_i32 s60, s60, 4
	v_mul_lo_u32 v3, v4, s37
	s_add_u32 s54, s54, 32
	v_sub_u32_e32 v3, v6, v3
	s_addc_u32 s55, s55, 0
	v_mul_lo_u32 v5, v2, s8
	v_mul_lo_u32 v2, v2, s9
	;; [unrolled: 1-line block ×4, first 2 shown]
	s_cmp_lg_u32 s56, s60
	v_add3_u32 v2, v2, v1, v3
	v_add3_u32 v0, v5, v0, v6
	s_cbranch_scc1 .LBB257_6
; %bb.7:
	v_mov_b32_e32 v1, v2
	s_branch .LBB257_11
.LBB257_8:
                                        ; implicit-def: $vgpr2
                                        ; implicit-def: $vgpr0
	s_branch .LBB257_15
.LBB257_9:
	v_mov_b32_e32 v2, 0
	v_mov_b32_e32 v0, 0
	s_branch .LBB257_14
.LBB257_10:
	v_mov_b32_e32 v0, 0
	s_mov_b32 s56, 0
	v_mov_b32_e32 v1, v0
                                        ; implicit-def: $vgpr2
	v_mov_b32_e32 v4, v8
.LBB257_11:
	s_and_b32 s6, s57, 3
	s_cmp_eq_u32 s6, 0
	s_cbranch_scc1 .LBB257_14
; %bb.12:
	s_lshl_b32 s2, s56, 3
	s_add_u32 s2, s34, s2
	s_addc_u32 s3, s35, 0
	s_add_u32 s2, s2, 0xc4
	s_addc_u32 s3, s3, 0
	s_mul_i32 s4, s56, 12
	s_add_u32 s4, s34, s4
	s_addc_u32 s5, s35, 0
.LBB257_13:                             ; =>This Inner Loop Header: Depth=1
	s_load_dwordx2 s[8:9], s[4:5], 0x4
	s_load_dword s7, s[4:5], 0xc
	s_load_dwordx2 s[10:11], s[2:3], 0x0
	v_mov_b32_e32 v2, v1
	s_add_u32 s4, s4, 12
	s_waitcnt lgkmcnt(0)
	v_mul_hi_u32 v1, s9, v4
	v_add_u32_e32 v1, v4, v1
	v_lshrrev_b32_e32 v1, s7, v1
	s_addc_u32 s5, s5, 0
	v_mul_lo_u32 v3, v1, s8
	s_add_u32 s2, s2, 8
	v_sub_u32_e32 v5, v4, v3
	s_addc_u32 s3, s3, 0
	s_add_i32 s6, s6, -1
	v_mov_b32_e32 v4, v1
	v_mad_u64_u32 v[2:3], s[8:9], v5, s11, v[2:3]
	v_mad_u64_u32 v[0:1], s[8:9], v5, s10, v[0:1]
	s_cmp_lg_u32 s6, 0
	v_mov_b32_e32 v1, v2
	s_cbranch_scc1 .LBB257_13
.LBB257_14:
	s_cbranch_execnz .LBB257_17
.LBB257_15:
	s_waitcnt lgkmcnt(0)
	v_mul_hi_u32 v0, s29, v8
	v_add_u32_e32 v0, v8, v0
	v_lshrrev_b32_e32 v1, s30, v0
	v_mul_lo_u32 v0, v1, s28
	v_sub_u32_e32 v0, v8, v0
	v_mul_lo_u32 v2, v0, s25
	s_andn2_b64 vcc, exec, s[48:49]
	v_mul_lo_u32 v0, v0, s24
	s_cbranch_vccnz .LBB257_17
; %bb.16:
	v_mul_hi_u32 v3, s46, v1
	v_add_u32_e32 v3, v1, v3
	v_lshrrev_b32_e32 v3, s47, v3
	v_mul_lo_u32 v3, v3, s31
	v_sub_u32_e32 v3, v1, v3
	v_mad_u64_u32 v[0:1], s[2:3], v3, s26, v[0:1]
	v_mad_u64_u32 v[2:3], s[2:3], v3, s27, v[2:3]
.LBB257_17:
	v_mov_b32_e32 v3, 0
	s_and_b32 s10, 0xffff, s74
	s_cmp_lt_i32 s10, 11
	s_waitcnt lgkmcnt(0)
	v_lshl_add_u64 v[2:3], s[22:23], 0, v[2:3]
	s_cbranch_scc1 .LBB257_24
; %bb.18:
	s_cmp_gt_i32 s10, 25
	s_cbranch_scc0 .LBB257_33
; %bb.19:
	s_cmp_gt_i32 s10, 28
	s_cbranch_scc0 .LBB257_36
; %bb.20:
	s_cmp_gt_i32 s10, 43
	s_cbranch_scc0 .LBB257_38
; %bb.21:
	s_cmp_gt_i32 s10, 45
	s_cbranch_scc0 .LBB257_40
; %bb.22:
	s_cmp_eq_u32 s10, 46
	s_mov_b64 s[6:7], 0
	s_cbranch_scc0 .LBB257_42
; %bb.23:
	global_load_dword v1, v[2:3], off
	s_mov_b64 s[2:3], -1
	s_mov_b64 s[4:5], 0
	s_waitcnt vmcnt(0)
	v_lshlrev_b32_e32 v4, 16, v1
	s_branch .LBB257_44
.LBB257_24:
	s_mov_b64 s[4:5], 0
                                        ; implicit-def: $vgpr4
	s_mov_b64 s[2:3], 0
	s_cbranch_execnz .LBB257_217
.LBB257_25:
	s_andn2_b64 vcc, exec, s[2:3]
	s_cbranch_vccnz .LBB257_264
.LBB257_26:
	s_mov_b32 s2, 0xf800000
	s_waitcnt vmcnt(0)
	v_mul_f32_e32 v1, 0x4f800000, v4
	v_cmp_gt_f32_e32 vcc, s2, v4
	s_and_b32 s12, s73, 0xff
	s_cmp_lt_i32 s12, 11
	v_cndmask_b32_e32 v1, v4, v1, vcc
	v_sqrt_f32_e32 v2, v1
	s_nop 0
	v_add_u32_e32 v3, -1, v2
	v_fma_f32 v5, -v3, v2, v1
	v_cmp_ge_f32_e64 s[2:3], 0, v5
	v_add_u32_e32 v5, 1, v2
	s_nop 0
	v_cndmask_b32_e64 v3, v2, v3, s[2:3]
	v_fma_f32 v2, -v5, v2, v1
	v_cmp_lt_f32_e64 s[2:3], 0, v2
	s_nop 1
	v_cndmask_b32_e64 v2, v3, v5, s[2:3]
	v_mul_f32_e32 v3, 0x37800000, v2
	v_cndmask_b32_e32 v2, v2, v3, vcc
	v_mov_b32_e32 v3, 0x260
	v_cmp_class_f32_e32 vcc, v1, v3
	s_nop 1
	v_cndmask_b32_e32 v2, v2, v1, vcc
	v_mov_b32_e32 v1, 0
	v_lshl_add_u64 v[0:1], s[20:21], 0, v[0:1]
	s_cbranch_scc1 .LBB257_34
; %bb.27:
	s_and_b32 s13, 0xffff, s12
	s_cmp_gt_i32 s13, 25
	s_cbranch_scc0 .LBB257_37
; %bb.28:
	s_cmp_gt_i32 s13, 28
	s_cbranch_scc0 .LBB257_39
; %bb.29:
	;; [unrolled: 3-line block ×4, first 2 shown]
	s_mov_b64 s[8:9], 0
	s_mov_b64 s[2:3], -1
	s_cmp_eq_u32 s13, 46
	s_mov_b64 s[6:7], 0
	s_cbranch_scc0 .LBB257_48
; %bb.32:
	v_bfe_u32 v3, v2, 16, 1
	s_movk_i32 s2, 0x7fff
	v_add3_u32 v3, v2, v3, s2
	v_cmp_le_f32_e32 vcc, 0, v4
	v_mov_b32_e32 v5, 0x7fc0
	s_mov_b64 s[6:7], -1
	v_cndmask_b32_sdwa v3, v5, v3, vcc dst_sel:DWORD dst_unused:UNUSED_PAD src0_sel:DWORD src1_sel:WORD_1
	global_store_dword v[0:1], v3, off
	s_mov_b64 s[2:3], 0
	s_branch .LBB257_48
.LBB257_33:
	s_mov_b64 s[4:5], 0
	s_mov_b64 s[2:3], 0
                                        ; implicit-def: $vgpr4
	s_cbranch_execnz .LBB257_182
	s_branch .LBB257_216
.LBB257_34:
	s_mov_b64 s[2:3], 0
	s_mov_b64 s[6:7], 0
	s_cbranch_execnz .LBB257_117
.LBB257_35:
	s_andn2_b64 vcc, exec, s[6:7]
	s_cbranch_vccnz .LBB257_265
	s_branch .LBB257_155
.LBB257_36:
	s_mov_b64 s[6:7], -1
	s_mov_b64 s[4:5], 0
	s_mov_b64 s[2:3], 0
                                        ; implicit-def: $vgpr4
	s_branch .LBB257_163
.LBB257_37:
	s_mov_b64 s[8:9], -1
	s_mov_b64 s[2:3], 0
	s_mov_b64 s[6:7], 0
	s_branch .LBB257_75
.LBB257_38:
	s_mov_b64 s[6:7], -1
	s_mov_b64 s[4:5], 0
	s_mov_b64 s[2:3], 0
                                        ; implicit-def: $vgpr4
	s_branch .LBB257_158
.LBB257_39:
	s_mov_b64 s[8:9], -1
	s_mov_b64 s[2:3], 0
	s_mov_b64 s[6:7], 0
	s_branch .LBB257_58
.LBB257_40:
	s_mov_b64 s[6:7], -1
	s_mov_b64 s[4:5], 0
	s_branch .LBB257_43
.LBB257_41:
	s_mov_b64 s[8:9], -1
	s_mov_b64 s[2:3], 0
	s_mov_b64 s[6:7], 0
	s_branch .LBB257_54
.LBB257_42:
	s_mov_b64 s[4:5], -1
.LBB257_43:
	s_mov_b64 s[2:3], 0
                                        ; implicit-def: $vgpr4
.LBB257_44:
	s_and_b64 vcc, exec, s[6:7]
	s_cbranch_vccz .LBB257_157
; %bb.45:
	s_cmp_eq_u32 s10, 44
	s_cbranch_scc0 .LBB257_156
; %bb.46:
	global_load_ubyte v1, v[2:3], off
	s_movk_i32 s4, 0xff
	v_mov_b32_e32 v4, 0x7f800001
	v_mov_b32_e32 v5, 0x400000
	s_mov_b64 s[2:3], -1
	s_waitcnt vmcnt(0)
	v_lshlrev_b32_e32 v6, 23, v1
	v_cmp_ne_u32_e32 vcc, s4, v1
	s_mov_b64 s[4:5], 0
	s_nop 0
	v_cndmask_b32_e32 v4, v4, v6, vcc
	v_cmp_ne_u32_e32 vcc, 0, v1
	s_nop 1
	v_cndmask_b32_e32 v4, v5, v4, vcc
	s_branch .LBB257_157
.LBB257_47:
	s_mov_b64 s[8:9], -1
	s_mov_b64 s[2:3], 0
	s_mov_b64 s[6:7], 0
.LBB257_48:
	s_and_b64 vcc, exec, s[8:9]
	s_cbranch_vccz .LBB257_53
; %bb.49:
	s_cmp_eq_u32 s13, 44
	s_mov_b64 s[2:3], -1
	s_cbranch_scc0 .LBB257_53
; %bb.50:
	v_bfe_u32 v3, v2, 23, 8
	s_movk_i32 s2, 0xff
	v_cmp_ne_u32_e32 vcc, s2, v3
	v_mov_b32_e32 v5, 0xff
	s_and_saveexec_b64 s[6:7], vcc
; %bb.51:
	s_mov_b32 s2, 0x3fffff
	v_and_b32_e32 v6, 0x400000, v2
	v_and_or_b32 v3, v2, s2, v3
	v_cmp_ne_u32_e32 vcc, 0, v6
	v_cmp_ne_u32_e64 s[2:3], 0, v3
	s_and_b64 s[2:3], vcc, s[2:3]
	v_lshrrev_b32_e32 v5, 23, v2
	v_cndmask_b32_e64 v3, 0, 1, s[2:3]
	v_add_u32_e32 v5, v5, v3
; %bb.52:
	s_or_b64 exec, exec, s[6:7]
	s_mov_b64 s[6:7], -1
	s_mov_b64 s[2:3], 0
	global_store_byte v[0:1], v5, off
.LBB257_53:
	s_mov_b64 s[8:9], 0
.LBB257_54:
	s_and_b64 vcc, exec, s[8:9]
	s_cbranch_vccz .LBB257_57
; %bb.55:
	s_cmp_eq_u32 s13, 29
	s_mov_b64 s[2:3], -1
	s_cbranch_scc0 .LBB257_57
; %bb.56:
	v_trunc_f32_e32 v3, v2
	v_mul_f32_e32 v5, 0x2f800000, v3
	v_floor_f32_e32 v5, v5
	v_fmamk_f32 v3, v5, 0xcf800000, v3
	v_cvt_u32_f32_e32 v7, v5
	v_cvt_u32_f32_e32 v6, v3
	s_mov_b64 s[6:7], -1
	s_mov_b64 s[2:3], 0
	s_mov_b64 s[8:9], 0
	global_store_dwordx2 v[0:1], v[6:7], off
	s_branch .LBB257_58
.LBB257_57:
	s_mov_b64 s[8:9], 0
.LBB257_58:
	s_and_b64 vcc, exec, s[8:9]
	s_cbranch_vccz .LBB257_74
; %bb.59:
	s_cmp_lt_i32 s13, 27
	s_mov_b64 s[6:7], -1
	s_cbranch_scc1 .LBB257_65
; %bb.60:
	v_cvt_u32_f32_e32 v3, v2
	s_cmp_gt_i32 s13, 27
	s_cbranch_scc0 .LBB257_62
; %bb.61:
	s_mov_b64 s[6:7], 0
	global_store_dword v[0:1], v3, off
.LBB257_62:
	s_andn2_b64 vcc, exec, s[6:7]
	s_cbranch_vccnz .LBB257_64
; %bb.63:
	global_store_short v[0:1], v3, off
.LBB257_64:
	s_mov_b64 s[6:7], 0
.LBB257_65:
	s_andn2_b64 vcc, exec, s[6:7]
	s_cbranch_vccnz .LBB257_73
; %bb.66:
	v_and_b32_e32 v3, 0x7fffffff, v2
	s_mov_b32 s6, 0x43800000
	v_cmp_gt_u32_e32 vcc, s6, v3
	v_mov_b32_e32 v5, 0x80
	s_and_saveexec_b64 s[6:7], vcc
	s_cbranch_execz .LBB257_72
; %bb.67:
	s_mov_b32 s8, 0x3bffffff
	v_cmp_lt_u32_e32 vcc, s8, v3
	s_mov_b64 s[8:9], 0
                                        ; implicit-def: $vgpr3
	s_and_saveexec_b64 s[10:11], vcc
	s_xor_b64 s[10:11], exec, s[10:11]
	s_cbranch_execz .LBB257_309
; %bb.68:
	v_bfe_u32 v3, v2, 20, 1
	s_mov_b32 s14, 0x487ffff
	v_add3_u32 v3, v2, v3, s14
	s_mov_b64 s[8:9], exec
	v_lshrrev_b32_e32 v3, 20, v3
	s_andn2_saveexec_b64 s[10:11], s[10:11]
	s_cbranch_execnz .LBB257_310
.LBB257_69:
	s_or_b64 exec, exec, s[10:11]
	v_mov_b32_e32 v5, 0
	s_and_saveexec_b64 s[10:11], s[8:9]
.LBB257_70:
	v_lshrrev_b32_e32 v5, 24, v2
	s_movk_i32 s8, 0x80
	v_and_or_b32 v5, v5, s8, v3
.LBB257_71:
	s_or_b64 exec, exec, s[10:11]
.LBB257_72:
	s_or_b64 exec, exec, s[6:7]
	global_store_byte v[0:1], v5, off
.LBB257_73:
	s_mov_b64 s[6:7], -1
.LBB257_74:
	s_mov_b64 s[8:9], 0
.LBB257_75:
	s_and_b64 vcc, exec, s[8:9]
	s_cbranch_vccz .LBB257_116
; %bb.76:
	s_cmp_gt_i32 s13, 22
	s_mov_b64 s[8:9], -1
	s_cbranch_scc0 .LBB257_108
; %bb.77:
	s_cmp_lt_i32 s13, 24
	s_mov_b64 s[6:7], -1
	s_cbranch_scc1 .LBB257_97
; %bb.78:
	s_cmp_gt_i32 s13, 24
	s_cbranch_scc0 .LBB257_86
; %bb.79:
	v_and_b32_e32 v3, 0x7fffffff, v2
	s_mov_b32 s6, 0x47800000
	v_cmp_gt_u32_e32 vcc, s6, v3
	v_mov_b32_e32 v5, 0x80
	s_and_saveexec_b64 s[6:7], vcc
	s_cbranch_execz .LBB257_85
; %bb.80:
	s_mov_b32 s8, 0x37ffffff
	v_cmp_lt_u32_e32 vcc, s8, v3
	s_mov_b64 s[8:9], 0
                                        ; implicit-def: $vgpr3
	s_and_saveexec_b64 s[10:11], vcc
	s_xor_b64 s[10:11], exec, s[10:11]
	s_cbranch_execz .LBB257_313
; %bb.81:
	v_bfe_u32 v3, v2, 21, 1
	s_mov_b32 s14, 0x88fffff
	v_add3_u32 v3, v2, v3, s14
	s_mov_b64 s[8:9], exec
	v_lshrrev_b32_e32 v3, 21, v3
	s_andn2_saveexec_b64 s[10:11], s[10:11]
	s_cbranch_execnz .LBB257_314
.LBB257_82:
	s_or_b64 exec, exec, s[10:11]
	v_mov_b32_e32 v5, 0
	s_and_saveexec_b64 s[10:11], s[8:9]
.LBB257_83:
	v_lshrrev_b32_e32 v5, 24, v2
	s_movk_i32 s8, 0x80
	v_and_or_b32 v5, v5, s8, v3
.LBB257_84:
	s_or_b64 exec, exec, s[10:11]
.LBB257_85:
	s_or_b64 exec, exec, s[6:7]
	s_mov_b64 s[6:7], 0
	global_store_byte v[0:1], v5, off
.LBB257_86:
	s_and_b64 vcc, exec, s[6:7]
	s_cbranch_vccz .LBB257_96
; %bb.87:
	v_and_b32_e32 v5, 0x7fffffff, v2
	s_mov_b32 s6, 0x43f00000
	v_cmp_gt_u32_e32 vcc, s6, v5
                                        ; implicit-def: $vgpr3
	s_and_saveexec_b64 s[6:7], vcc
	s_xor_b64 s[6:7], exec, s[6:7]
	s_cbranch_execz .LBB257_93
; %bb.88:
	s_mov_b32 s8, 0x3c7fffff
	v_cmp_lt_u32_e32 vcc, s8, v5
                                        ; implicit-def: $vgpr3
	s_and_saveexec_b64 s[8:9], vcc
	s_xor_b64 s[8:9], exec, s[8:9]
; %bb.89:
	v_bfe_u32 v3, v2, 20, 1
	s_mov_b32 s10, 0x407ffff
	v_add3_u32 v3, v2, v3, s10
	v_lshrrev_b32_e32 v5, 20, v3
	v_and_b32_e32 v3, 0xff00000, v3
	s_mov_b32 s10, 0x7f00000
	v_mov_b32_e32 v6, 0x7e
	v_cmp_ne_u32_e32 vcc, s10, v3
	s_nop 1
	v_cndmask_b32_e32 v3, v6, v5, vcc
; %bb.90:
	s_andn2_saveexec_b64 s[8:9], s[8:9]
; %bb.91:
	s_mov_b32 s10, 0x46800000
	v_add_f32_e64 v3, |v2|, s10
; %bb.92:
	s_or_b64 exec, exec, s[8:9]
                                        ; implicit-def: $vgpr5
.LBB257_93:
	s_andn2_saveexec_b64 s[6:7], s[6:7]
; %bb.94:
	s_mov_b32 s8, 0x7f800000
	v_mov_b32_e32 v3, 0x7e
	v_mov_b32_e32 v6, 0x7f
	v_cmp_lt_u32_e32 vcc, s8, v5
	s_nop 1
	v_cndmask_b32_e32 v3, v3, v6, vcc
; %bb.95:
	s_or_b64 exec, exec, s[6:7]
	v_lshrrev_b32_e32 v5, 24, v2
	s_movk_i32 s6, 0x80
	v_and_or_b32 v3, v5, s6, v3
	global_store_byte v[0:1], v3, off
.LBB257_96:
	s_mov_b64 s[6:7], 0
.LBB257_97:
	s_andn2_b64 vcc, exec, s[6:7]
	s_cbranch_vccnz .LBB257_107
; %bb.98:
	v_and_b32_e32 v5, 0x7fffffff, v2
	s_mov_b32 s6, 0x47800000
	v_cmp_gt_u32_e32 vcc, s6, v5
                                        ; implicit-def: $vgpr3
	s_and_saveexec_b64 s[6:7], vcc
	s_xor_b64 s[6:7], exec, s[6:7]
	s_cbranch_execz .LBB257_104
; %bb.99:
	s_mov_b32 s8, 0x387fffff
	v_cmp_lt_u32_e32 vcc, s8, v5
                                        ; implicit-def: $vgpr3
	s_and_saveexec_b64 s[8:9], vcc
	s_xor_b64 s[8:9], exec, s[8:9]
; %bb.100:
	v_bfe_u32 v3, v2, 21, 1
	s_mov_b32 s10, 0x80fffff
	v_add3_u32 v3, v2, v3, s10
	v_lshrrev_b32_e32 v3, 21, v3
; %bb.101:
	s_andn2_saveexec_b64 s[8:9], s[8:9]
; %bb.102:
	s_mov_b32 s10, 0x43000000
	v_add_f32_e64 v3, |v2|, s10
; %bb.103:
	s_or_b64 exec, exec, s[8:9]
                                        ; implicit-def: $vgpr5
.LBB257_104:
	s_andn2_saveexec_b64 s[6:7], s[6:7]
; %bb.105:
	s_mov_b32 s8, 0x7f800000
	v_mov_b32_e32 v3, 0x7c
	v_mov_b32_e32 v6, 0x7f
	v_cmp_lt_u32_e32 vcc, s8, v5
	s_nop 1
	v_cndmask_b32_e32 v3, v3, v6, vcc
; %bb.106:
	s_or_b64 exec, exec, s[6:7]
	v_lshrrev_b32_e32 v5, 24, v2
	s_movk_i32 s6, 0x80
	v_and_or_b32 v3, v5, s6, v3
	global_store_byte v[0:1], v3, off
.LBB257_107:
	s_mov_b64 s[8:9], 0
	s_mov_b64 s[6:7], -1
.LBB257_108:
	s_andn2_b64 vcc, exec, s[8:9]
	s_cbranch_vccnz .LBB257_116
; %bb.109:
	s_cmp_gt_i32 s13, 14
	s_mov_b64 s[8:9], -1
	s_cbranch_scc0 .LBB257_113
; %bb.110:
	s_cmp_eq_u32 s13, 15
	s_mov_b64 s[2:3], -1
	s_cbranch_scc0 .LBB257_112
; %bb.111:
	v_bfe_u32 v3, v2, 16, 1
	s_movk_i32 s2, 0x7fff
	v_add3_u32 v3, v2, v3, s2
	v_cmp_le_f32_e32 vcc, 0, v4
	v_mov_b32_e32 v5, 0x7fc0
	s_mov_b64 s[6:7], -1
	v_cndmask_b32_sdwa v3, v5, v3, vcc dst_sel:DWORD dst_unused:UNUSED_PAD src0_sel:DWORD src1_sel:WORD_1
	global_store_short v[0:1], v3, off
	s_mov_b64 s[2:3], 0
.LBB257_112:
	s_mov_b64 s[8:9], 0
.LBB257_113:
	s_and_b64 vcc, exec, s[8:9]
	s_cbranch_vccz .LBB257_116
; %bb.114:
	s_cmp_eq_u32 s13, 11
	s_mov_b64 s[2:3], -1
	s_cbranch_scc0 .LBB257_116
; %bb.115:
	v_cmp_neq_f32_e32 vcc, 0, v4
	s_mov_b64 s[6:7], -1
	s_mov_b64 s[2:3], 0
	v_cndmask_b32_e64 v3, 0, 1, vcc
	global_store_byte v[0:1], v3, off
.LBB257_116:
	s_branch .LBB257_35
.LBB257_117:
	s_and_b32 s8, 0xffff, s12
	s_cmp_lt_i32 s8, 5
	s_mov_b64 s[6:7], -1
	s_cbranch_scc1 .LBB257_138
; %bb.118:
	s_cmp_lt_i32 s8, 8
	s_cbranch_scc1 .LBB257_128
; %bb.119:
	s_cmp_lt_i32 s8, 9
	s_cbranch_scc1 .LBB257_125
; %bb.120:
	s_cmp_gt_i32 s8, 9
	s_cbranch_scc0 .LBB257_122
; %bb.121:
	v_mov_b32_e32 v6, 0
	v_cvt_f64_f32_e32 v[4:5], v2
	v_mov_b32_e32 v7, v6
	global_store_dwordx4 v[0:1], v[4:7], off
	s_mov_b64 s[6:7], 0
.LBB257_122:
	s_andn2_b64 vcc, exec, s[6:7]
	s_cbranch_vccnz .LBB257_124
; %bb.123:
	v_mov_b32_e32 v3, 0
	global_store_dwordx2 v[0:1], v[2:3], off
.LBB257_124:
	s_mov_b64 s[6:7], 0
.LBB257_125:
	s_andn2_b64 vcc, exec, s[6:7]
	s_cbranch_vccnz .LBB257_127
; %bb.126:
	v_cvt_f16_f32_e32 v3, v2
	global_store_dword v[0:1], v3, off
.LBB257_127:
	s_mov_b64 s[6:7], 0
.LBB257_128:
	s_andn2_b64 vcc, exec, s[6:7]
	s_cbranch_vccnz .LBB257_137
; %bb.129:
	s_cmp_lt_i32 s8, 6
	s_mov_b64 s[6:7], -1
	s_cbranch_scc1 .LBB257_135
; %bb.130:
	s_cmp_gt_i32 s8, 6
	s_cbranch_scc0 .LBB257_132
; %bb.131:
	v_cvt_f64_f32_e32 v[4:5], v2
	global_store_dwordx2 v[0:1], v[4:5], off
	s_mov_b64 s[6:7], 0
.LBB257_132:
	s_andn2_b64 vcc, exec, s[6:7]
	s_cbranch_vccnz .LBB257_134
; %bb.133:
	global_store_dword v[0:1], v2, off
.LBB257_134:
	s_mov_b64 s[6:7], 0
.LBB257_135:
	s_andn2_b64 vcc, exec, s[6:7]
	s_cbranch_vccnz .LBB257_137
; %bb.136:
	v_cvt_f16_f32_e32 v3, v2
	global_store_short v[0:1], v3, off
.LBB257_137:
	s_mov_b64 s[6:7], 0
.LBB257_138:
	s_andn2_b64 vcc, exec, s[6:7]
	s_cbranch_vccnz .LBB257_154
; %bb.139:
	s_cmp_lt_i32 s8, 2
	s_mov_b64 s[6:7], -1
	s_cbranch_scc1 .LBB257_149
; %bb.140:
	s_cmp_lt_i32 s8, 3
	s_cbranch_scc1 .LBB257_146
; %bb.141:
	s_cmp_gt_i32 s8, 3
	s_cbranch_scc0 .LBB257_143
; %bb.142:
	v_trunc_f32_e32 v3, v2
	s_mov_b32 s6, 0x2f800000
	v_mul_f32_e64 v4, |v3|, s6
	v_floor_f32_e32 v4, v4
	s_mov_b32 s6, 0xcf800000
	v_cvt_u32_f32_e32 v5, v4
	v_fma_f32 v4, v4, s6, |v3|
	v_cvt_u32_f32_e32 v4, v4
	v_ashrrev_i32_e32 v3, 31, v3
	v_xor_b32_e32 v5, v5, v3
	s_mov_b64 s[6:7], 0
	v_xor_b32_e32 v4, v4, v3
	v_sub_co_u32_e32 v4, vcc, v4, v3
	s_nop 1
	v_subb_co_u32_e32 v5, vcc, v5, v3, vcc
	global_store_dwordx2 v[0:1], v[4:5], off
.LBB257_143:
	s_andn2_b64 vcc, exec, s[6:7]
	s_cbranch_vccnz .LBB257_145
; %bb.144:
	v_cvt_i32_f32_e32 v3, v2
	global_store_dword v[0:1], v3, off
.LBB257_145:
	s_mov_b64 s[6:7], 0
.LBB257_146:
	s_andn2_b64 vcc, exec, s[6:7]
	s_cbranch_vccnz .LBB257_148
; %bb.147:
	v_cvt_i32_f32_e32 v3, v2
	global_store_short v[0:1], v3, off
.LBB257_148:
	s_mov_b64 s[6:7], 0
.LBB257_149:
	s_andn2_b64 vcc, exec, s[6:7]
	s_cbranch_vccnz .LBB257_154
; %bb.150:
	s_cmp_gt_i32 s8, 0
	s_mov_b64 s[6:7], -1
	s_cbranch_scc0 .LBB257_152
; %bb.151:
	v_cvt_i32_f32_e32 v3, v2
	s_mov_b64 s[6:7], 0
	global_store_byte v[0:1], v3, off
.LBB257_152:
	s_andn2_b64 vcc, exec, s[6:7]
	s_cbranch_vccnz .LBB257_154
; %bb.153:
	v_trunc_f32_e32 v2, v2
	s_mov_b32 s6, 0x2f800000
	v_mul_f32_e64 v3, |v2|, s6
	v_floor_f32_e32 v3, v3
	s_mov_b32 s6, 0xcf800000
	v_fma_f32 v3, v3, s6, |v2|
	v_cvt_u32_f32_e32 v3, v3
	v_ashrrev_i32_e32 v2, 31, v2
	v_xor_b32_e32 v3, v3, v2
	v_sub_u32_e32 v2, v3, v2
	global_store_byte v[0:1], v2, off
.LBB257_154:
.LBB257_155:
	v_add_u32_e32 v8, 0x80, v8
	s_mov_b64 s[6:7], -1
	s_branch .LBB257_266
.LBB257_156:
	s_mov_b64 s[4:5], -1
                                        ; implicit-def: $vgpr4
.LBB257_157:
	s_mov_b64 s[6:7], 0
.LBB257_158:
	s_and_b64 vcc, exec, s[6:7]
	s_cbranch_vccz .LBB257_162
; %bb.159:
	s_cmp_eq_u32 s10, 29
	s_cbranch_scc0 .LBB257_161
; %bb.160:
	global_load_dwordx2 v[4:5], v[2:3], off
	s_mov_b64 s[2:3], -1
	s_mov_b64 s[4:5], 0
	s_mov_b64 s[6:7], 0
	s_waitcnt vmcnt(0)
	v_ffbh_u32_e32 v1, v5
	v_min_u32_e32 v1, 32, v1
	v_lshlrev_b64 v[4:5], v1, v[4:5]
	v_min_u32_e32 v4, 1, v4
	v_or_b32_e32 v4, v5, v4
	v_cvt_f32_u32_e32 v4, v4
	v_sub_u32_e32 v1, 32, v1
	v_ldexp_f32 v4, v4, v1
	s_branch .LBB257_163
.LBB257_161:
	s_mov_b64 s[4:5], -1
                                        ; implicit-def: $vgpr4
.LBB257_162:
	s_mov_b64 s[6:7], 0
.LBB257_163:
	s_and_b64 vcc, exec, s[6:7]
	s_cbranch_vccz .LBB257_181
; %bb.164:
	s_cmp_lt_i32 s10, 27
	s_cbranch_scc1 .LBB257_167
; %bb.165:
	s_cmp_gt_i32 s10, 27
	s_cbranch_scc0 .LBB257_168
; %bb.166:
	global_load_dword v1, v[2:3], off
	s_mov_b64 s[2:3], 0
	s_waitcnt vmcnt(0)
	v_cvt_f32_u32_e32 v4, v1
	s_branch .LBB257_169
.LBB257_167:
	s_mov_b64 s[2:3], -1
                                        ; implicit-def: $vgpr4
	s_branch .LBB257_172
.LBB257_168:
	s_mov_b64 s[2:3], -1
                                        ; implicit-def: $vgpr4
.LBB257_169:
	s_andn2_b64 vcc, exec, s[2:3]
	s_cbranch_vccnz .LBB257_171
; %bb.170:
	global_load_ushort v1, v[2:3], off
	s_waitcnt vmcnt(0)
	v_cvt_f32_u32_e32 v4, v1
.LBB257_171:
	s_mov_b64 s[2:3], 0
.LBB257_172:
	s_andn2_b64 vcc, exec, s[2:3]
	s_cbranch_vccnz .LBB257_180
; %bb.173:
	global_load_ubyte v1, v[2:3], off
	s_movk_i32 s2, 0x7f
	s_waitcnt vmcnt(0)
	v_cmp_lt_i16_e32 vcc, s2, v1
	s_mov_b64 s[2:3], 0
	s_and_saveexec_b64 s[6:7], vcc
	s_xor_b64 s[6:7], exec, s[6:7]
	s_cbranch_execz .LBB257_193
; %bb.174:
	s_movk_i32 s2, 0x80
	v_cmp_eq_u16_e32 vcc, s2, v1
	s_mov_b64 s[2:3], -1
	s_and_saveexec_b64 s[8:9], vcc
; %bb.175:
	s_xor_b64 s[2:3], exec, -1
; %bb.176:
	s_or_b64 exec, exec, s[8:9]
	s_and_b64 s[2:3], s[2:3], exec
	s_or_saveexec_b64 s[6:7], s[6:7]
	v_mov_b32_e32 v4, 0x7f800001
	s_xor_b64 exec, exec, s[6:7]
	s_cbranch_execnz .LBB257_194
.LBB257_177:
	s_or_b64 exec, exec, s[6:7]
	s_and_saveexec_b64 s[6:7], s[2:3]
	s_cbranch_execz .LBB257_179
.LBB257_178:
	v_lshlrev_b32_e32 v4, 24, v1
	v_and_b32_e32 v1, 0xffff, v1
	v_and_b32_e32 v5, 7, v1
	v_ffbh_u32_e32 v7, v5
	v_min_u32_e32 v7, 32, v7
	v_subrev_u32_e32 v9, 28, v7
	v_bfe_u32 v6, v1, 3, 4
	v_lshlrev_b32_e32 v1, v9, v1
	v_sub_u32_e32 v7, 29, v7
	v_and_b32_e32 v1, 7, v1
	v_cmp_eq_u32_e32 vcc, 0, v6
	v_and_b32_e32 v4, 0x80000000, v4
	s_nop 0
	v_cndmask_b32_e32 v6, v6, v7, vcc
	v_cndmask_b32_e32 v1, v5, v1, vcc
	v_mov_b32_e32 v5, 0x3b800000
	v_lshlrev_b32_e32 v1, 20, v1
	v_lshl_add_u32 v5, v6, 23, v5
	v_or3_b32 v4, v4, v5, v1
.LBB257_179:
	s_or_b64 exec, exec, s[6:7]
.LBB257_180:
	s_mov_b64 s[2:3], -1
.LBB257_181:
	s_branch .LBB257_216
.LBB257_182:
	s_cmp_gt_i32 s10, 22
	s_cbranch_scc0 .LBB257_192
; %bb.183:
	s_cmp_lt_i32 s10, 24
	s_cbranch_scc1 .LBB257_195
; %bb.184:
	s_cmp_gt_i32 s10, 24
	s_cbranch_scc0 .LBB257_196
; %bb.185:
	global_load_ubyte v1, v[2:3], off
	s_movk_i32 s2, 0x7f
	s_waitcnt vmcnt(0)
	v_cmp_lt_i16_e32 vcc, s2, v1
	s_mov_b64 s[2:3], 0
	s_and_saveexec_b64 s[6:7], vcc
	s_xor_b64 s[6:7], exec, s[6:7]
	s_cbranch_execz .LBB257_208
; %bb.186:
	s_movk_i32 s2, 0x80
	v_cmp_eq_u16_e32 vcc, s2, v1
	s_mov_b64 s[2:3], -1
	s_and_saveexec_b64 s[8:9], vcc
; %bb.187:
	s_xor_b64 s[2:3], exec, -1
; %bb.188:
	s_or_b64 exec, exec, s[8:9]
	s_and_b64 s[2:3], s[2:3], exec
	s_or_saveexec_b64 s[6:7], s[6:7]
	v_mov_b32_e32 v4, 0x7f800001
	s_xor_b64 exec, exec, s[6:7]
	s_cbranch_execnz .LBB257_209
.LBB257_189:
	s_or_b64 exec, exec, s[6:7]
	s_and_saveexec_b64 s[6:7], s[2:3]
	s_cbranch_execz .LBB257_191
.LBB257_190:
	v_lshlrev_b32_e32 v4, 24, v1
	v_and_b32_e32 v1, 0xffff, v1
	v_and_b32_e32 v5, 3, v1
	v_ffbh_u32_e32 v7, v5
	v_min_u32_e32 v7, 32, v7
	v_subrev_u32_e32 v9, 29, v7
	v_bfe_u32 v6, v1, 2, 5
	v_lshlrev_b32_e32 v1, v9, v1
	v_sub_u32_e32 v7, 30, v7
	v_and_b32_e32 v1, 3, v1
	v_cmp_eq_u32_e32 vcc, 0, v6
	v_and_b32_e32 v4, 0x80000000, v4
	s_nop 0
	v_cndmask_b32_e32 v6, v6, v7, vcc
	v_cndmask_b32_e32 v1, v5, v1, vcc
	v_mov_b32_e32 v5, 0x37800000
	v_lshlrev_b32_e32 v1, 21, v1
	v_lshl_add_u32 v5, v6, 23, v5
	v_or3_b32 v4, v4, v5, v1
.LBB257_191:
	s_or_b64 exec, exec, s[6:7]
	s_mov_b64 s[2:3], 0
	s_branch .LBB257_197
.LBB257_192:
	s_mov_b64 s[6:7], -1
                                        ; implicit-def: $vgpr4
	s_branch .LBB257_203
.LBB257_193:
	s_or_saveexec_b64 s[6:7], s[6:7]
	v_mov_b32_e32 v4, 0x7f800001
	s_xor_b64 exec, exec, s[6:7]
	s_cbranch_execz .LBB257_177
.LBB257_194:
	v_cmp_ne_u16_e32 vcc, 0, v1
	s_andn2_b64 s[2:3], s[2:3], exec
	s_and_b64 s[8:9], vcc, exec
	v_mov_b32_e32 v4, 0
	s_or_b64 s[2:3], s[2:3], s[8:9]
	s_or_b64 exec, exec, s[6:7]
	s_and_saveexec_b64 s[6:7], s[2:3]
	s_cbranch_execnz .LBB257_178
	s_branch .LBB257_179
.LBB257_195:
	s_mov_b64 s[2:3], -1
                                        ; implicit-def: $vgpr4
	s_branch .LBB257_200
.LBB257_196:
	s_mov_b64 s[2:3], -1
                                        ; implicit-def: $vgpr4
.LBB257_197:
	s_and_b64 vcc, exec, s[2:3]
	s_cbranch_vccz .LBB257_199
; %bb.198:
	global_load_ubyte v1, v[2:3], off
	s_mov_b32 s2, 0x7f800000
	s_waitcnt vmcnt(0)
	v_lshlrev_b32_e32 v1, 24, v1
	v_and_b32_e32 v4, 0x7f000000, v1
	v_ffbh_u32_e32 v5, v4
	v_min_u32_e32 v5, 32, v5
	v_sub_u32_e64 v5, v5, 4 clamp
	v_lshlrev_b32_e32 v7, v5, v4
	v_lshlrev_b32_e32 v5, 23, v5
	v_lshrrev_b32_e32 v7, 4, v7
	v_add_u32_e32 v6, 0x1000000, v4
	v_sub_u32_e32 v5, v7, v5
	v_ashrrev_i32_e32 v6, 8, v6
	v_add_u32_e32 v5, 0x3c000000, v5
	v_and_or_b32 v5, v6, s2, v5
	v_cmp_ne_u32_e32 vcc, 0, v4
	s_brev_b32 s2, 1
	s_nop 0
	v_cndmask_b32_e32 v4, 0, v5, vcc
	v_and_or_b32 v4, v1, s2, v4
.LBB257_199:
	s_mov_b64 s[2:3], 0
.LBB257_200:
	s_andn2_b64 vcc, exec, s[2:3]
	s_cbranch_vccnz .LBB257_202
; %bb.201:
	global_load_ubyte v1, v[2:3], off
	s_movk_i32 s2, 0x7f00
	s_brev_b32 s3, 16
	s_waitcnt vmcnt(0)
	v_lshlrev_b16_e32 v4, 8, v1
	v_lshlrev_b32_e32 v1, 25, v1
	v_lshrrev_b32_e32 v5, 4, v1
	v_and_or_b32 v6, v4, s2, 0.5
	v_or_b32_e32 v5, 0x70000000, v5
	v_add_f32_e32 v6, -0.5, v6
	v_mul_f32_e32 v5, 0x7800000, v5
	v_cmp_gt_u32_e32 vcc, s3, v1
	v_bfe_i32 v4, v4, 0, 16
	s_brev_b32 s2, 1
	v_cndmask_b32_e32 v1, v5, v6, vcc
	v_and_or_b32 v4, v4, s2, v1
.LBB257_202:
	s_mov_b64 s[6:7], 0
	s_mov_b64 s[2:3], -1
.LBB257_203:
	s_andn2_b64 vcc, exec, s[6:7]
	s_cbranch_vccnz .LBB257_216
; %bb.204:
	s_cmp_gt_i32 s10, 14
	s_cbranch_scc0 .LBB257_207
; %bb.205:
	s_cmp_eq_u32 s10, 15
	s_cbranch_scc0 .LBB257_210
; %bb.206:
	global_load_ushort v1, v[2:3], off
	s_mov_b64 s[2:3], -1
	s_mov_b64 s[4:5], 0
	s_waitcnt vmcnt(0)
	v_lshlrev_b32_e32 v4, 16, v1
	s_branch .LBB257_211
.LBB257_207:
	s_mov_b64 s[6:7], -1
                                        ; implicit-def: $vgpr4
	s_branch .LBB257_212
.LBB257_208:
	s_or_saveexec_b64 s[6:7], s[6:7]
	v_mov_b32_e32 v4, 0x7f800001
	s_xor_b64 exec, exec, s[6:7]
	s_cbranch_execz .LBB257_189
.LBB257_209:
	v_cmp_ne_u16_e32 vcc, 0, v1
	s_andn2_b64 s[2:3], s[2:3], exec
	s_and_b64 s[8:9], vcc, exec
	v_mov_b32_e32 v4, 0
	s_or_b64 s[2:3], s[2:3], s[8:9]
	s_or_b64 exec, exec, s[6:7]
	s_and_saveexec_b64 s[6:7], s[2:3]
	s_cbranch_execnz .LBB257_190
	s_branch .LBB257_191
.LBB257_210:
	s_mov_b64 s[4:5], -1
                                        ; implicit-def: $vgpr4
.LBB257_211:
	s_mov_b64 s[6:7], 0
.LBB257_212:
	s_and_b64 vcc, exec, s[6:7]
	s_cbranch_vccz .LBB257_216
; %bb.213:
	s_cmp_eq_u32 s10, 11
	s_cbranch_scc0 .LBB257_215
; %bb.214:
	global_load_ubyte v1, v[2:3], off
	s_mov_b64 s[2:3], -1
	s_mov_b64 s[4:5], 0
	s_waitcnt vmcnt(0)
	v_cmp_ne_u16_e32 vcc, 0, v1
	s_nop 1
	v_cndmask_b32_e64 v4, 0, 1.0, vcc
	s_branch .LBB257_216
.LBB257_215:
	s_mov_b64 s[4:5], -1
                                        ; implicit-def: $vgpr4
.LBB257_216:
	s_branch .LBB257_25
.LBB257_217:
	s_cmp_lt_i32 s10, 5
	s_cbranch_scc1 .LBB257_222
; %bb.218:
	s_cmp_lt_i32 s10, 8
	s_cbranch_scc1 .LBB257_223
; %bb.219:
	;; [unrolled: 3-line block ×3, first 2 shown]
	s_cmp_gt_i32 s10, 9
	s_cbranch_scc0 .LBB257_225
; %bb.221:
	global_load_dwordx2 v[4:5], v[2:3], off
	s_mov_b64 s[2:3], 0
	s_waitcnt vmcnt(0)
	v_cvt_f32_f64_e32 v4, v[4:5]
	s_branch .LBB257_226
.LBB257_222:
                                        ; implicit-def: $vgpr4
	s_branch .LBB257_244
.LBB257_223:
	s_mov_b64 s[2:3], -1
                                        ; implicit-def: $vgpr4
	s_branch .LBB257_232
.LBB257_224:
	s_mov_b64 s[2:3], -1
                                        ; implicit-def: $vgpr4
	s_branch .LBB257_229
.LBB257_225:
	s_mov_b64 s[2:3], -1
                                        ; implicit-def: $vgpr4
.LBB257_226:
	s_andn2_b64 vcc, exec, s[2:3]
	s_cbranch_vccnz .LBB257_228
; %bb.227:
	global_load_dword v4, v[2:3], off
.LBB257_228:
	s_mov_b64 s[2:3], 0
.LBB257_229:
	s_andn2_b64 vcc, exec, s[2:3]
	s_cbranch_vccnz .LBB257_231
; %bb.230:
	global_load_dword v1, v[2:3], off
	s_waitcnt vmcnt(0)
	v_cvt_f32_f16_e32 v4, v1
.LBB257_231:
	s_mov_b64 s[2:3], 0
.LBB257_232:
	s_andn2_b64 vcc, exec, s[2:3]
	s_cbranch_vccnz .LBB257_243
; %bb.233:
	s_cmp_lt_i32 s10, 6
	s_cbranch_scc1 .LBB257_236
; %bb.234:
	s_cmp_gt_i32 s10, 6
	s_cbranch_scc0 .LBB257_237
; %bb.235:
	global_load_dwordx2 v[4:5], v[2:3], off
	s_mov_b64 s[2:3], 0
	s_waitcnt vmcnt(0)
	v_cvt_f32_f64_e32 v4, v[4:5]
	s_branch .LBB257_238
.LBB257_236:
	s_mov_b64 s[2:3], -1
                                        ; implicit-def: $vgpr4
	s_branch .LBB257_241
.LBB257_237:
	s_mov_b64 s[2:3], -1
                                        ; implicit-def: $vgpr4
.LBB257_238:
	s_andn2_b64 vcc, exec, s[2:3]
	s_cbranch_vccnz .LBB257_240
; %bb.239:
	global_load_dword v4, v[2:3], off
.LBB257_240:
	s_mov_b64 s[2:3], 0
.LBB257_241:
	s_andn2_b64 vcc, exec, s[2:3]
	s_cbranch_vccnz .LBB257_243
; %bb.242:
	global_load_ushort v1, v[2:3], off
	s_waitcnt vmcnt(0)
	v_cvt_f32_f16_e32 v4, v1
.LBB257_243:
	s_cbranch_execnz .LBB257_263
.LBB257_244:
	s_cmp_lt_i32 s10, 2
	s_cbranch_scc1 .LBB257_248
; %bb.245:
	s_cmp_lt_i32 s10, 3
	s_cbranch_scc1 .LBB257_249
; %bb.246:
	s_cmp_gt_i32 s10, 3
	s_cbranch_scc0 .LBB257_250
; %bb.247:
	global_load_dwordx2 v[4:5], v[2:3], off
	s_mov_b64 s[2:3], 0
	s_waitcnt vmcnt(0)
	v_xor_b32_e32 v6, v4, v5
	v_ffbh_i32_e32 v1, v5
	v_ashrrev_i32_e32 v6, 31, v6
	v_add_u32_e32 v1, -1, v1
	v_add_u32_e32 v6, 32, v6
	v_min_u32_e32 v1, v1, v6
	v_lshlrev_b64 v[4:5], v1, v[4:5]
	v_min_u32_e32 v4, 1, v4
	v_or_b32_e32 v4, v5, v4
	v_cvt_f32_i32_e32 v4, v4
	v_sub_u32_e32 v1, 32, v1
	v_ldexp_f32 v4, v4, v1
	s_branch .LBB257_251
.LBB257_248:
	s_mov_b64 s[2:3], -1
                                        ; implicit-def: $vgpr4
	s_branch .LBB257_257
.LBB257_249:
	s_mov_b64 s[2:3], -1
                                        ; implicit-def: $vgpr4
	s_branch .LBB257_254
.LBB257_250:
	s_mov_b64 s[2:3], -1
                                        ; implicit-def: $vgpr4
.LBB257_251:
	s_andn2_b64 vcc, exec, s[2:3]
	s_cbranch_vccnz .LBB257_253
; %bb.252:
	global_load_dword v1, v[2:3], off
	s_waitcnt vmcnt(0)
	v_cvt_f32_i32_e32 v4, v1
.LBB257_253:
	s_mov_b64 s[2:3], 0
.LBB257_254:
	s_andn2_b64 vcc, exec, s[2:3]
	s_cbranch_vccnz .LBB257_256
; %bb.255:
	global_load_sshort v1, v[2:3], off
	s_waitcnt vmcnt(0)
	v_cvt_f32_i32_e32 v4, v1
.LBB257_256:
	s_mov_b64 s[2:3], 0
.LBB257_257:
	s_andn2_b64 vcc, exec, s[2:3]
	s_cbranch_vccnz .LBB257_263
; %bb.258:
	s_cmp_gt_i32 s10, 0
	s_cbranch_scc0 .LBB257_260
; %bb.259:
	global_load_sbyte v1, v[2:3], off
	s_mov_b64 s[2:3], 0
	s_waitcnt vmcnt(0)
	v_cvt_f32_i32_e32 v4, v1
	s_branch .LBB257_261
.LBB257_260:
	s_mov_b64 s[2:3], -1
                                        ; implicit-def: $vgpr4
.LBB257_261:
	s_andn2_b64 vcc, exec, s[2:3]
	s_cbranch_vccnz .LBB257_263
; %bb.262:
	global_load_ubyte v1, v[2:3], off
	s_waitcnt vmcnt(0)
	v_cvt_f32_ubyte0_e32 v4, v1
.LBB257_263:
	s_branch .LBB257_26
.LBB257_264:
	s_mov_b64 s[2:3], 0
.LBB257_265:
	s_mov_b64 s[6:7], 0
                                        ; implicit-def: $vgpr8
.LBB257_266:
	s_and_b64 s[54:55], s[2:3], exec
	s_and_b64 s[56:57], s[4:5], exec
	s_orn2_b64 s[4:5], s[6:7], exec
.LBB257_267:
	s_or_b64 exec, exec, s[58:59]
	s_mov_b64 s[8:9], 0
	s_mov_b64 s[2:3], 0
                                        ; implicit-def: $vgpr2_vgpr3
                                        ; implicit-def: $vgpr0
                                        ; implicit-def: $vgpr5
	s_and_saveexec_b64 s[58:59], s[4:5]
	s_cbranch_execz .LBB257_275
; %bb.268:
	v_cmp_gt_i32_e32 vcc, s70, v8
	s_mov_b64 s[2:3], -1
	s_mov_b64 s[60:61], s[56:57]
	s_mov_b64 s[62:63], s[54:55]
	s_and_saveexec_b64 s[64:65], vcc
	s_cbranch_execz .LBB257_544
; %bb.269:
	s_andn2_b64 vcc, exec, s[42:43]
	s_cbranch_vccnz .LBB257_278
; %bb.270:
	s_andn2_b64 vcc, exec, s[52:53]
	s_cbranch_vccnz .LBB257_279
; %bb.271:
	s_add_i32 s63, s75, 1
	s_cmp_eq_u32 s72, 2
	s_cbranch_scc1 .LBB257_280
; %bb.272:
	s_and_b32 s62, s63, 28
	s_mov_b32 s66, 0
	v_mov_b32_e32 v0, 0
	v_mov_b32_e32 v2, 0
	s_mov_b64 s[2:3], s[34:35]
	s_mov_b64 s[60:61], s[50:51]
	s_waitcnt vmcnt(0)
	v_mov_b32_e32 v4, v8
.LBB257_273:                            ; =>This Inner Loop Header: Depth=1
	s_load_dwordx8 s[12:19], s[2:3], 0x4
	s_load_dwordx4 s[36:39], s[2:3], 0x24
	s_load_dwordx8 s[4:11], s[60:61], 0x0
	s_add_u32 s2, s2, 48
	s_addc_u32 s3, s3, 0
	s_waitcnt lgkmcnt(0)
	v_mul_hi_u32 v1, s13, v4
	v_add_u32_e32 v1, v4, v1
	v_lshrrev_b32_e32 v1, s14, v1
	v_mul_lo_u32 v3, v1, s12
	v_mul_hi_u32 v5, s16, v1
	v_sub_u32_e32 v3, v4, v3
	v_add_u32_e32 v4, v1, v5
	v_lshrrev_b32_e32 v4, s17, v4
	v_mul_lo_u32 v6, v4, s15
	v_mul_hi_u32 v7, s19, v4
	v_sub_u32_e32 v1, v1, v6
	v_add_u32_e32 v6, v4, v7
	v_mul_lo_u32 v5, v3, s5
	v_mul_lo_u32 v3, v3, s4
	v_mul_lo_u32 v7, v1, s7
	v_mul_lo_u32 v1, v1, s6
	v_lshrrev_b32_e32 v6, s36, v6
	v_add3_u32 v0, v3, v0, v1
	v_mul_hi_u32 v3, s38, v6
	v_add3_u32 v1, v5, v2, v7
	v_mul_lo_u32 v2, v6, s18
	v_add_u32_e32 v3, v6, v3
	v_sub_u32_e32 v2, v4, v2
	v_lshrrev_b32_e32 v4, s39, v3
	s_add_i32 s66, s66, 4
	v_mul_lo_u32 v3, v4, s37
	s_add_u32 s60, s60, 32
	v_sub_u32_e32 v3, v6, v3
	s_addc_u32 s61, s61, 0
	v_mul_lo_u32 v5, v2, s8
	v_mul_lo_u32 v2, v2, s9
	;; [unrolled: 1-line block ×4, first 2 shown]
	s_cmp_eq_u32 s62, s66
	v_add3_u32 v2, v2, v1, v3
	v_add3_u32 v0, v5, v0, v6
	s_cbranch_scc0 .LBB257_273
; %bb.274:
	v_mov_b32_e32 v1, v2
	s_branch .LBB257_281
.LBB257_275:
	s_or_b64 exec, exec, s[58:59]
	s_mov_b64 s[4:5], 0
	s_and_saveexec_b64 s[6:7], s[56:57]
	s_cbranch_execnz .LBB257_922
.LBB257_276:
	s_or_b64 exec, exec, s[6:7]
	s_and_saveexec_b64 s[6:7], s[62:63]
	s_xor_b64 s[6:7], exec, s[6:7]
	s_cbranch_execz .LBB257_923
.LBB257_277:
	global_load_ubyte v1, v[2:3], off
	s_or_b64 s[2:3], s[2:3], exec
	s_waitcnt vmcnt(0)
	v_cmp_ne_u16_e32 vcc, 0, v1
	s_nop 1
	v_cndmask_b32_e64 v5, 0, 1.0, vcc
	s_or_b64 exec, exec, s[6:7]
	s_and_saveexec_b64 s[6:7], s[8:9]
	s_cbranch_execz .LBB257_969
	s_branch .LBB257_924
.LBB257_278:
                                        ; implicit-def: $vgpr2
                                        ; implicit-def: $vgpr0
	s_andn2_b64 vcc, exec, s[2:3]
	s_cbranch_vccz .LBB257_285
	s_branch .LBB257_287
.LBB257_279:
	v_mov_b32_e32 v2, 0
	v_mov_b32_e32 v0, 0
	s_branch .LBB257_284
.LBB257_280:
	v_mov_b32_e32 v0, 0
	s_mov_b32 s62, 0
	v_mov_b32_e32 v1, v0
                                        ; implicit-def: $vgpr2
	s_waitcnt vmcnt(0)
	v_mov_b32_e32 v4, v8
.LBB257_281:
	s_and_b32 s6, s63, 3
	s_cmp_eq_u32 s6, 0
	s_cbranch_scc1 .LBB257_284
; %bb.282:
	s_lshl_b32 s2, s62, 3
	s_add_u32 s2, s34, s2
	s_addc_u32 s3, s35, 0
	s_add_u32 s2, s2, 0xc4
	s_addc_u32 s3, s3, 0
	s_mul_i32 s4, s62, 12
	s_add_u32 s4, s34, s4
	s_addc_u32 s5, s35, 0
.LBB257_283:                            ; =>This Inner Loop Header: Depth=1
	s_load_dwordx2 s[8:9], s[4:5], 0x4
	s_load_dword s7, s[4:5], 0xc
	s_load_dwordx2 s[10:11], s[2:3], 0x0
	v_mov_b32_e32 v2, v1
	s_add_u32 s4, s4, 12
	s_waitcnt lgkmcnt(0)
	v_mul_hi_u32 v1, s9, v4
	v_add_u32_e32 v1, v4, v1
	v_lshrrev_b32_e32 v1, s7, v1
	s_addc_u32 s5, s5, 0
	v_mul_lo_u32 v3, v1, s8
	s_add_u32 s2, s2, 8
	v_sub_u32_e32 v5, v4, v3
	s_addc_u32 s3, s3, 0
	s_add_i32 s6, s6, -1
	v_mov_b32_e32 v4, v1
	v_mad_u64_u32 v[2:3], s[8:9], v5, s11, v[2:3]
	v_mad_u64_u32 v[0:1], s[8:9], v5, s10, v[0:1]
	s_cmp_lg_u32 s6, 0
	v_mov_b32_e32 v1, v2
	s_cbranch_scc1 .LBB257_283
.LBB257_284:
	s_cbranch_execnz .LBB257_287
.LBB257_285:
	s_waitcnt lgkmcnt(0)
	v_mul_hi_u32 v0, s29, v8
	v_add_u32_e32 v0, v8, v0
	v_lshrrev_b32_e32 v1, s30, v0
	v_mul_lo_u32 v0, v1, s28
	v_sub_u32_e32 v0, v8, v0
	v_mul_lo_u32 v2, v0, s25
	s_andn2_b64 vcc, exec, s[48:49]
	v_mul_lo_u32 v0, v0, s24
	s_cbranch_vccnz .LBB257_287
; %bb.286:
	v_mul_hi_u32 v3, s46, v1
	v_add_u32_e32 v3, v1, v3
	v_lshrrev_b32_e32 v3, s47, v3
	v_mul_lo_u32 v3, v3, s31
	v_sub_u32_e32 v3, v1, v3
	v_mad_u64_u32 v[0:1], s[2:3], v3, s26, v[0:1]
	v_mad_u64_u32 v[2:3], s[2:3], v3, s27, v[2:3]
.LBB257_287:
	v_mov_b32_e32 v3, 0
	s_and_b32 s10, 0xffff, s74
	s_cmp_lt_i32 s10, 11
	s_waitcnt lgkmcnt(0)
	v_lshl_add_u64 v[2:3], s[22:23], 0, v[2:3]
	s_cbranch_scc1 .LBB257_294
; %bb.288:
	s_cmp_gt_i32 s10, 25
	s_cbranch_scc0 .LBB257_303
; %bb.289:
	s_cmp_gt_i32 s10, 28
	s_cbranch_scc0 .LBB257_305
	;; [unrolled: 3-line block ×4, first 2 shown]
; %bb.292:
	s_cmp_eq_u32 s10, 46
	s_mov_b64 s[6:7], 0
	s_cbranch_scc0 .LBB257_315
; %bb.293:
	global_load_dword v1, v[2:3], off
	s_mov_b64 s[2:3], -1
	s_mov_b64 s[4:5], 0
	s_waitcnt vmcnt(0)
	v_lshlrev_b32_e32 v4, 16, v1
	s_branch .LBB257_316
.LBB257_294:
	s_mov_b64 s[2:3], 0
                                        ; implicit-def: $vgpr4
	s_mov_b64 s[4:5], s[56:57]
	s_cbranch_execnz .LBB257_493
.LBB257_295:
	s_andn2_b64 vcc, exec, s[2:3]
	s_cbranch_vccnz .LBB257_541
.LBB257_296:
	s_mov_b32 s2, 0xf800000
	s_waitcnt vmcnt(0)
	v_mul_f32_e32 v1, 0x4f800000, v4
	v_cmp_gt_f32_e32 vcc, s2, v4
	s_and_b32 s12, s73, 0xff
	s_cmp_lt_i32 s12, 11
	v_cndmask_b32_e32 v1, v4, v1, vcc
	v_sqrt_f32_e32 v2, v1
	s_nop 0
	v_add_u32_e32 v3, -1, v2
	v_fma_f32 v5, -v3, v2, v1
	v_cmp_ge_f32_e64 s[2:3], 0, v5
	v_add_u32_e32 v5, 1, v2
	s_nop 0
	v_cndmask_b32_e64 v3, v2, v3, s[2:3]
	v_fma_f32 v2, -v5, v2, v1
	v_cmp_lt_f32_e64 s[2:3], 0, v2
	s_nop 1
	v_cndmask_b32_e64 v2, v3, v5, s[2:3]
	v_mul_f32_e32 v3, 0x37800000, v2
	v_cndmask_b32_e32 v2, v2, v3, vcc
	v_mov_b32_e32 v3, 0x260
	v_cmp_class_f32_e32 vcc, v1, v3
	s_nop 1
	v_cndmask_b32_e32 v2, v2, v1, vcc
	v_mov_b32_e32 v1, 0
	v_lshl_add_u64 v[0:1], s[20:21], 0, v[0:1]
	s_cbranch_scc1 .LBB257_304
; %bb.297:
	s_and_b32 s13, 0xffff, s12
	s_cmp_gt_i32 s13, 25
	s_cbranch_scc0 .LBB257_306
; %bb.298:
	s_cmp_gt_i32 s13, 28
	s_cbranch_scc0 .LBB257_308
; %bb.299:
	;; [unrolled: 3-line block ×4, first 2 shown]
	s_mov_b64 s[8:9], 0
	s_mov_b64 s[2:3], -1
	s_cmp_eq_u32 s13, 46
	s_mov_b64 s[6:7], 0
	s_cbranch_scc0 .LBB257_320
; %bb.302:
	v_bfe_u32 v3, v2, 16, 1
	s_movk_i32 s2, 0x7fff
	v_add3_u32 v3, v2, v3, s2
	v_cmp_le_f32_e32 vcc, 0, v4
	v_mov_b32_e32 v5, 0x7fc0
	s_mov_b64 s[6:7], -1
	v_cndmask_b32_sdwa v3, v5, v3, vcc dst_sel:DWORD dst_unused:UNUSED_PAD src0_sel:DWORD src1_sel:WORD_1
	global_store_dword v[0:1], v3, off
	s_mov_b64 s[2:3], 0
	s_branch .LBB257_320
.LBB257_303:
	s_mov_b64 s[6:7], -1
	s_mov_b64 s[2:3], 0
	s_mov_b64 s[4:5], s[56:57]
                                        ; implicit-def: $vgpr4
	s_branch .LBB257_457
.LBB257_304:
	s_mov_b64 s[8:9], -1
	s_mov_b64 s[6:7], 0
	s_mov_b64 s[2:3], s[54:55]
	s_branch .LBB257_389
.LBB257_305:
	s_mov_b64 s[6:7], -1
	s_mov_b64 s[2:3], 0
	s_mov_b64 s[4:5], s[56:57]
                                        ; implicit-def: $vgpr4
	s_branch .LBB257_438
.LBB257_306:
	s_mov_b64 s[8:9], -1
	s_mov_b64 s[6:7], 0
	s_mov_b64 s[2:3], s[54:55]
	s_branch .LBB257_347
.LBB257_307:
	s_mov_b64 s[6:7], -1
	s_mov_b64 s[2:3], 0
	s_mov_b64 s[4:5], s[56:57]
                                        ; implicit-def: $vgpr4
	s_branch .LBB257_433
.LBB257_308:
	s_mov_b64 s[8:9], -1
	s_mov_b64 s[6:7], 0
	s_mov_b64 s[2:3], s[54:55]
	s_branch .LBB257_330
.LBB257_309:
	s_andn2_saveexec_b64 s[10:11], s[10:11]
	s_cbranch_execz .LBB257_69
.LBB257_310:
	s_mov_b32 s14, 0x46000000
	v_add_f32_e64 v3, |v2|, s14
	v_and_b32_e32 v3, 0xff, v3
	v_cmp_ne_u32_e32 vcc, 0, v3
	s_andn2_b64 s[8:9], s[8:9], exec
	s_and_b64 s[14:15], vcc, exec
	s_or_b64 s[8:9], s[8:9], s[14:15]
	s_or_b64 exec, exec, s[10:11]
	v_mov_b32_e32 v5, 0
	s_and_saveexec_b64 s[10:11], s[8:9]
	s_cbranch_execnz .LBB257_70
	s_branch .LBB257_71
.LBB257_311:
	s_mov_b64 s[6:7], -1
	s_mov_b64 s[2:3], 0
	s_mov_b64 s[4:5], s[56:57]
                                        ; implicit-def: $vgpr4
	s_branch .LBB257_316
.LBB257_312:
	s_mov_b64 s[8:9], -1
	s_mov_b64 s[6:7], 0
	s_mov_b64 s[2:3], s[54:55]
	s_branch .LBB257_326
.LBB257_313:
	s_andn2_saveexec_b64 s[10:11], s[10:11]
	s_cbranch_execz .LBB257_82
.LBB257_314:
	s_mov_b32 s14, 0x42800000
	v_add_f32_e64 v3, |v2|, s14
	v_and_b32_e32 v3, 0xff, v3
	v_cmp_ne_u32_e32 vcc, 0, v3
	s_andn2_b64 s[8:9], s[8:9], exec
	s_and_b64 s[14:15], vcc, exec
	s_or_b64 s[8:9], s[8:9], s[14:15]
	s_or_b64 exec, exec, s[10:11]
	v_mov_b32_e32 v5, 0
	s_and_saveexec_b64 s[10:11], s[8:9]
	s_cbranch_execnz .LBB257_83
	s_branch .LBB257_84
.LBB257_315:
	s_mov_b64 s[4:5], -1
                                        ; implicit-def: $vgpr4
	s_mov_b64 s[2:3], 0
.LBB257_316:
	s_and_b64 vcc, exec, s[6:7]
	s_cbranch_vccz .LBB257_432
; %bb.317:
	s_cmp_eq_u32 s10, 44
	s_cbranch_scc0 .LBB257_431
; %bb.318:
	global_load_ubyte v1, v[2:3], off
	s_movk_i32 s4, 0xff
	s_waitcnt vmcnt(1)
	v_mov_b32_e32 v4, 0x7f800001
	v_mov_b32_e32 v5, 0x400000
	s_mov_b64 s[2:3], -1
	s_waitcnt vmcnt(0)
	v_lshlrev_b32_e32 v6, 23, v1
	v_cmp_ne_u32_e32 vcc, s4, v1
	s_mov_b64 s[4:5], 0
	s_nop 0
	v_cndmask_b32_e32 v4, v4, v6, vcc
	v_cmp_ne_u32_e32 vcc, 0, v1
	s_nop 1
	v_cndmask_b32_e32 v4, v5, v4, vcc
	s_branch .LBB257_432
.LBB257_319:
	s_mov_b64 s[8:9], -1
	s_mov_b64 s[6:7], 0
	s_mov_b64 s[2:3], s[54:55]
.LBB257_320:
	s_and_b64 vcc, exec, s[8:9]
	s_cbranch_vccz .LBB257_325
; %bb.321:
	s_cmp_eq_u32 s13, 44
	s_mov_b64 s[2:3], -1
	s_cbranch_scc0 .LBB257_325
; %bb.322:
	v_bfe_u32 v3, v2, 23, 8
	s_movk_i32 s2, 0xff
	v_cmp_ne_u32_e32 vcc, s2, v3
	v_mov_b32_e32 v5, 0xff
	s_and_saveexec_b64 s[6:7], vcc
; %bb.323:
	s_mov_b32 s2, 0x3fffff
	v_and_b32_e32 v6, 0x400000, v2
	v_and_or_b32 v3, v2, s2, v3
	v_cmp_ne_u32_e32 vcc, 0, v6
	v_cmp_ne_u32_e64 s[2:3], 0, v3
	s_and_b64 s[2:3], vcc, s[2:3]
	v_lshrrev_b32_e32 v5, 23, v2
	v_cndmask_b32_e64 v3, 0, 1, s[2:3]
	v_add_u32_e32 v5, v5, v3
; %bb.324:
	s_or_b64 exec, exec, s[6:7]
	s_mov_b64 s[6:7], -1
	s_mov_b64 s[2:3], 0
	global_store_byte v[0:1], v5, off
.LBB257_325:
	s_mov_b64 s[8:9], 0
.LBB257_326:
	s_and_b64 vcc, exec, s[8:9]
	s_cbranch_vccz .LBB257_329
; %bb.327:
	s_cmp_eq_u32 s13, 29
	s_mov_b64 s[2:3], -1
	s_cbranch_scc0 .LBB257_329
; %bb.328:
	v_trunc_f32_e32 v3, v2
	v_mul_f32_e32 v5, 0x2f800000, v3
	v_floor_f32_e32 v5, v5
	v_fmamk_f32 v3, v5, 0xcf800000, v3
	v_cvt_u32_f32_e32 v7, v5
	v_cvt_u32_f32_e32 v6, v3
	s_mov_b64 s[6:7], -1
	s_mov_b64 s[2:3], 0
	s_mov_b64 s[8:9], 0
	global_store_dwordx2 v[0:1], v[6:7], off
	s_branch .LBB257_330
.LBB257_329:
	s_mov_b64 s[8:9], 0
.LBB257_330:
	s_and_b64 vcc, exec, s[8:9]
	s_cbranch_vccz .LBB257_346
; %bb.331:
	s_cmp_lt_i32 s13, 27
	s_mov_b64 s[6:7], -1
	s_cbranch_scc1 .LBB257_337
; %bb.332:
	v_cvt_u32_f32_e32 v3, v2
	s_cmp_gt_i32 s13, 27
	s_cbranch_scc0 .LBB257_334
; %bb.333:
	s_mov_b64 s[6:7], 0
	global_store_dword v[0:1], v3, off
.LBB257_334:
	s_andn2_b64 vcc, exec, s[6:7]
	s_cbranch_vccnz .LBB257_336
; %bb.335:
	global_store_short v[0:1], v3, off
.LBB257_336:
	s_mov_b64 s[6:7], 0
.LBB257_337:
	s_andn2_b64 vcc, exec, s[6:7]
	s_cbranch_vccnz .LBB257_345
; %bb.338:
	v_and_b32_e32 v3, 0x7fffffff, v2
	s_mov_b32 s6, 0x43800000
	v_cmp_gt_u32_e32 vcc, s6, v3
	v_mov_b32_e32 v5, 0x80
	s_and_saveexec_b64 s[6:7], vcc
	s_cbranch_execz .LBB257_344
; %bb.339:
	s_mov_b32 s8, 0x3bffffff
	v_cmp_lt_u32_e32 vcc, s8, v3
	s_mov_b64 s[8:9], 0
                                        ; implicit-def: $vgpr3
	s_and_saveexec_b64 s[10:11], vcc
	s_xor_b64 s[10:11], exec, s[10:11]
	s_cbranch_execz .LBB257_573
; %bb.340:
	v_bfe_u32 v3, v2, 20, 1
	s_mov_b32 s14, 0x487ffff
	v_add3_u32 v3, v2, v3, s14
	s_mov_b64 s[8:9], exec
	v_lshrrev_b32_e32 v3, 20, v3
	s_andn2_saveexec_b64 s[10:11], s[10:11]
	s_cbranch_execnz .LBB257_574
.LBB257_341:
	s_or_b64 exec, exec, s[10:11]
	v_mov_b32_e32 v5, 0
	s_and_saveexec_b64 s[10:11], s[8:9]
.LBB257_342:
	v_lshrrev_b32_e32 v5, 24, v2
	s_movk_i32 s8, 0x80
	v_and_or_b32 v5, v5, s8, v3
.LBB257_343:
	s_or_b64 exec, exec, s[10:11]
.LBB257_344:
	s_or_b64 exec, exec, s[6:7]
	global_store_byte v[0:1], v5, off
.LBB257_345:
	s_mov_b64 s[6:7], -1
.LBB257_346:
	s_mov_b64 s[8:9], 0
.LBB257_347:
	s_and_b64 vcc, exec, s[8:9]
	s_cbranch_vccz .LBB257_388
; %bb.348:
	s_cmp_gt_i32 s13, 22
	s_mov_b64 s[8:9], -1
	s_cbranch_scc0 .LBB257_380
; %bb.349:
	s_cmp_lt_i32 s13, 24
	s_mov_b64 s[6:7], -1
	s_cbranch_scc1 .LBB257_369
; %bb.350:
	s_cmp_gt_i32 s13, 24
	s_cbranch_scc0 .LBB257_358
; %bb.351:
	v_and_b32_e32 v3, 0x7fffffff, v2
	s_mov_b32 s6, 0x47800000
	v_cmp_gt_u32_e32 vcc, s6, v3
	v_mov_b32_e32 v5, 0x80
	s_and_saveexec_b64 s[6:7], vcc
	s_cbranch_execz .LBB257_357
; %bb.352:
	s_mov_b32 s8, 0x37ffffff
	v_cmp_lt_u32_e32 vcc, s8, v3
	s_mov_b64 s[8:9], 0
                                        ; implicit-def: $vgpr3
	s_and_saveexec_b64 s[10:11], vcc
	s_xor_b64 s[10:11], exec, s[10:11]
	s_cbranch_execz .LBB257_576
; %bb.353:
	v_bfe_u32 v3, v2, 21, 1
	s_mov_b32 s14, 0x88fffff
	v_add3_u32 v3, v2, v3, s14
	s_mov_b64 s[8:9], exec
	v_lshrrev_b32_e32 v3, 21, v3
	s_andn2_saveexec_b64 s[10:11], s[10:11]
	s_cbranch_execnz .LBB257_577
.LBB257_354:
	s_or_b64 exec, exec, s[10:11]
	v_mov_b32_e32 v5, 0
	s_and_saveexec_b64 s[10:11], s[8:9]
.LBB257_355:
	v_lshrrev_b32_e32 v5, 24, v2
	s_movk_i32 s8, 0x80
	v_and_or_b32 v5, v5, s8, v3
.LBB257_356:
	s_or_b64 exec, exec, s[10:11]
.LBB257_357:
	s_or_b64 exec, exec, s[6:7]
	s_mov_b64 s[6:7], 0
	global_store_byte v[0:1], v5, off
.LBB257_358:
	s_and_b64 vcc, exec, s[6:7]
	s_cbranch_vccz .LBB257_368
; %bb.359:
	v_and_b32_e32 v5, 0x7fffffff, v2
	s_mov_b32 s6, 0x43f00000
	v_cmp_gt_u32_e32 vcc, s6, v5
                                        ; implicit-def: $vgpr3
	s_and_saveexec_b64 s[6:7], vcc
	s_xor_b64 s[6:7], exec, s[6:7]
	s_cbranch_execz .LBB257_365
; %bb.360:
	s_mov_b32 s8, 0x3c7fffff
	v_cmp_lt_u32_e32 vcc, s8, v5
                                        ; implicit-def: $vgpr3
	s_and_saveexec_b64 s[8:9], vcc
	s_xor_b64 s[8:9], exec, s[8:9]
; %bb.361:
	v_bfe_u32 v3, v2, 20, 1
	s_mov_b32 s10, 0x407ffff
	v_add3_u32 v3, v2, v3, s10
	v_lshrrev_b32_e32 v5, 20, v3
	v_and_b32_e32 v3, 0xff00000, v3
	s_mov_b32 s10, 0x7f00000
	v_mov_b32_e32 v6, 0x7e
	v_cmp_ne_u32_e32 vcc, s10, v3
	s_nop 1
	v_cndmask_b32_e32 v3, v6, v5, vcc
; %bb.362:
	s_andn2_saveexec_b64 s[8:9], s[8:9]
; %bb.363:
	s_mov_b32 s10, 0x46800000
	v_add_f32_e64 v3, |v2|, s10
; %bb.364:
	s_or_b64 exec, exec, s[8:9]
                                        ; implicit-def: $vgpr5
.LBB257_365:
	s_andn2_saveexec_b64 s[6:7], s[6:7]
; %bb.366:
	s_mov_b32 s8, 0x7f800000
	v_mov_b32_e32 v3, 0x7e
	v_mov_b32_e32 v6, 0x7f
	v_cmp_lt_u32_e32 vcc, s8, v5
	s_nop 1
	v_cndmask_b32_e32 v3, v3, v6, vcc
; %bb.367:
	s_or_b64 exec, exec, s[6:7]
	v_lshrrev_b32_e32 v5, 24, v2
	s_movk_i32 s6, 0x80
	v_and_or_b32 v3, v5, s6, v3
	global_store_byte v[0:1], v3, off
.LBB257_368:
	s_mov_b64 s[6:7], 0
.LBB257_369:
	s_andn2_b64 vcc, exec, s[6:7]
	s_cbranch_vccnz .LBB257_379
; %bb.370:
	v_and_b32_e32 v5, 0x7fffffff, v2
	s_mov_b32 s6, 0x47800000
	v_cmp_gt_u32_e32 vcc, s6, v5
                                        ; implicit-def: $vgpr3
	s_and_saveexec_b64 s[6:7], vcc
	s_xor_b64 s[6:7], exec, s[6:7]
	s_cbranch_execz .LBB257_376
; %bb.371:
	s_mov_b32 s8, 0x387fffff
	v_cmp_lt_u32_e32 vcc, s8, v5
                                        ; implicit-def: $vgpr3
	s_and_saveexec_b64 s[8:9], vcc
	s_xor_b64 s[8:9], exec, s[8:9]
; %bb.372:
	v_bfe_u32 v3, v2, 21, 1
	s_mov_b32 s10, 0x80fffff
	v_add3_u32 v3, v2, v3, s10
	v_lshrrev_b32_e32 v3, 21, v3
; %bb.373:
	s_andn2_saveexec_b64 s[8:9], s[8:9]
; %bb.374:
	s_mov_b32 s10, 0x43000000
	v_add_f32_e64 v3, |v2|, s10
; %bb.375:
	s_or_b64 exec, exec, s[8:9]
                                        ; implicit-def: $vgpr5
.LBB257_376:
	s_andn2_saveexec_b64 s[6:7], s[6:7]
; %bb.377:
	s_mov_b32 s8, 0x7f800000
	v_mov_b32_e32 v3, 0x7c
	v_mov_b32_e32 v6, 0x7f
	v_cmp_lt_u32_e32 vcc, s8, v5
	s_nop 1
	v_cndmask_b32_e32 v3, v3, v6, vcc
; %bb.378:
	s_or_b64 exec, exec, s[6:7]
	v_lshrrev_b32_e32 v5, 24, v2
	s_movk_i32 s6, 0x80
	v_and_or_b32 v3, v5, s6, v3
	global_store_byte v[0:1], v3, off
.LBB257_379:
	s_mov_b64 s[8:9], 0
	s_mov_b64 s[6:7], -1
.LBB257_380:
	s_andn2_b64 vcc, exec, s[8:9]
	s_cbranch_vccnz .LBB257_388
; %bb.381:
	s_cmp_gt_i32 s13, 14
	s_mov_b64 s[8:9], -1
	s_cbranch_scc0 .LBB257_385
; %bb.382:
	s_cmp_eq_u32 s13, 15
	s_mov_b64 s[2:3], -1
	s_cbranch_scc0 .LBB257_384
; %bb.383:
	v_bfe_u32 v3, v2, 16, 1
	s_movk_i32 s2, 0x7fff
	v_add3_u32 v3, v2, v3, s2
	v_cmp_le_f32_e32 vcc, 0, v4
	v_mov_b32_e32 v5, 0x7fc0
	s_mov_b64 s[6:7], -1
	v_cndmask_b32_sdwa v3, v5, v3, vcc dst_sel:DWORD dst_unused:UNUSED_PAD src0_sel:DWORD src1_sel:WORD_1
	global_store_short v[0:1], v3, off
	s_mov_b64 s[2:3], 0
.LBB257_384:
	s_mov_b64 s[8:9], 0
.LBB257_385:
	s_and_b64 vcc, exec, s[8:9]
	s_cbranch_vccz .LBB257_388
; %bb.386:
	s_cmp_eq_u32 s13, 11
	s_mov_b64 s[2:3], -1
	s_cbranch_scc0 .LBB257_388
; %bb.387:
	v_cmp_neq_f32_e32 vcc, 0, v4
	s_mov_b64 s[6:7], -1
	s_mov_b64 s[2:3], 0
	v_cndmask_b32_e64 v3, 0, 1, vcc
	global_store_byte v[0:1], v3, off
.LBB257_388:
	s_mov_b64 s[8:9], 0
.LBB257_389:
	s_and_b64 vcc, exec, s[8:9]
	s_cbranch_vccz .LBB257_428
; %bb.390:
	s_and_b32 s8, 0xffff, s12
	s_cmp_lt_i32 s8, 5
	s_mov_b64 s[6:7], -1
	s_cbranch_scc1 .LBB257_411
; %bb.391:
	s_cmp_lt_i32 s8, 8
	s_cbranch_scc1 .LBB257_401
; %bb.392:
	s_cmp_lt_i32 s8, 9
	s_cbranch_scc1 .LBB257_398
; %bb.393:
	s_cmp_gt_i32 s8, 9
	s_cbranch_scc0 .LBB257_395
; %bb.394:
	v_mov_b32_e32 v6, 0
	v_cvt_f64_f32_e32 v[4:5], v2
	v_mov_b32_e32 v7, v6
	s_mov_b64 s[6:7], 0
	global_store_dwordx4 v[0:1], v[4:7], off
.LBB257_395:
	s_andn2_b64 vcc, exec, s[6:7]
	s_cbranch_vccnz .LBB257_397
; %bb.396:
	v_mov_b32_e32 v3, 0
	global_store_dwordx2 v[0:1], v[2:3], off
.LBB257_397:
	s_mov_b64 s[6:7], 0
.LBB257_398:
	s_andn2_b64 vcc, exec, s[6:7]
	s_cbranch_vccnz .LBB257_400
; %bb.399:
	v_cvt_f16_f32_e32 v3, v2
	global_store_dword v[0:1], v3, off
.LBB257_400:
	s_mov_b64 s[6:7], 0
.LBB257_401:
	s_andn2_b64 vcc, exec, s[6:7]
	s_cbranch_vccnz .LBB257_410
; %bb.402:
	s_cmp_lt_i32 s8, 6
	s_mov_b64 s[6:7], -1
	s_cbranch_scc1 .LBB257_408
; %bb.403:
	s_cmp_gt_i32 s8, 6
	s_cbranch_scc0 .LBB257_405
; %bb.404:
	v_cvt_f64_f32_e32 v[4:5], v2
	s_mov_b64 s[6:7], 0
	global_store_dwordx2 v[0:1], v[4:5], off
.LBB257_405:
	s_andn2_b64 vcc, exec, s[6:7]
	s_cbranch_vccnz .LBB257_407
; %bb.406:
	global_store_dword v[0:1], v2, off
.LBB257_407:
	s_mov_b64 s[6:7], 0
.LBB257_408:
	s_andn2_b64 vcc, exec, s[6:7]
	s_cbranch_vccnz .LBB257_410
; %bb.409:
	v_cvt_f16_f32_e32 v3, v2
	global_store_short v[0:1], v3, off
.LBB257_410:
	s_mov_b64 s[6:7], 0
.LBB257_411:
	s_andn2_b64 vcc, exec, s[6:7]
	s_cbranch_vccnz .LBB257_427
; %bb.412:
	s_cmp_lt_i32 s8, 2
	s_mov_b64 s[6:7], -1
	s_cbranch_scc1 .LBB257_422
; %bb.413:
	s_cmp_lt_i32 s8, 3
	s_cbranch_scc1 .LBB257_419
; %bb.414:
	s_cmp_gt_i32 s8, 3
	s_cbranch_scc0 .LBB257_416
; %bb.415:
	v_trunc_f32_e32 v3, v2
	s_mov_b32 s6, 0x2f800000
	v_mul_f32_e64 v4, |v3|, s6
	v_floor_f32_e32 v4, v4
	s_mov_b32 s6, 0xcf800000
	v_cvt_u32_f32_e32 v5, v4
	v_fma_f32 v4, v4, s6, |v3|
	v_cvt_u32_f32_e32 v4, v4
	v_ashrrev_i32_e32 v3, 31, v3
	v_xor_b32_e32 v5, v5, v3
	s_mov_b64 s[6:7], 0
	v_xor_b32_e32 v4, v4, v3
	v_sub_co_u32_e32 v4, vcc, v4, v3
	s_nop 1
	v_subb_co_u32_e32 v5, vcc, v5, v3, vcc
	global_store_dwordx2 v[0:1], v[4:5], off
.LBB257_416:
	s_andn2_b64 vcc, exec, s[6:7]
	s_cbranch_vccnz .LBB257_418
; %bb.417:
	v_cvt_i32_f32_e32 v3, v2
	global_store_dword v[0:1], v3, off
.LBB257_418:
	s_mov_b64 s[6:7], 0
.LBB257_419:
	s_andn2_b64 vcc, exec, s[6:7]
	s_cbranch_vccnz .LBB257_421
; %bb.420:
	v_cvt_i32_f32_e32 v3, v2
	global_store_short v[0:1], v3, off
.LBB257_421:
	s_mov_b64 s[6:7], 0
.LBB257_422:
	s_andn2_b64 vcc, exec, s[6:7]
	s_cbranch_vccnz .LBB257_427
; %bb.423:
	s_cmp_gt_i32 s8, 0
	s_mov_b64 s[6:7], -1
	s_cbranch_scc0 .LBB257_425
; %bb.424:
	v_cvt_i32_f32_e32 v3, v2
	s_mov_b64 s[6:7], 0
	global_store_byte v[0:1], v3, off
.LBB257_425:
	s_andn2_b64 vcc, exec, s[6:7]
	s_cbranch_vccnz .LBB257_427
; %bb.426:
	v_trunc_f32_e32 v2, v2
	s_mov_b32 s6, 0x2f800000
	v_mul_f32_e64 v3, |v2|, s6
	v_floor_f32_e32 v3, v3
	s_mov_b32 s6, 0xcf800000
	v_fma_f32 v3, v3, s6, |v2|
	v_cvt_u32_f32_e32 v3, v3
	v_ashrrev_i32_e32 v2, 31, v2
	v_xor_b32_e32 v3, v3, v2
	v_sub_u32_e32 v2, v3, v2
	global_store_byte v[0:1], v2, off
.LBB257_427:
	s_mov_b64 s[6:7], -1
.LBB257_428:
	s_andn2_b64 vcc, exec, s[6:7]
	s_cbranch_vccnz .LBB257_430
; %bb.429:
	v_add_u32_e32 v8, 0x80, v8
	s_mov_b64 s[6:7], -1
	s_branch .LBB257_543
.LBB257_430:
	s_mov_b64 s[6:7], 0
	s_branch .LBB257_542
.LBB257_431:
	s_mov_b64 s[4:5], -1
                                        ; implicit-def: $vgpr4
.LBB257_432:
	s_mov_b64 s[6:7], 0
.LBB257_433:
	s_and_b64 vcc, exec, s[6:7]
	s_cbranch_vccz .LBB257_437
; %bb.434:
	s_cmp_eq_u32 s10, 29
	s_cbranch_scc0 .LBB257_436
; %bb.435:
	global_load_dwordx2 v[4:5], v[2:3], off
	s_mov_b64 s[2:3], -1
	s_mov_b64 s[4:5], 0
	s_mov_b64 s[6:7], 0
	s_waitcnt vmcnt(0)
	v_ffbh_u32_e32 v1, v5
	v_min_u32_e32 v1, 32, v1
	v_lshlrev_b64 v[4:5], v1, v[4:5]
	v_min_u32_e32 v4, 1, v4
	v_or_b32_e32 v4, v5, v4
	v_cvt_f32_u32_e32 v4, v4
	v_sub_u32_e32 v1, 32, v1
	v_ldexp_f32 v4, v4, v1
	s_branch .LBB257_438
.LBB257_436:
	s_mov_b64 s[4:5], -1
                                        ; implicit-def: $vgpr4
.LBB257_437:
	s_mov_b64 s[6:7], 0
.LBB257_438:
	s_and_b64 vcc, exec, s[6:7]
	s_cbranch_vccz .LBB257_456
; %bb.439:
	s_cmp_lt_i32 s10, 27
	s_cbranch_scc1 .LBB257_442
; %bb.440:
	s_cmp_gt_i32 s10, 27
	s_cbranch_scc0 .LBB257_443
; %bb.441:
	global_load_dword v1, v[2:3], off
	s_mov_b64 s[2:3], 0
	s_waitcnt vmcnt(0)
	v_cvt_f32_u32_e32 v4, v1
	s_branch .LBB257_444
.LBB257_442:
	s_mov_b64 s[2:3], -1
                                        ; implicit-def: $vgpr4
	s_branch .LBB257_447
.LBB257_443:
	s_mov_b64 s[2:3], -1
                                        ; implicit-def: $vgpr4
.LBB257_444:
	s_andn2_b64 vcc, exec, s[2:3]
	s_cbranch_vccnz .LBB257_446
; %bb.445:
	global_load_ushort v1, v[2:3], off
	s_waitcnt vmcnt(0)
	v_cvt_f32_u32_e32 v4, v1
.LBB257_446:
	s_mov_b64 s[2:3], 0
.LBB257_447:
	s_andn2_b64 vcc, exec, s[2:3]
	s_cbranch_vccnz .LBB257_455
; %bb.448:
	global_load_ubyte v1, v[2:3], off
	s_movk_i32 s2, 0x7f
	s_waitcnt vmcnt(0)
	v_cmp_lt_i16_e32 vcc, s2, v1
	s_mov_b64 s[2:3], 0
	s_and_saveexec_b64 s[6:7], vcc
	s_xor_b64 s[6:7], exec, s[6:7]
	s_cbranch_execz .LBB257_469
; %bb.449:
	s_movk_i32 s2, 0x80
	v_cmp_eq_u16_e32 vcc, s2, v1
	s_mov_b64 s[2:3], -1
	s_and_saveexec_b64 s[8:9], vcc
; %bb.450:
	s_xor_b64 s[2:3], exec, -1
; %bb.451:
	s_or_b64 exec, exec, s[8:9]
	s_and_b64 s[2:3], s[2:3], exec
	s_or_saveexec_b64 s[6:7], s[6:7]
	v_mov_b32_e32 v4, 0x7f800001
	s_xor_b64 exec, exec, s[6:7]
	s_cbranch_execnz .LBB257_470
.LBB257_452:
	s_or_b64 exec, exec, s[6:7]
	s_and_saveexec_b64 s[6:7], s[2:3]
	s_cbranch_execz .LBB257_454
.LBB257_453:
	v_lshlrev_b32_e32 v4, 24, v1
	v_and_b32_e32 v1, 0xffff, v1
	v_and_b32_e32 v5, 7, v1
	v_ffbh_u32_e32 v7, v5
	v_min_u32_e32 v7, 32, v7
	v_subrev_u32_e32 v9, 28, v7
	v_bfe_u32 v6, v1, 3, 4
	v_lshlrev_b32_e32 v1, v9, v1
	v_sub_u32_e32 v7, 29, v7
	v_and_b32_e32 v1, 7, v1
	v_cmp_eq_u32_e32 vcc, 0, v6
	v_and_b32_e32 v4, 0x80000000, v4
	s_nop 0
	v_cndmask_b32_e32 v6, v6, v7, vcc
	v_cndmask_b32_e32 v1, v5, v1, vcc
	v_mov_b32_e32 v5, 0x3b800000
	v_lshlrev_b32_e32 v1, 20, v1
	v_lshl_add_u32 v5, v6, 23, v5
	v_or3_b32 v4, v4, v5, v1
.LBB257_454:
	s_or_b64 exec, exec, s[6:7]
.LBB257_455:
	s_mov_b64 s[2:3], -1
.LBB257_456:
	s_mov_b64 s[6:7], 0
.LBB257_457:
	s_and_b64 vcc, exec, s[6:7]
	s_cbranch_vccz .LBB257_492
; %bb.458:
	s_cmp_gt_i32 s10, 22
	s_cbranch_scc0 .LBB257_468
; %bb.459:
	s_cmp_lt_i32 s10, 24
	s_cbranch_scc1 .LBB257_471
; %bb.460:
	s_cmp_gt_i32 s10, 24
	s_cbranch_scc0 .LBB257_472
; %bb.461:
	global_load_ubyte v1, v[2:3], off
	s_movk_i32 s2, 0x7f
	s_waitcnt vmcnt(0)
	v_cmp_lt_i16_e32 vcc, s2, v1
	s_mov_b64 s[2:3], 0
	s_and_saveexec_b64 s[6:7], vcc
	s_xor_b64 s[6:7], exec, s[6:7]
	s_cbranch_execz .LBB257_484
; %bb.462:
	s_movk_i32 s2, 0x80
	v_cmp_eq_u16_e32 vcc, s2, v1
	s_mov_b64 s[2:3], -1
	s_and_saveexec_b64 s[8:9], vcc
; %bb.463:
	s_xor_b64 s[2:3], exec, -1
; %bb.464:
	s_or_b64 exec, exec, s[8:9]
	s_and_b64 s[2:3], s[2:3], exec
	s_or_saveexec_b64 s[6:7], s[6:7]
	v_mov_b32_e32 v4, 0x7f800001
	s_xor_b64 exec, exec, s[6:7]
	s_cbranch_execnz .LBB257_485
.LBB257_465:
	s_or_b64 exec, exec, s[6:7]
	s_and_saveexec_b64 s[6:7], s[2:3]
	s_cbranch_execz .LBB257_467
.LBB257_466:
	v_lshlrev_b32_e32 v4, 24, v1
	v_and_b32_e32 v1, 0xffff, v1
	v_and_b32_e32 v5, 3, v1
	v_ffbh_u32_e32 v7, v5
	v_min_u32_e32 v7, 32, v7
	v_subrev_u32_e32 v9, 29, v7
	v_bfe_u32 v6, v1, 2, 5
	v_lshlrev_b32_e32 v1, v9, v1
	v_sub_u32_e32 v7, 30, v7
	v_and_b32_e32 v1, 3, v1
	v_cmp_eq_u32_e32 vcc, 0, v6
	v_and_b32_e32 v4, 0x80000000, v4
	s_nop 0
	v_cndmask_b32_e32 v6, v6, v7, vcc
	v_cndmask_b32_e32 v1, v5, v1, vcc
	v_mov_b32_e32 v5, 0x37800000
	v_lshlrev_b32_e32 v1, 21, v1
	v_lshl_add_u32 v5, v6, 23, v5
	v_or3_b32 v4, v4, v5, v1
.LBB257_467:
	s_or_b64 exec, exec, s[6:7]
	s_mov_b64 s[2:3], 0
	s_branch .LBB257_473
.LBB257_468:
	s_mov_b64 s[6:7], -1
                                        ; implicit-def: $vgpr4
	s_branch .LBB257_479
.LBB257_469:
	s_or_saveexec_b64 s[6:7], s[6:7]
	v_mov_b32_e32 v4, 0x7f800001
	s_xor_b64 exec, exec, s[6:7]
	s_cbranch_execz .LBB257_452
.LBB257_470:
	v_cmp_ne_u16_e32 vcc, 0, v1
	s_andn2_b64 s[2:3], s[2:3], exec
	s_and_b64 s[8:9], vcc, exec
	v_mov_b32_e32 v4, 0
	s_or_b64 s[2:3], s[2:3], s[8:9]
	s_or_b64 exec, exec, s[6:7]
	s_and_saveexec_b64 s[6:7], s[2:3]
	s_cbranch_execnz .LBB257_453
	s_branch .LBB257_454
.LBB257_471:
	s_mov_b64 s[2:3], -1
                                        ; implicit-def: $vgpr4
	s_branch .LBB257_476
.LBB257_472:
	s_mov_b64 s[2:3], -1
                                        ; implicit-def: $vgpr4
.LBB257_473:
	s_and_b64 vcc, exec, s[2:3]
	s_cbranch_vccz .LBB257_475
; %bb.474:
	global_load_ubyte v1, v[2:3], off
	s_mov_b32 s2, 0x7f800000
	s_waitcnt vmcnt(0)
	v_lshlrev_b32_e32 v1, 24, v1
	v_and_b32_e32 v4, 0x7f000000, v1
	v_ffbh_u32_e32 v5, v4
	v_min_u32_e32 v5, 32, v5
	v_sub_u32_e64 v5, v5, 4 clamp
	v_lshlrev_b32_e32 v7, v5, v4
	v_lshlrev_b32_e32 v5, 23, v5
	v_lshrrev_b32_e32 v7, 4, v7
	v_add_u32_e32 v6, 0x1000000, v4
	v_sub_u32_e32 v5, v7, v5
	v_ashrrev_i32_e32 v6, 8, v6
	v_add_u32_e32 v5, 0x3c000000, v5
	v_and_or_b32 v5, v6, s2, v5
	v_cmp_ne_u32_e32 vcc, 0, v4
	s_brev_b32 s2, 1
	s_nop 0
	v_cndmask_b32_e32 v4, 0, v5, vcc
	v_and_or_b32 v4, v1, s2, v4
.LBB257_475:
	s_mov_b64 s[2:3], 0
.LBB257_476:
	s_andn2_b64 vcc, exec, s[2:3]
	s_cbranch_vccnz .LBB257_478
; %bb.477:
	global_load_ubyte v1, v[2:3], off
	s_movk_i32 s2, 0x7f00
	s_brev_b32 s3, 16
	s_waitcnt vmcnt(0)
	v_lshlrev_b16_e32 v4, 8, v1
	v_lshlrev_b32_e32 v1, 25, v1
	v_lshrrev_b32_e32 v5, 4, v1
	v_and_or_b32 v6, v4, s2, 0.5
	v_or_b32_e32 v5, 0x70000000, v5
	v_add_f32_e32 v6, -0.5, v6
	v_mul_f32_e32 v5, 0x7800000, v5
	v_cmp_gt_u32_e32 vcc, s3, v1
	v_bfe_i32 v4, v4, 0, 16
	s_brev_b32 s2, 1
	v_cndmask_b32_e32 v1, v5, v6, vcc
	v_and_or_b32 v4, v4, s2, v1
.LBB257_478:
	s_mov_b64 s[6:7], 0
	s_mov_b64 s[2:3], -1
.LBB257_479:
	s_andn2_b64 vcc, exec, s[6:7]
	s_cbranch_vccnz .LBB257_492
; %bb.480:
	s_cmp_gt_i32 s10, 14
	s_cbranch_scc0 .LBB257_483
; %bb.481:
	s_cmp_eq_u32 s10, 15
	s_cbranch_scc0 .LBB257_486
; %bb.482:
	global_load_ushort v1, v[2:3], off
	s_mov_b64 s[2:3], -1
	s_mov_b64 s[4:5], 0
	s_waitcnt vmcnt(0)
	v_lshlrev_b32_e32 v4, 16, v1
	s_branch .LBB257_487
.LBB257_483:
	s_mov_b64 s[6:7], -1
                                        ; implicit-def: $vgpr4
	s_branch .LBB257_488
.LBB257_484:
	s_or_saveexec_b64 s[6:7], s[6:7]
	v_mov_b32_e32 v4, 0x7f800001
	s_xor_b64 exec, exec, s[6:7]
	s_cbranch_execz .LBB257_465
.LBB257_485:
	v_cmp_ne_u16_e32 vcc, 0, v1
	s_andn2_b64 s[2:3], s[2:3], exec
	s_and_b64 s[8:9], vcc, exec
	v_mov_b32_e32 v4, 0
	s_or_b64 s[2:3], s[2:3], s[8:9]
	s_or_b64 exec, exec, s[6:7]
	s_and_saveexec_b64 s[6:7], s[2:3]
	s_cbranch_execnz .LBB257_466
	s_branch .LBB257_467
.LBB257_486:
	s_mov_b64 s[4:5], -1
                                        ; implicit-def: $vgpr4
.LBB257_487:
	s_mov_b64 s[6:7], 0
.LBB257_488:
	s_and_b64 vcc, exec, s[6:7]
	s_cbranch_vccz .LBB257_492
; %bb.489:
	s_cmp_eq_u32 s10, 11
	s_cbranch_scc0 .LBB257_491
; %bb.490:
	global_load_ubyte v1, v[2:3], off
	s_mov_b64 s[2:3], -1
	s_mov_b64 s[4:5], 0
	s_waitcnt vmcnt(0)
	v_cmp_ne_u16_e32 vcc, 0, v1
	s_nop 1
	v_cndmask_b32_e64 v4, 0, 1.0, vcc
	s_branch .LBB257_492
.LBB257_491:
	s_mov_b64 s[4:5], -1
                                        ; implicit-def: $vgpr4
.LBB257_492:
	s_branch .LBB257_295
.LBB257_493:
	s_cmp_lt_i32 s10, 5
	s_cbranch_scc1 .LBB257_498
; %bb.494:
	s_cmp_lt_i32 s10, 8
	s_cbranch_scc1 .LBB257_499
; %bb.495:
	s_cmp_lt_i32 s10, 9
	s_cbranch_scc1 .LBB257_500
; %bb.496:
	s_cmp_gt_i32 s10, 9
	s_cbranch_scc0 .LBB257_501
; %bb.497:
	global_load_dwordx2 v[4:5], v[2:3], off
	s_mov_b64 s[2:3], 0
	s_waitcnt vmcnt(0)
	v_cvt_f32_f64_e32 v4, v[4:5]
	s_branch .LBB257_502
.LBB257_498:
	s_mov_b64 s[2:3], -1
                                        ; implicit-def: $vgpr4
	s_branch .LBB257_520
.LBB257_499:
	s_mov_b64 s[2:3], -1
                                        ; implicit-def: $vgpr4
	s_branch .LBB257_508
.LBB257_500:
	s_mov_b64 s[2:3], -1
                                        ; implicit-def: $vgpr4
	s_branch .LBB257_505
.LBB257_501:
	s_mov_b64 s[2:3], -1
                                        ; implicit-def: $vgpr4
.LBB257_502:
	s_andn2_b64 vcc, exec, s[2:3]
	s_cbranch_vccnz .LBB257_504
; %bb.503:
	global_load_dword v4, v[2:3], off
.LBB257_504:
	s_mov_b64 s[2:3], 0
.LBB257_505:
	s_andn2_b64 vcc, exec, s[2:3]
	s_cbranch_vccnz .LBB257_507
; %bb.506:
	global_load_dword v1, v[2:3], off
	s_waitcnt vmcnt(0)
	v_cvt_f32_f16_e32 v4, v1
.LBB257_507:
	s_mov_b64 s[2:3], 0
.LBB257_508:
	s_andn2_b64 vcc, exec, s[2:3]
	s_cbranch_vccnz .LBB257_519
; %bb.509:
	s_cmp_lt_i32 s10, 6
	s_cbranch_scc1 .LBB257_512
; %bb.510:
	s_cmp_gt_i32 s10, 6
	s_cbranch_scc0 .LBB257_513
; %bb.511:
	global_load_dwordx2 v[4:5], v[2:3], off
	s_mov_b64 s[2:3], 0
	s_waitcnt vmcnt(0)
	v_cvt_f32_f64_e32 v4, v[4:5]
	s_branch .LBB257_514
.LBB257_512:
	s_mov_b64 s[2:3], -1
                                        ; implicit-def: $vgpr4
	s_branch .LBB257_517
.LBB257_513:
	s_mov_b64 s[2:3], -1
                                        ; implicit-def: $vgpr4
.LBB257_514:
	s_andn2_b64 vcc, exec, s[2:3]
	s_cbranch_vccnz .LBB257_516
; %bb.515:
	global_load_dword v4, v[2:3], off
.LBB257_516:
	s_mov_b64 s[2:3], 0
.LBB257_517:
	s_andn2_b64 vcc, exec, s[2:3]
	s_cbranch_vccnz .LBB257_519
; %bb.518:
	global_load_ushort v1, v[2:3], off
	s_waitcnt vmcnt(0)
	v_cvt_f32_f16_e32 v4, v1
.LBB257_519:
	s_mov_b64 s[2:3], 0
.LBB257_520:
	s_andn2_b64 vcc, exec, s[2:3]
	s_cbranch_vccnz .LBB257_540
; %bb.521:
	s_cmp_lt_i32 s10, 2
	s_cbranch_scc1 .LBB257_525
; %bb.522:
	s_cmp_lt_i32 s10, 3
	s_cbranch_scc1 .LBB257_526
; %bb.523:
	s_cmp_gt_i32 s10, 3
	s_cbranch_scc0 .LBB257_527
; %bb.524:
	global_load_dwordx2 v[4:5], v[2:3], off
	s_mov_b64 s[2:3], 0
	s_waitcnt vmcnt(0)
	v_xor_b32_e32 v6, v4, v5
	v_ffbh_i32_e32 v1, v5
	v_ashrrev_i32_e32 v6, 31, v6
	v_add_u32_e32 v1, -1, v1
	v_add_u32_e32 v6, 32, v6
	v_min_u32_e32 v1, v1, v6
	v_lshlrev_b64 v[4:5], v1, v[4:5]
	v_min_u32_e32 v4, 1, v4
	v_or_b32_e32 v4, v5, v4
	v_cvt_f32_i32_e32 v4, v4
	v_sub_u32_e32 v1, 32, v1
	v_ldexp_f32 v4, v4, v1
	s_branch .LBB257_528
.LBB257_525:
	s_mov_b64 s[2:3], -1
                                        ; implicit-def: $vgpr4
	s_branch .LBB257_534
.LBB257_526:
	s_mov_b64 s[2:3], -1
                                        ; implicit-def: $vgpr4
	s_branch .LBB257_531
.LBB257_527:
	s_mov_b64 s[2:3], -1
                                        ; implicit-def: $vgpr4
.LBB257_528:
	s_andn2_b64 vcc, exec, s[2:3]
	s_cbranch_vccnz .LBB257_530
; %bb.529:
	global_load_dword v1, v[2:3], off
	s_waitcnt vmcnt(0)
	v_cvt_f32_i32_e32 v4, v1
.LBB257_530:
	s_mov_b64 s[2:3], 0
.LBB257_531:
	s_andn2_b64 vcc, exec, s[2:3]
	s_cbranch_vccnz .LBB257_533
; %bb.532:
	global_load_sshort v1, v[2:3], off
	s_waitcnt vmcnt(0)
	v_cvt_f32_i32_e32 v4, v1
.LBB257_533:
	s_mov_b64 s[2:3], 0
.LBB257_534:
	s_andn2_b64 vcc, exec, s[2:3]
	s_cbranch_vccnz .LBB257_540
; %bb.535:
	s_cmp_gt_i32 s10, 0
	s_cbranch_scc0 .LBB257_537
; %bb.536:
	global_load_sbyte v1, v[2:3], off
	s_mov_b64 s[2:3], 0
	s_waitcnt vmcnt(0)
	v_cvt_f32_i32_e32 v4, v1
	s_branch .LBB257_538
.LBB257_537:
	s_mov_b64 s[2:3], -1
                                        ; implicit-def: $vgpr4
.LBB257_538:
	s_andn2_b64 vcc, exec, s[2:3]
	s_cbranch_vccnz .LBB257_540
; %bb.539:
	global_load_ubyte v1, v[2:3], off
	s_waitcnt vmcnt(0)
	v_cvt_f32_ubyte0_e32 v4, v1
.LBB257_540:
	s_branch .LBB257_296
.LBB257_541:
	s_mov_b64 s[6:7], 0
	s_mov_b64 s[2:3], s[54:55]
.LBB257_542:
                                        ; implicit-def: $vgpr8
.LBB257_543:
	s_andn2_b64 s[8:9], s[54:55], exec
	s_and_b64 s[2:3], s[2:3], exec
	s_or_b64 s[62:63], s[8:9], s[2:3]
	s_andn2_b64 s[2:3], s[56:57], exec
	s_and_b64 s[4:5], s[4:5], exec
	s_or_b64 s[60:61], s[2:3], s[4:5]
	s_orn2_b64 s[2:3], s[6:7], exec
.LBB257_544:
	s_or_b64 exec, exec, s[64:65]
	s_mov_b64 s[4:5], 0
	s_mov_b64 s[6:7], 0
	;; [unrolled: 1-line block ×3, first 2 shown]
                                        ; implicit-def: $vgpr2_vgpr3
                                        ; implicit-def: $vgpr0
                                        ; implicit-def: $vgpr5
	s_and_saveexec_b64 s[64:65], s[2:3]
	s_cbranch_execz .LBB257_921
; %bb.545:
	v_cmp_gt_i32_e32 vcc, s70, v8
	s_mov_b64 s[6:7], -1
	s_mov_b64 s[2:3], s[60:61]
	s_mov_b64 s[68:69], s[62:63]
	s_and_saveexec_b64 s[66:67], vcc
	s_cbranch_execz .LBB257_820
; %bb.546:
	s_andn2_b64 vcc, exec, s[42:43]
	s_cbranch_vccnz .LBB257_552
; %bb.547:
	s_andn2_b64 vcc, exec, s[52:53]
	s_cbranch_vccnz .LBB257_553
; %bb.548:
	s_add_i32 s76, s75, 1
	s_cmp_eq_u32 s72, 2
	s_cbranch_scc1 .LBB257_554
; %bb.549:
	s_and_b32 s71, s76, 28
	s_mov_b32 s77, 0
	v_mov_b32_e32 v0, 0
	v_mov_b32_e32 v2, 0
	s_mov_b64 s[2:3], s[34:35]
	s_mov_b64 s[68:69], s[50:51]
	s_waitcnt vmcnt(0)
	v_mov_b32_e32 v4, v8
.LBB257_550:                            ; =>This Inner Loop Header: Depth=1
	s_load_dwordx8 s[12:19], s[2:3], 0x4
	s_load_dwordx4 s[36:39], s[2:3], 0x24
	s_load_dwordx8 s[4:11], s[68:69], 0x0
	s_add_u32 s2, s2, 48
	s_addc_u32 s3, s3, 0
	s_waitcnt lgkmcnt(0)
	v_mul_hi_u32 v1, s13, v4
	v_add_u32_e32 v1, v4, v1
	v_lshrrev_b32_e32 v1, s14, v1
	v_mul_lo_u32 v3, v1, s12
	v_mul_hi_u32 v5, s16, v1
	v_sub_u32_e32 v3, v4, v3
	v_add_u32_e32 v4, v1, v5
	v_lshrrev_b32_e32 v4, s17, v4
	v_mul_lo_u32 v6, v4, s15
	v_mul_hi_u32 v7, s19, v4
	v_sub_u32_e32 v1, v1, v6
	v_add_u32_e32 v6, v4, v7
	v_mul_lo_u32 v5, v3, s5
	v_mul_lo_u32 v3, v3, s4
	;; [unrolled: 1-line block ×4, first 2 shown]
	v_lshrrev_b32_e32 v6, s36, v6
	v_add3_u32 v0, v3, v0, v1
	v_mul_hi_u32 v3, s38, v6
	v_add3_u32 v1, v5, v2, v7
	v_mul_lo_u32 v2, v6, s18
	v_add_u32_e32 v3, v6, v3
	v_sub_u32_e32 v2, v4, v2
	v_lshrrev_b32_e32 v4, s39, v3
	s_add_i32 s77, s77, 4
	v_mul_lo_u32 v3, v4, s37
	s_add_u32 s68, s68, 32
	v_sub_u32_e32 v3, v6, v3
	s_addc_u32 s69, s69, 0
	v_mul_lo_u32 v5, v2, s8
	v_mul_lo_u32 v2, v2, s9
	;; [unrolled: 1-line block ×4, first 2 shown]
	s_cmp_eq_u32 s71, s77
	v_add3_u32 v2, v2, v1, v3
	v_add3_u32 v0, v5, v0, v6
	s_cbranch_scc0 .LBB257_550
; %bb.551:
	v_mov_b32_e32 v1, v2
	s_branch .LBB257_555
.LBB257_552:
	s_mov_b64 s[2:3], -1
                                        ; implicit-def: $vgpr2
                                        ; implicit-def: $vgpr0
	s_branch .LBB257_559
.LBB257_553:
	v_mov_b32_e32 v2, 0
	v_mov_b32_e32 v0, 0
	s_branch .LBB257_558
.LBB257_554:
	v_mov_b32_e32 v0, 0
	s_mov_b32 s71, 0
	v_mov_b32_e32 v1, v0
                                        ; implicit-def: $vgpr2
	s_waitcnt vmcnt(0)
	v_mov_b32_e32 v4, v8
.LBB257_555:
	s_and_b32 s6, s76, 3
	s_cmp_eq_u32 s6, 0
	s_cbranch_scc1 .LBB257_558
; %bb.556:
	s_lshl_b32 s2, s71, 3
	s_add_u32 s2, s34, s2
	s_addc_u32 s3, s35, 0
	s_add_u32 s2, s2, 0xc4
	s_addc_u32 s3, s3, 0
	s_mul_i32 s4, s71, 12
	s_add_u32 s4, s34, s4
	s_addc_u32 s5, s35, 0
.LBB257_557:                            ; =>This Inner Loop Header: Depth=1
	s_load_dwordx2 s[8:9], s[4:5], 0x4
	s_load_dword s7, s[4:5], 0xc
	s_load_dwordx2 s[10:11], s[2:3], 0x0
	v_mov_b32_e32 v2, v1
	s_add_u32 s4, s4, 12
	s_waitcnt lgkmcnt(0)
	v_mul_hi_u32 v1, s9, v4
	v_add_u32_e32 v1, v4, v1
	v_lshrrev_b32_e32 v1, s7, v1
	s_addc_u32 s5, s5, 0
	v_mul_lo_u32 v3, v1, s8
	s_add_u32 s2, s2, 8
	v_sub_u32_e32 v5, v4, v3
	s_addc_u32 s3, s3, 0
	s_add_i32 s6, s6, -1
	v_mov_b32_e32 v4, v1
	v_mad_u64_u32 v[2:3], s[8:9], v5, s11, v[2:3]
	v_mad_u64_u32 v[0:1], s[8:9], v5, s10, v[0:1]
	s_cmp_lg_u32 s6, 0
	v_mov_b32_e32 v1, v2
	s_cbranch_scc1 .LBB257_557
.LBB257_558:
	s_mov_b64 s[2:3], 0
.LBB257_559:
	s_andn2_b64 vcc, exec, s[2:3]
	s_cbranch_vccnz .LBB257_562
; %bb.560:
	s_waitcnt lgkmcnt(0)
	v_mul_hi_u32 v0, s29, v8
	v_add_u32_e32 v0, v8, v0
	v_lshrrev_b32_e32 v1, s30, v0
	v_mul_lo_u32 v0, v1, s28
	v_sub_u32_e32 v0, v8, v0
	v_mul_lo_u32 v2, v0, s25
	s_andn2_b64 vcc, exec, s[48:49]
	v_mul_lo_u32 v0, v0, s24
	s_cbranch_vccnz .LBB257_562
; %bb.561:
	v_mul_hi_u32 v3, s46, v1
	v_add_u32_e32 v3, v1, v3
	v_lshrrev_b32_e32 v3, s47, v3
	v_mul_lo_u32 v3, v3, s31
	v_sub_u32_e32 v3, v1, v3
	v_mad_u64_u32 v[0:1], s[2:3], v3, s26, v[0:1]
	v_mad_u64_u32 v[2:3], s[2:3], v3, s27, v[2:3]
.LBB257_562:
	v_mov_b32_e32 v3, 0
	s_and_b32 s10, 0xffff, s74
	s_cmp_lt_i32 s10, 11
	s_waitcnt lgkmcnt(0)
	v_lshl_add_u64 v[2:3], s[22:23], 0, v[2:3]
	s_cbranch_scc1 .LBB257_569
; %bb.563:
	s_cmp_gt_i32 s10, 25
	s_cbranch_scc0 .LBB257_570
; %bb.564:
	s_cmp_gt_i32 s10, 28
	s_cbranch_scc0 .LBB257_571
	;; [unrolled: 3-line block ×4, first 2 shown]
; %bb.567:
	s_cmp_eq_u32 s10, 46
	s_mov_b64 s[6:7], 0
	s_cbranch_scc0 .LBB257_578
; %bb.568:
	global_load_dword v1, v[2:3], off
	s_mov_b64 s[2:3], -1
	s_mov_b64 s[4:5], 0
	s_waitcnt vmcnt(0)
	v_lshlrev_b32_e32 v4, 16, v1
	s_branch .LBB257_579
.LBB257_569:
	s_mov_b64 s[6:7], -1
	s_mov_b64 s[2:3], 0
                                        ; implicit-def: $vgpr4
	s_mov_b64 s[4:5], s[60:61]
	s_branch .LBB257_644
.LBB257_570:
	s_mov_b64 s[6:7], -1
	s_mov_b64 s[2:3], 0
	s_mov_b64 s[4:5], s[60:61]
                                        ; implicit-def: $vgpr4
	s_branch .LBB257_608
.LBB257_571:
	s_mov_b64 s[6:7], -1
	s_mov_b64 s[2:3], 0
	s_mov_b64 s[4:5], s[60:61]
                                        ; implicit-def: $vgpr4
	s_branch .LBB257_589
.LBB257_572:
	s_mov_b64 s[6:7], -1
	s_mov_b64 s[2:3], 0
	s_mov_b64 s[4:5], s[60:61]
                                        ; implicit-def: $vgpr4
	s_branch .LBB257_584
.LBB257_573:
	s_andn2_saveexec_b64 s[10:11], s[10:11]
	s_cbranch_execz .LBB257_341
.LBB257_574:
	s_mov_b32 s14, 0x46000000
	v_add_f32_e64 v3, |v2|, s14
	v_and_b32_e32 v3, 0xff, v3
	v_cmp_ne_u32_e32 vcc, 0, v3
	s_andn2_b64 s[8:9], s[8:9], exec
	s_and_b64 s[14:15], vcc, exec
	s_or_b64 s[8:9], s[8:9], s[14:15]
	s_or_b64 exec, exec, s[10:11]
	v_mov_b32_e32 v5, 0
	s_and_saveexec_b64 s[10:11], s[8:9]
	s_cbranch_execnz .LBB257_342
	s_branch .LBB257_343
.LBB257_575:
	s_mov_b64 s[6:7], -1
	s_mov_b64 s[2:3], 0
	s_mov_b64 s[4:5], s[60:61]
                                        ; implicit-def: $vgpr4
	s_branch .LBB257_579
.LBB257_576:
	s_andn2_saveexec_b64 s[10:11], s[10:11]
	s_cbranch_execz .LBB257_354
.LBB257_577:
	s_mov_b32 s14, 0x42800000
	v_add_f32_e64 v3, |v2|, s14
	v_and_b32_e32 v3, 0xff, v3
	v_cmp_ne_u32_e32 vcc, 0, v3
	s_andn2_b64 s[8:9], s[8:9], exec
	s_and_b64 s[14:15], vcc, exec
	s_or_b64 s[8:9], s[8:9], s[14:15]
	s_or_b64 exec, exec, s[10:11]
	v_mov_b32_e32 v5, 0
	s_and_saveexec_b64 s[10:11], s[8:9]
	s_cbranch_execnz .LBB257_355
	s_branch .LBB257_356
.LBB257_578:
	s_mov_b64 s[4:5], -1
                                        ; implicit-def: $vgpr4
	s_mov_b64 s[2:3], 0
.LBB257_579:
	s_and_b64 vcc, exec, s[6:7]
	s_cbranch_vccz .LBB257_583
; %bb.580:
	s_cmp_eq_u32 s10, 44
	s_cbranch_scc0 .LBB257_582
; %bb.581:
	global_load_ubyte v1, v[2:3], off
	s_movk_i32 s4, 0xff
	s_waitcnt vmcnt(1)
	v_mov_b32_e32 v4, 0x7f800001
	v_mov_b32_e32 v5, 0x400000
	s_mov_b64 s[2:3], -1
	s_waitcnt vmcnt(0)
	v_lshlrev_b32_e32 v6, 23, v1
	v_cmp_ne_u32_e32 vcc, s4, v1
	s_mov_b64 s[4:5], 0
	s_nop 0
	v_cndmask_b32_e32 v4, v4, v6, vcc
	v_cmp_ne_u32_e32 vcc, 0, v1
	s_nop 1
	v_cndmask_b32_e32 v4, v5, v4, vcc
	s_branch .LBB257_583
.LBB257_582:
	s_mov_b64 s[4:5], -1
                                        ; implicit-def: $vgpr4
.LBB257_583:
	s_mov_b64 s[6:7], 0
.LBB257_584:
	s_and_b64 vcc, exec, s[6:7]
	s_cbranch_vccz .LBB257_588
; %bb.585:
	s_cmp_eq_u32 s10, 29
	s_cbranch_scc0 .LBB257_587
; %bb.586:
	global_load_dwordx2 v[4:5], v[2:3], off
	s_mov_b64 s[2:3], -1
	s_mov_b64 s[4:5], 0
	s_mov_b64 s[6:7], 0
	s_waitcnt vmcnt(0)
	v_ffbh_u32_e32 v1, v5
	v_min_u32_e32 v1, 32, v1
	v_lshlrev_b64 v[4:5], v1, v[4:5]
	v_min_u32_e32 v4, 1, v4
	v_or_b32_e32 v4, v5, v4
	v_cvt_f32_u32_e32 v4, v4
	v_sub_u32_e32 v1, 32, v1
	v_ldexp_f32 v4, v4, v1
	s_branch .LBB257_589
.LBB257_587:
	s_mov_b64 s[4:5], -1
                                        ; implicit-def: $vgpr4
.LBB257_588:
	s_mov_b64 s[6:7], 0
.LBB257_589:
	s_and_b64 vcc, exec, s[6:7]
	s_cbranch_vccz .LBB257_607
; %bb.590:
	s_cmp_lt_i32 s10, 27
	s_cbranch_scc1 .LBB257_593
; %bb.591:
	s_cmp_gt_i32 s10, 27
	s_cbranch_scc0 .LBB257_594
; %bb.592:
	global_load_dword v1, v[2:3], off
	s_mov_b64 s[2:3], 0
	s_waitcnt vmcnt(0)
	v_cvt_f32_u32_e32 v4, v1
	s_branch .LBB257_595
.LBB257_593:
	s_mov_b64 s[2:3], -1
                                        ; implicit-def: $vgpr4
	s_branch .LBB257_598
.LBB257_594:
	s_mov_b64 s[2:3], -1
                                        ; implicit-def: $vgpr4
.LBB257_595:
	s_andn2_b64 vcc, exec, s[2:3]
	s_cbranch_vccnz .LBB257_597
; %bb.596:
	global_load_ushort v1, v[2:3], off
	s_waitcnt vmcnt(0)
	v_cvt_f32_u32_e32 v4, v1
.LBB257_597:
	s_mov_b64 s[2:3], 0
.LBB257_598:
	s_andn2_b64 vcc, exec, s[2:3]
	s_cbranch_vccnz .LBB257_606
; %bb.599:
	global_load_ubyte v1, v[2:3], off
	s_movk_i32 s2, 0x7f
	s_waitcnt vmcnt(0)
	v_cmp_lt_i16_e32 vcc, s2, v1
	s_mov_b64 s[2:3], 0
	s_and_saveexec_b64 s[6:7], vcc
	s_xor_b64 s[6:7], exec, s[6:7]
	s_cbranch_execz .LBB257_620
; %bb.600:
	s_movk_i32 s2, 0x80
	v_cmp_eq_u16_e32 vcc, s2, v1
	s_mov_b64 s[2:3], -1
	s_and_saveexec_b64 s[8:9], vcc
; %bb.601:
	s_xor_b64 s[2:3], exec, -1
; %bb.602:
	s_or_b64 exec, exec, s[8:9]
	s_and_b64 s[2:3], s[2:3], exec
	s_or_saveexec_b64 s[6:7], s[6:7]
	v_mov_b32_e32 v4, 0x7f800001
	s_xor_b64 exec, exec, s[6:7]
	s_cbranch_execnz .LBB257_621
.LBB257_603:
	s_or_b64 exec, exec, s[6:7]
	s_and_saveexec_b64 s[6:7], s[2:3]
	s_cbranch_execz .LBB257_605
.LBB257_604:
	v_lshlrev_b32_e32 v4, 24, v1
	v_and_b32_e32 v1, 0xffff, v1
	v_and_b32_e32 v5, 7, v1
	v_ffbh_u32_e32 v7, v5
	v_min_u32_e32 v7, 32, v7
	v_subrev_u32_e32 v9, 28, v7
	v_bfe_u32 v6, v1, 3, 4
	v_lshlrev_b32_e32 v1, v9, v1
	v_sub_u32_e32 v7, 29, v7
	v_and_b32_e32 v1, 7, v1
	v_cmp_eq_u32_e32 vcc, 0, v6
	v_and_b32_e32 v4, 0x80000000, v4
	s_nop 0
	v_cndmask_b32_e32 v6, v6, v7, vcc
	v_cndmask_b32_e32 v1, v5, v1, vcc
	v_mov_b32_e32 v5, 0x3b800000
	v_lshlrev_b32_e32 v1, 20, v1
	v_lshl_add_u32 v5, v6, 23, v5
	v_or3_b32 v4, v4, v5, v1
.LBB257_605:
	s_or_b64 exec, exec, s[6:7]
.LBB257_606:
	s_mov_b64 s[2:3], -1
.LBB257_607:
	s_mov_b64 s[6:7], 0
.LBB257_608:
	s_and_b64 vcc, exec, s[6:7]
	s_cbranch_vccz .LBB257_643
; %bb.609:
	s_cmp_gt_i32 s10, 22
	s_cbranch_scc0 .LBB257_619
; %bb.610:
	s_cmp_lt_i32 s10, 24
	s_cbranch_scc1 .LBB257_622
; %bb.611:
	s_cmp_gt_i32 s10, 24
	s_cbranch_scc0 .LBB257_623
; %bb.612:
	global_load_ubyte v1, v[2:3], off
	s_movk_i32 s2, 0x7f
	s_waitcnt vmcnt(0)
	v_cmp_lt_i16_e32 vcc, s2, v1
	s_mov_b64 s[2:3], 0
	s_and_saveexec_b64 s[6:7], vcc
	s_xor_b64 s[6:7], exec, s[6:7]
	s_cbranch_execz .LBB257_635
; %bb.613:
	s_movk_i32 s2, 0x80
	v_cmp_eq_u16_e32 vcc, s2, v1
	s_mov_b64 s[2:3], -1
	s_and_saveexec_b64 s[8:9], vcc
; %bb.614:
	s_xor_b64 s[2:3], exec, -1
; %bb.615:
	s_or_b64 exec, exec, s[8:9]
	s_and_b64 s[2:3], s[2:3], exec
	s_or_saveexec_b64 s[6:7], s[6:7]
	v_mov_b32_e32 v4, 0x7f800001
	s_xor_b64 exec, exec, s[6:7]
	s_cbranch_execnz .LBB257_636
.LBB257_616:
	s_or_b64 exec, exec, s[6:7]
	s_and_saveexec_b64 s[6:7], s[2:3]
	s_cbranch_execz .LBB257_618
.LBB257_617:
	v_lshlrev_b32_e32 v4, 24, v1
	v_and_b32_e32 v1, 0xffff, v1
	v_and_b32_e32 v5, 3, v1
	v_ffbh_u32_e32 v7, v5
	v_min_u32_e32 v7, 32, v7
	v_subrev_u32_e32 v9, 29, v7
	v_bfe_u32 v6, v1, 2, 5
	v_lshlrev_b32_e32 v1, v9, v1
	v_sub_u32_e32 v7, 30, v7
	v_and_b32_e32 v1, 3, v1
	v_cmp_eq_u32_e32 vcc, 0, v6
	v_and_b32_e32 v4, 0x80000000, v4
	s_nop 0
	v_cndmask_b32_e32 v6, v6, v7, vcc
	v_cndmask_b32_e32 v1, v5, v1, vcc
	v_mov_b32_e32 v5, 0x37800000
	v_lshlrev_b32_e32 v1, 21, v1
	v_lshl_add_u32 v5, v6, 23, v5
	v_or3_b32 v4, v4, v5, v1
.LBB257_618:
	s_or_b64 exec, exec, s[6:7]
	s_mov_b64 s[2:3], 0
	s_branch .LBB257_624
.LBB257_619:
	s_mov_b64 s[6:7], -1
                                        ; implicit-def: $vgpr4
	s_branch .LBB257_630
.LBB257_620:
	s_or_saveexec_b64 s[6:7], s[6:7]
	v_mov_b32_e32 v4, 0x7f800001
	s_xor_b64 exec, exec, s[6:7]
	s_cbranch_execz .LBB257_603
.LBB257_621:
	v_cmp_ne_u16_e32 vcc, 0, v1
	s_andn2_b64 s[2:3], s[2:3], exec
	s_and_b64 s[8:9], vcc, exec
	v_mov_b32_e32 v4, 0
	s_or_b64 s[2:3], s[2:3], s[8:9]
	s_or_b64 exec, exec, s[6:7]
	s_and_saveexec_b64 s[6:7], s[2:3]
	s_cbranch_execnz .LBB257_604
	s_branch .LBB257_605
.LBB257_622:
	s_mov_b64 s[2:3], -1
                                        ; implicit-def: $vgpr4
	s_branch .LBB257_627
.LBB257_623:
	s_mov_b64 s[2:3], -1
                                        ; implicit-def: $vgpr4
.LBB257_624:
	s_and_b64 vcc, exec, s[2:3]
	s_cbranch_vccz .LBB257_626
; %bb.625:
	global_load_ubyte v1, v[2:3], off
	s_mov_b32 s2, 0x7f800000
	s_waitcnt vmcnt(0)
	v_lshlrev_b32_e32 v1, 24, v1
	v_and_b32_e32 v4, 0x7f000000, v1
	v_ffbh_u32_e32 v5, v4
	v_min_u32_e32 v5, 32, v5
	v_sub_u32_e64 v5, v5, 4 clamp
	v_lshlrev_b32_e32 v7, v5, v4
	v_lshlrev_b32_e32 v5, 23, v5
	v_lshrrev_b32_e32 v7, 4, v7
	v_add_u32_e32 v6, 0x1000000, v4
	v_sub_u32_e32 v5, v7, v5
	v_ashrrev_i32_e32 v6, 8, v6
	v_add_u32_e32 v5, 0x3c000000, v5
	v_and_or_b32 v5, v6, s2, v5
	v_cmp_ne_u32_e32 vcc, 0, v4
	s_brev_b32 s2, 1
	s_nop 0
	v_cndmask_b32_e32 v4, 0, v5, vcc
	v_and_or_b32 v4, v1, s2, v4
.LBB257_626:
	s_mov_b64 s[2:3], 0
.LBB257_627:
	s_andn2_b64 vcc, exec, s[2:3]
	s_cbranch_vccnz .LBB257_629
; %bb.628:
	global_load_ubyte v1, v[2:3], off
	s_movk_i32 s2, 0x7f00
	s_brev_b32 s3, 16
	s_waitcnt vmcnt(0)
	v_lshlrev_b16_e32 v4, 8, v1
	v_lshlrev_b32_e32 v1, 25, v1
	v_lshrrev_b32_e32 v5, 4, v1
	v_and_or_b32 v6, v4, s2, 0.5
	v_or_b32_e32 v5, 0x70000000, v5
	v_add_f32_e32 v6, -0.5, v6
	v_mul_f32_e32 v5, 0x7800000, v5
	v_cmp_gt_u32_e32 vcc, s3, v1
	v_bfe_i32 v4, v4, 0, 16
	s_brev_b32 s2, 1
	v_cndmask_b32_e32 v1, v5, v6, vcc
	v_and_or_b32 v4, v4, s2, v1
.LBB257_629:
	s_mov_b64 s[6:7], 0
	s_mov_b64 s[2:3], -1
.LBB257_630:
	s_andn2_b64 vcc, exec, s[6:7]
	s_cbranch_vccnz .LBB257_643
; %bb.631:
	s_cmp_gt_i32 s10, 14
	s_cbranch_scc0 .LBB257_634
; %bb.632:
	s_cmp_eq_u32 s10, 15
	s_cbranch_scc0 .LBB257_637
; %bb.633:
	global_load_ushort v1, v[2:3], off
	s_mov_b64 s[2:3], -1
	s_mov_b64 s[4:5], 0
	s_waitcnt vmcnt(0)
	v_lshlrev_b32_e32 v4, 16, v1
	s_branch .LBB257_638
.LBB257_634:
	s_mov_b64 s[6:7], -1
                                        ; implicit-def: $vgpr4
	s_branch .LBB257_639
.LBB257_635:
	s_or_saveexec_b64 s[6:7], s[6:7]
	v_mov_b32_e32 v4, 0x7f800001
	s_xor_b64 exec, exec, s[6:7]
	s_cbranch_execz .LBB257_616
.LBB257_636:
	v_cmp_ne_u16_e32 vcc, 0, v1
	s_andn2_b64 s[2:3], s[2:3], exec
	s_and_b64 s[8:9], vcc, exec
	v_mov_b32_e32 v4, 0
	s_or_b64 s[2:3], s[2:3], s[8:9]
	s_or_b64 exec, exec, s[6:7]
	s_and_saveexec_b64 s[6:7], s[2:3]
	s_cbranch_execnz .LBB257_617
	s_branch .LBB257_618
.LBB257_637:
	s_mov_b64 s[4:5], -1
                                        ; implicit-def: $vgpr4
.LBB257_638:
	s_mov_b64 s[6:7], 0
.LBB257_639:
	s_and_b64 vcc, exec, s[6:7]
	s_cbranch_vccz .LBB257_643
; %bb.640:
	s_cmp_eq_u32 s10, 11
	s_cbranch_scc0 .LBB257_642
; %bb.641:
	global_load_ubyte v1, v[2:3], off
	s_mov_b64 s[2:3], -1
	s_mov_b64 s[4:5], 0
	s_waitcnt vmcnt(0)
	v_cmp_ne_u16_e32 vcc, 0, v1
	s_nop 1
	v_cndmask_b32_e64 v4, 0, 1.0, vcc
	s_branch .LBB257_643
.LBB257_642:
	s_mov_b64 s[4:5], -1
                                        ; implicit-def: $vgpr4
.LBB257_643:
	s_mov_b64 s[6:7], 0
.LBB257_644:
	s_and_b64 vcc, exec, s[6:7]
	s_cbranch_vccz .LBB257_693
; %bb.645:
	s_cmp_lt_i32 s10, 5
	s_cbranch_scc1 .LBB257_650
; %bb.646:
	s_cmp_lt_i32 s10, 8
	s_cbranch_scc1 .LBB257_651
	;; [unrolled: 3-line block ×3, first 2 shown]
; %bb.648:
	s_cmp_gt_i32 s10, 9
	s_cbranch_scc0 .LBB257_653
; %bb.649:
	global_load_dwordx2 v[4:5], v[2:3], off
	s_mov_b64 s[2:3], 0
	s_waitcnt vmcnt(0)
	v_cvt_f32_f64_e32 v4, v[4:5]
	s_branch .LBB257_654
.LBB257_650:
	s_mov_b64 s[2:3], -1
                                        ; implicit-def: $vgpr4
	s_branch .LBB257_672
.LBB257_651:
	s_mov_b64 s[2:3], -1
                                        ; implicit-def: $vgpr4
	s_branch .LBB257_660
.LBB257_652:
	s_mov_b64 s[2:3], -1
                                        ; implicit-def: $vgpr4
	s_branch .LBB257_657
.LBB257_653:
	s_mov_b64 s[2:3], -1
                                        ; implicit-def: $vgpr4
.LBB257_654:
	s_andn2_b64 vcc, exec, s[2:3]
	s_cbranch_vccnz .LBB257_656
; %bb.655:
	global_load_dword v4, v[2:3], off
.LBB257_656:
	s_mov_b64 s[2:3], 0
.LBB257_657:
	s_andn2_b64 vcc, exec, s[2:3]
	s_cbranch_vccnz .LBB257_659
; %bb.658:
	global_load_dword v1, v[2:3], off
	s_waitcnt vmcnt(0)
	v_cvt_f32_f16_e32 v4, v1
.LBB257_659:
	s_mov_b64 s[2:3], 0
.LBB257_660:
	s_andn2_b64 vcc, exec, s[2:3]
	s_cbranch_vccnz .LBB257_671
; %bb.661:
	s_cmp_lt_i32 s10, 6
	s_cbranch_scc1 .LBB257_664
; %bb.662:
	s_cmp_gt_i32 s10, 6
	s_cbranch_scc0 .LBB257_665
; %bb.663:
	global_load_dwordx2 v[4:5], v[2:3], off
	s_mov_b64 s[2:3], 0
	s_waitcnt vmcnt(0)
	v_cvt_f32_f64_e32 v4, v[4:5]
	s_branch .LBB257_666
.LBB257_664:
	s_mov_b64 s[2:3], -1
                                        ; implicit-def: $vgpr4
	s_branch .LBB257_669
.LBB257_665:
	s_mov_b64 s[2:3], -1
                                        ; implicit-def: $vgpr4
.LBB257_666:
	s_andn2_b64 vcc, exec, s[2:3]
	s_cbranch_vccnz .LBB257_668
; %bb.667:
	global_load_dword v4, v[2:3], off
.LBB257_668:
	s_mov_b64 s[2:3], 0
.LBB257_669:
	s_andn2_b64 vcc, exec, s[2:3]
	s_cbranch_vccnz .LBB257_671
; %bb.670:
	global_load_ushort v1, v[2:3], off
	s_waitcnt vmcnt(0)
	v_cvt_f32_f16_e32 v4, v1
.LBB257_671:
	s_mov_b64 s[2:3], 0
.LBB257_672:
	s_andn2_b64 vcc, exec, s[2:3]
	s_cbranch_vccnz .LBB257_692
; %bb.673:
	s_cmp_lt_i32 s10, 2
	s_cbranch_scc1 .LBB257_677
; %bb.674:
	s_cmp_lt_i32 s10, 3
	s_cbranch_scc1 .LBB257_678
; %bb.675:
	s_cmp_gt_i32 s10, 3
	s_cbranch_scc0 .LBB257_679
; %bb.676:
	global_load_dwordx2 v[4:5], v[2:3], off
	s_mov_b64 s[2:3], 0
	s_waitcnt vmcnt(0)
	v_xor_b32_e32 v6, v4, v5
	v_ffbh_i32_e32 v1, v5
	v_ashrrev_i32_e32 v6, 31, v6
	v_add_u32_e32 v1, -1, v1
	v_add_u32_e32 v6, 32, v6
	v_min_u32_e32 v1, v1, v6
	v_lshlrev_b64 v[4:5], v1, v[4:5]
	v_min_u32_e32 v4, 1, v4
	v_or_b32_e32 v4, v5, v4
	v_cvt_f32_i32_e32 v4, v4
	v_sub_u32_e32 v1, 32, v1
	v_ldexp_f32 v4, v4, v1
	s_branch .LBB257_680
.LBB257_677:
	s_mov_b64 s[2:3], -1
                                        ; implicit-def: $vgpr4
	s_branch .LBB257_686
.LBB257_678:
	s_mov_b64 s[2:3], -1
                                        ; implicit-def: $vgpr4
	s_branch .LBB257_683
.LBB257_679:
	s_mov_b64 s[2:3], -1
                                        ; implicit-def: $vgpr4
.LBB257_680:
	s_andn2_b64 vcc, exec, s[2:3]
	s_cbranch_vccnz .LBB257_682
; %bb.681:
	global_load_dword v1, v[2:3], off
	s_waitcnt vmcnt(0)
	v_cvt_f32_i32_e32 v4, v1
.LBB257_682:
	s_mov_b64 s[2:3], 0
.LBB257_683:
	s_andn2_b64 vcc, exec, s[2:3]
	s_cbranch_vccnz .LBB257_685
; %bb.684:
	global_load_sshort v1, v[2:3], off
	s_waitcnt vmcnt(0)
	v_cvt_f32_i32_e32 v4, v1
.LBB257_685:
	s_mov_b64 s[2:3], 0
.LBB257_686:
	s_andn2_b64 vcc, exec, s[2:3]
	s_cbranch_vccnz .LBB257_692
; %bb.687:
	s_cmp_gt_i32 s10, 0
	s_cbranch_scc0 .LBB257_689
; %bb.688:
	global_load_sbyte v1, v[2:3], off
	s_mov_b64 s[2:3], 0
	s_waitcnt vmcnt(0)
	v_cvt_f32_i32_e32 v4, v1
	s_branch .LBB257_690
.LBB257_689:
	s_mov_b64 s[2:3], -1
                                        ; implicit-def: $vgpr4
.LBB257_690:
	s_andn2_b64 vcc, exec, s[2:3]
	s_cbranch_vccnz .LBB257_692
; %bb.691:
	global_load_ubyte v1, v[2:3], off
	s_waitcnt vmcnt(0)
	v_cvt_f32_ubyte0_e32 v4, v1
.LBB257_692:
	s_mov_b64 s[2:3], -1
.LBB257_693:
	s_andn2_b64 vcc, exec, s[2:3]
	s_cbranch_vccnz .LBB257_701
; %bb.694:
	s_mov_b32 s2, 0xf800000
	s_waitcnt vmcnt(0)
	v_mul_f32_e32 v1, 0x4f800000, v4
	v_cmp_gt_f32_e32 vcc, s2, v4
	s_and_b32 s12, s73, 0xff
	s_cmp_lt_i32 s12, 11
	v_cndmask_b32_e32 v1, v4, v1, vcc
	v_sqrt_f32_e32 v2, v1
	s_nop 0
	v_add_u32_e32 v3, -1, v2
	v_fma_f32 v5, -v3, v2, v1
	v_cmp_ge_f32_e64 s[2:3], 0, v5
	v_add_u32_e32 v5, 1, v2
	s_nop 0
	v_cndmask_b32_e64 v3, v2, v3, s[2:3]
	v_fma_f32 v2, -v5, v2, v1
	v_cmp_lt_f32_e64 s[2:3], 0, v2
	s_nop 1
	v_cndmask_b32_e64 v2, v3, v5, s[2:3]
	v_mul_f32_e32 v3, 0x37800000, v2
	v_cndmask_b32_e32 v2, v2, v3, vcc
	v_mov_b32_e32 v3, 0x260
	v_cmp_class_f32_e32 vcc, v1, v3
	s_nop 1
	v_cndmask_b32_e32 v2, v2, v1, vcc
	v_mov_b32_e32 v1, 0
	v_lshl_add_u64 v[0:1], s[20:21], 0, v[0:1]
	s_cbranch_scc1 .LBB257_702
; %bb.695:
	s_and_b32 s13, 0xffff, s12
	s_cmp_gt_i32 s13, 25
	s_cbranch_scc0 .LBB257_703
; %bb.696:
	s_cmp_gt_i32 s13, 28
	s_cbranch_scc0 .LBB257_704
; %bb.697:
	;; [unrolled: 3-line block ×4, first 2 shown]
	s_mov_b64 s[8:9], 0
	s_mov_b64 s[2:3], -1
	s_cmp_eq_u32 s13, 46
	s_mov_b64 s[6:7], 0
	s_cbranch_scc0 .LBB257_707
; %bb.700:
	v_bfe_u32 v3, v2, 16, 1
	s_movk_i32 s2, 0x7fff
	v_add3_u32 v3, v2, v3, s2
	v_cmp_le_f32_e32 vcc, 0, v4
	v_mov_b32_e32 v5, 0x7fc0
	s_mov_b64 s[6:7], -1
	v_cndmask_b32_sdwa v3, v5, v3, vcc dst_sel:DWORD dst_unused:UNUSED_PAD src0_sel:DWORD src1_sel:WORD_1
	global_store_dword v[0:1], v3, off
	s_mov_b64 s[2:3], 0
	s_branch .LBB257_707
.LBB257_701:
	s_mov_b64 s[6:7], 0
	s_mov_b64 s[2:3], s[62:63]
	s_branch .LBB257_818
.LBB257_702:
	s_mov_b64 s[8:9], -1
	s_mov_b64 s[6:7], 0
	s_mov_b64 s[2:3], s[62:63]
	s_branch .LBB257_776
.LBB257_703:
	s_mov_b64 s[8:9], -1
	s_mov_b64 s[6:7], 0
	s_mov_b64 s[2:3], s[62:63]
	s_branch .LBB257_734
.LBB257_704:
	s_mov_b64 s[8:9], -1
	s_mov_b64 s[6:7], 0
	s_mov_b64 s[2:3], s[62:63]
	s_branch .LBB257_717
.LBB257_705:
	s_mov_b64 s[8:9], -1
	s_mov_b64 s[6:7], 0
	s_mov_b64 s[2:3], s[62:63]
	s_branch .LBB257_713
.LBB257_706:
	s_mov_b64 s[8:9], -1
	s_mov_b64 s[6:7], 0
	s_mov_b64 s[2:3], s[62:63]
.LBB257_707:
	s_and_b64 vcc, exec, s[8:9]
	s_cbranch_vccz .LBB257_712
; %bb.708:
	s_cmp_eq_u32 s13, 44
	s_mov_b64 s[2:3], -1
	s_cbranch_scc0 .LBB257_712
; %bb.709:
	v_bfe_u32 v3, v2, 23, 8
	s_movk_i32 s2, 0xff
	v_cmp_ne_u32_e32 vcc, s2, v3
	v_mov_b32_e32 v5, 0xff
	s_and_saveexec_b64 s[6:7], vcc
; %bb.710:
	s_mov_b32 s2, 0x3fffff
	v_and_b32_e32 v6, 0x400000, v2
	v_and_or_b32 v3, v2, s2, v3
	v_cmp_ne_u32_e32 vcc, 0, v6
	v_cmp_ne_u32_e64 s[2:3], 0, v3
	s_and_b64 s[2:3], vcc, s[2:3]
	v_lshrrev_b32_e32 v5, 23, v2
	v_cndmask_b32_e64 v3, 0, 1, s[2:3]
	v_add_u32_e32 v5, v5, v3
; %bb.711:
	s_or_b64 exec, exec, s[6:7]
	s_mov_b64 s[6:7], -1
	s_mov_b64 s[2:3], 0
	global_store_byte v[0:1], v5, off
.LBB257_712:
	s_mov_b64 s[8:9], 0
.LBB257_713:
	s_and_b64 vcc, exec, s[8:9]
	s_cbranch_vccz .LBB257_716
; %bb.714:
	s_cmp_eq_u32 s13, 29
	s_mov_b64 s[2:3], -1
	s_cbranch_scc0 .LBB257_716
; %bb.715:
	v_trunc_f32_e32 v3, v2
	v_mul_f32_e32 v5, 0x2f800000, v3
	v_floor_f32_e32 v5, v5
	v_fmamk_f32 v3, v5, 0xcf800000, v3
	v_cvt_u32_f32_e32 v7, v5
	v_cvt_u32_f32_e32 v6, v3
	s_mov_b64 s[6:7], -1
	s_mov_b64 s[2:3], 0
	s_mov_b64 s[8:9], 0
	global_store_dwordx2 v[0:1], v[6:7], off
	s_branch .LBB257_717
.LBB257_716:
	s_mov_b64 s[8:9], 0
.LBB257_717:
	s_and_b64 vcc, exec, s[8:9]
	s_cbranch_vccz .LBB257_733
; %bb.718:
	s_cmp_lt_i32 s13, 27
	s_mov_b64 s[6:7], -1
	s_cbranch_scc1 .LBB257_724
; %bb.719:
	v_cvt_u32_f32_e32 v3, v2
	s_cmp_gt_i32 s13, 27
	s_cbranch_scc0 .LBB257_721
; %bb.720:
	s_mov_b64 s[6:7], 0
	global_store_dword v[0:1], v3, off
.LBB257_721:
	s_andn2_b64 vcc, exec, s[6:7]
	s_cbranch_vccnz .LBB257_723
; %bb.722:
	global_store_short v[0:1], v3, off
.LBB257_723:
	s_mov_b64 s[6:7], 0
.LBB257_724:
	s_andn2_b64 vcc, exec, s[6:7]
	s_cbranch_vccnz .LBB257_732
; %bb.725:
	v_and_b32_e32 v3, 0x7fffffff, v2
	s_mov_b32 s6, 0x43800000
	v_cmp_gt_u32_e32 vcc, s6, v3
	v_mov_b32_e32 v5, 0x80
	s_and_saveexec_b64 s[6:7], vcc
	s_cbranch_execz .LBB257_731
; %bb.726:
	s_mov_b32 s8, 0x3bffffff
	v_cmp_lt_u32_e32 vcc, s8, v3
	s_mov_b64 s[8:9], 0
                                        ; implicit-def: $vgpr3
	s_and_saveexec_b64 s[10:11], vcc
	s_xor_b64 s[10:11], exec, s[10:11]
	s_cbranch_execz .LBB257_849
; %bb.727:
	v_bfe_u32 v3, v2, 20, 1
	s_mov_b32 s14, 0x487ffff
	v_add3_u32 v3, v2, v3, s14
	s_mov_b64 s[8:9], exec
	v_lshrrev_b32_e32 v3, 20, v3
	s_andn2_saveexec_b64 s[10:11], s[10:11]
	s_cbranch_execnz .LBB257_850
.LBB257_728:
	s_or_b64 exec, exec, s[10:11]
	v_mov_b32_e32 v5, 0
	s_and_saveexec_b64 s[10:11], s[8:9]
.LBB257_729:
	v_lshrrev_b32_e32 v5, 24, v2
	s_movk_i32 s8, 0x80
	v_and_or_b32 v5, v5, s8, v3
.LBB257_730:
	s_or_b64 exec, exec, s[10:11]
.LBB257_731:
	s_or_b64 exec, exec, s[6:7]
	global_store_byte v[0:1], v5, off
.LBB257_732:
	s_mov_b64 s[6:7], -1
.LBB257_733:
	s_mov_b64 s[8:9], 0
.LBB257_734:
	s_and_b64 vcc, exec, s[8:9]
	s_cbranch_vccz .LBB257_775
; %bb.735:
	s_cmp_gt_i32 s13, 22
	s_mov_b64 s[8:9], -1
	s_cbranch_scc0 .LBB257_767
; %bb.736:
	s_cmp_lt_i32 s13, 24
	s_mov_b64 s[6:7], -1
	s_cbranch_scc1 .LBB257_756
; %bb.737:
	s_cmp_gt_i32 s13, 24
	s_cbranch_scc0 .LBB257_745
; %bb.738:
	v_and_b32_e32 v3, 0x7fffffff, v2
	s_mov_b32 s6, 0x47800000
	v_cmp_gt_u32_e32 vcc, s6, v3
	v_mov_b32_e32 v5, 0x80
	s_and_saveexec_b64 s[6:7], vcc
	s_cbranch_execz .LBB257_744
; %bb.739:
	s_mov_b32 s8, 0x37ffffff
	v_cmp_lt_u32_e32 vcc, s8, v3
	s_mov_b64 s[8:9], 0
                                        ; implicit-def: $vgpr3
	s_and_saveexec_b64 s[10:11], vcc
	s_xor_b64 s[10:11], exec, s[10:11]
	s_cbranch_execz .LBB257_852
; %bb.740:
	v_bfe_u32 v3, v2, 21, 1
	s_mov_b32 s14, 0x88fffff
	v_add3_u32 v3, v2, v3, s14
	s_mov_b64 s[8:9], exec
	v_lshrrev_b32_e32 v3, 21, v3
	s_andn2_saveexec_b64 s[10:11], s[10:11]
	s_cbranch_execnz .LBB257_853
.LBB257_741:
	s_or_b64 exec, exec, s[10:11]
	v_mov_b32_e32 v5, 0
	s_and_saveexec_b64 s[10:11], s[8:9]
.LBB257_742:
	v_lshrrev_b32_e32 v5, 24, v2
	s_movk_i32 s8, 0x80
	v_and_or_b32 v5, v5, s8, v3
.LBB257_743:
	s_or_b64 exec, exec, s[10:11]
.LBB257_744:
	s_or_b64 exec, exec, s[6:7]
	s_mov_b64 s[6:7], 0
	global_store_byte v[0:1], v5, off
.LBB257_745:
	s_and_b64 vcc, exec, s[6:7]
	s_cbranch_vccz .LBB257_755
; %bb.746:
	v_and_b32_e32 v5, 0x7fffffff, v2
	s_mov_b32 s6, 0x43f00000
	v_cmp_gt_u32_e32 vcc, s6, v5
                                        ; implicit-def: $vgpr3
	s_and_saveexec_b64 s[6:7], vcc
	s_xor_b64 s[6:7], exec, s[6:7]
	s_cbranch_execz .LBB257_752
; %bb.747:
	s_mov_b32 s8, 0x3c7fffff
	v_cmp_lt_u32_e32 vcc, s8, v5
                                        ; implicit-def: $vgpr3
	s_and_saveexec_b64 s[8:9], vcc
	s_xor_b64 s[8:9], exec, s[8:9]
; %bb.748:
	v_bfe_u32 v3, v2, 20, 1
	s_mov_b32 s10, 0x407ffff
	v_add3_u32 v3, v2, v3, s10
	v_lshrrev_b32_e32 v5, 20, v3
	v_and_b32_e32 v3, 0xff00000, v3
	s_mov_b32 s10, 0x7f00000
	v_mov_b32_e32 v6, 0x7e
	v_cmp_ne_u32_e32 vcc, s10, v3
	s_nop 1
	v_cndmask_b32_e32 v3, v6, v5, vcc
; %bb.749:
	s_andn2_saveexec_b64 s[8:9], s[8:9]
; %bb.750:
	s_mov_b32 s10, 0x46800000
	v_add_f32_e64 v3, |v2|, s10
; %bb.751:
	s_or_b64 exec, exec, s[8:9]
                                        ; implicit-def: $vgpr5
.LBB257_752:
	s_andn2_saveexec_b64 s[6:7], s[6:7]
; %bb.753:
	s_mov_b32 s8, 0x7f800000
	v_mov_b32_e32 v3, 0x7e
	v_mov_b32_e32 v6, 0x7f
	v_cmp_lt_u32_e32 vcc, s8, v5
	s_nop 1
	v_cndmask_b32_e32 v3, v3, v6, vcc
; %bb.754:
	s_or_b64 exec, exec, s[6:7]
	v_lshrrev_b32_e32 v5, 24, v2
	s_movk_i32 s6, 0x80
	v_and_or_b32 v3, v5, s6, v3
	global_store_byte v[0:1], v3, off
.LBB257_755:
	s_mov_b64 s[6:7], 0
.LBB257_756:
	s_andn2_b64 vcc, exec, s[6:7]
	s_cbranch_vccnz .LBB257_766
; %bb.757:
	v_and_b32_e32 v5, 0x7fffffff, v2
	s_mov_b32 s6, 0x47800000
	v_cmp_gt_u32_e32 vcc, s6, v5
                                        ; implicit-def: $vgpr3
	s_and_saveexec_b64 s[6:7], vcc
	s_xor_b64 s[6:7], exec, s[6:7]
	s_cbranch_execz .LBB257_763
; %bb.758:
	s_mov_b32 s8, 0x387fffff
	v_cmp_lt_u32_e32 vcc, s8, v5
                                        ; implicit-def: $vgpr3
	s_and_saveexec_b64 s[8:9], vcc
	s_xor_b64 s[8:9], exec, s[8:9]
; %bb.759:
	v_bfe_u32 v3, v2, 21, 1
	s_mov_b32 s10, 0x80fffff
	v_add3_u32 v3, v2, v3, s10
	v_lshrrev_b32_e32 v3, 21, v3
; %bb.760:
	s_andn2_saveexec_b64 s[8:9], s[8:9]
; %bb.761:
	s_mov_b32 s10, 0x43000000
	v_add_f32_e64 v3, |v2|, s10
; %bb.762:
	s_or_b64 exec, exec, s[8:9]
                                        ; implicit-def: $vgpr5
.LBB257_763:
	s_andn2_saveexec_b64 s[6:7], s[6:7]
; %bb.764:
	s_mov_b32 s8, 0x7f800000
	v_mov_b32_e32 v3, 0x7c
	v_mov_b32_e32 v6, 0x7f
	v_cmp_lt_u32_e32 vcc, s8, v5
	s_nop 1
	v_cndmask_b32_e32 v3, v3, v6, vcc
; %bb.765:
	s_or_b64 exec, exec, s[6:7]
	v_lshrrev_b32_e32 v5, 24, v2
	s_movk_i32 s6, 0x80
	v_and_or_b32 v3, v5, s6, v3
	global_store_byte v[0:1], v3, off
.LBB257_766:
	s_mov_b64 s[8:9], 0
	s_mov_b64 s[6:7], -1
.LBB257_767:
	s_andn2_b64 vcc, exec, s[8:9]
	s_cbranch_vccnz .LBB257_775
; %bb.768:
	s_cmp_gt_i32 s13, 14
	s_mov_b64 s[8:9], -1
	s_cbranch_scc0 .LBB257_772
; %bb.769:
	s_cmp_eq_u32 s13, 15
	s_mov_b64 s[2:3], -1
	s_cbranch_scc0 .LBB257_771
; %bb.770:
	v_bfe_u32 v3, v2, 16, 1
	s_movk_i32 s2, 0x7fff
	v_add3_u32 v3, v2, v3, s2
	v_cmp_le_f32_e32 vcc, 0, v4
	v_mov_b32_e32 v5, 0x7fc0
	s_mov_b64 s[6:7], -1
	v_cndmask_b32_sdwa v3, v5, v3, vcc dst_sel:DWORD dst_unused:UNUSED_PAD src0_sel:DWORD src1_sel:WORD_1
	global_store_short v[0:1], v3, off
	s_mov_b64 s[2:3], 0
.LBB257_771:
	s_mov_b64 s[8:9], 0
.LBB257_772:
	s_and_b64 vcc, exec, s[8:9]
	s_cbranch_vccz .LBB257_775
; %bb.773:
	s_cmp_eq_u32 s13, 11
	s_mov_b64 s[2:3], -1
	s_cbranch_scc0 .LBB257_775
; %bb.774:
	v_cmp_neq_f32_e32 vcc, 0, v4
	s_mov_b64 s[6:7], -1
	s_mov_b64 s[2:3], 0
	v_cndmask_b32_e64 v3, 0, 1, vcc
	global_store_byte v[0:1], v3, off
.LBB257_775:
	s_mov_b64 s[8:9], 0
.LBB257_776:
	s_and_b64 vcc, exec, s[8:9]
	s_cbranch_vccz .LBB257_815
; %bb.777:
	s_and_b32 s8, 0xffff, s12
	s_cmp_lt_i32 s8, 5
	s_mov_b64 s[6:7], -1
	s_cbranch_scc1 .LBB257_798
; %bb.778:
	s_cmp_lt_i32 s8, 8
	s_cbranch_scc1 .LBB257_788
; %bb.779:
	s_cmp_lt_i32 s8, 9
	s_cbranch_scc1 .LBB257_785
; %bb.780:
	s_cmp_gt_i32 s8, 9
	s_cbranch_scc0 .LBB257_782
; %bb.781:
	v_mov_b32_e32 v6, 0
	v_cvt_f64_f32_e32 v[4:5], v2
	v_mov_b32_e32 v7, v6
	s_mov_b64 s[6:7], 0
	global_store_dwordx4 v[0:1], v[4:7], off
.LBB257_782:
	s_andn2_b64 vcc, exec, s[6:7]
	s_cbranch_vccnz .LBB257_784
; %bb.783:
	v_mov_b32_e32 v3, 0
	global_store_dwordx2 v[0:1], v[2:3], off
.LBB257_784:
	s_mov_b64 s[6:7], 0
.LBB257_785:
	s_andn2_b64 vcc, exec, s[6:7]
	s_cbranch_vccnz .LBB257_787
; %bb.786:
	v_cvt_f16_f32_e32 v3, v2
	global_store_dword v[0:1], v3, off
.LBB257_787:
	s_mov_b64 s[6:7], 0
.LBB257_788:
	s_andn2_b64 vcc, exec, s[6:7]
	s_cbranch_vccnz .LBB257_797
; %bb.789:
	s_cmp_lt_i32 s8, 6
	s_mov_b64 s[6:7], -1
	s_cbranch_scc1 .LBB257_795
; %bb.790:
	s_cmp_gt_i32 s8, 6
	s_cbranch_scc0 .LBB257_792
; %bb.791:
	v_cvt_f64_f32_e32 v[4:5], v2
	s_mov_b64 s[6:7], 0
	global_store_dwordx2 v[0:1], v[4:5], off
.LBB257_792:
	s_andn2_b64 vcc, exec, s[6:7]
	s_cbranch_vccnz .LBB257_794
; %bb.793:
	global_store_dword v[0:1], v2, off
.LBB257_794:
	s_mov_b64 s[6:7], 0
.LBB257_795:
	s_andn2_b64 vcc, exec, s[6:7]
	s_cbranch_vccnz .LBB257_797
; %bb.796:
	v_cvt_f16_f32_e32 v3, v2
	global_store_short v[0:1], v3, off
.LBB257_797:
	s_mov_b64 s[6:7], 0
.LBB257_798:
	s_andn2_b64 vcc, exec, s[6:7]
	s_cbranch_vccnz .LBB257_814
; %bb.799:
	s_cmp_lt_i32 s8, 2
	s_mov_b64 s[6:7], -1
	s_cbranch_scc1 .LBB257_809
; %bb.800:
	s_cmp_lt_i32 s8, 3
	s_cbranch_scc1 .LBB257_806
; %bb.801:
	s_cmp_gt_i32 s8, 3
	s_cbranch_scc0 .LBB257_803
; %bb.802:
	v_trunc_f32_e32 v3, v2
	s_mov_b32 s6, 0x2f800000
	v_mul_f32_e64 v4, |v3|, s6
	v_floor_f32_e32 v4, v4
	s_mov_b32 s6, 0xcf800000
	v_cvt_u32_f32_e32 v5, v4
	v_fma_f32 v4, v4, s6, |v3|
	v_cvt_u32_f32_e32 v4, v4
	v_ashrrev_i32_e32 v3, 31, v3
	v_xor_b32_e32 v5, v5, v3
	s_mov_b64 s[6:7], 0
	v_xor_b32_e32 v4, v4, v3
	v_sub_co_u32_e32 v4, vcc, v4, v3
	s_nop 1
	v_subb_co_u32_e32 v5, vcc, v5, v3, vcc
	global_store_dwordx2 v[0:1], v[4:5], off
.LBB257_803:
	s_andn2_b64 vcc, exec, s[6:7]
	s_cbranch_vccnz .LBB257_805
; %bb.804:
	v_cvt_i32_f32_e32 v3, v2
	global_store_dword v[0:1], v3, off
.LBB257_805:
	s_mov_b64 s[6:7], 0
.LBB257_806:
	s_andn2_b64 vcc, exec, s[6:7]
	s_cbranch_vccnz .LBB257_808
; %bb.807:
	v_cvt_i32_f32_e32 v3, v2
	global_store_short v[0:1], v3, off
.LBB257_808:
	s_mov_b64 s[6:7], 0
.LBB257_809:
	s_andn2_b64 vcc, exec, s[6:7]
	s_cbranch_vccnz .LBB257_814
; %bb.810:
	s_cmp_gt_i32 s8, 0
	s_mov_b64 s[6:7], -1
	s_cbranch_scc0 .LBB257_812
; %bb.811:
	v_cvt_i32_f32_e32 v3, v2
	s_mov_b64 s[6:7], 0
	global_store_byte v[0:1], v3, off
.LBB257_812:
	s_andn2_b64 vcc, exec, s[6:7]
	s_cbranch_vccnz .LBB257_814
; %bb.813:
	v_trunc_f32_e32 v2, v2
	s_mov_b32 s6, 0x2f800000
	v_mul_f32_e64 v3, |v2|, s6
	v_floor_f32_e32 v3, v3
	s_mov_b32 s6, 0xcf800000
	v_fma_f32 v3, v3, s6, |v2|
	v_cvt_u32_f32_e32 v3, v3
	v_ashrrev_i32_e32 v2, 31, v2
	v_xor_b32_e32 v3, v3, v2
	v_sub_u32_e32 v2, v3, v2
	global_store_byte v[0:1], v2, off
.LBB257_814:
	s_mov_b64 s[6:7], -1
.LBB257_815:
	s_andn2_b64 vcc, exec, s[6:7]
	s_cbranch_vccnz .LBB257_817
; %bb.816:
	v_add_u32_e32 v8, 0x80, v8
	s_mov_b64 s[6:7], -1
	s_branch .LBB257_819
.LBB257_817:
	s_mov_b64 s[6:7], 0
.LBB257_818:
                                        ; implicit-def: $vgpr8
.LBB257_819:
	s_andn2_b64 s[8:9], s[62:63], exec
	s_and_b64 s[2:3], s[2:3], exec
	s_or_b64 s[68:69], s[8:9], s[2:3]
	s_andn2_b64 s[2:3], s[60:61], exec
	s_and_b64 s[4:5], s[4:5], exec
	s_or_b64 s[2:3], s[2:3], s[4:5]
	s_orn2_b64 s[6:7], s[6:7], exec
.LBB257_820:
	s_or_b64 exec, exec, s[66:67]
	s_mov_b64 s[4:5], 0
	s_mov_b64 s[10:11], 0
	;; [unrolled: 1-line block ×3, first 2 shown]
                                        ; implicit-def: $vgpr2_vgpr3
                                        ; implicit-def: $vgpr0
                                        ; implicit-def: $vgpr5
	s_and_saveexec_b64 s[66:67], s[6:7]
	s_cbranch_execz .LBB257_920
; %bb.821:
	v_cmp_gt_i32_e32 vcc, s70, v8
	s_mov_b64 s[6:7], 0
	s_mov_b64 s[12:13], s[2:3]
                                        ; implicit-def: $vgpr2_vgpr3
                                        ; implicit-def: $vgpr0
                                        ; implicit-def: $vgpr5
	s_and_saveexec_b64 s[70:71], vcc
	s_cbranch_execz .LBB257_919
; %bb.822:
	s_andn2_b64 vcc, exec, s[42:43]
	s_cbranch_vccnz .LBB257_828
; %bb.823:
	s_andn2_b64 vcc, exec, s[52:53]
	s_cbranch_vccnz .LBB257_829
; %bb.824:
	s_add_i32 s76, s75, 1
	s_cmp_eq_u32 s72, 2
	s_cbranch_scc1 .LBB257_830
; %bb.825:
	s_and_b32 s75, s76, 28
	s_mov_b32 s77, 0
	v_mov_b32_e32 v0, 0
	v_mov_b32_e32 v2, 0
	s_mov_b64 s[52:53], s[34:35]
	s_waitcnt vmcnt(0)
	v_mov_b32_e32 v4, v8
.LBB257_826:                            ; =>This Inner Loop Header: Depth=1
	s_load_dwordx8 s[12:19], s[52:53], 0x4
	s_load_dwordx4 s[36:39], s[52:53], 0x24
	s_load_dwordx8 s[4:11], s[50:51], 0x0
	s_add_u32 s52, s52, 48
	s_addc_u32 s53, s53, 0
	s_waitcnt lgkmcnt(0)
	v_mul_hi_u32 v1, s13, v4
	v_add_u32_e32 v1, v4, v1
	v_lshrrev_b32_e32 v1, s14, v1
	v_mul_lo_u32 v3, v1, s12
	v_mul_hi_u32 v5, s16, v1
	v_sub_u32_e32 v3, v4, v3
	v_add_u32_e32 v4, v1, v5
	v_lshrrev_b32_e32 v4, s17, v4
	v_mul_lo_u32 v6, v4, s15
	v_mul_hi_u32 v7, s19, v4
	v_sub_u32_e32 v1, v1, v6
	v_add_u32_e32 v6, v4, v7
	v_mul_lo_u32 v5, v3, s5
	v_mul_lo_u32 v3, v3, s4
	;; [unrolled: 1-line block ×4, first 2 shown]
	v_lshrrev_b32_e32 v6, s36, v6
	v_add3_u32 v0, v3, v0, v1
	v_mul_hi_u32 v3, s38, v6
	v_add3_u32 v1, v5, v2, v7
	v_mul_lo_u32 v2, v6, s18
	v_add_u32_e32 v3, v6, v3
	v_sub_u32_e32 v2, v4, v2
	v_lshrrev_b32_e32 v4, s39, v3
	s_add_i32 s77, s77, 4
	v_mul_lo_u32 v3, v4, s37
	s_add_u32 s50, s50, 32
	v_sub_u32_e32 v3, v6, v3
	s_addc_u32 s51, s51, 0
	v_mul_lo_u32 v5, v2, s8
	v_mul_lo_u32 v2, v2, s9
	;; [unrolled: 1-line block ×4, first 2 shown]
	s_cmp_eq_u32 s75, s77
	v_add3_u32 v2, v2, v1, v3
	v_add3_u32 v0, v5, v0, v6
	s_cbranch_scc0 .LBB257_826
; %bb.827:
	v_mov_b32_e32 v1, v2
	s_branch .LBB257_831
.LBB257_828:
	s_mov_b64 s[4:5], -1
                                        ; implicit-def: $vgpr2
                                        ; implicit-def: $vgpr0
	s_branch .LBB257_835
.LBB257_829:
	v_mov_b32_e32 v2, 0
	v_mov_b32_e32 v0, 0
	s_branch .LBB257_834
.LBB257_830:
	v_mov_b32_e32 v0, 0
	s_mov_b32 s75, 0
	v_mov_b32_e32 v1, v0
                                        ; implicit-def: $vgpr2
	s_waitcnt vmcnt(0)
	v_mov_b32_e32 v4, v8
.LBB257_831:
	s_and_b32 s8, s76, 3
	s_cmp_eq_u32 s8, 0
	s_cbranch_scc1 .LBB257_834
; %bb.832:
	s_lshl_b32 s4, s75, 3
	s_add_u32 s4, s34, s4
	s_addc_u32 s5, s35, 0
	s_add_u32 s4, s4, 0xc4
	s_addc_u32 s5, s5, 0
	s_mul_i32 s6, s75, 12
	s_add_u32 s6, s34, s6
	s_addc_u32 s7, s35, 0
.LBB257_833:                            ; =>This Inner Loop Header: Depth=1
	s_load_dwordx2 s[10:11], s[6:7], 0x4
	s_load_dword s9, s[6:7], 0xc
	s_load_dwordx2 s[12:13], s[4:5], 0x0
	v_mov_b32_e32 v2, v1
	s_add_u32 s6, s6, 12
	s_waitcnt lgkmcnt(0)
	v_mul_hi_u32 v1, s11, v4
	v_add_u32_e32 v1, v4, v1
	v_lshrrev_b32_e32 v1, s9, v1
	s_addc_u32 s7, s7, 0
	v_mul_lo_u32 v3, v1, s10
	s_add_u32 s4, s4, 8
	v_sub_u32_e32 v5, v4, v3
	s_addc_u32 s5, s5, 0
	s_add_i32 s8, s8, -1
	v_mov_b32_e32 v4, v1
	v_mad_u64_u32 v[2:3], s[10:11], v5, s13, v[2:3]
	v_mad_u64_u32 v[0:1], s[10:11], v5, s12, v[0:1]
	s_cmp_lg_u32 s8, 0
	v_mov_b32_e32 v1, v2
	s_cbranch_scc1 .LBB257_833
.LBB257_834:
	s_mov_b64 s[4:5], 0
.LBB257_835:
	s_andn2_b64 vcc, exec, s[4:5]
	s_cbranch_vccnz .LBB257_838
; %bb.836:
	s_waitcnt lgkmcnt(0)
	v_mul_hi_u32 v0, s29, v8
	v_add_u32_e32 v0, v8, v0
	v_lshrrev_b32_e32 v1, s30, v0
	v_mul_lo_u32 v0, v1, s28
	v_sub_u32_e32 v0, v8, v0
	v_mul_lo_u32 v2, v0, s25
	s_andn2_b64 vcc, exec, s[48:49]
	v_mul_lo_u32 v0, v0, s24
	s_cbranch_vccnz .LBB257_838
; %bb.837:
	v_mul_hi_u32 v3, s46, v1
	v_add_u32_e32 v3, v1, v3
	v_lshrrev_b32_e32 v3, s47, v3
	v_mul_lo_u32 v3, v3, s31
	v_sub_u32_e32 v3, v1, v3
	v_mad_u64_u32 v[0:1], s[4:5], v3, s26, v[0:1]
	v_mad_u64_u32 v[2:3], s[4:5], v3, s27, v[2:3]
.LBB257_838:
	v_mov_b32_e32 v3, 0
	s_and_b32 s14, 0xffff, s74
	s_cmp_lt_i32 s14, 11
	s_waitcnt lgkmcnt(0)
	v_lshl_add_u64 v[2:3], s[22:23], 0, v[2:3]
	s_cbranch_scc1 .LBB257_845
; %bb.839:
	s_cmp_gt_i32 s14, 25
	s_mov_b64 s[6:7], 0
	s_cbranch_scc0 .LBB257_846
; %bb.840:
	s_cmp_gt_i32 s14, 28
	s_cbranch_scc0 .LBB257_847
; %bb.841:
	s_cmp_gt_i32 s14, 43
	;; [unrolled: 3-line block ×3, first 2 shown]
	s_cbranch_scc0 .LBB257_851
; %bb.843:
	s_cmp_eq_u32 s14, 46
	s_mov_b64 s[10:11], 0
	s_cbranch_scc0 .LBB257_854
; %bb.844:
	global_load_dword v1, v[2:3], off
	s_mov_b64 s[4:5], 0
	s_mov_b64 s[8:9], -1
	s_waitcnt vmcnt(0)
	v_lshlrev_b32_e32 v5, 16, v1
	s_branch .LBB257_855
.LBB257_845:
	s_mov_b64 s[10:11], -1
	s_mov_b64 s[8:9], 0
	s_mov_b64 s[6:7], 0
	;; [unrolled: 1-line block ×3, first 2 shown]
                                        ; implicit-def: $vgpr5
	s_branch .LBB257_918
.LBB257_846:
	s_mov_b64 s[10:11], -1
	s_mov_b64 s[8:9], 0
	s_mov_b64 s[4:5], s[2:3]
                                        ; implicit-def: $vgpr5
	s_branch .LBB257_884
.LBB257_847:
	s_mov_b64 s[10:11], -1
	s_mov_b64 s[8:9], 0
	s_mov_b64 s[4:5], s[2:3]
                                        ; implicit-def: $vgpr5
	s_branch .LBB257_865
.LBB257_848:
	s_mov_b64 s[10:11], -1
	s_mov_b64 s[8:9], 0
	s_mov_b64 s[4:5], s[2:3]
                                        ; implicit-def: $vgpr5
	s_branch .LBB257_860
.LBB257_849:
	s_andn2_saveexec_b64 s[10:11], s[10:11]
	s_cbranch_execz .LBB257_728
.LBB257_850:
	s_mov_b32 s14, 0x46000000
	v_add_f32_e64 v3, |v2|, s14
	v_and_b32_e32 v3, 0xff, v3
	v_cmp_ne_u32_e32 vcc, 0, v3
	s_andn2_b64 s[8:9], s[8:9], exec
	s_and_b64 s[14:15], vcc, exec
	s_or_b64 s[8:9], s[8:9], s[14:15]
	s_or_b64 exec, exec, s[10:11]
	v_mov_b32_e32 v5, 0
	s_and_saveexec_b64 s[10:11], s[8:9]
	s_cbranch_execnz .LBB257_729
	s_branch .LBB257_730
.LBB257_851:
	s_mov_b64 s[10:11], -1
	s_mov_b64 s[8:9], 0
	s_mov_b64 s[4:5], s[2:3]
                                        ; implicit-def: $vgpr5
	s_branch .LBB257_855
.LBB257_852:
	s_andn2_saveexec_b64 s[10:11], s[10:11]
	s_cbranch_execz .LBB257_741
.LBB257_853:
	s_mov_b32 s14, 0x42800000
	v_add_f32_e64 v3, |v2|, s14
	v_and_b32_e32 v3, 0xff, v3
	v_cmp_ne_u32_e32 vcc, 0, v3
	s_andn2_b64 s[8:9], s[8:9], exec
	s_and_b64 s[14:15], vcc, exec
	s_or_b64 s[8:9], s[8:9], s[14:15]
	s_or_b64 exec, exec, s[10:11]
	v_mov_b32_e32 v5, 0
	s_and_saveexec_b64 s[10:11], s[8:9]
	s_cbranch_execnz .LBB257_742
	s_branch .LBB257_743
.LBB257_854:
	s_mov_b64 s[4:5], -1
                                        ; implicit-def: $vgpr5
	s_mov_b64 s[8:9], 0
.LBB257_855:
	s_and_b64 vcc, exec, s[10:11]
	s_cbranch_vccz .LBB257_859
; %bb.856:
	s_cmp_eq_u32 s14, 44
	s_cbranch_scc0 .LBB257_858
; %bb.857:
	global_load_ubyte v1, v[2:3], off
	s_movk_i32 s8, 0xff
	s_waitcnt vmcnt(1)
	v_mov_b32_e32 v4, 0x7f800001
	v_mov_b32_e32 v5, 0x400000
	s_mov_b64 s[4:5], 0
	s_waitcnt vmcnt(0)
	v_lshlrev_b32_e32 v6, 23, v1
	v_cmp_ne_u32_e32 vcc, s8, v1
	s_mov_b64 s[8:9], -1
	s_nop 0
	v_cndmask_b32_e32 v4, v4, v6, vcc
	v_cmp_ne_u32_e32 vcc, 0, v1
	s_nop 1
	v_cndmask_b32_e32 v5, v5, v4, vcc
	s_branch .LBB257_859
.LBB257_858:
	s_mov_b64 s[4:5], -1
                                        ; implicit-def: $vgpr5
.LBB257_859:
	s_mov_b64 s[10:11], 0
.LBB257_860:
	s_and_b64 vcc, exec, s[10:11]
	s_cbranch_vccz .LBB257_864
; %bb.861:
	s_cmp_eq_u32 s14, 29
	s_cbranch_scc0 .LBB257_863
; %bb.862:
	global_load_dwordx2 v[4:5], v[2:3], off
	s_mov_b64 s[4:5], 0
	s_mov_b64 s[8:9], -1
	s_mov_b64 s[10:11], 0
	s_waitcnt vmcnt(0)
	v_ffbh_u32_e32 v1, v5
	v_min_u32_e32 v1, 32, v1
	v_lshlrev_b64 v[4:5], v1, v[4:5]
	v_min_u32_e32 v4, 1, v4
	v_or_b32_e32 v4, v5, v4
	v_cvt_f32_u32_e32 v4, v4
	v_sub_u32_e32 v1, 32, v1
	v_ldexp_f32 v5, v4, v1
	s_branch .LBB257_865
.LBB257_863:
	s_mov_b64 s[4:5], -1
                                        ; implicit-def: $vgpr5
.LBB257_864:
	s_mov_b64 s[10:11], 0
.LBB257_865:
	s_and_b64 vcc, exec, s[10:11]
	s_cbranch_vccz .LBB257_883
; %bb.866:
	s_cmp_lt_i32 s14, 27
	s_cbranch_scc1 .LBB257_869
; %bb.867:
	s_cmp_gt_i32 s14, 27
	s_cbranch_scc0 .LBB257_870
; %bb.868:
	global_load_dword v1, v[2:3], off
	s_mov_b64 s[8:9], 0
	s_waitcnt vmcnt(0)
	v_cvt_f32_u32_e32 v5, v1
	s_branch .LBB257_871
.LBB257_869:
	s_mov_b64 s[8:9], -1
                                        ; implicit-def: $vgpr5
	s_branch .LBB257_874
.LBB257_870:
	s_mov_b64 s[8:9], -1
                                        ; implicit-def: $vgpr5
.LBB257_871:
	s_andn2_b64 vcc, exec, s[8:9]
	s_cbranch_vccnz .LBB257_873
; %bb.872:
	global_load_ushort v1, v[2:3], off
	s_waitcnt vmcnt(0)
	v_cvt_f32_u32_e32 v5, v1
.LBB257_873:
	s_mov_b64 s[8:9], 0
.LBB257_874:
	s_andn2_b64 vcc, exec, s[8:9]
	s_cbranch_vccnz .LBB257_882
; %bb.875:
	global_load_ubyte v1, v[2:3], off
	s_movk_i32 s8, 0x7f
	s_waitcnt vmcnt(0)
	v_cmp_lt_i16_e32 vcc, s8, v1
	s_mov_b64 s[8:9], 0
	s_and_saveexec_b64 s[10:11], vcc
	s_xor_b64 s[10:11], exec, s[10:11]
	s_cbranch_execz .LBB257_896
; %bb.876:
	s_movk_i32 s8, 0x80
	v_cmp_eq_u16_e32 vcc, s8, v1
	s_mov_b64 s[8:9], -1
	s_and_saveexec_b64 s[12:13], vcc
; %bb.877:
	s_xor_b64 s[8:9], exec, -1
; %bb.878:
	s_or_b64 exec, exec, s[12:13]
	s_and_b64 s[8:9], s[8:9], exec
	s_or_saveexec_b64 s[10:11], s[10:11]
	v_mov_b32_e32 v5, 0x7f800001
	s_xor_b64 exec, exec, s[10:11]
	s_cbranch_execnz .LBB257_897
.LBB257_879:
	s_or_b64 exec, exec, s[10:11]
	s_and_saveexec_b64 s[10:11], s[8:9]
	s_cbranch_execz .LBB257_881
.LBB257_880:
	v_lshlrev_b32_e32 v4, 24, v1
	v_and_b32_e32 v1, 0xffff, v1
	v_and_b32_e32 v5, 7, v1
	v_ffbh_u32_e32 v7, v5
	v_min_u32_e32 v7, 32, v7
	v_subrev_u32_e32 v8, 28, v7
	v_bfe_u32 v6, v1, 3, 4
	v_lshlrev_b32_e32 v1, v8, v1
	v_sub_u32_e32 v7, 29, v7
	v_and_b32_e32 v1, 7, v1
	v_cmp_eq_u32_e32 vcc, 0, v6
	v_and_b32_e32 v4, 0x80000000, v4
	s_nop 0
	v_cndmask_b32_e32 v6, v6, v7, vcc
	v_cndmask_b32_e32 v1, v5, v1, vcc
	v_mov_b32_e32 v5, 0x3b800000
	v_lshlrev_b32_e32 v1, 20, v1
	v_lshl_add_u32 v5, v6, 23, v5
	v_or3_b32 v5, v4, v5, v1
.LBB257_881:
	s_or_b64 exec, exec, s[10:11]
.LBB257_882:
	s_mov_b64 s[8:9], -1
.LBB257_883:
	s_mov_b64 s[10:11], 0
.LBB257_884:
	s_and_b64 vcc, exec, s[10:11]
	s_cbranch_vccz .LBB257_917
; %bb.885:
	s_cmp_gt_i32 s14, 22
	s_cbranch_scc0 .LBB257_895
; %bb.886:
	s_cmp_lt_i32 s14, 24
	s_cbranch_scc1 .LBB257_898
; %bb.887:
	s_cmp_gt_i32 s14, 24
	s_cbranch_scc0 .LBB257_899
; %bb.888:
	global_load_ubyte v1, v[2:3], off
	s_movk_i32 s6, 0x7f
	s_waitcnt vmcnt(0)
	v_cmp_lt_i16_e32 vcc, s6, v1
	s_mov_b64 s[6:7], 0
	s_and_saveexec_b64 s[8:9], vcc
	s_xor_b64 s[8:9], exec, s[8:9]
	s_cbranch_execz .LBB257_911
; %bb.889:
	s_movk_i32 s6, 0x80
	v_cmp_eq_u16_e32 vcc, s6, v1
	s_mov_b64 s[6:7], -1
	s_and_saveexec_b64 s[10:11], vcc
; %bb.890:
	s_xor_b64 s[6:7], exec, -1
; %bb.891:
	s_or_b64 exec, exec, s[10:11]
	s_and_b64 s[6:7], s[6:7], exec
	s_or_saveexec_b64 s[8:9], s[8:9]
	v_mov_b32_e32 v5, 0x7f800001
	s_xor_b64 exec, exec, s[8:9]
	s_cbranch_execnz .LBB257_912
.LBB257_892:
	s_or_b64 exec, exec, s[8:9]
	s_and_saveexec_b64 s[8:9], s[6:7]
	s_cbranch_execz .LBB257_894
.LBB257_893:
	v_lshlrev_b32_e32 v4, 24, v1
	v_and_b32_e32 v1, 0xffff, v1
	v_and_b32_e32 v5, 3, v1
	v_ffbh_u32_e32 v7, v5
	v_min_u32_e32 v7, 32, v7
	v_subrev_u32_e32 v8, 29, v7
	v_bfe_u32 v6, v1, 2, 5
	v_lshlrev_b32_e32 v1, v8, v1
	v_sub_u32_e32 v7, 30, v7
	v_and_b32_e32 v1, 3, v1
	v_cmp_eq_u32_e32 vcc, 0, v6
	v_and_b32_e32 v4, 0x80000000, v4
	s_nop 0
	v_cndmask_b32_e32 v6, v6, v7, vcc
	v_cndmask_b32_e32 v1, v5, v1, vcc
	v_mov_b32_e32 v5, 0x37800000
	v_lshlrev_b32_e32 v1, 21, v1
	v_lshl_add_u32 v5, v6, 23, v5
	v_or3_b32 v5, v4, v5, v1
.LBB257_894:
	s_or_b64 exec, exec, s[8:9]
	s_mov_b64 s[6:7], 0
	s_branch .LBB257_900
.LBB257_895:
	s_mov_b64 s[6:7], -1
                                        ; implicit-def: $vgpr5
	s_branch .LBB257_906
.LBB257_896:
	s_or_saveexec_b64 s[10:11], s[10:11]
	v_mov_b32_e32 v5, 0x7f800001
	s_xor_b64 exec, exec, s[10:11]
	s_cbranch_execz .LBB257_879
.LBB257_897:
	v_cmp_ne_u16_e32 vcc, 0, v1
	s_andn2_b64 s[8:9], s[8:9], exec
	s_and_b64 s[12:13], vcc, exec
	v_mov_b32_e32 v5, 0
	s_or_b64 s[8:9], s[8:9], s[12:13]
	s_or_b64 exec, exec, s[10:11]
	s_and_saveexec_b64 s[10:11], s[8:9]
	s_cbranch_execnz .LBB257_880
	s_branch .LBB257_881
.LBB257_898:
	s_mov_b64 s[6:7], -1
                                        ; implicit-def: $vgpr5
	s_branch .LBB257_903
.LBB257_899:
	s_mov_b64 s[6:7], -1
                                        ; implicit-def: $vgpr5
.LBB257_900:
	s_and_b64 vcc, exec, s[6:7]
	s_cbranch_vccz .LBB257_902
; %bb.901:
	global_load_ubyte v1, v[2:3], off
	s_mov_b32 s6, 0x7f800000
	s_waitcnt vmcnt(0)
	v_lshlrev_b32_e32 v1, 24, v1
	v_and_b32_e32 v4, 0x7f000000, v1
	v_ffbh_u32_e32 v5, v4
	v_min_u32_e32 v5, 32, v5
	v_sub_u32_e64 v5, v5, 4 clamp
	v_lshlrev_b32_e32 v7, v5, v4
	v_lshlrev_b32_e32 v5, 23, v5
	v_lshrrev_b32_e32 v7, 4, v7
	v_add_u32_e32 v6, 0x1000000, v4
	v_sub_u32_e32 v5, v7, v5
	v_ashrrev_i32_e32 v6, 8, v6
	v_add_u32_e32 v5, 0x3c000000, v5
	v_and_or_b32 v5, v6, s6, v5
	v_cmp_ne_u32_e32 vcc, 0, v4
	s_brev_b32 s6, 1
	s_nop 0
	v_cndmask_b32_e32 v4, 0, v5, vcc
	v_and_or_b32 v5, v1, s6, v4
.LBB257_902:
	s_mov_b64 s[6:7], 0
.LBB257_903:
	s_andn2_b64 vcc, exec, s[6:7]
	s_cbranch_vccnz .LBB257_905
; %bb.904:
	global_load_ubyte v1, v[2:3], off
	s_movk_i32 s6, 0x7f00
	s_brev_b32 s7, 16
	s_waitcnt vmcnt(0)
	v_lshlrev_b16_e32 v4, 8, v1
	v_lshlrev_b32_e32 v1, 25, v1
	v_lshrrev_b32_e32 v5, 4, v1
	v_and_or_b32 v6, v4, s6, 0.5
	v_or_b32_e32 v5, 0x70000000, v5
	v_add_f32_e32 v6, -0.5, v6
	v_mul_f32_e32 v5, 0x7800000, v5
	v_cmp_gt_u32_e32 vcc, s7, v1
	v_bfe_i32 v4, v4, 0, 16
	s_brev_b32 s6, 1
	v_cndmask_b32_e32 v1, v5, v6, vcc
	v_and_or_b32 v5, v4, s6, v1
.LBB257_905:
	s_mov_b64 s[6:7], 0
	s_mov_b64 s[8:9], -1
.LBB257_906:
	s_andn2_b64 vcc, exec, s[6:7]
	s_mov_b64 s[6:7], 0
	s_cbranch_vccnz .LBB257_917
; %bb.907:
	s_cmp_gt_i32 s14, 14
	s_cbranch_scc0 .LBB257_910
; %bb.908:
	s_cmp_eq_u32 s14, 15
	s_cbranch_scc0 .LBB257_913
; %bb.909:
	global_load_ushort v1, v[2:3], off
	s_mov_b64 s[4:5], 0
	s_mov_b64 s[8:9], -1
	s_waitcnt vmcnt(0)
	v_lshlrev_b32_e32 v5, 16, v1
	s_branch .LBB257_914
.LBB257_910:
	s_mov_b64 s[10:11], -1
                                        ; implicit-def: $vgpr5
	s_branch .LBB257_915
.LBB257_911:
	s_or_saveexec_b64 s[8:9], s[8:9]
	v_mov_b32_e32 v5, 0x7f800001
	s_xor_b64 exec, exec, s[8:9]
	s_cbranch_execz .LBB257_892
.LBB257_912:
	v_cmp_ne_u16_e32 vcc, 0, v1
	s_andn2_b64 s[6:7], s[6:7], exec
	s_and_b64 s[10:11], vcc, exec
	v_mov_b32_e32 v5, 0
	s_or_b64 s[6:7], s[6:7], s[10:11]
	s_or_b64 exec, exec, s[8:9]
	s_and_saveexec_b64 s[8:9], s[6:7]
	s_cbranch_execnz .LBB257_893
	s_branch .LBB257_894
.LBB257_913:
	s_mov_b64 s[4:5], -1
                                        ; implicit-def: $vgpr5
.LBB257_914:
	s_mov_b64 s[10:11], 0
.LBB257_915:
	s_and_b64 vcc, exec, s[10:11]
	s_cbranch_vccz .LBB257_917
; %bb.916:
	s_cmp_lg_u32 s14, 11
	s_cselect_b64 s[10:11], -1, 0
	s_andn2_b64 s[4:5], s[4:5], exec
	s_and_b64 s[10:11], s[10:11], exec
	s_mov_b64 s[6:7], -1
	s_or_b64 s[4:5], s[4:5], s[10:11]
.LBB257_917:
	s_mov_b64 s[10:11], 0
.LBB257_918:
	s_andn2_b64 s[12:13], s[2:3], exec
	s_and_b64 s[4:5], s[4:5], exec
	s_and_b64 s[8:9], s[8:9], exec
	;; [unrolled: 1-line block ×4, first 2 shown]
	s_or_b64 s[12:13], s[12:13], s[4:5]
.LBB257_919:
	s_or_b64 exec, exec, s[70:71]
	s_and_b64 s[4:5], s[6:7], exec
	s_andn2_b64 s[2:3], s[2:3], exec
	s_and_b64 s[6:7], s[12:13], exec
	s_and_b64 s[8:9], s[8:9], exec
	;; [unrolled: 1-line block ×3, first 2 shown]
	s_or_b64 s[2:3], s[2:3], s[6:7]
.LBB257_920:
	s_or_b64 exec, exec, s[66:67]
	s_andn2_b64 s[6:7], s[62:63], exec
	s_and_b64 s[12:13], s[68:69], exec
	s_or_b64 s[62:63], s[6:7], s[12:13]
	s_and_b64 s[6:7], s[10:11], exec
	s_andn2_b64 s[10:11], s[60:61], exec
	s_and_b64 s[2:3], s[2:3], exec
	s_and_b64 s[8:9], s[8:9], exec
	;; [unrolled: 1-line block ×3, first 2 shown]
	s_or_b64 s[60:61], s[10:11], s[2:3]
.LBB257_921:
	s_or_b64 exec, exec, s[64:65]
	s_andn2_b64 s[2:3], s[54:55], exec
	s_and_b64 s[10:11], s[62:63], exec
	s_or_b64 s[54:55], s[2:3], s[10:11]
	s_and_b64 s[2:3], s[8:9], exec
	s_and_b64 s[8:9], s[6:7], exec
	s_and_b64 s[62:63], s[4:5], exec
	s_andn2_b64 s[4:5], s[56:57], exec
	s_and_b64 s[6:7], s[60:61], exec
	s_or_b64 s[56:57], s[4:5], s[6:7]
	s_or_b64 exec, exec, s[58:59]
	s_mov_b64 s[4:5], 0
	s_and_saveexec_b64 s[6:7], s[56:57]
	s_cbranch_execz .LBB257_276
.LBB257_922:
	s_mov_b64 s[4:5], exec
	s_andn2_b64 s[62:63], s[62:63], exec
	s_trap 2
	s_or_b64 exec, exec, s[6:7]
	s_and_saveexec_b64 s[6:7], s[62:63]
	s_xor_b64 s[6:7], exec, s[6:7]
	s_cbranch_execnz .LBB257_277
.LBB257_923:
	s_or_b64 exec, exec, s[6:7]
	s_and_saveexec_b64 s[6:7], s[8:9]
	s_cbranch_execz .LBB257_969
.LBB257_924:
	s_sext_i32_i16 s8, s74
	s_cmp_lt_i32 s8, 5
	s_cbranch_scc1 .LBB257_929
; %bb.925:
	s_cmp_lt_i32 s8, 8
	s_cbranch_scc1 .LBB257_930
; %bb.926:
	;; [unrolled: 3-line block ×3, first 2 shown]
	s_cmp_gt_i32 s8, 9
	s_cbranch_scc0 .LBB257_932
; %bb.928:
	global_load_dwordx2 v[4:5], v[2:3], off
	s_mov_b64 s[8:9], 0
	s_waitcnt vmcnt(0)
	v_cvt_f32_f64_e32 v5, v[4:5]
	s_branch .LBB257_933
.LBB257_929:
                                        ; implicit-def: $vgpr5
	s_branch .LBB257_950
.LBB257_930:
                                        ; implicit-def: $vgpr5
	s_branch .LBB257_939
.LBB257_931:
	s_mov_b64 s[8:9], -1
                                        ; implicit-def: $vgpr5
	s_branch .LBB257_936
.LBB257_932:
	s_mov_b64 s[8:9], -1
                                        ; implicit-def: $vgpr5
.LBB257_933:
	s_andn2_b64 vcc, exec, s[8:9]
	s_cbranch_vccnz .LBB257_935
; %bb.934:
	global_load_dword v5, v[2:3], off
.LBB257_935:
	s_mov_b64 s[8:9], 0
.LBB257_936:
	s_andn2_b64 vcc, exec, s[8:9]
	s_cbranch_vccnz .LBB257_938
; %bb.937:
	global_load_dword v1, v[2:3], off
	s_waitcnt vmcnt(0)
	v_cvt_f32_f16_e32 v5, v1
.LBB257_938:
	s_cbranch_execnz .LBB257_949
.LBB257_939:
	s_sext_i32_i16 s8, s74
	s_cmp_lt_i32 s8, 6
	s_cbranch_scc1 .LBB257_942
; %bb.940:
	s_cmp_gt_i32 s8, 6
	s_cbranch_scc0 .LBB257_943
; %bb.941:
	global_load_dwordx2 v[4:5], v[2:3], off
	s_mov_b64 s[8:9], 0
	s_waitcnt vmcnt(0)
	v_cvt_f32_f64_e32 v5, v[4:5]
	s_branch .LBB257_944
.LBB257_942:
	s_mov_b64 s[8:9], -1
                                        ; implicit-def: $vgpr5
	s_branch .LBB257_947
.LBB257_943:
	s_mov_b64 s[8:9], -1
                                        ; implicit-def: $vgpr5
.LBB257_944:
	s_andn2_b64 vcc, exec, s[8:9]
	s_cbranch_vccnz .LBB257_946
; %bb.945:
	global_load_dword v5, v[2:3], off
.LBB257_946:
	s_mov_b64 s[8:9], 0
.LBB257_947:
	s_andn2_b64 vcc, exec, s[8:9]
	s_cbranch_vccnz .LBB257_949
; %bb.948:
	global_load_ushort v1, v[2:3], off
	s_waitcnt vmcnt(0)
	v_cvt_f32_f16_e32 v5, v1
.LBB257_949:
	s_cbranch_execnz .LBB257_968
.LBB257_950:
	s_sext_i32_i16 s8, s74
	s_cmp_lt_i32 s8, 2
	s_cbranch_scc1 .LBB257_954
; %bb.951:
	s_cmp_lt_i32 s8, 3
	s_cbranch_scc1 .LBB257_955
; %bb.952:
	s_cmp_gt_i32 s8, 3
	s_cbranch_scc0 .LBB257_956
; %bb.953:
	global_load_dwordx2 v[4:5], v[2:3], off
	s_mov_b64 s[8:9], 0
	s_waitcnt vmcnt(0)
	v_xor_b32_e32 v6, v4, v5
	v_ffbh_i32_e32 v1, v5
	v_ashrrev_i32_e32 v6, 31, v6
	v_add_u32_e32 v1, -1, v1
	v_add_u32_e32 v6, 32, v6
	v_min_u32_e32 v1, v1, v6
	v_lshlrev_b64 v[4:5], v1, v[4:5]
	v_min_u32_e32 v4, 1, v4
	v_or_b32_e32 v4, v5, v4
	v_cvt_f32_i32_e32 v4, v4
	v_sub_u32_e32 v1, 32, v1
	v_ldexp_f32 v5, v4, v1
	s_branch .LBB257_957
.LBB257_954:
                                        ; implicit-def: $vgpr5
	s_branch .LBB257_963
.LBB257_955:
	s_mov_b64 s[8:9], -1
                                        ; implicit-def: $vgpr5
	s_branch .LBB257_960
.LBB257_956:
	s_mov_b64 s[8:9], -1
                                        ; implicit-def: $vgpr5
.LBB257_957:
	s_andn2_b64 vcc, exec, s[8:9]
	s_cbranch_vccnz .LBB257_959
; %bb.958:
	global_load_dword v1, v[2:3], off
	s_waitcnt vmcnt(0)
	v_cvt_f32_i32_e32 v5, v1
.LBB257_959:
	s_mov_b64 s[8:9], 0
.LBB257_960:
	s_andn2_b64 vcc, exec, s[8:9]
	s_cbranch_vccnz .LBB257_962
; %bb.961:
	global_load_sshort v1, v[2:3], off
	s_waitcnt vmcnt(0)
	v_cvt_f32_i32_e32 v5, v1
.LBB257_962:
	s_cbranch_execnz .LBB257_968
.LBB257_963:
	s_sext_i32_i16 s8, s74
	s_cmp_gt_i32 s8, 0
	s_cbranch_scc0 .LBB257_965
; %bb.964:
	global_load_sbyte v1, v[2:3], off
	s_mov_b64 s[8:9], 0
	s_waitcnt vmcnt(0)
	v_cvt_f32_i32_e32 v5, v1
	s_branch .LBB257_966
.LBB257_965:
	s_mov_b64 s[8:9], -1
                                        ; implicit-def: $vgpr5
.LBB257_966:
	s_andn2_b64 vcc, exec, s[8:9]
	s_cbranch_vccnz .LBB257_968
; %bb.967:
	global_load_ubyte v1, v[2:3], off
	s_waitcnt vmcnt(0)
	v_cvt_f32_ubyte0_e32 v5, v1
.LBB257_968:
	s_or_b64 s[2:3], s[2:3], exec
.LBB257_969:
	s_or_b64 exec, exec, s[6:7]
	s_mov_b64 s[10:11], 0
	s_mov_b64 s[8:9], 0
                                        ; implicit-def: $sgpr16
                                        ; implicit-def: $vgpr2_vgpr3
                                        ; implicit-def: $vgpr4
	s_and_saveexec_b64 s[6:7], s[2:3]
	s_cbranch_execz .LBB257_987
; %bb.970:
	s_mov_b32 s2, 0xf800000
	s_waitcnt vmcnt(0)
	v_mul_f32_e32 v1, 0x4f800000, v5
	v_cmp_gt_f32_e32 vcc, s2, v5
	s_and_b32 s16, s73, 0xff
	s_cmp_lt_i32 s16, 11
	v_cndmask_b32_e32 v1, v5, v1, vcc
	v_sqrt_f32_e32 v2, v1
	s_nop 0
	v_add_u32_e32 v3, -1, v2
	v_fma_f32 v4, -v3, v2, v1
	v_cmp_ge_f32_e64 s[2:3], 0, v4
	v_add_u32_e32 v4, 1, v2
	s_nop 0
	v_cndmask_b32_e64 v3, v2, v3, s[2:3]
	v_fma_f32 v2, -v4, v2, v1
	v_cmp_lt_f32_e64 s[2:3], 0, v2
	s_nop 1
	v_cndmask_b32_e64 v2, v3, v4, s[2:3]
	v_mul_f32_e32 v3, 0x37800000, v2
	v_cndmask_b32_e32 v2, v2, v3, vcc
	v_mov_b32_e32 v3, 0x260
	v_cmp_class_f32_e32 vcc, v1, v3
	s_nop 1
	v_cndmask_b32_e32 v4, v2, v1, vcc
	v_mov_b32_e32 v1, 0
	s_waitcnt lgkmcnt(0)
	v_lshl_add_u64 v[2:3], s[20:21], 0, v[0:1]
	s_cbranch_scc1 .LBB257_990
; %bb.971:
	s_and_b32 s17, 0xffff, s16
	s_mov_b64 s[10:11], -1
	s_cmp_gt_i32 s17, 25
	s_mov_b64 s[2:3], s[54:55]
	s_cbranch_scc0 .LBB257_1008
; %bb.972:
	s_mov_b64 s[8:9], -1
	s_cmp_gt_i32 s17, 28
	s_mov_b64 s[2:3], s[54:55]
	s_cbranch_scc0 .LBB257_992
; %bb.973:
	s_cmp_gt_i32 s17, 43
	s_mov_b64 s[2:3], s[54:55]
	s_cbranch_scc0 .LBB257_984
; %bb.974:
	;; [unrolled: 4-line block ×3, first 2 shown]
	s_cmp_eq_u32 s17, 46
	s_mov_b64 s[2:3], -1
	s_cbranch_scc0 .LBB257_977
; %bb.976:
	v_bfe_u32 v0, v4, 16, 1
	s_movk_i32 s2, 0x7fff
	v_add3_u32 v0, v4, v0, s2
	v_cmp_le_f32_e32 vcc, 0, v5
	v_mov_b32_e32 v1, 0x7fc0
	s_mov_b64 s[2:3], 0
	v_cndmask_b32_sdwa v0, v1, v0, vcc dst_sel:DWORD dst_unused:UNUSED_PAD src0_sel:DWORD src1_sel:WORD_1
	global_store_dword v[2:3], v0, off
.LBB257_977:
	s_mov_b64 s[8:9], 0
.LBB257_978:
	s_and_b64 vcc, exec, s[8:9]
	s_cbranch_vccz .LBB257_983
; %bb.979:
	s_cmp_eq_u32 s17, 44
	s_mov_b64 s[2:3], -1
	s_cbranch_scc0 .LBB257_983
; %bb.980:
	v_bfe_u32 v0, v4, 23, 8
	s_movk_i32 s2, 0xff
	v_cmp_ne_u32_e32 vcc, s2, v0
	v_mov_b32_e32 v1, 0xff
	s_and_saveexec_b64 s[8:9], vcc
; %bb.981:
	s_mov_b32 s2, 0x3fffff
	v_and_b32_e32 v6, 0x400000, v4
	v_and_or_b32 v0, v4, s2, v0
	v_cmp_ne_u32_e32 vcc, 0, v6
	v_cmp_ne_u32_e64 s[2:3], 0, v0
	s_and_b64 s[2:3], vcc, s[2:3]
	v_lshrrev_b32_e32 v1, 23, v4
	v_cndmask_b32_e64 v0, 0, 1, s[2:3]
	v_add_u32_e32 v1, v1, v0
; %bb.982:
	s_or_b64 exec, exec, s[8:9]
	s_mov_b64 s[2:3], 0
	global_store_byte v[2:3], v1, off
.LBB257_983:
	s_mov_b64 s[8:9], 0
.LBB257_984:
	s_and_b64 vcc, exec, s[8:9]
	s_cbranch_vccz .LBB257_991
; %bb.985:
	s_cmp_eq_u32 s17, 29
	s_mov_b64 s[2:3], -1
	s_cbranch_scc0 .LBB257_991
; %bb.986:
	v_trunc_f32_e32 v0, v4
	v_mul_f32_e32 v1, 0x2f800000, v0
	v_floor_f32_e32 v6, v1
	v_fmamk_f32 v0, v6, 0xcf800000, v0
	v_cvt_u32_f32_e32 v1, v6
	v_cvt_u32_f32_e32 v0, v0
	s_mov_b64 s[2:3], 0
	s_mov_b64 s[8:9], 0
	global_store_dwordx2 v[2:3], v[0:1], off
	s_branch .LBB257_992
.LBB257_987:
	s_or_b64 exec, exec, s[6:7]
	s_and_saveexec_b64 s[2:3], s[54:55]
	s_cbranch_execnz .LBB257_1050
.LBB257_988:
	s_or_b64 exec, exec, s[2:3]
	s_and_saveexec_b64 s[2:3], s[10:11]
	s_xor_b64 s[2:3], exec, s[2:3]
	s_cbranch_execz .LBB257_1051
.LBB257_989:
	s_waitcnt vmcnt(0)
	v_cmp_neq_f32_e32 vcc, 0, v5
	s_nop 1
	v_cndmask_b32_e64 v0, 0, 1, vcc
	global_store_byte v[2:3], v0, off
	s_or_b64 exec, exec, s[2:3]
	s_and_saveexec_b64 s[2:3], s[8:9]
	s_xor_b64 s[2:3], exec, s[2:3]
	s_cbranch_execz .LBB257_1089
	s_branch .LBB257_1052
.LBB257_990:
	s_mov_b64 s[8:9], -1
	s_mov_b64 s[2:3], s[54:55]
	s_branch .LBB257_1049
.LBB257_991:
	s_mov_b64 s[8:9], 0
.LBB257_992:
	s_and_b64 vcc, exec, s[8:9]
	s_cbranch_vccz .LBB257_1007
; %bb.993:
	s_cmp_lt_i32 s17, 27
	s_mov_b64 s[8:9], -1
	s_cbranch_scc1 .LBB257_999
; %bb.994:
	s_cmp_gt_i32 s17, 27
	s_cbranch_scc0 .LBB257_996
; %bb.995:
	v_cvt_u32_f32_e32 v0, v4
	s_mov_b64 s[8:9], 0
	global_store_dword v[2:3], v0, off
.LBB257_996:
	s_andn2_b64 vcc, exec, s[8:9]
	s_cbranch_vccnz .LBB257_998
; %bb.997:
	v_cvt_u32_f32_e32 v0, v4
	global_store_short v[2:3], v0, off
.LBB257_998:
	s_mov_b64 s[8:9], 0
.LBB257_999:
	s_andn2_b64 vcc, exec, s[8:9]
	s_cbranch_vccnz .LBB257_1007
; %bb.1000:
	v_and_b32_e32 v0, 0x7fffffff, v4
	s_mov_b32 s8, 0x43800000
	v_cmp_gt_u32_e32 vcc, s8, v0
	v_mov_b32_e32 v1, 0x80
	s_and_saveexec_b64 s[8:9], vcc
	s_cbranch_execz .LBB257_1006
; %bb.1001:
	s_mov_b32 s10, 0x3bffffff
	v_cmp_lt_u32_e32 vcc, s10, v0
	s_mov_b64 s[10:11], 0
                                        ; implicit-def: $vgpr0
	s_and_saveexec_b64 s[12:13], vcc
	s_xor_b64 s[12:13], exec, s[12:13]
	s_cbranch_execz .LBB257_1160
; %bb.1002:
	v_bfe_u32 v0, v4, 20, 1
	s_mov_b32 s14, 0x487ffff
	v_add3_u32 v0, v4, v0, s14
	s_mov_b64 s[10:11], exec
	v_lshrrev_b32_e32 v0, 20, v0
	s_andn2_saveexec_b64 s[12:13], s[12:13]
	s_cbranch_execnz .LBB257_1161
.LBB257_1003:
	s_or_b64 exec, exec, s[12:13]
	v_mov_b32_e32 v1, 0
	s_and_saveexec_b64 s[12:13], s[10:11]
.LBB257_1004:
	v_lshrrev_b32_e32 v1, 24, v4
	s_movk_i32 s10, 0x80
	v_and_or_b32 v1, v1, s10, v0
.LBB257_1005:
	s_or_b64 exec, exec, s[12:13]
.LBB257_1006:
	s_or_b64 exec, exec, s[8:9]
	global_store_byte v[2:3], v1, off
.LBB257_1007:
	s_mov_b64 s[10:11], 0
.LBB257_1008:
	s_mov_b64 s[8:9], 0
	s_and_b64 vcc, exec, s[10:11]
	s_cbranch_vccz .LBB257_1048
; %bb.1009:
	s_cmp_gt_i32 s17, 22
	s_mov_b64 s[10:11], -1
	s_cbranch_scc0 .LBB257_1041
; %bb.1010:
	s_cmp_lt_i32 s17, 24
	s_cbranch_scc1 .LBB257_1030
; %bb.1011:
	s_cmp_gt_i32 s17, 24
	s_cbranch_scc0 .LBB257_1019
; %bb.1012:
	v_and_b32_e32 v0, 0x7fffffff, v4
	s_mov_b32 s10, 0x47800000
	v_cmp_gt_u32_e32 vcc, s10, v0
	v_mov_b32_e32 v1, 0x80
	s_and_saveexec_b64 s[10:11], vcc
	s_cbranch_execz .LBB257_1018
; %bb.1013:
	s_mov_b32 s12, 0x37ffffff
	v_cmp_lt_u32_e32 vcc, s12, v0
	s_mov_b64 s[12:13], 0
                                        ; implicit-def: $vgpr0
	s_and_saveexec_b64 s[14:15], vcc
	s_xor_b64 s[14:15], exec, s[14:15]
	s_cbranch_execz .LBB257_1285
; %bb.1014:
	v_bfe_u32 v0, v4, 21, 1
	s_mov_b32 s18, 0x88fffff
	v_add3_u32 v0, v4, v0, s18
	s_mov_b64 s[12:13], exec
	v_lshrrev_b32_e32 v0, 21, v0
	s_andn2_saveexec_b64 s[14:15], s[14:15]
	s_cbranch_execnz .LBB257_1286
.LBB257_1015:
	s_or_b64 exec, exec, s[14:15]
	v_mov_b32_e32 v1, 0
	s_and_saveexec_b64 s[14:15], s[12:13]
.LBB257_1016:
	v_lshrrev_b32_e32 v1, 24, v4
	s_movk_i32 s12, 0x80
	v_and_or_b32 v1, v1, s12, v0
.LBB257_1017:
	s_or_b64 exec, exec, s[14:15]
.LBB257_1018:
	s_or_b64 exec, exec, s[10:11]
	s_mov_b64 s[10:11], 0
	global_store_byte v[2:3], v1, off
.LBB257_1019:
	s_and_b64 vcc, exec, s[10:11]
	s_cbranch_vccz .LBB257_1029
; %bb.1020:
	v_and_b32_e32 v1, 0x7fffffff, v4
	s_mov_b32 s10, 0x43f00000
	v_cmp_gt_u32_e32 vcc, s10, v1
                                        ; implicit-def: $vgpr0
	s_and_saveexec_b64 s[10:11], vcc
	s_xor_b64 s[10:11], exec, s[10:11]
	s_cbranch_execz .LBB257_1026
; %bb.1021:
	s_mov_b32 s12, 0x3c7fffff
	v_cmp_lt_u32_e32 vcc, s12, v1
                                        ; implicit-def: $vgpr0
	s_and_saveexec_b64 s[12:13], vcc
	s_xor_b64 s[12:13], exec, s[12:13]
; %bb.1022:
	v_bfe_u32 v0, v4, 20, 1
	s_mov_b32 s14, 0x407ffff
	v_add3_u32 v0, v4, v0, s14
	v_lshrrev_b32_e32 v1, 20, v0
	v_and_b32_e32 v0, 0xff00000, v0
	s_mov_b32 s14, 0x7f00000
	v_mov_b32_e32 v6, 0x7e
	v_cmp_ne_u32_e32 vcc, s14, v0
	s_nop 1
	v_cndmask_b32_e32 v0, v6, v1, vcc
; %bb.1023:
	s_andn2_saveexec_b64 s[12:13], s[12:13]
; %bb.1024:
	s_mov_b32 s14, 0x46800000
	v_add_f32_e64 v0, |v4|, s14
; %bb.1025:
	s_or_b64 exec, exec, s[12:13]
                                        ; implicit-def: $vgpr1
.LBB257_1026:
	s_andn2_saveexec_b64 s[10:11], s[10:11]
; %bb.1027:
	s_mov_b32 s12, 0x7f800000
	v_mov_b32_e32 v0, 0x7e
	v_mov_b32_e32 v6, 0x7f
	v_cmp_lt_u32_e32 vcc, s12, v1
	s_nop 1
	v_cndmask_b32_e32 v0, v0, v6, vcc
; %bb.1028:
	s_or_b64 exec, exec, s[10:11]
	v_lshrrev_b32_e32 v1, 24, v4
	s_movk_i32 s10, 0x80
	v_and_or_b32 v0, v1, s10, v0
	global_store_byte v[2:3], v0, off
.LBB257_1029:
	s_mov_b64 s[10:11], 0
.LBB257_1030:
	s_andn2_b64 vcc, exec, s[10:11]
	s_cbranch_vccnz .LBB257_1040
; %bb.1031:
	v_and_b32_e32 v1, 0x7fffffff, v4
	s_mov_b32 s10, 0x47800000
	v_cmp_gt_u32_e32 vcc, s10, v1
                                        ; implicit-def: $vgpr0
	s_and_saveexec_b64 s[10:11], vcc
	s_xor_b64 s[10:11], exec, s[10:11]
	s_cbranch_execz .LBB257_1037
; %bb.1032:
	s_mov_b32 s12, 0x387fffff
	v_cmp_lt_u32_e32 vcc, s12, v1
                                        ; implicit-def: $vgpr0
	s_and_saveexec_b64 s[12:13], vcc
	s_xor_b64 s[12:13], exec, s[12:13]
; %bb.1033:
	v_bfe_u32 v0, v4, 21, 1
	s_mov_b32 s14, 0x80fffff
	v_add3_u32 v0, v4, v0, s14
	v_lshrrev_b32_e32 v0, 21, v0
; %bb.1034:
	s_andn2_saveexec_b64 s[12:13], s[12:13]
; %bb.1035:
	s_mov_b32 s14, 0x43000000
	v_add_f32_e64 v0, |v4|, s14
; %bb.1036:
	s_or_b64 exec, exec, s[12:13]
                                        ; implicit-def: $vgpr1
.LBB257_1037:
	s_andn2_saveexec_b64 s[10:11], s[10:11]
; %bb.1038:
	s_mov_b32 s12, 0x7f800000
	v_mov_b32_e32 v0, 0x7c
	v_mov_b32_e32 v6, 0x7f
	v_cmp_lt_u32_e32 vcc, s12, v1
	s_nop 1
	v_cndmask_b32_e32 v0, v0, v6, vcc
; %bb.1039:
	s_or_b64 exec, exec, s[10:11]
	v_lshrrev_b32_e32 v1, 24, v4
	s_movk_i32 s10, 0x80
	v_and_or_b32 v0, v1, s10, v0
	global_store_byte v[2:3], v0, off
.LBB257_1040:
	s_mov_b64 s[10:11], 0
.LBB257_1041:
	s_andn2_b64 vcc, exec, s[10:11]
	s_mov_b64 s[10:11], 0
	s_cbranch_vccnz .LBB257_1049
; %bb.1042:
	s_cmp_gt_i32 s17, 14
	s_mov_b64 s[12:13], -1
	s_cbranch_scc0 .LBB257_1046
; %bb.1043:
	s_cmp_eq_u32 s17, 15
	s_mov_b64 s[2:3], -1
	s_cbranch_scc0 .LBB257_1045
; %bb.1044:
	v_bfe_u32 v0, v4, 16, 1
	s_movk_i32 s2, 0x7fff
	v_add3_u32 v0, v4, v0, s2
	v_cmp_le_f32_e32 vcc, 0, v5
	v_mov_b32_e32 v1, 0x7fc0
	s_mov_b64 s[2:3], 0
	v_cndmask_b32_sdwa v0, v1, v0, vcc dst_sel:DWORD dst_unused:UNUSED_PAD src0_sel:DWORD src1_sel:WORD_1
	global_store_short v[2:3], v0, off
.LBB257_1045:
	s_mov_b64 s[12:13], 0
.LBB257_1046:
	s_and_b64 vcc, exec, s[12:13]
	s_cbranch_vccz .LBB257_1049
; %bb.1047:
	s_cmp_lg_u32 s17, 11
	s_cselect_b64 s[12:13], -1, 0
	s_andn2_b64 s[2:3], s[2:3], exec
	s_and_b64 s[12:13], s[12:13], exec
	s_mov_b64 s[10:11], -1
	s_or_b64 s[2:3], s[2:3], s[12:13]
	s_branch .LBB257_1049
.LBB257_1048:
	s_mov_b64 s[10:11], 0
.LBB257_1049:
	s_andn2_b64 s[12:13], s[54:55], exec
	s_and_b64 s[2:3], s[2:3], exec
	s_and_b64 s[8:9], s[8:9], exec
	;; [unrolled: 1-line block ×3, first 2 shown]
	s_or_b64 s[54:55], s[12:13], s[2:3]
	s_or_b64 exec, exec, s[6:7]
	s_and_saveexec_b64 s[2:3], s[54:55]
	s_cbranch_execz .LBB257_988
.LBB257_1050:
	s_or_b64 s[4:5], s[4:5], exec
	s_andn2_b64 s[10:11], s[10:11], exec
	s_trap 2
	s_or_b64 exec, exec, s[2:3]
	s_and_saveexec_b64 s[2:3], s[10:11]
	s_xor_b64 s[2:3], exec, s[2:3]
	s_cbranch_execnz .LBB257_989
.LBB257_1051:
	s_or_b64 exec, exec, s[2:3]
	s_and_saveexec_b64 s[2:3], s[8:9]
	s_xor_b64 s[2:3], exec, s[2:3]
	s_cbranch_execz .LBB257_1089
.LBB257_1052:
	s_sext_i32_i16 s8, s16
	s_cmp_lt_i32 s8, 5
	s_mov_b64 s[6:7], -1
	s_cbranch_scc1 .LBB257_1073
; %bb.1053:
	s_cmp_lt_i32 s8, 8
	s_cbranch_scc1 .LBB257_1063
; %bb.1054:
	s_cmp_lt_i32 s8, 9
	s_cbranch_scc1 .LBB257_1060
; %bb.1055:
	s_cmp_gt_i32 s8, 9
	s_cbranch_scc0 .LBB257_1057
; %bb.1056:
	v_mov_b32_e32 v8, 0
	s_waitcnt vmcnt(0)
	v_cvt_f64_f32_e32 v[6:7], v4
	v_mov_b32_e32 v9, v8
	s_mov_b64 s[6:7], 0
	global_store_dwordx4 v[2:3], v[6:9], off
.LBB257_1057:
	s_andn2_b64 vcc, exec, s[6:7]
	s_cbranch_vccnz .LBB257_1059
; %bb.1058:
	s_waitcnt vmcnt(0)
	v_mov_b32_e32 v5, 0
	global_store_dwordx2 v[2:3], v[4:5], off
.LBB257_1059:
	s_mov_b64 s[6:7], 0
.LBB257_1060:
	s_andn2_b64 vcc, exec, s[6:7]
	s_cbranch_vccnz .LBB257_1062
; %bb.1061:
	s_waitcnt vmcnt(0)
	v_cvt_f16_f32_e32 v0, v4
	global_store_dword v[2:3], v0, off
.LBB257_1062:
	s_mov_b64 s[6:7], 0
.LBB257_1063:
	s_andn2_b64 vcc, exec, s[6:7]
	s_cbranch_vccnz .LBB257_1072
; %bb.1064:
	s_sext_i32_i16 s8, s16
	s_cmp_lt_i32 s8, 6
	s_mov_b64 s[6:7], -1
	s_cbranch_scc1 .LBB257_1070
; %bb.1065:
	s_cmp_gt_i32 s8, 6
	s_cbranch_scc0 .LBB257_1067
; %bb.1066:
	s_waitcnt vmcnt(0)
	v_cvt_f64_f32_e32 v[0:1], v4
	s_mov_b64 s[6:7], 0
	global_store_dwordx2 v[2:3], v[0:1], off
.LBB257_1067:
	s_andn2_b64 vcc, exec, s[6:7]
	s_cbranch_vccnz .LBB257_1069
; %bb.1068:
	s_waitcnt vmcnt(0)
	global_store_dword v[2:3], v4, off
.LBB257_1069:
	s_mov_b64 s[6:7], 0
.LBB257_1070:
	s_andn2_b64 vcc, exec, s[6:7]
	s_cbranch_vccnz .LBB257_1072
; %bb.1071:
	s_waitcnt vmcnt(0)
	v_cvt_f16_f32_e32 v0, v4
	global_store_short v[2:3], v0, off
.LBB257_1072:
	s_mov_b64 s[6:7], 0
.LBB257_1073:
	s_andn2_b64 vcc, exec, s[6:7]
	s_cbranch_vccnz .LBB257_1089
; %bb.1074:
	s_sext_i32_i16 s8, s16
	s_cmp_lt_i32 s8, 2
	s_mov_b64 s[6:7], -1
	s_cbranch_scc1 .LBB257_1084
; %bb.1075:
	s_cmp_lt_i32 s8, 3
	s_cbranch_scc1 .LBB257_1081
; %bb.1076:
	s_cmp_gt_i32 s8, 3
	s_cbranch_scc0 .LBB257_1078
; %bb.1077:
	s_waitcnt vmcnt(0)
	v_trunc_f32_e32 v0, v4
	s_mov_b32 s6, 0x2f800000
	v_mul_f32_e64 v1, |v0|, s6
	v_floor_f32_e32 v1, v1
	s_mov_b32 s6, 0xcf800000
	v_cvt_u32_f32_e32 v5, v1
	v_fma_f32 v1, v1, s6, |v0|
	v_cvt_u32_f32_e32 v1, v1
	v_ashrrev_i32_e32 v6, 31, v0
	v_xor_b32_e32 v5, v5, v6
	s_mov_b64 s[6:7], 0
	v_xor_b32_e32 v0, v1, v6
	v_sub_co_u32_e32 v0, vcc, v0, v6
	s_nop 1
	v_subb_co_u32_e32 v1, vcc, v5, v6, vcc
	global_store_dwordx2 v[2:3], v[0:1], off
.LBB257_1078:
	s_andn2_b64 vcc, exec, s[6:7]
	s_cbranch_vccnz .LBB257_1080
; %bb.1079:
	s_waitcnt vmcnt(0)
	v_cvt_i32_f32_e32 v0, v4
	global_store_dword v[2:3], v0, off
.LBB257_1080:
	s_mov_b64 s[6:7], 0
.LBB257_1081:
	s_andn2_b64 vcc, exec, s[6:7]
	s_cbranch_vccnz .LBB257_1083
; %bb.1082:
	s_waitcnt vmcnt(0)
	v_cvt_i32_f32_e32 v0, v4
	global_store_short v[2:3], v0, off
.LBB257_1083:
	s_mov_b64 s[6:7], 0
.LBB257_1084:
	s_andn2_b64 vcc, exec, s[6:7]
	s_cbranch_vccnz .LBB257_1089
; %bb.1085:
	s_sext_i32_i16 s6, s16
	s_cmp_gt_i32 s6, 0
	s_mov_b64 s[6:7], -1
	s_cbranch_scc0 .LBB257_1087
; %bb.1086:
	s_waitcnt vmcnt(0)
	v_cvt_i32_f32_e32 v0, v4
	s_mov_b64 s[6:7], 0
	global_store_byte v[2:3], v0, off
.LBB257_1087:
	s_andn2_b64 vcc, exec, s[6:7]
	s_cbranch_vccnz .LBB257_1089
; %bb.1088:
	s_waitcnt vmcnt(0)
	v_trunc_f32_e32 v0, v4
	s_mov_b32 s6, 0x2f800000
	v_mul_f32_e64 v1, |v0|, s6
	v_floor_f32_e32 v1, v1
	s_mov_b32 s6, 0xcf800000
	v_fma_f32 v1, v1, s6, |v0|
	v_cvt_u32_f32_e32 v1, v1
	v_ashrrev_i32_e32 v0, 31, v0
	v_xor_b32_e32 v1, v1, v0
	v_sub_u32_e32 v0, v1, v0
	global_store_byte v[2:3], v0, off
.LBB257_1089:
	s_or_b64 exec, exec, s[2:3]
	s_waitcnt lgkmcnt(0)
	s_and_b64 s[24:25], s[4:5], exec
                                        ; implicit-def: $vgpr16
                                        ; implicit-def: $vgpr8
.LBB257_1090:
	s_or_saveexec_b64 s[26:27], s[44:45]
	s_mov_b64 s[6:7], 0
                                        ; implicit-def: $vgpr0_vgpr1
                                        ; implicit-def: $sgpr14
                                        ; implicit-def: $vgpr2
                                        ; implicit-def: $vgpr10
	s_xor_b64 exec, exec, s[26:27]
	s_cbranch_execz .LBB257_1544
; %bb.1091:
	v_cndmask_b32_e64 v0, 0, 1, s[42:43]
	v_cmp_ne_u32_e64 s[2:3], 1, v0
	s_andn2_b64 vcc, exec, s[42:43]
	s_cbranch_vccnz .LBB257_1097
; %bb.1092:
	s_cmp_lg_u32 s33, 0
	s_mov_b32 s36, 0
	s_cbranch_scc0 .LBB257_1098
; %bb.1093:
	s_min_u32 s37, s72, 15
	s_add_i32 s37, s37, 1
	s_cmp_eq_u32 s72, 2
	s_cbranch_scc1 .LBB257_1099
; %bb.1094:
	s_and_b32 s36, s37, 28
	s_add_u32 s28, s34, 0xc4
	s_addc_u32 s29, s35, 0
	s_mov_b32 s38, 0
	v_mov_b32_e32 v6, 0
	v_mov_b32_e32 v14, 0
	s_mov_b64 s[30:31], s[34:35]
	v_mov_b32_e32 v0, v8
.LBB257_1095:                           ; =>This Inner Loop Header: Depth=1
	s_load_dwordx8 s[12:19], s[30:31], 0x4
	s_load_dwordx4 s[20:23], s[30:31], 0x24
	s_load_dwordx8 s[4:11], s[28:29], 0x0
	s_add_u32 s30, s30, 48
	s_addc_u32 s31, s31, 0
	s_waitcnt lgkmcnt(0)
	v_mul_hi_u32 v1, s13, v0
	v_add_u32_e32 v1, v0, v1
	v_lshrrev_b32_e32 v1, s14, v1
	v_mul_lo_u32 v2, v1, s12
	v_mul_hi_u32 v3, s16, v1
	v_sub_u32_e32 v0, v0, v2
	v_add_u32_e32 v2, v1, v3
	v_lshrrev_b32_e32 v2, s17, v2
	s_waitcnt vmcnt(0)
	v_mul_lo_u32 v4, v2, s15
	v_mul_hi_u32 v5, s19, v2
	v_sub_u32_e32 v1, v1, v4
	v_add_u32_e32 v4, v2, v5
	v_mul_lo_u32 v3, v0, s5
	v_mul_lo_u32 v0, v0, s4
	;; [unrolled: 1-line block ×4, first 2 shown]
	v_lshrrev_b32_e32 v4, s20, v4
	v_add3_u32 v1, v0, v6, v1
	v_add3_u32 v3, v3, v14, v5
	v_mul_lo_u32 v0, v4, s18
	v_mul_hi_u32 v5, s22, v4
	v_sub_u32_e32 v0, v2, v0
	v_add_u32_e32 v2, v4, v5
	v_mul_lo_u32 v5, v0, s8
	v_mul_lo_u32 v6, v0, s9
	v_lshrrev_b32_e32 v0, s23, v2
	s_add_i32 s38, s38, 4
	v_mul_lo_u32 v2, v0, s21
	s_add_u32 s28, s28, 32
	v_sub_u32_e32 v2, v4, v2
	s_addc_u32 s29, s29, 0
	v_mul_lo_u32 v4, v2, s10
	v_mul_lo_u32 v2, v2, s11
	s_cmp_lg_u32 s36, s38
	v_add3_u32 v14, v6, v3, v2
	v_add3_u32 v6, v5, v1, v4
	s_cbranch_scc1 .LBB257_1095
; %bb.1096:
	v_mov_b32_e32 v1, v14
	s_and_b32 s8, s37, 3
	s_cmp_eq_u32 s8, 0
	s_cbranch_scc0 .LBB257_1100
	s_branch .LBB257_1102
.LBB257_1097:
                                        ; implicit-def: $vgpr14
                                        ; implicit-def: $vgpr6
	s_branch .LBB257_1103
.LBB257_1098:
	v_mov_b32_e32 v14, 0
	v_mov_b32_e32 v6, 0
	s_branch .LBB257_1102
.LBB257_1099:
	v_mov_b32_e32 v6, 0
                                        ; implicit-def: $vgpr14
	v_mov_b32_e32 v1, v6
	v_mov_b32_e32 v0, v8
	s_and_b32 s8, s37, 3
	s_cmp_eq_u32 s8, 0
	s_cbranch_scc1 .LBB257_1102
.LBB257_1100:
	s_lshl_b32 s4, s36, 3
	s_add_u32 s4, s34, s4
	s_addc_u32 s5, s35, 0
	s_add_u32 s4, s4, 0xc4
	s_addc_u32 s5, s5, 0
	s_mul_i32 s6, s36, 12
	s_add_u32 s6, s34, s6
	s_addc_u32 s7, s35, 0
.LBB257_1101:                           ; =>This Inner Loop Header: Depth=1
	s_load_dwordx2 s[10:11], s[6:7], 0x4
	s_load_dword s9, s[6:7], 0xc
	s_load_dwordx2 s[12:13], s[4:5], 0x0
	v_mov_b32_e32 v2, v1
	s_add_u32 s6, s6, 12
	s_waitcnt lgkmcnt(0)
	v_mul_hi_u32 v1, s11, v0
	v_add_u32_e32 v1, v0, v1
	v_lshrrev_b32_e32 v1, s9, v1
	s_addc_u32 s7, s7, 0
	v_mul_lo_u32 v3, v1, s10
	s_add_u32 s4, s4, 8
	v_sub_u32_e32 v3, v0, v3
	s_addc_u32 s5, s5, 0
	s_add_i32 s8, s8, -1
	v_mad_u64_u32 v[14:15], s[10:11], v3, s13, v[2:3]
	s_cmp_lg_u32 s8, 0
	v_mov_b32_e32 v0, v1
	v_mad_u64_u32 v[6:7], s[10:11], v3, s12, v[6:7]
	v_mov_b32_e32 v1, v14
	s_cbranch_scc1 .LBB257_1101
.LBB257_1102:
	s_cbranch_execnz .LBB257_1105
.LBB257_1103:
	s_load_dwordx4 s[4:7], s[34:35], 0x4
	s_load_dwordx2 s[8:9], s[34:35], 0xc4
	s_cmp_lt_u32 s33, 2
	s_waitcnt lgkmcnt(0)
	v_mul_hi_u32 v0, s5, v8
	v_add_u32_e32 v0, v8, v0
	v_lshrrev_b32_e32 v0, s6, v0
	v_mul_lo_u32 v1, v0, s4
	v_sub_u32_e32 v1, v8, v1
	v_mul_lo_u32 v14, v1, s9
	v_mul_lo_u32 v6, v1, s8
	s_cbranch_scc1 .LBB257_1105
; %bb.1104:
	s_load_dwordx4 s[4:7], s[34:35], 0x10
	s_load_dwordx2 s[8:9], s[34:35], 0xcc
	s_waitcnt lgkmcnt(0)
	v_mul_hi_u32 v1, s5, v0
	v_add_u32_e32 v1, v0, v1
	v_lshrrev_b32_e32 v1, s6, v1
	v_mul_lo_u32 v1, v1, s4
	v_sub_u32_e32 v0, v0, v1
	v_mad_u64_u32 v[6:7], s[4:5], v0, s8, v[6:7]
	v_mad_u64_u32 v[14:15], s[4:5], v0, s9, v[14:15]
.LBB257_1105:
	s_and_b64 vcc, exec, s[2:3]
	v_add_u32_e32 v0, 0x80, v8
	s_cbranch_vccnz .LBB257_1111
; %bb.1106:
	s_cmp_lg_u32 s33, 0
	s_mov_b32 s36, 0
	s_cbranch_scc0 .LBB257_1112
; %bb.1107:
	s_min_u32 s37, s72, 15
	s_add_i32 s37, s37, 1
	s_cmp_eq_u32 s72, 2
	s_cbranch_scc1 .LBB257_1113
; %bb.1108:
	s_and_b32 s36, s37, 28
	s_add_u32 s28, s34, 0xc4
	s_addc_u32 s29, s35, 0
	s_mov_b32 s38, 0
	s_waitcnt vmcnt(0)
	v_mov_b32_e32 v4, 0
	v_mov_b32_e32 v12, 0
	s_mov_b64 s[30:31], s[34:35]
	v_mov_b32_e32 v2, v0
.LBB257_1109:                           ; =>This Inner Loop Header: Depth=1
	s_load_dwordx8 s[12:19], s[30:31], 0x4
	s_load_dwordx4 s[20:23], s[30:31], 0x24
	s_load_dwordx8 s[4:11], s[28:29], 0x0
	s_add_u32 s30, s30, 48
	s_addc_u32 s31, s31, 0
	s_waitcnt lgkmcnt(0)
	v_mul_hi_u32 v1, s13, v2
	v_add_u32_e32 v1, v2, v1
	v_lshrrev_b32_e32 v1, s14, v1
	v_mul_lo_u32 v3, v1, s12
	v_mul_hi_u32 v5, s16, v1
	v_sub_u32_e32 v2, v2, v3
	v_add_u32_e32 v3, v1, v5
	v_lshrrev_b32_e32 v3, s17, v3
	v_mul_lo_u32 v7, v3, s15
	v_mul_hi_u32 v9, s19, v3
	v_sub_u32_e32 v1, v1, v7
	v_add_u32_e32 v7, v3, v9
	v_mul_lo_u32 v5, v2, s5
	v_mul_lo_u32 v2, v2, s4
	;; [unrolled: 1-line block ×4, first 2 shown]
	v_lshrrev_b32_e32 v7, s20, v7
	v_add3_u32 v1, v2, v4, v1
	v_add3_u32 v4, v5, v12, v9
	v_mul_lo_u32 v2, v7, s18
	v_mul_hi_u32 v5, s22, v7
	v_sub_u32_e32 v2, v3, v2
	v_add_u32_e32 v3, v7, v5
	v_mul_lo_u32 v5, v2, s8
	v_mul_lo_u32 v9, v2, s9
	v_lshrrev_b32_e32 v2, s23, v3
	s_add_i32 s38, s38, 4
	v_mul_lo_u32 v3, v2, s21
	s_add_u32 s28, s28, 32
	v_sub_u32_e32 v3, v7, v3
	s_addc_u32 s29, s29, 0
	v_mul_lo_u32 v7, v3, s10
	v_mul_lo_u32 v3, v3, s11
	s_cmp_lg_u32 s36, s38
	v_add3_u32 v12, v9, v4, v3
	v_add3_u32 v4, v5, v1, v7
	s_cbranch_scc1 .LBB257_1109
; %bb.1110:
	v_mov_b32_e32 v1, v12
	s_and_b32 s8, s37, 3
	s_cmp_eq_u32 s8, 0
	s_cbranch_scc0 .LBB257_1114
	s_branch .LBB257_1116
.LBB257_1111:
                                        ; implicit-def: $vgpr12
                                        ; implicit-def: $vgpr4
	s_branch .LBB257_1117
.LBB257_1112:
	v_mov_b32_e32 v12, 0
	s_waitcnt vmcnt(0)
	v_mov_b32_e32 v4, 0
	s_branch .LBB257_1116
.LBB257_1113:
	s_waitcnt vmcnt(0)
	v_mov_b32_e32 v4, 0
                                        ; implicit-def: $vgpr12
	v_mov_b32_e32 v1, v4
	v_mov_b32_e32 v2, v0
	s_and_b32 s8, s37, 3
	s_cmp_eq_u32 s8, 0
	s_cbranch_scc1 .LBB257_1116
.LBB257_1114:
	s_lshl_b32 s4, s36, 3
	s_add_u32 s4, s34, s4
	s_addc_u32 s5, s35, 0
	s_add_u32 s4, s4, 0xc4
	s_addc_u32 s5, s5, 0
	s_mul_i32 s6, s36, 12
	s_add_u32 s6, s34, s6
	s_addc_u32 s7, s35, 0
.LBB257_1115:                           ; =>This Inner Loop Header: Depth=1
	s_load_dwordx2 s[10:11], s[6:7], 0x4
	s_load_dword s9, s[6:7], 0xc
	s_load_dwordx2 s[12:13], s[4:5], 0x0
	v_mov_b32_e32 v10, v1
	s_add_u32 s6, s6, 12
	s_waitcnt lgkmcnt(0)
	v_mul_hi_u32 v1, s11, v2
	v_add_u32_e32 v1, v2, v1
	v_lshrrev_b32_e32 v1, s9, v1
	s_addc_u32 s7, s7, 0
	v_mul_lo_u32 v3, v1, s10
	s_add_u32 s4, s4, 8
	v_sub_u32_e32 v3, v2, v3
	s_addc_u32 s5, s5, 0
	s_add_i32 s8, s8, -1
	v_mad_u64_u32 v[12:13], s[10:11], v3, s13, v[10:11]
	s_cmp_lg_u32 s8, 0
	v_mov_b32_e32 v2, v1
	v_mad_u64_u32 v[4:5], s[10:11], v3, s12, v[4:5]
	v_mov_b32_e32 v1, v12
	s_cbranch_scc1 .LBB257_1115
.LBB257_1116:
	s_cbranch_execnz .LBB257_1119
.LBB257_1117:
	s_load_dwordx4 s[4:7], s[34:35], 0x4
	s_load_dwordx2 s[8:9], s[34:35], 0xc4
	s_cmp_lt_u32 s33, 2
	s_waitcnt lgkmcnt(0)
	v_mul_hi_u32 v1, s5, v0
	v_add_u32_e32 v1, v0, v1
	v_lshrrev_b32_e32 v1, s6, v1
	v_mul_lo_u32 v2, v1, s4
	v_sub_u32_e32 v0, v0, v2
	v_mul_lo_u32 v12, v0, s9
	s_waitcnt vmcnt(0)
	v_mul_lo_u32 v4, v0, s8
	s_cbranch_scc1 .LBB257_1119
; %bb.1118:
	s_load_dwordx4 s[4:7], s[34:35], 0x10
	s_load_dwordx2 s[8:9], s[34:35], 0xcc
	s_waitcnt lgkmcnt(0)
	v_mul_hi_u32 v0, s5, v1
	v_add_u32_e32 v0, v1, v0
	v_lshrrev_b32_e32 v0, s6, v0
	v_mul_lo_u32 v0, v0, s4
	v_sub_u32_e32 v0, v1, v0
	v_mad_u64_u32 v[4:5], s[4:5], v0, s8, v[4:5]
	v_mad_u64_u32 v[12:13], s[4:5], v0, s9, v[12:13]
.LBB257_1119:
	s_and_b64 vcc, exec, s[2:3]
	v_add_u32_e32 v0, 0x100, v8
	s_cbranch_vccnz .LBB257_1125
; %bb.1120:
	s_cmp_lg_u32 s33, 0
	s_mov_b32 s36, 0
	s_cbranch_scc0 .LBB257_1126
; %bb.1121:
	s_min_u32 s37, s72, 15
	s_add_i32 s37, s37, 1
	s_cmp_eq_u32 s72, 2
	s_cbranch_scc1 .LBB257_1127
; %bb.1122:
	s_and_b32 s36, s37, 28
	s_add_u32 s28, s34, 0xc4
	s_addc_u32 s29, s35, 0
	s_mov_b32 s38, 0
	v_mov_b32_e32 v2, 0
	v_mov_b32_e32 v10, 0
	s_mov_b64 s[30:31], s[34:35]
	s_waitcnt vmcnt(0)
	v_mov_b32_e32 v5, v0
.LBB257_1123:                           ; =>This Inner Loop Header: Depth=1
	s_load_dwordx8 s[12:19], s[30:31], 0x4
	s_load_dwordx4 s[20:23], s[30:31], 0x24
	s_load_dwordx8 s[4:11], s[28:29], 0x0
	s_add_u32 s30, s30, 48
	s_addc_u32 s31, s31, 0
	s_waitcnt lgkmcnt(0)
	v_mul_hi_u32 v1, s13, v5
	v_add_u32_e32 v1, v5, v1
	v_lshrrev_b32_e32 v1, s14, v1
	v_mul_lo_u32 v3, v1, s12
	v_mul_hi_u32 v7, s16, v1
	v_sub_u32_e32 v3, v5, v3
	v_add_u32_e32 v5, v1, v7
	v_lshrrev_b32_e32 v5, s17, v5
	v_mul_lo_u32 v8, v5, s15
	v_mul_hi_u32 v9, s19, v5
	v_sub_u32_e32 v1, v1, v8
	v_add_u32_e32 v8, v5, v9
	v_mul_lo_u32 v7, v3, s5
	v_mul_lo_u32 v3, v3, s4
	;; [unrolled: 1-line block ×4, first 2 shown]
	v_lshrrev_b32_e32 v8, s20, v8
	v_add3_u32 v1, v3, v2, v1
	v_add3_u32 v2, v7, v10, v9
	v_mul_lo_u32 v3, v8, s18
	v_mul_hi_u32 v7, s22, v8
	v_sub_u32_e32 v3, v5, v3
	v_add_u32_e32 v5, v8, v7
	v_lshrrev_b32_e32 v5, s23, v5
	s_add_i32 s38, s38, 4
	v_mul_lo_u32 v9, v5, s21
	s_add_u32 s28, s28, 32
	v_sub_u32_e32 v8, v8, v9
	s_addc_u32 s29, s29, 0
	v_mul_lo_u32 v7, v3, s8
	v_mul_lo_u32 v3, v3, s9
	;; [unrolled: 1-line block ×4, first 2 shown]
	s_cmp_lg_u32 s36, s38
	v_add3_u32 v10, v3, v2, v8
	v_add3_u32 v2, v7, v1, v9
	s_cbranch_scc1 .LBB257_1123
; %bb.1124:
	v_mov_b32_e32 v1, v10
	s_and_b32 s8, s37, 3
	s_cmp_eq_u32 s8, 0
	s_cbranch_scc0 .LBB257_1128
	s_branch .LBB257_1130
.LBB257_1125:
                                        ; implicit-def: $vgpr10
                                        ; implicit-def: $vgpr2
	s_branch .LBB257_1131
.LBB257_1126:
	v_mov_b32_e32 v10, 0
	v_mov_b32_e32 v2, 0
	s_branch .LBB257_1130
.LBB257_1127:
	v_mov_b32_e32 v2, 0
                                        ; implicit-def: $vgpr10
	v_mov_b32_e32 v1, v2
	s_waitcnt vmcnt(0)
	v_mov_b32_e32 v5, v0
	s_and_b32 s8, s37, 3
	s_cmp_eq_u32 s8, 0
	s_cbranch_scc1 .LBB257_1130
.LBB257_1128:
	s_lshl_b32 s4, s36, 3
	s_add_u32 s4, s34, s4
	s_addc_u32 s5, s35, 0
	s_add_u32 s4, s4, 0xc4
	s_addc_u32 s5, s5, 0
	s_mul_i32 s6, s36, 12
	s_add_u32 s6, s34, s6
	s_addc_u32 s7, s35, 0
.LBB257_1129:                           ; =>This Inner Loop Header: Depth=1
	s_load_dwordx2 s[10:11], s[6:7], 0x4
	s_load_dword s9, s[6:7], 0xc
	s_load_dwordx2 s[12:13], s[4:5], 0x0
	v_mov_b32_e32 v8, v1
	s_add_u32 s6, s6, 12
	s_waitcnt lgkmcnt(0)
	v_mul_hi_u32 v1, s11, v5
	v_add_u32_e32 v1, v5, v1
	v_lshrrev_b32_e32 v1, s9, v1
	s_addc_u32 s7, s7, 0
	v_mul_lo_u32 v3, v1, s10
	s_add_u32 s4, s4, 8
	v_sub_u32_e32 v3, v5, v3
	s_addc_u32 s5, s5, 0
	s_add_i32 s8, s8, -1
	v_mad_u64_u32 v[10:11], s[10:11], v3, s13, v[8:9]
	s_cmp_lg_u32 s8, 0
	v_mov_b32_e32 v5, v1
	v_mad_u64_u32 v[2:3], s[10:11], v3, s12, v[2:3]
	v_mov_b32_e32 v1, v10
	s_cbranch_scc1 .LBB257_1129
.LBB257_1130:
	s_cbranch_execnz .LBB257_1133
.LBB257_1131:
	s_load_dwordx4 s[4:7], s[34:35], 0x4
	s_load_dwordx2 s[8:9], s[34:35], 0xc4
	s_cmp_lt_u32 s33, 2
	s_waitcnt lgkmcnt(0)
	v_mul_hi_u32 v1, s5, v0
	v_add_u32_e32 v1, v0, v1
	v_lshrrev_b32_e32 v1, s6, v1
	v_mul_lo_u32 v2, v1, s4
	v_sub_u32_e32 v0, v0, v2
	v_mul_lo_u32 v10, v0, s9
	v_mul_lo_u32 v2, v0, s8
	s_cbranch_scc1 .LBB257_1133
; %bb.1132:
	s_load_dwordx4 s[4:7], s[34:35], 0x10
	s_load_dwordx2 s[8:9], s[34:35], 0xcc
	s_waitcnt lgkmcnt(0)
	v_mul_hi_u32 v0, s5, v1
	v_add_u32_e32 v0, v1, v0
	v_lshrrev_b32_e32 v0, s6, v0
	v_mul_lo_u32 v0, v0, s4
	v_sub_u32_e32 v0, v1, v0
	v_mad_u64_u32 v[2:3], s[4:5], v0, s8, v[2:3]
	v_mad_u64_u32 v[10:11], s[4:5], v0, s9, v[10:11]
.LBB257_1133:
	s_and_b64 vcc, exec, s[2:3]
	s_cbranch_vccnz .LBB257_1139
; %bb.1134:
	s_cmp_lg_u32 s33, 0
	s_mov_b32 s30, 0
	s_cbranch_scc0 .LBB257_1140
; %bb.1135:
	s_min_u32 s31, s72, 15
	s_add_i32 s31, s31, 1
	s_cmp_eq_u32 s72, 2
	s_cbranch_scc1 .LBB257_1141
; %bb.1136:
	s_and_b32 s30, s31, 28
	s_add_u32 s2, s34, 0xc4
	s_addc_u32 s3, s35, 0
	s_mov_b32 s36, 0
	v_mov_b32_e32 v0, 0
	v_mov_b32_e32 v8, 0
	s_mov_b64 s[28:29], s[34:35]
	v_mov_b32_e32 v3, v16
.LBB257_1137:                           ; =>This Inner Loop Header: Depth=1
	s_load_dwordx8 s[12:19], s[28:29], 0x4
	s_load_dwordx4 s[20:23], s[28:29], 0x24
	s_load_dwordx8 s[4:11], s[2:3], 0x0
	s_add_u32 s28, s28, 48
	s_addc_u32 s29, s29, 0
	s_waitcnt lgkmcnt(0)
	v_mul_hi_u32 v1, s13, v3
	v_add_u32_e32 v1, v3, v1
	v_lshrrev_b32_e32 v1, s14, v1
	s_waitcnt vmcnt(0)
	v_mul_lo_u32 v5, v1, s12
	v_mul_hi_u32 v7, s16, v1
	v_sub_u32_e32 v3, v3, v5
	v_add_u32_e32 v5, v1, v7
	v_lshrrev_b32_e32 v5, s17, v5
	v_mul_lo_u32 v9, v5, s15
	v_mul_hi_u32 v11, s19, v5
	v_sub_u32_e32 v1, v1, v9
	v_add_u32_e32 v9, v5, v11
	v_mul_lo_u32 v7, v3, s5
	v_mul_lo_u32 v3, v3, s4
	;; [unrolled: 1-line block ×4, first 2 shown]
	v_lshrrev_b32_e32 v9, s20, v9
	v_add3_u32 v0, v3, v0, v1
	v_add3_u32 v1, v7, v8, v11
	v_mul_lo_u32 v3, v9, s18
	v_mul_hi_u32 v7, s22, v9
	v_sub_u32_e32 v3, v5, v3
	v_add_u32_e32 v5, v9, v7
	v_mul_lo_u32 v7, v3, s8
	v_mul_lo_u32 v8, v3, s9
	v_lshrrev_b32_e32 v3, s23, v5
	s_add_i32 s36, s36, 4
	v_mul_lo_u32 v5, v3, s21
	s_add_u32 s2, s2, 32
	v_sub_u32_e32 v5, v9, v5
	s_addc_u32 s3, s3, 0
	v_mul_lo_u32 v9, v5, s10
	v_mul_lo_u32 v5, v5, s11
	s_cmp_lg_u32 s30, s36
	v_add3_u32 v8, v8, v1, v5
	v_add3_u32 v0, v7, v0, v9
	s_cbranch_scc1 .LBB257_1137
; %bb.1138:
	v_mov_b32_e32 v1, v8
	s_and_b32 s6, s31, 3
	s_cmp_eq_u32 s6, 0
	s_cbranch_scc0 .LBB257_1142
	s_branch .LBB257_1144
.LBB257_1139:
                                        ; implicit-def: $vgpr8
                                        ; implicit-def: $vgpr0
	s_branch .LBB257_1145
.LBB257_1140:
	v_mov_b32_e32 v8, 0
	v_mov_b32_e32 v0, 0
	s_branch .LBB257_1144
.LBB257_1141:
	v_mov_b32_e32 v0, 0
                                        ; implicit-def: $vgpr8
	v_mov_b32_e32 v1, v0
	v_mov_b32_e32 v3, v16
	s_and_b32 s6, s31, 3
	s_cmp_eq_u32 s6, 0
	s_cbranch_scc1 .LBB257_1144
.LBB257_1142:
	s_lshl_b32 s2, s30, 3
	s_add_u32 s2, s34, s2
	s_addc_u32 s3, s35, 0
	s_add_u32 s2, s2, 0xc4
	s_addc_u32 s3, s3, 0
	s_mul_i32 s4, s30, 12
	s_add_u32 s4, s34, s4
	s_addc_u32 s5, s35, 0
.LBB257_1143:                           ; =>This Inner Loop Header: Depth=1
	s_load_dwordx2 s[8:9], s[4:5], 0x4
	s_load_dword s7, s[4:5], 0xc
	s_load_dwordx2 s[10:11], s[2:3], 0x0
	v_mov_b32_e32 v8, v1
	s_add_u32 s4, s4, 12
	s_waitcnt lgkmcnt(0)
	v_mul_hi_u32 v1, s9, v3
	v_add_u32_e32 v1, v3, v1
	v_lshrrev_b32_e32 v1, s7, v1
	s_addc_u32 s5, s5, 0
	s_waitcnt vmcnt(0)
	v_mul_lo_u32 v5, v1, s8
	s_add_u32 s2, s2, 8
	v_sub_u32_e32 v5, v3, v5
	s_addc_u32 s3, s3, 0
	s_add_i32 s6, s6, -1
	v_mov_b32_e32 v3, v1
	v_mad_u64_u32 v[8:9], s[8:9], v5, s11, v[8:9]
	v_mad_u64_u32 v[0:1], s[8:9], v5, s10, v[0:1]
	s_cmp_lg_u32 s6, 0
	v_mov_b32_e32 v1, v8
	s_cbranch_scc1 .LBB257_1143
.LBB257_1144:
	s_cbranch_execnz .LBB257_1147
.LBB257_1145:
	s_load_dwordx4 s[4:7], s[34:35], 0x4
	s_load_dwordx2 s[2:3], s[34:35], 0xc4
	s_cmp_lt_u32 s33, 2
	s_waitcnt lgkmcnt(0)
	v_mul_hi_u32 v0, s5, v16
	v_add_u32_e32 v0, v16, v0
	v_lshrrev_b32_e32 v1, s6, v0
	v_mul_lo_u32 v0, v1, s4
	v_sub_u32_e32 v0, v16, v0
	v_mul_lo_u32 v8, v0, s3
	v_mul_lo_u32 v0, v0, s2
	s_cbranch_scc1 .LBB257_1147
; %bb.1146:
	s_load_dwordx4 s[4:7], s[34:35], 0x10
	s_load_dwordx2 s[2:3], s[34:35], 0xcc
	s_waitcnt lgkmcnt(0)
	v_mul_hi_u32 v3, s5, v1
	v_add_u32_e32 v3, v1, v3
	v_lshrrev_b32_e32 v3, s6, v3
	v_mul_lo_u32 v3, v3, s4
	v_sub_u32_e32 v3, v1, v3
	v_mad_u64_u32 v[0:1], s[4:5], v3, s2, v[0:1]
	v_mad_u64_u32 v[8:9], s[2:3], v3, s3, v[8:9]
.LBB257_1147:
	s_load_dword s16, s[0:1], 0x160
	s_load_dwordx4 s[4:7], s[34:35], 0x148
	v_mov_b32_e32 v15, 0
	s_waitcnt lgkmcnt(0)
	s_bfe_u32 s14, s16, 0x80010
	s_cmp_lt_i32 s14, 11
	v_lshl_add_u64 v[14:15], s[6:7], 0, v[14:15]
	s_cbranch_scc1 .LBB257_1154
; %bb.1148:
	s_and_b32 s15, 0xffff, s14
	s_cmp_gt_i32 s15, 25
	s_mov_b64 s[8:9], 0
	s_cbranch_scc0 .LBB257_1156
; %bb.1149:
	s_cmp_gt_i32 s15, 28
	s_cbranch_scc0 .LBB257_1157
; %bb.1150:
	s_cmp_gt_i32 s15, 43
	;; [unrolled: 3-line block ×3, first 2 shown]
	s_cbranch_scc0 .LBB257_1159
; %bb.1152:
	s_cmp_eq_u32 s15, 46
	s_mov_b64 s[2:3], 0
	s_cbranch_scc0 .LBB257_1162
; %bb.1153:
	global_load_dword v1, v[14:15], off
	s_mov_b64 s[0:1], 0
	s_mov_b64 s[10:11], -1
	s_waitcnt vmcnt(0)
	v_lshlrev_b32_e32 v5, 16, v1
	s_branch .LBB257_1163
.LBB257_1154:
	s_mov_b64 s[10:11], 0
                                        ; implicit-def: $vgpr5
	s_mov_b64 s[2:3], s[24:25]
	s_cbranch_execnz .LBB257_1226
.LBB257_1155:
	s_andn2_b64 vcc, exec, s[10:11]
	s_cbranch_vccz .LBB257_1271
	s_branch .LBB257_1541
.LBB257_1156:
	s_mov_b64 s[10:11], 0
	s_mov_b64 s[0:1], 0
                                        ; implicit-def: $vgpr5
	s_cbranch_execnz .LBB257_1191
	s_branch .LBB257_1222
.LBB257_1157:
	s_mov_b64 s[2:3], -1
	s_mov_b64 s[10:11], 0
	s_mov_b64 s[0:1], 0
                                        ; implicit-def: $vgpr5
	s_branch .LBB257_1172
.LBB257_1158:
	s_mov_b64 s[10:11], 0
	s_mov_b64 s[0:1], 0
                                        ; implicit-def: $vgpr5
	s_cbranch_execnz .LBB257_1168
	s_branch .LBB257_1171
.LBB257_1159:
	s_mov_b64 s[2:3], -1
	s_mov_b64 s[10:11], 0
	s_mov_b64 s[0:1], 0
                                        ; implicit-def: $vgpr5
	s_branch .LBB257_1163
.LBB257_1160:
	s_andn2_saveexec_b64 s[12:13], s[12:13]
	s_cbranch_execz .LBB257_1003
.LBB257_1161:
	s_mov_b32 s14, 0x46000000
	v_add_f32_e64 v0, |v4|, s14
	v_and_b32_e32 v0, 0xff, v0
	v_cmp_ne_u32_e32 vcc, 0, v0
	s_andn2_b64 s[10:11], s[10:11], exec
	s_and_b64 s[14:15], vcc, exec
	s_or_b64 s[10:11], s[10:11], s[14:15]
	s_or_b64 exec, exec, s[12:13]
	v_mov_b32_e32 v1, 0
	s_and_saveexec_b64 s[12:13], s[10:11]
	s_cbranch_execnz .LBB257_1004
	s_branch .LBB257_1005
.LBB257_1162:
	s_mov_b64 s[0:1], -1
                                        ; implicit-def: $vgpr5
	s_mov_b64 s[10:11], 0
.LBB257_1163:
	s_and_b64 vcc, exec, s[2:3]
	s_cbranch_vccz .LBB257_1166
; %bb.1164:
	s_cmp_eq_u32 s15, 44
	s_cbranch_scc0 .LBB257_1167
; %bb.1165:
	global_load_ubyte v1, v[14:15], off
	s_movk_i32 s2, 0xff
	v_mov_b32_e32 v3, 0x7f800001
	s_waitcnt vmcnt(1)
	v_mov_b32_e32 v5, 0x400000
	s_mov_b64 s[0:1], 0
	s_mov_b64 s[10:11], -1
	s_waitcnt vmcnt(0)
	v_lshlrev_b32_e32 v7, 23, v1
	v_cmp_ne_u32_e32 vcc, s2, v1
	s_nop 1
	v_cndmask_b32_e32 v3, v3, v7, vcc
	v_cmp_ne_u32_e32 vcc, 0, v1
	s_nop 1
	v_cndmask_b32_e32 v5, v5, v3, vcc
.LBB257_1166:
	s_branch .LBB257_1171
.LBB257_1167:
	s_mov_b64 s[0:1], -1
                                        ; implicit-def: $vgpr5
	s_branch .LBB257_1171
.LBB257_1168:
	s_cmp_eq_u32 s15, 29
	s_cbranch_scc0 .LBB257_1170
; %bb.1169:
	global_load_dwordx2 v[16:17], v[14:15], off
	s_mov_b64 s[0:1], 0
	s_mov_b64 s[10:11], -1
	s_mov_b64 s[2:3], 0
	s_waitcnt vmcnt(0)
	v_ffbh_u32_e32 v1, v17
	v_min_u32_e32 v1, 32, v1
	v_lshlrev_b64 v[16:17], v1, v[16:17]
	v_min_u32_e32 v3, 1, v16
	v_or_b32_e32 v3, v17, v3
	v_cvt_f32_u32_e32 v3, v3
	v_sub_u32_e32 v1, 32, v1
	v_ldexp_f32 v5, v3, v1
	s_branch .LBB257_1172
.LBB257_1170:
	s_mov_b64 s[0:1], -1
                                        ; implicit-def: $vgpr5
.LBB257_1171:
	s_mov_b64 s[2:3], 0
.LBB257_1172:
	s_and_b64 vcc, exec, s[2:3]
	s_cbranch_vccz .LBB257_1190
; %bb.1173:
	s_cmp_lt_i32 s15, 27
	s_cbranch_scc1 .LBB257_1176
; %bb.1174:
	s_cmp_gt_i32 s15, 27
	s_cbranch_scc0 .LBB257_1177
; %bb.1175:
	global_load_dword v1, v[14:15], off
	s_mov_b64 s[2:3], 0
	s_waitcnt vmcnt(0)
	v_cvt_f32_u32_e32 v5, v1
	s_branch .LBB257_1178
.LBB257_1176:
	s_mov_b64 s[2:3], -1
                                        ; implicit-def: $vgpr5
	s_branch .LBB257_1181
.LBB257_1177:
	s_mov_b64 s[2:3], -1
                                        ; implicit-def: $vgpr5
.LBB257_1178:
	s_andn2_b64 vcc, exec, s[2:3]
	s_cbranch_vccnz .LBB257_1180
; %bb.1179:
	global_load_ushort v1, v[14:15], off
	s_waitcnt vmcnt(0)
	v_cvt_f32_u32_e32 v5, v1
.LBB257_1180:
	s_mov_b64 s[2:3], 0
.LBB257_1181:
	s_andn2_b64 vcc, exec, s[2:3]
	s_cbranch_vccnz .LBB257_1189
; %bb.1182:
	global_load_ubyte v1, v[14:15], off
	s_movk_i32 s2, 0x7f
	s_waitcnt vmcnt(0)
	v_cmp_lt_i16_e32 vcc, s2, v1
	s_mov_b64 s[2:3], 0
	s_and_saveexec_b64 s[10:11], vcc
	s_xor_b64 s[10:11], exec, s[10:11]
	s_cbranch_execz .LBB257_1202
; %bb.1183:
	s_movk_i32 s2, 0x80
	v_cmp_eq_u16_e32 vcc, s2, v1
	s_mov_b64 s[2:3], -1
	s_and_saveexec_b64 s[12:13], vcc
; %bb.1184:
	s_xor_b64 s[2:3], exec, -1
; %bb.1185:
	s_or_b64 exec, exec, s[12:13]
	s_and_b64 s[2:3], s[2:3], exec
	s_or_saveexec_b64 s[10:11], s[10:11]
	v_mov_b32_e32 v5, 0x7f800001
	s_xor_b64 exec, exec, s[10:11]
	s_cbranch_execnz .LBB257_1203
.LBB257_1186:
	s_or_b64 exec, exec, s[10:11]
	s_and_saveexec_b64 s[10:11], s[2:3]
	s_cbranch_execz .LBB257_1188
.LBB257_1187:
	v_lshlrev_b32_e32 v3, 24, v1
	v_and_b32_e32 v1, 0xffff, v1
	v_and_b32_e32 v5, 7, v1
	v_ffbh_u32_e32 v9, v5
	v_min_u32_e32 v9, 32, v9
	v_subrev_u32_e32 v11, 28, v9
	v_bfe_u32 v7, v1, 3, 4
	v_lshlrev_b32_e32 v1, v11, v1
	v_sub_u32_e32 v9, 29, v9
	v_and_b32_e32 v1, 7, v1
	v_cmp_eq_u32_e32 vcc, 0, v7
	v_and_b32_e32 v3, 0x80000000, v3
	s_nop 0
	v_cndmask_b32_e32 v7, v7, v9, vcc
	v_cndmask_b32_e32 v1, v5, v1, vcc
	v_mov_b32_e32 v5, 0x3b800000
	v_lshlrev_b32_e32 v1, 20, v1
	v_lshl_add_u32 v5, v7, 23, v5
	v_or3_b32 v5, v3, v5, v1
.LBB257_1188:
	s_or_b64 exec, exec, s[10:11]
.LBB257_1189:
	s_mov_b64 s[10:11], -1
.LBB257_1190:
	s_branch .LBB257_1222
.LBB257_1191:
	s_cmp_gt_i32 s15, 22
	s_cbranch_scc0 .LBB257_1201
; %bb.1192:
	s_cmp_lt_i32 s15, 24
	s_cbranch_scc1 .LBB257_1204
; %bb.1193:
	s_cmp_gt_i32 s15, 24
	s_cbranch_scc0 .LBB257_1205
; %bb.1194:
	global_load_ubyte v1, v[14:15], off
	s_movk_i32 s2, 0x7f
	s_waitcnt vmcnt(0)
	v_cmp_lt_i16_e32 vcc, s2, v1
	s_mov_b64 s[2:3], 0
	s_and_saveexec_b64 s[8:9], vcc
	s_xor_b64 s[8:9], exec, s[8:9]
	s_cbranch_execz .LBB257_1216
; %bb.1195:
	s_movk_i32 s2, 0x80
	v_cmp_eq_u16_e32 vcc, s2, v1
	s_mov_b64 s[2:3], -1
	s_and_saveexec_b64 s[10:11], vcc
; %bb.1196:
	s_xor_b64 s[2:3], exec, -1
; %bb.1197:
	s_or_b64 exec, exec, s[10:11]
	s_and_b64 s[2:3], s[2:3], exec
	s_or_saveexec_b64 s[8:9], s[8:9]
	v_mov_b32_e32 v5, 0x7f800001
	s_xor_b64 exec, exec, s[8:9]
	s_cbranch_execnz .LBB257_1217
.LBB257_1198:
	s_or_b64 exec, exec, s[8:9]
	s_and_saveexec_b64 s[8:9], s[2:3]
	s_cbranch_execz .LBB257_1200
.LBB257_1199:
	v_lshlrev_b32_e32 v3, 24, v1
	v_and_b32_e32 v1, 0xffff, v1
	v_and_b32_e32 v5, 3, v1
	v_ffbh_u32_e32 v9, v5
	v_min_u32_e32 v9, 32, v9
	v_subrev_u32_e32 v11, 29, v9
	v_bfe_u32 v7, v1, 2, 5
	v_lshlrev_b32_e32 v1, v11, v1
	v_sub_u32_e32 v9, 30, v9
	v_and_b32_e32 v1, 3, v1
	v_cmp_eq_u32_e32 vcc, 0, v7
	v_and_b32_e32 v3, 0x80000000, v3
	s_nop 0
	v_cndmask_b32_e32 v7, v7, v9, vcc
	v_cndmask_b32_e32 v1, v5, v1, vcc
	v_mov_b32_e32 v5, 0x37800000
	v_lshlrev_b32_e32 v1, 21, v1
	v_lshl_add_u32 v5, v7, 23, v5
	v_or3_b32 v5, v3, v5, v1
.LBB257_1200:
	s_or_b64 exec, exec, s[8:9]
	s_mov_b64 s[2:3], 0
	s_branch .LBB257_1206
.LBB257_1201:
                                        ; implicit-def: $vgpr5
	s_mov_b64 s[8:9], 0
	s_branch .LBB257_1212
.LBB257_1202:
	s_or_saveexec_b64 s[10:11], s[10:11]
	v_mov_b32_e32 v5, 0x7f800001
	s_xor_b64 exec, exec, s[10:11]
	s_cbranch_execz .LBB257_1186
.LBB257_1203:
	v_cmp_ne_u16_e32 vcc, 0, v1
	s_andn2_b64 s[2:3], s[2:3], exec
	s_and_b64 s[12:13], vcc, exec
	v_mov_b32_e32 v5, 0
	s_or_b64 s[2:3], s[2:3], s[12:13]
	s_or_b64 exec, exec, s[10:11]
	s_and_saveexec_b64 s[10:11], s[2:3]
	s_cbranch_execnz .LBB257_1187
	s_branch .LBB257_1188
.LBB257_1204:
	s_mov_b64 s[2:3], -1
                                        ; implicit-def: $vgpr5
	s_branch .LBB257_1209
.LBB257_1205:
	s_mov_b64 s[2:3], -1
                                        ; implicit-def: $vgpr5
.LBB257_1206:
	s_and_b64 vcc, exec, s[2:3]
	s_cbranch_vccz .LBB257_1208
; %bb.1207:
	global_load_ubyte v1, v[14:15], off
	s_mov_b32 s2, 0x7f800000
	s_waitcnt vmcnt(0)
	v_lshlrev_b32_e32 v1, 24, v1
	v_and_b32_e32 v3, 0x7f000000, v1
	v_ffbh_u32_e32 v5, v3
	v_min_u32_e32 v5, 32, v5
	v_sub_u32_e64 v5, v5, 4 clamp
	v_lshlrev_b32_e32 v9, v5, v3
	v_lshlrev_b32_e32 v5, 23, v5
	v_lshrrev_b32_e32 v9, 4, v9
	v_add_u32_e32 v7, 0x1000000, v3
	v_sub_u32_e32 v5, v9, v5
	v_ashrrev_i32_e32 v7, 8, v7
	v_add_u32_e32 v5, 0x3c000000, v5
	v_and_or_b32 v5, v7, s2, v5
	v_cmp_ne_u32_e32 vcc, 0, v3
	s_brev_b32 s2, 1
	s_nop 0
	v_cndmask_b32_e32 v3, 0, v5, vcc
	v_and_or_b32 v5, v1, s2, v3
.LBB257_1208:
	s_mov_b64 s[2:3], 0
.LBB257_1209:
	s_andn2_b64 vcc, exec, s[2:3]
	s_cbranch_vccnz .LBB257_1211
; %bb.1210:
	global_load_ubyte v1, v[14:15], off
	s_movk_i32 s2, 0x7f00
	s_brev_b32 s3, 16
	s_waitcnt vmcnt(0)
	v_lshlrev_b16_e32 v3, 8, v1
	v_lshlrev_b32_e32 v1, 25, v1
	v_lshrrev_b32_e32 v5, 4, v1
	v_and_or_b32 v7, v3, s2, 0.5
	v_or_b32_e32 v5, 0x70000000, v5
	v_add_f32_e32 v7, -0.5, v7
	v_mul_f32_e32 v5, 0x7800000, v5
	v_cmp_gt_u32_e32 vcc, s3, v1
	v_bfe_i32 v3, v3, 0, 16
	s_brev_b32 s2, 1
	v_cndmask_b32_e32 v1, v5, v7, vcc
	v_and_or_b32 v5, v3, s2, v1
.LBB257_1211:
	s_mov_b64 s[10:11], -1
	s_mov_b64 s[8:9], 0
	s_cbranch_execnz .LBB257_1222
.LBB257_1212:
	s_cmp_gt_i32 s15, 14
	s_cbranch_scc0 .LBB257_1215
; %bb.1213:
	s_cmp_eq_u32 s15, 15
	s_cbranch_scc0 .LBB257_1218
; %bb.1214:
	global_load_ushort v1, v[14:15], off
	s_mov_b64 s[0:1], 0
	s_mov_b64 s[10:11], -1
	s_waitcnt vmcnt(0)
	v_lshlrev_b32_e32 v5, 16, v1
	s_branch .LBB257_1219
.LBB257_1215:
	s_mov_b64 s[2:3], -1
                                        ; implicit-def: $vgpr5
	s_branch .LBB257_1220
.LBB257_1216:
	s_or_saveexec_b64 s[8:9], s[8:9]
	v_mov_b32_e32 v5, 0x7f800001
	s_xor_b64 exec, exec, s[8:9]
	s_cbranch_execz .LBB257_1198
.LBB257_1217:
	v_cmp_ne_u16_e32 vcc, 0, v1
	s_andn2_b64 s[2:3], s[2:3], exec
	s_and_b64 s[10:11], vcc, exec
	v_mov_b32_e32 v5, 0
	s_or_b64 s[2:3], s[2:3], s[10:11]
	s_or_b64 exec, exec, s[8:9]
	s_and_saveexec_b64 s[8:9], s[2:3]
	s_cbranch_execnz .LBB257_1199
	s_branch .LBB257_1200
.LBB257_1218:
	s_mov_b64 s[0:1], -1
                                        ; implicit-def: $vgpr5
.LBB257_1219:
	s_mov_b64 s[2:3], 0
.LBB257_1220:
	s_and_b64 vcc, exec, s[2:3]
	s_cbranch_vccz .LBB257_1222
; %bb.1221:
	s_cmp_lg_u32 s15, 11
	s_mov_b64 s[8:9], -1
	s_cselect_b64 s[0:1], -1, 0
.LBB257_1222:
	s_and_b64 vcc, exec, s[0:1]
	s_mov_b64 s[2:3], s[24:25]
	s_cbranch_vccnz .LBB257_1283
; %bb.1223:
	s_andn2_b64 vcc, exec, s[8:9]
	s_cbranch_vccnz .LBB257_1225
.LBB257_1224:
	global_load_ubyte v1, v[14:15], off
	s_mov_b64 s[10:11], -1
	s_waitcnt vmcnt(0)
	v_cmp_ne_u16_e32 vcc, 0, v1
	s_nop 1
	v_cndmask_b32_e64 v5, 0, 1.0, vcc
.LBB257_1225:
	s_branch .LBB257_1155
.LBB257_1226:
	s_and_b32 s8, 0xffff, s14
	s_cmp_lt_i32 s8, 5
	s_cbranch_scc1 .LBB257_1231
; %bb.1227:
	s_cmp_lt_i32 s8, 8
	s_cbranch_scc1 .LBB257_1232
; %bb.1228:
	;; [unrolled: 3-line block ×3, first 2 shown]
	s_cmp_gt_i32 s8, 9
	s_cbranch_scc0 .LBB257_1234
; %bb.1230:
	global_load_dwordx2 v[16:17], v[14:15], off
	s_mov_b64 s[0:1], 0
	s_waitcnt vmcnt(0)
	v_cvt_f32_f64_e32 v5, v[16:17]
	s_branch .LBB257_1235
.LBB257_1231:
                                        ; implicit-def: $vgpr5
	s_branch .LBB257_1252
.LBB257_1232:
                                        ; implicit-def: $vgpr5
	s_branch .LBB257_1241
.LBB257_1233:
	s_mov_b64 s[0:1], -1
                                        ; implicit-def: $vgpr5
	s_branch .LBB257_1238
.LBB257_1234:
	s_mov_b64 s[0:1], -1
                                        ; implicit-def: $vgpr5
.LBB257_1235:
	s_andn2_b64 vcc, exec, s[0:1]
	s_cbranch_vccnz .LBB257_1237
; %bb.1236:
	global_load_dword v5, v[14:15], off
.LBB257_1237:
	s_mov_b64 s[0:1], 0
.LBB257_1238:
	s_andn2_b64 vcc, exec, s[0:1]
	s_cbranch_vccnz .LBB257_1240
; %bb.1239:
	global_load_dword v1, v[14:15], off
	s_waitcnt vmcnt(0)
	v_cvt_f32_f16_e32 v5, v1
.LBB257_1240:
	s_cbranch_execnz .LBB257_1251
.LBB257_1241:
	s_cmp_lt_i32 s8, 6
	s_cbranch_scc1 .LBB257_1244
; %bb.1242:
	s_cmp_gt_i32 s8, 6
	s_cbranch_scc0 .LBB257_1245
; %bb.1243:
	global_load_dwordx2 v[16:17], v[14:15], off
	s_mov_b64 s[0:1], 0
	s_waitcnt vmcnt(0)
	v_cvt_f32_f64_e32 v5, v[16:17]
	s_branch .LBB257_1246
.LBB257_1244:
	s_mov_b64 s[0:1], -1
                                        ; implicit-def: $vgpr5
	s_branch .LBB257_1249
.LBB257_1245:
	s_mov_b64 s[0:1], -1
                                        ; implicit-def: $vgpr5
.LBB257_1246:
	s_andn2_b64 vcc, exec, s[0:1]
	s_cbranch_vccnz .LBB257_1248
; %bb.1247:
	global_load_dword v5, v[14:15], off
.LBB257_1248:
	s_mov_b64 s[0:1], 0
.LBB257_1249:
	s_andn2_b64 vcc, exec, s[0:1]
	s_cbranch_vccnz .LBB257_1251
; %bb.1250:
	global_load_ushort v1, v[14:15], off
	s_waitcnt vmcnt(0)
	v_cvt_f32_f16_e32 v5, v1
.LBB257_1251:
	s_cbranch_execnz .LBB257_1270
.LBB257_1252:
	s_cmp_lt_i32 s8, 2
	s_cbranch_scc1 .LBB257_1256
; %bb.1253:
	s_cmp_lt_i32 s8, 3
	s_cbranch_scc1 .LBB257_1257
; %bb.1254:
	s_cmp_gt_i32 s8, 3
	s_cbranch_scc0 .LBB257_1258
; %bb.1255:
	global_load_dwordx2 v[16:17], v[14:15], off
	s_mov_b64 s[0:1], 0
	s_waitcnt vmcnt(0)
	v_xor_b32_e32 v3, v16, v17
	v_ffbh_i32_e32 v1, v17
	v_ashrrev_i32_e32 v3, 31, v3
	v_add_u32_e32 v1, -1, v1
	v_add_u32_e32 v3, 32, v3
	v_min_u32_e32 v1, v1, v3
	v_lshlrev_b64 v[16:17], v1, v[16:17]
	v_min_u32_e32 v3, 1, v16
	v_or_b32_e32 v3, v17, v3
	v_cvt_f32_i32_e32 v3, v3
	v_sub_u32_e32 v1, 32, v1
	v_ldexp_f32 v5, v3, v1
	s_branch .LBB257_1259
.LBB257_1256:
                                        ; implicit-def: $vgpr5
	s_branch .LBB257_1265
.LBB257_1257:
	s_mov_b64 s[0:1], -1
                                        ; implicit-def: $vgpr5
	s_branch .LBB257_1262
.LBB257_1258:
	s_mov_b64 s[0:1], -1
                                        ; implicit-def: $vgpr5
.LBB257_1259:
	s_andn2_b64 vcc, exec, s[0:1]
	s_cbranch_vccnz .LBB257_1261
; %bb.1260:
	global_load_dword v1, v[14:15], off
	s_waitcnt vmcnt(0)
	v_cvt_f32_i32_e32 v5, v1
.LBB257_1261:
	s_mov_b64 s[0:1], 0
.LBB257_1262:
	s_andn2_b64 vcc, exec, s[0:1]
	s_cbranch_vccnz .LBB257_1264
; %bb.1263:
	global_load_sshort v1, v[14:15], off
	s_waitcnt vmcnt(0)
	v_cvt_f32_i32_e32 v5, v1
.LBB257_1264:
	s_cbranch_execnz .LBB257_1270
.LBB257_1265:
	s_cmp_gt_i32 s8, 0
	s_cbranch_scc0 .LBB257_1267
; %bb.1266:
	global_load_sbyte v1, v[14:15], off
	s_mov_b64 s[0:1], 0
	s_waitcnt vmcnt(0)
	v_cvt_f32_i32_e32 v5, v1
	s_branch .LBB257_1268
.LBB257_1267:
	s_mov_b64 s[0:1], -1
                                        ; implicit-def: $vgpr5
.LBB257_1268:
	s_andn2_b64 vcc, exec, s[0:1]
	s_cbranch_vccnz .LBB257_1270
; %bb.1269:
	global_load_ubyte v1, v[14:15], off
	s_waitcnt vmcnt(0)
	v_cvt_f32_ubyte0_e32 v5, v1
.LBB257_1270:
.LBB257_1271:
	s_lshr_b32 s0, s16, 16
	v_mov_b32_e32 v13, 0
	s_and_b32 s17, s0, 0xff
	s_cmp_lt_i32 s17, 11
	v_lshl_add_u64 v[12:13], s[6:7], 0, v[12:13]
	s_cbranch_scc1 .LBB257_1278
; %bb.1272:
	s_and_b32 s18, 0xffff, s17
	s_cmp_gt_i32 s18, 25
	s_mov_b64 s[8:9], 0
	s_cbranch_scc0 .LBB257_1280
; %bb.1273:
	s_cmp_gt_i32 s18, 28
	s_cbranch_scc0 .LBB257_1281
; %bb.1274:
	s_cmp_gt_i32 s18, 43
	;; [unrolled: 3-line block ×3, first 2 shown]
	s_cbranch_scc0 .LBB257_1284
; %bb.1276:
	s_cmp_eq_u32 s18, 46
	s_mov_b64 s[12:13], 0
	s_cbranch_scc0 .LBB257_1287
; %bb.1277:
	global_load_dword v1, v[12:13], off
	s_mov_b64 s[0:1], 0
	s_mov_b64 s[10:11], -1
	s_waitcnt vmcnt(0)
	v_lshlrev_b32_e32 v3, 16, v1
	s_branch .LBB257_1288
.LBB257_1278:
	s_mov_b64 s[10:11], 0
                                        ; implicit-def: $vgpr3
	s_cbranch_execnz .LBB257_1353
.LBB257_1279:
	s_andn2_b64 vcc, exec, s[10:11]
	s_cbranch_vccz .LBB257_1400
	s_branch .LBB257_1541
.LBB257_1280:
	s_mov_b64 s[10:11], 0
	s_mov_b64 s[0:1], 0
                                        ; implicit-def: $vgpr3
	s_cbranch_execnz .LBB257_1317
	s_branch .LBB257_1349
.LBB257_1281:
	s_mov_b64 s[12:13], -1
	s_mov_b64 s[10:11], 0
	s_mov_b64 s[0:1], 0
                                        ; implicit-def: $vgpr3
	s_branch .LBB257_1298
.LBB257_1282:
	s_mov_b64 s[12:13], -1
	s_mov_b64 s[10:11], 0
	s_mov_b64 s[0:1], 0
                                        ; implicit-def: $vgpr3
	s_branch .LBB257_1293
.LBB257_1283:
	s_or_b64 s[2:3], s[24:25], exec
	s_trap 2
	s_cbranch_execz .LBB257_1224
	s_branch .LBB257_1225
.LBB257_1284:
	s_mov_b64 s[12:13], -1
	s_mov_b64 s[10:11], 0
	s_mov_b64 s[0:1], 0
                                        ; implicit-def: $vgpr3
	s_branch .LBB257_1288
.LBB257_1285:
	s_andn2_saveexec_b64 s[14:15], s[14:15]
	s_cbranch_execz .LBB257_1015
.LBB257_1286:
	s_mov_b32 s18, 0x42800000
	v_add_f32_e64 v0, |v4|, s18
	v_and_b32_e32 v0, 0xff, v0
	v_cmp_ne_u32_e32 vcc, 0, v0
	s_andn2_b64 s[12:13], s[12:13], exec
	s_and_b64 s[18:19], vcc, exec
	s_or_b64 s[12:13], s[12:13], s[18:19]
	s_or_b64 exec, exec, s[14:15]
	v_mov_b32_e32 v1, 0
	s_and_saveexec_b64 s[14:15], s[12:13]
	s_cbranch_execnz .LBB257_1016
	s_branch .LBB257_1017
.LBB257_1287:
	s_mov_b64 s[0:1], -1
                                        ; implicit-def: $vgpr3
	s_mov_b64 s[10:11], 0
.LBB257_1288:
	s_and_b64 vcc, exec, s[12:13]
	s_cbranch_vccz .LBB257_1292
; %bb.1289:
	s_cmp_eq_u32 s18, 44
	s_cbranch_scc0 .LBB257_1291
; %bb.1290:
	global_load_ubyte v1, v[12:13], off
	s_movk_i32 s10, 0xff
	v_mov_b32_e32 v3, 0x7f800001
	v_mov_b32_e32 v7, 0x400000
	s_mov_b64 s[0:1], 0
	s_waitcnt vmcnt(0)
	v_lshlrev_b32_e32 v9, 23, v1
	v_cmp_ne_u32_e32 vcc, s10, v1
	s_mov_b64 s[10:11], -1
	s_nop 0
	v_cndmask_b32_e32 v3, v3, v9, vcc
	v_cmp_ne_u32_e32 vcc, 0, v1
	s_nop 1
	v_cndmask_b32_e32 v3, v7, v3, vcc
	s_branch .LBB257_1292
.LBB257_1291:
	s_mov_b64 s[0:1], -1
                                        ; implicit-def: $vgpr3
.LBB257_1292:
	s_mov_b64 s[12:13], 0
.LBB257_1293:
	s_and_b64 vcc, exec, s[12:13]
	s_cbranch_vccz .LBB257_1297
; %bb.1294:
	s_cmp_eq_u32 s18, 29
	s_cbranch_scc0 .LBB257_1296
; %bb.1295:
	global_load_dwordx2 v[14:15], v[12:13], off
	s_mov_b64 s[0:1], 0
	s_mov_b64 s[10:11], -1
	s_mov_b64 s[12:13], 0
	s_waitcnt vmcnt(0)
	v_ffbh_u32_e32 v1, v15
	v_min_u32_e32 v1, 32, v1
	v_lshlrev_b64 v[14:15], v1, v[14:15]
	v_min_u32_e32 v3, 1, v14
	v_or_b32_e32 v3, v15, v3
	v_cvt_f32_u32_e32 v3, v3
	v_sub_u32_e32 v1, 32, v1
	v_ldexp_f32 v3, v3, v1
	s_branch .LBB257_1298
.LBB257_1296:
	s_mov_b64 s[0:1], -1
                                        ; implicit-def: $vgpr3
.LBB257_1297:
	s_mov_b64 s[12:13], 0
.LBB257_1298:
	s_and_b64 vcc, exec, s[12:13]
	s_cbranch_vccz .LBB257_1316
; %bb.1299:
	s_cmp_lt_i32 s18, 27
	s_cbranch_scc1 .LBB257_1302
; %bb.1300:
	s_cmp_gt_i32 s18, 27
	s_cbranch_scc0 .LBB257_1303
; %bb.1301:
	global_load_dword v1, v[12:13], off
	s_mov_b64 s[10:11], 0
	s_waitcnt vmcnt(0)
	v_cvt_f32_u32_e32 v3, v1
	s_branch .LBB257_1304
.LBB257_1302:
	s_mov_b64 s[10:11], -1
                                        ; implicit-def: $vgpr3
	s_branch .LBB257_1307
.LBB257_1303:
	s_mov_b64 s[10:11], -1
                                        ; implicit-def: $vgpr3
.LBB257_1304:
	s_andn2_b64 vcc, exec, s[10:11]
	s_cbranch_vccnz .LBB257_1306
; %bb.1305:
	global_load_ushort v1, v[12:13], off
	s_waitcnt vmcnt(0)
	v_cvt_f32_u32_e32 v3, v1
.LBB257_1306:
	s_mov_b64 s[10:11], 0
.LBB257_1307:
	s_andn2_b64 vcc, exec, s[10:11]
	s_cbranch_vccnz .LBB257_1315
; %bb.1308:
	global_load_ubyte v1, v[12:13], off
	s_movk_i32 s10, 0x7f
	s_waitcnt vmcnt(0)
	v_cmp_lt_i16_e32 vcc, s10, v1
	s_mov_b64 s[10:11], 0
	s_and_saveexec_b64 s[12:13], vcc
	s_xor_b64 s[12:13], exec, s[12:13]
	s_cbranch_execz .LBB257_1328
; %bb.1309:
	s_movk_i32 s10, 0x80
	v_cmp_eq_u16_e32 vcc, s10, v1
	s_mov_b64 s[10:11], -1
	s_and_saveexec_b64 s[14:15], vcc
; %bb.1310:
	s_xor_b64 s[10:11], exec, -1
; %bb.1311:
	s_or_b64 exec, exec, s[14:15]
	s_and_b64 s[10:11], s[10:11], exec
	s_or_saveexec_b64 s[12:13], s[12:13]
	v_mov_b32_e32 v3, 0x7f800001
	s_xor_b64 exec, exec, s[12:13]
	s_cbranch_execnz .LBB257_1329
.LBB257_1312:
	s_or_b64 exec, exec, s[12:13]
	s_and_saveexec_b64 s[12:13], s[10:11]
	s_cbranch_execz .LBB257_1314
.LBB257_1313:
	v_lshlrev_b32_e32 v3, 24, v1
	v_and_b32_e32 v1, 0xffff, v1
	v_and_b32_e32 v7, 7, v1
	v_ffbh_u32_e32 v11, v7
	v_min_u32_e32 v11, 32, v11
	v_subrev_u32_e32 v14, 28, v11
	v_bfe_u32 v9, v1, 3, 4
	v_lshlrev_b32_e32 v1, v14, v1
	v_sub_u32_e32 v11, 29, v11
	v_and_b32_e32 v1, 7, v1
	v_cmp_eq_u32_e32 vcc, 0, v9
	v_and_b32_e32 v3, 0x80000000, v3
	s_nop 0
	v_cndmask_b32_e32 v9, v9, v11, vcc
	v_cndmask_b32_e32 v1, v7, v1, vcc
	v_mov_b32_e32 v7, 0x3b800000
	v_lshlrev_b32_e32 v1, 20, v1
	v_lshl_add_u32 v7, v9, 23, v7
	v_or3_b32 v3, v3, v7, v1
.LBB257_1314:
	s_or_b64 exec, exec, s[12:13]
.LBB257_1315:
	s_mov_b64 s[10:11], -1
.LBB257_1316:
	s_branch .LBB257_1349
.LBB257_1317:
	s_cmp_gt_i32 s18, 22
	s_cbranch_scc0 .LBB257_1327
; %bb.1318:
	s_cmp_lt_i32 s18, 24
	s_cbranch_scc1 .LBB257_1330
; %bb.1319:
	s_cmp_gt_i32 s18, 24
	s_cbranch_scc0 .LBB257_1331
; %bb.1320:
	global_load_ubyte v1, v[12:13], off
	s_movk_i32 s8, 0x7f
	s_waitcnt vmcnt(0)
	v_cmp_lt_i16_e32 vcc, s8, v1
	s_mov_b64 s[8:9], 0
	s_and_saveexec_b64 s[10:11], vcc
	s_xor_b64 s[10:11], exec, s[10:11]
	s_cbranch_execz .LBB257_1343
; %bb.1321:
	s_movk_i32 s8, 0x80
	v_cmp_eq_u16_e32 vcc, s8, v1
	s_mov_b64 s[8:9], -1
	s_and_saveexec_b64 s[12:13], vcc
; %bb.1322:
	s_xor_b64 s[8:9], exec, -1
; %bb.1323:
	s_or_b64 exec, exec, s[12:13]
	s_and_b64 s[8:9], s[8:9], exec
	s_or_saveexec_b64 s[10:11], s[10:11]
	v_mov_b32_e32 v3, 0x7f800001
	s_xor_b64 exec, exec, s[10:11]
	s_cbranch_execnz .LBB257_1344
.LBB257_1324:
	s_or_b64 exec, exec, s[10:11]
	s_and_saveexec_b64 s[10:11], s[8:9]
	s_cbranch_execz .LBB257_1326
.LBB257_1325:
	v_lshlrev_b32_e32 v3, 24, v1
	v_and_b32_e32 v1, 0xffff, v1
	v_and_b32_e32 v7, 3, v1
	v_ffbh_u32_e32 v11, v7
	v_min_u32_e32 v11, 32, v11
	v_subrev_u32_e32 v14, 29, v11
	v_bfe_u32 v9, v1, 2, 5
	v_lshlrev_b32_e32 v1, v14, v1
	v_sub_u32_e32 v11, 30, v11
	v_and_b32_e32 v1, 3, v1
	v_cmp_eq_u32_e32 vcc, 0, v9
	v_and_b32_e32 v3, 0x80000000, v3
	s_nop 0
	v_cndmask_b32_e32 v9, v9, v11, vcc
	v_cndmask_b32_e32 v1, v7, v1, vcc
	v_mov_b32_e32 v7, 0x37800000
	v_lshlrev_b32_e32 v1, 21, v1
	v_lshl_add_u32 v7, v9, 23, v7
	v_or3_b32 v3, v3, v7, v1
.LBB257_1326:
	s_or_b64 exec, exec, s[10:11]
	s_mov_b64 s[8:9], 0
	s_branch .LBB257_1332
.LBB257_1327:
	s_mov_b64 s[8:9], -1
                                        ; implicit-def: $vgpr3
	s_branch .LBB257_1338
.LBB257_1328:
	s_or_saveexec_b64 s[12:13], s[12:13]
	v_mov_b32_e32 v3, 0x7f800001
	s_xor_b64 exec, exec, s[12:13]
	s_cbranch_execz .LBB257_1312
.LBB257_1329:
	v_cmp_ne_u16_e32 vcc, 0, v1
	s_andn2_b64 s[10:11], s[10:11], exec
	s_and_b64 s[14:15], vcc, exec
	v_mov_b32_e32 v3, 0
	s_or_b64 s[10:11], s[10:11], s[14:15]
	s_or_b64 exec, exec, s[12:13]
	s_and_saveexec_b64 s[12:13], s[10:11]
	s_cbranch_execnz .LBB257_1313
	s_branch .LBB257_1314
.LBB257_1330:
	s_mov_b64 s[8:9], -1
                                        ; implicit-def: $vgpr3
	s_branch .LBB257_1335
.LBB257_1331:
	s_mov_b64 s[8:9], -1
                                        ; implicit-def: $vgpr3
.LBB257_1332:
	s_and_b64 vcc, exec, s[8:9]
	s_cbranch_vccz .LBB257_1334
; %bb.1333:
	global_load_ubyte v1, v[12:13], off
	s_mov_b32 s8, 0x7f800000
	s_waitcnt vmcnt(0)
	v_lshlrev_b32_e32 v1, 24, v1
	v_and_b32_e32 v3, 0x7f000000, v1
	v_ffbh_u32_e32 v7, v3
	v_min_u32_e32 v7, 32, v7
	v_sub_u32_e64 v7, v7, 4 clamp
	v_lshlrev_b32_e32 v11, v7, v3
	v_lshlrev_b32_e32 v7, 23, v7
	v_lshrrev_b32_e32 v11, 4, v11
	v_add_u32_e32 v9, 0x1000000, v3
	v_sub_u32_e32 v7, v11, v7
	v_ashrrev_i32_e32 v9, 8, v9
	v_add_u32_e32 v7, 0x3c000000, v7
	v_and_or_b32 v7, v9, s8, v7
	v_cmp_ne_u32_e32 vcc, 0, v3
	s_brev_b32 s8, 1
	s_nop 0
	v_cndmask_b32_e32 v3, 0, v7, vcc
	v_and_or_b32 v3, v1, s8, v3
.LBB257_1334:
	s_mov_b64 s[8:9], 0
.LBB257_1335:
	s_andn2_b64 vcc, exec, s[8:9]
	s_cbranch_vccnz .LBB257_1337
; %bb.1336:
	global_load_ubyte v1, v[12:13], off
	s_movk_i32 s8, 0x7f00
	s_brev_b32 s9, 16
	s_waitcnt vmcnt(0)
	v_lshlrev_b16_e32 v3, 8, v1
	v_lshlrev_b32_e32 v1, 25, v1
	v_lshrrev_b32_e32 v7, 4, v1
	v_and_or_b32 v9, v3, s8, 0.5
	v_or_b32_e32 v7, 0x70000000, v7
	v_add_f32_e32 v9, -0.5, v9
	v_mul_f32_e32 v7, 0x7800000, v7
	v_cmp_gt_u32_e32 vcc, s9, v1
	v_bfe_i32 v3, v3, 0, 16
	s_brev_b32 s8, 1
	v_cndmask_b32_e32 v1, v7, v9, vcc
	v_and_or_b32 v3, v3, s8, v1
.LBB257_1337:
	s_mov_b64 s[8:9], 0
	s_mov_b64 s[10:11], -1
.LBB257_1338:
	s_andn2_b64 vcc, exec, s[8:9]
	s_mov_b64 s[8:9], 0
	s_cbranch_vccnz .LBB257_1349
; %bb.1339:
	s_cmp_gt_i32 s18, 14
	s_cbranch_scc0 .LBB257_1342
; %bb.1340:
	s_cmp_eq_u32 s18, 15
	s_cbranch_scc0 .LBB257_1345
; %bb.1341:
	global_load_ushort v1, v[12:13], off
	s_mov_b64 s[0:1], 0
	s_mov_b64 s[10:11], -1
	s_waitcnt vmcnt(0)
	v_lshlrev_b32_e32 v3, 16, v1
	s_branch .LBB257_1346
.LBB257_1342:
	s_mov_b64 s[12:13], -1
                                        ; implicit-def: $vgpr3
	s_branch .LBB257_1347
.LBB257_1343:
	s_or_saveexec_b64 s[10:11], s[10:11]
	v_mov_b32_e32 v3, 0x7f800001
	s_xor_b64 exec, exec, s[10:11]
	s_cbranch_execz .LBB257_1324
.LBB257_1344:
	v_cmp_ne_u16_e32 vcc, 0, v1
	s_andn2_b64 s[8:9], s[8:9], exec
	s_and_b64 s[12:13], vcc, exec
	v_mov_b32_e32 v3, 0
	s_or_b64 s[8:9], s[8:9], s[12:13]
	s_or_b64 exec, exec, s[10:11]
	s_and_saveexec_b64 s[10:11], s[8:9]
	s_cbranch_execnz .LBB257_1325
	s_branch .LBB257_1326
.LBB257_1345:
	s_mov_b64 s[0:1], -1
                                        ; implicit-def: $vgpr3
.LBB257_1346:
	s_mov_b64 s[12:13], 0
.LBB257_1347:
	s_and_b64 vcc, exec, s[12:13]
	s_cbranch_vccz .LBB257_1349
; %bb.1348:
	s_cmp_lg_u32 s18, 11
	s_mov_b64 s[8:9], -1
	s_cselect_b64 s[0:1], -1, 0
.LBB257_1349:
	s_and_b64 vcc, exec, s[0:1]
	s_cbranch_vccnz .LBB257_1422
; %bb.1350:
	s_andn2_b64 vcc, exec, s[8:9]
	s_cbranch_vccnz .LBB257_1352
.LBB257_1351:
	global_load_ubyte v1, v[12:13], off
	s_mov_b64 s[10:11], -1
	s_waitcnt vmcnt(0)
	v_cmp_ne_u16_e32 vcc, 0, v1
	s_nop 1
	v_cndmask_b32_e64 v3, 0, 1.0, vcc
.LBB257_1352:
	s_branch .LBB257_1279
.LBB257_1353:
	s_and_b32 s8, 0xffff, s17
	s_cmp_lt_i32 s8, 5
	s_cbranch_scc1 .LBB257_1358
; %bb.1354:
	s_cmp_lt_i32 s8, 8
	s_cbranch_scc1 .LBB257_1359
; %bb.1355:
	;; [unrolled: 3-line block ×3, first 2 shown]
	s_cmp_gt_i32 s8, 9
	s_cbranch_scc0 .LBB257_1361
; %bb.1357:
	global_load_dwordx2 v[14:15], v[12:13], off
	s_mov_b64 s[0:1], 0
	s_waitcnt vmcnt(0)
	v_cvt_f32_f64_e32 v3, v[14:15]
	s_branch .LBB257_1362
.LBB257_1358:
                                        ; implicit-def: $vgpr3
	s_branch .LBB257_1380
.LBB257_1359:
	s_mov_b64 s[0:1], -1
                                        ; implicit-def: $vgpr3
	s_branch .LBB257_1368
.LBB257_1360:
	s_mov_b64 s[0:1], -1
                                        ; implicit-def: $vgpr3
	s_branch .LBB257_1365
.LBB257_1361:
	s_mov_b64 s[0:1], -1
                                        ; implicit-def: $vgpr3
.LBB257_1362:
	s_andn2_b64 vcc, exec, s[0:1]
	s_cbranch_vccnz .LBB257_1364
; %bb.1363:
	global_load_dword v3, v[12:13], off
.LBB257_1364:
	s_mov_b64 s[0:1], 0
.LBB257_1365:
	s_andn2_b64 vcc, exec, s[0:1]
	s_cbranch_vccnz .LBB257_1367
; %bb.1366:
	global_load_dword v1, v[12:13], off
	s_waitcnt vmcnt(0)
	v_cvt_f32_f16_e32 v3, v1
.LBB257_1367:
	s_mov_b64 s[0:1], 0
.LBB257_1368:
	s_andn2_b64 vcc, exec, s[0:1]
	s_cbranch_vccnz .LBB257_1379
; %bb.1369:
	s_cmp_lt_i32 s8, 6
	s_cbranch_scc1 .LBB257_1372
; %bb.1370:
	s_cmp_gt_i32 s8, 6
	s_cbranch_scc0 .LBB257_1373
; %bb.1371:
	global_load_dwordx2 v[14:15], v[12:13], off
	s_mov_b64 s[0:1], 0
	s_waitcnt vmcnt(0)
	v_cvt_f32_f64_e32 v3, v[14:15]
	s_branch .LBB257_1374
.LBB257_1372:
	s_mov_b64 s[0:1], -1
                                        ; implicit-def: $vgpr3
	s_branch .LBB257_1377
.LBB257_1373:
	s_mov_b64 s[0:1], -1
                                        ; implicit-def: $vgpr3
.LBB257_1374:
	s_andn2_b64 vcc, exec, s[0:1]
	s_cbranch_vccnz .LBB257_1376
; %bb.1375:
	global_load_dword v3, v[12:13], off
.LBB257_1376:
	s_mov_b64 s[0:1], 0
.LBB257_1377:
	s_andn2_b64 vcc, exec, s[0:1]
	s_cbranch_vccnz .LBB257_1379
; %bb.1378:
	global_load_ushort v1, v[12:13], off
	s_waitcnt vmcnt(0)
	v_cvt_f32_f16_e32 v3, v1
.LBB257_1379:
	s_cbranch_execnz .LBB257_1399
.LBB257_1380:
	s_cmp_lt_i32 s8, 2
	s_cbranch_scc1 .LBB257_1384
; %bb.1381:
	s_cmp_lt_i32 s8, 3
	s_cbranch_scc1 .LBB257_1385
; %bb.1382:
	s_cmp_gt_i32 s8, 3
	s_cbranch_scc0 .LBB257_1386
; %bb.1383:
	global_load_dwordx2 v[14:15], v[12:13], off
	s_mov_b64 s[0:1], 0
	s_waitcnt vmcnt(0)
	v_xor_b32_e32 v3, v14, v15
	v_ffbh_i32_e32 v1, v15
	v_ashrrev_i32_e32 v3, 31, v3
	v_add_u32_e32 v1, -1, v1
	v_add_u32_e32 v3, 32, v3
	v_min_u32_e32 v1, v1, v3
	v_lshlrev_b64 v[14:15], v1, v[14:15]
	v_min_u32_e32 v3, 1, v14
	v_or_b32_e32 v3, v15, v3
	v_cvt_f32_i32_e32 v3, v3
	v_sub_u32_e32 v1, 32, v1
	v_ldexp_f32 v3, v3, v1
	s_branch .LBB257_1387
.LBB257_1384:
	s_mov_b64 s[0:1], -1
                                        ; implicit-def: $vgpr3
	s_branch .LBB257_1393
.LBB257_1385:
	s_mov_b64 s[0:1], -1
                                        ; implicit-def: $vgpr3
	s_branch .LBB257_1390
.LBB257_1386:
	s_mov_b64 s[0:1], -1
                                        ; implicit-def: $vgpr3
.LBB257_1387:
	s_andn2_b64 vcc, exec, s[0:1]
	s_cbranch_vccnz .LBB257_1389
; %bb.1388:
	global_load_dword v1, v[12:13], off
	s_waitcnt vmcnt(0)
	v_cvt_f32_i32_e32 v3, v1
.LBB257_1389:
	s_mov_b64 s[0:1], 0
.LBB257_1390:
	s_andn2_b64 vcc, exec, s[0:1]
	s_cbranch_vccnz .LBB257_1392
; %bb.1391:
	global_load_sshort v1, v[12:13], off
	s_waitcnt vmcnt(0)
	v_cvt_f32_i32_e32 v3, v1
.LBB257_1392:
	s_mov_b64 s[0:1], 0
.LBB257_1393:
	s_andn2_b64 vcc, exec, s[0:1]
	s_cbranch_vccnz .LBB257_1399
; %bb.1394:
	s_cmp_gt_i32 s8, 0
	s_cbranch_scc0 .LBB257_1396
; %bb.1395:
	global_load_sbyte v1, v[12:13], off
	s_mov_b64 s[0:1], 0
	s_waitcnt vmcnt(0)
	v_cvt_f32_i32_e32 v3, v1
	s_branch .LBB257_1397
.LBB257_1396:
	s_mov_b64 s[0:1], -1
                                        ; implicit-def: $vgpr3
.LBB257_1397:
	s_andn2_b64 vcc, exec, s[0:1]
	s_cbranch_vccnz .LBB257_1399
; %bb.1398:
	global_load_ubyte v1, v[12:13], off
	s_waitcnt vmcnt(0)
	v_cvt_f32_ubyte0_e32 v3, v1
.LBB257_1399:
.LBB257_1400:
	v_mov_b32_e32 v11, 0
	s_cmp_lt_i32 s17, 11
	v_lshl_add_u64 v[10:11], s[6:7], 0, v[10:11]
	s_cbranch_scc1 .LBB257_1407
; %bb.1401:
	s_and_b32 s18, 0xffff, s17
	s_cmp_gt_i32 s18, 25
	s_mov_b64 s[8:9], 0
	s_cbranch_scc0 .LBB257_1416
; %bb.1402:
	s_cmp_gt_i32 s18, 28
	s_cbranch_scc0 .LBB257_1418
; %bb.1403:
	s_cmp_gt_i32 s18, 43
	;; [unrolled: 3-line block ×3, first 2 shown]
	s_cbranch_scc0 .LBB257_1423
; %bb.1405:
	s_cmp_eq_u32 s18, 46
	s_mov_b64 s[12:13], 0
	s_cbranch_scc0 .LBB257_1425
; %bb.1406:
	global_load_dword v1, v[10:11], off
	s_mov_b64 s[0:1], 0
	s_mov_b64 s[10:11], -1
	s_waitcnt vmcnt(0)
	v_lshlrev_b32_e32 v1, 16, v1
	s_branch .LBB257_1426
.LBB257_1407:
	s_mov_b64 s[10:11], 0
                                        ; implicit-def: $vgpr1
	s_cbranch_execnz .LBB257_1493
.LBB257_1408:
	s_andn2_b64 vcc, exec, s[10:11]
	s_cbranch_vccnz .LBB257_1541
.LBB257_1409:
	v_mov_b32_e32 v9, 0
	s_cmp_lt_i32 s17, 11
	v_lshl_add_u64 v[8:9], s[6:7], 0, v[8:9]
	s_cbranch_scc1 .LBB257_1417
; %bb.1410:
	s_and_b32 s14, 0xffff, s17
	s_cmp_gt_i32 s14, 25
	s_mov_b64 s[6:7], 0
	s_cbranch_scc0 .LBB257_1419
; %bb.1411:
	s_cmp_gt_i32 s14, 28
	s_cbranch_scc0 .LBB257_1421
; %bb.1412:
	s_cmp_gt_i32 s14, 43
	;; [unrolled: 3-line block ×3, first 2 shown]
	s_cbranch_scc0 .LBB257_1429
; %bb.1414:
	s_cmp_eq_u32 s14, 46
	s_mov_b64 s[10:11], 0
	s_cbranch_scc0 .LBB257_1588
; %bb.1415:
	global_load_dword v7, v[8:9], off
	s_mov_b64 s[0:1], 0
	s_mov_b64 s[8:9], -1
	s_waitcnt vmcnt(0)
	v_lshlrev_b32_e32 v10, 16, v7
	s_branch .LBB257_1589
.LBB257_1416:
	s_mov_b64 s[12:13], -1
	s_mov_b64 s[10:11], 0
	s_mov_b64 s[0:1], 0
                                        ; implicit-def: $vgpr1
	s_branch .LBB257_1456
.LBB257_1417:
	s_mov_b64 s[0:1], -1
	s_mov_b64 s[8:9], 0
                                        ; implicit-def: $vgpr10
	s_branch .LBB257_1655
.LBB257_1418:
	s_mov_b64 s[12:13], -1
	s_mov_b64 s[10:11], 0
	s_mov_b64 s[0:1], 0
                                        ; implicit-def: $vgpr1
	s_branch .LBB257_1437
.LBB257_1419:
	s_mov_b64 s[10:11], -1
	s_mov_b64 s[8:9], 0
	s_mov_b64 s[0:1], 0
                                        ; implicit-def: $vgpr10
	s_branch .LBB257_1618
.LBB257_1420:
	s_mov_b64 s[12:13], -1
	s_mov_b64 s[10:11], 0
	s_mov_b64 s[0:1], 0
                                        ; implicit-def: $vgpr1
	s_branch .LBB257_1432
.LBB257_1421:
	s_mov_b64 s[10:11], -1
	s_mov_b64 s[8:9], 0
	s_mov_b64 s[0:1], 0
                                        ; implicit-def: $vgpr10
	s_branch .LBB257_1599
.LBB257_1422:
	s_trap 2
	s_or_b64 s[2:3], s[2:3], exec
	s_cbranch_execz .LBB257_1351
	s_branch .LBB257_1352
.LBB257_1423:
	s_mov_b64 s[12:13], -1
	s_mov_b64 s[10:11], 0
	s_mov_b64 s[0:1], 0
                                        ; implicit-def: $vgpr1
	s_branch .LBB257_1426
.LBB257_1424:
	s_mov_b64 s[10:11], -1
	s_mov_b64 s[8:9], 0
	s_mov_b64 s[0:1], 0
                                        ; implicit-def: $vgpr10
	s_branch .LBB257_1594
.LBB257_1425:
	s_mov_b64 s[0:1], -1
                                        ; implicit-def: $vgpr1
	s_mov_b64 s[10:11], 0
.LBB257_1426:
	s_and_b64 vcc, exec, s[12:13]
	s_cbranch_vccz .LBB257_1431
; %bb.1427:
	s_cmp_eq_u32 s18, 44
	s_cbranch_scc0 .LBB257_1430
; %bb.1428:
	global_load_ubyte v1, v[10:11], off
	s_movk_i32 s10, 0xff
	v_mov_b32_e32 v7, 0x7f800001
	v_mov_b32_e32 v9, 0x400000
	s_mov_b64 s[0:1], 0
	s_waitcnt vmcnt(0)
	v_lshlrev_b32_e32 v12, 23, v1
	v_cmp_ne_u32_e32 vcc, s10, v1
	s_mov_b64 s[10:11], -1
	s_nop 0
	v_cndmask_b32_e32 v7, v7, v12, vcc
	v_cmp_ne_u32_e32 vcc, 0, v1
	s_nop 1
	v_cndmask_b32_e32 v1, v9, v7, vcc
	s_branch .LBB257_1431
.LBB257_1429:
	s_mov_b64 s[10:11], -1
	s_mov_b64 s[8:9], 0
	s_mov_b64 s[0:1], 0
                                        ; implicit-def: $vgpr10
	s_branch .LBB257_1589
.LBB257_1430:
	s_mov_b64 s[0:1], -1
                                        ; implicit-def: $vgpr1
.LBB257_1431:
	s_mov_b64 s[12:13], 0
.LBB257_1432:
	s_and_b64 vcc, exec, s[12:13]
	s_cbranch_vccz .LBB257_1436
; %bb.1433:
	s_cmp_eq_u32 s18, 29
	s_cbranch_scc0 .LBB257_1435
; %bb.1434:
	global_load_dwordx2 v[12:13], v[10:11], off
	s_mov_b64 s[0:1], 0
	s_mov_b64 s[10:11], -1
	s_mov_b64 s[12:13], 0
	s_waitcnt vmcnt(0)
	v_ffbh_u32_e32 v1, v13
	v_min_u32_e32 v1, 32, v1
	v_lshlrev_b64 v[12:13], v1, v[12:13]
	v_min_u32_e32 v7, 1, v12
	v_or_b32_e32 v7, v13, v7
	v_cvt_f32_u32_e32 v7, v7
	v_sub_u32_e32 v1, 32, v1
	v_ldexp_f32 v1, v7, v1
	s_branch .LBB257_1437
.LBB257_1435:
	s_mov_b64 s[0:1], -1
                                        ; implicit-def: $vgpr1
.LBB257_1436:
	s_mov_b64 s[12:13], 0
.LBB257_1437:
	s_and_b64 vcc, exec, s[12:13]
	s_cbranch_vccz .LBB257_1455
; %bb.1438:
	s_cmp_lt_i32 s18, 27
	s_cbranch_scc1 .LBB257_1441
; %bb.1439:
	s_cmp_gt_i32 s18, 27
	s_cbranch_scc0 .LBB257_1442
; %bb.1440:
	global_load_dword v1, v[10:11], off
	s_mov_b64 s[10:11], 0
	s_waitcnt vmcnt(0)
	v_cvt_f32_u32_e32 v1, v1
	s_branch .LBB257_1443
.LBB257_1441:
	s_mov_b64 s[10:11], -1
                                        ; implicit-def: $vgpr1
	s_branch .LBB257_1446
.LBB257_1442:
	s_mov_b64 s[10:11], -1
                                        ; implicit-def: $vgpr1
.LBB257_1443:
	s_andn2_b64 vcc, exec, s[10:11]
	s_cbranch_vccnz .LBB257_1445
; %bb.1444:
	global_load_ushort v1, v[10:11], off
	s_waitcnt vmcnt(0)
	v_cvt_f32_u32_e32 v1, v1
.LBB257_1445:
	s_mov_b64 s[10:11], 0
.LBB257_1446:
	s_andn2_b64 vcc, exec, s[10:11]
	s_cbranch_vccnz .LBB257_1454
; %bb.1447:
	global_load_ubyte v7, v[10:11], off
	s_movk_i32 s10, 0x7f
	s_waitcnt vmcnt(0)
	v_cmp_lt_i16_e32 vcc, s10, v7
	s_mov_b64 s[10:11], 0
	s_and_saveexec_b64 s[12:13], vcc
	s_xor_b64 s[12:13], exec, s[12:13]
	s_cbranch_execz .LBB257_1468
; %bb.1448:
	s_movk_i32 s10, 0x80
	v_cmp_eq_u16_e32 vcc, s10, v7
	s_mov_b64 s[10:11], -1
	s_and_saveexec_b64 s[14:15], vcc
; %bb.1449:
	s_xor_b64 s[10:11], exec, -1
; %bb.1450:
	s_or_b64 exec, exec, s[14:15]
	s_and_b64 s[10:11], s[10:11], exec
	s_or_saveexec_b64 s[12:13], s[12:13]
	v_mov_b32_e32 v1, 0x7f800001
	s_xor_b64 exec, exec, s[12:13]
	s_cbranch_execnz .LBB257_1469
.LBB257_1451:
	s_or_b64 exec, exec, s[12:13]
	s_and_saveexec_b64 s[12:13], s[10:11]
	s_cbranch_execz .LBB257_1453
.LBB257_1452:
	v_lshlrev_b32_e32 v1, 24, v7
	v_and_b32_e32 v7, 0xffff, v7
	v_and_b32_e32 v9, 7, v7
	v_ffbh_u32_e32 v13, v9
	v_min_u32_e32 v13, 32, v13
	v_subrev_u32_e32 v14, 28, v13
	v_bfe_u32 v12, v7, 3, 4
	v_lshlrev_b32_e32 v7, v14, v7
	v_sub_u32_e32 v13, 29, v13
	v_and_b32_e32 v7, 7, v7
	v_cmp_eq_u32_e32 vcc, 0, v12
	v_and_b32_e32 v1, 0x80000000, v1
	s_nop 0
	v_cndmask_b32_e32 v12, v12, v13, vcc
	v_cndmask_b32_e32 v7, v9, v7, vcc
	v_mov_b32_e32 v9, 0x3b800000
	v_lshlrev_b32_e32 v7, 20, v7
	v_lshl_add_u32 v9, v12, 23, v9
	v_or3_b32 v1, v1, v9, v7
.LBB257_1453:
	s_or_b64 exec, exec, s[12:13]
.LBB257_1454:
	s_mov_b64 s[10:11], -1
.LBB257_1455:
	s_mov_b64 s[12:13], 0
.LBB257_1456:
	s_and_b64 vcc, exec, s[12:13]
	s_cbranch_vccz .LBB257_1489
; %bb.1457:
	s_cmp_gt_i32 s18, 22
	s_cbranch_scc0 .LBB257_1467
; %bb.1458:
	s_cmp_lt_i32 s18, 24
	s_cbranch_scc1 .LBB257_1470
; %bb.1459:
	s_cmp_gt_i32 s18, 24
	s_cbranch_scc0 .LBB257_1471
; %bb.1460:
	global_load_ubyte v7, v[10:11], off
	s_movk_i32 s8, 0x7f
	s_waitcnt vmcnt(0)
	v_cmp_lt_i16_e32 vcc, s8, v7
	s_mov_b64 s[8:9], 0
	s_and_saveexec_b64 s[10:11], vcc
	s_xor_b64 s[10:11], exec, s[10:11]
	s_cbranch_execz .LBB257_1483
; %bb.1461:
	s_movk_i32 s8, 0x80
	v_cmp_eq_u16_e32 vcc, s8, v7
	s_mov_b64 s[8:9], -1
	s_and_saveexec_b64 s[12:13], vcc
; %bb.1462:
	s_xor_b64 s[8:9], exec, -1
; %bb.1463:
	s_or_b64 exec, exec, s[12:13]
	s_and_b64 s[8:9], s[8:9], exec
	s_or_saveexec_b64 s[10:11], s[10:11]
	v_mov_b32_e32 v1, 0x7f800001
	s_xor_b64 exec, exec, s[10:11]
	s_cbranch_execnz .LBB257_1484
.LBB257_1464:
	s_or_b64 exec, exec, s[10:11]
	s_and_saveexec_b64 s[10:11], s[8:9]
	s_cbranch_execz .LBB257_1466
.LBB257_1465:
	v_lshlrev_b32_e32 v1, 24, v7
	v_and_b32_e32 v7, 0xffff, v7
	v_and_b32_e32 v9, 3, v7
	v_ffbh_u32_e32 v13, v9
	v_min_u32_e32 v13, 32, v13
	v_subrev_u32_e32 v14, 29, v13
	v_bfe_u32 v12, v7, 2, 5
	v_lshlrev_b32_e32 v7, v14, v7
	v_sub_u32_e32 v13, 30, v13
	v_and_b32_e32 v7, 3, v7
	v_cmp_eq_u32_e32 vcc, 0, v12
	v_and_b32_e32 v1, 0x80000000, v1
	s_nop 0
	v_cndmask_b32_e32 v12, v12, v13, vcc
	v_cndmask_b32_e32 v7, v9, v7, vcc
	v_mov_b32_e32 v9, 0x37800000
	v_lshlrev_b32_e32 v7, 21, v7
	v_lshl_add_u32 v9, v12, 23, v9
	v_or3_b32 v1, v1, v9, v7
.LBB257_1466:
	s_or_b64 exec, exec, s[10:11]
	s_mov_b64 s[8:9], 0
	s_branch .LBB257_1472
.LBB257_1467:
	s_mov_b64 s[8:9], -1
                                        ; implicit-def: $vgpr1
	s_branch .LBB257_1478
.LBB257_1468:
	s_or_saveexec_b64 s[12:13], s[12:13]
	v_mov_b32_e32 v1, 0x7f800001
	s_xor_b64 exec, exec, s[12:13]
	s_cbranch_execz .LBB257_1451
.LBB257_1469:
	v_cmp_ne_u16_e32 vcc, 0, v7
	s_andn2_b64 s[10:11], s[10:11], exec
	s_and_b64 s[14:15], vcc, exec
	v_mov_b32_e32 v1, 0
	s_or_b64 s[10:11], s[10:11], s[14:15]
	s_or_b64 exec, exec, s[12:13]
	s_and_saveexec_b64 s[12:13], s[10:11]
	s_cbranch_execnz .LBB257_1452
	s_branch .LBB257_1453
.LBB257_1470:
	s_mov_b64 s[8:9], -1
                                        ; implicit-def: $vgpr1
	s_branch .LBB257_1475
.LBB257_1471:
	s_mov_b64 s[8:9], -1
                                        ; implicit-def: $vgpr1
.LBB257_1472:
	s_and_b64 vcc, exec, s[8:9]
	s_cbranch_vccz .LBB257_1474
; %bb.1473:
	global_load_ubyte v1, v[10:11], off
	s_mov_b32 s8, 0x7f800000
	s_waitcnt vmcnt(0)
	v_lshlrev_b32_e32 v1, 24, v1
	v_and_b32_e32 v7, 0x7f000000, v1
	v_ffbh_u32_e32 v9, v7
	v_min_u32_e32 v9, 32, v9
	v_sub_u32_e64 v9, v9, 4 clamp
	v_lshlrev_b32_e32 v13, v9, v7
	v_lshlrev_b32_e32 v9, 23, v9
	v_lshrrev_b32_e32 v13, 4, v13
	v_add_u32_e32 v12, 0x1000000, v7
	v_sub_u32_e32 v9, v13, v9
	v_ashrrev_i32_e32 v12, 8, v12
	v_add_u32_e32 v9, 0x3c000000, v9
	v_and_or_b32 v9, v12, s8, v9
	v_cmp_ne_u32_e32 vcc, 0, v7
	s_brev_b32 s8, 1
	s_nop 0
	v_cndmask_b32_e32 v7, 0, v9, vcc
	v_and_or_b32 v1, v1, s8, v7
.LBB257_1474:
	s_mov_b64 s[8:9], 0
.LBB257_1475:
	s_andn2_b64 vcc, exec, s[8:9]
	s_cbranch_vccnz .LBB257_1477
; %bb.1476:
	global_load_ubyte v1, v[10:11], off
	s_movk_i32 s8, 0x7f00
	s_brev_b32 s9, 16
	s_waitcnt vmcnt(0)
	v_lshlrev_b16_e32 v7, 8, v1
	v_lshlrev_b32_e32 v1, 25, v1
	v_lshrrev_b32_e32 v9, 4, v1
	v_and_or_b32 v12, v7, s8, 0.5
	v_or_b32_e32 v9, 0x70000000, v9
	v_add_f32_e32 v12, -0.5, v12
	v_mul_f32_e32 v9, 0x7800000, v9
	v_cmp_gt_u32_e32 vcc, s9, v1
	v_bfe_i32 v7, v7, 0, 16
	s_brev_b32 s8, 1
	v_cndmask_b32_e32 v1, v9, v12, vcc
	v_and_or_b32 v1, v7, s8, v1
.LBB257_1477:
	s_mov_b64 s[8:9], 0
	s_mov_b64 s[10:11], -1
.LBB257_1478:
	s_andn2_b64 vcc, exec, s[8:9]
	s_mov_b64 s[8:9], 0
	s_cbranch_vccnz .LBB257_1489
; %bb.1479:
	s_cmp_gt_i32 s18, 14
	s_cbranch_scc0 .LBB257_1482
; %bb.1480:
	s_cmp_eq_u32 s18, 15
	s_cbranch_scc0 .LBB257_1485
; %bb.1481:
	global_load_ushort v1, v[10:11], off
	s_mov_b64 s[0:1], 0
	s_mov_b64 s[10:11], -1
	s_waitcnt vmcnt(0)
	v_lshlrev_b32_e32 v1, 16, v1
	s_branch .LBB257_1486
.LBB257_1482:
	s_mov_b64 s[12:13], -1
                                        ; implicit-def: $vgpr1
	s_branch .LBB257_1487
.LBB257_1483:
	s_or_saveexec_b64 s[10:11], s[10:11]
	v_mov_b32_e32 v1, 0x7f800001
	s_xor_b64 exec, exec, s[10:11]
	s_cbranch_execz .LBB257_1464
.LBB257_1484:
	v_cmp_ne_u16_e32 vcc, 0, v7
	s_andn2_b64 s[8:9], s[8:9], exec
	s_and_b64 s[12:13], vcc, exec
	v_mov_b32_e32 v1, 0
	s_or_b64 s[8:9], s[8:9], s[12:13]
	s_or_b64 exec, exec, s[10:11]
	s_and_saveexec_b64 s[10:11], s[8:9]
	s_cbranch_execnz .LBB257_1465
	s_branch .LBB257_1466
.LBB257_1485:
	s_mov_b64 s[0:1], -1
                                        ; implicit-def: $vgpr1
.LBB257_1486:
	s_mov_b64 s[12:13], 0
.LBB257_1487:
	s_and_b64 vcc, exec, s[12:13]
	s_cbranch_vccz .LBB257_1489
; %bb.1488:
	s_cmp_lg_u32 s18, 11
	s_mov_b64 s[8:9], -1
	s_cselect_b64 s[0:1], -1, 0
.LBB257_1489:
	s_and_b64 vcc, exec, s[0:1]
	s_cbranch_vccnz .LBB257_1587
; %bb.1490:
	s_andn2_b64 vcc, exec, s[8:9]
	s_cbranch_vccnz .LBB257_1492
.LBB257_1491:
	global_load_ubyte v1, v[10:11], off
	s_mov_b64 s[10:11], -1
	s_waitcnt vmcnt(0)
	v_cmp_ne_u16_e32 vcc, 0, v1
	s_nop 1
	v_cndmask_b32_e64 v1, 0, 1.0, vcc
.LBB257_1492:
	s_branch .LBB257_1408
.LBB257_1493:
	s_and_b32 s8, 0xffff, s17
	s_cmp_lt_i32 s8, 5
	s_cbranch_scc1 .LBB257_1498
; %bb.1494:
	s_cmp_lt_i32 s8, 8
	s_cbranch_scc1 .LBB257_1499
; %bb.1495:
	;; [unrolled: 3-line block ×3, first 2 shown]
	s_cmp_gt_i32 s8, 9
	s_cbranch_scc0 .LBB257_1501
; %bb.1497:
	global_load_dwordx2 v[12:13], v[10:11], off
	s_mov_b64 s[0:1], 0
	s_waitcnt vmcnt(0)
	v_cvt_f32_f64_e32 v1, v[12:13]
	s_branch .LBB257_1502
.LBB257_1498:
	s_mov_b64 s[0:1], -1
                                        ; implicit-def: $vgpr1
	s_branch .LBB257_1520
.LBB257_1499:
	s_mov_b64 s[0:1], -1
                                        ; implicit-def: $vgpr1
	s_branch .LBB257_1508
.LBB257_1500:
	s_mov_b64 s[0:1], -1
                                        ; implicit-def: $vgpr1
	s_branch .LBB257_1505
.LBB257_1501:
	s_mov_b64 s[0:1], -1
                                        ; implicit-def: $vgpr1
.LBB257_1502:
	s_andn2_b64 vcc, exec, s[0:1]
	s_cbranch_vccnz .LBB257_1504
; %bb.1503:
	global_load_dword v1, v[10:11], off
.LBB257_1504:
	s_mov_b64 s[0:1], 0
.LBB257_1505:
	s_andn2_b64 vcc, exec, s[0:1]
	s_cbranch_vccnz .LBB257_1507
; %bb.1506:
	global_load_dword v1, v[10:11], off
	s_waitcnt vmcnt(0)
	v_cvt_f32_f16_e32 v1, v1
.LBB257_1507:
	s_mov_b64 s[0:1], 0
.LBB257_1508:
	s_andn2_b64 vcc, exec, s[0:1]
	s_cbranch_vccnz .LBB257_1519
; %bb.1509:
	s_cmp_lt_i32 s8, 6
	s_cbranch_scc1 .LBB257_1512
; %bb.1510:
	s_cmp_gt_i32 s8, 6
	s_cbranch_scc0 .LBB257_1513
; %bb.1511:
	global_load_dwordx2 v[12:13], v[10:11], off
	s_mov_b64 s[0:1], 0
	s_waitcnt vmcnt(0)
	v_cvt_f32_f64_e32 v1, v[12:13]
	s_branch .LBB257_1514
.LBB257_1512:
	s_mov_b64 s[0:1], -1
                                        ; implicit-def: $vgpr1
	s_branch .LBB257_1517
.LBB257_1513:
	s_mov_b64 s[0:1], -1
                                        ; implicit-def: $vgpr1
.LBB257_1514:
	s_andn2_b64 vcc, exec, s[0:1]
	s_cbranch_vccnz .LBB257_1516
; %bb.1515:
	global_load_dword v1, v[10:11], off
.LBB257_1516:
	s_mov_b64 s[0:1], 0
.LBB257_1517:
	s_andn2_b64 vcc, exec, s[0:1]
	s_cbranch_vccnz .LBB257_1519
; %bb.1518:
	global_load_ushort v1, v[10:11], off
	s_waitcnt vmcnt(0)
	v_cvt_f32_f16_e32 v1, v1
.LBB257_1519:
	s_mov_b64 s[0:1], 0
.LBB257_1520:
	s_andn2_b64 vcc, exec, s[0:1]
	s_cbranch_vccnz .LBB257_1540
; %bb.1521:
	s_cmp_lt_i32 s8, 2
	s_cbranch_scc1 .LBB257_1525
; %bb.1522:
	s_cmp_lt_i32 s8, 3
	s_cbranch_scc1 .LBB257_1526
; %bb.1523:
	s_cmp_gt_i32 s8, 3
	s_cbranch_scc0 .LBB257_1527
; %bb.1524:
	global_load_dwordx2 v[12:13], v[10:11], off
	s_mov_b64 s[0:1], 0
	s_waitcnt vmcnt(0)
	v_xor_b32_e32 v7, v12, v13
	v_ffbh_i32_e32 v1, v13
	v_ashrrev_i32_e32 v7, 31, v7
	v_add_u32_e32 v1, -1, v1
	v_add_u32_e32 v7, 32, v7
	v_min_u32_e32 v1, v1, v7
	v_lshlrev_b64 v[12:13], v1, v[12:13]
	v_min_u32_e32 v7, 1, v12
	v_or_b32_e32 v7, v13, v7
	v_cvt_f32_i32_e32 v7, v7
	v_sub_u32_e32 v1, 32, v1
	v_ldexp_f32 v1, v7, v1
	s_branch .LBB257_1528
.LBB257_1525:
	s_mov_b64 s[0:1], -1
                                        ; implicit-def: $vgpr1
	s_branch .LBB257_1534
.LBB257_1526:
	s_mov_b64 s[0:1], -1
                                        ; implicit-def: $vgpr1
	s_branch .LBB257_1531
.LBB257_1527:
	s_mov_b64 s[0:1], -1
                                        ; implicit-def: $vgpr1
.LBB257_1528:
	s_andn2_b64 vcc, exec, s[0:1]
	s_cbranch_vccnz .LBB257_1530
; %bb.1529:
	global_load_dword v1, v[10:11], off
	s_waitcnt vmcnt(0)
	v_cvt_f32_i32_e32 v1, v1
.LBB257_1530:
	s_mov_b64 s[0:1], 0
.LBB257_1531:
	s_andn2_b64 vcc, exec, s[0:1]
	s_cbranch_vccnz .LBB257_1533
; %bb.1532:
	global_load_sshort v1, v[10:11], off
	s_waitcnt vmcnt(0)
	v_cvt_f32_i32_e32 v1, v1
.LBB257_1533:
	s_mov_b64 s[0:1], 0
.LBB257_1534:
	s_andn2_b64 vcc, exec, s[0:1]
	s_cbranch_vccnz .LBB257_1540
; %bb.1535:
	s_cmp_gt_i32 s8, 0
	s_cbranch_scc0 .LBB257_1537
; %bb.1536:
	global_load_sbyte v1, v[10:11], off
	s_mov_b64 s[0:1], 0
	s_waitcnt vmcnt(0)
	v_cvt_f32_i32_e32 v1, v1
	s_branch .LBB257_1538
.LBB257_1537:
	s_mov_b64 s[0:1], -1
                                        ; implicit-def: $vgpr1
.LBB257_1538:
	s_andn2_b64 vcc, exec, s[0:1]
	s_cbranch_vccnz .LBB257_1540
; %bb.1539:
	global_load_ubyte v1, v[10:11], off
	s_waitcnt vmcnt(0)
	v_cvt_f32_ubyte0_e32 v1, v1
.LBB257_1540:
	s_branch .LBB257_1409
.LBB257_1541:
	s_mov_b64 s[0:1], 0
                                        ; implicit-def: $vgpr0_vgpr1
                                        ; implicit-def: $sgpr14
                                        ; implicit-def: $vgpr2
                                        ; implicit-def: $vgpr10
.LBB257_1542:
	s_mov_b64 s[4:5], 0
.LBB257_1543:
	s_and_b64 s[6:7], s[0:1], exec
	s_andn2_b64 s[0:1], s[24:25], exec
	s_and_b64 s[2:3], s[2:3], exec
	s_and_b64 s[40:41], s[4:5], exec
	s_or_b64 s[24:25], s[0:1], s[2:3]
.LBB257_1544:
	s_or_b64 exec, exec, s[26:27]
	s_and_saveexec_b64 s[0:1], s[24:25]
	s_cbranch_execz .LBB257_1547
; %bb.1545:
	; divergent unreachable
	s_or_b64 exec, exec, s[0:1]
	s_and_saveexec_b64 s[0:1], s[40:41]
	s_xor_b64 s[0:1], exec, s[0:1]
	s_cbranch_execnz .LBB257_1548
.LBB257_1546:
	s_or_b64 exec, exec, s[0:1]
	s_and_saveexec_b64 s[0:1], s[6:7]
	s_cbranch_execnz .LBB257_1549
	s_branch .LBB257_1586
.LBB257_1547:
	s_or_b64 exec, exec, s[0:1]
	s_and_saveexec_b64 s[0:1], s[40:41]
	s_xor_b64 s[0:1], exec, s[0:1]
	s_cbranch_execz .LBB257_1546
.LBB257_1548:
	s_waitcnt vmcnt(0)
	v_cmp_neq_f32_e32 vcc, 0, v10
	s_nop 1
	v_cndmask_b32_e64 v3, 0, 1, vcc
	global_store_byte v[0:1], v3, off
	s_or_b64 exec, exec, s[0:1]
	s_and_saveexec_b64 s[0:1], s[6:7]
	s_cbranch_execz .LBB257_1586
.LBB257_1549:
	s_sext_i32_i16 s2, s14
	s_cmp_lt_i32 s2, 5
	s_mov_b64 s[0:1], -1
	s_cbranch_scc1 .LBB257_1570
; %bb.1550:
	s_cmp_lt_i32 s2, 8
	s_cbranch_scc1 .LBB257_1560
; %bb.1551:
	s_cmp_lt_i32 s2, 9
	s_cbranch_scc1 .LBB257_1557
; %bb.1552:
	s_cmp_gt_i32 s2, 9
	s_cbranch_scc0 .LBB257_1554
; %bb.1553:
	v_mov_b32_e32 v6, 0
	s_waitcnt vmcnt(0)
	v_cvt_f64_f32_e32 v[4:5], v2
	v_mov_b32_e32 v7, v6
	global_store_dwordx4 v[0:1], v[4:7], off
	s_mov_b64 s[0:1], 0
.LBB257_1554:
	s_andn2_b64 vcc, exec, s[0:1]
	s_cbranch_vccnz .LBB257_1556
; %bb.1555:
	s_waitcnt vmcnt(0)
	v_mov_b32_e32 v3, 0
	global_store_dwordx2 v[0:1], v[2:3], off
.LBB257_1556:
	s_mov_b64 s[0:1], 0
.LBB257_1557:
	s_andn2_b64 vcc, exec, s[0:1]
	s_cbranch_vccnz .LBB257_1559
; %bb.1558:
	s_waitcnt vmcnt(0)
	v_cvt_f16_f32_e32 v3, v2
	global_store_dword v[0:1], v3, off
.LBB257_1559:
	s_mov_b64 s[0:1], 0
.LBB257_1560:
	s_andn2_b64 vcc, exec, s[0:1]
	s_cbranch_vccnz .LBB257_1569
; %bb.1561:
	s_sext_i32_i16 s2, s14
	s_cmp_lt_i32 s2, 6
	s_mov_b64 s[0:1], -1
	s_cbranch_scc1 .LBB257_1567
; %bb.1562:
	s_cmp_gt_i32 s2, 6
	s_cbranch_scc0 .LBB257_1564
; %bb.1563:
	s_waitcnt vmcnt(0)
	v_cvt_f64_f32_e32 v[4:5], v2
	global_store_dwordx2 v[0:1], v[4:5], off
	s_mov_b64 s[0:1], 0
.LBB257_1564:
	s_andn2_b64 vcc, exec, s[0:1]
	s_cbranch_vccnz .LBB257_1566
; %bb.1565:
	s_waitcnt vmcnt(0)
	global_store_dword v[0:1], v2, off
.LBB257_1566:
	s_mov_b64 s[0:1], 0
.LBB257_1567:
	s_andn2_b64 vcc, exec, s[0:1]
	s_cbranch_vccnz .LBB257_1569
; %bb.1568:
	s_waitcnt vmcnt(0)
	v_cvt_f16_f32_e32 v3, v2
	global_store_short v[0:1], v3, off
.LBB257_1569:
	s_mov_b64 s[0:1], 0
.LBB257_1570:
	s_andn2_b64 vcc, exec, s[0:1]
	s_cbranch_vccnz .LBB257_1586
; %bb.1571:
	s_sext_i32_i16 s2, s14
	s_cmp_lt_i32 s2, 2
	s_mov_b64 s[0:1], -1
	s_cbranch_scc1 .LBB257_1581
; %bb.1572:
	s_cmp_lt_i32 s2, 3
	s_cbranch_scc1 .LBB257_1578
; %bb.1573:
	s_cmp_gt_i32 s2, 3
	s_cbranch_scc0 .LBB257_1575
; %bb.1574:
	s_waitcnt vmcnt(0)
	v_trunc_f32_e32 v3, v2
	s_mov_b32 s0, 0x2f800000
	v_mul_f32_e64 v4, |v3|, s0
	v_floor_f32_e32 v4, v4
	s_mov_b32 s0, 0xcf800000
	v_cvt_u32_f32_e32 v5, v4
	v_fma_f32 v4, v4, s0, |v3|
	v_cvt_u32_f32_e32 v4, v4
	v_ashrrev_i32_e32 v3, 31, v3
	v_xor_b32_e32 v5, v5, v3
	s_mov_b64 s[0:1], 0
	v_xor_b32_e32 v4, v4, v3
	v_sub_co_u32_e32 v4, vcc, v4, v3
	s_nop 1
	v_subb_co_u32_e32 v5, vcc, v5, v3, vcc
	global_store_dwordx2 v[0:1], v[4:5], off
.LBB257_1575:
	s_andn2_b64 vcc, exec, s[0:1]
	s_cbranch_vccnz .LBB257_1577
; %bb.1576:
	s_waitcnt vmcnt(0)
	v_cvt_i32_f32_e32 v3, v2
	global_store_dword v[0:1], v3, off
.LBB257_1577:
	s_mov_b64 s[0:1], 0
.LBB257_1578:
	s_andn2_b64 vcc, exec, s[0:1]
	s_cbranch_vccnz .LBB257_1580
; %bb.1579:
	s_waitcnt vmcnt(0)
	v_cvt_i32_f32_e32 v3, v2
	global_store_short v[0:1], v3, off
.LBB257_1580:
	s_mov_b64 s[0:1], 0
.LBB257_1581:
	s_andn2_b64 vcc, exec, s[0:1]
	s_cbranch_vccnz .LBB257_1586
; %bb.1582:
	s_sext_i32_i16 s0, s14
	s_cmp_gt_i32 s0, 0
	s_mov_b64 s[0:1], -1
	s_cbranch_scc0 .LBB257_1584
; %bb.1583:
	s_waitcnt vmcnt(0)
	v_cvt_i32_f32_e32 v3, v2
	s_mov_b64 s[0:1], 0
	global_store_byte v[0:1], v3, off
.LBB257_1584:
	s_andn2_b64 vcc, exec, s[0:1]
	s_cbranch_vccnz .LBB257_1586
; %bb.1585:
	v_trunc_f32_e32 v2, v2
	s_mov_b32 s0, 0x2f800000
	s_waitcnt vmcnt(0)
	v_mul_f32_e64 v3, |v2|, s0
	v_floor_f32_e32 v3, v3
	s_mov_b32 s0, 0xcf800000
	v_fma_f32 v3, v3, s0, |v2|
	v_cvt_u32_f32_e32 v3, v3
	v_ashrrev_i32_e32 v2, 31, v2
	v_xor_b32_e32 v3, v3, v2
	v_sub_u32_e32 v2, v3, v2
	global_store_byte v[0:1], v2, off
	s_endpgm
.LBB257_1586:
	s_endpgm
.LBB257_1587:
	s_trap 2
	s_or_b64 s[2:3], s[2:3], exec
	s_cbranch_execz .LBB257_1491
	s_branch .LBB257_1492
.LBB257_1588:
	s_mov_b64 s[0:1], -1
                                        ; implicit-def: $vgpr10
	s_mov_b64 s[8:9], 0
.LBB257_1589:
	s_and_b64 vcc, exec, s[10:11]
	s_cbranch_vccz .LBB257_1593
; %bb.1590:
	s_cmp_eq_u32 s14, 44
	s_cbranch_scc0 .LBB257_1592
; %bb.1591:
	global_load_ubyte v7, v[8:9], off
	s_movk_i32 s8, 0xff
	v_mov_b32_e32 v10, 0x7f800001
	v_mov_b32_e32 v11, 0x400000
	s_mov_b64 s[0:1], 0
	s_waitcnt vmcnt(0)
	v_lshlrev_b32_e32 v12, 23, v7
	v_cmp_ne_u32_e32 vcc, s8, v7
	s_mov_b64 s[8:9], -1
	s_nop 0
	v_cndmask_b32_e32 v10, v10, v12, vcc
	v_cmp_ne_u32_e32 vcc, 0, v7
	s_nop 1
	v_cndmask_b32_e32 v10, v11, v10, vcc
	s_branch .LBB257_1593
.LBB257_1592:
	s_mov_b64 s[0:1], -1
                                        ; implicit-def: $vgpr10
.LBB257_1593:
	s_mov_b64 s[10:11], 0
.LBB257_1594:
	s_and_b64 vcc, exec, s[10:11]
	s_cbranch_vccz .LBB257_1598
; %bb.1595:
	s_cmp_eq_u32 s14, 29
	s_cbranch_scc0 .LBB257_1597
; %bb.1596:
	global_load_dwordx2 v[10:11], v[8:9], off
	s_mov_b64 s[0:1], 0
	s_mov_b64 s[8:9], -1
	s_mov_b64 s[10:11], 0
	s_waitcnt vmcnt(0)
	v_ffbh_u32_e32 v7, v11
	v_min_u32_e32 v7, 32, v7
	v_lshlrev_b64 v[10:11], v7, v[10:11]
	v_min_u32_e32 v10, 1, v10
	v_or_b32_e32 v10, v11, v10
	v_cvt_f32_u32_e32 v10, v10
	v_sub_u32_e32 v7, 32, v7
	v_ldexp_f32 v10, v10, v7
	s_branch .LBB257_1599
.LBB257_1597:
	s_mov_b64 s[0:1], -1
                                        ; implicit-def: $vgpr10
.LBB257_1598:
	s_mov_b64 s[10:11], 0
.LBB257_1599:
	s_and_b64 vcc, exec, s[10:11]
	s_cbranch_vccz .LBB257_1617
; %bb.1600:
	s_cmp_lt_i32 s14, 27
	s_cbranch_scc1 .LBB257_1603
; %bb.1601:
	s_cmp_gt_i32 s14, 27
	s_cbranch_scc0 .LBB257_1604
; %bb.1602:
	global_load_dword v7, v[8:9], off
	s_mov_b64 s[8:9], 0
	s_waitcnt vmcnt(0)
	v_cvt_f32_u32_e32 v10, v7
	s_branch .LBB257_1605
.LBB257_1603:
	s_mov_b64 s[8:9], -1
                                        ; implicit-def: $vgpr10
	s_branch .LBB257_1608
.LBB257_1604:
	s_mov_b64 s[8:9], -1
                                        ; implicit-def: $vgpr10
.LBB257_1605:
	s_andn2_b64 vcc, exec, s[8:9]
	s_cbranch_vccnz .LBB257_1607
; %bb.1606:
	global_load_ushort v7, v[8:9], off
	s_waitcnt vmcnt(0)
	v_cvt_f32_u32_e32 v10, v7
.LBB257_1607:
	s_mov_b64 s[8:9], 0
.LBB257_1608:
	s_andn2_b64 vcc, exec, s[8:9]
	s_cbranch_vccnz .LBB257_1616
; %bb.1609:
	global_load_ubyte v7, v[8:9], off
	s_movk_i32 s8, 0x7f
	s_waitcnt vmcnt(0)
	v_cmp_lt_i16_e32 vcc, s8, v7
	s_mov_b64 s[8:9], 0
	s_and_saveexec_b64 s[10:11], vcc
	s_xor_b64 s[10:11], exec, s[10:11]
	s_cbranch_execz .LBB257_1630
; %bb.1610:
	s_movk_i32 s8, 0x80
	v_cmp_eq_u16_e32 vcc, s8, v7
	s_mov_b64 s[8:9], -1
	s_and_saveexec_b64 s[12:13], vcc
; %bb.1611:
	s_xor_b64 s[8:9], exec, -1
; %bb.1612:
	s_or_b64 exec, exec, s[12:13]
	s_and_b64 s[8:9], s[8:9], exec
	s_or_saveexec_b64 s[10:11], s[10:11]
	v_mov_b32_e32 v10, 0x7f800001
	s_xor_b64 exec, exec, s[10:11]
	s_cbranch_execnz .LBB257_1631
.LBB257_1613:
	s_or_b64 exec, exec, s[10:11]
	s_and_saveexec_b64 s[10:11], s[8:9]
	s_cbranch_execz .LBB257_1615
.LBB257_1614:
	v_lshlrev_b32_e32 v10, 24, v7
	v_and_b32_e32 v7, 0xffff, v7
	v_and_b32_e32 v11, 7, v7
	v_ffbh_u32_e32 v13, v11
	v_min_u32_e32 v13, 32, v13
	v_subrev_u32_e32 v14, 28, v13
	v_bfe_u32 v12, v7, 3, 4
	v_lshlrev_b32_e32 v7, v14, v7
	v_sub_u32_e32 v13, 29, v13
	v_and_b32_e32 v7, 7, v7
	v_cmp_eq_u32_e32 vcc, 0, v12
	v_and_b32_e32 v10, 0x80000000, v10
	s_nop 0
	v_cndmask_b32_e32 v12, v12, v13, vcc
	v_cndmask_b32_e32 v7, v11, v7, vcc
	v_mov_b32_e32 v11, 0x3b800000
	v_lshlrev_b32_e32 v7, 20, v7
	v_lshl_add_u32 v11, v12, 23, v11
	v_or3_b32 v10, v10, v11, v7
.LBB257_1615:
	s_or_b64 exec, exec, s[10:11]
.LBB257_1616:
	s_mov_b64 s[8:9], -1
.LBB257_1617:
	s_mov_b64 s[10:11], 0
.LBB257_1618:
	s_and_b64 vcc, exec, s[10:11]
	s_cbranch_vccz .LBB257_1651
; %bb.1619:
	s_cmp_gt_i32 s14, 22
	s_cbranch_scc0 .LBB257_1629
; %bb.1620:
	s_cmp_lt_i32 s14, 24
	s_cbranch_scc1 .LBB257_1632
; %bb.1621:
	s_cmp_gt_i32 s14, 24
	s_cbranch_scc0 .LBB257_1633
; %bb.1622:
	global_load_ubyte v7, v[8:9], off
	s_movk_i32 s6, 0x7f
	s_waitcnt vmcnt(0)
	v_cmp_lt_i16_e32 vcc, s6, v7
	s_mov_b64 s[6:7], 0
	s_and_saveexec_b64 s[8:9], vcc
	s_xor_b64 s[8:9], exec, s[8:9]
	s_cbranch_execz .LBB257_1645
; %bb.1623:
	s_movk_i32 s6, 0x80
	v_cmp_eq_u16_e32 vcc, s6, v7
	s_mov_b64 s[6:7], -1
	s_and_saveexec_b64 s[10:11], vcc
; %bb.1624:
	s_xor_b64 s[6:7], exec, -1
; %bb.1625:
	s_or_b64 exec, exec, s[10:11]
	s_and_b64 s[6:7], s[6:7], exec
	s_or_saveexec_b64 s[8:9], s[8:9]
	v_mov_b32_e32 v10, 0x7f800001
	s_xor_b64 exec, exec, s[8:9]
	s_cbranch_execnz .LBB257_1646
.LBB257_1626:
	s_or_b64 exec, exec, s[8:9]
	s_and_saveexec_b64 s[8:9], s[6:7]
	s_cbranch_execz .LBB257_1628
.LBB257_1627:
	v_lshlrev_b32_e32 v10, 24, v7
	v_and_b32_e32 v7, 0xffff, v7
	v_and_b32_e32 v11, 3, v7
	v_ffbh_u32_e32 v13, v11
	v_min_u32_e32 v13, 32, v13
	v_subrev_u32_e32 v14, 29, v13
	v_bfe_u32 v12, v7, 2, 5
	v_lshlrev_b32_e32 v7, v14, v7
	v_sub_u32_e32 v13, 30, v13
	v_and_b32_e32 v7, 3, v7
	v_cmp_eq_u32_e32 vcc, 0, v12
	v_and_b32_e32 v10, 0x80000000, v10
	s_nop 0
	v_cndmask_b32_e32 v12, v12, v13, vcc
	v_cndmask_b32_e32 v7, v11, v7, vcc
	v_mov_b32_e32 v11, 0x37800000
	v_lshlrev_b32_e32 v7, 21, v7
	v_lshl_add_u32 v11, v12, 23, v11
	v_or3_b32 v10, v10, v11, v7
.LBB257_1628:
	s_or_b64 exec, exec, s[8:9]
	s_mov_b64 s[6:7], 0
	s_branch .LBB257_1634
.LBB257_1629:
	s_mov_b64 s[6:7], -1
                                        ; implicit-def: $vgpr10
	s_branch .LBB257_1640
.LBB257_1630:
	s_or_saveexec_b64 s[10:11], s[10:11]
	v_mov_b32_e32 v10, 0x7f800001
	s_xor_b64 exec, exec, s[10:11]
	s_cbranch_execz .LBB257_1613
.LBB257_1631:
	v_cmp_ne_u16_e32 vcc, 0, v7
	s_andn2_b64 s[8:9], s[8:9], exec
	s_and_b64 s[12:13], vcc, exec
	v_mov_b32_e32 v10, 0
	s_or_b64 s[8:9], s[8:9], s[12:13]
	s_or_b64 exec, exec, s[10:11]
	s_and_saveexec_b64 s[10:11], s[8:9]
	s_cbranch_execnz .LBB257_1614
	s_branch .LBB257_1615
.LBB257_1632:
	s_mov_b64 s[6:7], -1
                                        ; implicit-def: $vgpr10
	s_branch .LBB257_1637
.LBB257_1633:
	s_mov_b64 s[6:7], -1
                                        ; implicit-def: $vgpr10
.LBB257_1634:
	s_and_b64 vcc, exec, s[6:7]
	s_cbranch_vccz .LBB257_1636
; %bb.1635:
	global_load_ubyte v7, v[8:9], off
	s_mov_b32 s6, 0x7f800000
	s_waitcnt vmcnt(0)
	v_lshlrev_b32_e32 v7, 24, v7
	v_and_b32_e32 v10, 0x7f000000, v7
	v_ffbh_u32_e32 v11, v10
	v_min_u32_e32 v11, 32, v11
	v_sub_u32_e64 v11, v11, 4 clamp
	v_lshlrev_b32_e32 v13, v11, v10
	v_lshlrev_b32_e32 v11, 23, v11
	v_lshrrev_b32_e32 v13, 4, v13
	v_add_u32_e32 v12, 0x1000000, v10
	v_sub_u32_e32 v11, v13, v11
	v_ashrrev_i32_e32 v12, 8, v12
	v_add_u32_e32 v11, 0x3c000000, v11
	v_and_or_b32 v11, v12, s6, v11
	v_cmp_ne_u32_e32 vcc, 0, v10
	s_brev_b32 s6, 1
	s_nop 0
	v_cndmask_b32_e32 v10, 0, v11, vcc
	v_and_or_b32 v10, v7, s6, v10
.LBB257_1636:
	s_mov_b64 s[6:7], 0
.LBB257_1637:
	s_andn2_b64 vcc, exec, s[6:7]
	s_cbranch_vccnz .LBB257_1639
; %bb.1638:
	global_load_ubyte v7, v[8:9], off
	s_movk_i32 s6, 0x7f00
	s_brev_b32 s7, 16
	s_waitcnt vmcnt(0)
	v_lshlrev_b16_e32 v10, 8, v7
	v_lshlrev_b32_e32 v7, 25, v7
	v_lshrrev_b32_e32 v11, 4, v7
	v_and_or_b32 v12, v10, s6, 0.5
	v_or_b32_e32 v11, 0x70000000, v11
	v_add_f32_e32 v12, -0.5, v12
	v_mul_f32_e32 v11, 0x7800000, v11
	v_cmp_gt_u32_e32 vcc, s7, v7
	v_bfe_i32 v10, v10, 0, 16
	s_brev_b32 s6, 1
	v_cndmask_b32_e32 v7, v11, v12, vcc
	v_and_or_b32 v10, v10, s6, v7
.LBB257_1639:
	s_mov_b64 s[6:7], 0
	s_mov_b64 s[8:9], -1
.LBB257_1640:
	s_andn2_b64 vcc, exec, s[6:7]
	s_mov_b64 s[6:7], 0
	s_cbranch_vccnz .LBB257_1651
; %bb.1641:
	s_cmp_gt_i32 s14, 14
	s_cbranch_scc0 .LBB257_1644
; %bb.1642:
	s_cmp_eq_u32 s14, 15
	s_cbranch_scc0 .LBB257_1647
; %bb.1643:
	global_load_ushort v7, v[8:9], off
	s_mov_b64 s[0:1], 0
	s_mov_b64 s[8:9], -1
	s_waitcnt vmcnt(0)
	v_lshlrev_b32_e32 v10, 16, v7
	s_branch .LBB257_1648
.LBB257_1644:
	s_mov_b64 s[10:11], -1
                                        ; implicit-def: $vgpr10
	s_branch .LBB257_1649
.LBB257_1645:
	s_or_saveexec_b64 s[8:9], s[8:9]
	v_mov_b32_e32 v10, 0x7f800001
	s_xor_b64 exec, exec, s[8:9]
	s_cbranch_execz .LBB257_1626
.LBB257_1646:
	v_cmp_ne_u16_e32 vcc, 0, v7
	s_andn2_b64 s[6:7], s[6:7], exec
	s_and_b64 s[10:11], vcc, exec
	v_mov_b32_e32 v10, 0
	s_or_b64 s[6:7], s[6:7], s[10:11]
	s_or_b64 exec, exec, s[8:9]
	s_and_saveexec_b64 s[8:9], s[6:7]
	s_cbranch_execnz .LBB257_1627
	s_branch .LBB257_1628
.LBB257_1647:
	s_mov_b64 s[0:1], -1
                                        ; implicit-def: $vgpr10
.LBB257_1648:
	s_mov_b64 s[10:11], 0
.LBB257_1649:
	s_and_b64 vcc, exec, s[10:11]
	s_cbranch_vccz .LBB257_1651
; %bb.1650:
	s_cmp_lg_u32 s14, 11
	s_mov_b64 s[6:7], -1
	s_cselect_b64 s[0:1], -1, 0
.LBB257_1651:
	s_and_b64 vcc, exec, s[0:1]
	s_cbranch_vccnz .LBB257_2140
; %bb.1652:
	s_andn2_b64 vcc, exec, s[6:7]
	s_cbranch_vccnz .LBB257_1654
.LBB257_1653:
	global_load_ubyte v7, v[8:9], off
	s_mov_b64 s[8:9], -1
	s_waitcnt vmcnt(0)
	v_cmp_ne_u16_e32 vcc, 0, v7
	s_nop 1
	v_cndmask_b32_e64 v10, 0, 1.0, vcc
.LBB257_1654:
	s_mov_b64 s[0:1], 0
.LBB257_1655:
	s_and_b64 vcc, exec, s[0:1]
	s_cbranch_vccz .LBB257_1704
; %bb.1656:
	s_and_b32 s6, 0xffff, s17
	s_cmp_lt_i32 s6, 5
	s_cbranch_scc1 .LBB257_1661
; %bb.1657:
	s_cmp_lt_i32 s6, 8
	s_cbranch_scc1 .LBB257_1662
; %bb.1658:
	;; [unrolled: 3-line block ×3, first 2 shown]
	s_cmp_gt_i32 s6, 9
	s_cbranch_scc0 .LBB257_1664
; %bb.1660:
	global_load_dwordx2 v[10:11], v[8:9], off
	s_mov_b64 s[0:1], 0
	s_waitcnt vmcnt(0)
	v_cvt_f32_f64_e32 v10, v[10:11]
	s_branch .LBB257_1665
.LBB257_1661:
	s_mov_b64 s[0:1], -1
                                        ; implicit-def: $vgpr10
	s_branch .LBB257_1683
.LBB257_1662:
	s_mov_b64 s[0:1], -1
                                        ; implicit-def: $vgpr10
	s_branch .LBB257_1671
.LBB257_1663:
	s_mov_b64 s[0:1], -1
                                        ; implicit-def: $vgpr10
	s_branch .LBB257_1668
.LBB257_1664:
	s_mov_b64 s[0:1], -1
                                        ; implicit-def: $vgpr10
.LBB257_1665:
	s_andn2_b64 vcc, exec, s[0:1]
	s_cbranch_vccnz .LBB257_1667
; %bb.1666:
	global_load_dword v10, v[8:9], off
.LBB257_1667:
	s_mov_b64 s[0:1], 0
.LBB257_1668:
	s_andn2_b64 vcc, exec, s[0:1]
	s_cbranch_vccnz .LBB257_1670
; %bb.1669:
	global_load_dword v7, v[8:9], off
	s_waitcnt vmcnt(0)
	v_cvt_f32_f16_e32 v10, v7
.LBB257_1670:
	s_mov_b64 s[0:1], 0
.LBB257_1671:
	s_andn2_b64 vcc, exec, s[0:1]
	s_cbranch_vccnz .LBB257_1682
; %bb.1672:
	s_cmp_lt_i32 s6, 6
	s_cbranch_scc1 .LBB257_1675
; %bb.1673:
	s_cmp_gt_i32 s6, 6
	s_cbranch_scc0 .LBB257_1676
; %bb.1674:
	global_load_dwordx2 v[10:11], v[8:9], off
	s_mov_b64 s[0:1], 0
	s_waitcnt vmcnt(0)
	v_cvt_f32_f64_e32 v10, v[10:11]
	s_branch .LBB257_1677
.LBB257_1675:
	s_mov_b64 s[0:1], -1
                                        ; implicit-def: $vgpr10
	s_branch .LBB257_1680
.LBB257_1676:
	s_mov_b64 s[0:1], -1
                                        ; implicit-def: $vgpr10
.LBB257_1677:
	s_andn2_b64 vcc, exec, s[0:1]
	s_cbranch_vccnz .LBB257_1679
; %bb.1678:
	global_load_dword v10, v[8:9], off
.LBB257_1679:
	s_mov_b64 s[0:1], 0
.LBB257_1680:
	s_andn2_b64 vcc, exec, s[0:1]
	s_cbranch_vccnz .LBB257_1682
; %bb.1681:
	global_load_ushort v7, v[8:9], off
	s_waitcnt vmcnt(0)
	v_cvt_f32_f16_e32 v10, v7
.LBB257_1682:
	s_mov_b64 s[0:1], 0
.LBB257_1683:
	s_andn2_b64 vcc, exec, s[0:1]
	s_cbranch_vccnz .LBB257_1703
; %bb.1684:
	s_cmp_lt_i32 s6, 2
	s_cbranch_scc1 .LBB257_1688
; %bb.1685:
	s_cmp_lt_i32 s6, 3
	s_cbranch_scc1 .LBB257_1689
; %bb.1686:
	s_cmp_gt_i32 s6, 3
	s_cbranch_scc0 .LBB257_1690
; %bb.1687:
	global_load_dwordx2 v[10:11], v[8:9], off
	s_mov_b64 s[0:1], 0
	s_waitcnt vmcnt(0)
	v_xor_b32_e32 v12, v10, v11
	v_ffbh_i32_e32 v7, v11
	v_ashrrev_i32_e32 v12, 31, v12
	v_add_u32_e32 v7, -1, v7
	v_add_u32_e32 v12, 32, v12
	v_min_u32_e32 v7, v7, v12
	v_lshlrev_b64 v[10:11], v7, v[10:11]
	v_min_u32_e32 v10, 1, v10
	v_or_b32_e32 v10, v11, v10
	v_cvt_f32_i32_e32 v10, v10
	v_sub_u32_e32 v7, 32, v7
	v_ldexp_f32 v10, v10, v7
	s_branch .LBB257_1691
.LBB257_1688:
	s_mov_b64 s[0:1], -1
                                        ; implicit-def: $vgpr10
	s_branch .LBB257_1697
.LBB257_1689:
	s_mov_b64 s[0:1], -1
                                        ; implicit-def: $vgpr10
	s_branch .LBB257_1694
.LBB257_1690:
	s_mov_b64 s[0:1], -1
                                        ; implicit-def: $vgpr10
.LBB257_1691:
	s_andn2_b64 vcc, exec, s[0:1]
	s_cbranch_vccnz .LBB257_1693
; %bb.1692:
	global_load_dword v7, v[8:9], off
	s_waitcnt vmcnt(0)
	v_cvt_f32_i32_e32 v10, v7
.LBB257_1693:
	s_mov_b64 s[0:1], 0
.LBB257_1694:
	s_andn2_b64 vcc, exec, s[0:1]
	s_cbranch_vccnz .LBB257_1696
; %bb.1695:
	global_load_sshort v7, v[8:9], off
	s_waitcnt vmcnt(0)
	v_cvt_f32_i32_e32 v10, v7
.LBB257_1696:
	s_mov_b64 s[0:1], 0
.LBB257_1697:
	s_andn2_b64 vcc, exec, s[0:1]
	s_cbranch_vccnz .LBB257_1703
; %bb.1698:
	s_cmp_gt_i32 s6, 0
	s_cbranch_scc0 .LBB257_1700
; %bb.1699:
	global_load_sbyte v7, v[8:9], off
	s_mov_b64 s[0:1], 0
	s_waitcnt vmcnt(0)
	v_cvt_f32_i32_e32 v10, v7
	s_branch .LBB257_1701
.LBB257_1700:
	s_mov_b64 s[0:1], -1
                                        ; implicit-def: $vgpr10
.LBB257_1701:
	s_andn2_b64 vcc, exec, s[0:1]
	s_cbranch_vccnz .LBB257_1703
; %bb.1702:
	global_load_ubyte v7, v[8:9], off
	s_waitcnt vmcnt(0)
	v_cvt_f32_ubyte0_e32 v10, v7
.LBB257_1703:
	s_mov_b64 s[8:9], -1
.LBB257_1704:
	s_andn2_b64 vcc, exec, s[8:9]
	s_cbranch_vccnz .LBB257_2138
; %bb.1705:
	s_mov_b32 s0, 0xf800000
	s_waitcnt vmcnt(0)
	v_mul_f32_e32 v7, 0x4f800000, v5
	v_cmp_gt_f32_e32 vcc, s0, v5
	s_bfe_u32 s14, s16, 0x80008
	s_cmp_lt_i32 s14, 11
	v_cndmask_b32_e32 v7, v5, v7, vcc
	v_sqrt_f32_e32 v8, v7
	s_nop 0
	v_add_u32_e32 v9, -1, v8
	v_fma_f32 v11, -v9, v8, v7
	v_cmp_ge_f32_e64 s[0:1], 0, v11
	v_add_u32_e32 v11, 1, v8
	s_nop 0
	v_cndmask_b32_e64 v9, v8, v9, s[0:1]
	v_fma_f32 v8, -v11, v8, v7
	v_cmp_lt_f32_e64 s[0:1], 0, v8
	s_nop 1
	v_cndmask_b32_e64 v8, v9, v11, s[0:1]
	v_mul_f32_e32 v9, 0x37800000, v8
	v_cndmask_b32_e32 v8, v8, v9, vcc
	v_mov_b32_e32 v9, 0x260
	v_cmp_class_f32_e32 vcc, v7, v9
	s_nop 1
	v_cndmask_b32_e32 v8, v8, v7, vcc
	v_mov_b32_e32 v7, 0
	v_lshl_add_u64 v[6:7], s[4:5], 0, v[6:7]
	s_cbranch_scc1 .LBB257_1783
; %bb.1706:
	s_and_b32 s15, 0xffff, s14
	s_mov_b64 s[10:11], -1
	s_mov_b64 s[6:7], 0
	s_cmp_gt_i32 s15, 25
	s_mov_b64 s[8:9], 0
	s_mov_b64 s[0:1], 0
	s_cbranch_scc0 .LBB257_1739
; %bb.1707:
	s_cmp_gt_i32 s15, 28
	s_cbranch_scc0 .LBB257_1722
; %bb.1708:
	s_cmp_gt_i32 s15, 43
	;; [unrolled: 3-line block ×3, first 2 shown]
	s_cbranch_scc0 .LBB257_1712
; %bb.1710:
	s_mov_b64 s[0:1], -1
	s_mov_b64 s[10:11], 0
	s_cmp_eq_u32 s15, 46
	s_cbranch_scc0 .LBB257_1712
; %bb.1711:
	v_bfe_u32 v9, v8, 16, 1
	s_movk_i32 s0, 0x7fff
	v_add3_u32 v9, v8, v9, s0
	v_cmp_le_f32_e32 vcc, 0, v5
	v_mov_b32_e32 v11, 0x7fc0
	s_mov_b64 s[0:1], 0
	v_cndmask_b32_sdwa v9, v11, v9, vcc dst_sel:DWORD dst_unused:UNUSED_PAD src0_sel:DWORD src1_sel:WORD_1
	global_store_dword v[6:7], v9, off
	s_mov_b64 s[8:9], -1
.LBB257_1712:
	s_and_b64 vcc, exec, s[10:11]
	s_cbranch_vccz .LBB257_1717
; %bb.1713:
	s_cmp_eq_u32 s15, 44
	s_mov_b64 s[0:1], -1
	s_cbranch_scc0 .LBB257_1717
; %bb.1714:
	v_bfe_u32 v9, v8, 23, 8
	s_movk_i32 s0, 0xff
	v_cmp_ne_u32_e32 vcc, s0, v9
	v_mov_b32_e32 v11, 0xff
	s_and_saveexec_b64 s[8:9], vcc
; %bb.1715:
	s_mov_b32 s0, 0x3fffff
	v_and_b32_e32 v12, 0x400000, v8
	v_and_or_b32 v9, v8, s0, v9
	v_cmp_ne_u32_e32 vcc, 0, v12
	v_cmp_ne_u32_e64 s[0:1], 0, v9
	s_and_b64 s[0:1], vcc, s[0:1]
	v_lshrrev_b32_e32 v11, 23, v8
	v_cndmask_b32_e64 v9, 0, 1, s[0:1]
	v_add_u32_e32 v11, v11, v9
; %bb.1716:
	s_or_b64 exec, exec, s[8:9]
	s_mov_b64 s[0:1], 0
	s_mov_b64 s[8:9], -1
	global_store_byte v[6:7], v11, off
.LBB257_1717:
	s_mov_b64 s[10:11], 0
.LBB257_1718:
	s_and_b64 vcc, exec, s[10:11]
	s_cbranch_vccz .LBB257_1721
; %bb.1719:
	s_cmp_eq_u32 s15, 29
	s_mov_b64 s[0:1], -1
	s_cbranch_scc0 .LBB257_1721
; %bb.1720:
	v_trunc_f32_e32 v9, v8
	v_mul_f32_e32 v11, 0x2f800000, v9
	v_floor_f32_e32 v11, v11
	v_fmamk_f32 v9, v11, 0xcf800000, v9
	v_cvt_u32_f32_e32 v13, v11
	v_cvt_u32_f32_e32 v12, v9
	s_mov_b64 s[0:1], 0
	s_mov_b64 s[8:9], -1
	global_store_dwordx2 v[6:7], v[12:13], off
.LBB257_1721:
	s_mov_b64 s[10:11], 0
.LBB257_1722:
	s_and_b64 vcc, exec, s[10:11]
	s_cbranch_vccz .LBB257_1738
; %bb.1723:
	s_cmp_lt_i32 s15, 27
	s_mov_b64 s[8:9], -1
	s_cbranch_scc1 .LBB257_1729
; %bb.1724:
	v_cvt_u32_f32_e32 v9, v8
	s_cmp_gt_i32 s15, 27
	s_cbranch_scc0 .LBB257_1726
; %bb.1725:
	s_mov_b64 s[8:9], 0
	global_store_dword v[6:7], v9, off
.LBB257_1726:
	s_andn2_b64 vcc, exec, s[8:9]
	s_cbranch_vccnz .LBB257_1728
; %bb.1727:
	global_store_short v[6:7], v9, off
.LBB257_1728:
	s_mov_b64 s[8:9], 0
.LBB257_1729:
	s_andn2_b64 vcc, exec, s[8:9]
	s_cbranch_vccnz .LBB257_1737
; %bb.1730:
	v_and_b32_e32 v9, 0x7fffffff, v8
	s_mov_b32 s8, 0x43800000
	v_cmp_gt_u32_e32 vcc, s8, v9
	v_mov_b32_e32 v11, 0x80
	s_and_saveexec_b64 s[8:9], vcc
	s_cbranch_execz .LBB257_1736
; %bb.1731:
	s_mov_b32 s10, 0x3bffffff
	v_cmp_lt_u32_e32 vcc, s10, v9
	s_mov_b64 s[10:11], 0
                                        ; implicit-def: $vgpr9
	s_and_saveexec_b64 s[12:13], vcc
	s_xor_b64 s[12:13], exec, s[12:13]
	s_cbranch_execz .LBB257_2141
; %bb.1732:
	v_bfe_u32 v9, v8, 20, 1
	s_mov_b32 s17, 0x487ffff
	v_add3_u32 v9, v8, v9, s17
	s_mov_b64 s[10:11], exec
	v_lshrrev_b32_e32 v9, 20, v9
	s_andn2_saveexec_b64 s[12:13], s[12:13]
	s_cbranch_execnz .LBB257_2142
.LBB257_1733:
	s_or_b64 exec, exec, s[12:13]
	v_mov_b32_e32 v11, 0
	s_and_saveexec_b64 s[12:13], s[10:11]
.LBB257_1734:
	v_lshrrev_b32_e32 v11, 24, v8
	s_movk_i32 s10, 0x80
	v_and_or_b32 v11, v11, s10, v9
.LBB257_1735:
	s_or_b64 exec, exec, s[12:13]
.LBB257_1736:
	s_or_b64 exec, exec, s[8:9]
	global_store_byte v[6:7], v11, off
.LBB257_1737:
	s_mov_b64 s[8:9], -1
.LBB257_1738:
	s_mov_b64 s[10:11], 0
.LBB257_1739:
	s_and_b64 vcc, exec, s[10:11]
	s_cbranch_vccz .LBB257_1779
; %bb.1740:
	s_cmp_gt_i32 s15, 22
	s_mov_b64 s[6:7], -1
	s_cbranch_scc0 .LBB257_1772
; %bb.1741:
	s_cmp_lt_i32 s15, 24
	s_cbranch_scc1 .LBB257_1761
; %bb.1742:
	s_cmp_gt_i32 s15, 24
	s_cbranch_scc0 .LBB257_1750
; %bb.1743:
	v_and_b32_e32 v9, 0x7fffffff, v8
	s_mov_b32 s6, 0x47800000
	v_cmp_gt_u32_e32 vcc, s6, v9
	v_mov_b32_e32 v11, 0x80
	s_and_saveexec_b64 s[6:7], vcc
	s_cbranch_execz .LBB257_1749
; %bb.1744:
	s_mov_b32 s8, 0x37ffffff
	v_cmp_lt_u32_e32 vcc, s8, v9
	s_mov_b64 s[8:9], 0
                                        ; implicit-def: $vgpr9
	s_and_saveexec_b64 s[10:11], vcc
	s_xor_b64 s[10:11], exec, s[10:11]
	s_cbranch_execz .LBB257_2144
; %bb.1745:
	v_bfe_u32 v9, v8, 21, 1
	s_mov_b32 s12, 0x88fffff
	v_add3_u32 v9, v8, v9, s12
	s_mov_b64 s[8:9], exec
	v_lshrrev_b32_e32 v9, 21, v9
	s_andn2_saveexec_b64 s[10:11], s[10:11]
	s_cbranch_execnz .LBB257_2145
.LBB257_1746:
	s_or_b64 exec, exec, s[10:11]
	v_mov_b32_e32 v11, 0
	s_and_saveexec_b64 s[10:11], s[8:9]
.LBB257_1747:
	v_lshrrev_b32_e32 v11, 24, v8
	s_movk_i32 s8, 0x80
	v_and_or_b32 v11, v11, s8, v9
.LBB257_1748:
	s_or_b64 exec, exec, s[10:11]
.LBB257_1749:
	s_or_b64 exec, exec, s[6:7]
	s_mov_b64 s[6:7], 0
	global_store_byte v[6:7], v11, off
.LBB257_1750:
	s_and_b64 vcc, exec, s[6:7]
	s_cbranch_vccz .LBB257_1760
; %bb.1751:
	v_and_b32_e32 v11, 0x7fffffff, v8
	s_mov_b32 s6, 0x43f00000
	v_cmp_gt_u32_e32 vcc, s6, v11
                                        ; implicit-def: $vgpr9
	s_and_saveexec_b64 s[6:7], vcc
	s_xor_b64 s[6:7], exec, s[6:7]
	s_cbranch_execz .LBB257_1757
; %bb.1752:
	s_mov_b32 s8, 0x3c7fffff
	v_cmp_lt_u32_e32 vcc, s8, v11
                                        ; implicit-def: $vgpr9
	s_and_saveexec_b64 s[8:9], vcc
	s_xor_b64 s[8:9], exec, s[8:9]
; %bb.1753:
	v_bfe_u32 v9, v8, 20, 1
	s_mov_b32 s10, 0x407ffff
	v_add3_u32 v9, v8, v9, s10
	v_lshrrev_b32_e32 v11, 20, v9
	v_and_b32_e32 v9, 0xff00000, v9
	s_mov_b32 s10, 0x7f00000
	v_mov_b32_e32 v12, 0x7e
	v_cmp_ne_u32_e32 vcc, s10, v9
	s_nop 1
	v_cndmask_b32_e32 v9, v12, v11, vcc
; %bb.1754:
	s_andn2_saveexec_b64 s[8:9], s[8:9]
; %bb.1755:
	s_mov_b32 s10, 0x46800000
	v_add_f32_e64 v9, |v8|, s10
; %bb.1756:
	s_or_b64 exec, exec, s[8:9]
                                        ; implicit-def: $vgpr11
.LBB257_1757:
	s_andn2_saveexec_b64 s[6:7], s[6:7]
; %bb.1758:
	s_mov_b32 s8, 0x7f800000
	v_mov_b32_e32 v9, 0x7e
	v_mov_b32_e32 v12, 0x7f
	v_cmp_lt_u32_e32 vcc, s8, v11
	s_nop 1
	v_cndmask_b32_e32 v9, v9, v12, vcc
; %bb.1759:
	s_or_b64 exec, exec, s[6:7]
	v_lshrrev_b32_e32 v11, 24, v8
	s_movk_i32 s6, 0x80
	v_and_or_b32 v9, v11, s6, v9
	global_store_byte v[6:7], v9, off
.LBB257_1760:
	s_mov_b64 s[6:7], 0
.LBB257_1761:
	s_andn2_b64 vcc, exec, s[6:7]
	s_cbranch_vccnz .LBB257_1771
; %bb.1762:
	v_and_b32_e32 v11, 0x7fffffff, v8
	s_mov_b32 s6, 0x47800000
	v_cmp_gt_u32_e32 vcc, s6, v11
                                        ; implicit-def: $vgpr9
	s_and_saveexec_b64 s[6:7], vcc
	s_xor_b64 s[6:7], exec, s[6:7]
	s_cbranch_execz .LBB257_1768
; %bb.1763:
	s_mov_b32 s8, 0x387fffff
	v_cmp_lt_u32_e32 vcc, s8, v11
                                        ; implicit-def: $vgpr9
	s_and_saveexec_b64 s[8:9], vcc
	s_xor_b64 s[8:9], exec, s[8:9]
; %bb.1764:
	v_bfe_u32 v9, v8, 21, 1
	s_mov_b32 s10, 0x80fffff
	v_add3_u32 v9, v8, v9, s10
	v_lshrrev_b32_e32 v9, 21, v9
; %bb.1765:
	s_andn2_saveexec_b64 s[8:9], s[8:9]
; %bb.1766:
	s_mov_b32 s10, 0x43000000
	v_add_f32_e64 v9, |v8|, s10
; %bb.1767:
	s_or_b64 exec, exec, s[8:9]
                                        ; implicit-def: $vgpr11
.LBB257_1768:
	s_andn2_saveexec_b64 s[6:7], s[6:7]
; %bb.1769:
	s_mov_b32 s8, 0x7f800000
	v_mov_b32_e32 v9, 0x7c
	v_mov_b32_e32 v12, 0x7f
	v_cmp_lt_u32_e32 vcc, s8, v11
	s_nop 1
	v_cndmask_b32_e32 v9, v9, v12, vcc
; %bb.1770:
	s_or_b64 exec, exec, s[6:7]
	v_lshrrev_b32_e32 v11, 24, v8
	s_movk_i32 s6, 0x80
	v_and_or_b32 v9, v11, s6, v9
	global_store_byte v[6:7], v9, off
.LBB257_1771:
	s_mov_b64 s[6:7], 0
	s_mov_b64 s[8:9], -1
.LBB257_1772:
	s_andn2_b64 vcc, exec, s[6:7]
	s_mov_b64 s[6:7], 0
	s_cbranch_vccnz .LBB257_1779
; %bb.1773:
	s_cmp_gt_i32 s15, 14
	s_mov_b64 s[10:11], -1
	s_cbranch_scc0 .LBB257_1777
; %bb.1774:
	s_cmp_eq_u32 s15, 15
	s_mov_b64 s[0:1], -1
	s_cbranch_scc0 .LBB257_1776
; %bb.1775:
	v_bfe_u32 v9, v8, 16, 1
	s_movk_i32 s0, 0x7fff
	v_add3_u32 v9, v8, v9, s0
	v_cmp_le_f32_e32 vcc, 0, v5
	v_mov_b32_e32 v11, 0x7fc0
	s_mov_b64 s[0:1], 0
	v_cndmask_b32_sdwa v9, v11, v9, vcc dst_sel:DWORD dst_unused:UNUSED_PAD src0_sel:DWORD src1_sel:WORD_1
	global_store_short v[6:7], v9, off
	s_mov_b64 s[8:9], -1
.LBB257_1776:
	s_mov_b64 s[10:11], 0
.LBB257_1777:
	s_and_b64 vcc, exec, s[10:11]
	s_cbranch_vccz .LBB257_1779
; %bb.1778:
	s_cmp_lg_u32 s15, 11
	s_mov_b64 s[6:7], -1
	s_cselect_b64 s[0:1], -1, 0
.LBB257_1779:
	s_and_b64 vcc, exec, s[0:1]
	s_cbranch_vccnz .LBB257_2143
; %bb.1780:
	s_andn2_b64 vcc, exec, s[6:7]
	s_cbranch_vccnz .LBB257_1782
.LBB257_1781:
	v_cmp_neq_f32_e32 vcc, 0, v5
	s_mov_b64 s[8:9], -1
	s_nop 0
	v_cndmask_b32_e64 v5, 0, 1, vcc
	global_store_byte v[6:7], v5, off
.LBB257_1782:
	s_mov_b64 s[0:1], 0
	s_branch .LBB257_1784
.LBB257_1783:
	s_mov_b64 s[0:1], -1
	s_mov_b64 s[8:9], 0
.LBB257_1784:
	s_and_b64 vcc, exec, s[0:1]
	s_cbranch_vccz .LBB257_1823
; %bb.1785:
	s_and_b32 s6, 0xffff, s14
	s_cmp_lt_i32 s6, 5
	s_mov_b64 s[0:1], -1
	s_cbranch_scc1 .LBB257_1806
; %bb.1786:
	s_cmp_lt_i32 s6, 8
	s_cbranch_scc1 .LBB257_1796
; %bb.1787:
	s_cmp_lt_i32 s6, 9
	s_cbranch_scc1 .LBB257_1793
; %bb.1788:
	s_cmp_gt_i32 s6, 9
	s_cbranch_scc0 .LBB257_1790
; %bb.1789:
	v_mov_b32_e32 v14, 0
	v_cvt_f64_f32_e32 v[12:13], v8
	v_mov_b32_e32 v15, v14
	global_store_dwordx4 v[6:7], v[12:15], off
	s_mov_b64 s[0:1], 0
.LBB257_1790:
	s_andn2_b64 vcc, exec, s[0:1]
	s_cbranch_vccnz .LBB257_1792
; %bb.1791:
	v_mov_b32_e32 v9, 0
	global_store_dwordx2 v[6:7], v[8:9], off
.LBB257_1792:
	s_mov_b64 s[0:1], 0
.LBB257_1793:
	s_andn2_b64 vcc, exec, s[0:1]
	s_cbranch_vccnz .LBB257_1795
; %bb.1794:
	v_cvt_f16_f32_e32 v5, v8
	global_store_dword v[6:7], v5, off
.LBB257_1795:
	s_mov_b64 s[0:1], 0
.LBB257_1796:
	s_andn2_b64 vcc, exec, s[0:1]
	s_cbranch_vccnz .LBB257_1805
; %bb.1797:
	s_cmp_lt_i32 s6, 6
	s_mov_b64 s[0:1], -1
	s_cbranch_scc1 .LBB257_1803
; %bb.1798:
	s_cmp_gt_i32 s6, 6
	s_cbranch_scc0 .LBB257_1800
; %bb.1799:
	v_cvt_f64_f32_e32 v[12:13], v8
	global_store_dwordx2 v[6:7], v[12:13], off
	s_mov_b64 s[0:1], 0
.LBB257_1800:
	s_andn2_b64 vcc, exec, s[0:1]
	s_cbranch_vccnz .LBB257_1802
; %bb.1801:
	global_store_dword v[6:7], v8, off
.LBB257_1802:
	s_mov_b64 s[0:1], 0
.LBB257_1803:
	s_andn2_b64 vcc, exec, s[0:1]
	s_cbranch_vccnz .LBB257_1805
; %bb.1804:
	v_cvt_f16_f32_e32 v5, v8
	global_store_short v[6:7], v5, off
.LBB257_1805:
	s_mov_b64 s[0:1], 0
.LBB257_1806:
	s_andn2_b64 vcc, exec, s[0:1]
	s_cbranch_vccnz .LBB257_1822
; %bb.1807:
	s_cmp_lt_i32 s6, 2
	s_mov_b64 s[0:1], -1
	s_cbranch_scc1 .LBB257_1817
; %bb.1808:
	s_cmp_lt_i32 s6, 3
	s_cbranch_scc1 .LBB257_1814
; %bb.1809:
	s_cmp_gt_i32 s6, 3
	s_cbranch_scc0 .LBB257_1811
; %bb.1810:
	v_trunc_f32_e32 v5, v8
	s_mov_b32 s0, 0x2f800000
	v_mul_f32_e64 v9, |v5|, s0
	v_floor_f32_e32 v9, v9
	s_mov_b32 s0, 0xcf800000
	v_cvt_u32_f32_e32 v11, v9
	v_fma_f32 v9, v9, s0, |v5|
	v_cvt_u32_f32_e32 v9, v9
	v_ashrrev_i32_e32 v5, 31, v5
	v_xor_b32_e32 v11, v11, v5
	s_mov_b64 s[0:1], 0
	v_xor_b32_e32 v9, v9, v5
	v_sub_co_u32_e32 v12, vcc, v9, v5
	s_nop 1
	v_subb_co_u32_e32 v13, vcc, v11, v5, vcc
	global_store_dwordx2 v[6:7], v[12:13], off
.LBB257_1811:
	s_andn2_b64 vcc, exec, s[0:1]
	s_cbranch_vccnz .LBB257_1813
; %bb.1812:
	v_cvt_i32_f32_e32 v5, v8
	global_store_dword v[6:7], v5, off
.LBB257_1813:
	s_mov_b64 s[0:1], 0
.LBB257_1814:
	s_andn2_b64 vcc, exec, s[0:1]
	s_cbranch_vccnz .LBB257_1816
; %bb.1815:
	v_cvt_i32_f32_e32 v5, v8
	global_store_short v[6:7], v5, off
.LBB257_1816:
	s_mov_b64 s[0:1], 0
.LBB257_1817:
	s_andn2_b64 vcc, exec, s[0:1]
	s_cbranch_vccnz .LBB257_1822
; %bb.1818:
	s_cmp_gt_i32 s6, 0
	s_mov_b64 s[0:1], -1
	s_cbranch_scc0 .LBB257_1820
; %bb.1819:
	v_cvt_i32_f32_e32 v5, v8
	s_mov_b64 s[0:1], 0
	global_store_byte v[6:7], v5, off
.LBB257_1820:
	s_andn2_b64 vcc, exec, s[0:1]
	s_cbranch_vccnz .LBB257_1822
; %bb.1821:
	v_trunc_f32_e32 v5, v8
	s_mov_b32 s0, 0x2f800000
	v_mul_f32_e64 v8, |v5|, s0
	v_floor_f32_e32 v8, v8
	s_mov_b32 s0, 0xcf800000
	v_fma_f32 v8, v8, s0, |v5|
	v_cvt_u32_f32_e32 v8, v8
	v_ashrrev_i32_e32 v5, 31, v5
	v_xor_b32_e32 v8, v8, v5
	v_sub_u32_e32 v5, v8, v5
	global_store_byte v[6:7], v5, off
.LBB257_1822:
	s_mov_b64 s[8:9], -1
.LBB257_1823:
	s_andn2_b64 vcc, exec, s[8:9]
	s_cbranch_vccnz .LBB257_2138
; %bb.1824:
	s_mov_b32 s0, 0xf800000
	v_mul_f32_e32 v5, 0x4f800000, v3
	v_cmp_gt_f32_e32 vcc, s0, v3
	s_lshr_b32 s0, s16, 8
	s_and_b32 s14, s0, 0xff
	v_cndmask_b32_e32 v5, v3, v5, vcc
	v_sqrt_f32_e32 v6, v5
	s_cmp_lt_i32 s14, 11
	v_add_u32_e32 v7, -1, v6
	v_fma_f32 v8, -v7, v6, v5
	v_cmp_ge_f32_e64 s[0:1], 0, v8
	v_add_u32_e32 v8, 1, v6
	s_nop 0
	v_cndmask_b32_e64 v7, v6, v7, s[0:1]
	v_fma_f32 v6, -v8, v6, v5
	v_cmp_lt_f32_e64 s[0:1], 0, v6
	s_nop 1
	v_cndmask_b32_e64 v6, v7, v8, s[0:1]
	v_mul_f32_e32 v7, 0x37800000, v6
	v_cndmask_b32_e32 v6, v6, v7, vcc
	v_mov_b32_e32 v7, 0x260
	v_cmp_class_f32_e32 vcc, v5, v7
	s_nop 1
	v_cndmask_b32_e32 v6, v6, v5, vcc
	v_mov_b32_e32 v5, 0
	v_lshl_add_u64 v[4:5], s[4:5], 0, v[4:5]
	s_cbranch_scc1 .LBB257_1902
; %bb.1825:
	s_and_b32 s15, 0xffff, s14
	s_mov_b64 s[10:11], -1
	s_mov_b64 s[6:7], 0
	s_cmp_gt_i32 s15, 25
	s_mov_b64 s[8:9], 0
	s_mov_b64 s[0:1], 0
	s_cbranch_scc0 .LBB257_1858
; %bb.1826:
	s_cmp_gt_i32 s15, 28
	s_cbranch_scc0 .LBB257_1841
; %bb.1827:
	s_cmp_gt_i32 s15, 43
	;; [unrolled: 3-line block ×3, first 2 shown]
	s_cbranch_scc0 .LBB257_1831
; %bb.1829:
	s_mov_b64 s[0:1], -1
	s_mov_b64 s[10:11], 0
	s_cmp_eq_u32 s15, 46
	s_cbranch_scc0 .LBB257_1831
; %bb.1830:
	v_bfe_u32 v7, v6, 16, 1
	s_movk_i32 s0, 0x7fff
	v_add3_u32 v7, v6, v7, s0
	v_cmp_le_f32_e32 vcc, 0, v3
	v_mov_b32_e32 v8, 0x7fc0
	s_mov_b64 s[0:1], 0
	v_cndmask_b32_sdwa v7, v8, v7, vcc dst_sel:DWORD dst_unused:UNUSED_PAD src0_sel:DWORD src1_sel:WORD_1
	global_store_dword v[4:5], v7, off
	s_mov_b64 s[8:9], -1
.LBB257_1831:
	s_and_b64 vcc, exec, s[10:11]
	s_cbranch_vccz .LBB257_1836
; %bb.1832:
	s_cmp_eq_u32 s15, 44
	s_mov_b64 s[0:1], -1
	s_cbranch_scc0 .LBB257_1836
; %bb.1833:
	v_bfe_u32 v7, v6, 23, 8
	s_movk_i32 s0, 0xff
	v_cmp_ne_u32_e32 vcc, s0, v7
	v_mov_b32_e32 v8, 0xff
	s_and_saveexec_b64 s[8:9], vcc
; %bb.1834:
	s_mov_b32 s0, 0x3fffff
	v_and_b32_e32 v9, 0x400000, v6
	v_and_or_b32 v7, v6, s0, v7
	v_cmp_ne_u32_e32 vcc, 0, v9
	v_cmp_ne_u32_e64 s[0:1], 0, v7
	s_and_b64 s[0:1], vcc, s[0:1]
	v_lshrrev_b32_e32 v8, 23, v6
	v_cndmask_b32_e64 v7, 0, 1, s[0:1]
	v_add_u32_e32 v8, v8, v7
; %bb.1835:
	s_or_b64 exec, exec, s[8:9]
	s_mov_b64 s[0:1], 0
	s_mov_b64 s[8:9], -1
	global_store_byte v[4:5], v8, off
.LBB257_1836:
	s_mov_b64 s[10:11], 0
.LBB257_1837:
	s_and_b64 vcc, exec, s[10:11]
	s_cbranch_vccz .LBB257_1840
; %bb.1838:
	s_cmp_eq_u32 s15, 29
	s_mov_b64 s[0:1], -1
	s_cbranch_scc0 .LBB257_1840
; %bb.1839:
	v_trunc_f32_e32 v7, v6
	v_mul_f32_e32 v8, 0x2f800000, v7
	v_floor_f32_e32 v8, v8
	v_fmamk_f32 v7, v8, 0xcf800000, v7
	v_cvt_u32_f32_e32 v9, v8
	v_cvt_u32_f32_e32 v8, v7
	s_mov_b64 s[0:1], 0
	s_mov_b64 s[8:9], -1
	global_store_dwordx2 v[4:5], v[8:9], off
.LBB257_1840:
	s_mov_b64 s[10:11], 0
.LBB257_1841:
	s_and_b64 vcc, exec, s[10:11]
	s_cbranch_vccz .LBB257_1857
; %bb.1842:
	s_cmp_lt_i32 s15, 27
	s_mov_b64 s[8:9], -1
	s_cbranch_scc1 .LBB257_1848
; %bb.1843:
	s_cmp_gt_i32 s15, 27
	s_cbranch_scc0 .LBB257_1845
; %bb.1844:
	v_cvt_u32_f32_e32 v7, v6
	s_mov_b64 s[8:9], 0
	global_store_dword v[4:5], v7, off
.LBB257_1845:
	s_andn2_b64 vcc, exec, s[8:9]
	s_cbranch_vccnz .LBB257_1847
; %bb.1846:
	v_cvt_u32_f32_e32 v7, v6
	global_store_short v[4:5], v7, off
.LBB257_1847:
	s_mov_b64 s[8:9], 0
.LBB257_1848:
	s_andn2_b64 vcc, exec, s[8:9]
	s_cbranch_vccnz .LBB257_1856
; %bb.1849:
	v_and_b32_e32 v7, 0x7fffffff, v6
	s_mov_b32 s8, 0x43800000
	v_cmp_gt_u32_e32 vcc, s8, v7
	v_mov_b32_e32 v8, 0x80
	s_and_saveexec_b64 s[8:9], vcc
	s_cbranch_execz .LBB257_1855
; %bb.1850:
	s_mov_b32 s10, 0x3bffffff
	v_cmp_lt_u32_e32 vcc, s10, v7
	s_mov_b64 s[10:11], 0
                                        ; implicit-def: $vgpr7
	s_and_saveexec_b64 s[12:13], vcc
	s_xor_b64 s[12:13], exec, s[12:13]
	s_cbranch_execz .LBB257_2146
; %bb.1851:
	v_bfe_u32 v7, v6, 20, 1
	s_mov_b32 s16, 0x487ffff
	v_add3_u32 v7, v6, v7, s16
	s_mov_b64 s[10:11], exec
	v_lshrrev_b32_e32 v7, 20, v7
	s_andn2_saveexec_b64 s[12:13], s[12:13]
	s_cbranch_execnz .LBB257_2147
.LBB257_1852:
	s_or_b64 exec, exec, s[12:13]
	v_mov_b32_e32 v8, 0
	s_and_saveexec_b64 s[12:13], s[10:11]
.LBB257_1853:
	v_lshrrev_b32_e32 v8, 24, v6
	s_movk_i32 s10, 0x80
	v_and_or_b32 v8, v8, s10, v7
.LBB257_1854:
	s_or_b64 exec, exec, s[12:13]
.LBB257_1855:
	s_or_b64 exec, exec, s[8:9]
	global_store_byte v[4:5], v8, off
.LBB257_1856:
	s_mov_b64 s[8:9], -1
.LBB257_1857:
	s_mov_b64 s[10:11], 0
.LBB257_1858:
	s_and_b64 vcc, exec, s[10:11]
	s_cbranch_vccz .LBB257_1898
; %bb.1859:
	s_cmp_gt_i32 s15, 22
	s_mov_b64 s[6:7], -1
	s_cbranch_scc0 .LBB257_1891
; %bb.1860:
	s_cmp_lt_i32 s15, 24
	s_cbranch_scc1 .LBB257_1880
; %bb.1861:
	s_cmp_gt_i32 s15, 24
	s_cbranch_scc0 .LBB257_1869
; %bb.1862:
	v_and_b32_e32 v7, 0x7fffffff, v6
	s_mov_b32 s6, 0x47800000
	v_cmp_gt_u32_e32 vcc, s6, v7
	v_mov_b32_e32 v8, 0x80
	s_and_saveexec_b64 s[6:7], vcc
	s_cbranch_execz .LBB257_1868
; %bb.1863:
	s_mov_b32 s8, 0x37ffffff
	v_cmp_lt_u32_e32 vcc, s8, v7
	s_mov_b64 s[8:9], 0
                                        ; implicit-def: $vgpr7
	s_and_saveexec_b64 s[10:11], vcc
	s_xor_b64 s[10:11], exec, s[10:11]
	s_cbranch_execz .LBB257_2149
; %bb.1864:
	v_bfe_u32 v7, v6, 21, 1
	s_mov_b32 s12, 0x88fffff
	v_add3_u32 v7, v6, v7, s12
	s_mov_b64 s[8:9], exec
	v_lshrrev_b32_e32 v7, 21, v7
	s_andn2_saveexec_b64 s[10:11], s[10:11]
	s_cbranch_execnz .LBB257_2150
.LBB257_1865:
	s_or_b64 exec, exec, s[10:11]
	v_mov_b32_e32 v8, 0
	s_and_saveexec_b64 s[10:11], s[8:9]
.LBB257_1866:
	v_lshrrev_b32_e32 v8, 24, v6
	s_movk_i32 s8, 0x80
	v_and_or_b32 v8, v8, s8, v7
.LBB257_1867:
	s_or_b64 exec, exec, s[10:11]
.LBB257_1868:
	s_or_b64 exec, exec, s[6:7]
	s_mov_b64 s[6:7], 0
	global_store_byte v[4:5], v8, off
.LBB257_1869:
	s_and_b64 vcc, exec, s[6:7]
	s_cbranch_vccz .LBB257_1879
; %bb.1870:
	v_and_b32_e32 v8, 0x7fffffff, v6
	s_mov_b32 s6, 0x43f00000
	v_cmp_gt_u32_e32 vcc, s6, v8
                                        ; implicit-def: $vgpr7
	s_and_saveexec_b64 s[6:7], vcc
	s_xor_b64 s[6:7], exec, s[6:7]
	s_cbranch_execz .LBB257_1876
; %bb.1871:
	s_mov_b32 s8, 0x3c7fffff
	v_cmp_lt_u32_e32 vcc, s8, v8
                                        ; implicit-def: $vgpr7
	s_and_saveexec_b64 s[8:9], vcc
	s_xor_b64 s[8:9], exec, s[8:9]
; %bb.1872:
	v_bfe_u32 v7, v6, 20, 1
	s_mov_b32 s10, 0x407ffff
	v_add3_u32 v7, v6, v7, s10
	v_lshrrev_b32_e32 v8, 20, v7
	v_and_b32_e32 v7, 0xff00000, v7
	s_mov_b32 s10, 0x7f00000
	v_mov_b32_e32 v9, 0x7e
	v_cmp_ne_u32_e32 vcc, s10, v7
	s_nop 1
	v_cndmask_b32_e32 v7, v9, v8, vcc
; %bb.1873:
	s_andn2_saveexec_b64 s[8:9], s[8:9]
; %bb.1874:
	s_mov_b32 s10, 0x46800000
	v_add_f32_e64 v7, |v6|, s10
; %bb.1875:
	s_or_b64 exec, exec, s[8:9]
                                        ; implicit-def: $vgpr8
.LBB257_1876:
	s_andn2_saveexec_b64 s[6:7], s[6:7]
; %bb.1877:
	s_mov_b32 s8, 0x7f800000
	v_mov_b32_e32 v7, 0x7e
	v_mov_b32_e32 v9, 0x7f
	v_cmp_lt_u32_e32 vcc, s8, v8
	s_nop 1
	v_cndmask_b32_e32 v7, v7, v9, vcc
; %bb.1878:
	s_or_b64 exec, exec, s[6:7]
	v_lshrrev_b32_e32 v8, 24, v6
	s_movk_i32 s6, 0x80
	v_and_or_b32 v7, v8, s6, v7
	global_store_byte v[4:5], v7, off
.LBB257_1879:
	s_mov_b64 s[6:7], 0
.LBB257_1880:
	s_andn2_b64 vcc, exec, s[6:7]
	s_cbranch_vccnz .LBB257_1890
; %bb.1881:
	v_and_b32_e32 v8, 0x7fffffff, v6
	s_mov_b32 s6, 0x47800000
	v_cmp_gt_u32_e32 vcc, s6, v8
                                        ; implicit-def: $vgpr7
	s_and_saveexec_b64 s[6:7], vcc
	s_xor_b64 s[6:7], exec, s[6:7]
	s_cbranch_execz .LBB257_1887
; %bb.1882:
	s_mov_b32 s8, 0x387fffff
	v_cmp_lt_u32_e32 vcc, s8, v8
                                        ; implicit-def: $vgpr7
	s_and_saveexec_b64 s[8:9], vcc
	s_xor_b64 s[8:9], exec, s[8:9]
; %bb.1883:
	v_bfe_u32 v7, v6, 21, 1
	s_mov_b32 s10, 0x80fffff
	v_add3_u32 v7, v6, v7, s10
	v_lshrrev_b32_e32 v7, 21, v7
; %bb.1884:
	s_andn2_saveexec_b64 s[8:9], s[8:9]
; %bb.1885:
	s_mov_b32 s10, 0x43000000
	v_add_f32_e64 v7, |v6|, s10
; %bb.1886:
	s_or_b64 exec, exec, s[8:9]
                                        ; implicit-def: $vgpr8
.LBB257_1887:
	s_andn2_saveexec_b64 s[6:7], s[6:7]
; %bb.1888:
	s_mov_b32 s8, 0x7f800000
	v_mov_b32_e32 v7, 0x7c
	v_mov_b32_e32 v9, 0x7f
	v_cmp_lt_u32_e32 vcc, s8, v8
	s_nop 1
	v_cndmask_b32_e32 v7, v7, v9, vcc
; %bb.1889:
	s_or_b64 exec, exec, s[6:7]
	v_lshrrev_b32_e32 v8, 24, v6
	s_movk_i32 s6, 0x80
	v_and_or_b32 v7, v8, s6, v7
	global_store_byte v[4:5], v7, off
.LBB257_1890:
	s_mov_b64 s[6:7], 0
	s_mov_b64 s[8:9], -1
.LBB257_1891:
	s_andn2_b64 vcc, exec, s[6:7]
	s_mov_b64 s[6:7], 0
	s_cbranch_vccnz .LBB257_1898
; %bb.1892:
	s_cmp_gt_i32 s15, 14
	s_mov_b64 s[10:11], -1
	s_cbranch_scc0 .LBB257_1896
; %bb.1893:
	s_cmp_eq_u32 s15, 15
	s_mov_b64 s[0:1], -1
	s_cbranch_scc0 .LBB257_1895
; %bb.1894:
	v_bfe_u32 v7, v6, 16, 1
	s_movk_i32 s0, 0x7fff
	v_add3_u32 v7, v6, v7, s0
	v_cmp_le_f32_e32 vcc, 0, v3
	v_mov_b32_e32 v8, 0x7fc0
	s_mov_b64 s[0:1], 0
	v_cndmask_b32_sdwa v7, v8, v7, vcc dst_sel:DWORD dst_unused:UNUSED_PAD src0_sel:DWORD src1_sel:WORD_1
	global_store_short v[4:5], v7, off
	s_mov_b64 s[8:9], -1
.LBB257_1895:
	s_mov_b64 s[10:11], 0
.LBB257_1896:
	s_and_b64 vcc, exec, s[10:11]
	s_cbranch_vccz .LBB257_1898
; %bb.1897:
	s_cmp_lg_u32 s15, 11
	s_mov_b64 s[6:7], -1
	s_cselect_b64 s[0:1], -1, 0
.LBB257_1898:
	s_and_b64 vcc, exec, s[0:1]
	s_cbranch_vccnz .LBB257_2148
; %bb.1899:
	s_andn2_b64 vcc, exec, s[6:7]
	s_cbranch_vccnz .LBB257_1901
.LBB257_1900:
	v_cmp_neq_f32_e32 vcc, 0, v3
	s_mov_b64 s[8:9], -1
	s_nop 0
	v_cndmask_b32_e64 v3, 0, 1, vcc
	global_store_byte v[4:5], v3, off
.LBB257_1901:
	s_mov_b64 s[0:1], 0
	s_branch .LBB257_1903
.LBB257_1902:
	s_mov_b64 s[0:1], -1
	s_mov_b64 s[8:9], 0
.LBB257_1903:
	s_and_b64 vcc, exec, s[0:1]
	s_cbranch_vccz .LBB257_1942
; %bb.1904:
	s_and_b32 s6, 0xffff, s14
	s_cmp_lt_i32 s6, 5
	s_mov_b64 s[0:1], -1
	s_cbranch_scc1 .LBB257_1925
; %bb.1905:
	s_cmp_lt_i32 s6, 8
	s_cbranch_scc1 .LBB257_1915
; %bb.1906:
	s_cmp_lt_i32 s6, 9
	s_cbranch_scc1 .LBB257_1912
; %bb.1907:
	s_cmp_gt_i32 s6, 9
	s_cbranch_scc0 .LBB257_1909
; %bb.1908:
	v_mov_b32_e32 v14, 0
	v_cvt_f64_f32_e32 v[12:13], v6
	v_mov_b32_e32 v15, v14
	global_store_dwordx4 v[4:5], v[12:15], off
	s_mov_b64 s[0:1], 0
.LBB257_1909:
	s_andn2_b64 vcc, exec, s[0:1]
	s_cbranch_vccnz .LBB257_1911
; %bb.1910:
	v_mov_b32_e32 v7, 0
	global_store_dwordx2 v[4:5], v[6:7], off
.LBB257_1911:
	s_mov_b64 s[0:1], 0
.LBB257_1912:
	s_andn2_b64 vcc, exec, s[0:1]
	s_cbranch_vccnz .LBB257_1914
; %bb.1913:
	v_cvt_f16_f32_e32 v3, v6
	global_store_dword v[4:5], v3, off
.LBB257_1914:
	s_mov_b64 s[0:1], 0
.LBB257_1915:
	s_andn2_b64 vcc, exec, s[0:1]
	s_cbranch_vccnz .LBB257_1924
; %bb.1916:
	s_cmp_lt_i32 s6, 6
	s_mov_b64 s[0:1], -1
	s_cbranch_scc1 .LBB257_1922
; %bb.1917:
	s_cmp_gt_i32 s6, 6
	s_cbranch_scc0 .LBB257_1919
; %bb.1918:
	v_cvt_f64_f32_e32 v[8:9], v6
	global_store_dwordx2 v[4:5], v[8:9], off
	s_mov_b64 s[0:1], 0
.LBB257_1919:
	s_andn2_b64 vcc, exec, s[0:1]
	s_cbranch_vccnz .LBB257_1921
; %bb.1920:
	global_store_dword v[4:5], v6, off
.LBB257_1921:
	s_mov_b64 s[0:1], 0
.LBB257_1922:
	s_andn2_b64 vcc, exec, s[0:1]
	s_cbranch_vccnz .LBB257_1924
; %bb.1923:
	v_cvt_f16_f32_e32 v3, v6
	global_store_short v[4:5], v3, off
.LBB257_1924:
	s_mov_b64 s[0:1], 0
.LBB257_1925:
	s_andn2_b64 vcc, exec, s[0:1]
	s_cbranch_vccnz .LBB257_1941
; %bb.1926:
	s_cmp_lt_i32 s6, 2
	s_mov_b64 s[0:1], -1
	s_cbranch_scc1 .LBB257_1936
; %bb.1927:
	s_cmp_lt_i32 s6, 3
	s_cbranch_scc1 .LBB257_1933
; %bb.1928:
	s_cmp_gt_i32 s6, 3
	s_cbranch_scc0 .LBB257_1930
; %bb.1929:
	v_trunc_f32_e32 v3, v6
	s_mov_b32 s0, 0x2f800000
	v_mul_f32_e64 v7, |v3|, s0
	v_floor_f32_e32 v7, v7
	s_mov_b32 s0, 0xcf800000
	v_cvt_u32_f32_e32 v8, v7
	v_fma_f32 v7, v7, s0, |v3|
	v_cvt_u32_f32_e32 v7, v7
	v_ashrrev_i32_e32 v3, 31, v3
	v_xor_b32_e32 v9, v8, v3
	s_mov_b64 s[0:1], 0
	v_xor_b32_e32 v7, v7, v3
	v_sub_co_u32_e32 v8, vcc, v7, v3
	s_nop 1
	v_subb_co_u32_e32 v9, vcc, v9, v3, vcc
	global_store_dwordx2 v[4:5], v[8:9], off
.LBB257_1930:
	s_andn2_b64 vcc, exec, s[0:1]
	s_cbranch_vccnz .LBB257_1932
; %bb.1931:
	v_cvt_i32_f32_e32 v3, v6
	global_store_dword v[4:5], v3, off
.LBB257_1932:
	s_mov_b64 s[0:1], 0
.LBB257_1933:
	s_andn2_b64 vcc, exec, s[0:1]
	s_cbranch_vccnz .LBB257_1935
; %bb.1934:
	v_cvt_i32_f32_e32 v3, v6
	global_store_short v[4:5], v3, off
.LBB257_1935:
	s_mov_b64 s[0:1], 0
.LBB257_1936:
	s_andn2_b64 vcc, exec, s[0:1]
	s_cbranch_vccnz .LBB257_1941
; %bb.1937:
	s_cmp_gt_i32 s6, 0
	s_mov_b64 s[0:1], -1
	s_cbranch_scc0 .LBB257_1939
; %bb.1938:
	v_cvt_i32_f32_e32 v3, v6
	s_mov_b64 s[0:1], 0
	global_store_byte v[4:5], v3, off
.LBB257_1939:
	s_andn2_b64 vcc, exec, s[0:1]
	s_cbranch_vccnz .LBB257_1941
; %bb.1940:
	v_trunc_f32_e32 v3, v6
	s_mov_b32 s0, 0x2f800000
	v_mul_f32_e64 v6, |v3|, s0
	v_floor_f32_e32 v6, v6
	s_mov_b32 s0, 0xcf800000
	v_fma_f32 v6, v6, s0, |v3|
	v_cvt_u32_f32_e32 v6, v6
	v_ashrrev_i32_e32 v3, 31, v3
	v_xor_b32_e32 v6, v6, v3
	v_sub_u32_e32 v3, v6, v3
	global_store_byte v[4:5], v3, off
.LBB257_1941:
	s_mov_b64 s[8:9], -1
.LBB257_1942:
	s_andn2_b64 vcc, exec, s[8:9]
	s_cbranch_vccnz .LBB257_2138
; %bb.1943:
	s_mov_b32 s0, 0xf800000
	v_mul_f32_e32 v3, 0x4f800000, v1
	v_cmp_gt_f32_e32 vcc, s0, v1
	s_cmp_lt_i32 s14, 11
	s_nop 0
	v_cndmask_b32_e32 v3, v1, v3, vcc
	v_sqrt_f32_e32 v4, v3
	s_nop 0
	v_add_u32_e32 v5, -1, v4
	v_fma_f32 v6, -v5, v4, v3
	v_cmp_ge_f32_e64 s[0:1], 0, v6
	v_add_u32_e32 v6, 1, v4
	s_nop 0
	v_cndmask_b32_e64 v5, v4, v5, s[0:1]
	v_fma_f32 v4, -v6, v4, v3
	v_cmp_lt_f32_e64 s[0:1], 0, v4
	s_nop 1
	v_cndmask_b32_e64 v4, v5, v6, s[0:1]
	v_mul_f32_e32 v5, 0x37800000, v4
	v_cndmask_b32_e32 v4, v4, v5, vcc
	v_mov_b32_e32 v5, 0x260
	v_cmp_class_f32_e32 vcc, v3, v5
	s_nop 1
	v_cndmask_b32_e32 v4, v4, v3, vcc
	v_mov_b32_e32 v3, 0
	v_lshl_add_u64 v[2:3], s[4:5], 0, v[2:3]
	s_cbranch_scc1 .LBB257_2021
; %bb.1944:
	s_and_b32 s15, 0xffff, s14
	s_mov_b64 s[10:11], -1
	s_mov_b64 s[6:7], 0
	s_cmp_gt_i32 s15, 25
	s_mov_b64 s[8:9], 0
	s_mov_b64 s[0:1], 0
	s_cbranch_scc0 .LBB257_1977
; %bb.1945:
	s_cmp_gt_i32 s15, 28
	s_cbranch_scc0 .LBB257_1960
; %bb.1946:
	s_cmp_gt_i32 s15, 43
	;; [unrolled: 3-line block ×3, first 2 shown]
	s_cbranch_scc0 .LBB257_1950
; %bb.1948:
	s_mov_b64 s[0:1], -1
	s_mov_b64 s[10:11], 0
	s_cmp_eq_u32 s15, 46
	s_cbranch_scc0 .LBB257_1950
; %bb.1949:
	v_bfe_u32 v5, v4, 16, 1
	s_movk_i32 s0, 0x7fff
	v_add3_u32 v5, v4, v5, s0
	v_cmp_le_f32_e32 vcc, 0, v1
	v_mov_b32_e32 v6, 0x7fc0
	s_mov_b64 s[0:1], 0
	v_cndmask_b32_sdwa v5, v6, v5, vcc dst_sel:DWORD dst_unused:UNUSED_PAD src0_sel:DWORD src1_sel:WORD_1
	global_store_dword v[2:3], v5, off
	s_mov_b64 s[8:9], -1
.LBB257_1950:
	s_and_b64 vcc, exec, s[10:11]
	s_cbranch_vccz .LBB257_1955
; %bb.1951:
	s_cmp_eq_u32 s15, 44
	s_mov_b64 s[0:1], -1
	s_cbranch_scc0 .LBB257_1955
; %bb.1952:
	v_bfe_u32 v5, v4, 23, 8
	s_movk_i32 s0, 0xff
	v_cmp_ne_u32_e32 vcc, s0, v5
	v_mov_b32_e32 v6, 0xff
	s_and_saveexec_b64 s[8:9], vcc
; %bb.1953:
	s_mov_b32 s0, 0x3fffff
	v_and_b32_e32 v7, 0x400000, v4
	v_and_or_b32 v5, v4, s0, v5
	v_cmp_ne_u32_e32 vcc, 0, v7
	v_cmp_ne_u32_e64 s[0:1], 0, v5
	s_and_b64 s[0:1], vcc, s[0:1]
	v_lshrrev_b32_e32 v6, 23, v4
	v_cndmask_b32_e64 v5, 0, 1, s[0:1]
	v_add_u32_e32 v6, v6, v5
; %bb.1954:
	s_or_b64 exec, exec, s[8:9]
	s_mov_b64 s[0:1], 0
	s_mov_b64 s[8:9], -1
	global_store_byte v[2:3], v6, off
.LBB257_1955:
	s_mov_b64 s[10:11], 0
.LBB257_1956:
	s_and_b64 vcc, exec, s[10:11]
	s_cbranch_vccz .LBB257_1959
; %bb.1957:
	s_cmp_eq_u32 s15, 29
	s_mov_b64 s[0:1], -1
	s_cbranch_scc0 .LBB257_1959
; %bb.1958:
	v_trunc_f32_e32 v5, v4
	v_mul_f32_e32 v6, 0x2f800000, v5
	v_floor_f32_e32 v6, v6
	v_fmamk_f32 v5, v6, 0xcf800000, v5
	v_cvt_u32_f32_e32 v7, v6
	v_cvt_u32_f32_e32 v6, v5
	s_mov_b64 s[0:1], 0
	s_mov_b64 s[8:9], -1
	global_store_dwordx2 v[2:3], v[6:7], off
.LBB257_1959:
	s_mov_b64 s[10:11], 0
.LBB257_1960:
	s_and_b64 vcc, exec, s[10:11]
	s_cbranch_vccz .LBB257_1976
; %bb.1961:
	s_cmp_lt_i32 s15, 27
	s_mov_b64 s[8:9], -1
	s_cbranch_scc1 .LBB257_1967
; %bb.1962:
	v_cvt_u32_f32_e32 v5, v4
	s_cmp_gt_i32 s15, 27
	s_cbranch_scc0 .LBB257_1964
; %bb.1963:
	s_mov_b64 s[8:9], 0
	global_store_dword v[2:3], v5, off
.LBB257_1964:
	s_andn2_b64 vcc, exec, s[8:9]
	s_cbranch_vccnz .LBB257_1966
; %bb.1965:
	global_store_short v[2:3], v5, off
.LBB257_1966:
	s_mov_b64 s[8:9], 0
.LBB257_1967:
	s_andn2_b64 vcc, exec, s[8:9]
	s_cbranch_vccnz .LBB257_1975
; %bb.1968:
	v_and_b32_e32 v5, 0x7fffffff, v4
	s_mov_b32 s8, 0x43800000
	v_cmp_gt_u32_e32 vcc, s8, v5
	v_mov_b32_e32 v6, 0x80
	s_and_saveexec_b64 s[8:9], vcc
	s_cbranch_execz .LBB257_1974
; %bb.1969:
	s_mov_b32 s10, 0x3bffffff
	v_cmp_lt_u32_e32 vcc, s10, v5
	s_mov_b64 s[10:11], 0
                                        ; implicit-def: $vgpr5
	s_and_saveexec_b64 s[12:13], vcc
	s_xor_b64 s[12:13], exec, s[12:13]
	s_cbranch_execz .LBB257_2151
; %bb.1970:
	v_bfe_u32 v5, v4, 20, 1
	s_mov_b32 s16, 0x487ffff
	v_add3_u32 v5, v4, v5, s16
	s_mov_b64 s[10:11], exec
	v_lshrrev_b32_e32 v5, 20, v5
	s_andn2_saveexec_b64 s[12:13], s[12:13]
	s_cbranch_execnz .LBB257_2152
.LBB257_1971:
	s_or_b64 exec, exec, s[12:13]
	v_mov_b32_e32 v6, 0
	s_and_saveexec_b64 s[12:13], s[10:11]
.LBB257_1972:
	v_lshrrev_b32_e32 v6, 24, v4
	s_movk_i32 s10, 0x80
	v_and_or_b32 v6, v6, s10, v5
.LBB257_1973:
	s_or_b64 exec, exec, s[12:13]
.LBB257_1974:
	s_or_b64 exec, exec, s[8:9]
	global_store_byte v[2:3], v6, off
.LBB257_1975:
	s_mov_b64 s[8:9], -1
.LBB257_1976:
	s_mov_b64 s[10:11], 0
.LBB257_1977:
	s_and_b64 vcc, exec, s[10:11]
	s_cbranch_vccz .LBB257_2017
; %bb.1978:
	s_cmp_gt_i32 s15, 22
	s_mov_b64 s[6:7], -1
	s_cbranch_scc0 .LBB257_2010
; %bb.1979:
	s_cmp_lt_i32 s15, 24
	s_cbranch_scc1 .LBB257_1999
; %bb.1980:
	s_cmp_gt_i32 s15, 24
	s_cbranch_scc0 .LBB257_1988
; %bb.1981:
	v_and_b32_e32 v5, 0x7fffffff, v4
	s_mov_b32 s6, 0x47800000
	v_cmp_gt_u32_e32 vcc, s6, v5
	v_mov_b32_e32 v6, 0x80
	s_and_saveexec_b64 s[6:7], vcc
	s_cbranch_execz .LBB257_1987
; %bb.1982:
	s_mov_b32 s8, 0x37ffffff
	v_cmp_lt_u32_e32 vcc, s8, v5
	s_mov_b64 s[8:9], 0
                                        ; implicit-def: $vgpr5
	s_and_saveexec_b64 s[10:11], vcc
	s_xor_b64 s[10:11], exec, s[10:11]
	s_cbranch_execz .LBB257_2154
; %bb.1983:
	v_bfe_u32 v5, v4, 21, 1
	s_mov_b32 s12, 0x88fffff
	v_add3_u32 v5, v4, v5, s12
	s_mov_b64 s[8:9], exec
	v_lshrrev_b32_e32 v5, 21, v5
	s_andn2_saveexec_b64 s[10:11], s[10:11]
	s_cbranch_execnz .LBB257_2155
.LBB257_1984:
	s_or_b64 exec, exec, s[10:11]
	v_mov_b32_e32 v6, 0
	s_and_saveexec_b64 s[10:11], s[8:9]
.LBB257_1985:
	v_lshrrev_b32_e32 v6, 24, v4
	s_movk_i32 s8, 0x80
	v_and_or_b32 v6, v6, s8, v5
.LBB257_1986:
	s_or_b64 exec, exec, s[10:11]
.LBB257_1987:
	s_or_b64 exec, exec, s[6:7]
	s_mov_b64 s[6:7], 0
	global_store_byte v[2:3], v6, off
.LBB257_1988:
	s_and_b64 vcc, exec, s[6:7]
	s_cbranch_vccz .LBB257_1998
; %bb.1989:
	v_and_b32_e32 v6, 0x7fffffff, v4
	s_mov_b32 s6, 0x43f00000
	v_cmp_gt_u32_e32 vcc, s6, v6
                                        ; implicit-def: $vgpr5
	s_and_saveexec_b64 s[6:7], vcc
	s_xor_b64 s[6:7], exec, s[6:7]
	s_cbranch_execz .LBB257_1995
; %bb.1990:
	s_mov_b32 s8, 0x3c7fffff
	v_cmp_lt_u32_e32 vcc, s8, v6
                                        ; implicit-def: $vgpr5
	s_and_saveexec_b64 s[8:9], vcc
	s_xor_b64 s[8:9], exec, s[8:9]
; %bb.1991:
	v_bfe_u32 v5, v4, 20, 1
	s_mov_b32 s10, 0x407ffff
	v_add3_u32 v5, v4, v5, s10
	v_lshrrev_b32_e32 v6, 20, v5
	v_and_b32_e32 v5, 0xff00000, v5
	s_mov_b32 s10, 0x7f00000
	v_mov_b32_e32 v7, 0x7e
	v_cmp_ne_u32_e32 vcc, s10, v5
	s_nop 1
	v_cndmask_b32_e32 v5, v7, v6, vcc
; %bb.1992:
	s_andn2_saveexec_b64 s[8:9], s[8:9]
; %bb.1993:
	s_mov_b32 s10, 0x46800000
	v_add_f32_e64 v5, |v4|, s10
; %bb.1994:
	s_or_b64 exec, exec, s[8:9]
                                        ; implicit-def: $vgpr6
.LBB257_1995:
	s_andn2_saveexec_b64 s[6:7], s[6:7]
; %bb.1996:
	s_mov_b32 s8, 0x7f800000
	v_mov_b32_e32 v5, 0x7e
	v_mov_b32_e32 v7, 0x7f
	v_cmp_lt_u32_e32 vcc, s8, v6
	s_nop 1
	v_cndmask_b32_e32 v5, v5, v7, vcc
; %bb.1997:
	s_or_b64 exec, exec, s[6:7]
	v_lshrrev_b32_e32 v6, 24, v4
	s_movk_i32 s6, 0x80
	v_and_or_b32 v5, v6, s6, v5
	global_store_byte v[2:3], v5, off
.LBB257_1998:
	s_mov_b64 s[6:7], 0
.LBB257_1999:
	s_andn2_b64 vcc, exec, s[6:7]
	s_cbranch_vccnz .LBB257_2009
; %bb.2000:
	v_and_b32_e32 v6, 0x7fffffff, v4
	s_mov_b32 s6, 0x47800000
	v_cmp_gt_u32_e32 vcc, s6, v6
                                        ; implicit-def: $vgpr5
	s_and_saveexec_b64 s[6:7], vcc
	s_xor_b64 s[6:7], exec, s[6:7]
	s_cbranch_execz .LBB257_2006
; %bb.2001:
	s_mov_b32 s8, 0x387fffff
	v_cmp_lt_u32_e32 vcc, s8, v6
                                        ; implicit-def: $vgpr5
	s_and_saveexec_b64 s[8:9], vcc
	s_xor_b64 s[8:9], exec, s[8:9]
; %bb.2002:
	v_bfe_u32 v5, v4, 21, 1
	s_mov_b32 s10, 0x80fffff
	v_add3_u32 v5, v4, v5, s10
	v_lshrrev_b32_e32 v5, 21, v5
; %bb.2003:
	s_andn2_saveexec_b64 s[8:9], s[8:9]
; %bb.2004:
	s_mov_b32 s10, 0x43000000
	v_add_f32_e64 v5, |v4|, s10
; %bb.2005:
	s_or_b64 exec, exec, s[8:9]
                                        ; implicit-def: $vgpr6
.LBB257_2006:
	s_andn2_saveexec_b64 s[6:7], s[6:7]
; %bb.2007:
	s_mov_b32 s8, 0x7f800000
	v_mov_b32_e32 v5, 0x7c
	v_mov_b32_e32 v7, 0x7f
	v_cmp_lt_u32_e32 vcc, s8, v6
	s_nop 1
	v_cndmask_b32_e32 v5, v5, v7, vcc
; %bb.2008:
	s_or_b64 exec, exec, s[6:7]
	v_lshrrev_b32_e32 v6, 24, v4
	s_movk_i32 s6, 0x80
	v_and_or_b32 v5, v6, s6, v5
	global_store_byte v[2:3], v5, off
.LBB257_2009:
	s_mov_b64 s[6:7], 0
	s_mov_b64 s[8:9], -1
.LBB257_2010:
	s_andn2_b64 vcc, exec, s[6:7]
	s_mov_b64 s[6:7], 0
	s_cbranch_vccnz .LBB257_2017
; %bb.2011:
	s_cmp_gt_i32 s15, 14
	s_mov_b64 s[10:11], -1
	s_cbranch_scc0 .LBB257_2015
; %bb.2012:
	s_cmp_eq_u32 s15, 15
	s_mov_b64 s[0:1], -1
	s_cbranch_scc0 .LBB257_2014
; %bb.2013:
	v_bfe_u32 v5, v4, 16, 1
	s_movk_i32 s0, 0x7fff
	v_add3_u32 v5, v4, v5, s0
	v_cmp_le_f32_e32 vcc, 0, v1
	v_mov_b32_e32 v6, 0x7fc0
	s_mov_b64 s[0:1], 0
	v_cndmask_b32_sdwa v5, v6, v5, vcc dst_sel:DWORD dst_unused:UNUSED_PAD src0_sel:DWORD src1_sel:WORD_1
	global_store_short v[2:3], v5, off
	s_mov_b64 s[8:9], -1
.LBB257_2014:
	s_mov_b64 s[10:11], 0
.LBB257_2015:
	s_and_b64 vcc, exec, s[10:11]
	s_cbranch_vccz .LBB257_2017
; %bb.2016:
	s_cmp_lg_u32 s15, 11
	s_mov_b64 s[6:7], -1
	s_cselect_b64 s[0:1], -1, 0
.LBB257_2017:
	s_and_b64 vcc, exec, s[0:1]
	s_cbranch_vccnz .LBB257_2153
; %bb.2018:
	s_andn2_b64 vcc, exec, s[6:7]
	s_cbranch_vccnz .LBB257_2020
.LBB257_2019:
	v_cmp_neq_f32_e32 vcc, 0, v1
	s_mov_b64 s[8:9], -1
	s_nop 0
	v_cndmask_b32_e64 v1, 0, 1, vcc
	global_store_byte v[2:3], v1, off
.LBB257_2020:
	s_mov_b64 s[0:1], 0
	s_branch .LBB257_2022
.LBB257_2021:
	s_mov_b64 s[0:1], -1
	s_mov_b64 s[8:9], 0
.LBB257_2022:
	s_and_b64 vcc, exec, s[0:1]
	s_cbranch_vccz .LBB257_2061
; %bb.2023:
	s_and_b32 s6, 0xffff, s14
	s_cmp_lt_i32 s6, 5
	s_mov_b64 s[0:1], -1
	s_cbranch_scc1 .LBB257_2044
; %bb.2024:
	s_cmp_lt_i32 s6, 8
	s_cbranch_scc1 .LBB257_2034
; %bb.2025:
	s_cmp_lt_i32 s6, 9
	s_cbranch_scc1 .LBB257_2031
; %bb.2026:
	s_cmp_gt_i32 s6, 9
	s_cbranch_scc0 .LBB257_2028
; %bb.2027:
	v_mov_b32_e32 v8, 0
	v_cvt_f64_f32_e32 v[6:7], v4
	v_mov_b32_e32 v9, v8
	global_store_dwordx4 v[2:3], v[6:9], off
	s_mov_b64 s[0:1], 0
.LBB257_2028:
	s_andn2_b64 vcc, exec, s[0:1]
	s_cbranch_vccnz .LBB257_2030
; %bb.2029:
	v_mov_b32_e32 v5, 0
	global_store_dwordx2 v[2:3], v[4:5], off
.LBB257_2030:
	s_mov_b64 s[0:1], 0
.LBB257_2031:
	s_andn2_b64 vcc, exec, s[0:1]
	s_cbranch_vccnz .LBB257_2033
; %bb.2032:
	v_cvt_f16_f32_e32 v1, v4
	global_store_dword v[2:3], v1, off
.LBB257_2033:
	s_mov_b64 s[0:1], 0
.LBB257_2034:
	s_andn2_b64 vcc, exec, s[0:1]
	s_cbranch_vccnz .LBB257_2043
; %bb.2035:
	s_cmp_lt_i32 s6, 6
	s_mov_b64 s[0:1], -1
	s_cbranch_scc1 .LBB257_2041
; %bb.2036:
	s_cmp_gt_i32 s6, 6
	s_cbranch_scc0 .LBB257_2038
; %bb.2037:
	v_cvt_f64_f32_e32 v[6:7], v4
	global_store_dwordx2 v[2:3], v[6:7], off
	s_mov_b64 s[0:1], 0
.LBB257_2038:
	s_andn2_b64 vcc, exec, s[0:1]
	s_cbranch_vccnz .LBB257_2040
; %bb.2039:
	global_store_dword v[2:3], v4, off
.LBB257_2040:
	s_mov_b64 s[0:1], 0
.LBB257_2041:
	s_andn2_b64 vcc, exec, s[0:1]
	s_cbranch_vccnz .LBB257_2043
; %bb.2042:
	v_cvt_f16_f32_e32 v1, v4
	global_store_short v[2:3], v1, off
.LBB257_2043:
	s_mov_b64 s[0:1], 0
.LBB257_2044:
	s_andn2_b64 vcc, exec, s[0:1]
	s_cbranch_vccnz .LBB257_2060
; %bb.2045:
	s_cmp_lt_i32 s6, 2
	s_mov_b64 s[0:1], -1
	s_cbranch_scc1 .LBB257_2055
; %bb.2046:
	s_cmp_lt_i32 s6, 3
	s_cbranch_scc1 .LBB257_2052
; %bb.2047:
	s_cmp_gt_i32 s6, 3
	s_cbranch_scc0 .LBB257_2049
; %bb.2048:
	v_trunc_f32_e32 v1, v4
	s_mov_b32 s0, 0x2f800000
	v_mul_f32_e64 v5, |v1|, s0
	v_floor_f32_e32 v5, v5
	s_mov_b32 s0, 0xcf800000
	v_cvt_u32_f32_e32 v6, v5
	v_fma_f32 v5, v5, s0, |v1|
	v_cvt_u32_f32_e32 v5, v5
	v_ashrrev_i32_e32 v1, 31, v1
	v_xor_b32_e32 v7, v6, v1
	s_mov_b64 s[0:1], 0
	v_xor_b32_e32 v5, v5, v1
	v_sub_co_u32_e32 v6, vcc, v5, v1
	s_nop 1
	v_subb_co_u32_e32 v7, vcc, v7, v1, vcc
	global_store_dwordx2 v[2:3], v[6:7], off
.LBB257_2049:
	s_andn2_b64 vcc, exec, s[0:1]
	s_cbranch_vccnz .LBB257_2051
; %bb.2050:
	v_cvt_i32_f32_e32 v1, v4
	global_store_dword v[2:3], v1, off
.LBB257_2051:
	s_mov_b64 s[0:1], 0
.LBB257_2052:
	s_andn2_b64 vcc, exec, s[0:1]
	s_cbranch_vccnz .LBB257_2054
; %bb.2053:
	v_cvt_i32_f32_e32 v1, v4
	global_store_short v[2:3], v1, off
.LBB257_2054:
	s_mov_b64 s[0:1], 0
.LBB257_2055:
	s_andn2_b64 vcc, exec, s[0:1]
	s_cbranch_vccnz .LBB257_2060
; %bb.2056:
	s_cmp_gt_i32 s6, 0
	s_mov_b64 s[0:1], -1
	s_cbranch_scc0 .LBB257_2058
; %bb.2057:
	v_cvt_i32_f32_e32 v1, v4
	s_mov_b64 s[0:1], 0
	global_store_byte v[2:3], v1, off
.LBB257_2058:
	s_andn2_b64 vcc, exec, s[0:1]
	s_cbranch_vccnz .LBB257_2060
; %bb.2059:
	v_trunc_f32_e32 v1, v4
	s_mov_b32 s0, 0x2f800000
	v_mul_f32_e64 v4, |v1|, s0
	v_floor_f32_e32 v4, v4
	s_mov_b32 s0, 0xcf800000
	v_fma_f32 v4, v4, s0, |v1|
	v_cvt_u32_f32_e32 v4, v4
	v_ashrrev_i32_e32 v1, 31, v1
	v_xor_b32_e32 v4, v4, v1
	v_sub_u32_e32 v1, v4, v1
	global_store_byte v[2:3], v1, off
.LBB257_2060:
	s_mov_b64 s[8:9], -1
.LBB257_2061:
	s_andn2_b64 vcc, exec, s[8:9]
	s_cbranch_vccnz .LBB257_2138
; %bb.2062:
	s_mov_b32 s0, 0xf800000
	v_mul_f32_e32 v1, 0x4f800000, v10
	v_cmp_gt_f32_e32 vcc, s0, v10
	s_cmp_lt_i32 s14, 11
	s_nop 0
	v_cndmask_b32_e32 v1, v10, v1, vcc
	v_sqrt_f32_e32 v2, v1
	s_nop 0
	v_add_u32_e32 v3, -1, v2
	v_fma_f32 v4, -v3, v2, v1
	v_cmp_ge_f32_e64 s[0:1], 0, v4
	v_add_u32_e32 v4, 1, v2
	s_nop 0
	v_cndmask_b32_e64 v3, v2, v3, s[0:1]
	v_fma_f32 v2, -v4, v2, v1
	v_cmp_lt_f32_e64 s[0:1], 0, v2
	s_nop 1
	v_cndmask_b32_e64 v2, v3, v4, s[0:1]
	v_mul_f32_e32 v3, 0x37800000, v2
	v_cndmask_b32_e32 v2, v2, v3, vcc
	v_mov_b32_e32 v3, 0x260
	v_cmp_class_f32_e32 vcc, v1, v3
	s_nop 1
	v_cndmask_b32_e32 v2, v2, v1, vcc
	v_mov_b32_e32 v1, 0
	v_lshl_add_u64 v[0:1], s[4:5], 0, v[0:1]
	s_cbranch_scc1 .LBB257_2139
; %bb.2063:
	s_and_b32 s12, 0xffff, s14
	s_mov_b64 s[6:7], -1
	s_mov_b64 s[4:5], 0
	s_cmp_gt_i32 s12, 25
	s_mov_b64 s[0:1], 0
	s_cbranch_scc0 .LBB257_2096
; %bb.2064:
	s_cmp_gt_i32 s12, 28
	s_cbranch_scc0 .LBB257_2080
; %bb.2065:
	s_cmp_gt_i32 s12, 43
	;; [unrolled: 3-line block ×3, first 2 shown]
	s_cbranch_scc0 .LBB257_2070
; %bb.2067:
	s_cmp_eq_u32 s12, 46
	s_mov_b64 s[0:1], -1
	s_cbranch_scc0 .LBB257_2069
; %bb.2068:
	v_bfe_u32 v3, v2, 16, 1
	s_movk_i32 s0, 0x7fff
	v_add3_u32 v3, v2, v3, s0
	v_cmp_le_f32_e32 vcc, 0, v10
	v_mov_b32_e32 v4, 0x7fc0
	s_mov_b64 s[0:1], 0
	v_cndmask_b32_sdwa v3, v4, v3, vcc dst_sel:DWORD dst_unused:UNUSED_PAD src0_sel:DWORD src1_sel:WORD_1
	global_store_dword v[0:1], v3, off
.LBB257_2069:
	s_mov_b64 s[6:7], 0
.LBB257_2070:
	s_and_b64 vcc, exec, s[6:7]
	s_cbranch_vccz .LBB257_2075
; %bb.2071:
	s_cmp_eq_u32 s12, 44
	s_mov_b64 s[0:1], -1
	s_cbranch_scc0 .LBB257_2075
; %bb.2072:
	v_bfe_u32 v3, v2, 23, 8
	s_movk_i32 s0, 0xff
	v_cmp_ne_u32_e32 vcc, s0, v3
	v_mov_b32_e32 v4, 0xff
	s_and_saveexec_b64 s[6:7], vcc
; %bb.2073:
	s_mov_b32 s0, 0x3fffff
	v_and_b32_e32 v5, 0x400000, v2
	v_and_or_b32 v3, v2, s0, v3
	v_cmp_ne_u32_e32 vcc, 0, v5
	v_cmp_ne_u32_e64 s[0:1], 0, v3
	s_and_b64 s[0:1], vcc, s[0:1]
	v_lshrrev_b32_e32 v4, 23, v2
	v_cndmask_b32_e64 v3, 0, 1, s[0:1]
	v_add_u32_e32 v4, v4, v3
; %bb.2074:
	s_or_b64 exec, exec, s[6:7]
	s_mov_b64 s[0:1], 0
	global_store_byte v[0:1], v4, off
.LBB257_2075:
	s_mov_b64 s[6:7], 0
.LBB257_2076:
	s_and_b64 vcc, exec, s[6:7]
	s_cbranch_vccz .LBB257_2079
; %bb.2077:
	s_cmp_eq_u32 s12, 29
	s_mov_b64 s[0:1], -1
	s_cbranch_scc0 .LBB257_2079
; %bb.2078:
	v_trunc_f32_e32 v3, v2
	v_mul_f32_e32 v4, 0x2f800000, v3
	v_floor_f32_e32 v4, v4
	v_fmamk_f32 v3, v4, 0xcf800000, v3
	v_cvt_u32_f32_e32 v5, v4
	v_cvt_u32_f32_e32 v4, v3
	s_mov_b64 s[0:1], 0
	global_store_dwordx2 v[0:1], v[4:5], off
.LBB257_2079:
	s_mov_b64 s[6:7], 0
.LBB257_2080:
	s_and_b64 vcc, exec, s[6:7]
	s_cbranch_vccz .LBB257_2095
; %bb.2081:
	s_cmp_lt_i32 s12, 27
	s_mov_b64 s[6:7], -1
	s_cbranch_scc1 .LBB257_2087
; %bb.2082:
	s_cmp_gt_i32 s12, 27
	s_cbranch_scc0 .LBB257_2084
; %bb.2083:
	v_cvt_u32_f32_e32 v3, v2
	s_mov_b64 s[6:7], 0
	global_store_dword v[0:1], v3, off
.LBB257_2084:
	s_andn2_b64 vcc, exec, s[6:7]
	s_cbranch_vccnz .LBB257_2086
; %bb.2085:
	v_cvt_u32_f32_e32 v3, v2
	global_store_short v[0:1], v3, off
.LBB257_2086:
	s_mov_b64 s[6:7], 0
.LBB257_2087:
	s_andn2_b64 vcc, exec, s[6:7]
	s_cbranch_vccnz .LBB257_2095
; %bb.2088:
	v_and_b32_e32 v3, 0x7fffffff, v2
	s_mov_b32 s6, 0x43800000
	v_cmp_gt_u32_e32 vcc, s6, v3
	v_mov_b32_e32 v4, 0x80
	s_and_saveexec_b64 s[6:7], vcc
	s_cbranch_execz .LBB257_2094
; %bb.2089:
	s_mov_b32 s8, 0x3bffffff
	v_cmp_lt_u32_e32 vcc, s8, v3
	s_mov_b64 s[8:9], 0
                                        ; implicit-def: $vgpr3
	s_and_saveexec_b64 s[10:11], vcc
	s_xor_b64 s[10:11], exec, s[10:11]
	s_cbranch_execz .LBB257_2156
; %bb.2090:
	v_bfe_u32 v3, v2, 20, 1
	s_mov_b32 s13, 0x487ffff
	v_add3_u32 v3, v2, v3, s13
	s_mov_b64 s[8:9], exec
	v_lshrrev_b32_e32 v3, 20, v3
	s_andn2_saveexec_b64 s[10:11], s[10:11]
	s_cbranch_execnz .LBB257_2157
.LBB257_2091:
	s_or_b64 exec, exec, s[10:11]
	v_mov_b32_e32 v4, 0
	s_and_saveexec_b64 s[10:11], s[8:9]
.LBB257_2092:
	v_lshrrev_b32_e32 v4, 24, v2
	s_movk_i32 s8, 0x80
	v_and_or_b32 v4, v4, s8, v3
.LBB257_2093:
	s_or_b64 exec, exec, s[10:11]
.LBB257_2094:
	s_or_b64 exec, exec, s[6:7]
	global_store_byte v[0:1], v4, off
.LBB257_2095:
	s_mov_b64 s[6:7], 0
.LBB257_2096:
	s_and_b64 vcc, exec, s[6:7]
	s_cbranch_vccz .LBB257_2136
; %bb.2097:
	s_cmp_gt_i32 s12, 22
	s_mov_b64 s[4:5], -1
	s_cbranch_scc0 .LBB257_2129
; %bb.2098:
	s_cmp_lt_i32 s12, 24
	s_cbranch_scc1 .LBB257_2118
; %bb.2099:
	s_cmp_gt_i32 s12, 24
	s_cbranch_scc0 .LBB257_2107
; %bb.2100:
	v_and_b32_e32 v3, 0x7fffffff, v2
	s_mov_b32 s4, 0x47800000
	v_cmp_gt_u32_e32 vcc, s4, v3
	v_mov_b32_e32 v4, 0x80
	s_and_saveexec_b64 s[4:5], vcc
	s_cbranch_execz .LBB257_2106
; %bb.2101:
	s_mov_b32 s6, 0x37ffffff
	v_cmp_lt_u32_e32 vcc, s6, v3
	s_mov_b64 s[6:7], 0
                                        ; implicit-def: $vgpr3
	s_and_saveexec_b64 s[8:9], vcc
	s_xor_b64 s[8:9], exec, s[8:9]
	s_cbranch_execz .LBB257_2159
; %bb.2102:
	v_bfe_u32 v3, v2, 21, 1
	s_mov_b32 s10, 0x88fffff
	v_add3_u32 v3, v2, v3, s10
	s_mov_b64 s[6:7], exec
	v_lshrrev_b32_e32 v3, 21, v3
	s_andn2_saveexec_b64 s[8:9], s[8:9]
	s_cbranch_execnz .LBB257_2160
.LBB257_2103:
	s_or_b64 exec, exec, s[8:9]
	v_mov_b32_e32 v4, 0
	s_and_saveexec_b64 s[8:9], s[6:7]
.LBB257_2104:
	v_lshrrev_b32_e32 v4, 24, v2
	s_movk_i32 s6, 0x80
	v_and_or_b32 v4, v4, s6, v3
.LBB257_2105:
	s_or_b64 exec, exec, s[8:9]
.LBB257_2106:
	s_or_b64 exec, exec, s[4:5]
	s_mov_b64 s[4:5], 0
	global_store_byte v[0:1], v4, off
.LBB257_2107:
	s_and_b64 vcc, exec, s[4:5]
	s_cbranch_vccz .LBB257_2117
; %bb.2108:
	v_and_b32_e32 v4, 0x7fffffff, v2
	s_mov_b32 s4, 0x43f00000
	v_cmp_gt_u32_e32 vcc, s4, v4
                                        ; implicit-def: $vgpr3
	s_and_saveexec_b64 s[4:5], vcc
	s_xor_b64 s[4:5], exec, s[4:5]
	s_cbranch_execz .LBB257_2114
; %bb.2109:
	s_mov_b32 s6, 0x3c7fffff
	v_cmp_lt_u32_e32 vcc, s6, v4
                                        ; implicit-def: $vgpr3
	s_and_saveexec_b64 s[6:7], vcc
	s_xor_b64 s[6:7], exec, s[6:7]
; %bb.2110:
	v_bfe_u32 v3, v2, 20, 1
	s_mov_b32 s8, 0x407ffff
	v_add3_u32 v3, v2, v3, s8
	v_lshrrev_b32_e32 v4, 20, v3
	v_and_b32_e32 v3, 0xff00000, v3
	s_mov_b32 s8, 0x7f00000
	v_mov_b32_e32 v5, 0x7e
	v_cmp_ne_u32_e32 vcc, s8, v3
	s_nop 1
	v_cndmask_b32_e32 v3, v5, v4, vcc
; %bb.2111:
	s_andn2_saveexec_b64 s[6:7], s[6:7]
; %bb.2112:
	s_mov_b32 s8, 0x46800000
	v_add_f32_e64 v3, |v2|, s8
; %bb.2113:
	s_or_b64 exec, exec, s[6:7]
                                        ; implicit-def: $vgpr4
.LBB257_2114:
	s_andn2_saveexec_b64 s[4:5], s[4:5]
; %bb.2115:
	s_mov_b32 s6, 0x7f800000
	v_mov_b32_e32 v3, 0x7e
	v_mov_b32_e32 v5, 0x7f
	v_cmp_lt_u32_e32 vcc, s6, v4
	s_nop 1
	v_cndmask_b32_e32 v3, v3, v5, vcc
; %bb.2116:
	s_or_b64 exec, exec, s[4:5]
	v_lshrrev_b32_e32 v4, 24, v2
	s_movk_i32 s4, 0x80
	v_and_or_b32 v3, v4, s4, v3
	global_store_byte v[0:1], v3, off
.LBB257_2117:
	s_mov_b64 s[4:5], 0
.LBB257_2118:
	s_andn2_b64 vcc, exec, s[4:5]
	s_cbranch_vccnz .LBB257_2128
; %bb.2119:
	v_and_b32_e32 v4, 0x7fffffff, v2
	s_mov_b32 s4, 0x47800000
	v_cmp_gt_u32_e32 vcc, s4, v4
                                        ; implicit-def: $vgpr3
	s_and_saveexec_b64 s[4:5], vcc
	s_xor_b64 s[4:5], exec, s[4:5]
	s_cbranch_execz .LBB257_2125
; %bb.2120:
	s_mov_b32 s6, 0x387fffff
	v_cmp_lt_u32_e32 vcc, s6, v4
                                        ; implicit-def: $vgpr3
	s_and_saveexec_b64 s[6:7], vcc
	s_xor_b64 s[6:7], exec, s[6:7]
; %bb.2121:
	v_bfe_u32 v3, v2, 21, 1
	s_mov_b32 s8, 0x80fffff
	v_add3_u32 v3, v2, v3, s8
	v_lshrrev_b32_e32 v3, 21, v3
; %bb.2122:
	s_andn2_saveexec_b64 s[6:7], s[6:7]
; %bb.2123:
	s_mov_b32 s8, 0x43000000
	v_add_f32_e64 v3, |v2|, s8
; %bb.2124:
	s_or_b64 exec, exec, s[6:7]
                                        ; implicit-def: $vgpr4
.LBB257_2125:
	s_andn2_saveexec_b64 s[4:5], s[4:5]
; %bb.2126:
	s_mov_b32 s6, 0x7f800000
	v_mov_b32_e32 v3, 0x7c
	v_mov_b32_e32 v5, 0x7f
	v_cmp_lt_u32_e32 vcc, s6, v4
	s_nop 1
	v_cndmask_b32_e32 v3, v3, v5, vcc
; %bb.2127:
	s_or_b64 exec, exec, s[4:5]
	v_lshrrev_b32_e32 v4, 24, v2
	s_movk_i32 s4, 0x80
	v_and_or_b32 v3, v4, s4, v3
	global_store_byte v[0:1], v3, off
.LBB257_2128:
	s_mov_b64 s[4:5], 0
.LBB257_2129:
	s_andn2_b64 vcc, exec, s[4:5]
	s_mov_b64 s[4:5], 0
	s_cbranch_vccnz .LBB257_2136
; %bb.2130:
	s_cmp_gt_i32 s12, 14
	s_mov_b64 s[6:7], -1
	s_cbranch_scc0 .LBB257_2134
; %bb.2131:
	s_cmp_eq_u32 s12, 15
	s_mov_b64 s[0:1], -1
	s_cbranch_scc0 .LBB257_2133
; %bb.2132:
	v_bfe_u32 v3, v2, 16, 1
	s_movk_i32 s0, 0x7fff
	v_add3_u32 v3, v2, v3, s0
	v_cmp_le_f32_e32 vcc, 0, v10
	v_mov_b32_e32 v4, 0x7fc0
	s_mov_b64 s[0:1], 0
	v_cndmask_b32_sdwa v3, v4, v3, vcc dst_sel:DWORD dst_unused:UNUSED_PAD src0_sel:DWORD src1_sel:WORD_1
	global_store_short v[0:1], v3, off
.LBB257_2133:
	s_mov_b64 s[6:7], 0
.LBB257_2134:
	s_and_b64 vcc, exec, s[6:7]
	s_cbranch_vccz .LBB257_2136
; %bb.2135:
	s_cmp_lg_u32 s12, 11
	s_mov_b64 s[4:5], -1
	s_cselect_b64 s[0:1], -1, 0
.LBB257_2136:
	s_and_b64 vcc, exec, s[0:1]
	s_cbranch_vccnz .LBB257_2158
.LBB257_2137:
	s_mov_b64 s[0:1], 0
	s_branch .LBB257_1543
.LBB257_2138:
	s_mov_b64 s[0:1], 0
                                        ; implicit-def: $vgpr0_vgpr1
                                        ; implicit-def: $sgpr14
                                        ; implicit-def: $vgpr2
	s_branch .LBB257_1542
.LBB257_2139:
	s_mov_b64 s[4:5], 0
	s_mov_b64 s[0:1], -1
	s_branch .LBB257_1543
.LBB257_2140:
	s_trap 2
	s_or_b64 s[2:3], s[2:3], exec
	s_cbranch_execz .LBB257_1653
	s_branch .LBB257_1654
.LBB257_2141:
	s_andn2_saveexec_b64 s[12:13], s[12:13]
	s_cbranch_execz .LBB257_1733
.LBB257_2142:
	s_mov_b32 s17, 0x46000000
	v_add_f32_e64 v9, |v8|, s17
	v_and_b32_e32 v9, 0xff, v9
	v_cmp_ne_u32_e32 vcc, 0, v9
	s_andn2_b64 s[10:11], s[10:11], exec
	s_and_b64 s[18:19], vcc, exec
	s_or_b64 s[10:11], s[10:11], s[18:19]
	s_or_b64 exec, exec, s[12:13]
	v_mov_b32_e32 v11, 0
	s_and_saveexec_b64 s[12:13], s[10:11]
	s_cbranch_execnz .LBB257_1734
	s_branch .LBB257_1735
.LBB257_2143:
	s_trap 2
	s_or_b64 s[2:3], s[2:3], exec
	s_cbranch_execz .LBB257_1781
	s_branch .LBB257_1782
.LBB257_2144:
	s_andn2_saveexec_b64 s[10:11], s[10:11]
	s_cbranch_execz .LBB257_1746
.LBB257_2145:
	s_mov_b32 s12, 0x42800000
	v_add_f32_e64 v9, |v8|, s12
	v_and_b32_e32 v9, 0xff, v9
	v_cmp_ne_u32_e32 vcc, 0, v9
	s_andn2_b64 s[8:9], s[8:9], exec
	s_and_b64 s[12:13], vcc, exec
	s_or_b64 s[8:9], s[8:9], s[12:13]
	s_or_b64 exec, exec, s[10:11]
	v_mov_b32_e32 v11, 0
	s_and_saveexec_b64 s[10:11], s[8:9]
	s_cbranch_execnz .LBB257_1747
	s_branch .LBB257_1748
.LBB257_2146:
	s_andn2_saveexec_b64 s[12:13], s[12:13]
	s_cbranch_execz .LBB257_1852
.LBB257_2147:
	s_mov_b32 s16, 0x46000000
	v_add_f32_e64 v7, |v6|, s16
	v_and_b32_e32 v7, 0xff, v7
	v_cmp_ne_u32_e32 vcc, 0, v7
	s_andn2_b64 s[10:11], s[10:11], exec
	s_and_b64 s[16:17], vcc, exec
	s_or_b64 s[10:11], s[10:11], s[16:17]
	s_or_b64 exec, exec, s[12:13]
	v_mov_b32_e32 v8, 0
	s_and_saveexec_b64 s[12:13], s[10:11]
	s_cbranch_execnz .LBB257_1853
	s_branch .LBB257_1854
.LBB257_2148:
	s_trap 2
	s_or_b64 s[2:3], s[2:3], exec
	s_cbranch_execz .LBB257_1900
	s_branch .LBB257_1901
.LBB257_2149:
	s_andn2_saveexec_b64 s[10:11], s[10:11]
	s_cbranch_execz .LBB257_1865
.LBB257_2150:
	s_mov_b32 s12, 0x42800000
	v_add_f32_e64 v7, |v6|, s12
	v_and_b32_e32 v7, 0xff, v7
	v_cmp_ne_u32_e32 vcc, 0, v7
	s_andn2_b64 s[8:9], s[8:9], exec
	s_and_b64 s[12:13], vcc, exec
	s_or_b64 s[8:9], s[8:9], s[12:13]
	s_or_b64 exec, exec, s[10:11]
	v_mov_b32_e32 v8, 0
	s_and_saveexec_b64 s[10:11], s[8:9]
	s_cbranch_execnz .LBB257_1866
	s_branch .LBB257_1867
.LBB257_2151:
	s_andn2_saveexec_b64 s[12:13], s[12:13]
	s_cbranch_execz .LBB257_1971
.LBB257_2152:
	s_mov_b32 s16, 0x46000000
	v_add_f32_e64 v5, |v4|, s16
	v_and_b32_e32 v5, 0xff, v5
	v_cmp_ne_u32_e32 vcc, 0, v5
	s_andn2_b64 s[10:11], s[10:11], exec
	s_and_b64 s[16:17], vcc, exec
	s_or_b64 s[10:11], s[10:11], s[16:17]
	s_or_b64 exec, exec, s[12:13]
	v_mov_b32_e32 v6, 0
	s_and_saveexec_b64 s[12:13], s[10:11]
	s_cbranch_execnz .LBB257_1972
	s_branch .LBB257_1973
.LBB257_2153:
	s_trap 2
	s_or_b64 s[2:3], s[2:3], exec
	s_cbranch_execz .LBB257_2019
	s_branch .LBB257_2020
.LBB257_2154:
	s_andn2_saveexec_b64 s[10:11], s[10:11]
	s_cbranch_execz .LBB257_1984
.LBB257_2155:
	s_mov_b32 s12, 0x42800000
	v_add_f32_e64 v5, |v4|, s12
	v_and_b32_e32 v5, 0xff, v5
	v_cmp_ne_u32_e32 vcc, 0, v5
	s_andn2_b64 s[8:9], s[8:9], exec
	s_and_b64 s[12:13], vcc, exec
	s_or_b64 s[8:9], s[8:9], s[12:13]
	s_or_b64 exec, exec, s[10:11]
	v_mov_b32_e32 v6, 0
	s_and_saveexec_b64 s[10:11], s[8:9]
	s_cbranch_execnz .LBB257_1985
	s_branch .LBB257_1986
.LBB257_2156:
	s_andn2_saveexec_b64 s[10:11], s[10:11]
	s_cbranch_execz .LBB257_2091
.LBB257_2157:
	s_mov_b32 s13, 0x46000000
	v_add_f32_e64 v3, |v2|, s13
	v_and_b32_e32 v3, 0xff, v3
	v_cmp_ne_u32_e32 vcc, 0, v3
	s_andn2_b64 s[8:9], s[8:9], exec
	s_and_b64 s[16:17], vcc, exec
	s_or_b64 s[8:9], s[8:9], s[16:17]
	s_or_b64 exec, exec, s[10:11]
	v_mov_b32_e32 v4, 0
	s_and_saveexec_b64 s[10:11], s[8:9]
	s_cbranch_execnz .LBB257_2092
	s_branch .LBB257_2093
.LBB257_2158:
	s_mov_b64 s[4:5], 0
	s_or_b64 s[2:3], s[2:3], exec
	s_trap 2
	s_branch .LBB257_2137
.LBB257_2159:
	s_andn2_saveexec_b64 s[8:9], s[8:9]
	s_cbranch_execz .LBB257_2103
.LBB257_2160:
	s_mov_b32 s10, 0x42800000
	v_add_f32_e64 v3, |v2|, s10
	v_and_b32_e32 v3, 0xff, v3
	v_cmp_ne_u32_e32 vcc, 0, v3
	s_andn2_b64 s[6:7], s[6:7], exec
	s_and_b64 s[10:11], vcc, exec
	s_or_b64 s[6:7], s[6:7], s[10:11]
	s_or_b64 exec, exec, s[8:9]
	v_mov_b32_e32 v4, 0
	s_and_saveexec_b64 s[8:9], s[6:7]
	s_cbranch_execnz .LBB257_2104
	s_branch .LBB257_2105
	.section	.rodata,"a",@progbits
	.p2align	6, 0x0
	.amdhsa_kernel _ZN2at6native32elementwise_kernel_manual_unrollILi128ELi4EZNS0_15gpu_kernel_implIZZZNS0_16sqrt_kernel_cudaERNS_18TensorIteratorBaseEENKUlvE0_clEvENKUlvE0_clEvEUlfE_EEvS4_RKT_EUlibE0_EEviT1_
		.amdhsa_group_segment_fixed_size 0
		.amdhsa_private_segment_fixed_size 0
		.amdhsa_kernarg_size 360
		.amdhsa_user_sgpr_count 2
		.amdhsa_user_sgpr_dispatch_ptr 0
		.amdhsa_user_sgpr_queue_ptr 0
		.amdhsa_user_sgpr_kernarg_segment_ptr 1
		.amdhsa_user_sgpr_dispatch_id 0
		.amdhsa_user_sgpr_kernarg_preload_length 0
		.amdhsa_user_sgpr_kernarg_preload_offset 0
		.amdhsa_user_sgpr_private_segment_size 0
		.amdhsa_uses_dynamic_stack 0
		.amdhsa_enable_private_segment 0
		.amdhsa_system_sgpr_workgroup_id_x 1
		.amdhsa_system_sgpr_workgroup_id_y 0
		.amdhsa_system_sgpr_workgroup_id_z 0
		.amdhsa_system_sgpr_workgroup_info 0
		.amdhsa_system_vgpr_workitem_id 0
		.amdhsa_next_free_vgpr 18
		.amdhsa_next_free_sgpr 78
		.amdhsa_accum_offset 20
		.amdhsa_reserve_vcc 1
		.amdhsa_float_round_mode_32 0
		.amdhsa_float_round_mode_16_64 0
		.amdhsa_float_denorm_mode_32 3
		.amdhsa_float_denorm_mode_16_64 3
		.amdhsa_dx10_clamp 1
		.amdhsa_ieee_mode 1
		.amdhsa_fp16_overflow 0
		.amdhsa_tg_split 0
		.amdhsa_exception_fp_ieee_invalid_op 0
		.amdhsa_exception_fp_denorm_src 0
		.amdhsa_exception_fp_ieee_div_zero 0
		.amdhsa_exception_fp_ieee_overflow 0
		.amdhsa_exception_fp_ieee_underflow 0
		.amdhsa_exception_fp_ieee_inexact 0
		.amdhsa_exception_int_div_zero 0
	.end_amdhsa_kernel
	.section	.text._ZN2at6native32elementwise_kernel_manual_unrollILi128ELi4EZNS0_15gpu_kernel_implIZZZNS0_16sqrt_kernel_cudaERNS_18TensorIteratorBaseEENKUlvE0_clEvENKUlvE0_clEvEUlfE_EEvS4_RKT_EUlibE0_EEviT1_,"axG",@progbits,_ZN2at6native32elementwise_kernel_manual_unrollILi128ELi4EZNS0_15gpu_kernel_implIZZZNS0_16sqrt_kernel_cudaERNS_18TensorIteratorBaseEENKUlvE0_clEvENKUlvE0_clEvEUlfE_EEvS4_RKT_EUlibE0_EEviT1_,comdat
.Lfunc_end257:
	.size	_ZN2at6native32elementwise_kernel_manual_unrollILi128ELi4EZNS0_15gpu_kernel_implIZZZNS0_16sqrt_kernel_cudaERNS_18TensorIteratorBaseEENKUlvE0_clEvENKUlvE0_clEvEUlfE_EEvS4_RKT_EUlibE0_EEviT1_, .Lfunc_end257-_ZN2at6native32elementwise_kernel_manual_unrollILi128ELi4EZNS0_15gpu_kernel_implIZZZNS0_16sqrt_kernel_cudaERNS_18TensorIteratorBaseEENKUlvE0_clEvENKUlvE0_clEvEUlfE_EEvS4_RKT_EUlibE0_EEviT1_
                                        ; -- End function
	.set _ZN2at6native32elementwise_kernel_manual_unrollILi128ELi4EZNS0_15gpu_kernel_implIZZZNS0_16sqrt_kernel_cudaERNS_18TensorIteratorBaseEENKUlvE0_clEvENKUlvE0_clEvEUlfE_EEvS4_RKT_EUlibE0_EEviT1_.num_vgpr, 18
	.set _ZN2at6native32elementwise_kernel_manual_unrollILi128ELi4EZNS0_15gpu_kernel_implIZZZNS0_16sqrt_kernel_cudaERNS_18TensorIteratorBaseEENKUlvE0_clEvENKUlvE0_clEvEUlfE_EEvS4_RKT_EUlibE0_EEviT1_.num_agpr, 0
	.set _ZN2at6native32elementwise_kernel_manual_unrollILi128ELi4EZNS0_15gpu_kernel_implIZZZNS0_16sqrt_kernel_cudaERNS_18TensorIteratorBaseEENKUlvE0_clEvENKUlvE0_clEvEUlfE_EEvS4_RKT_EUlibE0_EEviT1_.numbered_sgpr, 78
	.set _ZN2at6native32elementwise_kernel_manual_unrollILi128ELi4EZNS0_15gpu_kernel_implIZZZNS0_16sqrt_kernel_cudaERNS_18TensorIteratorBaseEENKUlvE0_clEvENKUlvE0_clEvEUlfE_EEvS4_RKT_EUlibE0_EEviT1_.num_named_barrier, 0
	.set _ZN2at6native32elementwise_kernel_manual_unrollILi128ELi4EZNS0_15gpu_kernel_implIZZZNS0_16sqrt_kernel_cudaERNS_18TensorIteratorBaseEENKUlvE0_clEvENKUlvE0_clEvEUlfE_EEvS4_RKT_EUlibE0_EEviT1_.private_seg_size, 0
	.set _ZN2at6native32elementwise_kernel_manual_unrollILi128ELi4EZNS0_15gpu_kernel_implIZZZNS0_16sqrt_kernel_cudaERNS_18TensorIteratorBaseEENKUlvE0_clEvENKUlvE0_clEvEUlfE_EEvS4_RKT_EUlibE0_EEviT1_.uses_vcc, 1
	.set _ZN2at6native32elementwise_kernel_manual_unrollILi128ELi4EZNS0_15gpu_kernel_implIZZZNS0_16sqrt_kernel_cudaERNS_18TensorIteratorBaseEENKUlvE0_clEvENKUlvE0_clEvEUlfE_EEvS4_RKT_EUlibE0_EEviT1_.uses_flat_scratch, 0
	.set _ZN2at6native32elementwise_kernel_manual_unrollILi128ELi4EZNS0_15gpu_kernel_implIZZZNS0_16sqrt_kernel_cudaERNS_18TensorIteratorBaseEENKUlvE0_clEvENKUlvE0_clEvEUlfE_EEvS4_RKT_EUlibE0_EEviT1_.has_dyn_sized_stack, 0
	.set _ZN2at6native32elementwise_kernel_manual_unrollILi128ELi4EZNS0_15gpu_kernel_implIZZZNS0_16sqrt_kernel_cudaERNS_18TensorIteratorBaseEENKUlvE0_clEvENKUlvE0_clEvEUlfE_EEvS4_RKT_EUlibE0_EEviT1_.has_recursion, 0
	.set _ZN2at6native32elementwise_kernel_manual_unrollILi128ELi4EZNS0_15gpu_kernel_implIZZZNS0_16sqrt_kernel_cudaERNS_18TensorIteratorBaseEENKUlvE0_clEvENKUlvE0_clEvEUlfE_EEvS4_RKT_EUlibE0_EEviT1_.has_indirect_call, 0
	.section	.AMDGPU.csdata,"",@progbits
; Kernel info:
; codeLenInByte = 39048
; TotalNumSgprs: 84
; NumVgprs: 18
; NumAgprs: 0
; TotalNumVgprs: 18
; ScratchSize: 0
; MemoryBound: 1
; FloatMode: 240
; IeeeMode: 1
; LDSByteSize: 0 bytes/workgroup (compile time only)
; SGPRBlocks: 10
; VGPRBlocks: 2
; NumSGPRsForWavesPerEU: 84
; NumVGPRsForWavesPerEU: 18
; AccumOffset: 20
; Occupancy: 8
; WaveLimiterHint : 1
; COMPUTE_PGM_RSRC2:SCRATCH_EN: 0
; COMPUTE_PGM_RSRC2:USER_SGPR: 2
; COMPUTE_PGM_RSRC2:TRAP_HANDLER: 0
; COMPUTE_PGM_RSRC2:TGID_X_EN: 1
; COMPUTE_PGM_RSRC2:TGID_Y_EN: 0
; COMPUTE_PGM_RSRC2:TGID_Z_EN: 0
; COMPUTE_PGM_RSRC2:TIDIG_COMP_CNT: 0
; COMPUTE_PGM_RSRC3_GFX90A:ACCUM_OFFSET: 4
; COMPUTE_PGM_RSRC3_GFX90A:TG_SPLIT: 0
	.section	.text._ZN2at6native29vectorized_elementwise_kernelILi16EZZZNS0_16sqrt_kernel_cudaERNS_18TensorIteratorBaseEENKUlvE0_clEvENKUlvE1_clEvEUlN3c104HalfEE_St5arrayIPcLm2EEEEviT0_T1_,"axG",@progbits,_ZN2at6native29vectorized_elementwise_kernelILi16EZZZNS0_16sqrt_kernel_cudaERNS_18TensorIteratorBaseEENKUlvE0_clEvENKUlvE1_clEvEUlN3c104HalfEE_St5arrayIPcLm2EEEEviT0_T1_,comdat
	.globl	_ZN2at6native29vectorized_elementwise_kernelILi16EZZZNS0_16sqrt_kernel_cudaERNS_18TensorIteratorBaseEENKUlvE0_clEvENKUlvE1_clEvEUlN3c104HalfEE_St5arrayIPcLm2EEEEviT0_T1_ ; -- Begin function _ZN2at6native29vectorized_elementwise_kernelILi16EZZZNS0_16sqrt_kernel_cudaERNS_18TensorIteratorBaseEENKUlvE0_clEvENKUlvE1_clEvEUlN3c104HalfEE_St5arrayIPcLm2EEEEviT0_T1_
	.p2align	8
	.type	_ZN2at6native29vectorized_elementwise_kernelILi16EZZZNS0_16sqrt_kernel_cudaERNS_18TensorIteratorBaseEENKUlvE0_clEvENKUlvE1_clEvEUlN3c104HalfEE_St5arrayIPcLm2EEEEviT0_T1_,@function
_ZN2at6native29vectorized_elementwise_kernelILi16EZZZNS0_16sqrt_kernel_cudaERNS_18TensorIteratorBaseEENKUlvE0_clEvENKUlvE1_clEvEUlN3c104HalfEE_St5arrayIPcLm2EEEEviT0_T1_: ; @_ZN2at6native29vectorized_elementwise_kernelILi16EZZZNS0_16sqrt_kernel_cudaERNS_18TensorIteratorBaseEENKUlvE0_clEvENKUlvE1_clEvEUlN3c104HalfEE_St5arrayIPcLm2EEEEviT0_T1_
; %bb.0:
	s_load_dword s3, s[0:1], 0x0
	s_load_dwordx4 s[12:15], s[0:1], 0x8
	s_lshl_b32 s10, s2, 11
	s_mov_b64 s[0:1], -1
	s_waitcnt lgkmcnt(0)
	s_sub_i32 s18, s3, s10
	s_cmpk_gt_i32 s18, 0x7ff
	s_cbranch_scc0 .LBB258_2
; %bb.1:
	s_ashr_i32 s11, s10, 31
	s_lshl_b64 s[16:17], s[10:11], 1
	s_add_u32 s0, s14, s16
	s_addc_u32 s1, s15, s17
	v_lshlrev_b32_e32 v1, 4, v0
	global_load_dwordx4 v[2:5], v1, s[0:1]
	s_mov_b32 s11, 0xf800000
	v_mov_b32_e32 v6, 0x260
	s_waitcnt vmcnt(0)
	v_cvt_f32_f16_e32 v7, v2
	v_cvt_f32_f16_sdwa v2, v2 dst_sel:DWORD dst_unused:UNUSED_PAD src0_sel:WORD_1
	v_cvt_f32_f16_e32 v8, v3
	v_cvt_f32_f16_sdwa v3, v3 dst_sel:DWORD dst_unused:UNUSED_PAD src0_sel:WORD_1
	v_cvt_f32_f16_e32 v9, v4
	v_mul_f32_e32 v11, 0x4f800000, v7
	v_cmp_gt_f32_e32 vcc, s11, v7
	v_mul_f32_e32 v12, 0x4f800000, v2
	v_cmp_gt_f32_e64 s[0:1], s11, v2
	v_cndmask_b32_e32 v7, v7, v11, vcc
	v_mul_f32_e32 v13, 0x4f800000, v8
	v_cndmask_b32_e64 v2, v2, v12, s[0:1]
	v_cmp_gt_f32_e64 s[2:3], s11, v8
	v_rsq_f32_e32 v11, v7
	v_mul_f32_e32 v14, 0x4f800000, v3
	v_cndmask_b32_e64 v8, v8, v13, s[2:3]
	v_cmp_gt_f32_e64 s[4:5], s11, v3
	v_rsq_f32_e32 v12, v2
	;; [unrolled: 4-line block ×3, first 2 shown]
	v_rsq_f32_e32 v14, v3
	v_cndmask_b32_e64 v9, v9, v15, s[6:7]
	v_cvt_f32_f16_sdwa v4, v4 dst_sel:DWORD dst_unused:UNUSED_PAD src0_sel:WORD_1
	v_rsq_f32_e32 v15, v9
	v_mul_f32_e32 v17, v7, v11
	v_mul_f32_e32 v11, 0.5, v11
	v_mul_f32_e32 v18, v2, v12
	v_mul_f32_e32 v12, 0.5, v12
	v_fma_f32 v23, -v11, v17, 0.5
	v_mul_f32_e32 v19, v8, v13
	v_mul_f32_e32 v13, 0.5, v13
	v_fma_f32 v24, -v12, v18, 0.5
	v_fmac_f32_e32 v17, v17, v23
	v_mul_f32_e32 v20, v3, v14
	v_mul_f32_e32 v14, 0.5, v14
	v_fma_f32 v25, -v13, v19, 0.5
	v_fmac_f32_e32 v11, v11, v23
	v_fmac_f32_e32 v18, v18, v24
	v_fma_f32 v23, -v17, v17, v7
	v_mul_f32_e32 v16, 0x4f800000, v4
	v_cmp_gt_f32_e64 s[8:9], s11, v4
	v_mul_f32_e32 v21, v9, v15
	v_mul_f32_e32 v15, 0.5, v15
	v_fma_f32 v26, -v14, v20, 0.5
	v_fmac_f32_e32 v12, v12, v24
	v_fmac_f32_e32 v19, v19, v25
	v_fma_f32 v24, -v18, v18, v2
	v_fmac_f32_e32 v17, v23, v11
	v_cndmask_b32_e64 v4, v4, v16, s[8:9]
	v_fma_f32 v27, -v15, v21, 0.5
	v_fmac_f32_e32 v13, v13, v25
	v_fmac_f32_e32 v20, v20, v26
	v_fma_f32 v25, -v19, v19, v8
	v_fmac_f32_e32 v18, v24, v12
	v_mul_f32_e32 v11, 0x37800000, v17
	v_rsq_f32_e32 v16, v4
	v_fmac_f32_e32 v14, v14, v26
	v_fmac_f32_e32 v21, v21, v27
	v_fma_f32 v26, -v20, v20, v3
	v_fmac_f32_e32 v19, v25, v13
	v_mul_f32_e32 v12, 0x37800000, v18
	v_cndmask_b32_e32 v11, v17, v11, vcc
	v_cmp_class_f32_e32 vcc, v7, v6
	v_cvt_f32_f16_e32 v10, v5
	v_fmac_f32_e32 v15, v15, v27
	v_fma_f32 v27, -v21, v21, v9
	v_fmac_f32_e32 v20, v26, v14
	v_mul_f32_e32 v13, 0x37800000, v19
	v_cndmask_b32_e64 v12, v18, v12, s[0:1]
	v_cndmask_b32_e32 v7, v11, v7, vcc
	v_cmp_class_f32_e32 vcc, v2, v6
	v_fmac_f32_e32 v21, v27, v15
	v_mul_f32_e32 v14, 0x37800000, v20
	v_cndmask_b32_e64 v13, v19, v13, s[2:3]
	v_cndmask_b32_e32 v2, v12, v2, vcc
	v_cmp_class_f32_e32 vcc, v8, v6
	v_mul_f32_e32 v15, 0x37800000, v21
	v_cndmask_b32_e64 v14, v20, v14, s[4:5]
	v_cndmask_b32_e32 v8, v13, v8, vcc
	v_cmp_class_f32_e32 vcc, v3, v6
	v_mul_f32_e32 v22, v4, v16
	v_mul_f32_e32 v16, 0.5, v16
	v_cndmask_b32_e64 v15, v21, v15, s[6:7]
	v_cndmask_b32_e32 v3, v14, v3, vcc
	v_cmp_class_f32_e32 vcc, v9, v6
	v_fma_f32 v28, -v16, v22, 0.5
	v_mul_f32_e32 v11, 0x4f800000, v10
	v_cndmask_b32_e32 v9, v15, v9, vcc
	v_cmp_gt_f32_e32 vcc, s11, v10
	v_fmac_f32_e32 v22, v22, v28
	v_fmac_f32_e32 v16, v16, v28
	v_cndmask_b32_e32 v10, v10, v11, vcc
	v_fma_f32 v28, -v22, v22, v4
	v_rsq_f32_e32 v11, v10
	v_fmac_f32_e32 v22, v28, v16
	v_mul_f32_e32 v16, 0x37800000, v22
	v_cvt_f32_f16_sdwa v5, v5 dst_sel:DWORD dst_unused:UNUSED_PAD src0_sel:WORD_1
	v_cndmask_b32_e64 v12, v22, v16, s[8:9]
	v_cmp_class_f32_e64 s[0:1], v4, v6
	v_cvt_pk_f16_f32 v3, v8, v3
	v_cvt_pk_f16_f32 v2, v7, v2
	v_cndmask_b32_e64 v4, v12, v4, s[0:1]
	v_mul_f32_e32 v12, v10, v11
	v_mul_f32_e32 v11, 0.5, v11
	v_fma_f32 v13, -v11, v12, 0.5
	v_fmac_f32_e32 v12, v12, v13
	v_fmac_f32_e32 v11, v11, v13
	v_mul_f32_e32 v13, 0x4f800000, v5
	v_cmp_gt_f32_e64 s[0:1], s11, v5
	v_fma_f32 v14, -v12, v12, v10
	v_fmac_f32_e32 v12, v14, v11
	v_cndmask_b32_e64 v5, v5, v13, s[0:1]
	v_rsq_f32_e32 v13, v5
	v_mul_f32_e32 v11, 0x37800000, v12
	v_cndmask_b32_e32 v11, v12, v11, vcc
	v_cmp_class_f32_e32 vcc, v10, v6
	v_mul_f32_e32 v12, 0.5, v13
	v_cvt_pk_f16_f32 v4, v9, v4
	v_cndmask_b32_e32 v10, v11, v10, vcc
	v_mul_f32_e32 v11, v5, v13
	v_fma_f32 v13, -v12, v11, 0.5
	v_fmac_f32_e32 v11, v11, v13
	v_fma_f32 v14, -v11, v11, v5
	v_fmac_f32_e32 v12, v12, v13
	v_fmac_f32_e32 v11, v14, v12
	v_mul_f32_e32 v12, 0x37800000, v11
	v_cndmask_b32_e64 v11, v11, v12, s[0:1]
	v_cmp_class_f32_e32 vcc, v5, v6
	s_add_u32 s0, s12, s16
	s_addc_u32 s1, s13, s17
	v_cndmask_b32_e32 v5, v11, v5, vcc
	v_cvt_pk_f16_f32 v5, v10, v5
	global_store_dwordx4 v1, v[2:5], s[0:1]
	s_mov_b64 s[0:1], 0
.LBB258_2:
	s_andn2_b64 vcc, exec, s[0:1]
	s_cbranch_vccnz .LBB258_26
; %bb.3:
	v_cmp_gt_i32_e32 vcc, s18, v0
	v_mov_b32_e32 v1, 0
	v_or_b32_e32 v2, s10, v0
	v_mov_b32_e32 v4, 0
	v_mov_b32_e32 v3, v0
	s_and_saveexec_b64 s[2:3], vcc
	s_cbranch_execz .LBB258_5
; %bb.4:
	v_mov_b32_e32 v3, 0
	v_lshl_add_u64 v[4:5], v[2:3], 1, s[14:15]
	global_load_ushort v3, v[4:5], off
	s_mov_b32 s0, 0xf800000
	v_mov_b32_e32 v5, 0x260
	s_waitcnt vmcnt(0)
	v_cvt_f32_f16_e32 v3, v3
	v_mul_f32_e32 v4, 0x4f800000, v3
	v_cmp_gt_f32_e64 s[0:1], s0, v3
	s_nop 1
	v_cndmask_b32_e64 v3, v3, v4, s[0:1]
	v_rsq_f32_e32 v4, v3
	s_nop 0
	v_mul_f32_e32 v6, v3, v4
	v_mul_f32_e32 v4, 0.5, v4
	v_fma_f32 v7, -v4, v6, 0.5
	v_fmac_f32_e32 v6, v6, v7
	v_fmac_f32_e32 v4, v4, v7
	v_fma_f32 v7, -v6, v6, v3
	v_fmac_f32_e32 v6, v7, v4
	v_mul_f32_e32 v4, 0x37800000, v6
	v_cndmask_b32_e64 v4, v6, v4, s[0:1]
	v_cmp_class_f32_e64 s[0:1], v3, v5
	s_nop 1
	v_cndmask_b32_e64 v3, v4, v3, s[0:1]
	v_cvt_f16_f32_e32 v4, v3
	v_or_b32_e32 v3, 0x100, v0
.LBB258_5:
	s_or_b64 exec, exec, s[2:3]
	v_cmp_gt_i32_e64 s[0:1], s18, v3
	s_and_saveexec_b64 s[2:3], s[0:1]
	s_cbranch_execz .LBB258_7
; %bb.6:
	v_add_u32_e32 v6, s10, v3
	v_mov_b32_e32 v7, 0
	v_lshl_add_u64 v[6:7], v[6:7], 1, s[14:15]
	global_load_ushort v1, v[6:7], off
	s_mov_b32 s0, 0xf800000
	v_mov_b32_e32 v6, 0x260
	v_add_u32_e32 v3, 0x100, v3
	s_waitcnt vmcnt(0)
	v_cvt_f32_f16_e32 v1, v1
	v_mul_f32_e32 v5, 0x4f800000, v1
	v_cmp_gt_f32_e64 s[0:1], s0, v1
	s_nop 1
	v_cndmask_b32_e64 v1, v1, v5, s[0:1]
	v_rsq_f32_e32 v5, v1
	s_nop 0
	v_mul_f32_e32 v7, v1, v5
	v_mul_f32_e32 v5, 0.5, v5
	v_fma_f32 v8, -v5, v7, 0.5
	v_fmac_f32_e32 v7, v7, v8
	v_fmac_f32_e32 v5, v5, v8
	v_fma_f32 v8, -v7, v7, v1
	v_fmac_f32_e32 v7, v8, v5
	v_mul_f32_e32 v5, 0x37800000, v7
	v_cndmask_b32_e64 v5, v7, v5, s[0:1]
	v_cmp_class_f32_e64 s[0:1], v1, v6
	s_nop 1
	v_cndmask_b32_e64 v1, v5, v1, s[0:1]
	v_cvt_f16_f32_e32 v1, v1
.LBB258_7:
	s_or_b64 exec, exec, s[2:3]
	v_cmp_gt_i32_e64 s[0:1], s18, v3
	v_mov_b32_e32 v5, 0
	v_mov_b32_e32 v6, 0
	s_and_saveexec_b64 s[2:3], s[0:1]
	s_cbranch_execz .LBB258_9
; %bb.8:
	v_add_u32_e32 v6, s10, v3
	v_mov_b32_e32 v7, 0
	v_lshl_add_u64 v[6:7], v[6:7], 1, s[14:15]
	global_load_ushort v6, v[6:7], off
	s_mov_b32 s0, 0xf800000
	v_mov_b32_e32 v8, 0x260
	v_add_u32_e32 v3, 0x100, v3
	s_waitcnt vmcnt(0)
	v_cvt_f32_f16_e32 v6, v6
	v_mul_f32_e32 v7, 0x4f800000, v6
	v_cmp_gt_f32_e64 s[0:1], s0, v6
	s_nop 1
	v_cndmask_b32_e64 v6, v6, v7, s[0:1]
	v_rsq_f32_e32 v7, v6
	s_nop 0
	v_mul_f32_e32 v9, v6, v7
	v_mul_f32_e32 v7, 0.5, v7
	v_fma_f32 v10, -v7, v9, 0.5
	v_fmac_f32_e32 v9, v9, v10
	v_fmac_f32_e32 v7, v7, v10
	v_fma_f32 v10, -v9, v9, v6
	v_fmac_f32_e32 v9, v10, v7
	v_mul_f32_e32 v7, 0x37800000, v9
	v_cndmask_b32_e64 v7, v9, v7, s[0:1]
	v_cmp_class_f32_e64 s[0:1], v6, v8
	s_nop 1
	v_cndmask_b32_e64 v6, v7, v6, s[0:1]
	v_cvt_f16_f32_e32 v6, v6
.LBB258_9:
	s_or_b64 exec, exec, s[2:3]
	v_cmp_gt_i32_e64 s[0:1], s18, v3
	s_and_saveexec_b64 s[2:3], s[0:1]
	s_cbranch_execz .LBB258_11
; %bb.10:
	v_add_u32_e32 v8, s10, v3
	v_mov_b32_e32 v9, 0
	v_lshl_add_u64 v[8:9], v[8:9], 1, s[14:15]
	global_load_ushort v5, v[8:9], off
	s_mov_b32 s0, 0xf800000
	v_mov_b32_e32 v8, 0x260
	v_add_u32_e32 v3, 0x100, v3
	s_waitcnt vmcnt(0)
	v_cvt_f32_f16_e32 v5, v5
	v_mul_f32_e32 v7, 0x4f800000, v5
	v_cmp_gt_f32_e64 s[0:1], s0, v5
	s_nop 1
	v_cndmask_b32_e64 v5, v5, v7, s[0:1]
	v_rsq_f32_e32 v7, v5
	s_nop 0
	v_mul_f32_e32 v9, v5, v7
	v_mul_f32_e32 v7, 0.5, v7
	v_fma_f32 v10, -v7, v9, 0.5
	v_fmac_f32_e32 v9, v9, v10
	v_fmac_f32_e32 v7, v7, v10
	v_fma_f32 v10, -v9, v9, v5
	v_fmac_f32_e32 v9, v10, v7
	v_mul_f32_e32 v7, 0x37800000, v9
	v_cndmask_b32_e64 v7, v9, v7, s[0:1]
	v_cmp_class_f32_e64 s[0:1], v5, v8
	s_nop 1
	v_cndmask_b32_e64 v5, v7, v5, s[0:1]
	v_cvt_f16_f32_e32 v5, v5
.LBB258_11:
	s_or_b64 exec, exec, s[2:3]
	v_cmp_gt_i32_e64 s[0:1], s18, v3
	v_mov_b32_e32 v7, 0
	v_mov_b32_e32 v8, 0
	s_and_saveexec_b64 s[2:3], s[0:1]
	s_cbranch_execz .LBB258_13
; %bb.12:
	v_add_u32_e32 v8, s10, v3
	v_mov_b32_e32 v9, 0
	v_lshl_add_u64 v[8:9], v[8:9], 1, s[14:15]
	global_load_ushort v8, v[8:9], off
	s_mov_b32 s0, 0xf800000
	v_mov_b32_e32 v10, 0x260
	v_add_u32_e32 v3, 0x100, v3
	s_waitcnt vmcnt(0)
	v_cvt_f32_f16_e32 v8, v8
	v_mul_f32_e32 v9, 0x4f800000, v8
	v_cmp_gt_f32_e64 s[0:1], s0, v8
	s_nop 1
	v_cndmask_b32_e64 v8, v8, v9, s[0:1]
	v_rsq_f32_e32 v9, v8
	s_nop 0
	v_mul_f32_e32 v11, v8, v9
	v_mul_f32_e32 v9, 0.5, v9
	v_fma_f32 v12, -v9, v11, 0.5
	v_fmac_f32_e32 v11, v11, v12
	v_fmac_f32_e32 v9, v9, v12
	v_fma_f32 v12, -v11, v11, v8
	v_fmac_f32_e32 v11, v12, v9
	v_mul_f32_e32 v9, 0x37800000, v11
	v_cndmask_b32_e64 v9, v11, v9, s[0:1]
	v_cmp_class_f32_e64 s[0:1], v8, v10
	s_nop 1
	v_cndmask_b32_e64 v8, v9, v8, s[0:1]
	v_cvt_f16_f32_e32 v8, v8
.LBB258_13:
	s_or_b64 exec, exec, s[2:3]
	v_cmp_gt_i32_e64 s[0:1], s18, v3
	s_and_saveexec_b64 s[2:3], s[0:1]
	s_cbranch_execz .LBB258_15
; %bb.14:
	v_add_u32_e32 v10, s10, v3
	v_mov_b32_e32 v11, 0
	v_lshl_add_u64 v[10:11], v[10:11], 1, s[14:15]
	global_load_ushort v7, v[10:11], off
	s_mov_b32 s0, 0xf800000
	v_mov_b32_e32 v10, 0x260
	v_add_u32_e32 v3, 0x100, v3
	s_waitcnt vmcnt(0)
	v_cvt_f32_f16_e32 v7, v7
	v_mul_f32_e32 v9, 0x4f800000, v7
	v_cmp_gt_f32_e64 s[0:1], s0, v7
	s_nop 1
	v_cndmask_b32_e64 v7, v7, v9, s[0:1]
	v_rsq_f32_e32 v9, v7
	s_nop 0
	v_mul_f32_e32 v11, v7, v9
	v_mul_f32_e32 v9, 0.5, v9
	v_fma_f32 v12, -v9, v11, 0.5
	v_fmac_f32_e32 v11, v11, v12
	v_fmac_f32_e32 v9, v9, v12
	v_fma_f32 v12, -v11, v11, v7
	v_fmac_f32_e32 v11, v12, v9
	v_mul_f32_e32 v9, 0x37800000, v11
	v_cndmask_b32_e64 v9, v11, v9, s[0:1]
	v_cmp_class_f32_e64 s[0:1], v7, v10
	s_nop 1
	v_cndmask_b32_e64 v7, v9, v7, s[0:1]
	v_cvt_f16_f32_e32 v7, v7
.LBB258_15:
	s_or_b64 exec, exec, s[2:3]
	v_cmp_gt_i32_e64 s[0:1], s18, v3
	v_mov_b32_e32 v9, 0
	v_mov_b32_e32 v10, 0
	s_and_saveexec_b64 s[2:3], s[0:1]
	s_cbranch_execnz .LBB258_27
; %bb.16:
	s_or_b64 exec, exec, s[2:3]
	v_cmp_gt_i32_e64 s[0:1], s18, v3
	s_and_saveexec_b64 s[2:3], s[0:1]
	s_cbranch_execnz .LBB258_28
.LBB258_17:
	s_or_b64 exec, exec, s[2:3]
	s_and_saveexec_b64 s[0:1], vcc
	s_cbranch_execnz .LBB258_29
.LBB258_18:
	s_or_b64 exec, exec, s[0:1]
	v_cmp_gt_i32_e32 vcc, s18, v0
	s_and_saveexec_b64 s[0:1], vcc
	s_cbranch_execnz .LBB258_30
.LBB258_19:
	s_or_b64 exec, exec, s[0:1]
	v_cmp_gt_i32_e32 vcc, s18, v0
	s_and_saveexec_b64 s[0:1], vcc
	s_cbranch_execnz .LBB258_31
.LBB258_20:
	s_or_b64 exec, exec, s[0:1]
	v_cmp_gt_i32_e32 vcc, s18, v0
	s_and_saveexec_b64 s[0:1], vcc
	s_cbranch_execnz .LBB258_32
.LBB258_21:
	s_or_b64 exec, exec, s[0:1]
	v_cmp_gt_i32_e32 vcc, s18, v0
	s_and_saveexec_b64 s[0:1], vcc
	s_cbranch_execnz .LBB258_33
.LBB258_22:
	s_or_b64 exec, exec, s[0:1]
	v_cmp_gt_i32_e32 vcc, s18, v0
	s_and_saveexec_b64 s[0:1], vcc
	s_cbranch_execnz .LBB258_34
.LBB258_23:
	s_or_b64 exec, exec, s[0:1]
	v_cmp_gt_i32_e32 vcc, s18, v0
	s_and_saveexec_b64 s[0:1], vcc
	s_cbranch_execnz .LBB258_35
.LBB258_24:
	s_or_b64 exec, exec, s[0:1]
	v_cmp_gt_i32_e32 vcc, s18, v0
	s_and_saveexec_b64 s[0:1], vcc
	s_cbranch_execz .LBB258_26
.LBB258_25:
	v_add_u32_e32 v0, s10, v0
	v_mov_b32_e32 v1, 0
	v_lshl_add_u64 v[0:1], v[0:1], 1, s[12:13]
	global_store_short v[0:1], v9, off
.LBB258_26:
	s_endpgm
.LBB258_27:
	v_add_u32_e32 v10, s10, v3
	v_mov_b32_e32 v11, 0
	v_lshl_add_u64 v[10:11], v[10:11], 1, s[14:15]
	global_load_ushort v10, v[10:11], off
	s_mov_b32 s0, 0xf800000
	v_mov_b32_e32 v12, 0x260
	v_add_u32_e32 v3, 0x100, v3
	s_waitcnt vmcnt(0)
	v_cvt_f32_f16_e32 v10, v10
	v_mul_f32_e32 v11, 0x4f800000, v10
	v_cmp_gt_f32_e64 s[0:1], s0, v10
	s_nop 1
	v_cndmask_b32_e64 v10, v10, v11, s[0:1]
	v_rsq_f32_e32 v11, v10
	s_nop 0
	v_mul_f32_e32 v13, v10, v11
	v_mul_f32_e32 v11, 0.5, v11
	v_fma_f32 v14, -v11, v13, 0.5
	v_fmac_f32_e32 v13, v13, v14
	v_fmac_f32_e32 v11, v11, v14
	v_fma_f32 v14, -v13, v13, v10
	v_fmac_f32_e32 v13, v14, v11
	v_mul_f32_e32 v11, 0x37800000, v13
	v_cndmask_b32_e64 v11, v13, v11, s[0:1]
	v_cmp_class_f32_e64 s[0:1], v10, v12
	s_nop 1
	v_cndmask_b32_e64 v10, v11, v10, s[0:1]
	v_cvt_f16_f32_e32 v10, v10
	s_or_b64 exec, exec, s[2:3]
	v_cmp_gt_i32_e64 s[0:1], s18, v3
	s_and_saveexec_b64 s[2:3], s[0:1]
	s_cbranch_execz .LBB258_17
.LBB258_28:
	v_add_u32_e32 v12, s10, v3
	v_mov_b32_e32 v13, 0
	v_lshl_add_u64 v[12:13], v[12:13], 1, s[14:15]
	global_load_ushort v3, v[12:13], off
	s_mov_b32 s0, 0xf800000
	v_mov_b32_e32 v11, 0x260
	s_waitcnt vmcnt(0)
	v_cvt_f32_f16_e32 v3, v3
	v_mul_f32_e32 v9, 0x4f800000, v3
	v_cmp_gt_f32_e64 s[0:1], s0, v3
	s_nop 1
	v_cndmask_b32_e64 v3, v3, v9, s[0:1]
	v_rsq_f32_e32 v9, v3
	s_nop 0
	v_mul_f32_e32 v12, v3, v9
	v_mul_f32_e32 v9, 0.5, v9
	v_fma_f32 v13, -v9, v12, 0.5
	v_fmac_f32_e32 v12, v12, v13
	v_fmac_f32_e32 v9, v9, v13
	v_fma_f32 v13, -v12, v12, v3
	v_fmac_f32_e32 v12, v13, v9
	v_mul_f32_e32 v9, 0x37800000, v12
	v_cndmask_b32_e64 v9, v12, v9, s[0:1]
	v_cmp_class_f32_e64 s[0:1], v3, v11
	s_nop 1
	v_cndmask_b32_e64 v3, v9, v3, s[0:1]
	v_cvt_f16_f32_e32 v9, v3
	s_or_b64 exec, exec, s[2:3]
	s_and_saveexec_b64 s[0:1], vcc
	s_cbranch_execz .LBB258_18
.LBB258_29:
	v_mov_b32_e32 v3, 0
	v_or_b32_e32 v0, 0x100, v0
	v_lshl_add_u64 v[2:3], v[2:3], 1, s[12:13]
	global_store_short v[2:3], v4, off
	s_or_b64 exec, exec, s[0:1]
	v_cmp_gt_i32_e32 vcc, s18, v0
	s_and_saveexec_b64 s[0:1], vcc
	s_cbranch_execz .LBB258_19
.LBB258_30:
	v_add_u32_e32 v2, s10, v0
	v_mov_b32_e32 v3, 0
	v_lshl_add_u64 v[2:3], v[2:3], 1, s[12:13]
	v_add_u32_e32 v0, 0x100, v0
	global_store_short v[2:3], v1, off
	s_or_b64 exec, exec, s[0:1]
	v_cmp_gt_i32_e32 vcc, s18, v0
	s_and_saveexec_b64 s[0:1], vcc
	s_cbranch_execz .LBB258_20
.LBB258_31:
	v_add_u32_e32 v2, s10, v0
	v_mov_b32_e32 v3, 0
	v_lshl_add_u64 v[2:3], v[2:3], 1, s[12:13]
	v_add_u32_e32 v0, 0x100, v0
	global_store_short v[2:3], v6, off
	s_or_b64 exec, exec, s[0:1]
	v_cmp_gt_i32_e32 vcc, s18, v0
	s_and_saveexec_b64 s[0:1], vcc
	s_cbranch_execz .LBB258_21
.LBB258_32:
	v_add_u32_e32 v2, s10, v0
	v_mov_b32_e32 v3, 0
	v_lshl_add_u64 v[2:3], v[2:3], 1, s[12:13]
	v_add_u32_e32 v0, 0x100, v0
	global_store_short v[2:3], v5, off
	s_or_b64 exec, exec, s[0:1]
	v_cmp_gt_i32_e32 vcc, s18, v0
	s_and_saveexec_b64 s[0:1], vcc
	s_cbranch_execz .LBB258_22
.LBB258_33:
	v_add_u32_e32 v2, s10, v0
	v_mov_b32_e32 v3, 0
	v_lshl_add_u64 v[2:3], v[2:3], 1, s[12:13]
	v_add_u32_e32 v0, 0x100, v0
	global_store_short v[2:3], v8, off
	s_or_b64 exec, exec, s[0:1]
	v_cmp_gt_i32_e32 vcc, s18, v0
	s_and_saveexec_b64 s[0:1], vcc
	s_cbranch_execz .LBB258_23
.LBB258_34:
	v_add_u32_e32 v2, s10, v0
	v_mov_b32_e32 v3, 0
	v_lshl_add_u64 v[2:3], v[2:3], 1, s[12:13]
	v_add_u32_e32 v0, 0x100, v0
	global_store_short v[2:3], v7, off
	s_or_b64 exec, exec, s[0:1]
	v_cmp_gt_i32_e32 vcc, s18, v0
	s_and_saveexec_b64 s[0:1], vcc
	s_cbranch_execz .LBB258_24
.LBB258_35:
	v_add_u32_e32 v2, s10, v0
	v_mov_b32_e32 v3, 0
	v_lshl_add_u64 v[2:3], v[2:3], 1, s[12:13]
	v_add_u32_e32 v0, 0x100, v0
	global_store_short v[2:3], v10, off
	s_or_b64 exec, exec, s[0:1]
	v_cmp_gt_i32_e32 vcc, s18, v0
	s_and_saveexec_b64 s[0:1], vcc
	s_cbranch_execnz .LBB258_25
	s_branch .LBB258_26
	.section	.rodata,"a",@progbits
	.p2align	6, 0x0
	.amdhsa_kernel _ZN2at6native29vectorized_elementwise_kernelILi16EZZZNS0_16sqrt_kernel_cudaERNS_18TensorIteratorBaseEENKUlvE0_clEvENKUlvE1_clEvEUlN3c104HalfEE_St5arrayIPcLm2EEEEviT0_T1_
		.amdhsa_group_segment_fixed_size 0
		.amdhsa_private_segment_fixed_size 0
		.amdhsa_kernarg_size 24
		.amdhsa_user_sgpr_count 2
		.amdhsa_user_sgpr_dispatch_ptr 0
		.amdhsa_user_sgpr_queue_ptr 0
		.amdhsa_user_sgpr_kernarg_segment_ptr 1
		.amdhsa_user_sgpr_dispatch_id 0
		.amdhsa_user_sgpr_kernarg_preload_length 0
		.amdhsa_user_sgpr_kernarg_preload_offset 0
		.amdhsa_user_sgpr_private_segment_size 0
		.amdhsa_uses_dynamic_stack 0
		.amdhsa_enable_private_segment 0
		.amdhsa_system_sgpr_workgroup_id_x 1
		.amdhsa_system_sgpr_workgroup_id_y 0
		.amdhsa_system_sgpr_workgroup_id_z 0
		.amdhsa_system_sgpr_workgroup_info 0
		.amdhsa_system_vgpr_workitem_id 0
		.amdhsa_next_free_vgpr 29
		.amdhsa_next_free_sgpr 19
		.amdhsa_accum_offset 32
		.amdhsa_reserve_vcc 1
		.amdhsa_float_round_mode_32 0
		.amdhsa_float_round_mode_16_64 0
		.amdhsa_float_denorm_mode_32 3
		.amdhsa_float_denorm_mode_16_64 3
		.amdhsa_dx10_clamp 1
		.amdhsa_ieee_mode 1
		.amdhsa_fp16_overflow 0
		.amdhsa_tg_split 0
		.amdhsa_exception_fp_ieee_invalid_op 0
		.amdhsa_exception_fp_denorm_src 0
		.amdhsa_exception_fp_ieee_div_zero 0
		.amdhsa_exception_fp_ieee_overflow 0
		.amdhsa_exception_fp_ieee_underflow 0
		.amdhsa_exception_fp_ieee_inexact 0
		.amdhsa_exception_int_div_zero 0
	.end_amdhsa_kernel
	.section	.text._ZN2at6native29vectorized_elementwise_kernelILi16EZZZNS0_16sqrt_kernel_cudaERNS_18TensorIteratorBaseEENKUlvE0_clEvENKUlvE1_clEvEUlN3c104HalfEE_St5arrayIPcLm2EEEEviT0_T1_,"axG",@progbits,_ZN2at6native29vectorized_elementwise_kernelILi16EZZZNS0_16sqrt_kernel_cudaERNS_18TensorIteratorBaseEENKUlvE0_clEvENKUlvE1_clEvEUlN3c104HalfEE_St5arrayIPcLm2EEEEviT0_T1_,comdat
.Lfunc_end258:
	.size	_ZN2at6native29vectorized_elementwise_kernelILi16EZZZNS0_16sqrt_kernel_cudaERNS_18TensorIteratorBaseEENKUlvE0_clEvENKUlvE1_clEvEUlN3c104HalfEE_St5arrayIPcLm2EEEEviT0_T1_, .Lfunc_end258-_ZN2at6native29vectorized_elementwise_kernelILi16EZZZNS0_16sqrt_kernel_cudaERNS_18TensorIteratorBaseEENKUlvE0_clEvENKUlvE1_clEvEUlN3c104HalfEE_St5arrayIPcLm2EEEEviT0_T1_
                                        ; -- End function
	.set _ZN2at6native29vectorized_elementwise_kernelILi16EZZZNS0_16sqrt_kernel_cudaERNS_18TensorIteratorBaseEENKUlvE0_clEvENKUlvE1_clEvEUlN3c104HalfEE_St5arrayIPcLm2EEEEviT0_T1_.num_vgpr, 29
	.set _ZN2at6native29vectorized_elementwise_kernelILi16EZZZNS0_16sqrt_kernel_cudaERNS_18TensorIteratorBaseEENKUlvE0_clEvENKUlvE1_clEvEUlN3c104HalfEE_St5arrayIPcLm2EEEEviT0_T1_.num_agpr, 0
	.set _ZN2at6native29vectorized_elementwise_kernelILi16EZZZNS0_16sqrt_kernel_cudaERNS_18TensorIteratorBaseEENKUlvE0_clEvENKUlvE1_clEvEUlN3c104HalfEE_St5arrayIPcLm2EEEEviT0_T1_.numbered_sgpr, 19
	.set _ZN2at6native29vectorized_elementwise_kernelILi16EZZZNS0_16sqrt_kernel_cudaERNS_18TensorIteratorBaseEENKUlvE0_clEvENKUlvE1_clEvEUlN3c104HalfEE_St5arrayIPcLm2EEEEviT0_T1_.num_named_barrier, 0
	.set _ZN2at6native29vectorized_elementwise_kernelILi16EZZZNS0_16sqrt_kernel_cudaERNS_18TensorIteratorBaseEENKUlvE0_clEvENKUlvE1_clEvEUlN3c104HalfEE_St5arrayIPcLm2EEEEviT0_T1_.private_seg_size, 0
	.set _ZN2at6native29vectorized_elementwise_kernelILi16EZZZNS0_16sqrt_kernel_cudaERNS_18TensorIteratorBaseEENKUlvE0_clEvENKUlvE1_clEvEUlN3c104HalfEE_St5arrayIPcLm2EEEEviT0_T1_.uses_vcc, 1
	.set _ZN2at6native29vectorized_elementwise_kernelILi16EZZZNS0_16sqrt_kernel_cudaERNS_18TensorIteratorBaseEENKUlvE0_clEvENKUlvE1_clEvEUlN3c104HalfEE_St5arrayIPcLm2EEEEviT0_T1_.uses_flat_scratch, 0
	.set _ZN2at6native29vectorized_elementwise_kernelILi16EZZZNS0_16sqrt_kernel_cudaERNS_18TensorIteratorBaseEENKUlvE0_clEvENKUlvE1_clEvEUlN3c104HalfEE_St5arrayIPcLm2EEEEviT0_T1_.has_dyn_sized_stack, 0
	.set _ZN2at6native29vectorized_elementwise_kernelILi16EZZZNS0_16sqrt_kernel_cudaERNS_18TensorIteratorBaseEENKUlvE0_clEvENKUlvE1_clEvEUlN3c104HalfEE_St5arrayIPcLm2EEEEviT0_T1_.has_recursion, 0
	.set _ZN2at6native29vectorized_elementwise_kernelILi16EZZZNS0_16sqrt_kernel_cudaERNS_18TensorIteratorBaseEENKUlvE0_clEvENKUlvE1_clEvEUlN3c104HalfEE_St5arrayIPcLm2EEEEviT0_T1_.has_indirect_call, 0
	.section	.AMDGPU.csdata,"",@progbits
; Kernel info:
; codeLenInByte = 2928
; TotalNumSgprs: 25
; NumVgprs: 29
; NumAgprs: 0
; TotalNumVgprs: 29
; ScratchSize: 0
; MemoryBound: 0
; FloatMode: 240
; IeeeMode: 1
; LDSByteSize: 0 bytes/workgroup (compile time only)
; SGPRBlocks: 3
; VGPRBlocks: 3
; NumSGPRsForWavesPerEU: 25
; NumVGPRsForWavesPerEU: 29
; AccumOffset: 32
; Occupancy: 8
; WaveLimiterHint : 0
; COMPUTE_PGM_RSRC2:SCRATCH_EN: 0
; COMPUTE_PGM_RSRC2:USER_SGPR: 2
; COMPUTE_PGM_RSRC2:TRAP_HANDLER: 0
; COMPUTE_PGM_RSRC2:TGID_X_EN: 1
; COMPUTE_PGM_RSRC2:TGID_Y_EN: 0
; COMPUTE_PGM_RSRC2:TGID_Z_EN: 0
; COMPUTE_PGM_RSRC2:TIDIG_COMP_CNT: 0
; COMPUTE_PGM_RSRC3_GFX90A:ACCUM_OFFSET: 7
; COMPUTE_PGM_RSRC3_GFX90A:TG_SPLIT: 0
	.section	.text._ZN2at6native29vectorized_elementwise_kernelILi8EZZZNS0_16sqrt_kernel_cudaERNS_18TensorIteratorBaseEENKUlvE0_clEvENKUlvE1_clEvEUlN3c104HalfEE_St5arrayIPcLm2EEEEviT0_T1_,"axG",@progbits,_ZN2at6native29vectorized_elementwise_kernelILi8EZZZNS0_16sqrt_kernel_cudaERNS_18TensorIteratorBaseEENKUlvE0_clEvENKUlvE1_clEvEUlN3c104HalfEE_St5arrayIPcLm2EEEEviT0_T1_,comdat
	.globl	_ZN2at6native29vectorized_elementwise_kernelILi8EZZZNS0_16sqrt_kernel_cudaERNS_18TensorIteratorBaseEENKUlvE0_clEvENKUlvE1_clEvEUlN3c104HalfEE_St5arrayIPcLm2EEEEviT0_T1_ ; -- Begin function _ZN2at6native29vectorized_elementwise_kernelILi8EZZZNS0_16sqrt_kernel_cudaERNS_18TensorIteratorBaseEENKUlvE0_clEvENKUlvE1_clEvEUlN3c104HalfEE_St5arrayIPcLm2EEEEviT0_T1_
	.p2align	8
	.type	_ZN2at6native29vectorized_elementwise_kernelILi8EZZZNS0_16sqrt_kernel_cudaERNS_18TensorIteratorBaseEENKUlvE0_clEvENKUlvE1_clEvEUlN3c104HalfEE_St5arrayIPcLm2EEEEviT0_T1_,@function
_ZN2at6native29vectorized_elementwise_kernelILi8EZZZNS0_16sqrt_kernel_cudaERNS_18TensorIteratorBaseEENKUlvE0_clEvENKUlvE1_clEvEUlN3c104HalfEE_St5arrayIPcLm2EEEEviT0_T1_: ; @_ZN2at6native29vectorized_elementwise_kernelILi8EZZZNS0_16sqrt_kernel_cudaERNS_18TensorIteratorBaseEENKUlvE0_clEvENKUlvE1_clEvEUlN3c104HalfEE_St5arrayIPcLm2EEEEviT0_T1_
; %bb.0:
	s_load_dword s3, s[0:1], 0x0
	s_load_dwordx4 s[12:15], s[0:1], 0x8
	s_lshl_b32 s10, s2, 11
	s_mov_b64 s[0:1], -1
	s_waitcnt lgkmcnt(0)
	s_sub_i32 s18, s3, s10
	s_cmpk_gt_i32 s18, 0x7ff
	s_cbranch_scc0 .LBB259_2
; %bb.1:
	s_ashr_i32 s11, s10, 31
	s_lshl_b64 s[16:17], s[10:11], 1
	s_add_u32 s0, s14, s16
	s_addc_u32 s1, s15, s17
	v_lshlrev_b32_e32 v1, 4, v0
	global_load_dwordx4 v[2:5], v1, s[0:1]
	s_mov_b32 s11, 0xf800000
	v_mov_b32_e32 v6, 0x260
	s_waitcnt vmcnt(0)
	v_cvt_f32_f16_e32 v7, v2
	v_cvt_f32_f16_sdwa v2, v2 dst_sel:DWORD dst_unused:UNUSED_PAD src0_sel:WORD_1
	v_cvt_f32_f16_e32 v8, v3
	v_cvt_f32_f16_sdwa v3, v3 dst_sel:DWORD dst_unused:UNUSED_PAD src0_sel:WORD_1
	v_cvt_f32_f16_e32 v9, v4
	v_mul_f32_e32 v11, 0x4f800000, v7
	v_cmp_gt_f32_e32 vcc, s11, v7
	v_mul_f32_e32 v12, 0x4f800000, v2
	v_cmp_gt_f32_e64 s[0:1], s11, v2
	v_cndmask_b32_e32 v7, v7, v11, vcc
	v_mul_f32_e32 v13, 0x4f800000, v8
	v_cndmask_b32_e64 v2, v2, v12, s[0:1]
	v_cmp_gt_f32_e64 s[2:3], s11, v8
	v_rsq_f32_e32 v11, v7
	v_mul_f32_e32 v14, 0x4f800000, v3
	v_cndmask_b32_e64 v8, v8, v13, s[2:3]
	v_cmp_gt_f32_e64 s[4:5], s11, v3
	v_rsq_f32_e32 v12, v2
	;; [unrolled: 4-line block ×3, first 2 shown]
	v_rsq_f32_e32 v14, v3
	v_cndmask_b32_e64 v9, v9, v15, s[6:7]
	v_cvt_f32_f16_sdwa v4, v4 dst_sel:DWORD dst_unused:UNUSED_PAD src0_sel:WORD_1
	v_rsq_f32_e32 v15, v9
	v_mul_f32_e32 v17, v7, v11
	v_mul_f32_e32 v11, 0.5, v11
	v_mul_f32_e32 v18, v2, v12
	v_mul_f32_e32 v12, 0.5, v12
	v_fma_f32 v23, -v11, v17, 0.5
	v_mul_f32_e32 v19, v8, v13
	v_mul_f32_e32 v13, 0.5, v13
	v_fma_f32 v24, -v12, v18, 0.5
	v_fmac_f32_e32 v17, v17, v23
	v_mul_f32_e32 v20, v3, v14
	v_mul_f32_e32 v14, 0.5, v14
	v_fma_f32 v25, -v13, v19, 0.5
	v_fmac_f32_e32 v11, v11, v23
	v_fmac_f32_e32 v18, v18, v24
	v_fma_f32 v23, -v17, v17, v7
	v_mul_f32_e32 v16, 0x4f800000, v4
	v_cmp_gt_f32_e64 s[8:9], s11, v4
	v_mul_f32_e32 v21, v9, v15
	v_mul_f32_e32 v15, 0.5, v15
	v_fma_f32 v26, -v14, v20, 0.5
	v_fmac_f32_e32 v12, v12, v24
	v_fmac_f32_e32 v19, v19, v25
	v_fma_f32 v24, -v18, v18, v2
	v_fmac_f32_e32 v17, v23, v11
	v_cndmask_b32_e64 v4, v4, v16, s[8:9]
	v_fma_f32 v27, -v15, v21, 0.5
	v_fmac_f32_e32 v13, v13, v25
	v_fmac_f32_e32 v20, v20, v26
	v_fma_f32 v25, -v19, v19, v8
	v_fmac_f32_e32 v18, v24, v12
	v_mul_f32_e32 v11, 0x37800000, v17
	v_rsq_f32_e32 v16, v4
	v_fmac_f32_e32 v14, v14, v26
	v_fmac_f32_e32 v21, v21, v27
	v_fma_f32 v26, -v20, v20, v3
	v_fmac_f32_e32 v19, v25, v13
	v_mul_f32_e32 v12, 0x37800000, v18
	v_cndmask_b32_e32 v11, v17, v11, vcc
	v_cmp_class_f32_e32 vcc, v7, v6
	v_cvt_f32_f16_e32 v10, v5
	v_fmac_f32_e32 v15, v15, v27
	v_fma_f32 v27, -v21, v21, v9
	v_fmac_f32_e32 v20, v26, v14
	v_mul_f32_e32 v13, 0x37800000, v19
	v_cndmask_b32_e64 v12, v18, v12, s[0:1]
	v_cndmask_b32_e32 v7, v11, v7, vcc
	v_cmp_class_f32_e32 vcc, v2, v6
	v_fmac_f32_e32 v21, v27, v15
	v_mul_f32_e32 v14, 0x37800000, v20
	v_cndmask_b32_e64 v13, v19, v13, s[2:3]
	v_cndmask_b32_e32 v2, v12, v2, vcc
	v_cmp_class_f32_e32 vcc, v8, v6
	v_mul_f32_e32 v15, 0x37800000, v21
	v_cndmask_b32_e64 v14, v20, v14, s[4:5]
	v_cndmask_b32_e32 v8, v13, v8, vcc
	v_cmp_class_f32_e32 vcc, v3, v6
	v_mul_f32_e32 v22, v4, v16
	v_mul_f32_e32 v16, 0.5, v16
	v_cndmask_b32_e64 v15, v21, v15, s[6:7]
	v_cndmask_b32_e32 v3, v14, v3, vcc
	v_cmp_class_f32_e32 vcc, v9, v6
	v_fma_f32 v28, -v16, v22, 0.5
	v_mul_f32_e32 v11, 0x4f800000, v10
	v_cndmask_b32_e32 v9, v15, v9, vcc
	v_cmp_gt_f32_e32 vcc, s11, v10
	v_fmac_f32_e32 v22, v22, v28
	v_fmac_f32_e32 v16, v16, v28
	v_cndmask_b32_e32 v10, v10, v11, vcc
	v_fma_f32 v28, -v22, v22, v4
	v_rsq_f32_e32 v11, v10
	v_fmac_f32_e32 v22, v28, v16
	v_mul_f32_e32 v16, 0x37800000, v22
	v_cvt_f32_f16_sdwa v5, v5 dst_sel:DWORD dst_unused:UNUSED_PAD src0_sel:WORD_1
	v_cndmask_b32_e64 v12, v22, v16, s[8:9]
	v_cmp_class_f32_e64 s[0:1], v4, v6
	v_cvt_pk_f16_f32 v3, v8, v3
	v_cvt_pk_f16_f32 v2, v7, v2
	v_cndmask_b32_e64 v4, v12, v4, s[0:1]
	v_mul_f32_e32 v12, v10, v11
	v_mul_f32_e32 v11, 0.5, v11
	v_fma_f32 v13, -v11, v12, 0.5
	v_fmac_f32_e32 v12, v12, v13
	v_fmac_f32_e32 v11, v11, v13
	v_mul_f32_e32 v13, 0x4f800000, v5
	v_cmp_gt_f32_e64 s[0:1], s11, v5
	v_fma_f32 v14, -v12, v12, v10
	v_fmac_f32_e32 v12, v14, v11
	v_cndmask_b32_e64 v5, v5, v13, s[0:1]
	v_rsq_f32_e32 v13, v5
	v_mul_f32_e32 v11, 0x37800000, v12
	v_cndmask_b32_e32 v11, v12, v11, vcc
	v_cmp_class_f32_e32 vcc, v10, v6
	v_mul_f32_e32 v12, 0.5, v13
	v_cvt_pk_f16_f32 v4, v9, v4
	v_cndmask_b32_e32 v10, v11, v10, vcc
	v_mul_f32_e32 v11, v5, v13
	v_fma_f32 v13, -v12, v11, 0.5
	v_fmac_f32_e32 v11, v11, v13
	v_fma_f32 v14, -v11, v11, v5
	v_fmac_f32_e32 v12, v12, v13
	v_fmac_f32_e32 v11, v14, v12
	v_mul_f32_e32 v12, 0x37800000, v11
	v_cndmask_b32_e64 v11, v11, v12, s[0:1]
	v_cmp_class_f32_e32 vcc, v5, v6
	s_add_u32 s0, s12, s16
	s_addc_u32 s1, s13, s17
	v_cndmask_b32_e32 v5, v11, v5, vcc
	v_cvt_pk_f16_f32 v5, v10, v5
	global_store_dwordx4 v1, v[2:5], s[0:1]
	s_mov_b64 s[0:1], 0
.LBB259_2:
	s_andn2_b64 vcc, exec, s[0:1]
	s_cbranch_vccnz .LBB259_26
; %bb.3:
	v_cmp_gt_i32_e32 vcc, s18, v0
	v_mov_b32_e32 v1, 0
	v_or_b32_e32 v2, s10, v0
	v_mov_b32_e32 v4, 0
	v_mov_b32_e32 v3, v0
	s_and_saveexec_b64 s[2:3], vcc
	s_cbranch_execz .LBB259_5
; %bb.4:
	v_mov_b32_e32 v3, 0
	v_lshl_add_u64 v[4:5], v[2:3], 1, s[14:15]
	global_load_ushort v3, v[4:5], off
	s_mov_b32 s0, 0xf800000
	v_mov_b32_e32 v5, 0x260
	s_waitcnt vmcnt(0)
	v_cvt_f32_f16_e32 v3, v3
	v_mul_f32_e32 v4, 0x4f800000, v3
	v_cmp_gt_f32_e64 s[0:1], s0, v3
	s_nop 1
	v_cndmask_b32_e64 v3, v3, v4, s[0:1]
	v_rsq_f32_e32 v4, v3
	s_nop 0
	v_mul_f32_e32 v6, v3, v4
	v_mul_f32_e32 v4, 0.5, v4
	v_fma_f32 v7, -v4, v6, 0.5
	v_fmac_f32_e32 v6, v6, v7
	v_fmac_f32_e32 v4, v4, v7
	v_fma_f32 v7, -v6, v6, v3
	v_fmac_f32_e32 v6, v7, v4
	v_mul_f32_e32 v4, 0x37800000, v6
	v_cndmask_b32_e64 v4, v6, v4, s[0:1]
	v_cmp_class_f32_e64 s[0:1], v3, v5
	s_nop 1
	v_cndmask_b32_e64 v3, v4, v3, s[0:1]
	v_cvt_f16_f32_e32 v4, v3
	v_or_b32_e32 v3, 0x100, v0
.LBB259_5:
	s_or_b64 exec, exec, s[2:3]
	v_cmp_gt_i32_e64 s[0:1], s18, v3
	s_and_saveexec_b64 s[2:3], s[0:1]
	s_cbranch_execz .LBB259_7
; %bb.6:
	v_add_u32_e32 v6, s10, v3
	v_mov_b32_e32 v7, 0
	v_lshl_add_u64 v[6:7], v[6:7], 1, s[14:15]
	global_load_ushort v1, v[6:7], off
	s_mov_b32 s0, 0xf800000
	v_mov_b32_e32 v6, 0x260
	v_add_u32_e32 v3, 0x100, v3
	s_waitcnt vmcnt(0)
	v_cvt_f32_f16_e32 v1, v1
	v_mul_f32_e32 v5, 0x4f800000, v1
	v_cmp_gt_f32_e64 s[0:1], s0, v1
	s_nop 1
	v_cndmask_b32_e64 v1, v1, v5, s[0:1]
	v_rsq_f32_e32 v5, v1
	s_nop 0
	v_mul_f32_e32 v7, v1, v5
	v_mul_f32_e32 v5, 0.5, v5
	v_fma_f32 v8, -v5, v7, 0.5
	v_fmac_f32_e32 v7, v7, v8
	v_fmac_f32_e32 v5, v5, v8
	v_fma_f32 v8, -v7, v7, v1
	v_fmac_f32_e32 v7, v8, v5
	v_mul_f32_e32 v5, 0x37800000, v7
	v_cndmask_b32_e64 v5, v7, v5, s[0:1]
	v_cmp_class_f32_e64 s[0:1], v1, v6
	s_nop 1
	v_cndmask_b32_e64 v1, v5, v1, s[0:1]
	v_cvt_f16_f32_e32 v1, v1
.LBB259_7:
	s_or_b64 exec, exec, s[2:3]
	v_cmp_gt_i32_e64 s[0:1], s18, v3
	v_mov_b32_e32 v5, 0
	v_mov_b32_e32 v6, 0
	s_and_saveexec_b64 s[2:3], s[0:1]
	s_cbranch_execz .LBB259_9
; %bb.8:
	v_add_u32_e32 v6, s10, v3
	v_mov_b32_e32 v7, 0
	v_lshl_add_u64 v[6:7], v[6:7], 1, s[14:15]
	global_load_ushort v6, v[6:7], off
	s_mov_b32 s0, 0xf800000
	v_mov_b32_e32 v8, 0x260
	v_add_u32_e32 v3, 0x100, v3
	s_waitcnt vmcnt(0)
	v_cvt_f32_f16_e32 v6, v6
	v_mul_f32_e32 v7, 0x4f800000, v6
	v_cmp_gt_f32_e64 s[0:1], s0, v6
	s_nop 1
	v_cndmask_b32_e64 v6, v6, v7, s[0:1]
	v_rsq_f32_e32 v7, v6
	s_nop 0
	v_mul_f32_e32 v9, v6, v7
	v_mul_f32_e32 v7, 0.5, v7
	v_fma_f32 v10, -v7, v9, 0.5
	v_fmac_f32_e32 v9, v9, v10
	v_fmac_f32_e32 v7, v7, v10
	v_fma_f32 v10, -v9, v9, v6
	v_fmac_f32_e32 v9, v10, v7
	v_mul_f32_e32 v7, 0x37800000, v9
	v_cndmask_b32_e64 v7, v9, v7, s[0:1]
	v_cmp_class_f32_e64 s[0:1], v6, v8
	s_nop 1
	v_cndmask_b32_e64 v6, v7, v6, s[0:1]
	v_cvt_f16_f32_e32 v6, v6
.LBB259_9:
	s_or_b64 exec, exec, s[2:3]
	v_cmp_gt_i32_e64 s[0:1], s18, v3
	s_and_saveexec_b64 s[2:3], s[0:1]
	s_cbranch_execz .LBB259_11
; %bb.10:
	v_add_u32_e32 v8, s10, v3
	v_mov_b32_e32 v9, 0
	v_lshl_add_u64 v[8:9], v[8:9], 1, s[14:15]
	global_load_ushort v5, v[8:9], off
	s_mov_b32 s0, 0xf800000
	v_mov_b32_e32 v8, 0x260
	v_add_u32_e32 v3, 0x100, v3
	s_waitcnt vmcnt(0)
	v_cvt_f32_f16_e32 v5, v5
	v_mul_f32_e32 v7, 0x4f800000, v5
	v_cmp_gt_f32_e64 s[0:1], s0, v5
	s_nop 1
	v_cndmask_b32_e64 v5, v5, v7, s[0:1]
	v_rsq_f32_e32 v7, v5
	s_nop 0
	v_mul_f32_e32 v9, v5, v7
	v_mul_f32_e32 v7, 0.5, v7
	v_fma_f32 v10, -v7, v9, 0.5
	v_fmac_f32_e32 v9, v9, v10
	v_fmac_f32_e32 v7, v7, v10
	v_fma_f32 v10, -v9, v9, v5
	v_fmac_f32_e32 v9, v10, v7
	v_mul_f32_e32 v7, 0x37800000, v9
	v_cndmask_b32_e64 v7, v9, v7, s[0:1]
	v_cmp_class_f32_e64 s[0:1], v5, v8
	s_nop 1
	v_cndmask_b32_e64 v5, v7, v5, s[0:1]
	v_cvt_f16_f32_e32 v5, v5
.LBB259_11:
	s_or_b64 exec, exec, s[2:3]
	v_cmp_gt_i32_e64 s[0:1], s18, v3
	v_mov_b32_e32 v7, 0
	v_mov_b32_e32 v8, 0
	s_and_saveexec_b64 s[2:3], s[0:1]
	s_cbranch_execz .LBB259_13
; %bb.12:
	v_add_u32_e32 v8, s10, v3
	v_mov_b32_e32 v9, 0
	v_lshl_add_u64 v[8:9], v[8:9], 1, s[14:15]
	global_load_ushort v8, v[8:9], off
	s_mov_b32 s0, 0xf800000
	v_mov_b32_e32 v10, 0x260
	v_add_u32_e32 v3, 0x100, v3
	s_waitcnt vmcnt(0)
	v_cvt_f32_f16_e32 v8, v8
	v_mul_f32_e32 v9, 0x4f800000, v8
	v_cmp_gt_f32_e64 s[0:1], s0, v8
	s_nop 1
	v_cndmask_b32_e64 v8, v8, v9, s[0:1]
	v_rsq_f32_e32 v9, v8
	s_nop 0
	v_mul_f32_e32 v11, v8, v9
	v_mul_f32_e32 v9, 0.5, v9
	v_fma_f32 v12, -v9, v11, 0.5
	v_fmac_f32_e32 v11, v11, v12
	v_fmac_f32_e32 v9, v9, v12
	v_fma_f32 v12, -v11, v11, v8
	v_fmac_f32_e32 v11, v12, v9
	v_mul_f32_e32 v9, 0x37800000, v11
	v_cndmask_b32_e64 v9, v11, v9, s[0:1]
	v_cmp_class_f32_e64 s[0:1], v8, v10
	s_nop 1
	v_cndmask_b32_e64 v8, v9, v8, s[0:1]
	v_cvt_f16_f32_e32 v8, v8
.LBB259_13:
	s_or_b64 exec, exec, s[2:3]
	v_cmp_gt_i32_e64 s[0:1], s18, v3
	s_and_saveexec_b64 s[2:3], s[0:1]
	s_cbranch_execz .LBB259_15
; %bb.14:
	v_add_u32_e32 v10, s10, v3
	v_mov_b32_e32 v11, 0
	v_lshl_add_u64 v[10:11], v[10:11], 1, s[14:15]
	global_load_ushort v7, v[10:11], off
	s_mov_b32 s0, 0xf800000
	v_mov_b32_e32 v10, 0x260
	v_add_u32_e32 v3, 0x100, v3
	s_waitcnt vmcnt(0)
	v_cvt_f32_f16_e32 v7, v7
	v_mul_f32_e32 v9, 0x4f800000, v7
	v_cmp_gt_f32_e64 s[0:1], s0, v7
	s_nop 1
	v_cndmask_b32_e64 v7, v7, v9, s[0:1]
	v_rsq_f32_e32 v9, v7
	s_nop 0
	v_mul_f32_e32 v11, v7, v9
	v_mul_f32_e32 v9, 0.5, v9
	v_fma_f32 v12, -v9, v11, 0.5
	v_fmac_f32_e32 v11, v11, v12
	v_fmac_f32_e32 v9, v9, v12
	v_fma_f32 v12, -v11, v11, v7
	v_fmac_f32_e32 v11, v12, v9
	v_mul_f32_e32 v9, 0x37800000, v11
	v_cndmask_b32_e64 v9, v11, v9, s[0:1]
	v_cmp_class_f32_e64 s[0:1], v7, v10
	s_nop 1
	v_cndmask_b32_e64 v7, v9, v7, s[0:1]
	v_cvt_f16_f32_e32 v7, v7
.LBB259_15:
	s_or_b64 exec, exec, s[2:3]
	v_cmp_gt_i32_e64 s[0:1], s18, v3
	v_mov_b32_e32 v9, 0
	v_mov_b32_e32 v10, 0
	s_and_saveexec_b64 s[2:3], s[0:1]
	s_cbranch_execnz .LBB259_27
; %bb.16:
	s_or_b64 exec, exec, s[2:3]
	v_cmp_gt_i32_e64 s[0:1], s18, v3
	s_and_saveexec_b64 s[2:3], s[0:1]
	s_cbranch_execnz .LBB259_28
.LBB259_17:
	s_or_b64 exec, exec, s[2:3]
	s_and_saveexec_b64 s[0:1], vcc
	s_cbranch_execnz .LBB259_29
.LBB259_18:
	s_or_b64 exec, exec, s[0:1]
	v_cmp_gt_i32_e32 vcc, s18, v0
	s_and_saveexec_b64 s[0:1], vcc
	s_cbranch_execnz .LBB259_30
.LBB259_19:
	s_or_b64 exec, exec, s[0:1]
	v_cmp_gt_i32_e32 vcc, s18, v0
	s_and_saveexec_b64 s[0:1], vcc
	s_cbranch_execnz .LBB259_31
.LBB259_20:
	s_or_b64 exec, exec, s[0:1]
	v_cmp_gt_i32_e32 vcc, s18, v0
	s_and_saveexec_b64 s[0:1], vcc
	s_cbranch_execnz .LBB259_32
.LBB259_21:
	s_or_b64 exec, exec, s[0:1]
	v_cmp_gt_i32_e32 vcc, s18, v0
	s_and_saveexec_b64 s[0:1], vcc
	s_cbranch_execnz .LBB259_33
.LBB259_22:
	s_or_b64 exec, exec, s[0:1]
	v_cmp_gt_i32_e32 vcc, s18, v0
	s_and_saveexec_b64 s[0:1], vcc
	s_cbranch_execnz .LBB259_34
.LBB259_23:
	s_or_b64 exec, exec, s[0:1]
	v_cmp_gt_i32_e32 vcc, s18, v0
	s_and_saveexec_b64 s[0:1], vcc
	s_cbranch_execnz .LBB259_35
.LBB259_24:
	s_or_b64 exec, exec, s[0:1]
	v_cmp_gt_i32_e32 vcc, s18, v0
	s_and_saveexec_b64 s[0:1], vcc
	s_cbranch_execz .LBB259_26
.LBB259_25:
	v_add_u32_e32 v0, s10, v0
	v_mov_b32_e32 v1, 0
	v_lshl_add_u64 v[0:1], v[0:1], 1, s[12:13]
	global_store_short v[0:1], v9, off
.LBB259_26:
	s_endpgm
.LBB259_27:
	v_add_u32_e32 v10, s10, v3
	v_mov_b32_e32 v11, 0
	v_lshl_add_u64 v[10:11], v[10:11], 1, s[14:15]
	global_load_ushort v10, v[10:11], off
	s_mov_b32 s0, 0xf800000
	v_mov_b32_e32 v12, 0x260
	v_add_u32_e32 v3, 0x100, v3
	s_waitcnt vmcnt(0)
	v_cvt_f32_f16_e32 v10, v10
	v_mul_f32_e32 v11, 0x4f800000, v10
	v_cmp_gt_f32_e64 s[0:1], s0, v10
	s_nop 1
	v_cndmask_b32_e64 v10, v10, v11, s[0:1]
	v_rsq_f32_e32 v11, v10
	s_nop 0
	v_mul_f32_e32 v13, v10, v11
	v_mul_f32_e32 v11, 0.5, v11
	v_fma_f32 v14, -v11, v13, 0.5
	v_fmac_f32_e32 v13, v13, v14
	v_fmac_f32_e32 v11, v11, v14
	v_fma_f32 v14, -v13, v13, v10
	v_fmac_f32_e32 v13, v14, v11
	v_mul_f32_e32 v11, 0x37800000, v13
	v_cndmask_b32_e64 v11, v13, v11, s[0:1]
	v_cmp_class_f32_e64 s[0:1], v10, v12
	s_nop 1
	v_cndmask_b32_e64 v10, v11, v10, s[0:1]
	v_cvt_f16_f32_e32 v10, v10
	s_or_b64 exec, exec, s[2:3]
	v_cmp_gt_i32_e64 s[0:1], s18, v3
	s_and_saveexec_b64 s[2:3], s[0:1]
	s_cbranch_execz .LBB259_17
.LBB259_28:
	v_add_u32_e32 v12, s10, v3
	v_mov_b32_e32 v13, 0
	v_lshl_add_u64 v[12:13], v[12:13], 1, s[14:15]
	global_load_ushort v3, v[12:13], off
	s_mov_b32 s0, 0xf800000
	v_mov_b32_e32 v11, 0x260
	s_waitcnt vmcnt(0)
	v_cvt_f32_f16_e32 v3, v3
	v_mul_f32_e32 v9, 0x4f800000, v3
	v_cmp_gt_f32_e64 s[0:1], s0, v3
	s_nop 1
	v_cndmask_b32_e64 v3, v3, v9, s[0:1]
	v_rsq_f32_e32 v9, v3
	s_nop 0
	v_mul_f32_e32 v12, v3, v9
	v_mul_f32_e32 v9, 0.5, v9
	v_fma_f32 v13, -v9, v12, 0.5
	v_fmac_f32_e32 v12, v12, v13
	v_fmac_f32_e32 v9, v9, v13
	v_fma_f32 v13, -v12, v12, v3
	v_fmac_f32_e32 v12, v13, v9
	v_mul_f32_e32 v9, 0x37800000, v12
	v_cndmask_b32_e64 v9, v12, v9, s[0:1]
	v_cmp_class_f32_e64 s[0:1], v3, v11
	s_nop 1
	v_cndmask_b32_e64 v3, v9, v3, s[0:1]
	v_cvt_f16_f32_e32 v9, v3
	s_or_b64 exec, exec, s[2:3]
	s_and_saveexec_b64 s[0:1], vcc
	s_cbranch_execz .LBB259_18
.LBB259_29:
	v_mov_b32_e32 v3, 0
	v_or_b32_e32 v0, 0x100, v0
	v_lshl_add_u64 v[2:3], v[2:3], 1, s[12:13]
	global_store_short v[2:3], v4, off
	s_or_b64 exec, exec, s[0:1]
	v_cmp_gt_i32_e32 vcc, s18, v0
	s_and_saveexec_b64 s[0:1], vcc
	s_cbranch_execz .LBB259_19
.LBB259_30:
	v_add_u32_e32 v2, s10, v0
	v_mov_b32_e32 v3, 0
	v_lshl_add_u64 v[2:3], v[2:3], 1, s[12:13]
	v_add_u32_e32 v0, 0x100, v0
	global_store_short v[2:3], v1, off
	s_or_b64 exec, exec, s[0:1]
	v_cmp_gt_i32_e32 vcc, s18, v0
	s_and_saveexec_b64 s[0:1], vcc
	s_cbranch_execz .LBB259_20
.LBB259_31:
	v_add_u32_e32 v2, s10, v0
	v_mov_b32_e32 v3, 0
	v_lshl_add_u64 v[2:3], v[2:3], 1, s[12:13]
	v_add_u32_e32 v0, 0x100, v0
	global_store_short v[2:3], v6, off
	s_or_b64 exec, exec, s[0:1]
	v_cmp_gt_i32_e32 vcc, s18, v0
	s_and_saveexec_b64 s[0:1], vcc
	s_cbranch_execz .LBB259_21
.LBB259_32:
	v_add_u32_e32 v2, s10, v0
	v_mov_b32_e32 v3, 0
	v_lshl_add_u64 v[2:3], v[2:3], 1, s[12:13]
	v_add_u32_e32 v0, 0x100, v0
	global_store_short v[2:3], v5, off
	s_or_b64 exec, exec, s[0:1]
	v_cmp_gt_i32_e32 vcc, s18, v0
	s_and_saveexec_b64 s[0:1], vcc
	s_cbranch_execz .LBB259_22
.LBB259_33:
	v_add_u32_e32 v2, s10, v0
	v_mov_b32_e32 v3, 0
	v_lshl_add_u64 v[2:3], v[2:3], 1, s[12:13]
	v_add_u32_e32 v0, 0x100, v0
	global_store_short v[2:3], v8, off
	s_or_b64 exec, exec, s[0:1]
	v_cmp_gt_i32_e32 vcc, s18, v0
	s_and_saveexec_b64 s[0:1], vcc
	s_cbranch_execz .LBB259_23
.LBB259_34:
	v_add_u32_e32 v2, s10, v0
	v_mov_b32_e32 v3, 0
	v_lshl_add_u64 v[2:3], v[2:3], 1, s[12:13]
	v_add_u32_e32 v0, 0x100, v0
	global_store_short v[2:3], v7, off
	s_or_b64 exec, exec, s[0:1]
	v_cmp_gt_i32_e32 vcc, s18, v0
	s_and_saveexec_b64 s[0:1], vcc
	s_cbranch_execz .LBB259_24
.LBB259_35:
	v_add_u32_e32 v2, s10, v0
	v_mov_b32_e32 v3, 0
	v_lshl_add_u64 v[2:3], v[2:3], 1, s[12:13]
	v_add_u32_e32 v0, 0x100, v0
	global_store_short v[2:3], v10, off
	s_or_b64 exec, exec, s[0:1]
	v_cmp_gt_i32_e32 vcc, s18, v0
	s_and_saveexec_b64 s[0:1], vcc
	s_cbranch_execnz .LBB259_25
	s_branch .LBB259_26
	.section	.rodata,"a",@progbits
	.p2align	6, 0x0
	.amdhsa_kernel _ZN2at6native29vectorized_elementwise_kernelILi8EZZZNS0_16sqrt_kernel_cudaERNS_18TensorIteratorBaseEENKUlvE0_clEvENKUlvE1_clEvEUlN3c104HalfEE_St5arrayIPcLm2EEEEviT0_T1_
		.amdhsa_group_segment_fixed_size 0
		.amdhsa_private_segment_fixed_size 0
		.amdhsa_kernarg_size 24
		.amdhsa_user_sgpr_count 2
		.amdhsa_user_sgpr_dispatch_ptr 0
		.amdhsa_user_sgpr_queue_ptr 0
		.amdhsa_user_sgpr_kernarg_segment_ptr 1
		.amdhsa_user_sgpr_dispatch_id 0
		.amdhsa_user_sgpr_kernarg_preload_length 0
		.amdhsa_user_sgpr_kernarg_preload_offset 0
		.amdhsa_user_sgpr_private_segment_size 0
		.amdhsa_uses_dynamic_stack 0
		.amdhsa_enable_private_segment 0
		.amdhsa_system_sgpr_workgroup_id_x 1
		.amdhsa_system_sgpr_workgroup_id_y 0
		.amdhsa_system_sgpr_workgroup_id_z 0
		.amdhsa_system_sgpr_workgroup_info 0
		.amdhsa_system_vgpr_workitem_id 0
		.amdhsa_next_free_vgpr 29
		.amdhsa_next_free_sgpr 19
		.amdhsa_accum_offset 32
		.amdhsa_reserve_vcc 1
		.amdhsa_float_round_mode_32 0
		.amdhsa_float_round_mode_16_64 0
		.amdhsa_float_denorm_mode_32 3
		.amdhsa_float_denorm_mode_16_64 3
		.amdhsa_dx10_clamp 1
		.amdhsa_ieee_mode 1
		.amdhsa_fp16_overflow 0
		.amdhsa_tg_split 0
		.amdhsa_exception_fp_ieee_invalid_op 0
		.amdhsa_exception_fp_denorm_src 0
		.amdhsa_exception_fp_ieee_div_zero 0
		.amdhsa_exception_fp_ieee_overflow 0
		.amdhsa_exception_fp_ieee_underflow 0
		.amdhsa_exception_fp_ieee_inexact 0
		.amdhsa_exception_int_div_zero 0
	.end_amdhsa_kernel
	.section	.text._ZN2at6native29vectorized_elementwise_kernelILi8EZZZNS0_16sqrt_kernel_cudaERNS_18TensorIteratorBaseEENKUlvE0_clEvENKUlvE1_clEvEUlN3c104HalfEE_St5arrayIPcLm2EEEEviT0_T1_,"axG",@progbits,_ZN2at6native29vectorized_elementwise_kernelILi8EZZZNS0_16sqrt_kernel_cudaERNS_18TensorIteratorBaseEENKUlvE0_clEvENKUlvE1_clEvEUlN3c104HalfEE_St5arrayIPcLm2EEEEviT0_T1_,comdat
.Lfunc_end259:
	.size	_ZN2at6native29vectorized_elementwise_kernelILi8EZZZNS0_16sqrt_kernel_cudaERNS_18TensorIteratorBaseEENKUlvE0_clEvENKUlvE1_clEvEUlN3c104HalfEE_St5arrayIPcLm2EEEEviT0_T1_, .Lfunc_end259-_ZN2at6native29vectorized_elementwise_kernelILi8EZZZNS0_16sqrt_kernel_cudaERNS_18TensorIteratorBaseEENKUlvE0_clEvENKUlvE1_clEvEUlN3c104HalfEE_St5arrayIPcLm2EEEEviT0_T1_
                                        ; -- End function
	.set _ZN2at6native29vectorized_elementwise_kernelILi8EZZZNS0_16sqrt_kernel_cudaERNS_18TensorIteratorBaseEENKUlvE0_clEvENKUlvE1_clEvEUlN3c104HalfEE_St5arrayIPcLm2EEEEviT0_T1_.num_vgpr, 29
	.set _ZN2at6native29vectorized_elementwise_kernelILi8EZZZNS0_16sqrt_kernel_cudaERNS_18TensorIteratorBaseEENKUlvE0_clEvENKUlvE1_clEvEUlN3c104HalfEE_St5arrayIPcLm2EEEEviT0_T1_.num_agpr, 0
	.set _ZN2at6native29vectorized_elementwise_kernelILi8EZZZNS0_16sqrt_kernel_cudaERNS_18TensorIteratorBaseEENKUlvE0_clEvENKUlvE1_clEvEUlN3c104HalfEE_St5arrayIPcLm2EEEEviT0_T1_.numbered_sgpr, 19
	.set _ZN2at6native29vectorized_elementwise_kernelILi8EZZZNS0_16sqrt_kernel_cudaERNS_18TensorIteratorBaseEENKUlvE0_clEvENKUlvE1_clEvEUlN3c104HalfEE_St5arrayIPcLm2EEEEviT0_T1_.num_named_barrier, 0
	.set _ZN2at6native29vectorized_elementwise_kernelILi8EZZZNS0_16sqrt_kernel_cudaERNS_18TensorIteratorBaseEENKUlvE0_clEvENKUlvE1_clEvEUlN3c104HalfEE_St5arrayIPcLm2EEEEviT0_T1_.private_seg_size, 0
	.set _ZN2at6native29vectorized_elementwise_kernelILi8EZZZNS0_16sqrt_kernel_cudaERNS_18TensorIteratorBaseEENKUlvE0_clEvENKUlvE1_clEvEUlN3c104HalfEE_St5arrayIPcLm2EEEEviT0_T1_.uses_vcc, 1
	.set _ZN2at6native29vectorized_elementwise_kernelILi8EZZZNS0_16sqrt_kernel_cudaERNS_18TensorIteratorBaseEENKUlvE0_clEvENKUlvE1_clEvEUlN3c104HalfEE_St5arrayIPcLm2EEEEviT0_T1_.uses_flat_scratch, 0
	.set _ZN2at6native29vectorized_elementwise_kernelILi8EZZZNS0_16sqrt_kernel_cudaERNS_18TensorIteratorBaseEENKUlvE0_clEvENKUlvE1_clEvEUlN3c104HalfEE_St5arrayIPcLm2EEEEviT0_T1_.has_dyn_sized_stack, 0
	.set _ZN2at6native29vectorized_elementwise_kernelILi8EZZZNS0_16sqrt_kernel_cudaERNS_18TensorIteratorBaseEENKUlvE0_clEvENKUlvE1_clEvEUlN3c104HalfEE_St5arrayIPcLm2EEEEviT0_T1_.has_recursion, 0
	.set _ZN2at6native29vectorized_elementwise_kernelILi8EZZZNS0_16sqrt_kernel_cudaERNS_18TensorIteratorBaseEENKUlvE0_clEvENKUlvE1_clEvEUlN3c104HalfEE_St5arrayIPcLm2EEEEviT0_T1_.has_indirect_call, 0
	.section	.AMDGPU.csdata,"",@progbits
; Kernel info:
; codeLenInByte = 2928
; TotalNumSgprs: 25
; NumVgprs: 29
; NumAgprs: 0
; TotalNumVgprs: 29
; ScratchSize: 0
; MemoryBound: 0
; FloatMode: 240
; IeeeMode: 1
; LDSByteSize: 0 bytes/workgroup (compile time only)
; SGPRBlocks: 3
; VGPRBlocks: 3
; NumSGPRsForWavesPerEU: 25
; NumVGPRsForWavesPerEU: 29
; AccumOffset: 32
; Occupancy: 8
; WaveLimiterHint : 0
; COMPUTE_PGM_RSRC2:SCRATCH_EN: 0
; COMPUTE_PGM_RSRC2:USER_SGPR: 2
; COMPUTE_PGM_RSRC2:TRAP_HANDLER: 0
; COMPUTE_PGM_RSRC2:TGID_X_EN: 1
; COMPUTE_PGM_RSRC2:TGID_Y_EN: 0
; COMPUTE_PGM_RSRC2:TGID_Z_EN: 0
; COMPUTE_PGM_RSRC2:TIDIG_COMP_CNT: 0
; COMPUTE_PGM_RSRC3_GFX90A:ACCUM_OFFSET: 7
; COMPUTE_PGM_RSRC3_GFX90A:TG_SPLIT: 0
	.section	.text._ZN2at6native29vectorized_elementwise_kernelILi4EZZZNS0_16sqrt_kernel_cudaERNS_18TensorIteratorBaseEENKUlvE0_clEvENKUlvE1_clEvEUlN3c104HalfEE_St5arrayIPcLm2EEEEviT0_T1_,"axG",@progbits,_ZN2at6native29vectorized_elementwise_kernelILi4EZZZNS0_16sqrt_kernel_cudaERNS_18TensorIteratorBaseEENKUlvE0_clEvENKUlvE1_clEvEUlN3c104HalfEE_St5arrayIPcLm2EEEEviT0_T1_,comdat
	.globl	_ZN2at6native29vectorized_elementwise_kernelILi4EZZZNS0_16sqrt_kernel_cudaERNS_18TensorIteratorBaseEENKUlvE0_clEvENKUlvE1_clEvEUlN3c104HalfEE_St5arrayIPcLm2EEEEviT0_T1_ ; -- Begin function _ZN2at6native29vectorized_elementwise_kernelILi4EZZZNS0_16sqrt_kernel_cudaERNS_18TensorIteratorBaseEENKUlvE0_clEvENKUlvE1_clEvEUlN3c104HalfEE_St5arrayIPcLm2EEEEviT0_T1_
	.p2align	8
	.type	_ZN2at6native29vectorized_elementwise_kernelILi4EZZZNS0_16sqrt_kernel_cudaERNS_18TensorIteratorBaseEENKUlvE0_clEvENKUlvE1_clEvEUlN3c104HalfEE_St5arrayIPcLm2EEEEviT0_T1_,@function
_ZN2at6native29vectorized_elementwise_kernelILi4EZZZNS0_16sqrt_kernel_cudaERNS_18TensorIteratorBaseEENKUlvE0_clEvENKUlvE1_clEvEUlN3c104HalfEE_St5arrayIPcLm2EEEEviT0_T1_: ; @_ZN2at6native29vectorized_elementwise_kernelILi4EZZZNS0_16sqrt_kernel_cudaERNS_18TensorIteratorBaseEENKUlvE0_clEvENKUlvE1_clEvEUlN3c104HalfEE_St5arrayIPcLm2EEEEviT0_T1_
; %bb.0:
	s_load_dword s3, s[0:1], 0x0
	s_load_dwordx4 s[12:15], s[0:1], 0x8
	s_lshl_b32 s10, s2, 11
	s_mov_b64 s[0:1], -1
	s_waitcnt lgkmcnt(0)
	s_sub_i32 s18, s3, s10
	s_cmpk_gt_i32 s18, 0x7ff
	s_cbranch_scc0 .LBB260_2
; %bb.1:
	s_ashr_i32 s11, s10, 31
	s_lshl_b64 s[16:17], s[10:11], 1
	s_add_u32 s0, s14, s16
	s_addc_u32 s1, s15, s17
	v_lshlrev_b32_e32 v1, 3, v0
	global_load_dwordx2 v[2:3], v1, s[0:1]
	global_load_dwordx2 v[4:5], v1, s[0:1] offset:2048
	s_mov_b32 s11, 0xf800000
	v_mov_b32_e32 v6, 0x260
	s_waitcnt vmcnt(1)
	v_cvt_f32_f16_e32 v7, v2
	v_cvt_f32_f16_sdwa v2, v2 dst_sel:DWORD dst_unused:UNUSED_PAD src0_sel:WORD_1
	v_cvt_f32_f16_e32 v8, v3
	v_cvt_f32_f16_sdwa v3, v3 dst_sel:DWORD dst_unused:UNUSED_PAD src0_sel:WORD_1
	s_waitcnt vmcnt(0)
	v_cvt_f32_f16_e32 v9, v4
	v_mul_f32_e32 v11, 0x4f800000, v7
	v_cmp_gt_f32_e32 vcc, s11, v7
	v_mul_f32_e32 v12, 0x4f800000, v2
	v_cmp_gt_f32_e64 s[0:1], s11, v2
	v_cndmask_b32_e32 v7, v7, v11, vcc
	v_mul_f32_e32 v13, 0x4f800000, v8
	v_cndmask_b32_e64 v2, v2, v12, s[0:1]
	v_cmp_gt_f32_e64 s[2:3], s11, v8
	v_rsq_f32_e32 v11, v7
	v_mul_f32_e32 v14, 0x4f800000, v3
	v_cndmask_b32_e64 v8, v8, v13, s[2:3]
	v_cmp_gt_f32_e64 s[4:5], s11, v3
	v_rsq_f32_e32 v12, v2
	;; [unrolled: 4-line block ×3, first 2 shown]
	v_rsq_f32_e32 v14, v3
	v_cndmask_b32_e64 v9, v9, v15, s[6:7]
	v_cvt_f32_f16_sdwa v4, v4 dst_sel:DWORD dst_unused:UNUSED_PAD src0_sel:WORD_1
	v_rsq_f32_e32 v15, v9
	v_mul_f32_e32 v17, v7, v11
	v_mul_f32_e32 v11, 0.5, v11
	v_mul_f32_e32 v18, v2, v12
	v_mul_f32_e32 v12, 0.5, v12
	v_fma_f32 v23, -v11, v17, 0.5
	v_mul_f32_e32 v19, v8, v13
	v_mul_f32_e32 v13, 0.5, v13
	v_fma_f32 v24, -v12, v18, 0.5
	v_fmac_f32_e32 v17, v17, v23
	v_mul_f32_e32 v20, v3, v14
	v_mul_f32_e32 v14, 0.5, v14
	v_fma_f32 v25, -v13, v19, 0.5
	v_fmac_f32_e32 v11, v11, v23
	v_fmac_f32_e32 v18, v18, v24
	v_fma_f32 v23, -v17, v17, v7
	v_mul_f32_e32 v16, 0x4f800000, v4
	v_cmp_gt_f32_e64 s[8:9], s11, v4
	v_mul_f32_e32 v21, v9, v15
	v_mul_f32_e32 v15, 0.5, v15
	v_fma_f32 v26, -v14, v20, 0.5
	v_fmac_f32_e32 v12, v12, v24
	v_fmac_f32_e32 v19, v19, v25
	v_fma_f32 v24, -v18, v18, v2
	v_fmac_f32_e32 v17, v23, v11
	v_cndmask_b32_e64 v4, v4, v16, s[8:9]
	v_fma_f32 v27, -v15, v21, 0.5
	v_fmac_f32_e32 v13, v13, v25
	v_fmac_f32_e32 v20, v20, v26
	v_fma_f32 v25, -v19, v19, v8
	v_fmac_f32_e32 v18, v24, v12
	v_mul_f32_e32 v11, 0x37800000, v17
	v_rsq_f32_e32 v16, v4
	v_fmac_f32_e32 v14, v14, v26
	v_fmac_f32_e32 v21, v21, v27
	v_fma_f32 v26, -v20, v20, v3
	v_fmac_f32_e32 v19, v25, v13
	v_mul_f32_e32 v12, 0x37800000, v18
	v_cndmask_b32_e32 v11, v17, v11, vcc
	v_cmp_class_f32_e32 vcc, v7, v6
	v_cvt_f32_f16_e32 v10, v5
	v_fmac_f32_e32 v15, v15, v27
	v_fma_f32 v27, -v21, v21, v9
	v_fmac_f32_e32 v20, v26, v14
	v_mul_f32_e32 v13, 0x37800000, v19
	v_cndmask_b32_e64 v12, v18, v12, s[0:1]
	v_cndmask_b32_e32 v7, v11, v7, vcc
	v_cmp_class_f32_e32 vcc, v2, v6
	v_fmac_f32_e32 v21, v27, v15
	v_mul_f32_e32 v14, 0x37800000, v20
	v_cndmask_b32_e64 v13, v19, v13, s[2:3]
	v_cndmask_b32_e32 v2, v12, v2, vcc
	v_cmp_class_f32_e32 vcc, v8, v6
	v_mul_f32_e32 v15, 0x37800000, v21
	v_cndmask_b32_e64 v14, v20, v14, s[4:5]
	v_cndmask_b32_e32 v8, v13, v8, vcc
	v_cmp_class_f32_e32 vcc, v3, v6
	v_mul_f32_e32 v22, v4, v16
	v_mul_f32_e32 v16, 0.5, v16
	v_cndmask_b32_e64 v15, v21, v15, s[6:7]
	v_cndmask_b32_e32 v3, v14, v3, vcc
	v_cmp_class_f32_e32 vcc, v9, v6
	v_fma_f32 v28, -v16, v22, 0.5
	v_mul_f32_e32 v12, 0x4f800000, v10
	v_cndmask_b32_e32 v9, v15, v9, vcc
	v_cmp_gt_f32_e32 vcc, s11, v10
	v_fmac_f32_e32 v22, v22, v28
	v_fmac_f32_e32 v16, v16, v28
	v_cndmask_b32_e32 v10, v10, v12, vcc
	v_fma_f32 v28, -v22, v22, v4
	v_rsq_f32_e32 v12, v10
	v_fmac_f32_e32 v22, v28, v16
	v_mul_f32_e32 v11, 0x37800000, v22
	v_cvt_f32_f16_sdwa v5, v5 dst_sel:DWORD dst_unused:UNUSED_PAD src0_sel:WORD_1
	v_cndmask_b32_e64 v11, v22, v11, s[8:9]
	v_cmp_class_f32_e64 s[0:1], v4, v6
	v_cvt_pk_f16_f32 v3, v8, v3
	v_cvt_pk_f16_f32 v2, v7, v2
	v_cndmask_b32_e64 v4, v11, v4, s[0:1]
	v_mul_f32_e32 v11, v10, v12
	v_mul_f32_e32 v12, 0.5, v12
	v_fma_f32 v13, -v12, v11, 0.5
	v_fmac_f32_e32 v11, v11, v13
	v_fmac_f32_e32 v12, v12, v13
	v_mul_f32_e32 v13, 0x4f800000, v5
	v_cmp_gt_f32_e64 s[0:1], s11, v5
	v_fma_f32 v14, -v11, v11, v10
	v_fmac_f32_e32 v11, v14, v12
	v_cndmask_b32_e64 v5, v5, v13, s[0:1]
	v_rsq_f32_e32 v13, v5
	v_mul_f32_e32 v12, 0x37800000, v11
	v_cndmask_b32_e32 v11, v11, v12, vcc
	v_cmp_class_f32_e32 vcc, v10, v6
	v_mul_f32_e32 v12, 0.5, v13
	s_nop 0
	v_cndmask_b32_e32 v10, v11, v10, vcc
	v_mul_f32_e32 v11, v5, v13
	v_fma_f32 v13, -v12, v11, 0.5
	v_fmac_f32_e32 v11, v11, v13
	v_fma_f32 v14, -v11, v11, v5
	v_fmac_f32_e32 v12, v12, v13
	v_fmac_f32_e32 v11, v14, v12
	v_mul_f32_e32 v12, 0x37800000, v11
	v_cndmask_b32_e64 v11, v11, v12, s[0:1]
	v_cmp_class_f32_e32 vcc, v5, v6
	s_add_u32 s0, s12, s16
	s_addc_u32 s1, s13, s17
	v_cndmask_b32_e32 v5, v11, v5, vcc
	global_store_dwordx2 v1, v[2:3], s[0:1]
	v_cvt_pk_f16_f32 v3, v10, v5
	v_cvt_pk_f16_f32 v2, v9, v4
	global_store_dwordx2 v1, v[2:3], s[0:1] offset:2048
	s_mov_b64 s[0:1], 0
.LBB260_2:
	s_andn2_b64 vcc, exec, s[0:1]
	s_cbranch_vccnz .LBB260_26
; %bb.3:
	v_cmp_gt_i32_e32 vcc, s18, v0
	v_mov_b32_e32 v1, 0
	v_or_b32_e32 v2, s10, v0
	v_mov_b32_e32 v4, 0
	v_mov_b32_e32 v3, v0
	s_and_saveexec_b64 s[2:3], vcc
	s_cbranch_execz .LBB260_5
; %bb.4:
	v_mov_b32_e32 v3, 0
	v_lshl_add_u64 v[4:5], v[2:3], 1, s[14:15]
	global_load_ushort v3, v[4:5], off
	s_mov_b32 s0, 0xf800000
	v_mov_b32_e32 v5, 0x260
	s_waitcnt vmcnt(0)
	v_cvt_f32_f16_e32 v3, v3
	v_mul_f32_e32 v4, 0x4f800000, v3
	v_cmp_gt_f32_e64 s[0:1], s0, v3
	s_nop 1
	v_cndmask_b32_e64 v3, v3, v4, s[0:1]
	v_rsq_f32_e32 v4, v3
	s_nop 0
	v_mul_f32_e32 v6, v3, v4
	v_mul_f32_e32 v4, 0.5, v4
	v_fma_f32 v7, -v4, v6, 0.5
	v_fmac_f32_e32 v6, v6, v7
	v_fmac_f32_e32 v4, v4, v7
	v_fma_f32 v7, -v6, v6, v3
	v_fmac_f32_e32 v6, v7, v4
	v_mul_f32_e32 v4, 0x37800000, v6
	v_cndmask_b32_e64 v4, v6, v4, s[0:1]
	v_cmp_class_f32_e64 s[0:1], v3, v5
	s_nop 1
	v_cndmask_b32_e64 v3, v4, v3, s[0:1]
	v_cvt_f16_f32_e32 v4, v3
	v_or_b32_e32 v3, 0x100, v0
.LBB260_5:
	s_or_b64 exec, exec, s[2:3]
	v_cmp_gt_i32_e64 s[0:1], s18, v3
	s_and_saveexec_b64 s[2:3], s[0:1]
	s_cbranch_execz .LBB260_7
; %bb.6:
	v_add_u32_e32 v6, s10, v3
	v_mov_b32_e32 v7, 0
	v_lshl_add_u64 v[6:7], v[6:7], 1, s[14:15]
	global_load_ushort v1, v[6:7], off
	s_mov_b32 s0, 0xf800000
	v_mov_b32_e32 v6, 0x260
	v_add_u32_e32 v3, 0x100, v3
	s_waitcnt vmcnt(0)
	v_cvt_f32_f16_e32 v1, v1
	v_mul_f32_e32 v5, 0x4f800000, v1
	v_cmp_gt_f32_e64 s[0:1], s0, v1
	s_nop 1
	v_cndmask_b32_e64 v1, v1, v5, s[0:1]
	v_rsq_f32_e32 v5, v1
	s_nop 0
	v_mul_f32_e32 v7, v1, v5
	v_mul_f32_e32 v5, 0.5, v5
	v_fma_f32 v8, -v5, v7, 0.5
	v_fmac_f32_e32 v7, v7, v8
	v_fmac_f32_e32 v5, v5, v8
	v_fma_f32 v8, -v7, v7, v1
	v_fmac_f32_e32 v7, v8, v5
	v_mul_f32_e32 v5, 0x37800000, v7
	v_cndmask_b32_e64 v5, v7, v5, s[0:1]
	v_cmp_class_f32_e64 s[0:1], v1, v6
	s_nop 1
	v_cndmask_b32_e64 v1, v5, v1, s[0:1]
	v_cvt_f16_f32_e32 v1, v1
.LBB260_7:
	s_or_b64 exec, exec, s[2:3]
	v_cmp_gt_i32_e64 s[0:1], s18, v3
	v_mov_b32_e32 v5, 0
	v_mov_b32_e32 v6, 0
	s_and_saveexec_b64 s[2:3], s[0:1]
	s_cbranch_execz .LBB260_9
; %bb.8:
	v_add_u32_e32 v6, s10, v3
	v_mov_b32_e32 v7, 0
	v_lshl_add_u64 v[6:7], v[6:7], 1, s[14:15]
	global_load_ushort v6, v[6:7], off
	s_mov_b32 s0, 0xf800000
	v_mov_b32_e32 v8, 0x260
	v_add_u32_e32 v3, 0x100, v3
	s_waitcnt vmcnt(0)
	v_cvt_f32_f16_e32 v6, v6
	v_mul_f32_e32 v7, 0x4f800000, v6
	v_cmp_gt_f32_e64 s[0:1], s0, v6
	s_nop 1
	v_cndmask_b32_e64 v6, v6, v7, s[0:1]
	v_rsq_f32_e32 v7, v6
	s_nop 0
	v_mul_f32_e32 v9, v6, v7
	v_mul_f32_e32 v7, 0.5, v7
	v_fma_f32 v10, -v7, v9, 0.5
	v_fmac_f32_e32 v9, v9, v10
	v_fmac_f32_e32 v7, v7, v10
	v_fma_f32 v10, -v9, v9, v6
	v_fmac_f32_e32 v9, v10, v7
	v_mul_f32_e32 v7, 0x37800000, v9
	v_cndmask_b32_e64 v7, v9, v7, s[0:1]
	v_cmp_class_f32_e64 s[0:1], v6, v8
	s_nop 1
	v_cndmask_b32_e64 v6, v7, v6, s[0:1]
	v_cvt_f16_f32_e32 v6, v6
.LBB260_9:
	s_or_b64 exec, exec, s[2:3]
	v_cmp_gt_i32_e64 s[0:1], s18, v3
	s_and_saveexec_b64 s[2:3], s[0:1]
	s_cbranch_execz .LBB260_11
; %bb.10:
	v_add_u32_e32 v8, s10, v3
	v_mov_b32_e32 v9, 0
	v_lshl_add_u64 v[8:9], v[8:9], 1, s[14:15]
	global_load_ushort v5, v[8:9], off
	s_mov_b32 s0, 0xf800000
	v_mov_b32_e32 v8, 0x260
	v_add_u32_e32 v3, 0x100, v3
	s_waitcnt vmcnt(0)
	v_cvt_f32_f16_e32 v5, v5
	v_mul_f32_e32 v7, 0x4f800000, v5
	v_cmp_gt_f32_e64 s[0:1], s0, v5
	s_nop 1
	v_cndmask_b32_e64 v5, v5, v7, s[0:1]
	v_rsq_f32_e32 v7, v5
	s_nop 0
	v_mul_f32_e32 v9, v5, v7
	v_mul_f32_e32 v7, 0.5, v7
	v_fma_f32 v10, -v7, v9, 0.5
	v_fmac_f32_e32 v9, v9, v10
	v_fmac_f32_e32 v7, v7, v10
	v_fma_f32 v10, -v9, v9, v5
	v_fmac_f32_e32 v9, v10, v7
	v_mul_f32_e32 v7, 0x37800000, v9
	v_cndmask_b32_e64 v7, v9, v7, s[0:1]
	v_cmp_class_f32_e64 s[0:1], v5, v8
	s_nop 1
	v_cndmask_b32_e64 v5, v7, v5, s[0:1]
	v_cvt_f16_f32_e32 v5, v5
.LBB260_11:
	s_or_b64 exec, exec, s[2:3]
	v_cmp_gt_i32_e64 s[0:1], s18, v3
	v_mov_b32_e32 v7, 0
	v_mov_b32_e32 v8, 0
	s_and_saveexec_b64 s[2:3], s[0:1]
	s_cbranch_execz .LBB260_13
; %bb.12:
	v_add_u32_e32 v8, s10, v3
	v_mov_b32_e32 v9, 0
	v_lshl_add_u64 v[8:9], v[8:9], 1, s[14:15]
	global_load_ushort v8, v[8:9], off
	s_mov_b32 s0, 0xf800000
	v_mov_b32_e32 v10, 0x260
	v_add_u32_e32 v3, 0x100, v3
	s_waitcnt vmcnt(0)
	v_cvt_f32_f16_e32 v8, v8
	v_mul_f32_e32 v9, 0x4f800000, v8
	v_cmp_gt_f32_e64 s[0:1], s0, v8
	s_nop 1
	v_cndmask_b32_e64 v8, v8, v9, s[0:1]
	v_rsq_f32_e32 v9, v8
	s_nop 0
	v_mul_f32_e32 v11, v8, v9
	v_mul_f32_e32 v9, 0.5, v9
	v_fma_f32 v12, -v9, v11, 0.5
	v_fmac_f32_e32 v11, v11, v12
	v_fmac_f32_e32 v9, v9, v12
	v_fma_f32 v12, -v11, v11, v8
	v_fmac_f32_e32 v11, v12, v9
	v_mul_f32_e32 v9, 0x37800000, v11
	v_cndmask_b32_e64 v9, v11, v9, s[0:1]
	v_cmp_class_f32_e64 s[0:1], v8, v10
	s_nop 1
	v_cndmask_b32_e64 v8, v9, v8, s[0:1]
	v_cvt_f16_f32_e32 v8, v8
.LBB260_13:
	s_or_b64 exec, exec, s[2:3]
	v_cmp_gt_i32_e64 s[0:1], s18, v3
	s_and_saveexec_b64 s[2:3], s[0:1]
	s_cbranch_execz .LBB260_15
; %bb.14:
	v_add_u32_e32 v10, s10, v3
	v_mov_b32_e32 v11, 0
	v_lshl_add_u64 v[10:11], v[10:11], 1, s[14:15]
	global_load_ushort v7, v[10:11], off
	s_mov_b32 s0, 0xf800000
	v_mov_b32_e32 v10, 0x260
	v_add_u32_e32 v3, 0x100, v3
	s_waitcnt vmcnt(0)
	v_cvt_f32_f16_e32 v7, v7
	v_mul_f32_e32 v9, 0x4f800000, v7
	v_cmp_gt_f32_e64 s[0:1], s0, v7
	s_nop 1
	v_cndmask_b32_e64 v7, v7, v9, s[0:1]
	v_rsq_f32_e32 v9, v7
	s_nop 0
	v_mul_f32_e32 v11, v7, v9
	v_mul_f32_e32 v9, 0.5, v9
	v_fma_f32 v12, -v9, v11, 0.5
	v_fmac_f32_e32 v11, v11, v12
	v_fmac_f32_e32 v9, v9, v12
	v_fma_f32 v12, -v11, v11, v7
	v_fmac_f32_e32 v11, v12, v9
	v_mul_f32_e32 v9, 0x37800000, v11
	v_cndmask_b32_e64 v9, v11, v9, s[0:1]
	v_cmp_class_f32_e64 s[0:1], v7, v10
	s_nop 1
	v_cndmask_b32_e64 v7, v9, v7, s[0:1]
	v_cvt_f16_f32_e32 v7, v7
.LBB260_15:
	s_or_b64 exec, exec, s[2:3]
	v_cmp_gt_i32_e64 s[0:1], s18, v3
	v_mov_b32_e32 v9, 0
	v_mov_b32_e32 v10, 0
	s_and_saveexec_b64 s[2:3], s[0:1]
	s_cbranch_execnz .LBB260_27
; %bb.16:
	s_or_b64 exec, exec, s[2:3]
	v_cmp_gt_i32_e64 s[0:1], s18, v3
	s_and_saveexec_b64 s[2:3], s[0:1]
	s_cbranch_execnz .LBB260_28
.LBB260_17:
	s_or_b64 exec, exec, s[2:3]
	s_and_saveexec_b64 s[0:1], vcc
	s_cbranch_execnz .LBB260_29
.LBB260_18:
	s_or_b64 exec, exec, s[0:1]
	v_cmp_gt_i32_e32 vcc, s18, v0
	s_and_saveexec_b64 s[0:1], vcc
	s_cbranch_execnz .LBB260_30
.LBB260_19:
	s_or_b64 exec, exec, s[0:1]
	v_cmp_gt_i32_e32 vcc, s18, v0
	s_and_saveexec_b64 s[0:1], vcc
	s_cbranch_execnz .LBB260_31
.LBB260_20:
	s_or_b64 exec, exec, s[0:1]
	v_cmp_gt_i32_e32 vcc, s18, v0
	s_and_saveexec_b64 s[0:1], vcc
	s_cbranch_execnz .LBB260_32
.LBB260_21:
	s_or_b64 exec, exec, s[0:1]
	v_cmp_gt_i32_e32 vcc, s18, v0
	s_and_saveexec_b64 s[0:1], vcc
	s_cbranch_execnz .LBB260_33
.LBB260_22:
	s_or_b64 exec, exec, s[0:1]
	v_cmp_gt_i32_e32 vcc, s18, v0
	s_and_saveexec_b64 s[0:1], vcc
	s_cbranch_execnz .LBB260_34
.LBB260_23:
	s_or_b64 exec, exec, s[0:1]
	v_cmp_gt_i32_e32 vcc, s18, v0
	s_and_saveexec_b64 s[0:1], vcc
	s_cbranch_execnz .LBB260_35
.LBB260_24:
	s_or_b64 exec, exec, s[0:1]
	v_cmp_gt_i32_e32 vcc, s18, v0
	s_and_saveexec_b64 s[0:1], vcc
	s_cbranch_execz .LBB260_26
.LBB260_25:
	v_add_u32_e32 v0, s10, v0
	v_mov_b32_e32 v1, 0
	v_lshl_add_u64 v[0:1], v[0:1], 1, s[12:13]
	global_store_short v[0:1], v9, off
.LBB260_26:
	s_endpgm
.LBB260_27:
	v_add_u32_e32 v10, s10, v3
	v_mov_b32_e32 v11, 0
	v_lshl_add_u64 v[10:11], v[10:11], 1, s[14:15]
	global_load_ushort v10, v[10:11], off
	s_mov_b32 s0, 0xf800000
	v_mov_b32_e32 v12, 0x260
	v_add_u32_e32 v3, 0x100, v3
	s_waitcnt vmcnt(0)
	v_cvt_f32_f16_e32 v10, v10
	v_mul_f32_e32 v11, 0x4f800000, v10
	v_cmp_gt_f32_e64 s[0:1], s0, v10
	s_nop 1
	v_cndmask_b32_e64 v10, v10, v11, s[0:1]
	v_rsq_f32_e32 v11, v10
	s_nop 0
	v_mul_f32_e32 v13, v10, v11
	v_mul_f32_e32 v11, 0.5, v11
	v_fma_f32 v14, -v11, v13, 0.5
	v_fmac_f32_e32 v13, v13, v14
	v_fmac_f32_e32 v11, v11, v14
	v_fma_f32 v14, -v13, v13, v10
	v_fmac_f32_e32 v13, v14, v11
	v_mul_f32_e32 v11, 0x37800000, v13
	v_cndmask_b32_e64 v11, v13, v11, s[0:1]
	v_cmp_class_f32_e64 s[0:1], v10, v12
	s_nop 1
	v_cndmask_b32_e64 v10, v11, v10, s[0:1]
	v_cvt_f16_f32_e32 v10, v10
	s_or_b64 exec, exec, s[2:3]
	v_cmp_gt_i32_e64 s[0:1], s18, v3
	s_and_saveexec_b64 s[2:3], s[0:1]
	s_cbranch_execz .LBB260_17
.LBB260_28:
	v_add_u32_e32 v12, s10, v3
	v_mov_b32_e32 v13, 0
	v_lshl_add_u64 v[12:13], v[12:13], 1, s[14:15]
	global_load_ushort v3, v[12:13], off
	s_mov_b32 s0, 0xf800000
	v_mov_b32_e32 v11, 0x260
	s_waitcnt vmcnt(0)
	v_cvt_f32_f16_e32 v3, v3
	v_mul_f32_e32 v9, 0x4f800000, v3
	v_cmp_gt_f32_e64 s[0:1], s0, v3
	s_nop 1
	v_cndmask_b32_e64 v3, v3, v9, s[0:1]
	v_rsq_f32_e32 v9, v3
	s_nop 0
	v_mul_f32_e32 v12, v3, v9
	v_mul_f32_e32 v9, 0.5, v9
	v_fma_f32 v13, -v9, v12, 0.5
	v_fmac_f32_e32 v12, v12, v13
	v_fmac_f32_e32 v9, v9, v13
	v_fma_f32 v13, -v12, v12, v3
	v_fmac_f32_e32 v12, v13, v9
	v_mul_f32_e32 v9, 0x37800000, v12
	v_cndmask_b32_e64 v9, v12, v9, s[0:1]
	v_cmp_class_f32_e64 s[0:1], v3, v11
	s_nop 1
	v_cndmask_b32_e64 v3, v9, v3, s[0:1]
	v_cvt_f16_f32_e32 v9, v3
	s_or_b64 exec, exec, s[2:3]
	s_and_saveexec_b64 s[0:1], vcc
	s_cbranch_execz .LBB260_18
.LBB260_29:
	v_mov_b32_e32 v3, 0
	v_or_b32_e32 v0, 0x100, v0
	v_lshl_add_u64 v[2:3], v[2:3], 1, s[12:13]
	global_store_short v[2:3], v4, off
	s_or_b64 exec, exec, s[0:1]
	v_cmp_gt_i32_e32 vcc, s18, v0
	s_and_saveexec_b64 s[0:1], vcc
	s_cbranch_execz .LBB260_19
.LBB260_30:
	v_add_u32_e32 v2, s10, v0
	v_mov_b32_e32 v3, 0
	v_lshl_add_u64 v[2:3], v[2:3], 1, s[12:13]
	v_add_u32_e32 v0, 0x100, v0
	global_store_short v[2:3], v1, off
	s_or_b64 exec, exec, s[0:1]
	v_cmp_gt_i32_e32 vcc, s18, v0
	s_and_saveexec_b64 s[0:1], vcc
	s_cbranch_execz .LBB260_20
.LBB260_31:
	v_add_u32_e32 v2, s10, v0
	v_mov_b32_e32 v3, 0
	v_lshl_add_u64 v[2:3], v[2:3], 1, s[12:13]
	v_add_u32_e32 v0, 0x100, v0
	global_store_short v[2:3], v6, off
	s_or_b64 exec, exec, s[0:1]
	v_cmp_gt_i32_e32 vcc, s18, v0
	s_and_saveexec_b64 s[0:1], vcc
	s_cbranch_execz .LBB260_21
.LBB260_32:
	v_add_u32_e32 v2, s10, v0
	v_mov_b32_e32 v3, 0
	v_lshl_add_u64 v[2:3], v[2:3], 1, s[12:13]
	v_add_u32_e32 v0, 0x100, v0
	global_store_short v[2:3], v5, off
	s_or_b64 exec, exec, s[0:1]
	v_cmp_gt_i32_e32 vcc, s18, v0
	s_and_saveexec_b64 s[0:1], vcc
	s_cbranch_execz .LBB260_22
.LBB260_33:
	v_add_u32_e32 v2, s10, v0
	v_mov_b32_e32 v3, 0
	v_lshl_add_u64 v[2:3], v[2:3], 1, s[12:13]
	v_add_u32_e32 v0, 0x100, v0
	global_store_short v[2:3], v8, off
	s_or_b64 exec, exec, s[0:1]
	v_cmp_gt_i32_e32 vcc, s18, v0
	s_and_saveexec_b64 s[0:1], vcc
	s_cbranch_execz .LBB260_23
.LBB260_34:
	v_add_u32_e32 v2, s10, v0
	v_mov_b32_e32 v3, 0
	v_lshl_add_u64 v[2:3], v[2:3], 1, s[12:13]
	v_add_u32_e32 v0, 0x100, v0
	global_store_short v[2:3], v7, off
	s_or_b64 exec, exec, s[0:1]
	v_cmp_gt_i32_e32 vcc, s18, v0
	s_and_saveexec_b64 s[0:1], vcc
	s_cbranch_execz .LBB260_24
.LBB260_35:
	v_add_u32_e32 v2, s10, v0
	v_mov_b32_e32 v3, 0
	v_lshl_add_u64 v[2:3], v[2:3], 1, s[12:13]
	v_add_u32_e32 v0, 0x100, v0
	global_store_short v[2:3], v10, off
	s_or_b64 exec, exec, s[0:1]
	v_cmp_gt_i32_e32 vcc, s18, v0
	s_and_saveexec_b64 s[0:1], vcc
	s_cbranch_execnz .LBB260_25
	s_branch .LBB260_26
	.section	.rodata,"a",@progbits
	.p2align	6, 0x0
	.amdhsa_kernel _ZN2at6native29vectorized_elementwise_kernelILi4EZZZNS0_16sqrt_kernel_cudaERNS_18TensorIteratorBaseEENKUlvE0_clEvENKUlvE1_clEvEUlN3c104HalfEE_St5arrayIPcLm2EEEEviT0_T1_
		.amdhsa_group_segment_fixed_size 0
		.amdhsa_private_segment_fixed_size 0
		.amdhsa_kernarg_size 24
		.amdhsa_user_sgpr_count 2
		.amdhsa_user_sgpr_dispatch_ptr 0
		.amdhsa_user_sgpr_queue_ptr 0
		.amdhsa_user_sgpr_kernarg_segment_ptr 1
		.amdhsa_user_sgpr_dispatch_id 0
		.amdhsa_user_sgpr_kernarg_preload_length 0
		.amdhsa_user_sgpr_kernarg_preload_offset 0
		.amdhsa_user_sgpr_private_segment_size 0
		.amdhsa_uses_dynamic_stack 0
		.amdhsa_enable_private_segment 0
		.amdhsa_system_sgpr_workgroup_id_x 1
		.amdhsa_system_sgpr_workgroup_id_y 0
		.amdhsa_system_sgpr_workgroup_id_z 0
		.amdhsa_system_sgpr_workgroup_info 0
		.amdhsa_system_vgpr_workitem_id 0
		.amdhsa_next_free_vgpr 29
		.amdhsa_next_free_sgpr 19
		.amdhsa_accum_offset 32
		.amdhsa_reserve_vcc 1
		.amdhsa_float_round_mode_32 0
		.amdhsa_float_round_mode_16_64 0
		.amdhsa_float_denorm_mode_32 3
		.amdhsa_float_denorm_mode_16_64 3
		.amdhsa_dx10_clamp 1
		.amdhsa_ieee_mode 1
		.amdhsa_fp16_overflow 0
		.amdhsa_tg_split 0
		.amdhsa_exception_fp_ieee_invalid_op 0
		.amdhsa_exception_fp_denorm_src 0
		.amdhsa_exception_fp_ieee_div_zero 0
		.amdhsa_exception_fp_ieee_overflow 0
		.amdhsa_exception_fp_ieee_underflow 0
		.amdhsa_exception_fp_ieee_inexact 0
		.amdhsa_exception_int_div_zero 0
	.end_amdhsa_kernel
	.section	.text._ZN2at6native29vectorized_elementwise_kernelILi4EZZZNS0_16sqrt_kernel_cudaERNS_18TensorIteratorBaseEENKUlvE0_clEvENKUlvE1_clEvEUlN3c104HalfEE_St5arrayIPcLm2EEEEviT0_T1_,"axG",@progbits,_ZN2at6native29vectorized_elementwise_kernelILi4EZZZNS0_16sqrt_kernel_cudaERNS_18TensorIteratorBaseEENKUlvE0_clEvENKUlvE1_clEvEUlN3c104HalfEE_St5arrayIPcLm2EEEEviT0_T1_,comdat
.Lfunc_end260:
	.size	_ZN2at6native29vectorized_elementwise_kernelILi4EZZZNS0_16sqrt_kernel_cudaERNS_18TensorIteratorBaseEENKUlvE0_clEvENKUlvE1_clEvEUlN3c104HalfEE_St5arrayIPcLm2EEEEviT0_T1_, .Lfunc_end260-_ZN2at6native29vectorized_elementwise_kernelILi4EZZZNS0_16sqrt_kernel_cudaERNS_18TensorIteratorBaseEENKUlvE0_clEvENKUlvE1_clEvEUlN3c104HalfEE_St5arrayIPcLm2EEEEviT0_T1_
                                        ; -- End function
	.set _ZN2at6native29vectorized_elementwise_kernelILi4EZZZNS0_16sqrt_kernel_cudaERNS_18TensorIteratorBaseEENKUlvE0_clEvENKUlvE1_clEvEUlN3c104HalfEE_St5arrayIPcLm2EEEEviT0_T1_.num_vgpr, 29
	.set _ZN2at6native29vectorized_elementwise_kernelILi4EZZZNS0_16sqrt_kernel_cudaERNS_18TensorIteratorBaseEENKUlvE0_clEvENKUlvE1_clEvEUlN3c104HalfEE_St5arrayIPcLm2EEEEviT0_T1_.num_agpr, 0
	.set _ZN2at6native29vectorized_elementwise_kernelILi4EZZZNS0_16sqrt_kernel_cudaERNS_18TensorIteratorBaseEENKUlvE0_clEvENKUlvE1_clEvEUlN3c104HalfEE_St5arrayIPcLm2EEEEviT0_T1_.numbered_sgpr, 19
	.set _ZN2at6native29vectorized_elementwise_kernelILi4EZZZNS0_16sqrt_kernel_cudaERNS_18TensorIteratorBaseEENKUlvE0_clEvENKUlvE1_clEvEUlN3c104HalfEE_St5arrayIPcLm2EEEEviT0_T1_.num_named_barrier, 0
	.set _ZN2at6native29vectorized_elementwise_kernelILi4EZZZNS0_16sqrt_kernel_cudaERNS_18TensorIteratorBaseEENKUlvE0_clEvENKUlvE1_clEvEUlN3c104HalfEE_St5arrayIPcLm2EEEEviT0_T1_.private_seg_size, 0
	.set _ZN2at6native29vectorized_elementwise_kernelILi4EZZZNS0_16sqrt_kernel_cudaERNS_18TensorIteratorBaseEENKUlvE0_clEvENKUlvE1_clEvEUlN3c104HalfEE_St5arrayIPcLm2EEEEviT0_T1_.uses_vcc, 1
	.set _ZN2at6native29vectorized_elementwise_kernelILi4EZZZNS0_16sqrt_kernel_cudaERNS_18TensorIteratorBaseEENKUlvE0_clEvENKUlvE1_clEvEUlN3c104HalfEE_St5arrayIPcLm2EEEEviT0_T1_.uses_flat_scratch, 0
	.set _ZN2at6native29vectorized_elementwise_kernelILi4EZZZNS0_16sqrt_kernel_cudaERNS_18TensorIteratorBaseEENKUlvE0_clEvENKUlvE1_clEvEUlN3c104HalfEE_St5arrayIPcLm2EEEEviT0_T1_.has_dyn_sized_stack, 0
	.set _ZN2at6native29vectorized_elementwise_kernelILi4EZZZNS0_16sqrt_kernel_cudaERNS_18TensorIteratorBaseEENKUlvE0_clEvENKUlvE1_clEvEUlN3c104HalfEE_St5arrayIPcLm2EEEEviT0_T1_.has_recursion, 0
	.set _ZN2at6native29vectorized_elementwise_kernelILi4EZZZNS0_16sqrt_kernel_cudaERNS_18TensorIteratorBaseEENKUlvE0_clEvENKUlvE1_clEvEUlN3c104HalfEE_St5arrayIPcLm2EEEEviT0_T1_.has_indirect_call, 0
	.section	.AMDGPU.csdata,"",@progbits
; Kernel info:
; codeLenInByte = 2952
; TotalNumSgprs: 25
; NumVgprs: 29
; NumAgprs: 0
; TotalNumVgprs: 29
; ScratchSize: 0
; MemoryBound: 0
; FloatMode: 240
; IeeeMode: 1
; LDSByteSize: 0 bytes/workgroup (compile time only)
; SGPRBlocks: 3
; VGPRBlocks: 3
; NumSGPRsForWavesPerEU: 25
; NumVGPRsForWavesPerEU: 29
; AccumOffset: 32
; Occupancy: 8
; WaveLimiterHint : 1
; COMPUTE_PGM_RSRC2:SCRATCH_EN: 0
; COMPUTE_PGM_RSRC2:USER_SGPR: 2
; COMPUTE_PGM_RSRC2:TRAP_HANDLER: 0
; COMPUTE_PGM_RSRC2:TGID_X_EN: 1
; COMPUTE_PGM_RSRC2:TGID_Y_EN: 0
; COMPUTE_PGM_RSRC2:TGID_Z_EN: 0
; COMPUTE_PGM_RSRC2:TIDIG_COMP_CNT: 0
; COMPUTE_PGM_RSRC3_GFX90A:ACCUM_OFFSET: 7
; COMPUTE_PGM_RSRC3_GFX90A:TG_SPLIT: 0
	.section	.text._ZN2at6native29vectorized_elementwise_kernelILi2EZZZNS0_16sqrt_kernel_cudaERNS_18TensorIteratorBaseEENKUlvE0_clEvENKUlvE1_clEvEUlN3c104HalfEE_St5arrayIPcLm2EEEEviT0_T1_,"axG",@progbits,_ZN2at6native29vectorized_elementwise_kernelILi2EZZZNS0_16sqrt_kernel_cudaERNS_18TensorIteratorBaseEENKUlvE0_clEvENKUlvE1_clEvEUlN3c104HalfEE_St5arrayIPcLm2EEEEviT0_T1_,comdat
	.globl	_ZN2at6native29vectorized_elementwise_kernelILi2EZZZNS0_16sqrt_kernel_cudaERNS_18TensorIteratorBaseEENKUlvE0_clEvENKUlvE1_clEvEUlN3c104HalfEE_St5arrayIPcLm2EEEEviT0_T1_ ; -- Begin function _ZN2at6native29vectorized_elementwise_kernelILi2EZZZNS0_16sqrt_kernel_cudaERNS_18TensorIteratorBaseEENKUlvE0_clEvENKUlvE1_clEvEUlN3c104HalfEE_St5arrayIPcLm2EEEEviT0_T1_
	.p2align	8
	.type	_ZN2at6native29vectorized_elementwise_kernelILi2EZZZNS0_16sqrt_kernel_cudaERNS_18TensorIteratorBaseEENKUlvE0_clEvENKUlvE1_clEvEUlN3c104HalfEE_St5arrayIPcLm2EEEEviT0_T1_,@function
_ZN2at6native29vectorized_elementwise_kernelILi2EZZZNS0_16sqrt_kernel_cudaERNS_18TensorIteratorBaseEENKUlvE0_clEvENKUlvE1_clEvEUlN3c104HalfEE_St5arrayIPcLm2EEEEviT0_T1_: ; @_ZN2at6native29vectorized_elementwise_kernelILi2EZZZNS0_16sqrt_kernel_cudaERNS_18TensorIteratorBaseEENKUlvE0_clEvENKUlvE1_clEvEUlN3c104HalfEE_St5arrayIPcLm2EEEEviT0_T1_
; %bb.0:
	s_load_dword s3, s[0:1], 0x0
	s_load_dwordx4 s[12:15], s[0:1], 0x8
	s_lshl_b32 s10, s2, 11
	s_mov_b64 s[0:1], -1
	s_waitcnt lgkmcnt(0)
	s_sub_i32 s18, s3, s10
	s_cmpk_gt_i32 s18, 0x7ff
	s_cbranch_scc0 .LBB261_2
; %bb.1:
	s_ashr_i32 s11, s10, 31
	s_lshl_b64 s[16:17], s[10:11], 1
	s_add_u32 s0, s14, s16
	s_addc_u32 s1, s15, s17
	v_lshlrev_b32_e32 v1, 2, v0
	global_load_dword v2, v1, s[0:1]
	global_load_dword v3, v1, s[0:1] offset:1024
	global_load_dword v4, v1, s[0:1] offset:2048
	;; [unrolled: 1-line block ×3, first 2 shown]
	s_mov_b32 s11, 0xf800000
	v_mov_b32_e32 v6, 0x260
	s_waitcnt vmcnt(3)
	v_cvt_f32_f16_e32 v7, v2
	v_cvt_f32_f16_sdwa v2, v2 dst_sel:DWORD dst_unused:UNUSED_PAD src0_sel:WORD_1
	s_waitcnt vmcnt(2)
	v_cvt_f32_f16_e32 v8, v3
	v_cvt_f32_f16_sdwa v3, v3 dst_sel:DWORD dst_unused:UNUSED_PAD src0_sel:WORD_1
	s_waitcnt vmcnt(1)
	v_cvt_f32_f16_e32 v9, v4
	v_mul_f32_e32 v11, 0x4f800000, v7
	v_cmp_gt_f32_e32 vcc, s11, v7
	v_mul_f32_e32 v12, 0x4f800000, v2
	v_cmp_gt_f32_e64 s[0:1], s11, v2
	v_cndmask_b32_e32 v7, v7, v11, vcc
	v_mul_f32_e32 v13, 0x4f800000, v8
	v_cndmask_b32_e64 v2, v2, v12, s[0:1]
	v_cmp_gt_f32_e64 s[2:3], s11, v8
	v_rsq_f32_e32 v11, v7
	v_mul_f32_e32 v14, 0x4f800000, v3
	v_cndmask_b32_e64 v8, v8, v13, s[2:3]
	v_cmp_gt_f32_e64 s[4:5], s11, v3
	v_rsq_f32_e32 v12, v2
	;; [unrolled: 4-line block ×3, first 2 shown]
	v_rsq_f32_e32 v14, v3
	v_cndmask_b32_e64 v9, v9, v15, s[6:7]
	v_cvt_f32_f16_sdwa v4, v4 dst_sel:DWORD dst_unused:UNUSED_PAD src0_sel:WORD_1
	v_rsq_f32_e32 v15, v9
	v_mul_f32_e32 v17, v7, v11
	v_mul_f32_e32 v11, 0.5, v11
	v_mul_f32_e32 v18, v2, v12
	v_mul_f32_e32 v12, 0.5, v12
	v_fma_f32 v23, -v11, v17, 0.5
	v_mul_f32_e32 v19, v8, v13
	v_mul_f32_e32 v13, 0.5, v13
	v_fma_f32 v24, -v12, v18, 0.5
	v_fmac_f32_e32 v17, v17, v23
	v_mul_f32_e32 v20, v3, v14
	v_mul_f32_e32 v14, 0.5, v14
	v_fma_f32 v25, -v13, v19, 0.5
	v_fmac_f32_e32 v11, v11, v23
	v_fmac_f32_e32 v18, v18, v24
	v_fma_f32 v23, -v17, v17, v7
	v_mul_f32_e32 v16, 0x4f800000, v4
	v_cmp_gt_f32_e64 s[8:9], s11, v4
	v_mul_f32_e32 v21, v9, v15
	v_mul_f32_e32 v15, 0.5, v15
	v_fma_f32 v26, -v14, v20, 0.5
	v_fmac_f32_e32 v12, v12, v24
	v_fmac_f32_e32 v19, v19, v25
	v_fma_f32 v24, -v18, v18, v2
	v_fmac_f32_e32 v17, v23, v11
	v_cndmask_b32_e64 v4, v4, v16, s[8:9]
	v_fma_f32 v27, -v15, v21, 0.5
	v_fmac_f32_e32 v13, v13, v25
	v_fmac_f32_e32 v20, v20, v26
	v_fma_f32 v25, -v19, v19, v8
	v_fmac_f32_e32 v18, v24, v12
	v_mul_f32_e32 v11, 0x37800000, v17
	v_rsq_f32_e32 v16, v4
	v_fmac_f32_e32 v14, v14, v26
	v_fmac_f32_e32 v21, v21, v27
	v_fma_f32 v26, -v20, v20, v3
	v_fmac_f32_e32 v19, v25, v13
	v_mul_f32_e32 v12, 0x37800000, v18
	v_cndmask_b32_e32 v11, v17, v11, vcc
	v_cmp_class_f32_e32 vcc, v7, v6
	s_waitcnt vmcnt(0)
	v_cvt_f32_f16_e32 v10, v5
	v_fmac_f32_e32 v15, v15, v27
	v_fma_f32 v27, -v21, v21, v9
	v_fmac_f32_e32 v20, v26, v14
	v_mul_f32_e32 v13, 0x37800000, v19
	v_cndmask_b32_e64 v12, v18, v12, s[0:1]
	v_cndmask_b32_e32 v7, v11, v7, vcc
	v_cmp_class_f32_e32 vcc, v2, v6
	v_fmac_f32_e32 v21, v27, v15
	v_mul_f32_e32 v14, 0x37800000, v20
	v_cndmask_b32_e64 v13, v19, v13, s[2:3]
	v_cndmask_b32_e32 v2, v12, v2, vcc
	v_cmp_class_f32_e32 vcc, v8, v6
	v_mul_f32_e32 v15, 0x37800000, v21
	v_cndmask_b32_e64 v14, v20, v14, s[4:5]
	v_cndmask_b32_e32 v8, v13, v8, vcc
	v_cmp_class_f32_e32 vcc, v3, v6
	v_mul_f32_e32 v22, v4, v16
	v_mul_f32_e32 v16, 0.5, v16
	v_cndmask_b32_e64 v15, v21, v15, s[6:7]
	v_cndmask_b32_e32 v3, v14, v3, vcc
	v_cmp_class_f32_e32 vcc, v9, v6
	v_fma_f32 v28, -v16, v22, 0.5
	v_mul_f32_e32 v12, 0x4f800000, v10
	v_cndmask_b32_e32 v9, v15, v9, vcc
	v_cmp_gt_f32_e32 vcc, s11, v10
	v_fmac_f32_e32 v22, v22, v28
	v_fma_f32 v29, -v22, v22, v4
	v_cndmask_b32_e32 v10, v10, v12, vcc
	v_fmac_f32_e32 v16, v16, v28
	v_rsq_f32_e32 v12, v10
	v_fmac_f32_e32 v22, v29, v16
	v_mul_f32_e32 v11, 0x37800000, v22
	v_cvt_f32_f16_sdwa v5, v5 dst_sel:DWORD dst_unused:UNUSED_PAD src0_sel:WORD_1
	v_cndmask_b32_e64 v11, v22, v11, s[8:9]
	v_cmp_class_f32_e64 s[0:1], v4, v6
	v_cvt_pk_f16_f32 v2, v7, v2
	s_nop 0
	v_cndmask_b32_e64 v4, v11, v4, s[0:1]
	v_mul_f32_e32 v11, v10, v12
	v_mul_f32_e32 v12, 0.5, v12
	v_fma_f32 v13, -v12, v11, 0.5
	v_fmac_f32_e32 v11, v11, v13
	v_fmac_f32_e32 v12, v12, v13
	v_mul_f32_e32 v13, 0x4f800000, v5
	v_cmp_gt_f32_e64 s[0:1], s11, v5
	v_fma_f32 v14, -v11, v11, v10
	v_fmac_f32_e32 v11, v14, v12
	v_cndmask_b32_e64 v5, v5, v13, s[0:1]
	v_rsq_f32_e32 v13, v5
	v_mul_f32_e32 v12, 0x37800000, v11
	v_cndmask_b32_e32 v11, v11, v12, vcc
	v_cmp_class_f32_e32 vcc, v10, v6
	v_mul_f32_e32 v12, 0.5, v13
	s_nop 0
	v_cndmask_b32_e32 v10, v11, v10, vcc
	v_mul_f32_e32 v11, v5, v13
	v_fma_f32 v13, -v12, v11, 0.5
	v_fmac_f32_e32 v11, v11, v13
	v_fma_f32 v14, -v11, v11, v5
	v_fmac_f32_e32 v12, v12, v13
	v_fmac_f32_e32 v11, v14, v12
	v_mul_f32_e32 v12, 0x37800000, v11
	v_cndmask_b32_e64 v11, v11, v12, s[0:1]
	s_add_u32 s0, s12, s16
	s_addc_u32 s1, s13, s17
	v_cmp_class_f32_e32 vcc, v5, v6
	global_store_dword v1, v2, s[0:1]
	v_cvt_pk_f16_f32 v2, v8, v3
	v_cndmask_b32_e32 v5, v11, v5, vcc
	global_store_dword v1, v2, s[0:1] offset:1024
	v_cvt_pk_f16_f32 v2, v9, v4
	global_store_dword v1, v2, s[0:1] offset:2048
	v_cvt_pk_f16_f32 v2, v10, v5
	global_store_dword v1, v2, s[0:1] offset:3072
	s_mov_b64 s[0:1], 0
.LBB261_2:
	s_andn2_b64 vcc, exec, s[0:1]
	s_cbranch_vccnz .LBB261_26
; %bb.3:
	v_cmp_gt_i32_e32 vcc, s18, v0
	v_mov_b32_e32 v1, 0
	v_or_b32_e32 v2, s10, v0
	v_mov_b32_e32 v4, 0
	v_mov_b32_e32 v3, v0
	s_and_saveexec_b64 s[2:3], vcc
	s_cbranch_execz .LBB261_5
; %bb.4:
	v_mov_b32_e32 v3, 0
	v_lshl_add_u64 v[4:5], v[2:3], 1, s[14:15]
	global_load_ushort v3, v[4:5], off
	s_mov_b32 s0, 0xf800000
	v_mov_b32_e32 v5, 0x260
	s_waitcnt vmcnt(0)
	v_cvt_f32_f16_e32 v3, v3
	v_mul_f32_e32 v4, 0x4f800000, v3
	v_cmp_gt_f32_e64 s[0:1], s0, v3
	s_nop 1
	v_cndmask_b32_e64 v3, v3, v4, s[0:1]
	v_rsq_f32_e32 v4, v3
	s_nop 0
	v_mul_f32_e32 v6, v3, v4
	v_mul_f32_e32 v4, 0.5, v4
	v_fma_f32 v7, -v4, v6, 0.5
	v_fmac_f32_e32 v6, v6, v7
	v_fmac_f32_e32 v4, v4, v7
	v_fma_f32 v7, -v6, v6, v3
	v_fmac_f32_e32 v6, v7, v4
	v_mul_f32_e32 v4, 0x37800000, v6
	v_cndmask_b32_e64 v4, v6, v4, s[0:1]
	v_cmp_class_f32_e64 s[0:1], v3, v5
	s_nop 1
	v_cndmask_b32_e64 v3, v4, v3, s[0:1]
	v_cvt_f16_f32_e32 v4, v3
	v_or_b32_e32 v3, 0x100, v0
.LBB261_5:
	s_or_b64 exec, exec, s[2:3]
	v_cmp_gt_i32_e64 s[0:1], s18, v3
	s_and_saveexec_b64 s[2:3], s[0:1]
	s_cbranch_execz .LBB261_7
; %bb.6:
	v_add_u32_e32 v6, s10, v3
	v_mov_b32_e32 v7, 0
	v_lshl_add_u64 v[6:7], v[6:7], 1, s[14:15]
	global_load_ushort v1, v[6:7], off
	s_mov_b32 s0, 0xf800000
	v_mov_b32_e32 v6, 0x260
	v_add_u32_e32 v3, 0x100, v3
	s_waitcnt vmcnt(0)
	v_cvt_f32_f16_e32 v1, v1
	v_mul_f32_e32 v5, 0x4f800000, v1
	v_cmp_gt_f32_e64 s[0:1], s0, v1
	s_nop 1
	v_cndmask_b32_e64 v1, v1, v5, s[0:1]
	v_rsq_f32_e32 v5, v1
	s_nop 0
	v_mul_f32_e32 v7, v1, v5
	v_mul_f32_e32 v5, 0.5, v5
	v_fma_f32 v8, -v5, v7, 0.5
	v_fmac_f32_e32 v7, v7, v8
	v_fmac_f32_e32 v5, v5, v8
	v_fma_f32 v8, -v7, v7, v1
	v_fmac_f32_e32 v7, v8, v5
	v_mul_f32_e32 v5, 0x37800000, v7
	v_cndmask_b32_e64 v5, v7, v5, s[0:1]
	v_cmp_class_f32_e64 s[0:1], v1, v6
	s_nop 1
	v_cndmask_b32_e64 v1, v5, v1, s[0:1]
	v_cvt_f16_f32_e32 v1, v1
.LBB261_7:
	s_or_b64 exec, exec, s[2:3]
	v_cmp_gt_i32_e64 s[0:1], s18, v3
	v_mov_b32_e32 v5, 0
	v_mov_b32_e32 v6, 0
	s_and_saveexec_b64 s[2:3], s[0:1]
	s_cbranch_execz .LBB261_9
; %bb.8:
	v_add_u32_e32 v6, s10, v3
	v_mov_b32_e32 v7, 0
	v_lshl_add_u64 v[6:7], v[6:7], 1, s[14:15]
	global_load_ushort v6, v[6:7], off
	s_mov_b32 s0, 0xf800000
	v_mov_b32_e32 v8, 0x260
	v_add_u32_e32 v3, 0x100, v3
	s_waitcnt vmcnt(0)
	v_cvt_f32_f16_e32 v6, v6
	v_mul_f32_e32 v7, 0x4f800000, v6
	v_cmp_gt_f32_e64 s[0:1], s0, v6
	s_nop 1
	v_cndmask_b32_e64 v6, v6, v7, s[0:1]
	v_rsq_f32_e32 v7, v6
	s_nop 0
	v_mul_f32_e32 v9, v6, v7
	v_mul_f32_e32 v7, 0.5, v7
	v_fma_f32 v10, -v7, v9, 0.5
	v_fmac_f32_e32 v9, v9, v10
	v_fmac_f32_e32 v7, v7, v10
	v_fma_f32 v10, -v9, v9, v6
	v_fmac_f32_e32 v9, v10, v7
	v_mul_f32_e32 v7, 0x37800000, v9
	v_cndmask_b32_e64 v7, v9, v7, s[0:1]
	v_cmp_class_f32_e64 s[0:1], v6, v8
	s_nop 1
	v_cndmask_b32_e64 v6, v7, v6, s[0:1]
	v_cvt_f16_f32_e32 v6, v6
.LBB261_9:
	s_or_b64 exec, exec, s[2:3]
	v_cmp_gt_i32_e64 s[0:1], s18, v3
	s_and_saveexec_b64 s[2:3], s[0:1]
	s_cbranch_execz .LBB261_11
; %bb.10:
	v_add_u32_e32 v8, s10, v3
	v_mov_b32_e32 v9, 0
	v_lshl_add_u64 v[8:9], v[8:9], 1, s[14:15]
	global_load_ushort v5, v[8:9], off
	s_mov_b32 s0, 0xf800000
	v_mov_b32_e32 v8, 0x260
	v_add_u32_e32 v3, 0x100, v3
	s_waitcnt vmcnt(0)
	v_cvt_f32_f16_e32 v5, v5
	v_mul_f32_e32 v7, 0x4f800000, v5
	v_cmp_gt_f32_e64 s[0:1], s0, v5
	s_nop 1
	v_cndmask_b32_e64 v5, v5, v7, s[0:1]
	v_rsq_f32_e32 v7, v5
	s_nop 0
	v_mul_f32_e32 v9, v5, v7
	v_mul_f32_e32 v7, 0.5, v7
	v_fma_f32 v10, -v7, v9, 0.5
	v_fmac_f32_e32 v9, v9, v10
	v_fmac_f32_e32 v7, v7, v10
	v_fma_f32 v10, -v9, v9, v5
	v_fmac_f32_e32 v9, v10, v7
	v_mul_f32_e32 v7, 0x37800000, v9
	v_cndmask_b32_e64 v7, v9, v7, s[0:1]
	v_cmp_class_f32_e64 s[0:1], v5, v8
	s_nop 1
	v_cndmask_b32_e64 v5, v7, v5, s[0:1]
	v_cvt_f16_f32_e32 v5, v5
.LBB261_11:
	s_or_b64 exec, exec, s[2:3]
	v_cmp_gt_i32_e64 s[0:1], s18, v3
	v_mov_b32_e32 v7, 0
	v_mov_b32_e32 v8, 0
	s_and_saveexec_b64 s[2:3], s[0:1]
	s_cbranch_execz .LBB261_13
; %bb.12:
	v_add_u32_e32 v8, s10, v3
	v_mov_b32_e32 v9, 0
	v_lshl_add_u64 v[8:9], v[8:9], 1, s[14:15]
	global_load_ushort v8, v[8:9], off
	s_mov_b32 s0, 0xf800000
	v_mov_b32_e32 v10, 0x260
	v_add_u32_e32 v3, 0x100, v3
	s_waitcnt vmcnt(0)
	v_cvt_f32_f16_e32 v8, v8
	v_mul_f32_e32 v9, 0x4f800000, v8
	v_cmp_gt_f32_e64 s[0:1], s0, v8
	s_nop 1
	v_cndmask_b32_e64 v8, v8, v9, s[0:1]
	v_rsq_f32_e32 v9, v8
	s_nop 0
	v_mul_f32_e32 v11, v8, v9
	v_mul_f32_e32 v9, 0.5, v9
	v_fma_f32 v12, -v9, v11, 0.5
	v_fmac_f32_e32 v11, v11, v12
	v_fmac_f32_e32 v9, v9, v12
	v_fma_f32 v12, -v11, v11, v8
	v_fmac_f32_e32 v11, v12, v9
	v_mul_f32_e32 v9, 0x37800000, v11
	v_cndmask_b32_e64 v9, v11, v9, s[0:1]
	v_cmp_class_f32_e64 s[0:1], v8, v10
	s_nop 1
	v_cndmask_b32_e64 v8, v9, v8, s[0:1]
	v_cvt_f16_f32_e32 v8, v8
.LBB261_13:
	s_or_b64 exec, exec, s[2:3]
	v_cmp_gt_i32_e64 s[0:1], s18, v3
	s_and_saveexec_b64 s[2:3], s[0:1]
	s_cbranch_execz .LBB261_15
; %bb.14:
	v_add_u32_e32 v10, s10, v3
	v_mov_b32_e32 v11, 0
	v_lshl_add_u64 v[10:11], v[10:11], 1, s[14:15]
	global_load_ushort v7, v[10:11], off
	s_mov_b32 s0, 0xf800000
	v_mov_b32_e32 v10, 0x260
	v_add_u32_e32 v3, 0x100, v3
	s_waitcnt vmcnt(0)
	v_cvt_f32_f16_e32 v7, v7
	v_mul_f32_e32 v9, 0x4f800000, v7
	v_cmp_gt_f32_e64 s[0:1], s0, v7
	s_nop 1
	v_cndmask_b32_e64 v7, v7, v9, s[0:1]
	v_rsq_f32_e32 v9, v7
	s_nop 0
	v_mul_f32_e32 v11, v7, v9
	v_mul_f32_e32 v9, 0.5, v9
	v_fma_f32 v12, -v9, v11, 0.5
	v_fmac_f32_e32 v11, v11, v12
	v_fmac_f32_e32 v9, v9, v12
	v_fma_f32 v12, -v11, v11, v7
	v_fmac_f32_e32 v11, v12, v9
	v_mul_f32_e32 v9, 0x37800000, v11
	v_cndmask_b32_e64 v9, v11, v9, s[0:1]
	v_cmp_class_f32_e64 s[0:1], v7, v10
	s_nop 1
	v_cndmask_b32_e64 v7, v9, v7, s[0:1]
	v_cvt_f16_f32_e32 v7, v7
.LBB261_15:
	s_or_b64 exec, exec, s[2:3]
	v_cmp_gt_i32_e64 s[0:1], s18, v3
	v_mov_b32_e32 v9, 0
	v_mov_b32_e32 v10, 0
	s_and_saveexec_b64 s[2:3], s[0:1]
	s_cbranch_execnz .LBB261_27
; %bb.16:
	s_or_b64 exec, exec, s[2:3]
	v_cmp_gt_i32_e64 s[0:1], s18, v3
	s_and_saveexec_b64 s[2:3], s[0:1]
	s_cbranch_execnz .LBB261_28
.LBB261_17:
	s_or_b64 exec, exec, s[2:3]
	s_and_saveexec_b64 s[0:1], vcc
	s_cbranch_execnz .LBB261_29
.LBB261_18:
	s_or_b64 exec, exec, s[0:1]
	v_cmp_gt_i32_e32 vcc, s18, v0
	s_and_saveexec_b64 s[0:1], vcc
	s_cbranch_execnz .LBB261_30
.LBB261_19:
	s_or_b64 exec, exec, s[0:1]
	v_cmp_gt_i32_e32 vcc, s18, v0
	s_and_saveexec_b64 s[0:1], vcc
	s_cbranch_execnz .LBB261_31
.LBB261_20:
	s_or_b64 exec, exec, s[0:1]
	v_cmp_gt_i32_e32 vcc, s18, v0
	s_and_saveexec_b64 s[0:1], vcc
	s_cbranch_execnz .LBB261_32
.LBB261_21:
	s_or_b64 exec, exec, s[0:1]
	v_cmp_gt_i32_e32 vcc, s18, v0
	s_and_saveexec_b64 s[0:1], vcc
	s_cbranch_execnz .LBB261_33
.LBB261_22:
	s_or_b64 exec, exec, s[0:1]
	v_cmp_gt_i32_e32 vcc, s18, v0
	s_and_saveexec_b64 s[0:1], vcc
	s_cbranch_execnz .LBB261_34
.LBB261_23:
	s_or_b64 exec, exec, s[0:1]
	v_cmp_gt_i32_e32 vcc, s18, v0
	s_and_saveexec_b64 s[0:1], vcc
	s_cbranch_execnz .LBB261_35
.LBB261_24:
	s_or_b64 exec, exec, s[0:1]
	v_cmp_gt_i32_e32 vcc, s18, v0
	s_and_saveexec_b64 s[0:1], vcc
	s_cbranch_execz .LBB261_26
.LBB261_25:
	v_add_u32_e32 v0, s10, v0
	v_mov_b32_e32 v1, 0
	v_lshl_add_u64 v[0:1], v[0:1], 1, s[12:13]
	global_store_short v[0:1], v9, off
.LBB261_26:
	s_endpgm
.LBB261_27:
	v_add_u32_e32 v10, s10, v3
	v_mov_b32_e32 v11, 0
	v_lshl_add_u64 v[10:11], v[10:11], 1, s[14:15]
	global_load_ushort v10, v[10:11], off
	s_mov_b32 s0, 0xf800000
	v_mov_b32_e32 v12, 0x260
	v_add_u32_e32 v3, 0x100, v3
	s_waitcnt vmcnt(0)
	v_cvt_f32_f16_e32 v10, v10
	v_mul_f32_e32 v11, 0x4f800000, v10
	v_cmp_gt_f32_e64 s[0:1], s0, v10
	s_nop 1
	v_cndmask_b32_e64 v10, v10, v11, s[0:1]
	v_rsq_f32_e32 v11, v10
	s_nop 0
	v_mul_f32_e32 v13, v10, v11
	v_mul_f32_e32 v11, 0.5, v11
	v_fma_f32 v14, -v11, v13, 0.5
	v_fmac_f32_e32 v13, v13, v14
	v_fmac_f32_e32 v11, v11, v14
	v_fma_f32 v14, -v13, v13, v10
	v_fmac_f32_e32 v13, v14, v11
	v_mul_f32_e32 v11, 0x37800000, v13
	v_cndmask_b32_e64 v11, v13, v11, s[0:1]
	v_cmp_class_f32_e64 s[0:1], v10, v12
	s_nop 1
	v_cndmask_b32_e64 v10, v11, v10, s[0:1]
	v_cvt_f16_f32_e32 v10, v10
	s_or_b64 exec, exec, s[2:3]
	v_cmp_gt_i32_e64 s[0:1], s18, v3
	s_and_saveexec_b64 s[2:3], s[0:1]
	s_cbranch_execz .LBB261_17
.LBB261_28:
	v_add_u32_e32 v12, s10, v3
	v_mov_b32_e32 v13, 0
	v_lshl_add_u64 v[12:13], v[12:13], 1, s[14:15]
	global_load_ushort v3, v[12:13], off
	s_mov_b32 s0, 0xf800000
	v_mov_b32_e32 v11, 0x260
	s_waitcnt vmcnt(0)
	v_cvt_f32_f16_e32 v3, v3
	v_mul_f32_e32 v9, 0x4f800000, v3
	v_cmp_gt_f32_e64 s[0:1], s0, v3
	s_nop 1
	v_cndmask_b32_e64 v3, v3, v9, s[0:1]
	v_rsq_f32_e32 v9, v3
	s_nop 0
	v_mul_f32_e32 v12, v3, v9
	v_mul_f32_e32 v9, 0.5, v9
	v_fma_f32 v13, -v9, v12, 0.5
	v_fmac_f32_e32 v12, v12, v13
	v_fmac_f32_e32 v9, v9, v13
	v_fma_f32 v13, -v12, v12, v3
	v_fmac_f32_e32 v12, v13, v9
	v_mul_f32_e32 v9, 0x37800000, v12
	v_cndmask_b32_e64 v9, v12, v9, s[0:1]
	v_cmp_class_f32_e64 s[0:1], v3, v11
	s_nop 1
	v_cndmask_b32_e64 v3, v9, v3, s[0:1]
	v_cvt_f16_f32_e32 v9, v3
	s_or_b64 exec, exec, s[2:3]
	s_and_saveexec_b64 s[0:1], vcc
	s_cbranch_execz .LBB261_18
.LBB261_29:
	v_mov_b32_e32 v3, 0
	v_or_b32_e32 v0, 0x100, v0
	v_lshl_add_u64 v[2:3], v[2:3], 1, s[12:13]
	global_store_short v[2:3], v4, off
	s_or_b64 exec, exec, s[0:1]
	v_cmp_gt_i32_e32 vcc, s18, v0
	s_and_saveexec_b64 s[0:1], vcc
	s_cbranch_execz .LBB261_19
.LBB261_30:
	v_add_u32_e32 v2, s10, v0
	v_mov_b32_e32 v3, 0
	v_lshl_add_u64 v[2:3], v[2:3], 1, s[12:13]
	v_add_u32_e32 v0, 0x100, v0
	global_store_short v[2:3], v1, off
	s_or_b64 exec, exec, s[0:1]
	v_cmp_gt_i32_e32 vcc, s18, v0
	s_and_saveexec_b64 s[0:1], vcc
	s_cbranch_execz .LBB261_20
.LBB261_31:
	v_add_u32_e32 v2, s10, v0
	v_mov_b32_e32 v3, 0
	v_lshl_add_u64 v[2:3], v[2:3], 1, s[12:13]
	v_add_u32_e32 v0, 0x100, v0
	global_store_short v[2:3], v6, off
	s_or_b64 exec, exec, s[0:1]
	v_cmp_gt_i32_e32 vcc, s18, v0
	s_and_saveexec_b64 s[0:1], vcc
	s_cbranch_execz .LBB261_21
.LBB261_32:
	v_add_u32_e32 v2, s10, v0
	v_mov_b32_e32 v3, 0
	v_lshl_add_u64 v[2:3], v[2:3], 1, s[12:13]
	v_add_u32_e32 v0, 0x100, v0
	global_store_short v[2:3], v5, off
	s_or_b64 exec, exec, s[0:1]
	v_cmp_gt_i32_e32 vcc, s18, v0
	s_and_saveexec_b64 s[0:1], vcc
	s_cbranch_execz .LBB261_22
.LBB261_33:
	v_add_u32_e32 v2, s10, v0
	v_mov_b32_e32 v3, 0
	v_lshl_add_u64 v[2:3], v[2:3], 1, s[12:13]
	v_add_u32_e32 v0, 0x100, v0
	global_store_short v[2:3], v8, off
	s_or_b64 exec, exec, s[0:1]
	v_cmp_gt_i32_e32 vcc, s18, v0
	s_and_saveexec_b64 s[0:1], vcc
	s_cbranch_execz .LBB261_23
.LBB261_34:
	v_add_u32_e32 v2, s10, v0
	v_mov_b32_e32 v3, 0
	v_lshl_add_u64 v[2:3], v[2:3], 1, s[12:13]
	v_add_u32_e32 v0, 0x100, v0
	global_store_short v[2:3], v7, off
	s_or_b64 exec, exec, s[0:1]
	v_cmp_gt_i32_e32 vcc, s18, v0
	s_and_saveexec_b64 s[0:1], vcc
	s_cbranch_execz .LBB261_24
.LBB261_35:
	v_add_u32_e32 v2, s10, v0
	v_mov_b32_e32 v3, 0
	v_lshl_add_u64 v[2:3], v[2:3], 1, s[12:13]
	v_add_u32_e32 v0, 0x100, v0
	global_store_short v[2:3], v10, off
	s_or_b64 exec, exec, s[0:1]
	v_cmp_gt_i32_e32 vcc, s18, v0
	s_and_saveexec_b64 s[0:1], vcc
	s_cbranch_execnz .LBB261_25
	s_branch .LBB261_26
	.section	.rodata,"a",@progbits
	.p2align	6, 0x0
	.amdhsa_kernel _ZN2at6native29vectorized_elementwise_kernelILi2EZZZNS0_16sqrt_kernel_cudaERNS_18TensorIteratorBaseEENKUlvE0_clEvENKUlvE1_clEvEUlN3c104HalfEE_St5arrayIPcLm2EEEEviT0_T1_
		.amdhsa_group_segment_fixed_size 0
		.amdhsa_private_segment_fixed_size 0
		.amdhsa_kernarg_size 24
		.amdhsa_user_sgpr_count 2
		.amdhsa_user_sgpr_dispatch_ptr 0
		.amdhsa_user_sgpr_queue_ptr 0
		.amdhsa_user_sgpr_kernarg_segment_ptr 1
		.amdhsa_user_sgpr_dispatch_id 0
		.amdhsa_user_sgpr_kernarg_preload_length 0
		.amdhsa_user_sgpr_kernarg_preload_offset 0
		.amdhsa_user_sgpr_private_segment_size 0
		.amdhsa_uses_dynamic_stack 0
		.amdhsa_enable_private_segment 0
		.amdhsa_system_sgpr_workgroup_id_x 1
		.amdhsa_system_sgpr_workgroup_id_y 0
		.amdhsa_system_sgpr_workgroup_id_z 0
		.amdhsa_system_sgpr_workgroup_info 0
		.amdhsa_system_vgpr_workitem_id 0
		.amdhsa_next_free_vgpr 30
		.amdhsa_next_free_sgpr 19
		.amdhsa_accum_offset 32
		.amdhsa_reserve_vcc 1
		.amdhsa_float_round_mode_32 0
		.amdhsa_float_round_mode_16_64 0
		.amdhsa_float_denorm_mode_32 3
		.amdhsa_float_denorm_mode_16_64 3
		.amdhsa_dx10_clamp 1
		.amdhsa_ieee_mode 1
		.amdhsa_fp16_overflow 0
		.amdhsa_tg_split 0
		.amdhsa_exception_fp_ieee_invalid_op 0
		.amdhsa_exception_fp_denorm_src 0
		.amdhsa_exception_fp_ieee_div_zero 0
		.amdhsa_exception_fp_ieee_overflow 0
		.amdhsa_exception_fp_ieee_underflow 0
		.amdhsa_exception_fp_ieee_inexact 0
		.amdhsa_exception_int_div_zero 0
	.end_amdhsa_kernel
	.section	.text._ZN2at6native29vectorized_elementwise_kernelILi2EZZZNS0_16sqrt_kernel_cudaERNS_18TensorIteratorBaseEENKUlvE0_clEvENKUlvE1_clEvEUlN3c104HalfEE_St5arrayIPcLm2EEEEviT0_T1_,"axG",@progbits,_ZN2at6native29vectorized_elementwise_kernelILi2EZZZNS0_16sqrt_kernel_cudaERNS_18TensorIteratorBaseEENKUlvE0_clEvENKUlvE1_clEvEUlN3c104HalfEE_St5arrayIPcLm2EEEEviT0_T1_,comdat
.Lfunc_end261:
	.size	_ZN2at6native29vectorized_elementwise_kernelILi2EZZZNS0_16sqrt_kernel_cudaERNS_18TensorIteratorBaseEENKUlvE0_clEvENKUlvE1_clEvEUlN3c104HalfEE_St5arrayIPcLm2EEEEviT0_T1_, .Lfunc_end261-_ZN2at6native29vectorized_elementwise_kernelILi2EZZZNS0_16sqrt_kernel_cudaERNS_18TensorIteratorBaseEENKUlvE0_clEvENKUlvE1_clEvEUlN3c104HalfEE_St5arrayIPcLm2EEEEviT0_T1_
                                        ; -- End function
	.set _ZN2at6native29vectorized_elementwise_kernelILi2EZZZNS0_16sqrt_kernel_cudaERNS_18TensorIteratorBaseEENKUlvE0_clEvENKUlvE1_clEvEUlN3c104HalfEE_St5arrayIPcLm2EEEEviT0_T1_.num_vgpr, 30
	.set _ZN2at6native29vectorized_elementwise_kernelILi2EZZZNS0_16sqrt_kernel_cudaERNS_18TensorIteratorBaseEENKUlvE0_clEvENKUlvE1_clEvEUlN3c104HalfEE_St5arrayIPcLm2EEEEviT0_T1_.num_agpr, 0
	.set _ZN2at6native29vectorized_elementwise_kernelILi2EZZZNS0_16sqrt_kernel_cudaERNS_18TensorIteratorBaseEENKUlvE0_clEvENKUlvE1_clEvEUlN3c104HalfEE_St5arrayIPcLm2EEEEviT0_T1_.numbered_sgpr, 19
	.set _ZN2at6native29vectorized_elementwise_kernelILi2EZZZNS0_16sqrt_kernel_cudaERNS_18TensorIteratorBaseEENKUlvE0_clEvENKUlvE1_clEvEUlN3c104HalfEE_St5arrayIPcLm2EEEEviT0_T1_.num_named_barrier, 0
	.set _ZN2at6native29vectorized_elementwise_kernelILi2EZZZNS0_16sqrt_kernel_cudaERNS_18TensorIteratorBaseEENKUlvE0_clEvENKUlvE1_clEvEUlN3c104HalfEE_St5arrayIPcLm2EEEEviT0_T1_.private_seg_size, 0
	.set _ZN2at6native29vectorized_elementwise_kernelILi2EZZZNS0_16sqrt_kernel_cudaERNS_18TensorIteratorBaseEENKUlvE0_clEvENKUlvE1_clEvEUlN3c104HalfEE_St5arrayIPcLm2EEEEviT0_T1_.uses_vcc, 1
	.set _ZN2at6native29vectorized_elementwise_kernelILi2EZZZNS0_16sqrt_kernel_cudaERNS_18TensorIteratorBaseEENKUlvE0_clEvENKUlvE1_clEvEUlN3c104HalfEE_St5arrayIPcLm2EEEEviT0_T1_.uses_flat_scratch, 0
	.set _ZN2at6native29vectorized_elementwise_kernelILi2EZZZNS0_16sqrt_kernel_cudaERNS_18TensorIteratorBaseEENKUlvE0_clEvENKUlvE1_clEvEUlN3c104HalfEE_St5arrayIPcLm2EEEEviT0_T1_.has_dyn_sized_stack, 0
	.set _ZN2at6native29vectorized_elementwise_kernelILi2EZZZNS0_16sqrt_kernel_cudaERNS_18TensorIteratorBaseEENKUlvE0_clEvENKUlvE1_clEvEUlN3c104HalfEE_St5arrayIPcLm2EEEEviT0_T1_.has_recursion, 0
	.set _ZN2at6native29vectorized_elementwise_kernelILi2EZZZNS0_16sqrt_kernel_cudaERNS_18TensorIteratorBaseEENKUlvE0_clEvENKUlvE1_clEvEUlN3c104HalfEE_St5arrayIPcLm2EEEEviT0_T1_.has_indirect_call, 0
	.section	.AMDGPU.csdata,"",@progbits
; Kernel info:
; codeLenInByte = 2996
; TotalNumSgprs: 25
; NumVgprs: 30
; NumAgprs: 0
; TotalNumVgprs: 30
; ScratchSize: 0
; MemoryBound: 0
; FloatMode: 240
; IeeeMode: 1
; LDSByteSize: 0 bytes/workgroup (compile time only)
; SGPRBlocks: 3
; VGPRBlocks: 3
; NumSGPRsForWavesPerEU: 25
; NumVGPRsForWavesPerEU: 30
; AccumOffset: 32
; Occupancy: 8
; WaveLimiterHint : 1
; COMPUTE_PGM_RSRC2:SCRATCH_EN: 0
; COMPUTE_PGM_RSRC2:USER_SGPR: 2
; COMPUTE_PGM_RSRC2:TRAP_HANDLER: 0
; COMPUTE_PGM_RSRC2:TGID_X_EN: 1
; COMPUTE_PGM_RSRC2:TGID_Y_EN: 0
; COMPUTE_PGM_RSRC2:TGID_Z_EN: 0
; COMPUTE_PGM_RSRC2:TIDIG_COMP_CNT: 0
; COMPUTE_PGM_RSRC3_GFX90A:ACCUM_OFFSET: 7
; COMPUTE_PGM_RSRC3_GFX90A:TG_SPLIT: 0
	.section	.text._ZN2at6native27unrolled_elementwise_kernelIZZZNS0_16sqrt_kernel_cudaERNS_18TensorIteratorBaseEENKUlvE0_clEvENKUlvE1_clEvEUlN3c104HalfEE_St5arrayIPcLm2EELi4E23TrivialOffsetCalculatorILi1EjESD_NS0_6memory15LoadWithoutCastENSE_16StoreWithoutCastEEEviT_T0_T2_T3_T4_T5_,"axG",@progbits,_ZN2at6native27unrolled_elementwise_kernelIZZZNS0_16sqrt_kernel_cudaERNS_18TensorIteratorBaseEENKUlvE0_clEvENKUlvE1_clEvEUlN3c104HalfEE_St5arrayIPcLm2EELi4E23TrivialOffsetCalculatorILi1EjESD_NS0_6memory15LoadWithoutCastENSE_16StoreWithoutCastEEEviT_T0_T2_T3_T4_T5_,comdat
	.globl	_ZN2at6native27unrolled_elementwise_kernelIZZZNS0_16sqrt_kernel_cudaERNS_18TensorIteratorBaseEENKUlvE0_clEvENKUlvE1_clEvEUlN3c104HalfEE_St5arrayIPcLm2EELi4E23TrivialOffsetCalculatorILi1EjESD_NS0_6memory15LoadWithoutCastENSE_16StoreWithoutCastEEEviT_T0_T2_T3_T4_T5_ ; -- Begin function _ZN2at6native27unrolled_elementwise_kernelIZZZNS0_16sqrt_kernel_cudaERNS_18TensorIteratorBaseEENKUlvE0_clEvENKUlvE1_clEvEUlN3c104HalfEE_St5arrayIPcLm2EELi4E23TrivialOffsetCalculatorILi1EjESD_NS0_6memory15LoadWithoutCastENSE_16StoreWithoutCastEEEviT_T0_T2_T3_T4_T5_
	.p2align	8
	.type	_ZN2at6native27unrolled_elementwise_kernelIZZZNS0_16sqrt_kernel_cudaERNS_18TensorIteratorBaseEENKUlvE0_clEvENKUlvE1_clEvEUlN3c104HalfEE_St5arrayIPcLm2EELi4E23TrivialOffsetCalculatorILi1EjESD_NS0_6memory15LoadWithoutCastENSE_16StoreWithoutCastEEEviT_T0_T2_T3_T4_T5_,@function
_ZN2at6native27unrolled_elementwise_kernelIZZZNS0_16sqrt_kernel_cudaERNS_18TensorIteratorBaseEENKUlvE0_clEvENKUlvE1_clEvEUlN3c104HalfEE_St5arrayIPcLm2EELi4E23TrivialOffsetCalculatorILi1EjESD_NS0_6memory15LoadWithoutCastENSE_16StoreWithoutCastEEEviT_T0_T2_T3_T4_T5_: ; @_ZN2at6native27unrolled_elementwise_kernelIZZZNS0_16sqrt_kernel_cudaERNS_18TensorIteratorBaseEENKUlvE0_clEvENKUlvE1_clEvEUlN3c104HalfEE_St5arrayIPcLm2EELi4E23TrivialOffsetCalculatorILi1EjESD_NS0_6memory15LoadWithoutCastENSE_16StoreWithoutCastEEEviT_T0_T2_T3_T4_T5_
; %bb.0:
	s_load_dword s3, s[0:1], 0x0
	s_load_dwordx4 s[4:7], s[0:1], 0x8
	s_lshl_b32 s8, s2, 10
	v_mov_b32_e32 v1, 0
	v_or_b32_e32 v2, s8, v0
	s_waitcnt lgkmcnt(0)
	s_sub_i32 s9, s3, s8
	v_cmp_gt_i32_e32 vcc, s9, v0
	v_mov_b32_e32 v4, 0
	v_mov_b32_e32 v3, v0
	s_and_saveexec_b64 s[2:3], vcc
	s_cbranch_execz .LBB262_2
; %bb.1:
	v_mov_b32_e32 v3, 0
	v_lshl_add_u64 v[4:5], v[2:3], 1, s[6:7]
	global_load_ushort v3, v[4:5], off
	s_mov_b32 s0, 0xf800000
	v_mov_b32_e32 v5, 0x260
	s_waitcnt vmcnt(0)
	v_cvt_f32_f16_e32 v3, v3
	v_mul_f32_e32 v4, 0x4f800000, v3
	v_cmp_gt_f32_e64 s[0:1], s0, v3
	s_nop 1
	v_cndmask_b32_e64 v3, v3, v4, s[0:1]
	v_rsq_f32_e32 v4, v3
	s_nop 0
	v_mul_f32_e32 v6, v3, v4
	v_mul_f32_e32 v4, 0.5, v4
	v_fma_f32 v7, -v4, v6, 0.5
	v_fmac_f32_e32 v6, v6, v7
	v_fmac_f32_e32 v4, v4, v7
	v_fma_f32 v7, -v6, v6, v3
	v_fmac_f32_e32 v6, v7, v4
	v_mul_f32_e32 v4, 0x37800000, v6
	v_cndmask_b32_e64 v4, v6, v4, s[0:1]
	v_cmp_class_f32_e64 s[0:1], v3, v5
	s_nop 1
	v_cndmask_b32_e64 v3, v4, v3, s[0:1]
	v_cvt_f16_f32_e32 v4, v3
	v_or_b32_e32 v3, 0x100, v0
.LBB262_2:
	s_or_b64 exec, exec, s[2:3]
	v_cmp_gt_i32_e64 s[0:1], s9, v3
	s_and_saveexec_b64 s[2:3], s[0:1]
	s_cbranch_execz .LBB262_4
; %bb.3:
	v_add_u32_e32 v6, s8, v3
	v_mov_b32_e32 v7, 0
	v_lshl_add_u64 v[6:7], v[6:7], 1, s[6:7]
	global_load_ushort v1, v[6:7], off
	s_mov_b32 s0, 0xf800000
	v_mov_b32_e32 v6, 0x260
	v_add_u32_e32 v3, 0x100, v3
	s_waitcnt vmcnt(0)
	v_cvt_f32_f16_e32 v1, v1
	v_mul_f32_e32 v5, 0x4f800000, v1
	v_cmp_gt_f32_e64 s[0:1], s0, v1
	s_nop 1
	v_cndmask_b32_e64 v1, v1, v5, s[0:1]
	v_rsq_f32_e32 v5, v1
	s_nop 0
	v_mul_f32_e32 v7, v1, v5
	v_mul_f32_e32 v5, 0.5, v5
	v_fma_f32 v8, -v5, v7, 0.5
	v_fmac_f32_e32 v7, v7, v8
	v_fmac_f32_e32 v5, v5, v8
	v_fma_f32 v8, -v7, v7, v1
	v_fmac_f32_e32 v7, v8, v5
	v_mul_f32_e32 v5, 0x37800000, v7
	v_cndmask_b32_e64 v5, v7, v5, s[0:1]
	v_cmp_class_f32_e64 s[0:1], v1, v6
	s_nop 1
	v_cndmask_b32_e64 v1, v5, v1, s[0:1]
	v_cvt_f16_f32_e32 v1, v1
.LBB262_4:
	s_or_b64 exec, exec, s[2:3]
	v_cmp_gt_i32_e64 s[0:1], s9, v3
	v_mov_b32_e32 v5, 0
	v_mov_b32_e32 v6, 0
	s_and_saveexec_b64 s[2:3], s[0:1]
	s_cbranch_execnz .LBB262_11
; %bb.5:
	s_or_b64 exec, exec, s[2:3]
	v_cmp_gt_i32_e64 s[0:1], s9, v3
	s_and_saveexec_b64 s[2:3], s[0:1]
	s_cbranch_execnz .LBB262_12
.LBB262_6:
	s_or_b64 exec, exec, s[2:3]
	s_and_saveexec_b64 s[0:1], vcc
	s_cbranch_execnz .LBB262_13
.LBB262_7:
	s_or_b64 exec, exec, s[0:1]
	v_cmp_gt_i32_e32 vcc, s9, v0
	s_and_saveexec_b64 s[0:1], vcc
	s_cbranch_execnz .LBB262_14
.LBB262_8:
	s_or_b64 exec, exec, s[0:1]
	v_cmp_gt_i32_e32 vcc, s9, v0
	s_and_saveexec_b64 s[0:1], vcc
	s_cbranch_execnz .LBB262_15
.LBB262_9:
	s_or_b64 exec, exec, s[0:1]
	v_cmp_gt_i32_e32 vcc, s9, v0
	s_and_saveexec_b64 s[0:1], vcc
	s_cbranch_execnz .LBB262_16
.LBB262_10:
	s_endpgm
.LBB262_11:
	v_add_u32_e32 v6, s8, v3
	v_mov_b32_e32 v7, 0
	v_lshl_add_u64 v[6:7], v[6:7], 1, s[6:7]
	global_load_ushort v6, v[6:7], off
	s_mov_b32 s0, 0xf800000
	v_mov_b32_e32 v8, 0x260
	v_add_u32_e32 v3, 0x100, v3
	s_waitcnt vmcnt(0)
	v_cvt_f32_f16_e32 v6, v6
	v_mul_f32_e32 v7, 0x4f800000, v6
	v_cmp_gt_f32_e64 s[0:1], s0, v6
	s_nop 1
	v_cndmask_b32_e64 v6, v6, v7, s[0:1]
	v_rsq_f32_e32 v7, v6
	s_nop 0
	v_mul_f32_e32 v9, v6, v7
	v_mul_f32_e32 v7, 0.5, v7
	v_fma_f32 v10, -v7, v9, 0.5
	v_fmac_f32_e32 v9, v9, v10
	v_fmac_f32_e32 v7, v7, v10
	v_fma_f32 v10, -v9, v9, v6
	v_fmac_f32_e32 v9, v10, v7
	v_mul_f32_e32 v7, 0x37800000, v9
	v_cndmask_b32_e64 v7, v9, v7, s[0:1]
	v_cmp_class_f32_e64 s[0:1], v6, v8
	s_nop 1
	v_cndmask_b32_e64 v6, v7, v6, s[0:1]
	v_cvt_f16_f32_e32 v6, v6
	s_or_b64 exec, exec, s[2:3]
	v_cmp_gt_i32_e64 s[0:1], s9, v3
	s_and_saveexec_b64 s[2:3], s[0:1]
	s_cbranch_execz .LBB262_6
.LBB262_12:
	v_add_u32_e32 v8, s8, v3
	v_mov_b32_e32 v9, 0
	v_lshl_add_u64 v[8:9], v[8:9], 1, s[6:7]
	global_load_ushort v3, v[8:9], off
	s_mov_b32 s0, 0xf800000
	v_mov_b32_e32 v7, 0x260
	s_waitcnt vmcnt(0)
	v_cvt_f32_f16_e32 v3, v3
	v_mul_f32_e32 v5, 0x4f800000, v3
	v_cmp_gt_f32_e64 s[0:1], s0, v3
	s_nop 1
	v_cndmask_b32_e64 v3, v3, v5, s[0:1]
	v_rsq_f32_e32 v5, v3
	s_nop 0
	v_mul_f32_e32 v8, v3, v5
	v_mul_f32_e32 v5, 0.5, v5
	v_fma_f32 v9, -v5, v8, 0.5
	v_fmac_f32_e32 v8, v8, v9
	v_fmac_f32_e32 v5, v5, v9
	v_fma_f32 v9, -v8, v8, v3
	v_fmac_f32_e32 v8, v9, v5
	v_mul_f32_e32 v5, 0x37800000, v8
	v_cndmask_b32_e64 v5, v8, v5, s[0:1]
	v_cmp_class_f32_e64 s[0:1], v3, v7
	s_nop 1
	v_cndmask_b32_e64 v3, v5, v3, s[0:1]
	v_cvt_f16_f32_e32 v5, v3
	s_or_b64 exec, exec, s[2:3]
	s_and_saveexec_b64 s[0:1], vcc
	s_cbranch_execz .LBB262_7
.LBB262_13:
	v_mov_b32_e32 v3, 0
	v_lshl_add_u64 v[2:3], v[2:3], 1, s[4:5]
	v_or_b32_e32 v0, 0x100, v0
	global_store_short v[2:3], v4, off
	s_or_b64 exec, exec, s[0:1]
	v_cmp_gt_i32_e32 vcc, s9, v0
	s_and_saveexec_b64 s[0:1], vcc
	s_cbranch_execz .LBB262_8
.LBB262_14:
	v_add_u32_e32 v4, 0x100, v0
	v_add_u32_e32 v2, s8, v0
	v_mov_b32_e32 v3, 0
	v_lshl_add_u64 v[2:3], v[2:3], 1, s[4:5]
	v_mov_b32_e32 v0, v4
	global_store_short v[2:3], v1, off
	s_or_b64 exec, exec, s[0:1]
	v_cmp_gt_i32_e32 vcc, s9, v0
	s_and_saveexec_b64 s[0:1], vcc
	s_cbranch_execz .LBB262_9
.LBB262_15:
	v_add_u32_e32 v2, 0x100, v0
	v_add_u32_e32 v0, s8, v0
	v_mov_b32_e32 v1, 0
	v_lshl_add_u64 v[0:1], v[0:1], 1, s[4:5]
	global_store_short v[0:1], v6, off
	v_mov_b32_e32 v0, v2
	s_or_b64 exec, exec, s[0:1]
	v_cmp_gt_i32_e32 vcc, s9, v0
	s_and_saveexec_b64 s[0:1], vcc
	s_cbranch_execz .LBB262_10
.LBB262_16:
	v_add_u32_e32 v0, s8, v0
	v_mov_b32_e32 v1, 0
	v_lshl_add_u64 v[0:1], v[0:1], 1, s[4:5]
	global_store_short v[0:1], v5, off
	s_endpgm
	.section	.rodata,"a",@progbits
	.p2align	6, 0x0
	.amdhsa_kernel _ZN2at6native27unrolled_elementwise_kernelIZZZNS0_16sqrt_kernel_cudaERNS_18TensorIteratorBaseEENKUlvE0_clEvENKUlvE1_clEvEUlN3c104HalfEE_St5arrayIPcLm2EELi4E23TrivialOffsetCalculatorILi1EjESD_NS0_6memory15LoadWithoutCastENSE_16StoreWithoutCastEEEviT_T0_T2_T3_T4_T5_
		.amdhsa_group_segment_fixed_size 0
		.amdhsa_private_segment_fixed_size 0
		.amdhsa_kernarg_size 28
		.amdhsa_user_sgpr_count 2
		.amdhsa_user_sgpr_dispatch_ptr 0
		.amdhsa_user_sgpr_queue_ptr 0
		.amdhsa_user_sgpr_kernarg_segment_ptr 1
		.amdhsa_user_sgpr_dispatch_id 0
		.amdhsa_user_sgpr_kernarg_preload_length 0
		.amdhsa_user_sgpr_kernarg_preload_offset 0
		.amdhsa_user_sgpr_private_segment_size 0
		.amdhsa_uses_dynamic_stack 0
		.amdhsa_enable_private_segment 0
		.amdhsa_system_sgpr_workgroup_id_x 1
		.amdhsa_system_sgpr_workgroup_id_y 0
		.amdhsa_system_sgpr_workgroup_id_z 0
		.amdhsa_system_sgpr_workgroup_info 0
		.amdhsa_system_vgpr_workitem_id 0
		.amdhsa_next_free_vgpr 11
		.amdhsa_next_free_sgpr 10
		.amdhsa_accum_offset 12
		.amdhsa_reserve_vcc 1
		.amdhsa_float_round_mode_32 0
		.amdhsa_float_round_mode_16_64 0
		.amdhsa_float_denorm_mode_32 3
		.amdhsa_float_denorm_mode_16_64 3
		.amdhsa_dx10_clamp 1
		.amdhsa_ieee_mode 1
		.amdhsa_fp16_overflow 0
		.amdhsa_tg_split 0
		.amdhsa_exception_fp_ieee_invalid_op 0
		.amdhsa_exception_fp_denorm_src 0
		.amdhsa_exception_fp_ieee_div_zero 0
		.amdhsa_exception_fp_ieee_overflow 0
		.amdhsa_exception_fp_ieee_underflow 0
		.amdhsa_exception_fp_ieee_inexact 0
		.amdhsa_exception_int_div_zero 0
	.end_amdhsa_kernel
	.section	.text._ZN2at6native27unrolled_elementwise_kernelIZZZNS0_16sqrt_kernel_cudaERNS_18TensorIteratorBaseEENKUlvE0_clEvENKUlvE1_clEvEUlN3c104HalfEE_St5arrayIPcLm2EELi4E23TrivialOffsetCalculatorILi1EjESD_NS0_6memory15LoadWithoutCastENSE_16StoreWithoutCastEEEviT_T0_T2_T3_T4_T5_,"axG",@progbits,_ZN2at6native27unrolled_elementwise_kernelIZZZNS0_16sqrt_kernel_cudaERNS_18TensorIteratorBaseEENKUlvE0_clEvENKUlvE1_clEvEUlN3c104HalfEE_St5arrayIPcLm2EELi4E23TrivialOffsetCalculatorILi1EjESD_NS0_6memory15LoadWithoutCastENSE_16StoreWithoutCastEEEviT_T0_T2_T3_T4_T5_,comdat
.Lfunc_end262:
	.size	_ZN2at6native27unrolled_elementwise_kernelIZZZNS0_16sqrt_kernel_cudaERNS_18TensorIteratorBaseEENKUlvE0_clEvENKUlvE1_clEvEUlN3c104HalfEE_St5arrayIPcLm2EELi4E23TrivialOffsetCalculatorILi1EjESD_NS0_6memory15LoadWithoutCastENSE_16StoreWithoutCastEEEviT_T0_T2_T3_T4_T5_, .Lfunc_end262-_ZN2at6native27unrolled_elementwise_kernelIZZZNS0_16sqrt_kernel_cudaERNS_18TensorIteratorBaseEENKUlvE0_clEvENKUlvE1_clEvEUlN3c104HalfEE_St5arrayIPcLm2EELi4E23TrivialOffsetCalculatorILi1EjESD_NS0_6memory15LoadWithoutCastENSE_16StoreWithoutCastEEEviT_T0_T2_T3_T4_T5_
                                        ; -- End function
	.set _ZN2at6native27unrolled_elementwise_kernelIZZZNS0_16sqrt_kernel_cudaERNS_18TensorIteratorBaseEENKUlvE0_clEvENKUlvE1_clEvEUlN3c104HalfEE_St5arrayIPcLm2EELi4E23TrivialOffsetCalculatorILi1EjESD_NS0_6memory15LoadWithoutCastENSE_16StoreWithoutCastEEEviT_T0_T2_T3_T4_T5_.num_vgpr, 11
	.set _ZN2at6native27unrolled_elementwise_kernelIZZZNS0_16sqrt_kernel_cudaERNS_18TensorIteratorBaseEENKUlvE0_clEvENKUlvE1_clEvEUlN3c104HalfEE_St5arrayIPcLm2EELi4E23TrivialOffsetCalculatorILi1EjESD_NS0_6memory15LoadWithoutCastENSE_16StoreWithoutCastEEEviT_T0_T2_T3_T4_T5_.num_agpr, 0
	.set _ZN2at6native27unrolled_elementwise_kernelIZZZNS0_16sqrt_kernel_cudaERNS_18TensorIteratorBaseEENKUlvE0_clEvENKUlvE1_clEvEUlN3c104HalfEE_St5arrayIPcLm2EELi4E23TrivialOffsetCalculatorILi1EjESD_NS0_6memory15LoadWithoutCastENSE_16StoreWithoutCastEEEviT_T0_T2_T3_T4_T5_.numbered_sgpr, 10
	.set _ZN2at6native27unrolled_elementwise_kernelIZZZNS0_16sqrt_kernel_cudaERNS_18TensorIteratorBaseEENKUlvE0_clEvENKUlvE1_clEvEUlN3c104HalfEE_St5arrayIPcLm2EELi4E23TrivialOffsetCalculatorILi1EjESD_NS0_6memory15LoadWithoutCastENSE_16StoreWithoutCastEEEviT_T0_T2_T3_T4_T5_.num_named_barrier, 0
	.set _ZN2at6native27unrolled_elementwise_kernelIZZZNS0_16sqrt_kernel_cudaERNS_18TensorIteratorBaseEENKUlvE0_clEvENKUlvE1_clEvEUlN3c104HalfEE_St5arrayIPcLm2EELi4E23TrivialOffsetCalculatorILi1EjESD_NS0_6memory15LoadWithoutCastENSE_16StoreWithoutCastEEEviT_T0_T2_T3_T4_T5_.private_seg_size, 0
	.set _ZN2at6native27unrolled_elementwise_kernelIZZZNS0_16sqrt_kernel_cudaERNS_18TensorIteratorBaseEENKUlvE0_clEvENKUlvE1_clEvEUlN3c104HalfEE_St5arrayIPcLm2EELi4E23TrivialOffsetCalculatorILi1EjESD_NS0_6memory15LoadWithoutCastENSE_16StoreWithoutCastEEEviT_T0_T2_T3_T4_T5_.uses_vcc, 1
	.set _ZN2at6native27unrolled_elementwise_kernelIZZZNS0_16sqrt_kernel_cudaERNS_18TensorIteratorBaseEENKUlvE0_clEvENKUlvE1_clEvEUlN3c104HalfEE_St5arrayIPcLm2EELi4E23TrivialOffsetCalculatorILi1EjESD_NS0_6memory15LoadWithoutCastENSE_16StoreWithoutCastEEEviT_T0_T2_T3_T4_T5_.uses_flat_scratch, 0
	.set _ZN2at6native27unrolled_elementwise_kernelIZZZNS0_16sqrt_kernel_cudaERNS_18TensorIteratorBaseEENKUlvE0_clEvENKUlvE1_clEvEUlN3c104HalfEE_St5arrayIPcLm2EELi4E23TrivialOffsetCalculatorILi1EjESD_NS0_6memory15LoadWithoutCastENSE_16StoreWithoutCastEEEviT_T0_T2_T3_T4_T5_.has_dyn_sized_stack, 0
	.set _ZN2at6native27unrolled_elementwise_kernelIZZZNS0_16sqrt_kernel_cudaERNS_18TensorIteratorBaseEENKUlvE0_clEvENKUlvE1_clEvEUlN3c104HalfEE_St5arrayIPcLm2EELi4E23TrivialOffsetCalculatorILi1EjESD_NS0_6memory15LoadWithoutCastENSE_16StoreWithoutCastEEEviT_T0_T2_T3_T4_T5_.has_recursion, 0
	.set _ZN2at6native27unrolled_elementwise_kernelIZZZNS0_16sqrt_kernel_cudaERNS_18TensorIteratorBaseEENKUlvE0_clEvENKUlvE1_clEvEUlN3c104HalfEE_St5arrayIPcLm2EELi4E23TrivialOffsetCalculatorILi1EjESD_NS0_6memory15LoadWithoutCastENSE_16StoreWithoutCastEEEviT_T0_T2_T3_T4_T5_.has_indirect_call, 0
	.section	.AMDGPU.csdata,"",@progbits
; Kernel info:
; codeLenInByte = 1056
; TotalNumSgprs: 16
; NumVgprs: 11
; NumAgprs: 0
; TotalNumVgprs: 11
; ScratchSize: 0
; MemoryBound: 0
; FloatMode: 240
; IeeeMode: 1
; LDSByteSize: 0 bytes/workgroup (compile time only)
; SGPRBlocks: 1
; VGPRBlocks: 1
; NumSGPRsForWavesPerEU: 16
; NumVGPRsForWavesPerEU: 11
; AccumOffset: 12
; Occupancy: 8
; WaveLimiterHint : 0
; COMPUTE_PGM_RSRC2:SCRATCH_EN: 0
; COMPUTE_PGM_RSRC2:USER_SGPR: 2
; COMPUTE_PGM_RSRC2:TRAP_HANDLER: 0
; COMPUTE_PGM_RSRC2:TGID_X_EN: 1
; COMPUTE_PGM_RSRC2:TGID_Y_EN: 0
; COMPUTE_PGM_RSRC2:TGID_Z_EN: 0
; COMPUTE_PGM_RSRC2:TIDIG_COMP_CNT: 0
; COMPUTE_PGM_RSRC3_GFX90A:ACCUM_OFFSET: 2
; COMPUTE_PGM_RSRC3_GFX90A:TG_SPLIT: 0
	.section	.text._ZN2at6native32elementwise_kernel_manual_unrollILi128ELi8EZNS0_22gpu_kernel_impl_nocastIZZZNS0_16sqrt_kernel_cudaERNS_18TensorIteratorBaseEENKUlvE0_clEvENKUlvE1_clEvEUlN3c104HalfEE_EEvS4_RKT_EUlibE_EEviT1_,"axG",@progbits,_ZN2at6native32elementwise_kernel_manual_unrollILi128ELi8EZNS0_22gpu_kernel_impl_nocastIZZZNS0_16sqrt_kernel_cudaERNS_18TensorIteratorBaseEENKUlvE0_clEvENKUlvE1_clEvEUlN3c104HalfEE_EEvS4_RKT_EUlibE_EEviT1_,comdat
	.globl	_ZN2at6native32elementwise_kernel_manual_unrollILi128ELi8EZNS0_22gpu_kernel_impl_nocastIZZZNS0_16sqrt_kernel_cudaERNS_18TensorIteratorBaseEENKUlvE0_clEvENKUlvE1_clEvEUlN3c104HalfEE_EEvS4_RKT_EUlibE_EEviT1_ ; -- Begin function _ZN2at6native32elementwise_kernel_manual_unrollILi128ELi8EZNS0_22gpu_kernel_impl_nocastIZZZNS0_16sqrt_kernel_cudaERNS_18TensorIteratorBaseEENKUlvE0_clEvENKUlvE1_clEvEUlN3c104HalfEE_EEvS4_RKT_EUlibE_EEviT1_
	.p2align	8
	.type	_ZN2at6native32elementwise_kernel_manual_unrollILi128ELi8EZNS0_22gpu_kernel_impl_nocastIZZZNS0_16sqrt_kernel_cudaERNS_18TensorIteratorBaseEENKUlvE0_clEvENKUlvE1_clEvEUlN3c104HalfEE_EEvS4_RKT_EUlibE_EEviT1_,@function
_ZN2at6native32elementwise_kernel_manual_unrollILi128ELi8EZNS0_22gpu_kernel_impl_nocastIZZZNS0_16sqrt_kernel_cudaERNS_18TensorIteratorBaseEENKUlvE0_clEvENKUlvE1_clEvEUlN3c104HalfEE_EEvS4_RKT_EUlibE_EEviT1_: ; @_ZN2at6native32elementwise_kernel_manual_unrollILi128ELi8EZNS0_22gpu_kernel_impl_nocastIZZZNS0_16sqrt_kernel_cudaERNS_18TensorIteratorBaseEENKUlvE0_clEvENKUlvE1_clEvEUlN3c104HalfEE_EEvS4_RKT_EUlibE_EEviT1_
; %bb.0:
	s_load_dword s55, s[0:1], 0x0
	s_load_dword s33, s[0:1], 0x8
	s_add_u32 s34, s0, 8
	s_addc_u32 s35, s1, 0
	v_lshl_or_b32 v24, s2, 10, v0
	v_or_b32_e32 v32, 0x380, v24
	s_waitcnt lgkmcnt(0)
	s_add_i32 s54, s33, -1
	s_cmp_gt_u32 s54, 1
	v_cmp_le_i32_e32 vcc, s55, v32
	s_cselect_b64 s[36:37], -1, 0
	s_and_saveexec_b64 s[0:1], vcc
	s_xor_b64 s[38:39], exec, s[0:1]
	s_cbranch_execz .LBB263_8
; %bb.1:
	s_load_dwordx4 s[24:27], s[34:35], 0x4
	s_load_dwordx2 s[40:41], s[34:35], 0x14
	s_load_dwordx4 s[20:23], s[34:35], 0xc4
	s_load_dwordx4 s[16:19], s[34:35], 0x148
	s_cmp_lg_u32 s33, 0
	s_cselect_b64 s[46:47], -1, 0
	s_add_u32 s44, s34, 0xc4
	s_addc_u32 s45, s35, 0
	s_min_u32 s56, s54, 15
	s_cmp_gt_u32 s33, 1
	s_cselect_b64 s[42:43], -1, 0
	v_cmp_gt_i32_e32 vcc, s55, v24
	s_and_saveexec_b64 s[48:49], vcc
	s_cbranch_execz .LBB263_15
; %bb.2:
	s_andn2_b64 vcc, exec, s[36:37]
	s_cbranch_vccnz .LBB263_23
; %bb.3:
	s_andn2_b64 vcc, exec, s[46:47]
	s_cbranch_vccnz .LBB263_131
; %bb.4:
	s_add_i32 s58, s56, 1
	s_cmp_eq_u32 s54, 2
	s_cbranch_scc1 .LBB263_133
; %bb.5:
	s_and_b32 s57, s58, 28
	s_mov_b32 s59, 0
	v_mov_b32_e32 v0, 0
	v_mov_b32_e32 v2, 0
	s_mov_b64 s[50:51], s[34:35]
	s_mov_b64 s[52:53], s[44:45]
	v_mov_b32_e32 v4, v24
.LBB263_6:                              ; =>This Inner Loop Header: Depth=1
	s_load_dwordx8 s[8:15], s[50:51], 0x4
	s_load_dwordx4 s[28:31], s[50:51], 0x24
	s_load_dwordx8 s[0:7], s[52:53], 0x0
	s_add_u32 s50, s50, 48
	s_addc_u32 s51, s51, 0
	s_waitcnt lgkmcnt(0)
	v_mul_hi_u32 v1, s9, v4
	v_add_u32_e32 v1, v4, v1
	v_lshrrev_b32_e32 v1, s10, v1
	v_mul_lo_u32 v3, v1, s8
	v_mul_hi_u32 v5, s12, v1
	v_sub_u32_e32 v3, v4, v3
	v_add_u32_e32 v4, v1, v5
	v_lshrrev_b32_e32 v4, s13, v4
	v_mul_lo_u32 v6, v4, s11
	v_mul_hi_u32 v7, s15, v4
	v_sub_u32_e32 v1, v1, v6
	v_add_u32_e32 v6, v4, v7
	v_mul_lo_u32 v5, v3, s1
	v_mul_lo_u32 v3, v3, s0
	;; [unrolled: 1-line block ×4, first 2 shown]
	v_lshrrev_b32_e32 v6, s28, v6
	v_add3_u32 v0, v3, v0, v1
	v_mul_hi_u32 v3, s30, v6
	v_add3_u32 v1, v5, v2, v7
	v_mul_lo_u32 v2, v6, s14
	v_add_u32_e32 v3, v6, v3
	v_sub_u32_e32 v2, v4, v2
	v_lshrrev_b32_e32 v4, s31, v3
	s_add_i32 s59, s59, 4
	v_mul_lo_u32 v3, v4, s29
	s_add_u32 s52, s52, 32
	v_sub_u32_e32 v3, v6, v3
	s_addc_u32 s53, s53, 0
	v_mul_lo_u32 v5, v2, s4
	v_mul_lo_u32 v2, v2, s5
	;; [unrolled: 1-line block ×4, first 2 shown]
	s_cmp_lg_u32 s57, s59
	v_add3_u32 v2, v2, v1, v3
	v_add3_u32 v0, v5, v0, v6
	s_cbranch_scc1 .LBB263_6
; %bb.7:
	v_mov_b32_e32 v1, v2
	s_branch .LBB263_134
.LBB263_8:
	s_andn2_saveexec_b64 s[0:1], s[38:39]
	s_cbranch_execz .LBB263_228
.LBB263_9:
	v_cndmask_b32_e64 v0, 0, 1, s[36:37]
	v_cmp_ne_u32_e64 s[0:1], 1, v0
	s_andn2_b64 vcc, exec, s[36:37]
	s_cbranch_vccnz .LBB263_22
; %bb.10:
	s_cmp_lg_u32 s33, 0
	s_waitcnt lgkmcnt(0)
	s_mov_b32 s26, 0
	s_cbranch_scc0 .LBB263_25
; %bb.11:
	s_min_u32 s27, s54, 15
	s_add_i32 s27, s27, 1
	s_cmp_eq_u32 s54, 2
	s_cbranch_scc1 .LBB263_26
; %bb.12:
	s_and_b32 s26, s27, 28
	s_add_u32 s2, s34, 0xc4
	s_addc_u32 s3, s35, 0
	s_mov_b32 s28, 0
	v_mov_b32_e32 v0, 0
	v_mov_b32_e32 v2, 0
	s_mov_b64 s[24:25], s[34:35]
	v_mov_b32_e32 v4, v24
.LBB263_13:                             ; =>This Inner Loop Header: Depth=1
	s_load_dwordx8 s[12:19], s[24:25], 0x4
	s_load_dwordx4 s[20:23], s[24:25], 0x24
	s_load_dwordx8 s[4:11], s[2:3], 0x0
	s_add_u32 s24, s24, 48
	s_addc_u32 s25, s25, 0
	s_waitcnt lgkmcnt(0)
	v_mul_hi_u32 v1, s13, v4
	v_add_u32_e32 v1, v4, v1
	v_lshrrev_b32_e32 v1, s14, v1
	v_mul_lo_u32 v3, v1, s12
	v_mul_hi_u32 v5, s16, v1
	v_sub_u32_e32 v3, v4, v3
	v_add_u32_e32 v4, v1, v5
	v_lshrrev_b32_e32 v4, s17, v4
	v_mul_lo_u32 v6, v4, s15
	v_mul_hi_u32 v7, s19, v4
	v_sub_u32_e32 v1, v1, v6
	v_add_u32_e32 v6, v4, v7
	v_mul_lo_u32 v5, v3, s5
	v_mul_lo_u32 v3, v3, s4
	;; [unrolled: 1-line block ×4, first 2 shown]
	v_lshrrev_b32_e32 v6, s20, v6
	v_add3_u32 v0, v3, v0, v1
	v_mul_hi_u32 v3, s22, v6
	v_add3_u32 v1, v5, v2, v7
	v_mul_lo_u32 v2, v6, s18
	v_add_u32_e32 v3, v6, v3
	v_sub_u32_e32 v2, v4, v2
	v_lshrrev_b32_e32 v4, s23, v3
	s_add_i32 s28, s28, 4
	v_mul_lo_u32 v3, v4, s21
	s_add_u32 s2, s2, 32
	v_sub_u32_e32 v3, v6, v3
	s_addc_u32 s3, s3, 0
	v_mul_lo_u32 v5, v2, s8
	v_mul_lo_u32 v2, v2, s9
	;; [unrolled: 1-line block ×4, first 2 shown]
	s_cmp_lg_u32 s26, s28
	v_add3_u32 v2, v2, v1, v3
	v_add3_u32 v0, v5, v0, v6
	s_cbranch_scc1 .LBB263_13
; %bb.14:
	v_mov_b32_e32 v1, v2
	s_and_b32 s6, s27, 3
	s_cmp_eq_u32 s6, 0
	s_cbranch_scc0 .LBB263_27
	s_branch .LBB263_29
.LBB263_15:
	s_or_b64 exec, exec, s[48:49]
	v_cmp_gt_i32_e32 vcc, s55, v24
	s_and_saveexec_b64 s[48:49], vcc
	s_cbranch_execz .LBB263_141
.LBB263_16:
	s_andn2_b64 vcc, exec, s[36:37]
	s_cbranch_vccnz .LBB263_24
; %bb.17:
	s_andn2_b64 vcc, exec, s[46:47]
	s_cbranch_vccnz .LBB263_132
; %bb.18:
	s_add_i32 s58, s56, 1
	s_cmp_eq_u32 s54, 2
	s_cbranch_scc1 .LBB263_150
; %bb.19:
	s_and_b32 s57, s58, 28
	s_mov_b32 s59, 0
	v_mov_b32_e32 v0, 0
	v_mov_b32_e32 v2, 0
	s_mov_b64 s[50:51], s[34:35]
	s_mov_b64 s[52:53], s[44:45]
	v_mov_b32_e32 v4, v24
.LBB263_20:                             ; =>This Inner Loop Header: Depth=1
	s_load_dwordx8 s[8:15], s[50:51], 0x4
	s_load_dwordx4 s[28:31], s[50:51], 0x24
	s_load_dwordx8 s[0:7], s[52:53], 0x0
	s_add_u32 s50, s50, 48
	s_addc_u32 s51, s51, 0
	s_waitcnt lgkmcnt(0)
	v_mul_hi_u32 v1, s9, v4
	v_add_u32_e32 v1, v4, v1
	v_lshrrev_b32_e32 v1, s10, v1
	v_mul_lo_u32 v3, v1, s8
	v_mul_hi_u32 v5, s12, v1
	v_sub_u32_e32 v3, v4, v3
	v_add_u32_e32 v4, v1, v5
	v_lshrrev_b32_e32 v4, s13, v4
	v_mul_lo_u32 v6, v4, s11
	v_mul_hi_u32 v7, s15, v4
	v_sub_u32_e32 v1, v1, v6
	v_add_u32_e32 v6, v4, v7
	v_mul_lo_u32 v5, v3, s1
	v_mul_lo_u32 v3, v3, s0
	;; [unrolled: 1-line block ×4, first 2 shown]
	v_lshrrev_b32_e32 v6, s28, v6
	v_add3_u32 v0, v3, v0, v1
	v_mul_hi_u32 v3, s30, v6
	v_add3_u32 v1, v5, v2, v7
	v_mul_lo_u32 v2, v6, s14
	v_add_u32_e32 v3, v6, v3
	v_sub_u32_e32 v2, v4, v2
	v_lshrrev_b32_e32 v4, s31, v3
	s_add_i32 s59, s59, 4
	v_mul_lo_u32 v3, v4, s29
	s_add_u32 s52, s52, 32
	v_sub_u32_e32 v3, v6, v3
	s_addc_u32 s53, s53, 0
	v_mul_lo_u32 v5, v2, s4
	v_mul_lo_u32 v2, v2, s5
	;; [unrolled: 1-line block ×4, first 2 shown]
	s_cmp_eq_u32 s57, s59
	v_add3_u32 v2, v2, v1, v3
	v_add3_u32 v0, v5, v0, v6
	s_cbranch_scc0 .LBB263_20
; %bb.21:
	v_mov_b32_e32 v1, v2
	s_branch .LBB263_151
.LBB263_22:
                                        ; implicit-def: $vgpr2
                                        ; implicit-def: $vgpr0
	s_branch .LBB263_30
.LBB263_23:
                                        ; implicit-def: $vgpr2
                                        ; implicit-def: $vgpr0
	s_branch .LBB263_138
.LBB263_24:
                                        ; implicit-def: $vgpr2
                                        ; implicit-def: $vgpr0
	s_branch .LBB263_155
.LBB263_25:
	v_mov_b32_e32 v2, 0
	v_mov_b32_e32 v0, 0
	s_branch .LBB263_29
.LBB263_26:
	v_mov_b32_e32 v0, 0
                                        ; implicit-def: $vgpr2
	v_mov_b32_e32 v1, v0
	v_mov_b32_e32 v4, v24
	s_and_b32 s6, s27, 3
	s_cmp_eq_u32 s6, 0
	s_cbranch_scc1 .LBB263_29
.LBB263_27:
	s_lshl_b32 s2, s26, 3
	s_add_u32 s2, s34, s2
	s_addc_u32 s3, s35, 0
	s_add_u32 s2, s2, 0xc4
	s_addc_u32 s3, s3, 0
	s_mul_i32 s4, s26, 12
	s_add_u32 s4, s34, s4
	s_addc_u32 s5, s35, 0
.LBB263_28:                             ; =>This Inner Loop Header: Depth=1
	s_load_dwordx2 s[8:9], s[4:5], 0x4
	s_load_dword s7, s[4:5], 0xc
	s_load_dwordx2 s[10:11], s[2:3], 0x0
	v_mov_b32_e32 v2, v1
	s_add_u32 s4, s4, 12
	s_waitcnt lgkmcnt(0)
	v_mul_hi_u32 v1, s9, v4
	v_add_u32_e32 v1, v4, v1
	v_lshrrev_b32_e32 v1, s7, v1
	s_addc_u32 s5, s5, 0
	v_mul_lo_u32 v3, v1, s8
	s_add_u32 s2, s2, 8
	v_sub_u32_e32 v5, v4, v3
	s_addc_u32 s3, s3, 0
	s_add_i32 s6, s6, -1
	v_mov_b32_e32 v4, v1
	v_mad_u64_u32 v[2:3], s[8:9], v5, s11, v[2:3]
	v_mad_u64_u32 v[0:1], s[8:9], v5, s10, v[0:1]
	s_cmp_lg_u32 s6, 0
	v_mov_b32_e32 v1, v2
	s_cbranch_scc1 .LBB263_28
.LBB263_29:
	s_cbranch_execnz .LBB263_32
.LBB263_30:
	s_load_dwordx4 s[4:7], s[34:35], 0x4
	s_load_dwordx2 s[2:3], s[34:35], 0xc4
	s_cmp_lt_u32 s33, 2
	s_waitcnt lgkmcnt(0)
	v_mul_hi_u32 v0, s5, v24
	v_add_u32_e32 v0, v24, v0
	v_lshrrev_b32_e32 v1, s6, v0
	v_mul_lo_u32 v0, v1, s4
	v_sub_u32_e32 v0, v24, v0
	v_mul_lo_u32 v2, v0, s3
	v_mul_lo_u32 v0, v0, s2
	s_cbranch_scc1 .LBB263_32
; %bb.31:
	s_load_dwordx4 s[4:7], s[34:35], 0x10
	s_load_dwordx2 s[2:3], s[34:35], 0xcc
	s_waitcnt lgkmcnt(0)
	v_mul_hi_u32 v3, s5, v1
	v_add_u32_e32 v3, v1, v3
	v_lshrrev_b32_e32 v3, s6, v3
	v_mul_lo_u32 v3, v3, s4
	v_sub_u32_e32 v3, v1, v3
	v_mad_u64_u32 v[0:1], s[4:5], v3, s2, v[0:1]
	v_mad_u64_u32 v[2:3], s[2:3], v3, s3, v[2:3]
.LBB263_32:
	s_and_b64 vcc, exec, s[0:1]
	v_add_u32_e32 v3, 0x80, v24
	s_cbranch_vccnz .LBB263_38
; %bb.33:
	s_cmp_lg_u32 s33, 0
	s_waitcnt lgkmcnt(0)
	s_mov_b32 s26, 0
	s_cbranch_scc0 .LBB263_39
; %bb.34:
	s_min_u32 s27, s54, 15
	s_add_i32 s27, s27, 1
	s_cmp_eq_u32 s54, 2
	s_cbranch_scc1 .LBB263_40
; %bb.35:
	s_and_b32 s26, s27, 28
	s_add_u32 s2, s34, 0xc4
	s_addc_u32 s3, s35, 0
	s_mov_b32 s28, 0
	v_mov_b32_e32 v4, 0
	v_mov_b32_e32 v6, 0
	s_mov_b64 s[24:25], s[34:35]
	v_mov_b32_e32 v8, v3
.LBB263_36:                             ; =>This Inner Loop Header: Depth=1
	s_load_dwordx8 s[12:19], s[24:25], 0x4
	s_load_dwordx4 s[20:23], s[24:25], 0x24
	s_load_dwordx8 s[4:11], s[2:3], 0x0
	s_add_u32 s24, s24, 48
	s_addc_u32 s25, s25, 0
	s_waitcnt lgkmcnt(0)
	v_mul_hi_u32 v1, s13, v8
	v_add_u32_e32 v1, v8, v1
	v_lshrrev_b32_e32 v1, s14, v1
	v_mul_hi_u32 v7, s16, v1
	v_add_u32_e32 v7, v1, v7
	v_lshrrev_b32_e32 v7, s17, v7
	v_mul_lo_u32 v5, v1, s12
	v_mul_lo_u32 v9, v7, s15
	v_mul_hi_u32 v10, s19, v7
	v_sub_u32_e32 v5, v8, v5
	v_sub_u32_e32 v1, v1, v9
	v_add_u32_e32 v9, v7, v10
	v_mul_lo_u32 v8, v5, s5
	v_mul_lo_u32 v5, v5, s4
	v_mul_lo_u32 v10, v1, s7
	v_mul_lo_u32 v1, v1, s6
	v_lshrrev_b32_e32 v9, s20, v9
	v_add3_u32 v1, v5, v4, v1
	v_add3_u32 v4, v8, v6, v10
	v_mul_hi_u32 v6, s22, v9
	v_add_u32_e32 v6, v9, v6
	v_lshrrev_b32_e32 v8, s23, v6
	s_add_i32 s28, s28, 4
	v_mul_lo_u32 v5, v9, s18
	v_mul_lo_u32 v6, v8, s21
	s_add_u32 s2, s2, 32
	v_sub_u32_e32 v5, v7, v5
	v_sub_u32_e32 v6, v9, v6
	s_addc_u32 s3, s3, 0
	v_mul_lo_u32 v7, v5, s8
	v_mul_lo_u32 v5, v5, s9
	;; [unrolled: 1-line block ×4, first 2 shown]
	s_cmp_lg_u32 s26, s28
	v_add3_u32 v6, v5, v4, v6
	v_add3_u32 v4, v7, v1, v9
	s_cbranch_scc1 .LBB263_36
; %bb.37:
	v_mov_b32_e32 v1, v6
	s_and_b32 s6, s27, 3
	s_cmp_eq_u32 s6, 0
	s_cbranch_scc0 .LBB263_41
	s_branch .LBB263_43
.LBB263_38:
                                        ; implicit-def: $vgpr6
                                        ; implicit-def: $vgpr4
	s_branch .LBB263_44
.LBB263_39:
	v_mov_b32_e32 v6, 0
	v_mov_b32_e32 v4, 0
	s_branch .LBB263_43
.LBB263_40:
	v_mov_b32_e32 v4, 0
                                        ; implicit-def: $vgpr6
	v_mov_b32_e32 v1, v4
	v_mov_b32_e32 v8, v3
	s_and_b32 s6, s27, 3
	s_cmp_eq_u32 s6, 0
	s_cbranch_scc1 .LBB263_43
.LBB263_41:
	s_lshl_b32 s2, s26, 3
	s_add_u32 s2, s34, s2
	s_addc_u32 s3, s35, 0
	s_add_u32 s2, s2, 0xc4
	s_addc_u32 s3, s3, 0
	s_mul_i32 s4, s26, 12
	s_add_u32 s4, s34, s4
	s_addc_u32 s5, s35, 0
.LBB263_42:                             ; =>This Inner Loop Header: Depth=1
	s_load_dwordx2 s[8:9], s[4:5], 0x4
	s_load_dword s7, s[4:5], 0xc
	s_load_dwordx2 s[10:11], s[2:3], 0x0
	v_mov_b32_e32 v6, v1
	s_add_u32 s4, s4, 12
	s_waitcnt lgkmcnt(0)
	v_mul_hi_u32 v1, s9, v8
	v_add_u32_e32 v1, v8, v1
	v_lshrrev_b32_e32 v1, s7, v1
	s_addc_u32 s5, s5, 0
	v_mul_lo_u32 v5, v1, s8
	s_add_u32 s2, s2, 8
	v_sub_u32_e32 v5, v8, v5
	s_addc_u32 s3, s3, 0
	s_add_i32 s6, s6, -1
	v_mad_u64_u32 v[6:7], s[8:9], v5, s11, v[6:7]
	s_cmp_lg_u32 s6, 0
	v_mov_b32_e32 v8, v1
	v_mad_u64_u32 v[4:5], s[8:9], v5, s10, v[4:5]
	v_mov_b32_e32 v1, v6
	s_cbranch_scc1 .LBB263_42
.LBB263_43:
	s_cbranch_execnz .LBB263_46
.LBB263_44:
	s_load_dwordx4 s[4:7], s[34:35], 0x4
	s_load_dwordx2 s[2:3], s[34:35], 0xc4
	s_cmp_lt_u32 s33, 2
	s_waitcnt lgkmcnt(0)
	v_mul_hi_u32 v1, s5, v3
	v_add_u32_e32 v1, v3, v1
	v_lshrrev_b32_e32 v1, s6, v1
	v_mul_lo_u32 v4, v1, s4
	v_sub_u32_e32 v3, v3, v4
	v_mul_lo_u32 v6, v3, s3
	v_mul_lo_u32 v4, v3, s2
	s_cbranch_scc1 .LBB263_46
; %bb.45:
	s_load_dwordx4 s[4:7], s[34:35], 0x10
	s_load_dwordx2 s[2:3], s[34:35], 0xcc
	s_waitcnt lgkmcnt(0)
	v_mul_hi_u32 v3, s5, v1
	v_add_u32_e32 v3, v1, v3
	v_lshrrev_b32_e32 v3, s6, v3
	v_mul_lo_u32 v3, v3, s4
	v_sub_u32_e32 v1, v1, v3
	v_mad_u64_u32 v[4:5], s[4:5], v1, s2, v[4:5]
	v_mad_u64_u32 v[6:7], s[2:3], v1, s3, v[6:7]
.LBB263_46:
	s_and_b64 vcc, exec, s[0:1]
	v_add_u32_e32 v3, 0x100, v24
	s_cbranch_vccnz .LBB263_52
; %bb.47:
	s_cmp_lg_u32 s33, 0
	s_waitcnt lgkmcnt(0)
	s_mov_b32 s26, 0
	s_cbranch_scc0 .LBB263_53
; %bb.48:
	s_min_u32 s27, s54, 15
	s_add_i32 s27, s27, 1
	s_cmp_eq_u32 s54, 2
	s_cbranch_scc1 .LBB263_54
; %bb.49:
	s_and_b32 s26, s27, 28
	s_add_u32 s2, s34, 0xc4
	s_addc_u32 s3, s35, 0
	s_mov_b32 s28, 0
	v_mov_b32_e32 v8, 0
	v_mov_b32_e32 v10, 0
	s_mov_b64 s[24:25], s[34:35]
	v_mov_b32_e32 v5, v3
.LBB263_50:                             ; =>This Inner Loop Header: Depth=1
	s_load_dwordx8 s[12:19], s[24:25], 0x4
	s_load_dwordx4 s[20:23], s[24:25], 0x24
	s_load_dwordx8 s[4:11], s[2:3], 0x0
	s_add_u32 s24, s24, 48
	s_addc_u32 s25, s25, 0
	s_waitcnt lgkmcnt(0)
	v_mul_hi_u32 v1, s13, v5
	v_add_u32_e32 v1, v5, v1
	v_lshrrev_b32_e32 v1, s14, v1
	v_mul_lo_u32 v7, v1, s12
	v_mul_hi_u32 v9, s16, v1
	v_sub_u32_e32 v5, v5, v7
	v_add_u32_e32 v7, v1, v9
	v_lshrrev_b32_e32 v7, s17, v7
	v_mul_lo_u32 v11, v7, s15
	v_mul_hi_u32 v12, s19, v7
	v_sub_u32_e32 v1, v1, v11
	v_add_u32_e32 v11, v7, v12
	v_mul_lo_u32 v9, v5, s5
	v_mul_lo_u32 v5, v5, s4
	;; [unrolled: 1-line block ×4, first 2 shown]
	v_lshrrev_b32_e32 v11, s20, v11
	v_add3_u32 v1, v5, v8, v1
	v_add3_u32 v8, v9, v10, v12
	v_mul_lo_u32 v5, v11, s18
	v_mul_hi_u32 v9, s22, v11
	v_sub_u32_e32 v5, v7, v5
	v_add_u32_e32 v7, v11, v9
	v_mul_lo_u32 v9, v5, s8
	v_mul_lo_u32 v10, v5, s9
	v_lshrrev_b32_e32 v5, s23, v7
	s_add_i32 s28, s28, 4
	v_mul_lo_u32 v7, v5, s21
	s_add_u32 s2, s2, 32
	v_sub_u32_e32 v7, v11, v7
	s_addc_u32 s3, s3, 0
	v_mul_lo_u32 v11, v7, s10
	v_mul_lo_u32 v7, v7, s11
	s_cmp_lg_u32 s26, s28
	v_add3_u32 v10, v10, v8, v7
	v_add3_u32 v8, v9, v1, v11
	s_cbranch_scc1 .LBB263_50
; %bb.51:
	v_mov_b32_e32 v1, v10
	s_and_b32 s6, s27, 3
	s_cmp_eq_u32 s6, 0
	s_cbranch_scc0 .LBB263_55
	s_branch .LBB263_57
.LBB263_52:
                                        ; implicit-def: $vgpr10
                                        ; implicit-def: $vgpr8
	s_branch .LBB263_58
.LBB263_53:
	v_mov_b32_e32 v10, 0
	v_mov_b32_e32 v8, 0
	s_branch .LBB263_57
.LBB263_54:
	v_mov_b32_e32 v8, 0
                                        ; implicit-def: $vgpr10
	v_mov_b32_e32 v1, v8
	v_mov_b32_e32 v5, v3
	s_and_b32 s6, s27, 3
	s_cmp_eq_u32 s6, 0
	s_cbranch_scc1 .LBB263_57
.LBB263_55:
	s_lshl_b32 s2, s26, 3
	s_add_u32 s2, s34, s2
	s_addc_u32 s3, s35, 0
	s_add_u32 s2, s2, 0xc4
	s_addc_u32 s3, s3, 0
	s_mul_i32 s4, s26, 12
	s_add_u32 s4, s34, s4
	s_addc_u32 s5, s35, 0
.LBB263_56:                             ; =>This Inner Loop Header: Depth=1
	s_load_dwordx2 s[8:9], s[4:5], 0x4
	s_load_dword s7, s[4:5], 0xc
	s_load_dwordx2 s[10:11], s[2:3], 0x0
	v_mov_b32_e32 v10, v1
	s_add_u32 s4, s4, 12
	s_waitcnt lgkmcnt(0)
	v_mul_hi_u32 v1, s9, v5
	v_add_u32_e32 v1, v5, v1
	v_lshrrev_b32_e32 v1, s7, v1
	s_addc_u32 s5, s5, 0
	v_mul_lo_u32 v7, v1, s8
	s_add_u32 s2, s2, 8
	v_sub_u32_e32 v7, v5, v7
	s_addc_u32 s3, s3, 0
	s_add_i32 s6, s6, -1
	v_mad_u64_u32 v[10:11], s[8:9], v7, s11, v[10:11]
	s_cmp_lg_u32 s6, 0
	v_mov_b32_e32 v5, v1
	v_mad_u64_u32 v[8:9], s[8:9], v7, s10, v[8:9]
	v_mov_b32_e32 v1, v10
	s_cbranch_scc1 .LBB263_56
.LBB263_57:
	s_cbranch_execnz .LBB263_60
.LBB263_58:
	s_load_dwordx4 s[4:7], s[34:35], 0x4
	s_load_dwordx2 s[2:3], s[34:35], 0xc4
	s_cmp_lt_u32 s33, 2
	s_waitcnt lgkmcnt(0)
	v_mul_hi_u32 v1, s5, v3
	v_add_u32_e32 v1, v3, v1
	v_lshrrev_b32_e32 v1, s6, v1
	v_mul_lo_u32 v5, v1, s4
	v_sub_u32_e32 v3, v3, v5
	v_mul_lo_u32 v10, v3, s3
	v_mul_lo_u32 v8, v3, s2
	s_cbranch_scc1 .LBB263_60
; %bb.59:
	s_load_dwordx4 s[4:7], s[34:35], 0x10
	s_load_dwordx2 s[2:3], s[34:35], 0xcc
	s_waitcnt lgkmcnt(0)
	v_mul_hi_u32 v3, s5, v1
	v_add_u32_e32 v3, v1, v3
	v_lshrrev_b32_e32 v3, s6, v3
	v_mul_lo_u32 v3, v3, s4
	v_sub_u32_e32 v1, v1, v3
	v_mad_u64_u32 v[8:9], s[4:5], v1, s2, v[8:9]
	v_mad_u64_u32 v[10:11], s[2:3], v1, s3, v[10:11]
.LBB263_60:
	s_and_b64 vcc, exec, s[0:1]
	v_add_u32_e32 v3, 0x180, v24
	s_cbranch_vccnz .LBB263_66
; %bb.61:
	s_cmp_lg_u32 s33, 0
	s_waitcnt lgkmcnt(0)
	s_mov_b32 s26, 0
	s_cbranch_scc0 .LBB263_67
; %bb.62:
	s_min_u32 s27, s54, 15
	s_add_i32 s27, s27, 1
	s_cmp_eq_u32 s54, 2
	s_cbranch_scc1 .LBB263_68
; %bb.63:
	s_and_b32 s26, s27, 28
	s_add_u32 s2, s34, 0xc4
	s_addc_u32 s3, s35, 0
	s_mov_b32 s28, 0
	v_mov_b32_e32 v12, 0
	v_mov_b32_e32 v14, 0
	s_mov_b64 s[24:25], s[34:35]
	v_mov_b32_e32 v5, v3
.LBB263_64:                             ; =>This Inner Loop Header: Depth=1
	s_load_dwordx8 s[12:19], s[24:25], 0x4
	s_load_dwordx4 s[20:23], s[24:25], 0x24
	s_load_dwordx8 s[4:11], s[2:3], 0x0
	s_add_u32 s24, s24, 48
	s_addc_u32 s25, s25, 0
	s_waitcnt lgkmcnt(0)
	v_mul_hi_u32 v1, s13, v5
	v_add_u32_e32 v1, v5, v1
	v_lshrrev_b32_e32 v1, s14, v1
	v_mul_lo_u32 v7, v1, s12
	v_mul_hi_u32 v9, s16, v1
	v_sub_u32_e32 v5, v5, v7
	v_add_u32_e32 v7, v1, v9
	v_lshrrev_b32_e32 v7, s17, v7
	v_mul_lo_u32 v11, v7, s15
	v_mul_hi_u32 v13, s19, v7
	v_sub_u32_e32 v1, v1, v11
	v_add_u32_e32 v11, v7, v13
	v_mul_lo_u32 v9, v5, s5
	v_mul_lo_u32 v5, v5, s4
	;; [unrolled: 1-line block ×4, first 2 shown]
	v_lshrrev_b32_e32 v11, s20, v11
	v_add3_u32 v1, v5, v12, v1
	v_mul_lo_u32 v5, v11, s18
	v_mul_hi_u32 v12, s22, v11
	v_sub_u32_e32 v5, v7, v5
	v_add_u32_e32 v7, v11, v12
	v_add3_u32 v9, v9, v14, v13
	v_mul_lo_u32 v12, v5, s8
	v_mul_lo_u32 v13, v5, s9
	v_lshrrev_b32_e32 v5, s23, v7
	s_add_i32 s28, s28, 4
	v_mul_lo_u32 v7, v5, s21
	s_add_u32 s2, s2, 32
	v_sub_u32_e32 v7, v11, v7
	s_addc_u32 s3, s3, 0
	v_mul_lo_u32 v11, v7, s10
	v_mul_lo_u32 v7, v7, s11
	s_cmp_lg_u32 s26, s28
	v_add3_u32 v14, v13, v9, v7
	v_add3_u32 v12, v12, v1, v11
	s_cbranch_scc1 .LBB263_64
; %bb.65:
	v_mov_b32_e32 v1, v14
	s_and_b32 s6, s27, 3
	s_cmp_eq_u32 s6, 0
	s_cbranch_scc0 .LBB263_69
	s_branch .LBB263_71
.LBB263_66:
                                        ; implicit-def: $vgpr14
                                        ; implicit-def: $vgpr12
	s_branch .LBB263_72
.LBB263_67:
	v_mov_b32_e32 v14, 0
	v_mov_b32_e32 v12, 0
	s_branch .LBB263_71
.LBB263_68:
	v_mov_b32_e32 v12, 0
                                        ; implicit-def: $vgpr14
	v_mov_b32_e32 v1, v12
	v_mov_b32_e32 v5, v3
	s_and_b32 s6, s27, 3
	s_cmp_eq_u32 s6, 0
	s_cbranch_scc1 .LBB263_71
.LBB263_69:
	s_lshl_b32 s2, s26, 3
	s_add_u32 s2, s34, s2
	s_addc_u32 s3, s35, 0
	s_add_u32 s2, s2, 0xc4
	s_addc_u32 s3, s3, 0
	s_mul_i32 s4, s26, 12
	s_add_u32 s4, s34, s4
	s_addc_u32 s5, s35, 0
.LBB263_70:                             ; =>This Inner Loop Header: Depth=1
	s_load_dwordx2 s[8:9], s[4:5], 0x4
	s_load_dword s7, s[4:5], 0xc
	s_load_dwordx2 s[10:11], s[2:3], 0x0
	v_mov_b32_e32 v14, v1
	s_add_u32 s4, s4, 12
	s_waitcnt lgkmcnt(0)
	v_mul_hi_u32 v1, s9, v5
	v_add_u32_e32 v1, v5, v1
	v_lshrrev_b32_e32 v1, s7, v1
	s_addc_u32 s5, s5, 0
	v_mul_lo_u32 v7, v1, s8
	s_add_u32 s2, s2, 8
	v_sub_u32_e32 v7, v5, v7
	s_addc_u32 s3, s3, 0
	s_add_i32 s6, s6, -1
	v_mad_u64_u32 v[14:15], s[8:9], v7, s11, v[14:15]
	s_cmp_lg_u32 s6, 0
	v_mov_b32_e32 v5, v1
	v_mad_u64_u32 v[12:13], s[8:9], v7, s10, v[12:13]
	v_mov_b32_e32 v1, v14
	s_cbranch_scc1 .LBB263_70
.LBB263_71:
	s_cbranch_execnz .LBB263_74
.LBB263_72:
	s_load_dwordx4 s[4:7], s[34:35], 0x4
	s_load_dwordx2 s[2:3], s[34:35], 0xc4
	s_cmp_lt_u32 s33, 2
	s_waitcnt lgkmcnt(0)
	v_mul_hi_u32 v1, s5, v3
	v_add_u32_e32 v1, v3, v1
	v_lshrrev_b32_e32 v1, s6, v1
	v_mul_lo_u32 v5, v1, s4
	v_sub_u32_e32 v3, v3, v5
	v_mul_lo_u32 v14, v3, s3
	v_mul_lo_u32 v12, v3, s2
	s_cbranch_scc1 .LBB263_74
; %bb.73:
	s_load_dwordx4 s[4:7], s[34:35], 0x10
	s_load_dwordx2 s[2:3], s[34:35], 0xcc
	s_waitcnt lgkmcnt(0)
	v_mul_hi_u32 v3, s5, v1
	v_add_u32_e32 v3, v1, v3
	v_lshrrev_b32_e32 v3, s6, v3
	v_mul_lo_u32 v3, v3, s4
	v_sub_u32_e32 v1, v1, v3
	v_mad_u64_u32 v[12:13], s[4:5], v1, s2, v[12:13]
	v_mad_u64_u32 v[14:15], s[2:3], v1, s3, v[14:15]
.LBB263_74:
	s_and_b64 vcc, exec, s[0:1]
	v_add_u32_e32 v3, 0x200, v24
	s_cbranch_vccnz .LBB263_80
; %bb.75:
	s_cmp_lg_u32 s33, 0
	s_waitcnt lgkmcnt(0)
	s_mov_b32 s26, 0
	s_cbranch_scc0 .LBB263_81
; %bb.76:
	s_min_u32 s27, s54, 15
	s_add_i32 s27, s27, 1
	s_cmp_eq_u32 s54, 2
	s_cbranch_scc1 .LBB263_82
; %bb.77:
	s_and_b32 s26, s27, 28
	s_add_u32 s2, s34, 0xc4
	s_addc_u32 s3, s35, 0
	s_mov_b32 s28, 0
	v_mov_b32_e32 v16, 0
	v_mov_b32_e32 v18, 0
	s_mov_b64 s[24:25], s[34:35]
	v_mov_b32_e32 v5, v3
.LBB263_78:                             ; =>This Inner Loop Header: Depth=1
	s_load_dwordx8 s[12:19], s[24:25], 0x4
	s_load_dwordx4 s[20:23], s[24:25], 0x24
	s_load_dwordx8 s[4:11], s[2:3], 0x0
	s_add_u32 s24, s24, 48
	s_addc_u32 s25, s25, 0
	s_waitcnt lgkmcnt(0)
	v_mul_hi_u32 v1, s13, v5
	v_add_u32_e32 v1, v5, v1
	v_lshrrev_b32_e32 v1, s14, v1
	v_mul_lo_u32 v7, v1, s12
	v_mul_hi_u32 v9, s16, v1
	v_sub_u32_e32 v5, v5, v7
	v_add_u32_e32 v7, v1, v9
	v_lshrrev_b32_e32 v7, s17, v7
	v_mul_lo_u32 v11, v7, s15
	v_mul_hi_u32 v13, s19, v7
	v_sub_u32_e32 v1, v1, v11
	v_add_u32_e32 v11, v7, v13
	v_mul_lo_u32 v9, v5, s5
	v_mul_lo_u32 v5, v5, s4
	;; [unrolled: 1-line block ×4, first 2 shown]
	v_lshrrev_b32_e32 v11, s20, v11
	v_add3_u32 v1, v5, v16, v1
	v_add3_u32 v9, v9, v18, v13
	v_mul_lo_u32 v5, v11, s18
	v_mul_hi_u32 v13, s22, v11
	v_sub_u32_e32 v5, v7, v5
	v_add_u32_e32 v7, v11, v13
	v_mul_lo_u32 v13, v5, s8
	v_mul_lo_u32 v15, v5, s9
	v_lshrrev_b32_e32 v5, s23, v7
	s_add_i32 s28, s28, 4
	v_mul_lo_u32 v7, v5, s21
	s_add_u32 s2, s2, 32
	v_sub_u32_e32 v7, v11, v7
	s_addc_u32 s3, s3, 0
	v_mul_lo_u32 v11, v7, s10
	v_mul_lo_u32 v7, v7, s11
	s_cmp_lg_u32 s26, s28
	v_add3_u32 v18, v15, v9, v7
	v_add3_u32 v16, v13, v1, v11
	s_cbranch_scc1 .LBB263_78
; %bb.79:
	v_mov_b32_e32 v1, v18
	s_and_b32 s6, s27, 3
	s_cmp_eq_u32 s6, 0
	s_cbranch_scc0 .LBB263_83
	s_branch .LBB263_85
.LBB263_80:
                                        ; implicit-def: $vgpr18
                                        ; implicit-def: $vgpr16
	s_branch .LBB263_86
.LBB263_81:
	v_mov_b32_e32 v18, 0
	v_mov_b32_e32 v16, 0
	s_branch .LBB263_85
.LBB263_82:
	v_mov_b32_e32 v16, 0
                                        ; implicit-def: $vgpr18
	v_mov_b32_e32 v1, v16
	v_mov_b32_e32 v5, v3
	s_and_b32 s6, s27, 3
	s_cmp_eq_u32 s6, 0
	s_cbranch_scc1 .LBB263_85
.LBB263_83:
	s_lshl_b32 s2, s26, 3
	s_add_u32 s2, s34, s2
	s_addc_u32 s3, s35, 0
	s_add_u32 s2, s2, 0xc4
	s_addc_u32 s3, s3, 0
	s_mul_i32 s4, s26, 12
	s_add_u32 s4, s34, s4
	s_addc_u32 s5, s35, 0
.LBB263_84:                             ; =>This Inner Loop Header: Depth=1
	s_load_dwordx2 s[8:9], s[4:5], 0x4
	s_load_dword s7, s[4:5], 0xc
	s_load_dwordx2 s[10:11], s[2:3], 0x0
	v_mov_b32_e32 v18, v1
	s_add_u32 s4, s4, 12
	s_waitcnt lgkmcnt(0)
	v_mul_hi_u32 v1, s9, v5
	v_add_u32_e32 v1, v5, v1
	v_lshrrev_b32_e32 v1, s7, v1
	s_addc_u32 s5, s5, 0
	v_mul_lo_u32 v7, v1, s8
	s_add_u32 s2, s2, 8
	v_sub_u32_e32 v7, v5, v7
	s_addc_u32 s3, s3, 0
	s_add_i32 s6, s6, -1
	v_mad_u64_u32 v[18:19], s[8:9], v7, s11, v[18:19]
	s_cmp_lg_u32 s6, 0
	v_mov_b32_e32 v5, v1
	v_mad_u64_u32 v[16:17], s[8:9], v7, s10, v[16:17]
	v_mov_b32_e32 v1, v18
	s_cbranch_scc1 .LBB263_84
.LBB263_85:
	s_cbranch_execnz .LBB263_88
.LBB263_86:
	s_load_dwordx4 s[4:7], s[34:35], 0x4
	s_load_dwordx2 s[2:3], s[34:35], 0xc4
	s_cmp_lt_u32 s33, 2
	s_waitcnt lgkmcnt(0)
	v_mul_hi_u32 v1, s5, v3
	v_add_u32_e32 v1, v3, v1
	v_lshrrev_b32_e32 v1, s6, v1
	v_mul_lo_u32 v5, v1, s4
	v_sub_u32_e32 v3, v3, v5
	v_mul_lo_u32 v18, v3, s3
	v_mul_lo_u32 v16, v3, s2
	s_cbranch_scc1 .LBB263_88
; %bb.87:
	s_load_dwordx4 s[4:7], s[34:35], 0x10
	s_load_dwordx2 s[2:3], s[34:35], 0xcc
	s_waitcnt lgkmcnt(0)
	v_mul_hi_u32 v3, s5, v1
	v_add_u32_e32 v3, v1, v3
	v_lshrrev_b32_e32 v3, s6, v3
	v_mul_lo_u32 v3, v3, s4
	v_sub_u32_e32 v1, v1, v3
	v_mad_u64_u32 v[16:17], s[4:5], v1, s2, v[16:17]
	v_mad_u64_u32 v[18:19], s[2:3], v1, s3, v[18:19]
.LBB263_88:
	s_and_b64 vcc, exec, s[0:1]
	v_add_u32_e32 v3, 0x280, v24
	s_cbranch_vccnz .LBB263_94
; %bb.89:
	s_cmp_lg_u32 s33, 0
	s_waitcnt lgkmcnt(0)
	s_mov_b32 s26, 0
	s_cbranch_scc0 .LBB263_95
; %bb.90:
	s_min_u32 s27, s54, 15
	s_add_i32 s27, s27, 1
	s_cmp_eq_u32 s54, 2
	s_cbranch_scc1 .LBB263_96
; %bb.91:
	s_and_b32 s26, s27, 28
	s_add_u32 s2, s34, 0xc4
	s_addc_u32 s3, s35, 0
	s_mov_b32 s28, 0
	v_mov_b32_e32 v20, 0
	v_mov_b32_e32 v22, 0
	s_mov_b64 s[24:25], s[34:35]
	v_mov_b32_e32 v5, v3
.LBB263_92:                             ; =>This Inner Loop Header: Depth=1
	s_load_dwordx8 s[12:19], s[24:25], 0x4
	s_load_dwordx4 s[20:23], s[24:25], 0x24
	s_load_dwordx8 s[4:11], s[2:3], 0x0
	s_add_u32 s24, s24, 48
	s_addc_u32 s25, s25, 0
	s_waitcnt lgkmcnt(0)
	v_mul_hi_u32 v1, s13, v5
	v_add_u32_e32 v1, v5, v1
	v_lshrrev_b32_e32 v1, s14, v1
	v_mul_lo_u32 v7, v1, s12
	v_mul_hi_u32 v9, s16, v1
	v_sub_u32_e32 v5, v5, v7
	v_add_u32_e32 v7, v1, v9
	v_lshrrev_b32_e32 v7, s17, v7
	v_mul_lo_u32 v11, v7, s15
	v_mul_hi_u32 v13, s19, v7
	v_sub_u32_e32 v1, v1, v11
	v_add_u32_e32 v11, v7, v13
	v_mul_lo_u32 v9, v5, s5
	v_mul_lo_u32 v5, v5, s4
	;; [unrolled: 1-line block ×4, first 2 shown]
	v_lshrrev_b32_e32 v11, s20, v11
	v_add3_u32 v1, v5, v20, v1
	v_add3_u32 v9, v9, v22, v13
	v_mul_lo_u32 v5, v11, s18
	v_mul_hi_u32 v13, s22, v11
	v_sub_u32_e32 v5, v7, v5
	v_add_u32_e32 v7, v11, v13
	v_mul_lo_u32 v13, v5, s8
	v_mul_lo_u32 v15, v5, s9
	v_lshrrev_b32_e32 v5, s23, v7
	s_add_i32 s28, s28, 4
	v_mul_lo_u32 v7, v5, s21
	s_add_u32 s2, s2, 32
	v_sub_u32_e32 v7, v11, v7
	s_addc_u32 s3, s3, 0
	v_mul_lo_u32 v11, v7, s10
	v_mul_lo_u32 v7, v7, s11
	s_cmp_lg_u32 s26, s28
	v_add3_u32 v22, v15, v9, v7
	v_add3_u32 v20, v13, v1, v11
	s_cbranch_scc1 .LBB263_92
; %bb.93:
	v_mov_b32_e32 v1, v22
	s_and_b32 s6, s27, 3
	s_cmp_eq_u32 s6, 0
	s_cbranch_scc0 .LBB263_97
	s_branch .LBB263_99
.LBB263_94:
                                        ; implicit-def: $vgpr22
                                        ; implicit-def: $vgpr20
	s_branch .LBB263_100
.LBB263_95:
	v_mov_b32_e32 v22, 0
	v_mov_b32_e32 v20, 0
	s_branch .LBB263_99
.LBB263_96:
	v_mov_b32_e32 v20, 0
                                        ; implicit-def: $vgpr22
	v_mov_b32_e32 v1, v20
	v_mov_b32_e32 v5, v3
	s_and_b32 s6, s27, 3
	s_cmp_eq_u32 s6, 0
	s_cbranch_scc1 .LBB263_99
.LBB263_97:
	s_lshl_b32 s2, s26, 3
	s_add_u32 s2, s34, s2
	s_addc_u32 s3, s35, 0
	s_add_u32 s2, s2, 0xc4
	s_addc_u32 s3, s3, 0
	s_mul_i32 s4, s26, 12
	s_add_u32 s4, s34, s4
	s_addc_u32 s5, s35, 0
.LBB263_98:                             ; =>This Inner Loop Header: Depth=1
	s_load_dwordx2 s[8:9], s[4:5], 0x4
	s_load_dword s7, s[4:5], 0xc
	s_load_dwordx2 s[10:11], s[2:3], 0x0
	v_mov_b32_e32 v22, v1
	s_add_u32 s4, s4, 12
	s_waitcnt lgkmcnt(0)
	v_mul_hi_u32 v1, s9, v5
	v_add_u32_e32 v1, v5, v1
	v_lshrrev_b32_e32 v1, s7, v1
	s_addc_u32 s5, s5, 0
	v_mul_lo_u32 v7, v1, s8
	s_add_u32 s2, s2, 8
	v_sub_u32_e32 v7, v5, v7
	s_addc_u32 s3, s3, 0
	s_add_i32 s6, s6, -1
	v_mad_u64_u32 v[22:23], s[8:9], v7, s11, v[22:23]
	s_cmp_lg_u32 s6, 0
	v_mov_b32_e32 v5, v1
	v_mad_u64_u32 v[20:21], s[8:9], v7, s10, v[20:21]
	v_mov_b32_e32 v1, v22
	s_cbranch_scc1 .LBB263_98
.LBB263_99:
	s_cbranch_execnz .LBB263_102
.LBB263_100:
	s_load_dwordx4 s[4:7], s[34:35], 0x4
	s_load_dwordx2 s[2:3], s[34:35], 0xc4
	s_cmp_lt_u32 s33, 2
	s_waitcnt lgkmcnt(0)
	v_mul_hi_u32 v1, s5, v3
	v_add_u32_e32 v1, v3, v1
	v_lshrrev_b32_e32 v1, s6, v1
	v_mul_lo_u32 v5, v1, s4
	v_sub_u32_e32 v3, v3, v5
	v_mul_lo_u32 v22, v3, s3
	v_mul_lo_u32 v20, v3, s2
	s_cbranch_scc1 .LBB263_102
; %bb.101:
	s_load_dwordx4 s[4:7], s[34:35], 0x10
	s_load_dwordx2 s[2:3], s[34:35], 0xcc
	s_waitcnt lgkmcnt(0)
	v_mul_hi_u32 v3, s5, v1
	v_add_u32_e32 v3, v1, v3
	v_lshrrev_b32_e32 v3, s6, v3
	v_mul_lo_u32 v3, v3, s4
	v_sub_u32_e32 v1, v1, v3
	v_mad_u64_u32 v[20:21], s[4:5], v1, s2, v[20:21]
	v_mad_u64_u32 v[22:23], s[2:3], v1, s3, v[22:23]
.LBB263_102:
	s_and_b64 vcc, exec, s[0:1]
	v_add_u32_e32 v3, 0x300, v24
	s_cbranch_vccnz .LBB263_108
; %bb.103:
	s_cmp_lg_u32 s33, 0
	s_waitcnt lgkmcnt(0)
	s_mov_b32 s26, 0
	s_cbranch_scc0 .LBB263_109
; %bb.104:
	s_min_u32 s27, s54, 15
	s_add_i32 s27, s27, 1
	s_cmp_eq_u32 s54, 2
	s_cbranch_scc1 .LBB263_110
; %bb.105:
	s_and_b32 s26, s27, 28
	s_add_u32 s2, s34, 0xc4
	s_addc_u32 s3, s35, 0
	s_mov_b32 s28, 0
	v_mov_b32_e32 v24, 0
	v_mov_b32_e32 v26, 0
	s_mov_b64 s[24:25], s[34:35]
	v_mov_b32_e32 v5, v3
.LBB263_106:                            ; =>This Inner Loop Header: Depth=1
	s_load_dwordx8 s[12:19], s[24:25], 0x4
	s_load_dwordx4 s[20:23], s[24:25], 0x24
	s_load_dwordx8 s[4:11], s[2:3], 0x0
	s_add_u32 s24, s24, 48
	s_addc_u32 s25, s25, 0
	s_waitcnt lgkmcnt(0)
	v_mul_hi_u32 v1, s13, v5
	v_add_u32_e32 v1, v5, v1
	v_lshrrev_b32_e32 v1, s14, v1
	v_mul_lo_u32 v7, v1, s12
	v_mul_hi_u32 v9, s16, v1
	v_sub_u32_e32 v5, v5, v7
	v_add_u32_e32 v7, v1, v9
	v_lshrrev_b32_e32 v7, s17, v7
	v_mul_lo_u32 v11, v7, s15
	v_mul_hi_u32 v13, s19, v7
	v_sub_u32_e32 v1, v1, v11
	v_add_u32_e32 v11, v7, v13
	v_mul_lo_u32 v9, v5, s5
	v_mul_lo_u32 v5, v5, s4
	;; [unrolled: 1-line block ×4, first 2 shown]
	v_lshrrev_b32_e32 v11, s20, v11
	v_add3_u32 v1, v5, v24, v1
	v_add3_u32 v9, v9, v26, v13
	v_mul_lo_u32 v5, v11, s18
	v_mul_hi_u32 v13, s22, v11
	v_sub_u32_e32 v5, v7, v5
	v_add_u32_e32 v7, v11, v13
	v_mul_lo_u32 v13, v5, s8
	v_mul_lo_u32 v15, v5, s9
	v_lshrrev_b32_e32 v5, s23, v7
	s_add_i32 s28, s28, 4
	v_mul_lo_u32 v7, v5, s21
	s_add_u32 s2, s2, 32
	v_sub_u32_e32 v7, v11, v7
	s_addc_u32 s3, s3, 0
	v_mul_lo_u32 v11, v7, s10
	v_mul_lo_u32 v7, v7, s11
	s_cmp_lg_u32 s26, s28
	v_add3_u32 v26, v15, v9, v7
	v_add3_u32 v24, v13, v1, v11
	s_cbranch_scc1 .LBB263_106
; %bb.107:
	v_mov_b32_e32 v1, v26
	s_and_b32 s6, s27, 3
	s_cmp_eq_u32 s6, 0
	s_cbranch_scc0 .LBB263_111
	s_branch .LBB263_113
.LBB263_108:
                                        ; implicit-def: $vgpr26
                                        ; implicit-def: $vgpr24
	s_branch .LBB263_114
.LBB263_109:
	v_mov_b32_e32 v26, 0
	v_mov_b32_e32 v24, 0
	s_branch .LBB263_113
.LBB263_110:
	v_mov_b32_e32 v24, 0
                                        ; implicit-def: $vgpr26
	v_mov_b32_e32 v1, v24
	v_mov_b32_e32 v5, v3
	s_and_b32 s6, s27, 3
	s_cmp_eq_u32 s6, 0
	s_cbranch_scc1 .LBB263_113
.LBB263_111:
	s_lshl_b32 s2, s26, 3
	s_add_u32 s2, s34, s2
	s_addc_u32 s3, s35, 0
	s_add_u32 s2, s2, 0xc4
	s_addc_u32 s3, s3, 0
	s_mul_i32 s4, s26, 12
	s_add_u32 s4, s34, s4
	s_addc_u32 s5, s35, 0
.LBB263_112:                            ; =>This Inner Loop Header: Depth=1
	s_load_dwordx2 s[8:9], s[4:5], 0x4
	s_load_dword s7, s[4:5], 0xc
	s_load_dwordx2 s[10:11], s[2:3], 0x0
	v_mov_b32_e32 v26, v1
	s_add_u32 s4, s4, 12
	s_waitcnt lgkmcnt(0)
	v_mul_hi_u32 v1, s9, v5
	v_add_u32_e32 v1, v5, v1
	v_lshrrev_b32_e32 v1, s7, v1
	s_addc_u32 s5, s5, 0
	v_mul_lo_u32 v7, v1, s8
	s_add_u32 s2, s2, 8
	v_sub_u32_e32 v7, v5, v7
	s_addc_u32 s3, s3, 0
	s_add_i32 s6, s6, -1
	v_mad_u64_u32 v[26:27], s[8:9], v7, s11, v[26:27]
	s_cmp_lg_u32 s6, 0
	v_mov_b32_e32 v5, v1
	v_mad_u64_u32 v[24:25], s[8:9], v7, s10, v[24:25]
	v_mov_b32_e32 v1, v26
	s_cbranch_scc1 .LBB263_112
.LBB263_113:
	s_cbranch_execnz .LBB263_116
.LBB263_114:
	s_load_dwordx4 s[4:7], s[34:35], 0x4
	s_load_dwordx2 s[2:3], s[34:35], 0xc4
	s_cmp_lt_u32 s33, 2
	s_waitcnt lgkmcnt(0)
	v_mul_hi_u32 v1, s5, v3
	v_add_u32_e32 v1, v3, v1
	v_lshrrev_b32_e32 v1, s6, v1
	v_mul_lo_u32 v5, v1, s4
	v_sub_u32_e32 v3, v3, v5
	v_mul_lo_u32 v26, v3, s3
	v_mul_lo_u32 v24, v3, s2
	s_cbranch_scc1 .LBB263_116
; %bb.115:
	s_load_dwordx4 s[4:7], s[34:35], 0x10
	s_load_dwordx2 s[2:3], s[34:35], 0xcc
	s_waitcnt lgkmcnt(0)
	v_mul_hi_u32 v3, s5, v1
	v_add_u32_e32 v3, v1, v3
	v_lshrrev_b32_e32 v3, s6, v3
	v_mul_lo_u32 v3, v3, s4
	v_sub_u32_e32 v1, v1, v3
	v_mad_u64_u32 v[24:25], s[4:5], v1, s2, v[24:25]
	v_mad_u64_u32 v[26:27], s[2:3], v1, s3, v[26:27]
.LBB263_116:
	s_and_b64 vcc, exec, s[0:1]
	s_cbranch_vccnz .LBB263_122
; %bb.117:
	s_cmp_lg_u32 s33, 0
	s_waitcnt lgkmcnt(0)
	s_mov_b32 s24, 0
	s_cbranch_scc0 .LBB263_123
; %bb.118:
	s_min_u32 s25, s54, 15
	s_add_i32 s25, s25, 1
	s_cmp_eq_u32 s54, 2
	s_cbranch_scc1 .LBB263_124
; %bb.119:
	s_and_b32 s24, s25, 28
	s_add_u32 s20, s34, 0xc4
	s_addc_u32 s21, s35, 0
	s_mov_b32 s26, 0
	v_mov_b32_e32 v28, 0
	v_mov_b32_e32 v30, 0
	s_mov_b64 s[22:23], s[34:35]
	v_mov_b32_e32 v3, v32
.LBB263_120:                            ; =>This Inner Loop Header: Depth=1
	s_load_dwordx8 s[8:15], s[22:23], 0x4
	s_load_dwordx4 s[16:19], s[22:23], 0x24
	s_load_dwordx8 s[0:7], s[20:21], 0x0
	s_add_u32 s22, s22, 48
	s_addc_u32 s23, s23, 0
	s_waitcnt lgkmcnt(0)
	v_mul_hi_u32 v1, s9, v3
	v_add_u32_e32 v1, v3, v1
	v_lshrrev_b32_e32 v1, s10, v1
	v_mul_lo_u32 v5, v1, s8
	v_mul_hi_u32 v7, s12, v1
	v_sub_u32_e32 v3, v3, v5
	v_add_u32_e32 v5, v1, v7
	v_lshrrev_b32_e32 v5, s13, v5
	v_mul_lo_u32 v9, v5, s11
	v_mul_hi_u32 v11, s15, v5
	v_sub_u32_e32 v1, v1, v9
	v_add_u32_e32 v9, v5, v11
	v_mul_lo_u32 v7, v3, s1
	v_mul_lo_u32 v3, v3, s0
	;; [unrolled: 1-line block ×4, first 2 shown]
	v_lshrrev_b32_e32 v9, s16, v9
	v_add3_u32 v1, v3, v28, v1
	v_add3_u32 v7, v7, v30, v11
	v_mul_lo_u32 v3, v9, s14
	v_mul_hi_u32 v11, s18, v9
	v_sub_u32_e32 v3, v5, v3
	v_add_u32_e32 v5, v9, v11
	v_mul_lo_u32 v11, v3, s4
	v_mul_lo_u32 v13, v3, s5
	v_lshrrev_b32_e32 v3, s19, v5
	s_add_i32 s26, s26, 4
	v_mul_lo_u32 v5, v3, s17
	s_add_u32 s20, s20, 32
	v_sub_u32_e32 v5, v9, v5
	s_addc_u32 s21, s21, 0
	v_mul_lo_u32 v9, v5, s6
	v_mul_lo_u32 v5, v5, s7
	s_cmp_lg_u32 s24, s26
	v_add3_u32 v30, v13, v7, v5
	v_add3_u32 v28, v11, v1, v9
	s_cbranch_scc1 .LBB263_120
; %bb.121:
	v_mov_b32_e32 v1, v30
	s_and_b32 s4, s25, 3
	s_cmp_eq_u32 s4, 0
	s_cbranch_scc0 .LBB263_125
	s_branch .LBB263_127
.LBB263_122:
                                        ; implicit-def: $vgpr30
                                        ; implicit-def: $vgpr28
	s_branch .LBB263_128
.LBB263_123:
	v_mov_b32_e32 v30, 0
	v_mov_b32_e32 v28, 0
	s_branch .LBB263_127
.LBB263_124:
	v_mov_b32_e32 v28, 0
                                        ; implicit-def: $vgpr30
	v_mov_b32_e32 v1, v28
	v_mov_b32_e32 v3, v32
	s_and_b32 s4, s25, 3
	s_cmp_eq_u32 s4, 0
	s_cbranch_scc1 .LBB263_127
.LBB263_125:
	s_lshl_b32 s0, s24, 3
	s_add_u32 s0, s34, s0
	s_addc_u32 s1, s35, 0
	s_add_u32 s0, s0, 0xc4
	s_addc_u32 s1, s1, 0
	s_mul_i32 s2, s24, 12
	s_add_u32 s2, s34, s2
	s_addc_u32 s3, s35, 0
.LBB263_126:                            ; =>This Inner Loop Header: Depth=1
	s_load_dwordx2 s[6:7], s[2:3], 0x4
	s_load_dword s5, s[2:3], 0xc
	s_load_dwordx2 s[8:9], s[0:1], 0x0
	v_mov_b32_e32 v30, v1
	s_add_u32 s2, s2, 12
	s_waitcnt lgkmcnt(0)
	v_mul_hi_u32 v1, s7, v3
	v_add_u32_e32 v1, v3, v1
	v_lshrrev_b32_e32 v1, s5, v1
	s_addc_u32 s3, s3, 0
	v_mul_lo_u32 v5, v1, s6
	s_add_u32 s0, s0, 8
	v_sub_u32_e32 v5, v3, v5
	s_addc_u32 s1, s1, 0
	s_add_i32 s4, s4, -1
	v_mad_u64_u32 v[30:31], s[6:7], v5, s9, v[30:31]
	s_cmp_lg_u32 s4, 0
	v_mov_b32_e32 v3, v1
	v_mad_u64_u32 v[28:29], s[6:7], v5, s8, v[28:29]
	v_mov_b32_e32 v1, v30
	s_cbranch_scc1 .LBB263_126
.LBB263_127:
	s_cbranch_execnz .LBB263_130
.LBB263_128:
	s_load_dwordx4 s[0:3], s[34:35], 0x4
	s_load_dwordx2 s[4:5], s[34:35], 0xc4
	s_cmp_lt_u32 s33, 2
	s_waitcnt lgkmcnt(0)
	v_mul_hi_u32 v1, s1, v32
	v_add_u32_e32 v1, v32, v1
	v_lshrrev_b32_e32 v1, s2, v1
	v_mul_lo_u32 v3, v1, s0
	v_sub_u32_e32 v3, v32, v3
	v_mul_lo_u32 v30, v3, s5
	v_mul_lo_u32 v28, v3, s4
	s_cbranch_scc1 .LBB263_130
; %bb.129:
	s_load_dwordx4 s[0:3], s[34:35], 0x10
	s_load_dwordx2 s[4:5], s[34:35], 0xcc
	s_waitcnt lgkmcnt(0)
	v_mul_hi_u32 v3, s1, v1
	v_add_u32_e32 v3, v1, v3
	v_lshrrev_b32_e32 v3, s2, v3
	v_mul_lo_u32 v3, v3, s0
	v_sub_u32_e32 v1, v1, v3
	v_mad_u64_u32 v[28:29], s[0:1], v1, s4, v[28:29]
	v_mad_u64_u32 v[30:31], s[0:1], v1, s5, v[30:31]
.LBB263_130:
	s_load_dwordx4 s[12:15], s[34:35], 0x148
	s_mov_b32 s10, 0xf800000
	s_waitcnt lgkmcnt(0)
	global_load_ushort v1, v2, s[14:15]
	global_load_ushort v3, v6, s[14:15]
	;; [unrolled: 1-line block ×6, first 2 shown]
	s_nop 0
	global_load_ushort v6, v26, s[14:15]
	global_load_ushort v10, v30, s[14:15]
	v_mov_b32_e32 v2, 0x260
	s_waitcnt vmcnt(7)
	v_cvt_f32_f16_e32 v1, v1
	s_waitcnt vmcnt(6)
	v_cvt_f32_f16_e32 v3, v3
	;; [unrolled: 2-line block ×5, first 2 shown]
	v_mul_f32_e32 v13, 0x4f800000, v1
	v_cmp_gt_f32_e32 vcc, s10, v1
	v_mul_f32_e32 v14, 0x4f800000, v3
	v_cmp_gt_f32_e64 s[0:1], s10, v3
	v_cndmask_b32_e32 v1, v1, v13, vcc
	v_mul_f32_e32 v15, 0x4f800000, v5
	v_cndmask_b32_e64 v3, v3, v14, s[0:1]
	v_cmp_gt_f32_e64 s[2:3], s10, v5
	v_rsq_f32_e32 v13, v1
	v_mul_f32_e32 v17, 0x4f800000, v7
	v_cndmask_b32_e64 v5, v5, v15, s[2:3]
	v_cmp_gt_f32_e64 s[4:5], s10, v7
	v_rsq_f32_e32 v14, v3
	;; [unrolled: 4-line block ×3, first 2 shown]
	v_rsq_f32_e32 v17, v7
	v_cndmask_b32_e64 v9, v9, v18, s[6:7]
	s_waitcnt vmcnt(2)
	v_cvt_f32_f16_e32 v11, v11
	v_rsq_f32_e32 v18, v9
	v_mul_f32_e32 v21, v1, v13
	v_mul_f32_e32 v13, 0.5, v13
	v_mul_f32_e32 v22, v3, v14
	v_mul_f32_e32 v14, 0.5, v14
	v_fma_f32 v29, -v13, v21, 0.5
	v_mul_f32_e32 v23, v5, v15
	v_mul_f32_e32 v15, 0.5, v15
	v_fma_f32 v30, -v14, v22, 0.5
	v_fmac_f32_e32 v21, v21, v29
	v_mul_f32_e32 v25, v7, v17
	v_mul_f32_e32 v17, 0.5, v17
	v_fma_f32 v31, -v15, v23, 0.5
	v_fmac_f32_e32 v13, v13, v29
	v_fmac_f32_e32 v22, v22, v30
	v_fma_f32 v29, -v21, v21, v1
	v_mul_f32_e32 v19, 0x4f800000, v11
	v_cmp_gt_f32_e64 s[8:9], s10, v11
	v_mul_f32_e32 v26, v9, v18
	v_mul_f32_e32 v18, 0.5, v18
	v_fma_f32 v32, -v17, v25, 0.5
	v_fmac_f32_e32 v14, v14, v30
	v_fmac_f32_e32 v23, v23, v31
	v_fma_f32 v30, -v22, v22, v3
	v_fmac_f32_e32 v21, v29, v13
	v_cndmask_b32_e64 v11, v11, v19, s[8:9]
	v_fma_f32 v33, -v18, v26, 0.5
	v_fmac_f32_e32 v15, v15, v31
	v_fmac_f32_e32 v25, v25, v32
	v_fma_f32 v31, -v23, v23, v5
	v_fmac_f32_e32 v22, v30, v14
	v_mul_f32_e32 v13, 0x37800000, v21
	v_rsq_f32_e32 v19, v11
	v_fmac_f32_e32 v17, v17, v32
	v_fmac_f32_e32 v26, v26, v33
	v_fma_f32 v32, -v25, v25, v7
	v_fmac_f32_e32 v23, v31, v15
	v_mul_f32_e32 v14, 0x37800000, v22
	v_cndmask_b32_e32 v13, v21, v13, vcc
	v_cmp_class_f32_e32 vcc, v1, v2
	v_fmac_f32_e32 v18, v18, v33
	v_fma_f32 v33, -v26, v26, v9
	v_fmac_f32_e32 v25, v32, v17
	v_mul_f32_e32 v15, 0x37800000, v23
	v_cndmask_b32_e64 v14, v22, v14, s[0:1]
	v_cndmask_b32_e32 v1, v13, v1, vcc
	v_cmp_class_f32_e32 vcc, v3, v2
	s_waitcnt vmcnt(1)
	v_cvt_f32_f16_e32 v6, v6
	v_fmac_f32_e32 v26, v33, v18
	v_mul_f32_e32 v17, 0x37800000, v25
	v_cndmask_b32_e64 v15, v23, v15, s[2:3]
	v_cndmask_b32_e32 v3, v14, v3, vcc
	v_cmp_class_f32_e32 vcc, v5, v2
	v_mul_f32_e32 v18, 0x37800000, v26
	v_cndmask_b32_e64 v17, v25, v17, s[4:5]
	v_cndmask_b32_e32 v5, v15, v5, vcc
	v_cmp_class_f32_e32 vcc, v7, v2
	v_mul_f32_e32 v27, v11, v19
	v_mul_f32_e32 v19, 0.5, v19
	v_cndmask_b32_e64 v18, v26, v18, s[6:7]
	v_cndmask_b32_e32 v7, v17, v7, vcc
	v_cmp_class_f32_e32 vcc, v9, v2
	v_fma_f32 v34, -v19, v27, 0.5
	v_mul_f32_e32 v14, 0x4f800000, v6
	v_cndmask_b32_e32 v9, v18, v9, vcc
	v_cmp_gt_f32_e32 vcc, s10, v6
	v_fmac_f32_e32 v27, v27, v34
	v_fma_f32 v13, -v27, v27, v11
	v_cndmask_b32_e32 v6, v6, v14, vcc
	v_fmac_f32_e32 v19, v19, v34
	v_rsq_f32_e32 v14, v6
	v_fmac_f32_e32 v27, v13, v19
	v_mul_f32_e32 v13, 0x37800000, v27
	v_cndmask_b32_e64 v13, v27, v13, s[8:9]
	v_cmp_class_f32_e64 s[0:1], v11, v2
	s_waitcnt vmcnt(0)
	v_cvt_f32_f16_e32 v10, v10
	v_cvt_f16_f32_e32 v1, v1
	v_cndmask_b32_e64 v11, v13, v11, s[0:1]
	v_mul_f32_e32 v13, v6, v14
	v_mul_f32_e32 v14, 0.5, v14
	v_fma_f32 v15, -v14, v13, 0.5
	v_fmac_f32_e32 v13, v13, v15
	v_fma_f32 v17, -v13, v13, v6
	v_fmac_f32_e32 v14, v14, v15
	v_fmac_f32_e32 v13, v17, v14
	v_mul_f32_e32 v14, 0x37800000, v13
	v_cndmask_b32_e32 v13, v13, v14, vcc
	v_mul_f32_e32 v14, 0x4f800000, v10
	v_cmp_gt_f32_e32 vcc, s10, v10
	v_cmp_class_f32_e64 s[0:1], v6, v2
	v_cvt_f16_f32_e32 v3, v3
	v_cndmask_b32_e32 v10, v10, v14, vcc
	v_rsq_f32_e32 v14, v10
	v_cndmask_b32_e64 v6, v13, v6, s[0:1]
	v_cvt_f16_f32_e32 v5, v5
	v_cvt_f16_f32_e32 v7, v7
	v_mul_f32_e32 v13, v10, v14
	v_mul_f32_e32 v14, 0.5, v14
	v_fma_f32 v15, -v14, v13, 0.5
	v_fmac_f32_e32 v13, v13, v15
	v_fma_f32 v17, -v13, v13, v10
	v_fmac_f32_e32 v14, v14, v15
	v_fmac_f32_e32 v13, v17, v14
	v_mul_f32_e32 v14, 0x37800000, v13
	v_cndmask_b32_e32 v13, v13, v14, vcc
	v_cmp_class_f32_e32 vcc, v10, v2
	v_cvt_f16_f32_e32 v9, v9
	v_cvt_f16_f32_e32 v11, v11
	v_cndmask_b32_e32 v2, v13, v10, vcc
	v_cvt_f16_f32_e32 v6, v6
	v_cvt_f16_f32_e32 v2, v2
	global_store_short v0, v1, s[12:13]
	global_store_short v4, v3, s[12:13]
	;; [unrolled: 1-line block ×8, first 2 shown]
	s_endpgm
.LBB263_131:
	v_mov_b32_e32 v2, 0
	v_mov_b32_e32 v0, 0
	s_branch .LBB263_137
.LBB263_132:
	v_mov_b32_e32 v2, 0
	v_mov_b32_e32 v0, 0
	s_branch .LBB263_154
.LBB263_133:
	v_mov_b32_e32 v0, 0
	s_mov_b32 s57, 0
	v_mov_b32_e32 v1, v0
                                        ; implicit-def: $vgpr2
	v_mov_b32_e32 v4, v24
.LBB263_134:
	s_and_b32 s4, s58, 3
	s_cmp_eq_u32 s4, 0
	s_cbranch_scc1 .LBB263_137
; %bb.135:
	s_lshl_b32 s0, s57, 3
	s_add_u32 s0, s34, s0
	s_addc_u32 s1, s35, 0
	s_add_u32 s0, s0, 0xc4
	s_addc_u32 s1, s1, 0
	s_mul_i32 s2, s57, 12
	s_add_u32 s2, s34, s2
	s_addc_u32 s3, s35, 0
.LBB263_136:                            ; =>This Inner Loop Header: Depth=1
	s_load_dwordx2 s[6:7], s[2:3], 0x4
	s_load_dword s5, s[2:3], 0xc
	s_load_dwordx2 s[8:9], s[0:1], 0x0
	v_mov_b32_e32 v2, v1
	s_add_u32 s2, s2, 12
	s_waitcnt lgkmcnt(0)
	v_mul_hi_u32 v1, s7, v4
	v_add_u32_e32 v1, v4, v1
	v_lshrrev_b32_e32 v1, s5, v1
	s_addc_u32 s3, s3, 0
	v_mul_lo_u32 v3, v1, s6
	s_add_u32 s0, s0, 8
	v_sub_u32_e32 v5, v4, v3
	s_addc_u32 s1, s1, 0
	s_add_i32 s4, s4, -1
	v_mov_b32_e32 v4, v1
	v_mad_u64_u32 v[2:3], s[6:7], v5, s9, v[2:3]
	v_mad_u64_u32 v[0:1], s[6:7], v5, s8, v[0:1]
	s_cmp_lg_u32 s4, 0
	v_mov_b32_e32 v1, v2
	s_cbranch_scc1 .LBB263_136
.LBB263_137:
	s_cbranch_execnz .LBB263_140
.LBB263_138:
	s_waitcnt lgkmcnt(0)
	v_mul_hi_u32 v0, s25, v24
	v_add_u32_e32 v0, v24, v0
	v_lshrrev_b32_e32 v1, s26, v0
	v_mul_lo_u32 v0, v1, s24
	v_sub_u32_e32 v0, v24, v0
	v_mul_lo_u32 v2, v0, s21
	s_andn2_b64 vcc, exec, s[42:43]
	v_mul_lo_u32 v0, v0, s20
	s_cbranch_vccnz .LBB263_140
; %bb.139:
	v_mul_hi_u32 v3, s40, v1
	v_add_u32_e32 v3, v1, v3
	v_lshrrev_b32_e32 v3, s41, v3
	v_mul_lo_u32 v3, v3, s27
	v_sub_u32_e32 v3, v1, v3
	v_mad_u64_u32 v[0:1], s[0:1], v3, s22, v[0:1]
	v_mad_u64_u32 v[2:3], s[0:1], v3, s23, v[2:3]
.LBB263_140:
	s_waitcnt lgkmcnt(0)
	global_load_ushort v1, v2, s[18:19]
	s_mov_b32 s0, 0xf800000
	v_mov_b32_e32 v3, 0x260
	v_add_u32_e32 v24, 0x80, v24
	s_waitcnt vmcnt(0)
	v_cvt_f32_f16_e32 v1, v1
	v_mul_f32_e32 v2, 0x4f800000, v1
	v_cmp_gt_f32_e32 vcc, s0, v1
	s_nop 1
	v_cndmask_b32_e32 v1, v1, v2, vcc
	v_rsq_f32_e32 v2, v1
	s_nop 0
	v_mul_f32_e32 v4, v1, v2
	v_mul_f32_e32 v2, 0.5, v2
	v_fma_f32 v5, -v2, v4, 0.5
	v_fmac_f32_e32 v4, v4, v5
	v_fmac_f32_e32 v2, v2, v5
	v_fma_f32 v5, -v4, v4, v1
	v_fmac_f32_e32 v4, v5, v2
	v_mul_f32_e32 v2, 0x37800000, v4
	v_cndmask_b32_e32 v2, v4, v2, vcc
	v_cmp_class_f32_e32 vcc, v1, v3
	s_nop 1
	v_cndmask_b32_e32 v1, v2, v1, vcc
	v_cvt_f16_f32_e32 v1, v1
	global_store_short v0, v1, s[16:17]
	s_or_b64 exec, exec, s[48:49]
	v_cmp_gt_i32_e32 vcc, s55, v24
	s_and_saveexec_b64 s[48:49], vcc
	s_cbranch_execnz .LBB263_16
.LBB263_141:
	s_or_b64 exec, exec, s[48:49]
	v_cmp_gt_i32_e32 vcc, s55, v24
	s_and_saveexec_b64 s[48:49], vcc
	s_cbranch_execz .LBB263_158
.LBB263_142:
	s_andn2_b64 vcc, exec, s[36:37]
	s_cbranch_vccnz .LBB263_148
; %bb.143:
	s_andn2_b64 vcc, exec, s[46:47]
	s_cbranch_vccnz .LBB263_149
; %bb.144:
	s_add_i32 s58, s56, 1
	s_cmp_eq_u32 s54, 2
	s_cbranch_scc1 .LBB263_167
; %bb.145:
	s_and_b32 s57, s58, 28
	s_mov_b32 s59, 0
	v_mov_b32_e32 v0, 0
	v_mov_b32_e32 v2, 0
	s_mov_b64 s[50:51], s[34:35]
	s_mov_b64 s[52:53], s[44:45]
	v_mov_b32_e32 v4, v24
.LBB263_146:                            ; =>This Inner Loop Header: Depth=1
	s_load_dwordx8 s[8:15], s[50:51], 0x4
	s_load_dwordx4 s[28:31], s[50:51], 0x24
	s_load_dwordx8 s[0:7], s[52:53], 0x0
	s_add_u32 s50, s50, 48
	s_addc_u32 s51, s51, 0
	s_waitcnt lgkmcnt(0)
	v_mul_hi_u32 v1, s9, v4
	v_add_u32_e32 v1, v4, v1
	v_lshrrev_b32_e32 v1, s10, v1
	v_mul_lo_u32 v3, v1, s8
	v_mul_hi_u32 v5, s12, v1
	v_sub_u32_e32 v3, v4, v3
	v_add_u32_e32 v4, v1, v5
	v_lshrrev_b32_e32 v4, s13, v4
	v_mul_lo_u32 v6, v4, s11
	v_mul_hi_u32 v7, s15, v4
	v_sub_u32_e32 v1, v1, v6
	v_add_u32_e32 v6, v4, v7
	v_mul_lo_u32 v5, v3, s1
	v_mul_lo_u32 v3, v3, s0
	;; [unrolled: 1-line block ×4, first 2 shown]
	v_lshrrev_b32_e32 v6, s28, v6
	v_add3_u32 v0, v3, v0, v1
	v_mul_hi_u32 v3, s30, v6
	v_add3_u32 v1, v5, v2, v7
	v_mul_lo_u32 v2, v6, s14
	v_add_u32_e32 v3, v6, v3
	v_sub_u32_e32 v2, v4, v2
	v_lshrrev_b32_e32 v4, s31, v3
	s_add_i32 s59, s59, 4
	v_mul_lo_u32 v3, v4, s29
	s_add_u32 s52, s52, 32
	v_sub_u32_e32 v3, v6, v3
	s_addc_u32 s53, s53, 0
	v_mul_lo_u32 v5, v2, s4
	v_mul_lo_u32 v2, v2, s5
	;; [unrolled: 1-line block ×4, first 2 shown]
	s_cmp_eq_u32 s57, s59
	v_add3_u32 v2, v2, v1, v3
	v_add3_u32 v0, v5, v0, v6
	s_cbranch_scc0 .LBB263_146
; %bb.147:
	v_mov_b32_e32 v1, v2
	s_branch .LBB263_168
.LBB263_148:
                                        ; implicit-def: $vgpr2
                                        ; implicit-def: $vgpr0
	s_branch .LBB263_172
.LBB263_149:
	v_mov_b32_e32 v2, 0
	v_mov_b32_e32 v0, 0
	s_branch .LBB263_171
.LBB263_150:
	v_mov_b32_e32 v0, 0
	s_mov_b32 s57, 0
	v_mov_b32_e32 v1, v0
                                        ; implicit-def: $vgpr2
	v_mov_b32_e32 v4, v24
.LBB263_151:
	s_and_b32 s4, s58, 3
	s_cmp_eq_u32 s4, 0
	s_cbranch_scc1 .LBB263_154
; %bb.152:
	s_lshl_b32 s0, s57, 3
	s_add_u32 s0, s34, s0
	s_addc_u32 s1, s35, 0
	s_add_u32 s0, s0, 0xc4
	s_addc_u32 s1, s1, 0
	s_mul_i32 s2, s57, 12
	s_add_u32 s2, s34, s2
	s_addc_u32 s3, s35, 0
.LBB263_153:                            ; =>This Inner Loop Header: Depth=1
	s_load_dwordx2 s[6:7], s[2:3], 0x4
	s_load_dword s5, s[2:3], 0xc
	s_load_dwordx2 s[8:9], s[0:1], 0x0
	v_mov_b32_e32 v2, v1
	s_add_u32 s2, s2, 12
	s_waitcnt lgkmcnt(0)
	v_mul_hi_u32 v1, s7, v4
	v_add_u32_e32 v1, v4, v1
	v_lshrrev_b32_e32 v1, s5, v1
	s_addc_u32 s3, s3, 0
	v_mul_lo_u32 v3, v1, s6
	s_add_u32 s0, s0, 8
	v_sub_u32_e32 v5, v4, v3
	s_addc_u32 s1, s1, 0
	s_add_i32 s4, s4, -1
	v_mov_b32_e32 v4, v1
	v_mad_u64_u32 v[2:3], s[6:7], v5, s9, v[2:3]
	v_mad_u64_u32 v[0:1], s[6:7], v5, s8, v[0:1]
	s_cmp_lg_u32 s4, 0
	v_mov_b32_e32 v1, v2
	s_cbranch_scc1 .LBB263_153
.LBB263_154:
	s_cbranch_execnz .LBB263_157
.LBB263_155:
	s_waitcnt lgkmcnt(0)
	v_mul_hi_u32 v0, s25, v24
	v_add_u32_e32 v0, v24, v0
	v_lshrrev_b32_e32 v1, s26, v0
	v_mul_lo_u32 v0, v1, s24
	v_sub_u32_e32 v0, v24, v0
	v_mul_lo_u32 v2, v0, s21
	s_andn2_b64 vcc, exec, s[42:43]
	v_mul_lo_u32 v0, v0, s20
	s_cbranch_vccnz .LBB263_157
; %bb.156:
	v_mul_hi_u32 v3, s40, v1
	v_add_u32_e32 v3, v1, v3
	v_lshrrev_b32_e32 v3, s41, v3
	v_mul_lo_u32 v3, v3, s27
	v_sub_u32_e32 v3, v1, v3
	v_mad_u64_u32 v[0:1], s[0:1], v3, s22, v[0:1]
	v_mad_u64_u32 v[2:3], s[0:1], v3, s23, v[2:3]
.LBB263_157:
	s_waitcnt lgkmcnt(0)
	global_load_ushort v1, v2, s[18:19]
	s_mov_b32 s0, 0xf800000
	v_mov_b32_e32 v3, 0x260
	v_add_u32_e32 v24, 0x80, v24
	s_waitcnt vmcnt(0)
	v_cvt_f32_f16_e32 v1, v1
	v_mul_f32_e32 v2, 0x4f800000, v1
	v_cmp_gt_f32_e32 vcc, s0, v1
	s_nop 1
	v_cndmask_b32_e32 v1, v1, v2, vcc
	v_rsq_f32_e32 v2, v1
	s_nop 0
	v_mul_f32_e32 v4, v1, v2
	v_mul_f32_e32 v2, 0.5, v2
	v_fma_f32 v5, -v2, v4, 0.5
	v_fmac_f32_e32 v4, v4, v5
	v_fmac_f32_e32 v2, v2, v5
	v_fma_f32 v5, -v4, v4, v1
	v_fmac_f32_e32 v4, v5, v2
	v_mul_f32_e32 v2, 0x37800000, v4
	v_cndmask_b32_e32 v2, v4, v2, vcc
	v_cmp_class_f32_e32 vcc, v1, v3
	s_nop 1
	v_cndmask_b32_e32 v1, v2, v1, vcc
	v_cvt_f16_f32_e32 v1, v1
	global_store_short v0, v1, s[16:17]
	s_or_b64 exec, exec, s[48:49]
	v_cmp_gt_i32_e32 vcc, s55, v24
	s_and_saveexec_b64 s[48:49], vcc
	s_cbranch_execnz .LBB263_142
.LBB263_158:
	s_or_b64 exec, exec, s[48:49]
	v_cmp_gt_i32_e32 vcc, s55, v24
	s_and_saveexec_b64 s[48:49], vcc
	s_cbranch_execz .LBB263_175
.LBB263_159:
	s_andn2_b64 vcc, exec, s[36:37]
	s_cbranch_vccnz .LBB263_165
; %bb.160:
	s_andn2_b64 vcc, exec, s[46:47]
	s_cbranch_vccnz .LBB263_166
; %bb.161:
	s_add_i32 s58, s56, 1
	s_cmp_eq_u32 s54, 2
	s_cbranch_scc1 .LBB263_184
; %bb.162:
	s_and_b32 s57, s58, 28
	s_mov_b32 s59, 0
	v_mov_b32_e32 v0, 0
	v_mov_b32_e32 v2, 0
	s_mov_b64 s[50:51], s[34:35]
	s_mov_b64 s[52:53], s[44:45]
	v_mov_b32_e32 v4, v24
.LBB263_163:                            ; =>This Inner Loop Header: Depth=1
	s_load_dwordx8 s[8:15], s[50:51], 0x4
	s_load_dwordx4 s[28:31], s[50:51], 0x24
	s_load_dwordx8 s[0:7], s[52:53], 0x0
	s_add_u32 s50, s50, 48
	s_addc_u32 s51, s51, 0
	s_waitcnt lgkmcnt(0)
	v_mul_hi_u32 v1, s9, v4
	v_add_u32_e32 v1, v4, v1
	v_lshrrev_b32_e32 v1, s10, v1
	v_mul_lo_u32 v3, v1, s8
	v_mul_hi_u32 v5, s12, v1
	v_sub_u32_e32 v3, v4, v3
	v_add_u32_e32 v4, v1, v5
	v_lshrrev_b32_e32 v4, s13, v4
	v_mul_lo_u32 v6, v4, s11
	v_mul_hi_u32 v7, s15, v4
	v_sub_u32_e32 v1, v1, v6
	v_add_u32_e32 v6, v4, v7
	v_mul_lo_u32 v5, v3, s1
	v_mul_lo_u32 v3, v3, s0
	;; [unrolled: 1-line block ×4, first 2 shown]
	v_lshrrev_b32_e32 v6, s28, v6
	v_add3_u32 v0, v3, v0, v1
	v_mul_hi_u32 v3, s30, v6
	v_add3_u32 v1, v5, v2, v7
	v_mul_lo_u32 v2, v6, s14
	v_add_u32_e32 v3, v6, v3
	v_sub_u32_e32 v2, v4, v2
	v_lshrrev_b32_e32 v4, s31, v3
	s_add_i32 s59, s59, 4
	v_mul_lo_u32 v3, v4, s29
	s_add_u32 s52, s52, 32
	v_sub_u32_e32 v3, v6, v3
	s_addc_u32 s53, s53, 0
	v_mul_lo_u32 v5, v2, s4
	v_mul_lo_u32 v2, v2, s5
	;; [unrolled: 1-line block ×4, first 2 shown]
	s_cmp_eq_u32 s57, s59
	v_add3_u32 v2, v2, v1, v3
	v_add3_u32 v0, v5, v0, v6
	s_cbranch_scc0 .LBB263_163
; %bb.164:
	v_mov_b32_e32 v1, v2
	s_branch .LBB263_185
.LBB263_165:
                                        ; implicit-def: $vgpr2
                                        ; implicit-def: $vgpr0
	s_branch .LBB263_189
.LBB263_166:
	v_mov_b32_e32 v2, 0
	v_mov_b32_e32 v0, 0
	s_branch .LBB263_188
.LBB263_167:
	v_mov_b32_e32 v0, 0
	s_mov_b32 s57, 0
	v_mov_b32_e32 v1, v0
                                        ; implicit-def: $vgpr2
	v_mov_b32_e32 v4, v24
.LBB263_168:
	s_and_b32 s4, s58, 3
	s_cmp_eq_u32 s4, 0
	s_cbranch_scc1 .LBB263_171
; %bb.169:
	s_lshl_b32 s0, s57, 3
	s_add_u32 s0, s34, s0
	s_addc_u32 s1, s35, 0
	s_add_u32 s0, s0, 0xc4
	s_addc_u32 s1, s1, 0
	s_mul_i32 s2, s57, 12
	s_add_u32 s2, s34, s2
	s_addc_u32 s3, s35, 0
.LBB263_170:                            ; =>This Inner Loop Header: Depth=1
	s_load_dwordx2 s[6:7], s[2:3], 0x4
	s_load_dword s5, s[2:3], 0xc
	s_load_dwordx2 s[8:9], s[0:1], 0x0
	v_mov_b32_e32 v2, v1
	s_add_u32 s2, s2, 12
	s_waitcnt lgkmcnt(0)
	v_mul_hi_u32 v1, s7, v4
	v_add_u32_e32 v1, v4, v1
	v_lshrrev_b32_e32 v1, s5, v1
	s_addc_u32 s3, s3, 0
	v_mul_lo_u32 v3, v1, s6
	s_add_u32 s0, s0, 8
	v_sub_u32_e32 v5, v4, v3
	s_addc_u32 s1, s1, 0
	s_add_i32 s4, s4, -1
	v_mov_b32_e32 v4, v1
	v_mad_u64_u32 v[2:3], s[6:7], v5, s9, v[2:3]
	v_mad_u64_u32 v[0:1], s[6:7], v5, s8, v[0:1]
	s_cmp_lg_u32 s4, 0
	v_mov_b32_e32 v1, v2
	s_cbranch_scc1 .LBB263_170
.LBB263_171:
	s_cbranch_execnz .LBB263_174
.LBB263_172:
	s_waitcnt lgkmcnt(0)
	v_mul_hi_u32 v0, s25, v24
	v_add_u32_e32 v0, v24, v0
	v_lshrrev_b32_e32 v1, s26, v0
	v_mul_lo_u32 v0, v1, s24
	v_sub_u32_e32 v0, v24, v0
	v_mul_lo_u32 v2, v0, s21
	s_andn2_b64 vcc, exec, s[42:43]
	v_mul_lo_u32 v0, v0, s20
	s_cbranch_vccnz .LBB263_174
; %bb.173:
	v_mul_hi_u32 v3, s40, v1
	v_add_u32_e32 v3, v1, v3
	v_lshrrev_b32_e32 v3, s41, v3
	v_mul_lo_u32 v3, v3, s27
	v_sub_u32_e32 v3, v1, v3
	v_mad_u64_u32 v[0:1], s[0:1], v3, s22, v[0:1]
	v_mad_u64_u32 v[2:3], s[0:1], v3, s23, v[2:3]
.LBB263_174:
	s_waitcnt lgkmcnt(0)
	global_load_ushort v1, v2, s[18:19]
	s_mov_b32 s0, 0xf800000
	v_mov_b32_e32 v3, 0x260
	v_add_u32_e32 v24, 0x80, v24
	s_waitcnt vmcnt(0)
	v_cvt_f32_f16_e32 v1, v1
	v_mul_f32_e32 v2, 0x4f800000, v1
	v_cmp_gt_f32_e32 vcc, s0, v1
	s_nop 1
	v_cndmask_b32_e32 v1, v1, v2, vcc
	v_rsq_f32_e32 v2, v1
	s_nop 0
	v_mul_f32_e32 v4, v1, v2
	v_mul_f32_e32 v2, 0.5, v2
	v_fma_f32 v5, -v2, v4, 0.5
	v_fmac_f32_e32 v4, v4, v5
	v_fmac_f32_e32 v2, v2, v5
	v_fma_f32 v5, -v4, v4, v1
	v_fmac_f32_e32 v4, v5, v2
	v_mul_f32_e32 v2, 0x37800000, v4
	v_cndmask_b32_e32 v2, v4, v2, vcc
	v_cmp_class_f32_e32 vcc, v1, v3
	s_nop 1
	v_cndmask_b32_e32 v1, v2, v1, vcc
	v_cvt_f16_f32_e32 v1, v1
	global_store_short v0, v1, s[16:17]
	s_or_b64 exec, exec, s[48:49]
	v_cmp_gt_i32_e32 vcc, s55, v24
	s_and_saveexec_b64 s[48:49], vcc
	s_cbranch_execnz .LBB263_159
.LBB263_175:
	s_or_b64 exec, exec, s[48:49]
	v_cmp_gt_i32_e32 vcc, s55, v24
	s_and_saveexec_b64 s[48:49], vcc
	s_cbranch_execz .LBB263_192
.LBB263_176:
	s_andn2_b64 vcc, exec, s[36:37]
	s_cbranch_vccnz .LBB263_182
; %bb.177:
	s_andn2_b64 vcc, exec, s[46:47]
	s_cbranch_vccnz .LBB263_183
; %bb.178:
	s_add_i32 s58, s56, 1
	s_cmp_eq_u32 s54, 2
	s_cbranch_scc1 .LBB263_201
; %bb.179:
	s_and_b32 s57, s58, 28
	s_mov_b32 s59, 0
	v_mov_b32_e32 v0, 0
	v_mov_b32_e32 v2, 0
	s_mov_b64 s[50:51], s[34:35]
	s_mov_b64 s[52:53], s[44:45]
	v_mov_b32_e32 v4, v24
.LBB263_180:                            ; =>This Inner Loop Header: Depth=1
	s_load_dwordx8 s[8:15], s[50:51], 0x4
	s_load_dwordx4 s[28:31], s[50:51], 0x24
	s_load_dwordx8 s[0:7], s[52:53], 0x0
	s_add_u32 s50, s50, 48
	s_addc_u32 s51, s51, 0
	s_waitcnt lgkmcnt(0)
	v_mul_hi_u32 v1, s9, v4
	v_add_u32_e32 v1, v4, v1
	v_lshrrev_b32_e32 v1, s10, v1
	v_mul_lo_u32 v3, v1, s8
	v_mul_hi_u32 v5, s12, v1
	v_sub_u32_e32 v3, v4, v3
	v_add_u32_e32 v4, v1, v5
	v_lshrrev_b32_e32 v4, s13, v4
	v_mul_lo_u32 v6, v4, s11
	v_mul_hi_u32 v7, s15, v4
	v_sub_u32_e32 v1, v1, v6
	v_add_u32_e32 v6, v4, v7
	v_mul_lo_u32 v5, v3, s1
	v_mul_lo_u32 v3, v3, s0
	;; [unrolled: 1-line block ×4, first 2 shown]
	v_lshrrev_b32_e32 v6, s28, v6
	v_add3_u32 v0, v3, v0, v1
	v_mul_hi_u32 v3, s30, v6
	v_add3_u32 v1, v5, v2, v7
	v_mul_lo_u32 v2, v6, s14
	v_add_u32_e32 v3, v6, v3
	v_sub_u32_e32 v2, v4, v2
	v_lshrrev_b32_e32 v4, s31, v3
	s_add_i32 s59, s59, 4
	v_mul_lo_u32 v3, v4, s29
	s_add_u32 s52, s52, 32
	v_sub_u32_e32 v3, v6, v3
	s_addc_u32 s53, s53, 0
	v_mul_lo_u32 v5, v2, s4
	v_mul_lo_u32 v2, v2, s5
	;; [unrolled: 1-line block ×4, first 2 shown]
	s_cmp_eq_u32 s57, s59
	v_add3_u32 v2, v2, v1, v3
	v_add3_u32 v0, v5, v0, v6
	s_cbranch_scc0 .LBB263_180
; %bb.181:
	v_mov_b32_e32 v1, v2
	s_branch .LBB263_202
.LBB263_182:
                                        ; implicit-def: $vgpr2
                                        ; implicit-def: $vgpr0
	s_branch .LBB263_206
.LBB263_183:
	v_mov_b32_e32 v2, 0
	v_mov_b32_e32 v0, 0
	s_branch .LBB263_205
.LBB263_184:
	v_mov_b32_e32 v0, 0
	s_mov_b32 s57, 0
	v_mov_b32_e32 v1, v0
                                        ; implicit-def: $vgpr2
	v_mov_b32_e32 v4, v24
.LBB263_185:
	s_and_b32 s4, s58, 3
	s_cmp_eq_u32 s4, 0
	s_cbranch_scc1 .LBB263_188
; %bb.186:
	s_lshl_b32 s0, s57, 3
	s_add_u32 s0, s34, s0
	s_addc_u32 s1, s35, 0
	s_add_u32 s0, s0, 0xc4
	s_addc_u32 s1, s1, 0
	s_mul_i32 s2, s57, 12
	s_add_u32 s2, s34, s2
	s_addc_u32 s3, s35, 0
.LBB263_187:                            ; =>This Inner Loop Header: Depth=1
	s_load_dwordx2 s[6:7], s[2:3], 0x4
	s_load_dword s5, s[2:3], 0xc
	s_load_dwordx2 s[8:9], s[0:1], 0x0
	v_mov_b32_e32 v2, v1
	s_add_u32 s2, s2, 12
	s_waitcnt lgkmcnt(0)
	v_mul_hi_u32 v1, s7, v4
	v_add_u32_e32 v1, v4, v1
	v_lshrrev_b32_e32 v1, s5, v1
	s_addc_u32 s3, s3, 0
	v_mul_lo_u32 v3, v1, s6
	s_add_u32 s0, s0, 8
	v_sub_u32_e32 v5, v4, v3
	s_addc_u32 s1, s1, 0
	s_add_i32 s4, s4, -1
	v_mov_b32_e32 v4, v1
	v_mad_u64_u32 v[2:3], s[6:7], v5, s9, v[2:3]
	v_mad_u64_u32 v[0:1], s[6:7], v5, s8, v[0:1]
	s_cmp_lg_u32 s4, 0
	v_mov_b32_e32 v1, v2
	s_cbranch_scc1 .LBB263_187
.LBB263_188:
	s_cbranch_execnz .LBB263_191
.LBB263_189:
	s_waitcnt lgkmcnt(0)
	v_mul_hi_u32 v0, s25, v24
	v_add_u32_e32 v0, v24, v0
	v_lshrrev_b32_e32 v1, s26, v0
	v_mul_lo_u32 v0, v1, s24
	v_sub_u32_e32 v0, v24, v0
	v_mul_lo_u32 v2, v0, s21
	s_andn2_b64 vcc, exec, s[42:43]
	v_mul_lo_u32 v0, v0, s20
	s_cbranch_vccnz .LBB263_191
; %bb.190:
	v_mul_hi_u32 v3, s40, v1
	v_add_u32_e32 v3, v1, v3
	v_lshrrev_b32_e32 v3, s41, v3
	v_mul_lo_u32 v3, v3, s27
	v_sub_u32_e32 v3, v1, v3
	v_mad_u64_u32 v[0:1], s[0:1], v3, s22, v[0:1]
	v_mad_u64_u32 v[2:3], s[0:1], v3, s23, v[2:3]
.LBB263_191:
	s_waitcnt lgkmcnt(0)
	global_load_ushort v1, v2, s[18:19]
	s_mov_b32 s0, 0xf800000
	v_mov_b32_e32 v3, 0x260
	v_add_u32_e32 v24, 0x80, v24
	s_waitcnt vmcnt(0)
	v_cvt_f32_f16_e32 v1, v1
	v_mul_f32_e32 v2, 0x4f800000, v1
	v_cmp_gt_f32_e32 vcc, s0, v1
	s_nop 1
	v_cndmask_b32_e32 v1, v1, v2, vcc
	v_rsq_f32_e32 v2, v1
	s_nop 0
	v_mul_f32_e32 v4, v1, v2
	v_mul_f32_e32 v2, 0.5, v2
	v_fma_f32 v5, -v2, v4, 0.5
	v_fmac_f32_e32 v4, v4, v5
	v_fmac_f32_e32 v2, v2, v5
	v_fma_f32 v5, -v4, v4, v1
	v_fmac_f32_e32 v4, v5, v2
	v_mul_f32_e32 v2, 0x37800000, v4
	v_cndmask_b32_e32 v2, v4, v2, vcc
	v_cmp_class_f32_e32 vcc, v1, v3
	s_nop 1
	v_cndmask_b32_e32 v1, v2, v1, vcc
	v_cvt_f16_f32_e32 v1, v1
	global_store_short v0, v1, s[16:17]
	s_or_b64 exec, exec, s[48:49]
	v_cmp_gt_i32_e32 vcc, s55, v24
	s_and_saveexec_b64 s[48:49], vcc
	s_cbranch_execnz .LBB263_176
.LBB263_192:
	s_or_b64 exec, exec, s[48:49]
	v_cmp_gt_i32_e32 vcc, s55, v24
	s_and_saveexec_b64 s[48:49], vcc
	s_cbranch_execz .LBB263_209
.LBB263_193:
	s_andn2_b64 vcc, exec, s[36:37]
	s_cbranch_vccnz .LBB263_199
; %bb.194:
	s_andn2_b64 vcc, exec, s[46:47]
	s_cbranch_vccnz .LBB263_200
; %bb.195:
	s_add_i32 s58, s56, 1
	s_cmp_eq_u32 s54, 2
	s_cbranch_scc1 .LBB263_218
; %bb.196:
	s_and_b32 s57, s58, 28
	s_mov_b32 s59, 0
	v_mov_b32_e32 v0, 0
	v_mov_b32_e32 v2, 0
	s_mov_b64 s[50:51], s[34:35]
	s_mov_b64 s[52:53], s[44:45]
	v_mov_b32_e32 v4, v24
.LBB263_197:                            ; =>This Inner Loop Header: Depth=1
	s_load_dwordx8 s[8:15], s[50:51], 0x4
	s_load_dwordx4 s[28:31], s[50:51], 0x24
	s_load_dwordx8 s[0:7], s[52:53], 0x0
	s_add_u32 s50, s50, 48
	s_addc_u32 s51, s51, 0
	s_waitcnt lgkmcnt(0)
	v_mul_hi_u32 v1, s9, v4
	v_add_u32_e32 v1, v4, v1
	v_lshrrev_b32_e32 v1, s10, v1
	v_mul_lo_u32 v3, v1, s8
	v_mul_hi_u32 v5, s12, v1
	v_sub_u32_e32 v3, v4, v3
	v_add_u32_e32 v4, v1, v5
	v_lshrrev_b32_e32 v4, s13, v4
	v_mul_lo_u32 v6, v4, s11
	v_mul_hi_u32 v7, s15, v4
	v_sub_u32_e32 v1, v1, v6
	v_add_u32_e32 v6, v4, v7
	v_mul_lo_u32 v5, v3, s1
	v_mul_lo_u32 v3, v3, s0
	;; [unrolled: 1-line block ×4, first 2 shown]
	v_lshrrev_b32_e32 v6, s28, v6
	v_add3_u32 v0, v3, v0, v1
	v_mul_hi_u32 v3, s30, v6
	v_add3_u32 v1, v5, v2, v7
	v_mul_lo_u32 v2, v6, s14
	v_add_u32_e32 v3, v6, v3
	v_sub_u32_e32 v2, v4, v2
	v_lshrrev_b32_e32 v4, s31, v3
	s_add_i32 s59, s59, 4
	v_mul_lo_u32 v3, v4, s29
	s_add_u32 s52, s52, 32
	v_sub_u32_e32 v3, v6, v3
	s_addc_u32 s53, s53, 0
	v_mul_lo_u32 v5, v2, s4
	v_mul_lo_u32 v2, v2, s5
	;; [unrolled: 1-line block ×4, first 2 shown]
	s_cmp_eq_u32 s57, s59
	v_add3_u32 v2, v2, v1, v3
	v_add3_u32 v0, v5, v0, v6
	s_cbranch_scc0 .LBB263_197
; %bb.198:
	v_mov_b32_e32 v1, v2
	s_branch .LBB263_219
.LBB263_199:
                                        ; implicit-def: $vgpr2
                                        ; implicit-def: $vgpr0
	s_branch .LBB263_223
.LBB263_200:
	v_mov_b32_e32 v2, 0
	v_mov_b32_e32 v0, 0
	s_branch .LBB263_222
.LBB263_201:
	v_mov_b32_e32 v0, 0
	s_mov_b32 s57, 0
	v_mov_b32_e32 v1, v0
                                        ; implicit-def: $vgpr2
	v_mov_b32_e32 v4, v24
.LBB263_202:
	s_and_b32 s4, s58, 3
	s_cmp_eq_u32 s4, 0
	s_cbranch_scc1 .LBB263_205
; %bb.203:
	s_lshl_b32 s0, s57, 3
	s_add_u32 s0, s34, s0
	s_addc_u32 s1, s35, 0
	s_add_u32 s0, s0, 0xc4
	s_addc_u32 s1, s1, 0
	s_mul_i32 s2, s57, 12
	s_add_u32 s2, s34, s2
	s_addc_u32 s3, s35, 0
.LBB263_204:                            ; =>This Inner Loop Header: Depth=1
	s_load_dwordx2 s[6:7], s[2:3], 0x4
	s_load_dword s5, s[2:3], 0xc
	s_load_dwordx2 s[8:9], s[0:1], 0x0
	v_mov_b32_e32 v2, v1
	s_add_u32 s2, s2, 12
	s_waitcnt lgkmcnt(0)
	v_mul_hi_u32 v1, s7, v4
	v_add_u32_e32 v1, v4, v1
	v_lshrrev_b32_e32 v1, s5, v1
	s_addc_u32 s3, s3, 0
	v_mul_lo_u32 v3, v1, s6
	s_add_u32 s0, s0, 8
	v_sub_u32_e32 v5, v4, v3
	s_addc_u32 s1, s1, 0
	s_add_i32 s4, s4, -1
	v_mov_b32_e32 v4, v1
	v_mad_u64_u32 v[2:3], s[6:7], v5, s9, v[2:3]
	v_mad_u64_u32 v[0:1], s[6:7], v5, s8, v[0:1]
	s_cmp_lg_u32 s4, 0
	v_mov_b32_e32 v1, v2
	s_cbranch_scc1 .LBB263_204
.LBB263_205:
	s_cbranch_execnz .LBB263_208
.LBB263_206:
	s_waitcnt lgkmcnt(0)
	v_mul_hi_u32 v0, s25, v24
	v_add_u32_e32 v0, v24, v0
	v_lshrrev_b32_e32 v1, s26, v0
	v_mul_lo_u32 v0, v1, s24
	v_sub_u32_e32 v0, v24, v0
	v_mul_lo_u32 v2, v0, s21
	s_andn2_b64 vcc, exec, s[42:43]
	v_mul_lo_u32 v0, v0, s20
	s_cbranch_vccnz .LBB263_208
; %bb.207:
	v_mul_hi_u32 v3, s40, v1
	v_add_u32_e32 v3, v1, v3
	v_lshrrev_b32_e32 v3, s41, v3
	v_mul_lo_u32 v3, v3, s27
	v_sub_u32_e32 v3, v1, v3
	v_mad_u64_u32 v[0:1], s[0:1], v3, s22, v[0:1]
	v_mad_u64_u32 v[2:3], s[0:1], v3, s23, v[2:3]
.LBB263_208:
	s_waitcnt lgkmcnt(0)
	global_load_ushort v1, v2, s[18:19]
	s_mov_b32 s0, 0xf800000
	v_mov_b32_e32 v3, 0x260
	v_add_u32_e32 v24, 0x80, v24
	s_waitcnt vmcnt(0)
	v_cvt_f32_f16_e32 v1, v1
	v_mul_f32_e32 v2, 0x4f800000, v1
	v_cmp_gt_f32_e32 vcc, s0, v1
	s_nop 1
	v_cndmask_b32_e32 v1, v1, v2, vcc
	v_rsq_f32_e32 v2, v1
	s_nop 0
	v_mul_f32_e32 v4, v1, v2
	v_mul_f32_e32 v2, 0.5, v2
	v_fma_f32 v5, -v2, v4, 0.5
	v_fmac_f32_e32 v4, v4, v5
	v_fmac_f32_e32 v2, v2, v5
	v_fma_f32 v5, -v4, v4, v1
	v_fmac_f32_e32 v4, v5, v2
	v_mul_f32_e32 v2, 0x37800000, v4
	v_cndmask_b32_e32 v2, v4, v2, vcc
	v_cmp_class_f32_e32 vcc, v1, v3
	s_nop 1
	v_cndmask_b32_e32 v1, v2, v1, vcc
	v_cvt_f16_f32_e32 v1, v1
	global_store_short v0, v1, s[16:17]
	s_or_b64 exec, exec, s[48:49]
	v_cmp_gt_i32_e32 vcc, s55, v24
	s_and_saveexec_b64 s[48:49], vcc
	s_cbranch_execnz .LBB263_193
.LBB263_209:
	s_or_b64 exec, exec, s[48:49]
	v_cmp_gt_i32_e32 vcc, s55, v24
	s_and_saveexec_b64 s[48:49], vcc
	s_cbranch_execz .LBB263_226
.LBB263_210:
	s_andn2_b64 vcc, exec, s[36:37]
	s_cbranch_vccnz .LBB263_216
; %bb.211:
	s_andn2_b64 vcc, exec, s[46:47]
	s_cbranch_vccnz .LBB263_217
; %bb.212:
	s_add_i32 s58, s56, 1
	s_cmp_eq_u32 s54, 2
	s_cbranch_scc1 .LBB263_229
; %bb.213:
	s_and_b32 s57, s58, 28
	s_mov_b32 s59, 0
	v_mov_b32_e32 v0, 0
	v_mov_b32_e32 v2, 0
	s_mov_b64 s[50:51], s[34:35]
	s_mov_b64 s[52:53], s[44:45]
	v_mov_b32_e32 v4, v24
.LBB263_214:                            ; =>This Inner Loop Header: Depth=1
	s_load_dwordx8 s[8:15], s[50:51], 0x4
	s_load_dwordx4 s[28:31], s[50:51], 0x24
	s_load_dwordx8 s[0:7], s[52:53], 0x0
	s_add_u32 s50, s50, 48
	s_addc_u32 s51, s51, 0
	s_waitcnt lgkmcnt(0)
	v_mul_hi_u32 v1, s9, v4
	v_add_u32_e32 v1, v4, v1
	v_lshrrev_b32_e32 v1, s10, v1
	v_mul_lo_u32 v3, v1, s8
	v_mul_hi_u32 v5, s12, v1
	v_sub_u32_e32 v3, v4, v3
	v_add_u32_e32 v4, v1, v5
	v_lshrrev_b32_e32 v4, s13, v4
	v_mul_lo_u32 v6, v4, s11
	v_mul_hi_u32 v7, s15, v4
	v_sub_u32_e32 v1, v1, v6
	v_add_u32_e32 v6, v4, v7
	v_mul_lo_u32 v5, v3, s1
	v_mul_lo_u32 v3, v3, s0
	;; [unrolled: 1-line block ×4, first 2 shown]
	v_lshrrev_b32_e32 v6, s28, v6
	v_add3_u32 v0, v3, v0, v1
	v_mul_hi_u32 v3, s30, v6
	v_add3_u32 v1, v5, v2, v7
	v_mul_lo_u32 v2, v6, s14
	v_add_u32_e32 v3, v6, v3
	v_sub_u32_e32 v2, v4, v2
	v_lshrrev_b32_e32 v4, s31, v3
	s_add_i32 s59, s59, 4
	v_mul_lo_u32 v3, v4, s29
	s_add_u32 s52, s52, 32
	v_sub_u32_e32 v3, v6, v3
	s_addc_u32 s53, s53, 0
	v_mul_lo_u32 v5, v2, s4
	v_mul_lo_u32 v2, v2, s5
	;; [unrolled: 1-line block ×4, first 2 shown]
	s_cmp_eq_u32 s57, s59
	v_add3_u32 v2, v2, v1, v3
	v_add3_u32 v0, v5, v0, v6
	s_cbranch_scc0 .LBB263_214
; %bb.215:
	v_mov_b32_e32 v1, v2
	s_branch .LBB263_230
.LBB263_216:
                                        ; implicit-def: $vgpr2
                                        ; implicit-def: $vgpr0
	s_branch .LBB263_234
.LBB263_217:
	v_mov_b32_e32 v2, 0
	v_mov_b32_e32 v0, 0
	s_branch .LBB263_233
.LBB263_218:
	v_mov_b32_e32 v0, 0
	s_mov_b32 s57, 0
	v_mov_b32_e32 v1, v0
                                        ; implicit-def: $vgpr2
	v_mov_b32_e32 v4, v24
.LBB263_219:
	s_and_b32 s4, s58, 3
	s_cmp_eq_u32 s4, 0
	s_cbranch_scc1 .LBB263_222
; %bb.220:
	s_lshl_b32 s0, s57, 3
	s_add_u32 s0, s34, s0
	s_addc_u32 s1, s35, 0
	s_add_u32 s0, s0, 0xc4
	s_addc_u32 s1, s1, 0
	s_mul_i32 s2, s57, 12
	s_add_u32 s2, s34, s2
	s_addc_u32 s3, s35, 0
.LBB263_221:                            ; =>This Inner Loop Header: Depth=1
	s_load_dwordx2 s[6:7], s[2:3], 0x4
	s_load_dword s5, s[2:3], 0xc
	s_load_dwordx2 s[8:9], s[0:1], 0x0
	v_mov_b32_e32 v2, v1
	s_add_u32 s2, s2, 12
	s_waitcnt lgkmcnt(0)
	v_mul_hi_u32 v1, s7, v4
	v_add_u32_e32 v1, v4, v1
	v_lshrrev_b32_e32 v1, s5, v1
	s_addc_u32 s3, s3, 0
	v_mul_lo_u32 v3, v1, s6
	s_add_u32 s0, s0, 8
	v_sub_u32_e32 v5, v4, v3
	s_addc_u32 s1, s1, 0
	s_add_i32 s4, s4, -1
	v_mov_b32_e32 v4, v1
	v_mad_u64_u32 v[2:3], s[6:7], v5, s9, v[2:3]
	v_mad_u64_u32 v[0:1], s[6:7], v5, s8, v[0:1]
	s_cmp_lg_u32 s4, 0
	v_mov_b32_e32 v1, v2
	s_cbranch_scc1 .LBB263_221
.LBB263_222:
	s_cbranch_execnz .LBB263_225
.LBB263_223:
	s_waitcnt lgkmcnt(0)
	v_mul_hi_u32 v0, s25, v24
	v_add_u32_e32 v0, v24, v0
	v_lshrrev_b32_e32 v1, s26, v0
	v_mul_lo_u32 v0, v1, s24
	v_sub_u32_e32 v0, v24, v0
	v_mul_lo_u32 v2, v0, s21
	s_andn2_b64 vcc, exec, s[42:43]
	v_mul_lo_u32 v0, v0, s20
	s_cbranch_vccnz .LBB263_225
; %bb.224:
	v_mul_hi_u32 v3, s40, v1
	v_add_u32_e32 v3, v1, v3
	v_lshrrev_b32_e32 v3, s41, v3
	v_mul_lo_u32 v3, v3, s27
	v_sub_u32_e32 v3, v1, v3
	v_mad_u64_u32 v[0:1], s[0:1], v3, s22, v[0:1]
	v_mad_u64_u32 v[2:3], s[0:1], v3, s23, v[2:3]
.LBB263_225:
	s_waitcnt lgkmcnt(0)
	global_load_ushort v1, v2, s[18:19]
	s_mov_b32 s0, 0xf800000
	v_mov_b32_e32 v3, 0x260
	v_add_u32_e32 v24, 0x80, v24
	s_waitcnt vmcnt(0)
	v_cvt_f32_f16_e32 v1, v1
	v_mul_f32_e32 v2, 0x4f800000, v1
	v_cmp_gt_f32_e32 vcc, s0, v1
	s_nop 1
	v_cndmask_b32_e32 v1, v1, v2, vcc
	v_rsq_f32_e32 v2, v1
	s_nop 0
	v_mul_f32_e32 v4, v1, v2
	v_mul_f32_e32 v2, 0.5, v2
	v_fma_f32 v5, -v2, v4, 0.5
	v_fmac_f32_e32 v4, v4, v5
	v_fmac_f32_e32 v2, v2, v5
	v_fma_f32 v5, -v4, v4, v1
	v_fmac_f32_e32 v4, v5, v2
	v_mul_f32_e32 v2, 0x37800000, v4
	v_cndmask_b32_e32 v2, v4, v2, vcc
	v_cmp_class_f32_e32 vcc, v1, v3
	s_nop 1
	v_cndmask_b32_e32 v1, v2, v1, vcc
	v_cvt_f16_f32_e32 v1, v1
	global_store_short v0, v1, s[16:17]
	s_or_b64 exec, exec, s[48:49]
	v_cmp_gt_i32_e32 vcc, s55, v24
	s_and_saveexec_b64 s[48:49], vcc
	s_cbranch_execnz .LBB263_210
.LBB263_226:
	s_or_b64 exec, exec, s[48:49]
	v_cmp_gt_i32_e32 vcc, s55, v24
	s_and_saveexec_b64 s[48:49], vcc
	s_cbranch_execnz .LBB263_237
.LBB263_227:
	s_or_b64 exec, exec, s[48:49]
                                        ; implicit-def: $vgpr32
                                        ; implicit-def: $vgpr24
	s_andn2_saveexec_b64 s[0:1], s[38:39]
	s_cbranch_execnz .LBB263_9
.LBB263_228:
	s_endpgm
.LBB263_229:
	v_mov_b32_e32 v0, 0
	s_mov_b32 s57, 0
	v_mov_b32_e32 v1, v0
                                        ; implicit-def: $vgpr2
	v_mov_b32_e32 v4, v24
.LBB263_230:
	s_and_b32 s4, s58, 3
	s_cmp_eq_u32 s4, 0
	s_cbranch_scc1 .LBB263_233
; %bb.231:
	s_lshl_b32 s0, s57, 3
	s_add_u32 s0, s34, s0
	s_addc_u32 s1, s35, 0
	s_add_u32 s0, s0, 0xc4
	s_addc_u32 s1, s1, 0
	s_mul_i32 s2, s57, 12
	s_add_u32 s2, s34, s2
	s_addc_u32 s3, s35, 0
.LBB263_232:                            ; =>This Inner Loop Header: Depth=1
	s_load_dwordx2 s[6:7], s[2:3], 0x4
	s_load_dword s5, s[2:3], 0xc
	s_load_dwordx2 s[8:9], s[0:1], 0x0
	v_mov_b32_e32 v2, v1
	s_add_u32 s2, s2, 12
	s_waitcnt lgkmcnt(0)
	v_mul_hi_u32 v1, s7, v4
	v_add_u32_e32 v1, v4, v1
	v_lshrrev_b32_e32 v1, s5, v1
	s_addc_u32 s3, s3, 0
	v_mul_lo_u32 v3, v1, s6
	s_add_u32 s0, s0, 8
	v_sub_u32_e32 v5, v4, v3
	s_addc_u32 s1, s1, 0
	s_add_i32 s4, s4, -1
	v_mov_b32_e32 v4, v1
	v_mad_u64_u32 v[2:3], s[6:7], v5, s9, v[2:3]
	v_mad_u64_u32 v[0:1], s[6:7], v5, s8, v[0:1]
	s_cmp_lg_u32 s4, 0
	v_mov_b32_e32 v1, v2
	s_cbranch_scc1 .LBB263_232
.LBB263_233:
	s_cbranch_execnz .LBB263_236
.LBB263_234:
	s_waitcnt lgkmcnt(0)
	v_mul_hi_u32 v0, s25, v24
	v_add_u32_e32 v0, v24, v0
	v_lshrrev_b32_e32 v1, s26, v0
	v_mul_lo_u32 v0, v1, s24
	v_sub_u32_e32 v0, v24, v0
	v_mul_lo_u32 v2, v0, s21
	s_andn2_b64 vcc, exec, s[42:43]
	v_mul_lo_u32 v0, v0, s20
	s_cbranch_vccnz .LBB263_236
; %bb.235:
	v_mul_hi_u32 v3, s40, v1
	v_add_u32_e32 v3, v1, v3
	v_lshrrev_b32_e32 v3, s41, v3
	v_mul_lo_u32 v3, v3, s27
	v_sub_u32_e32 v3, v1, v3
	v_mad_u64_u32 v[0:1], s[0:1], v3, s22, v[0:1]
	v_mad_u64_u32 v[2:3], s[0:1], v3, s23, v[2:3]
.LBB263_236:
	s_waitcnt lgkmcnt(0)
	global_load_ushort v1, v2, s[18:19]
	s_mov_b32 s0, 0xf800000
	v_mov_b32_e32 v3, 0x260
	v_add_u32_e32 v24, 0x80, v24
	s_waitcnt vmcnt(0)
	v_cvt_f32_f16_e32 v1, v1
	v_mul_f32_e32 v2, 0x4f800000, v1
	v_cmp_gt_f32_e32 vcc, s0, v1
	s_nop 1
	v_cndmask_b32_e32 v1, v1, v2, vcc
	v_rsq_f32_e32 v2, v1
	s_nop 0
	v_mul_f32_e32 v4, v1, v2
	v_mul_f32_e32 v2, 0.5, v2
	v_fma_f32 v5, -v2, v4, 0.5
	v_fmac_f32_e32 v4, v4, v5
	v_fmac_f32_e32 v2, v2, v5
	v_fma_f32 v5, -v4, v4, v1
	v_fmac_f32_e32 v4, v5, v2
	v_mul_f32_e32 v2, 0x37800000, v4
	v_cndmask_b32_e32 v2, v4, v2, vcc
	v_cmp_class_f32_e32 vcc, v1, v3
	s_nop 1
	v_cndmask_b32_e32 v1, v2, v1, vcc
	v_cvt_f16_f32_e32 v1, v1
	global_store_short v0, v1, s[16:17]
	s_or_b64 exec, exec, s[48:49]
	v_cmp_gt_i32_e32 vcc, s55, v24
	s_and_saveexec_b64 s[48:49], vcc
	s_cbranch_execz .LBB263_227
.LBB263_237:
	s_andn2_b64 vcc, exec, s[36:37]
	s_cbranch_vccnz .LBB263_243
; %bb.238:
	s_andn2_b64 vcc, exec, s[46:47]
	s_cbranch_vccnz .LBB263_244
; %bb.239:
	s_add_i32 s56, s56, 1
	s_cmp_eq_u32 s54, 2
	s_cbranch_scc1 .LBB263_245
; %bb.240:
	s_and_b32 s50, s56, 28
	s_mov_b32 s51, 0
	v_mov_b32_e32 v0, 0
	v_mov_b32_e32 v2, 0
	s_mov_b64 s[46:47], s[34:35]
	v_mov_b32_e32 v4, v24
.LBB263_241:                            ; =>This Inner Loop Header: Depth=1
	s_load_dwordx8 s[8:15], s[46:47], 0x4
	s_load_dwordx4 s[28:31], s[46:47], 0x24
	s_load_dwordx8 s[0:7], s[44:45], 0x0
	s_add_u32 s46, s46, 48
	s_addc_u32 s47, s47, 0
	s_waitcnt lgkmcnt(0)
	v_mul_hi_u32 v1, s9, v4
	v_add_u32_e32 v1, v4, v1
	v_lshrrev_b32_e32 v1, s10, v1
	v_mul_lo_u32 v3, v1, s8
	v_mul_hi_u32 v5, s12, v1
	v_sub_u32_e32 v3, v4, v3
	v_add_u32_e32 v4, v1, v5
	v_lshrrev_b32_e32 v4, s13, v4
	v_mul_lo_u32 v6, v4, s11
	v_mul_hi_u32 v7, s15, v4
	v_sub_u32_e32 v1, v1, v6
	v_add_u32_e32 v6, v4, v7
	v_mul_lo_u32 v5, v3, s1
	v_mul_lo_u32 v3, v3, s0
	;; [unrolled: 1-line block ×4, first 2 shown]
	v_lshrrev_b32_e32 v6, s28, v6
	v_add3_u32 v0, v3, v0, v1
	v_mul_hi_u32 v3, s30, v6
	v_add3_u32 v1, v5, v2, v7
	v_mul_lo_u32 v2, v6, s14
	v_add_u32_e32 v3, v6, v3
	v_sub_u32_e32 v2, v4, v2
	v_lshrrev_b32_e32 v4, s31, v3
	s_add_i32 s51, s51, 4
	v_mul_lo_u32 v3, v4, s29
	s_add_u32 s44, s44, 32
	v_sub_u32_e32 v3, v6, v3
	s_addc_u32 s45, s45, 0
	v_mul_lo_u32 v5, v2, s4
	v_mul_lo_u32 v2, v2, s5
	;; [unrolled: 1-line block ×4, first 2 shown]
	s_cmp_eq_u32 s50, s51
	v_add3_u32 v2, v2, v1, v3
	v_add3_u32 v0, v5, v0, v6
	s_cbranch_scc0 .LBB263_241
; %bb.242:
	v_mov_b32_e32 v1, v2
	s_branch .LBB263_246
.LBB263_243:
                                        ; implicit-def: $vgpr2
                                        ; implicit-def: $vgpr0
	s_branch .LBB263_250
.LBB263_244:
	v_mov_b32_e32 v2, 0
	v_mov_b32_e32 v0, 0
	s_branch .LBB263_249
.LBB263_245:
	v_mov_b32_e32 v0, 0
	s_mov_b32 s50, 0
	v_mov_b32_e32 v1, v0
                                        ; implicit-def: $vgpr2
	v_mov_b32_e32 v4, v24
.LBB263_246:
	s_and_b32 s4, s56, 3
	s_cmp_eq_u32 s4, 0
	s_cbranch_scc1 .LBB263_249
; %bb.247:
	s_lshl_b32 s0, s50, 3
	s_add_u32 s0, s34, s0
	s_addc_u32 s1, s35, 0
	s_add_u32 s0, s0, 0xc4
	s_addc_u32 s1, s1, 0
	s_mul_i32 s2, s50, 12
	s_add_u32 s2, s34, s2
	s_addc_u32 s3, s35, 0
.LBB263_248:                            ; =>This Inner Loop Header: Depth=1
	s_load_dwordx2 s[6:7], s[2:3], 0x4
	s_load_dword s5, s[2:3], 0xc
	s_load_dwordx2 s[8:9], s[0:1], 0x0
	v_mov_b32_e32 v2, v1
	s_add_u32 s2, s2, 12
	s_waitcnt lgkmcnt(0)
	v_mul_hi_u32 v1, s7, v4
	v_add_u32_e32 v1, v4, v1
	v_lshrrev_b32_e32 v1, s5, v1
	s_addc_u32 s3, s3, 0
	v_mul_lo_u32 v3, v1, s6
	s_add_u32 s0, s0, 8
	v_sub_u32_e32 v5, v4, v3
	s_addc_u32 s1, s1, 0
	s_add_i32 s4, s4, -1
	v_mov_b32_e32 v4, v1
	v_mad_u64_u32 v[2:3], s[6:7], v5, s9, v[2:3]
	v_mad_u64_u32 v[0:1], s[6:7], v5, s8, v[0:1]
	s_cmp_lg_u32 s4, 0
	v_mov_b32_e32 v1, v2
	s_cbranch_scc1 .LBB263_248
.LBB263_249:
	s_cbranch_execnz .LBB263_252
.LBB263_250:
	s_waitcnt lgkmcnt(0)
	v_mul_hi_u32 v0, s25, v24
	v_add_u32_e32 v0, v24, v0
	v_lshrrev_b32_e32 v1, s26, v0
	v_mul_lo_u32 v0, v1, s24
	v_sub_u32_e32 v0, v24, v0
	v_mul_lo_u32 v2, v0, s21
	s_andn2_b64 vcc, exec, s[42:43]
	v_mul_lo_u32 v0, v0, s20
	s_cbranch_vccnz .LBB263_252
; %bb.251:
	v_mul_hi_u32 v3, s40, v1
	v_add_u32_e32 v3, v1, v3
	v_lshrrev_b32_e32 v3, s41, v3
	v_mul_lo_u32 v3, v3, s27
	v_sub_u32_e32 v3, v1, v3
	v_mad_u64_u32 v[0:1], s[0:1], v3, s22, v[0:1]
	v_mad_u64_u32 v[2:3], s[0:1], v3, s23, v[2:3]
.LBB263_252:
	s_waitcnt lgkmcnt(0)
	global_load_ushort v1, v2, s[18:19]
	s_mov_b32 s0, 0xf800000
	v_mov_b32_e32 v3, 0x260
	s_waitcnt vmcnt(0)
	v_cvt_f32_f16_e32 v1, v1
	v_mul_f32_e32 v2, 0x4f800000, v1
	v_cmp_gt_f32_e32 vcc, s0, v1
	s_nop 1
	v_cndmask_b32_e32 v1, v1, v2, vcc
	v_rsq_f32_e32 v2, v1
	s_nop 0
	v_mul_f32_e32 v4, v1, v2
	v_mul_f32_e32 v2, 0.5, v2
	v_fma_f32 v5, -v2, v4, 0.5
	v_fmac_f32_e32 v4, v4, v5
	v_fmac_f32_e32 v2, v2, v5
	v_fma_f32 v5, -v4, v4, v1
	v_fmac_f32_e32 v4, v5, v2
	v_mul_f32_e32 v2, 0x37800000, v4
	v_cndmask_b32_e32 v2, v4, v2, vcc
	v_cmp_class_f32_e32 vcc, v1, v3
	s_nop 1
	v_cndmask_b32_e32 v1, v2, v1, vcc
	v_cvt_f16_f32_e32 v1, v1
	global_store_short v0, v1, s[16:17]
	s_or_b64 exec, exec, s[48:49]
                                        ; implicit-def: $vgpr32
                                        ; implicit-def: $vgpr24
	s_andn2_saveexec_b64 s[0:1], s[38:39]
	s_cbranch_execz .LBB263_228
	s_branch .LBB263_9
	.section	.rodata,"a",@progbits
	.p2align	6, 0x0
	.amdhsa_kernel _ZN2at6native32elementwise_kernel_manual_unrollILi128ELi8EZNS0_22gpu_kernel_impl_nocastIZZZNS0_16sqrt_kernel_cudaERNS_18TensorIteratorBaseEENKUlvE0_clEvENKUlvE1_clEvEUlN3c104HalfEE_EEvS4_RKT_EUlibE_EEviT1_
		.amdhsa_group_segment_fixed_size 0
		.amdhsa_private_segment_fixed_size 0
		.amdhsa_kernarg_size 360
		.amdhsa_user_sgpr_count 2
		.amdhsa_user_sgpr_dispatch_ptr 0
		.amdhsa_user_sgpr_queue_ptr 0
		.amdhsa_user_sgpr_kernarg_segment_ptr 1
		.amdhsa_user_sgpr_dispatch_id 0
		.amdhsa_user_sgpr_kernarg_preload_length 0
		.amdhsa_user_sgpr_kernarg_preload_offset 0
		.amdhsa_user_sgpr_private_segment_size 0
		.amdhsa_uses_dynamic_stack 0
		.amdhsa_enable_private_segment 0
		.amdhsa_system_sgpr_workgroup_id_x 1
		.amdhsa_system_sgpr_workgroup_id_y 0
		.amdhsa_system_sgpr_workgroup_id_z 0
		.amdhsa_system_sgpr_workgroup_info 0
		.amdhsa_system_vgpr_workitem_id 0
		.amdhsa_next_free_vgpr 35
		.amdhsa_next_free_sgpr 60
		.amdhsa_accum_offset 36
		.amdhsa_reserve_vcc 1
		.amdhsa_float_round_mode_32 0
		.amdhsa_float_round_mode_16_64 0
		.amdhsa_float_denorm_mode_32 3
		.amdhsa_float_denorm_mode_16_64 3
		.amdhsa_dx10_clamp 1
		.amdhsa_ieee_mode 1
		.amdhsa_fp16_overflow 0
		.amdhsa_tg_split 0
		.amdhsa_exception_fp_ieee_invalid_op 0
		.amdhsa_exception_fp_denorm_src 0
		.amdhsa_exception_fp_ieee_div_zero 0
		.amdhsa_exception_fp_ieee_overflow 0
		.amdhsa_exception_fp_ieee_underflow 0
		.amdhsa_exception_fp_ieee_inexact 0
		.amdhsa_exception_int_div_zero 0
	.end_amdhsa_kernel
	.section	.text._ZN2at6native32elementwise_kernel_manual_unrollILi128ELi8EZNS0_22gpu_kernel_impl_nocastIZZZNS0_16sqrt_kernel_cudaERNS_18TensorIteratorBaseEENKUlvE0_clEvENKUlvE1_clEvEUlN3c104HalfEE_EEvS4_RKT_EUlibE_EEviT1_,"axG",@progbits,_ZN2at6native32elementwise_kernel_manual_unrollILi128ELi8EZNS0_22gpu_kernel_impl_nocastIZZZNS0_16sqrt_kernel_cudaERNS_18TensorIteratorBaseEENKUlvE0_clEvENKUlvE1_clEvEUlN3c104HalfEE_EEvS4_RKT_EUlibE_EEviT1_,comdat
.Lfunc_end263:
	.size	_ZN2at6native32elementwise_kernel_manual_unrollILi128ELi8EZNS0_22gpu_kernel_impl_nocastIZZZNS0_16sqrt_kernel_cudaERNS_18TensorIteratorBaseEENKUlvE0_clEvENKUlvE1_clEvEUlN3c104HalfEE_EEvS4_RKT_EUlibE_EEviT1_, .Lfunc_end263-_ZN2at6native32elementwise_kernel_manual_unrollILi128ELi8EZNS0_22gpu_kernel_impl_nocastIZZZNS0_16sqrt_kernel_cudaERNS_18TensorIteratorBaseEENKUlvE0_clEvENKUlvE1_clEvEUlN3c104HalfEE_EEvS4_RKT_EUlibE_EEviT1_
                                        ; -- End function
	.set _ZN2at6native32elementwise_kernel_manual_unrollILi128ELi8EZNS0_22gpu_kernel_impl_nocastIZZZNS0_16sqrt_kernel_cudaERNS_18TensorIteratorBaseEENKUlvE0_clEvENKUlvE1_clEvEUlN3c104HalfEE_EEvS4_RKT_EUlibE_EEviT1_.num_vgpr, 35
	.set _ZN2at6native32elementwise_kernel_manual_unrollILi128ELi8EZNS0_22gpu_kernel_impl_nocastIZZZNS0_16sqrt_kernel_cudaERNS_18TensorIteratorBaseEENKUlvE0_clEvENKUlvE1_clEvEUlN3c104HalfEE_EEvS4_RKT_EUlibE_EEviT1_.num_agpr, 0
	.set _ZN2at6native32elementwise_kernel_manual_unrollILi128ELi8EZNS0_22gpu_kernel_impl_nocastIZZZNS0_16sqrt_kernel_cudaERNS_18TensorIteratorBaseEENKUlvE0_clEvENKUlvE1_clEvEUlN3c104HalfEE_EEvS4_RKT_EUlibE_EEviT1_.numbered_sgpr, 60
	.set _ZN2at6native32elementwise_kernel_manual_unrollILi128ELi8EZNS0_22gpu_kernel_impl_nocastIZZZNS0_16sqrt_kernel_cudaERNS_18TensorIteratorBaseEENKUlvE0_clEvENKUlvE1_clEvEUlN3c104HalfEE_EEvS4_RKT_EUlibE_EEviT1_.num_named_barrier, 0
	.set _ZN2at6native32elementwise_kernel_manual_unrollILi128ELi8EZNS0_22gpu_kernel_impl_nocastIZZZNS0_16sqrt_kernel_cudaERNS_18TensorIteratorBaseEENKUlvE0_clEvENKUlvE1_clEvEUlN3c104HalfEE_EEvS4_RKT_EUlibE_EEviT1_.private_seg_size, 0
	.set _ZN2at6native32elementwise_kernel_manual_unrollILi128ELi8EZNS0_22gpu_kernel_impl_nocastIZZZNS0_16sqrt_kernel_cudaERNS_18TensorIteratorBaseEENKUlvE0_clEvENKUlvE1_clEvEUlN3c104HalfEE_EEvS4_RKT_EUlibE_EEviT1_.uses_vcc, 1
	.set _ZN2at6native32elementwise_kernel_manual_unrollILi128ELi8EZNS0_22gpu_kernel_impl_nocastIZZZNS0_16sqrt_kernel_cudaERNS_18TensorIteratorBaseEENKUlvE0_clEvENKUlvE1_clEvEUlN3c104HalfEE_EEvS4_RKT_EUlibE_EEviT1_.uses_flat_scratch, 0
	.set _ZN2at6native32elementwise_kernel_manual_unrollILi128ELi8EZNS0_22gpu_kernel_impl_nocastIZZZNS0_16sqrt_kernel_cudaERNS_18TensorIteratorBaseEENKUlvE0_clEvENKUlvE1_clEvEUlN3c104HalfEE_EEvS4_RKT_EUlibE_EEviT1_.has_dyn_sized_stack, 0
	.set _ZN2at6native32elementwise_kernel_manual_unrollILi128ELi8EZNS0_22gpu_kernel_impl_nocastIZZZNS0_16sqrt_kernel_cudaERNS_18TensorIteratorBaseEENKUlvE0_clEvENKUlvE1_clEvEUlN3c104HalfEE_EEvS4_RKT_EUlibE_EEviT1_.has_recursion, 0
	.set _ZN2at6native32elementwise_kernel_manual_unrollILi128ELi8EZNS0_22gpu_kernel_impl_nocastIZZZNS0_16sqrt_kernel_cudaERNS_18TensorIteratorBaseEENKUlvE0_clEvENKUlvE1_clEvEUlN3c104HalfEE_EEvS4_RKT_EUlibE_EEviT1_.has_indirect_call, 0
	.section	.AMDGPU.csdata,"",@progbits
; Kernel info:
; codeLenInByte = 13056
; TotalNumSgprs: 66
; NumVgprs: 35
; NumAgprs: 0
; TotalNumVgprs: 35
; ScratchSize: 0
; MemoryBound: 0
; FloatMode: 240
; IeeeMode: 1
; LDSByteSize: 0 bytes/workgroup (compile time only)
; SGPRBlocks: 8
; VGPRBlocks: 4
; NumSGPRsForWavesPerEU: 66
; NumVGPRsForWavesPerEU: 35
; AccumOffset: 36
; Occupancy: 8
; WaveLimiterHint : 1
; COMPUTE_PGM_RSRC2:SCRATCH_EN: 0
; COMPUTE_PGM_RSRC2:USER_SGPR: 2
; COMPUTE_PGM_RSRC2:TRAP_HANDLER: 0
; COMPUTE_PGM_RSRC2:TGID_X_EN: 1
; COMPUTE_PGM_RSRC2:TGID_Y_EN: 0
; COMPUTE_PGM_RSRC2:TGID_Z_EN: 0
; COMPUTE_PGM_RSRC2:TIDIG_COMP_CNT: 0
; COMPUTE_PGM_RSRC3_GFX90A:ACCUM_OFFSET: 8
; COMPUTE_PGM_RSRC3_GFX90A:TG_SPLIT: 0
	.section	.text._ZN2at6native32elementwise_kernel_manual_unrollILi128ELi4EZNS0_15gpu_kernel_implIZZZNS0_16sqrt_kernel_cudaERNS_18TensorIteratorBaseEENKUlvE0_clEvENKUlvE1_clEvEUlN3c104HalfEE_EEvS4_RKT_EUlibE_EEviT1_,"axG",@progbits,_ZN2at6native32elementwise_kernel_manual_unrollILi128ELi4EZNS0_15gpu_kernel_implIZZZNS0_16sqrt_kernel_cudaERNS_18TensorIteratorBaseEENKUlvE0_clEvENKUlvE1_clEvEUlN3c104HalfEE_EEvS4_RKT_EUlibE_EEviT1_,comdat
	.globl	_ZN2at6native32elementwise_kernel_manual_unrollILi128ELi4EZNS0_15gpu_kernel_implIZZZNS0_16sqrt_kernel_cudaERNS_18TensorIteratorBaseEENKUlvE0_clEvENKUlvE1_clEvEUlN3c104HalfEE_EEvS4_RKT_EUlibE_EEviT1_ ; -- Begin function _ZN2at6native32elementwise_kernel_manual_unrollILi128ELi4EZNS0_15gpu_kernel_implIZZZNS0_16sqrt_kernel_cudaERNS_18TensorIteratorBaseEENKUlvE0_clEvENKUlvE1_clEvEUlN3c104HalfEE_EEvS4_RKT_EUlibE_EEviT1_
	.p2align	8
	.type	_ZN2at6native32elementwise_kernel_manual_unrollILi128ELi4EZNS0_15gpu_kernel_implIZZZNS0_16sqrt_kernel_cudaERNS_18TensorIteratorBaseEENKUlvE0_clEvENKUlvE1_clEvEUlN3c104HalfEE_EEvS4_RKT_EUlibE_EEviT1_,@function
_ZN2at6native32elementwise_kernel_manual_unrollILi128ELi4EZNS0_15gpu_kernel_implIZZZNS0_16sqrt_kernel_cudaERNS_18TensorIteratorBaseEENKUlvE0_clEvENKUlvE1_clEvEUlN3c104HalfEE_EEvS4_RKT_EUlibE_EEviT1_: ; @_ZN2at6native32elementwise_kernel_manual_unrollILi128ELi4EZNS0_15gpu_kernel_implIZZZNS0_16sqrt_kernel_cudaERNS_18TensorIteratorBaseEENKUlvE0_clEvENKUlvE1_clEvEUlN3c104HalfEE_EEvS4_RKT_EUlibE_EEviT1_
; %bb.0:
	v_mov_b32_e32 v1, 0
	global_load_ushort v1, v1, s[0:1] offset:33
	s_load_dwordx4 s[4:7], s[0:1], 0x8
	s_load_dwordx2 s[8:9], s[0:1], 0x18
	s_load_dword s38, s[0:1], 0x0
	v_lshl_or_b32 v4, s2, 9, v0
	v_or_b32_e32 v0, 0x180, v4
	s_mov_b64 s[10:11], 0
	s_mov_b64 s[12:13], 0
	s_waitcnt lgkmcnt(0)
	v_cmp_le_i32_e32 vcc, s38, v0
	s_waitcnt vmcnt(0)
	v_readfirstlane_b32 s33, v1
	s_and_b32 s0, 0xffff, s33
	s_lshr_b32 s42, s0, 8
	s_and_saveexec_b64 s[0:1], vcc
	s_xor_b64 s[2:3], exec, s[0:1]
	s_cbranch_execz .LBB264_1027
; %bb.1:
	v_cmp_gt_i32_e32 vcc, s38, v4
	s_mov_b64 s[18:19], -1
	s_mov_b64 s[20:21], 0
	s_mov_b64 s[14:15], 0
	s_and_saveexec_b64 s[16:17], vcc
	s_cbranch_execz .LBB264_252
; %bb.2:
	v_mul_lo_u32 v0, v4, s9
	v_ashrrev_i32_e32 v1, 31, v0
	s_and_b32 s22, 0xffff, s42
	s_cmp_lt_i32 s22, 11
	v_lshl_add_u64 v[0:1], s[6:7], 0, v[0:1]
	s_cbranch_scc1 .LBB264_9
; %bb.3:
	s_cmp_gt_i32 s22, 25
	s_cbranch_scc0 .LBB264_18
; %bb.4:
	s_cmp_gt_i32 s22, 28
	s_cbranch_scc0 .LBB264_22
	;; [unrolled: 3-line block ×4, first 2 shown]
; %bb.7:
	s_cmp_eq_u32 s22, 46
	s_cbranch_scc0 .LBB264_28
; %bb.8:
	global_load_dword v2, v[0:1], off
	s_mov_b64 s[0:1], -1
	s_waitcnt vmcnt(0)
	v_lshlrev_b32_e32 v2, 16, v2
	v_cvt_f16_f32_e32 v2, v2
	s_branch .LBB264_30
.LBB264_9:
                                        ; implicit-def: $vgpr2
	s_mov_b64 s[0:1], 0
	s_cbranch_execnz .LBB264_203
.LBB264_10:
	s_andn2_b64 vcc, exec, s[0:1]
	s_cbranch_vccnz .LBB264_250
.LBB264_11:
	s_waitcnt vmcnt(0)
	v_cvt_f32_f16_e32 v0, v2
	s_mov_b32 s0, 0xf800000
	v_mov_b32_e32 v2, 0x260
	s_and_b32 s24, s33, 0xff
	v_mul_f32_e32 v1, 0x4f800000, v0
	v_cmp_gt_f32_e32 vcc, s0, v0
	s_cmp_lt_i32 s24, 11
	s_nop 0
	v_cndmask_b32_e32 v0, v0, v1, vcc
	v_rsq_f32_e32 v1, v0
	s_nop 0
	v_mul_f32_e32 v3, v0, v1
	v_mul_f32_e32 v1, 0.5, v1
	v_fma_f32 v5, -v1, v3, 0.5
	v_fmac_f32_e32 v3, v3, v5
	v_fmac_f32_e32 v1, v1, v5
	v_fma_f32 v5, -v3, v3, v0
	v_fmac_f32_e32 v3, v5, v1
	v_mul_f32_e32 v1, 0x37800000, v3
	v_cndmask_b32_e32 v1, v3, v1, vcc
	v_cmp_class_f32_e32 vcc, v0, v2
	s_nop 1
	v_cndmask_b32_e32 v0, v1, v0, vcc
	v_cvt_f16_f32_e32 v2, v0
	v_mul_lo_u32 v0, v4, s8
	v_ashrrev_i32_e32 v1, 31, v0
	v_lshl_add_u64 v[0:1], s[4:5], 0, v[0:1]
	s_cbranch_scc1 .LBB264_19
; %bb.12:
	s_and_b32 s25, 0xffff, s24
	s_cmp_gt_i32 s25, 25
	s_cbranch_scc0 .LBB264_23
; %bb.13:
	s_cmp_gt_i32 s25, 28
	s_cbranch_scc0 .LBB264_25
; %bb.14:
	;; [unrolled: 3-line block ×4, first 2 shown]
	s_mov_b64 s[18:19], 0
	s_mov_b64 s[0:1], -1
	s_cmp_eq_u32 s25, 46
	s_mov_b64 s[12:13], 0
	s_cbranch_scc0 .LBB264_34
; %bb.17:
	v_cvt_f32_f16_e32 v3, v2
	s_movk_i32 s0, 0x7fff
	v_cmp_o_f16_e32 vcc, v2, v2
	v_mov_b32_e32 v5, 0x7fc0
	v_bfe_u32 v6, v3, 16, 1
	v_add3_u32 v3, v3, v6, s0
	v_cndmask_b32_sdwa v3, v5, v3, vcc dst_sel:DWORD dst_unused:UNUSED_PAD src0_sel:DWORD src1_sel:WORD_1
	global_store_dword v[0:1], v3, off
	s_mov_b64 s[12:13], -1
	s_mov_b64 s[0:1], 0
	s_branch .LBB264_34
.LBB264_18:
	s_mov_b64 s[0:1], 0
                                        ; implicit-def: $vgpr2
	s_cbranch_execnz .LBB264_168
	s_branch .LBB264_202
.LBB264_19:
	s_mov_b64 s[0:1], 0
	s_mov_b64 s[12:13], 0
	s_cbranch_execnz .LBB264_103
.LBB264_20:
	s_andn2_b64 vcc, exec, s[12:13]
	s_cbranch_vccnz .LBB264_141
.LBB264_21:
	v_add_u32_e32 v4, 0x80, v4
	s_mov_b64 s[18:19], -1
	s_branch .LBB264_251
.LBB264_22:
	s_mov_b64 s[12:13], -1
	s_mov_b64 s[0:1], 0
                                        ; implicit-def: $vgpr2
	s_branch .LBB264_149
.LBB264_23:
	s_mov_b64 s[18:19], -1
	s_mov_b64 s[0:1], 0
	s_mov_b64 s[12:13], 0
	s_branch .LBB264_61
.LBB264_24:
	s_mov_b64 s[12:13], -1
	s_mov_b64 s[0:1], 0
                                        ; implicit-def: $vgpr2
	s_branch .LBB264_144
.LBB264_25:
	s_mov_b64 s[18:19], -1
	s_mov_b64 s[0:1], 0
	s_mov_b64 s[12:13], 0
	s_branch .LBB264_44
.LBB264_26:
	s_mov_b64 s[12:13], -1
	s_branch .LBB264_29
.LBB264_27:
	s_mov_b64 s[18:19], -1
	s_mov_b64 s[0:1], 0
	s_mov_b64 s[12:13], 0
	s_branch .LBB264_40
.LBB264_28:
	s_mov_b64 s[14:15], -1
.LBB264_29:
	s_mov_b64 s[0:1], 0
                                        ; implicit-def: $vgpr2
.LBB264_30:
	s_and_b64 vcc, exec, s[12:13]
	s_cbranch_vccz .LBB264_143
; %bb.31:
	s_cmp_eq_u32 s22, 44
	s_cbranch_scc0 .LBB264_142
; %bb.32:
	global_load_ubyte v2, v[0:1], off
	s_movk_i32 s12, 0xff
	v_mov_b32_e32 v5, 0x7e00
	s_mov_b64 s[0:1], -1
	s_mov_b64 s[14:15], 0
	s_waitcnt vmcnt(0)
	v_lshlrev_b32_e32 v3, 23, v2
	v_cvt_f16_f32_e32 v3, v3
	v_cmp_ne_u32_e32 vcc, s12, v2
	s_nop 1
	v_cndmask_b32_e32 v3, v5, v3, vcc
	v_cmp_ne_u32_e32 vcc, 0, v2
	s_nop 1
	v_cndmask_b32_e32 v2, 0, v3, vcc
	s_branch .LBB264_143
.LBB264_33:
	s_mov_b64 s[18:19], -1
	s_mov_b64 s[0:1], 0
	s_mov_b64 s[12:13], 0
.LBB264_34:
	s_and_b64 vcc, exec, s[18:19]
	s_cbranch_vccz .LBB264_39
; %bb.35:
	s_cmp_eq_u32 s25, 44
	s_mov_b64 s[0:1], -1
	s_cbranch_scc0 .LBB264_39
; %bb.36:
	v_cvt_f32_f16_e32 v3, v2
	s_movk_i32 s0, 0xff
	v_mov_b32_e32 v6, 0xff
	v_bfe_u32 v5, v3, 23, 8
	v_cmp_ne_u32_e32 vcc, s0, v5
	s_and_saveexec_b64 s[12:13], vcc
; %bb.37:
	s_mov_b32 s0, 0x3fffff
	v_lshrrev_b32_e32 v6, 23, v3
	v_and_b32_e32 v7, 0x400000, v3
	v_and_or_b32 v3, v3, s0, v5
	v_cmp_ne_u32_e32 vcc, 0, v7
	v_cmp_ne_u32_e64 s[0:1], 0, v3
	s_and_b64 s[0:1], vcc, s[0:1]
	s_nop 0
	v_cndmask_b32_e64 v3, 0, 1, s[0:1]
	v_add_u32_e32 v6, v6, v3
; %bb.38:
	s_or_b64 exec, exec, s[12:13]
	s_mov_b64 s[12:13], -1
	s_mov_b64 s[0:1], 0
	global_store_byte v[0:1], v6, off
.LBB264_39:
	s_mov_b64 s[18:19], 0
.LBB264_40:
	s_and_b64 vcc, exec, s[18:19]
	s_cbranch_vccz .LBB264_43
; %bb.41:
	s_cmp_eq_u32 s25, 29
	s_mov_b64 s[0:1], -1
	s_cbranch_scc0 .LBB264_43
; %bb.42:
	v_cvt_f32_f16_e32 v3, v2
	v_mov_b32_e32 v7, 0
	s_mov_b64 s[12:13], -1
	s_mov_b64 s[0:1], 0
	v_cvt_u32_f32_e32 v6, v3
	s_mov_b64 s[18:19], 0
	global_store_dwordx2 v[0:1], v[6:7], off
	s_branch .LBB264_44
.LBB264_43:
	s_mov_b64 s[18:19], 0
.LBB264_44:
	s_and_b64 vcc, exec, s[18:19]
	s_cbranch_vccz .LBB264_60
; %bb.45:
	s_cmp_lt_i32 s25, 27
	s_mov_b64 s[12:13], -1
	s_cbranch_scc1 .LBB264_51
; %bb.46:
	s_cmp_gt_i32 s25, 27
	s_cbranch_scc0 .LBB264_48
; %bb.47:
	v_cvt_f32_f16_e32 v3, v2
	s_mov_b64 s[12:13], 0
	v_cvt_u32_f32_e32 v3, v3
	global_store_dword v[0:1], v3, off
.LBB264_48:
	s_andn2_b64 vcc, exec, s[12:13]
	s_cbranch_vccnz .LBB264_50
; %bb.49:
	v_cvt_u16_f16_e32 v3, v2
	global_store_short v[0:1], v3, off
.LBB264_50:
	s_mov_b64 s[12:13], 0
.LBB264_51:
	s_andn2_b64 vcc, exec, s[12:13]
	s_cbranch_vccnz .LBB264_59
; %bb.52:
	v_cvt_f32_f16_e32 v3, v2
	s_mov_b32 s12, 0x43800000
	v_mov_b32_e32 v6, 0x80
	v_and_b32_e32 v5, 0x7fffffff, v3
	v_cmp_gt_u32_e32 vcc, s12, v5
	s_and_saveexec_b64 s[12:13], vcc
	s_cbranch_execz .LBB264_58
; %bb.53:
	s_mov_b32 s18, 0x3bffffff
	v_cmp_lt_u32_e32 vcc, s18, v5
	s_mov_b64 s[18:19], 0
                                        ; implicit-def: $vgpr5
	s_and_saveexec_b64 s[22:23], vcc
	s_xor_b64 s[22:23], exec, s[22:23]
	s_cbranch_execz .LBB264_279
; %bb.54:
	v_bfe_u32 v5, v3, 20, 1
	s_mov_b32 s26, 0x487ffff
	v_add3_u32 v5, v3, v5, s26
	s_mov_b64 s[18:19], exec
	v_lshrrev_b32_e32 v5, 20, v5
	s_andn2_saveexec_b64 s[22:23], s[22:23]
	s_cbranch_execnz .LBB264_280
.LBB264_55:
	s_or_b64 exec, exec, s[22:23]
	v_mov_b32_e32 v6, 0
	s_and_saveexec_b64 s[22:23], s[18:19]
.LBB264_56:
	v_lshrrev_b32_e32 v3, 24, v3
	s_movk_i32 s18, 0x80
	v_and_or_b32 v6, v3, s18, v5
.LBB264_57:
	s_or_b64 exec, exec, s[22:23]
.LBB264_58:
	s_or_b64 exec, exec, s[12:13]
	global_store_byte v[0:1], v6, off
.LBB264_59:
	s_mov_b64 s[12:13], -1
.LBB264_60:
	s_mov_b64 s[18:19], 0
.LBB264_61:
	s_and_b64 vcc, exec, s[18:19]
	s_cbranch_vccz .LBB264_102
; %bb.62:
	s_cmp_gt_i32 s25, 22
	s_mov_b64 s[18:19], -1
	s_cbranch_scc0 .LBB264_94
; %bb.63:
	s_cmp_lt_i32 s25, 24
	s_mov_b64 s[12:13], -1
	s_cbranch_scc1 .LBB264_83
; %bb.64:
	s_cmp_gt_i32 s25, 24
	s_cbranch_scc0 .LBB264_72
; %bb.65:
	v_cvt_f32_f16_e32 v3, v2
	s_mov_b32 s12, 0x47800000
	v_mov_b32_e32 v6, 0x80
	v_and_b32_e32 v5, 0x7fffffff, v3
	v_cmp_gt_u32_e32 vcc, s12, v5
	s_and_saveexec_b64 s[12:13], vcc
	s_cbranch_execz .LBB264_71
; %bb.66:
	s_mov_b32 s18, 0x37ffffff
	v_cmp_lt_u32_e32 vcc, s18, v5
	s_mov_b64 s[18:19], 0
                                        ; implicit-def: $vgpr5
	s_and_saveexec_b64 s[22:23], vcc
	s_xor_b64 s[22:23], exec, s[22:23]
	s_cbranch_execz .LBB264_283
; %bb.67:
	v_bfe_u32 v5, v3, 21, 1
	s_mov_b32 s26, 0x88fffff
	v_add3_u32 v5, v3, v5, s26
	s_mov_b64 s[18:19], exec
	v_lshrrev_b32_e32 v5, 21, v5
	s_andn2_saveexec_b64 s[22:23], s[22:23]
	s_cbranch_execnz .LBB264_284
.LBB264_68:
	s_or_b64 exec, exec, s[22:23]
	v_mov_b32_e32 v6, 0
	s_and_saveexec_b64 s[22:23], s[18:19]
.LBB264_69:
	v_lshrrev_b32_e32 v3, 24, v3
	s_movk_i32 s18, 0x80
	v_and_or_b32 v6, v3, s18, v5
.LBB264_70:
	s_or_b64 exec, exec, s[22:23]
.LBB264_71:
	s_or_b64 exec, exec, s[12:13]
	s_mov_b64 s[12:13], 0
	global_store_byte v[0:1], v6, off
.LBB264_72:
	s_and_b64 vcc, exec, s[12:13]
	s_cbranch_vccz .LBB264_82
; %bb.73:
	v_cvt_f32_f16_e32 v3, v2
	s_mov_b32 s12, 0x43f00000
                                        ; implicit-def: $vgpr5
	v_and_b32_e32 v6, 0x7fffffff, v3
	v_cmp_gt_u32_e32 vcc, s12, v6
	s_and_saveexec_b64 s[12:13], vcc
	s_xor_b64 s[12:13], exec, s[12:13]
	s_cbranch_execz .LBB264_79
; %bb.74:
	s_mov_b32 s18, 0x3c7fffff
	v_cmp_lt_u32_e32 vcc, s18, v6
                                        ; implicit-def: $vgpr5
	s_and_saveexec_b64 s[18:19], vcc
	s_xor_b64 s[18:19], exec, s[18:19]
; %bb.75:
	v_bfe_u32 v5, v3, 20, 1
	s_mov_b32 s22, 0x407ffff
	v_add3_u32 v5, v3, v5, s22
	v_lshrrev_b32_e32 v6, 20, v5
	v_and_b32_e32 v5, 0xff00000, v5
	s_mov_b32 s22, 0x7f00000
	v_mov_b32_e32 v7, 0x7e
	v_cmp_ne_u32_e32 vcc, s22, v5
	s_nop 1
	v_cndmask_b32_e32 v5, v7, v6, vcc
; %bb.76:
	s_andn2_saveexec_b64 s[18:19], s[18:19]
; %bb.77:
	s_mov_b32 s22, 0x46800000
	v_add_f32_e64 v5, |v3|, s22
; %bb.78:
	s_or_b64 exec, exec, s[18:19]
                                        ; implicit-def: $vgpr6
.LBB264_79:
	s_andn2_saveexec_b64 s[12:13], s[12:13]
; %bb.80:
	s_mov_b32 s18, 0x7f800000
	v_mov_b32_e32 v5, 0x7e
	v_mov_b32_e32 v7, 0x7f
	v_cmp_lt_u32_e32 vcc, s18, v6
	s_nop 1
	v_cndmask_b32_e32 v5, v5, v7, vcc
; %bb.81:
	s_or_b64 exec, exec, s[12:13]
	v_lshrrev_b32_e32 v3, 24, v3
	s_movk_i32 s12, 0x80
	v_and_or_b32 v3, v3, s12, v5
	global_store_byte v[0:1], v3, off
.LBB264_82:
	s_mov_b64 s[12:13], 0
.LBB264_83:
	s_andn2_b64 vcc, exec, s[12:13]
	s_cbranch_vccnz .LBB264_93
; %bb.84:
	v_cvt_f32_f16_e32 v3, v2
	s_mov_b32 s12, 0x47800000
                                        ; implicit-def: $vgpr5
	v_and_b32_e32 v6, 0x7fffffff, v3
	v_cmp_gt_u32_e32 vcc, s12, v6
	s_and_saveexec_b64 s[12:13], vcc
	s_xor_b64 s[12:13], exec, s[12:13]
	s_cbranch_execz .LBB264_90
; %bb.85:
	s_mov_b32 s18, 0x387fffff
	v_cmp_lt_u32_e32 vcc, s18, v6
                                        ; implicit-def: $vgpr5
	s_and_saveexec_b64 s[18:19], vcc
	s_xor_b64 s[18:19], exec, s[18:19]
; %bb.86:
	v_bfe_u32 v5, v3, 21, 1
	s_mov_b32 s22, 0x80fffff
	v_add3_u32 v5, v3, v5, s22
	v_lshrrev_b32_e32 v5, 21, v5
; %bb.87:
	s_andn2_saveexec_b64 s[18:19], s[18:19]
; %bb.88:
	s_mov_b32 s22, 0x43000000
	v_add_f32_e64 v5, |v3|, s22
; %bb.89:
	s_or_b64 exec, exec, s[18:19]
                                        ; implicit-def: $vgpr6
.LBB264_90:
	s_andn2_saveexec_b64 s[12:13], s[12:13]
; %bb.91:
	s_mov_b32 s18, 0x7f800000
	v_mov_b32_e32 v5, 0x7c
	v_mov_b32_e32 v7, 0x7f
	v_cmp_lt_u32_e32 vcc, s18, v6
	s_nop 1
	v_cndmask_b32_e32 v5, v5, v7, vcc
; %bb.92:
	s_or_b64 exec, exec, s[12:13]
	v_lshrrev_b32_e32 v3, 24, v3
	s_movk_i32 s12, 0x80
	v_and_or_b32 v3, v3, s12, v5
	global_store_byte v[0:1], v3, off
.LBB264_93:
	s_mov_b64 s[18:19], 0
	s_mov_b64 s[12:13], -1
.LBB264_94:
	s_andn2_b64 vcc, exec, s[18:19]
	s_cbranch_vccnz .LBB264_102
; %bb.95:
	s_cmp_gt_i32 s25, 14
	s_mov_b64 s[18:19], -1
	s_cbranch_scc0 .LBB264_99
; %bb.96:
	s_cmp_eq_u32 s25, 15
	s_mov_b64 s[0:1], -1
	s_cbranch_scc0 .LBB264_98
; %bb.97:
	v_cvt_f32_f16_e32 v3, v2
	s_movk_i32 s0, 0x7fff
	v_cmp_o_f16_e32 vcc, v2, v2
	v_mov_b32_e32 v5, 0x7fc0
	v_bfe_u32 v6, v3, 16, 1
	v_add3_u32 v3, v3, v6, s0
	v_cndmask_b32_sdwa v3, v5, v3, vcc dst_sel:DWORD dst_unused:UNUSED_PAD src0_sel:DWORD src1_sel:WORD_1
	global_store_short v[0:1], v3, off
	s_mov_b64 s[12:13], -1
	s_mov_b64 s[0:1], 0
.LBB264_98:
	s_mov_b64 s[18:19], 0
.LBB264_99:
	s_and_b64 vcc, exec, s[18:19]
	s_cbranch_vccz .LBB264_102
; %bb.100:
	s_cmp_eq_u32 s25, 11
	s_mov_b64 s[0:1], -1
	s_cbranch_scc0 .LBB264_102
; %bb.101:
	v_cmp_neq_f16_e32 vcc, 0, v2
	s_mov_b64 s[12:13], -1
	s_mov_b64 s[0:1], 0
	v_cndmask_b32_e64 v3, 0, 1, vcc
	global_store_byte v[0:1], v3, off
.LBB264_102:
	s_branch .LBB264_20
.LBB264_103:
	s_and_b32 s18, 0xffff, s24
	s_cmp_lt_i32 s18, 5
	s_mov_b64 s[12:13], -1
	s_cbranch_scc1 .LBB264_124
; %bb.104:
	s_cmp_lt_i32 s18, 8
	s_cbranch_scc1 .LBB264_114
; %bb.105:
	s_cmp_lt_i32 s18, 9
	s_cbranch_scc1 .LBB264_111
; %bb.106:
	s_cmp_gt_i32 s18, 9
	s_cbranch_scc0 .LBB264_108
; %bb.107:
	v_cvt_f32_f16_e32 v3, v2
	v_mov_b32_e32 v8, 0
	v_mov_b32_e32 v9, v8
	s_mov_b64 s[12:13], 0
	v_cvt_f64_f32_e32 v[6:7], v3
	global_store_dwordx4 v[0:1], v[6:9], off
.LBB264_108:
	s_andn2_b64 vcc, exec, s[12:13]
	s_cbranch_vccnz .LBB264_110
; %bb.109:
	v_cvt_f32_f16_e32 v6, v2
	v_mov_b32_e32 v7, 0
	global_store_dwordx2 v[0:1], v[6:7], off
.LBB264_110:
	s_mov_b64 s[12:13], 0
.LBB264_111:
	s_andn2_b64 vcc, exec, s[12:13]
	s_cbranch_vccnz .LBB264_113
; %bb.112:
	global_store_dword v[0:1], v2, off
.LBB264_113:
	s_mov_b64 s[12:13], 0
.LBB264_114:
	s_andn2_b64 vcc, exec, s[12:13]
	s_cbranch_vccnz .LBB264_123
; %bb.115:
	s_cmp_lt_i32 s18, 6
	s_mov_b64 s[12:13], -1
	s_cbranch_scc1 .LBB264_121
; %bb.116:
	s_cmp_gt_i32 s18, 6
	s_cbranch_scc0 .LBB264_118
; %bb.117:
	v_cvt_f32_f16_e32 v3, v2
	s_mov_b64 s[12:13], 0
	v_cvt_f64_f32_e32 v[6:7], v3
	global_store_dwordx2 v[0:1], v[6:7], off
.LBB264_118:
	s_andn2_b64 vcc, exec, s[12:13]
	s_cbranch_vccnz .LBB264_120
; %bb.119:
	v_cvt_f32_f16_e32 v3, v2
	global_store_dword v[0:1], v3, off
.LBB264_120:
	s_mov_b64 s[12:13], 0
.LBB264_121:
	s_andn2_b64 vcc, exec, s[12:13]
	s_cbranch_vccnz .LBB264_123
; %bb.122:
	global_store_short v[0:1], v2, off
.LBB264_123:
	s_mov_b64 s[12:13], 0
.LBB264_124:
	s_andn2_b64 vcc, exec, s[12:13]
	s_cbranch_vccnz .LBB264_140
; %bb.125:
	s_cmp_lt_i32 s18, 2
	s_mov_b64 s[12:13], -1
	s_cbranch_scc1 .LBB264_135
; %bb.126:
	s_cmp_lt_i32 s18, 3
	s_cbranch_scc1 .LBB264_132
; %bb.127:
	s_cmp_gt_i32 s18, 3
	s_cbranch_scc0 .LBB264_129
; %bb.128:
	v_cvt_f32_f16_e32 v3, v2
	s_mov_b64 s[12:13], 0
	v_cvt_i32_f32_e32 v6, v3
	v_ashrrev_i32_e32 v7, 31, v6
	global_store_dwordx2 v[0:1], v[6:7], off
.LBB264_129:
	s_andn2_b64 vcc, exec, s[12:13]
	s_cbranch_vccnz .LBB264_131
; %bb.130:
	v_cvt_f32_f16_e32 v3, v2
	v_cvt_i32_f32_e32 v3, v3
	global_store_dword v[0:1], v3, off
.LBB264_131:
	s_mov_b64 s[12:13], 0
.LBB264_132:
	s_andn2_b64 vcc, exec, s[12:13]
	s_cbranch_vccnz .LBB264_134
; %bb.133:
	v_cvt_i16_f16_e32 v3, v2
	global_store_short v[0:1], v3, off
.LBB264_134:
	s_mov_b64 s[12:13], 0
.LBB264_135:
	s_andn2_b64 vcc, exec, s[12:13]
	s_cbranch_vccnz .LBB264_140
; %bb.136:
	s_cmp_gt_i32 s18, 0
	s_mov_b64 s[12:13], -1
	s_cbranch_scc0 .LBB264_138
; %bb.137:
	v_cvt_i16_f16_e32 v3, v2
	global_store_byte v[0:1], v3, off
	s_mov_b64 s[12:13], 0
.LBB264_138:
	s_andn2_b64 vcc, exec, s[12:13]
	s_cbranch_vccnz .LBB264_140
; %bb.139:
	v_cvt_f32_f16_e32 v2, v2
	v_cvt_i32_f32_e32 v2, v2
	global_store_byte v[0:1], v2, off
.LBB264_140:
	s_branch .LBB264_21
.LBB264_141:
	s_mov_b64 s[18:19], 0
                                        ; implicit-def: $vgpr4
	s_branch .LBB264_251
.LBB264_142:
	s_mov_b64 s[14:15], -1
                                        ; implicit-def: $vgpr2
.LBB264_143:
	s_mov_b64 s[12:13], 0
.LBB264_144:
	s_and_b64 vcc, exec, s[12:13]
	s_cbranch_vccz .LBB264_148
; %bb.145:
	s_cmp_eq_u32 s22, 29
	s_cbranch_scc0 .LBB264_147
; %bb.146:
	global_load_dwordx2 v[2:3], v[0:1], off
	s_mov_b64 s[0:1], -1
	s_mov_b64 s[14:15], 0
	s_mov_b64 s[12:13], 0
	s_waitcnt vmcnt(0)
	v_ffbh_u32_e32 v5, v3
	v_min_u32_e32 v5, 32, v5
	v_lshlrev_b64 v[2:3], v5, v[2:3]
	v_min_u32_e32 v2, 1, v2
	v_or_b32_e32 v2, v3, v2
	v_cvt_f32_u32_e32 v2, v2
	v_sub_u32_e32 v3, 32, v5
	v_ldexp_f32 v2, v2, v3
	v_cvt_f16_f32_e32 v2, v2
	s_branch .LBB264_149
.LBB264_147:
	s_mov_b64 s[14:15], -1
                                        ; implicit-def: $vgpr2
.LBB264_148:
	s_mov_b64 s[12:13], 0
.LBB264_149:
	s_and_b64 vcc, exec, s[12:13]
	s_cbranch_vccz .LBB264_167
; %bb.150:
	s_cmp_lt_i32 s22, 27
	s_cbranch_scc1 .LBB264_153
; %bb.151:
	s_cmp_gt_i32 s22, 27
	s_cbranch_scc0 .LBB264_154
; %bb.152:
	global_load_dword v2, v[0:1], off
	s_mov_b64 s[0:1], 0
	s_waitcnt vmcnt(0)
	v_cvt_f32_u32_e32 v2, v2
	v_cvt_f16_f32_e32 v2, v2
	s_branch .LBB264_155
.LBB264_153:
	s_mov_b64 s[0:1], -1
                                        ; implicit-def: $vgpr2
	s_branch .LBB264_158
.LBB264_154:
	s_mov_b64 s[0:1], -1
                                        ; implicit-def: $vgpr2
.LBB264_155:
	s_andn2_b64 vcc, exec, s[0:1]
	s_cbranch_vccnz .LBB264_157
; %bb.156:
	global_load_ushort v2, v[0:1], off
	s_waitcnt vmcnt(0)
	v_cvt_f16_u16_e32 v2, v2
.LBB264_157:
	s_mov_b64 s[0:1], 0
.LBB264_158:
	s_andn2_b64 vcc, exec, s[0:1]
	s_cbranch_vccnz .LBB264_166
; %bb.159:
	global_load_ubyte v3, v[0:1], off
	s_movk_i32 s0, 0x7f
	s_waitcnt vmcnt(0)
	v_cmp_lt_i16_e32 vcc, s0, v3
	s_mov_b64 s[0:1], 0
	s_and_saveexec_b64 s[12:13], vcc
	s_xor_b64 s[12:13], exec, s[12:13]
	s_cbranch_execz .LBB264_179
; %bb.160:
	s_movk_i32 s0, 0x80
	v_cmp_eq_u16_e32 vcc, s0, v3
	s_mov_b64 s[0:1], -1
	s_and_saveexec_b64 s[18:19], vcc
; %bb.161:
	s_xor_b64 s[0:1], exec, -1
; %bb.162:
	s_or_b64 exec, exec, s[18:19]
	s_and_b64 s[0:1], s[0:1], exec
	s_or_saveexec_b64 s[12:13], s[12:13]
	v_mov_b32_e32 v2, 0x7e00
	s_xor_b64 exec, exec, s[12:13]
	s_cbranch_execnz .LBB264_180
.LBB264_163:
	s_or_b64 exec, exec, s[12:13]
	s_and_saveexec_b64 s[12:13], s[0:1]
	s_cbranch_execz .LBB264_165
.LBB264_164:
	v_lshlrev_b32_e32 v2, 24, v3
	v_and_b32_e32 v3, 0xffff, v3
	v_and_b32_e32 v5, 7, v3
	v_ffbh_u32_e32 v7, v5
	v_min_u32_e32 v7, 32, v7
	v_subrev_u32_e32 v8, 28, v7
	v_bfe_u32 v6, v3, 3, 4
	v_lshlrev_b32_e32 v3, v8, v3
	v_sub_u32_e32 v7, 29, v7
	v_and_b32_e32 v3, 7, v3
	v_cmp_eq_u32_e32 vcc, 0, v6
	v_and_b32_e32 v2, 0x80000000, v2
	s_nop 0
	v_cndmask_b32_e32 v6, v6, v7, vcc
	v_cndmask_b32_e32 v3, v5, v3, vcc
	v_mov_b32_e32 v5, 0x3b800000
	v_lshlrev_b32_e32 v3, 20, v3
	v_lshl_add_u32 v5, v6, 23, v5
	v_or3_b32 v2, v2, v5, v3
	v_cvt_f16_f32_e32 v2, v2
.LBB264_165:
	s_or_b64 exec, exec, s[12:13]
.LBB264_166:
	s_mov_b64 s[0:1], -1
.LBB264_167:
	s_branch .LBB264_202
.LBB264_168:
	s_cmp_gt_i32 s22, 22
	s_cbranch_scc0 .LBB264_178
; %bb.169:
	s_cmp_lt_i32 s22, 24
	s_cbranch_scc1 .LBB264_181
; %bb.170:
	s_cmp_gt_i32 s22, 24
	s_cbranch_scc0 .LBB264_182
; %bb.171:
	global_load_ubyte v3, v[0:1], off
	s_movk_i32 s0, 0x7f
	s_waitcnt vmcnt(0)
	v_cmp_lt_i16_e32 vcc, s0, v3
	s_mov_b64 s[0:1], 0
	s_and_saveexec_b64 s[12:13], vcc
	s_xor_b64 s[12:13], exec, s[12:13]
	s_cbranch_execz .LBB264_194
; %bb.172:
	s_movk_i32 s0, 0x80
	v_cmp_eq_u16_e32 vcc, s0, v3
	s_mov_b64 s[0:1], -1
	s_and_saveexec_b64 s[18:19], vcc
; %bb.173:
	s_xor_b64 s[0:1], exec, -1
; %bb.174:
	s_or_b64 exec, exec, s[18:19]
	s_and_b64 s[0:1], s[0:1], exec
	s_or_saveexec_b64 s[12:13], s[12:13]
	v_mov_b32_e32 v2, 0x7e00
	s_xor_b64 exec, exec, s[12:13]
	s_cbranch_execnz .LBB264_195
.LBB264_175:
	s_or_b64 exec, exec, s[12:13]
	s_and_saveexec_b64 s[12:13], s[0:1]
	s_cbranch_execz .LBB264_177
.LBB264_176:
	v_lshlrev_b32_e32 v2, 24, v3
	v_and_b32_e32 v3, 0xffff, v3
	v_and_b32_e32 v5, 3, v3
	v_ffbh_u32_e32 v7, v5
	v_min_u32_e32 v7, 32, v7
	v_subrev_u32_e32 v8, 29, v7
	v_bfe_u32 v6, v3, 2, 5
	v_lshlrev_b32_e32 v3, v8, v3
	v_sub_u32_e32 v7, 30, v7
	v_and_b32_e32 v3, 3, v3
	v_cmp_eq_u32_e32 vcc, 0, v6
	v_and_b32_e32 v2, 0x80000000, v2
	s_nop 0
	v_cndmask_b32_e32 v6, v6, v7, vcc
	v_cndmask_b32_e32 v3, v5, v3, vcc
	v_mov_b32_e32 v5, 0x37800000
	v_lshlrev_b32_e32 v3, 21, v3
	v_lshl_add_u32 v5, v6, 23, v5
	v_or3_b32 v2, v2, v5, v3
	v_cvt_f16_f32_e32 v2, v2
.LBB264_177:
	s_or_b64 exec, exec, s[12:13]
	s_mov_b64 s[0:1], 0
	s_branch .LBB264_183
.LBB264_178:
	s_mov_b64 s[12:13], -1
                                        ; implicit-def: $vgpr2
	s_branch .LBB264_189
.LBB264_179:
	s_or_saveexec_b64 s[12:13], s[12:13]
	v_mov_b32_e32 v2, 0x7e00
	s_xor_b64 exec, exec, s[12:13]
	s_cbranch_execz .LBB264_163
.LBB264_180:
	v_cmp_ne_u16_e32 vcc, 0, v3
	s_andn2_b64 s[0:1], s[0:1], exec
	s_and_b64 s[18:19], vcc, exec
	s_or_b64 s[0:1], s[0:1], s[18:19]
	v_mov_b32_e32 v2, v3
	s_or_b64 exec, exec, s[12:13]
	s_and_saveexec_b64 s[12:13], s[0:1]
	s_cbranch_execnz .LBB264_164
	s_branch .LBB264_165
.LBB264_181:
	s_mov_b64 s[0:1], -1
                                        ; implicit-def: $vgpr2
	s_branch .LBB264_186
.LBB264_182:
	s_mov_b64 s[0:1], -1
                                        ; implicit-def: $vgpr2
.LBB264_183:
	s_and_b64 vcc, exec, s[0:1]
	s_cbranch_vccz .LBB264_185
; %bb.184:
	global_load_ubyte v2, v[0:1], off
	s_mov_b32 s0, 0x7f800000
	s_waitcnt vmcnt(0)
	v_lshlrev_b32_e32 v2, 24, v2
	v_and_b32_e32 v3, 0x7f000000, v2
	v_ffbh_u32_e32 v5, v3
	v_min_u32_e32 v5, 32, v5
	v_sub_u32_e64 v5, v5, 4 clamp
	v_lshlrev_b32_e32 v7, v5, v3
	v_lshlrev_b32_e32 v5, 23, v5
	v_lshrrev_b32_e32 v7, 4, v7
	v_add_u32_e32 v6, 0x1000000, v3
	v_sub_u32_e32 v5, v7, v5
	v_ashrrev_i32_e32 v6, 8, v6
	v_add_u32_e32 v5, 0x3c000000, v5
	v_and_or_b32 v5, v6, s0, v5
	v_cmp_ne_u32_e32 vcc, 0, v3
	s_brev_b32 s0, 1
	s_nop 0
	v_cndmask_b32_e32 v3, 0, v5, vcc
	v_and_or_b32 v2, v2, s0, v3
	v_cvt_f16_f32_e32 v2, v2
.LBB264_185:
	s_mov_b64 s[0:1], 0
.LBB264_186:
	s_andn2_b64 vcc, exec, s[0:1]
	s_cbranch_vccnz .LBB264_188
; %bb.187:
	global_load_ubyte v2, v[0:1], off
	s_movk_i32 s0, 0x7f00
	s_brev_b32 s1, 16
	s_waitcnt vmcnt(0)
	v_lshlrev_b16_e32 v3, 8, v2
	v_lshlrev_b32_e32 v2, 25, v2
	v_lshrrev_b32_e32 v5, 4, v2
	v_and_or_b32 v6, v3, s0, 0.5
	v_or_b32_e32 v5, 0x70000000, v5
	v_add_f32_e32 v6, -0.5, v6
	v_mul_f32_e32 v5, 0x7800000, v5
	v_cmp_gt_u32_e32 vcc, s1, v2
	v_bfe_i32 v3, v3, 0, 16
	s_brev_b32 s0, 1
	v_cndmask_b32_e32 v2, v5, v6, vcc
	v_and_or_b32 v2, v3, s0, v2
	v_cvt_f16_f32_e32 v2, v2
.LBB264_188:
	s_mov_b64 s[12:13], 0
	s_mov_b64 s[0:1], -1
.LBB264_189:
	s_andn2_b64 vcc, exec, s[12:13]
	s_cbranch_vccnz .LBB264_202
; %bb.190:
	s_cmp_gt_i32 s22, 14
	s_cbranch_scc0 .LBB264_193
; %bb.191:
	s_cmp_eq_u32 s22, 15
	s_cbranch_scc0 .LBB264_196
; %bb.192:
	global_load_ushort v2, v[0:1], off
	s_mov_b64 s[0:1], -1
	s_mov_b64 s[14:15], 0
	s_waitcnt vmcnt(0)
	v_lshlrev_b32_e32 v2, 16, v2
	v_cvt_f16_f32_e32 v2, v2
	s_branch .LBB264_197
.LBB264_193:
	s_mov_b64 s[12:13], -1
                                        ; implicit-def: $vgpr2
	s_branch .LBB264_198
.LBB264_194:
	s_or_saveexec_b64 s[12:13], s[12:13]
	v_mov_b32_e32 v2, 0x7e00
	s_xor_b64 exec, exec, s[12:13]
	s_cbranch_execz .LBB264_175
.LBB264_195:
	v_cmp_ne_u16_e32 vcc, 0, v3
	s_andn2_b64 s[0:1], s[0:1], exec
	s_and_b64 s[18:19], vcc, exec
	s_or_b64 s[0:1], s[0:1], s[18:19]
	v_mov_b32_e32 v2, v3
	s_or_b64 exec, exec, s[12:13]
	s_and_saveexec_b64 s[12:13], s[0:1]
	s_cbranch_execnz .LBB264_176
	s_branch .LBB264_177
.LBB264_196:
	s_mov_b64 s[14:15], -1
                                        ; implicit-def: $vgpr2
.LBB264_197:
	s_mov_b64 s[12:13], 0
.LBB264_198:
	s_and_b64 vcc, exec, s[12:13]
	s_cbranch_vccz .LBB264_202
; %bb.199:
	s_cmp_eq_u32 s22, 11
	s_cbranch_scc0 .LBB264_201
; %bb.200:
	global_load_ubyte v2, v[0:1], off
	v_mov_b32_e32 v3, 0x3c00
	s_mov_b64 s[0:1], -1
	s_mov_b64 s[14:15], 0
	s_waitcnt vmcnt(0)
	v_cmp_ne_u16_e32 vcc, 0, v2
	s_nop 1
	v_cndmask_b32_e32 v2, 0, v3, vcc
	s_branch .LBB264_202
.LBB264_201:
	s_mov_b64 s[14:15], -1
                                        ; implicit-def: $vgpr2
.LBB264_202:
	s_branch .LBB264_10
.LBB264_203:
	s_cmp_lt_i32 s22, 5
	s_cbranch_scc1 .LBB264_208
; %bb.204:
	s_cmp_lt_i32 s22, 8
	s_cbranch_scc1 .LBB264_209
; %bb.205:
	s_cmp_lt_i32 s22, 9
	s_cbranch_scc1 .LBB264_210
; %bb.206:
	s_cmp_gt_i32 s22, 9
	s_cbranch_scc0 .LBB264_211
; %bb.207:
	global_load_dwordx2 v[2:3], v[0:1], off
	s_movk_i32 s0, 0x1ff
	s_movk_i32 s1, 0xffe
	v_mov_b32_e32 v5, 0x7c00
	v_mov_b32_e32 v6, 0x7e00
	s_movk_i32 s12, 0x40f
	s_mov_b32 s13, 0x8000
	s_waitcnt vmcnt(0)
	v_and_or_b32 v2, v3, s0, v2
	v_cmp_ne_u32_e32 vcc, 0, v2
	v_lshrrev_b32_e32 v7, 8, v3
	v_bfe_u32 v8, v3, 20, 11
	v_cndmask_b32_e64 v2, 0, 1, vcc
	v_sub_u32_e32 v9, 0x3f1, v8
	v_and_or_b32 v2, v7, s1, v2
	v_add_u32_e32 v8, 0xfffffc10, v8
	v_med3_i32 v7, v9, 0, 13
	v_or_b32_e32 v9, 0x1000, v2
	v_cmp_ne_u32_e32 vcc, 0, v2
	v_lshl_or_b32 v10, v8, 12, v2
	v_lshrrev_b32_e32 v3, 16, v3
	v_cndmask_b32_e32 v2, v5, v6, vcc
	v_lshrrev_b32_e32 v6, v7, v9
	v_lshlrev_b32_e32 v7, v7, v6
	v_cmp_ne_u32_e32 vcc, v7, v9
	s_mov_b64 s[0:1], 0
	s_nop 0
	v_cndmask_b32_e64 v7, 0, 1, vcc
	v_or_b32_e32 v6, v6, v7
	v_cmp_gt_i32_e32 vcc, 1, v8
	s_nop 1
	v_cndmask_b32_e32 v6, v10, v6, vcc
	v_and_b32_e32 v7, 7, v6
	v_cmp_lt_i32_e32 vcc, 5, v7
	v_lshrrev_b32_e32 v6, 2, v6
	s_nop 0
	v_cndmask_b32_e64 v9, 0, 1, vcc
	v_cmp_eq_u32_e32 vcc, 3, v7
	s_nop 1
	v_cndmask_b32_e64 v7, 0, 1, vcc
	v_or_b32_e32 v7, v7, v9
	v_add_u32_e32 v6, v6, v7
	v_cmp_gt_i32_e32 vcc, 31, v8
	s_nop 1
	v_cndmask_b32_e32 v5, v5, v6, vcc
	v_cmp_eq_u32_e32 vcc, s12, v8
	s_nop 1
	v_cndmask_b32_e32 v2, v5, v2, vcc
	v_and_or_b32 v2, v3, s13, v2
	s_branch .LBB264_212
.LBB264_208:
                                        ; implicit-def: $vgpr2
	s_branch .LBB264_230
.LBB264_209:
	s_mov_b64 s[0:1], -1
                                        ; implicit-def: $vgpr2
	s_branch .LBB264_218
.LBB264_210:
	s_mov_b64 s[0:1], -1
                                        ; implicit-def: $vgpr2
	s_branch .LBB264_215
.LBB264_211:
	s_mov_b64 s[0:1], -1
                                        ; implicit-def: $vgpr2
.LBB264_212:
	s_andn2_b64 vcc, exec, s[0:1]
	s_cbranch_vccnz .LBB264_214
; %bb.213:
	global_load_dword v2, v[0:1], off
	s_waitcnt vmcnt(0)
	v_cvt_f16_f32_e32 v2, v2
.LBB264_214:
	s_mov_b64 s[0:1], 0
.LBB264_215:
	s_andn2_b64 vcc, exec, s[0:1]
	s_cbranch_vccnz .LBB264_217
; %bb.216:
	global_load_dword v2, v[0:1], off
.LBB264_217:
	s_mov_b64 s[0:1], 0
.LBB264_218:
	s_andn2_b64 vcc, exec, s[0:1]
	s_cbranch_vccnz .LBB264_229
; %bb.219:
	s_cmp_lt_i32 s22, 6
	s_cbranch_scc1 .LBB264_222
; %bb.220:
	s_cmp_gt_i32 s22, 6
	s_cbranch_scc0 .LBB264_223
; %bb.221:
	global_load_dwordx2 v[2:3], v[0:1], off
	s_movk_i32 s0, 0x1ff
	s_movk_i32 s1, 0xffe
	v_mov_b32_e32 v5, 0x7c00
	v_mov_b32_e32 v6, 0x7e00
	s_movk_i32 s12, 0x40f
	s_mov_b32 s13, 0x8000
	s_waitcnt vmcnt(0)
	v_and_or_b32 v2, v3, s0, v2
	v_cmp_ne_u32_e32 vcc, 0, v2
	v_lshrrev_b32_e32 v7, 8, v3
	v_bfe_u32 v8, v3, 20, 11
	v_cndmask_b32_e64 v2, 0, 1, vcc
	v_sub_u32_e32 v9, 0x3f1, v8
	v_and_or_b32 v2, v7, s1, v2
	v_add_u32_e32 v8, 0xfffffc10, v8
	v_med3_i32 v7, v9, 0, 13
	v_or_b32_e32 v9, 0x1000, v2
	v_cmp_ne_u32_e32 vcc, 0, v2
	v_lshl_or_b32 v10, v8, 12, v2
	v_lshrrev_b32_e32 v3, 16, v3
	v_cndmask_b32_e32 v2, v5, v6, vcc
	v_lshrrev_b32_e32 v6, v7, v9
	v_lshlrev_b32_e32 v7, v7, v6
	v_cmp_ne_u32_e32 vcc, v7, v9
	s_mov_b64 s[0:1], 0
	s_nop 0
	v_cndmask_b32_e64 v7, 0, 1, vcc
	v_or_b32_e32 v6, v6, v7
	v_cmp_gt_i32_e32 vcc, 1, v8
	s_nop 1
	v_cndmask_b32_e32 v6, v10, v6, vcc
	v_and_b32_e32 v7, 7, v6
	v_cmp_lt_i32_e32 vcc, 5, v7
	v_lshrrev_b32_e32 v6, 2, v6
	s_nop 0
	v_cndmask_b32_e64 v9, 0, 1, vcc
	v_cmp_eq_u32_e32 vcc, 3, v7
	s_nop 1
	v_cndmask_b32_e64 v7, 0, 1, vcc
	v_or_b32_e32 v7, v7, v9
	v_add_u32_e32 v6, v6, v7
	v_cmp_gt_i32_e32 vcc, 31, v8
	s_nop 1
	v_cndmask_b32_e32 v5, v5, v6, vcc
	v_cmp_eq_u32_e32 vcc, s12, v8
	s_nop 1
	v_cndmask_b32_e32 v2, v5, v2, vcc
	v_and_or_b32 v2, v3, s13, v2
	s_branch .LBB264_224
.LBB264_222:
	s_mov_b64 s[0:1], -1
                                        ; implicit-def: $vgpr2
	s_branch .LBB264_227
.LBB264_223:
	s_mov_b64 s[0:1], -1
                                        ; implicit-def: $vgpr2
.LBB264_224:
	s_andn2_b64 vcc, exec, s[0:1]
	s_cbranch_vccnz .LBB264_226
; %bb.225:
	global_load_dword v2, v[0:1], off
	s_waitcnt vmcnt(0)
	v_cvt_f16_f32_e32 v2, v2
.LBB264_226:
	s_mov_b64 s[0:1], 0
.LBB264_227:
	s_andn2_b64 vcc, exec, s[0:1]
	s_cbranch_vccnz .LBB264_229
; %bb.228:
	global_load_ushort v2, v[0:1], off
.LBB264_229:
	s_cbranch_execnz .LBB264_249
.LBB264_230:
	s_cmp_lt_i32 s22, 2
	s_cbranch_scc1 .LBB264_234
; %bb.231:
	s_cmp_lt_i32 s22, 3
	s_cbranch_scc1 .LBB264_235
; %bb.232:
	s_cmp_gt_i32 s22, 3
	s_cbranch_scc0 .LBB264_236
; %bb.233:
	global_load_dwordx2 v[2:3], v[0:1], off
	s_mov_b64 s[0:1], 0
	s_waitcnt vmcnt(0)
	v_xor_b32_e32 v6, v2, v3
	v_ffbh_i32_e32 v5, v3
	v_ashrrev_i32_e32 v6, 31, v6
	v_add_u32_e32 v5, -1, v5
	v_add_u32_e32 v6, 32, v6
	v_min_u32_e32 v5, v5, v6
	v_lshlrev_b64 v[2:3], v5, v[2:3]
	v_min_u32_e32 v2, 1, v2
	v_or_b32_e32 v2, v3, v2
	v_cvt_f32_i32_e32 v2, v2
	v_sub_u32_e32 v3, 32, v5
	v_ldexp_f32 v2, v2, v3
	v_cvt_f16_f32_e32 v2, v2
	s_branch .LBB264_237
.LBB264_234:
	s_mov_b64 s[0:1], -1
                                        ; implicit-def: $vgpr2
	s_branch .LBB264_243
.LBB264_235:
	s_mov_b64 s[0:1], -1
                                        ; implicit-def: $vgpr2
	s_branch .LBB264_240
.LBB264_236:
	s_mov_b64 s[0:1], -1
                                        ; implicit-def: $vgpr2
.LBB264_237:
	s_andn2_b64 vcc, exec, s[0:1]
	s_cbranch_vccnz .LBB264_239
; %bb.238:
	global_load_dword v2, v[0:1], off
	s_waitcnt vmcnt(0)
	v_cvt_f32_i32_e32 v2, v2
	v_cvt_f16_f32_e32 v2, v2
.LBB264_239:
	s_mov_b64 s[0:1], 0
.LBB264_240:
	s_andn2_b64 vcc, exec, s[0:1]
	s_cbranch_vccnz .LBB264_242
; %bb.241:
	global_load_ushort v2, v[0:1], off
	s_waitcnt vmcnt(0)
	v_cvt_f16_i16_e32 v2, v2
.LBB264_242:
	s_mov_b64 s[0:1], 0
.LBB264_243:
	s_andn2_b64 vcc, exec, s[0:1]
	s_cbranch_vccnz .LBB264_249
; %bb.244:
	s_cmp_gt_i32 s22, 0
	s_cbranch_scc0 .LBB264_246
; %bb.245:
	global_load_sbyte v2, v[0:1], off
	s_mov_b64 s[0:1], 0
	s_waitcnt vmcnt(0)
	v_cvt_f16_i16_e32 v2, v2
	s_branch .LBB264_247
.LBB264_246:
	s_mov_b64 s[0:1], -1
                                        ; implicit-def: $vgpr2
.LBB264_247:
	s_andn2_b64 vcc, exec, s[0:1]
	s_cbranch_vccnz .LBB264_249
; %bb.248:
	global_load_ubyte v0, v[0:1], off
	s_waitcnt vmcnt(0)
	v_cvt_f16_u16_e32 v2, v0
.LBB264_249:
	s_branch .LBB264_11
.LBB264_250:
	s_mov_b64 s[0:1], 0
                                        ; implicit-def: $vgpr4
	s_mov_b64 s[18:19], 0
.LBB264_251:
	s_and_b64 s[12:13], s[0:1], exec
	s_and_b64 s[14:15], s[14:15], exec
	s_orn2_b64 s[18:19], s[18:19], exec
.LBB264_252:
	s_or_b64 exec, exec, s[16:17]
	s_mov_b64 s[22:23], 0
	s_mov_b64 s[0:1], 0
                                        ; implicit-def: $vgpr0_vgpr1
                                        ; implicit-def: $vgpr3
	s_and_saveexec_b64 s[16:17], s[18:19]
	s_cbranch_execz .LBB264_261
; %bb.253:
	v_cmp_gt_i32_e32 vcc, s38, v4
	s_mov_b64 s[0:1], -1
	s_mov_b64 s[18:19], s[14:15]
	s_mov_b64 s[20:21], s[12:13]
	s_and_saveexec_b64 s[22:23], vcc
	s_cbranch_execz .LBB264_513
; %bb.254:
	v_mul_lo_u32 v0, v4, s9
	v_ashrrev_i32_e32 v1, 31, v0
	s_and_b32 s26, 0xffff, s42
	s_cmp_lt_i32 s26, 11
	v_lshl_add_u64 v[0:1], s[6:7], 0, v[0:1]
	s_cbranch_scc1 .LBB264_264
; %bb.255:
	s_cmp_gt_i32 s26, 25
	s_cbranch_scc0 .LBB264_273
; %bb.256:
	s_cmp_gt_i32 s26, 28
	s_cbranch_scc0 .LBB264_275
	;; [unrolled: 3-line block ×4, first 2 shown]
; %bb.259:
	s_cmp_eq_u32 s26, 46
	s_mov_b64 s[20:21], 0
	s_cbranch_scc0 .LBB264_285
; %bb.260:
	global_load_dword v2, v[0:1], off
	s_mov_b64 s[18:19], 0
	s_waitcnt vmcnt(0)
	v_lshlrev_b32_e32 v2, 16, v2
	v_cvt_f16_f32_e32 v2, v2
	s_branch .LBB264_286
.LBB264_261:
	s_or_b64 exec, exec, s[16:17]
	s_mov_b64 s[16:17], 0
	s_and_saveexec_b64 s[18:19], s[14:15]
	s_cbranch_execnz .LBB264_859
.LBB264_262:
	s_or_b64 exec, exec, s[18:19]
	s_and_saveexec_b64 s[14:15], s[20:21]
	s_xor_b64 s[14:15], exec, s[14:15]
	s_cbranch_execz .LBB264_860
.LBB264_263:
	global_load_ubyte v2, v[0:1], off
	v_mov_b32_e32 v3, 0x3c00
	s_or_b64 s[0:1], s[0:1], exec
	s_waitcnt vmcnt(0)
	v_cmp_ne_u16_e32 vcc, 0, v2
	s_nop 1
	v_cndmask_b32_e32 v3, 0, v3, vcc
	s_or_b64 exec, exec, s[14:15]
	s_and_saveexec_b64 s[14:15], s[22:23]
	s_cbranch_execz .LBB264_906
	s_branch .LBB264_861
.LBB264_264:
	s_mov_b64 s[0:1], 0
                                        ; implicit-def: $vgpr2
	s_mov_b64 s[18:19], s[14:15]
	s_cbranch_execnz .LBB264_463
.LBB264_265:
	s_andn2_b64 vcc, exec, s[0:1]
	s_cbranch_vccnz .LBB264_511
.LBB264_266:
	s_waitcnt vmcnt(0)
	v_cvt_f32_f16_e32 v0, v2
	s_mov_b32 s0, 0xf800000
	v_mov_b32_e32 v2, 0x260
	s_and_b32 s28, s33, 0xff
	v_mul_f32_e32 v1, 0x4f800000, v0
	v_cmp_gt_f32_e32 vcc, s0, v0
	s_cmp_lt_i32 s28, 11
	s_nop 0
	v_cndmask_b32_e32 v0, v0, v1, vcc
	v_rsq_f32_e32 v1, v0
	s_nop 0
	v_mul_f32_e32 v3, v0, v1
	v_mul_f32_e32 v1, 0.5, v1
	v_fma_f32 v5, -v1, v3, 0.5
	v_fmac_f32_e32 v3, v3, v5
	v_fmac_f32_e32 v1, v1, v5
	v_fma_f32 v5, -v3, v3, v0
	v_fmac_f32_e32 v3, v5, v1
	v_mul_f32_e32 v1, 0x37800000, v3
	v_cndmask_b32_e32 v1, v3, v1, vcc
	v_cmp_class_f32_e32 vcc, v0, v2
	s_nop 1
	v_cndmask_b32_e32 v0, v1, v0, vcc
	v_cvt_f16_f32_e32 v2, v0
	v_mul_lo_u32 v0, v4, s8
	v_ashrrev_i32_e32 v1, 31, v0
	v_lshl_add_u64 v[0:1], s[4:5], 0, v[0:1]
	s_cbranch_scc1 .LBB264_274
; %bb.267:
	s_and_b32 s29, 0xffff, s28
	s_cmp_gt_i32 s29, 25
	s_cbranch_scc0 .LBB264_276
; %bb.268:
	s_cmp_gt_i32 s29, 28
	s_cbranch_scc0 .LBB264_278
; %bb.269:
	;; [unrolled: 3-line block ×4, first 2 shown]
	s_mov_b64 s[24:25], 0
	s_mov_b64 s[0:1], -1
	s_cmp_eq_u32 s29, 46
	s_mov_b64 s[20:21], 0
	s_cbranch_scc0 .LBB264_290
; %bb.272:
	v_cvt_f32_f16_e32 v3, v2
	s_movk_i32 s0, 0x7fff
	v_cmp_o_f16_e32 vcc, v2, v2
	v_mov_b32_e32 v5, 0x7fc0
	v_bfe_u32 v6, v3, 16, 1
	v_add3_u32 v3, v3, v6, s0
	v_cndmask_b32_sdwa v3, v5, v3, vcc dst_sel:DWORD dst_unused:UNUSED_PAD src0_sel:DWORD src1_sel:WORD_1
	global_store_dword v[0:1], v3, off
	s_mov_b64 s[20:21], -1
	s_mov_b64 s[0:1], 0
	s_branch .LBB264_290
.LBB264_273:
	s_mov_b64 s[20:21], -1
	s_mov_b64 s[0:1], 0
	s_mov_b64 s[18:19], s[14:15]
                                        ; implicit-def: $vgpr2
	s_branch .LBB264_427
.LBB264_274:
	s_mov_b64 s[24:25], -1
	s_mov_b64 s[20:21], 0
	s_mov_b64 s[0:1], s[12:13]
	s_branch .LBB264_359
.LBB264_275:
	s_mov_b64 s[20:21], -1
	s_mov_b64 s[0:1], 0
	s_mov_b64 s[18:19], s[14:15]
                                        ; implicit-def: $vgpr2
	s_branch .LBB264_408
.LBB264_276:
	s_mov_b64 s[24:25], -1
	s_mov_b64 s[20:21], 0
	s_mov_b64 s[0:1], s[12:13]
	s_branch .LBB264_317
.LBB264_277:
	s_mov_b64 s[20:21], -1
	s_mov_b64 s[0:1], 0
	s_mov_b64 s[18:19], s[14:15]
                                        ; implicit-def: $vgpr2
	s_branch .LBB264_403
.LBB264_278:
	s_mov_b64 s[24:25], -1
	s_mov_b64 s[20:21], 0
	s_mov_b64 s[0:1], s[12:13]
	s_branch .LBB264_300
.LBB264_279:
	s_andn2_saveexec_b64 s[22:23], s[22:23]
	s_cbranch_execz .LBB264_55
.LBB264_280:
	s_mov_b32 s26, 0x46000000
	v_add_f32_e64 v5, |v3|, s26
	v_and_b32_e32 v5, 0xff, v5
	v_cmp_ne_u32_e32 vcc, 0, v5
	s_andn2_b64 s[18:19], s[18:19], exec
	s_and_b64 s[26:27], vcc, exec
	s_or_b64 s[18:19], s[18:19], s[26:27]
	s_or_b64 exec, exec, s[22:23]
	v_mov_b32_e32 v6, 0
	s_and_saveexec_b64 s[22:23], s[18:19]
	s_cbranch_execnz .LBB264_56
	s_branch .LBB264_57
.LBB264_281:
	s_mov_b64 s[20:21], -1
	s_mov_b64 s[0:1], 0
	s_mov_b64 s[18:19], s[14:15]
                                        ; implicit-def: $vgpr2
	s_branch .LBB264_286
.LBB264_282:
	s_mov_b64 s[24:25], -1
	s_mov_b64 s[20:21], 0
	s_mov_b64 s[0:1], s[12:13]
	s_branch .LBB264_296
.LBB264_283:
	s_andn2_saveexec_b64 s[22:23], s[22:23]
	s_cbranch_execz .LBB264_68
.LBB264_284:
	s_mov_b32 s26, 0x42800000
	v_add_f32_e64 v5, |v3|, s26
	v_and_b32_e32 v5, 0xff, v5
	v_cmp_ne_u32_e32 vcc, 0, v5
	s_andn2_b64 s[18:19], s[18:19], exec
	s_and_b64 s[26:27], vcc, exec
	s_or_b64 s[18:19], s[18:19], s[26:27]
	s_or_b64 exec, exec, s[22:23]
	v_mov_b32_e32 v6, 0
	s_and_saveexec_b64 s[22:23], s[18:19]
	s_cbranch_execnz .LBB264_69
	s_branch .LBB264_70
.LBB264_285:
	s_mov_b64 s[18:19], -1
                                        ; implicit-def: $vgpr2
	s_mov_b64 s[0:1], 0
.LBB264_286:
	s_and_b64 vcc, exec, s[20:21]
	s_cbranch_vccz .LBB264_402
; %bb.287:
	s_cmp_eq_u32 s26, 44
	s_cbranch_scc0 .LBB264_401
; %bb.288:
	global_load_ubyte v2, v[0:1], off
	s_movk_i32 s18, 0xff
	v_mov_b32_e32 v5, 0x7e00
	s_mov_b64 s[0:1], -1
	s_waitcnt vmcnt(0)
	v_lshlrev_b32_e32 v3, 23, v2
	v_cvt_f16_f32_e32 v3, v3
	v_cmp_ne_u32_e32 vcc, s18, v2
	s_mov_b64 s[18:19], 0
	s_nop 0
	v_cndmask_b32_e32 v3, v5, v3, vcc
	v_cmp_ne_u32_e32 vcc, 0, v2
	s_nop 1
	v_cndmask_b32_e32 v2, 0, v3, vcc
	s_branch .LBB264_402
.LBB264_289:
	s_mov_b64 s[24:25], -1
	s_mov_b64 s[20:21], 0
	s_mov_b64 s[0:1], s[12:13]
.LBB264_290:
	s_and_b64 vcc, exec, s[24:25]
	s_cbranch_vccz .LBB264_295
; %bb.291:
	s_cmp_eq_u32 s29, 44
	s_mov_b64 s[0:1], -1
	s_cbranch_scc0 .LBB264_295
; %bb.292:
	v_cvt_f32_f16_e32 v3, v2
	s_movk_i32 s0, 0xff
	v_mov_b32_e32 v6, 0xff
	v_bfe_u32 v5, v3, 23, 8
	v_cmp_ne_u32_e32 vcc, s0, v5
	s_and_saveexec_b64 s[20:21], vcc
; %bb.293:
	s_mov_b32 s0, 0x3fffff
	v_lshrrev_b32_e32 v6, 23, v3
	v_and_b32_e32 v7, 0x400000, v3
	v_and_or_b32 v3, v3, s0, v5
	v_cmp_ne_u32_e32 vcc, 0, v7
	v_cmp_ne_u32_e64 s[0:1], 0, v3
	s_and_b64 s[0:1], vcc, s[0:1]
	s_nop 0
	v_cndmask_b32_e64 v3, 0, 1, s[0:1]
	v_add_u32_e32 v6, v6, v3
; %bb.294:
	s_or_b64 exec, exec, s[20:21]
	s_mov_b64 s[20:21], -1
	s_mov_b64 s[0:1], 0
	global_store_byte v[0:1], v6, off
.LBB264_295:
	s_mov_b64 s[24:25], 0
.LBB264_296:
	s_and_b64 vcc, exec, s[24:25]
	s_cbranch_vccz .LBB264_299
; %bb.297:
	s_cmp_eq_u32 s29, 29
	s_mov_b64 s[0:1], -1
	s_cbranch_scc0 .LBB264_299
; %bb.298:
	v_cvt_f32_f16_e32 v3, v2
	v_mov_b32_e32 v7, 0
	s_mov_b64 s[20:21], -1
	s_mov_b64 s[0:1], 0
	v_cvt_u32_f32_e32 v6, v3
	s_mov_b64 s[24:25], 0
	global_store_dwordx2 v[0:1], v[6:7], off
	s_branch .LBB264_300
.LBB264_299:
	s_mov_b64 s[24:25], 0
.LBB264_300:
	s_and_b64 vcc, exec, s[24:25]
	s_cbranch_vccz .LBB264_316
; %bb.301:
	s_cmp_lt_i32 s29, 27
	s_mov_b64 s[20:21], -1
	s_cbranch_scc1 .LBB264_307
; %bb.302:
	s_cmp_gt_i32 s29, 27
	s_cbranch_scc0 .LBB264_304
; %bb.303:
	v_cvt_f32_f16_e32 v3, v2
	s_mov_b64 s[20:21], 0
	v_cvt_u32_f32_e32 v3, v3
	global_store_dword v[0:1], v3, off
.LBB264_304:
	s_andn2_b64 vcc, exec, s[20:21]
	s_cbranch_vccnz .LBB264_306
; %bb.305:
	v_cvt_u16_f16_e32 v3, v2
	global_store_short v[0:1], v3, off
.LBB264_306:
	s_mov_b64 s[20:21], 0
.LBB264_307:
	s_andn2_b64 vcc, exec, s[20:21]
	s_cbranch_vccnz .LBB264_315
; %bb.308:
	v_cvt_f32_f16_e32 v3, v2
	s_mov_b32 s20, 0x43800000
	v_mov_b32_e32 v6, 0x80
	v_and_b32_e32 v5, 0x7fffffff, v3
	v_cmp_gt_u32_e32 vcc, s20, v5
	s_and_saveexec_b64 s[20:21], vcc
	s_cbranch_execz .LBB264_314
; %bb.309:
	s_mov_b32 s24, 0x3bffffff
	v_cmp_lt_u32_e32 vcc, s24, v5
	s_mov_b64 s[24:25], 0
                                        ; implicit-def: $vgpr5
	s_and_saveexec_b64 s[26:27], vcc
	s_xor_b64 s[26:27], exec, s[26:27]
	s_cbranch_execz .LBB264_526
; %bb.310:
	v_bfe_u32 v5, v3, 20, 1
	s_mov_b32 s30, 0x487ffff
	v_add3_u32 v5, v3, v5, s30
	s_mov_b64 s[24:25], exec
	v_lshrrev_b32_e32 v5, 20, v5
	s_andn2_saveexec_b64 s[26:27], s[26:27]
	s_cbranch_execnz .LBB264_527
.LBB264_311:
	s_or_b64 exec, exec, s[26:27]
	v_mov_b32_e32 v6, 0
	s_and_saveexec_b64 s[26:27], s[24:25]
.LBB264_312:
	v_lshrrev_b32_e32 v3, 24, v3
	s_movk_i32 s24, 0x80
	v_and_or_b32 v6, v3, s24, v5
.LBB264_313:
	s_or_b64 exec, exec, s[26:27]
.LBB264_314:
	s_or_b64 exec, exec, s[20:21]
	global_store_byte v[0:1], v6, off
.LBB264_315:
	s_mov_b64 s[20:21], -1
.LBB264_316:
	s_mov_b64 s[24:25], 0
.LBB264_317:
	s_and_b64 vcc, exec, s[24:25]
	s_cbranch_vccz .LBB264_358
; %bb.318:
	s_cmp_gt_i32 s29, 22
	s_mov_b64 s[24:25], -1
	s_cbranch_scc0 .LBB264_350
; %bb.319:
	s_cmp_lt_i32 s29, 24
	s_mov_b64 s[20:21], -1
	s_cbranch_scc1 .LBB264_339
; %bb.320:
	s_cmp_gt_i32 s29, 24
	s_cbranch_scc0 .LBB264_328
; %bb.321:
	v_cvt_f32_f16_e32 v3, v2
	s_mov_b32 s20, 0x47800000
	v_mov_b32_e32 v6, 0x80
	v_and_b32_e32 v5, 0x7fffffff, v3
	v_cmp_gt_u32_e32 vcc, s20, v5
	s_and_saveexec_b64 s[20:21], vcc
	s_cbranch_execz .LBB264_327
; %bb.322:
	s_mov_b32 s24, 0x37ffffff
	v_cmp_lt_u32_e32 vcc, s24, v5
	s_mov_b64 s[24:25], 0
                                        ; implicit-def: $vgpr5
	s_and_saveexec_b64 s[26:27], vcc
	s_xor_b64 s[26:27], exec, s[26:27]
	s_cbranch_execz .LBB264_529
; %bb.323:
	v_bfe_u32 v5, v3, 21, 1
	s_mov_b32 s30, 0x88fffff
	v_add3_u32 v5, v3, v5, s30
	s_mov_b64 s[24:25], exec
	v_lshrrev_b32_e32 v5, 21, v5
	s_andn2_saveexec_b64 s[26:27], s[26:27]
	s_cbranch_execnz .LBB264_530
.LBB264_324:
	s_or_b64 exec, exec, s[26:27]
	v_mov_b32_e32 v6, 0
	s_and_saveexec_b64 s[26:27], s[24:25]
.LBB264_325:
	v_lshrrev_b32_e32 v3, 24, v3
	s_movk_i32 s24, 0x80
	v_and_or_b32 v6, v3, s24, v5
.LBB264_326:
	s_or_b64 exec, exec, s[26:27]
.LBB264_327:
	s_or_b64 exec, exec, s[20:21]
	s_mov_b64 s[20:21], 0
	global_store_byte v[0:1], v6, off
.LBB264_328:
	s_and_b64 vcc, exec, s[20:21]
	s_cbranch_vccz .LBB264_338
; %bb.329:
	v_cvt_f32_f16_e32 v3, v2
	s_mov_b32 s20, 0x43f00000
                                        ; implicit-def: $vgpr5
	v_and_b32_e32 v6, 0x7fffffff, v3
	v_cmp_gt_u32_e32 vcc, s20, v6
	s_and_saveexec_b64 s[20:21], vcc
	s_xor_b64 s[20:21], exec, s[20:21]
	s_cbranch_execz .LBB264_335
; %bb.330:
	s_mov_b32 s24, 0x3c7fffff
	v_cmp_lt_u32_e32 vcc, s24, v6
                                        ; implicit-def: $vgpr5
	s_and_saveexec_b64 s[24:25], vcc
	s_xor_b64 s[24:25], exec, s[24:25]
; %bb.331:
	v_bfe_u32 v5, v3, 20, 1
	s_mov_b32 s26, 0x407ffff
	v_add3_u32 v5, v3, v5, s26
	v_lshrrev_b32_e32 v6, 20, v5
	v_and_b32_e32 v5, 0xff00000, v5
	s_mov_b32 s26, 0x7f00000
	v_mov_b32_e32 v7, 0x7e
	v_cmp_ne_u32_e32 vcc, s26, v5
	s_nop 1
	v_cndmask_b32_e32 v5, v7, v6, vcc
; %bb.332:
	s_andn2_saveexec_b64 s[24:25], s[24:25]
; %bb.333:
	s_mov_b32 s26, 0x46800000
	v_add_f32_e64 v5, |v3|, s26
; %bb.334:
	s_or_b64 exec, exec, s[24:25]
                                        ; implicit-def: $vgpr6
.LBB264_335:
	s_andn2_saveexec_b64 s[20:21], s[20:21]
; %bb.336:
	s_mov_b32 s24, 0x7f800000
	v_mov_b32_e32 v5, 0x7e
	v_mov_b32_e32 v7, 0x7f
	v_cmp_lt_u32_e32 vcc, s24, v6
	s_nop 1
	v_cndmask_b32_e32 v5, v5, v7, vcc
; %bb.337:
	s_or_b64 exec, exec, s[20:21]
	v_lshrrev_b32_e32 v3, 24, v3
	s_movk_i32 s20, 0x80
	v_and_or_b32 v3, v3, s20, v5
	global_store_byte v[0:1], v3, off
.LBB264_338:
	s_mov_b64 s[20:21], 0
.LBB264_339:
	s_andn2_b64 vcc, exec, s[20:21]
	s_cbranch_vccnz .LBB264_349
; %bb.340:
	v_cvt_f32_f16_e32 v3, v2
	s_mov_b32 s20, 0x47800000
                                        ; implicit-def: $vgpr5
	v_and_b32_e32 v6, 0x7fffffff, v3
	v_cmp_gt_u32_e32 vcc, s20, v6
	s_and_saveexec_b64 s[20:21], vcc
	s_xor_b64 s[20:21], exec, s[20:21]
	s_cbranch_execz .LBB264_346
; %bb.341:
	s_mov_b32 s24, 0x387fffff
	v_cmp_lt_u32_e32 vcc, s24, v6
                                        ; implicit-def: $vgpr5
	s_and_saveexec_b64 s[24:25], vcc
	s_xor_b64 s[24:25], exec, s[24:25]
; %bb.342:
	v_bfe_u32 v5, v3, 21, 1
	s_mov_b32 s26, 0x80fffff
	v_add3_u32 v5, v3, v5, s26
	v_lshrrev_b32_e32 v5, 21, v5
; %bb.343:
	s_andn2_saveexec_b64 s[24:25], s[24:25]
; %bb.344:
	s_mov_b32 s26, 0x43000000
	v_add_f32_e64 v5, |v3|, s26
; %bb.345:
	s_or_b64 exec, exec, s[24:25]
                                        ; implicit-def: $vgpr6
.LBB264_346:
	s_andn2_saveexec_b64 s[20:21], s[20:21]
; %bb.347:
	s_mov_b32 s24, 0x7f800000
	v_mov_b32_e32 v5, 0x7c
	v_mov_b32_e32 v7, 0x7f
	v_cmp_lt_u32_e32 vcc, s24, v6
	s_nop 1
	v_cndmask_b32_e32 v5, v5, v7, vcc
; %bb.348:
	s_or_b64 exec, exec, s[20:21]
	v_lshrrev_b32_e32 v3, 24, v3
	s_movk_i32 s20, 0x80
	v_and_or_b32 v3, v3, s20, v5
	global_store_byte v[0:1], v3, off
.LBB264_349:
	s_mov_b64 s[24:25], 0
	s_mov_b64 s[20:21], -1
.LBB264_350:
	s_andn2_b64 vcc, exec, s[24:25]
	s_cbranch_vccnz .LBB264_358
; %bb.351:
	s_cmp_gt_i32 s29, 14
	s_mov_b64 s[24:25], -1
	s_cbranch_scc0 .LBB264_355
; %bb.352:
	s_cmp_eq_u32 s29, 15
	s_mov_b64 s[0:1], -1
	s_cbranch_scc0 .LBB264_354
; %bb.353:
	v_cvt_f32_f16_e32 v3, v2
	s_movk_i32 s0, 0x7fff
	v_cmp_o_f16_e32 vcc, v2, v2
	v_mov_b32_e32 v5, 0x7fc0
	v_bfe_u32 v6, v3, 16, 1
	v_add3_u32 v3, v3, v6, s0
	v_cndmask_b32_sdwa v3, v5, v3, vcc dst_sel:DWORD dst_unused:UNUSED_PAD src0_sel:DWORD src1_sel:WORD_1
	global_store_short v[0:1], v3, off
	s_mov_b64 s[20:21], -1
	s_mov_b64 s[0:1], 0
.LBB264_354:
	s_mov_b64 s[24:25], 0
.LBB264_355:
	s_and_b64 vcc, exec, s[24:25]
	s_cbranch_vccz .LBB264_358
; %bb.356:
	s_cmp_eq_u32 s29, 11
	s_mov_b64 s[0:1], -1
	s_cbranch_scc0 .LBB264_358
; %bb.357:
	v_cmp_neq_f16_e32 vcc, 0, v2
	s_mov_b64 s[20:21], -1
	s_mov_b64 s[0:1], 0
	v_cndmask_b32_e64 v3, 0, 1, vcc
	global_store_byte v[0:1], v3, off
.LBB264_358:
	s_mov_b64 s[24:25], 0
.LBB264_359:
	s_and_b64 vcc, exec, s[24:25]
	s_cbranch_vccz .LBB264_398
; %bb.360:
	s_and_b32 s24, 0xffff, s28
	s_cmp_lt_i32 s24, 5
	s_mov_b64 s[20:21], -1
	s_cbranch_scc1 .LBB264_381
; %bb.361:
	s_cmp_lt_i32 s24, 8
	s_cbranch_scc1 .LBB264_371
; %bb.362:
	s_cmp_lt_i32 s24, 9
	s_cbranch_scc1 .LBB264_368
; %bb.363:
	s_cmp_gt_i32 s24, 9
	s_cbranch_scc0 .LBB264_365
; %bb.364:
	v_cvt_f32_f16_e32 v3, v2
	v_mov_b32_e32 v8, 0
	v_mov_b32_e32 v9, v8
	s_mov_b64 s[20:21], 0
	v_cvt_f64_f32_e32 v[6:7], v3
	global_store_dwordx4 v[0:1], v[6:9], off
.LBB264_365:
	s_andn2_b64 vcc, exec, s[20:21]
	s_cbranch_vccnz .LBB264_367
; %bb.366:
	v_cvt_f32_f16_e32 v6, v2
	v_mov_b32_e32 v7, 0
	global_store_dwordx2 v[0:1], v[6:7], off
.LBB264_367:
	s_mov_b64 s[20:21], 0
.LBB264_368:
	s_andn2_b64 vcc, exec, s[20:21]
	s_cbranch_vccnz .LBB264_370
; %bb.369:
	global_store_dword v[0:1], v2, off
.LBB264_370:
	s_mov_b64 s[20:21], 0
.LBB264_371:
	s_andn2_b64 vcc, exec, s[20:21]
	s_cbranch_vccnz .LBB264_380
; %bb.372:
	s_cmp_lt_i32 s24, 6
	s_mov_b64 s[20:21], -1
	s_cbranch_scc1 .LBB264_378
; %bb.373:
	s_cmp_gt_i32 s24, 6
	s_cbranch_scc0 .LBB264_375
; %bb.374:
	v_cvt_f32_f16_e32 v3, v2
	s_mov_b64 s[20:21], 0
	v_cvt_f64_f32_e32 v[6:7], v3
	global_store_dwordx2 v[0:1], v[6:7], off
.LBB264_375:
	s_andn2_b64 vcc, exec, s[20:21]
	s_cbranch_vccnz .LBB264_377
; %bb.376:
	v_cvt_f32_f16_e32 v3, v2
	global_store_dword v[0:1], v3, off
.LBB264_377:
	s_mov_b64 s[20:21], 0
.LBB264_378:
	s_andn2_b64 vcc, exec, s[20:21]
	s_cbranch_vccnz .LBB264_380
; %bb.379:
	global_store_short v[0:1], v2, off
.LBB264_380:
	s_mov_b64 s[20:21], 0
.LBB264_381:
	s_andn2_b64 vcc, exec, s[20:21]
	s_cbranch_vccnz .LBB264_397
; %bb.382:
	s_cmp_lt_i32 s24, 2
	s_mov_b64 s[20:21], -1
	s_cbranch_scc1 .LBB264_392
; %bb.383:
	s_cmp_lt_i32 s24, 3
	s_cbranch_scc1 .LBB264_389
; %bb.384:
	s_cmp_gt_i32 s24, 3
	s_cbranch_scc0 .LBB264_386
; %bb.385:
	v_cvt_f32_f16_e32 v3, v2
	s_mov_b64 s[20:21], 0
	v_cvt_i32_f32_e32 v6, v3
	v_ashrrev_i32_e32 v7, 31, v6
	global_store_dwordx2 v[0:1], v[6:7], off
.LBB264_386:
	s_andn2_b64 vcc, exec, s[20:21]
	s_cbranch_vccnz .LBB264_388
; %bb.387:
	v_cvt_f32_f16_e32 v3, v2
	v_cvt_i32_f32_e32 v3, v3
	global_store_dword v[0:1], v3, off
.LBB264_388:
	s_mov_b64 s[20:21], 0
.LBB264_389:
	s_andn2_b64 vcc, exec, s[20:21]
	s_cbranch_vccnz .LBB264_391
; %bb.390:
	v_cvt_i16_f16_e32 v3, v2
	global_store_short v[0:1], v3, off
.LBB264_391:
	s_mov_b64 s[20:21], 0
.LBB264_392:
	s_andn2_b64 vcc, exec, s[20:21]
	s_cbranch_vccnz .LBB264_397
; %bb.393:
	s_cmp_gt_i32 s24, 0
	s_mov_b64 s[20:21], -1
	s_cbranch_scc0 .LBB264_395
; %bb.394:
	v_cvt_i16_f16_e32 v3, v2
	s_mov_b64 s[20:21], 0
	global_store_byte v[0:1], v3, off
.LBB264_395:
	s_andn2_b64 vcc, exec, s[20:21]
	s_cbranch_vccnz .LBB264_397
; %bb.396:
	v_cvt_f32_f16_e32 v2, v2
	v_cvt_i32_f32_e32 v2, v2
	global_store_byte v[0:1], v2, off
.LBB264_397:
	s_mov_b64 s[20:21], -1
.LBB264_398:
	s_andn2_b64 vcc, exec, s[20:21]
	s_cbranch_vccnz .LBB264_400
; %bb.399:
	v_add_u32_e32 v4, 0x80, v4
	s_mov_b64 s[24:25], -1
	s_branch .LBB264_512
.LBB264_400:
	s_mov_b64 s[24:25], 0
                                        ; implicit-def: $vgpr4
	s_branch .LBB264_512
.LBB264_401:
	s_mov_b64 s[18:19], -1
                                        ; implicit-def: $vgpr2
.LBB264_402:
	s_mov_b64 s[20:21], 0
.LBB264_403:
	s_and_b64 vcc, exec, s[20:21]
	s_cbranch_vccz .LBB264_407
; %bb.404:
	s_cmp_eq_u32 s26, 29
	s_cbranch_scc0 .LBB264_406
; %bb.405:
	global_load_dwordx2 v[2:3], v[0:1], off
	s_mov_b64 s[0:1], -1
	s_mov_b64 s[18:19], 0
	s_mov_b64 s[20:21], 0
	s_waitcnt vmcnt(0)
	v_ffbh_u32_e32 v5, v3
	v_min_u32_e32 v5, 32, v5
	v_lshlrev_b64 v[2:3], v5, v[2:3]
	v_min_u32_e32 v2, 1, v2
	v_or_b32_e32 v2, v3, v2
	v_cvt_f32_u32_e32 v2, v2
	v_sub_u32_e32 v3, 32, v5
	v_ldexp_f32 v2, v2, v3
	v_cvt_f16_f32_e32 v2, v2
	s_branch .LBB264_408
.LBB264_406:
	s_mov_b64 s[18:19], -1
                                        ; implicit-def: $vgpr2
.LBB264_407:
	s_mov_b64 s[20:21], 0
.LBB264_408:
	s_and_b64 vcc, exec, s[20:21]
	s_cbranch_vccz .LBB264_426
; %bb.409:
	s_cmp_lt_i32 s26, 27
	s_cbranch_scc1 .LBB264_412
; %bb.410:
	s_cmp_gt_i32 s26, 27
	s_cbranch_scc0 .LBB264_413
; %bb.411:
	global_load_dword v2, v[0:1], off
	s_mov_b64 s[0:1], 0
	s_waitcnt vmcnt(0)
	v_cvt_f32_u32_e32 v2, v2
	v_cvt_f16_f32_e32 v2, v2
	s_branch .LBB264_414
.LBB264_412:
	s_mov_b64 s[0:1], -1
                                        ; implicit-def: $vgpr2
	s_branch .LBB264_417
.LBB264_413:
	s_mov_b64 s[0:1], -1
                                        ; implicit-def: $vgpr2
.LBB264_414:
	s_andn2_b64 vcc, exec, s[0:1]
	s_cbranch_vccnz .LBB264_416
; %bb.415:
	global_load_ushort v2, v[0:1], off
	s_waitcnt vmcnt(0)
	v_cvt_f16_u16_e32 v2, v2
.LBB264_416:
	s_mov_b64 s[0:1], 0
.LBB264_417:
	s_andn2_b64 vcc, exec, s[0:1]
	s_cbranch_vccnz .LBB264_425
; %bb.418:
	global_load_ubyte v3, v[0:1], off
	s_movk_i32 s0, 0x7f
	s_waitcnt vmcnt(0)
	v_cmp_lt_i16_e32 vcc, s0, v3
	s_mov_b64 s[0:1], 0
	s_and_saveexec_b64 s[20:21], vcc
	s_xor_b64 s[20:21], exec, s[20:21]
	s_cbranch_execz .LBB264_439
; %bb.419:
	s_movk_i32 s0, 0x80
	v_cmp_eq_u16_e32 vcc, s0, v3
	s_mov_b64 s[0:1], -1
	s_and_saveexec_b64 s[24:25], vcc
; %bb.420:
	s_xor_b64 s[0:1], exec, -1
; %bb.421:
	s_or_b64 exec, exec, s[24:25]
	s_and_b64 s[0:1], s[0:1], exec
	s_or_saveexec_b64 s[20:21], s[20:21]
	v_mov_b32_e32 v2, 0x7e00
	s_xor_b64 exec, exec, s[20:21]
	s_cbranch_execnz .LBB264_440
.LBB264_422:
	s_or_b64 exec, exec, s[20:21]
	s_and_saveexec_b64 s[20:21], s[0:1]
	s_cbranch_execz .LBB264_424
.LBB264_423:
	v_lshlrev_b32_e32 v2, 24, v3
	v_and_b32_e32 v3, 0xffff, v3
	v_and_b32_e32 v5, 7, v3
	v_ffbh_u32_e32 v7, v5
	v_min_u32_e32 v7, 32, v7
	v_subrev_u32_e32 v8, 28, v7
	v_bfe_u32 v6, v3, 3, 4
	v_lshlrev_b32_e32 v3, v8, v3
	v_sub_u32_e32 v7, 29, v7
	v_and_b32_e32 v3, 7, v3
	v_cmp_eq_u32_e32 vcc, 0, v6
	v_and_b32_e32 v2, 0x80000000, v2
	s_nop 0
	v_cndmask_b32_e32 v6, v6, v7, vcc
	v_cndmask_b32_e32 v3, v5, v3, vcc
	v_mov_b32_e32 v5, 0x3b800000
	v_lshlrev_b32_e32 v3, 20, v3
	v_lshl_add_u32 v5, v6, 23, v5
	v_or3_b32 v2, v2, v5, v3
	v_cvt_f16_f32_e32 v2, v2
.LBB264_424:
	s_or_b64 exec, exec, s[20:21]
.LBB264_425:
	s_mov_b64 s[0:1], -1
.LBB264_426:
	s_mov_b64 s[20:21], 0
.LBB264_427:
	s_and_b64 vcc, exec, s[20:21]
	s_cbranch_vccz .LBB264_462
; %bb.428:
	s_cmp_gt_i32 s26, 22
	s_cbranch_scc0 .LBB264_438
; %bb.429:
	s_cmp_lt_i32 s26, 24
	s_cbranch_scc1 .LBB264_441
; %bb.430:
	s_cmp_gt_i32 s26, 24
	s_cbranch_scc0 .LBB264_442
; %bb.431:
	global_load_ubyte v3, v[0:1], off
	s_movk_i32 s0, 0x7f
	s_waitcnt vmcnt(0)
	v_cmp_lt_i16_e32 vcc, s0, v3
	s_mov_b64 s[0:1], 0
	s_and_saveexec_b64 s[20:21], vcc
	s_xor_b64 s[20:21], exec, s[20:21]
	s_cbranch_execz .LBB264_454
; %bb.432:
	s_movk_i32 s0, 0x80
	v_cmp_eq_u16_e32 vcc, s0, v3
	s_mov_b64 s[0:1], -1
	s_and_saveexec_b64 s[24:25], vcc
; %bb.433:
	s_xor_b64 s[0:1], exec, -1
; %bb.434:
	s_or_b64 exec, exec, s[24:25]
	s_and_b64 s[0:1], s[0:1], exec
	s_or_saveexec_b64 s[20:21], s[20:21]
	v_mov_b32_e32 v2, 0x7e00
	s_xor_b64 exec, exec, s[20:21]
	s_cbranch_execnz .LBB264_455
.LBB264_435:
	s_or_b64 exec, exec, s[20:21]
	s_and_saveexec_b64 s[20:21], s[0:1]
	s_cbranch_execz .LBB264_437
.LBB264_436:
	v_lshlrev_b32_e32 v2, 24, v3
	v_and_b32_e32 v3, 0xffff, v3
	v_and_b32_e32 v5, 3, v3
	v_ffbh_u32_e32 v7, v5
	v_min_u32_e32 v7, 32, v7
	v_subrev_u32_e32 v8, 29, v7
	v_bfe_u32 v6, v3, 2, 5
	v_lshlrev_b32_e32 v3, v8, v3
	v_sub_u32_e32 v7, 30, v7
	v_and_b32_e32 v3, 3, v3
	v_cmp_eq_u32_e32 vcc, 0, v6
	v_and_b32_e32 v2, 0x80000000, v2
	s_nop 0
	v_cndmask_b32_e32 v6, v6, v7, vcc
	v_cndmask_b32_e32 v3, v5, v3, vcc
	v_mov_b32_e32 v5, 0x37800000
	v_lshlrev_b32_e32 v3, 21, v3
	v_lshl_add_u32 v5, v6, 23, v5
	v_or3_b32 v2, v2, v5, v3
	v_cvt_f16_f32_e32 v2, v2
.LBB264_437:
	s_or_b64 exec, exec, s[20:21]
	s_mov_b64 s[0:1], 0
	s_branch .LBB264_443
.LBB264_438:
	s_mov_b64 s[20:21], -1
                                        ; implicit-def: $vgpr2
	s_branch .LBB264_449
.LBB264_439:
	s_or_saveexec_b64 s[20:21], s[20:21]
	v_mov_b32_e32 v2, 0x7e00
	s_xor_b64 exec, exec, s[20:21]
	s_cbranch_execz .LBB264_422
.LBB264_440:
	v_cmp_ne_u16_e32 vcc, 0, v3
	s_andn2_b64 s[0:1], s[0:1], exec
	s_and_b64 s[24:25], vcc, exec
	s_or_b64 s[0:1], s[0:1], s[24:25]
	v_mov_b32_e32 v2, v3
	s_or_b64 exec, exec, s[20:21]
	s_and_saveexec_b64 s[20:21], s[0:1]
	s_cbranch_execnz .LBB264_423
	s_branch .LBB264_424
.LBB264_441:
	s_mov_b64 s[0:1], -1
                                        ; implicit-def: $vgpr2
	s_branch .LBB264_446
.LBB264_442:
	s_mov_b64 s[0:1], -1
                                        ; implicit-def: $vgpr2
.LBB264_443:
	s_and_b64 vcc, exec, s[0:1]
	s_cbranch_vccz .LBB264_445
; %bb.444:
	global_load_ubyte v2, v[0:1], off
	s_mov_b32 s0, 0x7f800000
	s_waitcnt vmcnt(0)
	v_lshlrev_b32_e32 v2, 24, v2
	v_and_b32_e32 v3, 0x7f000000, v2
	v_ffbh_u32_e32 v5, v3
	v_min_u32_e32 v5, 32, v5
	v_sub_u32_e64 v5, v5, 4 clamp
	v_lshlrev_b32_e32 v7, v5, v3
	v_lshlrev_b32_e32 v5, 23, v5
	v_lshrrev_b32_e32 v7, 4, v7
	v_add_u32_e32 v6, 0x1000000, v3
	v_sub_u32_e32 v5, v7, v5
	v_ashrrev_i32_e32 v6, 8, v6
	v_add_u32_e32 v5, 0x3c000000, v5
	v_and_or_b32 v5, v6, s0, v5
	v_cmp_ne_u32_e32 vcc, 0, v3
	s_brev_b32 s0, 1
	s_nop 0
	v_cndmask_b32_e32 v3, 0, v5, vcc
	v_and_or_b32 v2, v2, s0, v3
	v_cvt_f16_f32_e32 v2, v2
.LBB264_445:
	s_mov_b64 s[0:1], 0
.LBB264_446:
	s_andn2_b64 vcc, exec, s[0:1]
	s_cbranch_vccnz .LBB264_448
; %bb.447:
	global_load_ubyte v2, v[0:1], off
	s_movk_i32 s0, 0x7f00
	s_brev_b32 s1, 16
	s_waitcnt vmcnt(0)
	v_lshlrev_b16_e32 v3, 8, v2
	v_lshlrev_b32_e32 v2, 25, v2
	v_lshrrev_b32_e32 v5, 4, v2
	v_and_or_b32 v6, v3, s0, 0.5
	v_or_b32_e32 v5, 0x70000000, v5
	v_add_f32_e32 v6, -0.5, v6
	v_mul_f32_e32 v5, 0x7800000, v5
	v_cmp_gt_u32_e32 vcc, s1, v2
	v_bfe_i32 v3, v3, 0, 16
	s_brev_b32 s0, 1
	v_cndmask_b32_e32 v2, v5, v6, vcc
	v_and_or_b32 v2, v3, s0, v2
	v_cvt_f16_f32_e32 v2, v2
.LBB264_448:
	s_mov_b64 s[20:21], 0
	s_mov_b64 s[0:1], -1
.LBB264_449:
	s_andn2_b64 vcc, exec, s[20:21]
	s_cbranch_vccnz .LBB264_462
; %bb.450:
	s_cmp_gt_i32 s26, 14
	s_cbranch_scc0 .LBB264_453
; %bb.451:
	s_cmp_eq_u32 s26, 15
	s_cbranch_scc0 .LBB264_456
; %bb.452:
	global_load_ushort v2, v[0:1], off
	s_mov_b64 s[0:1], -1
	s_mov_b64 s[18:19], 0
	s_waitcnt vmcnt(0)
	v_lshlrev_b32_e32 v2, 16, v2
	v_cvt_f16_f32_e32 v2, v2
	s_branch .LBB264_457
.LBB264_453:
	s_mov_b64 s[20:21], -1
                                        ; implicit-def: $vgpr2
	s_branch .LBB264_458
.LBB264_454:
	s_or_saveexec_b64 s[20:21], s[20:21]
	v_mov_b32_e32 v2, 0x7e00
	s_xor_b64 exec, exec, s[20:21]
	s_cbranch_execz .LBB264_435
.LBB264_455:
	v_cmp_ne_u16_e32 vcc, 0, v3
	s_andn2_b64 s[0:1], s[0:1], exec
	s_and_b64 s[24:25], vcc, exec
	s_or_b64 s[0:1], s[0:1], s[24:25]
	v_mov_b32_e32 v2, v3
	s_or_b64 exec, exec, s[20:21]
	s_and_saveexec_b64 s[20:21], s[0:1]
	s_cbranch_execnz .LBB264_436
	s_branch .LBB264_437
.LBB264_456:
	s_mov_b64 s[18:19], -1
                                        ; implicit-def: $vgpr2
.LBB264_457:
	s_mov_b64 s[20:21], 0
.LBB264_458:
	s_and_b64 vcc, exec, s[20:21]
	s_cbranch_vccz .LBB264_462
; %bb.459:
	s_cmp_eq_u32 s26, 11
	s_cbranch_scc0 .LBB264_461
; %bb.460:
	global_load_ubyte v2, v[0:1], off
	v_mov_b32_e32 v3, 0x3c00
	s_mov_b64 s[0:1], -1
	s_mov_b64 s[18:19], 0
	s_waitcnt vmcnt(0)
	v_cmp_ne_u16_e32 vcc, 0, v2
	s_nop 1
	v_cndmask_b32_e32 v2, 0, v3, vcc
	s_branch .LBB264_462
.LBB264_461:
	s_mov_b64 s[18:19], -1
                                        ; implicit-def: $vgpr2
.LBB264_462:
	s_branch .LBB264_265
.LBB264_463:
	s_cmp_lt_i32 s26, 5
	s_cbranch_scc1 .LBB264_468
; %bb.464:
	s_cmp_lt_i32 s26, 8
	s_cbranch_scc1 .LBB264_469
; %bb.465:
	;; [unrolled: 3-line block ×3, first 2 shown]
	s_cmp_gt_i32 s26, 9
	s_cbranch_scc0 .LBB264_471
; %bb.467:
	global_load_dwordx2 v[2:3], v[0:1], off
	s_movk_i32 s0, 0x1ff
	s_movk_i32 s1, 0xffe
	v_mov_b32_e32 v5, 0x7c00
	v_mov_b32_e32 v6, 0x7e00
	s_movk_i32 s20, 0x40f
	s_mov_b32 s21, 0x8000
	s_waitcnt vmcnt(0)
	v_and_or_b32 v2, v3, s0, v2
	v_cmp_ne_u32_e32 vcc, 0, v2
	v_lshrrev_b32_e32 v7, 8, v3
	v_bfe_u32 v8, v3, 20, 11
	v_cndmask_b32_e64 v2, 0, 1, vcc
	v_sub_u32_e32 v9, 0x3f1, v8
	v_and_or_b32 v2, v7, s1, v2
	v_add_u32_e32 v8, 0xfffffc10, v8
	v_med3_i32 v7, v9, 0, 13
	v_or_b32_e32 v9, 0x1000, v2
	v_cmp_ne_u32_e32 vcc, 0, v2
	v_lshl_or_b32 v10, v8, 12, v2
	v_lshrrev_b32_e32 v3, 16, v3
	v_cndmask_b32_e32 v2, v5, v6, vcc
	v_lshrrev_b32_e32 v6, v7, v9
	v_lshlrev_b32_e32 v7, v7, v6
	v_cmp_ne_u32_e32 vcc, v7, v9
	s_mov_b64 s[0:1], 0
	s_nop 0
	v_cndmask_b32_e64 v7, 0, 1, vcc
	v_or_b32_e32 v6, v6, v7
	v_cmp_gt_i32_e32 vcc, 1, v8
	s_nop 1
	v_cndmask_b32_e32 v6, v10, v6, vcc
	v_and_b32_e32 v7, 7, v6
	v_cmp_lt_i32_e32 vcc, 5, v7
	v_lshrrev_b32_e32 v6, 2, v6
	s_nop 0
	v_cndmask_b32_e64 v9, 0, 1, vcc
	v_cmp_eq_u32_e32 vcc, 3, v7
	s_nop 1
	v_cndmask_b32_e64 v7, 0, 1, vcc
	v_or_b32_e32 v7, v7, v9
	v_add_u32_e32 v6, v6, v7
	v_cmp_gt_i32_e32 vcc, 31, v8
	s_nop 1
	v_cndmask_b32_e32 v5, v5, v6, vcc
	v_cmp_eq_u32_e32 vcc, s20, v8
	s_nop 1
	v_cndmask_b32_e32 v2, v5, v2, vcc
	v_and_or_b32 v2, v3, s21, v2
	s_branch .LBB264_472
.LBB264_468:
	s_mov_b64 s[0:1], -1
                                        ; implicit-def: $vgpr2
	s_branch .LBB264_490
.LBB264_469:
	s_mov_b64 s[0:1], -1
                                        ; implicit-def: $vgpr2
	s_branch .LBB264_478
.LBB264_470:
	s_mov_b64 s[0:1], -1
                                        ; implicit-def: $vgpr2
	s_branch .LBB264_475
.LBB264_471:
	s_mov_b64 s[0:1], -1
                                        ; implicit-def: $vgpr2
.LBB264_472:
	s_andn2_b64 vcc, exec, s[0:1]
	s_cbranch_vccnz .LBB264_474
; %bb.473:
	global_load_dword v2, v[0:1], off
	s_waitcnt vmcnt(0)
	v_cvt_f16_f32_e32 v2, v2
.LBB264_474:
	s_mov_b64 s[0:1], 0
.LBB264_475:
	s_andn2_b64 vcc, exec, s[0:1]
	s_cbranch_vccnz .LBB264_477
; %bb.476:
	global_load_dword v2, v[0:1], off
.LBB264_477:
	s_mov_b64 s[0:1], 0
.LBB264_478:
	s_andn2_b64 vcc, exec, s[0:1]
	s_cbranch_vccnz .LBB264_489
; %bb.479:
	s_cmp_lt_i32 s26, 6
	s_cbranch_scc1 .LBB264_482
; %bb.480:
	s_cmp_gt_i32 s26, 6
	s_cbranch_scc0 .LBB264_483
; %bb.481:
	global_load_dwordx2 v[2:3], v[0:1], off
	s_movk_i32 s0, 0x1ff
	s_movk_i32 s1, 0xffe
	v_mov_b32_e32 v5, 0x7c00
	v_mov_b32_e32 v6, 0x7e00
	s_movk_i32 s20, 0x40f
	s_mov_b32 s21, 0x8000
	s_waitcnt vmcnt(0)
	v_and_or_b32 v2, v3, s0, v2
	v_cmp_ne_u32_e32 vcc, 0, v2
	v_lshrrev_b32_e32 v7, 8, v3
	v_bfe_u32 v8, v3, 20, 11
	v_cndmask_b32_e64 v2, 0, 1, vcc
	v_sub_u32_e32 v9, 0x3f1, v8
	v_and_or_b32 v2, v7, s1, v2
	v_add_u32_e32 v8, 0xfffffc10, v8
	v_med3_i32 v7, v9, 0, 13
	v_or_b32_e32 v9, 0x1000, v2
	v_cmp_ne_u32_e32 vcc, 0, v2
	v_lshl_or_b32 v10, v8, 12, v2
	v_lshrrev_b32_e32 v3, 16, v3
	v_cndmask_b32_e32 v2, v5, v6, vcc
	v_lshrrev_b32_e32 v6, v7, v9
	v_lshlrev_b32_e32 v7, v7, v6
	v_cmp_ne_u32_e32 vcc, v7, v9
	s_mov_b64 s[0:1], 0
	s_nop 0
	v_cndmask_b32_e64 v7, 0, 1, vcc
	v_or_b32_e32 v6, v6, v7
	v_cmp_gt_i32_e32 vcc, 1, v8
	s_nop 1
	v_cndmask_b32_e32 v6, v10, v6, vcc
	v_and_b32_e32 v7, 7, v6
	v_cmp_lt_i32_e32 vcc, 5, v7
	v_lshrrev_b32_e32 v6, 2, v6
	s_nop 0
	v_cndmask_b32_e64 v9, 0, 1, vcc
	v_cmp_eq_u32_e32 vcc, 3, v7
	s_nop 1
	v_cndmask_b32_e64 v7, 0, 1, vcc
	v_or_b32_e32 v7, v7, v9
	v_add_u32_e32 v6, v6, v7
	v_cmp_gt_i32_e32 vcc, 31, v8
	s_nop 1
	v_cndmask_b32_e32 v5, v5, v6, vcc
	v_cmp_eq_u32_e32 vcc, s20, v8
	s_nop 1
	v_cndmask_b32_e32 v2, v5, v2, vcc
	v_and_or_b32 v2, v3, s21, v2
	s_branch .LBB264_484
.LBB264_482:
	s_mov_b64 s[0:1], -1
                                        ; implicit-def: $vgpr2
	s_branch .LBB264_487
.LBB264_483:
	s_mov_b64 s[0:1], -1
                                        ; implicit-def: $vgpr2
.LBB264_484:
	s_andn2_b64 vcc, exec, s[0:1]
	s_cbranch_vccnz .LBB264_486
; %bb.485:
	global_load_dword v2, v[0:1], off
	s_waitcnt vmcnt(0)
	v_cvt_f16_f32_e32 v2, v2
.LBB264_486:
	s_mov_b64 s[0:1], 0
.LBB264_487:
	s_andn2_b64 vcc, exec, s[0:1]
	s_cbranch_vccnz .LBB264_489
; %bb.488:
	global_load_ushort v2, v[0:1], off
.LBB264_489:
	s_mov_b64 s[0:1], 0
.LBB264_490:
	s_andn2_b64 vcc, exec, s[0:1]
	s_cbranch_vccnz .LBB264_510
; %bb.491:
	s_cmp_lt_i32 s26, 2
	s_cbranch_scc1 .LBB264_495
; %bb.492:
	s_cmp_lt_i32 s26, 3
	s_cbranch_scc1 .LBB264_496
; %bb.493:
	s_cmp_gt_i32 s26, 3
	s_cbranch_scc0 .LBB264_497
; %bb.494:
	global_load_dwordx2 v[2:3], v[0:1], off
	s_mov_b64 s[0:1], 0
	s_waitcnt vmcnt(0)
	v_xor_b32_e32 v6, v2, v3
	v_ffbh_i32_e32 v5, v3
	v_ashrrev_i32_e32 v6, 31, v6
	v_add_u32_e32 v5, -1, v5
	v_add_u32_e32 v6, 32, v6
	v_min_u32_e32 v5, v5, v6
	v_lshlrev_b64 v[2:3], v5, v[2:3]
	v_min_u32_e32 v2, 1, v2
	v_or_b32_e32 v2, v3, v2
	v_cvt_f32_i32_e32 v2, v2
	v_sub_u32_e32 v3, 32, v5
	v_ldexp_f32 v2, v2, v3
	v_cvt_f16_f32_e32 v2, v2
	s_branch .LBB264_498
.LBB264_495:
	s_mov_b64 s[0:1], -1
                                        ; implicit-def: $vgpr2
	s_branch .LBB264_504
.LBB264_496:
	s_mov_b64 s[0:1], -1
                                        ; implicit-def: $vgpr2
	s_branch .LBB264_501
.LBB264_497:
	s_mov_b64 s[0:1], -1
                                        ; implicit-def: $vgpr2
.LBB264_498:
	s_andn2_b64 vcc, exec, s[0:1]
	s_cbranch_vccnz .LBB264_500
; %bb.499:
	global_load_dword v2, v[0:1], off
	s_waitcnt vmcnt(0)
	v_cvt_f32_i32_e32 v2, v2
	v_cvt_f16_f32_e32 v2, v2
.LBB264_500:
	s_mov_b64 s[0:1], 0
.LBB264_501:
	s_andn2_b64 vcc, exec, s[0:1]
	s_cbranch_vccnz .LBB264_503
; %bb.502:
	global_load_ushort v2, v[0:1], off
	s_waitcnt vmcnt(0)
	v_cvt_f16_i16_e32 v2, v2
.LBB264_503:
	s_mov_b64 s[0:1], 0
.LBB264_504:
	s_andn2_b64 vcc, exec, s[0:1]
	s_cbranch_vccnz .LBB264_510
; %bb.505:
	s_cmp_gt_i32 s26, 0
	s_cbranch_scc0 .LBB264_507
; %bb.506:
	global_load_sbyte v2, v[0:1], off
	s_mov_b64 s[0:1], 0
	s_waitcnt vmcnt(0)
	v_cvt_f16_i16_e32 v2, v2
	s_branch .LBB264_508
.LBB264_507:
	s_mov_b64 s[0:1], -1
                                        ; implicit-def: $vgpr2
.LBB264_508:
	s_andn2_b64 vcc, exec, s[0:1]
	s_cbranch_vccnz .LBB264_510
; %bb.509:
	global_load_ubyte v0, v[0:1], off
	s_waitcnt vmcnt(0)
	v_cvt_f16_u16_e32 v2, v0
.LBB264_510:
	s_branch .LBB264_266
.LBB264_511:
	s_mov_b64 s[24:25], 0
                                        ; implicit-def: $vgpr4
	s_mov_b64 s[0:1], s[12:13]
.LBB264_512:
	s_andn2_b64 s[20:21], s[12:13], exec
	s_and_b64 s[0:1], s[0:1], exec
	s_or_b64 s[20:21], s[20:21], s[0:1]
	s_andn2_b64 s[0:1], s[14:15], exec
	s_and_b64 s[18:19], s[18:19], exec
	s_or_b64 s[18:19], s[0:1], s[18:19]
	s_orn2_b64 s[0:1], s[24:25], exec
.LBB264_513:
	s_or_b64 exec, exec, s[22:23]
	s_mov_b64 s[24:25], 0
	s_mov_b64 s[26:27], 0
	;; [unrolled: 1-line block ×3, first 2 shown]
                                        ; implicit-def: $vgpr0_vgpr1
                                        ; implicit-def: $vgpr3
	s_and_saveexec_b64 s[22:23], s[0:1]
	s_cbranch_execz .LBB264_858
; %bb.514:
	v_cmp_gt_i32_e32 vcc, s38, v4
	s_mov_b64 s[34:35], -1
	s_mov_b64 s[0:1], s[18:19]
	s_mov_b64 s[28:29], s[20:21]
	s_and_saveexec_b64 s[24:25], vcc
	s_cbranch_execz .LBB264_772
; %bb.515:
	v_mul_lo_u32 v0, v4, s9
	v_ashrrev_i32_e32 v1, 31, v0
	s_and_b32 s34, 0xffff, s42
	s_cmp_lt_i32 s34, 11
	v_lshl_add_u64 v[0:1], s[6:7], 0, v[0:1]
	s_cbranch_scc1 .LBB264_522
; %bb.516:
	s_cmp_gt_i32 s34, 25
	s_cbranch_scc0 .LBB264_523
; %bb.517:
	s_cmp_gt_i32 s34, 28
	s_cbranch_scc0 .LBB264_524
	;; [unrolled: 3-line block ×4, first 2 shown]
; %bb.520:
	s_cmp_eq_u32 s34, 46
	s_mov_b64 s[28:29], 0
	s_cbranch_scc0 .LBB264_531
; %bb.521:
	global_load_dword v2, v[0:1], off
	s_mov_b64 s[0:1], -1
	s_waitcnt vmcnt(0)
	v_lshlrev_b32_e32 v2, 16, v2
	v_cvt_f16_f32_e32 v2, v2
	s_branch .LBB264_532
.LBB264_522:
	s_mov_b64 s[28:29], -1
	s_mov_b64 s[0:1], 0
                                        ; implicit-def: $vgpr2
	s_mov_b64 s[26:27], s[18:19]
	s_branch .LBB264_597
.LBB264_523:
	s_mov_b64 s[28:29], -1
	s_mov_b64 s[0:1], 0
	s_mov_b64 s[26:27], s[18:19]
                                        ; implicit-def: $vgpr2
	s_branch .LBB264_561
.LBB264_524:
	s_mov_b64 s[28:29], -1
	s_mov_b64 s[0:1], 0
	s_mov_b64 s[26:27], s[18:19]
                                        ; implicit-def: $vgpr2
	s_branch .LBB264_542
.LBB264_525:
	s_mov_b64 s[28:29], -1
	s_mov_b64 s[0:1], 0
	s_mov_b64 s[26:27], s[18:19]
                                        ; implicit-def: $vgpr2
	s_branch .LBB264_537
.LBB264_526:
	s_andn2_saveexec_b64 s[26:27], s[26:27]
	s_cbranch_execz .LBB264_311
.LBB264_527:
	s_mov_b32 s30, 0x46000000
	v_add_f32_e64 v5, |v3|, s30
	v_and_b32_e32 v5, 0xff, v5
	v_cmp_ne_u32_e32 vcc, 0, v5
	s_andn2_b64 s[24:25], s[24:25], exec
	s_and_b64 s[30:31], vcc, exec
	s_or_b64 s[24:25], s[24:25], s[30:31]
	s_or_b64 exec, exec, s[26:27]
	v_mov_b32_e32 v6, 0
	s_and_saveexec_b64 s[26:27], s[24:25]
	s_cbranch_execnz .LBB264_312
	s_branch .LBB264_313
.LBB264_528:
	s_mov_b64 s[28:29], -1
	s_mov_b64 s[0:1], 0
	s_mov_b64 s[26:27], s[18:19]
                                        ; implicit-def: $vgpr2
	s_branch .LBB264_532
.LBB264_529:
	s_andn2_saveexec_b64 s[26:27], s[26:27]
	s_cbranch_execz .LBB264_324
.LBB264_530:
	s_mov_b32 s30, 0x42800000
	v_add_f32_e64 v5, |v3|, s30
	v_and_b32_e32 v5, 0xff, v5
	v_cmp_ne_u32_e32 vcc, 0, v5
	s_andn2_b64 s[24:25], s[24:25], exec
	s_and_b64 s[30:31], vcc, exec
	s_or_b64 s[24:25], s[24:25], s[30:31]
	s_or_b64 exec, exec, s[26:27]
	v_mov_b32_e32 v6, 0
	s_and_saveexec_b64 s[26:27], s[24:25]
	s_cbranch_execnz .LBB264_325
	s_branch .LBB264_326
.LBB264_531:
	s_mov_b64 s[26:27], -1
                                        ; implicit-def: $vgpr2
	s_mov_b64 s[0:1], 0
.LBB264_532:
	s_and_b64 vcc, exec, s[28:29]
	s_cbranch_vccz .LBB264_536
; %bb.533:
	s_cmp_eq_u32 s34, 44
	s_cbranch_scc0 .LBB264_535
; %bb.534:
	global_load_ubyte v2, v[0:1], off
	s_movk_i32 s26, 0xff
	v_mov_b32_e32 v5, 0x7e00
	s_mov_b64 s[0:1], -1
	s_waitcnt vmcnt(0)
	v_lshlrev_b32_e32 v3, 23, v2
	v_cvt_f16_f32_e32 v3, v3
	v_cmp_ne_u32_e32 vcc, s26, v2
	s_mov_b64 s[26:27], 0
	s_nop 0
	v_cndmask_b32_e32 v3, v5, v3, vcc
	v_cmp_ne_u32_e32 vcc, 0, v2
	s_nop 1
	v_cndmask_b32_e32 v2, 0, v3, vcc
	s_branch .LBB264_536
.LBB264_535:
	s_mov_b64 s[26:27], -1
                                        ; implicit-def: $vgpr2
.LBB264_536:
	s_mov_b64 s[28:29], 0
.LBB264_537:
	s_and_b64 vcc, exec, s[28:29]
	s_cbranch_vccz .LBB264_541
; %bb.538:
	s_cmp_eq_u32 s34, 29
	s_cbranch_scc0 .LBB264_540
; %bb.539:
	global_load_dwordx2 v[2:3], v[0:1], off
	s_mov_b64 s[0:1], -1
	s_mov_b64 s[26:27], 0
	s_mov_b64 s[28:29], 0
	s_waitcnt vmcnt(0)
	v_ffbh_u32_e32 v5, v3
	v_min_u32_e32 v5, 32, v5
	v_lshlrev_b64 v[2:3], v5, v[2:3]
	v_min_u32_e32 v2, 1, v2
	v_or_b32_e32 v2, v3, v2
	v_cvt_f32_u32_e32 v2, v2
	v_sub_u32_e32 v3, 32, v5
	v_ldexp_f32 v2, v2, v3
	v_cvt_f16_f32_e32 v2, v2
	s_branch .LBB264_542
.LBB264_540:
	s_mov_b64 s[26:27], -1
                                        ; implicit-def: $vgpr2
.LBB264_541:
	s_mov_b64 s[28:29], 0
.LBB264_542:
	s_and_b64 vcc, exec, s[28:29]
	s_cbranch_vccz .LBB264_560
; %bb.543:
	s_cmp_lt_i32 s34, 27
	s_cbranch_scc1 .LBB264_546
; %bb.544:
	s_cmp_gt_i32 s34, 27
	s_cbranch_scc0 .LBB264_547
; %bb.545:
	global_load_dword v2, v[0:1], off
	s_mov_b64 s[0:1], 0
	s_waitcnt vmcnt(0)
	v_cvt_f32_u32_e32 v2, v2
	v_cvt_f16_f32_e32 v2, v2
	s_branch .LBB264_548
.LBB264_546:
	s_mov_b64 s[0:1], -1
                                        ; implicit-def: $vgpr2
	s_branch .LBB264_551
.LBB264_547:
	s_mov_b64 s[0:1], -1
                                        ; implicit-def: $vgpr2
.LBB264_548:
	s_andn2_b64 vcc, exec, s[0:1]
	s_cbranch_vccnz .LBB264_550
; %bb.549:
	global_load_ushort v2, v[0:1], off
	s_waitcnt vmcnt(0)
	v_cvt_f16_u16_e32 v2, v2
.LBB264_550:
	s_mov_b64 s[0:1], 0
.LBB264_551:
	s_andn2_b64 vcc, exec, s[0:1]
	s_cbranch_vccnz .LBB264_559
; %bb.552:
	global_load_ubyte v3, v[0:1], off
	s_movk_i32 s0, 0x7f
	s_waitcnt vmcnt(0)
	v_cmp_lt_i16_e32 vcc, s0, v3
	s_mov_b64 s[0:1], 0
	s_and_saveexec_b64 s[28:29], vcc
	s_xor_b64 s[28:29], exec, s[28:29]
	s_cbranch_execz .LBB264_573
; %bb.553:
	s_movk_i32 s0, 0x80
	v_cmp_eq_u16_e32 vcc, s0, v3
	s_mov_b64 s[0:1], -1
	s_and_saveexec_b64 s[30:31], vcc
; %bb.554:
	s_xor_b64 s[0:1], exec, -1
; %bb.555:
	s_or_b64 exec, exec, s[30:31]
	s_and_b64 s[0:1], s[0:1], exec
	s_or_saveexec_b64 s[28:29], s[28:29]
	v_mov_b32_e32 v2, 0x7e00
	s_xor_b64 exec, exec, s[28:29]
	s_cbranch_execnz .LBB264_574
.LBB264_556:
	s_or_b64 exec, exec, s[28:29]
	s_and_saveexec_b64 s[28:29], s[0:1]
	s_cbranch_execz .LBB264_558
.LBB264_557:
	v_lshlrev_b32_e32 v2, 24, v3
	v_and_b32_e32 v3, 0xffff, v3
	v_and_b32_e32 v5, 7, v3
	v_ffbh_u32_e32 v7, v5
	v_min_u32_e32 v7, 32, v7
	v_subrev_u32_e32 v8, 28, v7
	v_bfe_u32 v6, v3, 3, 4
	v_lshlrev_b32_e32 v3, v8, v3
	v_sub_u32_e32 v7, 29, v7
	v_and_b32_e32 v3, 7, v3
	v_cmp_eq_u32_e32 vcc, 0, v6
	v_and_b32_e32 v2, 0x80000000, v2
	s_nop 0
	v_cndmask_b32_e32 v6, v6, v7, vcc
	v_cndmask_b32_e32 v3, v5, v3, vcc
	v_mov_b32_e32 v5, 0x3b800000
	v_lshlrev_b32_e32 v3, 20, v3
	v_lshl_add_u32 v5, v6, 23, v5
	v_or3_b32 v2, v2, v5, v3
	v_cvt_f16_f32_e32 v2, v2
.LBB264_558:
	s_or_b64 exec, exec, s[28:29]
.LBB264_559:
	s_mov_b64 s[0:1], -1
.LBB264_560:
	s_mov_b64 s[28:29], 0
.LBB264_561:
	s_and_b64 vcc, exec, s[28:29]
	s_cbranch_vccz .LBB264_596
; %bb.562:
	s_cmp_gt_i32 s34, 22
	s_cbranch_scc0 .LBB264_572
; %bb.563:
	s_cmp_lt_i32 s34, 24
	s_cbranch_scc1 .LBB264_575
; %bb.564:
	s_cmp_gt_i32 s34, 24
	s_cbranch_scc0 .LBB264_576
; %bb.565:
	global_load_ubyte v3, v[0:1], off
	s_movk_i32 s0, 0x7f
	s_waitcnt vmcnt(0)
	v_cmp_lt_i16_e32 vcc, s0, v3
	s_mov_b64 s[0:1], 0
	s_and_saveexec_b64 s[28:29], vcc
	s_xor_b64 s[28:29], exec, s[28:29]
	s_cbranch_execz .LBB264_588
; %bb.566:
	s_movk_i32 s0, 0x80
	v_cmp_eq_u16_e32 vcc, s0, v3
	s_mov_b64 s[0:1], -1
	s_and_saveexec_b64 s[30:31], vcc
; %bb.567:
	s_xor_b64 s[0:1], exec, -1
; %bb.568:
	s_or_b64 exec, exec, s[30:31]
	s_and_b64 s[0:1], s[0:1], exec
	s_or_saveexec_b64 s[28:29], s[28:29]
	v_mov_b32_e32 v2, 0x7e00
	s_xor_b64 exec, exec, s[28:29]
	s_cbranch_execnz .LBB264_589
.LBB264_569:
	s_or_b64 exec, exec, s[28:29]
	s_and_saveexec_b64 s[28:29], s[0:1]
	s_cbranch_execz .LBB264_571
.LBB264_570:
	v_lshlrev_b32_e32 v2, 24, v3
	v_and_b32_e32 v3, 0xffff, v3
	v_and_b32_e32 v5, 3, v3
	v_ffbh_u32_e32 v7, v5
	v_min_u32_e32 v7, 32, v7
	v_subrev_u32_e32 v8, 29, v7
	v_bfe_u32 v6, v3, 2, 5
	v_lshlrev_b32_e32 v3, v8, v3
	v_sub_u32_e32 v7, 30, v7
	v_and_b32_e32 v3, 3, v3
	v_cmp_eq_u32_e32 vcc, 0, v6
	v_and_b32_e32 v2, 0x80000000, v2
	s_nop 0
	v_cndmask_b32_e32 v6, v6, v7, vcc
	v_cndmask_b32_e32 v3, v5, v3, vcc
	v_mov_b32_e32 v5, 0x37800000
	v_lshlrev_b32_e32 v3, 21, v3
	v_lshl_add_u32 v5, v6, 23, v5
	v_or3_b32 v2, v2, v5, v3
	v_cvt_f16_f32_e32 v2, v2
.LBB264_571:
	s_or_b64 exec, exec, s[28:29]
	s_mov_b64 s[0:1], 0
	s_branch .LBB264_577
.LBB264_572:
	s_mov_b64 s[28:29], -1
                                        ; implicit-def: $vgpr2
	s_branch .LBB264_583
.LBB264_573:
	s_or_saveexec_b64 s[28:29], s[28:29]
	v_mov_b32_e32 v2, 0x7e00
	s_xor_b64 exec, exec, s[28:29]
	s_cbranch_execz .LBB264_556
.LBB264_574:
	v_cmp_ne_u16_e32 vcc, 0, v3
	s_andn2_b64 s[0:1], s[0:1], exec
	s_and_b64 s[30:31], vcc, exec
	s_or_b64 s[0:1], s[0:1], s[30:31]
	v_mov_b32_e32 v2, v3
	s_or_b64 exec, exec, s[28:29]
	s_and_saveexec_b64 s[28:29], s[0:1]
	s_cbranch_execnz .LBB264_557
	s_branch .LBB264_558
.LBB264_575:
	s_mov_b64 s[0:1], -1
                                        ; implicit-def: $vgpr2
	s_branch .LBB264_580
.LBB264_576:
	s_mov_b64 s[0:1], -1
                                        ; implicit-def: $vgpr2
.LBB264_577:
	s_and_b64 vcc, exec, s[0:1]
	s_cbranch_vccz .LBB264_579
; %bb.578:
	global_load_ubyte v2, v[0:1], off
	s_mov_b32 s0, 0x7f800000
	s_waitcnt vmcnt(0)
	v_lshlrev_b32_e32 v2, 24, v2
	v_and_b32_e32 v3, 0x7f000000, v2
	v_ffbh_u32_e32 v5, v3
	v_min_u32_e32 v5, 32, v5
	v_sub_u32_e64 v5, v5, 4 clamp
	v_lshlrev_b32_e32 v7, v5, v3
	v_lshlrev_b32_e32 v5, 23, v5
	v_lshrrev_b32_e32 v7, 4, v7
	v_add_u32_e32 v6, 0x1000000, v3
	v_sub_u32_e32 v5, v7, v5
	v_ashrrev_i32_e32 v6, 8, v6
	v_add_u32_e32 v5, 0x3c000000, v5
	v_and_or_b32 v5, v6, s0, v5
	v_cmp_ne_u32_e32 vcc, 0, v3
	s_brev_b32 s0, 1
	s_nop 0
	v_cndmask_b32_e32 v3, 0, v5, vcc
	v_and_or_b32 v2, v2, s0, v3
	v_cvt_f16_f32_e32 v2, v2
.LBB264_579:
	s_mov_b64 s[0:1], 0
.LBB264_580:
	s_andn2_b64 vcc, exec, s[0:1]
	s_cbranch_vccnz .LBB264_582
; %bb.581:
	global_load_ubyte v2, v[0:1], off
	s_movk_i32 s0, 0x7f00
	s_brev_b32 s1, 16
	s_waitcnt vmcnt(0)
	v_lshlrev_b16_e32 v3, 8, v2
	v_lshlrev_b32_e32 v2, 25, v2
	v_lshrrev_b32_e32 v5, 4, v2
	v_and_or_b32 v6, v3, s0, 0.5
	v_or_b32_e32 v5, 0x70000000, v5
	v_add_f32_e32 v6, -0.5, v6
	v_mul_f32_e32 v5, 0x7800000, v5
	v_cmp_gt_u32_e32 vcc, s1, v2
	v_bfe_i32 v3, v3, 0, 16
	s_brev_b32 s0, 1
	v_cndmask_b32_e32 v2, v5, v6, vcc
	v_and_or_b32 v2, v3, s0, v2
	v_cvt_f16_f32_e32 v2, v2
.LBB264_582:
	s_mov_b64 s[28:29], 0
	s_mov_b64 s[0:1], -1
.LBB264_583:
	s_andn2_b64 vcc, exec, s[28:29]
	s_cbranch_vccnz .LBB264_596
; %bb.584:
	s_cmp_gt_i32 s34, 14
	s_cbranch_scc0 .LBB264_587
; %bb.585:
	s_cmp_eq_u32 s34, 15
	s_cbranch_scc0 .LBB264_590
; %bb.586:
	global_load_ushort v2, v[0:1], off
	s_mov_b64 s[0:1], -1
	s_mov_b64 s[26:27], 0
	s_waitcnt vmcnt(0)
	v_lshlrev_b32_e32 v2, 16, v2
	v_cvt_f16_f32_e32 v2, v2
	s_branch .LBB264_591
.LBB264_587:
	s_mov_b64 s[28:29], -1
                                        ; implicit-def: $vgpr2
	s_branch .LBB264_592
.LBB264_588:
	s_or_saveexec_b64 s[28:29], s[28:29]
	v_mov_b32_e32 v2, 0x7e00
	s_xor_b64 exec, exec, s[28:29]
	s_cbranch_execz .LBB264_569
.LBB264_589:
	v_cmp_ne_u16_e32 vcc, 0, v3
	s_andn2_b64 s[0:1], s[0:1], exec
	s_and_b64 s[30:31], vcc, exec
	s_or_b64 s[0:1], s[0:1], s[30:31]
	v_mov_b32_e32 v2, v3
	s_or_b64 exec, exec, s[28:29]
	s_and_saveexec_b64 s[28:29], s[0:1]
	s_cbranch_execnz .LBB264_570
	s_branch .LBB264_571
.LBB264_590:
	s_mov_b64 s[26:27], -1
                                        ; implicit-def: $vgpr2
.LBB264_591:
	s_mov_b64 s[28:29], 0
.LBB264_592:
	s_and_b64 vcc, exec, s[28:29]
	s_cbranch_vccz .LBB264_596
; %bb.593:
	s_cmp_eq_u32 s34, 11
	s_cbranch_scc0 .LBB264_595
; %bb.594:
	global_load_ubyte v2, v[0:1], off
	v_mov_b32_e32 v3, 0x3c00
	s_mov_b64 s[0:1], -1
	s_mov_b64 s[26:27], 0
	s_waitcnt vmcnt(0)
	v_cmp_ne_u16_e32 vcc, 0, v2
	s_nop 1
	v_cndmask_b32_e32 v2, 0, v3, vcc
	s_branch .LBB264_596
.LBB264_595:
	s_mov_b64 s[26:27], -1
                                        ; implicit-def: $vgpr2
.LBB264_596:
	s_mov_b64 s[28:29], 0
.LBB264_597:
	s_and_b64 vcc, exec, s[28:29]
	s_cbranch_vccz .LBB264_646
; %bb.598:
	s_cmp_lt_i32 s34, 5
	s_cbranch_scc1 .LBB264_603
; %bb.599:
	s_cmp_lt_i32 s34, 8
	s_cbranch_scc1 .LBB264_604
	;; [unrolled: 3-line block ×3, first 2 shown]
; %bb.601:
	s_cmp_gt_i32 s34, 9
	s_cbranch_scc0 .LBB264_606
; %bb.602:
	global_load_dwordx2 v[2:3], v[0:1], off
	s_movk_i32 s0, 0x1ff
	s_movk_i32 s1, 0xffe
	v_mov_b32_e32 v5, 0x7c00
	v_mov_b32_e32 v6, 0x7e00
	s_movk_i32 s28, 0x40f
	s_mov_b32 s29, 0x8000
	s_waitcnt vmcnt(0)
	v_and_or_b32 v2, v3, s0, v2
	v_cmp_ne_u32_e32 vcc, 0, v2
	v_lshrrev_b32_e32 v7, 8, v3
	v_bfe_u32 v8, v3, 20, 11
	v_cndmask_b32_e64 v2, 0, 1, vcc
	v_sub_u32_e32 v9, 0x3f1, v8
	v_and_or_b32 v2, v7, s1, v2
	v_add_u32_e32 v8, 0xfffffc10, v8
	v_med3_i32 v7, v9, 0, 13
	v_or_b32_e32 v9, 0x1000, v2
	v_cmp_ne_u32_e32 vcc, 0, v2
	v_lshl_or_b32 v10, v8, 12, v2
	v_lshrrev_b32_e32 v3, 16, v3
	v_cndmask_b32_e32 v2, v5, v6, vcc
	v_lshrrev_b32_e32 v6, v7, v9
	v_lshlrev_b32_e32 v7, v7, v6
	v_cmp_ne_u32_e32 vcc, v7, v9
	s_mov_b64 s[0:1], 0
	s_nop 0
	v_cndmask_b32_e64 v7, 0, 1, vcc
	v_or_b32_e32 v6, v6, v7
	v_cmp_gt_i32_e32 vcc, 1, v8
	s_nop 1
	v_cndmask_b32_e32 v6, v10, v6, vcc
	v_and_b32_e32 v7, 7, v6
	v_cmp_lt_i32_e32 vcc, 5, v7
	v_lshrrev_b32_e32 v6, 2, v6
	s_nop 0
	v_cndmask_b32_e64 v9, 0, 1, vcc
	v_cmp_eq_u32_e32 vcc, 3, v7
	s_nop 1
	v_cndmask_b32_e64 v7, 0, 1, vcc
	v_or_b32_e32 v7, v7, v9
	v_add_u32_e32 v6, v6, v7
	v_cmp_gt_i32_e32 vcc, 31, v8
	s_nop 1
	v_cndmask_b32_e32 v5, v5, v6, vcc
	v_cmp_eq_u32_e32 vcc, s28, v8
	s_nop 1
	v_cndmask_b32_e32 v2, v5, v2, vcc
	v_and_or_b32 v2, v3, s29, v2
	s_branch .LBB264_607
.LBB264_603:
	s_mov_b64 s[0:1], -1
                                        ; implicit-def: $vgpr2
	s_branch .LBB264_625
.LBB264_604:
	s_mov_b64 s[0:1], -1
                                        ; implicit-def: $vgpr2
	s_branch .LBB264_613
.LBB264_605:
	s_mov_b64 s[0:1], -1
                                        ; implicit-def: $vgpr2
	s_branch .LBB264_610
.LBB264_606:
	s_mov_b64 s[0:1], -1
                                        ; implicit-def: $vgpr2
.LBB264_607:
	s_andn2_b64 vcc, exec, s[0:1]
	s_cbranch_vccnz .LBB264_609
; %bb.608:
	global_load_dword v2, v[0:1], off
	s_waitcnt vmcnt(0)
	v_cvt_f16_f32_e32 v2, v2
.LBB264_609:
	s_mov_b64 s[0:1], 0
.LBB264_610:
	s_andn2_b64 vcc, exec, s[0:1]
	s_cbranch_vccnz .LBB264_612
; %bb.611:
	global_load_dword v2, v[0:1], off
.LBB264_612:
	s_mov_b64 s[0:1], 0
.LBB264_613:
	s_andn2_b64 vcc, exec, s[0:1]
	s_cbranch_vccnz .LBB264_624
; %bb.614:
	s_cmp_lt_i32 s34, 6
	s_cbranch_scc1 .LBB264_617
; %bb.615:
	s_cmp_gt_i32 s34, 6
	s_cbranch_scc0 .LBB264_618
; %bb.616:
	global_load_dwordx2 v[2:3], v[0:1], off
	s_movk_i32 s0, 0x1ff
	s_movk_i32 s1, 0xffe
	v_mov_b32_e32 v5, 0x7c00
	v_mov_b32_e32 v6, 0x7e00
	s_movk_i32 s28, 0x40f
	s_mov_b32 s29, 0x8000
	s_waitcnt vmcnt(0)
	v_and_or_b32 v2, v3, s0, v2
	v_cmp_ne_u32_e32 vcc, 0, v2
	v_lshrrev_b32_e32 v7, 8, v3
	v_bfe_u32 v8, v3, 20, 11
	v_cndmask_b32_e64 v2, 0, 1, vcc
	v_sub_u32_e32 v9, 0x3f1, v8
	v_and_or_b32 v2, v7, s1, v2
	v_add_u32_e32 v8, 0xfffffc10, v8
	v_med3_i32 v7, v9, 0, 13
	v_or_b32_e32 v9, 0x1000, v2
	v_cmp_ne_u32_e32 vcc, 0, v2
	v_lshl_or_b32 v10, v8, 12, v2
	v_lshrrev_b32_e32 v3, 16, v3
	v_cndmask_b32_e32 v2, v5, v6, vcc
	v_lshrrev_b32_e32 v6, v7, v9
	v_lshlrev_b32_e32 v7, v7, v6
	v_cmp_ne_u32_e32 vcc, v7, v9
	s_mov_b64 s[0:1], 0
	s_nop 0
	v_cndmask_b32_e64 v7, 0, 1, vcc
	v_or_b32_e32 v6, v6, v7
	v_cmp_gt_i32_e32 vcc, 1, v8
	s_nop 1
	v_cndmask_b32_e32 v6, v10, v6, vcc
	v_and_b32_e32 v7, 7, v6
	v_cmp_lt_i32_e32 vcc, 5, v7
	v_lshrrev_b32_e32 v6, 2, v6
	s_nop 0
	v_cndmask_b32_e64 v9, 0, 1, vcc
	v_cmp_eq_u32_e32 vcc, 3, v7
	s_nop 1
	v_cndmask_b32_e64 v7, 0, 1, vcc
	v_or_b32_e32 v7, v7, v9
	v_add_u32_e32 v6, v6, v7
	v_cmp_gt_i32_e32 vcc, 31, v8
	s_nop 1
	v_cndmask_b32_e32 v5, v5, v6, vcc
	v_cmp_eq_u32_e32 vcc, s28, v8
	s_nop 1
	v_cndmask_b32_e32 v2, v5, v2, vcc
	v_and_or_b32 v2, v3, s29, v2
	s_branch .LBB264_619
.LBB264_617:
	s_mov_b64 s[0:1], -1
                                        ; implicit-def: $vgpr2
	s_branch .LBB264_622
.LBB264_618:
	s_mov_b64 s[0:1], -1
                                        ; implicit-def: $vgpr2
.LBB264_619:
	s_andn2_b64 vcc, exec, s[0:1]
	s_cbranch_vccnz .LBB264_621
; %bb.620:
	global_load_dword v2, v[0:1], off
	s_waitcnt vmcnt(0)
	v_cvt_f16_f32_e32 v2, v2
.LBB264_621:
	s_mov_b64 s[0:1], 0
.LBB264_622:
	s_andn2_b64 vcc, exec, s[0:1]
	s_cbranch_vccnz .LBB264_624
; %bb.623:
	global_load_ushort v2, v[0:1], off
.LBB264_624:
	s_mov_b64 s[0:1], 0
.LBB264_625:
	s_andn2_b64 vcc, exec, s[0:1]
	s_cbranch_vccnz .LBB264_645
; %bb.626:
	s_cmp_lt_i32 s34, 2
	s_cbranch_scc1 .LBB264_630
; %bb.627:
	s_cmp_lt_i32 s34, 3
	s_cbranch_scc1 .LBB264_631
; %bb.628:
	s_cmp_gt_i32 s34, 3
	s_cbranch_scc0 .LBB264_632
; %bb.629:
	global_load_dwordx2 v[2:3], v[0:1], off
	s_mov_b64 s[0:1], 0
	s_waitcnt vmcnt(0)
	v_xor_b32_e32 v6, v2, v3
	v_ffbh_i32_e32 v5, v3
	v_ashrrev_i32_e32 v6, 31, v6
	v_add_u32_e32 v5, -1, v5
	v_add_u32_e32 v6, 32, v6
	v_min_u32_e32 v5, v5, v6
	v_lshlrev_b64 v[2:3], v5, v[2:3]
	v_min_u32_e32 v2, 1, v2
	v_or_b32_e32 v2, v3, v2
	v_cvt_f32_i32_e32 v2, v2
	v_sub_u32_e32 v3, 32, v5
	v_ldexp_f32 v2, v2, v3
	v_cvt_f16_f32_e32 v2, v2
	s_branch .LBB264_633
.LBB264_630:
	s_mov_b64 s[0:1], -1
                                        ; implicit-def: $vgpr2
	s_branch .LBB264_639
.LBB264_631:
	s_mov_b64 s[0:1], -1
                                        ; implicit-def: $vgpr2
	s_branch .LBB264_636
.LBB264_632:
	s_mov_b64 s[0:1], -1
                                        ; implicit-def: $vgpr2
.LBB264_633:
	s_andn2_b64 vcc, exec, s[0:1]
	s_cbranch_vccnz .LBB264_635
; %bb.634:
	global_load_dword v2, v[0:1], off
	s_waitcnt vmcnt(0)
	v_cvt_f32_i32_e32 v2, v2
	v_cvt_f16_f32_e32 v2, v2
.LBB264_635:
	s_mov_b64 s[0:1], 0
.LBB264_636:
	s_andn2_b64 vcc, exec, s[0:1]
	s_cbranch_vccnz .LBB264_638
; %bb.637:
	global_load_ushort v2, v[0:1], off
	s_waitcnt vmcnt(0)
	v_cvt_f16_i16_e32 v2, v2
.LBB264_638:
	s_mov_b64 s[0:1], 0
.LBB264_639:
	s_andn2_b64 vcc, exec, s[0:1]
	s_cbranch_vccnz .LBB264_645
; %bb.640:
	s_cmp_gt_i32 s34, 0
	s_cbranch_scc0 .LBB264_642
; %bb.641:
	global_load_sbyte v2, v[0:1], off
	s_mov_b64 s[0:1], 0
	s_waitcnt vmcnt(0)
	v_cvt_f16_i16_e32 v2, v2
	s_branch .LBB264_643
.LBB264_642:
	s_mov_b64 s[0:1], -1
                                        ; implicit-def: $vgpr2
.LBB264_643:
	s_andn2_b64 vcc, exec, s[0:1]
	s_cbranch_vccnz .LBB264_645
; %bb.644:
	global_load_ubyte v0, v[0:1], off
	s_waitcnt vmcnt(0)
	v_cvt_f16_u16_e32 v2, v0
.LBB264_645:
	s_mov_b64 s[0:1], -1
.LBB264_646:
	s_andn2_b64 vcc, exec, s[0:1]
	s_cbranch_vccnz .LBB264_654
; %bb.647:
	s_waitcnt vmcnt(0)
	v_cvt_f32_f16_e32 v0, v2
	s_mov_b32 s0, 0xf800000
	v_mov_b32_e32 v2, 0x260
	s_and_b32 s36, s33, 0xff
	v_mul_f32_e32 v1, 0x4f800000, v0
	v_cmp_gt_f32_e32 vcc, s0, v0
	s_cmp_lt_i32 s36, 11
	s_nop 0
	v_cndmask_b32_e32 v0, v0, v1, vcc
	v_rsq_f32_e32 v1, v0
	s_nop 0
	v_mul_f32_e32 v3, v0, v1
	v_mul_f32_e32 v1, 0.5, v1
	v_fma_f32 v5, -v1, v3, 0.5
	v_fmac_f32_e32 v3, v3, v5
	v_fmac_f32_e32 v1, v1, v5
	v_fma_f32 v5, -v3, v3, v0
	v_fmac_f32_e32 v3, v5, v1
	v_mul_f32_e32 v1, 0x37800000, v3
	v_cndmask_b32_e32 v1, v3, v1, vcc
	v_cmp_class_f32_e32 vcc, v0, v2
	s_nop 1
	v_cndmask_b32_e32 v0, v1, v0, vcc
	v_cvt_f16_f32_e32 v2, v0
	v_mul_lo_u32 v0, v4, s8
	v_ashrrev_i32_e32 v1, 31, v0
	v_lshl_add_u64 v[0:1], s[4:5], 0, v[0:1]
	s_cbranch_scc1 .LBB264_655
; %bb.648:
	s_and_b32 s37, 0xffff, s36
	s_cmp_gt_i32 s37, 25
	s_cbranch_scc0 .LBB264_656
; %bb.649:
	s_cmp_gt_i32 s37, 28
	s_cbranch_scc0 .LBB264_657
; %bb.650:
	;; [unrolled: 3-line block ×4, first 2 shown]
	s_mov_b64 s[30:31], 0
	s_mov_b64 s[0:1], -1
	s_cmp_eq_u32 s37, 46
	s_mov_b64 s[28:29], 0
	s_cbranch_scc0 .LBB264_660
; %bb.653:
	v_cvt_f32_f16_e32 v3, v2
	s_movk_i32 s0, 0x7fff
	v_cmp_o_f16_e32 vcc, v2, v2
	v_mov_b32_e32 v5, 0x7fc0
	v_bfe_u32 v6, v3, 16, 1
	v_add3_u32 v3, v3, v6, s0
	v_cndmask_b32_sdwa v3, v5, v3, vcc dst_sel:DWORD dst_unused:UNUSED_PAD src0_sel:DWORD src1_sel:WORD_1
	global_store_dword v[0:1], v3, off
	s_mov_b64 s[28:29], -1
	s_mov_b64 s[0:1], 0
	s_branch .LBB264_660
.LBB264_654:
	s_mov_b64 s[30:31], 0
                                        ; implicit-def: $vgpr4
	s_mov_b64 s[0:1], s[20:21]
	s_branch .LBB264_771
.LBB264_655:
	s_mov_b64 s[30:31], -1
	s_mov_b64 s[28:29], 0
	s_mov_b64 s[0:1], s[20:21]
	s_branch .LBB264_729
.LBB264_656:
	s_mov_b64 s[30:31], -1
	s_mov_b64 s[28:29], 0
	s_mov_b64 s[0:1], s[20:21]
	s_branch .LBB264_687
.LBB264_657:
	s_mov_b64 s[30:31], -1
	s_mov_b64 s[28:29], 0
	s_mov_b64 s[0:1], s[20:21]
	s_branch .LBB264_670
.LBB264_658:
	s_mov_b64 s[30:31], -1
	s_mov_b64 s[28:29], 0
	s_mov_b64 s[0:1], s[20:21]
	s_branch .LBB264_666
.LBB264_659:
	s_mov_b64 s[30:31], -1
	s_mov_b64 s[28:29], 0
	s_mov_b64 s[0:1], s[20:21]
.LBB264_660:
	s_and_b64 vcc, exec, s[30:31]
	s_cbranch_vccz .LBB264_665
; %bb.661:
	s_cmp_eq_u32 s37, 44
	s_mov_b64 s[0:1], -1
	s_cbranch_scc0 .LBB264_665
; %bb.662:
	v_cvt_f32_f16_e32 v3, v2
	s_movk_i32 s0, 0xff
	v_mov_b32_e32 v6, 0xff
	v_bfe_u32 v5, v3, 23, 8
	v_cmp_ne_u32_e32 vcc, s0, v5
	s_and_saveexec_b64 s[28:29], vcc
; %bb.663:
	s_mov_b32 s0, 0x3fffff
	v_lshrrev_b32_e32 v6, 23, v3
	v_and_b32_e32 v7, 0x400000, v3
	v_and_or_b32 v3, v3, s0, v5
	v_cmp_ne_u32_e32 vcc, 0, v7
	v_cmp_ne_u32_e64 s[0:1], 0, v3
	s_and_b64 s[0:1], vcc, s[0:1]
	s_nop 0
	v_cndmask_b32_e64 v3, 0, 1, s[0:1]
	v_add_u32_e32 v6, v6, v3
; %bb.664:
	s_or_b64 exec, exec, s[28:29]
	s_mov_b64 s[28:29], -1
	s_mov_b64 s[0:1], 0
	global_store_byte v[0:1], v6, off
.LBB264_665:
	s_mov_b64 s[30:31], 0
.LBB264_666:
	s_and_b64 vcc, exec, s[30:31]
	s_cbranch_vccz .LBB264_669
; %bb.667:
	s_cmp_eq_u32 s37, 29
	s_mov_b64 s[0:1], -1
	s_cbranch_scc0 .LBB264_669
; %bb.668:
	v_cvt_f32_f16_e32 v3, v2
	v_mov_b32_e32 v7, 0
	s_mov_b64 s[28:29], -1
	s_mov_b64 s[0:1], 0
	v_cvt_u32_f32_e32 v6, v3
	s_mov_b64 s[30:31], 0
	global_store_dwordx2 v[0:1], v[6:7], off
	s_branch .LBB264_670
.LBB264_669:
	s_mov_b64 s[30:31], 0
.LBB264_670:
	s_and_b64 vcc, exec, s[30:31]
	s_cbranch_vccz .LBB264_686
; %bb.671:
	s_cmp_lt_i32 s37, 27
	s_mov_b64 s[28:29], -1
	s_cbranch_scc1 .LBB264_677
; %bb.672:
	s_cmp_gt_i32 s37, 27
	s_cbranch_scc0 .LBB264_674
; %bb.673:
	v_cvt_f32_f16_e32 v3, v2
	s_mov_b64 s[28:29], 0
	v_cvt_u32_f32_e32 v3, v3
	global_store_dword v[0:1], v3, off
.LBB264_674:
	s_andn2_b64 vcc, exec, s[28:29]
	s_cbranch_vccnz .LBB264_676
; %bb.675:
	v_cvt_u16_f16_e32 v3, v2
	global_store_short v[0:1], v3, off
.LBB264_676:
	s_mov_b64 s[28:29], 0
.LBB264_677:
	s_andn2_b64 vcc, exec, s[28:29]
	s_cbranch_vccnz .LBB264_685
; %bb.678:
	v_cvt_f32_f16_e32 v3, v2
	s_mov_b32 s28, 0x43800000
	v_mov_b32_e32 v6, 0x80
	v_and_b32_e32 v5, 0x7fffffff, v3
	v_cmp_gt_u32_e32 vcc, s28, v5
	s_and_saveexec_b64 s[28:29], vcc
	s_cbranch_execz .LBB264_684
; %bb.679:
	s_mov_b32 s30, 0x3bffffff
	v_cmp_lt_u32_e32 vcc, s30, v5
	s_mov_b64 s[30:31], 0
                                        ; implicit-def: $vgpr5
	s_and_saveexec_b64 s[34:35], vcc
	s_xor_b64 s[34:35], exec, s[34:35]
	s_cbranch_execz .LBB264_785
; %bb.680:
	v_bfe_u32 v5, v3, 20, 1
	s_mov_b32 s39, 0x487ffff
	v_add3_u32 v5, v3, v5, s39
	s_mov_b64 s[30:31], exec
	v_lshrrev_b32_e32 v5, 20, v5
	s_andn2_saveexec_b64 s[34:35], s[34:35]
	s_cbranch_execnz .LBB264_786
.LBB264_681:
	s_or_b64 exec, exec, s[34:35]
	v_mov_b32_e32 v6, 0
	s_and_saveexec_b64 s[34:35], s[30:31]
.LBB264_682:
	v_lshrrev_b32_e32 v3, 24, v3
	s_movk_i32 s30, 0x80
	v_and_or_b32 v6, v3, s30, v5
.LBB264_683:
	s_or_b64 exec, exec, s[34:35]
.LBB264_684:
	s_or_b64 exec, exec, s[28:29]
	global_store_byte v[0:1], v6, off
.LBB264_685:
	s_mov_b64 s[28:29], -1
.LBB264_686:
	s_mov_b64 s[30:31], 0
.LBB264_687:
	s_and_b64 vcc, exec, s[30:31]
	s_cbranch_vccz .LBB264_728
; %bb.688:
	s_cmp_gt_i32 s37, 22
	s_mov_b64 s[30:31], -1
	s_cbranch_scc0 .LBB264_720
; %bb.689:
	s_cmp_lt_i32 s37, 24
	s_mov_b64 s[28:29], -1
	s_cbranch_scc1 .LBB264_709
; %bb.690:
	s_cmp_gt_i32 s37, 24
	s_cbranch_scc0 .LBB264_698
; %bb.691:
	v_cvt_f32_f16_e32 v3, v2
	s_mov_b32 s28, 0x47800000
	v_mov_b32_e32 v6, 0x80
	v_and_b32_e32 v5, 0x7fffffff, v3
	v_cmp_gt_u32_e32 vcc, s28, v5
	s_and_saveexec_b64 s[28:29], vcc
	s_cbranch_execz .LBB264_697
; %bb.692:
	s_mov_b32 s30, 0x37ffffff
	v_cmp_lt_u32_e32 vcc, s30, v5
	s_mov_b64 s[30:31], 0
                                        ; implicit-def: $vgpr5
	s_and_saveexec_b64 s[34:35], vcc
	s_xor_b64 s[34:35], exec, s[34:35]
	s_cbranch_execz .LBB264_788
; %bb.693:
	v_bfe_u32 v5, v3, 21, 1
	s_mov_b32 s39, 0x88fffff
	v_add3_u32 v5, v3, v5, s39
	s_mov_b64 s[30:31], exec
	v_lshrrev_b32_e32 v5, 21, v5
	s_andn2_saveexec_b64 s[34:35], s[34:35]
	s_cbranch_execnz .LBB264_789
.LBB264_694:
	s_or_b64 exec, exec, s[34:35]
	v_mov_b32_e32 v6, 0
	s_and_saveexec_b64 s[34:35], s[30:31]
.LBB264_695:
	v_lshrrev_b32_e32 v3, 24, v3
	s_movk_i32 s30, 0x80
	v_and_or_b32 v6, v3, s30, v5
.LBB264_696:
	s_or_b64 exec, exec, s[34:35]
.LBB264_697:
	s_or_b64 exec, exec, s[28:29]
	s_mov_b64 s[28:29], 0
	global_store_byte v[0:1], v6, off
.LBB264_698:
	s_and_b64 vcc, exec, s[28:29]
	s_cbranch_vccz .LBB264_708
; %bb.699:
	v_cvt_f32_f16_e32 v3, v2
	s_mov_b32 s28, 0x43f00000
                                        ; implicit-def: $vgpr5
	v_and_b32_e32 v6, 0x7fffffff, v3
	v_cmp_gt_u32_e32 vcc, s28, v6
	s_and_saveexec_b64 s[28:29], vcc
	s_xor_b64 s[28:29], exec, s[28:29]
	s_cbranch_execz .LBB264_705
; %bb.700:
	s_mov_b32 s30, 0x3c7fffff
	v_cmp_lt_u32_e32 vcc, s30, v6
                                        ; implicit-def: $vgpr5
	s_and_saveexec_b64 s[30:31], vcc
	s_xor_b64 s[30:31], exec, s[30:31]
; %bb.701:
	v_bfe_u32 v5, v3, 20, 1
	s_mov_b32 s34, 0x407ffff
	v_add3_u32 v5, v3, v5, s34
	v_lshrrev_b32_e32 v6, 20, v5
	v_and_b32_e32 v5, 0xff00000, v5
	s_mov_b32 s34, 0x7f00000
	v_mov_b32_e32 v7, 0x7e
	v_cmp_ne_u32_e32 vcc, s34, v5
	s_nop 1
	v_cndmask_b32_e32 v5, v7, v6, vcc
; %bb.702:
	s_andn2_saveexec_b64 s[30:31], s[30:31]
; %bb.703:
	s_mov_b32 s34, 0x46800000
	v_add_f32_e64 v5, |v3|, s34
; %bb.704:
	s_or_b64 exec, exec, s[30:31]
                                        ; implicit-def: $vgpr6
.LBB264_705:
	s_andn2_saveexec_b64 s[28:29], s[28:29]
; %bb.706:
	s_mov_b32 s30, 0x7f800000
	v_mov_b32_e32 v5, 0x7e
	v_mov_b32_e32 v7, 0x7f
	v_cmp_lt_u32_e32 vcc, s30, v6
	s_nop 1
	v_cndmask_b32_e32 v5, v5, v7, vcc
; %bb.707:
	s_or_b64 exec, exec, s[28:29]
	v_lshrrev_b32_e32 v3, 24, v3
	s_movk_i32 s28, 0x80
	v_and_or_b32 v3, v3, s28, v5
	global_store_byte v[0:1], v3, off
.LBB264_708:
	s_mov_b64 s[28:29], 0
.LBB264_709:
	s_andn2_b64 vcc, exec, s[28:29]
	s_cbranch_vccnz .LBB264_719
; %bb.710:
	v_cvt_f32_f16_e32 v3, v2
	s_mov_b32 s28, 0x47800000
                                        ; implicit-def: $vgpr5
	v_and_b32_e32 v6, 0x7fffffff, v3
	v_cmp_gt_u32_e32 vcc, s28, v6
	s_and_saveexec_b64 s[28:29], vcc
	s_xor_b64 s[28:29], exec, s[28:29]
	s_cbranch_execz .LBB264_716
; %bb.711:
	s_mov_b32 s30, 0x387fffff
	v_cmp_lt_u32_e32 vcc, s30, v6
                                        ; implicit-def: $vgpr5
	s_and_saveexec_b64 s[30:31], vcc
	s_xor_b64 s[30:31], exec, s[30:31]
; %bb.712:
	v_bfe_u32 v5, v3, 21, 1
	s_mov_b32 s34, 0x80fffff
	v_add3_u32 v5, v3, v5, s34
	v_lshrrev_b32_e32 v5, 21, v5
; %bb.713:
	s_andn2_saveexec_b64 s[30:31], s[30:31]
; %bb.714:
	s_mov_b32 s34, 0x43000000
	v_add_f32_e64 v5, |v3|, s34
; %bb.715:
	s_or_b64 exec, exec, s[30:31]
                                        ; implicit-def: $vgpr6
.LBB264_716:
	s_andn2_saveexec_b64 s[28:29], s[28:29]
; %bb.717:
	s_mov_b32 s30, 0x7f800000
	v_mov_b32_e32 v5, 0x7c
	v_mov_b32_e32 v7, 0x7f
	v_cmp_lt_u32_e32 vcc, s30, v6
	s_nop 1
	v_cndmask_b32_e32 v5, v5, v7, vcc
; %bb.718:
	s_or_b64 exec, exec, s[28:29]
	v_lshrrev_b32_e32 v3, 24, v3
	s_movk_i32 s28, 0x80
	v_and_or_b32 v3, v3, s28, v5
	global_store_byte v[0:1], v3, off
.LBB264_719:
	s_mov_b64 s[30:31], 0
	s_mov_b64 s[28:29], -1
.LBB264_720:
	s_andn2_b64 vcc, exec, s[30:31]
	s_cbranch_vccnz .LBB264_728
; %bb.721:
	s_cmp_gt_i32 s37, 14
	s_mov_b64 s[30:31], -1
	s_cbranch_scc0 .LBB264_725
; %bb.722:
	s_cmp_eq_u32 s37, 15
	s_mov_b64 s[0:1], -1
	s_cbranch_scc0 .LBB264_724
; %bb.723:
	v_cvt_f32_f16_e32 v3, v2
	s_movk_i32 s0, 0x7fff
	v_cmp_o_f16_e32 vcc, v2, v2
	v_mov_b32_e32 v5, 0x7fc0
	v_bfe_u32 v6, v3, 16, 1
	v_add3_u32 v3, v3, v6, s0
	v_cndmask_b32_sdwa v3, v5, v3, vcc dst_sel:DWORD dst_unused:UNUSED_PAD src0_sel:DWORD src1_sel:WORD_1
	global_store_short v[0:1], v3, off
	s_mov_b64 s[28:29], -1
	s_mov_b64 s[0:1], 0
.LBB264_724:
	s_mov_b64 s[30:31], 0
.LBB264_725:
	s_and_b64 vcc, exec, s[30:31]
	s_cbranch_vccz .LBB264_728
; %bb.726:
	s_cmp_eq_u32 s37, 11
	s_mov_b64 s[0:1], -1
	s_cbranch_scc0 .LBB264_728
; %bb.727:
	v_cmp_neq_f16_e32 vcc, 0, v2
	s_mov_b64 s[28:29], -1
	s_mov_b64 s[0:1], 0
	v_cndmask_b32_e64 v3, 0, 1, vcc
	global_store_byte v[0:1], v3, off
.LBB264_728:
	s_mov_b64 s[30:31], 0
.LBB264_729:
	s_and_b64 vcc, exec, s[30:31]
	s_cbranch_vccz .LBB264_768
; %bb.730:
	s_and_b32 s30, 0xffff, s36
	s_cmp_lt_i32 s30, 5
	s_mov_b64 s[28:29], -1
	s_cbranch_scc1 .LBB264_751
; %bb.731:
	s_cmp_lt_i32 s30, 8
	s_cbranch_scc1 .LBB264_741
; %bb.732:
	s_cmp_lt_i32 s30, 9
	s_cbranch_scc1 .LBB264_738
; %bb.733:
	s_cmp_gt_i32 s30, 9
	s_cbranch_scc0 .LBB264_735
; %bb.734:
	v_cvt_f32_f16_e32 v3, v2
	v_mov_b32_e32 v8, 0
	v_mov_b32_e32 v9, v8
	s_mov_b64 s[28:29], 0
	v_cvt_f64_f32_e32 v[6:7], v3
	global_store_dwordx4 v[0:1], v[6:9], off
.LBB264_735:
	s_andn2_b64 vcc, exec, s[28:29]
	s_cbranch_vccnz .LBB264_737
; %bb.736:
	v_cvt_f32_f16_e32 v6, v2
	v_mov_b32_e32 v7, 0
	global_store_dwordx2 v[0:1], v[6:7], off
.LBB264_737:
	s_mov_b64 s[28:29], 0
.LBB264_738:
	s_andn2_b64 vcc, exec, s[28:29]
	s_cbranch_vccnz .LBB264_740
; %bb.739:
	global_store_dword v[0:1], v2, off
.LBB264_740:
	s_mov_b64 s[28:29], 0
.LBB264_741:
	s_andn2_b64 vcc, exec, s[28:29]
	s_cbranch_vccnz .LBB264_750
; %bb.742:
	s_cmp_lt_i32 s30, 6
	s_mov_b64 s[28:29], -1
	s_cbranch_scc1 .LBB264_748
; %bb.743:
	s_cmp_gt_i32 s30, 6
	s_cbranch_scc0 .LBB264_745
; %bb.744:
	v_cvt_f32_f16_e32 v3, v2
	s_mov_b64 s[28:29], 0
	v_cvt_f64_f32_e32 v[6:7], v3
	global_store_dwordx2 v[0:1], v[6:7], off
.LBB264_745:
	s_andn2_b64 vcc, exec, s[28:29]
	s_cbranch_vccnz .LBB264_747
; %bb.746:
	v_cvt_f32_f16_e32 v3, v2
	global_store_dword v[0:1], v3, off
.LBB264_747:
	s_mov_b64 s[28:29], 0
.LBB264_748:
	s_andn2_b64 vcc, exec, s[28:29]
	s_cbranch_vccnz .LBB264_750
; %bb.749:
	global_store_short v[0:1], v2, off
.LBB264_750:
	s_mov_b64 s[28:29], 0
.LBB264_751:
	s_andn2_b64 vcc, exec, s[28:29]
	s_cbranch_vccnz .LBB264_767
; %bb.752:
	s_cmp_lt_i32 s30, 2
	s_mov_b64 s[28:29], -1
	s_cbranch_scc1 .LBB264_762
; %bb.753:
	s_cmp_lt_i32 s30, 3
	s_cbranch_scc1 .LBB264_759
; %bb.754:
	s_cmp_gt_i32 s30, 3
	s_cbranch_scc0 .LBB264_756
; %bb.755:
	v_cvt_f32_f16_e32 v3, v2
	s_mov_b64 s[28:29], 0
	v_cvt_i32_f32_e32 v6, v3
	v_ashrrev_i32_e32 v7, 31, v6
	global_store_dwordx2 v[0:1], v[6:7], off
.LBB264_756:
	s_andn2_b64 vcc, exec, s[28:29]
	s_cbranch_vccnz .LBB264_758
; %bb.757:
	v_cvt_f32_f16_e32 v3, v2
	v_cvt_i32_f32_e32 v3, v3
	global_store_dword v[0:1], v3, off
.LBB264_758:
	s_mov_b64 s[28:29], 0
.LBB264_759:
	s_andn2_b64 vcc, exec, s[28:29]
	s_cbranch_vccnz .LBB264_761
; %bb.760:
	v_cvt_i16_f16_e32 v3, v2
	global_store_short v[0:1], v3, off
.LBB264_761:
	s_mov_b64 s[28:29], 0
.LBB264_762:
	s_andn2_b64 vcc, exec, s[28:29]
	s_cbranch_vccnz .LBB264_767
; %bb.763:
	s_cmp_gt_i32 s30, 0
	s_mov_b64 s[28:29], -1
	s_cbranch_scc0 .LBB264_765
; %bb.764:
	v_cvt_i16_f16_e32 v3, v2
	s_mov_b64 s[28:29], 0
	global_store_byte v[0:1], v3, off
.LBB264_765:
	s_andn2_b64 vcc, exec, s[28:29]
	s_cbranch_vccnz .LBB264_767
; %bb.766:
	v_cvt_f32_f16_e32 v2, v2
	v_cvt_i32_f32_e32 v2, v2
	global_store_byte v[0:1], v2, off
.LBB264_767:
	s_mov_b64 s[28:29], -1
.LBB264_768:
	s_andn2_b64 vcc, exec, s[28:29]
	s_cbranch_vccnz .LBB264_770
; %bb.769:
	v_add_u32_e32 v4, 0x80, v4
	s_mov_b64 s[30:31], -1
	s_branch .LBB264_771
.LBB264_770:
	s_mov_b64 s[30:31], 0
                                        ; implicit-def: $vgpr4
.LBB264_771:
	s_andn2_b64 s[28:29], s[20:21], exec
	s_and_b64 s[0:1], s[0:1], exec
	s_or_b64 s[28:29], s[28:29], s[0:1]
	s_andn2_b64 s[0:1], s[18:19], exec
	s_and_b64 s[26:27], s[26:27], exec
	s_or_b64 s[0:1], s[0:1], s[26:27]
	s_orn2_b64 s[34:35], s[30:31], exec
.LBB264_772:
	s_or_b64 exec, exec, s[24:25]
	s_mov_b64 s[30:31], 0
	s_mov_b64 s[26:27], 0
	;; [unrolled: 1-line block ×3, first 2 shown]
                                        ; implicit-def: $vgpr0_vgpr1
                                        ; implicit-def: $vgpr3
	s_and_saveexec_b64 s[24:25], s[34:35]
	s_cbranch_execz .LBB264_857
; %bb.773:
	v_cmp_gt_i32_e32 vcc, s38, v4
	s_mov_b64 s[34:35], 0
	s_mov_b64 s[38:39], s[0:1]
	;; [unrolled: 1-line block ×3, first 2 shown]
                                        ; implicit-def: $vgpr0_vgpr1
                                        ; implicit-def: $vgpr3
	s_and_saveexec_b64 s[26:27], vcc
	s_cbranch_execz .LBB264_856
; %bb.774:
	v_mul_lo_u32 v0, v4, s9
	v_ashrrev_i32_e32 v1, 31, v0
	s_and_b32 s43, 0xffff, s42
	s_cmp_lt_i32 s43, 11
	v_lshl_add_u64 v[0:1], s[6:7], 0, v[0:1]
	s_cbranch_scc1 .LBB264_781
; %bb.775:
	s_cmp_gt_i32 s43, 25
	s_cbranch_scc0 .LBB264_782
; %bb.776:
	s_cmp_gt_i32 s43, 28
	s_cbranch_scc0 .LBB264_783
	;; [unrolled: 3-line block ×4, first 2 shown]
; %bb.779:
	s_cmp_eq_u32 s43, 46
	s_mov_b64 s[38:39], 0
	s_cbranch_scc0 .LBB264_790
; %bb.780:
	global_load_dword v2, v[0:1], off
	s_mov_b64 s[36:37], -1
	s_waitcnt vmcnt(0)
	v_lshlrev_b32_e32 v2, 16, v2
	v_cvt_f16_f32_e32 v3, v2
	s_branch .LBB264_792
.LBB264_781:
	s_mov_b64 s[38:39], -1
                                        ; implicit-def: $vgpr3
	s_mov_b64 s[30:31], s[0:1]
	s_branch .LBB264_855
.LBB264_782:
	s_mov_b64 s[38:39], -1
	s_mov_b64 s[30:31], s[0:1]
                                        ; implicit-def: $vgpr3
	s_branch .LBB264_821
.LBB264_783:
	s_mov_b64 s[38:39], -1
	s_mov_b64 s[30:31], s[0:1]
                                        ; implicit-def: $vgpr3
	s_branch .LBB264_802
.LBB264_784:
	s_mov_b64 s[38:39], -1
	s_mov_b64 s[30:31], s[0:1]
                                        ; implicit-def: $vgpr3
	s_branch .LBB264_797
.LBB264_785:
	s_andn2_saveexec_b64 s[34:35], s[34:35]
	s_cbranch_execz .LBB264_681
.LBB264_786:
	s_mov_b32 s39, 0x46000000
	v_add_f32_e64 v5, |v3|, s39
	v_and_b32_e32 v5, 0xff, v5
	v_cmp_ne_u32_e32 vcc, 0, v5
	s_andn2_b64 s[30:31], s[30:31], exec
	s_and_b64 s[40:41], vcc, exec
	s_or_b64 s[30:31], s[30:31], s[40:41]
	s_or_b64 exec, exec, s[34:35]
	v_mov_b32_e32 v6, 0
	s_and_saveexec_b64 s[34:35], s[30:31]
	s_cbranch_execnz .LBB264_682
	s_branch .LBB264_683
.LBB264_787:
	s_mov_b64 s[38:39], -1
	s_mov_b64 s[30:31], s[0:1]
	s_branch .LBB264_791
.LBB264_788:
	s_andn2_saveexec_b64 s[34:35], s[34:35]
	s_cbranch_execz .LBB264_694
.LBB264_789:
	s_mov_b32 s39, 0x42800000
	v_add_f32_e64 v5, |v3|, s39
	v_and_b32_e32 v5, 0xff, v5
	v_cmp_ne_u32_e32 vcc, 0, v5
	s_andn2_b64 s[30:31], s[30:31], exec
	s_and_b64 s[40:41], vcc, exec
	s_or_b64 s[30:31], s[30:31], s[40:41]
	s_or_b64 exec, exec, s[34:35]
	v_mov_b32_e32 v6, 0
	s_and_saveexec_b64 s[34:35], s[30:31]
	s_cbranch_execnz .LBB264_695
	s_branch .LBB264_696
.LBB264_790:
	s_mov_b64 s[30:31], -1
.LBB264_791:
                                        ; implicit-def: $vgpr3
.LBB264_792:
	s_and_b64 vcc, exec, s[38:39]
	s_cbranch_vccz .LBB264_796
; %bb.793:
	s_cmp_eq_u32 s43, 44
	s_cbranch_scc0 .LBB264_795
; %bb.794:
	global_load_ubyte v2, v[0:1], off
	s_movk_i32 s36, 0xff
	v_mov_b32_e32 v5, 0x7e00
	s_mov_b64 s[30:31], 0
	s_waitcnt vmcnt(0)
	v_lshlrev_b32_e32 v3, 23, v2
	v_cvt_f16_f32_e32 v3, v3
	v_cmp_ne_u32_e32 vcc, s36, v2
	s_mov_b64 s[36:37], -1
	s_nop 0
	v_cndmask_b32_e32 v3, v5, v3, vcc
	v_cmp_ne_u32_e32 vcc, 0, v2
	s_nop 1
	v_cndmask_b32_e32 v3, 0, v3, vcc
	s_branch .LBB264_796
.LBB264_795:
	s_mov_b64 s[30:31], -1
                                        ; implicit-def: $vgpr3
.LBB264_796:
	s_mov_b64 s[38:39], 0
.LBB264_797:
	s_and_b64 vcc, exec, s[38:39]
	s_cbranch_vccz .LBB264_801
; %bb.798:
	s_cmp_eq_u32 s43, 29
	s_cbranch_scc0 .LBB264_800
; %bb.799:
	global_load_dwordx2 v[2:3], v[0:1], off
	s_mov_b64 s[30:31], 0
	s_mov_b64 s[36:37], -1
	s_mov_b64 s[38:39], 0
	s_waitcnt vmcnt(0)
	v_ffbh_u32_e32 v5, v3
	v_min_u32_e32 v5, 32, v5
	v_lshlrev_b64 v[2:3], v5, v[2:3]
	v_min_u32_e32 v2, 1, v2
	v_or_b32_e32 v2, v3, v2
	v_cvt_f32_u32_e32 v2, v2
	v_sub_u32_e32 v3, 32, v5
	v_ldexp_f32 v2, v2, v3
	v_cvt_f16_f32_e32 v3, v2
	s_branch .LBB264_802
.LBB264_800:
	s_mov_b64 s[30:31], -1
                                        ; implicit-def: $vgpr3
.LBB264_801:
	s_mov_b64 s[38:39], 0
.LBB264_802:
	s_and_b64 vcc, exec, s[38:39]
	s_cbranch_vccz .LBB264_820
; %bb.803:
	s_cmp_lt_i32 s43, 27
	s_cbranch_scc1 .LBB264_806
; %bb.804:
	s_cmp_gt_i32 s43, 27
	s_cbranch_scc0 .LBB264_807
; %bb.805:
	global_load_dword v2, v[0:1], off
	s_mov_b64 s[36:37], 0
	s_waitcnt vmcnt(0)
	v_cvt_f32_u32_e32 v2, v2
	v_cvt_f16_f32_e32 v3, v2
	s_branch .LBB264_808
.LBB264_806:
	s_mov_b64 s[36:37], -1
                                        ; implicit-def: $vgpr3
	s_branch .LBB264_811
.LBB264_807:
	s_mov_b64 s[36:37], -1
                                        ; implicit-def: $vgpr3
.LBB264_808:
	s_andn2_b64 vcc, exec, s[36:37]
	s_cbranch_vccnz .LBB264_810
; %bb.809:
	global_load_ushort v2, v[0:1], off
	s_waitcnt vmcnt(0)
	v_cvt_f16_u16_e32 v3, v2
.LBB264_810:
	s_mov_b64 s[36:37], 0
.LBB264_811:
	s_andn2_b64 vcc, exec, s[36:37]
	s_cbranch_vccnz .LBB264_819
; %bb.812:
	global_load_ubyte v2, v[0:1], off
	s_movk_i32 s36, 0x7f
	s_waitcnt vmcnt(0)
	v_cmp_lt_i16_e32 vcc, s36, v2
	s_mov_b64 s[36:37], 0
	s_and_saveexec_b64 s[38:39], vcc
	s_xor_b64 s[38:39], exec, s[38:39]
	s_cbranch_execz .LBB264_833
; %bb.813:
	s_movk_i32 s36, 0x80
	v_cmp_eq_u16_e32 vcc, s36, v2
	s_mov_b64 s[36:37], -1
	s_and_saveexec_b64 s[40:41], vcc
; %bb.814:
	s_xor_b64 s[36:37], exec, -1
; %bb.815:
	s_or_b64 exec, exec, s[40:41]
	s_and_b64 s[36:37], s[36:37], exec
	s_or_saveexec_b64 s[38:39], s[38:39]
	v_mov_b32_e32 v3, 0x7e00
	s_xor_b64 exec, exec, s[38:39]
	s_cbranch_execnz .LBB264_834
.LBB264_816:
	s_or_b64 exec, exec, s[38:39]
	s_and_saveexec_b64 s[38:39], s[36:37]
	s_cbranch_execz .LBB264_818
.LBB264_817:
	v_lshlrev_b32_e32 v3, 24, v2
	v_and_b32_e32 v2, 0xffff, v2
	v_and_b32_e32 v5, 7, v2
	v_ffbh_u32_e32 v7, v5
	v_min_u32_e32 v7, 32, v7
	v_subrev_u32_e32 v8, 28, v7
	v_bfe_u32 v6, v2, 3, 4
	v_lshlrev_b32_e32 v2, v8, v2
	v_sub_u32_e32 v7, 29, v7
	v_and_b32_e32 v2, 7, v2
	v_cmp_eq_u32_e32 vcc, 0, v6
	v_and_b32_e32 v3, 0x80000000, v3
	s_nop 0
	v_cndmask_b32_e32 v6, v6, v7, vcc
	v_cndmask_b32_e32 v2, v5, v2, vcc
	v_mov_b32_e32 v5, 0x3b800000
	v_lshlrev_b32_e32 v2, 20, v2
	v_lshl_add_u32 v5, v6, 23, v5
	v_or3_b32 v2, v3, v5, v2
	v_cvt_f16_f32_e32 v3, v2
.LBB264_818:
	s_or_b64 exec, exec, s[38:39]
.LBB264_819:
	s_mov_b64 s[36:37], -1
.LBB264_820:
	s_mov_b64 s[38:39], 0
.LBB264_821:
	s_and_b64 vcc, exec, s[38:39]
	s_cbranch_vccz .LBB264_854
; %bb.822:
	s_cmp_gt_i32 s43, 22
	s_cbranch_scc0 .LBB264_832
; %bb.823:
	s_cmp_lt_i32 s43, 24
	s_cbranch_scc1 .LBB264_835
; %bb.824:
	s_cmp_gt_i32 s43, 24
	s_cbranch_scc0 .LBB264_836
; %bb.825:
	global_load_ubyte v2, v[0:1], off
	s_movk_i32 s34, 0x7f
	s_waitcnt vmcnt(0)
	v_cmp_lt_i16_e32 vcc, s34, v2
	s_mov_b64 s[34:35], 0
	s_and_saveexec_b64 s[36:37], vcc
	s_xor_b64 s[36:37], exec, s[36:37]
	s_cbranch_execz .LBB264_848
; %bb.826:
	s_movk_i32 s34, 0x80
	v_cmp_eq_u16_e32 vcc, s34, v2
	s_mov_b64 s[34:35], -1
	s_and_saveexec_b64 s[38:39], vcc
; %bb.827:
	s_xor_b64 s[34:35], exec, -1
; %bb.828:
	s_or_b64 exec, exec, s[38:39]
	s_and_b64 s[34:35], s[34:35], exec
	s_or_saveexec_b64 s[36:37], s[36:37]
	v_mov_b32_e32 v3, 0x7e00
	s_xor_b64 exec, exec, s[36:37]
	s_cbranch_execnz .LBB264_849
.LBB264_829:
	s_or_b64 exec, exec, s[36:37]
	s_and_saveexec_b64 s[36:37], s[34:35]
	s_cbranch_execz .LBB264_831
.LBB264_830:
	v_lshlrev_b32_e32 v3, 24, v2
	v_and_b32_e32 v2, 0xffff, v2
	v_and_b32_e32 v5, 3, v2
	v_ffbh_u32_e32 v7, v5
	v_min_u32_e32 v7, 32, v7
	v_subrev_u32_e32 v8, 29, v7
	v_bfe_u32 v6, v2, 2, 5
	v_lshlrev_b32_e32 v2, v8, v2
	v_sub_u32_e32 v7, 30, v7
	v_and_b32_e32 v2, 3, v2
	v_cmp_eq_u32_e32 vcc, 0, v6
	v_and_b32_e32 v3, 0x80000000, v3
	s_nop 0
	v_cndmask_b32_e32 v6, v6, v7, vcc
	v_cndmask_b32_e32 v2, v5, v2, vcc
	v_mov_b32_e32 v5, 0x37800000
	v_lshlrev_b32_e32 v2, 21, v2
	v_lshl_add_u32 v5, v6, 23, v5
	v_or3_b32 v2, v3, v5, v2
	v_cvt_f16_f32_e32 v3, v2
.LBB264_831:
	s_or_b64 exec, exec, s[36:37]
	s_mov_b64 s[34:35], 0
	s_branch .LBB264_837
.LBB264_832:
	s_mov_b64 s[34:35], -1
                                        ; implicit-def: $vgpr3
	s_branch .LBB264_843
.LBB264_833:
	s_or_saveexec_b64 s[38:39], s[38:39]
	v_mov_b32_e32 v3, 0x7e00
	s_xor_b64 exec, exec, s[38:39]
	s_cbranch_execz .LBB264_816
.LBB264_834:
	v_cmp_ne_u16_e32 vcc, 0, v2
	s_andn2_b64 s[36:37], s[36:37], exec
	s_and_b64 s[40:41], vcc, exec
	s_or_b64 s[36:37], s[36:37], s[40:41]
	v_mov_b32_e32 v3, v2
	s_or_b64 exec, exec, s[38:39]
	s_and_saveexec_b64 s[38:39], s[36:37]
	s_cbranch_execnz .LBB264_817
	s_branch .LBB264_818
.LBB264_835:
	s_mov_b64 s[34:35], -1
                                        ; implicit-def: $vgpr3
	s_branch .LBB264_840
.LBB264_836:
	s_mov_b64 s[34:35], -1
                                        ; implicit-def: $vgpr3
.LBB264_837:
	s_and_b64 vcc, exec, s[34:35]
	s_cbranch_vccz .LBB264_839
; %bb.838:
	global_load_ubyte v2, v[0:1], off
	s_mov_b32 s34, 0x7f800000
	s_waitcnt vmcnt(0)
	v_lshlrev_b32_e32 v2, 24, v2
	v_and_b32_e32 v3, 0x7f000000, v2
	v_ffbh_u32_e32 v5, v3
	v_min_u32_e32 v5, 32, v5
	v_sub_u32_e64 v5, v5, 4 clamp
	v_lshlrev_b32_e32 v7, v5, v3
	v_lshlrev_b32_e32 v5, 23, v5
	v_lshrrev_b32_e32 v7, 4, v7
	v_add_u32_e32 v6, 0x1000000, v3
	v_sub_u32_e32 v5, v7, v5
	v_ashrrev_i32_e32 v6, 8, v6
	v_add_u32_e32 v5, 0x3c000000, v5
	v_and_or_b32 v5, v6, s34, v5
	v_cmp_ne_u32_e32 vcc, 0, v3
	s_brev_b32 s34, 1
	s_nop 0
	v_cndmask_b32_e32 v3, 0, v5, vcc
	v_and_or_b32 v2, v2, s34, v3
	v_cvt_f16_f32_e32 v3, v2
.LBB264_839:
	s_mov_b64 s[34:35], 0
.LBB264_840:
	s_andn2_b64 vcc, exec, s[34:35]
	s_cbranch_vccnz .LBB264_842
; %bb.841:
	global_load_ubyte v2, v[0:1], off
	s_movk_i32 s34, 0x7f00
	s_brev_b32 s35, 16
	s_waitcnt vmcnt(0)
	v_lshlrev_b16_e32 v3, 8, v2
	v_lshlrev_b32_e32 v2, 25, v2
	v_lshrrev_b32_e32 v5, 4, v2
	v_and_or_b32 v6, v3, s34, 0.5
	v_or_b32_e32 v5, 0x70000000, v5
	v_add_f32_e32 v6, -0.5, v6
	v_mul_f32_e32 v5, 0x7800000, v5
	v_cmp_gt_u32_e32 vcc, s35, v2
	v_bfe_i32 v3, v3, 0, 16
	s_brev_b32 s34, 1
	v_cndmask_b32_e32 v2, v5, v6, vcc
	v_and_or_b32 v2, v3, s34, v2
	v_cvt_f16_f32_e32 v3, v2
.LBB264_842:
	s_mov_b64 s[34:35], 0
	s_mov_b64 s[36:37], -1
.LBB264_843:
	s_andn2_b64 vcc, exec, s[34:35]
	s_mov_b64 s[34:35], 0
	s_cbranch_vccnz .LBB264_854
; %bb.844:
	s_cmp_gt_i32 s43, 14
	s_cbranch_scc0 .LBB264_847
; %bb.845:
	s_cmp_eq_u32 s43, 15
	s_cbranch_scc0 .LBB264_850
; %bb.846:
	global_load_ushort v2, v[0:1], off
	s_mov_b64 s[30:31], 0
	s_mov_b64 s[36:37], -1
	s_waitcnt vmcnt(0)
	v_lshlrev_b32_e32 v2, 16, v2
	v_cvt_f16_f32_e32 v3, v2
	s_branch .LBB264_851
.LBB264_847:
	s_mov_b64 s[38:39], -1
                                        ; implicit-def: $vgpr3
	s_branch .LBB264_852
.LBB264_848:
	s_or_saveexec_b64 s[36:37], s[36:37]
	v_mov_b32_e32 v3, 0x7e00
	s_xor_b64 exec, exec, s[36:37]
	s_cbranch_execz .LBB264_829
.LBB264_849:
	v_cmp_ne_u16_e32 vcc, 0, v2
	s_andn2_b64 s[34:35], s[34:35], exec
	s_and_b64 s[38:39], vcc, exec
	s_or_b64 s[34:35], s[34:35], s[38:39]
	v_mov_b32_e32 v3, v2
	s_or_b64 exec, exec, s[36:37]
	s_and_saveexec_b64 s[36:37], s[34:35]
	s_cbranch_execnz .LBB264_830
	s_branch .LBB264_831
.LBB264_850:
	s_mov_b64 s[30:31], -1
                                        ; implicit-def: $vgpr3
.LBB264_851:
	s_mov_b64 s[38:39], 0
.LBB264_852:
	s_and_b64 vcc, exec, s[38:39]
	s_cbranch_vccz .LBB264_854
; %bb.853:
	s_cmp_lg_u32 s43, 11
	s_cselect_b64 s[38:39], -1, 0
	s_andn2_b64 s[30:31], s[30:31], exec
	s_and_b64 s[38:39], s[38:39], exec
	s_mov_b64 s[34:35], -1
	s_or_b64 s[30:31], s[30:31], s[38:39]
.LBB264_854:
	s_mov_b64 s[38:39], 0
.LBB264_855:
	s_and_b64 s[40:41], s[38:39], exec
	s_andn2_b64 s[38:39], s[0:1], exec
	s_and_b64 s[30:31], s[30:31], exec
	s_and_b64 s[36:37], s[36:37], exec
	;; [unrolled: 1-line block ×3, first 2 shown]
	s_or_b64 s[38:39], s[38:39], s[30:31]
.LBB264_856:
	s_or_b64 exec, exec, s[26:27]
	s_and_b64 s[30:31], s[34:35], exec
	s_andn2_b64 s[0:1], s[0:1], exec
	s_and_b64 s[34:35], s[38:39], exec
	s_and_b64 s[36:37], s[36:37], exec
	;; [unrolled: 1-line block ×3, first 2 shown]
	s_or_b64 s[0:1], s[0:1], s[34:35]
.LBB264_857:
	s_or_b64 exec, exec, s[24:25]
	s_andn2_b64 s[20:21], s[20:21], exec
	s_and_b64 s[24:25], s[28:29], exec
	s_andn2_b64 s[18:19], s[18:19], exec
	s_and_b64 s[0:1], s[0:1], exec
	s_or_b64 s[20:21], s[20:21], s[24:25]
	s_and_b64 s[28:29], s[36:37], exec
	s_and_b64 s[26:27], s[26:27], exec
	;; [unrolled: 1-line block ×3, first 2 shown]
	s_or_b64 s[18:19], s[18:19], s[0:1]
.LBB264_858:
	s_or_b64 exec, exec, s[22:23]
	s_andn2_b64 s[0:1], s[12:13], exec
	s_and_b64 s[12:13], s[20:21], exec
	s_andn2_b64 s[14:15], s[14:15], exec
	s_and_b64 s[18:19], s[18:19], exec
	s_or_b64 s[12:13], s[0:1], s[12:13]
	s_and_b64 s[0:1], s[28:29], exec
	s_and_b64 s[22:23], s[26:27], exec
	s_and_b64 s[20:21], s[24:25], exec
	s_or_b64 s[14:15], s[14:15], s[18:19]
	s_or_b64 exec, exec, s[16:17]
	s_mov_b64 s[16:17], 0
	s_and_saveexec_b64 s[18:19], s[14:15]
	s_cbranch_execz .LBB264_262
.LBB264_859:
	s_mov_b64 s[16:17], exec
	s_andn2_b64 s[20:21], s[20:21], exec
	s_trap 2
	s_or_b64 exec, exec, s[18:19]
	s_and_saveexec_b64 s[14:15], s[20:21]
	s_xor_b64 s[14:15], exec, s[14:15]
	s_cbranch_execnz .LBB264_263
.LBB264_860:
	s_or_b64 exec, exec, s[14:15]
	s_and_saveexec_b64 s[14:15], s[22:23]
	s_cbranch_execz .LBB264_906
.LBB264_861:
	s_sext_i32_i16 s18, s42
	s_cmp_lt_i32 s18, 5
	s_cbranch_scc1 .LBB264_866
; %bb.862:
	s_cmp_lt_i32 s18, 8
	s_cbranch_scc1 .LBB264_867
; %bb.863:
	s_cmp_lt_i32 s18, 9
	s_cbranch_scc1 .LBB264_868
; %bb.864:
	s_cmp_gt_i32 s18, 9
	s_cbranch_scc0 .LBB264_869
; %bb.865:
	global_load_dwordx2 v[2:3], v[0:1], off
	s_movk_i32 s18, 0x1ff
	s_movk_i32 s19, 0xffe
	v_mov_b32_e32 v5, 0x7c00
	v_mov_b32_e32 v6, 0x7e00
	s_movk_i32 s20, 0x40f
	s_mov_b32 s21, 0x8000
	s_waitcnt vmcnt(0)
	v_and_or_b32 v2, v3, s18, v2
	v_cmp_ne_u32_e32 vcc, 0, v2
	v_lshrrev_b32_e32 v7, 8, v3
	v_bfe_u32 v8, v3, 20, 11
	v_cndmask_b32_e64 v2, 0, 1, vcc
	v_sub_u32_e32 v9, 0x3f1, v8
	v_and_or_b32 v2, v7, s19, v2
	v_add_u32_e32 v8, 0xfffffc10, v8
	v_med3_i32 v7, v9, 0, 13
	v_or_b32_e32 v9, 0x1000, v2
	v_cmp_ne_u32_e32 vcc, 0, v2
	v_lshl_or_b32 v10, v8, 12, v2
	v_lshrrev_b32_e32 v3, 16, v3
	v_cndmask_b32_e32 v2, v5, v6, vcc
	v_lshrrev_b32_e32 v6, v7, v9
	v_lshlrev_b32_e32 v7, v7, v6
	v_cmp_ne_u32_e32 vcc, v7, v9
	s_mov_b64 s[18:19], 0
	s_nop 0
	v_cndmask_b32_e64 v7, 0, 1, vcc
	v_or_b32_e32 v6, v6, v7
	v_cmp_gt_i32_e32 vcc, 1, v8
	s_nop 1
	v_cndmask_b32_e32 v6, v10, v6, vcc
	v_and_b32_e32 v7, 7, v6
	v_cmp_lt_i32_e32 vcc, 5, v7
	v_lshrrev_b32_e32 v6, 2, v6
	s_nop 0
	v_cndmask_b32_e64 v9, 0, 1, vcc
	v_cmp_eq_u32_e32 vcc, 3, v7
	s_nop 1
	v_cndmask_b32_e64 v7, 0, 1, vcc
	v_or_b32_e32 v7, v7, v9
	v_add_u32_e32 v6, v6, v7
	v_cmp_gt_i32_e32 vcc, 31, v8
	s_nop 1
	v_cndmask_b32_e32 v5, v5, v6, vcc
	v_cmp_eq_u32_e32 vcc, s20, v8
	s_nop 1
	v_cndmask_b32_e32 v2, v5, v2, vcc
	v_and_or_b32 v3, v3, s21, v2
	s_branch .LBB264_870
.LBB264_866:
                                        ; implicit-def: $vgpr3
	s_branch .LBB264_887
.LBB264_867:
                                        ; implicit-def: $vgpr3
	s_branch .LBB264_876
.LBB264_868:
	s_mov_b64 s[18:19], -1
                                        ; implicit-def: $vgpr3
	s_branch .LBB264_873
.LBB264_869:
	s_mov_b64 s[18:19], -1
                                        ; implicit-def: $vgpr3
.LBB264_870:
	s_andn2_b64 vcc, exec, s[18:19]
	s_cbranch_vccnz .LBB264_872
; %bb.871:
	global_load_dword v2, v[0:1], off
	s_waitcnt vmcnt(0)
	v_cvt_f16_f32_e32 v3, v2
.LBB264_872:
	s_mov_b64 s[18:19], 0
.LBB264_873:
	s_andn2_b64 vcc, exec, s[18:19]
	s_cbranch_vccnz .LBB264_875
; %bb.874:
	global_load_dword v3, v[0:1], off
.LBB264_875:
	s_cbranch_execnz .LBB264_886
.LBB264_876:
	s_sext_i32_i16 s18, s42
	s_cmp_lt_i32 s18, 6
	s_cbranch_scc1 .LBB264_879
; %bb.877:
	s_cmp_gt_i32 s18, 6
	s_cbranch_scc0 .LBB264_880
; %bb.878:
	global_load_dwordx2 v[2:3], v[0:1], off
	s_movk_i32 s18, 0x1ff
	s_movk_i32 s19, 0xffe
	v_mov_b32_e32 v5, 0x7c00
	v_mov_b32_e32 v6, 0x7e00
	s_movk_i32 s20, 0x40f
	s_mov_b32 s21, 0x8000
	s_waitcnt vmcnt(0)
	v_and_or_b32 v2, v3, s18, v2
	v_cmp_ne_u32_e32 vcc, 0, v2
	v_lshrrev_b32_e32 v7, 8, v3
	v_bfe_u32 v8, v3, 20, 11
	v_cndmask_b32_e64 v2, 0, 1, vcc
	v_sub_u32_e32 v9, 0x3f1, v8
	v_and_or_b32 v2, v7, s19, v2
	v_add_u32_e32 v8, 0xfffffc10, v8
	v_med3_i32 v7, v9, 0, 13
	v_or_b32_e32 v9, 0x1000, v2
	v_cmp_ne_u32_e32 vcc, 0, v2
	v_lshl_or_b32 v10, v8, 12, v2
	v_lshrrev_b32_e32 v3, 16, v3
	v_cndmask_b32_e32 v2, v5, v6, vcc
	v_lshrrev_b32_e32 v6, v7, v9
	v_lshlrev_b32_e32 v7, v7, v6
	v_cmp_ne_u32_e32 vcc, v7, v9
	s_mov_b64 s[18:19], 0
	s_nop 0
	v_cndmask_b32_e64 v7, 0, 1, vcc
	v_or_b32_e32 v6, v6, v7
	v_cmp_gt_i32_e32 vcc, 1, v8
	s_nop 1
	v_cndmask_b32_e32 v6, v10, v6, vcc
	v_and_b32_e32 v7, 7, v6
	v_cmp_lt_i32_e32 vcc, 5, v7
	v_lshrrev_b32_e32 v6, 2, v6
	s_nop 0
	v_cndmask_b32_e64 v9, 0, 1, vcc
	v_cmp_eq_u32_e32 vcc, 3, v7
	s_nop 1
	v_cndmask_b32_e64 v7, 0, 1, vcc
	v_or_b32_e32 v7, v7, v9
	v_add_u32_e32 v6, v6, v7
	v_cmp_gt_i32_e32 vcc, 31, v8
	s_nop 1
	v_cndmask_b32_e32 v5, v5, v6, vcc
	v_cmp_eq_u32_e32 vcc, s20, v8
	s_nop 1
	v_cndmask_b32_e32 v2, v5, v2, vcc
	v_and_or_b32 v3, v3, s21, v2
	s_branch .LBB264_881
.LBB264_879:
	s_mov_b64 s[18:19], -1
                                        ; implicit-def: $vgpr3
	s_branch .LBB264_884
.LBB264_880:
	s_mov_b64 s[18:19], -1
                                        ; implicit-def: $vgpr3
.LBB264_881:
	s_andn2_b64 vcc, exec, s[18:19]
	s_cbranch_vccnz .LBB264_883
; %bb.882:
	global_load_dword v2, v[0:1], off
	s_waitcnt vmcnt(0)
	v_cvt_f16_f32_e32 v3, v2
.LBB264_883:
	s_mov_b64 s[18:19], 0
.LBB264_884:
	s_andn2_b64 vcc, exec, s[18:19]
	s_cbranch_vccnz .LBB264_886
; %bb.885:
	global_load_ushort v3, v[0:1], off
.LBB264_886:
	s_cbranch_execnz .LBB264_905
.LBB264_887:
	s_sext_i32_i16 s18, s42
	s_cmp_lt_i32 s18, 2
	s_cbranch_scc1 .LBB264_891
; %bb.888:
	s_cmp_lt_i32 s18, 3
	s_cbranch_scc1 .LBB264_892
; %bb.889:
	s_cmp_gt_i32 s18, 3
	s_cbranch_scc0 .LBB264_893
; %bb.890:
	global_load_dwordx2 v[2:3], v[0:1], off
	s_mov_b64 s[18:19], 0
	s_waitcnt vmcnt(0)
	v_xor_b32_e32 v6, v2, v3
	v_ffbh_i32_e32 v5, v3
	v_ashrrev_i32_e32 v6, 31, v6
	v_add_u32_e32 v5, -1, v5
	v_add_u32_e32 v6, 32, v6
	v_min_u32_e32 v5, v5, v6
	v_lshlrev_b64 v[2:3], v5, v[2:3]
	v_min_u32_e32 v2, 1, v2
	v_or_b32_e32 v2, v3, v2
	v_cvt_f32_i32_e32 v2, v2
	v_sub_u32_e32 v3, 32, v5
	v_ldexp_f32 v2, v2, v3
	v_cvt_f16_f32_e32 v3, v2
	s_branch .LBB264_894
.LBB264_891:
                                        ; implicit-def: $vgpr3
	s_branch .LBB264_900
.LBB264_892:
	s_mov_b64 s[18:19], -1
                                        ; implicit-def: $vgpr3
	s_branch .LBB264_897
.LBB264_893:
	s_mov_b64 s[18:19], -1
                                        ; implicit-def: $vgpr3
.LBB264_894:
	s_andn2_b64 vcc, exec, s[18:19]
	s_cbranch_vccnz .LBB264_896
; %bb.895:
	global_load_dword v2, v[0:1], off
	s_waitcnt vmcnt(0)
	v_cvt_f32_i32_e32 v2, v2
	v_cvt_f16_f32_e32 v3, v2
.LBB264_896:
	s_mov_b64 s[18:19], 0
.LBB264_897:
	s_andn2_b64 vcc, exec, s[18:19]
	s_cbranch_vccnz .LBB264_899
; %bb.898:
	global_load_ushort v2, v[0:1], off
	s_waitcnt vmcnt(0)
	v_cvt_f16_i16_e32 v3, v2
.LBB264_899:
	s_cbranch_execnz .LBB264_905
.LBB264_900:
	s_sext_i32_i16 s18, s42
	s_cmp_gt_i32 s18, 0
	s_cbranch_scc0 .LBB264_902
; %bb.901:
	global_load_sbyte v2, v[0:1], off
	s_mov_b64 s[18:19], 0
	s_waitcnt vmcnt(0)
	v_cvt_f16_i16_e32 v3, v2
	s_branch .LBB264_903
.LBB264_902:
	s_mov_b64 s[18:19], -1
                                        ; implicit-def: $vgpr3
.LBB264_903:
	s_andn2_b64 vcc, exec, s[18:19]
	s_cbranch_vccnz .LBB264_905
; %bb.904:
	global_load_ubyte v0, v[0:1], off
	s_waitcnt vmcnt(0)
	v_cvt_f16_u16_e32 v3, v0
.LBB264_905:
	s_or_b64 s[0:1], s[0:1], exec
.LBB264_906:
	s_or_b64 exec, exec, s[14:15]
	s_mov_b64 s[20:21], 0
	s_mov_b64 s[18:19], 0
                                        ; implicit-def: $sgpr26
                                        ; implicit-def: $vgpr0_vgpr1
                                        ; implicit-def: $vgpr2
	s_and_saveexec_b64 s[14:15], s[0:1]
	s_cbranch_execz .LBB264_924
; %bb.907:
	s_waitcnt vmcnt(0)
	v_cvt_f32_f16_e32 v0, v3
	s_mov_b32 s0, 0xf800000
	v_mov_b32_e32 v2, 0x260
	s_and_b32 s26, s33, 0xff
	v_mul_f32_e32 v1, 0x4f800000, v0
	v_cmp_gt_f32_e32 vcc, s0, v0
	s_cmp_lt_i32 s26, 11
	s_nop 0
	v_cndmask_b32_e32 v0, v0, v1, vcc
	v_rsq_f32_e32 v1, v0
	s_nop 0
	v_mul_f32_e32 v3, v0, v1
	v_mul_f32_e32 v1, 0.5, v1
	v_fma_f32 v5, -v1, v3, 0.5
	v_fmac_f32_e32 v3, v3, v5
	v_fmac_f32_e32 v1, v1, v5
	v_fma_f32 v5, -v3, v3, v0
	v_fmac_f32_e32 v3, v5, v1
	v_mul_f32_e32 v1, 0x37800000, v3
	v_cndmask_b32_e32 v1, v3, v1, vcc
	v_cmp_class_f32_e32 vcc, v0, v2
	s_nop 1
	v_cndmask_b32_e32 v0, v1, v0, vcc
	v_cvt_f16_f32_e32 v2, v0
	v_mul_lo_u32 v0, v4, s8
	v_ashrrev_i32_e32 v1, 31, v0
	v_lshl_add_u64 v[0:1], s[4:5], 0, v[0:1]
	s_cbranch_scc1 .LBB264_927
; %bb.908:
	s_and_b32 s27, 0xffff, s26
	s_mov_b64 s[20:21], -1
	s_cmp_gt_i32 s27, 25
	s_mov_b64 s[0:1], s[12:13]
	s_cbranch_scc0 .LBB264_945
; %bb.909:
	s_mov_b64 s[18:19], -1
	s_cmp_gt_i32 s27, 28
	s_mov_b64 s[0:1], s[12:13]
	s_cbranch_scc0 .LBB264_929
; %bb.910:
	s_cmp_gt_i32 s27, 43
	s_mov_b64 s[0:1], s[12:13]
	s_cbranch_scc0 .LBB264_921
; %bb.911:
	;; [unrolled: 4-line block ×3, first 2 shown]
	s_cmp_eq_u32 s27, 46
	s_mov_b64 s[0:1], -1
	s_cbranch_scc0 .LBB264_914
; %bb.913:
	v_cvt_f32_f16_e32 v3, v2
	s_movk_i32 s0, 0x7fff
	v_cmp_o_f16_e32 vcc, v2, v2
	v_mov_b32_e32 v4, 0x7fc0
	v_bfe_u32 v5, v3, 16, 1
	v_add3_u32 v3, v3, v5, s0
	v_cndmask_b32_sdwa v3, v4, v3, vcc dst_sel:DWORD dst_unused:UNUSED_PAD src0_sel:DWORD src1_sel:WORD_1
	global_store_dword v[0:1], v3, off
	s_mov_b64 s[0:1], 0
.LBB264_914:
	s_mov_b64 s[18:19], 0
.LBB264_915:
	s_and_b64 vcc, exec, s[18:19]
	s_cbranch_vccz .LBB264_920
; %bb.916:
	s_cmp_eq_u32 s27, 44
	s_mov_b64 s[0:1], -1
	s_cbranch_scc0 .LBB264_920
; %bb.917:
	v_cvt_f32_f16_e32 v3, v2
	s_movk_i32 s0, 0xff
	v_mov_b32_e32 v5, 0xff
	v_bfe_u32 v4, v3, 23, 8
	v_cmp_ne_u32_e32 vcc, s0, v4
	s_and_saveexec_b64 s[18:19], vcc
; %bb.918:
	s_mov_b32 s0, 0x3fffff
	v_lshrrev_b32_e32 v5, 23, v3
	v_and_b32_e32 v6, 0x400000, v3
	v_and_or_b32 v3, v3, s0, v4
	v_cmp_ne_u32_e32 vcc, 0, v6
	v_cmp_ne_u32_e64 s[0:1], 0, v3
	s_and_b64 s[0:1], vcc, s[0:1]
	s_nop 0
	v_cndmask_b32_e64 v3, 0, 1, s[0:1]
	v_add_u32_e32 v5, v5, v3
; %bb.919:
	s_or_b64 exec, exec, s[18:19]
	s_mov_b64 s[0:1], 0
	global_store_byte v[0:1], v5, off
.LBB264_920:
	s_mov_b64 s[18:19], 0
.LBB264_921:
	s_and_b64 vcc, exec, s[18:19]
	s_cbranch_vccz .LBB264_928
; %bb.922:
	s_cmp_eq_u32 s27, 29
	s_mov_b64 s[0:1], -1
	s_cbranch_scc0 .LBB264_928
; %bb.923:
	v_cvt_f32_f16_e32 v3, v2
	v_mov_b32_e32 v5, 0
	s_mov_b64 s[0:1], 0
	s_mov_b64 s[18:19], 0
	v_cvt_u32_f32_e32 v4, v3
	global_store_dwordx2 v[0:1], v[4:5], off
	s_branch .LBB264_929
.LBB264_924:
	s_or_b64 exec, exec, s[14:15]
	s_and_saveexec_b64 s[0:1], s[12:13]
	s_cbranch_execnz .LBB264_987
.LBB264_925:
	s_or_b64 exec, exec, s[0:1]
	s_and_saveexec_b64 s[0:1], s[20:21]
	s_xor_b64 s[0:1], exec, s[0:1]
	s_cbranch_execz .LBB264_988
.LBB264_926:
	s_waitcnt vmcnt(0)
	v_cmp_neq_f16_e32 vcc, 0, v2
	s_nop 1
	v_cndmask_b32_e64 v3, 0, 1, vcc
	global_store_byte v[0:1], v3, off
	s_or_b64 exec, exec, s[0:1]
	s_and_saveexec_b64 s[0:1], s[18:19]
	s_xor_b64 s[0:1], exec, s[0:1]
	s_cbranch_execz .LBB264_1026
	s_branch .LBB264_989
.LBB264_927:
	s_mov_b64 s[18:19], -1
	s_mov_b64 s[0:1], s[12:13]
	s_branch .LBB264_986
.LBB264_928:
	s_mov_b64 s[18:19], 0
.LBB264_929:
	s_and_b64 vcc, exec, s[18:19]
	s_cbranch_vccz .LBB264_944
; %bb.930:
	s_cmp_lt_i32 s27, 27
	s_mov_b64 s[18:19], -1
	s_cbranch_scc1 .LBB264_936
; %bb.931:
	s_cmp_gt_i32 s27, 27
	s_cbranch_scc0 .LBB264_933
; %bb.932:
	v_cvt_f32_f16_e32 v3, v2
	s_mov_b64 s[18:19], 0
	v_cvt_u32_f32_e32 v3, v3
	global_store_dword v[0:1], v3, off
.LBB264_933:
	s_andn2_b64 vcc, exec, s[18:19]
	s_cbranch_vccnz .LBB264_935
; %bb.934:
	v_cvt_u16_f16_e32 v3, v2
	global_store_short v[0:1], v3, off
.LBB264_935:
	s_mov_b64 s[18:19], 0
.LBB264_936:
	s_andn2_b64 vcc, exec, s[18:19]
	s_cbranch_vccnz .LBB264_944
; %bb.937:
	v_cvt_f32_f16_e32 v3, v2
	s_mov_b32 s18, 0x43800000
	v_mov_b32_e32 v5, 0x80
	v_and_b32_e32 v4, 0x7fffffff, v3
	v_cmp_gt_u32_e32 vcc, s18, v4
	s_and_saveexec_b64 s[18:19], vcc
	s_cbranch_execz .LBB264_943
; %bb.938:
	s_mov_b32 s20, 0x3bffffff
	v_cmp_lt_u32_e32 vcc, s20, v4
	s_mov_b64 s[20:21], 0
                                        ; implicit-def: $vgpr4
	s_and_saveexec_b64 s[22:23], vcc
	s_xor_b64 s[22:23], exec, s[22:23]
	s_cbranch_execz .LBB264_1041
; %bb.939:
	v_bfe_u32 v4, v3, 20, 1
	s_mov_b32 s24, 0x487ffff
	v_add3_u32 v4, v3, v4, s24
	s_mov_b64 s[20:21], exec
	v_lshrrev_b32_e32 v4, 20, v4
	s_andn2_saveexec_b64 s[22:23], s[22:23]
	s_cbranch_execnz .LBB264_1042
.LBB264_940:
	s_or_b64 exec, exec, s[22:23]
	v_mov_b32_e32 v5, 0
	s_and_saveexec_b64 s[22:23], s[20:21]
.LBB264_941:
	v_lshrrev_b32_e32 v3, 24, v3
	s_movk_i32 s20, 0x80
	v_and_or_b32 v5, v3, s20, v4
.LBB264_942:
	s_or_b64 exec, exec, s[22:23]
.LBB264_943:
	s_or_b64 exec, exec, s[18:19]
	global_store_byte v[0:1], v5, off
.LBB264_944:
	s_mov_b64 s[20:21], 0
.LBB264_945:
	s_mov_b64 s[18:19], 0
	s_and_b64 vcc, exec, s[20:21]
	s_cbranch_vccz .LBB264_985
; %bb.946:
	s_cmp_gt_i32 s27, 22
	s_mov_b64 s[20:21], -1
	s_cbranch_scc0 .LBB264_978
; %bb.947:
	s_cmp_lt_i32 s27, 24
	s_cbranch_scc1 .LBB264_967
; %bb.948:
	s_cmp_gt_i32 s27, 24
	s_cbranch_scc0 .LBB264_956
; %bb.949:
	v_cvt_f32_f16_e32 v3, v2
	s_mov_b32 s20, 0x47800000
	v_mov_b32_e32 v5, 0x80
	v_and_b32_e32 v4, 0x7fffffff, v3
	v_cmp_gt_u32_e32 vcc, s20, v4
	s_and_saveexec_b64 s[20:21], vcc
	s_cbranch_execz .LBB264_955
; %bb.950:
	s_mov_b32 s22, 0x37ffffff
	v_cmp_lt_u32_e32 vcc, s22, v4
	s_mov_b64 s[22:23], 0
                                        ; implicit-def: $vgpr4
	s_and_saveexec_b64 s[24:25], vcc
	s_xor_b64 s[24:25], exec, s[24:25]
	s_cbranch_execz .LBB264_1166
; %bb.951:
	v_bfe_u32 v4, v3, 21, 1
	s_mov_b32 s28, 0x88fffff
	v_add3_u32 v4, v3, v4, s28
	s_mov_b64 s[22:23], exec
	v_lshrrev_b32_e32 v4, 21, v4
	s_andn2_saveexec_b64 s[24:25], s[24:25]
	s_cbranch_execnz .LBB264_1167
.LBB264_952:
	s_or_b64 exec, exec, s[24:25]
	v_mov_b32_e32 v5, 0
	s_and_saveexec_b64 s[24:25], s[22:23]
.LBB264_953:
	v_lshrrev_b32_e32 v3, 24, v3
	s_movk_i32 s22, 0x80
	v_and_or_b32 v5, v3, s22, v4
.LBB264_954:
	s_or_b64 exec, exec, s[24:25]
.LBB264_955:
	s_or_b64 exec, exec, s[20:21]
	s_mov_b64 s[20:21], 0
	global_store_byte v[0:1], v5, off
.LBB264_956:
	s_and_b64 vcc, exec, s[20:21]
	s_cbranch_vccz .LBB264_966
; %bb.957:
	v_cvt_f32_f16_e32 v3, v2
	s_mov_b32 s20, 0x43f00000
                                        ; implicit-def: $vgpr4
	v_and_b32_e32 v5, 0x7fffffff, v3
	v_cmp_gt_u32_e32 vcc, s20, v5
	s_and_saveexec_b64 s[20:21], vcc
	s_xor_b64 s[20:21], exec, s[20:21]
	s_cbranch_execz .LBB264_963
; %bb.958:
	s_mov_b32 s22, 0x3c7fffff
	v_cmp_lt_u32_e32 vcc, s22, v5
                                        ; implicit-def: $vgpr4
	s_and_saveexec_b64 s[22:23], vcc
	s_xor_b64 s[22:23], exec, s[22:23]
; %bb.959:
	v_bfe_u32 v4, v3, 20, 1
	s_mov_b32 s24, 0x407ffff
	v_add3_u32 v4, v3, v4, s24
	v_lshrrev_b32_e32 v5, 20, v4
	v_and_b32_e32 v4, 0xff00000, v4
	s_mov_b32 s24, 0x7f00000
	v_mov_b32_e32 v6, 0x7e
	v_cmp_ne_u32_e32 vcc, s24, v4
	s_nop 1
	v_cndmask_b32_e32 v4, v6, v5, vcc
; %bb.960:
	s_andn2_saveexec_b64 s[22:23], s[22:23]
; %bb.961:
	s_mov_b32 s24, 0x46800000
	v_add_f32_e64 v4, |v3|, s24
; %bb.962:
	s_or_b64 exec, exec, s[22:23]
                                        ; implicit-def: $vgpr5
.LBB264_963:
	s_andn2_saveexec_b64 s[20:21], s[20:21]
; %bb.964:
	s_mov_b32 s22, 0x7f800000
	v_mov_b32_e32 v4, 0x7e
	v_mov_b32_e32 v6, 0x7f
	v_cmp_lt_u32_e32 vcc, s22, v5
	s_nop 1
	v_cndmask_b32_e32 v4, v4, v6, vcc
; %bb.965:
	s_or_b64 exec, exec, s[20:21]
	v_lshrrev_b32_e32 v3, 24, v3
	s_movk_i32 s20, 0x80
	v_and_or_b32 v3, v3, s20, v4
	global_store_byte v[0:1], v3, off
.LBB264_966:
	s_mov_b64 s[20:21], 0
.LBB264_967:
	s_andn2_b64 vcc, exec, s[20:21]
	s_cbranch_vccnz .LBB264_977
; %bb.968:
	v_cvt_f32_f16_e32 v3, v2
	s_mov_b32 s20, 0x47800000
                                        ; implicit-def: $vgpr4
	v_and_b32_e32 v5, 0x7fffffff, v3
	v_cmp_gt_u32_e32 vcc, s20, v5
	s_and_saveexec_b64 s[20:21], vcc
	s_xor_b64 s[20:21], exec, s[20:21]
	s_cbranch_execz .LBB264_974
; %bb.969:
	s_mov_b32 s22, 0x387fffff
	v_cmp_lt_u32_e32 vcc, s22, v5
                                        ; implicit-def: $vgpr4
	s_and_saveexec_b64 s[22:23], vcc
	s_xor_b64 s[22:23], exec, s[22:23]
; %bb.970:
	v_bfe_u32 v4, v3, 21, 1
	s_mov_b32 s24, 0x80fffff
	v_add3_u32 v4, v3, v4, s24
	v_lshrrev_b32_e32 v4, 21, v4
; %bb.971:
	s_andn2_saveexec_b64 s[22:23], s[22:23]
; %bb.972:
	s_mov_b32 s24, 0x43000000
	v_add_f32_e64 v4, |v3|, s24
; %bb.973:
	s_or_b64 exec, exec, s[22:23]
                                        ; implicit-def: $vgpr5
.LBB264_974:
	s_andn2_saveexec_b64 s[20:21], s[20:21]
; %bb.975:
	s_mov_b32 s22, 0x7f800000
	v_mov_b32_e32 v4, 0x7c
	v_mov_b32_e32 v6, 0x7f
	v_cmp_lt_u32_e32 vcc, s22, v5
	s_nop 1
	v_cndmask_b32_e32 v4, v4, v6, vcc
; %bb.976:
	s_or_b64 exec, exec, s[20:21]
	v_lshrrev_b32_e32 v3, 24, v3
	s_movk_i32 s20, 0x80
	v_and_or_b32 v3, v3, s20, v4
	global_store_byte v[0:1], v3, off
.LBB264_977:
	s_mov_b64 s[20:21], 0
.LBB264_978:
	s_andn2_b64 vcc, exec, s[20:21]
	s_mov_b64 s[20:21], 0
	s_cbranch_vccnz .LBB264_986
; %bb.979:
	s_cmp_gt_i32 s27, 14
	s_mov_b64 s[22:23], -1
	s_cbranch_scc0 .LBB264_983
; %bb.980:
	s_cmp_eq_u32 s27, 15
	s_mov_b64 s[0:1], -1
	s_cbranch_scc0 .LBB264_982
; %bb.981:
	v_cvt_f32_f16_e32 v3, v2
	s_movk_i32 s0, 0x7fff
	v_cmp_o_f16_e32 vcc, v2, v2
	v_mov_b32_e32 v4, 0x7fc0
	v_bfe_u32 v5, v3, 16, 1
	v_add3_u32 v3, v3, v5, s0
	v_cndmask_b32_sdwa v3, v4, v3, vcc dst_sel:DWORD dst_unused:UNUSED_PAD src0_sel:DWORD src1_sel:WORD_1
	global_store_short v[0:1], v3, off
	s_mov_b64 s[0:1], 0
.LBB264_982:
	s_mov_b64 s[22:23], 0
.LBB264_983:
	s_and_b64 vcc, exec, s[22:23]
	s_cbranch_vccz .LBB264_986
; %bb.984:
	s_cmp_lg_u32 s27, 11
	s_cselect_b64 s[22:23], -1, 0
	s_andn2_b64 s[0:1], s[0:1], exec
	s_and_b64 s[22:23], s[22:23], exec
	s_mov_b64 s[20:21], -1
	s_or_b64 s[0:1], s[0:1], s[22:23]
	s_branch .LBB264_986
.LBB264_985:
	s_mov_b64 s[20:21], 0
.LBB264_986:
	s_andn2_b64 s[12:13], s[12:13], exec
	s_and_b64 s[0:1], s[0:1], exec
	s_and_b64 s[18:19], s[18:19], exec
	;; [unrolled: 1-line block ×3, first 2 shown]
	s_or_b64 s[12:13], s[12:13], s[0:1]
	s_or_b64 exec, exec, s[14:15]
	s_and_saveexec_b64 s[0:1], s[12:13]
	s_cbranch_execz .LBB264_925
.LBB264_987:
	s_or_b64 s[16:17], s[16:17], exec
	s_andn2_b64 s[20:21], s[20:21], exec
	s_trap 2
	s_or_b64 exec, exec, s[0:1]
	s_and_saveexec_b64 s[0:1], s[20:21]
	s_xor_b64 s[0:1], exec, s[0:1]
	s_cbranch_execnz .LBB264_926
.LBB264_988:
	s_or_b64 exec, exec, s[0:1]
	s_and_saveexec_b64 s[0:1], s[18:19]
	s_xor_b64 s[0:1], exec, s[0:1]
	s_cbranch_execz .LBB264_1026
.LBB264_989:
	s_sext_i32_i16 s14, s26
	s_cmp_lt_i32 s14, 5
	s_mov_b64 s[12:13], -1
	s_cbranch_scc1 .LBB264_1010
; %bb.990:
	s_cmp_lt_i32 s14, 8
	s_cbranch_scc1 .LBB264_1000
; %bb.991:
	s_cmp_lt_i32 s14, 9
	s_cbranch_scc1 .LBB264_997
; %bb.992:
	s_cmp_gt_i32 s14, 9
	s_cbranch_scc0 .LBB264_994
; %bb.993:
	s_waitcnt vmcnt(0)
	v_cvt_f32_f16_e32 v3, v2
	v_mov_b32_e32 v6, 0
	v_mov_b32_e32 v7, v6
	s_mov_b64 s[12:13], 0
	v_cvt_f64_f32_e32 v[4:5], v3
	global_store_dwordx4 v[0:1], v[4:7], off
.LBB264_994:
	s_andn2_b64 vcc, exec, s[12:13]
	s_cbranch_vccnz .LBB264_996
; %bb.995:
	s_waitcnt vmcnt(0)
	v_cvt_f32_f16_e32 v4, v2
	v_mov_b32_e32 v5, 0
	global_store_dwordx2 v[0:1], v[4:5], off
.LBB264_996:
	s_mov_b64 s[12:13], 0
.LBB264_997:
	s_andn2_b64 vcc, exec, s[12:13]
	s_cbranch_vccnz .LBB264_999
; %bb.998:
	s_waitcnt vmcnt(0)
	v_and_b32_e32 v3, 0xffff, v2
	global_store_dword v[0:1], v3, off
.LBB264_999:
	s_mov_b64 s[12:13], 0
.LBB264_1000:
	s_andn2_b64 vcc, exec, s[12:13]
	s_cbranch_vccnz .LBB264_1009
; %bb.1001:
	s_sext_i32_i16 s14, s26
	s_cmp_lt_i32 s14, 6
	s_mov_b64 s[12:13], -1
	s_cbranch_scc1 .LBB264_1007
; %bb.1002:
	s_cmp_gt_i32 s14, 6
	s_cbranch_scc0 .LBB264_1004
; %bb.1003:
	s_waitcnt vmcnt(0)
	v_cvt_f32_f16_e32 v3, v2
	s_mov_b64 s[12:13], 0
	v_cvt_f64_f32_e32 v[4:5], v3
	global_store_dwordx2 v[0:1], v[4:5], off
.LBB264_1004:
	s_andn2_b64 vcc, exec, s[12:13]
	s_cbranch_vccnz .LBB264_1006
; %bb.1005:
	s_waitcnt vmcnt(0)
	v_cvt_f32_f16_e32 v3, v2
	global_store_dword v[0:1], v3, off
.LBB264_1006:
	s_mov_b64 s[12:13], 0
.LBB264_1007:
	s_andn2_b64 vcc, exec, s[12:13]
	s_cbranch_vccnz .LBB264_1009
; %bb.1008:
	s_waitcnt vmcnt(0)
	global_store_short v[0:1], v2, off
.LBB264_1009:
	s_mov_b64 s[12:13], 0
.LBB264_1010:
	s_andn2_b64 vcc, exec, s[12:13]
	s_cbranch_vccnz .LBB264_1026
; %bb.1011:
	s_sext_i32_i16 s14, s26
	s_cmp_lt_i32 s14, 2
	s_mov_b64 s[12:13], -1
	s_cbranch_scc1 .LBB264_1021
; %bb.1012:
	s_cmp_lt_i32 s14, 3
	s_cbranch_scc1 .LBB264_1018
; %bb.1013:
	s_cmp_gt_i32 s14, 3
	s_cbranch_scc0 .LBB264_1015
; %bb.1014:
	s_waitcnt vmcnt(0)
	v_cvt_f32_f16_e32 v3, v2
	s_mov_b64 s[12:13], 0
	v_cvt_i32_f32_e32 v4, v3
	v_ashrrev_i32_e32 v5, 31, v4
	global_store_dwordx2 v[0:1], v[4:5], off
.LBB264_1015:
	s_andn2_b64 vcc, exec, s[12:13]
	s_cbranch_vccnz .LBB264_1017
; %bb.1016:
	s_waitcnt vmcnt(0)
	v_cvt_f32_f16_e32 v3, v2
	v_cvt_i32_f32_e32 v3, v3
	global_store_dword v[0:1], v3, off
.LBB264_1017:
	s_mov_b64 s[12:13], 0
.LBB264_1018:
	s_andn2_b64 vcc, exec, s[12:13]
	s_cbranch_vccnz .LBB264_1020
; %bb.1019:
	s_waitcnt vmcnt(0)
	v_cvt_i16_f16_e32 v3, v2
	global_store_short v[0:1], v3, off
.LBB264_1020:
	s_mov_b64 s[12:13], 0
.LBB264_1021:
	s_andn2_b64 vcc, exec, s[12:13]
	s_cbranch_vccnz .LBB264_1026
; %bb.1022:
	s_sext_i32_i16 s12, s26
	s_cmp_gt_i32 s12, 0
	s_mov_b64 s[12:13], -1
	s_cbranch_scc0 .LBB264_1024
; %bb.1023:
	s_waitcnt vmcnt(0)
	v_cvt_i16_f16_e32 v3, v2
	s_mov_b64 s[12:13], 0
	global_store_byte v[0:1], v3, off
.LBB264_1024:
	s_andn2_b64 vcc, exec, s[12:13]
	s_cbranch_vccnz .LBB264_1026
; %bb.1025:
	s_waitcnt vmcnt(0)
	v_cvt_f32_f16_e32 v2, v2
	v_cvt_i32_f32_e32 v2, v2
	global_store_byte v[0:1], v2, off
.LBB264_1026:
	s_or_b64 exec, exec, s[0:1]
	s_and_b64 s[12:13], s[16:17], exec
                                        ; implicit-def: $vgpr4
.LBB264_1027:
	s_or_saveexec_b64 s[2:3], s[2:3]
	s_mov_b64 s[0:1], 0
                                        ; implicit-def: $sgpr20
                                        ; implicit-def: $vgpr0_vgpr1
                                        ; implicit-def: $vgpr2
	s_xor_b64 exec, exec, s[2:3]
	s_cbranch_execz .LBB264_1975
; %bb.1028:
	v_mul_lo_u32 v0, s9, v4
	v_ashrrev_i32_e32 v1, 31, v0
	s_and_b32 s22, 0xffff, s42
	s_cmp_lt_i32 s22, 11
	s_waitcnt vmcnt(0)
	v_lshl_add_u64 v[2:3], s[6:7], 0, v[0:1]
	s_cbranch_scc1 .LBB264_1035
; %bb.1029:
	s_cmp_gt_i32 s22, 25
	s_cbranch_scc0 .LBB264_1037
; %bb.1030:
	s_cmp_gt_i32 s22, 28
	s_cbranch_scc0 .LBB264_1038
; %bb.1031:
	s_cmp_gt_i32 s22, 43
	s_cbranch_scc0 .LBB264_1039
; %bb.1032:
	s_cmp_gt_i32 s22, 45
	s_cbranch_scc0 .LBB264_1040
; %bb.1033:
	s_cmp_eq_u32 s22, 46
	s_mov_b64 s[14:15], 0
	s_cbranch_scc0 .LBB264_1043
; %bb.1034:
	global_load_dword v1, v[2:3], off
	s_mov_b64 s[16:17], -1
	s_waitcnt vmcnt(0)
	v_lshlrev_b32_e32 v1, 16, v1
	v_cvt_f16_f32_e32 v5, v1
	s_branch .LBB264_1044
.LBB264_1035:
	s_mov_b64 s[16:17], 0
                                        ; implicit-def: $vgpr5
	s_mov_b64 s[14:15], s[12:13]
	s_cbranch_execnz .LBB264_1107
.LBB264_1036:
	s_andn2_b64 vcc, exec, s[16:17]
	s_cbranch_vccz .LBB264_1152
	s_branch .LBB264_1973
.LBB264_1037:
	s_mov_b64 s[16:17], 0
                                        ; implicit-def: $vgpr5
	s_cbranch_execnz .LBB264_1072
	s_branch .LBB264_1103
.LBB264_1038:
	s_mov_b64 s[14:15], -1
	s_mov_b64 s[16:17], 0
                                        ; implicit-def: $vgpr5
	s_branch .LBB264_1053
.LBB264_1039:
	s_mov_b64 s[16:17], 0
                                        ; implicit-def: $vgpr5
	s_cbranch_execnz .LBB264_1049
	s_branch .LBB264_1052
.LBB264_1040:
	s_mov_b64 s[14:15], -1
	s_mov_b64 s[16:17], 0
                                        ; implicit-def: $vgpr5
	s_branch .LBB264_1044
.LBB264_1041:
	s_andn2_saveexec_b64 s[22:23], s[22:23]
	s_cbranch_execz .LBB264_940
.LBB264_1042:
	s_mov_b32 s24, 0x46000000
	v_add_f32_e64 v4, |v3|, s24
	v_and_b32_e32 v4, 0xff, v4
	v_cmp_ne_u32_e32 vcc, 0, v4
	s_andn2_b64 s[20:21], s[20:21], exec
	s_and_b64 s[24:25], vcc, exec
	s_or_b64 s[20:21], s[20:21], s[24:25]
	s_or_b64 exec, exec, s[22:23]
	v_mov_b32_e32 v5, 0
	s_and_saveexec_b64 s[22:23], s[20:21]
	s_cbranch_execnz .LBB264_941
	s_branch .LBB264_942
.LBB264_1043:
	s_mov_b64 s[0:1], -1
                                        ; implicit-def: $vgpr5
	s_mov_b64 s[16:17], 0
.LBB264_1044:
	s_and_b64 vcc, exec, s[14:15]
	s_cbranch_vccz .LBB264_1047
; %bb.1045:
	s_cmp_eq_u32 s22, 44
	s_cbranch_scc0 .LBB264_1048
; %bb.1046:
	global_load_ubyte v1, v[2:3], off
	s_movk_i32 s14, 0xff
	v_mov_b32_e32 v6, 0x7e00
	s_mov_b64 s[0:1], 0
	s_mov_b64 s[16:17], -1
	s_waitcnt vmcnt(0)
	v_lshlrev_b32_e32 v5, 23, v1
	v_cvt_f16_f32_e32 v5, v5
	v_cmp_ne_u32_e32 vcc, s14, v1
	s_nop 1
	v_cndmask_b32_e32 v5, v6, v5, vcc
	v_cmp_ne_u32_e32 vcc, 0, v1
	s_nop 1
	v_cndmask_b32_e32 v5, 0, v5, vcc
.LBB264_1047:
	s_branch .LBB264_1052
.LBB264_1048:
	s_mov_b64 s[0:1], -1
                                        ; implicit-def: $vgpr5
	s_branch .LBB264_1052
.LBB264_1049:
	s_cmp_eq_u32 s22, 29
	s_cbranch_scc0 .LBB264_1051
; %bb.1050:
	global_load_dwordx2 v[6:7], v[2:3], off
	s_mov_b64 s[0:1], 0
	s_mov_b64 s[16:17], -1
	s_mov_b64 s[14:15], 0
	s_waitcnt vmcnt(0)
	v_ffbh_u32_e32 v1, v7
	v_min_u32_e32 v1, 32, v1
	v_lshlrev_b64 v[6:7], v1, v[6:7]
	v_min_u32_e32 v5, 1, v6
	v_or_b32_e32 v5, v7, v5
	v_cvt_f32_u32_e32 v5, v5
	v_sub_u32_e32 v1, 32, v1
	v_ldexp_f32 v1, v5, v1
	v_cvt_f16_f32_e32 v5, v1
	s_branch .LBB264_1053
.LBB264_1051:
	s_mov_b64 s[0:1], -1
                                        ; implicit-def: $vgpr5
.LBB264_1052:
	s_mov_b64 s[14:15], 0
.LBB264_1053:
	s_and_b64 vcc, exec, s[14:15]
	s_cbranch_vccz .LBB264_1071
; %bb.1054:
	s_cmp_lt_i32 s22, 27
	s_cbranch_scc1 .LBB264_1057
; %bb.1055:
	s_cmp_gt_i32 s22, 27
	s_cbranch_scc0 .LBB264_1058
; %bb.1056:
	global_load_dword v1, v[2:3], off
	s_mov_b64 s[14:15], 0
	s_waitcnt vmcnt(0)
	v_cvt_f32_u32_e32 v1, v1
	v_cvt_f16_f32_e32 v5, v1
	s_branch .LBB264_1059
.LBB264_1057:
	s_mov_b64 s[14:15], -1
                                        ; implicit-def: $vgpr5
	s_branch .LBB264_1062
.LBB264_1058:
	s_mov_b64 s[14:15], -1
                                        ; implicit-def: $vgpr5
.LBB264_1059:
	s_andn2_b64 vcc, exec, s[14:15]
	s_cbranch_vccnz .LBB264_1061
; %bb.1060:
	global_load_ushort v1, v[2:3], off
	s_waitcnt vmcnt(0)
	v_cvt_f16_u16_e32 v5, v1
.LBB264_1061:
	s_mov_b64 s[14:15], 0
.LBB264_1062:
	s_andn2_b64 vcc, exec, s[14:15]
	s_cbranch_vccnz .LBB264_1070
; %bb.1063:
	global_load_ubyte v1, v[2:3], off
	s_movk_i32 s14, 0x7f
	s_waitcnt vmcnt(0)
	v_cmp_lt_i16_e32 vcc, s14, v1
	s_mov_b64 s[14:15], 0
	s_and_saveexec_b64 s[16:17], vcc
	s_xor_b64 s[16:17], exec, s[16:17]
	s_cbranch_execz .LBB264_1083
; %bb.1064:
	s_movk_i32 s14, 0x80
	v_cmp_eq_u16_e32 vcc, s14, v1
	s_mov_b64 s[14:15], -1
	s_and_saveexec_b64 s[18:19], vcc
; %bb.1065:
	s_xor_b64 s[14:15], exec, -1
; %bb.1066:
	s_or_b64 exec, exec, s[18:19]
	s_and_b64 s[14:15], s[14:15], exec
	s_or_saveexec_b64 s[16:17], s[16:17]
	v_mov_b32_e32 v5, 0x7e00
	s_xor_b64 exec, exec, s[16:17]
	s_cbranch_execnz .LBB264_1084
.LBB264_1067:
	s_or_b64 exec, exec, s[16:17]
	s_and_saveexec_b64 s[16:17], s[14:15]
	s_cbranch_execz .LBB264_1069
.LBB264_1068:
	v_lshlrev_b32_e32 v5, 24, v1
	v_and_b32_e32 v1, 0xffff, v1
	v_and_b32_e32 v6, 7, v1
	v_ffbh_u32_e32 v8, v6
	v_min_u32_e32 v8, 32, v8
	v_subrev_u32_e32 v9, 28, v8
	v_bfe_u32 v7, v1, 3, 4
	v_lshlrev_b32_e32 v1, v9, v1
	v_sub_u32_e32 v8, 29, v8
	v_and_b32_e32 v1, 7, v1
	v_cmp_eq_u32_e32 vcc, 0, v7
	v_and_b32_e32 v5, 0x80000000, v5
	s_nop 0
	v_cndmask_b32_e32 v7, v7, v8, vcc
	v_cndmask_b32_e32 v1, v6, v1, vcc
	v_mov_b32_e32 v6, 0x3b800000
	v_lshlrev_b32_e32 v1, 20, v1
	v_lshl_add_u32 v6, v7, 23, v6
	v_or3_b32 v1, v5, v6, v1
	v_cvt_f16_f32_e32 v5, v1
.LBB264_1069:
	s_or_b64 exec, exec, s[16:17]
.LBB264_1070:
	s_mov_b64 s[16:17], -1
.LBB264_1071:
	s_branch .LBB264_1103
.LBB264_1072:
	s_cmp_gt_i32 s22, 22
	s_cbranch_scc0 .LBB264_1082
; %bb.1073:
	s_cmp_lt_i32 s22, 24
	s_cbranch_scc1 .LBB264_1085
; %bb.1074:
	s_cmp_gt_i32 s22, 24
	s_cbranch_scc0 .LBB264_1086
; %bb.1075:
	global_load_ubyte v1, v[2:3], off
	s_movk_i32 s10, 0x7f
	s_waitcnt vmcnt(0)
	v_cmp_lt_i16_e32 vcc, s10, v1
	s_mov_b64 s[10:11], 0
	s_and_saveexec_b64 s[14:15], vcc
	s_xor_b64 s[14:15], exec, s[14:15]
	s_cbranch_execz .LBB264_1097
; %bb.1076:
	s_movk_i32 s10, 0x80
	v_cmp_eq_u16_e32 vcc, s10, v1
	s_mov_b64 s[10:11], -1
	s_and_saveexec_b64 s[16:17], vcc
; %bb.1077:
	s_xor_b64 s[10:11], exec, -1
; %bb.1078:
	s_or_b64 exec, exec, s[16:17]
	s_and_b64 s[10:11], s[10:11], exec
	s_or_saveexec_b64 s[14:15], s[14:15]
	v_mov_b32_e32 v5, 0x7e00
	s_xor_b64 exec, exec, s[14:15]
	s_cbranch_execnz .LBB264_1098
.LBB264_1079:
	s_or_b64 exec, exec, s[14:15]
	s_and_saveexec_b64 s[14:15], s[10:11]
	s_cbranch_execz .LBB264_1081
.LBB264_1080:
	v_lshlrev_b32_e32 v5, 24, v1
	v_and_b32_e32 v1, 0xffff, v1
	v_and_b32_e32 v6, 3, v1
	v_ffbh_u32_e32 v8, v6
	v_min_u32_e32 v8, 32, v8
	v_subrev_u32_e32 v9, 29, v8
	v_bfe_u32 v7, v1, 2, 5
	v_lshlrev_b32_e32 v1, v9, v1
	v_sub_u32_e32 v8, 30, v8
	v_and_b32_e32 v1, 3, v1
	v_cmp_eq_u32_e32 vcc, 0, v7
	v_and_b32_e32 v5, 0x80000000, v5
	s_nop 0
	v_cndmask_b32_e32 v7, v7, v8, vcc
	v_cndmask_b32_e32 v1, v6, v1, vcc
	v_mov_b32_e32 v6, 0x37800000
	v_lshlrev_b32_e32 v1, 21, v1
	v_lshl_add_u32 v6, v7, 23, v6
	v_or3_b32 v1, v5, v6, v1
	v_cvt_f16_f32_e32 v5, v1
.LBB264_1081:
	s_or_b64 exec, exec, s[14:15]
	s_mov_b64 s[10:11], 0
	s_branch .LBB264_1087
.LBB264_1082:
                                        ; implicit-def: $vgpr5
	s_mov_b64 s[10:11], 0
	s_branch .LBB264_1093
.LBB264_1083:
	s_or_saveexec_b64 s[16:17], s[16:17]
	v_mov_b32_e32 v5, 0x7e00
	s_xor_b64 exec, exec, s[16:17]
	s_cbranch_execz .LBB264_1067
.LBB264_1084:
	v_cmp_ne_u16_e32 vcc, 0, v1
	s_andn2_b64 s[14:15], s[14:15], exec
	s_and_b64 s[18:19], vcc, exec
	s_or_b64 s[14:15], s[14:15], s[18:19]
	v_mov_b32_e32 v5, v1
	s_or_b64 exec, exec, s[16:17]
	s_and_saveexec_b64 s[16:17], s[14:15]
	s_cbranch_execnz .LBB264_1068
	s_branch .LBB264_1069
.LBB264_1085:
	s_mov_b64 s[10:11], -1
                                        ; implicit-def: $vgpr5
	s_branch .LBB264_1090
.LBB264_1086:
	s_mov_b64 s[10:11], -1
                                        ; implicit-def: $vgpr5
.LBB264_1087:
	s_and_b64 vcc, exec, s[10:11]
	s_cbranch_vccz .LBB264_1089
; %bb.1088:
	global_load_ubyte v1, v[2:3], off
	s_mov_b32 s10, 0x7f800000
	s_waitcnt vmcnt(0)
	v_lshlrev_b32_e32 v1, 24, v1
	v_and_b32_e32 v5, 0x7f000000, v1
	v_ffbh_u32_e32 v6, v5
	v_min_u32_e32 v6, 32, v6
	v_sub_u32_e64 v6, v6, 4 clamp
	v_lshlrev_b32_e32 v8, v6, v5
	v_lshlrev_b32_e32 v6, 23, v6
	v_lshrrev_b32_e32 v8, 4, v8
	v_add_u32_e32 v7, 0x1000000, v5
	v_sub_u32_e32 v6, v8, v6
	v_ashrrev_i32_e32 v7, 8, v7
	v_add_u32_e32 v6, 0x3c000000, v6
	v_and_or_b32 v6, v7, s10, v6
	v_cmp_ne_u32_e32 vcc, 0, v5
	s_brev_b32 s10, 1
	s_nop 0
	v_cndmask_b32_e32 v5, 0, v6, vcc
	v_and_or_b32 v1, v1, s10, v5
	v_cvt_f16_f32_e32 v5, v1
.LBB264_1089:
	s_mov_b64 s[10:11], 0
.LBB264_1090:
	s_andn2_b64 vcc, exec, s[10:11]
	s_cbranch_vccnz .LBB264_1092
; %bb.1091:
	global_load_ubyte v1, v[2:3], off
	s_movk_i32 s10, 0x7f00
	s_brev_b32 s11, 16
	s_waitcnt vmcnt(0)
	v_lshlrev_b16_e32 v5, 8, v1
	v_lshlrev_b32_e32 v1, 25, v1
	v_lshrrev_b32_e32 v6, 4, v1
	v_and_or_b32 v7, v5, s10, 0.5
	v_or_b32_e32 v6, 0x70000000, v6
	v_add_f32_e32 v7, -0.5, v7
	v_mul_f32_e32 v6, 0x7800000, v6
	v_cmp_gt_u32_e32 vcc, s11, v1
	v_bfe_i32 v5, v5, 0, 16
	s_brev_b32 s10, 1
	v_cndmask_b32_e32 v1, v6, v7, vcc
	v_and_or_b32 v1, v5, s10, v1
	v_cvt_f16_f32_e32 v5, v1
.LBB264_1092:
	s_mov_b64 s[16:17], -1
	s_mov_b64 s[10:11], 0
	s_cbranch_execnz .LBB264_1103
.LBB264_1093:
	s_cmp_gt_i32 s22, 14
	s_cbranch_scc0 .LBB264_1096
; %bb.1094:
	s_cmp_eq_u32 s22, 15
	s_cbranch_scc0 .LBB264_1099
; %bb.1095:
	global_load_ushort v1, v[2:3], off
	s_mov_b64 s[0:1], 0
	s_mov_b64 s[16:17], -1
	s_waitcnt vmcnt(0)
	v_lshlrev_b32_e32 v1, 16, v1
	v_cvt_f16_f32_e32 v5, v1
	s_branch .LBB264_1100
.LBB264_1096:
	s_mov_b64 s[14:15], -1
                                        ; implicit-def: $vgpr5
	s_branch .LBB264_1101
.LBB264_1097:
	s_or_saveexec_b64 s[14:15], s[14:15]
	v_mov_b32_e32 v5, 0x7e00
	s_xor_b64 exec, exec, s[14:15]
	s_cbranch_execz .LBB264_1079
.LBB264_1098:
	v_cmp_ne_u16_e32 vcc, 0, v1
	s_andn2_b64 s[10:11], s[10:11], exec
	s_and_b64 s[16:17], vcc, exec
	s_or_b64 s[10:11], s[10:11], s[16:17]
	v_mov_b32_e32 v5, v1
	s_or_b64 exec, exec, s[14:15]
	s_and_saveexec_b64 s[14:15], s[10:11]
	s_cbranch_execnz .LBB264_1080
	s_branch .LBB264_1081
.LBB264_1099:
	s_mov_b64 s[0:1], -1
                                        ; implicit-def: $vgpr5
.LBB264_1100:
	s_mov_b64 s[14:15], 0
.LBB264_1101:
	s_and_b64 vcc, exec, s[14:15]
	s_cbranch_vccz .LBB264_1103
; %bb.1102:
	s_cmp_lg_u32 s22, 11
	s_mov_b64 s[10:11], -1
	s_cselect_b64 s[0:1], -1, 0
.LBB264_1103:
	s_and_b64 vcc, exec, s[0:1]
	s_mov_b64 s[14:15], s[12:13]
	s_cbranch_vccnz .LBB264_1164
; %bb.1104:
	s_andn2_b64 vcc, exec, s[10:11]
	s_cbranch_vccnz .LBB264_1106
.LBB264_1105:
	global_load_ubyte v1, v[2:3], off
	v_mov_b32_e32 v5, 0x3c00
	s_mov_b64 s[16:17], -1
	s_waitcnt vmcnt(0)
	v_cmp_ne_u16_e32 vcc, 0, v1
	s_nop 1
	v_cndmask_b32_e32 v5, 0, v5, vcc
.LBB264_1106:
	s_branch .LBB264_1036
.LBB264_1107:
	s_cmp_lt_i32 s22, 5
	s_cbranch_scc1 .LBB264_1112
; %bb.1108:
	s_cmp_lt_i32 s22, 8
	s_cbranch_scc1 .LBB264_1113
; %bb.1109:
	;; [unrolled: 3-line block ×3, first 2 shown]
	s_cmp_gt_i32 s22, 9
	s_cbranch_scc0 .LBB264_1115
; %bb.1111:
	global_load_dwordx2 v[6:7], v[2:3], off
	s_movk_i32 s0, 0x1ff
	s_movk_i32 s1, 0xffe
	v_mov_b32_e32 v1, 0x7c00
	v_mov_b32_e32 v5, 0x7e00
	s_movk_i32 s10, 0x40f
	s_mov_b32 s11, 0x8000
	s_waitcnt vmcnt(0)
	v_and_or_b32 v6, v7, s0, v6
	v_cmp_ne_u32_e32 vcc, 0, v6
	v_lshrrev_b32_e32 v8, 8, v7
	v_bfe_u32 v9, v7, 20, 11
	v_cndmask_b32_e64 v6, 0, 1, vcc
	v_sub_u32_e32 v10, 0x3f1, v9
	v_and_or_b32 v6, v8, s1, v6
	v_add_u32_e32 v9, 0xfffffc10, v9
	v_med3_i32 v8, v10, 0, 13
	v_or_b32_e32 v10, 0x1000, v6
	v_lshl_or_b32 v11, v9, 12, v6
	v_cmp_ne_u32_e32 vcc, 0, v6
	v_lshrrev_b32_e32 v6, v8, v10
	v_lshlrev_b32_e32 v8, v8, v6
	v_cndmask_b32_e32 v5, v1, v5, vcc
	v_cmp_ne_u32_e32 vcc, v8, v10
	v_lshrrev_b32_e32 v7, 16, v7
	s_mov_b64 s[0:1], 0
	v_cndmask_b32_e64 v8, 0, 1, vcc
	v_or_b32_e32 v6, v6, v8
	v_cmp_gt_i32_e32 vcc, 1, v9
	s_nop 1
	v_cndmask_b32_e32 v6, v11, v6, vcc
	v_and_b32_e32 v8, 7, v6
	v_cmp_lt_i32_e32 vcc, 5, v8
	v_lshrrev_b32_e32 v6, 2, v6
	s_nop 0
	v_cndmask_b32_e64 v10, 0, 1, vcc
	v_cmp_eq_u32_e32 vcc, 3, v8
	s_nop 1
	v_cndmask_b32_e64 v8, 0, 1, vcc
	v_or_b32_e32 v8, v8, v10
	v_add_u32_e32 v6, v6, v8
	v_cmp_gt_i32_e32 vcc, 31, v9
	s_nop 1
	v_cndmask_b32_e32 v1, v1, v6, vcc
	v_cmp_eq_u32_e32 vcc, s10, v9
	s_nop 1
	v_cndmask_b32_e32 v1, v1, v5, vcc
	v_and_or_b32 v5, v7, s11, v1
	s_branch .LBB264_1116
.LBB264_1112:
                                        ; implicit-def: $vgpr5
	s_branch .LBB264_1133
.LBB264_1113:
                                        ; implicit-def: $vgpr5
	s_branch .LBB264_1122
.LBB264_1114:
	s_mov_b64 s[0:1], -1
                                        ; implicit-def: $vgpr5
	s_branch .LBB264_1119
.LBB264_1115:
	s_mov_b64 s[0:1], -1
                                        ; implicit-def: $vgpr5
.LBB264_1116:
	s_andn2_b64 vcc, exec, s[0:1]
	s_cbranch_vccnz .LBB264_1118
; %bb.1117:
	global_load_dword v1, v[2:3], off
	s_waitcnt vmcnt(0)
	v_cvt_f16_f32_e32 v5, v1
.LBB264_1118:
	s_mov_b64 s[0:1], 0
.LBB264_1119:
	s_andn2_b64 vcc, exec, s[0:1]
	s_cbranch_vccnz .LBB264_1121
; %bb.1120:
	global_load_dword v5, v[2:3], off
.LBB264_1121:
	s_cbranch_execnz .LBB264_1132
.LBB264_1122:
	s_cmp_lt_i32 s22, 6
	s_cbranch_scc1 .LBB264_1125
; %bb.1123:
	s_cmp_gt_i32 s22, 6
	s_cbranch_scc0 .LBB264_1126
; %bb.1124:
	global_load_dwordx2 v[6:7], v[2:3], off
	s_movk_i32 s0, 0x1ff
	s_movk_i32 s1, 0xffe
	v_mov_b32_e32 v1, 0x7c00
	s_waitcnt vmcnt(1)
	v_mov_b32_e32 v5, 0x7e00
	s_movk_i32 s10, 0x40f
	s_mov_b32 s11, 0x8000
	s_waitcnt vmcnt(0)
	v_and_or_b32 v6, v7, s0, v6
	v_cmp_ne_u32_e32 vcc, 0, v6
	v_lshrrev_b32_e32 v8, 8, v7
	v_bfe_u32 v9, v7, 20, 11
	v_cndmask_b32_e64 v6, 0, 1, vcc
	v_sub_u32_e32 v10, 0x3f1, v9
	v_and_or_b32 v6, v8, s1, v6
	v_add_u32_e32 v9, 0xfffffc10, v9
	v_med3_i32 v8, v10, 0, 13
	v_or_b32_e32 v10, 0x1000, v6
	v_lshl_or_b32 v11, v9, 12, v6
	v_cmp_ne_u32_e32 vcc, 0, v6
	v_lshrrev_b32_e32 v6, v8, v10
	v_lshlrev_b32_e32 v8, v8, v6
	v_cndmask_b32_e32 v5, v1, v5, vcc
	v_cmp_ne_u32_e32 vcc, v8, v10
	v_lshrrev_b32_e32 v7, 16, v7
	s_mov_b64 s[0:1], 0
	v_cndmask_b32_e64 v8, 0, 1, vcc
	v_or_b32_e32 v6, v6, v8
	v_cmp_gt_i32_e32 vcc, 1, v9
	s_nop 1
	v_cndmask_b32_e32 v6, v11, v6, vcc
	v_and_b32_e32 v8, 7, v6
	v_cmp_lt_i32_e32 vcc, 5, v8
	v_lshrrev_b32_e32 v6, 2, v6
	s_nop 0
	v_cndmask_b32_e64 v10, 0, 1, vcc
	v_cmp_eq_u32_e32 vcc, 3, v8
	s_nop 1
	v_cndmask_b32_e64 v8, 0, 1, vcc
	v_or_b32_e32 v8, v8, v10
	v_add_u32_e32 v6, v6, v8
	v_cmp_gt_i32_e32 vcc, 31, v9
	s_nop 1
	v_cndmask_b32_e32 v1, v1, v6, vcc
	v_cmp_eq_u32_e32 vcc, s10, v9
	s_nop 1
	v_cndmask_b32_e32 v1, v1, v5, vcc
	v_and_or_b32 v5, v7, s11, v1
	s_branch .LBB264_1127
.LBB264_1125:
	s_mov_b64 s[0:1], -1
                                        ; implicit-def: $vgpr5
	s_branch .LBB264_1130
.LBB264_1126:
	s_mov_b64 s[0:1], -1
                                        ; implicit-def: $vgpr5
.LBB264_1127:
	s_andn2_b64 vcc, exec, s[0:1]
	s_cbranch_vccnz .LBB264_1129
; %bb.1128:
	global_load_dword v1, v[2:3], off
	s_waitcnt vmcnt(0)
	v_cvt_f16_f32_e32 v5, v1
.LBB264_1129:
	s_mov_b64 s[0:1], 0
.LBB264_1130:
	s_andn2_b64 vcc, exec, s[0:1]
	s_cbranch_vccnz .LBB264_1132
; %bb.1131:
	global_load_ushort v5, v[2:3], off
.LBB264_1132:
	s_cbranch_execnz .LBB264_1151
.LBB264_1133:
	s_cmp_lt_i32 s22, 2
	s_cbranch_scc1 .LBB264_1137
; %bb.1134:
	s_cmp_lt_i32 s22, 3
	s_cbranch_scc1 .LBB264_1138
; %bb.1135:
	s_cmp_gt_i32 s22, 3
	s_cbranch_scc0 .LBB264_1139
; %bb.1136:
	global_load_dwordx2 v[6:7], v[2:3], off
	s_mov_b64 s[0:1], 0
	s_waitcnt vmcnt(0)
	v_xor_b32_e32 v5, v6, v7
	v_ffbh_i32_e32 v1, v7
	v_ashrrev_i32_e32 v5, 31, v5
	v_add_u32_e32 v1, -1, v1
	v_add_u32_e32 v5, 32, v5
	v_min_u32_e32 v1, v1, v5
	v_lshlrev_b64 v[6:7], v1, v[6:7]
	v_min_u32_e32 v5, 1, v6
	v_or_b32_e32 v5, v7, v5
	v_cvt_f32_i32_e32 v5, v5
	v_sub_u32_e32 v1, 32, v1
	v_ldexp_f32 v1, v5, v1
	v_cvt_f16_f32_e32 v5, v1
	s_branch .LBB264_1140
.LBB264_1137:
                                        ; implicit-def: $vgpr5
	s_branch .LBB264_1146
.LBB264_1138:
	s_mov_b64 s[0:1], -1
                                        ; implicit-def: $vgpr5
	s_branch .LBB264_1143
.LBB264_1139:
	s_mov_b64 s[0:1], -1
                                        ; implicit-def: $vgpr5
.LBB264_1140:
	s_andn2_b64 vcc, exec, s[0:1]
	s_cbranch_vccnz .LBB264_1142
; %bb.1141:
	global_load_dword v1, v[2:3], off
	s_waitcnt vmcnt(0)
	v_cvt_f32_i32_e32 v1, v1
	v_cvt_f16_f32_e32 v5, v1
.LBB264_1142:
	s_mov_b64 s[0:1], 0
.LBB264_1143:
	s_andn2_b64 vcc, exec, s[0:1]
	s_cbranch_vccnz .LBB264_1145
; %bb.1144:
	global_load_ushort v1, v[2:3], off
	s_waitcnt vmcnt(0)
	v_cvt_f16_i16_e32 v5, v1
.LBB264_1145:
	s_cbranch_execnz .LBB264_1151
.LBB264_1146:
	s_cmp_gt_i32 s22, 0
	s_cbranch_scc0 .LBB264_1148
; %bb.1147:
	global_load_sbyte v1, v[2:3], off
	s_mov_b64 s[0:1], 0
	s_waitcnt vmcnt(0)
	v_cvt_f16_i16_e32 v5, v1
	s_branch .LBB264_1149
.LBB264_1148:
	s_mov_b64 s[0:1], -1
                                        ; implicit-def: $vgpr5
.LBB264_1149:
	s_andn2_b64 vcc, exec, s[0:1]
	s_cbranch_vccnz .LBB264_1151
; %bb.1150:
	global_load_ubyte v1, v[2:3], off
	s_waitcnt vmcnt(0)
	v_cvt_f16_u16_e32 v5, v1
.LBB264_1151:
.LBB264_1152:
	s_lshl_b32 s9, s9, 7
	v_add_u32_e32 v0, s9, v0
	v_ashrrev_i32_e32 v1, 31, v0
	s_cmp_lt_i32 s22, 11
	v_lshl_add_u64 v[2:3], s[6:7], 0, v[0:1]
	s_cbranch_scc1 .LBB264_1159
; %bb.1153:
	s_cmp_gt_i32 s22, 25
	s_mov_b64 s[10:11], 0
	s_cbranch_scc0 .LBB264_1161
; %bb.1154:
	s_cmp_gt_i32 s22, 28
	s_cbranch_scc0 .LBB264_1162
; %bb.1155:
	s_cmp_gt_i32 s22, 43
	;; [unrolled: 3-line block ×3, first 2 shown]
	s_cbranch_scc0 .LBB264_1165
; %bb.1157:
	s_cmp_eq_u32 s22, 46
	s_mov_b64 s[18:19], 0
	s_cbranch_scc0 .LBB264_1168
; %bb.1158:
	global_load_dword v1, v[2:3], off
	s_mov_b64 s[0:1], 0
	s_mov_b64 s[16:17], -1
	s_waitcnt vmcnt(0)
	v_lshlrev_b32_e32 v1, 16, v1
	v_cvt_f16_f32_e32 v6, v1
	s_branch .LBB264_1169
.LBB264_1159:
	s_mov_b64 s[16:17], 0
                                        ; implicit-def: $vgpr6
	s_cbranch_execnz .LBB264_1234
.LBB264_1160:
	s_andn2_b64 vcc, exec, s[16:17]
	s_cbranch_vccnz .LBB264_1973
	s_branch .LBB264_1281
.LBB264_1161:
	s_mov_b64 s[16:17], 0
	s_mov_b64 s[0:1], 0
                                        ; implicit-def: $vgpr6
	s_cbranch_execnz .LBB264_1198
	s_branch .LBB264_1230
.LBB264_1162:
	s_mov_b64 s[18:19], -1
	s_mov_b64 s[16:17], 0
	s_mov_b64 s[0:1], 0
                                        ; implicit-def: $vgpr6
	s_branch .LBB264_1179
.LBB264_1163:
	s_mov_b64 s[18:19], -1
	s_mov_b64 s[16:17], 0
	s_mov_b64 s[0:1], 0
                                        ; implicit-def: $vgpr6
	s_branch .LBB264_1174
.LBB264_1164:
	s_or_b64 s[14:15], s[12:13], exec
	s_trap 2
	s_cbranch_execz .LBB264_1105
	s_branch .LBB264_1106
.LBB264_1165:
	s_mov_b64 s[18:19], -1
	s_mov_b64 s[16:17], 0
	s_mov_b64 s[0:1], 0
                                        ; implicit-def: $vgpr6
	s_branch .LBB264_1169
.LBB264_1166:
	s_andn2_saveexec_b64 s[24:25], s[24:25]
	s_cbranch_execz .LBB264_952
.LBB264_1167:
	s_mov_b32 s28, 0x42800000
	v_add_f32_e64 v4, |v3|, s28
	v_and_b32_e32 v4, 0xff, v4
	v_cmp_ne_u32_e32 vcc, 0, v4
	s_andn2_b64 s[22:23], s[22:23], exec
	s_and_b64 s[28:29], vcc, exec
	s_or_b64 s[22:23], s[22:23], s[28:29]
	s_or_b64 exec, exec, s[24:25]
	v_mov_b32_e32 v5, 0
	s_and_saveexec_b64 s[24:25], s[22:23]
	s_cbranch_execnz .LBB264_953
	s_branch .LBB264_954
.LBB264_1168:
	s_mov_b64 s[0:1], -1
                                        ; implicit-def: $vgpr6
	s_mov_b64 s[16:17], 0
.LBB264_1169:
	s_and_b64 vcc, exec, s[18:19]
	s_cbranch_vccz .LBB264_1173
; %bb.1170:
	s_cmp_eq_u32 s22, 44
	s_cbranch_scc0 .LBB264_1172
; %bb.1171:
	global_load_ubyte v1, v[2:3], off
	s_movk_i32 s16, 0xff
	v_mov_b32_e32 v7, 0x7e00
	s_mov_b64 s[0:1], 0
	s_waitcnt vmcnt(0)
	v_lshlrev_b32_e32 v6, 23, v1
	v_cvt_f16_f32_e32 v6, v6
	v_cmp_ne_u32_e32 vcc, s16, v1
	s_mov_b64 s[16:17], -1
	s_nop 0
	v_cndmask_b32_e32 v6, v7, v6, vcc
	v_cmp_ne_u32_e32 vcc, 0, v1
	s_nop 1
	v_cndmask_b32_e32 v6, 0, v6, vcc
	s_branch .LBB264_1173
.LBB264_1172:
	s_mov_b64 s[0:1], -1
                                        ; implicit-def: $vgpr6
.LBB264_1173:
	s_mov_b64 s[18:19], 0
.LBB264_1174:
	s_and_b64 vcc, exec, s[18:19]
	s_cbranch_vccz .LBB264_1178
; %bb.1175:
	s_cmp_eq_u32 s22, 29
	s_cbranch_scc0 .LBB264_1177
; %bb.1176:
	global_load_dwordx2 v[6:7], v[2:3], off
	s_mov_b64 s[0:1], 0
	s_mov_b64 s[16:17], -1
	s_mov_b64 s[18:19], 0
	s_waitcnt vmcnt(0)
	v_ffbh_u32_e32 v1, v7
	v_min_u32_e32 v1, 32, v1
	v_lshlrev_b64 v[6:7], v1, v[6:7]
	v_min_u32_e32 v6, 1, v6
	v_or_b32_e32 v6, v7, v6
	v_cvt_f32_u32_e32 v6, v6
	v_sub_u32_e32 v1, 32, v1
	v_ldexp_f32 v1, v6, v1
	v_cvt_f16_f32_e32 v6, v1
	s_branch .LBB264_1179
.LBB264_1177:
	s_mov_b64 s[0:1], -1
                                        ; implicit-def: $vgpr6
.LBB264_1178:
	s_mov_b64 s[18:19], 0
.LBB264_1179:
	s_and_b64 vcc, exec, s[18:19]
	s_cbranch_vccz .LBB264_1197
; %bb.1180:
	s_cmp_lt_i32 s22, 27
	s_cbranch_scc1 .LBB264_1183
; %bb.1181:
	s_cmp_gt_i32 s22, 27
	s_cbranch_scc0 .LBB264_1184
; %bb.1182:
	global_load_dword v1, v[2:3], off
	s_mov_b64 s[16:17], 0
	s_waitcnt vmcnt(0)
	v_cvt_f32_u32_e32 v1, v1
	v_cvt_f16_f32_e32 v6, v1
	s_branch .LBB264_1185
.LBB264_1183:
	s_mov_b64 s[16:17], -1
                                        ; implicit-def: $vgpr6
	s_branch .LBB264_1188
.LBB264_1184:
	s_mov_b64 s[16:17], -1
                                        ; implicit-def: $vgpr6
.LBB264_1185:
	s_andn2_b64 vcc, exec, s[16:17]
	s_cbranch_vccnz .LBB264_1187
; %bb.1186:
	global_load_ushort v1, v[2:3], off
	s_waitcnt vmcnt(0)
	v_cvt_f16_u16_e32 v6, v1
.LBB264_1187:
	s_mov_b64 s[16:17], 0
.LBB264_1188:
	s_andn2_b64 vcc, exec, s[16:17]
	s_cbranch_vccnz .LBB264_1196
; %bb.1189:
	global_load_ubyte v1, v[2:3], off
	s_movk_i32 s16, 0x7f
	s_waitcnt vmcnt(0)
	v_cmp_lt_i16_e32 vcc, s16, v1
	s_mov_b64 s[16:17], 0
	s_and_saveexec_b64 s[18:19], vcc
	s_xor_b64 s[18:19], exec, s[18:19]
	s_cbranch_execz .LBB264_1209
; %bb.1190:
	s_movk_i32 s16, 0x80
	v_cmp_eq_u16_e32 vcc, s16, v1
	s_mov_b64 s[16:17], -1
	s_and_saveexec_b64 s[20:21], vcc
; %bb.1191:
	s_xor_b64 s[16:17], exec, -1
; %bb.1192:
	s_or_b64 exec, exec, s[20:21]
	s_and_b64 s[16:17], s[16:17], exec
	s_or_saveexec_b64 s[18:19], s[18:19]
	v_mov_b32_e32 v6, 0x7e00
	s_xor_b64 exec, exec, s[18:19]
	s_cbranch_execnz .LBB264_1210
.LBB264_1193:
	s_or_b64 exec, exec, s[18:19]
	s_and_saveexec_b64 s[18:19], s[16:17]
	s_cbranch_execz .LBB264_1195
.LBB264_1194:
	v_lshlrev_b32_e32 v6, 24, v1
	v_and_b32_e32 v1, 0xffff, v1
	v_and_b32_e32 v7, 7, v1
	v_ffbh_u32_e32 v9, v7
	v_min_u32_e32 v9, 32, v9
	v_subrev_u32_e32 v10, 28, v9
	v_bfe_u32 v8, v1, 3, 4
	v_lshlrev_b32_e32 v1, v10, v1
	v_sub_u32_e32 v9, 29, v9
	v_and_b32_e32 v1, 7, v1
	v_cmp_eq_u32_e32 vcc, 0, v8
	v_and_b32_e32 v6, 0x80000000, v6
	s_nop 0
	v_cndmask_b32_e32 v8, v8, v9, vcc
	v_cndmask_b32_e32 v1, v7, v1, vcc
	v_mov_b32_e32 v7, 0x3b800000
	v_lshlrev_b32_e32 v1, 20, v1
	v_lshl_add_u32 v7, v8, 23, v7
	v_or3_b32 v1, v6, v7, v1
	v_cvt_f16_f32_e32 v6, v1
.LBB264_1195:
	s_or_b64 exec, exec, s[18:19]
.LBB264_1196:
	s_mov_b64 s[16:17], -1
.LBB264_1197:
	s_branch .LBB264_1230
.LBB264_1198:
	s_cmp_gt_i32 s22, 22
	s_cbranch_scc0 .LBB264_1208
; %bb.1199:
	s_cmp_lt_i32 s22, 24
	s_cbranch_scc1 .LBB264_1211
; %bb.1200:
	s_cmp_gt_i32 s22, 24
	s_cbranch_scc0 .LBB264_1212
; %bb.1201:
	global_load_ubyte v1, v[2:3], off
	s_movk_i32 s10, 0x7f
	s_waitcnt vmcnt(0)
	v_cmp_lt_i16_e32 vcc, s10, v1
	s_mov_b64 s[10:11], 0
	s_and_saveexec_b64 s[16:17], vcc
	s_xor_b64 s[16:17], exec, s[16:17]
	s_cbranch_execz .LBB264_1224
; %bb.1202:
	s_movk_i32 s10, 0x80
	v_cmp_eq_u16_e32 vcc, s10, v1
	s_mov_b64 s[10:11], -1
	s_and_saveexec_b64 s[18:19], vcc
; %bb.1203:
	s_xor_b64 s[10:11], exec, -1
; %bb.1204:
	s_or_b64 exec, exec, s[18:19]
	s_and_b64 s[10:11], s[10:11], exec
	s_or_saveexec_b64 s[16:17], s[16:17]
	v_mov_b32_e32 v6, 0x7e00
	s_xor_b64 exec, exec, s[16:17]
	s_cbranch_execnz .LBB264_1225
.LBB264_1205:
	s_or_b64 exec, exec, s[16:17]
	s_and_saveexec_b64 s[16:17], s[10:11]
	s_cbranch_execz .LBB264_1207
.LBB264_1206:
	v_lshlrev_b32_e32 v6, 24, v1
	v_and_b32_e32 v1, 0xffff, v1
	v_and_b32_e32 v7, 3, v1
	v_ffbh_u32_e32 v9, v7
	v_min_u32_e32 v9, 32, v9
	v_subrev_u32_e32 v10, 29, v9
	v_bfe_u32 v8, v1, 2, 5
	v_lshlrev_b32_e32 v1, v10, v1
	v_sub_u32_e32 v9, 30, v9
	v_and_b32_e32 v1, 3, v1
	v_cmp_eq_u32_e32 vcc, 0, v8
	v_and_b32_e32 v6, 0x80000000, v6
	s_nop 0
	v_cndmask_b32_e32 v8, v8, v9, vcc
	v_cndmask_b32_e32 v1, v7, v1, vcc
	v_mov_b32_e32 v7, 0x37800000
	v_lshlrev_b32_e32 v1, 21, v1
	v_lshl_add_u32 v7, v8, 23, v7
	v_or3_b32 v1, v6, v7, v1
	v_cvt_f16_f32_e32 v6, v1
.LBB264_1207:
	s_or_b64 exec, exec, s[16:17]
	s_mov_b64 s[10:11], 0
	s_branch .LBB264_1213
.LBB264_1208:
	s_mov_b64 s[10:11], -1
                                        ; implicit-def: $vgpr6
	s_branch .LBB264_1219
.LBB264_1209:
	s_or_saveexec_b64 s[18:19], s[18:19]
	v_mov_b32_e32 v6, 0x7e00
	s_xor_b64 exec, exec, s[18:19]
	s_cbranch_execz .LBB264_1193
.LBB264_1210:
	v_cmp_ne_u16_e32 vcc, 0, v1
	s_andn2_b64 s[16:17], s[16:17], exec
	s_and_b64 s[20:21], vcc, exec
	s_or_b64 s[16:17], s[16:17], s[20:21]
	v_mov_b32_e32 v6, v1
	s_or_b64 exec, exec, s[18:19]
	s_and_saveexec_b64 s[18:19], s[16:17]
	s_cbranch_execnz .LBB264_1194
	s_branch .LBB264_1195
.LBB264_1211:
	s_mov_b64 s[10:11], -1
                                        ; implicit-def: $vgpr6
	s_branch .LBB264_1216
.LBB264_1212:
	s_mov_b64 s[10:11], -1
                                        ; implicit-def: $vgpr6
.LBB264_1213:
	s_and_b64 vcc, exec, s[10:11]
	s_cbranch_vccz .LBB264_1215
; %bb.1214:
	global_load_ubyte v1, v[2:3], off
	s_mov_b32 s10, 0x7f800000
	s_waitcnt vmcnt(0)
	v_lshlrev_b32_e32 v1, 24, v1
	v_and_b32_e32 v6, 0x7f000000, v1
	v_ffbh_u32_e32 v7, v6
	v_min_u32_e32 v7, 32, v7
	v_sub_u32_e64 v7, v7, 4 clamp
	v_lshlrev_b32_e32 v9, v7, v6
	v_lshlrev_b32_e32 v7, 23, v7
	v_lshrrev_b32_e32 v9, 4, v9
	v_add_u32_e32 v8, 0x1000000, v6
	v_sub_u32_e32 v7, v9, v7
	v_ashrrev_i32_e32 v8, 8, v8
	v_add_u32_e32 v7, 0x3c000000, v7
	v_and_or_b32 v7, v8, s10, v7
	v_cmp_ne_u32_e32 vcc, 0, v6
	s_brev_b32 s10, 1
	s_nop 0
	v_cndmask_b32_e32 v6, 0, v7, vcc
	v_and_or_b32 v1, v1, s10, v6
	v_cvt_f16_f32_e32 v6, v1
.LBB264_1215:
	s_mov_b64 s[10:11], 0
.LBB264_1216:
	s_andn2_b64 vcc, exec, s[10:11]
	s_cbranch_vccnz .LBB264_1218
; %bb.1217:
	global_load_ubyte v1, v[2:3], off
	s_movk_i32 s10, 0x7f00
	s_brev_b32 s11, 16
	s_waitcnt vmcnt(0)
	v_lshlrev_b16_e32 v6, 8, v1
	v_lshlrev_b32_e32 v1, 25, v1
	v_lshrrev_b32_e32 v7, 4, v1
	v_and_or_b32 v8, v6, s10, 0.5
	v_or_b32_e32 v7, 0x70000000, v7
	v_add_f32_e32 v8, -0.5, v8
	v_mul_f32_e32 v7, 0x7800000, v7
	v_cmp_gt_u32_e32 vcc, s11, v1
	v_bfe_i32 v6, v6, 0, 16
	s_brev_b32 s10, 1
	v_cndmask_b32_e32 v1, v7, v8, vcc
	v_and_or_b32 v1, v6, s10, v1
	v_cvt_f16_f32_e32 v6, v1
.LBB264_1218:
	s_mov_b64 s[10:11], 0
	s_mov_b64 s[16:17], -1
.LBB264_1219:
	s_andn2_b64 vcc, exec, s[10:11]
	s_mov_b64 s[10:11], 0
	s_cbranch_vccnz .LBB264_1230
; %bb.1220:
	s_cmp_gt_i32 s22, 14
	s_cbranch_scc0 .LBB264_1223
; %bb.1221:
	s_cmp_eq_u32 s22, 15
	s_cbranch_scc0 .LBB264_1226
; %bb.1222:
	global_load_ushort v1, v[2:3], off
	s_mov_b64 s[0:1], 0
	s_mov_b64 s[16:17], -1
	s_waitcnt vmcnt(0)
	v_lshlrev_b32_e32 v1, 16, v1
	v_cvt_f16_f32_e32 v6, v1
	s_branch .LBB264_1227
.LBB264_1223:
	s_mov_b64 s[18:19], -1
                                        ; implicit-def: $vgpr6
	s_branch .LBB264_1228
.LBB264_1224:
	s_or_saveexec_b64 s[16:17], s[16:17]
	v_mov_b32_e32 v6, 0x7e00
	s_xor_b64 exec, exec, s[16:17]
	s_cbranch_execz .LBB264_1205
.LBB264_1225:
	v_cmp_ne_u16_e32 vcc, 0, v1
	s_andn2_b64 s[10:11], s[10:11], exec
	s_and_b64 s[18:19], vcc, exec
	s_or_b64 s[10:11], s[10:11], s[18:19]
	v_mov_b32_e32 v6, v1
	s_or_b64 exec, exec, s[16:17]
	s_and_saveexec_b64 s[16:17], s[10:11]
	s_cbranch_execnz .LBB264_1206
	s_branch .LBB264_1207
.LBB264_1226:
	s_mov_b64 s[0:1], -1
                                        ; implicit-def: $vgpr6
.LBB264_1227:
	s_mov_b64 s[18:19], 0
.LBB264_1228:
	s_and_b64 vcc, exec, s[18:19]
	s_cbranch_vccz .LBB264_1230
; %bb.1229:
	s_cmp_lg_u32 s22, 11
	s_mov_b64 s[10:11], -1
	s_cselect_b64 s[0:1], -1, 0
.LBB264_1230:
	s_and_b64 vcc, exec, s[0:1]
	s_cbranch_vccnz .LBB264_1293
; %bb.1231:
	s_andn2_b64 vcc, exec, s[10:11]
	s_cbranch_vccnz .LBB264_1233
.LBB264_1232:
	global_load_ubyte v1, v[2:3], off
	v_mov_b32_e32 v6, 0x3c00
	s_mov_b64 s[16:17], -1
	s_waitcnt vmcnt(0)
	v_cmp_ne_u16_e32 vcc, 0, v1
	s_nop 1
	v_cndmask_b32_e32 v6, 0, v6, vcc
.LBB264_1233:
	s_branch .LBB264_1160
.LBB264_1234:
	s_cmp_lt_i32 s22, 5
	s_cbranch_scc1 .LBB264_1239
; %bb.1235:
	s_cmp_lt_i32 s22, 8
	s_cbranch_scc1 .LBB264_1240
; %bb.1236:
	;; [unrolled: 3-line block ×3, first 2 shown]
	s_cmp_gt_i32 s22, 9
	s_cbranch_scc0 .LBB264_1242
; %bb.1238:
	global_load_dwordx2 v[6:7], v[2:3], off
	s_movk_i32 s0, 0x1ff
	s_movk_i32 s1, 0xffe
	v_mov_b32_e32 v1, 0x7c00
	v_mov_b32_e32 v8, 0x7e00
	s_movk_i32 s10, 0x40f
	s_mov_b32 s11, 0x8000
	s_waitcnt vmcnt(0)
	v_and_or_b32 v6, v7, s0, v6
	v_cmp_ne_u32_e32 vcc, 0, v6
	v_lshrrev_b32_e32 v9, 8, v7
	v_bfe_u32 v10, v7, 20, 11
	v_cndmask_b32_e64 v6, 0, 1, vcc
	v_sub_u32_e32 v11, 0x3f1, v10
	v_and_or_b32 v6, v9, s1, v6
	v_add_u32_e32 v10, 0xfffffc10, v10
	v_med3_i32 v9, v11, 0, 13
	v_or_b32_e32 v11, 0x1000, v6
	v_cmp_ne_u32_e32 vcc, 0, v6
	v_lshl_or_b32 v12, v10, 12, v6
	v_lshrrev_b32_e32 v7, 16, v7
	v_cndmask_b32_e32 v6, v1, v8, vcc
	v_lshrrev_b32_e32 v8, v9, v11
	v_lshlrev_b32_e32 v9, v9, v8
	v_cmp_ne_u32_e32 vcc, v9, v11
	s_mov_b64 s[0:1], 0
	s_nop 0
	v_cndmask_b32_e64 v9, 0, 1, vcc
	v_or_b32_e32 v8, v8, v9
	v_cmp_gt_i32_e32 vcc, 1, v10
	s_nop 1
	v_cndmask_b32_e32 v8, v12, v8, vcc
	v_and_b32_e32 v9, 7, v8
	v_cmp_lt_i32_e32 vcc, 5, v9
	v_lshrrev_b32_e32 v8, 2, v8
	s_nop 0
	v_cndmask_b32_e64 v11, 0, 1, vcc
	v_cmp_eq_u32_e32 vcc, 3, v9
	s_nop 1
	v_cndmask_b32_e64 v9, 0, 1, vcc
	v_or_b32_e32 v9, v9, v11
	v_add_u32_e32 v8, v8, v9
	v_cmp_gt_i32_e32 vcc, 31, v10
	s_nop 1
	v_cndmask_b32_e32 v1, v1, v8, vcc
	v_cmp_eq_u32_e32 vcc, s10, v10
	s_nop 1
	v_cndmask_b32_e32 v1, v1, v6, vcc
	v_and_or_b32 v6, v7, s11, v1
	s_branch .LBB264_1243
.LBB264_1239:
                                        ; implicit-def: $vgpr6
	s_branch .LBB264_1261
.LBB264_1240:
	s_mov_b64 s[0:1], -1
                                        ; implicit-def: $vgpr6
	s_branch .LBB264_1249
.LBB264_1241:
	s_mov_b64 s[0:1], -1
                                        ; implicit-def: $vgpr6
	s_branch .LBB264_1246
.LBB264_1242:
	s_mov_b64 s[0:1], -1
                                        ; implicit-def: $vgpr6
.LBB264_1243:
	s_andn2_b64 vcc, exec, s[0:1]
	s_cbranch_vccnz .LBB264_1245
; %bb.1244:
	global_load_dword v1, v[2:3], off
	s_waitcnt vmcnt(0)
	v_cvt_f16_f32_e32 v6, v1
.LBB264_1245:
	s_mov_b64 s[0:1], 0
.LBB264_1246:
	s_andn2_b64 vcc, exec, s[0:1]
	s_cbranch_vccnz .LBB264_1248
; %bb.1247:
	global_load_dword v6, v[2:3], off
.LBB264_1248:
	s_mov_b64 s[0:1], 0
.LBB264_1249:
	s_andn2_b64 vcc, exec, s[0:1]
	s_cbranch_vccnz .LBB264_1260
; %bb.1250:
	s_cmp_lt_i32 s22, 6
	s_cbranch_scc1 .LBB264_1253
; %bb.1251:
	s_cmp_gt_i32 s22, 6
	s_cbranch_scc0 .LBB264_1254
; %bb.1252:
	global_load_dwordx2 v[6:7], v[2:3], off
	s_movk_i32 s0, 0x1ff
	s_movk_i32 s1, 0xffe
	v_mov_b32_e32 v1, 0x7c00
	v_mov_b32_e32 v8, 0x7e00
	s_movk_i32 s10, 0x40f
	s_mov_b32 s11, 0x8000
	s_waitcnt vmcnt(0)
	v_and_or_b32 v6, v7, s0, v6
	v_cmp_ne_u32_e32 vcc, 0, v6
	v_lshrrev_b32_e32 v9, 8, v7
	v_bfe_u32 v10, v7, 20, 11
	v_cndmask_b32_e64 v6, 0, 1, vcc
	v_sub_u32_e32 v11, 0x3f1, v10
	v_and_or_b32 v6, v9, s1, v6
	v_add_u32_e32 v10, 0xfffffc10, v10
	v_med3_i32 v9, v11, 0, 13
	v_or_b32_e32 v11, 0x1000, v6
	v_cmp_ne_u32_e32 vcc, 0, v6
	v_lshl_or_b32 v12, v10, 12, v6
	v_lshrrev_b32_e32 v7, 16, v7
	v_cndmask_b32_e32 v6, v1, v8, vcc
	v_lshrrev_b32_e32 v8, v9, v11
	v_lshlrev_b32_e32 v9, v9, v8
	v_cmp_ne_u32_e32 vcc, v9, v11
	s_mov_b64 s[0:1], 0
	s_nop 0
	v_cndmask_b32_e64 v9, 0, 1, vcc
	v_or_b32_e32 v8, v8, v9
	v_cmp_gt_i32_e32 vcc, 1, v10
	s_nop 1
	v_cndmask_b32_e32 v8, v12, v8, vcc
	v_and_b32_e32 v9, 7, v8
	v_cmp_lt_i32_e32 vcc, 5, v9
	v_lshrrev_b32_e32 v8, 2, v8
	s_nop 0
	v_cndmask_b32_e64 v11, 0, 1, vcc
	v_cmp_eq_u32_e32 vcc, 3, v9
	s_nop 1
	v_cndmask_b32_e64 v9, 0, 1, vcc
	v_or_b32_e32 v9, v9, v11
	v_add_u32_e32 v8, v8, v9
	v_cmp_gt_i32_e32 vcc, 31, v10
	s_nop 1
	v_cndmask_b32_e32 v1, v1, v8, vcc
	v_cmp_eq_u32_e32 vcc, s10, v10
	s_nop 1
	v_cndmask_b32_e32 v1, v1, v6, vcc
	v_and_or_b32 v6, v7, s11, v1
	s_branch .LBB264_1255
.LBB264_1253:
	s_mov_b64 s[0:1], -1
                                        ; implicit-def: $vgpr6
	s_branch .LBB264_1258
.LBB264_1254:
	s_mov_b64 s[0:1], -1
                                        ; implicit-def: $vgpr6
.LBB264_1255:
	s_andn2_b64 vcc, exec, s[0:1]
	s_cbranch_vccnz .LBB264_1257
; %bb.1256:
	global_load_dword v1, v[2:3], off
	s_waitcnt vmcnt(0)
	v_cvt_f16_f32_e32 v6, v1
.LBB264_1257:
	s_mov_b64 s[0:1], 0
.LBB264_1258:
	s_andn2_b64 vcc, exec, s[0:1]
	s_cbranch_vccnz .LBB264_1260
; %bb.1259:
	global_load_ushort v6, v[2:3], off
.LBB264_1260:
	s_cbranch_execnz .LBB264_1280
.LBB264_1261:
	s_cmp_lt_i32 s22, 2
	s_cbranch_scc1 .LBB264_1265
; %bb.1262:
	s_cmp_lt_i32 s22, 3
	s_cbranch_scc1 .LBB264_1266
; %bb.1263:
	s_cmp_gt_i32 s22, 3
	s_cbranch_scc0 .LBB264_1267
; %bb.1264:
	global_load_dwordx2 v[6:7], v[2:3], off
	s_mov_b64 s[0:1], 0
	s_waitcnt vmcnt(0)
	v_xor_b32_e32 v8, v6, v7
	v_ffbh_i32_e32 v1, v7
	v_ashrrev_i32_e32 v8, 31, v8
	v_add_u32_e32 v1, -1, v1
	v_add_u32_e32 v8, 32, v8
	v_min_u32_e32 v1, v1, v8
	v_lshlrev_b64 v[6:7], v1, v[6:7]
	v_min_u32_e32 v6, 1, v6
	v_or_b32_e32 v6, v7, v6
	v_cvt_f32_i32_e32 v6, v6
	v_sub_u32_e32 v1, 32, v1
	v_ldexp_f32 v1, v6, v1
	v_cvt_f16_f32_e32 v6, v1
	s_branch .LBB264_1268
.LBB264_1265:
	s_mov_b64 s[0:1], -1
                                        ; implicit-def: $vgpr6
	s_branch .LBB264_1274
.LBB264_1266:
	s_mov_b64 s[0:1], -1
                                        ; implicit-def: $vgpr6
	s_branch .LBB264_1271
.LBB264_1267:
	s_mov_b64 s[0:1], -1
                                        ; implicit-def: $vgpr6
.LBB264_1268:
	s_andn2_b64 vcc, exec, s[0:1]
	s_cbranch_vccnz .LBB264_1270
; %bb.1269:
	global_load_dword v1, v[2:3], off
	s_waitcnt vmcnt(0)
	v_cvt_f32_i32_e32 v1, v1
	v_cvt_f16_f32_e32 v6, v1
.LBB264_1270:
	s_mov_b64 s[0:1], 0
.LBB264_1271:
	s_andn2_b64 vcc, exec, s[0:1]
	s_cbranch_vccnz .LBB264_1273
; %bb.1272:
	global_load_ushort v1, v[2:3], off
	s_waitcnt vmcnt(0)
	v_cvt_f16_i16_e32 v6, v1
.LBB264_1273:
	s_mov_b64 s[0:1], 0
.LBB264_1274:
	s_andn2_b64 vcc, exec, s[0:1]
	s_cbranch_vccnz .LBB264_1280
; %bb.1275:
	s_cmp_gt_i32 s22, 0
	s_cbranch_scc0 .LBB264_1277
; %bb.1276:
	global_load_sbyte v1, v[2:3], off
	s_mov_b64 s[0:1], 0
	s_waitcnt vmcnt(0)
	v_cvt_f16_i16_e32 v6, v1
	s_branch .LBB264_1278
.LBB264_1277:
	s_mov_b64 s[0:1], -1
                                        ; implicit-def: $vgpr6
.LBB264_1278:
	s_andn2_b64 vcc, exec, s[0:1]
	s_cbranch_vccnz .LBB264_1280
; %bb.1279:
	global_load_ubyte v1, v[2:3], off
	s_waitcnt vmcnt(0)
	v_cvt_f16_u16_e32 v6, v1
.LBB264_1280:
.LBB264_1281:
	v_add_u32_e32 v0, s9, v0
	v_ashrrev_i32_e32 v1, 31, v0
	s_cmp_lt_i32 s22, 11
	v_lshl_add_u64 v[2:3], s[6:7], 0, v[0:1]
	s_cbranch_scc1 .LBB264_1288
; %bb.1282:
	s_cmp_gt_i32 s22, 25
	s_mov_b64 s[10:11], 0
	s_cbranch_scc0 .LBB264_1290
; %bb.1283:
	s_cmp_gt_i32 s22, 28
	s_cbranch_scc0 .LBB264_1291
; %bb.1284:
	s_cmp_gt_i32 s22, 43
	;; [unrolled: 3-line block ×3, first 2 shown]
	s_cbranch_scc0 .LBB264_1294
; %bb.1286:
	s_cmp_eq_u32 s22, 46
	s_mov_b64 s[18:19], 0
	s_cbranch_scc0 .LBB264_1295
; %bb.1287:
	global_load_dword v1, v[2:3], off
	s_mov_b64 s[0:1], 0
	s_mov_b64 s[16:17], -1
	s_waitcnt vmcnt(0)
	v_lshlrev_b32_e32 v1, 16, v1
	v_cvt_f16_f32_e32 v7, v1
	s_branch .LBB264_1296
.LBB264_1288:
	s_mov_b64 s[16:17], 0
                                        ; implicit-def: $vgpr7
	s_cbranch_execnz .LBB264_1362
.LBB264_1289:
	s_andn2_b64 vcc, exec, s[16:17]
	s_cbranch_vccnz .LBB264_1973
	s_branch .LBB264_1410
.LBB264_1290:
	s_mov_b64 s[18:19], -1
	s_mov_b64 s[16:17], 0
	s_mov_b64 s[0:1], 0
                                        ; implicit-def: $vgpr7
	s_branch .LBB264_1325
.LBB264_1291:
	s_mov_b64 s[18:19], -1
	s_mov_b64 s[16:17], 0
	s_mov_b64 s[0:1], 0
                                        ; implicit-def: $vgpr7
	s_branch .LBB264_1306
.LBB264_1292:
	s_mov_b64 s[18:19], -1
	s_mov_b64 s[16:17], 0
	s_mov_b64 s[0:1], 0
                                        ; implicit-def: $vgpr7
	s_branch .LBB264_1301
.LBB264_1293:
	s_trap 2
	s_or_b64 s[14:15], s[14:15], exec
	s_cbranch_execz .LBB264_1232
	s_branch .LBB264_1233
.LBB264_1294:
	s_mov_b64 s[18:19], -1
	s_mov_b64 s[16:17], 0
	s_mov_b64 s[0:1], 0
                                        ; implicit-def: $vgpr7
	s_branch .LBB264_1296
.LBB264_1295:
	s_mov_b64 s[0:1], -1
                                        ; implicit-def: $vgpr7
	s_mov_b64 s[16:17], 0
.LBB264_1296:
	s_and_b64 vcc, exec, s[18:19]
	s_cbranch_vccz .LBB264_1300
; %bb.1297:
	s_cmp_eq_u32 s22, 44
	s_cbranch_scc0 .LBB264_1299
; %bb.1298:
	global_load_ubyte v1, v[2:3], off
	s_movk_i32 s16, 0xff
	v_mov_b32_e32 v8, 0x7e00
	s_mov_b64 s[0:1], 0
	s_waitcnt vmcnt(0)
	v_lshlrev_b32_e32 v7, 23, v1
	v_cvt_f16_f32_e32 v7, v7
	v_cmp_ne_u32_e32 vcc, s16, v1
	s_mov_b64 s[16:17], -1
	s_nop 0
	v_cndmask_b32_e32 v7, v8, v7, vcc
	v_cmp_ne_u32_e32 vcc, 0, v1
	s_nop 1
	v_cndmask_b32_e32 v7, 0, v7, vcc
	s_branch .LBB264_1300
.LBB264_1299:
	s_mov_b64 s[0:1], -1
                                        ; implicit-def: $vgpr7
.LBB264_1300:
	s_mov_b64 s[18:19], 0
.LBB264_1301:
	s_and_b64 vcc, exec, s[18:19]
	s_cbranch_vccz .LBB264_1305
; %bb.1302:
	s_cmp_eq_u32 s22, 29
	s_cbranch_scc0 .LBB264_1304
; %bb.1303:
	global_load_dwordx2 v[8:9], v[2:3], off
	s_mov_b64 s[0:1], 0
	s_mov_b64 s[16:17], -1
	s_mov_b64 s[18:19], 0
	s_waitcnt vmcnt(0)
	v_ffbh_u32_e32 v1, v9
	v_min_u32_e32 v1, 32, v1
	v_lshlrev_b64 v[8:9], v1, v[8:9]
	v_min_u32_e32 v7, 1, v8
	v_or_b32_e32 v7, v9, v7
	v_cvt_f32_u32_e32 v7, v7
	v_sub_u32_e32 v1, 32, v1
	v_ldexp_f32 v1, v7, v1
	v_cvt_f16_f32_e32 v7, v1
	s_branch .LBB264_1306
.LBB264_1304:
	s_mov_b64 s[0:1], -1
                                        ; implicit-def: $vgpr7
.LBB264_1305:
	s_mov_b64 s[18:19], 0
.LBB264_1306:
	s_and_b64 vcc, exec, s[18:19]
	s_cbranch_vccz .LBB264_1324
; %bb.1307:
	s_cmp_lt_i32 s22, 27
	s_cbranch_scc1 .LBB264_1310
; %bb.1308:
	s_cmp_gt_i32 s22, 27
	s_cbranch_scc0 .LBB264_1311
; %bb.1309:
	global_load_dword v1, v[2:3], off
	s_mov_b64 s[16:17], 0
	s_waitcnt vmcnt(0)
	v_cvt_f32_u32_e32 v1, v1
	v_cvt_f16_f32_e32 v7, v1
	s_branch .LBB264_1312
.LBB264_1310:
	s_mov_b64 s[16:17], -1
                                        ; implicit-def: $vgpr7
	s_branch .LBB264_1315
.LBB264_1311:
	s_mov_b64 s[16:17], -1
                                        ; implicit-def: $vgpr7
.LBB264_1312:
	s_andn2_b64 vcc, exec, s[16:17]
	s_cbranch_vccnz .LBB264_1314
; %bb.1313:
	global_load_ushort v1, v[2:3], off
	s_waitcnt vmcnt(0)
	v_cvt_f16_u16_e32 v7, v1
.LBB264_1314:
	s_mov_b64 s[16:17], 0
.LBB264_1315:
	s_andn2_b64 vcc, exec, s[16:17]
	s_cbranch_vccnz .LBB264_1323
; %bb.1316:
	global_load_ubyte v1, v[2:3], off
	s_movk_i32 s16, 0x7f
	s_waitcnt vmcnt(0)
	v_cmp_lt_i16_e32 vcc, s16, v1
	s_mov_b64 s[16:17], 0
	s_and_saveexec_b64 s[18:19], vcc
	s_xor_b64 s[18:19], exec, s[18:19]
	s_cbranch_execz .LBB264_1337
; %bb.1317:
	s_movk_i32 s16, 0x80
	v_cmp_eq_u16_e32 vcc, s16, v1
	s_mov_b64 s[16:17], -1
	s_and_saveexec_b64 s[20:21], vcc
; %bb.1318:
	s_xor_b64 s[16:17], exec, -1
; %bb.1319:
	s_or_b64 exec, exec, s[20:21]
	s_and_b64 s[16:17], s[16:17], exec
	s_or_saveexec_b64 s[18:19], s[18:19]
	v_mov_b32_e32 v7, 0x7e00
	s_xor_b64 exec, exec, s[18:19]
	s_cbranch_execnz .LBB264_1338
.LBB264_1320:
	s_or_b64 exec, exec, s[18:19]
	s_and_saveexec_b64 s[18:19], s[16:17]
	s_cbranch_execz .LBB264_1322
.LBB264_1321:
	v_lshlrev_b32_e32 v7, 24, v1
	v_and_b32_e32 v1, 0xffff, v1
	v_and_b32_e32 v8, 7, v1
	v_ffbh_u32_e32 v10, v8
	v_min_u32_e32 v10, 32, v10
	v_subrev_u32_e32 v11, 28, v10
	v_bfe_u32 v9, v1, 3, 4
	v_lshlrev_b32_e32 v1, v11, v1
	v_sub_u32_e32 v10, 29, v10
	v_and_b32_e32 v1, 7, v1
	v_cmp_eq_u32_e32 vcc, 0, v9
	v_and_b32_e32 v7, 0x80000000, v7
	s_nop 0
	v_cndmask_b32_e32 v9, v9, v10, vcc
	v_cndmask_b32_e32 v1, v8, v1, vcc
	v_mov_b32_e32 v8, 0x3b800000
	v_lshlrev_b32_e32 v1, 20, v1
	v_lshl_add_u32 v8, v9, 23, v8
	v_or3_b32 v1, v7, v8, v1
	v_cvt_f16_f32_e32 v7, v1
.LBB264_1322:
	s_or_b64 exec, exec, s[18:19]
.LBB264_1323:
	s_mov_b64 s[16:17], -1
.LBB264_1324:
	s_mov_b64 s[18:19], 0
.LBB264_1325:
	s_and_b64 vcc, exec, s[18:19]
	s_cbranch_vccz .LBB264_1358
; %bb.1326:
	s_cmp_gt_i32 s22, 22
	s_cbranch_scc0 .LBB264_1336
; %bb.1327:
	s_cmp_lt_i32 s22, 24
	s_cbranch_scc1 .LBB264_1339
; %bb.1328:
	s_cmp_gt_i32 s22, 24
	s_cbranch_scc0 .LBB264_1340
; %bb.1329:
	global_load_ubyte v1, v[2:3], off
	s_movk_i32 s10, 0x7f
	s_waitcnt vmcnt(0)
	v_cmp_lt_i16_e32 vcc, s10, v1
	s_mov_b64 s[10:11], 0
	s_and_saveexec_b64 s[16:17], vcc
	s_xor_b64 s[16:17], exec, s[16:17]
	s_cbranch_execz .LBB264_1352
; %bb.1330:
	s_movk_i32 s10, 0x80
	v_cmp_eq_u16_e32 vcc, s10, v1
	s_mov_b64 s[10:11], -1
	s_and_saveexec_b64 s[18:19], vcc
; %bb.1331:
	s_xor_b64 s[10:11], exec, -1
; %bb.1332:
	s_or_b64 exec, exec, s[18:19]
	s_and_b64 s[10:11], s[10:11], exec
	s_or_saveexec_b64 s[16:17], s[16:17]
	v_mov_b32_e32 v7, 0x7e00
	s_xor_b64 exec, exec, s[16:17]
	s_cbranch_execnz .LBB264_1353
.LBB264_1333:
	s_or_b64 exec, exec, s[16:17]
	s_and_saveexec_b64 s[16:17], s[10:11]
	s_cbranch_execz .LBB264_1335
.LBB264_1334:
	v_lshlrev_b32_e32 v7, 24, v1
	v_and_b32_e32 v1, 0xffff, v1
	v_and_b32_e32 v8, 3, v1
	v_ffbh_u32_e32 v10, v8
	v_min_u32_e32 v10, 32, v10
	v_subrev_u32_e32 v11, 29, v10
	v_bfe_u32 v9, v1, 2, 5
	v_lshlrev_b32_e32 v1, v11, v1
	v_sub_u32_e32 v10, 30, v10
	v_and_b32_e32 v1, 3, v1
	v_cmp_eq_u32_e32 vcc, 0, v9
	v_and_b32_e32 v7, 0x80000000, v7
	s_nop 0
	v_cndmask_b32_e32 v9, v9, v10, vcc
	v_cndmask_b32_e32 v1, v8, v1, vcc
	v_mov_b32_e32 v8, 0x37800000
	v_lshlrev_b32_e32 v1, 21, v1
	v_lshl_add_u32 v8, v9, 23, v8
	v_or3_b32 v1, v7, v8, v1
	v_cvt_f16_f32_e32 v7, v1
.LBB264_1335:
	s_or_b64 exec, exec, s[16:17]
	s_mov_b64 s[10:11], 0
	s_branch .LBB264_1341
.LBB264_1336:
	s_mov_b64 s[10:11], -1
                                        ; implicit-def: $vgpr7
	s_branch .LBB264_1347
.LBB264_1337:
	s_or_saveexec_b64 s[18:19], s[18:19]
	v_mov_b32_e32 v7, 0x7e00
	s_xor_b64 exec, exec, s[18:19]
	s_cbranch_execz .LBB264_1320
.LBB264_1338:
	v_cmp_ne_u16_e32 vcc, 0, v1
	s_andn2_b64 s[16:17], s[16:17], exec
	s_and_b64 s[20:21], vcc, exec
	s_or_b64 s[16:17], s[16:17], s[20:21]
	v_mov_b32_e32 v7, v1
	s_or_b64 exec, exec, s[18:19]
	s_and_saveexec_b64 s[18:19], s[16:17]
	s_cbranch_execnz .LBB264_1321
	s_branch .LBB264_1322
.LBB264_1339:
	s_mov_b64 s[10:11], -1
                                        ; implicit-def: $vgpr7
	s_branch .LBB264_1344
.LBB264_1340:
	s_mov_b64 s[10:11], -1
                                        ; implicit-def: $vgpr7
.LBB264_1341:
	s_and_b64 vcc, exec, s[10:11]
	s_cbranch_vccz .LBB264_1343
; %bb.1342:
	global_load_ubyte v1, v[2:3], off
	s_mov_b32 s10, 0x7f800000
	s_waitcnt vmcnt(0)
	v_lshlrev_b32_e32 v1, 24, v1
	v_and_b32_e32 v7, 0x7f000000, v1
	v_ffbh_u32_e32 v8, v7
	v_min_u32_e32 v8, 32, v8
	v_sub_u32_e64 v8, v8, 4 clamp
	v_lshlrev_b32_e32 v10, v8, v7
	v_lshlrev_b32_e32 v8, 23, v8
	v_lshrrev_b32_e32 v10, 4, v10
	v_add_u32_e32 v9, 0x1000000, v7
	v_sub_u32_e32 v8, v10, v8
	v_ashrrev_i32_e32 v9, 8, v9
	v_add_u32_e32 v8, 0x3c000000, v8
	v_and_or_b32 v8, v9, s10, v8
	v_cmp_ne_u32_e32 vcc, 0, v7
	s_brev_b32 s10, 1
	s_nop 0
	v_cndmask_b32_e32 v7, 0, v8, vcc
	v_and_or_b32 v1, v1, s10, v7
	v_cvt_f16_f32_e32 v7, v1
.LBB264_1343:
	s_mov_b64 s[10:11], 0
.LBB264_1344:
	s_andn2_b64 vcc, exec, s[10:11]
	s_cbranch_vccnz .LBB264_1346
; %bb.1345:
	global_load_ubyte v1, v[2:3], off
	s_movk_i32 s10, 0x7f00
	s_brev_b32 s11, 16
	s_waitcnt vmcnt(0)
	v_lshlrev_b16_e32 v7, 8, v1
	v_lshlrev_b32_e32 v1, 25, v1
	v_lshrrev_b32_e32 v8, 4, v1
	v_and_or_b32 v9, v7, s10, 0.5
	v_or_b32_e32 v8, 0x70000000, v8
	v_add_f32_e32 v9, -0.5, v9
	v_mul_f32_e32 v8, 0x7800000, v8
	v_cmp_gt_u32_e32 vcc, s11, v1
	v_bfe_i32 v7, v7, 0, 16
	s_brev_b32 s10, 1
	v_cndmask_b32_e32 v1, v8, v9, vcc
	v_and_or_b32 v1, v7, s10, v1
	v_cvt_f16_f32_e32 v7, v1
.LBB264_1346:
	s_mov_b64 s[10:11], 0
	s_mov_b64 s[16:17], -1
.LBB264_1347:
	s_andn2_b64 vcc, exec, s[10:11]
	s_mov_b64 s[10:11], 0
	s_cbranch_vccnz .LBB264_1358
; %bb.1348:
	s_cmp_gt_i32 s22, 14
	s_cbranch_scc0 .LBB264_1351
; %bb.1349:
	s_cmp_eq_u32 s22, 15
	s_cbranch_scc0 .LBB264_1354
; %bb.1350:
	global_load_ushort v1, v[2:3], off
	s_mov_b64 s[0:1], 0
	s_mov_b64 s[16:17], -1
	s_waitcnt vmcnt(0)
	v_lshlrev_b32_e32 v1, 16, v1
	v_cvt_f16_f32_e32 v7, v1
	s_branch .LBB264_1355
.LBB264_1351:
	s_mov_b64 s[18:19], -1
                                        ; implicit-def: $vgpr7
	s_branch .LBB264_1356
.LBB264_1352:
	s_or_saveexec_b64 s[16:17], s[16:17]
	v_mov_b32_e32 v7, 0x7e00
	s_xor_b64 exec, exec, s[16:17]
	s_cbranch_execz .LBB264_1333
.LBB264_1353:
	v_cmp_ne_u16_e32 vcc, 0, v1
	s_andn2_b64 s[10:11], s[10:11], exec
	s_and_b64 s[18:19], vcc, exec
	s_or_b64 s[10:11], s[10:11], s[18:19]
	v_mov_b32_e32 v7, v1
	s_or_b64 exec, exec, s[16:17]
	s_and_saveexec_b64 s[16:17], s[10:11]
	s_cbranch_execnz .LBB264_1334
	s_branch .LBB264_1335
.LBB264_1354:
	s_mov_b64 s[0:1], -1
                                        ; implicit-def: $vgpr7
.LBB264_1355:
	s_mov_b64 s[18:19], 0
.LBB264_1356:
	s_and_b64 vcc, exec, s[18:19]
	s_cbranch_vccz .LBB264_1358
; %bb.1357:
	s_cmp_lg_u32 s22, 11
	s_mov_b64 s[10:11], -1
	s_cselect_b64 s[0:1], -1, 0
.LBB264_1358:
	s_and_b64 vcc, exec, s[0:1]
	s_cbranch_vccnz .LBB264_1421
; %bb.1359:
	s_andn2_b64 vcc, exec, s[10:11]
	s_cbranch_vccnz .LBB264_1361
.LBB264_1360:
	global_load_ubyte v1, v[2:3], off
	v_mov_b32_e32 v7, 0x3c00
	s_mov_b64 s[16:17], -1
	s_waitcnt vmcnt(0)
	v_cmp_ne_u16_e32 vcc, 0, v1
	s_nop 1
	v_cndmask_b32_e32 v7, 0, v7, vcc
.LBB264_1361:
	s_branch .LBB264_1289
.LBB264_1362:
	s_cmp_lt_i32 s22, 5
	s_cbranch_scc1 .LBB264_1367
; %bb.1363:
	s_cmp_lt_i32 s22, 8
	s_cbranch_scc1 .LBB264_1368
; %bb.1364:
	;; [unrolled: 3-line block ×3, first 2 shown]
	s_cmp_gt_i32 s22, 9
	s_cbranch_scc0 .LBB264_1370
; %bb.1366:
	global_load_dwordx2 v[8:9], v[2:3], off
	s_movk_i32 s0, 0x1ff
	s_movk_i32 s1, 0xffe
	v_mov_b32_e32 v1, 0x7c00
	v_mov_b32_e32 v7, 0x7e00
	s_movk_i32 s10, 0x40f
	s_mov_b32 s11, 0x8000
	s_waitcnt vmcnt(0)
	v_and_or_b32 v8, v9, s0, v8
	v_cmp_ne_u32_e32 vcc, 0, v8
	v_lshrrev_b32_e32 v10, 8, v9
	v_bfe_u32 v11, v9, 20, 11
	v_cndmask_b32_e64 v8, 0, 1, vcc
	v_sub_u32_e32 v12, 0x3f1, v11
	v_and_or_b32 v8, v10, s1, v8
	v_add_u32_e32 v11, 0xfffffc10, v11
	v_med3_i32 v10, v12, 0, 13
	v_or_b32_e32 v12, 0x1000, v8
	v_lshl_or_b32 v13, v11, 12, v8
	v_cmp_ne_u32_e32 vcc, 0, v8
	v_lshrrev_b32_e32 v8, v10, v12
	v_lshlrev_b32_e32 v10, v10, v8
	v_cndmask_b32_e32 v7, v1, v7, vcc
	v_cmp_ne_u32_e32 vcc, v10, v12
	v_lshrrev_b32_e32 v9, 16, v9
	s_mov_b64 s[0:1], 0
	v_cndmask_b32_e64 v10, 0, 1, vcc
	v_or_b32_e32 v8, v8, v10
	v_cmp_gt_i32_e32 vcc, 1, v11
	s_nop 1
	v_cndmask_b32_e32 v8, v13, v8, vcc
	v_and_b32_e32 v10, 7, v8
	v_cmp_lt_i32_e32 vcc, 5, v10
	v_lshrrev_b32_e32 v8, 2, v8
	s_nop 0
	v_cndmask_b32_e64 v12, 0, 1, vcc
	v_cmp_eq_u32_e32 vcc, 3, v10
	s_nop 1
	v_cndmask_b32_e64 v10, 0, 1, vcc
	v_or_b32_e32 v10, v10, v12
	v_add_u32_e32 v8, v8, v10
	v_cmp_gt_i32_e32 vcc, 31, v11
	s_nop 1
	v_cndmask_b32_e32 v1, v1, v8, vcc
	v_cmp_eq_u32_e32 vcc, s10, v11
	s_nop 1
	v_cndmask_b32_e32 v1, v1, v7, vcc
	v_and_or_b32 v7, v9, s11, v1
	s_branch .LBB264_1371
.LBB264_1367:
	s_mov_b64 s[0:1], -1
                                        ; implicit-def: $vgpr7
	s_branch .LBB264_1389
.LBB264_1368:
	s_mov_b64 s[0:1], -1
                                        ; implicit-def: $vgpr7
	s_branch .LBB264_1377
.LBB264_1369:
	s_mov_b64 s[0:1], -1
                                        ; implicit-def: $vgpr7
	s_branch .LBB264_1374
.LBB264_1370:
	s_mov_b64 s[0:1], -1
                                        ; implicit-def: $vgpr7
.LBB264_1371:
	s_andn2_b64 vcc, exec, s[0:1]
	s_cbranch_vccnz .LBB264_1373
; %bb.1372:
	global_load_dword v1, v[2:3], off
	s_waitcnt vmcnt(0)
	v_cvt_f16_f32_e32 v7, v1
.LBB264_1373:
	s_mov_b64 s[0:1], 0
.LBB264_1374:
	s_andn2_b64 vcc, exec, s[0:1]
	s_cbranch_vccnz .LBB264_1376
; %bb.1375:
	global_load_dword v7, v[2:3], off
.LBB264_1376:
	s_mov_b64 s[0:1], 0
.LBB264_1377:
	s_andn2_b64 vcc, exec, s[0:1]
	s_cbranch_vccnz .LBB264_1388
; %bb.1378:
	s_cmp_lt_i32 s22, 6
	s_cbranch_scc1 .LBB264_1381
; %bb.1379:
	s_cmp_gt_i32 s22, 6
	s_cbranch_scc0 .LBB264_1382
; %bb.1380:
	global_load_dwordx2 v[8:9], v[2:3], off
	s_movk_i32 s0, 0x1ff
	s_movk_i32 s1, 0xffe
	v_mov_b32_e32 v1, 0x7c00
	s_waitcnt vmcnt(1)
	v_mov_b32_e32 v7, 0x7e00
	s_movk_i32 s10, 0x40f
	s_mov_b32 s11, 0x8000
	s_waitcnt vmcnt(0)
	v_and_or_b32 v8, v9, s0, v8
	v_cmp_ne_u32_e32 vcc, 0, v8
	v_lshrrev_b32_e32 v10, 8, v9
	v_bfe_u32 v11, v9, 20, 11
	v_cndmask_b32_e64 v8, 0, 1, vcc
	v_sub_u32_e32 v12, 0x3f1, v11
	v_and_or_b32 v8, v10, s1, v8
	v_add_u32_e32 v11, 0xfffffc10, v11
	v_med3_i32 v10, v12, 0, 13
	v_or_b32_e32 v12, 0x1000, v8
	v_lshl_or_b32 v13, v11, 12, v8
	v_cmp_ne_u32_e32 vcc, 0, v8
	v_lshrrev_b32_e32 v8, v10, v12
	v_lshlrev_b32_e32 v10, v10, v8
	v_cndmask_b32_e32 v7, v1, v7, vcc
	v_cmp_ne_u32_e32 vcc, v10, v12
	v_lshrrev_b32_e32 v9, 16, v9
	s_mov_b64 s[0:1], 0
	v_cndmask_b32_e64 v10, 0, 1, vcc
	v_or_b32_e32 v8, v8, v10
	v_cmp_gt_i32_e32 vcc, 1, v11
	s_nop 1
	v_cndmask_b32_e32 v8, v13, v8, vcc
	v_and_b32_e32 v10, 7, v8
	v_cmp_lt_i32_e32 vcc, 5, v10
	v_lshrrev_b32_e32 v8, 2, v8
	s_nop 0
	v_cndmask_b32_e64 v12, 0, 1, vcc
	v_cmp_eq_u32_e32 vcc, 3, v10
	s_nop 1
	v_cndmask_b32_e64 v10, 0, 1, vcc
	v_or_b32_e32 v10, v10, v12
	v_add_u32_e32 v8, v8, v10
	v_cmp_gt_i32_e32 vcc, 31, v11
	s_nop 1
	v_cndmask_b32_e32 v1, v1, v8, vcc
	v_cmp_eq_u32_e32 vcc, s10, v11
	s_nop 1
	v_cndmask_b32_e32 v1, v1, v7, vcc
	v_and_or_b32 v7, v9, s11, v1
	s_branch .LBB264_1383
.LBB264_1381:
	s_mov_b64 s[0:1], -1
                                        ; implicit-def: $vgpr7
	s_branch .LBB264_1386
.LBB264_1382:
	s_mov_b64 s[0:1], -1
                                        ; implicit-def: $vgpr7
.LBB264_1383:
	s_andn2_b64 vcc, exec, s[0:1]
	s_cbranch_vccnz .LBB264_1385
; %bb.1384:
	global_load_dword v1, v[2:3], off
	s_waitcnt vmcnt(0)
	v_cvt_f16_f32_e32 v7, v1
.LBB264_1385:
	s_mov_b64 s[0:1], 0
.LBB264_1386:
	s_andn2_b64 vcc, exec, s[0:1]
	s_cbranch_vccnz .LBB264_1388
; %bb.1387:
	global_load_ushort v7, v[2:3], off
.LBB264_1388:
	s_mov_b64 s[0:1], 0
.LBB264_1389:
	s_andn2_b64 vcc, exec, s[0:1]
	s_cbranch_vccnz .LBB264_1409
; %bb.1390:
	s_cmp_lt_i32 s22, 2
	s_cbranch_scc1 .LBB264_1394
; %bb.1391:
	s_cmp_lt_i32 s22, 3
	s_cbranch_scc1 .LBB264_1395
; %bb.1392:
	s_cmp_gt_i32 s22, 3
	s_cbranch_scc0 .LBB264_1396
; %bb.1393:
	global_load_dwordx2 v[8:9], v[2:3], off
	s_mov_b64 s[0:1], 0
	s_waitcnt vmcnt(0)
	v_xor_b32_e32 v7, v8, v9
	v_ffbh_i32_e32 v1, v9
	v_ashrrev_i32_e32 v7, 31, v7
	v_add_u32_e32 v1, -1, v1
	v_add_u32_e32 v7, 32, v7
	v_min_u32_e32 v1, v1, v7
	v_lshlrev_b64 v[8:9], v1, v[8:9]
	v_min_u32_e32 v7, 1, v8
	v_or_b32_e32 v7, v9, v7
	v_cvt_f32_i32_e32 v7, v7
	v_sub_u32_e32 v1, 32, v1
	v_ldexp_f32 v1, v7, v1
	v_cvt_f16_f32_e32 v7, v1
	s_branch .LBB264_1397
.LBB264_1394:
	s_mov_b64 s[0:1], -1
                                        ; implicit-def: $vgpr7
	s_branch .LBB264_1403
.LBB264_1395:
	s_mov_b64 s[0:1], -1
                                        ; implicit-def: $vgpr7
	s_branch .LBB264_1400
.LBB264_1396:
	s_mov_b64 s[0:1], -1
                                        ; implicit-def: $vgpr7
.LBB264_1397:
	s_andn2_b64 vcc, exec, s[0:1]
	s_cbranch_vccnz .LBB264_1399
; %bb.1398:
	global_load_dword v1, v[2:3], off
	s_waitcnt vmcnt(0)
	v_cvt_f32_i32_e32 v1, v1
	v_cvt_f16_f32_e32 v7, v1
.LBB264_1399:
	s_mov_b64 s[0:1], 0
.LBB264_1400:
	s_andn2_b64 vcc, exec, s[0:1]
	s_cbranch_vccnz .LBB264_1402
; %bb.1401:
	global_load_ushort v1, v[2:3], off
	s_waitcnt vmcnt(0)
	v_cvt_f16_i16_e32 v7, v1
.LBB264_1402:
	s_mov_b64 s[0:1], 0
.LBB264_1403:
	s_andn2_b64 vcc, exec, s[0:1]
	s_cbranch_vccnz .LBB264_1409
; %bb.1404:
	s_cmp_gt_i32 s22, 0
	s_cbranch_scc0 .LBB264_1406
; %bb.1405:
	global_load_sbyte v1, v[2:3], off
	s_mov_b64 s[0:1], 0
	s_waitcnt vmcnt(0)
	v_cvt_f16_i16_e32 v7, v1
	s_branch .LBB264_1407
.LBB264_1406:
	s_mov_b64 s[0:1], -1
                                        ; implicit-def: $vgpr7
.LBB264_1407:
	s_andn2_b64 vcc, exec, s[0:1]
	s_cbranch_vccnz .LBB264_1409
; %bb.1408:
	global_load_ubyte v1, v[2:3], off
	s_waitcnt vmcnt(0)
	v_cvt_f16_u16_e32 v7, v1
.LBB264_1409:
.LBB264_1410:
	v_add_u32_e32 v0, s9, v0
	v_ashrrev_i32_e32 v1, 31, v0
	s_cmp_lt_i32 s22, 11
	v_lshl_add_u64 v[0:1], s[6:7], 0, v[0:1]
	s_cbranch_scc1 .LBB264_1417
; %bb.1411:
	s_cmp_gt_i32 s22, 25
	s_mov_b64 s[6:7], 0
	s_cbranch_scc0 .LBB264_1418
; %bb.1412:
	s_cmp_gt_i32 s22, 28
	s_cbranch_scc0 .LBB264_1419
; %bb.1413:
	s_cmp_gt_i32 s22, 43
	;; [unrolled: 3-line block ×3, first 2 shown]
	s_cbranch_scc0 .LBB264_1422
; %bb.1415:
	s_cmp_eq_u32 s22, 46
	s_mov_b64 s[16:17], 0
	s_cbranch_scc0 .LBB264_1423
; %bb.1416:
	global_load_dword v2, v[0:1], off
	s_mov_b64 s[0:1], 0
	s_mov_b64 s[10:11], -1
	s_waitcnt vmcnt(0)
	v_lshlrev_b32_e32 v2, 16, v2
	v_cvt_f16_f32_e32 v8, v2
	s_branch .LBB264_1424
.LBB264_1417:
	s_mov_b64 s[0:1], -1
	s_mov_b64 s[10:11], 0
                                        ; implicit-def: $vgpr8
	s_branch .LBB264_1490
.LBB264_1418:
	s_mov_b64 s[16:17], -1
	s_mov_b64 s[10:11], 0
	s_mov_b64 s[0:1], 0
                                        ; implicit-def: $vgpr8
	s_branch .LBB264_1453
.LBB264_1419:
	s_mov_b64 s[16:17], -1
	s_mov_b64 s[10:11], 0
	s_mov_b64 s[0:1], 0
                                        ; implicit-def: $vgpr8
	s_branch .LBB264_1434
.LBB264_1420:
	s_mov_b64 s[16:17], -1
	s_mov_b64 s[10:11], 0
	s_mov_b64 s[0:1], 0
                                        ; implicit-def: $vgpr8
	s_branch .LBB264_1429
.LBB264_1421:
	s_trap 2
	s_or_b64 s[14:15], s[14:15], exec
	s_cbranch_execz .LBB264_1360
	s_branch .LBB264_1361
.LBB264_1422:
	s_mov_b64 s[16:17], -1
	s_mov_b64 s[10:11], 0
	s_mov_b64 s[0:1], 0
                                        ; implicit-def: $vgpr8
	s_branch .LBB264_1424
.LBB264_1423:
	s_mov_b64 s[0:1], -1
                                        ; implicit-def: $vgpr8
	s_mov_b64 s[10:11], 0
.LBB264_1424:
	s_and_b64 vcc, exec, s[16:17]
	s_cbranch_vccz .LBB264_1428
; %bb.1425:
	s_cmp_eq_u32 s22, 44
	s_cbranch_scc0 .LBB264_1427
; %bb.1426:
	global_load_ubyte v2, v[0:1], off
	s_movk_i32 s9, 0xff
	v_mov_b32_e32 v8, 0x7e00
	s_mov_b64 s[0:1], 0
	s_mov_b64 s[10:11], -1
	s_waitcnt vmcnt(0)
	v_lshlrev_b32_e32 v3, 23, v2
	v_cvt_f16_f32_e32 v3, v3
	v_cmp_ne_u32_e32 vcc, s9, v2
	s_nop 1
	v_cndmask_b32_e32 v3, v8, v3, vcc
	v_cmp_ne_u32_e32 vcc, 0, v2
	s_nop 1
	v_cndmask_b32_e32 v8, 0, v3, vcc
	s_branch .LBB264_1428
.LBB264_1427:
	s_mov_b64 s[0:1], -1
                                        ; implicit-def: $vgpr8
.LBB264_1428:
	s_mov_b64 s[16:17], 0
.LBB264_1429:
	s_and_b64 vcc, exec, s[16:17]
	s_cbranch_vccz .LBB264_1433
; %bb.1430:
	s_cmp_eq_u32 s22, 29
	s_cbranch_scc0 .LBB264_1432
; %bb.1431:
	global_load_dwordx2 v[2:3], v[0:1], off
	s_mov_b64 s[0:1], 0
	s_mov_b64 s[10:11], -1
	s_mov_b64 s[16:17], 0
	s_waitcnt vmcnt(0)
	v_ffbh_u32_e32 v8, v3
	v_min_u32_e32 v8, 32, v8
	v_lshlrev_b64 v[2:3], v8, v[2:3]
	v_min_u32_e32 v2, 1, v2
	v_or_b32_e32 v2, v3, v2
	v_cvt_f32_u32_e32 v2, v2
	v_sub_u32_e32 v3, 32, v8
	v_ldexp_f32 v2, v2, v3
	v_cvt_f16_f32_e32 v8, v2
	s_branch .LBB264_1434
.LBB264_1432:
	s_mov_b64 s[0:1], -1
                                        ; implicit-def: $vgpr8
.LBB264_1433:
	s_mov_b64 s[16:17], 0
.LBB264_1434:
	s_and_b64 vcc, exec, s[16:17]
	s_cbranch_vccz .LBB264_1452
; %bb.1435:
	s_cmp_lt_i32 s22, 27
	s_cbranch_scc1 .LBB264_1438
; %bb.1436:
	s_cmp_gt_i32 s22, 27
	s_cbranch_scc0 .LBB264_1439
; %bb.1437:
	global_load_dword v2, v[0:1], off
	s_mov_b64 s[10:11], 0
	s_waitcnt vmcnt(0)
	v_cvt_f32_u32_e32 v2, v2
	v_cvt_f16_f32_e32 v8, v2
	s_branch .LBB264_1440
.LBB264_1438:
	s_mov_b64 s[10:11], -1
                                        ; implicit-def: $vgpr8
	s_branch .LBB264_1443
.LBB264_1439:
	s_mov_b64 s[10:11], -1
                                        ; implicit-def: $vgpr8
.LBB264_1440:
	s_andn2_b64 vcc, exec, s[10:11]
	s_cbranch_vccnz .LBB264_1442
; %bb.1441:
	global_load_ushort v2, v[0:1], off
	s_waitcnt vmcnt(0)
	v_cvt_f16_u16_e32 v8, v2
.LBB264_1442:
	s_mov_b64 s[10:11], 0
.LBB264_1443:
	s_andn2_b64 vcc, exec, s[10:11]
	s_cbranch_vccnz .LBB264_1451
; %bb.1444:
	global_load_ubyte v2, v[0:1], off
	s_movk_i32 s9, 0x7f
	s_mov_b64 s[10:11], 0
	s_waitcnt vmcnt(0)
	v_cmp_lt_i16_e32 vcc, s9, v2
	s_and_saveexec_b64 s[16:17], vcc
	s_xor_b64 s[16:17], exec, s[16:17]
	s_cbranch_execz .LBB264_1465
; %bb.1445:
	s_movk_i32 s9, 0x80
	v_cmp_eq_u16_e32 vcc, s9, v2
	s_mov_b64 s[10:11], -1
	s_and_saveexec_b64 s[18:19], vcc
; %bb.1446:
	s_xor_b64 s[10:11], exec, -1
; %bb.1447:
	s_or_b64 exec, exec, s[18:19]
	s_and_b64 s[10:11], s[10:11], exec
	s_or_saveexec_b64 s[16:17], s[16:17]
	v_mov_b32_e32 v8, 0x7e00
	s_xor_b64 exec, exec, s[16:17]
	s_cbranch_execnz .LBB264_1466
.LBB264_1448:
	s_or_b64 exec, exec, s[16:17]
	s_and_saveexec_b64 s[16:17], s[10:11]
	s_cbranch_execz .LBB264_1450
.LBB264_1449:
	v_lshlrev_b32_e32 v3, 24, v2
	v_and_b32_e32 v2, 0xffff, v2
	v_and_b32_e32 v8, 7, v2
	v_ffbh_u32_e32 v10, v8
	v_min_u32_e32 v10, 32, v10
	v_subrev_u32_e32 v11, 28, v10
	v_bfe_u32 v9, v2, 3, 4
	v_lshlrev_b32_e32 v2, v11, v2
	v_sub_u32_e32 v10, 29, v10
	v_and_b32_e32 v2, 7, v2
	v_cmp_eq_u32_e32 vcc, 0, v9
	v_and_b32_e32 v3, 0x80000000, v3
	s_nop 0
	v_cndmask_b32_e32 v9, v9, v10, vcc
	v_cndmask_b32_e32 v2, v8, v2, vcc
	v_mov_b32_e32 v8, 0x3b800000
	v_lshlrev_b32_e32 v2, 20, v2
	v_lshl_add_u32 v8, v9, 23, v8
	v_or3_b32 v2, v3, v8, v2
	v_cvt_f16_f32_e32 v8, v2
.LBB264_1450:
	s_or_b64 exec, exec, s[16:17]
.LBB264_1451:
	s_mov_b64 s[10:11], -1
.LBB264_1452:
	s_mov_b64 s[16:17], 0
.LBB264_1453:
	s_and_b64 vcc, exec, s[16:17]
	s_cbranch_vccz .LBB264_1486
; %bb.1454:
	s_cmp_gt_i32 s22, 22
	s_cbranch_scc0 .LBB264_1464
; %bb.1455:
	s_cmp_lt_i32 s22, 24
	s_cbranch_scc1 .LBB264_1467
; %bb.1456:
	s_cmp_gt_i32 s22, 24
	s_cbranch_scc0 .LBB264_1468
; %bb.1457:
	global_load_ubyte v2, v[0:1], off
	s_movk_i32 s6, 0x7f
	s_waitcnt vmcnt(0)
	v_cmp_lt_i16_e32 vcc, s6, v2
	s_mov_b64 s[6:7], 0
	s_and_saveexec_b64 s[10:11], vcc
	s_xor_b64 s[10:11], exec, s[10:11]
	s_cbranch_execz .LBB264_1480
; %bb.1458:
	s_movk_i32 s6, 0x80
	v_cmp_eq_u16_e32 vcc, s6, v2
	s_mov_b64 s[6:7], -1
	s_and_saveexec_b64 s[16:17], vcc
; %bb.1459:
	s_xor_b64 s[6:7], exec, -1
; %bb.1460:
	s_or_b64 exec, exec, s[16:17]
	s_and_b64 s[6:7], s[6:7], exec
	s_or_saveexec_b64 s[10:11], s[10:11]
	v_mov_b32_e32 v8, 0x7e00
	s_xor_b64 exec, exec, s[10:11]
	s_cbranch_execnz .LBB264_1481
.LBB264_1461:
	s_or_b64 exec, exec, s[10:11]
	s_and_saveexec_b64 s[10:11], s[6:7]
	s_cbranch_execz .LBB264_1463
.LBB264_1462:
	v_lshlrev_b32_e32 v3, 24, v2
	v_and_b32_e32 v2, 0xffff, v2
	v_and_b32_e32 v8, 3, v2
	v_ffbh_u32_e32 v10, v8
	v_min_u32_e32 v10, 32, v10
	v_subrev_u32_e32 v11, 29, v10
	v_bfe_u32 v9, v2, 2, 5
	v_lshlrev_b32_e32 v2, v11, v2
	v_sub_u32_e32 v10, 30, v10
	v_and_b32_e32 v2, 3, v2
	v_cmp_eq_u32_e32 vcc, 0, v9
	v_and_b32_e32 v3, 0x80000000, v3
	s_nop 0
	v_cndmask_b32_e32 v9, v9, v10, vcc
	v_cndmask_b32_e32 v2, v8, v2, vcc
	v_mov_b32_e32 v8, 0x37800000
	v_lshlrev_b32_e32 v2, 21, v2
	v_lshl_add_u32 v8, v9, 23, v8
	v_or3_b32 v2, v3, v8, v2
	v_cvt_f16_f32_e32 v8, v2
.LBB264_1463:
	s_or_b64 exec, exec, s[10:11]
	s_mov_b64 s[6:7], 0
	s_branch .LBB264_1469
.LBB264_1464:
	s_mov_b64 s[6:7], -1
                                        ; implicit-def: $vgpr8
	s_branch .LBB264_1475
.LBB264_1465:
	s_or_saveexec_b64 s[16:17], s[16:17]
	v_mov_b32_e32 v8, 0x7e00
	s_xor_b64 exec, exec, s[16:17]
	s_cbranch_execz .LBB264_1448
.LBB264_1466:
	v_cmp_ne_u16_e32 vcc, 0, v2
	s_andn2_b64 s[10:11], s[10:11], exec
	s_and_b64 s[18:19], vcc, exec
	s_or_b64 s[10:11], s[10:11], s[18:19]
	v_mov_b32_e32 v8, v2
	s_or_b64 exec, exec, s[16:17]
	s_and_saveexec_b64 s[16:17], s[10:11]
	s_cbranch_execnz .LBB264_1449
	s_branch .LBB264_1450
.LBB264_1467:
	s_mov_b64 s[6:7], -1
                                        ; implicit-def: $vgpr8
	s_branch .LBB264_1472
.LBB264_1468:
	s_mov_b64 s[6:7], -1
                                        ; implicit-def: $vgpr8
.LBB264_1469:
	s_and_b64 vcc, exec, s[6:7]
	s_cbranch_vccz .LBB264_1471
; %bb.1470:
	global_load_ubyte v2, v[0:1], off
	s_mov_b32 s6, 0x7f800000
	s_waitcnt vmcnt(0)
	v_lshlrev_b32_e32 v2, 24, v2
	v_and_b32_e32 v3, 0x7f000000, v2
	v_ffbh_u32_e32 v8, v3
	v_min_u32_e32 v8, 32, v8
	v_sub_u32_e64 v8, v8, 4 clamp
	v_lshlrev_b32_e32 v10, v8, v3
	v_lshlrev_b32_e32 v8, 23, v8
	v_lshrrev_b32_e32 v10, 4, v10
	v_add_u32_e32 v9, 0x1000000, v3
	v_sub_u32_e32 v8, v10, v8
	v_ashrrev_i32_e32 v9, 8, v9
	v_add_u32_e32 v8, 0x3c000000, v8
	v_and_or_b32 v8, v9, s6, v8
	v_cmp_ne_u32_e32 vcc, 0, v3
	s_brev_b32 s6, 1
	s_nop 0
	v_cndmask_b32_e32 v3, 0, v8, vcc
	v_and_or_b32 v2, v2, s6, v3
	v_cvt_f16_f32_e32 v8, v2
.LBB264_1471:
	s_mov_b64 s[6:7], 0
.LBB264_1472:
	s_andn2_b64 vcc, exec, s[6:7]
	s_cbranch_vccnz .LBB264_1474
; %bb.1473:
	global_load_ubyte v2, v[0:1], off
	s_movk_i32 s6, 0x7f00
	s_brev_b32 s7, 16
	s_waitcnt vmcnt(0)
	v_lshlrev_b16_e32 v3, 8, v2
	v_lshlrev_b32_e32 v2, 25, v2
	v_lshrrev_b32_e32 v8, 4, v2
	v_and_or_b32 v9, v3, s6, 0.5
	v_or_b32_e32 v8, 0x70000000, v8
	v_add_f32_e32 v9, -0.5, v9
	v_mul_f32_e32 v8, 0x7800000, v8
	v_cmp_gt_u32_e32 vcc, s7, v2
	v_bfe_i32 v3, v3, 0, 16
	s_brev_b32 s6, 1
	v_cndmask_b32_e32 v2, v8, v9, vcc
	v_and_or_b32 v2, v3, s6, v2
	v_cvt_f16_f32_e32 v8, v2
.LBB264_1474:
	s_mov_b64 s[6:7], 0
	s_mov_b64 s[10:11], -1
.LBB264_1475:
	s_andn2_b64 vcc, exec, s[6:7]
	s_mov_b64 s[6:7], 0
	s_cbranch_vccnz .LBB264_1486
; %bb.1476:
	s_cmp_gt_i32 s22, 14
	s_cbranch_scc0 .LBB264_1479
; %bb.1477:
	s_cmp_eq_u32 s22, 15
	s_cbranch_scc0 .LBB264_1482
; %bb.1478:
	global_load_ushort v2, v[0:1], off
	s_mov_b64 s[0:1], 0
	s_mov_b64 s[10:11], -1
	s_waitcnt vmcnt(0)
	v_lshlrev_b32_e32 v2, 16, v2
	v_cvt_f16_f32_e32 v8, v2
	s_branch .LBB264_1483
.LBB264_1479:
	s_mov_b64 s[16:17], -1
                                        ; implicit-def: $vgpr8
	s_branch .LBB264_1484
.LBB264_1480:
	s_or_saveexec_b64 s[10:11], s[10:11]
	v_mov_b32_e32 v8, 0x7e00
	s_xor_b64 exec, exec, s[10:11]
	s_cbranch_execz .LBB264_1461
.LBB264_1481:
	v_cmp_ne_u16_e32 vcc, 0, v2
	s_andn2_b64 s[6:7], s[6:7], exec
	s_and_b64 s[16:17], vcc, exec
	s_or_b64 s[6:7], s[6:7], s[16:17]
	v_mov_b32_e32 v8, v2
	s_or_b64 exec, exec, s[10:11]
	s_and_saveexec_b64 s[10:11], s[6:7]
	s_cbranch_execnz .LBB264_1462
	s_branch .LBB264_1463
.LBB264_1482:
	s_mov_b64 s[0:1], -1
                                        ; implicit-def: $vgpr8
.LBB264_1483:
	s_mov_b64 s[16:17], 0
.LBB264_1484:
	s_and_b64 vcc, exec, s[16:17]
	s_cbranch_vccz .LBB264_1486
; %bb.1485:
	s_cmp_lg_u32 s22, 11
	s_mov_b64 s[6:7], -1
	s_cselect_b64 s[0:1], -1, 0
.LBB264_1486:
	s_and_b64 vcc, exec, s[0:1]
	s_cbranch_vccnz .LBB264_2019
; %bb.1487:
	s_andn2_b64 vcc, exec, s[6:7]
	s_cbranch_vccnz .LBB264_1489
.LBB264_1488:
	global_load_ubyte v2, v[0:1], off
	v_mov_b32_e32 v3, 0x3c00
	s_mov_b64 s[10:11], -1
	s_waitcnt vmcnt(0)
	v_cmp_ne_u16_e32 vcc, 0, v2
	s_nop 1
	v_cndmask_b32_e32 v8, 0, v3, vcc
.LBB264_1489:
	s_mov_b64 s[0:1], 0
.LBB264_1490:
	s_and_b64 vcc, exec, s[0:1]
	s_cbranch_vccz .LBB264_1539
; %bb.1491:
	s_cmp_lt_i32 s22, 5
	s_cbranch_scc1 .LBB264_1496
; %bb.1492:
	s_cmp_lt_i32 s22, 8
	s_cbranch_scc1 .LBB264_1497
	;; [unrolled: 3-line block ×3, first 2 shown]
; %bb.1494:
	s_cmp_gt_i32 s22, 9
	s_cbranch_scc0 .LBB264_1499
; %bb.1495:
	global_load_dwordx2 v[2:3], v[0:1], off
	s_movk_i32 s0, 0x1ff
	s_movk_i32 s1, 0xffe
	v_mov_b32_e32 v8, 0x7c00
	v_mov_b32_e32 v9, 0x7e00
	s_movk_i32 s6, 0x40f
	s_mov_b32 s7, 0x8000
	s_waitcnt vmcnt(0)
	v_and_or_b32 v2, v3, s0, v2
	v_cmp_ne_u32_e32 vcc, 0, v2
	v_lshrrev_b32_e32 v10, 8, v3
	v_bfe_u32 v11, v3, 20, 11
	v_cndmask_b32_e64 v2, 0, 1, vcc
	v_sub_u32_e32 v12, 0x3f1, v11
	v_and_or_b32 v2, v10, s1, v2
	v_add_u32_e32 v11, 0xfffffc10, v11
	v_med3_i32 v10, v12, 0, 13
	v_or_b32_e32 v12, 0x1000, v2
	v_cmp_ne_u32_e32 vcc, 0, v2
	v_lshl_or_b32 v13, v11, 12, v2
	v_lshrrev_b32_e32 v3, 16, v3
	v_cndmask_b32_e32 v2, v8, v9, vcc
	v_lshrrev_b32_e32 v9, v10, v12
	v_lshlrev_b32_e32 v10, v10, v9
	v_cmp_ne_u32_e32 vcc, v10, v12
	s_mov_b64 s[0:1], 0
	s_nop 0
	v_cndmask_b32_e64 v10, 0, 1, vcc
	v_or_b32_e32 v9, v9, v10
	v_cmp_gt_i32_e32 vcc, 1, v11
	s_nop 1
	v_cndmask_b32_e32 v9, v13, v9, vcc
	v_and_b32_e32 v10, 7, v9
	v_cmp_lt_i32_e32 vcc, 5, v10
	v_lshrrev_b32_e32 v9, 2, v9
	s_nop 0
	v_cndmask_b32_e64 v12, 0, 1, vcc
	v_cmp_eq_u32_e32 vcc, 3, v10
	s_nop 1
	v_cndmask_b32_e64 v10, 0, 1, vcc
	v_or_b32_e32 v10, v10, v12
	v_add_u32_e32 v9, v9, v10
	v_cmp_gt_i32_e32 vcc, 31, v11
	s_nop 1
	v_cndmask_b32_e32 v8, v8, v9, vcc
	v_cmp_eq_u32_e32 vcc, s6, v11
	s_nop 1
	v_cndmask_b32_e32 v2, v8, v2, vcc
	v_and_or_b32 v8, v3, s7, v2
	s_branch .LBB264_1500
.LBB264_1496:
	s_mov_b64 s[0:1], -1
                                        ; implicit-def: $vgpr8
	s_branch .LBB264_1518
.LBB264_1497:
	s_mov_b64 s[0:1], -1
                                        ; implicit-def: $vgpr8
	s_branch .LBB264_1506
.LBB264_1498:
	s_mov_b64 s[0:1], -1
                                        ; implicit-def: $vgpr8
	s_branch .LBB264_1503
.LBB264_1499:
	s_mov_b64 s[0:1], -1
                                        ; implicit-def: $vgpr8
.LBB264_1500:
	s_andn2_b64 vcc, exec, s[0:1]
	s_cbranch_vccnz .LBB264_1502
; %bb.1501:
	global_load_dword v2, v[0:1], off
	s_waitcnt vmcnt(0)
	v_cvt_f16_f32_e32 v8, v2
.LBB264_1502:
	s_mov_b64 s[0:1], 0
.LBB264_1503:
	s_andn2_b64 vcc, exec, s[0:1]
	s_cbranch_vccnz .LBB264_1505
; %bb.1504:
	global_load_dword v8, v[0:1], off
.LBB264_1505:
	s_mov_b64 s[0:1], 0
.LBB264_1506:
	s_andn2_b64 vcc, exec, s[0:1]
	s_cbranch_vccnz .LBB264_1517
; %bb.1507:
	s_cmp_lt_i32 s22, 6
	s_cbranch_scc1 .LBB264_1510
; %bb.1508:
	s_cmp_gt_i32 s22, 6
	s_cbranch_scc0 .LBB264_1511
; %bb.1509:
	global_load_dwordx2 v[2:3], v[0:1], off
	s_movk_i32 s0, 0x1ff
	s_movk_i32 s1, 0xffe
	s_waitcnt vmcnt(1)
	v_mov_b32_e32 v8, 0x7c00
	v_mov_b32_e32 v9, 0x7e00
	s_movk_i32 s6, 0x40f
	s_mov_b32 s7, 0x8000
	s_waitcnt vmcnt(0)
	v_and_or_b32 v2, v3, s0, v2
	v_cmp_ne_u32_e32 vcc, 0, v2
	v_lshrrev_b32_e32 v10, 8, v3
	v_bfe_u32 v11, v3, 20, 11
	v_cndmask_b32_e64 v2, 0, 1, vcc
	v_sub_u32_e32 v12, 0x3f1, v11
	v_and_or_b32 v2, v10, s1, v2
	v_add_u32_e32 v11, 0xfffffc10, v11
	v_med3_i32 v10, v12, 0, 13
	v_or_b32_e32 v12, 0x1000, v2
	v_cmp_ne_u32_e32 vcc, 0, v2
	v_lshl_or_b32 v13, v11, 12, v2
	v_lshrrev_b32_e32 v3, 16, v3
	v_cndmask_b32_e32 v2, v8, v9, vcc
	v_lshrrev_b32_e32 v9, v10, v12
	v_lshlrev_b32_e32 v10, v10, v9
	v_cmp_ne_u32_e32 vcc, v10, v12
	s_mov_b64 s[0:1], 0
	s_nop 0
	v_cndmask_b32_e64 v10, 0, 1, vcc
	v_or_b32_e32 v9, v9, v10
	v_cmp_gt_i32_e32 vcc, 1, v11
	s_nop 1
	v_cndmask_b32_e32 v9, v13, v9, vcc
	v_and_b32_e32 v10, 7, v9
	v_cmp_lt_i32_e32 vcc, 5, v10
	v_lshrrev_b32_e32 v9, 2, v9
	s_nop 0
	v_cndmask_b32_e64 v12, 0, 1, vcc
	v_cmp_eq_u32_e32 vcc, 3, v10
	s_nop 1
	v_cndmask_b32_e64 v10, 0, 1, vcc
	v_or_b32_e32 v10, v10, v12
	v_add_u32_e32 v9, v9, v10
	v_cmp_gt_i32_e32 vcc, 31, v11
	s_nop 1
	v_cndmask_b32_e32 v8, v8, v9, vcc
	v_cmp_eq_u32_e32 vcc, s6, v11
	s_nop 1
	v_cndmask_b32_e32 v2, v8, v2, vcc
	v_and_or_b32 v8, v3, s7, v2
	s_branch .LBB264_1512
.LBB264_1510:
	s_mov_b64 s[0:1], -1
                                        ; implicit-def: $vgpr8
	s_branch .LBB264_1515
.LBB264_1511:
	s_mov_b64 s[0:1], -1
                                        ; implicit-def: $vgpr8
.LBB264_1512:
	s_andn2_b64 vcc, exec, s[0:1]
	s_cbranch_vccnz .LBB264_1514
; %bb.1513:
	global_load_dword v2, v[0:1], off
	s_waitcnt vmcnt(0)
	v_cvt_f16_f32_e32 v8, v2
.LBB264_1514:
	s_mov_b64 s[0:1], 0
.LBB264_1515:
	s_andn2_b64 vcc, exec, s[0:1]
	s_cbranch_vccnz .LBB264_1517
; %bb.1516:
	global_load_ushort v8, v[0:1], off
.LBB264_1517:
	s_mov_b64 s[0:1], 0
.LBB264_1518:
	s_andn2_b64 vcc, exec, s[0:1]
	s_cbranch_vccnz .LBB264_1538
; %bb.1519:
	s_cmp_lt_i32 s22, 2
	s_cbranch_scc1 .LBB264_1523
; %bb.1520:
	s_cmp_lt_i32 s22, 3
	s_cbranch_scc1 .LBB264_1524
; %bb.1521:
	s_cmp_gt_i32 s22, 3
	s_cbranch_scc0 .LBB264_1525
; %bb.1522:
	global_load_dwordx2 v[2:3], v[0:1], off
	s_mov_b64 s[0:1], 0
	s_waitcnt vmcnt(0)
	v_xor_b32_e32 v9, v2, v3
	v_ffbh_i32_e32 v8, v3
	v_ashrrev_i32_e32 v9, 31, v9
	v_add_u32_e32 v8, -1, v8
	v_add_u32_e32 v9, 32, v9
	v_min_u32_e32 v8, v8, v9
	v_lshlrev_b64 v[2:3], v8, v[2:3]
	v_min_u32_e32 v2, 1, v2
	v_or_b32_e32 v2, v3, v2
	v_cvt_f32_i32_e32 v2, v2
	v_sub_u32_e32 v3, 32, v8
	v_ldexp_f32 v2, v2, v3
	v_cvt_f16_f32_e32 v8, v2
	s_branch .LBB264_1526
.LBB264_1523:
	s_mov_b64 s[0:1], -1
                                        ; implicit-def: $vgpr8
	s_branch .LBB264_1532
.LBB264_1524:
	s_mov_b64 s[0:1], -1
                                        ; implicit-def: $vgpr8
	s_branch .LBB264_1529
.LBB264_1525:
	s_mov_b64 s[0:1], -1
                                        ; implicit-def: $vgpr8
.LBB264_1526:
	s_andn2_b64 vcc, exec, s[0:1]
	s_cbranch_vccnz .LBB264_1528
; %bb.1527:
	global_load_dword v2, v[0:1], off
	s_waitcnt vmcnt(0)
	v_cvt_f32_i32_e32 v2, v2
	v_cvt_f16_f32_e32 v8, v2
.LBB264_1528:
	s_mov_b64 s[0:1], 0
.LBB264_1529:
	s_andn2_b64 vcc, exec, s[0:1]
	s_cbranch_vccnz .LBB264_1531
; %bb.1530:
	global_load_ushort v2, v[0:1], off
	s_waitcnt vmcnt(0)
	v_cvt_f16_i16_e32 v8, v2
.LBB264_1531:
	s_mov_b64 s[0:1], 0
.LBB264_1532:
	s_andn2_b64 vcc, exec, s[0:1]
	s_cbranch_vccnz .LBB264_1538
; %bb.1533:
	s_cmp_gt_i32 s22, 0
	s_cbranch_scc0 .LBB264_1535
; %bb.1534:
	global_load_sbyte v2, v[0:1], off
	s_mov_b64 s[0:1], 0
	s_waitcnt vmcnt(0)
	v_cvt_f16_i16_e32 v8, v2
	s_branch .LBB264_1536
.LBB264_1535:
	s_mov_b64 s[0:1], -1
                                        ; implicit-def: $vgpr8
.LBB264_1536:
	s_andn2_b64 vcc, exec, s[0:1]
	s_cbranch_vccnz .LBB264_1538
; %bb.1537:
	global_load_ubyte v0, v[0:1], off
	s_waitcnt vmcnt(0)
	v_cvt_f16_u16_e32 v8, v0
.LBB264_1538:
	s_mov_b64 s[10:11], -1
.LBB264_1539:
	s_andn2_b64 vcc, exec, s[10:11]
	s_cbranch_vccnz .LBB264_1973
; %bb.1540:
	s_waitcnt vmcnt(0)
	v_cvt_f32_f16_e32 v0, v5
	s_mov_b32 s0, 0xf800000
	v_mov_b32_e32 v2, 0x260
	s_and_b32 s20, s33, 0xff
	v_mul_f32_e32 v1, 0x4f800000, v0
	v_cmp_gt_f32_e32 vcc, s0, v0
	s_cmp_lt_i32 s20, 11
	s_nop 0
	v_cndmask_b32_e32 v0, v0, v1, vcc
	v_rsq_f32_e32 v1, v0
	s_nop 0
	v_mul_f32_e32 v3, v0, v1
	v_mul_f32_e32 v1, 0.5, v1
	v_fma_f32 v5, -v1, v3, 0.5
	v_fmac_f32_e32 v3, v3, v5
	v_fmac_f32_e32 v1, v1, v5
	v_fma_f32 v5, -v3, v3, v0
	v_fmac_f32_e32 v3, v5, v1
	v_mul_f32_e32 v1, 0x37800000, v3
	v_cndmask_b32_e32 v1, v3, v1, vcc
	v_cmp_class_f32_e32 vcc, v0, v2
	s_nop 1
	v_cndmask_b32_e32 v0, v1, v0, vcc
	v_cvt_f16_f32_e32 v5, v0
	v_mul_lo_u32 v0, s8, v4
	v_ashrrev_i32_e32 v1, 31, v0
	v_lshl_add_u64 v[2:3], s[4:5], 0, v[0:1]
	s_cbranch_scc1 .LBB264_1618
; %bb.1541:
	s_and_b32 s9, 0xffff, s20
	s_mov_b64 s[16:17], -1
	s_mov_b64 s[6:7], 0
	s_cmp_gt_i32 s9, 25
	s_mov_b64 s[10:11], 0
	s_mov_b64 s[0:1], 0
	s_cbranch_scc0 .LBB264_1574
; %bb.1542:
	s_cmp_gt_i32 s9, 28
	s_cbranch_scc0 .LBB264_1557
; %bb.1543:
	s_cmp_gt_i32 s9, 43
	;; [unrolled: 3-line block ×3, first 2 shown]
	s_cbranch_scc0 .LBB264_1547
; %bb.1545:
	s_mov_b64 s[0:1], -1
	s_mov_b64 s[16:17], 0
	s_cmp_eq_u32 s9, 46
	s_cbranch_scc0 .LBB264_1547
; %bb.1546:
	v_cvt_f32_f16_e32 v1, v5
	s_movk_i32 s0, 0x7fff
	v_cmp_o_f16_e32 vcc, v5, v5
	v_mov_b32_e32 v4, 0x7fc0
	v_bfe_u32 v9, v1, 16, 1
	v_add3_u32 v1, v1, v9, s0
	v_cndmask_b32_sdwa v1, v4, v1, vcc dst_sel:DWORD dst_unused:UNUSED_PAD src0_sel:DWORD src1_sel:WORD_1
	global_store_dword v[2:3], v1, off
	s_mov_b64 s[0:1], 0
	s_mov_b64 s[10:11], -1
.LBB264_1547:
	s_and_b64 vcc, exec, s[16:17]
	s_cbranch_vccz .LBB264_1552
; %bb.1548:
	s_cmp_eq_u32 s9, 44
	s_mov_b64 s[0:1], -1
	s_cbranch_scc0 .LBB264_1552
; %bb.1549:
	v_cvt_f32_f16_e32 v1, v5
	s_movk_i32 s0, 0xff
	v_mov_b32_e32 v9, 0xff
	v_bfe_u32 v4, v1, 23, 8
	v_cmp_ne_u32_e32 vcc, s0, v4
	s_and_saveexec_b64 s[10:11], vcc
; %bb.1550:
	s_mov_b32 s0, 0x3fffff
	v_lshrrev_b32_e32 v9, 23, v1
	v_and_b32_e32 v10, 0x400000, v1
	v_and_or_b32 v1, v1, s0, v4
	v_cmp_ne_u32_e32 vcc, 0, v10
	v_cmp_ne_u32_e64 s[0:1], 0, v1
	s_and_b64 s[0:1], vcc, s[0:1]
	s_nop 0
	v_cndmask_b32_e64 v1, 0, 1, s[0:1]
	v_add_u32_e32 v9, v9, v1
; %bb.1551:
	s_or_b64 exec, exec, s[10:11]
	s_mov_b64 s[0:1], 0
	s_mov_b64 s[10:11], -1
	global_store_byte v[2:3], v9, off
.LBB264_1552:
	s_mov_b64 s[16:17], 0
.LBB264_1553:
	s_and_b64 vcc, exec, s[16:17]
	s_cbranch_vccz .LBB264_1556
; %bb.1554:
	s_cmp_eq_u32 s9, 29
	s_mov_b64 s[0:1], -1
	s_cbranch_scc0 .LBB264_1556
; %bb.1555:
	v_cvt_f32_f16_e32 v1, v5
	v_mov_b32_e32 v11, 0
	s_mov_b64 s[0:1], 0
	s_mov_b64 s[10:11], -1
	v_cvt_u32_f32_e32 v10, v1
	global_store_dwordx2 v[2:3], v[10:11], off
.LBB264_1556:
	s_mov_b64 s[16:17], 0
.LBB264_1557:
	s_and_b64 vcc, exec, s[16:17]
	s_cbranch_vccz .LBB264_1573
; %bb.1558:
	s_cmp_lt_i32 s9, 27
	s_mov_b64 s[10:11], -1
	s_cbranch_scc1 .LBB264_1564
; %bb.1559:
	s_cmp_gt_i32 s9, 27
	s_cbranch_scc0 .LBB264_1561
; %bb.1560:
	v_cvt_f32_f16_e32 v1, v5
	s_mov_b64 s[10:11], 0
	v_cvt_u32_f32_e32 v1, v1
	global_store_dword v[2:3], v1, off
.LBB264_1561:
	s_andn2_b64 vcc, exec, s[10:11]
	s_cbranch_vccnz .LBB264_1563
; %bb.1562:
	v_cvt_u16_f16_e32 v1, v5
	global_store_short v[2:3], v1, off
.LBB264_1563:
	s_mov_b64 s[10:11], 0
.LBB264_1564:
	s_andn2_b64 vcc, exec, s[10:11]
	s_cbranch_vccnz .LBB264_1572
; %bb.1565:
	v_cvt_f32_f16_e32 v1, v5
	s_mov_b32 s10, 0x43800000
	v_mov_b32_e32 v9, 0x80
	v_and_b32_e32 v4, 0x7fffffff, v1
	v_cmp_gt_u32_e32 vcc, s10, v4
	s_and_saveexec_b64 s[10:11], vcc
	s_cbranch_execz .LBB264_1571
; %bb.1566:
	s_mov_b32 s16, 0x3bffffff
	v_cmp_lt_u32_e32 vcc, s16, v4
	s_mov_b64 s[16:17], 0
                                        ; implicit-def: $vgpr4
	s_and_saveexec_b64 s[18:19], vcc
	s_xor_b64 s[18:19], exec, s[18:19]
	s_cbranch_execz .LBB264_2020
; %bb.1567:
	v_bfe_u32 v4, v1, 20, 1
	s_mov_b32 s21, 0x487ffff
	v_add3_u32 v4, v1, v4, s21
	s_mov_b64 s[16:17], exec
	v_lshrrev_b32_e32 v4, 20, v4
	s_andn2_saveexec_b64 s[18:19], s[18:19]
	s_cbranch_execnz .LBB264_2021
.LBB264_1568:
	s_or_b64 exec, exec, s[18:19]
	v_mov_b32_e32 v9, 0
	s_and_saveexec_b64 s[18:19], s[16:17]
.LBB264_1569:
	v_lshrrev_b32_e32 v1, 24, v1
	s_movk_i32 s16, 0x80
	v_and_or_b32 v9, v1, s16, v4
.LBB264_1570:
	s_or_b64 exec, exec, s[18:19]
.LBB264_1571:
	s_or_b64 exec, exec, s[10:11]
	global_store_byte v[2:3], v9, off
.LBB264_1572:
	s_mov_b64 s[10:11], -1
.LBB264_1573:
	s_mov_b64 s[16:17], 0
.LBB264_1574:
	s_and_b64 vcc, exec, s[16:17]
	s_cbranch_vccz .LBB264_1614
; %bb.1575:
	s_cmp_gt_i32 s9, 22
	s_mov_b64 s[6:7], -1
	s_cbranch_scc0 .LBB264_1607
; %bb.1576:
	s_cmp_lt_i32 s9, 24
	s_cbranch_scc1 .LBB264_1596
; %bb.1577:
	s_cmp_gt_i32 s9, 24
	s_cbranch_scc0 .LBB264_1585
; %bb.1578:
	v_cvt_f32_f16_e32 v1, v5
	s_mov_b32 s6, 0x47800000
	v_mov_b32_e32 v9, 0x80
	v_and_b32_e32 v4, 0x7fffffff, v1
	v_cmp_gt_u32_e32 vcc, s6, v4
	s_and_saveexec_b64 s[6:7], vcc
	s_cbranch_execz .LBB264_1584
; %bb.1579:
	s_mov_b32 s10, 0x37ffffff
	v_cmp_lt_u32_e32 vcc, s10, v4
	s_mov_b64 s[10:11], 0
                                        ; implicit-def: $vgpr4
	s_and_saveexec_b64 s[16:17], vcc
	s_xor_b64 s[16:17], exec, s[16:17]
	s_cbranch_execz .LBB264_2023
; %bb.1580:
	v_bfe_u32 v4, v1, 21, 1
	s_mov_b32 s18, 0x88fffff
	v_add3_u32 v4, v1, v4, s18
	s_mov_b64 s[10:11], exec
	v_lshrrev_b32_e32 v4, 21, v4
	s_andn2_saveexec_b64 s[16:17], s[16:17]
	s_cbranch_execnz .LBB264_2024
.LBB264_1581:
	s_or_b64 exec, exec, s[16:17]
	v_mov_b32_e32 v9, 0
	s_and_saveexec_b64 s[16:17], s[10:11]
.LBB264_1582:
	v_lshrrev_b32_e32 v1, 24, v1
	s_movk_i32 s10, 0x80
	v_and_or_b32 v9, v1, s10, v4
.LBB264_1583:
	s_or_b64 exec, exec, s[16:17]
.LBB264_1584:
	s_or_b64 exec, exec, s[6:7]
	s_mov_b64 s[6:7], 0
	global_store_byte v[2:3], v9, off
.LBB264_1585:
	s_and_b64 vcc, exec, s[6:7]
	s_cbranch_vccz .LBB264_1595
; %bb.1586:
	v_cvt_f32_f16_e32 v1, v5
	s_mov_b32 s6, 0x43f00000
                                        ; implicit-def: $vgpr4
	v_and_b32_e32 v9, 0x7fffffff, v1
	v_cmp_gt_u32_e32 vcc, s6, v9
	s_and_saveexec_b64 s[6:7], vcc
	s_xor_b64 s[6:7], exec, s[6:7]
	s_cbranch_execz .LBB264_1592
; %bb.1587:
	s_mov_b32 s10, 0x3c7fffff
	v_cmp_lt_u32_e32 vcc, s10, v9
                                        ; implicit-def: $vgpr4
	s_and_saveexec_b64 s[10:11], vcc
	s_xor_b64 s[10:11], exec, s[10:11]
; %bb.1588:
	v_bfe_u32 v4, v1, 20, 1
	s_mov_b32 s16, 0x407ffff
	v_add3_u32 v4, v1, v4, s16
	v_lshrrev_b32_e32 v9, 20, v4
	v_and_b32_e32 v4, 0xff00000, v4
	s_mov_b32 s16, 0x7f00000
	v_mov_b32_e32 v10, 0x7e
	v_cmp_ne_u32_e32 vcc, s16, v4
	s_nop 1
	v_cndmask_b32_e32 v4, v10, v9, vcc
; %bb.1589:
	s_andn2_saveexec_b64 s[10:11], s[10:11]
; %bb.1590:
	s_mov_b32 s16, 0x46800000
	v_add_f32_e64 v4, |v1|, s16
; %bb.1591:
	s_or_b64 exec, exec, s[10:11]
                                        ; implicit-def: $vgpr9
.LBB264_1592:
	s_andn2_saveexec_b64 s[6:7], s[6:7]
; %bb.1593:
	s_mov_b32 s10, 0x7f800000
	v_mov_b32_e32 v4, 0x7e
	v_mov_b32_e32 v10, 0x7f
	v_cmp_lt_u32_e32 vcc, s10, v9
	s_nop 1
	v_cndmask_b32_e32 v4, v4, v10, vcc
; %bb.1594:
	s_or_b64 exec, exec, s[6:7]
	v_lshrrev_b32_e32 v1, 24, v1
	s_movk_i32 s6, 0x80
	v_and_or_b32 v1, v1, s6, v4
	global_store_byte v[2:3], v1, off
.LBB264_1595:
	s_mov_b64 s[6:7], 0
.LBB264_1596:
	s_andn2_b64 vcc, exec, s[6:7]
	s_cbranch_vccnz .LBB264_1606
; %bb.1597:
	v_cvt_f32_f16_e32 v1, v5
	s_mov_b32 s6, 0x47800000
                                        ; implicit-def: $vgpr4
	v_and_b32_e32 v9, 0x7fffffff, v1
	v_cmp_gt_u32_e32 vcc, s6, v9
	s_and_saveexec_b64 s[6:7], vcc
	s_xor_b64 s[6:7], exec, s[6:7]
	s_cbranch_execz .LBB264_1603
; %bb.1598:
	s_mov_b32 s10, 0x387fffff
	v_cmp_lt_u32_e32 vcc, s10, v9
                                        ; implicit-def: $vgpr4
	s_and_saveexec_b64 s[10:11], vcc
	s_xor_b64 s[10:11], exec, s[10:11]
; %bb.1599:
	v_bfe_u32 v4, v1, 21, 1
	s_mov_b32 s16, 0x80fffff
	v_add3_u32 v4, v1, v4, s16
	v_lshrrev_b32_e32 v4, 21, v4
; %bb.1600:
	s_andn2_saveexec_b64 s[10:11], s[10:11]
; %bb.1601:
	s_mov_b32 s16, 0x43000000
	v_add_f32_e64 v4, |v1|, s16
; %bb.1602:
	s_or_b64 exec, exec, s[10:11]
                                        ; implicit-def: $vgpr9
.LBB264_1603:
	s_andn2_saveexec_b64 s[6:7], s[6:7]
; %bb.1604:
	s_mov_b32 s10, 0x7f800000
	v_mov_b32_e32 v4, 0x7c
	v_mov_b32_e32 v10, 0x7f
	v_cmp_lt_u32_e32 vcc, s10, v9
	s_nop 1
	v_cndmask_b32_e32 v4, v4, v10, vcc
; %bb.1605:
	s_or_b64 exec, exec, s[6:7]
	v_lshrrev_b32_e32 v1, 24, v1
	s_movk_i32 s6, 0x80
	v_and_or_b32 v1, v1, s6, v4
	global_store_byte v[2:3], v1, off
.LBB264_1606:
	s_mov_b64 s[6:7], 0
	s_mov_b64 s[10:11], -1
.LBB264_1607:
	s_andn2_b64 vcc, exec, s[6:7]
	s_mov_b64 s[6:7], 0
	s_cbranch_vccnz .LBB264_1614
; %bb.1608:
	s_cmp_gt_i32 s9, 14
	s_mov_b64 s[16:17], -1
	s_cbranch_scc0 .LBB264_1612
; %bb.1609:
	s_cmp_eq_u32 s9, 15
	s_mov_b64 s[0:1], -1
	s_cbranch_scc0 .LBB264_1611
; %bb.1610:
	v_cvt_f32_f16_e32 v1, v5
	s_movk_i32 s0, 0x7fff
	v_cmp_o_f16_e32 vcc, v5, v5
	v_mov_b32_e32 v4, 0x7fc0
	v_bfe_u32 v9, v1, 16, 1
	v_add3_u32 v1, v1, v9, s0
	v_cndmask_b32_sdwa v1, v4, v1, vcc dst_sel:DWORD dst_unused:UNUSED_PAD src0_sel:DWORD src1_sel:WORD_1
	global_store_short v[2:3], v1, off
	s_mov_b64 s[0:1], 0
	s_mov_b64 s[10:11], -1
.LBB264_1611:
	s_mov_b64 s[16:17], 0
.LBB264_1612:
	s_and_b64 vcc, exec, s[16:17]
	s_cbranch_vccz .LBB264_1614
; %bb.1613:
	s_cmp_lg_u32 s9, 11
	s_mov_b64 s[6:7], -1
	s_cselect_b64 s[0:1], -1, 0
.LBB264_1614:
	s_and_b64 vcc, exec, s[0:1]
	s_cbranch_vccnz .LBB264_2022
; %bb.1615:
	s_andn2_b64 vcc, exec, s[6:7]
	s_cbranch_vccnz .LBB264_1617
.LBB264_1616:
	v_cmp_neq_f16_e32 vcc, 0, v5
	s_mov_b64 s[10:11], -1
	s_nop 0
	v_cndmask_b32_e64 v1, 0, 1, vcc
	global_store_byte v[2:3], v1, off
.LBB264_1617:
	s_mov_b64 s[0:1], 0
	s_branch .LBB264_1619
.LBB264_1618:
	s_mov_b64 s[0:1], -1
	s_mov_b64 s[10:11], 0
.LBB264_1619:
	s_and_b64 vcc, exec, s[0:1]
	s_cbranch_vccz .LBB264_1658
; %bb.1620:
	s_and_b32 s6, 0xffff, s20
	s_cmp_lt_i32 s6, 5
	s_mov_b64 s[0:1], -1
	s_cbranch_scc1 .LBB264_1641
; %bb.1621:
	s_cmp_lt_i32 s6, 8
	s_cbranch_scc1 .LBB264_1631
; %bb.1622:
	s_cmp_lt_i32 s6, 9
	s_cbranch_scc1 .LBB264_1628
; %bb.1623:
	s_cmp_gt_i32 s6, 9
	s_cbranch_scc0 .LBB264_1625
; %bb.1624:
	v_cvt_f32_f16_e32 v1, v5
	v_mov_b32_e32 v12, 0
	v_mov_b32_e32 v13, v12
	s_mov_b64 s[0:1], 0
	v_cvt_f64_f32_e32 v[10:11], v1
	global_store_dwordx4 v[2:3], v[10:13], off
.LBB264_1625:
	s_andn2_b64 vcc, exec, s[0:1]
	s_cbranch_vccnz .LBB264_1627
; %bb.1626:
	v_cvt_f32_f16_e32 v10, v5
	v_mov_b32_e32 v11, 0
	global_store_dwordx2 v[2:3], v[10:11], off
.LBB264_1627:
	s_mov_b64 s[0:1], 0
.LBB264_1628:
	s_andn2_b64 vcc, exec, s[0:1]
	s_cbranch_vccnz .LBB264_1630
; %bb.1629:
	global_store_dword v[2:3], v5, off
.LBB264_1630:
	s_mov_b64 s[0:1], 0
.LBB264_1631:
	s_andn2_b64 vcc, exec, s[0:1]
	s_cbranch_vccnz .LBB264_1640
; %bb.1632:
	s_cmp_lt_i32 s6, 6
	s_mov_b64 s[0:1], -1
	s_cbranch_scc1 .LBB264_1638
; %bb.1633:
	s_cmp_gt_i32 s6, 6
	s_cbranch_scc0 .LBB264_1635
; %bb.1634:
	v_cvt_f32_f16_e32 v1, v5
	s_mov_b64 s[0:1], 0
	v_cvt_f64_f32_e32 v[10:11], v1
	global_store_dwordx2 v[2:3], v[10:11], off
.LBB264_1635:
	s_andn2_b64 vcc, exec, s[0:1]
	s_cbranch_vccnz .LBB264_1637
; %bb.1636:
	v_cvt_f32_f16_e32 v1, v5
	global_store_dword v[2:3], v1, off
.LBB264_1637:
	s_mov_b64 s[0:1], 0
.LBB264_1638:
	s_andn2_b64 vcc, exec, s[0:1]
	s_cbranch_vccnz .LBB264_1640
; %bb.1639:
	global_store_short v[2:3], v5, off
.LBB264_1640:
	s_mov_b64 s[0:1], 0
.LBB264_1641:
	s_andn2_b64 vcc, exec, s[0:1]
	s_cbranch_vccnz .LBB264_1657
; %bb.1642:
	s_cmp_lt_i32 s6, 2
	s_mov_b64 s[0:1], -1
	s_cbranch_scc1 .LBB264_1652
; %bb.1643:
	s_cmp_lt_i32 s6, 3
	s_cbranch_scc1 .LBB264_1649
; %bb.1644:
	s_cmp_gt_i32 s6, 3
	s_cbranch_scc0 .LBB264_1646
; %bb.1645:
	v_cvt_f32_f16_e32 v1, v5
	s_mov_b64 s[0:1], 0
	v_cvt_i32_f32_e32 v10, v1
	v_ashrrev_i32_e32 v11, 31, v10
	global_store_dwordx2 v[2:3], v[10:11], off
.LBB264_1646:
	s_andn2_b64 vcc, exec, s[0:1]
	s_cbranch_vccnz .LBB264_1648
; %bb.1647:
	v_cvt_f32_f16_e32 v1, v5
	v_cvt_i32_f32_e32 v1, v1
	global_store_dword v[2:3], v1, off
.LBB264_1648:
	s_mov_b64 s[0:1], 0
.LBB264_1649:
	s_andn2_b64 vcc, exec, s[0:1]
	s_cbranch_vccnz .LBB264_1651
; %bb.1650:
	v_cvt_i16_f16_e32 v1, v5
	global_store_short v[2:3], v1, off
.LBB264_1651:
	s_mov_b64 s[0:1], 0
.LBB264_1652:
	s_andn2_b64 vcc, exec, s[0:1]
	s_cbranch_vccnz .LBB264_1657
; %bb.1653:
	s_cmp_gt_i32 s6, 0
	s_mov_b64 s[0:1], -1
	s_cbranch_scc0 .LBB264_1655
; %bb.1654:
	v_cvt_i16_f16_e32 v1, v5
	global_store_byte v[2:3], v1, off
	s_mov_b64 s[0:1], 0
.LBB264_1655:
	s_andn2_b64 vcc, exec, s[0:1]
	s_cbranch_vccnz .LBB264_1657
; %bb.1656:
	v_cvt_f32_f16_e32 v1, v5
	v_cvt_i32_f32_e32 v1, v1
	global_store_byte v[2:3], v1, off
.LBB264_1657:
	s_mov_b64 s[10:11], -1
.LBB264_1658:
	s_andn2_b64 vcc, exec, s[10:11]
	s_cbranch_vccnz .LBB264_1973
; %bb.1659:
	v_cvt_f32_f16_e32 v1, v6
	s_mov_b32 s0, 0xf800000
	v_mov_b32_e32 v3, 0x260
	s_lshl_b32 s18, s8, 7
	v_mul_f32_e32 v2, 0x4f800000, v1
	v_cmp_gt_f32_e32 vcc, s0, v1
	v_add_u32_e32 v0, s18, v0
	s_cmp_lt_i32 s20, 11
	v_cndmask_b32_e32 v1, v1, v2, vcc
	v_rsq_f32_e32 v2, v1
	s_nop 0
	v_mul_f32_e32 v4, v1, v2
	v_mul_f32_e32 v2, 0.5, v2
	v_fma_f32 v5, -v2, v4, 0.5
	v_fmac_f32_e32 v4, v4, v5
	v_fmac_f32_e32 v2, v2, v5
	v_fma_f32 v5, -v4, v4, v1
	v_fmac_f32_e32 v4, v5, v2
	v_mul_f32_e32 v2, 0x37800000, v4
	v_cndmask_b32_e32 v2, v4, v2, vcc
	v_cmp_class_f32_e32 vcc, v1, v3
	s_nop 1
	v_cndmask_b32_e32 v1, v2, v1, vcc
	v_cvt_f16_f32_e32 v4, v1
	v_ashrrev_i32_e32 v1, 31, v0
	v_lshl_add_u64 v[2:3], s[4:5], 0, v[0:1]
	s_cbranch_scc1 .LBB264_1737
; %bb.1660:
	s_and_b32 s19, 0xffff, s20
	s_mov_b64 s[10:11], -1
	s_mov_b64 s[6:7], 0
	s_cmp_gt_i32 s19, 25
	s_mov_b64 s[8:9], 0
	s_mov_b64 s[0:1], 0
	s_cbranch_scc0 .LBB264_1693
; %bb.1661:
	s_cmp_gt_i32 s19, 28
	s_cbranch_scc0 .LBB264_1676
; %bb.1662:
	s_cmp_gt_i32 s19, 43
	s_cbranch_scc0 .LBB264_1672
; %bb.1663:
	s_cmp_gt_i32 s19, 45
	s_cbranch_scc0 .LBB264_1666
; %bb.1664:
	s_mov_b64 s[0:1], -1
	s_mov_b64 s[10:11], 0
	s_cmp_eq_u32 s19, 46
	s_cbranch_scc0 .LBB264_1666
; %bb.1665:
	v_cvt_f32_f16_e32 v1, v4
	s_movk_i32 s0, 0x7fff
	v_cmp_o_f16_e32 vcc, v4, v4
	v_mov_b32_e32 v5, 0x7fc0
	v_bfe_u32 v6, v1, 16, 1
	v_add3_u32 v1, v1, v6, s0
	v_cndmask_b32_sdwa v1, v5, v1, vcc dst_sel:DWORD dst_unused:UNUSED_PAD src0_sel:DWORD src1_sel:WORD_1
	global_store_dword v[2:3], v1, off
	s_mov_b64 s[0:1], 0
	s_mov_b64 s[8:9], -1
.LBB264_1666:
	s_and_b64 vcc, exec, s[10:11]
	s_cbranch_vccz .LBB264_1671
; %bb.1667:
	s_cmp_eq_u32 s19, 44
	s_mov_b64 s[0:1], -1
	s_cbranch_scc0 .LBB264_1671
; %bb.1668:
	v_cvt_f32_f16_e32 v1, v4
	s_movk_i32 s0, 0xff
	v_mov_b32_e32 v6, 0xff
	v_bfe_u32 v5, v1, 23, 8
	v_cmp_ne_u32_e32 vcc, s0, v5
	s_and_saveexec_b64 s[8:9], vcc
; %bb.1669:
	s_mov_b32 s0, 0x3fffff
	v_lshrrev_b32_e32 v6, 23, v1
	v_and_b32_e32 v9, 0x400000, v1
	v_and_or_b32 v1, v1, s0, v5
	v_cmp_ne_u32_e32 vcc, 0, v9
	v_cmp_ne_u32_e64 s[0:1], 0, v1
	s_and_b64 s[0:1], vcc, s[0:1]
	s_nop 0
	v_cndmask_b32_e64 v1, 0, 1, s[0:1]
	v_add_u32_e32 v6, v6, v1
; %bb.1670:
	s_or_b64 exec, exec, s[8:9]
	s_mov_b64 s[0:1], 0
	s_mov_b64 s[8:9], -1
	global_store_byte v[2:3], v6, off
.LBB264_1671:
	s_mov_b64 s[10:11], 0
.LBB264_1672:
	s_and_b64 vcc, exec, s[10:11]
	s_cbranch_vccz .LBB264_1675
; %bb.1673:
	s_cmp_eq_u32 s19, 29
	s_mov_b64 s[0:1], -1
	s_cbranch_scc0 .LBB264_1675
; %bb.1674:
	v_cvt_f32_f16_e32 v1, v4
	v_mov_b32_e32 v11, 0
	s_mov_b64 s[0:1], 0
	s_mov_b64 s[8:9], -1
	v_cvt_u32_f32_e32 v10, v1
	global_store_dwordx2 v[2:3], v[10:11], off
.LBB264_1675:
	s_mov_b64 s[10:11], 0
.LBB264_1676:
	s_and_b64 vcc, exec, s[10:11]
	s_cbranch_vccz .LBB264_1692
; %bb.1677:
	s_cmp_lt_i32 s19, 27
	s_mov_b64 s[8:9], -1
	s_cbranch_scc1 .LBB264_1683
; %bb.1678:
	s_cmp_gt_i32 s19, 27
	s_cbranch_scc0 .LBB264_1680
; %bb.1679:
	v_cvt_f32_f16_e32 v1, v4
	s_mov_b64 s[8:9], 0
	v_cvt_u32_f32_e32 v1, v1
	global_store_dword v[2:3], v1, off
.LBB264_1680:
	s_andn2_b64 vcc, exec, s[8:9]
	s_cbranch_vccnz .LBB264_1682
; %bb.1681:
	v_cvt_u16_f16_e32 v1, v4
	global_store_short v[2:3], v1, off
.LBB264_1682:
	s_mov_b64 s[8:9], 0
.LBB264_1683:
	s_andn2_b64 vcc, exec, s[8:9]
	s_cbranch_vccnz .LBB264_1691
; %bb.1684:
	v_cvt_f32_f16_e32 v1, v4
	s_mov_b32 s8, 0x43800000
	v_mov_b32_e32 v6, 0x80
	v_and_b32_e32 v5, 0x7fffffff, v1
	v_cmp_gt_u32_e32 vcc, s8, v5
	s_and_saveexec_b64 s[8:9], vcc
	s_cbranch_execz .LBB264_1690
; %bb.1685:
	s_mov_b32 s10, 0x3bffffff
	v_cmp_lt_u32_e32 vcc, s10, v5
	s_mov_b64 s[10:11], 0
                                        ; implicit-def: $vgpr5
	s_and_saveexec_b64 s[16:17], vcc
	s_xor_b64 s[16:17], exec, s[16:17]
	s_cbranch_execz .LBB264_2025
; %bb.1686:
	v_bfe_u32 v5, v1, 20, 1
	s_mov_b32 s21, 0x487ffff
	v_add3_u32 v5, v1, v5, s21
	s_mov_b64 s[10:11], exec
	v_lshrrev_b32_e32 v5, 20, v5
	s_andn2_saveexec_b64 s[16:17], s[16:17]
	s_cbranch_execnz .LBB264_2026
.LBB264_1687:
	s_or_b64 exec, exec, s[16:17]
	v_mov_b32_e32 v6, 0
	s_and_saveexec_b64 s[16:17], s[10:11]
.LBB264_1688:
	v_lshrrev_b32_e32 v1, 24, v1
	s_movk_i32 s10, 0x80
	v_and_or_b32 v6, v1, s10, v5
.LBB264_1689:
	s_or_b64 exec, exec, s[16:17]
.LBB264_1690:
	s_or_b64 exec, exec, s[8:9]
	global_store_byte v[2:3], v6, off
.LBB264_1691:
	s_mov_b64 s[8:9], -1
.LBB264_1692:
	s_mov_b64 s[10:11], 0
.LBB264_1693:
	s_and_b64 vcc, exec, s[10:11]
	s_cbranch_vccz .LBB264_1733
; %bb.1694:
	s_cmp_gt_i32 s19, 22
	s_mov_b64 s[6:7], -1
	s_cbranch_scc0 .LBB264_1726
; %bb.1695:
	s_cmp_lt_i32 s19, 24
	s_cbranch_scc1 .LBB264_1715
; %bb.1696:
	s_cmp_gt_i32 s19, 24
	s_cbranch_scc0 .LBB264_1704
; %bb.1697:
	v_cvt_f32_f16_e32 v1, v4
	s_mov_b32 s6, 0x47800000
	v_mov_b32_e32 v6, 0x80
	v_and_b32_e32 v5, 0x7fffffff, v1
	v_cmp_gt_u32_e32 vcc, s6, v5
	s_and_saveexec_b64 s[6:7], vcc
	s_cbranch_execz .LBB264_1703
; %bb.1698:
	s_mov_b32 s8, 0x37ffffff
	v_cmp_lt_u32_e32 vcc, s8, v5
	s_mov_b64 s[8:9], 0
                                        ; implicit-def: $vgpr5
	s_and_saveexec_b64 s[10:11], vcc
	s_xor_b64 s[10:11], exec, s[10:11]
	s_cbranch_execz .LBB264_2028
; %bb.1699:
	v_bfe_u32 v5, v1, 21, 1
	s_mov_b32 s16, 0x88fffff
	v_add3_u32 v5, v1, v5, s16
	s_mov_b64 s[8:9], exec
	v_lshrrev_b32_e32 v5, 21, v5
	s_andn2_saveexec_b64 s[10:11], s[10:11]
	s_cbranch_execnz .LBB264_2029
.LBB264_1700:
	s_or_b64 exec, exec, s[10:11]
	v_mov_b32_e32 v6, 0
	s_and_saveexec_b64 s[10:11], s[8:9]
.LBB264_1701:
	v_lshrrev_b32_e32 v1, 24, v1
	s_movk_i32 s8, 0x80
	v_and_or_b32 v6, v1, s8, v5
.LBB264_1702:
	s_or_b64 exec, exec, s[10:11]
.LBB264_1703:
	s_or_b64 exec, exec, s[6:7]
	s_mov_b64 s[6:7], 0
	global_store_byte v[2:3], v6, off
.LBB264_1704:
	s_and_b64 vcc, exec, s[6:7]
	s_cbranch_vccz .LBB264_1714
; %bb.1705:
	v_cvt_f32_f16_e32 v1, v4
	s_mov_b32 s6, 0x43f00000
                                        ; implicit-def: $vgpr5
	v_and_b32_e32 v6, 0x7fffffff, v1
	v_cmp_gt_u32_e32 vcc, s6, v6
	s_and_saveexec_b64 s[6:7], vcc
	s_xor_b64 s[6:7], exec, s[6:7]
	s_cbranch_execz .LBB264_1711
; %bb.1706:
	s_mov_b32 s8, 0x3c7fffff
	v_cmp_lt_u32_e32 vcc, s8, v6
                                        ; implicit-def: $vgpr5
	s_and_saveexec_b64 s[8:9], vcc
	s_xor_b64 s[8:9], exec, s[8:9]
; %bb.1707:
	v_bfe_u32 v5, v1, 20, 1
	s_mov_b32 s10, 0x407ffff
	v_add3_u32 v5, v1, v5, s10
	v_lshrrev_b32_e32 v6, 20, v5
	v_and_b32_e32 v5, 0xff00000, v5
	s_mov_b32 s10, 0x7f00000
	v_mov_b32_e32 v9, 0x7e
	v_cmp_ne_u32_e32 vcc, s10, v5
	s_nop 1
	v_cndmask_b32_e32 v5, v9, v6, vcc
; %bb.1708:
	s_andn2_saveexec_b64 s[8:9], s[8:9]
; %bb.1709:
	s_mov_b32 s10, 0x46800000
	v_add_f32_e64 v5, |v1|, s10
; %bb.1710:
	s_or_b64 exec, exec, s[8:9]
                                        ; implicit-def: $vgpr6
.LBB264_1711:
	s_andn2_saveexec_b64 s[6:7], s[6:7]
; %bb.1712:
	s_mov_b32 s8, 0x7f800000
	v_mov_b32_e32 v5, 0x7e
	v_mov_b32_e32 v9, 0x7f
	v_cmp_lt_u32_e32 vcc, s8, v6
	s_nop 1
	v_cndmask_b32_e32 v5, v5, v9, vcc
; %bb.1713:
	s_or_b64 exec, exec, s[6:7]
	v_lshrrev_b32_e32 v1, 24, v1
	s_movk_i32 s6, 0x80
	v_and_or_b32 v1, v1, s6, v5
	global_store_byte v[2:3], v1, off
.LBB264_1714:
	s_mov_b64 s[6:7], 0
.LBB264_1715:
	s_andn2_b64 vcc, exec, s[6:7]
	s_cbranch_vccnz .LBB264_1725
; %bb.1716:
	v_cvt_f32_f16_e32 v1, v4
	s_mov_b32 s6, 0x47800000
                                        ; implicit-def: $vgpr5
	v_and_b32_e32 v6, 0x7fffffff, v1
	v_cmp_gt_u32_e32 vcc, s6, v6
	s_and_saveexec_b64 s[6:7], vcc
	s_xor_b64 s[6:7], exec, s[6:7]
	s_cbranch_execz .LBB264_1722
; %bb.1717:
	s_mov_b32 s8, 0x387fffff
	v_cmp_lt_u32_e32 vcc, s8, v6
                                        ; implicit-def: $vgpr5
	s_and_saveexec_b64 s[8:9], vcc
	s_xor_b64 s[8:9], exec, s[8:9]
; %bb.1718:
	v_bfe_u32 v5, v1, 21, 1
	s_mov_b32 s10, 0x80fffff
	v_add3_u32 v5, v1, v5, s10
	v_lshrrev_b32_e32 v5, 21, v5
; %bb.1719:
	s_andn2_saveexec_b64 s[8:9], s[8:9]
; %bb.1720:
	s_mov_b32 s10, 0x43000000
	v_add_f32_e64 v5, |v1|, s10
; %bb.1721:
	s_or_b64 exec, exec, s[8:9]
                                        ; implicit-def: $vgpr6
.LBB264_1722:
	s_andn2_saveexec_b64 s[6:7], s[6:7]
; %bb.1723:
	s_mov_b32 s8, 0x7f800000
	v_mov_b32_e32 v5, 0x7c
	v_mov_b32_e32 v9, 0x7f
	v_cmp_lt_u32_e32 vcc, s8, v6
	s_nop 1
	v_cndmask_b32_e32 v5, v5, v9, vcc
; %bb.1724:
	s_or_b64 exec, exec, s[6:7]
	v_lshrrev_b32_e32 v1, 24, v1
	s_movk_i32 s6, 0x80
	v_and_or_b32 v1, v1, s6, v5
	global_store_byte v[2:3], v1, off
.LBB264_1725:
	s_mov_b64 s[6:7], 0
	s_mov_b64 s[8:9], -1
.LBB264_1726:
	s_andn2_b64 vcc, exec, s[6:7]
	s_mov_b64 s[6:7], 0
	s_cbranch_vccnz .LBB264_1733
; %bb.1727:
	s_cmp_gt_i32 s19, 14
	s_mov_b64 s[10:11], -1
	s_cbranch_scc0 .LBB264_1731
; %bb.1728:
	s_cmp_eq_u32 s19, 15
	s_mov_b64 s[0:1], -1
	s_cbranch_scc0 .LBB264_1730
; %bb.1729:
	v_cvt_f32_f16_e32 v1, v4
	s_movk_i32 s0, 0x7fff
	v_cmp_o_f16_e32 vcc, v4, v4
	v_mov_b32_e32 v5, 0x7fc0
	v_bfe_u32 v6, v1, 16, 1
	v_add3_u32 v1, v1, v6, s0
	v_cndmask_b32_sdwa v1, v5, v1, vcc dst_sel:DWORD dst_unused:UNUSED_PAD src0_sel:DWORD src1_sel:WORD_1
	global_store_short v[2:3], v1, off
	s_mov_b64 s[0:1], 0
	s_mov_b64 s[8:9], -1
.LBB264_1730:
	s_mov_b64 s[10:11], 0
.LBB264_1731:
	s_and_b64 vcc, exec, s[10:11]
	s_cbranch_vccz .LBB264_1733
; %bb.1732:
	s_cmp_lg_u32 s19, 11
	s_mov_b64 s[6:7], -1
	s_cselect_b64 s[0:1], -1, 0
.LBB264_1733:
	s_and_b64 vcc, exec, s[0:1]
	s_cbranch_vccnz .LBB264_2027
; %bb.1734:
	s_andn2_b64 vcc, exec, s[6:7]
	s_cbranch_vccnz .LBB264_1736
.LBB264_1735:
	v_cmp_neq_f16_e32 vcc, 0, v4
	s_mov_b64 s[8:9], -1
	s_nop 0
	v_cndmask_b32_e64 v1, 0, 1, vcc
	global_store_byte v[2:3], v1, off
.LBB264_1736:
	s_mov_b64 s[0:1], 0
	s_branch .LBB264_1738
.LBB264_1737:
	s_mov_b64 s[0:1], -1
	s_mov_b64 s[8:9], 0
.LBB264_1738:
	s_and_b64 vcc, exec, s[0:1]
	s_cbranch_vccz .LBB264_1777
; %bb.1739:
	s_and_b32 s6, 0xffff, s20
	s_cmp_lt_i32 s6, 5
	s_mov_b64 s[0:1], -1
	s_cbranch_scc1 .LBB264_1760
; %bb.1740:
	s_cmp_lt_i32 s6, 8
	s_cbranch_scc1 .LBB264_1750
; %bb.1741:
	s_cmp_lt_i32 s6, 9
	s_cbranch_scc1 .LBB264_1747
; %bb.1742:
	s_cmp_gt_i32 s6, 9
	s_cbranch_scc0 .LBB264_1744
; %bb.1743:
	v_cvt_f32_f16_e32 v1, v4
	v_mov_b32_e32 v12, 0
	v_mov_b32_e32 v13, v12
	s_mov_b64 s[0:1], 0
	v_cvt_f64_f32_e32 v[10:11], v1
	global_store_dwordx4 v[2:3], v[10:13], off
.LBB264_1744:
	s_andn2_b64 vcc, exec, s[0:1]
	s_cbranch_vccnz .LBB264_1746
; %bb.1745:
	v_cvt_f32_f16_e32 v10, v4
	v_mov_b32_e32 v11, 0
	global_store_dwordx2 v[2:3], v[10:11], off
.LBB264_1746:
	s_mov_b64 s[0:1], 0
.LBB264_1747:
	s_andn2_b64 vcc, exec, s[0:1]
	s_cbranch_vccnz .LBB264_1749
; %bb.1748:
	global_store_dword v[2:3], v4, off
.LBB264_1749:
	s_mov_b64 s[0:1], 0
.LBB264_1750:
	s_andn2_b64 vcc, exec, s[0:1]
	s_cbranch_vccnz .LBB264_1759
; %bb.1751:
	s_cmp_lt_i32 s6, 6
	s_mov_b64 s[0:1], -1
	s_cbranch_scc1 .LBB264_1757
; %bb.1752:
	s_cmp_gt_i32 s6, 6
	s_cbranch_scc0 .LBB264_1754
; %bb.1753:
	v_cvt_f32_f16_e32 v1, v4
	s_mov_b64 s[0:1], 0
	v_cvt_f64_f32_e32 v[10:11], v1
	global_store_dwordx2 v[2:3], v[10:11], off
.LBB264_1754:
	s_andn2_b64 vcc, exec, s[0:1]
	s_cbranch_vccnz .LBB264_1756
; %bb.1755:
	v_cvt_f32_f16_e32 v1, v4
	global_store_dword v[2:3], v1, off
.LBB264_1756:
	s_mov_b64 s[0:1], 0
.LBB264_1757:
	s_andn2_b64 vcc, exec, s[0:1]
	s_cbranch_vccnz .LBB264_1759
; %bb.1758:
	global_store_short v[2:3], v4, off
.LBB264_1759:
	s_mov_b64 s[0:1], 0
.LBB264_1760:
	s_andn2_b64 vcc, exec, s[0:1]
	s_cbranch_vccnz .LBB264_1776
; %bb.1761:
	s_cmp_lt_i32 s6, 2
	s_mov_b64 s[0:1], -1
	s_cbranch_scc1 .LBB264_1771
; %bb.1762:
	s_cmp_lt_i32 s6, 3
	s_cbranch_scc1 .LBB264_1768
; %bb.1763:
	s_cmp_gt_i32 s6, 3
	s_cbranch_scc0 .LBB264_1765
; %bb.1764:
	v_cvt_f32_f16_e32 v1, v4
	s_mov_b64 s[0:1], 0
	v_cvt_i32_f32_e32 v10, v1
	v_ashrrev_i32_e32 v11, 31, v10
	global_store_dwordx2 v[2:3], v[10:11], off
.LBB264_1765:
	s_andn2_b64 vcc, exec, s[0:1]
	s_cbranch_vccnz .LBB264_1767
; %bb.1766:
	v_cvt_f32_f16_e32 v1, v4
	v_cvt_i32_f32_e32 v1, v1
	global_store_dword v[2:3], v1, off
.LBB264_1767:
	s_mov_b64 s[0:1], 0
.LBB264_1768:
	s_andn2_b64 vcc, exec, s[0:1]
	s_cbranch_vccnz .LBB264_1770
; %bb.1769:
	v_cvt_i16_f16_e32 v1, v4
	global_store_short v[2:3], v1, off
.LBB264_1770:
	s_mov_b64 s[0:1], 0
.LBB264_1771:
	s_andn2_b64 vcc, exec, s[0:1]
	s_cbranch_vccnz .LBB264_1776
; %bb.1772:
	s_cmp_gt_i32 s6, 0
	s_mov_b64 s[0:1], -1
	s_cbranch_scc0 .LBB264_1774
; %bb.1773:
	v_cvt_i16_f16_e32 v1, v4
	global_store_byte v[2:3], v1, off
	s_mov_b64 s[0:1], 0
.LBB264_1774:
	s_andn2_b64 vcc, exec, s[0:1]
	s_cbranch_vccnz .LBB264_1776
; %bb.1775:
	v_cvt_f32_f16_e32 v1, v4
	v_cvt_i32_f32_e32 v1, v1
	global_store_byte v[2:3], v1, off
.LBB264_1776:
	s_mov_b64 s[8:9], -1
.LBB264_1777:
	s_andn2_b64 vcc, exec, s[8:9]
	s_cbranch_vccnz .LBB264_1973
; %bb.1778:
	v_cvt_f32_f16_e32 v1, v7
	s_mov_b32 s0, 0xf800000
	v_mov_b32_e32 v3, 0x260
	v_add_u32_e32 v0, s18, v0
	v_mul_f32_e32 v2, 0x4f800000, v1
	v_cmp_gt_f32_e32 vcc, s0, v1
	s_cmp_lt_i32 s20, 11
	s_nop 0
	v_cndmask_b32_e32 v1, v1, v2, vcc
	v_rsq_f32_e32 v2, v1
	s_nop 0
	v_mul_f32_e32 v4, v1, v2
	v_mul_f32_e32 v2, 0.5, v2
	v_fma_f32 v5, -v2, v4, 0.5
	v_fmac_f32_e32 v4, v4, v5
	v_fmac_f32_e32 v2, v2, v5
	v_fma_f32 v5, -v4, v4, v1
	v_fmac_f32_e32 v4, v5, v2
	v_mul_f32_e32 v2, 0x37800000, v4
	v_cndmask_b32_e32 v2, v4, v2, vcc
	v_cmp_class_f32_e32 vcc, v1, v3
	s_nop 1
	v_cndmask_b32_e32 v1, v2, v1, vcc
	v_cvt_f16_f32_e32 v4, v1
	v_ashrrev_i32_e32 v1, 31, v0
	v_lshl_add_u64 v[2:3], s[4:5], 0, v[0:1]
	s_cbranch_scc1 .LBB264_1856
; %bb.1779:
	s_and_b32 s19, 0xffff, s20
	s_mov_b64 s[10:11], -1
	s_mov_b64 s[6:7], 0
	s_cmp_gt_i32 s19, 25
	s_mov_b64 s[8:9], 0
	s_mov_b64 s[0:1], 0
	s_cbranch_scc0 .LBB264_1812
; %bb.1780:
	s_cmp_gt_i32 s19, 28
	s_cbranch_scc0 .LBB264_1795
; %bb.1781:
	s_cmp_gt_i32 s19, 43
	s_cbranch_scc0 .LBB264_1791
; %bb.1782:
	s_cmp_gt_i32 s19, 45
	s_cbranch_scc0 .LBB264_1785
; %bb.1783:
	s_mov_b64 s[0:1], -1
	s_mov_b64 s[10:11], 0
	s_cmp_eq_u32 s19, 46
	s_cbranch_scc0 .LBB264_1785
; %bb.1784:
	v_cvt_f32_f16_e32 v1, v4
	s_movk_i32 s0, 0x7fff
	v_cmp_o_f16_e32 vcc, v4, v4
	v_mov_b32_e32 v5, 0x7fc0
	v_bfe_u32 v6, v1, 16, 1
	v_add3_u32 v1, v1, v6, s0
	v_cndmask_b32_sdwa v1, v5, v1, vcc dst_sel:DWORD dst_unused:UNUSED_PAD src0_sel:DWORD src1_sel:WORD_1
	global_store_dword v[2:3], v1, off
	s_mov_b64 s[0:1], 0
	s_mov_b64 s[8:9], -1
.LBB264_1785:
	s_and_b64 vcc, exec, s[10:11]
	s_cbranch_vccz .LBB264_1790
; %bb.1786:
	s_cmp_eq_u32 s19, 44
	s_mov_b64 s[0:1], -1
	s_cbranch_scc0 .LBB264_1790
; %bb.1787:
	v_cvt_f32_f16_e32 v1, v4
	s_movk_i32 s0, 0xff
	v_mov_b32_e32 v6, 0xff
	v_bfe_u32 v5, v1, 23, 8
	v_cmp_ne_u32_e32 vcc, s0, v5
	s_and_saveexec_b64 s[8:9], vcc
; %bb.1788:
	s_mov_b32 s0, 0x3fffff
	v_lshrrev_b32_e32 v6, 23, v1
	v_and_b32_e32 v7, 0x400000, v1
	v_and_or_b32 v1, v1, s0, v5
	v_cmp_ne_u32_e32 vcc, 0, v7
	v_cmp_ne_u32_e64 s[0:1], 0, v1
	s_and_b64 s[0:1], vcc, s[0:1]
	s_nop 0
	v_cndmask_b32_e64 v1, 0, 1, s[0:1]
	v_add_u32_e32 v6, v6, v1
; %bb.1789:
	s_or_b64 exec, exec, s[8:9]
	s_mov_b64 s[0:1], 0
	s_mov_b64 s[8:9], -1
	global_store_byte v[2:3], v6, off
.LBB264_1790:
	s_mov_b64 s[10:11], 0
.LBB264_1791:
	s_and_b64 vcc, exec, s[10:11]
	s_cbranch_vccz .LBB264_1794
; %bb.1792:
	s_cmp_eq_u32 s19, 29
	s_mov_b64 s[0:1], -1
	s_cbranch_scc0 .LBB264_1794
; %bb.1793:
	v_cvt_f32_f16_e32 v1, v4
	v_mov_b32_e32 v7, 0
	s_mov_b64 s[0:1], 0
	s_mov_b64 s[8:9], -1
	v_cvt_u32_f32_e32 v6, v1
	global_store_dwordx2 v[2:3], v[6:7], off
.LBB264_1794:
	s_mov_b64 s[10:11], 0
.LBB264_1795:
	s_and_b64 vcc, exec, s[10:11]
	s_cbranch_vccz .LBB264_1811
; %bb.1796:
	s_cmp_lt_i32 s19, 27
	s_mov_b64 s[8:9], -1
	s_cbranch_scc1 .LBB264_1802
; %bb.1797:
	s_cmp_gt_i32 s19, 27
	s_cbranch_scc0 .LBB264_1799
; %bb.1798:
	v_cvt_f32_f16_e32 v1, v4
	s_mov_b64 s[8:9], 0
	v_cvt_u32_f32_e32 v1, v1
	global_store_dword v[2:3], v1, off
.LBB264_1799:
	s_andn2_b64 vcc, exec, s[8:9]
	s_cbranch_vccnz .LBB264_1801
; %bb.1800:
	v_cvt_u16_f16_e32 v1, v4
	global_store_short v[2:3], v1, off
.LBB264_1801:
	s_mov_b64 s[8:9], 0
.LBB264_1802:
	s_andn2_b64 vcc, exec, s[8:9]
	s_cbranch_vccnz .LBB264_1810
; %bb.1803:
	v_cvt_f32_f16_e32 v1, v4
	s_mov_b32 s8, 0x43800000
	v_mov_b32_e32 v6, 0x80
	v_and_b32_e32 v5, 0x7fffffff, v1
	v_cmp_gt_u32_e32 vcc, s8, v5
	s_and_saveexec_b64 s[8:9], vcc
	s_cbranch_execz .LBB264_1809
; %bb.1804:
	s_mov_b32 s10, 0x3bffffff
	v_cmp_lt_u32_e32 vcc, s10, v5
	s_mov_b64 s[10:11], 0
                                        ; implicit-def: $vgpr5
	s_and_saveexec_b64 s[16:17], vcc
	s_xor_b64 s[16:17], exec, s[16:17]
	s_cbranch_execz .LBB264_2030
; %bb.1805:
	v_bfe_u32 v5, v1, 20, 1
	s_mov_b32 s21, 0x487ffff
	v_add3_u32 v5, v1, v5, s21
	s_mov_b64 s[10:11], exec
	v_lshrrev_b32_e32 v5, 20, v5
	s_andn2_saveexec_b64 s[16:17], s[16:17]
	s_cbranch_execnz .LBB264_2031
.LBB264_1806:
	s_or_b64 exec, exec, s[16:17]
	v_mov_b32_e32 v6, 0
	s_and_saveexec_b64 s[16:17], s[10:11]
.LBB264_1807:
	v_lshrrev_b32_e32 v1, 24, v1
	s_movk_i32 s10, 0x80
	v_and_or_b32 v6, v1, s10, v5
.LBB264_1808:
	s_or_b64 exec, exec, s[16:17]
.LBB264_1809:
	s_or_b64 exec, exec, s[8:9]
	global_store_byte v[2:3], v6, off
.LBB264_1810:
	s_mov_b64 s[8:9], -1
.LBB264_1811:
	s_mov_b64 s[10:11], 0
.LBB264_1812:
	s_and_b64 vcc, exec, s[10:11]
	s_cbranch_vccz .LBB264_1852
; %bb.1813:
	s_cmp_gt_i32 s19, 22
	s_mov_b64 s[6:7], -1
	s_cbranch_scc0 .LBB264_1845
; %bb.1814:
	s_cmp_lt_i32 s19, 24
	s_cbranch_scc1 .LBB264_1834
; %bb.1815:
	s_cmp_gt_i32 s19, 24
	s_cbranch_scc0 .LBB264_1823
; %bb.1816:
	v_cvt_f32_f16_e32 v1, v4
	s_mov_b32 s6, 0x47800000
	v_mov_b32_e32 v6, 0x80
	v_and_b32_e32 v5, 0x7fffffff, v1
	v_cmp_gt_u32_e32 vcc, s6, v5
	s_and_saveexec_b64 s[6:7], vcc
	s_cbranch_execz .LBB264_1822
; %bb.1817:
	s_mov_b32 s8, 0x37ffffff
	v_cmp_lt_u32_e32 vcc, s8, v5
	s_mov_b64 s[8:9], 0
                                        ; implicit-def: $vgpr5
	s_and_saveexec_b64 s[10:11], vcc
	s_xor_b64 s[10:11], exec, s[10:11]
	s_cbranch_execz .LBB264_2033
; %bb.1818:
	v_bfe_u32 v5, v1, 21, 1
	s_mov_b32 s16, 0x88fffff
	v_add3_u32 v5, v1, v5, s16
	s_mov_b64 s[8:9], exec
	v_lshrrev_b32_e32 v5, 21, v5
	s_andn2_saveexec_b64 s[10:11], s[10:11]
	s_cbranch_execnz .LBB264_2034
.LBB264_1819:
	s_or_b64 exec, exec, s[10:11]
	v_mov_b32_e32 v6, 0
	s_and_saveexec_b64 s[10:11], s[8:9]
.LBB264_1820:
	v_lshrrev_b32_e32 v1, 24, v1
	s_movk_i32 s8, 0x80
	v_and_or_b32 v6, v1, s8, v5
.LBB264_1821:
	s_or_b64 exec, exec, s[10:11]
.LBB264_1822:
	s_or_b64 exec, exec, s[6:7]
	s_mov_b64 s[6:7], 0
	global_store_byte v[2:3], v6, off
.LBB264_1823:
	s_and_b64 vcc, exec, s[6:7]
	s_cbranch_vccz .LBB264_1833
; %bb.1824:
	v_cvt_f32_f16_e32 v1, v4
	s_mov_b32 s6, 0x43f00000
                                        ; implicit-def: $vgpr5
	v_and_b32_e32 v6, 0x7fffffff, v1
	v_cmp_gt_u32_e32 vcc, s6, v6
	s_and_saveexec_b64 s[6:7], vcc
	s_xor_b64 s[6:7], exec, s[6:7]
	s_cbranch_execz .LBB264_1830
; %bb.1825:
	s_mov_b32 s8, 0x3c7fffff
	v_cmp_lt_u32_e32 vcc, s8, v6
                                        ; implicit-def: $vgpr5
	s_and_saveexec_b64 s[8:9], vcc
	s_xor_b64 s[8:9], exec, s[8:9]
; %bb.1826:
	v_bfe_u32 v5, v1, 20, 1
	s_mov_b32 s10, 0x407ffff
	v_add3_u32 v5, v1, v5, s10
	v_lshrrev_b32_e32 v6, 20, v5
	v_and_b32_e32 v5, 0xff00000, v5
	s_mov_b32 s10, 0x7f00000
	v_mov_b32_e32 v7, 0x7e
	v_cmp_ne_u32_e32 vcc, s10, v5
	s_nop 1
	v_cndmask_b32_e32 v5, v7, v6, vcc
; %bb.1827:
	s_andn2_saveexec_b64 s[8:9], s[8:9]
; %bb.1828:
	s_mov_b32 s10, 0x46800000
	v_add_f32_e64 v5, |v1|, s10
; %bb.1829:
	s_or_b64 exec, exec, s[8:9]
                                        ; implicit-def: $vgpr6
.LBB264_1830:
	s_andn2_saveexec_b64 s[6:7], s[6:7]
; %bb.1831:
	s_mov_b32 s8, 0x7f800000
	v_mov_b32_e32 v5, 0x7e
	v_mov_b32_e32 v7, 0x7f
	v_cmp_lt_u32_e32 vcc, s8, v6
	s_nop 1
	v_cndmask_b32_e32 v5, v5, v7, vcc
; %bb.1832:
	s_or_b64 exec, exec, s[6:7]
	v_lshrrev_b32_e32 v1, 24, v1
	s_movk_i32 s6, 0x80
	v_and_or_b32 v1, v1, s6, v5
	global_store_byte v[2:3], v1, off
.LBB264_1833:
	s_mov_b64 s[6:7], 0
.LBB264_1834:
	s_andn2_b64 vcc, exec, s[6:7]
	s_cbranch_vccnz .LBB264_1844
; %bb.1835:
	v_cvt_f32_f16_e32 v1, v4
	s_mov_b32 s6, 0x47800000
                                        ; implicit-def: $vgpr5
	v_and_b32_e32 v6, 0x7fffffff, v1
	v_cmp_gt_u32_e32 vcc, s6, v6
	s_and_saveexec_b64 s[6:7], vcc
	s_xor_b64 s[6:7], exec, s[6:7]
	s_cbranch_execz .LBB264_1841
; %bb.1836:
	s_mov_b32 s8, 0x387fffff
	v_cmp_lt_u32_e32 vcc, s8, v6
                                        ; implicit-def: $vgpr5
	s_and_saveexec_b64 s[8:9], vcc
	s_xor_b64 s[8:9], exec, s[8:9]
; %bb.1837:
	v_bfe_u32 v5, v1, 21, 1
	s_mov_b32 s10, 0x80fffff
	v_add3_u32 v5, v1, v5, s10
	v_lshrrev_b32_e32 v5, 21, v5
; %bb.1838:
	s_andn2_saveexec_b64 s[8:9], s[8:9]
; %bb.1839:
	s_mov_b32 s10, 0x43000000
	v_add_f32_e64 v5, |v1|, s10
; %bb.1840:
	s_or_b64 exec, exec, s[8:9]
                                        ; implicit-def: $vgpr6
.LBB264_1841:
	s_andn2_saveexec_b64 s[6:7], s[6:7]
; %bb.1842:
	s_mov_b32 s8, 0x7f800000
	v_mov_b32_e32 v5, 0x7c
	v_mov_b32_e32 v7, 0x7f
	v_cmp_lt_u32_e32 vcc, s8, v6
	s_nop 1
	v_cndmask_b32_e32 v5, v5, v7, vcc
; %bb.1843:
	s_or_b64 exec, exec, s[6:7]
	v_lshrrev_b32_e32 v1, 24, v1
	s_movk_i32 s6, 0x80
	v_and_or_b32 v1, v1, s6, v5
	global_store_byte v[2:3], v1, off
.LBB264_1844:
	s_mov_b64 s[6:7], 0
	s_mov_b64 s[8:9], -1
.LBB264_1845:
	s_andn2_b64 vcc, exec, s[6:7]
	s_mov_b64 s[6:7], 0
	s_cbranch_vccnz .LBB264_1852
; %bb.1846:
	s_cmp_gt_i32 s19, 14
	s_mov_b64 s[10:11], -1
	s_cbranch_scc0 .LBB264_1850
; %bb.1847:
	s_cmp_eq_u32 s19, 15
	s_mov_b64 s[0:1], -1
	s_cbranch_scc0 .LBB264_1849
; %bb.1848:
	v_cvt_f32_f16_e32 v1, v4
	s_movk_i32 s0, 0x7fff
	v_cmp_o_f16_e32 vcc, v4, v4
	v_mov_b32_e32 v5, 0x7fc0
	v_bfe_u32 v6, v1, 16, 1
	v_add3_u32 v1, v1, v6, s0
	v_cndmask_b32_sdwa v1, v5, v1, vcc dst_sel:DWORD dst_unused:UNUSED_PAD src0_sel:DWORD src1_sel:WORD_1
	global_store_short v[2:3], v1, off
	s_mov_b64 s[0:1], 0
	s_mov_b64 s[8:9], -1
.LBB264_1849:
	s_mov_b64 s[10:11], 0
.LBB264_1850:
	s_and_b64 vcc, exec, s[10:11]
	s_cbranch_vccz .LBB264_1852
; %bb.1851:
	s_cmp_lg_u32 s19, 11
	s_mov_b64 s[6:7], -1
	s_cselect_b64 s[0:1], -1, 0
.LBB264_1852:
	s_and_b64 vcc, exec, s[0:1]
	s_cbranch_vccnz .LBB264_2032
; %bb.1853:
	s_andn2_b64 vcc, exec, s[6:7]
	s_cbranch_vccnz .LBB264_1855
.LBB264_1854:
	v_cmp_neq_f16_e32 vcc, 0, v4
	s_mov_b64 s[8:9], -1
	s_nop 0
	v_cndmask_b32_e64 v1, 0, 1, vcc
	global_store_byte v[2:3], v1, off
.LBB264_1855:
	s_mov_b64 s[0:1], 0
	s_branch .LBB264_1857
.LBB264_1856:
	s_mov_b64 s[0:1], -1
	s_mov_b64 s[8:9], 0
.LBB264_1857:
	s_and_b64 vcc, exec, s[0:1]
	s_cbranch_vccz .LBB264_1896
; %bb.1858:
	s_and_b32 s6, 0xffff, s20
	s_cmp_lt_i32 s6, 5
	s_mov_b64 s[0:1], -1
	s_cbranch_scc1 .LBB264_1879
; %bb.1859:
	s_cmp_lt_i32 s6, 8
	s_cbranch_scc1 .LBB264_1869
; %bb.1860:
	s_cmp_lt_i32 s6, 9
	s_cbranch_scc1 .LBB264_1866
; %bb.1861:
	s_cmp_gt_i32 s6, 9
	s_cbranch_scc0 .LBB264_1863
; %bb.1862:
	v_cvt_f32_f16_e32 v1, v4
	v_mov_b32_e32 v12, 0
	v_mov_b32_e32 v13, v12
	s_mov_b64 s[0:1], 0
	v_cvt_f64_f32_e32 v[10:11], v1
	global_store_dwordx4 v[2:3], v[10:13], off
.LBB264_1863:
	s_andn2_b64 vcc, exec, s[0:1]
	s_cbranch_vccnz .LBB264_1865
; %bb.1864:
	v_cvt_f32_f16_e32 v6, v4
	v_mov_b32_e32 v7, 0
	global_store_dwordx2 v[2:3], v[6:7], off
.LBB264_1865:
	s_mov_b64 s[0:1], 0
.LBB264_1866:
	s_andn2_b64 vcc, exec, s[0:1]
	s_cbranch_vccnz .LBB264_1868
; %bb.1867:
	global_store_dword v[2:3], v4, off
.LBB264_1868:
	s_mov_b64 s[0:1], 0
.LBB264_1869:
	s_andn2_b64 vcc, exec, s[0:1]
	s_cbranch_vccnz .LBB264_1878
; %bb.1870:
	s_cmp_lt_i32 s6, 6
	s_mov_b64 s[0:1], -1
	s_cbranch_scc1 .LBB264_1876
; %bb.1871:
	s_cmp_gt_i32 s6, 6
	s_cbranch_scc0 .LBB264_1873
; %bb.1872:
	v_cvt_f32_f16_e32 v1, v4
	s_mov_b64 s[0:1], 0
	v_cvt_f64_f32_e32 v[6:7], v1
	global_store_dwordx2 v[2:3], v[6:7], off
.LBB264_1873:
	s_andn2_b64 vcc, exec, s[0:1]
	s_cbranch_vccnz .LBB264_1875
; %bb.1874:
	v_cvt_f32_f16_e32 v1, v4
	global_store_dword v[2:3], v1, off
.LBB264_1875:
	s_mov_b64 s[0:1], 0
.LBB264_1876:
	s_andn2_b64 vcc, exec, s[0:1]
	s_cbranch_vccnz .LBB264_1878
; %bb.1877:
	global_store_short v[2:3], v4, off
.LBB264_1878:
	s_mov_b64 s[0:1], 0
.LBB264_1879:
	s_andn2_b64 vcc, exec, s[0:1]
	s_cbranch_vccnz .LBB264_1895
; %bb.1880:
	s_cmp_lt_i32 s6, 2
	s_mov_b64 s[0:1], -1
	s_cbranch_scc1 .LBB264_1890
; %bb.1881:
	s_cmp_lt_i32 s6, 3
	s_cbranch_scc1 .LBB264_1887
; %bb.1882:
	s_cmp_gt_i32 s6, 3
	s_cbranch_scc0 .LBB264_1884
; %bb.1883:
	v_cvt_f32_f16_e32 v1, v4
	s_mov_b64 s[0:1], 0
	v_cvt_i32_f32_e32 v6, v1
	v_ashrrev_i32_e32 v7, 31, v6
	global_store_dwordx2 v[2:3], v[6:7], off
.LBB264_1884:
	s_andn2_b64 vcc, exec, s[0:1]
	s_cbranch_vccnz .LBB264_1886
; %bb.1885:
	v_cvt_f32_f16_e32 v1, v4
	v_cvt_i32_f32_e32 v1, v1
	global_store_dword v[2:3], v1, off
.LBB264_1886:
	s_mov_b64 s[0:1], 0
.LBB264_1887:
	s_andn2_b64 vcc, exec, s[0:1]
	s_cbranch_vccnz .LBB264_1889
; %bb.1888:
	v_cvt_i16_f16_e32 v1, v4
	global_store_short v[2:3], v1, off
.LBB264_1889:
	s_mov_b64 s[0:1], 0
.LBB264_1890:
	s_andn2_b64 vcc, exec, s[0:1]
	s_cbranch_vccnz .LBB264_1895
; %bb.1891:
	s_cmp_gt_i32 s6, 0
	s_mov_b64 s[0:1], -1
	s_cbranch_scc0 .LBB264_1893
; %bb.1892:
	v_cvt_i16_f16_e32 v1, v4
	global_store_byte v[2:3], v1, off
	s_mov_b64 s[0:1], 0
.LBB264_1893:
	s_andn2_b64 vcc, exec, s[0:1]
	s_cbranch_vccnz .LBB264_1895
; %bb.1894:
	v_cvt_f32_f16_e32 v1, v4
	v_cvt_i32_f32_e32 v1, v1
	global_store_byte v[2:3], v1, off
.LBB264_1895:
	s_mov_b64 s[8:9], -1
.LBB264_1896:
	s_andn2_b64 vcc, exec, s[8:9]
	s_cbranch_vccnz .LBB264_1973
; %bb.1897:
	v_cvt_f32_f16_e32 v1, v8
	s_mov_b32 s0, 0xf800000
	v_mov_b32_e32 v3, 0x260
	v_add_u32_e32 v0, s18, v0
	v_mul_f32_e32 v2, 0x4f800000, v1
	v_cmp_gt_f32_e32 vcc, s0, v1
	s_cmp_lt_i32 s20, 11
	s_nop 0
	v_cndmask_b32_e32 v1, v1, v2, vcc
	v_rsq_f32_e32 v2, v1
	s_nop 0
	v_mul_f32_e32 v4, v1, v2
	v_mul_f32_e32 v2, 0.5, v2
	v_fma_f32 v5, -v2, v4, 0.5
	v_fmac_f32_e32 v4, v4, v5
	v_fmac_f32_e32 v2, v2, v5
	v_fma_f32 v5, -v4, v4, v1
	v_fmac_f32_e32 v4, v5, v2
	v_mul_f32_e32 v2, 0x37800000, v4
	v_cndmask_b32_e32 v2, v4, v2, vcc
	v_cmp_class_f32_e32 vcc, v1, v3
	s_nop 1
	v_cndmask_b32_e32 v1, v2, v1, vcc
	v_cvt_f16_f32_e32 v2, v1
	v_ashrrev_i32_e32 v1, 31, v0
	v_lshl_add_u64 v[0:1], s[4:5], 0, v[0:1]
	s_cbranch_scc1 .LBB264_2018
; %bb.1898:
	s_and_b32 s16, 0xffff, s20
	s_mov_b64 s[6:7], -1
	s_mov_b64 s[4:5], 0
	s_cmp_gt_i32 s16, 25
	s_mov_b64 s[0:1], 0
	s_cbranch_scc0 .LBB264_1931
; %bb.1899:
	s_cmp_gt_i32 s16, 28
	s_cbranch_scc0 .LBB264_1915
; %bb.1900:
	s_cmp_gt_i32 s16, 43
	s_cbranch_scc0 .LBB264_1911
; %bb.1901:
	s_cmp_gt_i32 s16, 45
	s_cbranch_scc0 .LBB264_1905
; %bb.1902:
	s_cmp_eq_u32 s16, 46
	s_mov_b64 s[0:1], -1
	s_cbranch_scc0 .LBB264_1904
; %bb.1903:
	v_cvt_f32_f16_e32 v3, v2
	s_movk_i32 s0, 0x7fff
	v_cmp_o_f16_e32 vcc, v2, v2
	v_mov_b32_e32 v4, 0x7fc0
	v_bfe_u32 v5, v3, 16, 1
	v_add3_u32 v3, v3, v5, s0
	v_cndmask_b32_sdwa v3, v4, v3, vcc dst_sel:DWORD dst_unused:UNUSED_PAD src0_sel:DWORD src1_sel:WORD_1
	global_store_dword v[0:1], v3, off
	s_mov_b64 s[0:1], 0
.LBB264_1904:
	s_mov_b64 s[6:7], 0
.LBB264_1905:
	s_and_b64 vcc, exec, s[6:7]
	s_cbranch_vccz .LBB264_1910
; %bb.1906:
	s_cmp_eq_u32 s16, 44
	s_mov_b64 s[0:1], -1
	s_cbranch_scc0 .LBB264_1910
; %bb.1907:
	v_cvt_f32_f16_e32 v3, v2
	s_movk_i32 s0, 0xff
	v_mov_b32_e32 v5, 0xff
	v_bfe_u32 v4, v3, 23, 8
	v_cmp_ne_u32_e32 vcc, s0, v4
	s_and_saveexec_b64 s[6:7], vcc
; %bb.1908:
	s_mov_b32 s0, 0x3fffff
	v_lshrrev_b32_e32 v5, 23, v3
	v_and_b32_e32 v6, 0x400000, v3
	v_and_or_b32 v3, v3, s0, v4
	v_cmp_ne_u32_e32 vcc, 0, v6
	v_cmp_ne_u32_e64 s[0:1], 0, v3
	s_and_b64 s[0:1], vcc, s[0:1]
	s_nop 0
	v_cndmask_b32_e64 v3, 0, 1, s[0:1]
	v_add_u32_e32 v5, v5, v3
; %bb.1909:
	s_or_b64 exec, exec, s[6:7]
	s_mov_b64 s[0:1], 0
	global_store_byte v[0:1], v5, off
.LBB264_1910:
	s_mov_b64 s[6:7], 0
.LBB264_1911:
	s_and_b64 vcc, exec, s[6:7]
	s_cbranch_vccz .LBB264_1914
; %bb.1912:
	s_cmp_eq_u32 s16, 29
	s_mov_b64 s[0:1], -1
	s_cbranch_scc0 .LBB264_1914
; %bb.1913:
	v_cvt_f32_f16_e32 v3, v2
	v_mov_b32_e32 v5, 0
	s_mov_b64 s[0:1], 0
	v_cvt_u32_f32_e32 v4, v3
	global_store_dwordx2 v[0:1], v[4:5], off
.LBB264_1914:
	s_mov_b64 s[6:7], 0
.LBB264_1915:
	s_and_b64 vcc, exec, s[6:7]
	s_cbranch_vccz .LBB264_1930
; %bb.1916:
	s_cmp_lt_i32 s16, 27
	s_mov_b64 s[6:7], -1
	s_cbranch_scc1 .LBB264_1922
; %bb.1917:
	s_cmp_gt_i32 s16, 27
	s_cbranch_scc0 .LBB264_1919
; %bb.1918:
	v_cvt_f32_f16_e32 v3, v2
	s_mov_b64 s[6:7], 0
	v_cvt_u32_f32_e32 v3, v3
	global_store_dword v[0:1], v3, off
.LBB264_1919:
	s_andn2_b64 vcc, exec, s[6:7]
	s_cbranch_vccnz .LBB264_1921
; %bb.1920:
	v_cvt_u16_f16_e32 v3, v2
	global_store_short v[0:1], v3, off
.LBB264_1921:
	s_mov_b64 s[6:7], 0
.LBB264_1922:
	s_andn2_b64 vcc, exec, s[6:7]
	s_cbranch_vccnz .LBB264_1930
; %bb.1923:
	v_cvt_f32_f16_e32 v3, v2
	s_mov_b32 s6, 0x43800000
	v_mov_b32_e32 v5, 0x80
	v_and_b32_e32 v4, 0x7fffffff, v3
	v_cmp_gt_u32_e32 vcc, s6, v4
	s_and_saveexec_b64 s[6:7], vcc
	s_cbranch_execz .LBB264_1929
; %bb.1924:
	s_mov_b32 s8, 0x3bffffff
	v_cmp_lt_u32_e32 vcc, s8, v4
	s_mov_b64 s[8:9], 0
                                        ; implicit-def: $vgpr4
	s_and_saveexec_b64 s[10:11], vcc
	s_xor_b64 s[10:11], exec, s[10:11]
	s_cbranch_execz .LBB264_2035
; %bb.1925:
	v_bfe_u32 v4, v3, 20, 1
	s_mov_b32 s17, 0x487ffff
	v_add3_u32 v4, v3, v4, s17
	s_mov_b64 s[8:9], exec
	v_lshrrev_b32_e32 v4, 20, v4
	s_andn2_saveexec_b64 s[10:11], s[10:11]
	s_cbranch_execnz .LBB264_2036
.LBB264_1926:
	s_or_b64 exec, exec, s[10:11]
	v_mov_b32_e32 v5, 0
	s_and_saveexec_b64 s[10:11], s[8:9]
.LBB264_1927:
	v_lshrrev_b32_e32 v3, 24, v3
	s_movk_i32 s8, 0x80
	v_and_or_b32 v5, v3, s8, v4
.LBB264_1928:
	s_or_b64 exec, exec, s[10:11]
.LBB264_1929:
	s_or_b64 exec, exec, s[6:7]
	global_store_byte v[0:1], v5, off
.LBB264_1930:
	s_mov_b64 s[6:7], 0
.LBB264_1931:
	s_and_b64 vcc, exec, s[6:7]
	s_cbranch_vccz .LBB264_1971
; %bb.1932:
	s_cmp_gt_i32 s16, 22
	s_mov_b64 s[4:5], -1
	s_cbranch_scc0 .LBB264_1964
; %bb.1933:
	s_cmp_lt_i32 s16, 24
	s_cbranch_scc1 .LBB264_1953
; %bb.1934:
	s_cmp_gt_i32 s16, 24
	s_cbranch_scc0 .LBB264_1942
; %bb.1935:
	v_cvt_f32_f16_e32 v3, v2
	s_mov_b32 s4, 0x47800000
	v_mov_b32_e32 v5, 0x80
	v_and_b32_e32 v4, 0x7fffffff, v3
	v_cmp_gt_u32_e32 vcc, s4, v4
	s_and_saveexec_b64 s[4:5], vcc
	s_cbranch_execz .LBB264_1941
; %bb.1936:
	s_mov_b32 s6, 0x37ffffff
	v_cmp_lt_u32_e32 vcc, s6, v4
	s_mov_b64 s[6:7], 0
                                        ; implicit-def: $vgpr4
	s_and_saveexec_b64 s[8:9], vcc
	s_xor_b64 s[8:9], exec, s[8:9]
	s_cbranch_execz .LBB264_2038
; %bb.1937:
	v_bfe_u32 v4, v3, 21, 1
	s_mov_b32 s10, 0x88fffff
	v_add3_u32 v4, v3, v4, s10
	s_mov_b64 s[6:7], exec
	v_lshrrev_b32_e32 v4, 21, v4
	s_andn2_saveexec_b64 s[8:9], s[8:9]
	s_cbranch_execnz .LBB264_2039
.LBB264_1938:
	s_or_b64 exec, exec, s[8:9]
	v_mov_b32_e32 v5, 0
	s_and_saveexec_b64 s[8:9], s[6:7]
.LBB264_1939:
	v_lshrrev_b32_e32 v3, 24, v3
	s_movk_i32 s6, 0x80
	v_and_or_b32 v5, v3, s6, v4
.LBB264_1940:
	s_or_b64 exec, exec, s[8:9]
.LBB264_1941:
	s_or_b64 exec, exec, s[4:5]
	s_mov_b64 s[4:5], 0
	global_store_byte v[0:1], v5, off
.LBB264_1942:
	s_and_b64 vcc, exec, s[4:5]
	s_cbranch_vccz .LBB264_1952
; %bb.1943:
	v_cvt_f32_f16_e32 v3, v2
	s_mov_b32 s4, 0x43f00000
                                        ; implicit-def: $vgpr4
	v_and_b32_e32 v5, 0x7fffffff, v3
	v_cmp_gt_u32_e32 vcc, s4, v5
	s_and_saveexec_b64 s[4:5], vcc
	s_xor_b64 s[4:5], exec, s[4:5]
	s_cbranch_execz .LBB264_1949
; %bb.1944:
	s_mov_b32 s6, 0x3c7fffff
	v_cmp_lt_u32_e32 vcc, s6, v5
                                        ; implicit-def: $vgpr4
	s_and_saveexec_b64 s[6:7], vcc
	s_xor_b64 s[6:7], exec, s[6:7]
; %bb.1945:
	v_bfe_u32 v4, v3, 20, 1
	s_mov_b32 s8, 0x407ffff
	v_add3_u32 v4, v3, v4, s8
	v_lshrrev_b32_e32 v5, 20, v4
	v_and_b32_e32 v4, 0xff00000, v4
	s_mov_b32 s8, 0x7f00000
	v_mov_b32_e32 v6, 0x7e
	v_cmp_ne_u32_e32 vcc, s8, v4
	s_nop 1
	v_cndmask_b32_e32 v4, v6, v5, vcc
; %bb.1946:
	s_andn2_saveexec_b64 s[6:7], s[6:7]
; %bb.1947:
	s_mov_b32 s8, 0x46800000
	v_add_f32_e64 v4, |v3|, s8
; %bb.1948:
	s_or_b64 exec, exec, s[6:7]
                                        ; implicit-def: $vgpr5
.LBB264_1949:
	s_andn2_saveexec_b64 s[4:5], s[4:5]
; %bb.1950:
	s_mov_b32 s6, 0x7f800000
	v_mov_b32_e32 v4, 0x7e
	v_mov_b32_e32 v6, 0x7f
	v_cmp_lt_u32_e32 vcc, s6, v5
	s_nop 1
	v_cndmask_b32_e32 v4, v4, v6, vcc
; %bb.1951:
	s_or_b64 exec, exec, s[4:5]
	v_lshrrev_b32_e32 v3, 24, v3
	s_movk_i32 s4, 0x80
	v_and_or_b32 v3, v3, s4, v4
	global_store_byte v[0:1], v3, off
.LBB264_1952:
	s_mov_b64 s[4:5], 0
.LBB264_1953:
	s_andn2_b64 vcc, exec, s[4:5]
	s_cbranch_vccnz .LBB264_1963
; %bb.1954:
	v_cvt_f32_f16_e32 v3, v2
	s_mov_b32 s4, 0x47800000
                                        ; implicit-def: $vgpr4
	v_and_b32_e32 v5, 0x7fffffff, v3
	v_cmp_gt_u32_e32 vcc, s4, v5
	s_and_saveexec_b64 s[4:5], vcc
	s_xor_b64 s[4:5], exec, s[4:5]
	s_cbranch_execz .LBB264_1960
; %bb.1955:
	s_mov_b32 s6, 0x387fffff
	v_cmp_lt_u32_e32 vcc, s6, v5
                                        ; implicit-def: $vgpr4
	s_and_saveexec_b64 s[6:7], vcc
	s_xor_b64 s[6:7], exec, s[6:7]
; %bb.1956:
	v_bfe_u32 v4, v3, 21, 1
	s_mov_b32 s8, 0x80fffff
	v_add3_u32 v4, v3, v4, s8
	v_lshrrev_b32_e32 v4, 21, v4
; %bb.1957:
	s_andn2_saveexec_b64 s[6:7], s[6:7]
; %bb.1958:
	s_mov_b32 s8, 0x43000000
	v_add_f32_e64 v4, |v3|, s8
; %bb.1959:
	s_or_b64 exec, exec, s[6:7]
                                        ; implicit-def: $vgpr5
.LBB264_1960:
	s_andn2_saveexec_b64 s[4:5], s[4:5]
; %bb.1961:
	s_mov_b32 s6, 0x7f800000
	v_mov_b32_e32 v4, 0x7c
	v_mov_b32_e32 v6, 0x7f
	v_cmp_lt_u32_e32 vcc, s6, v5
	s_nop 1
	v_cndmask_b32_e32 v4, v4, v6, vcc
; %bb.1962:
	s_or_b64 exec, exec, s[4:5]
	v_lshrrev_b32_e32 v3, 24, v3
	s_movk_i32 s4, 0x80
	v_and_or_b32 v3, v3, s4, v4
	global_store_byte v[0:1], v3, off
.LBB264_1963:
	s_mov_b64 s[4:5], 0
.LBB264_1964:
	s_andn2_b64 vcc, exec, s[4:5]
	s_mov_b64 s[4:5], 0
	s_cbranch_vccnz .LBB264_1971
; %bb.1965:
	s_cmp_gt_i32 s16, 14
	s_mov_b64 s[6:7], -1
	s_cbranch_scc0 .LBB264_1969
; %bb.1966:
	s_cmp_eq_u32 s16, 15
	s_mov_b64 s[0:1], -1
	s_cbranch_scc0 .LBB264_1968
; %bb.1967:
	v_cvt_f32_f16_e32 v3, v2
	s_movk_i32 s0, 0x7fff
	v_cmp_o_f16_e32 vcc, v2, v2
	v_mov_b32_e32 v4, 0x7fc0
	v_bfe_u32 v5, v3, 16, 1
	v_add3_u32 v3, v3, v5, s0
	v_cndmask_b32_sdwa v3, v4, v3, vcc dst_sel:DWORD dst_unused:UNUSED_PAD src0_sel:DWORD src1_sel:WORD_1
	global_store_short v[0:1], v3, off
	s_mov_b64 s[0:1], 0
.LBB264_1968:
	s_mov_b64 s[6:7], 0
.LBB264_1969:
	s_and_b64 vcc, exec, s[6:7]
	s_cbranch_vccz .LBB264_1971
; %bb.1970:
	s_cmp_lg_u32 s16, 11
	s_mov_b64 s[4:5], -1
	s_cselect_b64 s[0:1], -1, 0
.LBB264_1971:
	s_and_b64 vcc, exec, s[0:1]
	s_cbranch_vccnz .LBB264_2037
.LBB264_1972:
	s_mov_b64 s[0:1], 0
	s_branch .LBB264_1974
.LBB264_1973:
	s_mov_b64 s[0:1], 0
	s_mov_b64 s[4:5], 0
                                        ; implicit-def: $sgpr20
                                        ; implicit-def: $vgpr0_vgpr1
                                        ; implicit-def: $vgpr2
.LBB264_1974:
	s_and_b64 s[10:11], s[4:5], exec
	s_andn2_b64 s[4:5], s[12:13], exec
	s_and_b64 s[6:7], s[14:15], exec
	s_and_b64 s[0:1], s[0:1], exec
	s_or_b64 s[12:13], s[4:5], s[6:7]
.LBB264_1975:
	s_or_b64 exec, exec, s[2:3]
	s_and_saveexec_b64 s[2:3], s[12:13]
	s_cbranch_execz .LBB264_1978
; %bb.1976:
	; divergent unreachable
	s_or_b64 exec, exec, s[2:3]
	s_and_saveexec_b64 s[2:3], s[10:11]
	s_xor_b64 s[2:3], exec, s[2:3]
	s_cbranch_execnz .LBB264_1979
.LBB264_1977:
	s_or_b64 exec, exec, s[2:3]
	s_and_saveexec_b64 s[2:3], s[0:1]
	s_cbranch_execnz .LBB264_1980
	s_branch .LBB264_2017
.LBB264_1978:
	s_or_b64 exec, exec, s[2:3]
	s_and_saveexec_b64 s[2:3], s[10:11]
	s_xor_b64 s[2:3], exec, s[2:3]
	s_cbranch_execz .LBB264_1977
.LBB264_1979:
	s_waitcnt vmcnt(0)
	v_cmp_neq_f16_e32 vcc, 0, v2
	s_nop 1
	v_cndmask_b32_e64 v3, 0, 1, vcc
	global_store_byte v[0:1], v3, off
	s_or_b64 exec, exec, s[2:3]
	s_and_saveexec_b64 s[2:3], s[0:1]
	s_cbranch_execz .LBB264_2017
.LBB264_1980:
	s_sext_i32_i16 s2, s20
	s_cmp_lt_i32 s2, 5
	s_mov_b64 s[0:1], -1
	s_cbranch_scc1 .LBB264_2001
; %bb.1981:
	s_cmp_lt_i32 s2, 8
	s_cbranch_scc1 .LBB264_1991
; %bb.1982:
	s_cmp_lt_i32 s2, 9
	s_cbranch_scc1 .LBB264_1988
; %bb.1983:
	s_cmp_gt_i32 s2, 9
	s_cbranch_scc0 .LBB264_1985
; %bb.1984:
	s_waitcnt vmcnt(0)
	v_cvt_f32_f16_e32 v3, v2
	v_mov_b32_e32 v6, 0
	v_mov_b32_e32 v7, v6
	s_mov_b64 s[0:1], 0
	v_cvt_f64_f32_e32 v[4:5], v3
	global_store_dwordx4 v[0:1], v[4:7], off
.LBB264_1985:
	s_andn2_b64 vcc, exec, s[0:1]
	s_cbranch_vccnz .LBB264_1987
; %bb.1986:
	s_waitcnt vmcnt(0)
	v_cvt_f32_f16_e32 v4, v2
	v_mov_b32_e32 v5, 0
	global_store_dwordx2 v[0:1], v[4:5], off
.LBB264_1987:
	s_mov_b64 s[0:1], 0
.LBB264_1988:
	s_andn2_b64 vcc, exec, s[0:1]
	s_cbranch_vccnz .LBB264_1990
; %bb.1989:
	s_waitcnt vmcnt(0)
	v_and_b32_e32 v3, 0xffff, v2
	global_store_dword v[0:1], v3, off
.LBB264_1990:
	s_mov_b64 s[0:1], 0
.LBB264_1991:
	s_andn2_b64 vcc, exec, s[0:1]
	s_cbranch_vccnz .LBB264_2000
; %bb.1992:
	s_sext_i32_i16 s2, s20
	s_cmp_lt_i32 s2, 6
	s_mov_b64 s[0:1], -1
	s_cbranch_scc1 .LBB264_1998
; %bb.1993:
	s_cmp_gt_i32 s2, 6
	s_cbranch_scc0 .LBB264_1995
; %bb.1994:
	s_waitcnt vmcnt(0)
	v_cvt_f32_f16_e32 v3, v2
	s_mov_b64 s[0:1], 0
	v_cvt_f64_f32_e32 v[4:5], v3
	global_store_dwordx2 v[0:1], v[4:5], off
.LBB264_1995:
	s_andn2_b64 vcc, exec, s[0:1]
	s_cbranch_vccnz .LBB264_1997
; %bb.1996:
	s_waitcnt vmcnt(0)
	v_cvt_f32_f16_e32 v3, v2
	global_store_dword v[0:1], v3, off
.LBB264_1997:
	s_mov_b64 s[0:1], 0
.LBB264_1998:
	s_andn2_b64 vcc, exec, s[0:1]
	s_cbranch_vccnz .LBB264_2000
; %bb.1999:
	s_waitcnt vmcnt(0)
	global_store_short v[0:1], v2, off
.LBB264_2000:
	s_mov_b64 s[0:1], 0
.LBB264_2001:
	s_andn2_b64 vcc, exec, s[0:1]
	s_cbranch_vccnz .LBB264_2017
; %bb.2002:
	s_sext_i32_i16 s2, s20
	s_cmp_lt_i32 s2, 2
	s_mov_b64 s[0:1], -1
	s_cbranch_scc1 .LBB264_2012
; %bb.2003:
	s_cmp_lt_i32 s2, 3
	s_cbranch_scc1 .LBB264_2009
; %bb.2004:
	s_cmp_gt_i32 s2, 3
	s_cbranch_scc0 .LBB264_2006
; %bb.2005:
	s_waitcnt vmcnt(0)
	v_cvt_f32_f16_e32 v3, v2
	s_mov_b64 s[0:1], 0
	v_cvt_i32_f32_e32 v4, v3
	v_ashrrev_i32_e32 v5, 31, v4
	global_store_dwordx2 v[0:1], v[4:5], off
.LBB264_2006:
	s_andn2_b64 vcc, exec, s[0:1]
	s_cbranch_vccnz .LBB264_2008
; %bb.2007:
	s_waitcnt vmcnt(0)
	v_cvt_f32_f16_e32 v3, v2
	v_cvt_i32_f32_e32 v3, v3
	global_store_dword v[0:1], v3, off
.LBB264_2008:
	s_mov_b64 s[0:1], 0
.LBB264_2009:
	s_andn2_b64 vcc, exec, s[0:1]
	s_cbranch_vccnz .LBB264_2011
; %bb.2010:
	s_waitcnt vmcnt(0)
	v_cvt_i16_f16_e32 v3, v2
	global_store_short v[0:1], v3, off
.LBB264_2011:
	s_mov_b64 s[0:1], 0
.LBB264_2012:
	s_andn2_b64 vcc, exec, s[0:1]
	s_cbranch_vccnz .LBB264_2017
; %bb.2013:
	s_sext_i32_i16 s0, s20
	s_cmp_gt_i32 s0, 0
	s_mov_b64 s[0:1], -1
	s_cbranch_scc0 .LBB264_2015
; %bb.2014:
	s_waitcnt vmcnt(0)
	v_cvt_i16_f16_e32 v3, v2
	global_store_byte v[0:1], v3, off
	s_mov_b64 s[0:1], 0
.LBB264_2015:
	s_andn2_b64 vcc, exec, s[0:1]
	s_cbranch_vccnz .LBB264_2017
; %bb.2016:
	s_waitcnt vmcnt(0)
	v_cvt_f32_f16_e32 v2, v2
	v_cvt_i32_f32_e32 v2, v2
	global_store_byte v[0:1], v2, off
	s_endpgm
.LBB264_2017:
	s_endpgm
.LBB264_2018:
	s_mov_b64 s[4:5], 0
	s_mov_b64 s[0:1], -1
	s_branch .LBB264_1974
.LBB264_2019:
	s_trap 2
	s_or_b64 s[14:15], s[14:15], exec
	s_cbranch_execz .LBB264_1488
	s_branch .LBB264_1489
.LBB264_2020:
	s_andn2_saveexec_b64 s[18:19], s[18:19]
	s_cbranch_execz .LBB264_1568
.LBB264_2021:
	s_mov_b32 s21, 0x46000000
	v_add_f32_e64 v4, |v1|, s21
	v_and_b32_e32 v4, 0xff, v4
	v_cmp_ne_u32_e32 vcc, 0, v4
	s_andn2_b64 s[16:17], s[16:17], exec
	s_and_b64 s[22:23], vcc, exec
	s_or_b64 s[16:17], s[16:17], s[22:23]
	s_or_b64 exec, exec, s[18:19]
	v_mov_b32_e32 v9, 0
	s_and_saveexec_b64 s[18:19], s[16:17]
	s_cbranch_execnz .LBB264_1569
	s_branch .LBB264_1570
.LBB264_2022:
	s_trap 2
	s_or_b64 s[14:15], s[14:15], exec
	s_cbranch_execz .LBB264_1616
	s_branch .LBB264_1617
.LBB264_2023:
	s_andn2_saveexec_b64 s[16:17], s[16:17]
	s_cbranch_execz .LBB264_1581
.LBB264_2024:
	s_mov_b32 s18, 0x42800000
	v_add_f32_e64 v4, |v1|, s18
	v_and_b32_e32 v4, 0xff, v4
	v_cmp_ne_u32_e32 vcc, 0, v4
	s_andn2_b64 s[10:11], s[10:11], exec
	s_and_b64 s[18:19], vcc, exec
	s_or_b64 s[10:11], s[10:11], s[18:19]
	s_or_b64 exec, exec, s[16:17]
	v_mov_b32_e32 v9, 0
	s_and_saveexec_b64 s[16:17], s[10:11]
	s_cbranch_execnz .LBB264_1582
	s_branch .LBB264_1583
.LBB264_2025:
	s_andn2_saveexec_b64 s[16:17], s[16:17]
	s_cbranch_execz .LBB264_1687
.LBB264_2026:
	s_mov_b32 s21, 0x46000000
	v_add_f32_e64 v5, |v1|, s21
	v_and_b32_e32 v5, 0xff, v5
	v_cmp_ne_u32_e32 vcc, 0, v5
	s_andn2_b64 s[10:11], s[10:11], exec
	s_and_b64 s[22:23], vcc, exec
	s_or_b64 s[10:11], s[10:11], s[22:23]
	s_or_b64 exec, exec, s[16:17]
	v_mov_b32_e32 v6, 0
	s_and_saveexec_b64 s[16:17], s[10:11]
	s_cbranch_execnz .LBB264_1688
	s_branch .LBB264_1689
.LBB264_2027:
	s_trap 2
	s_or_b64 s[14:15], s[14:15], exec
	s_cbranch_execz .LBB264_1735
	s_branch .LBB264_1736
.LBB264_2028:
	s_andn2_saveexec_b64 s[10:11], s[10:11]
	s_cbranch_execz .LBB264_1700
.LBB264_2029:
	s_mov_b32 s16, 0x42800000
	v_add_f32_e64 v5, |v1|, s16
	v_and_b32_e32 v5, 0xff, v5
	v_cmp_ne_u32_e32 vcc, 0, v5
	s_andn2_b64 s[8:9], s[8:9], exec
	s_and_b64 s[16:17], vcc, exec
	s_or_b64 s[8:9], s[8:9], s[16:17]
	s_or_b64 exec, exec, s[10:11]
	v_mov_b32_e32 v6, 0
	s_and_saveexec_b64 s[10:11], s[8:9]
	s_cbranch_execnz .LBB264_1701
	s_branch .LBB264_1702
.LBB264_2030:
	s_andn2_saveexec_b64 s[16:17], s[16:17]
	s_cbranch_execz .LBB264_1806
.LBB264_2031:
	s_mov_b32 s21, 0x46000000
	v_add_f32_e64 v5, |v1|, s21
	v_and_b32_e32 v5, 0xff, v5
	v_cmp_ne_u32_e32 vcc, 0, v5
	s_andn2_b64 s[10:11], s[10:11], exec
	s_and_b64 s[22:23], vcc, exec
	s_or_b64 s[10:11], s[10:11], s[22:23]
	s_or_b64 exec, exec, s[16:17]
	v_mov_b32_e32 v6, 0
	s_and_saveexec_b64 s[16:17], s[10:11]
	s_cbranch_execnz .LBB264_1807
	s_branch .LBB264_1808
.LBB264_2032:
	s_trap 2
	s_or_b64 s[14:15], s[14:15], exec
	s_cbranch_execz .LBB264_1854
	s_branch .LBB264_1855
.LBB264_2033:
	s_andn2_saveexec_b64 s[10:11], s[10:11]
	s_cbranch_execz .LBB264_1819
.LBB264_2034:
	s_mov_b32 s16, 0x42800000
	v_add_f32_e64 v5, |v1|, s16
	v_and_b32_e32 v5, 0xff, v5
	v_cmp_ne_u32_e32 vcc, 0, v5
	s_andn2_b64 s[8:9], s[8:9], exec
	s_and_b64 s[16:17], vcc, exec
	s_or_b64 s[8:9], s[8:9], s[16:17]
	s_or_b64 exec, exec, s[10:11]
	v_mov_b32_e32 v6, 0
	s_and_saveexec_b64 s[10:11], s[8:9]
	s_cbranch_execnz .LBB264_1820
	s_branch .LBB264_1821
.LBB264_2035:
	s_andn2_saveexec_b64 s[10:11], s[10:11]
	s_cbranch_execz .LBB264_1926
.LBB264_2036:
	s_mov_b32 s17, 0x46000000
	v_add_f32_e64 v4, |v3|, s17
	v_and_b32_e32 v4, 0xff, v4
	v_cmp_ne_u32_e32 vcc, 0, v4
	s_andn2_b64 s[8:9], s[8:9], exec
	s_and_b64 s[18:19], vcc, exec
	s_or_b64 s[8:9], s[8:9], s[18:19]
	s_or_b64 exec, exec, s[10:11]
	v_mov_b32_e32 v5, 0
	s_and_saveexec_b64 s[10:11], s[8:9]
	s_cbranch_execnz .LBB264_1927
	s_branch .LBB264_1928
.LBB264_2037:
	s_mov_b64 s[4:5], 0
	s_or_b64 s[14:15], s[14:15], exec
	s_trap 2
	s_branch .LBB264_1972
.LBB264_2038:
	s_andn2_saveexec_b64 s[8:9], s[8:9]
	s_cbranch_execz .LBB264_1938
.LBB264_2039:
	s_mov_b32 s10, 0x42800000
	v_add_f32_e64 v4, |v3|, s10
	v_and_b32_e32 v4, 0xff, v4
	v_cmp_ne_u32_e32 vcc, 0, v4
	s_andn2_b64 s[6:7], s[6:7], exec
	s_and_b64 s[10:11], vcc, exec
	s_or_b64 s[6:7], s[6:7], s[10:11]
	s_or_b64 exec, exec, s[8:9]
	v_mov_b32_e32 v5, 0
	s_and_saveexec_b64 s[8:9], s[6:7]
	s_cbranch_execnz .LBB264_1939
	s_branch .LBB264_1940
	.section	.rodata,"a",@progbits
	.p2align	6, 0x0
	.amdhsa_kernel _ZN2at6native32elementwise_kernel_manual_unrollILi128ELi4EZNS0_15gpu_kernel_implIZZZNS0_16sqrt_kernel_cudaERNS_18TensorIteratorBaseEENKUlvE0_clEvENKUlvE1_clEvEUlN3c104HalfEE_EEvS4_RKT_EUlibE_EEviT1_
		.amdhsa_group_segment_fixed_size 0
		.amdhsa_private_segment_fixed_size 0
		.amdhsa_kernarg_size 40
		.amdhsa_user_sgpr_count 2
		.amdhsa_user_sgpr_dispatch_ptr 0
		.amdhsa_user_sgpr_queue_ptr 0
		.amdhsa_user_sgpr_kernarg_segment_ptr 1
		.amdhsa_user_sgpr_dispatch_id 0
		.amdhsa_user_sgpr_kernarg_preload_length 0
		.amdhsa_user_sgpr_kernarg_preload_offset 0
		.amdhsa_user_sgpr_private_segment_size 0
		.amdhsa_uses_dynamic_stack 0
		.amdhsa_enable_private_segment 0
		.amdhsa_system_sgpr_workgroup_id_x 1
		.amdhsa_system_sgpr_workgroup_id_y 0
		.amdhsa_system_sgpr_workgroup_id_z 0
		.amdhsa_system_sgpr_workgroup_info 0
		.amdhsa_system_vgpr_workitem_id 0
		.amdhsa_next_free_vgpr 14
		.amdhsa_next_free_sgpr 44
		.amdhsa_accum_offset 16
		.amdhsa_reserve_vcc 1
		.amdhsa_float_round_mode_32 0
		.amdhsa_float_round_mode_16_64 0
		.amdhsa_float_denorm_mode_32 3
		.amdhsa_float_denorm_mode_16_64 3
		.amdhsa_dx10_clamp 1
		.amdhsa_ieee_mode 1
		.amdhsa_fp16_overflow 0
		.amdhsa_tg_split 0
		.amdhsa_exception_fp_ieee_invalid_op 0
		.amdhsa_exception_fp_denorm_src 0
		.amdhsa_exception_fp_ieee_div_zero 0
		.amdhsa_exception_fp_ieee_overflow 0
		.amdhsa_exception_fp_ieee_underflow 0
		.amdhsa_exception_fp_ieee_inexact 0
		.amdhsa_exception_int_div_zero 0
	.end_amdhsa_kernel
	.section	.text._ZN2at6native32elementwise_kernel_manual_unrollILi128ELi4EZNS0_15gpu_kernel_implIZZZNS0_16sqrt_kernel_cudaERNS_18TensorIteratorBaseEENKUlvE0_clEvENKUlvE1_clEvEUlN3c104HalfEE_EEvS4_RKT_EUlibE_EEviT1_,"axG",@progbits,_ZN2at6native32elementwise_kernel_manual_unrollILi128ELi4EZNS0_15gpu_kernel_implIZZZNS0_16sqrt_kernel_cudaERNS_18TensorIteratorBaseEENKUlvE0_clEvENKUlvE1_clEvEUlN3c104HalfEE_EEvS4_RKT_EUlibE_EEviT1_,comdat
.Lfunc_end264:
	.size	_ZN2at6native32elementwise_kernel_manual_unrollILi128ELi4EZNS0_15gpu_kernel_implIZZZNS0_16sqrt_kernel_cudaERNS_18TensorIteratorBaseEENKUlvE0_clEvENKUlvE1_clEvEUlN3c104HalfEE_EEvS4_RKT_EUlibE_EEviT1_, .Lfunc_end264-_ZN2at6native32elementwise_kernel_manual_unrollILi128ELi4EZNS0_15gpu_kernel_implIZZZNS0_16sqrt_kernel_cudaERNS_18TensorIteratorBaseEENKUlvE0_clEvENKUlvE1_clEvEUlN3c104HalfEE_EEvS4_RKT_EUlibE_EEviT1_
                                        ; -- End function
	.set _ZN2at6native32elementwise_kernel_manual_unrollILi128ELi4EZNS0_15gpu_kernel_implIZZZNS0_16sqrt_kernel_cudaERNS_18TensorIteratorBaseEENKUlvE0_clEvENKUlvE1_clEvEUlN3c104HalfEE_EEvS4_RKT_EUlibE_EEviT1_.num_vgpr, 14
	.set _ZN2at6native32elementwise_kernel_manual_unrollILi128ELi4EZNS0_15gpu_kernel_implIZZZNS0_16sqrt_kernel_cudaERNS_18TensorIteratorBaseEENKUlvE0_clEvENKUlvE1_clEvEUlN3c104HalfEE_EEvS4_RKT_EUlibE_EEviT1_.num_agpr, 0
	.set _ZN2at6native32elementwise_kernel_manual_unrollILi128ELi4EZNS0_15gpu_kernel_implIZZZNS0_16sqrt_kernel_cudaERNS_18TensorIteratorBaseEENKUlvE0_clEvENKUlvE1_clEvEUlN3c104HalfEE_EEvS4_RKT_EUlibE_EEviT1_.numbered_sgpr, 44
	.set _ZN2at6native32elementwise_kernel_manual_unrollILi128ELi4EZNS0_15gpu_kernel_implIZZZNS0_16sqrt_kernel_cudaERNS_18TensorIteratorBaseEENKUlvE0_clEvENKUlvE1_clEvEUlN3c104HalfEE_EEvS4_RKT_EUlibE_EEviT1_.num_named_barrier, 0
	.set _ZN2at6native32elementwise_kernel_manual_unrollILi128ELi4EZNS0_15gpu_kernel_implIZZZNS0_16sqrt_kernel_cudaERNS_18TensorIteratorBaseEENKUlvE0_clEvENKUlvE1_clEvEUlN3c104HalfEE_EEvS4_RKT_EUlibE_EEviT1_.private_seg_size, 0
	.set _ZN2at6native32elementwise_kernel_manual_unrollILi128ELi4EZNS0_15gpu_kernel_implIZZZNS0_16sqrt_kernel_cudaERNS_18TensorIteratorBaseEENKUlvE0_clEvENKUlvE1_clEvEUlN3c104HalfEE_EEvS4_RKT_EUlibE_EEviT1_.uses_vcc, 1
	.set _ZN2at6native32elementwise_kernel_manual_unrollILi128ELi4EZNS0_15gpu_kernel_implIZZZNS0_16sqrt_kernel_cudaERNS_18TensorIteratorBaseEENKUlvE0_clEvENKUlvE1_clEvEUlN3c104HalfEE_EEvS4_RKT_EUlibE_EEviT1_.uses_flat_scratch, 0
	.set _ZN2at6native32elementwise_kernel_manual_unrollILi128ELi4EZNS0_15gpu_kernel_implIZZZNS0_16sqrt_kernel_cudaERNS_18TensorIteratorBaseEENKUlvE0_clEvENKUlvE1_clEvEUlN3c104HalfEE_EEvS4_RKT_EUlibE_EEviT1_.has_dyn_sized_stack, 0
	.set _ZN2at6native32elementwise_kernel_manual_unrollILi128ELi4EZNS0_15gpu_kernel_implIZZZNS0_16sqrt_kernel_cudaERNS_18TensorIteratorBaseEENKUlvE0_clEvENKUlvE1_clEvEUlN3c104HalfEE_EEvS4_RKT_EUlibE_EEviT1_.has_recursion, 0
	.set _ZN2at6native32elementwise_kernel_manual_unrollILi128ELi4EZNS0_15gpu_kernel_implIZZZNS0_16sqrt_kernel_cudaERNS_18TensorIteratorBaseEENKUlvE0_clEvENKUlvE1_clEvEUlN3c104HalfEE_EEvS4_RKT_EUlibE_EEviT1_.has_indirect_call, 0
	.section	.AMDGPU.csdata,"",@progbits
; Kernel info:
; codeLenInByte = 36972
; TotalNumSgprs: 50
; NumVgprs: 14
; NumAgprs: 0
; TotalNumVgprs: 14
; ScratchSize: 0
; MemoryBound: 0
; FloatMode: 240
; IeeeMode: 1
; LDSByteSize: 0 bytes/workgroup (compile time only)
; SGPRBlocks: 6
; VGPRBlocks: 1
; NumSGPRsForWavesPerEU: 50
; NumVGPRsForWavesPerEU: 14
; AccumOffset: 16
; Occupancy: 8
; WaveLimiterHint : 0
; COMPUTE_PGM_RSRC2:SCRATCH_EN: 0
; COMPUTE_PGM_RSRC2:USER_SGPR: 2
; COMPUTE_PGM_RSRC2:TRAP_HANDLER: 0
; COMPUTE_PGM_RSRC2:TGID_X_EN: 1
; COMPUTE_PGM_RSRC2:TGID_Y_EN: 0
; COMPUTE_PGM_RSRC2:TGID_Z_EN: 0
; COMPUTE_PGM_RSRC2:TIDIG_COMP_CNT: 0
; COMPUTE_PGM_RSRC3_GFX90A:ACCUM_OFFSET: 3
; COMPUTE_PGM_RSRC3_GFX90A:TG_SPLIT: 0
	.section	.text._ZN2at6native32elementwise_kernel_manual_unrollILi128ELi4EZNS0_15gpu_kernel_implIZZZNS0_16sqrt_kernel_cudaERNS_18TensorIteratorBaseEENKUlvE0_clEvENKUlvE1_clEvEUlN3c104HalfEE_EEvS4_RKT_EUlibE0_EEviT1_,"axG",@progbits,_ZN2at6native32elementwise_kernel_manual_unrollILi128ELi4EZNS0_15gpu_kernel_implIZZZNS0_16sqrt_kernel_cudaERNS_18TensorIteratorBaseEENKUlvE0_clEvENKUlvE1_clEvEUlN3c104HalfEE_EEvS4_RKT_EUlibE0_EEviT1_,comdat
	.globl	_ZN2at6native32elementwise_kernel_manual_unrollILi128ELi4EZNS0_15gpu_kernel_implIZZZNS0_16sqrt_kernel_cudaERNS_18TensorIteratorBaseEENKUlvE0_clEvENKUlvE1_clEvEUlN3c104HalfEE_EEvS4_RKT_EUlibE0_EEviT1_ ; -- Begin function _ZN2at6native32elementwise_kernel_manual_unrollILi128ELi4EZNS0_15gpu_kernel_implIZZZNS0_16sqrt_kernel_cudaERNS_18TensorIteratorBaseEENKUlvE0_clEvENKUlvE1_clEvEUlN3c104HalfEE_EEvS4_RKT_EUlibE0_EEviT1_
	.p2align	8
	.type	_ZN2at6native32elementwise_kernel_manual_unrollILi128ELi4EZNS0_15gpu_kernel_implIZZZNS0_16sqrt_kernel_cudaERNS_18TensorIteratorBaseEENKUlvE0_clEvENKUlvE1_clEvEUlN3c104HalfEE_EEvS4_RKT_EUlibE0_EEviT1_,@function
_ZN2at6native32elementwise_kernel_manual_unrollILi128ELi4EZNS0_15gpu_kernel_implIZZZNS0_16sqrt_kernel_cudaERNS_18TensorIteratorBaseEENKUlvE0_clEvENKUlvE1_clEvEUlN3c104HalfEE_EEvS4_RKT_EUlibE0_EEviT1_: ; @_ZN2at6native32elementwise_kernel_manual_unrollILi128ELi4EZNS0_15gpu_kernel_implIZZZNS0_16sqrt_kernel_cudaERNS_18TensorIteratorBaseEENKUlvE0_clEvENKUlvE1_clEvEUlN3c104HalfEE_EEvS4_RKT_EUlibE0_EEviT1_
; %bb.0:
	s_load_dword s70, s[0:1], 0x0
	s_load_dword s33, s[0:1], 0x8
	s_add_u32 s34, s0, 8
	s_addc_u32 s35, s1, 0
	v_lshl_or_b32 v8, s2, 9, v0
	v_or_b32_e32 v16, 0x180, v8
	s_waitcnt lgkmcnt(0)
	s_add_i32 s72, s33, -1
	s_cmp_gt_u32 s72, 1
	v_cmp_le_i32_e32 vcc, s70, v16
	s_cselect_b64 s[42:43], -1, 0
	s_mov_b64 s[40:41], 0
	s_mov_b64 s[24:25], 0
	s_and_saveexec_b64 s[2:3], vcc
	s_xor_b64 s[44:45], exec, s[2:3]
	s_cbranch_execz .LBB265_1090
; %bb.1:
	v_mov_b32_e32 v0, 0
	global_load_ushort v0, v0, s[34:35] offset:345
	s_load_dwordx4 s[28:31], s[34:35], 0x4
	s_load_dwordx2 s[46:47], s[34:35], 0x14
	s_load_dwordx4 s[24:27], s[34:35], 0xc4
	s_load_dwordx4 s[20:23], s[34:35], 0x148
	s_cmp_lg_u32 s33, 0
	s_cselect_b64 s[52:53], -1, 0
	s_add_u32 s50, s34, 0xc4
	s_addc_u32 s51, s35, 0
	s_min_u32 s75, s72, 15
	s_cmp_gt_u32 s33, 1
	s_cselect_b64 s[48:49], -1, 0
	v_cmp_gt_i32_e32 vcc, s70, v8
	s_mov_b64 s[4:5], -1
	s_mov_b64 s[62:63], 0
	s_mov_b64 s[56:57], 0
	;; [unrolled: 1-line block ×3, first 2 shown]
	s_waitcnt vmcnt(0)
	v_readfirstlane_b32 s73, v0
	s_and_b32 s2, 0xffff, s73
	s_lshr_b32 s74, s2, 8
	s_and_saveexec_b64 s[58:59], vcc
	s_cbranch_execz .LBB265_267
; %bb.2:
	s_andn2_b64 vcc, exec, s[42:43]
	s_cbranch_vccnz .LBB265_8
; %bb.3:
	s_andn2_b64 vcc, exec, s[52:53]
	s_cbranch_vccnz .LBB265_9
; %bb.4:
	s_add_i32 s57, s75, 1
	s_cmp_eq_u32 s72, 2
	s_cbranch_scc1 .LBB265_10
; %bb.5:
	s_and_b32 s56, s57, 28
	s_mov_b32 s60, 0
	v_mov_b32_e32 v0, 0
	v_mov_b32_e32 v2, 0
	s_mov_b64 s[2:3], s[34:35]
	s_mov_b64 s[54:55], s[50:51]
	v_mov_b32_e32 v4, v8
.LBB265_6:                              ; =>This Inner Loop Header: Depth=1
	s_load_dwordx8 s[12:19], s[2:3], 0x4
	s_load_dwordx4 s[36:39], s[2:3], 0x24
	s_load_dwordx8 s[4:11], s[54:55], 0x0
	s_add_u32 s2, s2, 48
	s_addc_u32 s3, s3, 0
	s_waitcnt lgkmcnt(0)
	v_mul_hi_u32 v1, s13, v4
	v_add_u32_e32 v1, v4, v1
	v_lshrrev_b32_e32 v1, s14, v1
	v_mul_lo_u32 v3, v1, s12
	v_mul_hi_u32 v5, s16, v1
	v_sub_u32_e32 v3, v4, v3
	v_add_u32_e32 v4, v1, v5
	v_lshrrev_b32_e32 v4, s17, v4
	v_mul_lo_u32 v6, v4, s15
	v_mul_hi_u32 v7, s19, v4
	v_sub_u32_e32 v1, v1, v6
	v_add_u32_e32 v6, v4, v7
	v_mul_lo_u32 v5, v3, s5
	v_mul_lo_u32 v3, v3, s4
	;; [unrolled: 1-line block ×4, first 2 shown]
	v_lshrrev_b32_e32 v6, s36, v6
	v_add3_u32 v0, v3, v0, v1
	v_mul_hi_u32 v3, s38, v6
	v_add3_u32 v1, v5, v2, v7
	v_mul_lo_u32 v2, v6, s18
	v_add_u32_e32 v3, v6, v3
	v_sub_u32_e32 v2, v4, v2
	v_lshrrev_b32_e32 v4, s39, v3
	s_add_i32 s60, s60, 4
	v_mul_lo_u32 v3, v4, s37
	s_add_u32 s54, s54, 32
	v_sub_u32_e32 v3, v6, v3
	s_addc_u32 s55, s55, 0
	v_mul_lo_u32 v5, v2, s8
	v_mul_lo_u32 v2, v2, s9
	;; [unrolled: 1-line block ×4, first 2 shown]
	s_cmp_lg_u32 s56, s60
	v_add3_u32 v2, v2, v1, v3
	v_add3_u32 v0, v5, v0, v6
	s_cbranch_scc1 .LBB265_6
; %bb.7:
	v_mov_b32_e32 v1, v2
	s_branch .LBB265_11
.LBB265_8:
                                        ; implicit-def: $vgpr2
                                        ; implicit-def: $vgpr0
	s_branch .LBB265_15
.LBB265_9:
	v_mov_b32_e32 v2, 0
	v_mov_b32_e32 v0, 0
	s_branch .LBB265_14
.LBB265_10:
	v_mov_b32_e32 v0, 0
	s_mov_b32 s56, 0
	v_mov_b32_e32 v1, v0
                                        ; implicit-def: $vgpr2
	v_mov_b32_e32 v4, v8
.LBB265_11:
	s_and_b32 s6, s57, 3
	s_cmp_eq_u32 s6, 0
	s_cbranch_scc1 .LBB265_14
; %bb.12:
	s_lshl_b32 s2, s56, 3
	s_add_u32 s2, s34, s2
	s_addc_u32 s3, s35, 0
	s_add_u32 s2, s2, 0xc4
	s_addc_u32 s3, s3, 0
	s_mul_i32 s4, s56, 12
	s_add_u32 s4, s34, s4
	s_addc_u32 s5, s35, 0
.LBB265_13:                             ; =>This Inner Loop Header: Depth=1
	s_load_dwordx2 s[8:9], s[4:5], 0x4
	s_load_dword s7, s[4:5], 0xc
	s_load_dwordx2 s[10:11], s[2:3], 0x0
	v_mov_b32_e32 v2, v1
	s_add_u32 s4, s4, 12
	s_waitcnt lgkmcnt(0)
	v_mul_hi_u32 v1, s9, v4
	v_add_u32_e32 v1, v4, v1
	v_lshrrev_b32_e32 v1, s7, v1
	s_addc_u32 s5, s5, 0
	v_mul_lo_u32 v3, v1, s8
	s_add_u32 s2, s2, 8
	v_sub_u32_e32 v5, v4, v3
	s_addc_u32 s3, s3, 0
	s_add_i32 s6, s6, -1
	v_mov_b32_e32 v4, v1
	v_mad_u64_u32 v[2:3], s[8:9], v5, s11, v[2:3]
	v_mad_u64_u32 v[0:1], s[8:9], v5, s10, v[0:1]
	s_cmp_lg_u32 s6, 0
	v_mov_b32_e32 v1, v2
	s_cbranch_scc1 .LBB265_13
.LBB265_14:
	s_cbranch_execnz .LBB265_17
.LBB265_15:
	s_waitcnt lgkmcnt(0)
	v_mul_hi_u32 v0, s29, v8
	v_add_u32_e32 v0, v8, v0
	v_lshrrev_b32_e32 v1, s30, v0
	v_mul_lo_u32 v0, v1, s28
	v_sub_u32_e32 v0, v8, v0
	v_mul_lo_u32 v2, v0, s25
	s_andn2_b64 vcc, exec, s[48:49]
	v_mul_lo_u32 v0, v0, s24
	s_cbranch_vccnz .LBB265_17
; %bb.16:
	v_mul_hi_u32 v3, s46, v1
	v_add_u32_e32 v3, v1, v3
	v_lshrrev_b32_e32 v3, s47, v3
	v_mul_lo_u32 v3, v3, s31
	v_sub_u32_e32 v3, v1, v3
	v_mad_u64_u32 v[0:1], s[2:3], v3, s26, v[0:1]
	v_mad_u64_u32 v[2:3], s[2:3], v3, s27, v[2:3]
.LBB265_17:
	v_mov_b32_e32 v3, 0
	s_and_b32 s10, 0xffff, s74
	s_cmp_lt_i32 s10, 11
	s_waitcnt lgkmcnt(0)
	v_lshl_add_u64 v[2:3], s[22:23], 0, v[2:3]
	s_cbranch_scc1 .LBB265_24
; %bb.18:
	s_cmp_gt_i32 s10, 25
	s_cbranch_scc0 .LBB265_33
; %bb.19:
	s_cmp_gt_i32 s10, 28
	s_cbranch_scc0 .LBB265_36
; %bb.20:
	s_cmp_gt_i32 s10, 43
	s_cbranch_scc0 .LBB265_38
; %bb.21:
	s_cmp_gt_i32 s10, 45
	s_cbranch_scc0 .LBB265_40
; %bb.22:
	s_cmp_eq_u32 s10, 46
	s_mov_b64 s[6:7], 0
	s_cbranch_scc0 .LBB265_42
; %bb.23:
	global_load_dword v1, v[2:3], off
	s_mov_b64 s[2:3], -1
	s_mov_b64 s[4:5], 0
	s_waitcnt vmcnt(0)
	v_lshlrev_b32_e32 v1, 16, v1
	v_cvt_f16_f32_e32 v1, v1
	s_branch .LBB265_44
.LBB265_24:
	s_mov_b64 s[4:5], 0
                                        ; implicit-def: $vgpr1
	s_mov_b64 s[2:3], 0
	s_cbranch_execnz .LBB265_217
.LBB265_25:
	s_andn2_b64 vcc, exec, s[2:3]
	s_cbranch_vccnz .LBB265_264
.LBB265_26:
	s_waitcnt vmcnt(0)
	v_cvt_f32_f16_e32 v1, v1
	s_mov_b32 s2, 0xf800000
	v_mov_b32_e32 v3, 0x260
	s_and_b32 s12, s73, 0xff
	v_mul_f32_e32 v2, 0x4f800000, v1
	v_cmp_gt_f32_e32 vcc, s2, v1
	s_cmp_lt_i32 s12, 11
	s_nop 0
	v_cndmask_b32_e32 v1, v1, v2, vcc
	v_rsq_f32_e32 v2, v1
	s_nop 0
	v_mul_f32_e32 v4, v1, v2
	v_mul_f32_e32 v2, 0.5, v2
	v_fma_f32 v5, -v2, v4, 0.5
	v_fmac_f32_e32 v4, v4, v5
	v_fmac_f32_e32 v2, v2, v5
	v_fma_f32 v5, -v4, v4, v1
	v_fmac_f32_e32 v4, v5, v2
	v_mul_f32_e32 v2, 0x37800000, v4
	v_cndmask_b32_e32 v2, v4, v2, vcc
	v_cmp_class_f32_e32 vcc, v1, v3
	s_nop 1
	v_cndmask_b32_e32 v1, v2, v1, vcc
	v_cvt_f16_f32_e32 v2, v1
	v_mov_b32_e32 v1, 0
	v_lshl_add_u64 v[0:1], s[20:21], 0, v[0:1]
	s_cbranch_scc1 .LBB265_34
; %bb.27:
	s_and_b32 s13, 0xffff, s12
	s_cmp_gt_i32 s13, 25
	s_cbranch_scc0 .LBB265_37
; %bb.28:
	s_cmp_gt_i32 s13, 28
	s_cbranch_scc0 .LBB265_39
; %bb.29:
	s_cmp_gt_i32 s13, 43
	s_cbranch_scc0 .LBB265_41
; %bb.30:
	s_cmp_gt_i32 s13, 45
	s_cbranch_scc0 .LBB265_47
; %bb.31:
	s_mov_b64 s[8:9], 0
	s_mov_b64 s[2:3], -1
	s_cmp_eq_u32 s13, 46
	s_mov_b64 s[6:7], 0
	s_cbranch_scc0 .LBB265_48
; %bb.32:
	v_cvt_f32_f16_e32 v3, v2
	s_movk_i32 s2, 0x7fff
	v_cmp_o_f16_e32 vcc, v2, v2
	v_mov_b32_e32 v4, 0x7fc0
	v_bfe_u32 v5, v3, 16, 1
	v_add3_u32 v3, v3, v5, s2
	v_cndmask_b32_sdwa v3, v4, v3, vcc dst_sel:DWORD dst_unused:UNUSED_PAD src0_sel:DWORD src1_sel:WORD_1
	global_store_dword v[0:1], v3, off
	s_mov_b64 s[6:7], -1
	s_mov_b64 s[2:3], 0
	s_branch .LBB265_48
.LBB265_33:
	s_mov_b64 s[4:5], 0
	s_mov_b64 s[2:3], 0
                                        ; implicit-def: $vgpr1
	s_cbranch_execnz .LBB265_182
	s_branch .LBB265_216
.LBB265_34:
	s_mov_b64 s[2:3], 0
	s_mov_b64 s[6:7], 0
	s_cbranch_execnz .LBB265_117
.LBB265_35:
	s_andn2_b64 vcc, exec, s[6:7]
	s_cbranch_vccnz .LBB265_265
	s_branch .LBB265_155
.LBB265_36:
	s_mov_b64 s[6:7], -1
	s_mov_b64 s[4:5], 0
	s_mov_b64 s[2:3], 0
                                        ; implicit-def: $vgpr1
	s_branch .LBB265_163
.LBB265_37:
	s_mov_b64 s[8:9], -1
	s_mov_b64 s[2:3], 0
	s_mov_b64 s[6:7], 0
	s_branch .LBB265_75
.LBB265_38:
	s_mov_b64 s[6:7], -1
	s_mov_b64 s[4:5], 0
	s_mov_b64 s[2:3], 0
                                        ; implicit-def: $vgpr1
	s_branch .LBB265_158
.LBB265_39:
	s_mov_b64 s[8:9], -1
	s_mov_b64 s[2:3], 0
	s_mov_b64 s[6:7], 0
	s_branch .LBB265_58
.LBB265_40:
	s_mov_b64 s[6:7], -1
	s_mov_b64 s[4:5], 0
	s_branch .LBB265_43
.LBB265_41:
	s_mov_b64 s[8:9], -1
	s_mov_b64 s[2:3], 0
	s_mov_b64 s[6:7], 0
	s_branch .LBB265_54
.LBB265_42:
	s_mov_b64 s[4:5], -1
.LBB265_43:
	s_mov_b64 s[2:3], 0
                                        ; implicit-def: $vgpr1
.LBB265_44:
	s_and_b64 vcc, exec, s[6:7]
	s_cbranch_vccz .LBB265_157
; %bb.45:
	s_cmp_eq_u32 s10, 44
	s_cbranch_scc0 .LBB265_156
; %bb.46:
	global_load_ubyte v1, v[2:3], off
	s_movk_i32 s4, 0xff
	v_mov_b32_e32 v5, 0x7e00
	s_mov_b64 s[2:3], -1
	s_waitcnt vmcnt(0)
	v_lshlrev_b32_e32 v4, 23, v1
	v_cvt_f16_f32_e32 v4, v4
	v_cmp_ne_u32_e32 vcc, s4, v1
	s_mov_b64 s[4:5], 0
	s_nop 0
	v_cndmask_b32_e32 v4, v5, v4, vcc
	v_cmp_ne_u32_e32 vcc, 0, v1
	s_nop 1
	v_cndmask_b32_e32 v1, 0, v4, vcc
	s_branch .LBB265_157
.LBB265_47:
	s_mov_b64 s[8:9], -1
	s_mov_b64 s[2:3], 0
	s_mov_b64 s[6:7], 0
.LBB265_48:
	s_and_b64 vcc, exec, s[8:9]
	s_cbranch_vccz .LBB265_53
; %bb.49:
	s_cmp_eq_u32 s13, 44
	s_mov_b64 s[2:3], -1
	s_cbranch_scc0 .LBB265_53
; %bb.50:
	v_cvt_f32_f16_e32 v3, v2
	s_movk_i32 s2, 0xff
	v_mov_b32_e32 v5, 0xff
	v_bfe_u32 v4, v3, 23, 8
	v_cmp_ne_u32_e32 vcc, s2, v4
	s_and_saveexec_b64 s[6:7], vcc
; %bb.51:
	s_mov_b32 s2, 0x3fffff
	v_lshrrev_b32_e32 v5, 23, v3
	v_and_b32_e32 v6, 0x400000, v3
	v_and_or_b32 v3, v3, s2, v4
	v_cmp_ne_u32_e32 vcc, 0, v6
	v_cmp_ne_u32_e64 s[2:3], 0, v3
	s_and_b64 s[2:3], vcc, s[2:3]
	s_nop 0
	v_cndmask_b32_e64 v3, 0, 1, s[2:3]
	v_add_u32_e32 v5, v5, v3
; %bb.52:
	s_or_b64 exec, exec, s[6:7]
	s_mov_b64 s[6:7], -1
	s_mov_b64 s[2:3], 0
	global_store_byte v[0:1], v5, off
.LBB265_53:
	s_mov_b64 s[8:9], 0
.LBB265_54:
	s_and_b64 vcc, exec, s[8:9]
	s_cbranch_vccz .LBB265_57
; %bb.55:
	s_cmp_eq_u32 s13, 29
	s_mov_b64 s[2:3], -1
	s_cbranch_scc0 .LBB265_57
; %bb.56:
	v_cvt_f32_f16_e32 v3, v2
	v_mov_b32_e32 v5, 0
	s_mov_b64 s[6:7], -1
	s_mov_b64 s[2:3], 0
	v_cvt_u32_f32_e32 v4, v3
	s_mov_b64 s[8:9], 0
	global_store_dwordx2 v[0:1], v[4:5], off
	s_branch .LBB265_58
.LBB265_57:
	s_mov_b64 s[8:9], 0
.LBB265_58:
	s_and_b64 vcc, exec, s[8:9]
	s_cbranch_vccz .LBB265_74
; %bb.59:
	s_cmp_lt_i32 s13, 27
	s_mov_b64 s[6:7], -1
	s_cbranch_scc1 .LBB265_65
; %bb.60:
	s_cmp_gt_i32 s13, 27
	s_cbranch_scc0 .LBB265_62
; %bb.61:
	v_cvt_f32_f16_e32 v3, v2
	s_mov_b64 s[6:7], 0
	v_cvt_u32_f32_e32 v3, v3
	global_store_dword v[0:1], v3, off
.LBB265_62:
	s_andn2_b64 vcc, exec, s[6:7]
	s_cbranch_vccnz .LBB265_64
; %bb.63:
	v_cvt_u16_f16_e32 v3, v2
	global_store_short v[0:1], v3, off
.LBB265_64:
	s_mov_b64 s[6:7], 0
.LBB265_65:
	s_andn2_b64 vcc, exec, s[6:7]
	s_cbranch_vccnz .LBB265_73
; %bb.66:
	v_cvt_f32_f16_e32 v3, v2
	s_mov_b32 s6, 0x43800000
	v_mov_b32_e32 v5, 0x80
	v_and_b32_e32 v4, 0x7fffffff, v3
	v_cmp_gt_u32_e32 vcc, s6, v4
	s_and_saveexec_b64 s[6:7], vcc
	s_cbranch_execz .LBB265_72
; %bb.67:
	s_mov_b32 s8, 0x3bffffff
	v_cmp_lt_u32_e32 vcc, s8, v4
	s_mov_b64 s[8:9], 0
                                        ; implicit-def: $vgpr4
	s_and_saveexec_b64 s[10:11], vcc
	s_xor_b64 s[10:11], exec, s[10:11]
	s_cbranch_execz .LBB265_309
; %bb.68:
	v_bfe_u32 v4, v3, 20, 1
	s_mov_b32 s14, 0x487ffff
	v_add3_u32 v4, v3, v4, s14
	s_mov_b64 s[8:9], exec
	v_lshrrev_b32_e32 v4, 20, v4
	s_andn2_saveexec_b64 s[10:11], s[10:11]
	s_cbranch_execnz .LBB265_310
.LBB265_69:
	s_or_b64 exec, exec, s[10:11]
	v_mov_b32_e32 v5, 0
	s_and_saveexec_b64 s[10:11], s[8:9]
.LBB265_70:
	v_lshrrev_b32_e32 v3, 24, v3
	s_movk_i32 s8, 0x80
	v_and_or_b32 v5, v3, s8, v4
.LBB265_71:
	s_or_b64 exec, exec, s[10:11]
.LBB265_72:
	s_or_b64 exec, exec, s[6:7]
	global_store_byte v[0:1], v5, off
.LBB265_73:
	s_mov_b64 s[6:7], -1
.LBB265_74:
	s_mov_b64 s[8:9], 0
.LBB265_75:
	s_and_b64 vcc, exec, s[8:9]
	s_cbranch_vccz .LBB265_116
; %bb.76:
	s_cmp_gt_i32 s13, 22
	s_mov_b64 s[8:9], -1
	s_cbranch_scc0 .LBB265_108
; %bb.77:
	s_cmp_lt_i32 s13, 24
	s_mov_b64 s[6:7], -1
	s_cbranch_scc1 .LBB265_97
; %bb.78:
	s_cmp_gt_i32 s13, 24
	s_cbranch_scc0 .LBB265_86
; %bb.79:
	v_cvt_f32_f16_e32 v3, v2
	s_mov_b32 s6, 0x47800000
	v_mov_b32_e32 v5, 0x80
	v_and_b32_e32 v4, 0x7fffffff, v3
	v_cmp_gt_u32_e32 vcc, s6, v4
	s_and_saveexec_b64 s[6:7], vcc
	s_cbranch_execz .LBB265_85
; %bb.80:
	s_mov_b32 s8, 0x37ffffff
	v_cmp_lt_u32_e32 vcc, s8, v4
	s_mov_b64 s[8:9], 0
                                        ; implicit-def: $vgpr4
	s_and_saveexec_b64 s[10:11], vcc
	s_xor_b64 s[10:11], exec, s[10:11]
	s_cbranch_execz .LBB265_313
; %bb.81:
	v_bfe_u32 v4, v3, 21, 1
	s_mov_b32 s14, 0x88fffff
	v_add3_u32 v4, v3, v4, s14
	s_mov_b64 s[8:9], exec
	v_lshrrev_b32_e32 v4, 21, v4
	s_andn2_saveexec_b64 s[10:11], s[10:11]
	s_cbranch_execnz .LBB265_314
.LBB265_82:
	s_or_b64 exec, exec, s[10:11]
	v_mov_b32_e32 v5, 0
	s_and_saveexec_b64 s[10:11], s[8:9]
.LBB265_83:
	v_lshrrev_b32_e32 v3, 24, v3
	s_movk_i32 s8, 0x80
	v_and_or_b32 v5, v3, s8, v4
.LBB265_84:
	s_or_b64 exec, exec, s[10:11]
.LBB265_85:
	s_or_b64 exec, exec, s[6:7]
	s_mov_b64 s[6:7], 0
	global_store_byte v[0:1], v5, off
.LBB265_86:
	s_and_b64 vcc, exec, s[6:7]
	s_cbranch_vccz .LBB265_96
; %bb.87:
	v_cvt_f32_f16_e32 v3, v2
	s_mov_b32 s6, 0x43f00000
                                        ; implicit-def: $vgpr4
	v_and_b32_e32 v5, 0x7fffffff, v3
	v_cmp_gt_u32_e32 vcc, s6, v5
	s_and_saveexec_b64 s[6:7], vcc
	s_xor_b64 s[6:7], exec, s[6:7]
	s_cbranch_execz .LBB265_93
; %bb.88:
	s_mov_b32 s8, 0x3c7fffff
	v_cmp_lt_u32_e32 vcc, s8, v5
                                        ; implicit-def: $vgpr4
	s_and_saveexec_b64 s[8:9], vcc
	s_xor_b64 s[8:9], exec, s[8:9]
; %bb.89:
	v_bfe_u32 v4, v3, 20, 1
	s_mov_b32 s10, 0x407ffff
	v_add3_u32 v4, v3, v4, s10
	v_lshrrev_b32_e32 v5, 20, v4
	v_and_b32_e32 v4, 0xff00000, v4
	s_mov_b32 s10, 0x7f00000
	v_mov_b32_e32 v6, 0x7e
	v_cmp_ne_u32_e32 vcc, s10, v4
	s_nop 1
	v_cndmask_b32_e32 v4, v6, v5, vcc
; %bb.90:
	s_andn2_saveexec_b64 s[8:9], s[8:9]
; %bb.91:
	s_mov_b32 s10, 0x46800000
	v_add_f32_e64 v4, |v3|, s10
; %bb.92:
	s_or_b64 exec, exec, s[8:9]
                                        ; implicit-def: $vgpr5
.LBB265_93:
	s_andn2_saveexec_b64 s[6:7], s[6:7]
; %bb.94:
	s_mov_b32 s8, 0x7f800000
	v_mov_b32_e32 v4, 0x7e
	v_mov_b32_e32 v6, 0x7f
	v_cmp_lt_u32_e32 vcc, s8, v5
	s_nop 1
	v_cndmask_b32_e32 v4, v4, v6, vcc
; %bb.95:
	s_or_b64 exec, exec, s[6:7]
	v_lshrrev_b32_e32 v3, 24, v3
	s_movk_i32 s6, 0x80
	v_and_or_b32 v3, v3, s6, v4
	global_store_byte v[0:1], v3, off
.LBB265_96:
	s_mov_b64 s[6:7], 0
.LBB265_97:
	s_andn2_b64 vcc, exec, s[6:7]
	s_cbranch_vccnz .LBB265_107
; %bb.98:
	v_cvt_f32_f16_e32 v3, v2
	s_mov_b32 s6, 0x47800000
                                        ; implicit-def: $vgpr4
	v_and_b32_e32 v5, 0x7fffffff, v3
	v_cmp_gt_u32_e32 vcc, s6, v5
	s_and_saveexec_b64 s[6:7], vcc
	s_xor_b64 s[6:7], exec, s[6:7]
	s_cbranch_execz .LBB265_104
; %bb.99:
	s_mov_b32 s8, 0x387fffff
	v_cmp_lt_u32_e32 vcc, s8, v5
                                        ; implicit-def: $vgpr4
	s_and_saveexec_b64 s[8:9], vcc
	s_xor_b64 s[8:9], exec, s[8:9]
; %bb.100:
	v_bfe_u32 v4, v3, 21, 1
	s_mov_b32 s10, 0x80fffff
	v_add3_u32 v4, v3, v4, s10
	v_lshrrev_b32_e32 v4, 21, v4
; %bb.101:
	s_andn2_saveexec_b64 s[8:9], s[8:9]
; %bb.102:
	s_mov_b32 s10, 0x43000000
	v_add_f32_e64 v4, |v3|, s10
; %bb.103:
	s_or_b64 exec, exec, s[8:9]
                                        ; implicit-def: $vgpr5
.LBB265_104:
	s_andn2_saveexec_b64 s[6:7], s[6:7]
; %bb.105:
	s_mov_b32 s8, 0x7f800000
	v_mov_b32_e32 v4, 0x7c
	v_mov_b32_e32 v6, 0x7f
	v_cmp_lt_u32_e32 vcc, s8, v5
	s_nop 1
	v_cndmask_b32_e32 v4, v4, v6, vcc
; %bb.106:
	s_or_b64 exec, exec, s[6:7]
	v_lshrrev_b32_e32 v3, 24, v3
	s_movk_i32 s6, 0x80
	v_and_or_b32 v3, v3, s6, v4
	global_store_byte v[0:1], v3, off
.LBB265_107:
	s_mov_b64 s[8:9], 0
	s_mov_b64 s[6:7], -1
.LBB265_108:
	s_andn2_b64 vcc, exec, s[8:9]
	s_cbranch_vccnz .LBB265_116
; %bb.109:
	s_cmp_gt_i32 s13, 14
	s_mov_b64 s[8:9], -1
	s_cbranch_scc0 .LBB265_113
; %bb.110:
	s_cmp_eq_u32 s13, 15
	s_mov_b64 s[2:3], -1
	s_cbranch_scc0 .LBB265_112
; %bb.111:
	v_cvt_f32_f16_e32 v3, v2
	s_movk_i32 s2, 0x7fff
	v_cmp_o_f16_e32 vcc, v2, v2
	v_mov_b32_e32 v4, 0x7fc0
	v_bfe_u32 v5, v3, 16, 1
	v_add3_u32 v3, v3, v5, s2
	v_cndmask_b32_sdwa v3, v4, v3, vcc dst_sel:DWORD dst_unused:UNUSED_PAD src0_sel:DWORD src1_sel:WORD_1
	global_store_short v[0:1], v3, off
	s_mov_b64 s[6:7], -1
	s_mov_b64 s[2:3], 0
.LBB265_112:
	s_mov_b64 s[8:9], 0
.LBB265_113:
	s_and_b64 vcc, exec, s[8:9]
	s_cbranch_vccz .LBB265_116
; %bb.114:
	s_cmp_eq_u32 s13, 11
	s_mov_b64 s[2:3], -1
	s_cbranch_scc0 .LBB265_116
; %bb.115:
	v_cmp_neq_f16_e32 vcc, 0, v2
	s_mov_b64 s[6:7], -1
	s_mov_b64 s[2:3], 0
	v_cndmask_b32_e64 v3, 0, 1, vcc
	global_store_byte v[0:1], v3, off
.LBB265_116:
	s_branch .LBB265_35
.LBB265_117:
	s_and_b32 s8, 0xffff, s12
	s_cmp_lt_i32 s8, 5
	s_mov_b64 s[6:7], -1
	s_cbranch_scc1 .LBB265_138
; %bb.118:
	s_cmp_lt_i32 s8, 8
	s_cbranch_scc1 .LBB265_128
; %bb.119:
	s_cmp_lt_i32 s8, 9
	s_cbranch_scc1 .LBB265_125
; %bb.120:
	s_cmp_gt_i32 s8, 9
	s_cbranch_scc0 .LBB265_122
; %bb.121:
	v_cvt_f32_f16_e32 v3, v2
	v_mov_b32_e32 v6, 0
	v_mov_b32_e32 v7, v6
	s_mov_b64 s[6:7], 0
	v_cvt_f64_f32_e32 v[4:5], v3
	global_store_dwordx4 v[0:1], v[4:7], off
.LBB265_122:
	s_andn2_b64 vcc, exec, s[6:7]
	s_cbranch_vccnz .LBB265_124
; %bb.123:
	v_cvt_f32_f16_e32 v4, v2
	v_mov_b32_e32 v5, 0
	global_store_dwordx2 v[0:1], v[4:5], off
.LBB265_124:
	s_mov_b64 s[6:7], 0
.LBB265_125:
	s_andn2_b64 vcc, exec, s[6:7]
	s_cbranch_vccnz .LBB265_127
; %bb.126:
	global_store_dword v[0:1], v2, off
.LBB265_127:
	s_mov_b64 s[6:7], 0
.LBB265_128:
	s_andn2_b64 vcc, exec, s[6:7]
	s_cbranch_vccnz .LBB265_137
; %bb.129:
	s_cmp_lt_i32 s8, 6
	s_mov_b64 s[6:7], -1
	s_cbranch_scc1 .LBB265_135
; %bb.130:
	s_cmp_gt_i32 s8, 6
	s_cbranch_scc0 .LBB265_132
; %bb.131:
	v_cvt_f32_f16_e32 v3, v2
	s_mov_b64 s[6:7], 0
	v_cvt_f64_f32_e32 v[4:5], v3
	global_store_dwordx2 v[0:1], v[4:5], off
.LBB265_132:
	s_andn2_b64 vcc, exec, s[6:7]
	s_cbranch_vccnz .LBB265_134
; %bb.133:
	v_cvt_f32_f16_e32 v3, v2
	global_store_dword v[0:1], v3, off
.LBB265_134:
	s_mov_b64 s[6:7], 0
.LBB265_135:
	s_andn2_b64 vcc, exec, s[6:7]
	s_cbranch_vccnz .LBB265_137
; %bb.136:
	global_store_short v[0:1], v2, off
.LBB265_137:
	s_mov_b64 s[6:7], 0
.LBB265_138:
	s_andn2_b64 vcc, exec, s[6:7]
	s_cbranch_vccnz .LBB265_154
; %bb.139:
	s_cmp_lt_i32 s8, 2
	s_mov_b64 s[6:7], -1
	s_cbranch_scc1 .LBB265_149
; %bb.140:
	s_cmp_lt_i32 s8, 3
	s_cbranch_scc1 .LBB265_146
; %bb.141:
	s_cmp_gt_i32 s8, 3
	s_cbranch_scc0 .LBB265_143
; %bb.142:
	v_cvt_f32_f16_e32 v3, v2
	s_mov_b64 s[6:7], 0
	v_cvt_i32_f32_e32 v4, v3
	v_ashrrev_i32_e32 v5, 31, v4
	global_store_dwordx2 v[0:1], v[4:5], off
.LBB265_143:
	s_andn2_b64 vcc, exec, s[6:7]
	s_cbranch_vccnz .LBB265_145
; %bb.144:
	v_cvt_f32_f16_e32 v3, v2
	v_cvt_i32_f32_e32 v3, v3
	global_store_dword v[0:1], v3, off
.LBB265_145:
	s_mov_b64 s[6:7], 0
.LBB265_146:
	s_andn2_b64 vcc, exec, s[6:7]
	s_cbranch_vccnz .LBB265_148
; %bb.147:
	v_cvt_i16_f16_e32 v3, v2
	global_store_short v[0:1], v3, off
.LBB265_148:
	s_mov_b64 s[6:7], 0
.LBB265_149:
	s_andn2_b64 vcc, exec, s[6:7]
	s_cbranch_vccnz .LBB265_154
; %bb.150:
	s_cmp_gt_i32 s8, 0
	s_mov_b64 s[6:7], -1
	s_cbranch_scc0 .LBB265_152
; %bb.151:
	v_cvt_i16_f16_e32 v3, v2
	global_store_byte v[0:1], v3, off
	s_mov_b64 s[6:7], 0
.LBB265_152:
	s_andn2_b64 vcc, exec, s[6:7]
	s_cbranch_vccnz .LBB265_154
; %bb.153:
	v_cvt_f32_f16_e32 v2, v2
	v_cvt_i32_f32_e32 v2, v2
	global_store_byte v[0:1], v2, off
.LBB265_154:
.LBB265_155:
	v_add_u32_e32 v8, 0x80, v8
	s_mov_b64 s[6:7], -1
	s_branch .LBB265_266
.LBB265_156:
	s_mov_b64 s[4:5], -1
                                        ; implicit-def: $vgpr1
.LBB265_157:
	s_mov_b64 s[6:7], 0
.LBB265_158:
	s_and_b64 vcc, exec, s[6:7]
	s_cbranch_vccz .LBB265_162
; %bb.159:
	s_cmp_eq_u32 s10, 29
	s_cbranch_scc0 .LBB265_161
; %bb.160:
	global_load_dwordx2 v[4:5], v[2:3], off
	s_mov_b64 s[2:3], -1
	s_mov_b64 s[4:5], 0
	s_mov_b64 s[6:7], 0
	s_waitcnt vmcnt(0)
	v_ffbh_u32_e32 v1, v5
	v_min_u32_e32 v1, 32, v1
	v_lshlrev_b64 v[4:5], v1, v[4:5]
	v_min_u32_e32 v4, 1, v4
	v_or_b32_e32 v4, v5, v4
	v_cvt_f32_u32_e32 v4, v4
	v_sub_u32_e32 v1, 32, v1
	v_ldexp_f32 v1, v4, v1
	v_cvt_f16_f32_e32 v1, v1
	s_branch .LBB265_163
.LBB265_161:
	s_mov_b64 s[4:5], -1
                                        ; implicit-def: $vgpr1
.LBB265_162:
	s_mov_b64 s[6:7], 0
.LBB265_163:
	s_and_b64 vcc, exec, s[6:7]
	s_cbranch_vccz .LBB265_181
; %bb.164:
	s_cmp_lt_i32 s10, 27
	s_cbranch_scc1 .LBB265_167
; %bb.165:
	s_cmp_gt_i32 s10, 27
	s_cbranch_scc0 .LBB265_168
; %bb.166:
	global_load_dword v1, v[2:3], off
	s_mov_b64 s[2:3], 0
	s_waitcnt vmcnt(0)
	v_cvt_f32_u32_e32 v1, v1
	v_cvt_f16_f32_e32 v1, v1
	s_branch .LBB265_169
.LBB265_167:
	s_mov_b64 s[2:3], -1
                                        ; implicit-def: $vgpr1
	s_branch .LBB265_172
.LBB265_168:
	s_mov_b64 s[2:3], -1
                                        ; implicit-def: $vgpr1
.LBB265_169:
	s_andn2_b64 vcc, exec, s[2:3]
	s_cbranch_vccnz .LBB265_171
; %bb.170:
	global_load_ushort v1, v[2:3], off
	s_waitcnt vmcnt(0)
	v_cvt_f16_u16_e32 v1, v1
.LBB265_171:
	s_mov_b64 s[2:3], 0
.LBB265_172:
	s_andn2_b64 vcc, exec, s[2:3]
	s_cbranch_vccnz .LBB265_180
; %bb.173:
	global_load_ubyte v4, v[2:3], off
	s_movk_i32 s2, 0x7f
	s_waitcnt vmcnt(0)
	v_cmp_lt_i16_e32 vcc, s2, v4
	s_mov_b64 s[2:3], 0
	s_and_saveexec_b64 s[6:7], vcc
	s_xor_b64 s[6:7], exec, s[6:7]
	s_cbranch_execz .LBB265_193
; %bb.174:
	s_movk_i32 s2, 0x80
	v_cmp_eq_u16_e32 vcc, s2, v4
	s_mov_b64 s[2:3], -1
	s_and_saveexec_b64 s[8:9], vcc
; %bb.175:
	s_xor_b64 s[2:3], exec, -1
; %bb.176:
	s_or_b64 exec, exec, s[8:9]
	s_and_b64 s[2:3], s[2:3], exec
	s_or_saveexec_b64 s[6:7], s[6:7]
	v_mov_b32_e32 v1, 0x7e00
	s_xor_b64 exec, exec, s[6:7]
	s_cbranch_execnz .LBB265_194
.LBB265_177:
	s_or_b64 exec, exec, s[6:7]
	s_and_saveexec_b64 s[6:7], s[2:3]
	s_cbranch_execz .LBB265_179
.LBB265_178:
	v_lshlrev_b32_e32 v1, 24, v4
	v_and_b32_e32 v4, 0xffff, v4
	v_and_b32_e32 v5, 7, v4
	v_ffbh_u32_e32 v7, v5
	v_min_u32_e32 v7, 32, v7
	v_subrev_u32_e32 v9, 28, v7
	v_bfe_u32 v6, v4, 3, 4
	v_lshlrev_b32_e32 v4, v9, v4
	v_sub_u32_e32 v7, 29, v7
	v_and_b32_e32 v4, 7, v4
	v_cmp_eq_u32_e32 vcc, 0, v6
	v_and_b32_e32 v1, 0x80000000, v1
	s_nop 0
	v_cndmask_b32_e32 v6, v6, v7, vcc
	v_cndmask_b32_e32 v4, v5, v4, vcc
	v_mov_b32_e32 v5, 0x3b800000
	v_lshlrev_b32_e32 v4, 20, v4
	v_lshl_add_u32 v5, v6, 23, v5
	v_or3_b32 v1, v1, v5, v4
	v_cvt_f16_f32_e32 v1, v1
.LBB265_179:
	s_or_b64 exec, exec, s[6:7]
.LBB265_180:
	s_mov_b64 s[2:3], -1
.LBB265_181:
	s_branch .LBB265_216
.LBB265_182:
	s_cmp_gt_i32 s10, 22
	s_cbranch_scc0 .LBB265_192
; %bb.183:
	s_cmp_lt_i32 s10, 24
	s_cbranch_scc1 .LBB265_195
; %bb.184:
	s_cmp_gt_i32 s10, 24
	s_cbranch_scc0 .LBB265_196
; %bb.185:
	global_load_ubyte v4, v[2:3], off
	s_movk_i32 s2, 0x7f
	s_waitcnt vmcnt(0)
	v_cmp_lt_i16_e32 vcc, s2, v4
	s_mov_b64 s[2:3], 0
	s_and_saveexec_b64 s[6:7], vcc
	s_xor_b64 s[6:7], exec, s[6:7]
	s_cbranch_execz .LBB265_208
; %bb.186:
	s_movk_i32 s2, 0x80
	v_cmp_eq_u16_e32 vcc, s2, v4
	s_mov_b64 s[2:3], -1
	s_and_saveexec_b64 s[8:9], vcc
; %bb.187:
	s_xor_b64 s[2:3], exec, -1
; %bb.188:
	s_or_b64 exec, exec, s[8:9]
	s_and_b64 s[2:3], s[2:3], exec
	s_or_saveexec_b64 s[6:7], s[6:7]
	v_mov_b32_e32 v1, 0x7e00
	s_xor_b64 exec, exec, s[6:7]
	s_cbranch_execnz .LBB265_209
.LBB265_189:
	s_or_b64 exec, exec, s[6:7]
	s_and_saveexec_b64 s[6:7], s[2:3]
	s_cbranch_execz .LBB265_191
.LBB265_190:
	v_lshlrev_b32_e32 v1, 24, v4
	v_and_b32_e32 v4, 0xffff, v4
	v_and_b32_e32 v5, 3, v4
	v_ffbh_u32_e32 v7, v5
	v_min_u32_e32 v7, 32, v7
	v_subrev_u32_e32 v9, 29, v7
	v_bfe_u32 v6, v4, 2, 5
	v_lshlrev_b32_e32 v4, v9, v4
	v_sub_u32_e32 v7, 30, v7
	v_and_b32_e32 v4, 3, v4
	v_cmp_eq_u32_e32 vcc, 0, v6
	v_and_b32_e32 v1, 0x80000000, v1
	s_nop 0
	v_cndmask_b32_e32 v6, v6, v7, vcc
	v_cndmask_b32_e32 v4, v5, v4, vcc
	v_mov_b32_e32 v5, 0x37800000
	v_lshlrev_b32_e32 v4, 21, v4
	v_lshl_add_u32 v5, v6, 23, v5
	v_or3_b32 v1, v1, v5, v4
	v_cvt_f16_f32_e32 v1, v1
.LBB265_191:
	s_or_b64 exec, exec, s[6:7]
	s_mov_b64 s[2:3], 0
	s_branch .LBB265_197
.LBB265_192:
	s_mov_b64 s[6:7], -1
                                        ; implicit-def: $vgpr1
	s_branch .LBB265_203
.LBB265_193:
	s_or_saveexec_b64 s[6:7], s[6:7]
	v_mov_b32_e32 v1, 0x7e00
	s_xor_b64 exec, exec, s[6:7]
	s_cbranch_execz .LBB265_177
.LBB265_194:
	v_cmp_ne_u16_e32 vcc, 0, v4
	s_andn2_b64 s[2:3], s[2:3], exec
	s_and_b64 s[8:9], vcc, exec
	s_or_b64 s[2:3], s[2:3], s[8:9]
	v_mov_b32_e32 v1, v4
	s_or_b64 exec, exec, s[6:7]
	s_and_saveexec_b64 s[6:7], s[2:3]
	s_cbranch_execnz .LBB265_178
	s_branch .LBB265_179
.LBB265_195:
	s_mov_b64 s[2:3], -1
                                        ; implicit-def: $vgpr1
	s_branch .LBB265_200
.LBB265_196:
	s_mov_b64 s[2:3], -1
                                        ; implicit-def: $vgpr1
.LBB265_197:
	s_and_b64 vcc, exec, s[2:3]
	s_cbranch_vccz .LBB265_199
; %bb.198:
	global_load_ubyte v1, v[2:3], off
	s_mov_b32 s2, 0x7f800000
	s_waitcnt vmcnt(0)
	v_lshlrev_b32_e32 v1, 24, v1
	v_and_b32_e32 v4, 0x7f000000, v1
	v_ffbh_u32_e32 v5, v4
	v_min_u32_e32 v5, 32, v5
	v_sub_u32_e64 v5, v5, 4 clamp
	v_lshlrev_b32_e32 v7, v5, v4
	v_lshlrev_b32_e32 v5, 23, v5
	v_lshrrev_b32_e32 v7, 4, v7
	v_add_u32_e32 v6, 0x1000000, v4
	v_sub_u32_e32 v5, v7, v5
	v_ashrrev_i32_e32 v6, 8, v6
	v_add_u32_e32 v5, 0x3c000000, v5
	v_and_or_b32 v5, v6, s2, v5
	v_cmp_ne_u32_e32 vcc, 0, v4
	s_brev_b32 s2, 1
	s_nop 0
	v_cndmask_b32_e32 v4, 0, v5, vcc
	v_and_or_b32 v1, v1, s2, v4
	v_cvt_f16_f32_e32 v1, v1
.LBB265_199:
	s_mov_b64 s[2:3], 0
.LBB265_200:
	s_andn2_b64 vcc, exec, s[2:3]
	s_cbranch_vccnz .LBB265_202
; %bb.201:
	global_load_ubyte v1, v[2:3], off
	s_movk_i32 s2, 0x7f00
	s_brev_b32 s3, 16
	s_waitcnt vmcnt(0)
	v_lshlrev_b16_e32 v4, 8, v1
	v_lshlrev_b32_e32 v1, 25, v1
	v_lshrrev_b32_e32 v5, 4, v1
	v_and_or_b32 v6, v4, s2, 0.5
	v_or_b32_e32 v5, 0x70000000, v5
	v_add_f32_e32 v6, -0.5, v6
	v_mul_f32_e32 v5, 0x7800000, v5
	v_cmp_gt_u32_e32 vcc, s3, v1
	v_bfe_i32 v4, v4, 0, 16
	s_brev_b32 s2, 1
	v_cndmask_b32_e32 v1, v5, v6, vcc
	v_and_or_b32 v1, v4, s2, v1
	v_cvt_f16_f32_e32 v1, v1
.LBB265_202:
	s_mov_b64 s[6:7], 0
	s_mov_b64 s[2:3], -1
.LBB265_203:
	s_andn2_b64 vcc, exec, s[6:7]
	s_cbranch_vccnz .LBB265_216
; %bb.204:
	s_cmp_gt_i32 s10, 14
	s_cbranch_scc0 .LBB265_207
; %bb.205:
	s_cmp_eq_u32 s10, 15
	s_cbranch_scc0 .LBB265_210
; %bb.206:
	global_load_ushort v1, v[2:3], off
	s_mov_b64 s[2:3], -1
	s_mov_b64 s[4:5], 0
	s_waitcnt vmcnt(0)
	v_lshlrev_b32_e32 v1, 16, v1
	v_cvt_f16_f32_e32 v1, v1
	s_branch .LBB265_211
.LBB265_207:
	s_mov_b64 s[6:7], -1
                                        ; implicit-def: $vgpr1
	s_branch .LBB265_212
.LBB265_208:
	s_or_saveexec_b64 s[6:7], s[6:7]
	v_mov_b32_e32 v1, 0x7e00
	s_xor_b64 exec, exec, s[6:7]
	s_cbranch_execz .LBB265_189
.LBB265_209:
	v_cmp_ne_u16_e32 vcc, 0, v4
	s_andn2_b64 s[2:3], s[2:3], exec
	s_and_b64 s[8:9], vcc, exec
	s_or_b64 s[2:3], s[2:3], s[8:9]
	v_mov_b32_e32 v1, v4
	s_or_b64 exec, exec, s[6:7]
	s_and_saveexec_b64 s[6:7], s[2:3]
	s_cbranch_execnz .LBB265_190
	s_branch .LBB265_191
.LBB265_210:
	s_mov_b64 s[4:5], -1
                                        ; implicit-def: $vgpr1
.LBB265_211:
	s_mov_b64 s[6:7], 0
.LBB265_212:
	s_and_b64 vcc, exec, s[6:7]
	s_cbranch_vccz .LBB265_216
; %bb.213:
	s_cmp_eq_u32 s10, 11
	s_cbranch_scc0 .LBB265_215
; %bb.214:
	global_load_ubyte v1, v[2:3], off
	v_mov_b32_e32 v4, 0x3c00
	s_mov_b64 s[2:3], -1
	s_mov_b64 s[4:5], 0
	s_waitcnt vmcnt(0)
	v_cmp_ne_u16_e32 vcc, 0, v1
	s_nop 1
	v_cndmask_b32_e32 v1, 0, v4, vcc
	s_branch .LBB265_216
.LBB265_215:
	s_mov_b64 s[4:5], -1
                                        ; implicit-def: $vgpr1
.LBB265_216:
	s_branch .LBB265_25
.LBB265_217:
	s_cmp_lt_i32 s10, 5
	s_cbranch_scc1 .LBB265_222
; %bb.218:
	s_cmp_lt_i32 s10, 8
	s_cbranch_scc1 .LBB265_223
; %bb.219:
	;; [unrolled: 3-line block ×3, first 2 shown]
	s_cmp_gt_i32 s10, 9
	s_cbranch_scc0 .LBB265_225
; %bb.221:
	global_load_dwordx2 v[4:5], v[2:3], off
	s_movk_i32 s2, 0x1ff
	s_movk_i32 s3, 0xffe
	v_mov_b32_e32 v1, 0x7c00
	v_mov_b32_e32 v6, 0x7e00
	s_movk_i32 s6, 0x40f
	s_mov_b32 s7, 0x8000
	s_waitcnt vmcnt(0)
	v_and_or_b32 v4, v5, s2, v4
	v_cmp_ne_u32_e32 vcc, 0, v4
	v_lshrrev_b32_e32 v7, 8, v5
	v_bfe_u32 v9, v5, 20, 11
	v_cndmask_b32_e64 v4, 0, 1, vcc
	v_sub_u32_e32 v10, 0x3f1, v9
	v_and_or_b32 v4, v7, s3, v4
	v_add_u32_e32 v9, 0xfffffc10, v9
	v_med3_i32 v7, v10, 0, 13
	v_or_b32_e32 v10, 0x1000, v4
	v_cmp_ne_u32_e32 vcc, 0, v4
	v_lshl_or_b32 v11, v9, 12, v4
	v_lshrrev_b32_e32 v5, 16, v5
	v_cndmask_b32_e32 v4, v1, v6, vcc
	v_lshrrev_b32_e32 v6, v7, v10
	v_lshlrev_b32_e32 v7, v7, v6
	v_cmp_ne_u32_e32 vcc, v7, v10
	s_mov_b64 s[2:3], 0
	s_nop 0
	v_cndmask_b32_e64 v7, 0, 1, vcc
	v_or_b32_e32 v6, v6, v7
	v_cmp_gt_i32_e32 vcc, 1, v9
	s_nop 1
	v_cndmask_b32_e32 v6, v11, v6, vcc
	v_and_b32_e32 v7, 7, v6
	v_cmp_lt_i32_e32 vcc, 5, v7
	v_lshrrev_b32_e32 v6, 2, v6
	s_nop 0
	v_cndmask_b32_e64 v10, 0, 1, vcc
	v_cmp_eq_u32_e32 vcc, 3, v7
	s_nop 1
	v_cndmask_b32_e64 v7, 0, 1, vcc
	v_or_b32_e32 v7, v7, v10
	v_add_u32_e32 v6, v6, v7
	v_cmp_gt_i32_e32 vcc, 31, v9
	s_nop 1
	v_cndmask_b32_e32 v1, v1, v6, vcc
	v_cmp_eq_u32_e32 vcc, s6, v9
	s_nop 1
	v_cndmask_b32_e32 v1, v1, v4, vcc
	v_and_or_b32 v1, v5, s7, v1
	s_branch .LBB265_226
.LBB265_222:
                                        ; implicit-def: $vgpr1
	s_branch .LBB265_244
.LBB265_223:
	s_mov_b64 s[2:3], -1
                                        ; implicit-def: $vgpr1
	s_branch .LBB265_232
.LBB265_224:
	s_mov_b64 s[2:3], -1
                                        ; implicit-def: $vgpr1
	s_branch .LBB265_229
.LBB265_225:
	s_mov_b64 s[2:3], -1
                                        ; implicit-def: $vgpr1
.LBB265_226:
	s_andn2_b64 vcc, exec, s[2:3]
	s_cbranch_vccnz .LBB265_228
; %bb.227:
	global_load_dword v1, v[2:3], off
	s_waitcnt vmcnt(0)
	v_cvt_f16_f32_e32 v1, v1
.LBB265_228:
	s_mov_b64 s[2:3], 0
.LBB265_229:
	s_andn2_b64 vcc, exec, s[2:3]
	s_cbranch_vccnz .LBB265_231
; %bb.230:
	global_load_dword v1, v[2:3], off
.LBB265_231:
	s_mov_b64 s[2:3], 0
.LBB265_232:
	s_andn2_b64 vcc, exec, s[2:3]
	s_cbranch_vccnz .LBB265_243
; %bb.233:
	s_cmp_lt_i32 s10, 6
	s_cbranch_scc1 .LBB265_236
; %bb.234:
	s_cmp_gt_i32 s10, 6
	s_cbranch_scc0 .LBB265_237
; %bb.235:
	global_load_dwordx2 v[4:5], v[2:3], off
	s_movk_i32 s2, 0x1ff
	s_movk_i32 s3, 0xffe
	s_waitcnt vmcnt(1)
	v_mov_b32_e32 v1, 0x7c00
	v_mov_b32_e32 v6, 0x7e00
	s_movk_i32 s6, 0x40f
	s_mov_b32 s7, 0x8000
	s_waitcnt vmcnt(0)
	v_and_or_b32 v4, v5, s2, v4
	v_cmp_ne_u32_e32 vcc, 0, v4
	v_lshrrev_b32_e32 v7, 8, v5
	v_bfe_u32 v9, v5, 20, 11
	v_cndmask_b32_e64 v4, 0, 1, vcc
	v_sub_u32_e32 v10, 0x3f1, v9
	v_and_or_b32 v4, v7, s3, v4
	v_add_u32_e32 v9, 0xfffffc10, v9
	v_med3_i32 v7, v10, 0, 13
	v_or_b32_e32 v10, 0x1000, v4
	v_cmp_ne_u32_e32 vcc, 0, v4
	v_lshl_or_b32 v11, v9, 12, v4
	v_lshrrev_b32_e32 v5, 16, v5
	v_cndmask_b32_e32 v4, v1, v6, vcc
	v_lshrrev_b32_e32 v6, v7, v10
	v_lshlrev_b32_e32 v7, v7, v6
	v_cmp_ne_u32_e32 vcc, v7, v10
	s_mov_b64 s[2:3], 0
	s_nop 0
	v_cndmask_b32_e64 v7, 0, 1, vcc
	v_or_b32_e32 v6, v6, v7
	v_cmp_gt_i32_e32 vcc, 1, v9
	s_nop 1
	v_cndmask_b32_e32 v6, v11, v6, vcc
	v_and_b32_e32 v7, 7, v6
	v_cmp_lt_i32_e32 vcc, 5, v7
	v_lshrrev_b32_e32 v6, 2, v6
	s_nop 0
	v_cndmask_b32_e64 v10, 0, 1, vcc
	v_cmp_eq_u32_e32 vcc, 3, v7
	s_nop 1
	v_cndmask_b32_e64 v7, 0, 1, vcc
	v_or_b32_e32 v7, v7, v10
	v_add_u32_e32 v6, v6, v7
	v_cmp_gt_i32_e32 vcc, 31, v9
	s_nop 1
	v_cndmask_b32_e32 v1, v1, v6, vcc
	v_cmp_eq_u32_e32 vcc, s6, v9
	s_nop 1
	v_cndmask_b32_e32 v1, v1, v4, vcc
	v_and_or_b32 v1, v5, s7, v1
	s_branch .LBB265_238
.LBB265_236:
	s_mov_b64 s[2:3], -1
                                        ; implicit-def: $vgpr1
	s_branch .LBB265_241
.LBB265_237:
	s_mov_b64 s[2:3], -1
                                        ; implicit-def: $vgpr1
.LBB265_238:
	s_andn2_b64 vcc, exec, s[2:3]
	s_cbranch_vccnz .LBB265_240
; %bb.239:
	global_load_dword v1, v[2:3], off
	s_waitcnt vmcnt(0)
	v_cvt_f16_f32_e32 v1, v1
.LBB265_240:
	s_mov_b64 s[2:3], 0
.LBB265_241:
	s_andn2_b64 vcc, exec, s[2:3]
	s_cbranch_vccnz .LBB265_243
; %bb.242:
	global_load_ushort v1, v[2:3], off
.LBB265_243:
	s_cbranch_execnz .LBB265_263
.LBB265_244:
	s_cmp_lt_i32 s10, 2
	s_cbranch_scc1 .LBB265_248
; %bb.245:
	s_cmp_lt_i32 s10, 3
	s_cbranch_scc1 .LBB265_249
; %bb.246:
	s_cmp_gt_i32 s10, 3
	s_cbranch_scc0 .LBB265_250
; %bb.247:
	global_load_dwordx2 v[4:5], v[2:3], off
	s_mov_b64 s[2:3], 0
	s_waitcnt vmcnt(0)
	v_xor_b32_e32 v6, v4, v5
	v_ffbh_i32_e32 v1, v5
	v_ashrrev_i32_e32 v6, 31, v6
	v_add_u32_e32 v1, -1, v1
	v_add_u32_e32 v6, 32, v6
	v_min_u32_e32 v1, v1, v6
	v_lshlrev_b64 v[4:5], v1, v[4:5]
	v_min_u32_e32 v4, 1, v4
	v_or_b32_e32 v4, v5, v4
	v_cvt_f32_i32_e32 v4, v4
	v_sub_u32_e32 v1, 32, v1
	v_ldexp_f32 v1, v4, v1
	v_cvt_f16_f32_e32 v1, v1
	s_branch .LBB265_251
.LBB265_248:
	s_mov_b64 s[2:3], -1
                                        ; implicit-def: $vgpr1
	s_branch .LBB265_257
.LBB265_249:
	s_mov_b64 s[2:3], -1
                                        ; implicit-def: $vgpr1
	s_branch .LBB265_254
.LBB265_250:
	s_mov_b64 s[2:3], -1
                                        ; implicit-def: $vgpr1
.LBB265_251:
	s_andn2_b64 vcc, exec, s[2:3]
	s_cbranch_vccnz .LBB265_253
; %bb.252:
	global_load_dword v1, v[2:3], off
	s_waitcnt vmcnt(0)
	v_cvt_f32_i32_e32 v1, v1
	v_cvt_f16_f32_e32 v1, v1
.LBB265_253:
	s_mov_b64 s[2:3], 0
.LBB265_254:
	s_andn2_b64 vcc, exec, s[2:3]
	s_cbranch_vccnz .LBB265_256
; %bb.255:
	global_load_ushort v1, v[2:3], off
	s_waitcnt vmcnt(0)
	v_cvt_f16_i16_e32 v1, v1
.LBB265_256:
	s_mov_b64 s[2:3], 0
.LBB265_257:
	s_andn2_b64 vcc, exec, s[2:3]
	s_cbranch_vccnz .LBB265_263
; %bb.258:
	s_cmp_gt_i32 s10, 0
	s_cbranch_scc0 .LBB265_260
; %bb.259:
	global_load_sbyte v1, v[2:3], off
	s_mov_b64 s[2:3], 0
	s_waitcnt vmcnt(0)
	v_cvt_f16_i16_e32 v1, v1
	s_branch .LBB265_261
.LBB265_260:
	s_mov_b64 s[2:3], -1
                                        ; implicit-def: $vgpr1
.LBB265_261:
	s_andn2_b64 vcc, exec, s[2:3]
	s_cbranch_vccnz .LBB265_263
; %bb.262:
	global_load_ubyte v1, v[2:3], off
	s_waitcnt vmcnt(0)
	v_cvt_f16_u16_e32 v1, v1
.LBB265_263:
	s_branch .LBB265_26
.LBB265_264:
	s_mov_b64 s[2:3], 0
.LBB265_265:
	s_mov_b64 s[6:7], 0
                                        ; implicit-def: $vgpr8
.LBB265_266:
	s_and_b64 s[54:55], s[2:3], exec
	s_and_b64 s[56:57], s[4:5], exec
	s_orn2_b64 s[4:5], s[6:7], exec
.LBB265_267:
	s_or_b64 exec, exec, s[58:59]
	s_mov_b64 s[8:9], 0
	s_mov_b64 s[2:3], 0
                                        ; implicit-def: $vgpr2_vgpr3
                                        ; implicit-def: $vgpr0
                                        ; implicit-def: $vgpr1
	s_and_saveexec_b64 s[58:59], s[4:5]
	s_cbranch_execz .LBB265_275
; %bb.268:
	v_cmp_gt_i32_e32 vcc, s70, v8
	s_mov_b64 s[2:3], -1
	s_mov_b64 s[60:61], s[56:57]
	s_mov_b64 s[62:63], s[54:55]
	s_and_saveexec_b64 s[64:65], vcc
	s_cbranch_execz .LBB265_544
; %bb.269:
	s_andn2_b64 vcc, exec, s[42:43]
	s_cbranch_vccnz .LBB265_278
; %bb.270:
	s_andn2_b64 vcc, exec, s[52:53]
	s_cbranch_vccnz .LBB265_279
; %bb.271:
	s_add_i32 s63, s75, 1
	s_cmp_eq_u32 s72, 2
	s_cbranch_scc1 .LBB265_280
; %bb.272:
	s_and_b32 s62, s63, 28
	s_mov_b32 s66, 0
	v_mov_b32_e32 v0, 0
	v_mov_b32_e32 v2, 0
	s_mov_b64 s[2:3], s[34:35]
	s_mov_b64 s[60:61], s[50:51]
	v_mov_b32_e32 v4, v8
.LBB265_273:                            ; =>This Inner Loop Header: Depth=1
	s_load_dwordx8 s[12:19], s[2:3], 0x4
	s_load_dwordx4 s[36:39], s[2:3], 0x24
	s_load_dwordx8 s[4:11], s[60:61], 0x0
	s_add_u32 s2, s2, 48
	s_addc_u32 s3, s3, 0
	s_waitcnt vmcnt(0) lgkmcnt(0)
	v_mul_hi_u32 v1, s13, v4
	v_add_u32_e32 v1, v4, v1
	v_lshrrev_b32_e32 v1, s14, v1
	v_mul_lo_u32 v3, v1, s12
	v_mul_hi_u32 v5, s16, v1
	v_sub_u32_e32 v3, v4, v3
	v_add_u32_e32 v4, v1, v5
	v_lshrrev_b32_e32 v4, s17, v4
	v_mul_lo_u32 v6, v4, s15
	v_mul_hi_u32 v7, s19, v4
	v_sub_u32_e32 v1, v1, v6
	v_add_u32_e32 v6, v4, v7
	v_mul_lo_u32 v5, v3, s5
	v_mul_lo_u32 v3, v3, s4
	;; [unrolled: 1-line block ×4, first 2 shown]
	v_lshrrev_b32_e32 v6, s36, v6
	v_add3_u32 v0, v3, v0, v1
	v_mul_hi_u32 v3, s38, v6
	v_add3_u32 v1, v5, v2, v7
	v_mul_lo_u32 v2, v6, s18
	v_add_u32_e32 v3, v6, v3
	v_sub_u32_e32 v2, v4, v2
	v_lshrrev_b32_e32 v4, s39, v3
	s_add_i32 s66, s66, 4
	v_mul_lo_u32 v3, v4, s37
	s_add_u32 s60, s60, 32
	v_sub_u32_e32 v3, v6, v3
	s_addc_u32 s61, s61, 0
	v_mul_lo_u32 v5, v2, s8
	v_mul_lo_u32 v2, v2, s9
	;; [unrolled: 1-line block ×4, first 2 shown]
	s_cmp_eq_u32 s62, s66
	v_add3_u32 v2, v2, v1, v3
	v_add3_u32 v0, v5, v0, v6
	s_cbranch_scc0 .LBB265_273
; %bb.274:
	v_mov_b32_e32 v1, v2
	s_branch .LBB265_281
.LBB265_275:
	s_or_b64 exec, exec, s[58:59]
	s_mov_b64 s[4:5], 0
	s_and_saveexec_b64 s[6:7], s[56:57]
	s_cbranch_execnz .LBB265_922
.LBB265_276:
	s_or_b64 exec, exec, s[6:7]
	s_and_saveexec_b64 s[6:7], s[62:63]
	s_xor_b64 s[6:7], exec, s[6:7]
	s_cbranch_execz .LBB265_923
.LBB265_277:
	global_load_ubyte v1, v[2:3], off
	v_mov_b32_e32 v4, 0x3c00
	s_or_b64 s[2:3], s[2:3], exec
	s_waitcnt vmcnt(0)
	v_cmp_ne_u16_e32 vcc, 0, v1
	s_nop 1
	v_cndmask_b32_e32 v1, 0, v4, vcc
	s_or_b64 exec, exec, s[6:7]
	s_and_saveexec_b64 s[6:7], s[8:9]
	s_cbranch_execz .LBB265_969
	s_branch .LBB265_924
.LBB265_278:
                                        ; implicit-def: $vgpr2
                                        ; implicit-def: $vgpr0
	s_andn2_b64 vcc, exec, s[2:3]
	s_cbranch_vccz .LBB265_285
	s_branch .LBB265_287
.LBB265_279:
	v_mov_b32_e32 v2, 0
	v_mov_b32_e32 v0, 0
	s_branch .LBB265_284
.LBB265_280:
	v_mov_b32_e32 v0, 0
	s_mov_b32 s62, 0
	s_waitcnt vmcnt(0)
	v_mov_b32_e32 v1, v0
                                        ; implicit-def: $vgpr2
	v_mov_b32_e32 v4, v8
.LBB265_281:
	s_and_b32 s6, s63, 3
	s_cmp_eq_u32 s6, 0
	s_cbranch_scc1 .LBB265_284
; %bb.282:
	s_lshl_b32 s2, s62, 3
	s_add_u32 s2, s34, s2
	s_addc_u32 s3, s35, 0
	s_add_u32 s2, s2, 0xc4
	s_addc_u32 s3, s3, 0
	s_mul_i32 s4, s62, 12
	s_add_u32 s4, s34, s4
	s_addc_u32 s5, s35, 0
.LBB265_283:                            ; =>This Inner Loop Header: Depth=1
	s_load_dwordx2 s[8:9], s[4:5], 0x4
	s_load_dword s7, s[4:5], 0xc
	s_load_dwordx2 s[10:11], s[2:3], 0x0
	v_mov_b32_e32 v2, v1
	s_add_u32 s4, s4, 12
	s_waitcnt lgkmcnt(0)
	v_mul_hi_u32 v1, s9, v4
	v_add_u32_e32 v1, v4, v1
	v_lshrrev_b32_e32 v1, s7, v1
	s_addc_u32 s5, s5, 0
	v_mul_lo_u32 v3, v1, s8
	s_add_u32 s2, s2, 8
	v_sub_u32_e32 v5, v4, v3
	s_addc_u32 s3, s3, 0
	s_add_i32 s6, s6, -1
	v_mov_b32_e32 v4, v1
	v_mad_u64_u32 v[2:3], s[8:9], v5, s11, v[2:3]
	v_mad_u64_u32 v[0:1], s[8:9], v5, s10, v[0:1]
	s_cmp_lg_u32 s6, 0
	v_mov_b32_e32 v1, v2
	s_cbranch_scc1 .LBB265_283
.LBB265_284:
	s_cbranch_execnz .LBB265_287
.LBB265_285:
	s_waitcnt lgkmcnt(0)
	v_mul_hi_u32 v0, s29, v8
	v_add_u32_e32 v0, v8, v0
	s_waitcnt vmcnt(0)
	v_lshrrev_b32_e32 v1, s30, v0
	v_mul_lo_u32 v0, v1, s28
	v_sub_u32_e32 v0, v8, v0
	v_mul_lo_u32 v2, v0, s25
	s_andn2_b64 vcc, exec, s[48:49]
	v_mul_lo_u32 v0, v0, s24
	s_cbranch_vccnz .LBB265_287
; %bb.286:
	v_mul_hi_u32 v3, s46, v1
	v_add_u32_e32 v3, v1, v3
	v_lshrrev_b32_e32 v3, s47, v3
	v_mul_lo_u32 v3, v3, s31
	v_sub_u32_e32 v3, v1, v3
	v_mad_u64_u32 v[0:1], s[2:3], v3, s26, v[0:1]
	v_mad_u64_u32 v[2:3], s[2:3], v3, s27, v[2:3]
.LBB265_287:
	v_mov_b32_e32 v3, 0
	s_and_b32 s10, 0xffff, s74
	s_cmp_lt_i32 s10, 11
	s_waitcnt lgkmcnt(0)
	v_lshl_add_u64 v[2:3], s[22:23], 0, v[2:3]
	s_cbranch_scc1 .LBB265_294
; %bb.288:
	s_cmp_gt_i32 s10, 25
	s_cbranch_scc0 .LBB265_303
; %bb.289:
	s_cmp_gt_i32 s10, 28
	s_cbranch_scc0 .LBB265_305
	;; [unrolled: 3-line block ×4, first 2 shown]
; %bb.292:
	s_cmp_eq_u32 s10, 46
	s_mov_b64 s[6:7], 0
	s_cbranch_scc0 .LBB265_315
; %bb.293:
	global_load_dword v1, v[2:3], off
	s_mov_b64 s[2:3], -1
	s_mov_b64 s[4:5], 0
	s_waitcnt vmcnt(0)
	v_lshlrev_b32_e32 v1, 16, v1
	v_cvt_f16_f32_e32 v1, v1
	s_branch .LBB265_316
.LBB265_294:
	s_mov_b64 s[2:3], 0
                                        ; implicit-def: $vgpr1
	s_mov_b64 s[4:5], s[56:57]
	s_cbranch_execnz .LBB265_493
.LBB265_295:
	s_andn2_b64 vcc, exec, s[2:3]
	s_cbranch_vccnz .LBB265_541
.LBB265_296:
	s_waitcnt vmcnt(0)
	v_cvt_f32_f16_e32 v1, v1
	s_mov_b32 s2, 0xf800000
	v_mov_b32_e32 v3, 0x260
	s_and_b32 s12, s73, 0xff
	v_mul_f32_e32 v2, 0x4f800000, v1
	v_cmp_gt_f32_e32 vcc, s2, v1
	s_cmp_lt_i32 s12, 11
	s_nop 0
	v_cndmask_b32_e32 v1, v1, v2, vcc
	v_rsq_f32_e32 v2, v1
	s_nop 0
	v_mul_f32_e32 v4, v1, v2
	v_mul_f32_e32 v2, 0.5, v2
	v_fma_f32 v5, -v2, v4, 0.5
	v_fmac_f32_e32 v4, v4, v5
	v_fmac_f32_e32 v2, v2, v5
	v_fma_f32 v5, -v4, v4, v1
	v_fmac_f32_e32 v4, v5, v2
	v_mul_f32_e32 v2, 0x37800000, v4
	v_cndmask_b32_e32 v2, v4, v2, vcc
	v_cmp_class_f32_e32 vcc, v1, v3
	s_nop 1
	v_cndmask_b32_e32 v1, v2, v1, vcc
	v_cvt_f16_f32_e32 v2, v1
	v_mov_b32_e32 v1, 0
	v_lshl_add_u64 v[0:1], s[20:21], 0, v[0:1]
	s_cbranch_scc1 .LBB265_304
; %bb.297:
	s_and_b32 s13, 0xffff, s12
	s_cmp_gt_i32 s13, 25
	s_cbranch_scc0 .LBB265_306
; %bb.298:
	s_cmp_gt_i32 s13, 28
	s_cbranch_scc0 .LBB265_308
; %bb.299:
	;; [unrolled: 3-line block ×4, first 2 shown]
	s_mov_b64 s[8:9], 0
	s_mov_b64 s[2:3], -1
	s_cmp_eq_u32 s13, 46
	s_mov_b64 s[6:7], 0
	s_cbranch_scc0 .LBB265_320
; %bb.302:
	v_cvt_f32_f16_e32 v3, v2
	s_movk_i32 s2, 0x7fff
	v_cmp_o_f16_e32 vcc, v2, v2
	v_mov_b32_e32 v4, 0x7fc0
	v_bfe_u32 v5, v3, 16, 1
	v_add3_u32 v3, v3, v5, s2
	v_cndmask_b32_sdwa v3, v4, v3, vcc dst_sel:DWORD dst_unused:UNUSED_PAD src0_sel:DWORD src1_sel:WORD_1
	global_store_dword v[0:1], v3, off
	s_mov_b64 s[6:7], -1
	s_mov_b64 s[2:3], 0
	s_branch .LBB265_320
.LBB265_303:
	s_mov_b64 s[6:7], -1
	s_mov_b64 s[2:3], 0
	s_mov_b64 s[4:5], s[56:57]
                                        ; implicit-def: $vgpr1
	s_branch .LBB265_457
.LBB265_304:
	s_mov_b64 s[8:9], -1
	s_mov_b64 s[6:7], 0
	s_mov_b64 s[2:3], s[54:55]
	s_branch .LBB265_389
.LBB265_305:
	s_mov_b64 s[6:7], -1
	s_mov_b64 s[2:3], 0
	s_mov_b64 s[4:5], s[56:57]
                                        ; implicit-def: $vgpr1
	s_branch .LBB265_438
.LBB265_306:
	s_mov_b64 s[8:9], -1
	s_mov_b64 s[6:7], 0
	s_mov_b64 s[2:3], s[54:55]
	s_branch .LBB265_347
.LBB265_307:
	s_mov_b64 s[6:7], -1
	s_mov_b64 s[2:3], 0
	s_mov_b64 s[4:5], s[56:57]
                                        ; implicit-def: $vgpr1
	s_branch .LBB265_433
.LBB265_308:
	s_mov_b64 s[8:9], -1
	s_mov_b64 s[6:7], 0
	s_mov_b64 s[2:3], s[54:55]
	s_branch .LBB265_330
.LBB265_309:
	s_andn2_saveexec_b64 s[10:11], s[10:11]
	s_cbranch_execz .LBB265_69
.LBB265_310:
	s_mov_b32 s14, 0x46000000
	v_add_f32_e64 v4, |v3|, s14
	v_and_b32_e32 v4, 0xff, v4
	v_cmp_ne_u32_e32 vcc, 0, v4
	s_andn2_b64 s[8:9], s[8:9], exec
	s_and_b64 s[14:15], vcc, exec
	s_or_b64 s[8:9], s[8:9], s[14:15]
	s_or_b64 exec, exec, s[10:11]
	v_mov_b32_e32 v5, 0
	s_and_saveexec_b64 s[10:11], s[8:9]
	s_cbranch_execnz .LBB265_70
	s_branch .LBB265_71
.LBB265_311:
	s_mov_b64 s[6:7], -1
	s_mov_b64 s[2:3], 0
	s_mov_b64 s[4:5], s[56:57]
                                        ; implicit-def: $vgpr1
	s_branch .LBB265_316
.LBB265_312:
	s_mov_b64 s[8:9], -1
	s_mov_b64 s[6:7], 0
	s_mov_b64 s[2:3], s[54:55]
	s_branch .LBB265_326
.LBB265_313:
	s_andn2_saveexec_b64 s[10:11], s[10:11]
	s_cbranch_execz .LBB265_82
.LBB265_314:
	s_mov_b32 s14, 0x42800000
	v_add_f32_e64 v4, |v3|, s14
	v_and_b32_e32 v4, 0xff, v4
	v_cmp_ne_u32_e32 vcc, 0, v4
	s_andn2_b64 s[8:9], s[8:9], exec
	s_and_b64 s[14:15], vcc, exec
	s_or_b64 s[8:9], s[8:9], s[14:15]
	s_or_b64 exec, exec, s[10:11]
	v_mov_b32_e32 v5, 0
	s_and_saveexec_b64 s[10:11], s[8:9]
	s_cbranch_execnz .LBB265_83
	s_branch .LBB265_84
.LBB265_315:
	s_mov_b64 s[4:5], -1
                                        ; implicit-def: $vgpr1
	s_mov_b64 s[2:3], 0
.LBB265_316:
	s_and_b64 vcc, exec, s[6:7]
	s_cbranch_vccz .LBB265_432
; %bb.317:
	s_cmp_eq_u32 s10, 44
	s_cbranch_scc0 .LBB265_431
; %bb.318:
	global_load_ubyte v1, v[2:3], off
	s_movk_i32 s4, 0xff
	v_mov_b32_e32 v5, 0x7e00
	s_mov_b64 s[2:3], -1
	s_waitcnt vmcnt(0)
	v_lshlrev_b32_e32 v4, 23, v1
	v_cvt_f16_f32_e32 v4, v4
	v_cmp_ne_u32_e32 vcc, s4, v1
	s_mov_b64 s[4:5], 0
	s_nop 0
	v_cndmask_b32_e32 v4, v5, v4, vcc
	v_cmp_ne_u32_e32 vcc, 0, v1
	s_nop 1
	v_cndmask_b32_e32 v1, 0, v4, vcc
	s_branch .LBB265_432
.LBB265_319:
	s_mov_b64 s[8:9], -1
	s_mov_b64 s[6:7], 0
	s_mov_b64 s[2:3], s[54:55]
.LBB265_320:
	s_and_b64 vcc, exec, s[8:9]
	s_cbranch_vccz .LBB265_325
; %bb.321:
	s_cmp_eq_u32 s13, 44
	s_mov_b64 s[2:3], -1
	s_cbranch_scc0 .LBB265_325
; %bb.322:
	v_cvt_f32_f16_e32 v3, v2
	s_movk_i32 s2, 0xff
	v_mov_b32_e32 v5, 0xff
	v_bfe_u32 v4, v3, 23, 8
	v_cmp_ne_u32_e32 vcc, s2, v4
	s_and_saveexec_b64 s[6:7], vcc
; %bb.323:
	s_mov_b32 s2, 0x3fffff
	v_lshrrev_b32_e32 v5, 23, v3
	v_and_b32_e32 v6, 0x400000, v3
	v_and_or_b32 v3, v3, s2, v4
	v_cmp_ne_u32_e32 vcc, 0, v6
	v_cmp_ne_u32_e64 s[2:3], 0, v3
	s_and_b64 s[2:3], vcc, s[2:3]
	s_nop 0
	v_cndmask_b32_e64 v3, 0, 1, s[2:3]
	v_add_u32_e32 v5, v5, v3
; %bb.324:
	s_or_b64 exec, exec, s[6:7]
	s_mov_b64 s[6:7], -1
	s_mov_b64 s[2:3], 0
	global_store_byte v[0:1], v5, off
.LBB265_325:
	s_mov_b64 s[8:9], 0
.LBB265_326:
	s_and_b64 vcc, exec, s[8:9]
	s_cbranch_vccz .LBB265_329
; %bb.327:
	s_cmp_eq_u32 s13, 29
	s_mov_b64 s[2:3], -1
	s_cbranch_scc0 .LBB265_329
; %bb.328:
	v_cvt_f32_f16_e32 v3, v2
	v_mov_b32_e32 v5, 0
	s_mov_b64 s[6:7], -1
	s_mov_b64 s[2:3], 0
	v_cvt_u32_f32_e32 v4, v3
	s_mov_b64 s[8:9], 0
	global_store_dwordx2 v[0:1], v[4:5], off
	s_branch .LBB265_330
.LBB265_329:
	s_mov_b64 s[8:9], 0
.LBB265_330:
	s_and_b64 vcc, exec, s[8:9]
	s_cbranch_vccz .LBB265_346
; %bb.331:
	s_cmp_lt_i32 s13, 27
	s_mov_b64 s[6:7], -1
	s_cbranch_scc1 .LBB265_337
; %bb.332:
	s_cmp_gt_i32 s13, 27
	s_cbranch_scc0 .LBB265_334
; %bb.333:
	v_cvt_f32_f16_e32 v3, v2
	s_mov_b64 s[6:7], 0
	v_cvt_u32_f32_e32 v3, v3
	global_store_dword v[0:1], v3, off
.LBB265_334:
	s_andn2_b64 vcc, exec, s[6:7]
	s_cbranch_vccnz .LBB265_336
; %bb.335:
	v_cvt_u16_f16_e32 v3, v2
	global_store_short v[0:1], v3, off
.LBB265_336:
	s_mov_b64 s[6:7], 0
.LBB265_337:
	s_andn2_b64 vcc, exec, s[6:7]
	s_cbranch_vccnz .LBB265_345
; %bb.338:
	v_cvt_f32_f16_e32 v3, v2
	s_mov_b32 s6, 0x43800000
	v_mov_b32_e32 v5, 0x80
	v_and_b32_e32 v4, 0x7fffffff, v3
	v_cmp_gt_u32_e32 vcc, s6, v4
	s_and_saveexec_b64 s[6:7], vcc
	s_cbranch_execz .LBB265_344
; %bb.339:
	s_mov_b32 s8, 0x3bffffff
	v_cmp_lt_u32_e32 vcc, s8, v4
	s_mov_b64 s[8:9], 0
                                        ; implicit-def: $vgpr4
	s_and_saveexec_b64 s[10:11], vcc
	s_xor_b64 s[10:11], exec, s[10:11]
	s_cbranch_execz .LBB265_573
; %bb.340:
	v_bfe_u32 v4, v3, 20, 1
	s_mov_b32 s14, 0x487ffff
	v_add3_u32 v4, v3, v4, s14
	s_mov_b64 s[8:9], exec
	v_lshrrev_b32_e32 v4, 20, v4
	s_andn2_saveexec_b64 s[10:11], s[10:11]
	s_cbranch_execnz .LBB265_574
.LBB265_341:
	s_or_b64 exec, exec, s[10:11]
	v_mov_b32_e32 v5, 0
	s_and_saveexec_b64 s[10:11], s[8:9]
.LBB265_342:
	v_lshrrev_b32_e32 v3, 24, v3
	s_movk_i32 s8, 0x80
	v_and_or_b32 v5, v3, s8, v4
.LBB265_343:
	s_or_b64 exec, exec, s[10:11]
.LBB265_344:
	s_or_b64 exec, exec, s[6:7]
	global_store_byte v[0:1], v5, off
.LBB265_345:
	s_mov_b64 s[6:7], -1
.LBB265_346:
	s_mov_b64 s[8:9], 0
.LBB265_347:
	s_and_b64 vcc, exec, s[8:9]
	s_cbranch_vccz .LBB265_388
; %bb.348:
	s_cmp_gt_i32 s13, 22
	s_mov_b64 s[8:9], -1
	s_cbranch_scc0 .LBB265_380
; %bb.349:
	s_cmp_lt_i32 s13, 24
	s_mov_b64 s[6:7], -1
	s_cbranch_scc1 .LBB265_369
; %bb.350:
	s_cmp_gt_i32 s13, 24
	s_cbranch_scc0 .LBB265_358
; %bb.351:
	v_cvt_f32_f16_e32 v3, v2
	s_mov_b32 s6, 0x47800000
	v_mov_b32_e32 v5, 0x80
	v_and_b32_e32 v4, 0x7fffffff, v3
	v_cmp_gt_u32_e32 vcc, s6, v4
	s_and_saveexec_b64 s[6:7], vcc
	s_cbranch_execz .LBB265_357
; %bb.352:
	s_mov_b32 s8, 0x37ffffff
	v_cmp_lt_u32_e32 vcc, s8, v4
	s_mov_b64 s[8:9], 0
                                        ; implicit-def: $vgpr4
	s_and_saveexec_b64 s[10:11], vcc
	s_xor_b64 s[10:11], exec, s[10:11]
	s_cbranch_execz .LBB265_576
; %bb.353:
	v_bfe_u32 v4, v3, 21, 1
	s_mov_b32 s14, 0x88fffff
	v_add3_u32 v4, v3, v4, s14
	s_mov_b64 s[8:9], exec
	v_lshrrev_b32_e32 v4, 21, v4
	s_andn2_saveexec_b64 s[10:11], s[10:11]
	s_cbranch_execnz .LBB265_577
.LBB265_354:
	s_or_b64 exec, exec, s[10:11]
	v_mov_b32_e32 v5, 0
	s_and_saveexec_b64 s[10:11], s[8:9]
.LBB265_355:
	v_lshrrev_b32_e32 v3, 24, v3
	s_movk_i32 s8, 0x80
	v_and_or_b32 v5, v3, s8, v4
.LBB265_356:
	s_or_b64 exec, exec, s[10:11]
.LBB265_357:
	s_or_b64 exec, exec, s[6:7]
	s_mov_b64 s[6:7], 0
	global_store_byte v[0:1], v5, off
.LBB265_358:
	s_and_b64 vcc, exec, s[6:7]
	s_cbranch_vccz .LBB265_368
; %bb.359:
	v_cvt_f32_f16_e32 v3, v2
	s_mov_b32 s6, 0x43f00000
                                        ; implicit-def: $vgpr4
	v_and_b32_e32 v5, 0x7fffffff, v3
	v_cmp_gt_u32_e32 vcc, s6, v5
	s_and_saveexec_b64 s[6:7], vcc
	s_xor_b64 s[6:7], exec, s[6:7]
	s_cbranch_execz .LBB265_365
; %bb.360:
	s_mov_b32 s8, 0x3c7fffff
	v_cmp_lt_u32_e32 vcc, s8, v5
                                        ; implicit-def: $vgpr4
	s_and_saveexec_b64 s[8:9], vcc
	s_xor_b64 s[8:9], exec, s[8:9]
; %bb.361:
	v_bfe_u32 v4, v3, 20, 1
	s_mov_b32 s10, 0x407ffff
	v_add3_u32 v4, v3, v4, s10
	v_lshrrev_b32_e32 v5, 20, v4
	v_and_b32_e32 v4, 0xff00000, v4
	s_mov_b32 s10, 0x7f00000
	v_mov_b32_e32 v6, 0x7e
	v_cmp_ne_u32_e32 vcc, s10, v4
	s_nop 1
	v_cndmask_b32_e32 v4, v6, v5, vcc
; %bb.362:
	s_andn2_saveexec_b64 s[8:9], s[8:9]
; %bb.363:
	s_mov_b32 s10, 0x46800000
	v_add_f32_e64 v4, |v3|, s10
; %bb.364:
	s_or_b64 exec, exec, s[8:9]
                                        ; implicit-def: $vgpr5
.LBB265_365:
	s_andn2_saveexec_b64 s[6:7], s[6:7]
; %bb.366:
	s_mov_b32 s8, 0x7f800000
	v_mov_b32_e32 v4, 0x7e
	v_mov_b32_e32 v6, 0x7f
	v_cmp_lt_u32_e32 vcc, s8, v5
	s_nop 1
	v_cndmask_b32_e32 v4, v4, v6, vcc
; %bb.367:
	s_or_b64 exec, exec, s[6:7]
	v_lshrrev_b32_e32 v3, 24, v3
	s_movk_i32 s6, 0x80
	v_and_or_b32 v3, v3, s6, v4
	global_store_byte v[0:1], v3, off
.LBB265_368:
	s_mov_b64 s[6:7], 0
.LBB265_369:
	s_andn2_b64 vcc, exec, s[6:7]
	s_cbranch_vccnz .LBB265_379
; %bb.370:
	v_cvt_f32_f16_e32 v3, v2
	s_mov_b32 s6, 0x47800000
                                        ; implicit-def: $vgpr4
	v_and_b32_e32 v5, 0x7fffffff, v3
	v_cmp_gt_u32_e32 vcc, s6, v5
	s_and_saveexec_b64 s[6:7], vcc
	s_xor_b64 s[6:7], exec, s[6:7]
	s_cbranch_execz .LBB265_376
; %bb.371:
	s_mov_b32 s8, 0x387fffff
	v_cmp_lt_u32_e32 vcc, s8, v5
                                        ; implicit-def: $vgpr4
	s_and_saveexec_b64 s[8:9], vcc
	s_xor_b64 s[8:9], exec, s[8:9]
; %bb.372:
	v_bfe_u32 v4, v3, 21, 1
	s_mov_b32 s10, 0x80fffff
	v_add3_u32 v4, v3, v4, s10
	v_lshrrev_b32_e32 v4, 21, v4
; %bb.373:
	s_andn2_saveexec_b64 s[8:9], s[8:9]
; %bb.374:
	s_mov_b32 s10, 0x43000000
	v_add_f32_e64 v4, |v3|, s10
; %bb.375:
	s_or_b64 exec, exec, s[8:9]
                                        ; implicit-def: $vgpr5
.LBB265_376:
	s_andn2_saveexec_b64 s[6:7], s[6:7]
; %bb.377:
	s_mov_b32 s8, 0x7f800000
	v_mov_b32_e32 v4, 0x7c
	v_mov_b32_e32 v6, 0x7f
	v_cmp_lt_u32_e32 vcc, s8, v5
	s_nop 1
	v_cndmask_b32_e32 v4, v4, v6, vcc
; %bb.378:
	s_or_b64 exec, exec, s[6:7]
	v_lshrrev_b32_e32 v3, 24, v3
	s_movk_i32 s6, 0x80
	v_and_or_b32 v3, v3, s6, v4
	global_store_byte v[0:1], v3, off
.LBB265_379:
	s_mov_b64 s[8:9], 0
	s_mov_b64 s[6:7], -1
.LBB265_380:
	s_andn2_b64 vcc, exec, s[8:9]
	s_cbranch_vccnz .LBB265_388
; %bb.381:
	s_cmp_gt_i32 s13, 14
	s_mov_b64 s[8:9], -1
	s_cbranch_scc0 .LBB265_385
; %bb.382:
	s_cmp_eq_u32 s13, 15
	s_mov_b64 s[2:3], -1
	s_cbranch_scc0 .LBB265_384
; %bb.383:
	v_cvt_f32_f16_e32 v3, v2
	s_movk_i32 s2, 0x7fff
	v_cmp_o_f16_e32 vcc, v2, v2
	v_mov_b32_e32 v4, 0x7fc0
	v_bfe_u32 v5, v3, 16, 1
	v_add3_u32 v3, v3, v5, s2
	v_cndmask_b32_sdwa v3, v4, v3, vcc dst_sel:DWORD dst_unused:UNUSED_PAD src0_sel:DWORD src1_sel:WORD_1
	global_store_short v[0:1], v3, off
	s_mov_b64 s[6:7], -1
	s_mov_b64 s[2:3], 0
.LBB265_384:
	s_mov_b64 s[8:9], 0
.LBB265_385:
	s_and_b64 vcc, exec, s[8:9]
	s_cbranch_vccz .LBB265_388
; %bb.386:
	s_cmp_eq_u32 s13, 11
	s_mov_b64 s[2:3], -1
	s_cbranch_scc0 .LBB265_388
; %bb.387:
	v_cmp_neq_f16_e32 vcc, 0, v2
	s_mov_b64 s[6:7], -1
	s_mov_b64 s[2:3], 0
	v_cndmask_b32_e64 v3, 0, 1, vcc
	global_store_byte v[0:1], v3, off
.LBB265_388:
	s_mov_b64 s[8:9], 0
.LBB265_389:
	s_and_b64 vcc, exec, s[8:9]
	s_cbranch_vccz .LBB265_428
; %bb.390:
	s_and_b32 s8, 0xffff, s12
	s_cmp_lt_i32 s8, 5
	s_mov_b64 s[6:7], -1
	s_cbranch_scc1 .LBB265_411
; %bb.391:
	s_cmp_lt_i32 s8, 8
	s_cbranch_scc1 .LBB265_401
; %bb.392:
	s_cmp_lt_i32 s8, 9
	s_cbranch_scc1 .LBB265_398
; %bb.393:
	s_cmp_gt_i32 s8, 9
	s_cbranch_scc0 .LBB265_395
; %bb.394:
	v_cvt_f32_f16_e32 v3, v2
	v_mov_b32_e32 v6, 0
	v_mov_b32_e32 v7, v6
	s_mov_b64 s[6:7], 0
	v_cvt_f64_f32_e32 v[4:5], v3
	global_store_dwordx4 v[0:1], v[4:7], off
.LBB265_395:
	s_andn2_b64 vcc, exec, s[6:7]
	s_cbranch_vccnz .LBB265_397
; %bb.396:
	v_cvt_f32_f16_e32 v4, v2
	v_mov_b32_e32 v5, 0
	global_store_dwordx2 v[0:1], v[4:5], off
.LBB265_397:
	s_mov_b64 s[6:7], 0
.LBB265_398:
	s_andn2_b64 vcc, exec, s[6:7]
	s_cbranch_vccnz .LBB265_400
; %bb.399:
	global_store_dword v[0:1], v2, off
.LBB265_400:
	s_mov_b64 s[6:7], 0
.LBB265_401:
	s_andn2_b64 vcc, exec, s[6:7]
	s_cbranch_vccnz .LBB265_410
; %bb.402:
	s_cmp_lt_i32 s8, 6
	s_mov_b64 s[6:7], -1
	s_cbranch_scc1 .LBB265_408
; %bb.403:
	s_cmp_gt_i32 s8, 6
	s_cbranch_scc0 .LBB265_405
; %bb.404:
	v_cvt_f32_f16_e32 v3, v2
	s_mov_b64 s[6:7], 0
	v_cvt_f64_f32_e32 v[4:5], v3
	global_store_dwordx2 v[0:1], v[4:5], off
.LBB265_405:
	s_andn2_b64 vcc, exec, s[6:7]
	s_cbranch_vccnz .LBB265_407
; %bb.406:
	v_cvt_f32_f16_e32 v3, v2
	global_store_dword v[0:1], v3, off
.LBB265_407:
	s_mov_b64 s[6:7], 0
.LBB265_408:
	s_andn2_b64 vcc, exec, s[6:7]
	s_cbranch_vccnz .LBB265_410
; %bb.409:
	global_store_short v[0:1], v2, off
.LBB265_410:
	s_mov_b64 s[6:7], 0
.LBB265_411:
	s_andn2_b64 vcc, exec, s[6:7]
	s_cbranch_vccnz .LBB265_427
; %bb.412:
	s_cmp_lt_i32 s8, 2
	s_mov_b64 s[6:7], -1
	s_cbranch_scc1 .LBB265_422
; %bb.413:
	s_cmp_lt_i32 s8, 3
	s_cbranch_scc1 .LBB265_419
; %bb.414:
	s_cmp_gt_i32 s8, 3
	s_cbranch_scc0 .LBB265_416
; %bb.415:
	v_cvt_f32_f16_e32 v3, v2
	s_mov_b64 s[6:7], 0
	v_cvt_i32_f32_e32 v4, v3
	v_ashrrev_i32_e32 v5, 31, v4
	global_store_dwordx2 v[0:1], v[4:5], off
.LBB265_416:
	s_andn2_b64 vcc, exec, s[6:7]
	s_cbranch_vccnz .LBB265_418
; %bb.417:
	v_cvt_f32_f16_e32 v3, v2
	v_cvt_i32_f32_e32 v3, v3
	global_store_dword v[0:1], v3, off
.LBB265_418:
	s_mov_b64 s[6:7], 0
.LBB265_419:
	s_andn2_b64 vcc, exec, s[6:7]
	s_cbranch_vccnz .LBB265_421
; %bb.420:
	v_cvt_i16_f16_e32 v3, v2
	global_store_short v[0:1], v3, off
.LBB265_421:
	s_mov_b64 s[6:7], 0
.LBB265_422:
	s_andn2_b64 vcc, exec, s[6:7]
	s_cbranch_vccnz .LBB265_427
; %bb.423:
	s_cmp_gt_i32 s8, 0
	s_mov_b64 s[6:7], -1
	s_cbranch_scc0 .LBB265_425
; %bb.424:
	v_cvt_i16_f16_e32 v3, v2
	s_mov_b64 s[6:7], 0
	global_store_byte v[0:1], v3, off
.LBB265_425:
	s_andn2_b64 vcc, exec, s[6:7]
	s_cbranch_vccnz .LBB265_427
; %bb.426:
	v_cvt_f32_f16_e32 v2, v2
	v_cvt_i32_f32_e32 v2, v2
	global_store_byte v[0:1], v2, off
.LBB265_427:
	s_mov_b64 s[6:7], -1
.LBB265_428:
	s_andn2_b64 vcc, exec, s[6:7]
	s_cbranch_vccnz .LBB265_430
; %bb.429:
	v_add_u32_e32 v8, 0x80, v8
	s_mov_b64 s[6:7], -1
	s_branch .LBB265_543
.LBB265_430:
	s_mov_b64 s[6:7], 0
	s_branch .LBB265_542
.LBB265_431:
	s_mov_b64 s[4:5], -1
                                        ; implicit-def: $vgpr1
.LBB265_432:
	s_mov_b64 s[6:7], 0
.LBB265_433:
	s_and_b64 vcc, exec, s[6:7]
	s_cbranch_vccz .LBB265_437
; %bb.434:
	s_cmp_eq_u32 s10, 29
	s_cbranch_scc0 .LBB265_436
; %bb.435:
	global_load_dwordx2 v[4:5], v[2:3], off
	s_mov_b64 s[2:3], -1
	s_mov_b64 s[4:5], 0
	s_mov_b64 s[6:7], 0
	s_waitcnt vmcnt(0)
	v_ffbh_u32_e32 v1, v5
	v_min_u32_e32 v1, 32, v1
	v_lshlrev_b64 v[4:5], v1, v[4:5]
	v_min_u32_e32 v4, 1, v4
	v_or_b32_e32 v4, v5, v4
	v_cvt_f32_u32_e32 v4, v4
	v_sub_u32_e32 v1, 32, v1
	v_ldexp_f32 v1, v4, v1
	v_cvt_f16_f32_e32 v1, v1
	s_branch .LBB265_438
.LBB265_436:
	s_mov_b64 s[4:5], -1
                                        ; implicit-def: $vgpr1
.LBB265_437:
	s_mov_b64 s[6:7], 0
.LBB265_438:
	s_and_b64 vcc, exec, s[6:7]
	s_cbranch_vccz .LBB265_456
; %bb.439:
	s_cmp_lt_i32 s10, 27
	s_cbranch_scc1 .LBB265_442
; %bb.440:
	s_cmp_gt_i32 s10, 27
	s_cbranch_scc0 .LBB265_443
; %bb.441:
	global_load_dword v1, v[2:3], off
	s_mov_b64 s[2:3], 0
	s_waitcnt vmcnt(0)
	v_cvt_f32_u32_e32 v1, v1
	v_cvt_f16_f32_e32 v1, v1
	s_branch .LBB265_444
.LBB265_442:
	s_mov_b64 s[2:3], -1
                                        ; implicit-def: $vgpr1
	s_branch .LBB265_447
.LBB265_443:
	s_mov_b64 s[2:3], -1
                                        ; implicit-def: $vgpr1
.LBB265_444:
	s_andn2_b64 vcc, exec, s[2:3]
	s_cbranch_vccnz .LBB265_446
; %bb.445:
	global_load_ushort v1, v[2:3], off
	s_waitcnt vmcnt(0)
	v_cvt_f16_u16_e32 v1, v1
.LBB265_446:
	s_mov_b64 s[2:3], 0
.LBB265_447:
	s_andn2_b64 vcc, exec, s[2:3]
	s_cbranch_vccnz .LBB265_455
; %bb.448:
	global_load_ubyte v4, v[2:3], off
	s_movk_i32 s2, 0x7f
	s_waitcnt vmcnt(0)
	v_cmp_lt_i16_e32 vcc, s2, v4
	s_mov_b64 s[2:3], 0
	s_and_saveexec_b64 s[6:7], vcc
	s_xor_b64 s[6:7], exec, s[6:7]
	s_cbranch_execz .LBB265_469
; %bb.449:
	s_movk_i32 s2, 0x80
	v_cmp_eq_u16_e32 vcc, s2, v4
	s_mov_b64 s[2:3], -1
	s_and_saveexec_b64 s[8:9], vcc
; %bb.450:
	s_xor_b64 s[2:3], exec, -1
; %bb.451:
	s_or_b64 exec, exec, s[8:9]
	s_and_b64 s[2:3], s[2:3], exec
	s_or_saveexec_b64 s[6:7], s[6:7]
	v_mov_b32_e32 v1, 0x7e00
	s_xor_b64 exec, exec, s[6:7]
	s_cbranch_execnz .LBB265_470
.LBB265_452:
	s_or_b64 exec, exec, s[6:7]
	s_and_saveexec_b64 s[6:7], s[2:3]
	s_cbranch_execz .LBB265_454
.LBB265_453:
	v_lshlrev_b32_e32 v1, 24, v4
	v_and_b32_e32 v4, 0xffff, v4
	v_and_b32_e32 v5, 7, v4
	v_ffbh_u32_e32 v7, v5
	v_min_u32_e32 v7, 32, v7
	v_subrev_u32_e32 v9, 28, v7
	v_bfe_u32 v6, v4, 3, 4
	v_lshlrev_b32_e32 v4, v9, v4
	v_sub_u32_e32 v7, 29, v7
	v_and_b32_e32 v4, 7, v4
	v_cmp_eq_u32_e32 vcc, 0, v6
	v_and_b32_e32 v1, 0x80000000, v1
	s_nop 0
	v_cndmask_b32_e32 v6, v6, v7, vcc
	v_cndmask_b32_e32 v4, v5, v4, vcc
	v_mov_b32_e32 v5, 0x3b800000
	v_lshlrev_b32_e32 v4, 20, v4
	v_lshl_add_u32 v5, v6, 23, v5
	v_or3_b32 v1, v1, v5, v4
	v_cvt_f16_f32_e32 v1, v1
.LBB265_454:
	s_or_b64 exec, exec, s[6:7]
.LBB265_455:
	s_mov_b64 s[2:3], -1
.LBB265_456:
	s_mov_b64 s[6:7], 0
.LBB265_457:
	s_and_b64 vcc, exec, s[6:7]
	s_cbranch_vccz .LBB265_492
; %bb.458:
	s_cmp_gt_i32 s10, 22
	s_cbranch_scc0 .LBB265_468
; %bb.459:
	s_cmp_lt_i32 s10, 24
	s_cbranch_scc1 .LBB265_471
; %bb.460:
	s_cmp_gt_i32 s10, 24
	s_cbranch_scc0 .LBB265_472
; %bb.461:
	global_load_ubyte v4, v[2:3], off
	s_movk_i32 s2, 0x7f
	s_waitcnt vmcnt(0)
	v_cmp_lt_i16_e32 vcc, s2, v4
	s_mov_b64 s[2:3], 0
	s_and_saveexec_b64 s[6:7], vcc
	s_xor_b64 s[6:7], exec, s[6:7]
	s_cbranch_execz .LBB265_484
; %bb.462:
	s_movk_i32 s2, 0x80
	v_cmp_eq_u16_e32 vcc, s2, v4
	s_mov_b64 s[2:3], -1
	s_and_saveexec_b64 s[8:9], vcc
; %bb.463:
	s_xor_b64 s[2:3], exec, -1
; %bb.464:
	s_or_b64 exec, exec, s[8:9]
	s_and_b64 s[2:3], s[2:3], exec
	s_or_saveexec_b64 s[6:7], s[6:7]
	v_mov_b32_e32 v1, 0x7e00
	s_xor_b64 exec, exec, s[6:7]
	s_cbranch_execnz .LBB265_485
.LBB265_465:
	s_or_b64 exec, exec, s[6:7]
	s_and_saveexec_b64 s[6:7], s[2:3]
	s_cbranch_execz .LBB265_467
.LBB265_466:
	v_lshlrev_b32_e32 v1, 24, v4
	v_and_b32_e32 v4, 0xffff, v4
	v_and_b32_e32 v5, 3, v4
	v_ffbh_u32_e32 v7, v5
	v_min_u32_e32 v7, 32, v7
	v_subrev_u32_e32 v9, 29, v7
	v_bfe_u32 v6, v4, 2, 5
	v_lshlrev_b32_e32 v4, v9, v4
	v_sub_u32_e32 v7, 30, v7
	v_and_b32_e32 v4, 3, v4
	v_cmp_eq_u32_e32 vcc, 0, v6
	v_and_b32_e32 v1, 0x80000000, v1
	s_nop 0
	v_cndmask_b32_e32 v6, v6, v7, vcc
	v_cndmask_b32_e32 v4, v5, v4, vcc
	v_mov_b32_e32 v5, 0x37800000
	v_lshlrev_b32_e32 v4, 21, v4
	v_lshl_add_u32 v5, v6, 23, v5
	v_or3_b32 v1, v1, v5, v4
	v_cvt_f16_f32_e32 v1, v1
.LBB265_467:
	s_or_b64 exec, exec, s[6:7]
	s_mov_b64 s[2:3], 0
	s_branch .LBB265_473
.LBB265_468:
	s_mov_b64 s[6:7], -1
                                        ; implicit-def: $vgpr1
	s_branch .LBB265_479
.LBB265_469:
	s_or_saveexec_b64 s[6:7], s[6:7]
	v_mov_b32_e32 v1, 0x7e00
	s_xor_b64 exec, exec, s[6:7]
	s_cbranch_execz .LBB265_452
.LBB265_470:
	v_cmp_ne_u16_e32 vcc, 0, v4
	s_andn2_b64 s[2:3], s[2:3], exec
	s_and_b64 s[8:9], vcc, exec
	s_or_b64 s[2:3], s[2:3], s[8:9]
	v_mov_b32_e32 v1, v4
	s_or_b64 exec, exec, s[6:7]
	s_and_saveexec_b64 s[6:7], s[2:3]
	s_cbranch_execnz .LBB265_453
	s_branch .LBB265_454
.LBB265_471:
	s_mov_b64 s[2:3], -1
                                        ; implicit-def: $vgpr1
	s_branch .LBB265_476
.LBB265_472:
	s_mov_b64 s[2:3], -1
                                        ; implicit-def: $vgpr1
.LBB265_473:
	s_and_b64 vcc, exec, s[2:3]
	s_cbranch_vccz .LBB265_475
; %bb.474:
	global_load_ubyte v1, v[2:3], off
	s_mov_b32 s2, 0x7f800000
	s_waitcnt vmcnt(0)
	v_lshlrev_b32_e32 v1, 24, v1
	v_and_b32_e32 v4, 0x7f000000, v1
	v_ffbh_u32_e32 v5, v4
	v_min_u32_e32 v5, 32, v5
	v_sub_u32_e64 v5, v5, 4 clamp
	v_lshlrev_b32_e32 v7, v5, v4
	v_lshlrev_b32_e32 v5, 23, v5
	v_lshrrev_b32_e32 v7, 4, v7
	v_add_u32_e32 v6, 0x1000000, v4
	v_sub_u32_e32 v5, v7, v5
	v_ashrrev_i32_e32 v6, 8, v6
	v_add_u32_e32 v5, 0x3c000000, v5
	v_and_or_b32 v5, v6, s2, v5
	v_cmp_ne_u32_e32 vcc, 0, v4
	s_brev_b32 s2, 1
	s_nop 0
	v_cndmask_b32_e32 v4, 0, v5, vcc
	v_and_or_b32 v1, v1, s2, v4
	v_cvt_f16_f32_e32 v1, v1
.LBB265_475:
	s_mov_b64 s[2:3], 0
.LBB265_476:
	s_andn2_b64 vcc, exec, s[2:3]
	s_cbranch_vccnz .LBB265_478
; %bb.477:
	global_load_ubyte v1, v[2:3], off
	s_movk_i32 s2, 0x7f00
	s_brev_b32 s3, 16
	s_waitcnt vmcnt(0)
	v_lshlrev_b16_e32 v4, 8, v1
	v_lshlrev_b32_e32 v1, 25, v1
	v_lshrrev_b32_e32 v5, 4, v1
	v_and_or_b32 v6, v4, s2, 0.5
	v_or_b32_e32 v5, 0x70000000, v5
	v_add_f32_e32 v6, -0.5, v6
	v_mul_f32_e32 v5, 0x7800000, v5
	v_cmp_gt_u32_e32 vcc, s3, v1
	v_bfe_i32 v4, v4, 0, 16
	s_brev_b32 s2, 1
	v_cndmask_b32_e32 v1, v5, v6, vcc
	v_and_or_b32 v1, v4, s2, v1
	v_cvt_f16_f32_e32 v1, v1
.LBB265_478:
	s_mov_b64 s[6:7], 0
	s_mov_b64 s[2:3], -1
.LBB265_479:
	s_andn2_b64 vcc, exec, s[6:7]
	s_cbranch_vccnz .LBB265_492
; %bb.480:
	s_cmp_gt_i32 s10, 14
	s_cbranch_scc0 .LBB265_483
; %bb.481:
	s_cmp_eq_u32 s10, 15
	s_cbranch_scc0 .LBB265_486
; %bb.482:
	global_load_ushort v1, v[2:3], off
	s_mov_b64 s[2:3], -1
	s_mov_b64 s[4:5], 0
	s_waitcnt vmcnt(0)
	v_lshlrev_b32_e32 v1, 16, v1
	v_cvt_f16_f32_e32 v1, v1
	s_branch .LBB265_487
.LBB265_483:
	s_mov_b64 s[6:7], -1
                                        ; implicit-def: $vgpr1
	s_branch .LBB265_488
.LBB265_484:
	s_or_saveexec_b64 s[6:7], s[6:7]
	v_mov_b32_e32 v1, 0x7e00
	s_xor_b64 exec, exec, s[6:7]
	s_cbranch_execz .LBB265_465
.LBB265_485:
	v_cmp_ne_u16_e32 vcc, 0, v4
	s_andn2_b64 s[2:3], s[2:3], exec
	s_and_b64 s[8:9], vcc, exec
	s_or_b64 s[2:3], s[2:3], s[8:9]
	v_mov_b32_e32 v1, v4
	s_or_b64 exec, exec, s[6:7]
	s_and_saveexec_b64 s[6:7], s[2:3]
	s_cbranch_execnz .LBB265_466
	s_branch .LBB265_467
.LBB265_486:
	s_mov_b64 s[4:5], -1
                                        ; implicit-def: $vgpr1
.LBB265_487:
	s_mov_b64 s[6:7], 0
.LBB265_488:
	s_and_b64 vcc, exec, s[6:7]
	s_cbranch_vccz .LBB265_492
; %bb.489:
	s_cmp_eq_u32 s10, 11
	s_cbranch_scc0 .LBB265_491
; %bb.490:
	global_load_ubyte v1, v[2:3], off
	v_mov_b32_e32 v4, 0x3c00
	s_mov_b64 s[2:3], -1
	s_mov_b64 s[4:5], 0
	s_waitcnt vmcnt(0)
	v_cmp_ne_u16_e32 vcc, 0, v1
	s_nop 1
	v_cndmask_b32_e32 v1, 0, v4, vcc
	s_branch .LBB265_492
.LBB265_491:
	s_mov_b64 s[4:5], -1
                                        ; implicit-def: $vgpr1
.LBB265_492:
	s_branch .LBB265_295
.LBB265_493:
	s_cmp_lt_i32 s10, 5
	s_cbranch_scc1 .LBB265_498
; %bb.494:
	s_cmp_lt_i32 s10, 8
	s_cbranch_scc1 .LBB265_499
; %bb.495:
	;; [unrolled: 3-line block ×3, first 2 shown]
	s_cmp_gt_i32 s10, 9
	s_cbranch_scc0 .LBB265_501
; %bb.497:
	global_load_dwordx2 v[4:5], v[2:3], off
	s_movk_i32 s2, 0x1ff
	s_movk_i32 s3, 0xffe
	s_waitcnt vmcnt(1)
	v_mov_b32_e32 v1, 0x7c00
	v_mov_b32_e32 v6, 0x7e00
	s_movk_i32 s6, 0x40f
	s_mov_b32 s7, 0x8000
	s_waitcnt vmcnt(0)
	v_and_or_b32 v4, v5, s2, v4
	v_cmp_ne_u32_e32 vcc, 0, v4
	v_lshrrev_b32_e32 v7, 8, v5
	v_bfe_u32 v9, v5, 20, 11
	v_cndmask_b32_e64 v4, 0, 1, vcc
	v_sub_u32_e32 v10, 0x3f1, v9
	v_and_or_b32 v4, v7, s3, v4
	v_add_u32_e32 v9, 0xfffffc10, v9
	v_med3_i32 v7, v10, 0, 13
	v_or_b32_e32 v10, 0x1000, v4
	v_cmp_ne_u32_e32 vcc, 0, v4
	v_lshl_or_b32 v11, v9, 12, v4
	v_lshrrev_b32_e32 v5, 16, v5
	v_cndmask_b32_e32 v4, v1, v6, vcc
	v_lshrrev_b32_e32 v6, v7, v10
	v_lshlrev_b32_e32 v7, v7, v6
	v_cmp_ne_u32_e32 vcc, v7, v10
	s_mov_b64 s[2:3], 0
	s_nop 0
	v_cndmask_b32_e64 v7, 0, 1, vcc
	v_or_b32_e32 v6, v6, v7
	v_cmp_gt_i32_e32 vcc, 1, v9
	s_nop 1
	v_cndmask_b32_e32 v6, v11, v6, vcc
	v_and_b32_e32 v7, 7, v6
	v_cmp_lt_i32_e32 vcc, 5, v7
	v_lshrrev_b32_e32 v6, 2, v6
	s_nop 0
	v_cndmask_b32_e64 v10, 0, 1, vcc
	v_cmp_eq_u32_e32 vcc, 3, v7
	s_nop 1
	v_cndmask_b32_e64 v7, 0, 1, vcc
	v_or_b32_e32 v7, v7, v10
	v_add_u32_e32 v6, v6, v7
	v_cmp_gt_i32_e32 vcc, 31, v9
	s_nop 1
	v_cndmask_b32_e32 v1, v1, v6, vcc
	v_cmp_eq_u32_e32 vcc, s6, v9
	s_nop 1
	v_cndmask_b32_e32 v1, v1, v4, vcc
	v_and_or_b32 v1, v5, s7, v1
	s_branch .LBB265_502
.LBB265_498:
	s_mov_b64 s[2:3], -1
                                        ; implicit-def: $vgpr1
	s_branch .LBB265_520
.LBB265_499:
	s_mov_b64 s[2:3], -1
                                        ; implicit-def: $vgpr1
	s_branch .LBB265_508
.LBB265_500:
	s_mov_b64 s[2:3], -1
                                        ; implicit-def: $vgpr1
	s_branch .LBB265_505
.LBB265_501:
	s_mov_b64 s[2:3], -1
                                        ; implicit-def: $vgpr1
.LBB265_502:
	s_andn2_b64 vcc, exec, s[2:3]
	s_cbranch_vccnz .LBB265_504
; %bb.503:
	global_load_dword v1, v[2:3], off
	s_waitcnt vmcnt(0)
	v_cvt_f16_f32_e32 v1, v1
.LBB265_504:
	s_mov_b64 s[2:3], 0
.LBB265_505:
	s_andn2_b64 vcc, exec, s[2:3]
	s_cbranch_vccnz .LBB265_507
; %bb.506:
	global_load_dword v1, v[2:3], off
.LBB265_507:
	s_mov_b64 s[2:3], 0
.LBB265_508:
	s_andn2_b64 vcc, exec, s[2:3]
	s_cbranch_vccnz .LBB265_519
; %bb.509:
	s_cmp_lt_i32 s10, 6
	s_cbranch_scc1 .LBB265_512
; %bb.510:
	s_cmp_gt_i32 s10, 6
	s_cbranch_scc0 .LBB265_513
; %bb.511:
	global_load_dwordx2 v[4:5], v[2:3], off
	s_movk_i32 s2, 0x1ff
	s_movk_i32 s3, 0xffe
	s_waitcnt vmcnt(1)
	v_mov_b32_e32 v1, 0x7c00
	v_mov_b32_e32 v6, 0x7e00
	s_movk_i32 s6, 0x40f
	s_mov_b32 s7, 0x8000
	s_waitcnt vmcnt(0)
	v_and_or_b32 v4, v5, s2, v4
	v_cmp_ne_u32_e32 vcc, 0, v4
	v_lshrrev_b32_e32 v7, 8, v5
	v_bfe_u32 v9, v5, 20, 11
	v_cndmask_b32_e64 v4, 0, 1, vcc
	v_sub_u32_e32 v10, 0x3f1, v9
	v_and_or_b32 v4, v7, s3, v4
	v_add_u32_e32 v9, 0xfffffc10, v9
	v_med3_i32 v7, v10, 0, 13
	v_or_b32_e32 v10, 0x1000, v4
	v_cmp_ne_u32_e32 vcc, 0, v4
	v_lshl_or_b32 v11, v9, 12, v4
	v_lshrrev_b32_e32 v5, 16, v5
	v_cndmask_b32_e32 v4, v1, v6, vcc
	v_lshrrev_b32_e32 v6, v7, v10
	v_lshlrev_b32_e32 v7, v7, v6
	v_cmp_ne_u32_e32 vcc, v7, v10
	s_mov_b64 s[2:3], 0
	s_nop 0
	v_cndmask_b32_e64 v7, 0, 1, vcc
	v_or_b32_e32 v6, v6, v7
	v_cmp_gt_i32_e32 vcc, 1, v9
	s_nop 1
	v_cndmask_b32_e32 v6, v11, v6, vcc
	v_and_b32_e32 v7, 7, v6
	v_cmp_lt_i32_e32 vcc, 5, v7
	v_lshrrev_b32_e32 v6, 2, v6
	s_nop 0
	v_cndmask_b32_e64 v10, 0, 1, vcc
	v_cmp_eq_u32_e32 vcc, 3, v7
	s_nop 1
	v_cndmask_b32_e64 v7, 0, 1, vcc
	v_or_b32_e32 v7, v7, v10
	v_add_u32_e32 v6, v6, v7
	v_cmp_gt_i32_e32 vcc, 31, v9
	s_nop 1
	v_cndmask_b32_e32 v1, v1, v6, vcc
	v_cmp_eq_u32_e32 vcc, s6, v9
	s_nop 1
	v_cndmask_b32_e32 v1, v1, v4, vcc
	v_and_or_b32 v1, v5, s7, v1
	s_branch .LBB265_514
.LBB265_512:
	s_mov_b64 s[2:3], -1
                                        ; implicit-def: $vgpr1
	s_branch .LBB265_517
.LBB265_513:
	s_mov_b64 s[2:3], -1
                                        ; implicit-def: $vgpr1
.LBB265_514:
	s_andn2_b64 vcc, exec, s[2:3]
	s_cbranch_vccnz .LBB265_516
; %bb.515:
	global_load_dword v1, v[2:3], off
	s_waitcnt vmcnt(0)
	v_cvt_f16_f32_e32 v1, v1
.LBB265_516:
	s_mov_b64 s[2:3], 0
.LBB265_517:
	s_andn2_b64 vcc, exec, s[2:3]
	s_cbranch_vccnz .LBB265_519
; %bb.518:
	global_load_ushort v1, v[2:3], off
.LBB265_519:
	s_mov_b64 s[2:3], 0
.LBB265_520:
	s_andn2_b64 vcc, exec, s[2:3]
	s_cbranch_vccnz .LBB265_540
; %bb.521:
	s_cmp_lt_i32 s10, 2
	s_cbranch_scc1 .LBB265_525
; %bb.522:
	s_cmp_lt_i32 s10, 3
	s_cbranch_scc1 .LBB265_526
; %bb.523:
	s_cmp_gt_i32 s10, 3
	s_cbranch_scc0 .LBB265_527
; %bb.524:
	global_load_dwordx2 v[4:5], v[2:3], off
	s_mov_b64 s[2:3], 0
	s_waitcnt vmcnt(0)
	v_xor_b32_e32 v6, v4, v5
	v_ffbh_i32_e32 v1, v5
	v_ashrrev_i32_e32 v6, 31, v6
	v_add_u32_e32 v1, -1, v1
	v_add_u32_e32 v6, 32, v6
	v_min_u32_e32 v1, v1, v6
	v_lshlrev_b64 v[4:5], v1, v[4:5]
	v_min_u32_e32 v4, 1, v4
	v_or_b32_e32 v4, v5, v4
	v_cvt_f32_i32_e32 v4, v4
	v_sub_u32_e32 v1, 32, v1
	v_ldexp_f32 v1, v4, v1
	v_cvt_f16_f32_e32 v1, v1
	s_branch .LBB265_528
.LBB265_525:
	s_mov_b64 s[2:3], -1
                                        ; implicit-def: $vgpr1
	s_branch .LBB265_534
.LBB265_526:
	s_mov_b64 s[2:3], -1
                                        ; implicit-def: $vgpr1
	s_branch .LBB265_531
.LBB265_527:
	s_mov_b64 s[2:3], -1
                                        ; implicit-def: $vgpr1
.LBB265_528:
	s_andn2_b64 vcc, exec, s[2:3]
	s_cbranch_vccnz .LBB265_530
; %bb.529:
	global_load_dword v1, v[2:3], off
	s_waitcnt vmcnt(0)
	v_cvt_f32_i32_e32 v1, v1
	v_cvt_f16_f32_e32 v1, v1
.LBB265_530:
	s_mov_b64 s[2:3], 0
.LBB265_531:
	s_andn2_b64 vcc, exec, s[2:3]
	s_cbranch_vccnz .LBB265_533
; %bb.532:
	global_load_ushort v1, v[2:3], off
	s_waitcnt vmcnt(0)
	v_cvt_f16_i16_e32 v1, v1
.LBB265_533:
	s_mov_b64 s[2:3], 0
.LBB265_534:
	s_andn2_b64 vcc, exec, s[2:3]
	s_cbranch_vccnz .LBB265_540
; %bb.535:
	s_cmp_gt_i32 s10, 0
	s_cbranch_scc0 .LBB265_537
; %bb.536:
	global_load_sbyte v1, v[2:3], off
	s_mov_b64 s[2:3], 0
	s_waitcnt vmcnt(0)
	v_cvt_f16_i16_e32 v1, v1
	s_branch .LBB265_538
.LBB265_537:
	s_mov_b64 s[2:3], -1
                                        ; implicit-def: $vgpr1
.LBB265_538:
	s_andn2_b64 vcc, exec, s[2:3]
	s_cbranch_vccnz .LBB265_540
; %bb.539:
	global_load_ubyte v1, v[2:3], off
	s_waitcnt vmcnt(0)
	v_cvt_f16_u16_e32 v1, v1
.LBB265_540:
	s_branch .LBB265_296
.LBB265_541:
	s_mov_b64 s[6:7], 0
	s_mov_b64 s[2:3], s[54:55]
.LBB265_542:
                                        ; implicit-def: $vgpr8
.LBB265_543:
	s_andn2_b64 s[8:9], s[54:55], exec
	s_and_b64 s[2:3], s[2:3], exec
	s_or_b64 s[62:63], s[8:9], s[2:3]
	s_andn2_b64 s[2:3], s[56:57], exec
	s_and_b64 s[4:5], s[4:5], exec
	s_or_b64 s[60:61], s[2:3], s[4:5]
	s_orn2_b64 s[2:3], s[6:7], exec
.LBB265_544:
	s_or_b64 exec, exec, s[64:65]
	s_mov_b64 s[4:5], 0
	s_mov_b64 s[6:7], 0
	;; [unrolled: 1-line block ×3, first 2 shown]
                                        ; implicit-def: $vgpr2_vgpr3
                                        ; implicit-def: $vgpr0
                                        ; implicit-def: $vgpr1
	s_and_saveexec_b64 s[64:65], s[2:3]
	s_cbranch_execz .LBB265_921
; %bb.545:
	v_cmp_gt_i32_e32 vcc, s70, v8
	s_mov_b64 s[6:7], -1
	s_mov_b64 s[2:3], s[60:61]
	s_mov_b64 s[68:69], s[62:63]
	s_and_saveexec_b64 s[66:67], vcc
	s_cbranch_execz .LBB265_820
; %bb.546:
	s_andn2_b64 vcc, exec, s[42:43]
	s_cbranch_vccnz .LBB265_552
; %bb.547:
	s_andn2_b64 vcc, exec, s[52:53]
	s_cbranch_vccnz .LBB265_553
; %bb.548:
	s_add_i32 s76, s75, 1
	s_cmp_eq_u32 s72, 2
	s_cbranch_scc1 .LBB265_554
; %bb.549:
	s_and_b32 s71, s76, 28
	s_mov_b32 s77, 0
	v_mov_b32_e32 v0, 0
	v_mov_b32_e32 v2, 0
	s_mov_b64 s[2:3], s[34:35]
	s_mov_b64 s[68:69], s[50:51]
	v_mov_b32_e32 v4, v8
.LBB265_550:                            ; =>This Inner Loop Header: Depth=1
	s_load_dwordx8 s[12:19], s[2:3], 0x4
	s_load_dwordx4 s[36:39], s[2:3], 0x24
	s_load_dwordx8 s[4:11], s[68:69], 0x0
	s_add_u32 s2, s2, 48
	s_addc_u32 s3, s3, 0
	s_waitcnt vmcnt(0) lgkmcnt(0)
	v_mul_hi_u32 v1, s13, v4
	v_add_u32_e32 v1, v4, v1
	v_lshrrev_b32_e32 v1, s14, v1
	v_mul_lo_u32 v3, v1, s12
	v_mul_hi_u32 v5, s16, v1
	v_sub_u32_e32 v3, v4, v3
	v_add_u32_e32 v4, v1, v5
	v_lshrrev_b32_e32 v4, s17, v4
	v_mul_lo_u32 v6, v4, s15
	v_mul_hi_u32 v7, s19, v4
	v_sub_u32_e32 v1, v1, v6
	v_add_u32_e32 v6, v4, v7
	v_mul_lo_u32 v5, v3, s5
	v_mul_lo_u32 v3, v3, s4
	;; [unrolled: 1-line block ×4, first 2 shown]
	v_lshrrev_b32_e32 v6, s36, v6
	v_add3_u32 v0, v3, v0, v1
	v_mul_hi_u32 v3, s38, v6
	v_add3_u32 v1, v5, v2, v7
	v_mul_lo_u32 v2, v6, s18
	v_add_u32_e32 v3, v6, v3
	v_sub_u32_e32 v2, v4, v2
	v_lshrrev_b32_e32 v4, s39, v3
	s_add_i32 s77, s77, 4
	v_mul_lo_u32 v3, v4, s37
	s_add_u32 s68, s68, 32
	v_sub_u32_e32 v3, v6, v3
	s_addc_u32 s69, s69, 0
	v_mul_lo_u32 v5, v2, s8
	v_mul_lo_u32 v2, v2, s9
	;; [unrolled: 1-line block ×4, first 2 shown]
	s_cmp_eq_u32 s71, s77
	v_add3_u32 v2, v2, v1, v3
	v_add3_u32 v0, v5, v0, v6
	s_cbranch_scc0 .LBB265_550
; %bb.551:
	v_mov_b32_e32 v1, v2
	s_branch .LBB265_555
.LBB265_552:
	s_mov_b64 s[2:3], -1
                                        ; implicit-def: $vgpr2
                                        ; implicit-def: $vgpr0
	s_branch .LBB265_559
.LBB265_553:
	v_mov_b32_e32 v2, 0
	v_mov_b32_e32 v0, 0
	s_branch .LBB265_558
.LBB265_554:
	v_mov_b32_e32 v0, 0
	s_mov_b32 s71, 0
	s_waitcnt vmcnt(0)
	v_mov_b32_e32 v1, v0
                                        ; implicit-def: $vgpr2
	v_mov_b32_e32 v4, v8
.LBB265_555:
	s_and_b32 s6, s76, 3
	s_cmp_eq_u32 s6, 0
	s_cbranch_scc1 .LBB265_558
; %bb.556:
	s_lshl_b32 s2, s71, 3
	s_add_u32 s2, s34, s2
	s_addc_u32 s3, s35, 0
	s_add_u32 s2, s2, 0xc4
	s_addc_u32 s3, s3, 0
	s_mul_i32 s4, s71, 12
	s_add_u32 s4, s34, s4
	s_addc_u32 s5, s35, 0
.LBB265_557:                            ; =>This Inner Loop Header: Depth=1
	s_load_dwordx2 s[8:9], s[4:5], 0x4
	s_load_dword s7, s[4:5], 0xc
	s_load_dwordx2 s[10:11], s[2:3], 0x0
	v_mov_b32_e32 v2, v1
	s_add_u32 s4, s4, 12
	s_waitcnt lgkmcnt(0)
	v_mul_hi_u32 v1, s9, v4
	v_add_u32_e32 v1, v4, v1
	v_lshrrev_b32_e32 v1, s7, v1
	s_addc_u32 s5, s5, 0
	v_mul_lo_u32 v3, v1, s8
	s_add_u32 s2, s2, 8
	v_sub_u32_e32 v5, v4, v3
	s_addc_u32 s3, s3, 0
	s_add_i32 s6, s6, -1
	v_mov_b32_e32 v4, v1
	v_mad_u64_u32 v[2:3], s[8:9], v5, s11, v[2:3]
	v_mad_u64_u32 v[0:1], s[8:9], v5, s10, v[0:1]
	s_cmp_lg_u32 s6, 0
	v_mov_b32_e32 v1, v2
	s_cbranch_scc1 .LBB265_557
.LBB265_558:
	s_mov_b64 s[2:3], 0
.LBB265_559:
	s_andn2_b64 vcc, exec, s[2:3]
	s_cbranch_vccnz .LBB265_562
; %bb.560:
	s_waitcnt lgkmcnt(0)
	v_mul_hi_u32 v0, s29, v8
	v_add_u32_e32 v0, v8, v0
	s_waitcnt vmcnt(0)
	v_lshrrev_b32_e32 v1, s30, v0
	v_mul_lo_u32 v0, v1, s28
	v_sub_u32_e32 v0, v8, v0
	v_mul_lo_u32 v2, v0, s25
	s_andn2_b64 vcc, exec, s[48:49]
	v_mul_lo_u32 v0, v0, s24
	s_cbranch_vccnz .LBB265_562
; %bb.561:
	v_mul_hi_u32 v3, s46, v1
	v_add_u32_e32 v3, v1, v3
	v_lshrrev_b32_e32 v3, s47, v3
	v_mul_lo_u32 v3, v3, s31
	v_sub_u32_e32 v3, v1, v3
	v_mad_u64_u32 v[0:1], s[2:3], v3, s26, v[0:1]
	v_mad_u64_u32 v[2:3], s[2:3], v3, s27, v[2:3]
.LBB265_562:
	v_mov_b32_e32 v3, 0
	s_and_b32 s10, 0xffff, s74
	s_cmp_lt_i32 s10, 11
	s_waitcnt lgkmcnt(0)
	v_lshl_add_u64 v[2:3], s[22:23], 0, v[2:3]
	s_cbranch_scc1 .LBB265_569
; %bb.563:
	s_cmp_gt_i32 s10, 25
	s_cbranch_scc0 .LBB265_570
; %bb.564:
	s_cmp_gt_i32 s10, 28
	s_cbranch_scc0 .LBB265_571
	;; [unrolled: 3-line block ×4, first 2 shown]
; %bb.567:
	s_cmp_eq_u32 s10, 46
	s_mov_b64 s[6:7], 0
	s_cbranch_scc0 .LBB265_578
; %bb.568:
	global_load_dword v1, v[2:3], off
	s_mov_b64 s[2:3], -1
	s_mov_b64 s[4:5], 0
	s_waitcnt vmcnt(0)
	v_lshlrev_b32_e32 v1, 16, v1
	v_cvt_f16_f32_e32 v1, v1
	s_branch .LBB265_579
.LBB265_569:
	s_mov_b64 s[6:7], -1
	s_mov_b64 s[2:3], 0
                                        ; implicit-def: $vgpr1
	s_mov_b64 s[4:5], s[60:61]
	s_branch .LBB265_644
.LBB265_570:
	s_mov_b64 s[6:7], -1
	s_mov_b64 s[2:3], 0
	s_mov_b64 s[4:5], s[60:61]
                                        ; implicit-def: $vgpr1
	s_branch .LBB265_608
.LBB265_571:
	s_mov_b64 s[6:7], -1
	s_mov_b64 s[2:3], 0
	s_mov_b64 s[4:5], s[60:61]
                                        ; implicit-def: $vgpr1
	s_branch .LBB265_589
.LBB265_572:
	s_mov_b64 s[6:7], -1
	s_mov_b64 s[2:3], 0
	s_mov_b64 s[4:5], s[60:61]
                                        ; implicit-def: $vgpr1
	s_branch .LBB265_584
.LBB265_573:
	s_andn2_saveexec_b64 s[10:11], s[10:11]
	s_cbranch_execz .LBB265_341
.LBB265_574:
	s_mov_b32 s14, 0x46000000
	v_add_f32_e64 v4, |v3|, s14
	v_and_b32_e32 v4, 0xff, v4
	v_cmp_ne_u32_e32 vcc, 0, v4
	s_andn2_b64 s[8:9], s[8:9], exec
	s_and_b64 s[14:15], vcc, exec
	s_or_b64 s[8:9], s[8:9], s[14:15]
	s_or_b64 exec, exec, s[10:11]
	v_mov_b32_e32 v5, 0
	s_and_saveexec_b64 s[10:11], s[8:9]
	s_cbranch_execnz .LBB265_342
	s_branch .LBB265_343
.LBB265_575:
	s_mov_b64 s[6:7], -1
	s_mov_b64 s[2:3], 0
	s_mov_b64 s[4:5], s[60:61]
                                        ; implicit-def: $vgpr1
	s_branch .LBB265_579
.LBB265_576:
	s_andn2_saveexec_b64 s[10:11], s[10:11]
	s_cbranch_execz .LBB265_354
.LBB265_577:
	s_mov_b32 s14, 0x42800000
	v_add_f32_e64 v4, |v3|, s14
	v_and_b32_e32 v4, 0xff, v4
	v_cmp_ne_u32_e32 vcc, 0, v4
	s_andn2_b64 s[8:9], s[8:9], exec
	s_and_b64 s[14:15], vcc, exec
	s_or_b64 s[8:9], s[8:9], s[14:15]
	s_or_b64 exec, exec, s[10:11]
	v_mov_b32_e32 v5, 0
	s_and_saveexec_b64 s[10:11], s[8:9]
	s_cbranch_execnz .LBB265_355
	s_branch .LBB265_356
.LBB265_578:
	s_mov_b64 s[4:5], -1
                                        ; implicit-def: $vgpr1
	s_mov_b64 s[2:3], 0
.LBB265_579:
	s_and_b64 vcc, exec, s[6:7]
	s_cbranch_vccz .LBB265_583
; %bb.580:
	s_cmp_eq_u32 s10, 44
	s_cbranch_scc0 .LBB265_582
; %bb.581:
	global_load_ubyte v1, v[2:3], off
	s_movk_i32 s4, 0xff
	v_mov_b32_e32 v5, 0x7e00
	s_mov_b64 s[2:3], -1
	s_waitcnt vmcnt(0)
	v_lshlrev_b32_e32 v4, 23, v1
	v_cvt_f16_f32_e32 v4, v4
	v_cmp_ne_u32_e32 vcc, s4, v1
	s_mov_b64 s[4:5], 0
	s_nop 0
	v_cndmask_b32_e32 v4, v5, v4, vcc
	v_cmp_ne_u32_e32 vcc, 0, v1
	s_nop 1
	v_cndmask_b32_e32 v1, 0, v4, vcc
	s_branch .LBB265_583
.LBB265_582:
	s_mov_b64 s[4:5], -1
                                        ; implicit-def: $vgpr1
.LBB265_583:
	s_mov_b64 s[6:7], 0
.LBB265_584:
	s_and_b64 vcc, exec, s[6:7]
	s_cbranch_vccz .LBB265_588
; %bb.585:
	s_cmp_eq_u32 s10, 29
	s_cbranch_scc0 .LBB265_587
; %bb.586:
	global_load_dwordx2 v[4:5], v[2:3], off
	s_mov_b64 s[2:3], -1
	s_mov_b64 s[4:5], 0
	s_mov_b64 s[6:7], 0
	s_waitcnt vmcnt(0)
	v_ffbh_u32_e32 v1, v5
	v_min_u32_e32 v1, 32, v1
	v_lshlrev_b64 v[4:5], v1, v[4:5]
	v_min_u32_e32 v4, 1, v4
	v_or_b32_e32 v4, v5, v4
	v_cvt_f32_u32_e32 v4, v4
	v_sub_u32_e32 v1, 32, v1
	v_ldexp_f32 v1, v4, v1
	v_cvt_f16_f32_e32 v1, v1
	s_branch .LBB265_589
.LBB265_587:
	s_mov_b64 s[4:5], -1
                                        ; implicit-def: $vgpr1
.LBB265_588:
	s_mov_b64 s[6:7], 0
.LBB265_589:
	s_and_b64 vcc, exec, s[6:7]
	s_cbranch_vccz .LBB265_607
; %bb.590:
	s_cmp_lt_i32 s10, 27
	s_cbranch_scc1 .LBB265_593
; %bb.591:
	s_cmp_gt_i32 s10, 27
	s_cbranch_scc0 .LBB265_594
; %bb.592:
	global_load_dword v1, v[2:3], off
	s_mov_b64 s[2:3], 0
	s_waitcnt vmcnt(0)
	v_cvt_f32_u32_e32 v1, v1
	v_cvt_f16_f32_e32 v1, v1
	s_branch .LBB265_595
.LBB265_593:
	s_mov_b64 s[2:3], -1
                                        ; implicit-def: $vgpr1
	s_branch .LBB265_598
.LBB265_594:
	s_mov_b64 s[2:3], -1
                                        ; implicit-def: $vgpr1
.LBB265_595:
	s_andn2_b64 vcc, exec, s[2:3]
	s_cbranch_vccnz .LBB265_597
; %bb.596:
	global_load_ushort v1, v[2:3], off
	s_waitcnt vmcnt(0)
	v_cvt_f16_u16_e32 v1, v1
.LBB265_597:
	s_mov_b64 s[2:3], 0
.LBB265_598:
	s_andn2_b64 vcc, exec, s[2:3]
	s_cbranch_vccnz .LBB265_606
; %bb.599:
	global_load_ubyte v4, v[2:3], off
	s_movk_i32 s2, 0x7f
	s_waitcnt vmcnt(0)
	v_cmp_lt_i16_e32 vcc, s2, v4
	s_mov_b64 s[2:3], 0
	s_and_saveexec_b64 s[6:7], vcc
	s_xor_b64 s[6:7], exec, s[6:7]
	s_cbranch_execz .LBB265_620
; %bb.600:
	s_movk_i32 s2, 0x80
	v_cmp_eq_u16_e32 vcc, s2, v4
	s_mov_b64 s[2:3], -1
	s_and_saveexec_b64 s[8:9], vcc
; %bb.601:
	s_xor_b64 s[2:3], exec, -1
; %bb.602:
	s_or_b64 exec, exec, s[8:9]
	s_and_b64 s[2:3], s[2:3], exec
	s_or_saveexec_b64 s[6:7], s[6:7]
	v_mov_b32_e32 v1, 0x7e00
	s_xor_b64 exec, exec, s[6:7]
	s_cbranch_execnz .LBB265_621
.LBB265_603:
	s_or_b64 exec, exec, s[6:7]
	s_and_saveexec_b64 s[6:7], s[2:3]
	s_cbranch_execz .LBB265_605
.LBB265_604:
	v_lshlrev_b32_e32 v1, 24, v4
	v_and_b32_e32 v4, 0xffff, v4
	v_and_b32_e32 v5, 7, v4
	v_ffbh_u32_e32 v7, v5
	v_min_u32_e32 v7, 32, v7
	v_subrev_u32_e32 v9, 28, v7
	v_bfe_u32 v6, v4, 3, 4
	v_lshlrev_b32_e32 v4, v9, v4
	v_sub_u32_e32 v7, 29, v7
	v_and_b32_e32 v4, 7, v4
	v_cmp_eq_u32_e32 vcc, 0, v6
	v_and_b32_e32 v1, 0x80000000, v1
	s_nop 0
	v_cndmask_b32_e32 v6, v6, v7, vcc
	v_cndmask_b32_e32 v4, v5, v4, vcc
	v_mov_b32_e32 v5, 0x3b800000
	v_lshlrev_b32_e32 v4, 20, v4
	v_lshl_add_u32 v5, v6, 23, v5
	v_or3_b32 v1, v1, v5, v4
	v_cvt_f16_f32_e32 v1, v1
.LBB265_605:
	s_or_b64 exec, exec, s[6:7]
.LBB265_606:
	s_mov_b64 s[2:3], -1
.LBB265_607:
	s_mov_b64 s[6:7], 0
.LBB265_608:
	s_and_b64 vcc, exec, s[6:7]
	s_cbranch_vccz .LBB265_643
; %bb.609:
	s_cmp_gt_i32 s10, 22
	s_cbranch_scc0 .LBB265_619
; %bb.610:
	s_cmp_lt_i32 s10, 24
	s_cbranch_scc1 .LBB265_622
; %bb.611:
	s_cmp_gt_i32 s10, 24
	s_cbranch_scc0 .LBB265_623
; %bb.612:
	global_load_ubyte v4, v[2:3], off
	s_movk_i32 s2, 0x7f
	s_waitcnt vmcnt(0)
	v_cmp_lt_i16_e32 vcc, s2, v4
	s_mov_b64 s[2:3], 0
	s_and_saveexec_b64 s[6:7], vcc
	s_xor_b64 s[6:7], exec, s[6:7]
	s_cbranch_execz .LBB265_635
; %bb.613:
	s_movk_i32 s2, 0x80
	v_cmp_eq_u16_e32 vcc, s2, v4
	s_mov_b64 s[2:3], -1
	s_and_saveexec_b64 s[8:9], vcc
; %bb.614:
	s_xor_b64 s[2:3], exec, -1
; %bb.615:
	s_or_b64 exec, exec, s[8:9]
	s_and_b64 s[2:3], s[2:3], exec
	s_or_saveexec_b64 s[6:7], s[6:7]
	v_mov_b32_e32 v1, 0x7e00
	s_xor_b64 exec, exec, s[6:7]
	s_cbranch_execnz .LBB265_636
.LBB265_616:
	s_or_b64 exec, exec, s[6:7]
	s_and_saveexec_b64 s[6:7], s[2:3]
	s_cbranch_execz .LBB265_618
.LBB265_617:
	v_lshlrev_b32_e32 v1, 24, v4
	v_and_b32_e32 v4, 0xffff, v4
	v_and_b32_e32 v5, 3, v4
	v_ffbh_u32_e32 v7, v5
	v_min_u32_e32 v7, 32, v7
	v_subrev_u32_e32 v9, 29, v7
	v_bfe_u32 v6, v4, 2, 5
	v_lshlrev_b32_e32 v4, v9, v4
	v_sub_u32_e32 v7, 30, v7
	v_and_b32_e32 v4, 3, v4
	v_cmp_eq_u32_e32 vcc, 0, v6
	v_and_b32_e32 v1, 0x80000000, v1
	s_nop 0
	v_cndmask_b32_e32 v6, v6, v7, vcc
	v_cndmask_b32_e32 v4, v5, v4, vcc
	v_mov_b32_e32 v5, 0x37800000
	v_lshlrev_b32_e32 v4, 21, v4
	v_lshl_add_u32 v5, v6, 23, v5
	v_or3_b32 v1, v1, v5, v4
	v_cvt_f16_f32_e32 v1, v1
.LBB265_618:
	s_or_b64 exec, exec, s[6:7]
	s_mov_b64 s[2:3], 0
	s_branch .LBB265_624
.LBB265_619:
	s_mov_b64 s[6:7], -1
                                        ; implicit-def: $vgpr1
	s_branch .LBB265_630
.LBB265_620:
	s_or_saveexec_b64 s[6:7], s[6:7]
	v_mov_b32_e32 v1, 0x7e00
	s_xor_b64 exec, exec, s[6:7]
	s_cbranch_execz .LBB265_603
.LBB265_621:
	v_cmp_ne_u16_e32 vcc, 0, v4
	s_andn2_b64 s[2:3], s[2:3], exec
	s_and_b64 s[8:9], vcc, exec
	s_or_b64 s[2:3], s[2:3], s[8:9]
	v_mov_b32_e32 v1, v4
	s_or_b64 exec, exec, s[6:7]
	s_and_saveexec_b64 s[6:7], s[2:3]
	s_cbranch_execnz .LBB265_604
	s_branch .LBB265_605
.LBB265_622:
	s_mov_b64 s[2:3], -1
                                        ; implicit-def: $vgpr1
	s_branch .LBB265_627
.LBB265_623:
	s_mov_b64 s[2:3], -1
                                        ; implicit-def: $vgpr1
.LBB265_624:
	s_and_b64 vcc, exec, s[2:3]
	s_cbranch_vccz .LBB265_626
; %bb.625:
	global_load_ubyte v1, v[2:3], off
	s_mov_b32 s2, 0x7f800000
	s_waitcnt vmcnt(0)
	v_lshlrev_b32_e32 v1, 24, v1
	v_and_b32_e32 v4, 0x7f000000, v1
	v_ffbh_u32_e32 v5, v4
	v_min_u32_e32 v5, 32, v5
	v_sub_u32_e64 v5, v5, 4 clamp
	v_lshlrev_b32_e32 v7, v5, v4
	v_lshlrev_b32_e32 v5, 23, v5
	v_lshrrev_b32_e32 v7, 4, v7
	v_add_u32_e32 v6, 0x1000000, v4
	v_sub_u32_e32 v5, v7, v5
	v_ashrrev_i32_e32 v6, 8, v6
	v_add_u32_e32 v5, 0x3c000000, v5
	v_and_or_b32 v5, v6, s2, v5
	v_cmp_ne_u32_e32 vcc, 0, v4
	s_brev_b32 s2, 1
	s_nop 0
	v_cndmask_b32_e32 v4, 0, v5, vcc
	v_and_or_b32 v1, v1, s2, v4
	v_cvt_f16_f32_e32 v1, v1
.LBB265_626:
	s_mov_b64 s[2:3], 0
.LBB265_627:
	s_andn2_b64 vcc, exec, s[2:3]
	s_cbranch_vccnz .LBB265_629
; %bb.628:
	global_load_ubyte v1, v[2:3], off
	s_movk_i32 s2, 0x7f00
	s_brev_b32 s3, 16
	s_waitcnt vmcnt(0)
	v_lshlrev_b16_e32 v4, 8, v1
	v_lshlrev_b32_e32 v1, 25, v1
	v_lshrrev_b32_e32 v5, 4, v1
	v_and_or_b32 v6, v4, s2, 0.5
	v_or_b32_e32 v5, 0x70000000, v5
	v_add_f32_e32 v6, -0.5, v6
	v_mul_f32_e32 v5, 0x7800000, v5
	v_cmp_gt_u32_e32 vcc, s3, v1
	v_bfe_i32 v4, v4, 0, 16
	s_brev_b32 s2, 1
	v_cndmask_b32_e32 v1, v5, v6, vcc
	v_and_or_b32 v1, v4, s2, v1
	v_cvt_f16_f32_e32 v1, v1
.LBB265_629:
	s_mov_b64 s[6:7], 0
	s_mov_b64 s[2:3], -1
.LBB265_630:
	s_andn2_b64 vcc, exec, s[6:7]
	s_cbranch_vccnz .LBB265_643
; %bb.631:
	s_cmp_gt_i32 s10, 14
	s_cbranch_scc0 .LBB265_634
; %bb.632:
	s_cmp_eq_u32 s10, 15
	s_cbranch_scc0 .LBB265_637
; %bb.633:
	global_load_ushort v1, v[2:3], off
	s_mov_b64 s[2:3], -1
	s_mov_b64 s[4:5], 0
	s_waitcnt vmcnt(0)
	v_lshlrev_b32_e32 v1, 16, v1
	v_cvt_f16_f32_e32 v1, v1
	s_branch .LBB265_638
.LBB265_634:
	s_mov_b64 s[6:7], -1
                                        ; implicit-def: $vgpr1
	s_branch .LBB265_639
.LBB265_635:
	s_or_saveexec_b64 s[6:7], s[6:7]
	v_mov_b32_e32 v1, 0x7e00
	s_xor_b64 exec, exec, s[6:7]
	s_cbranch_execz .LBB265_616
.LBB265_636:
	v_cmp_ne_u16_e32 vcc, 0, v4
	s_andn2_b64 s[2:3], s[2:3], exec
	s_and_b64 s[8:9], vcc, exec
	s_or_b64 s[2:3], s[2:3], s[8:9]
	v_mov_b32_e32 v1, v4
	s_or_b64 exec, exec, s[6:7]
	s_and_saveexec_b64 s[6:7], s[2:3]
	s_cbranch_execnz .LBB265_617
	s_branch .LBB265_618
.LBB265_637:
	s_mov_b64 s[4:5], -1
                                        ; implicit-def: $vgpr1
.LBB265_638:
	s_mov_b64 s[6:7], 0
.LBB265_639:
	s_and_b64 vcc, exec, s[6:7]
	s_cbranch_vccz .LBB265_643
; %bb.640:
	s_cmp_eq_u32 s10, 11
	s_cbranch_scc0 .LBB265_642
; %bb.641:
	global_load_ubyte v1, v[2:3], off
	v_mov_b32_e32 v4, 0x3c00
	s_mov_b64 s[2:3], -1
	s_mov_b64 s[4:5], 0
	s_waitcnt vmcnt(0)
	v_cmp_ne_u16_e32 vcc, 0, v1
	s_nop 1
	v_cndmask_b32_e32 v1, 0, v4, vcc
	s_branch .LBB265_643
.LBB265_642:
	s_mov_b64 s[4:5], -1
                                        ; implicit-def: $vgpr1
.LBB265_643:
	s_mov_b64 s[6:7], 0
.LBB265_644:
	s_and_b64 vcc, exec, s[6:7]
	s_cbranch_vccz .LBB265_693
; %bb.645:
	s_cmp_lt_i32 s10, 5
	s_cbranch_scc1 .LBB265_650
; %bb.646:
	s_cmp_lt_i32 s10, 8
	s_cbranch_scc1 .LBB265_651
	;; [unrolled: 3-line block ×3, first 2 shown]
; %bb.648:
	s_cmp_gt_i32 s10, 9
	s_cbranch_scc0 .LBB265_653
; %bb.649:
	global_load_dwordx2 v[4:5], v[2:3], off
	s_movk_i32 s2, 0x1ff
	s_movk_i32 s3, 0xffe
	s_waitcnt vmcnt(1)
	v_mov_b32_e32 v1, 0x7c00
	v_mov_b32_e32 v6, 0x7e00
	s_movk_i32 s6, 0x40f
	s_mov_b32 s7, 0x8000
	s_waitcnt vmcnt(0)
	v_and_or_b32 v4, v5, s2, v4
	v_cmp_ne_u32_e32 vcc, 0, v4
	v_lshrrev_b32_e32 v7, 8, v5
	v_bfe_u32 v9, v5, 20, 11
	v_cndmask_b32_e64 v4, 0, 1, vcc
	v_sub_u32_e32 v10, 0x3f1, v9
	v_and_or_b32 v4, v7, s3, v4
	v_add_u32_e32 v9, 0xfffffc10, v9
	v_med3_i32 v7, v10, 0, 13
	v_or_b32_e32 v10, 0x1000, v4
	v_cmp_ne_u32_e32 vcc, 0, v4
	v_lshl_or_b32 v11, v9, 12, v4
	v_lshrrev_b32_e32 v5, 16, v5
	v_cndmask_b32_e32 v4, v1, v6, vcc
	v_lshrrev_b32_e32 v6, v7, v10
	v_lshlrev_b32_e32 v7, v7, v6
	v_cmp_ne_u32_e32 vcc, v7, v10
	s_mov_b64 s[2:3], 0
	s_nop 0
	v_cndmask_b32_e64 v7, 0, 1, vcc
	v_or_b32_e32 v6, v6, v7
	v_cmp_gt_i32_e32 vcc, 1, v9
	s_nop 1
	v_cndmask_b32_e32 v6, v11, v6, vcc
	v_and_b32_e32 v7, 7, v6
	v_cmp_lt_i32_e32 vcc, 5, v7
	v_lshrrev_b32_e32 v6, 2, v6
	s_nop 0
	v_cndmask_b32_e64 v10, 0, 1, vcc
	v_cmp_eq_u32_e32 vcc, 3, v7
	s_nop 1
	v_cndmask_b32_e64 v7, 0, 1, vcc
	v_or_b32_e32 v7, v7, v10
	v_add_u32_e32 v6, v6, v7
	v_cmp_gt_i32_e32 vcc, 31, v9
	s_nop 1
	v_cndmask_b32_e32 v1, v1, v6, vcc
	v_cmp_eq_u32_e32 vcc, s6, v9
	s_nop 1
	v_cndmask_b32_e32 v1, v1, v4, vcc
	v_and_or_b32 v1, v5, s7, v1
	s_branch .LBB265_654
.LBB265_650:
	s_mov_b64 s[2:3], -1
                                        ; implicit-def: $vgpr1
	s_branch .LBB265_672
.LBB265_651:
	s_mov_b64 s[2:3], -1
                                        ; implicit-def: $vgpr1
	s_branch .LBB265_660
.LBB265_652:
	s_mov_b64 s[2:3], -1
                                        ; implicit-def: $vgpr1
	s_branch .LBB265_657
.LBB265_653:
	s_mov_b64 s[2:3], -1
                                        ; implicit-def: $vgpr1
.LBB265_654:
	s_andn2_b64 vcc, exec, s[2:3]
	s_cbranch_vccnz .LBB265_656
; %bb.655:
	global_load_dword v1, v[2:3], off
	s_waitcnt vmcnt(0)
	v_cvt_f16_f32_e32 v1, v1
.LBB265_656:
	s_mov_b64 s[2:3], 0
.LBB265_657:
	s_andn2_b64 vcc, exec, s[2:3]
	s_cbranch_vccnz .LBB265_659
; %bb.658:
	global_load_dword v1, v[2:3], off
.LBB265_659:
	s_mov_b64 s[2:3], 0
.LBB265_660:
	s_andn2_b64 vcc, exec, s[2:3]
	s_cbranch_vccnz .LBB265_671
; %bb.661:
	s_cmp_lt_i32 s10, 6
	s_cbranch_scc1 .LBB265_664
; %bb.662:
	s_cmp_gt_i32 s10, 6
	s_cbranch_scc0 .LBB265_665
; %bb.663:
	global_load_dwordx2 v[4:5], v[2:3], off
	s_movk_i32 s2, 0x1ff
	s_movk_i32 s3, 0xffe
	s_waitcnt vmcnt(1)
	v_mov_b32_e32 v1, 0x7c00
	v_mov_b32_e32 v6, 0x7e00
	s_movk_i32 s6, 0x40f
	s_mov_b32 s7, 0x8000
	s_waitcnt vmcnt(0)
	v_and_or_b32 v4, v5, s2, v4
	v_cmp_ne_u32_e32 vcc, 0, v4
	v_lshrrev_b32_e32 v7, 8, v5
	v_bfe_u32 v9, v5, 20, 11
	v_cndmask_b32_e64 v4, 0, 1, vcc
	v_sub_u32_e32 v10, 0x3f1, v9
	v_and_or_b32 v4, v7, s3, v4
	v_add_u32_e32 v9, 0xfffffc10, v9
	v_med3_i32 v7, v10, 0, 13
	v_or_b32_e32 v10, 0x1000, v4
	v_cmp_ne_u32_e32 vcc, 0, v4
	v_lshl_or_b32 v11, v9, 12, v4
	v_lshrrev_b32_e32 v5, 16, v5
	v_cndmask_b32_e32 v4, v1, v6, vcc
	v_lshrrev_b32_e32 v6, v7, v10
	v_lshlrev_b32_e32 v7, v7, v6
	v_cmp_ne_u32_e32 vcc, v7, v10
	s_mov_b64 s[2:3], 0
	s_nop 0
	v_cndmask_b32_e64 v7, 0, 1, vcc
	v_or_b32_e32 v6, v6, v7
	v_cmp_gt_i32_e32 vcc, 1, v9
	s_nop 1
	v_cndmask_b32_e32 v6, v11, v6, vcc
	v_and_b32_e32 v7, 7, v6
	v_cmp_lt_i32_e32 vcc, 5, v7
	v_lshrrev_b32_e32 v6, 2, v6
	s_nop 0
	v_cndmask_b32_e64 v10, 0, 1, vcc
	v_cmp_eq_u32_e32 vcc, 3, v7
	s_nop 1
	v_cndmask_b32_e64 v7, 0, 1, vcc
	v_or_b32_e32 v7, v7, v10
	v_add_u32_e32 v6, v6, v7
	v_cmp_gt_i32_e32 vcc, 31, v9
	s_nop 1
	v_cndmask_b32_e32 v1, v1, v6, vcc
	v_cmp_eq_u32_e32 vcc, s6, v9
	s_nop 1
	v_cndmask_b32_e32 v1, v1, v4, vcc
	v_and_or_b32 v1, v5, s7, v1
	s_branch .LBB265_666
.LBB265_664:
	s_mov_b64 s[2:3], -1
                                        ; implicit-def: $vgpr1
	s_branch .LBB265_669
.LBB265_665:
	s_mov_b64 s[2:3], -1
                                        ; implicit-def: $vgpr1
.LBB265_666:
	s_andn2_b64 vcc, exec, s[2:3]
	s_cbranch_vccnz .LBB265_668
; %bb.667:
	global_load_dword v1, v[2:3], off
	s_waitcnt vmcnt(0)
	v_cvt_f16_f32_e32 v1, v1
.LBB265_668:
	s_mov_b64 s[2:3], 0
.LBB265_669:
	s_andn2_b64 vcc, exec, s[2:3]
	s_cbranch_vccnz .LBB265_671
; %bb.670:
	global_load_ushort v1, v[2:3], off
.LBB265_671:
	s_mov_b64 s[2:3], 0
.LBB265_672:
	s_andn2_b64 vcc, exec, s[2:3]
	s_cbranch_vccnz .LBB265_692
; %bb.673:
	s_cmp_lt_i32 s10, 2
	s_cbranch_scc1 .LBB265_677
; %bb.674:
	s_cmp_lt_i32 s10, 3
	s_cbranch_scc1 .LBB265_678
; %bb.675:
	s_cmp_gt_i32 s10, 3
	s_cbranch_scc0 .LBB265_679
; %bb.676:
	global_load_dwordx2 v[4:5], v[2:3], off
	s_mov_b64 s[2:3], 0
	s_waitcnt vmcnt(0)
	v_xor_b32_e32 v6, v4, v5
	v_ffbh_i32_e32 v1, v5
	v_ashrrev_i32_e32 v6, 31, v6
	v_add_u32_e32 v1, -1, v1
	v_add_u32_e32 v6, 32, v6
	v_min_u32_e32 v1, v1, v6
	v_lshlrev_b64 v[4:5], v1, v[4:5]
	v_min_u32_e32 v4, 1, v4
	v_or_b32_e32 v4, v5, v4
	v_cvt_f32_i32_e32 v4, v4
	v_sub_u32_e32 v1, 32, v1
	v_ldexp_f32 v1, v4, v1
	v_cvt_f16_f32_e32 v1, v1
	s_branch .LBB265_680
.LBB265_677:
	s_mov_b64 s[2:3], -1
                                        ; implicit-def: $vgpr1
	s_branch .LBB265_686
.LBB265_678:
	s_mov_b64 s[2:3], -1
                                        ; implicit-def: $vgpr1
	s_branch .LBB265_683
.LBB265_679:
	s_mov_b64 s[2:3], -1
                                        ; implicit-def: $vgpr1
.LBB265_680:
	s_andn2_b64 vcc, exec, s[2:3]
	s_cbranch_vccnz .LBB265_682
; %bb.681:
	global_load_dword v1, v[2:3], off
	s_waitcnt vmcnt(0)
	v_cvt_f32_i32_e32 v1, v1
	v_cvt_f16_f32_e32 v1, v1
.LBB265_682:
	s_mov_b64 s[2:3], 0
.LBB265_683:
	s_andn2_b64 vcc, exec, s[2:3]
	s_cbranch_vccnz .LBB265_685
; %bb.684:
	global_load_ushort v1, v[2:3], off
	s_waitcnt vmcnt(0)
	v_cvt_f16_i16_e32 v1, v1
.LBB265_685:
	s_mov_b64 s[2:3], 0
.LBB265_686:
	s_andn2_b64 vcc, exec, s[2:3]
	s_cbranch_vccnz .LBB265_692
; %bb.687:
	s_cmp_gt_i32 s10, 0
	s_cbranch_scc0 .LBB265_689
; %bb.688:
	global_load_sbyte v1, v[2:3], off
	s_mov_b64 s[2:3], 0
	s_waitcnt vmcnt(0)
	v_cvt_f16_i16_e32 v1, v1
	s_branch .LBB265_690
.LBB265_689:
	s_mov_b64 s[2:3], -1
                                        ; implicit-def: $vgpr1
.LBB265_690:
	s_andn2_b64 vcc, exec, s[2:3]
	s_cbranch_vccnz .LBB265_692
; %bb.691:
	global_load_ubyte v1, v[2:3], off
	s_waitcnt vmcnt(0)
	v_cvt_f16_u16_e32 v1, v1
.LBB265_692:
	s_mov_b64 s[2:3], -1
.LBB265_693:
	s_andn2_b64 vcc, exec, s[2:3]
	s_cbranch_vccnz .LBB265_701
; %bb.694:
	s_waitcnt vmcnt(0)
	v_cvt_f32_f16_e32 v1, v1
	s_mov_b32 s2, 0xf800000
	v_mov_b32_e32 v3, 0x260
	s_and_b32 s12, s73, 0xff
	v_mul_f32_e32 v2, 0x4f800000, v1
	v_cmp_gt_f32_e32 vcc, s2, v1
	s_cmp_lt_i32 s12, 11
	s_nop 0
	v_cndmask_b32_e32 v1, v1, v2, vcc
	v_rsq_f32_e32 v2, v1
	s_nop 0
	v_mul_f32_e32 v4, v1, v2
	v_mul_f32_e32 v2, 0.5, v2
	v_fma_f32 v5, -v2, v4, 0.5
	v_fmac_f32_e32 v4, v4, v5
	v_fmac_f32_e32 v2, v2, v5
	v_fma_f32 v5, -v4, v4, v1
	v_fmac_f32_e32 v4, v5, v2
	v_mul_f32_e32 v2, 0x37800000, v4
	v_cndmask_b32_e32 v2, v4, v2, vcc
	v_cmp_class_f32_e32 vcc, v1, v3
	s_nop 1
	v_cndmask_b32_e32 v1, v2, v1, vcc
	v_cvt_f16_f32_e32 v2, v1
	v_mov_b32_e32 v1, 0
	v_lshl_add_u64 v[0:1], s[20:21], 0, v[0:1]
	s_cbranch_scc1 .LBB265_702
; %bb.695:
	s_and_b32 s13, 0xffff, s12
	s_cmp_gt_i32 s13, 25
	s_cbranch_scc0 .LBB265_703
; %bb.696:
	s_cmp_gt_i32 s13, 28
	s_cbranch_scc0 .LBB265_704
; %bb.697:
	;; [unrolled: 3-line block ×4, first 2 shown]
	s_mov_b64 s[8:9], 0
	s_mov_b64 s[2:3], -1
	s_cmp_eq_u32 s13, 46
	s_mov_b64 s[6:7], 0
	s_cbranch_scc0 .LBB265_707
; %bb.700:
	v_cvt_f32_f16_e32 v3, v2
	s_movk_i32 s2, 0x7fff
	v_cmp_o_f16_e32 vcc, v2, v2
	v_mov_b32_e32 v4, 0x7fc0
	v_bfe_u32 v5, v3, 16, 1
	v_add3_u32 v3, v3, v5, s2
	v_cndmask_b32_sdwa v3, v4, v3, vcc dst_sel:DWORD dst_unused:UNUSED_PAD src0_sel:DWORD src1_sel:WORD_1
	global_store_dword v[0:1], v3, off
	s_mov_b64 s[6:7], -1
	s_mov_b64 s[2:3], 0
	s_branch .LBB265_707
.LBB265_701:
	s_mov_b64 s[6:7], 0
	s_mov_b64 s[2:3], s[62:63]
	s_branch .LBB265_818
.LBB265_702:
	s_mov_b64 s[8:9], -1
	s_mov_b64 s[6:7], 0
	s_mov_b64 s[2:3], s[62:63]
	s_branch .LBB265_776
.LBB265_703:
	s_mov_b64 s[8:9], -1
	s_mov_b64 s[6:7], 0
	s_mov_b64 s[2:3], s[62:63]
	s_branch .LBB265_734
.LBB265_704:
	s_mov_b64 s[8:9], -1
	s_mov_b64 s[6:7], 0
	s_mov_b64 s[2:3], s[62:63]
	s_branch .LBB265_717
.LBB265_705:
	s_mov_b64 s[8:9], -1
	s_mov_b64 s[6:7], 0
	s_mov_b64 s[2:3], s[62:63]
	s_branch .LBB265_713
.LBB265_706:
	s_mov_b64 s[8:9], -1
	s_mov_b64 s[6:7], 0
	s_mov_b64 s[2:3], s[62:63]
.LBB265_707:
	s_and_b64 vcc, exec, s[8:9]
	s_cbranch_vccz .LBB265_712
; %bb.708:
	s_cmp_eq_u32 s13, 44
	s_mov_b64 s[2:3], -1
	s_cbranch_scc0 .LBB265_712
; %bb.709:
	v_cvt_f32_f16_e32 v3, v2
	s_movk_i32 s2, 0xff
	v_mov_b32_e32 v5, 0xff
	v_bfe_u32 v4, v3, 23, 8
	v_cmp_ne_u32_e32 vcc, s2, v4
	s_and_saveexec_b64 s[6:7], vcc
; %bb.710:
	s_mov_b32 s2, 0x3fffff
	v_lshrrev_b32_e32 v5, 23, v3
	v_and_b32_e32 v6, 0x400000, v3
	v_and_or_b32 v3, v3, s2, v4
	v_cmp_ne_u32_e32 vcc, 0, v6
	v_cmp_ne_u32_e64 s[2:3], 0, v3
	s_and_b64 s[2:3], vcc, s[2:3]
	s_nop 0
	v_cndmask_b32_e64 v3, 0, 1, s[2:3]
	v_add_u32_e32 v5, v5, v3
; %bb.711:
	s_or_b64 exec, exec, s[6:7]
	s_mov_b64 s[6:7], -1
	s_mov_b64 s[2:3], 0
	global_store_byte v[0:1], v5, off
.LBB265_712:
	s_mov_b64 s[8:9], 0
.LBB265_713:
	s_and_b64 vcc, exec, s[8:9]
	s_cbranch_vccz .LBB265_716
; %bb.714:
	s_cmp_eq_u32 s13, 29
	s_mov_b64 s[2:3], -1
	s_cbranch_scc0 .LBB265_716
; %bb.715:
	v_cvt_f32_f16_e32 v3, v2
	v_mov_b32_e32 v5, 0
	s_mov_b64 s[6:7], -1
	s_mov_b64 s[2:3], 0
	v_cvt_u32_f32_e32 v4, v3
	s_mov_b64 s[8:9], 0
	global_store_dwordx2 v[0:1], v[4:5], off
	s_branch .LBB265_717
.LBB265_716:
	s_mov_b64 s[8:9], 0
.LBB265_717:
	s_and_b64 vcc, exec, s[8:9]
	s_cbranch_vccz .LBB265_733
; %bb.718:
	s_cmp_lt_i32 s13, 27
	s_mov_b64 s[6:7], -1
	s_cbranch_scc1 .LBB265_724
; %bb.719:
	s_cmp_gt_i32 s13, 27
	s_cbranch_scc0 .LBB265_721
; %bb.720:
	v_cvt_f32_f16_e32 v3, v2
	s_mov_b64 s[6:7], 0
	v_cvt_u32_f32_e32 v3, v3
	global_store_dword v[0:1], v3, off
.LBB265_721:
	s_andn2_b64 vcc, exec, s[6:7]
	s_cbranch_vccnz .LBB265_723
; %bb.722:
	v_cvt_u16_f16_e32 v3, v2
	global_store_short v[0:1], v3, off
.LBB265_723:
	s_mov_b64 s[6:7], 0
.LBB265_724:
	s_andn2_b64 vcc, exec, s[6:7]
	s_cbranch_vccnz .LBB265_732
; %bb.725:
	v_cvt_f32_f16_e32 v3, v2
	s_mov_b32 s6, 0x43800000
	v_mov_b32_e32 v5, 0x80
	v_and_b32_e32 v4, 0x7fffffff, v3
	v_cmp_gt_u32_e32 vcc, s6, v4
	s_and_saveexec_b64 s[6:7], vcc
	s_cbranch_execz .LBB265_731
; %bb.726:
	s_mov_b32 s8, 0x3bffffff
	v_cmp_lt_u32_e32 vcc, s8, v4
	s_mov_b64 s[8:9], 0
                                        ; implicit-def: $vgpr4
	s_and_saveexec_b64 s[10:11], vcc
	s_xor_b64 s[10:11], exec, s[10:11]
	s_cbranch_execz .LBB265_849
; %bb.727:
	v_bfe_u32 v4, v3, 20, 1
	s_mov_b32 s14, 0x487ffff
	v_add3_u32 v4, v3, v4, s14
	s_mov_b64 s[8:9], exec
	v_lshrrev_b32_e32 v4, 20, v4
	s_andn2_saveexec_b64 s[10:11], s[10:11]
	s_cbranch_execnz .LBB265_850
.LBB265_728:
	s_or_b64 exec, exec, s[10:11]
	v_mov_b32_e32 v5, 0
	s_and_saveexec_b64 s[10:11], s[8:9]
.LBB265_729:
	v_lshrrev_b32_e32 v3, 24, v3
	s_movk_i32 s8, 0x80
	v_and_or_b32 v5, v3, s8, v4
.LBB265_730:
	s_or_b64 exec, exec, s[10:11]
.LBB265_731:
	s_or_b64 exec, exec, s[6:7]
	global_store_byte v[0:1], v5, off
.LBB265_732:
	s_mov_b64 s[6:7], -1
.LBB265_733:
	s_mov_b64 s[8:9], 0
.LBB265_734:
	s_and_b64 vcc, exec, s[8:9]
	s_cbranch_vccz .LBB265_775
; %bb.735:
	s_cmp_gt_i32 s13, 22
	s_mov_b64 s[8:9], -1
	s_cbranch_scc0 .LBB265_767
; %bb.736:
	s_cmp_lt_i32 s13, 24
	s_mov_b64 s[6:7], -1
	s_cbranch_scc1 .LBB265_756
; %bb.737:
	s_cmp_gt_i32 s13, 24
	s_cbranch_scc0 .LBB265_745
; %bb.738:
	v_cvt_f32_f16_e32 v3, v2
	s_mov_b32 s6, 0x47800000
	v_mov_b32_e32 v5, 0x80
	v_and_b32_e32 v4, 0x7fffffff, v3
	v_cmp_gt_u32_e32 vcc, s6, v4
	s_and_saveexec_b64 s[6:7], vcc
	s_cbranch_execz .LBB265_744
; %bb.739:
	s_mov_b32 s8, 0x37ffffff
	v_cmp_lt_u32_e32 vcc, s8, v4
	s_mov_b64 s[8:9], 0
                                        ; implicit-def: $vgpr4
	s_and_saveexec_b64 s[10:11], vcc
	s_xor_b64 s[10:11], exec, s[10:11]
	s_cbranch_execz .LBB265_852
; %bb.740:
	v_bfe_u32 v4, v3, 21, 1
	s_mov_b32 s14, 0x88fffff
	v_add3_u32 v4, v3, v4, s14
	s_mov_b64 s[8:9], exec
	v_lshrrev_b32_e32 v4, 21, v4
	s_andn2_saveexec_b64 s[10:11], s[10:11]
	s_cbranch_execnz .LBB265_853
.LBB265_741:
	s_or_b64 exec, exec, s[10:11]
	v_mov_b32_e32 v5, 0
	s_and_saveexec_b64 s[10:11], s[8:9]
.LBB265_742:
	v_lshrrev_b32_e32 v3, 24, v3
	s_movk_i32 s8, 0x80
	v_and_or_b32 v5, v3, s8, v4
.LBB265_743:
	s_or_b64 exec, exec, s[10:11]
.LBB265_744:
	s_or_b64 exec, exec, s[6:7]
	s_mov_b64 s[6:7], 0
	global_store_byte v[0:1], v5, off
.LBB265_745:
	s_and_b64 vcc, exec, s[6:7]
	s_cbranch_vccz .LBB265_755
; %bb.746:
	v_cvt_f32_f16_e32 v3, v2
	s_mov_b32 s6, 0x43f00000
                                        ; implicit-def: $vgpr4
	v_and_b32_e32 v5, 0x7fffffff, v3
	v_cmp_gt_u32_e32 vcc, s6, v5
	s_and_saveexec_b64 s[6:7], vcc
	s_xor_b64 s[6:7], exec, s[6:7]
	s_cbranch_execz .LBB265_752
; %bb.747:
	s_mov_b32 s8, 0x3c7fffff
	v_cmp_lt_u32_e32 vcc, s8, v5
                                        ; implicit-def: $vgpr4
	s_and_saveexec_b64 s[8:9], vcc
	s_xor_b64 s[8:9], exec, s[8:9]
; %bb.748:
	v_bfe_u32 v4, v3, 20, 1
	s_mov_b32 s10, 0x407ffff
	v_add3_u32 v4, v3, v4, s10
	v_lshrrev_b32_e32 v5, 20, v4
	v_and_b32_e32 v4, 0xff00000, v4
	s_mov_b32 s10, 0x7f00000
	v_mov_b32_e32 v6, 0x7e
	v_cmp_ne_u32_e32 vcc, s10, v4
	s_nop 1
	v_cndmask_b32_e32 v4, v6, v5, vcc
; %bb.749:
	s_andn2_saveexec_b64 s[8:9], s[8:9]
; %bb.750:
	s_mov_b32 s10, 0x46800000
	v_add_f32_e64 v4, |v3|, s10
; %bb.751:
	s_or_b64 exec, exec, s[8:9]
                                        ; implicit-def: $vgpr5
.LBB265_752:
	s_andn2_saveexec_b64 s[6:7], s[6:7]
; %bb.753:
	s_mov_b32 s8, 0x7f800000
	v_mov_b32_e32 v4, 0x7e
	v_mov_b32_e32 v6, 0x7f
	v_cmp_lt_u32_e32 vcc, s8, v5
	s_nop 1
	v_cndmask_b32_e32 v4, v4, v6, vcc
; %bb.754:
	s_or_b64 exec, exec, s[6:7]
	v_lshrrev_b32_e32 v3, 24, v3
	s_movk_i32 s6, 0x80
	v_and_or_b32 v3, v3, s6, v4
	global_store_byte v[0:1], v3, off
.LBB265_755:
	s_mov_b64 s[6:7], 0
.LBB265_756:
	s_andn2_b64 vcc, exec, s[6:7]
	s_cbranch_vccnz .LBB265_766
; %bb.757:
	v_cvt_f32_f16_e32 v3, v2
	s_mov_b32 s6, 0x47800000
                                        ; implicit-def: $vgpr4
	v_and_b32_e32 v5, 0x7fffffff, v3
	v_cmp_gt_u32_e32 vcc, s6, v5
	s_and_saveexec_b64 s[6:7], vcc
	s_xor_b64 s[6:7], exec, s[6:7]
	s_cbranch_execz .LBB265_763
; %bb.758:
	s_mov_b32 s8, 0x387fffff
	v_cmp_lt_u32_e32 vcc, s8, v5
                                        ; implicit-def: $vgpr4
	s_and_saveexec_b64 s[8:9], vcc
	s_xor_b64 s[8:9], exec, s[8:9]
; %bb.759:
	v_bfe_u32 v4, v3, 21, 1
	s_mov_b32 s10, 0x80fffff
	v_add3_u32 v4, v3, v4, s10
	v_lshrrev_b32_e32 v4, 21, v4
; %bb.760:
	s_andn2_saveexec_b64 s[8:9], s[8:9]
; %bb.761:
	s_mov_b32 s10, 0x43000000
	v_add_f32_e64 v4, |v3|, s10
; %bb.762:
	s_or_b64 exec, exec, s[8:9]
                                        ; implicit-def: $vgpr5
.LBB265_763:
	s_andn2_saveexec_b64 s[6:7], s[6:7]
; %bb.764:
	s_mov_b32 s8, 0x7f800000
	v_mov_b32_e32 v4, 0x7c
	v_mov_b32_e32 v6, 0x7f
	v_cmp_lt_u32_e32 vcc, s8, v5
	s_nop 1
	v_cndmask_b32_e32 v4, v4, v6, vcc
; %bb.765:
	s_or_b64 exec, exec, s[6:7]
	v_lshrrev_b32_e32 v3, 24, v3
	s_movk_i32 s6, 0x80
	v_and_or_b32 v3, v3, s6, v4
	global_store_byte v[0:1], v3, off
.LBB265_766:
	s_mov_b64 s[8:9], 0
	s_mov_b64 s[6:7], -1
.LBB265_767:
	s_andn2_b64 vcc, exec, s[8:9]
	s_cbranch_vccnz .LBB265_775
; %bb.768:
	s_cmp_gt_i32 s13, 14
	s_mov_b64 s[8:9], -1
	s_cbranch_scc0 .LBB265_772
; %bb.769:
	s_cmp_eq_u32 s13, 15
	s_mov_b64 s[2:3], -1
	s_cbranch_scc0 .LBB265_771
; %bb.770:
	v_cvt_f32_f16_e32 v3, v2
	s_movk_i32 s2, 0x7fff
	v_cmp_o_f16_e32 vcc, v2, v2
	v_mov_b32_e32 v4, 0x7fc0
	v_bfe_u32 v5, v3, 16, 1
	v_add3_u32 v3, v3, v5, s2
	v_cndmask_b32_sdwa v3, v4, v3, vcc dst_sel:DWORD dst_unused:UNUSED_PAD src0_sel:DWORD src1_sel:WORD_1
	global_store_short v[0:1], v3, off
	s_mov_b64 s[6:7], -1
	s_mov_b64 s[2:3], 0
.LBB265_771:
	s_mov_b64 s[8:9], 0
.LBB265_772:
	s_and_b64 vcc, exec, s[8:9]
	s_cbranch_vccz .LBB265_775
; %bb.773:
	s_cmp_eq_u32 s13, 11
	s_mov_b64 s[2:3], -1
	s_cbranch_scc0 .LBB265_775
; %bb.774:
	v_cmp_neq_f16_e32 vcc, 0, v2
	s_mov_b64 s[6:7], -1
	s_mov_b64 s[2:3], 0
	v_cndmask_b32_e64 v3, 0, 1, vcc
	global_store_byte v[0:1], v3, off
.LBB265_775:
	s_mov_b64 s[8:9], 0
.LBB265_776:
	s_and_b64 vcc, exec, s[8:9]
	s_cbranch_vccz .LBB265_815
; %bb.777:
	s_and_b32 s8, 0xffff, s12
	s_cmp_lt_i32 s8, 5
	s_mov_b64 s[6:7], -1
	s_cbranch_scc1 .LBB265_798
; %bb.778:
	s_cmp_lt_i32 s8, 8
	s_cbranch_scc1 .LBB265_788
; %bb.779:
	s_cmp_lt_i32 s8, 9
	s_cbranch_scc1 .LBB265_785
; %bb.780:
	s_cmp_gt_i32 s8, 9
	s_cbranch_scc0 .LBB265_782
; %bb.781:
	v_cvt_f32_f16_e32 v3, v2
	v_mov_b32_e32 v6, 0
	v_mov_b32_e32 v7, v6
	s_mov_b64 s[6:7], 0
	v_cvt_f64_f32_e32 v[4:5], v3
	global_store_dwordx4 v[0:1], v[4:7], off
.LBB265_782:
	s_andn2_b64 vcc, exec, s[6:7]
	s_cbranch_vccnz .LBB265_784
; %bb.783:
	v_cvt_f32_f16_e32 v4, v2
	v_mov_b32_e32 v5, 0
	global_store_dwordx2 v[0:1], v[4:5], off
.LBB265_784:
	s_mov_b64 s[6:7], 0
.LBB265_785:
	s_andn2_b64 vcc, exec, s[6:7]
	s_cbranch_vccnz .LBB265_787
; %bb.786:
	global_store_dword v[0:1], v2, off
.LBB265_787:
	s_mov_b64 s[6:7], 0
.LBB265_788:
	s_andn2_b64 vcc, exec, s[6:7]
	s_cbranch_vccnz .LBB265_797
; %bb.789:
	s_cmp_lt_i32 s8, 6
	s_mov_b64 s[6:7], -1
	s_cbranch_scc1 .LBB265_795
; %bb.790:
	s_cmp_gt_i32 s8, 6
	s_cbranch_scc0 .LBB265_792
; %bb.791:
	v_cvt_f32_f16_e32 v3, v2
	s_mov_b64 s[6:7], 0
	v_cvt_f64_f32_e32 v[4:5], v3
	global_store_dwordx2 v[0:1], v[4:5], off
.LBB265_792:
	s_andn2_b64 vcc, exec, s[6:7]
	s_cbranch_vccnz .LBB265_794
; %bb.793:
	v_cvt_f32_f16_e32 v3, v2
	global_store_dword v[0:1], v3, off
.LBB265_794:
	s_mov_b64 s[6:7], 0
.LBB265_795:
	s_andn2_b64 vcc, exec, s[6:7]
	s_cbranch_vccnz .LBB265_797
; %bb.796:
	global_store_short v[0:1], v2, off
.LBB265_797:
	s_mov_b64 s[6:7], 0
.LBB265_798:
	s_andn2_b64 vcc, exec, s[6:7]
	s_cbranch_vccnz .LBB265_814
; %bb.799:
	s_cmp_lt_i32 s8, 2
	s_mov_b64 s[6:7], -1
	s_cbranch_scc1 .LBB265_809
; %bb.800:
	s_cmp_lt_i32 s8, 3
	s_cbranch_scc1 .LBB265_806
; %bb.801:
	s_cmp_gt_i32 s8, 3
	s_cbranch_scc0 .LBB265_803
; %bb.802:
	v_cvt_f32_f16_e32 v3, v2
	s_mov_b64 s[6:7], 0
	v_cvt_i32_f32_e32 v4, v3
	v_ashrrev_i32_e32 v5, 31, v4
	global_store_dwordx2 v[0:1], v[4:5], off
.LBB265_803:
	s_andn2_b64 vcc, exec, s[6:7]
	s_cbranch_vccnz .LBB265_805
; %bb.804:
	v_cvt_f32_f16_e32 v3, v2
	v_cvt_i32_f32_e32 v3, v3
	global_store_dword v[0:1], v3, off
.LBB265_805:
	s_mov_b64 s[6:7], 0
.LBB265_806:
	s_andn2_b64 vcc, exec, s[6:7]
	s_cbranch_vccnz .LBB265_808
; %bb.807:
	v_cvt_i16_f16_e32 v3, v2
	global_store_short v[0:1], v3, off
.LBB265_808:
	s_mov_b64 s[6:7], 0
.LBB265_809:
	s_andn2_b64 vcc, exec, s[6:7]
	s_cbranch_vccnz .LBB265_814
; %bb.810:
	s_cmp_gt_i32 s8, 0
	s_mov_b64 s[6:7], -1
	s_cbranch_scc0 .LBB265_812
; %bb.811:
	v_cvt_i16_f16_e32 v3, v2
	s_mov_b64 s[6:7], 0
	global_store_byte v[0:1], v3, off
.LBB265_812:
	s_andn2_b64 vcc, exec, s[6:7]
	s_cbranch_vccnz .LBB265_814
; %bb.813:
	v_cvt_f32_f16_e32 v2, v2
	v_cvt_i32_f32_e32 v2, v2
	global_store_byte v[0:1], v2, off
.LBB265_814:
	s_mov_b64 s[6:7], -1
.LBB265_815:
	s_andn2_b64 vcc, exec, s[6:7]
	s_cbranch_vccnz .LBB265_817
; %bb.816:
	v_add_u32_e32 v8, 0x80, v8
	s_mov_b64 s[6:7], -1
	s_branch .LBB265_819
.LBB265_817:
	s_mov_b64 s[6:7], 0
.LBB265_818:
                                        ; implicit-def: $vgpr8
.LBB265_819:
	s_andn2_b64 s[8:9], s[62:63], exec
	s_and_b64 s[2:3], s[2:3], exec
	s_or_b64 s[68:69], s[8:9], s[2:3]
	s_andn2_b64 s[2:3], s[60:61], exec
	s_and_b64 s[4:5], s[4:5], exec
	s_or_b64 s[2:3], s[2:3], s[4:5]
	s_orn2_b64 s[6:7], s[6:7], exec
.LBB265_820:
	s_or_b64 exec, exec, s[66:67]
	s_mov_b64 s[4:5], 0
	s_mov_b64 s[10:11], 0
	;; [unrolled: 1-line block ×3, first 2 shown]
                                        ; implicit-def: $vgpr2_vgpr3
                                        ; implicit-def: $vgpr0
                                        ; implicit-def: $vgpr1
	s_and_saveexec_b64 s[66:67], s[6:7]
	s_cbranch_execz .LBB265_920
; %bb.821:
	v_cmp_gt_i32_e32 vcc, s70, v8
	s_mov_b64 s[6:7], 0
	s_mov_b64 s[12:13], s[2:3]
                                        ; implicit-def: $vgpr2_vgpr3
                                        ; implicit-def: $vgpr0
                                        ; implicit-def: $vgpr1
	s_and_saveexec_b64 s[70:71], vcc
	s_cbranch_execz .LBB265_919
; %bb.822:
	s_andn2_b64 vcc, exec, s[42:43]
	s_cbranch_vccnz .LBB265_828
; %bb.823:
	s_andn2_b64 vcc, exec, s[52:53]
	s_cbranch_vccnz .LBB265_829
; %bb.824:
	s_add_i32 s76, s75, 1
	s_cmp_eq_u32 s72, 2
	s_cbranch_scc1 .LBB265_830
; %bb.825:
	s_and_b32 s75, s76, 28
	s_mov_b32 s77, 0
	v_mov_b32_e32 v0, 0
	v_mov_b32_e32 v2, 0
	s_mov_b64 s[52:53], s[34:35]
	v_mov_b32_e32 v4, v8
.LBB265_826:                            ; =>This Inner Loop Header: Depth=1
	s_load_dwordx8 s[12:19], s[52:53], 0x4
	s_load_dwordx4 s[36:39], s[52:53], 0x24
	s_load_dwordx8 s[4:11], s[50:51], 0x0
	s_add_u32 s52, s52, 48
	s_addc_u32 s53, s53, 0
	s_waitcnt vmcnt(0) lgkmcnt(0)
	v_mul_hi_u32 v1, s13, v4
	v_add_u32_e32 v1, v4, v1
	v_lshrrev_b32_e32 v1, s14, v1
	v_mul_lo_u32 v3, v1, s12
	v_mul_hi_u32 v5, s16, v1
	v_sub_u32_e32 v3, v4, v3
	v_add_u32_e32 v4, v1, v5
	v_lshrrev_b32_e32 v4, s17, v4
	v_mul_lo_u32 v6, v4, s15
	v_mul_hi_u32 v7, s19, v4
	v_sub_u32_e32 v1, v1, v6
	v_add_u32_e32 v6, v4, v7
	v_mul_lo_u32 v5, v3, s5
	v_mul_lo_u32 v3, v3, s4
	;; [unrolled: 1-line block ×4, first 2 shown]
	v_lshrrev_b32_e32 v6, s36, v6
	v_add3_u32 v0, v3, v0, v1
	v_mul_hi_u32 v3, s38, v6
	v_add3_u32 v1, v5, v2, v7
	v_mul_lo_u32 v2, v6, s18
	v_add_u32_e32 v3, v6, v3
	v_sub_u32_e32 v2, v4, v2
	v_lshrrev_b32_e32 v4, s39, v3
	s_add_i32 s77, s77, 4
	v_mul_lo_u32 v3, v4, s37
	s_add_u32 s50, s50, 32
	v_sub_u32_e32 v3, v6, v3
	s_addc_u32 s51, s51, 0
	v_mul_lo_u32 v5, v2, s8
	v_mul_lo_u32 v2, v2, s9
	;; [unrolled: 1-line block ×4, first 2 shown]
	s_cmp_eq_u32 s75, s77
	v_add3_u32 v2, v2, v1, v3
	v_add3_u32 v0, v5, v0, v6
	s_cbranch_scc0 .LBB265_826
; %bb.827:
	v_mov_b32_e32 v1, v2
	s_branch .LBB265_831
.LBB265_828:
	s_mov_b64 s[4:5], -1
                                        ; implicit-def: $vgpr2
                                        ; implicit-def: $vgpr0
	s_branch .LBB265_835
.LBB265_829:
	v_mov_b32_e32 v2, 0
	v_mov_b32_e32 v0, 0
	s_branch .LBB265_834
.LBB265_830:
	v_mov_b32_e32 v0, 0
	s_mov_b32 s75, 0
	s_waitcnt vmcnt(0)
	v_mov_b32_e32 v1, v0
                                        ; implicit-def: $vgpr2
	v_mov_b32_e32 v4, v8
.LBB265_831:
	s_and_b32 s8, s76, 3
	s_cmp_eq_u32 s8, 0
	s_cbranch_scc1 .LBB265_834
; %bb.832:
	s_lshl_b32 s4, s75, 3
	s_add_u32 s4, s34, s4
	s_addc_u32 s5, s35, 0
	s_add_u32 s4, s4, 0xc4
	s_addc_u32 s5, s5, 0
	s_mul_i32 s6, s75, 12
	s_add_u32 s6, s34, s6
	s_addc_u32 s7, s35, 0
.LBB265_833:                            ; =>This Inner Loop Header: Depth=1
	s_load_dwordx2 s[10:11], s[6:7], 0x4
	s_load_dword s9, s[6:7], 0xc
	s_load_dwordx2 s[12:13], s[4:5], 0x0
	v_mov_b32_e32 v2, v1
	s_add_u32 s6, s6, 12
	s_waitcnt lgkmcnt(0)
	v_mul_hi_u32 v1, s11, v4
	v_add_u32_e32 v1, v4, v1
	v_lshrrev_b32_e32 v1, s9, v1
	s_addc_u32 s7, s7, 0
	v_mul_lo_u32 v3, v1, s10
	s_add_u32 s4, s4, 8
	v_sub_u32_e32 v5, v4, v3
	s_addc_u32 s5, s5, 0
	s_add_i32 s8, s8, -1
	v_mov_b32_e32 v4, v1
	v_mad_u64_u32 v[2:3], s[10:11], v5, s13, v[2:3]
	v_mad_u64_u32 v[0:1], s[10:11], v5, s12, v[0:1]
	s_cmp_lg_u32 s8, 0
	v_mov_b32_e32 v1, v2
	s_cbranch_scc1 .LBB265_833
.LBB265_834:
	s_mov_b64 s[4:5], 0
.LBB265_835:
	s_andn2_b64 vcc, exec, s[4:5]
	s_cbranch_vccnz .LBB265_838
; %bb.836:
	s_waitcnt lgkmcnt(0)
	v_mul_hi_u32 v0, s29, v8
	v_add_u32_e32 v0, v8, v0
	s_waitcnt vmcnt(0)
	v_lshrrev_b32_e32 v1, s30, v0
	v_mul_lo_u32 v0, v1, s28
	v_sub_u32_e32 v0, v8, v0
	v_mul_lo_u32 v2, v0, s25
	s_andn2_b64 vcc, exec, s[48:49]
	v_mul_lo_u32 v0, v0, s24
	s_cbranch_vccnz .LBB265_838
; %bb.837:
	v_mul_hi_u32 v3, s46, v1
	v_add_u32_e32 v3, v1, v3
	v_lshrrev_b32_e32 v3, s47, v3
	v_mul_lo_u32 v3, v3, s31
	v_sub_u32_e32 v3, v1, v3
	v_mad_u64_u32 v[0:1], s[4:5], v3, s26, v[0:1]
	v_mad_u64_u32 v[2:3], s[4:5], v3, s27, v[2:3]
.LBB265_838:
	v_mov_b32_e32 v3, 0
	s_and_b32 s14, 0xffff, s74
	s_cmp_lt_i32 s14, 11
	s_waitcnt lgkmcnt(0)
	v_lshl_add_u64 v[2:3], s[22:23], 0, v[2:3]
	s_cbranch_scc1 .LBB265_845
; %bb.839:
	s_cmp_gt_i32 s14, 25
	s_mov_b64 s[6:7], 0
	s_cbranch_scc0 .LBB265_846
; %bb.840:
	s_cmp_gt_i32 s14, 28
	s_cbranch_scc0 .LBB265_847
; %bb.841:
	s_cmp_gt_i32 s14, 43
	;; [unrolled: 3-line block ×3, first 2 shown]
	s_cbranch_scc0 .LBB265_851
; %bb.843:
	s_cmp_eq_u32 s14, 46
	s_mov_b64 s[10:11], 0
	s_cbranch_scc0 .LBB265_854
; %bb.844:
	global_load_dword v1, v[2:3], off
	s_mov_b64 s[4:5], 0
	s_mov_b64 s[8:9], -1
	s_waitcnt vmcnt(0)
	v_lshlrev_b32_e32 v1, 16, v1
	v_cvt_f16_f32_e32 v1, v1
	s_branch .LBB265_855
.LBB265_845:
	s_mov_b64 s[10:11], -1
	s_mov_b64 s[8:9], 0
	s_mov_b64 s[6:7], 0
	s_mov_b64 s[4:5], s[2:3]
                                        ; implicit-def: $vgpr1
	s_branch .LBB265_918
.LBB265_846:
	s_mov_b64 s[10:11], -1
	s_mov_b64 s[8:9], 0
	s_mov_b64 s[4:5], s[2:3]
                                        ; implicit-def: $vgpr1
	s_branch .LBB265_884
.LBB265_847:
	s_mov_b64 s[10:11], -1
	s_mov_b64 s[8:9], 0
	s_mov_b64 s[4:5], s[2:3]
                                        ; implicit-def: $vgpr1
	s_branch .LBB265_865
.LBB265_848:
	s_mov_b64 s[10:11], -1
	s_mov_b64 s[8:9], 0
	s_mov_b64 s[4:5], s[2:3]
                                        ; implicit-def: $vgpr1
	s_branch .LBB265_860
.LBB265_849:
	s_andn2_saveexec_b64 s[10:11], s[10:11]
	s_cbranch_execz .LBB265_728
.LBB265_850:
	s_mov_b32 s14, 0x46000000
	v_add_f32_e64 v4, |v3|, s14
	v_and_b32_e32 v4, 0xff, v4
	v_cmp_ne_u32_e32 vcc, 0, v4
	s_andn2_b64 s[8:9], s[8:9], exec
	s_and_b64 s[14:15], vcc, exec
	s_or_b64 s[8:9], s[8:9], s[14:15]
	s_or_b64 exec, exec, s[10:11]
	v_mov_b32_e32 v5, 0
	s_and_saveexec_b64 s[10:11], s[8:9]
	s_cbranch_execnz .LBB265_729
	s_branch .LBB265_730
.LBB265_851:
	s_mov_b64 s[10:11], -1
	s_mov_b64 s[8:9], 0
	s_mov_b64 s[4:5], s[2:3]
                                        ; implicit-def: $vgpr1
	s_branch .LBB265_855
.LBB265_852:
	s_andn2_saveexec_b64 s[10:11], s[10:11]
	s_cbranch_execz .LBB265_741
.LBB265_853:
	s_mov_b32 s14, 0x42800000
	v_add_f32_e64 v4, |v3|, s14
	v_and_b32_e32 v4, 0xff, v4
	v_cmp_ne_u32_e32 vcc, 0, v4
	s_andn2_b64 s[8:9], s[8:9], exec
	s_and_b64 s[14:15], vcc, exec
	s_or_b64 s[8:9], s[8:9], s[14:15]
	s_or_b64 exec, exec, s[10:11]
	v_mov_b32_e32 v5, 0
	s_and_saveexec_b64 s[10:11], s[8:9]
	s_cbranch_execnz .LBB265_742
	s_branch .LBB265_743
.LBB265_854:
	s_mov_b64 s[4:5], -1
                                        ; implicit-def: $vgpr1
	s_mov_b64 s[8:9], 0
.LBB265_855:
	s_and_b64 vcc, exec, s[10:11]
	s_cbranch_vccz .LBB265_859
; %bb.856:
	s_cmp_eq_u32 s14, 44
	s_cbranch_scc0 .LBB265_858
; %bb.857:
	global_load_ubyte v1, v[2:3], off
	s_movk_i32 s8, 0xff
	v_mov_b32_e32 v5, 0x7e00
	s_mov_b64 s[4:5], 0
	s_waitcnt vmcnt(0)
	v_lshlrev_b32_e32 v4, 23, v1
	v_cvt_f16_f32_e32 v4, v4
	v_cmp_ne_u32_e32 vcc, s8, v1
	s_mov_b64 s[8:9], -1
	s_nop 0
	v_cndmask_b32_e32 v4, v5, v4, vcc
	v_cmp_ne_u32_e32 vcc, 0, v1
	s_nop 1
	v_cndmask_b32_e32 v1, 0, v4, vcc
	s_branch .LBB265_859
.LBB265_858:
	s_mov_b64 s[4:5], -1
                                        ; implicit-def: $vgpr1
.LBB265_859:
	s_mov_b64 s[10:11], 0
.LBB265_860:
	s_and_b64 vcc, exec, s[10:11]
	s_cbranch_vccz .LBB265_864
; %bb.861:
	s_cmp_eq_u32 s14, 29
	s_cbranch_scc0 .LBB265_863
; %bb.862:
	global_load_dwordx2 v[4:5], v[2:3], off
	s_mov_b64 s[4:5], 0
	s_mov_b64 s[8:9], -1
	s_mov_b64 s[10:11], 0
	s_waitcnt vmcnt(0)
	v_ffbh_u32_e32 v1, v5
	v_min_u32_e32 v1, 32, v1
	v_lshlrev_b64 v[4:5], v1, v[4:5]
	v_min_u32_e32 v4, 1, v4
	v_or_b32_e32 v4, v5, v4
	v_cvt_f32_u32_e32 v4, v4
	v_sub_u32_e32 v1, 32, v1
	v_ldexp_f32 v1, v4, v1
	v_cvt_f16_f32_e32 v1, v1
	s_branch .LBB265_865
.LBB265_863:
	s_mov_b64 s[4:5], -1
                                        ; implicit-def: $vgpr1
.LBB265_864:
	s_mov_b64 s[10:11], 0
.LBB265_865:
	s_and_b64 vcc, exec, s[10:11]
	s_cbranch_vccz .LBB265_883
; %bb.866:
	s_cmp_lt_i32 s14, 27
	s_cbranch_scc1 .LBB265_869
; %bb.867:
	s_cmp_gt_i32 s14, 27
	s_cbranch_scc0 .LBB265_870
; %bb.868:
	global_load_dword v1, v[2:3], off
	s_mov_b64 s[8:9], 0
	s_waitcnt vmcnt(0)
	v_cvt_f32_u32_e32 v1, v1
	v_cvt_f16_f32_e32 v1, v1
	s_branch .LBB265_871
.LBB265_869:
	s_mov_b64 s[8:9], -1
                                        ; implicit-def: $vgpr1
	s_branch .LBB265_874
.LBB265_870:
	s_mov_b64 s[8:9], -1
                                        ; implicit-def: $vgpr1
.LBB265_871:
	s_andn2_b64 vcc, exec, s[8:9]
	s_cbranch_vccnz .LBB265_873
; %bb.872:
	global_load_ushort v1, v[2:3], off
	s_waitcnt vmcnt(0)
	v_cvt_f16_u16_e32 v1, v1
.LBB265_873:
	s_mov_b64 s[8:9], 0
.LBB265_874:
	s_andn2_b64 vcc, exec, s[8:9]
	s_cbranch_vccnz .LBB265_882
; %bb.875:
	global_load_ubyte v4, v[2:3], off
	s_movk_i32 s8, 0x7f
	s_waitcnt vmcnt(0)
	v_cmp_lt_i16_e32 vcc, s8, v4
	s_mov_b64 s[8:9], 0
	s_and_saveexec_b64 s[10:11], vcc
	s_xor_b64 s[10:11], exec, s[10:11]
	s_cbranch_execz .LBB265_896
; %bb.876:
	s_movk_i32 s8, 0x80
	v_cmp_eq_u16_e32 vcc, s8, v4
	s_mov_b64 s[8:9], -1
	s_and_saveexec_b64 s[12:13], vcc
; %bb.877:
	s_xor_b64 s[8:9], exec, -1
; %bb.878:
	s_or_b64 exec, exec, s[12:13]
	s_and_b64 s[8:9], s[8:9], exec
	s_or_saveexec_b64 s[10:11], s[10:11]
	v_mov_b32_e32 v1, 0x7e00
	s_xor_b64 exec, exec, s[10:11]
	s_cbranch_execnz .LBB265_897
.LBB265_879:
	s_or_b64 exec, exec, s[10:11]
	s_and_saveexec_b64 s[10:11], s[8:9]
	s_cbranch_execz .LBB265_881
.LBB265_880:
	v_lshlrev_b32_e32 v1, 24, v4
	v_and_b32_e32 v4, 0xffff, v4
	v_and_b32_e32 v5, 7, v4
	v_ffbh_u32_e32 v7, v5
	v_min_u32_e32 v7, 32, v7
	v_subrev_u32_e32 v8, 28, v7
	v_bfe_u32 v6, v4, 3, 4
	v_lshlrev_b32_e32 v4, v8, v4
	v_sub_u32_e32 v7, 29, v7
	v_and_b32_e32 v4, 7, v4
	v_cmp_eq_u32_e32 vcc, 0, v6
	v_and_b32_e32 v1, 0x80000000, v1
	s_nop 0
	v_cndmask_b32_e32 v6, v6, v7, vcc
	v_cndmask_b32_e32 v4, v5, v4, vcc
	v_mov_b32_e32 v5, 0x3b800000
	v_lshlrev_b32_e32 v4, 20, v4
	v_lshl_add_u32 v5, v6, 23, v5
	v_or3_b32 v1, v1, v5, v4
	v_cvt_f16_f32_e32 v1, v1
.LBB265_881:
	s_or_b64 exec, exec, s[10:11]
.LBB265_882:
	s_mov_b64 s[8:9], -1
.LBB265_883:
	s_mov_b64 s[10:11], 0
.LBB265_884:
	s_and_b64 vcc, exec, s[10:11]
	s_cbranch_vccz .LBB265_917
; %bb.885:
	s_cmp_gt_i32 s14, 22
	s_cbranch_scc0 .LBB265_895
; %bb.886:
	s_cmp_lt_i32 s14, 24
	s_cbranch_scc1 .LBB265_898
; %bb.887:
	s_cmp_gt_i32 s14, 24
	s_cbranch_scc0 .LBB265_899
; %bb.888:
	global_load_ubyte v4, v[2:3], off
	s_movk_i32 s6, 0x7f
	s_waitcnt vmcnt(0)
	v_cmp_lt_i16_e32 vcc, s6, v4
	s_mov_b64 s[6:7], 0
	s_and_saveexec_b64 s[8:9], vcc
	s_xor_b64 s[8:9], exec, s[8:9]
	s_cbranch_execz .LBB265_911
; %bb.889:
	s_movk_i32 s6, 0x80
	v_cmp_eq_u16_e32 vcc, s6, v4
	s_mov_b64 s[6:7], -1
	s_and_saveexec_b64 s[10:11], vcc
; %bb.890:
	s_xor_b64 s[6:7], exec, -1
; %bb.891:
	s_or_b64 exec, exec, s[10:11]
	s_and_b64 s[6:7], s[6:7], exec
	s_or_saveexec_b64 s[8:9], s[8:9]
	v_mov_b32_e32 v1, 0x7e00
	s_xor_b64 exec, exec, s[8:9]
	s_cbranch_execnz .LBB265_912
.LBB265_892:
	s_or_b64 exec, exec, s[8:9]
	s_and_saveexec_b64 s[8:9], s[6:7]
	s_cbranch_execz .LBB265_894
.LBB265_893:
	v_lshlrev_b32_e32 v1, 24, v4
	v_and_b32_e32 v4, 0xffff, v4
	v_and_b32_e32 v5, 3, v4
	v_ffbh_u32_e32 v7, v5
	v_min_u32_e32 v7, 32, v7
	v_subrev_u32_e32 v8, 29, v7
	v_bfe_u32 v6, v4, 2, 5
	v_lshlrev_b32_e32 v4, v8, v4
	v_sub_u32_e32 v7, 30, v7
	v_and_b32_e32 v4, 3, v4
	v_cmp_eq_u32_e32 vcc, 0, v6
	v_and_b32_e32 v1, 0x80000000, v1
	s_nop 0
	v_cndmask_b32_e32 v6, v6, v7, vcc
	v_cndmask_b32_e32 v4, v5, v4, vcc
	v_mov_b32_e32 v5, 0x37800000
	v_lshlrev_b32_e32 v4, 21, v4
	v_lshl_add_u32 v5, v6, 23, v5
	v_or3_b32 v1, v1, v5, v4
	v_cvt_f16_f32_e32 v1, v1
.LBB265_894:
	s_or_b64 exec, exec, s[8:9]
	s_mov_b64 s[6:7], 0
	s_branch .LBB265_900
.LBB265_895:
	s_mov_b64 s[6:7], -1
                                        ; implicit-def: $vgpr1
	s_branch .LBB265_906
.LBB265_896:
	s_or_saveexec_b64 s[10:11], s[10:11]
	v_mov_b32_e32 v1, 0x7e00
	s_xor_b64 exec, exec, s[10:11]
	s_cbranch_execz .LBB265_879
.LBB265_897:
	v_cmp_ne_u16_e32 vcc, 0, v4
	s_andn2_b64 s[8:9], s[8:9], exec
	s_and_b64 s[12:13], vcc, exec
	s_or_b64 s[8:9], s[8:9], s[12:13]
	v_mov_b32_e32 v1, v4
	s_or_b64 exec, exec, s[10:11]
	s_and_saveexec_b64 s[10:11], s[8:9]
	s_cbranch_execnz .LBB265_880
	s_branch .LBB265_881
.LBB265_898:
	s_mov_b64 s[6:7], -1
                                        ; implicit-def: $vgpr1
	s_branch .LBB265_903
.LBB265_899:
	s_mov_b64 s[6:7], -1
                                        ; implicit-def: $vgpr1
.LBB265_900:
	s_and_b64 vcc, exec, s[6:7]
	s_cbranch_vccz .LBB265_902
; %bb.901:
	global_load_ubyte v1, v[2:3], off
	s_mov_b32 s6, 0x7f800000
	s_waitcnt vmcnt(0)
	v_lshlrev_b32_e32 v1, 24, v1
	v_and_b32_e32 v4, 0x7f000000, v1
	v_ffbh_u32_e32 v5, v4
	v_min_u32_e32 v5, 32, v5
	v_sub_u32_e64 v5, v5, 4 clamp
	v_lshlrev_b32_e32 v7, v5, v4
	v_lshlrev_b32_e32 v5, 23, v5
	v_lshrrev_b32_e32 v7, 4, v7
	v_add_u32_e32 v6, 0x1000000, v4
	v_sub_u32_e32 v5, v7, v5
	v_ashrrev_i32_e32 v6, 8, v6
	v_add_u32_e32 v5, 0x3c000000, v5
	v_and_or_b32 v5, v6, s6, v5
	v_cmp_ne_u32_e32 vcc, 0, v4
	s_brev_b32 s6, 1
	s_nop 0
	v_cndmask_b32_e32 v4, 0, v5, vcc
	v_and_or_b32 v1, v1, s6, v4
	v_cvt_f16_f32_e32 v1, v1
.LBB265_902:
	s_mov_b64 s[6:7], 0
.LBB265_903:
	s_andn2_b64 vcc, exec, s[6:7]
	s_cbranch_vccnz .LBB265_905
; %bb.904:
	global_load_ubyte v1, v[2:3], off
	s_movk_i32 s6, 0x7f00
	s_brev_b32 s7, 16
	s_waitcnt vmcnt(0)
	v_lshlrev_b16_e32 v4, 8, v1
	v_lshlrev_b32_e32 v1, 25, v1
	v_lshrrev_b32_e32 v5, 4, v1
	v_and_or_b32 v6, v4, s6, 0.5
	v_or_b32_e32 v5, 0x70000000, v5
	v_add_f32_e32 v6, -0.5, v6
	v_mul_f32_e32 v5, 0x7800000, v5
	v_cmp_gt_u32_e32 vcc, s7, v1
	v_bfe_i32 v4, v4, 0, 16
	s_brev_b32 s6, 1
	v_cndmask_b32_e32 v1, v5, v6, vcc
	v_and_or_b32 v1, v4, s6, v1
	v_cvt_f16_f32_e32 v1, v1
.LBB265_905:
	s_mov_b64 s[6:7], 0
	s_mov_b64 s[8:9], -1
.LBB265_906:
	s_andn2_b64 vcc, exec, s[6:7]
	s_mov_b64 s[6:7], 0
	s_cbranch_vccnz .LBB265_917
; %bb.907:
	s_cmp_gt_i32 s14, 14
	s_cbranch_scc0 .LBB265_910
; %bb.908:
	s_cmp_eq_u32 s14, 15
	s_cbranch_scc0 .LBB265_913
; %bb.909:
	global_load_ushort v1, v[2:3], off
	s_mov_b64 s[4:5], 0
	s_mov_b64 s[8:9], -1
	s_waitcnt vmcnt(0)
	v_lshlrev_b32_e32 v1, 16, v1
	v_cvt_f16_f32_e32 v1, v1
	s_branch .LBB265_914
.LBB265_910:
	s_mov_b64 s[10:11], -1
                                        ; implicit-def: $vgpr1
	s_branch .LBB265_915
.LBB265_911:
	s_or_saveexec_b64 s[8:9], s[8:9]
	v_mov_b32_e32 v1, 0x7e00
	s_xor_b64 exec, exec, s[8:9]
	s_cbranch_execz .LBB265_892
.LBB265_912:
	v_cmp_ne_u16_e32 vcc, 0, v4
	s_andn2_b64 s[6:7], s[6:7], exec
	s_and_b64 s[10:11], vcc, exec
	s_or_b64 s[6:7], s[6:7], s[10:11]
	v_mov_b32_e32 v1, v4
	s_or_b64 exec, exec, s[8:9]
	s_and_saveexec_b64 s[8:9], s[6:7]
	s_cbranch_execnz .LBB265_893
	s_branch .LBB265_894
.LBB265_913:
	s_mov_b64 s[4:5], -1
                                        ; implicit-def: $vgpr1
.LBB265_914:
	s_mov_b64 s[10:11], 0
.LBB265_915:
	s_and_b64 vcc, exec, s[10:11]
	s_cbranch_vccz .LBB265_917
; %bb.916:
	s_cmp_lg_u32 s14, 11
	s_cselect_b64 s[10:11], -1, 0
	s_andn2_b64 s[4:5], s[4:5], exec
	s_and_b64 s[10:11], s[10:11], exec
	s_mov_b64 s[6:7], -1
	s_or_b64 s[4:5], s[4:5], s[10:11]
.LBB265_917:
	s_mov_b64 s[10:11], 0
.LBB265_918:
	s_andn2_b64 s[12:13], s[2:3], exec
	s_and_b64 s[4:5], s[4:5], exec
	s_and_b64 s[8:9], s[8:9], exec
	;; [unrolled: 1-line block ×4, first 2 shown]
	s_or_b64 s[12:13], s[12:13], s[4:5]
.LBB265_919:
	s_or_b64 exec, exec, s[70:71]
	s_and_b64 s[4:5], s[6:7], exec
	s_andn2_b64 s[2:3], s[2:3], exec
	s_and_b64 s[6:7], s[12:13], exec
	s_and_b64 s[8:9], s[8:9], exec
	s_and_b64 s[10:11], s[10:11], exec
	s_or_b64 s[2:3], s[2:3], s[6:7]
.LBB265_920:
	s_or_b64 exec, exec, s[66:67]
	s_andn2_b64 s[6:7], s[62:63], exec
	s_and_b64 s[12:13], s[68:69], exec
	s_or_b64 s[62:63], s[6:7], s[12:13]
	s_and_b64 s[6:7], s[10:11], exec
	s_andn2_b64 s[10:11], s[60:61], exec
	s_and_b64 s[2:3], s[2:3], exec
	s_and_b64 s[8:9], s[8:9], exec
	;; [unrolled: 1-line block ×3, first 2 shown]
	s_or_b64 s[60:61], s[10:11], s[2:3]
.LBB265_921:
	s_or_b64 exec, exec, s[64:65]
	s_andn2_b64 s[2:3], s[54:55], exec
	s_and_b64 s[10:11], s[62:63], exec
	s_or_b64 s[54:55], s[2:3], s[10:11]
	s_and_b64 s[2:3], s[8:9], exec
	s_and_b64 s[8:9], s[6:7], exec
	;; [unrolled: 1-line block ×3, first 2 shown]
	s_andn2_b64 s[4:5], s[56:57], exec
	s_and_b64 s[6:7], s[60:61], exec
	s_or_b64 s[56:57], s[4:5], s[6:7]
	s_or_b64 exec, exec, s[58:59]
	s_mov_b64 s[4:5], 0
	s_and_saveexec_b64 s[6:7], s[56:57]
	s_cbranch_execz .LBB265_276
.LBB265_922:
	s_mov_b64 s[4:5], exec
	s_andn2_b64 s[62:63], s[62:63], exec
	s_trap 2
	s_or_b64 exec, exec, s[6:7]
	s_and_saveexec_b64 s[6:7], s[62:63]
	s_xor_b64 s[6:7], exec, s[6:7]
	s_cbranch_execnz .LBB265_277
.LBB265_923:
	s_or_b64 exec, exec, s[6:7]
	s_and_saveexec_b64 s[6:7], s[8:9]
	s_cbranch_execz .LBB265_969
.LBB265_924:
	s_sext_i32_i16 s8, s74
	s_cmp_lt_i32 s8, 5
	s_cbranch_scc1 .LBB265_929
; %bb.925:
	s_cmp_lt_i32 s8, 8
	s_cbranch_scc1 .LBB265_930
; %bb.926:
	;; [unrolled: 3-line block ×3, first 2 shown]
	s_cmp_gt_i32 s8, 9
	s_cbranch_scc0 .LBB265_932
; %bb.928:
	global_load_dwordx2 v[4:5], v[2:3], off
	s_movk_i32 s8, 0x1ff
	s_movk_i32 s9, 0xffe
	s_waitcnt vmcnt(1)
	v_mov_b32_e32 v1, 0x7c00
	v_mov_b32_e32 v6, 0x7e00
	s_movk_i32 s10, 0x40f
	s_mov_b32 s11, 0x8000
	s_waitcnt vmcnt(0)
	v_and_or_b32 v4, v5, s8, v4
	v_cmp_ne_u32_e32 vcc, 0, v4
	v_lshrrev_b32_e32 v7, 8, v5
	v_bfe_u32 v8, v5, 20, 11
	v_cndmask_b32_e64 v4, 0, 1, vcc
	v_sub_u32_e32 v9, 0x3f1, v8
	v_and_or_b32 v4, v7, s9, v4
	v_add_u32_e32 v8, 0xfffffc10, v8
	v_med3_i32 v7, v9, 0, 13
	v_or_b32_e32 v9, 0x1000, v4
	v_cmp_ne_u32_e32 vcc, 0, v4
	v_lshl_or_b32 v10, v8, 12, v4
	v_lshrrev_b32_e32 v5, 16, v5
	v_cndmask_b32_e32 v4, v1, v6, vcc
	v_lshrrev_b32_e32 v6, v7, v9
	v_lshlrev_b32_e32 v7, v7, v6
	v_cmp_ne_u32_e32 vcc, v7, v9
	s_mov_b64 s[8:9], 0
	s_nop 0
	v_cndmask_b32_e64 v7, 0, 1, vcc
	v_or_b32_e32 v6, v6, v7
	v_cmp_gt_i32_e32 vcc, 1, v8
	s_nop 1
	v_cndmask_b32_e32 v6, v10, v6, vcc
	v_and_b32_e32 v7, 7, v6
	v_cmp_lt_i32_e32 vcc, 5, v7
	v_lshrrev_b32_e32 v6, 2, v6
	s_nop 0
	v_cndmask_b32_e64 v9, 0, 1, vcc
	v_cmp_eq_u32_e32 vcc, 3, v7
	s_nop 1
	v_cndmask_b32_e64 v7, 0, 1, vcc
	v_or_b32_e32 v7, v7, v9
	v_add_u32_e32 v6, v6, v7
	v_cmp_gt_i32_e32 vcc, 31, v8
	s_nop 1
	v_cndmask_b32_e32 v1, v1, v6, vcc
	v_cmp_eq_u32_e32 vcc, s10, v8
	s_nop 1
	v_cndmask_b32_e32 v1, v1, v4, vcc
	v_and_or_b32 v1, v5, s11, v1
	s_branch .LBB265_933
.LBB265_929:
                                        ; implicit-def: $vgpr1
	s_branch .LBB265_950
.LBB265_930:
                                        ; implicit-def: $vgpr1
	s_branch .LBB265_939
.LBB265_931:
	s_mov_b64 s[8:9], -1
                                        ; implicit-def: $vgpr1
	s_branch .LBB265_936
.LBB265_932:
	s_mov_b64 s[8:9], -1
                                        ; implicit-def: $vgpr1
.LBB265_933:
	s_andn2_b64 vcc, exec, s[8:9]
	s_cbranch_vccnz .LBB265_935
; %bb.934:
	global_load_dword v1, v[2:3], off
	s_waitcnt vmcnt(0)
	v_cvt_f16_f32_e32 v1, v1
.LBB265_935:
	s_mov_b64 s[8:9], 0
.LBB265_936:
	s_andn2_b64 vcc, exec, s[8:9]
	s_cbranch_vccnz .LBB265_938
; %bb.937:
	global_load_dword v1, v[2:3], off
.LBB265_938:
	s_cbranch_execnz .LBB265_949
.LBB265_939:
	s_sext_i32_i16 s8, s74
	s_cmp_lt_i32 s8, 6
	s_cbranch_scc1 .LBB265_942
; %bb.940:
	s_cmp_gt_i32 s8, 6
	s_cbranch_scc0 .LBB265_943
; %bb.941:
	global_load_dwordx2 v[4:5], v[2:3], off
	s_movk_i32 s8, 0x1ff
	s_movk_i32 s9, 0xffe
	s_waitcnt vmcnt(1)
	v_mov_b32_e32 v1, 0x7c00
	v_mov_b32_e32 v6, 0x7e00
	s_movk_i32 s10, 0x40f
	s_mov_b32 s11, 0x8000
	s_waitcnt vmcnt(0)
	v_and_or_b32 v4, v5, s8, v4
	v_cmp_ne_u32_e32 vcc, 0, v4
	v_lshrrev_b32_e32 v7, 8, v5
	v_bfe_u32 v8, v5, 20, 11
	v_cndmask_b32_e64 v4, 0, 1, vcc
	v_sub_u32_e32 v9, 0x3f1, v8
	v_and_or_b32 v4, v7, s9, v4
	v_add_u32_e32 v8, 0xfffffc10, v8
	v_med3_i32 v7, v9, 0, 13
	v_or_b32_e32 v9, 0x1000, v4
	v_cmp_ne_u32_e32 vcc, 0, v4
	v_lshl_or_b32 v10, v8, 12, v4
	v_lshrrev_b32_e32 v5, 16, v5
	v_cndmask_b32_e32 v4, v1, v6, vcc
	v_lshrrev_b32_e32 v6, v7, v9
	v_lshlrev_b32_e32 v7, v7, v6
	v_cmp_ne_u32_e32 vcc, v7, v9
	s_mov_b64 s[8:9], 0
	s_nop 0
	v_cndmask_b32_e64 v7, 0, 1, vcc
	v_or_b32_e32 v6, v6, v7
	v_cmp_gt_i32_e32 vcc, 1, v8
	s_nop 1
	v_cndmask_b32_e32 v6, v10, v6, vcc
	v_and_b32_e32 v7, 7, v6
	v_cmp_lt_i32_e32 vcc, 5, v7
	v_lshrrev_b32_e32 v6, 2, v6
	s_nop 0
	v_cndmask_b32_e64 v9, 0, 1, vcc
	v_cmp_eq_u32_e32 vcc, 3, v7
	s_nop 1
	v_cndmask_b32_e64 v7, 0, 1, vcc
	v_or_b32_e32 v7, v7, v9
	v_add_u32_e32 v6, v6, v7
	v_cmp_gt_i32_e32 vcc, 31, v8
	s_nop 1
	v_cndmask_b32_e32 v1, v1, v6, vcc
	v_cmp_eq_u32_e32 vcc, s10, v8
	s_nop 1
	v_cndmask_b32_e32 v1, v1, v4, vcc
	v_and_or_b32 v1, v5, s11, v1
	s_branch .LBB265_944
.LBB265_942:
	s_mov_b64 s[8:9], -1
                                        ; implicit-def: $vgpr1
	s_branch .LBB265_947
.LBB265_943:
	s_mov_b64 s[8:9], -1
                                        ; implicit-def: $vgpr1
.LBB265_944:
	s_andn2_b64 vcc, exec, s[8:9]
	s_cbranch_vccnz .LBB265_946
; %bb.945:
	global_load_dword v1, v[2:3], off
	s_waitcnt vmcnt(0)
	v_cvt_f16_f32_e32 v1, v1
.LBB265_946:
	s_mov_b64 s[8:9], 0
.LBB265_947:
	s_andn2_b64 vcc, exec, s[8:9]
	s_cbranch_vccnz .LBB265_949
; %bb.948:
	global_load_ushort v1, v[2:3], off
.LBB265_949:
	s_cbranch_execnz .LBB265_968
.LBB265_950:
	s_sext_i32_i16 s8, s74
	s_cmp_lt_i32 s8, 2
	s_cbranch_scc1 .LBB265_954
; %bb.951:
	s_cmp_lt_i32 s8, 3
	s_cbranch_scc1 .LBB265_955
; %bb.952:
	s_cmp_gt_i32 s8, 3
	s_cbranch_scc0 .LBB265_956
; %bb.953:
	global_load_dwordx2 v[4:5], v[2:3], off
	s_mov_b64 s[8:9], 0
	s_waitcnt vmcnt(0)
	v_xor_b32_e32 v6, v4, v5
	v_ffbh_i32_e32 v1, v5
	v_ashrrev_i32_e32 v6, 31, v6
	v_add_u32_e32 v1, -1, v1
	v_add_u32_e32 v6, 32, v6
	v_min_u32_e32 v1, v1, v6
	v_lshlrev_b64 v[4:5], v1, v[4:5]
	v_min_u32_e32 v4, 1, v4
	v_or_b32_e32 v4, v5, v4
	v_cvt_f32_i32_e32 v4, v4
	v_sub_u32_e32 v1, 32, v1
	v_ldexp_f32 v1, v4, v1
	v_cvt_f16_f32_e32 v1, v1
	s_branch .LBB265_957
.LBB265_954:
                                        ; implicit-def: $vgpr1
	s_branch .LBB265_963
.LBB265_955:
	s_mov_b64 s[8:9], -1
                                        ; implicit-def: $vgpr1
	s_branch .LBB265_960
.LBB265_956:
	s_mov_b64 s[8:9], -1
                                        ; implicit-def: $vgpr1
.LBB265_957:
	s_andn2_b64 vcc, exec, s[8:9]
	s_cbranch_vccnz .LBB265_959
; %bb.958:
	global_load_dword v1, v[2:3], off
	s_waitcnt vmcnt(0)
	v_cvt_f32_i32_e32 v1, v1
	v_cvt_f16_f32_e32 v1, v1
.LBB265_959:
	s_mov_b64 s[8:9], 0
.LBB265_960:
	s_andn2_b64 vcc, exec, s[8:9]
	s_cbranch_vccnz .LBB265_962
; %bb.961:
	global_load_ushort v1, v[2:3], off
	s_waitcnt vmcnt(0)
	v_cvt_f16_i16_e32 v1, v1
.LBB265_962:
	s_cbranch_execnz .LBB265_968
.LBB265_963:
	s_sext_i32_i16 s8, s74
	s_cmp_gt_i32 s8, 0
	s_cbranch_scc0 .LBB265_965
; %bb.964:
	global_load_sbyte v1, v[2:3], off
	s_mov_b64 s[8:9], 0
	s_waitcnt vmcnt(0)
	v_cvt_f16_i16_e32 v1, v1
	s_branch .LBB265_966
.LBB265_965:
	s_mov_b64 s[8:9], -1
                                        ; implicit-def: $vgpr1
.LBB265_966:
	s_andn2_b64 vcc, exec, s[8:9]
	s_cbranch_vccnz .LBB265_968
; %bb.967:
	global_load_ubyte v1, v[2:3], off
	s_waitcnt vmcnt(0)
	v_cvt_f16_u16_e32 v1, v1
.LBB265_968:
	s_or_b64 s[2:3], s[2:3], exec
.LBB265_969:
	s_or_b64 exec, exec, s[6:7]
	s_mov_b64 s[10:11], 0
	s_mov_b64 s[8:9], 0
                                        ; implicit-def: $sgpr16
                                        ; implicit-def: $vgpr2_vgpr3
                                        ; implicit-def: $vgpr4
	s_and_saveexec_b64 s[6:7], s[2:3]
	s_cbranch_execz .LBB265_987
; %bb.970:
	s_waitcnt vmcnt(0)
	v_cvt_f32_f16_e32 v1, v1
	s_mov_b32 s2, 0xf800000
	v_mov_b32_e32 v3, 0x260
	s_and_b32 s16, s73, 0xff
	v_mul_f32_e32 v2, 0x4f800000, v1
	v_cmp_gt_f32_e32 vcc, s2, v1
	s_cmp_lt_i32 s16, 11
	s_nop 0
	v_cndmask_b32_e32 v1, v1, v2, vcc
	v_rsq_f32_e32 v2, v1
	s_nop 0
	v_mul_f32_e32 v4, v1, v2
	v_mul_f32_e32 v2, 0.5, v2
	v_fma_f32 v5, -v2, v4, 0.5
	v_fmac_f32_e32 v4, v4, v5
	v_fmac_f32_e32 v2, v2, v5
	v_fma_f32 v5, -v4, v4, v1
	v_fmac_f32_e32 v4, v5, v2
	v_mul_f32_e32 v2, 0x37800000, v4
	v_cndmask_b32_e32 v2, v4, v2, vcc
	v_cmp_class_f32_e32 vcc, v1, v3
	s_nop 1
	v_cndmask_b32_e32 v1, v2, v1, vcc
	v_cvt_f16_f32_e32 v4, v1
	v_mov_b32_e32 v1, 0
	s_waitcnt lgkmcnt(0)
	v_lshl_add_u64 v[2:3], s[20:21], 0, v[0:1]
	s_cbranch_scc1 .LBB265_990
; %bb.971:
	s_and_b32 s17, 0xffff, s16
	s_mov_b64 s[10:11], -1
	s_cmp_gt_i32 s17, 25
	s_mov_b64 s[2:3], s[54:55]
	s_cbranch_scc0 .LBB265_1008
; %bb.972:
	s_mov_b64 s[8:9], -1
	s_cmp_gt_i32 s17, 28
	s_mov_b64 s[2:3], s[54:55]
	s_cbranch_scc0 .LBB265_992
; %bb.973:
	s_cmp_gt_i32 s17, 43
	s_mov_b64 s[2:3], s[54:55]
	s_cbranch_scc0 .LBB265_984
; %bb.974:
	;; [unrolled: 4-line block ×3, first 2 shown]
	s_cmp_eq_u32 s17, 46
	s_mov_b64 s[2:3], -1
	s_cbranch_scc0 .LBB265_977
; %bb.976:
	v_cvt_f32_f16_e32 v0, v4
	s_movk_i32 s2, 0x7fff
	v_cmp_o_f16_e32 vcc, v4, v4
	v_mov_b32_e32 v1, 0x7fc0
	v_bfe_u32 v5, v0, 16, 1
	v_add3_u32 v0, v0, v5, s2
	v_cndmask_b32_sdwa v0, v1, v0, vcc dst_sel:DWORD dst_unused:UNUSED_PAD src0_sel:DWORD src1_sel:WORD_1
	global_store_dword v[2:3], v0, off
	s_mov_b64 s[2:3], 0
.LBB265_977:
	s_mov_b64 s[8:9], 0
.LBB265_978:
	s_and_b64 vcc, exec, s[8:9]
	s_cbranch_vccz .LBB265_983
; %bb.979:
	s_cmp_eq_u32 s17, 44
	s_mov_b64 s[2:3], -1
	s_cbranch_scc0 .LBB265_983
; %bb.980:
	v_cvt_f32_f16_e32 v0, v4
	s_movk_i32 s2, 0xff
	v_mov_b32_e32 v5, 0xff
	v_bfe_u32 v1, v0, 23, 8
	v_cmp_ne_u32_e32 vcc, s2, v1
	s_and_saveexec_b64 s[8:9], vcc
; %bb.981:
	s_mov_b32 s2, 0x3fffff
	v_lshrrev_b32_e32 v5, 23, v0
	v_and_b32_e32 v6, 0x400000, v0
	v_and_or_b32 v0, v0, s2, v1
	v_cmp_ne_u32_e32 vcc, 0, v6
	v_cmp_ne_u32_e64 s[2:3], 0, v0
	s_and_b64 s[2:3], vcc, s[2:3]
	s_nop 0
	v_cndmask_b32_e64 v0, 0, 1, s[2:3]
	v_add_u32_e32 v5, v5, v0
; %bb.982:
	s_or_b64 exec, exec, s[8:9]
	s_mov_b64 s[2:3], 0
	global_store_byte v[2:3], v5, off
.LBB265_983:
	s_mov_b64 s[8:9], 0
.LBB265_984:
	s_and_b64 vcc, exec, s[8:9]
	s_cbranch_vccz .LBB265_991
; %bb.985:
	s_cmp_eq_u32 s17, 29
	s_mov_b64 s[2:3], -1
	s_cbranch_scc0 .LBB265_991
; %bb.986:
	v_cvt_f32_f16_e32 v0, v4
	v_mov_b32_e32 v1, 0
	s_mov_b64 s[2:3], 0
	s_mov_b64 s[8:9], 0
	v_cvt_u32_f32_e32 v0, v0
	global_store_dwordx2 v[2:3], v[0:1], off
	s_branch .LBB265_992
.LBB265_987:
	s_or_b64 exec, exec, s[6:7]
	s_and_saveexec_b64 s[2:3], s[54:55]
	s_cbranch_execnz .LBB265_1050
.LBB265_988:
	s_or_b64 exec, exec, s[2:3]
	s_and_saveexec_b64 s[2:3], s[10:11]
	s_xor_b64 s[2:3], exec, s[2:3]
	s_cbranch_execz .LBB265_1051
.LBB265_989:
	v_cmp_neq_f16_e32 vcc, 0, v4
	s_nop 1
	v_cndmask_b32_e64 v0, 0, 1, vcc
	global_store_byte v[2:3], v0, off
	s_or_b64 exec, exec, s[2:3]
	s_and_saveexec_b64 s[2:3], s[8:9]
	s_xor_b64 s[2:3], exec, s[2:3]
	s_cbranch_execz .LBB265_1089
	s_branch .LBB265_1052
.LBB265_990:
	s_mov_b64 s[8:9], -1
	s_mov_b64 s[2:3], s[54:55]
	s_branch .LBB265_1049
.LBB265_991:
	s_mov_b64 s[8:9], 0
.LBB265_992:
	s_and_b64 vcc, exec, s[8:9]
	s_cbranch_vccz .LBB265_1007
; %bb.993:
	s_cmp_lt_i32 s17, 27
	s_mov_b64 s[8:9], -1
	s_cbranch_scc1 .LBB265_999
; %bb.994:
	s_cmp_gt_i32 s17, 27
	s_cbranch_scc0 .LBB265_996
; %bb.995:
	v_cvt_f32_f16_e32 v0, v4
	s_mov_b64 s[8:9], 0
	v_cvt_u32_f32_e32 v0, v0
	global_store_dword v[2:3], v0, off
.LBB265_996:
	s_andn2_b64 vcc, exec, s[8:9]
	s_cbranch_vccnz .LBB265_998
; %bb.997:
	v_cvt_u16_f16_e32 v0, v4
	global_store_short v[2:3], v0, off
.LBB265_998:
	s_mov_b64 s[8:9], 0
.LBB265_999:
	s_andn2_b64 vcc, exec, s[8:9]
	s_cbranch_vccnz .LBB265_1007
; %bb.1000:
	v_cvt_f32_f16_e32 v0, v4
	s_mov_b32 s8, 0x43800000
	v_mov_b32_e32 v5, 0x80
	v_and_b32_e32 v1, 0x7fffffff, v0
	v_cmp_gt_u32_e32 vcc, s8, v1
	s_and_saveexec_b64 s[8:9], vcc
	s_cbranch_execz .LBB265_1006
; %bb.1001:
	s_mov_b32 s10, 0x3bffffff
	v_cmp_lt_u32_e32 vcc, s10, v1
	s_mov_b64 s[10:11], 0
                                        ; implicit-def: $vgpr1
	s_and_saveexec_b64 s[12:13], vcc
	s_xor_b64 s[12:13], exec, s[12:13]
	s_cbranch_execz .LBB265_1160
; %bb.1002:
	v_bfe_u32 v1, v0, 20, 1
	s_mov_b32 s14, 0x487ffff
	v_add3_u32 v1, v0, v1, s14
	s_mov_b64 s[10:11], exec
	v_lshrrev_b32_e32 v1, 20, v1
	s_andn2_saveexec_b64 s[12:13], s[12:13]
	s_cbranch_execnz .LBB265_1161
.LBB265_1003:
	s_or_b64 exec, exec, s[12:13]
	v_mov_b32_e32 v5, 0
	s_and_saveexec_b64 s[12:13], s[10:11]
.LBB265_1004:
	v_lshrrev_b32_e32 v0, 24, v0
	s_movk_i32 s10, 0x80
	v_and_or_b32 v5, v0, s10, v1
.LBB265_1005:
	s_or_b64 exec, exec, s[12:13]
.LBB265_1006:
	s_or_b64 exec, exec, s[8:9]
	global_store_byte v[2:3], v5, off
.LBB265_1007:
	s_mov_b64 s[10:11], 0
.LBB265_1008:
	s_mov_b64 s[8:9], 0
	s_and_b64 vcc, exec, s[10:11]
	s_cbranch_vccz .LBB265_1048
; %bb.1009:
	s_cmp_gt_i32 s17, 22
	s_mov_b64 s[10:11], -1
	s_cbranch_scc0 .LBB265_1041
; %bb.1010:
	s_cmp_lt_i32 s17, 24
	s_cbranch_scc1 .LBB265_1030
; %bb.1011:
	s_cmp_gt_i32 s17, 24
	s_cbranch_scc0 .LBB265_1019
; %bb.1012:
	v_cvt_f32_f16_e32 v0, v4
	s_mov_b32 s10, 0x47800000
	v_mov_b32_e32 v5, 0x80
	v_and_b32_e32 v1, 0x7fffffff, v0
	v_cmp_gt_u32_e32 vcc, s10, v1
	s_and_saveexec_b64 s[10:11], vcc
	s_cbranch_execz .LBB265_1018
; %bb.1013:
	s_mov_b32 s12, 0x37ffffff
	v_cmp_lt_u32_e32 vcc, s12, v1
	s_mov_b64 s[12:13], 0
                                        ; implicit-def: $vgpr1
	s_and_saveexec_b64 s[14:15], vcc
	s_xor_b64 s[14:15], exec, s[14:15]
	s_cbranch_execz .LBB265_1285
; %bb.1014:
	v_bfe_u32 v1, v0, 21, 1
	s_mov_b32 s18, 0x88fffff
	v_add3_u32 v1, v0, v1, s18
	s_mov_b64 s[12:13], exec
	v_lshrrev_b32_e32 v1, 21, v1
	s_andn2_saveexec_b64 s[14:15], s[14:15]
	s_cbranch_execnz .LBB265_1286
.LBB265_1015:
	s_or_b64 exec, exec, s[14:15]
	v_mov_b32_e32 v5, 0
	s_and_saveexec_b64 s[14:15], s[12:13]
.LBB265_1016:
	v_lshrrev_b32_e32 v0, 24, v0
	s_movk_i32 s12, 0x80
	v_and_or_b32 v5, v0, s12, v1
.LBB265_1017:
	s_or_b64 exec, exec, s[14:15]
.LBB265_1018:
	s_or_b64 exec, exec, s[10:11]
	s_mov_b64 s[10:11], 0
	global_store_byte v[2:3], v5, off
.LBB265_1019:
	s_and_b64 vcc, exec, s[10:11]
	s_cbranch_vccz .LBB265_1029
; %bb.1020:
	v_cvt_f32_f16_e32 v0, v4
	s_mov_b32 s10, 0x43f00000
                                        ; implicit-def: $vgpr1
	v_and_b32_e32 v5, 0x7fffffff, v0
	v_cmp_gt_u32_e32 vcc, s10, v5
	s_and_saveexec_b64 s[10:11], vcc
	s_xor_b64 s[10:11], exec, s[10:11]
	s_cbranch_execz .LBB265_1026
; %bb.1021:
	s_mov_b32 s12, 0x3c7fffff
	v_cmp_lt_u32_e32 vcc, s12, v5
                                        ; implicit-def: $vgpr1
	s_and_saveexec_b64 s[12:13], vcc
	s_xor_b64 s[12:13], exec, s[12:13]
; %bb.1022:
	v_bfe_u32 v1, v0, 20, 1
	s_mov_b32 s14, 0x407ffff
	v_add3_u32 v1, v0, v1, s14
	v_lshrrev_b32_e32 v5, 20, v1
	v_and_b32_e32 v1, 0xff00000, v1
	s_mov_b32 s14, 0x7f00000
	v_mov_b32_e32 v6, 0x7e
	v_cmp_ne_u32_e32 vcc, s14, v1
	s_nop 1
	v_cndmask_b32_e32 v1, v6, v5, vcc
; %bb.1023:
	s_andn2_saveexec_b64 s[12:13], s[12:13]
; %bb.1024:
	s_mov_b32 s14, 0x46800000
	v_add_f32_e64 v1, |v0|, s14
; %bb.1025:
	s_or_b64 exec, exec, s[12:13]
                                        ; implicit-def: $vgpr5
.LBB265_1026:
	s_andn2_saveexec_b64 s[10:11], s[10:11]
; %bb.1027:
	s_mov_b32 s12, 0x7f800000
	v_mov_b32_e32 v1, 0x7e
	v_mov_b32_e32 v6, 0x7f
	v_cmp_lt_u32_e32 vcc, s12, v5
	s_nop 1
	v_cndmask_b32_e32 v1, v1, v6, vcc
; %bb.1028:
	s_or_b64 exec, exec, s[10:11]
	v_lshrrev_b32_e32 v0, 24, v0
	s_movk_i32 s10, 0x80
	v_and_or_b32 v0, v0, s10, v1
	global_store_byte v[2:3], v0, off
.LBB265_1029:
	s_mov_b64 s[10:11], 0
.LBB265_1030:
	s_andn2_b64 vcc, exec, s[10:11]
	s_cbranch_vccnz .LBB265_1040
; %bb.1031:
	v_cvt_f32_f16_e32 v0, v4
	s_mov_b32 s10, 0x47800000
                                        ; implicit-def: $vgpr1
	v_and_b32_e32 v5, 0x7fffffff, v0
	v_cmp_gt_u32_e32 vcc, s10, v5
	s_and_saveexec_b64 s[10:11], vcc
	s_xor_b64 s[10:11], exec, s[10:11]
	s_cbranch_execz .LBB265_1037
; %bb.1032:
	s_mov_b32 s12, 0x387fffff
	v_cmp_lt_u32_e32 vcc, s12, v5
                                        ; implicit-def: $vgpr1
	s_and_saveexec_b64 s[12:13], vcc
	s_xor_b64 s[12:13], exec, s[12:13]
; %bb.1033:
	v_bfe_u32 v1, v0, 21, 1
	s_mov_b32 s14, 0x80fffff
	v_add3_u32 v1, v0, v1, s14
	v_lshrrev_b32_e32 v1, 21, v1
; %bb.1034:
	s_andn2_saveexec_b64 s[12:13], s[12:13]
; %bb.1035:
	s_mov_b32 s14, 0x43000000
	v_add_f32_e64 v1, |v0|, s14
; %bb.1036:
	s_or_b64 exec, exec, s[12:13]
                                        ; implicit-def: $vgpr5
.LBB265_1037:
	s_andn2_saveexec_b64 s[10:11], s[10:11]
; %bb.1038:
	s_mov_b32 s12, 0x7f800000
	v_mov_b32_e32 v1, 0x7c
	v_mov_b32_e32 v6, 0x7f
	v_cmp_lt_u32_e32 vcc, s12, v5
	s_nop 1
	v_cndmask_b32_e32 v1, v1, v6, vcc
; %bb.1039:
	s_or_b64 exec, exec, s[10:11]
	v_lshrrev_b32_e32 v0, 24, v0
	s_movk_i32 s10, 0x80
	v_and_or_b32 v0, v0, s10, v1
	global_store_byte v[2:3], v0, off
.LBB265_1040:
	s_mov_b64 s[10:11], 0
.LBB265_1041:
	s_andn2_b64 vcc, exec, s[10:11]
	s_mov_b64 s[10:11], 0
	s_cbranch_vccnz .LBB265_1049
; %bb.1042:
	s_cmp_gt_i32 s17, 14
	s_mov_b64 s[12:13], -1
	s_cbranch_scc0 .LBB265_1046
; %bb.1043:
	s_cmp_eq_u32 s17, 15
	s_mov_b64 s[2:3], -1
	s_cbranch_scc0 .LBB265_1045
; %bb.1044:
	v_cvt_f32_f16_e32 v0, v4
	s_movk_i32 s2, 0x7fff
	v_cmp_o_f16_e32 vcc, v4, v4
	v_mov_b32_e32 v1, 0x7fc0
	v_bfe_u32 v5, v0, 16, 1
	v_add3_u32 v0, v0, v5, s2
	v_cndmask_b32_sdwa v0, v1, v0, vcc dst_sel:DWORD dst_unused:UNUSED_PAD src0_sel:DWORD src1_sel:WORD_1
	global_store_short v[2:3], v0, off
	s_mov_b64 s[2:3], 0
.LBB265_1045:
	s_mov_b64 s[12:13], 0
.LBB265_1046:
	s_and_b64 vcc, exec, s[12:13]
	s_cbranch_vccz .LBB265_1049
; %bb.1047:
	s_cmp_lg_u32 s17, 11
	s_cselect_b64 s[12:13], -1, 0
	s_andn2_b64 s[2:3], s[2:3], exec
	s_and_b64 s[12:13], s[12:13], exec
	s_mov_b64 s[10:11], -1
	s_or_b64 s[2:3], s[2:3], s[12:13]
	s_branch .LBB265_1049
.LBB265_1048:
	s_mov_b64 s[10:11], 0
.LBB265_1049:
	s_andn2_b64 s[12:13], s[54:55], exec
	s_and_b64 s[2:3], s[2:3], exec
	s_and_b64 s[8:9], s[8:9], exec
	;; [unrolled: 1-line block ×3, first 2 shown]
	s_or_b64 s[54:55], s[12:13], s[2:3]
	s_or_b64 exec, exec, s[6:7]
	s_and_saveexec_b64 s[2:3], s[54:55]
	s_cbranch_execz .LBB265_988
.LBB265_1050:
	s_or_b64 s[4:5], s[4:5], exec
	s_andn2_b64 s[10:11], s[10:11], exec
	s_trap 2
	s_or_b64 exec, exec, s[2:3]
	s_and_saveexec_b64 s[2:3], s[10:11]
	s_xor_b64 s[2:3], exec, s[2:3]
	s_cbranch_execnz .LBB265_989
.LBB265_1051:
	s_or_b64 exec, exec, s[2:3]
	s_and_saveexec_b64 s[2:3], s[8:9]
	s_xor_b64 s[2:3], exec, s[2:3]
	s_cbranch_execz .LBB265_1089
.LBB265_1052:
	s_sext_i32_i16 s8, s16
	s_cmp_lt_i32 s8, 5
	s_mov_b64 s[6:7], -1
	s_cbranch_scc1 .LBB265_1073
; %bb.1053:
	s_cmp_lt_i32 s8, 8
	s_cbranch_scc1 .LBB265_1063
; %bb.1054:
	s_cmp_lt_i32 s8, 9
	s_cbranch_scc1 .LBB265_1060
; %bb.1055:
	s_cmp_gt_i32 s8, 9
	s_cbranch_scc0 .LBB265_1057
; %bb.1056:
	v_cvt_f32_f16_e32 v0, v4
	v_mov_b32_e32 v8, 0
	v_mov_b32_e32 v9, v8
	s_mov_b64 s[6:7], 0
	v_cvt_f64_f32_e32 v[6:7], v0
	global_store_dwordx4 v[2:3], v[6:9], off
.LBB265_1057:
	s_andn2_b64 vcc, exec, s[6:7]
	s_cbranch_vccnz .LBB265_1059
; %bb.1058:
	v_cvt_f32_f16_e32 v0, v4
	s_waitcnt vmcnt(0)
	v_mov_b32_e32 v1, 0
	global_store_dwordx2 v[2:3], v[0:1], off
.LBB265_1059:
	s_mov_b64 s[6:7], 0
.LBB265_1060:
	s_andn2_b64 vcc, exec, s[6:7]
	s_cbranch_vccnz .LBB265_1062
; %bb.1061:
	v_and_b32_e32 v0, 0xffff, v4
	global_store_dword v[2:3], v0, off
.LBB265_1062:
	s_mov_b64 s[6:7], 0
.LBB265_1063:
	s_andn2_b64 vcc, exec, s[6:7]
	s_cbranch_vccnz .LBB265_1072
; %bb.1064:
	s_sext_i32_i16 s8, s16
	s_cmp_lt_i32 s8, 6
	s_mov_b64 s[6:7], -1
	s_cbranch_scc1 .LBB265_1070
; %bb.1065:
	s_cmp_gt_i32 s8, 6
	s_cbranch_scc0 .LBB265_1067
; %bb.1066:
	v_cvt_f32_f16_e32 v0, v4
	s_mov_b64 s[6:7], 0
	s_waitcnt vmcnt(0)
	v_cvt_f64_f32_e32 v[0:1], v0
	global_store_dwordx2 v[2:3], v[0:1], off
.LBB265_1067:
	s_andn2_b64 vcc, exec, s[6:7]
	s_cbranch_vccnz .LBB265_1069
; %bb.1068:
	v_cvt_f32_f16_e32 v0, v4
	global_store_dword v[2:3], v0, off
.LBB265_1069:
	s_mov_b64 s[6:7], 0
.LBB265_1070:
	s_andn2_b64 vcc, exec, s[6:7]
	s_cbranch_vccnz .LBB265_1072
; %bb.1071:
	global_store_short v[2:3], v4, off
.LBB265_1072:
	s_mov_b64 s[6:7], 0
.LBB265_1073:
	s_andn2_b64 vcc, exec, s[6:7]
	s_cbranch_vccnz .LBB265_1089
; %bb.1074:
	s_sext_i32_i16 s8, s16
	s_cmp_lt_i32 s8, 2
	s_mov_b64 s[6:7], -1
	s_cbranch_scc1 .LBB265_1084
; %bb.1075:
	s_cmp_lt_i32 s8, 3
	s_cbranch_scc1 .LBB265_1081
; %bb.1076:
	s_cmp_gt_i32 s8, 3
	s_cbranch_scc0 .LBB265_1078
; %bb.1077:
	v_cvt_f32_f16_e32 v0, v4
	s_mov_b64 s[6:7], 0
	v_cvt_i32_f32_e32 v0, v0
	s_waitcnt vmcnt(0)
	v_ashrrev_i32_e32 v1, 31, v0
	global_store_dwordx2 v[2:3], v[0:1], off
.LBB265_1078:
	s_andn2_b64 vcc, exec, s[6:7]
	s_cbranch_vccnz .LBB265_1080
; %bb.1079:
	v_cvt_f32_f16_e32 v0, v4
	v_cvt_i32_f32_e32 v0, v0
	global_store_dword v[2:3], v0, off
.LBB265_1080:
	s_mov_b64 s[6:7], 0
.LBB265_1081:
	s_andn2_b64 vcc, exec, s[6:7]
	s_cbranch_vccnz .LBB265_1083
; %bb.1082:
	v_cvt_i16_f16_e32 v0, v4
	global_store_short v[2:3], v0, off
.LBB265_1083:
	s_mov_b64 s[6:7], 0
.LBB265_1084:
	s_andn2_b64 vcc, exec, s[6:7]
	s_cbranch_vccnz .LBB265_1089
; %bb.1085:
	s_sext_i32_i16 s6, s16
	s_cmp_gt_i32 s6, 0
	s_mov_b64 s[6:7], -1
	s_cbranch_scc0 .LBB265_1087
; %bb.1086:
	v_cvt_i16_f16_e32 v0, v4
	s_mov_b64 s[6:7], 0
	global_store_byte v[2:3], v0, off
.LBB265_1087:
	s_andn2_b64 vcc, exec, s[6:7]
	s_cbranch_vccnz .LBB265_1089
; %bb.1088:
	v_cvt_f32_f16_e32 v0, v4
	v_cvt_i32_f32_e32 v0, v0
	global_store_byte v[2:3], v0, off
.LBB265_1089:
	s_or_b64 exec, exec, s[2:3]
	s_waitcnt lgkmcnt(0)
	s_and_b64 s[24:25], s[4:5], exec
                                        ; implicit-def: $vgpr16
                                        ; implicit-def: $vgpr8
.LBB265_1090:
	s_or_saveexec_b64 s[26:27], s[44:45]
	s_mov_b64 s[6:7], 0
                                        ; implicit-def: $vgpr0_vgpr1
                                        ; implicit-def: $sgpr14
                                        ; implicit-def: $vgpr2
	s_xor_b64 exec, exec, s[26:27]
	s_cbranch_execz .LBB265_2094
; %bb.1091:
	v_cndmask_b32_e64 v0, 0, 1, s[42:43]
	v_cmp_ne_u32_e64 s[2:3], 1, v0
	s_andn2_b64 vcc, exec, s[42:43]
	s_cbranch_vccnz .LBB265_1097
; %bb.1092:
	s_cmp_lg_u32 s33, 0
	s_mov_b32 s36, 0
	s_cbranch_scc0 .LBB265_1098
; %bb.1093:
	s_min_u32 s37, s72, 15
	s_add_i32 s37, s37, 1
	s_cmp_eq_u32 s72, 2
	s_cbranch_scc1 .LBB265_1099
; %bb.1094:
	s_and_b32 s36, s37, 28
	s_add_u32 s28, s34, 0xc4
	s_addc_u32 s29, s35, 0
	s_mov_b32 s38, 0
	v_mov_b32_e32 v6, 0
	v_mov_b32_e32 v14, 0
	s_mov_b64 s[30:31], s[34:35]
	v_mov_b32_e32 v0, v8
.LBB265_1095:                           ; =>This Inner Loop Header: Depth=1
	s_load_dwordx8 s[12:19], s[30:31], 0x4
	s_load_dwordx4 s[20:23], s[30:31], 0x24
	s_load_dwordx8 s[4:11], s[28:29], 0x0
	s_add_u32 s30, s30, 48
	s_addc_u32 s31, s31, 0
	s_waitcnt vmcnt(0) lgkmcnt(0)
	v_mul_hi_u32 v1, s13, v0
	v_add_u32_e32 v1, v0, v1
	v_lshrrev_b32_e32 v1, s14, v1
	v_mul_lo_u32 v2, v1, s12
	v_mul_hi_u32 v3, s16, v1
	v_sub_u32_e32 v0, v0, v2
	v_add_u32_e32 v2, v1, v3
	v_lshrrev_b32_e32 v2, s17, v2
	v_mul_lo_u32 v4, v2, s15
	v_mul_hi_u32 v5, s19, v2
	v_sub_u32_e32 v1, v1, v4
	v_add_u32_e32 v4, v2, v5
	v_mul_lo_u32 v3, v0, s5
	v_mul_lo_u32 v0, v0, s4
	;; [unrolled: 1-line block ×4, first 2 shown]
	v_lshrrev_b32_e32 v4, s20, v4
	v_add3_u32 v1, v0, v6, v1
	v_add3_u32 v3, v3, v14, v5
	v_mul_lo_u32 v0, v4, s18
	v_mul_hi_u32 v5, s22, v4
	v_sub_u32_e32 v0, v2, v0
	v_add_u32_e32 v2, v4, v5
	v_mul_lo_u32 v5, v0, s8
	v_mul_lo_u32 v6, v0, s9
	v_lshrrev_b32_e32 v0, s23, v2
	s_add_i32 s38, s38, 4
	v_mul_lo_u32 v2, v0, s21
	s_add_u32 s28, s28, 32
	v_sub_u32_e32 v2, v4, v2
	s_addc_u32 s29, s29, 0
	v_mul_lo_u32 v4, v2, s10
	v_mul_lo_u32 v2, v2, s11
	s_cmp_lg_u32 s36, s38
	v_add3_u32 v14, v6, v3, v2
	v_add3_u32 v6, v5, v1, v4
	s_cbranch_scc1 .LBB265_1095
; %bb.1096:
	v_mov_b32_e32 v1, v14
	s_and_b32 s8, s37, 3
	s_cmp_eq_u32 s8, 0
	s_cbranch_scc0 .LBB265_1100
	s_branch .LBB265_1102
.LBB265_1097:
                                        ; implicit-def: $vgpr14
                                        ; implicit-def: $vgpr6
	s_branch .LBB265_1103
.LBB265_1098:
	v_mov_b32_e32 v14, 0
	v_mov_b32_e32 v6, 0
	s_branch .LBB265_1102
.LBB265_1099:
	v_mov_b32_e32 v6, 0
                                        ; implicit-def: $vgpr14
	s_waitcnt vmcnt(0)
	v_mov_b32_e32 v1, v6
	v_mov_b32_e32 v0, v8
	s_and_b32 s8, s37, 3
	s_cmp_eq_u32 s8, 0
	s_cbranch_scc1 .LBB265_1102
.LBB265_1100:
	s_lshl_b32 s4, s36, 3
	s_add_u32 s4, s34, s4
	s_addc_u32 s5, s35, 0
	s_add_u32 s4, s4, 0xc4
	s_addc_u32 s5, s5, 0
	s_mul_i32 s6, s36, 12
	s_add_u32 s6, s34, s6
	s_addc_u32 s7, s35, 0
.LBB265_1101:                           ; =>This Inner Loop Header: Depth=1
	s_load_dwordx2 s[10:11], s[6:7], 0x4
	s_load_dword s9, s[6:7], 0xc
	s_load_dwordx2 s[12:13], s[4:5], 0x0
	v_mov_b32_e32 v2, v1
	s_add_u32 s6, s6, 12
	s_waitcnt lgkmcnt(0)
	v_mul_hi_u32 v1, s11, v0
	v_add_u32_e32 v1, v0, v1
	v_lshrrev_b32_e32 v1, s9, v1
	s_addc_u32 s7, s7, 0
	v_mul_lo_u32 v3, v1, s10
	s_add_u32 s4, s4, 8
	v_sub_u32_e32 v3, v0, v3
	s_addc_u32 s5, s5, 0
	s_add_i32 s8, s8, -1
	v_mad_u64_u32 v[14:15], s[10:11], v3, s13, v[2:3]
	s_cmp_lg_u32 s8, 0
	v_mov_b32_e32 v0, v1
	v_mad_u64_u32 v[6:7], s[10:11], v3, s12, v[6:7]
	v_mov_b32_e32 v1, v14
	s_cbranch_scc1 .LBB265_1101
.LBB265_1102:
	s_cbranch_execnz .LBB265_1105
.LBB265_1103:
	s_load_dwordx4 s[4:7], s[34:35], 0x4
	s_load_dwordx2 s[8:9], s[34:35], 0xc4
	s_cmp_lt_u32 s33, 2
	s_waitcnt lgkmcnt(0)
	v_mul_hi_u32 v0, s5, v8
	v_add_u32_e32 v0, v8, v0
	v_lshrrev_b32_e32 v0, s6, v0
	s_waitcnt vmcnt(0)
	v_mul_lo_u32 v1, v0, s4
	v_sub_u32_e32 v1, v8, v1
	v_mul_lo_u32 v14, v1, s9
	v_mul_lo_u32 v6, v1, s8
	s_cbranch_scc1 .LBB265_1105
; %bb.1104:
	s_load_dwordx4 s[4:7], s[34:35], 0x10
	s_load_dwordx2 s[8:9], s[34:35], 0xcc
	s_waitcnt lgkmcnt(0)
	v_mul_hi_u32 v1, s5, v0
	v_add_u32_e32 v1, v0, v1
	v_lshrrev_b32_e32 v1, s6, v1
	v_mul_lo_u32 v1, v1, s4
	v_sub_u32_e32 v0, v0, v1
	v_mad_u64_u32 v[6:7], s[4:5], v0, s8, v[6:7]
	v_mad_u64_u32 v[14:15], s[4:5], v0, s9, v[14:15]
.LBB265_1105:
	s_and_b64 vcc, exec, s[2:3]
	v_add_u32_e32 v0, 0x80, v8
	s_cbranch_vccnz .LBB265_1111
; %bb.1106:
	s_cmp_lg_u32 s33, 0
	s_mov_b32 s36, 0
	s_cbranch_scc0 .LBB265_1112
; %bb.1107:
	s_min_u32 s37, s72, 15
	s_add_i32 s37, s37, 1
	s_cmp_eq_u32 s72, 2
	s_cbranch_scc1 .LBB265_1113
; %bb.1108:
	s_and_b32 s36, s37, 28
	s_add_u32 s28, s34, 0xc4
	s_addc_u32 s29, s35, 0
	s_mov_b32 s38, 0
	v_mov_b32_e32 v4, 0
	v_mov_b32_e32 v12, 0
	s_mov_b64 s[30:31], s[34:35]
	v_mov_b32_e32 v2, v0
.LBB265_1109:                           ; =>This Inner Loop Header: Depth=1
	s_load_dwordx8 s[12:19], s[30:31], 0x4
	s_load_dwordx4 s[20:23], s[30:31], 0x24
	s_load_dwordx8 s[4:11], s[28:29], 0x0
	s_add_u32 s30, s30, 48
	s_addc_u32 s31, s31, 0
	s_waitcnt vmcnt(0) lgkmcnt(0)
	v_mul_hi_u32 v1, s13, v2
	v_add_u32_e32 v1, v2, v1
	v_lshrrev_b32_e32 v1, s14, v1
	v_mul_lo_u32 v3, v1, s12
	v_mul_hi_u32 v5, s16, v1
	v_sub_u32_e32 v2, v2, v3
	v_add_u32_e32 v3, v1, v5
	v_lshrrev_b32_e32 v3, s17, v3
	v_mul_lo_u32 v7, v3, s15
	v_mul_hi_u32 v9, s19, v3
	v_sub_u32_e32 v1, v1, v7
	v_add_u32_e32 v7, v3, v9
	v_mul_lo_u32 v5, v2, s5
	v_mul_lo_u32 v2, v2, s4
	;; [unrolled: 1-line block ×4, first 2 shown]
	v_lshrrev_b32_e32 v7, s20, v7
	v_add3_u32 v1, v2, v4, v1
	v_add3_u32 v4, v5, v12, v9
	v_mul_lo_u32 v2, v7, s18
	v_mul_hi_u32 v5, s22, v7
	v_sub_u32_e32 v2, v3, v2
	v_add_u32_e32 v3, v7, v5
	v_mul_lo_u32 v5, v2, s8
	v_mul_lo_u32 v9, v2, s9
	v_lshrrev_b32_e32 v2, s23, v3
	s_add_i32 s38, s38, 4
	v_mul_lo_u32 v3, v2, s21
	s_add_u32 s28, s28, 32
	v_sub_u32_e32 v3, v7, v3
	s_addc_u32 s29, s29, 0
	v_mul_lo_u32 v7, v3, s10
	v_mul_lo_u32 v3, v3, s11
	s_cmp_lg_u32 s36, s38
	v_add3_u32 v12, v9, v4, v3
	v_add3_u32 v4, v5, v1, v7
	s_cbranch_scc1 .LBB265_1109
; %bb.1110:
	v_mov_b32_e32 v1, v12
	s_and_b32 s8, s37, 3
	s_cmp_eq_u32 s8, 0
	s_cbranch_scc0 .LBB265_1114
	s_branch .LBB265_1116
.LBB265_1111:
                                        ; implicit-def: $vgpr12
                                        ; implicit-def: $vgpr4
	s_branch .LBB265_1117
.LBB265_1112:
	v_mov_b32_e32 v12, 0
	v_mov_b32_e32 v4, 0
	s_branch .LBB265_1116
.LBB265_1113:
	v_mov_b32_e32 v4, 0
                                        ; implicit-def: $vgpr12
	s_waitcnt vmcnt(0)
	v_mov_b32_e32 v1, v4
	v_mov_b32_e32 v2, v0
	s_and_b32 s8, s37, 3
	s_cmp_eq_u32 s8, 0
	s_cbranch_scc1 .LBB265_1116
.LBB265_1114:
	s_lshl_b32 s4, s36, 3
	s_add_u32 s4, s34, s4
	s_addc_u32 s5, s35, 0
	s_add_u32 s4, s4, 0xc4
	s_addc_u32 s5, s5, 0
	s_mul_i32 s6, s36, 12
	s_add_u32 s6, s34, s6
	s_addc_u32 s7, s35, 0
.LBB265_1115:                           ; =>This Inner Loop Header: Depth=1
	s_load_dwordx2 s[10:11], s[6:7], 0x4
	s_load_dword s9, s[6:7], 0xc
	s_load_dwordx2 s[12:13], s[4:5], 0x0
	v_mov_b32_e32 v10, v1
	s_add_u32 s6, s6, 12
	s_waitcnt lgkmcnt(0)
	v_mul_hi_u32 v1, s11, v2
	v_add_u32_e32 v1, v2, v1
	v_lshrrev_b32_e32 v1, s9, v1
	s_addc_u32 s7, s7, 0
	v_mul_lo_u32 v3, v1, s10
	s_add_u32 s4, s4, 8
	v_sub_u32_e32 v3, v2, v3
	s_addc_u32 s5, s5, 0
	s_add_i32 s8, s8, -1
	v_mad_u64_u32 v[12:13], s[10:11], v3, s13, v[10:11]
	s_cmp_lg_u32 s8, 0
	v_mov_b32_e32 v2, v1
	v_mad_u64_u32 v[4:5], s[10:11], v3, s12, v[4:5]
	v_mov_b32_e32 v1, v12
	s_cbranch_scc1 .LBB265_1115
.LBB265_1116:
	s_cbranch_execnz .LBB265_1119
.LBB265_1117:
	s_load_dwordx4 s[4:7], s[34:35], 0x4
	s_load_dwordx2 s[8:9], s[34:35], 0xc4
	s_cmp_lt_u32 s33, 2
	s_waitcnt vmcnt(0) lgkmcnt(0)
	v_mul_hi_u32 v1, s5, v0
	v_add_u32_e32 v1, v0, v1
	v_lshrrev_b32_e32 v1, s6, v1
	v_mul_lo_u32 v2, v1, s4
	v_sub_u32_e32 v0, v0, v2
	v_mul_lo_u32 v12, v0, s9
	v_mul_lo_u32 v4, v0, s8
	s_cbranch_scc1 .LBB265_1119
; %bb.1118:
	s_load_dwordx4 s[4:7], s[34:35], 0x10
	s_load_dwordx2 s[8:9], s[34:35], 0xcc
	s_waitcnt lgkmcnt(0)
	v_mul_hi_u32 v0, s5, v1
	v_add_u32_e32 v0, v1, v0
	v_lshrrev_b32_e32 v0, s6, v0
	v_mul_lo_u32 v0, v0, s4
	v_sub_u32_e32 v0, v1, v0
	v_mad_u64_u32 v[4:5], s[4:5], v0, s8, v[4:5]
	v_mad_u64_u32 v[12:13], s[4:5], v0, s9, v[12:13]
.LBB265_1119:
	s_and_b64 vcc, exec, s[2:3]
	v_add_u32_e32 v0, 0x100, v8
	s_cbranch_vccnz .LBB265_1125
; %bb.1120:
	s_cmp_lg_u32 s33, 0
	s_mov_b32 s36, 0
	s_cbranch_scc0 .LBB265_1126
; %bb.1121:
	s_min_u32 s37, s72, 15
	s_add_i32 s37, s37, 1
	s_cmp_eq_u32 s72, 2
	s_cbranch_scc1 .LBB265_1127
; %bb.1122:
	s_and_b32 s36, s37, 28
	s_add_u32 s28, s34, 0xc4
	s_addc_u32 s29, s35, 0
	s_mov_b32 s38, 0
	v_mov_b32_e32 v2, 0
	v_mov_b32_e32 v10, 0
	s_mov_b64 s[30:31], s[34:35]
	v_mov_b32_e32 v5, v0
.LBB265_1123:                           ; =>This Inner Loop Header: Depth=1
	s_load_dwordx8 s[12:19], s[30:31], 0x4
	s_load_dwordx4 s[20:23], s[30:31], 0x24
	s_load_dwordx8 s[4:11], s[28:29], 0x0
	s_add_u32 s30, s30, 48
	s_addc_u32 s31, s31, 0
	s_waitcnt vmcnt(0) lgkmcnt(0)
	v_mul_hi_u32 v1, s13, v5
	v_add_u32_e32 v1, v5, v1
	v_lshrrev_b32_e32 v1, s14, v1
	v_mul_lo_u32 v3, v1, s12
	v_mul_hi_u32 v7, s16, v1
	v_sub_u32_e32 v3, v5, v3
	v_add_u32_e32 v5, v1, v7
	v_lshrrev_b32_e32 v5, s17, v5
	v_mul_lo_u32 v8, v5, s15
	v_mul_hi_u32 v9, s19, v5
	v_sub_u32_e32 v1, v1, v8
	v_add_u32_e32 v8, v5, v9
	v_mul_lo_u32 v7, v3, s5
	v_mul_lo_u32 v3, v3, s4
	;; [unrolled: 1-line block ×4, first 2 shown]
	v_lshrrev_b32_e32 v8, s20, v8
	v_add3_u32 v1, v3, v2, v1
	v_add3_u32 v2, v7, v10, v9
	v_mul_lo_u32 v3, v8, s18
	v_mul_hi_u32 v7, s22, v8
	v_sub_u32_e32 v3, v5, v3
	v_add_u32_e32 v5, v8, v7
	v_lshrrev_b32_e32 v5, s23, v5
	s_add_i32 s38, s38, 4
	v_mul_lo_u32 v9, v5, s21
	s_add_u32 s28, s28, 32
	v_sub_u32_e32 v8, v8, v9
	s_addc_u32 s29, s29, 0
	v_mul_lo_u32 v7, v3, s8
	v_mul_lo_u32 v3, v3, s9
	;; [unrolled: 1-line block ×4, first 2 shown]
	s_cmp_lg_u32 s36, s38
	v_add3_u32 v10, v3, v2, v8
	v_add3_u32 v2, v7, v1, v9
	s_cbranch_scc1 .LBB265_1123
; %bb.1124:
	v_mov_b32_e32 v1, v10
	s_and_b32 s8, s37, 3
	s_cmp_eq_u32 s8, 0
	s_cbranch_scc0 .LBB265_1128
	s_branch .LBB265_1130
.LBB265_1125:
                                        ; implicit-def: $vgpr10
                                        ; implicit-def: $vgpr2
	s_branch .LBB265_1131
.LBB265_1126:
	v_mov_b32_e32 v10, 0
	v_mov_b32_e32 v2, 0
	s_branch .LBB265_1130
.LBB265_1127:
	v_mov_b32_e32 v2, 0
                                        ; implicit-def: $vgpr10
	s_waitcnt vmcnt(0)
	v_mov_b32_e32 v1, v2
	v_mov_b32_e32 v5, v0
	s_and_b32 s8, s37, 3
	s_cmp_eq_u32 s8, 0
	s_cbranch_scc1 .LBB265_1130
.LBB265_1128:
	s_lshl_b32 s4, s36, 3
	s_add_u32 s4, s34, s4
	s_addc_u32 s5, s35, 0
	s_add_u32 s4, s4, 0xc4
	s_addc_u32 s5, s5, 0
	s_mul_i32 s6, s36, 12
	s_add_u32 s6, s34, s6
	s_addc_u32 s7, s35, 0
.LBB265_1129:                           ; =>This Inner Loop Header: Depth=1
	s_load_dwordx2 s[10:11], s[6:7], 0x4
	s_load_dword s9, s[6:7], 0xc
	s_load_dwordx2 s[12:13], s[4:5], 0x0
	v_mov_b32_e32 v8, v1
	s_add_u32 s6, s6, 12
	s_waitcnt lgkmcnt(0)
	v_mul_hi_u32 v1, s11, v5
	v_add_u32_e32 v1, v5, v1
	v_lshrrev_b32_e32 v1, s9, v1
	s_addc_u32 s7, s7, 0
	v_mul_lo_u32 v3, v1, s10
	s_add_u32 s4, s4, 8
	v_sub_u32_e32 v3, v5, v3
	s_addc_u32 s5, s5, 0
	s_add_i32 s8, s8, -1
	v_mad_u64_u32 v[10:11], s[10:11], v3, s13, v[8:9]
	s_cmp_lg_u32 s8, 0
	v_mov_b32_e32 v5, v1
	v_mad_u64_u32 v[2:3], s[10:11], v3, s12, v[2:3]
	v_mov_b32_e32 v1, v10
	s_cbranch_scc1 .LBB265_1129
.LBB265_1130:
	s_cbranch_execnz .LBB265_1133
.LBB265_1131:
	s_load_dwordx4 s[4:7], s[34:35], 0x4
	s_load_dwordx2 s[8:9], s[34:35], 0xc4
	s_cmp_lt_u32 s33, 2
	s_waitcnt vmcnt(0) lgkmcnt(0)
	v_mul_hi_u32 v1, s5, v0
	v_add_u32_e32 v1, v0, v1
	v_lshrrev_b32_e32 v1, s6, v1
	v_mul_lo_u32 v2, v1, s4
	v_sub_u32_e32 v0, v0, v2
	v_mul_lo_u32 v10, v0, s9
	v_mul_lo_u32 v2, v0, s8
	s_cbranch_scc1 .LBB265_1133
; %bb.1132:
	s_load_dwordx4 s[4:7], s[34:35], 0x10
	s_load_dwordx2 s[8:9], s[34:35], 0xcc
	s_waitcnt lgkmcnt(0)
	v_mul_hi_u32 v0, s5, v1
	v_add_u32_e32 v0, v1, v0
	v_lshrrev_b32_e32 v0, s6, v0
	v_mul_lo_u32 v0, v0, s4
	v_sub_u32_e32 v0, v1, v0
	v_mad_u64_u32 v[2:3], s[4:5], v0, s8, v[2:3]
	v_mad_u64_u32 v[10:11], s[4:5], v0, s9, v[10:11]
.LBB265_1133:
	s_and_b64 vcc, exec, s[2:3]
	s_cbranch_vccnz .LBB265_1139
; %bb.1134:
	s_cmp_lg_u32 s33, 0
	s_mov_b32 s30, 0
	s_cbranch_scc0 .LBB265_1140
; %bb.1135:
	s_min_u32 s31, s72, 15
	s_add_i32 s31, s31, 1
	s_cmp_eq_u32 s72, 2
	s_cbranch_scc1 .LBB265_1141
; %bb.1136:
	s_and_b32 s30, s31, 28
	s_add_u32 s2, s34, 0xc4
	s_addc_u32 s3, s35, 0
	s_mov_b32 s36, 0
	v_mov_b32_e32 v0, 0
	v_mov_b32_e32 v8, 0
	s_mov_b64 s[28:29], s[34:35]
	v_mov_b32_e32 v3, v16
.LBB265_1137:                           ; =>This Inner Loop Header: Depth=1
	s_load_dwordx8 s[12:19], s[28:29], 0x4
	s_load_dwordx4 s[20:23], s[28:29], 0x24
	s_load_dwordx8 s[4:11], s[2:3], 0x0
	s_add_u32 s28, s28, 48
	s_addc_u32 s29, s29, 0
	s_waitcnt vmcnt(0) lgkmcnt(0)
	v_mul_hi_u32 v1, s13, v3
	v_add_u32_e32 v1, v3, v1
	v_lshrrev_b32_e32 v1, s14, v1
	v_mul_lo_u32 v5, v1, s12
	v_mul_hi_u32 v7, s16, v1
	v_sub_u32_e32 v3, v3, v5
	v_add_u32_e32 v5, v1, v7
	v_lshrrev_b32_e32 v5, s17, v5
	v_mul_lo_u32 v9, v5, s15
	v_mul_hi_u32 v11, s19, v5
	v_sub_u32_e32 v1, v1, v9
	v_add_u32_e32 v9, v5, v11
	v_mul_lo_u32 v7, v3, s5
	v_mul_lo_u32 v3, v3, s4
	;; [unrolled: 1-line block ×4, first 2 shown]
	v_lshrrev_b32_e32 v9, s20, v9
	v_add3_u32 v0, v3, v0, v1
	v_add3_u32 v1, v7, v8, v11
	v_mul_lo_u32 v3, v9, s18
	v_mul_hi_u32 v7, s22, v9
	v_sub_u32_e32 v3, v5, v3
	v_add_u32_e32 v5, v9, v7
	v_mul_lo_u32 v7, v3, s8
	v_mul_lo_u32 v8, v3, s9
	v_lshrrev_b32_e32 v3, s23, v5
	s_add_i32 s36, s36, 4
	v_mul_lo_u32 v5, v3, s21
	s_add_u32 s2, s2, 32
	v_sub_u32_e32 v5, v9, v5
	s_addc_u32 s3, s3, 0
	v_mul_lo_u32 v9, v5, s10
	v_mul_lo_u32 v5, v5, s11
	s_cmp_lg_u32 s30, s36
	v_add3_u32 v8, v8, v1, v5
	v_add3_u32 v0, v7, v0, v9
	s_cbranch_scc1 .LBB265_1137
; %bb.1138:
	v_mov_b32_e32 v1, v8
	s_and_b32 s6, s31, 3
	s_cmp_eq_u32 s6, 0
	s_cbranch_scc0 .LBB265_1142
	s_branch .LBB265_1144
.LBB265_1139:
                                        ; implicit-def: $vgpr8
                                        ; implicit-def: $vgpr0
	s_branch .LBB265_1145
.LBB265_1140:
	v_mov_b32_e32 v8, 0
	v_mov_b32_e32 v0, 0
	s_branch .LBB265_1144
.LBB265_1141:
	v_mov_b32_e32 v0, 0
                                        ; implicit-def: $vgpr8
	s_waitcnt vmcnt(0)
	v_mov_b32_e32 v1, v0
	v_mov_b32_e32 v3, v16
	s_and_b32 s6, s31, 3
	s_cmp_eq_u32 s6, 0
	s_cbranch_scc1 .LBB265_1144
.LBB265_1142:
	s_lshl_b32 s2, s30, 3
	s_add_u32 s2, s34, s2
	s_addc_u32 s3, s35, 0
	s_add_u32 s2, s2, 0xc4
	s_addc_u32 s3, s3, 0
	s_mul_i32 s4, s30, 12
	s_add_u32 s4, s34, s4
	s_addc_u32 s5, s35, 0
.LBB265_1143:                           ; =>This Inner Loop Header: Depth=1
	s_load_dwordx2 s[8:9], s[4:5], 0x4
	s_load_dword s7, s[4:5], 0xc
	s_load_dwordx2 s[10:11], s[2:3], 0x0
	v_mov_b32_e32 v8, v1
	s_add_u32 s4, s4, 12
	s_waitcnt lgkmcnt(0)
	v_mul_hi_u32 v1, s9, v3
	v_add_u32_e32 v1, v3, v1
	v_lshrrev_b32_e32 v1, s7, v1
	s_addc_u32 s5, s5, 0
	v_mul_lo_u32 v5, v1, s8
	s_add_u32 s2, s2, 8
	v_sub_u32_e32 v5, v3, v5
	s_addc_u32 s3, s3, 0
	s_add_i32 s6, s6, -1
	v_mov_b32_e32 v3, v1
	v_mad_u64_u32 v[8:9], s[8:9], v5, s11, v[8:9]
	v_mad_u64_u32 v[0:1], s[8:9], v5, s10, v[0:1]
	s_cmp_lg_u32 s6, 0
	v_mov_b32_e32 v1, v8
	s_cbranch_scc1 .LBB265_1143
.LBB265_1144:
	s_cbranch_execnz .LBB265_1147
.LBB265_1145:
	s_load_dwordx4 s[4:7], s[34:35], 0x4
	s_load_dwordx2 s[2:3], s[34:35], 0xc4
	s_cmp_lt_u32 s33, 2
	s_waitcnt lgkmcnt(0)
	v_mul_hi_u32 v0, s5, v16
	v_add_u32_e32 v0, v16, v0
	s_waitcnt vmcnt(0)
	v_lshrrev_b32_e32 v1, s6, v0
	v_mul_lo_u32 v0, v1, s4
	v_sub_u32_e32 v0, v16, v0
	v_mul_lo_u32 v8, v0, s3
	v_mul_lo_u32 v0, v0, s2
	s_cbranch_scc1 .LBB265_1147
; %bb.1146:
	s_load_dwordx4 s[4:7], s[34:35], 0x10
	s_load_dwordx2 s[2:3], s[34:35], 0xcc
	s_waitcnt lgkmcnt(0)
	v_mul_hi_u32 v3, s5, v1
	v_add_u32_e32 v3, v1, v3
	v_lshrrev_b32_e32 v3, s6, v3
	v_mul_lo_u32 v3, v3, s4
	v_sub_u32_e32 v3, v1, v3
	v_mad_u64_u32 v[0:1], s[4:5], v3, s2, v[0:1]
	v_mad_u64_u32 v[8:9], s[2:3], v3, s3, v[8:9]
.LBB265_1147:
	s_load_dword s16, s[0:1], 0x160
	s_load_dwordx4 s[4:7], s[34:35], 0x148
	v_mov_b32_e32 v15, 0
	s_waitcnt lgkmcnt(0)
	s_bfe_u32 s14, s16, 0x80010
	s_cmp_lt_i32 s14, 11
	v_lshl_add_u64 v[14:15], s[6:7], 0, v[14:15]
	s_cbranch_scc1 .LBB265_1154
; %bb.1148:
	s_and_b32 s15, 0xffff, s14
	s_cmp_gt_i32 s15, 25
	s_mov_b64 s[8:9], 0
	s_cbranch_scc0 .LBB265_1156
; %bb.1149:
	s_cmp_gt_i32 s15, 28
	s_cbranch_scc0 .LBB265_1157
; %bb.1150:
	s_cmp_gt_i32 s15, 43
	;; [unrolled: 3-line block ×3, first 2 shown]
	s_cbranch_scc0 .LBB265_1159
; %bb.1152:
	s_cmp_eq_u32 s15, 46
	s_mov_b64 s[2:3], 0
	s_cbranch_scc0 .LBB265_1162
; %bb.1153:
	global_load_dword v1, v[14:15], off
	s_mov_b64 s[0:1], 0
	s_mov_b64 s[10:11], -1
	s_waitcnt vmcnt(0)
	v_lshlrev_b32_e32 v1, 16, v1
	v_cvt_f16_f32_e32 v1, v1
	s_branch .LBB265_1163
.LBB265_1154:
	s_mov_b64 s[10:11], 0
                                        ; implicit-def: $vgpr1
	s_mov_b64 s[2:3], s[24:25]
	s_cbranch_execnz .LBB265_1226
.LBB265_1155:
	s_andn2_b64 vcc, exec, s[10:11]
	s_cbranch_vccz .LBB265_1271
	s_branch .LBB265_2092
.LBB265_1156:
	s_mov_b64 s[10:11], 0
	s_mov_b64 s[0:1], 0
                                        ; implicit-def: $vgpr1
	s_cbranch_execnz .LBB265_1191
	s_branch .LBB265_1222
.LBB265_1157:
	s_mov_b64 s[2:3], -1
	s_mov_b64 s[10:11], 0
	s_mov_b64 s[0:1], 0
                                        ; implicit-def: $vgpr1
	s_branch .LBB265_1172
.LBB265_1158:
	s_mov_b64 s[10:11], 0
	s_mov_b64 s[0:1], 0
                                        ; implicit-def: $vgpr1
	s_cbranch_execnz .LBB265_1168
	s_branch .LBB265_1171
.LBB265_1159:
	s_mov_b64 s[2:3], -1
	s_mov_b64 s[10:11], 0
	s_mov_b64 s[0:1], 0
                                        ; implicit-def: $vgpr1
	s_branch .LBB265_1163
.LBB265_1160:
	s_andn2_saveexec_b64 s[12:13], s[12:13]
	s_cbranch_execz .LBB265_1003
.LBB265_1161:
	s_mov_b32 s14, 0x46000000
	v_add_f32_e64 v1, |v0|, s14
	v_and_b32_e32 v1, 0xff, v1
	v_cmp_ne_u32_e32 vcc, 0, v1
	s_andn2_b64 s[10:11], s[10:11], exec
	s_and_b64 s[14:15], vcc, exec
	s_or_b64 s[10:11], s[10:11], s[14:15]
	s_or_b64 exec, exec, s[12:13]
	v_mov_b32_e32 v5, 0
	s_and_saveexec_b64 s[12:13], s[10:11]
	s_cbranch_execnz .LBB265_1004
	s_branch .LBB265_1005
.LBB265_1162:
	s_mov_b64 s[0:1], -1
                                        ; implicit-def: $vgpr1
	s_mov_b64 s[10:11], 0
.LBB265_1163:
	s_and_b64 vcc, exec, s[2:3]
	s_cbranch_vccz .LBB265_1166
; %bb.1164:
	s_cmp_eq_u32 s15, 44
	s_cbranch_scc0 .LBB265_1167
; %bb.1165:
	global_load_ubyte v1, v[14:15], off
	s_movk_i32 s2, 0xff
	v_mov_b32_e32 v5, 0x7e00
	s_mov_b64 s[0:1], 0
	s_mov_b64 s[10:11], -1
	s_waitcnt vmcnt(0)
	v_lshlrev_b32_e32 v3, 23, v1
	v_cvt_f16_f32_e32 v3, v3
	v_cmp_ne_u32_e32 vcc, s2, v1
	s_nop 1
	v_cndmask_b32_e32 v3, v5, v3, vcc
	v_cmp_ne_u32_e32 vcc, 0, v1
	s_nop 1
	v_cndmask_b32_e32 v1, 0, v3, vcc
.LBB265_1166:
	s_branch .LBB265_1171
.LBB265_1167:
	s_mov_b64 s[0:1], -1
                                        ; implicit-def: $vgpr1
	s_branch .LBB265_1171
.LBB265_1168:
	s_cmp_eq_u32 s15, 29
	s_cbranch_scc0 .LBB265_1170
; %bb.1169:
	global_load_dwordx2 v[16:17], v[14:15], off
	s_mov_b64 s[0:1], 0
	s_mov_b64 s[10:11], -1
	s_mov_b64 s[2:3], 0
	s_waitcnt vmcnt(0)
	v_ffbh_u32_e32 v1, v17
	v_min_u32_e32 v1, 32, v1
	v_lshlrev_b64 v[16:17], v1, v[16:17]
	v_min_u32_e32 v3, 1, v16
	v_or_b32_e32 v3, v17, v3
	v_cvt_f32_u32_e32 v3, v3
	v_sub_u32_e32 v1, 32, v1
	v_ldexp_f32 v1, v3, v1
	v_cvt_f16_f32_e32 v1, v1
	s_branch .LBB265_1172
.LBB265_1170:
	s_mov_b64 s[0:1], -1
                                        ; implicit-def: $vgpr1
.LBB265_1171:
	s_mov_b64 s[2:3], 0
.LBB265_1172:
	s_and_b64 vcc, exec, s[2:3]
	s_cbranch_vccz .LBB265_1190
; %bb.1173:
	s_cmp_lt_i32 s15, 27
	s_cbranch_scc1 .LBB265_1176
; %bb.1174:
	s_cmp_gt_i32 s15, 27
	s_cbranch_scc0 .LBB265_1177
; %bb.1175:
	global_load_dword v1, v[14:15], off
	s_mov_b64 s[2:3], 0
	s_waitcnt vmcnt(0)
	v_cvt_f32_u32_e32 v1, v1
	v_cvt_f16_f32_e32 v1, v1
	s_branch .LBB265_1178
.LBB265_1176:
	s_mov_b64 s[2:3], -1
                                        ; implicit-def: $vgpr1
	s_branch .LBB265_1181
.LBB265_1177:
	s_mov_b64 s[2:3], -1
                                        ; implicit-def: $vgpr1
.LBB265_1178:
	s_andn2_b64 vcc, exec, s[2:3]
	s_cbranch_vccnz .LBB265_1180
; %bb.1179:
	global_load_ushort v1, v[14:15], off
	s_waitcnt vmcnt(0)
	v_cvt_f16_u16_e32 v1, v1
.LBB265_1180:
	s_mov_b64 s[2:3], 0
.LBB265_1181:
	s_andn2_b64 vcc, exec, s[2:3]
	s_cbranch_vccnz .LBB265_1189
; %bb.1182:
	global_load_ubyte v3, v[14:15], off
	s_movk_i32 s2, 0x7f
	s_waitcnt vmcnt(0)
	v_cmp_lt_i16_e32 vcc, s2, v3
	s_mov_b64 s[2:3], 0
	s_and_saveexec_b64 s[10:11], vcc
	s_xor_b64 s[10:11], exec, s[10:11]
	s_cbranch_execz .LBB265_1202
; %bb.1183:
	s_movk_i32 s2, 0x80
	v_cmp_eq_u16_e32 vcc, s2, v3
	s_mov_b64 s[2:3], -1
	s_and_saveexec_b64 s[12:13], vcc
; %bb.1184:
	s_xor_b64 s[2:3], exec, -1
; %bb.1185:
	s_or_b64 exec, exec, s[12:13]
	s_and_b64 s[2:3], s[2:3], exec
	s_or_saveexec_b64 s[10:11], s[10:11]
	v_mov_b32_e32 v1, 0x7e00
	s_xor_b64 exec, exec, s[10:11]
	s_cbranch_execnz .LBB265_1203
.LBB265_1186:
	s_or_b64 exec, exec, s[10:11]
	s_and_saveexec_b64 s[10:11], s[2:3]
	s_cbranch_execz .LBB265_1188
.LBB265_1187:
	v_lshlrev_b32_e32 v1, 24, v3
	v_and_b32_e32 v3, 0xffff, v3
	v_and_b32_e32 v5, 7, v3
	v_ffbh_u32_e32 v9, v5
	v_min_u32_e32 v9, 32, v9
	v_subrev_u32_e32 v11, 28, v9
	v_bfe_u32 v7, v3, 3, 4
	v_lshlrev_b32_e32 v3, v11, v3
	v_sub_u32_e32 v9, 29, v9
	v_and_b32_e32 v3, 7, v3
	v_cmp_eq_u32_e32 vcc, 0, v7
	v_and_b32_e32 v1, 0x80000000, v1
	s_nop 0
	v_cndmask_b32_e32 v7, v7, v9, vcc
	v_cndmask_b32_e32 v3, v5, v3, vcc
	v_mov_b32_e32 v5, 0x3b800000
	v_lshlrev_b32_e32 v3, 20, v3
	v_lshl_add_u32 v5, v7, 23, v5
	v_or3_b32 v1, v1, v5, v3
	v_cvt_f16_f32_e32 v1, v1
.LBB265_1188:
	s_or_b64 exec, exec, s[10:11]
.LBB265_1189:
	s_mov_b64 s[10:11], -1
.LBB265_1190:
	s_branch .LBB265_1222
.LBB265_1191:
	s_cmp_gt_i32 s15, 22
	s_cbranch_scc0 .LBB265_1201
; %bb.1192:
	s_cmp_lt_i32 s15, 24
	s_cbranch_scc1 .LBB265_1204
; %bb.1193:
	s_cmp_gt_i32 s15, 24
	s_cbranch_scc0 .LBB265_1205
; %bb.1194:
	global_load_ubyte v3, v[14:15], off
	s_movk_i32 s2, 0x7f
	s_waitcnt vmcnt(0)
	v_cmp_lt_i16_e32 vcc, s2, v3
	s_mov_b64 s[2:3], 0
	s_and_saveexec_b64 s[8:9], vcc
	s_xor_b64 s[8:9], exec, s[8:9]
	s_cbranch_execz .LBB265_1216
; %bb.1195:
	s_movk_i32 s2, 0x80
	v_cmp_eq_u16_e32 vcc, s2, v3
	s_mov_b64 s[2:3], -1
	s_and_saveexec_b64 s[10:11], vcc
; %bb.1196:
	s_xor_b64 s[2:3], exec, -1
; %bb.1197:
	s_or_b64 exec, exec, s[10:11]
	s_and_b64 s[2:3], s[2:3], exec
	s_or_saveexec_b64 s[8:9], s[8:9]
	v_mov_b32_e32 v1, 0x7e00
	s_xor_b64 exec, exec, s[8:9]
	s_cbranch_execnz .LBB265_1217
.LBB265_1198:
	s_or_b64 exec, exec, s[8:9]
	s_and_saveexec_b64 s[8:9], s[2:3]
	s_cbranch_execz .LBB265_1200
.LBB265_1199:
	v_lshlrev_b32_e32 v1, 24, v3
	v_and_b32_e32 v3, 0xffff, v3
	v_and_b32_e32 v5, 3, v3
	v_ffbh_u32_e32 v9, v5
	v_min_u32_e32 v9, 32, v9
	v_subrev_u32_e32 v11, 29, v9
	v_bfe_u32 v7, v3, 2, 5
	v_lshlrev_b32_e32 v3, v11, v3
	v_sub_u32_e32 v9, 30, v9
	v_and_b32_e32 v3, 3, v3
	v_cmp_eq_u32_e32 vcc, 0, v7
	v_and_b32_e32 v1, 0x80000000, v1
	s_nop 0
	v_cndmask_b32_e32 v7, v7, v9, vcc
	v_cndmask_b32_e32 v3, v5, v3, vcc
	v_mov_b32_e32 v5, 0x37800000
	v_lshlrev_b32_e32 v3, 21, v3
	v_lshl_add_u32 v5, v7, 23, v5
	v_or3_b32 v1, v1, v5, v3
	v_cvt_f16_f32_e32 v1, v1
.LBB265_1200:
	s_or_b64 exec, exec, s[8:9]
	s_mov_b64 s[2:3], 0
	s_branch .LBB265_1206
.LBB265_1201:
                                        ; implicit-def: $vgpr1
	s_mov_b64 s[8:9], 0
	s_branch .LBB265_1212
.LBB265_1202:
	s_or_saveexec_b64 s[10:11], s[10:11]
	v_mov_b32_e32 v1, 0x7e00
	s_xor_b64 exec, exec, s[10:11]
	s_cbranch_execz .LBB265_1186
.LBB265_1203:
	v_cmp_ne_u16_e32 vcc, 0, v3
	s_andn2_b64 s[2:3], s[2:3], exec
	s_and_b64 s[12:13], vcc, exec
	s_or_b64 s[2:3], s[2:3], s[12:13]
	v_mov_b32_e32 v1, v3
	s_or_b64 exec, exec, s[10:11]
	s_and_saveexec_b64 s[10:11], s[2:3]
	s_cbranch_execnz .LBB265_1187
	s_branch .LBB265_1188
.LBB265_1204:
	s_mov_b64 s[2:3], -1
                                        ; implicit-def: $vgpr1
	s_branch .LBB265_1209
.LBB265_1205:
	s_mov_b64 s[2:3], -1
                                        ; implicit-def: $vgpr1
.LBB265_1206:
	s_and_b64 vcc, exec, s[2:3]
	s_cbranch_vccz .LBB265_1208
; %bb.1207:
	global_load_ubyte v1, v[14:15], off
	s_mov_b32 s2, 0x7f800000
	s_waitcnt vmcnt(0)
	v_lshlrev_b32_e32 v1, 24, v1
	v_and_b32_e32 v3, 0x7f000000, v1
	v_ffbh_u32_e32 v5, v3
	v_min_u32_e32 v5, 32, v5
	v_sub_u32_e64 v5, v5, 4 clamp
	v_lshlrev_b32_e32 v9, v5, v3
	v_lshlrev_b32_e32 v5, 23, v5
	v_lshrrev_b32_e32 v9, 4, v9
	v_add_u32_e32 v7, 0x1000000, v3
	v_sub_u32_e32 v5, v9, v5
	v_ashrrev_i32_e32 v7, 8, v7
	v_add_u32_e32 v5, 0x3c000000, v5
	v_and_or_b32 v5, v7, s2, v5
	v_cmp_ne_u32_e32 vcc, 0, v3
	s_brev_b32 s2, 1
	s_nop 0
	v_cndmask_b32_e32 v3, 0, v5, vcc
	v_and_or_b32 v1, v1, s2, v3
	v_cvt_f16_f32_e32 v1, v1
.LBB265_1208:
	s_mov_b64 s[2:3], 0
.LBB265_1209:
	s_andn2_b64 vcc, exec, s[2:3]
	s_cbranch_vccnz .LBB265_1211
; %bb.1210:
	global_load_ubyte v1, v[14:15], off
	s_movk_i32 s2, 0x7f00
	s_brev_b32 s3, 16
	s_waitcnt vmcnt(0)
	v_lshlrev_b16_e32 v3, 8, v1
	v_lshlrev_b32_e32 v1, 25, v1
	v_lshrrev_b32_e32 v5, 4, v1
	v_and_or_b32 v7, v3, s2, 0.5
	v_or_b32_e32 v5, 0x70000000, v5
	v_add_f32_e32 v7, -0.5, v7
	v_mul_f32_e32 v5, 0x7800000, v5
	v_cmp_gt_u32_e32 vcc, s3, v1
	v_bfe_i32 v3, v3, 0, 16
	s_brev_b32 s2, 1
	v_cndmask_b32_e32 v1, v5, v7, vcc
	v_and_or_b32 v1, v3, s2, v1
	v_cvt_f16_f32_e32 v1, v1
.LBB265_1211:
	s_mov_b64 s[10:11], -1
	s_mov_b64 s[8:9], 0
	s_cbranch_execnz .LBB265_1222
.LBB265_1212:
	s_cmp_gt_i32 s15, 14
	s_cbranch_scc0 .LBB265_1215
; %bb.1213:
	s_cmp_eq_u32 s15, 15
	s_cbranch_scc0 .LBB265_1218
; %bb.1214:
	global_load_ushort v1, v[14:15], off
	s_mov_b64 s[0:1], 0
	s_mov_b64 s[10:11], -1
	s_waitcnt vmcnt(0)
	v_lshlrev_b32_e32 v1, 16, v1
	v_cvt_f16_f32_e32 v1, v1
	s_branch .LBB265_1219
.LBB265_1215:
	s_mov_b64 s[2:3], -1
                                        ; implicit-def: $vgpr1
	s_branch .LBB265_1220
.LBB265_1216:
	s_or_saveexec_b64 s[8:9], s[8:9]
	v_mov_b32_e32 v1, 0x7e00
	s_xor_b64 exec, exec, s[8:9]
	s_cbranch_execz .LBB265_1198
.LBB265_1217:
	v_cmp_ne_u16_e32 vcc, 0, v3
	s_andn2_b64 s[2:3], s[2:3], exec
	s_and_b64 s[10:11], vcc, exec
	s_or_b64 s[2:3], s[2:3], s[10:11]
	v_mov_b32_e32 v1, v3
	s_or_b64 exec, exec, s[8:9]
	s_and_saveexec_b64 s[8:9], s[2:3]
	s_cbranch_execnz .LBB265_1199
	s_branch .LBB265_1200
.LBB265_1218:
	s_mov_b64 s[0:1], -1
                                        ; implicit-def: $vgpr1
.LBB265_1219:
	s_mov_b64 s[2:3], 0
.LBB265_1220:
	s_and_b64 vcc, exec, s[2:3]
	s_cbranch_vccz .LBB265_1222
; %bb.1221:
	s_cmp_lg_u32 s15, 11
	s_mov_b64 s[8:9], -1
	s_cselect_b64 s[0:1], -1, 0
.LBB265_1222:
	s_and_b64 vcc, exec, s[0:1]
	s_mov_b64 s[2:3], s[24:25]
	s_cbranch_vccnz .LBB265_1283
; %bb.1223:
	s_andn2_b64 vcc, exec, s[8:9]
	s_cbranch_vccnz .LBB265_1225
.LBB265_1224:
	global_load_ubyte v1, v[14:15], off
	v_mov_b32_e32 v3, 0x3c00
	s_mov_b64 s[10:11], -1
	s_waitcnt vmcnt(0)
	v_cmp_ne_u16_e32 vcc, 0, v1
	s_nop 1
	v_cndmask_b32_e32 v1, 0, v3, vcc
.LBB265_1225:
	s_branch .LBB265_1155
.LBB265_1226:
	s_and_b32 s8, 0xffff, s14
	s_cmp_lt_i32 s8, 5
	s_cbranch_scc1 .LBB265_1231
; %bb.1227:
	s_cmp_lt_i32 s8, 8
	s_cbranch_scc1 .LBB265_1232
; %bb.1228:
	;; [unrolled: 3-line block ×3, first 2 shown]
	s_cmp_gt_i32 s8, 9
	s_cbranch_scc0 .LBB265_1234
; %bb.1230:
	global_load_dwordx2 v[16:17], v[14:15], off
	s_movk_i32 s0, 0x1ff
	s_movk_i32 s1, 0xffe
	s_waitcnt vmcnt(1)
	v_mov_b32_e32 v1, 0x7c00
	v_mov_b32_e32 v3, 0x7e00
	s_movk_i32 s9, 0x40f
	s_mov_b32 s10, 0x8000
	s_waitcnt vmcnt(0)
	v_and_or_b32 v5, v17, s0, v16
	v_cmp_ne_u32_e32 vcc, 0, v5
	v_lshrrev_b32_e32 v7, 8, v17
	v_bfe_u32 v9, v17, 20, 11
	v_cndmask_b32_e64 v5, 0, 1, vcc
	v_sub_u32_e32 v13, 0x3f1, v9
	v_and_or_b32 v5, v7, s1, v5
	v_add_u32_e32 v9, 0xfffffc10, v9
	v_med3_i32 v7, v13, 0, 13
	v_or_b32_e32 v13, 0x1000, v5
	v_lshl_or_b32 v16, v9, 12, v5
	v_cmp_ne_u32_e32 vcc, 0, v5
	v_lshrrev_b32_e32 v5, v7, v13
	v_lshlrev_b32_e32 v7, v7, v5
	v_cndmask_b32_e32 v3, v1, v3, vcc
	v_cmp_ne_u32_e32 vcc, v7, v13
	v_lshrrev_b32_e32 v11, 16, v17
	s_mov_b64 s[0:1], 0
	v_cndmask_b32_e64 v7, 0, 1, vcc
	v_or_b32_e32 v5, v5, v7
	v_cmp_gt_i32_e32 vcc, 1, v9
	s_nop 1
	v_cndmask_b32_e32 v5, v16, v5, vcc
	v_and_b32_e32 v7, 7, v5
	v_cmp_lt_i32_e32 vcc, 5, v7
	v_lshrrev_b32_e32 v5, 2, v5
	s_nop 0
	v_cndmask_b32_e64 v13, 0, 1, vcc
	v_cmp_eq_u32_e32 vcc, 3, v7
	s_nop 1
	v_cndmask_b32_e64 v7, 0, 1, vcc
	v_or_b32_e32 v7, v7, v13
	v_add_u32_e32 v5, v5, v7
	v_cmp_gt_i32_e32 vcc, 31, v9
	s_nop 1
	v_cndmask_b32_e32 v1, v1, v5, vcc
	v_cmp_eq_u32_e32 vcc, s9, v9
	s_nop 1
	v_cndmask_b32_e32 v1, v1, v3, vcc
	v_and_or_b32 v1, v11, s10, v1
	s_branch .LBB265_1235
.LBB265_1231:
                                        ; implicit-def: $vgpr1
	s_branch .LBB265_1252
.LBB265_1232:
                                        ; implicit-def: $vgpr1
	s_branch .LBB265_1241
.LBB265_1233:
	s_mov_b64 s[0:1], -1
                                        ; implicit-def: $vgpr1
	s_branch .LBB265_1238
.LBB265_1234:
	s_mov_b64 s[0:1], -1
                                        ; implicit-def: $vgpr1
.LBB265_1235:
	s_andn2_b64 vcc, exec, s[0:1]
	s_cbranch_vccnz .LBB265_1237
; %bb.1236:
	global_load_dword v1, v[14:15], off
	s_waitcnt vmcnt(0)
	v_cvt_f16_f32_e32 v1, v1
.LBB265_1237:
	s_mov_b64 s[0:1], 0
.LBB265_1238:
	s_andn2_b64 vcc, exec, s[0:1]
	s_cbranch_vccnz .LBB265_1240
; %bb.1239:
	global_load_dword v1, v[14:15], off
.LBB265_1240:
	s_cbranch_execnz .LBB265_1251
.LBB265_1241:
	s_cmp_lt_i32 s8, 6
	s_cbranch_scc1 .LBB265_1244
; %bb.1242:
	s_cmp_gt_i32 s8, 6
	s_cbranch_scc0 .LBB265_1245
; %bb.1243:
	global_load_dwordx2 v[16:17], v[14:15], off
	s_movk_i32 s0, 0x1ff
	s_movk_i32 s1, 0xffe
	s_waitcnt vmcnt(1)
	v_mov_b32_e32 v1, 0x7c00
	v_mov_b32_e32 v3, 0x7e00
	s_movk_i32 s9, 0x40f
	s_mov_b32 s10, 0x8000
	s_waitcnt vmcnt(0)
	v_and_or_b32 v5, v17, s0, v16
	v_cmp_ne_u32_e32 vcc, 0, v5
	v_lshrrev_b32_e32 v7, 8, v17
	v_bfe_u32 v9, v17, 20, 11
	v_cndmask_b32_e64 v5, 0, 1, vcc
	v_sub_u32_e32 v13, 0x3f1, v9
	v_and_or_b32 v5, v7, s1, v5
	v_add_u32_e32 v9, 0xfffffc10, v9
	v_med3_i32 v7, v13, 0, 13
	v_or_b32_e32 v13, 0x1000, v5
	v_lshl_or_b32 v16, v9, 12, v5
	v_cmp_ne_u32_e32 vcc, 0, v5
	v_lshrrev_b32_e32 v5, v7, v13
	v_lshlrev_b32_e32 v7, v7, v5
	v_cndmask_b32_e32 v3, v1, v3, vcc
	v_cmp_ne_u32_e32 vcc, v7, v13
	v_lshrrev_b32_e32 v11, 16, v17
	s_mov_b64 s[0:1], 0
	v_cndmask_b32_e64 v7, 0, 1, vcc
	v_or_b32_e32 v5, v5, v7
	v_cmp_gt_i32_e32 vcc, 1, v9
	s_nop 1
	v_cndmask_b32_e32 v5, v16, v5, vcc
	v_and_b32_e32 v7, 7, v5
	v_cmp_lt_i32_e32 vcc, 5, v7
	v_lshrrev_b32_e32 v5, 2, v5
	s_nop 0
	v_cndmask_b32_e64 v13, 0, 1, vcc
	v_cmp_eq_u32_e32 vcc, 3, v7
	s_nop 1
	v_cndmask_b32_e64 v7, 0, 1, vcc
	v_or_b32_e32 v7, v7, v13
	v_add_u32_e32 v5, v5, v7
	v_cmp_gt_i32_e32 vcc, 31, v9
	s_nop 1
	v_cndmask_b32_e32 v1, v1, v5, vcc
	v_cmp_eq_u32_e32 vcc, s9, v9
	s_nop 1
	v_cndmask_b32_e32 v1, v1, v3, vcc
	v_and_or_b32 v1, v11, s10, v1
	s_branch .LBB265_1246
.LBB265_1244:
	s_mov_b64 s[0:1], -1
                                        ; implicit-def: $vgpr1
	s_branch .LBB265_1249
.LBB265_1245:
	s_mov_b64 s[0:1], -1
                                        ; implicit-def: $vgpr1
.LBB265_1246:
	s_andn2_b64 vcc, exec, s[0:1]
	s_cbranch_vccnz .LBB265_1248
; %bb.1247:
	global_load_dword v1, v[14:15], off
	s_waitcnt vmcnt(0)
	v_cvt_f16_f32_e32 v1, v1
.LBB265_1248:
	s_mov_b64 s[0:1], 0
.LBB265_1249:
	s_andn2_b64 vcc, exec, s[0:1]
	s_cbranch_vccnz .LBB265_1251
; %bb.1250:
	global_load_ushort v1, v[14:15], off
.LBB265_1251:
	s_cbranch_execnz .LBB265_1270
.LBB265_1252:
	s_cmp_lt_i32 s8, 2
	s_cbranch_scc1 .LBB265_1256
; %bb.1253:
	s_cmp_lt_i32 s8, 3
	s_cbranch_scc1 .LBB265_1257
; %bb.1254:
	s_cmp_gt_i32 s8, 3
	s_cbranch_scc0 .LBB265_1258
; %bb.1255:
	global_load_dwordx2 v[16:17], v[14:15], off
	s_mov_b64 s[0:1], 0
	s_waitcnt vmcnt(0)
	v_xor_b32_e32 v3, v16, v17
	v_ffbh_i32_e32 v1, v17
	v_ashrrev_i32_e32 v3, 31, v3
	v_add_u32_e32 v1, -1, v1
	v_add_u32_e32 v3, 32, v3
	v_min_u32_e32 v1, v1, v3
	v_lshlrev_b64 v[16:17], v1, v[16:17]
	v_min_u32_e32 v3, 1, v16
	v_or_b32_e32 v3, v17, v3
	v_cvt_f32_i32_e32 v3, v3
	v_sub_u32_e32 v1, 32, v1
	v_ldexp_f32 v1, v3, v1
	v_cvt_f16_f32_e32 v1, v1
	s_branch .LBB265_1259
.LBB265_1256:
                                        ; implicit-def: $vgpr1
	s_branch .LBB265_1265
.LBB265_1257:
	s_mov_b64 s[0:1], -1
                                        ; implicit-def: $vgpr1
	s_branch .LBB265_1262
.LBB265_1258:
	s_mov_b64 s[0:1], -1
                                        ; implicit-def: $vgpr1
.LBB265_1259:
	s_andn2_b64 vcc, exec, s[0:1]
	s_cbranch_vccnz .LBB265_1261
; %bb.1260:
	global_load_dword v1, v[14:15], off
	s_waitcnt vmcnt(0)
	v_cvt_f32_i32_e32 v1, v1
	v_cvt_f16_f32_e32 v1, v1
.LBB265_1261:
	s_mov_b64 s[0:1], 0
.LBB265_1262:
	s_andn2_b64 vcc, exec, s[0:1]
	s_cbranch_vccnz .LBB265_1264
; %bb.1263:
	global_load_ushort v1, v[14:15], off
	s_waitcnt vmcnt(0)
	v_cvt_f16_i16_e32 v1, v1
.LBB265_1264:
	s_cbranch_execnz .LBB265_1270
.LBB265_1265:
	s_cmp_gt_i32 s8, 0
	s_cbranch_scc0 .LBB265_1267
; %bb.1266:
	global_load_sbyte v1, v[14:15], off
	s_mov_b64 s[0:1], 0
	s_waitcnt vmcnt(0)
	v_cvt_f16_i16_e32 v1, v1
	s_branch .LBB265_1268
.LBB265_1267:
	s_mov_b64 s[0:1], -1
                                        ; implicit-def: $vgpr1
.LBB265_1268:
	s_andn2_b64 vcc, exec, s[0:1]
	s_cbranch_vccnz .LBB265_1270
; %bb.1269:
	global_load_ubyte v1, v[14:15], off
	s_waitcnt vmcnt(0)
	v_cvt_f16_u16_e32 v1, v1
.LBB265_1270:
.LBB265_1271:
	s_lshr_b32 s0, s16, 16
	v_mov_b32_e32 v13, 0
	s_and_b32 s17, s0, 0xff
	s_cmp_lt_i32 s17, 11
	v_lshl_add_u64 v[12:13], s[6:7], 0, v[12:13]
	s_cbranch_scc1 .LBB265_1278
; %bb.1272:
	s_and_b32 s18, 0xffff, s17
	s_cmp_gt_i32 s18, 25
	s_mov_b64 s[8:9], 0
	s_cbranch_scc0 .LBB265_1280
; %bb.1273:
	s_cmp_gt_i32 s18, 28
	s_cbranch_scc0 .LBB265_1281
; %bb.1274:
	s_cmp_gt_i32 s18, 43
	;; [unrolled: 3-line block ×3, first 2 shown]
	s_cbranch_scc0 .LBB265_1284
; %bb.1276:
	s_cmp_eq_u32 s18, 46
	s_mov_b64 s[12:13], 0
	s_cbranch_scc0 .LBB265_1287
; %bb.1277:
	global_load_dword v3, v[12:13], off
	s_mov_b64 s[0:1], 0
	s_mov_b64 s[10:11], -1
	s_waitcnt vmcnt(0)
	v_lshlrev_b32_e32 v3, 16, v3
	v_cvt_f16_f32_e32 v3, v3
	s_branch .LBB265_1288
.LBB265_1278:
	s_mov_b64 s[10:11], 0
                                        ; implicit-def: $vgpr3
	s_cbranch_execnz .LBB265_1353
.LBB265_1279:
	s_andn2_b64 vcc, exec, s[10:11]
	s_cbranch_vccnz .LBB265_2092
	s_branch .LBB265_1400
.LBB265_1280:
	s_mov_b64 s[10:11], 0
	s_mov_b64 s[0:1], 0
                                        ; implicit-def: $vgpr3
	s_cbranch_execnz .LBB265_1317
	s_branch .LBB265_1349
.LBB265_1281:
	s_mov_b64 s[12:13], -1
	s_mov_b64 s[10:11], 0
	s_mov_b64 s[0:1], 0
                                        ; implicit-def: $vgpr3
	s_branch .LBB265_1298
.LBB265_1282:
	s_mov_b64 s[12:13], -1
	s_mov_b64 s[10:11], 0
	s_mov_b64 s[0:1], 0
                                        ; implicit-def: $vgpr3
	s_branch .LBB265_1293
.LBB265_1283:
	s_or_b64 s[2:3], s[24:25], exec
	s_trap 2
	s_cbranch_execz .LBB265_1224
	s_branch .LBB265_1225
.LBB265_1284:
	s_mov_b64 s[12:13], -1
	s_mov_b64 s[10:11], 0
	s_mov_b64 s[0:1], 0
                                        ; implicit-def: $vgpr3
	s_branch .LBB265_1288
.LBB265_1285:
	s_andn2_saveexec_b64 s[14:15], s[14:15]
	s_cbranch_execz .LBB265_1015
.LBB265_1286:
	s_mov_b32 s18, 0x42800000
	v_add_f32_e64 v1, |v0|, s18
	v_and_b32_e32 v1, 0xff, v1
	v_cmp_ne_u32_e32 vcc, 0, v1
	s_andn2_b64 s[12:13], s[12:13], exec
	s_and_b64 s[18:19], vcc, exec
	s_or_b64 s[12:13], s[12:13], s[18:19]
	s_or_b64 exec, exec, s[14:15]
	v_mov_b32_e32 v5, 0
	s_and_saveexec_b64 s[14:15], s[12:13]
	s_cbranch_execnz .LBB265_1016
	s_branch .LBB265_1017
.LBB265_1287:
	s_mov_b64 s[0:1], -1
                                        ; implicit-def: $vgpr3
	s_mov_b64 s[10:11], 0
.LBB265_1288:
	s_and_b64 vcc, exec, s[12:13]
	s_cbranch_vccz .LBB265_1292
; %bb.1289:
	s_cmp_eq_u32 s18, 44
	s_cbranch_scc0 .LBB265_1291
; %bb.1290:
	global_load_ubyte v3, v[12:13], off
	s_movk_i32 s10, 0xff
	v_mov_b32_e32 v7, 0x7e00
	s_mov_b64 s[0:1], 0
	s_waitcnt vmcnt(0)
	v_lshlrev_b32_e32 v5, 23, v3
	v_cvt_f16_f32_e32 v5, v5
	v_cmp_ne_u32_e32 vcc, s10, v3
	s_mov_b64 s[10:11], -1
	s_nop 0
	v_cndmask_b32_e32 v5, v7, v5, vcc
	v_cmp_ne_u32_e32 vcc, 0, v3
	s_nop 1
	v_cndmask_b32_e32 v3, 0, v5, vcc
	s_branch .LBB265_1292
.LBB265_1291:
	s_mov_b64 s[0:1], -1
                                        ; implicit-def: $vgpr3
.LBB265_1292:
	s_mov_b64 s[12:13], 0
.LBB265_1293:
	s_and_b64 vcc, exec, s[12:13]
	s_cbranch_vccz .LBB265_1297
; %bb.1294:
	s_cmp_eq_u32 s18, 29
	s_cbranch_scc0 .LBB265_1296
; %bb.1295:
	global_load_dwordx2 v[14:15], v[12:13], off
	s_mov_b64 s[0:1], 0
	s_mov_b64 s[10:11], -1
	s_mov_b64 s[12:13], 0
	s_waitcnt vmcnt(0)
	v_ffbh_u32_e32 v3, v15
	v_min_u32_e32 v3, 32, v3
	v_lshlrev_b64 v[14:15], v3, v[14:15]
	v_min_u32_e32 v5, 1, v14
	v_or_b32_e32 v5, v15, v5
	v_cvt_f32_u32_e32 v5, v5
	v_sub_u32_e32 v3, 32, v3
	v_ldexp_f32 v3, v5, v3
	v_cvt_f16_f32_e32 v3, v3
	s_branch .LBB265_1298
.LBB265_1296:
	s_mov_b64 s[0:1], -1
                                        ; implicit-def: $vgpr3
.LBB265_1297:
	s_mov_b64 s[12:13], 0
.LBB265_1298:
	s_and_b64 vcc, exec, s[12:13]
	s_cbranch_vccz .LBB265_1316
; %bb.1299:
	s_cmp_lt_i32 s18, 27
	s_cbranch_scc1 .LBB265_1302
; %bb.1300:
	s_cmp_gt_i32 s18, 27
	s_cbranch_scc0 .LBB265_1303
; %bb.1301:
	global_load_dword v3, v[12:13], off
	s_mov_b64 s[10:11], 0
	s_waitcnt vmcnt(0)
	v_cvt_f32_u32_e32 v3, v3
	v_cvt_f16_f32_e32 v3, v3
	s_branch .LBB265_1304
.LBB265_1302:
	s_mov_b64 s[10:11], -1
                                        ; implicit-def: $vgpr3
	s_branch .LBB265_1307
.LBB265_1303:
	s_mov_b64 s[10:11], -1
                                        ; implicit-def: $vgpr3
.LBB265_1304:
	s_andn2_b64 vcc, exec, s[10:11]
	s_cbranch_vccnz .LBB265_1306
; %bb.1305:
	global_load_ushort v3, v[12:13], off
	s_waitcnt vmcnt(0)
	v_cvt_f16_u16_e32 v3, v3
.LBB265_1306:
	s_mov_b64 s[10:11], 0
.LBB265_1307:
	s_andn2_b64 vcc, exec, s[10:11]
	s_cbranch_vccnz .LBB265_1315
; %bb.1308:
	global_load_ubyte v5, v[12:13], off
	s_movk_i32 s10, 0x7f
	s_waitcnt vmcnt(0)
	v_cmp_lt_i16_e32 vcc, s10, v5
	s_mov_b64 s[10:11], 0
	s_and_saveexec_b64 s[12:13], vcc
	s_xor_b64 s[12:13], exec, s[12:13]
	s_cbranch_execz .LBB265_1328
; %bb.1309:
	s_movk_i32 s10, 0x80
	v_cmp_eq_u16_e32 vcc, s10, v5
	s_mov_b64 s[10:11], -1
	s_and_saveexec_b64 s[14:15], vcc
; %bb.1310:
	s_xor_b64 s[10:11], exec, -1
; %bb.1311:
	s_or_b64 exec, exec, s[14:15]
	s_and_b64 s[10:11], s[10:11], exec
	s_or_saveexec_b64 s[12:13], s[12:13]
	v_mov_b32_e32 v3, 0x7e00
	s_xor_b64 exec, exec, s[12:13]
	s_cbranch_execnz .LBB265_1329
.LBB265_1312:
	s_or_b64 exec, exec, s[12:13]
	s_and_saveexec_b64 s[12:13], s[10:11]
	s_cbranch_execz .LBB265_1314
.LBB265_1313:
	v_lshlrev_b32_e32 v3, 24, v5
	v_and_b32_e32 v5, 0xffff, v5
	v_and_b32_e32 v7, 7, v5
	v_ffbh_u32_e32 v11, v7
	v_min_u32_e32 v11, 32, v11
	v_subrev_u32_e32 v14, 28, v11
	v_bfe_u32 v9, v5, 3, 4
	v_lshlrev_b32_e32 v5, v14, v5
	v_sub_u32_e32 v11, 29, v11
	v_and_b32_e32 v5, 7, v5
	v_cmp_eq_u32_e32 vcc, 0, v9
	v_and_b32_e32 v3, 0x80000000, v3
	s_nop 0
	v_cndmask_b32_e32 v9, v9, v11, vcc
	v_cndmask_b32_e32 v5, v7, v5, vcc
	v_mov_b32_e32 v7, 0x3b800000
	v_lshlrev_b32_e32 v5, 20, v5
	v_lshl_add_u32 v7, v9, 23, v7
	v_or3_b32 v3, v3, v7, v5
	v_cvt_f16_f32_e32 v3, v3
.LBB265_1314:
	s_or_b64 exec, exec, s[12:13]
.LBB265_1315:
	s_mov_b64 s[10:11], -1
.LBB265_1316:
	s_branch .LBB265_1349
.LBB265_1317:
	s_cmp_gt_i32 s18, 22
	s_cbranch_scc0 .LBB265_1327
; %bb.1318:
	s_cmp_lt_i32 s18, 24
	s_cbranch_scc1 .LBB265_1330
; %bb.1319:
	s_cmp_gt_i32 s18, 24
	s_cbranch_scc0 .LBB265_1331
; %bb.1320:
	global_load_ubyte v5, v[12:13], off
	s_movk_i32 s8, 0x7f
	s_waitcnt vmcnt(0)
	v_cmp_lt_i16_e32 vcc, s8, v5
	s_mov_b64 s[8:9], 0
	s_and_saveexec_b64 s[10:11], vcc
	s_xor_b64 s[10:11], exec, s[10:11]
	s_cbranch_execz .LBB265_1343
; %bb.1321:
	s_movk_i32 s8, 0x80
	v_cmp_eq_u16_e32 vcc, s8, v5
	s_mov_b64 s[8:9], -1
	s_and_saveexec_b64 s[12:13], vcc
; %bb.1322:
	s_xor_b64 s[8:9], exec, -1
; %bb.1323:
	s_or_b64 exec, exec, s[12:13]
	s_and_b64 s[8:9], s[8:9], exec
	s_or_saveexec_b64 s[10:11], s[10:11]
	v_mov_b32_e32 v3, 0x7e00
	s_xor_b64 exec, exec, s[10:11]
	s_cbranch_execnz .LBB265_1344
.LBB265_1324:
	s_or_b64 exec, exec, s[10:11]
	s_and_saveexec_b64 s[10:11], s[8:9]
	s_cbranch_execz .LBB265_1326
.LBB265_1325:
	v_lshlrev_b32_e32 v3, 24, v5
	v_and_b32_e32 v5, 0xffff, v5
	v_and_b32_e32 v7, 3, v5
	v_ffbh_u32_e32 v11, v7
	v_min_u32_e32 v11, 32, v11
	v_subrev_u32_e32 v14, 29, v11
	v_bfe_u32 v9, v5, 2, 5
	v_lshlrev_b32_e32 v5, v14, v5
	v_sub_u32_e32 v11, 30, v11
	v_and_b32_e32 v5, 3, v5
	v_cmp_eq_u32_e32 vcc, 0, v9
	v_and_b32_e32 v3, 0x80000000, v3
	s_nop 0
	v_cndmask_b32_e32 v9, v9, v11, vcc
	v_cndmask_b32_e32 v5, v7, v5, vcc
	v_mov_b32_e32 v7, 0x37800000
	v_lshlrev_b32_e32 v5, 21, v5
	v_lshl_add_u32 v7, v9, 23, v7
	v_or3_b32 v3, v3, v7, v5
	v_cvt_f16_f32_e32 v3, v3
.LBB265_1326:
	s_or_b64 exec, exec, s[10:11]
	s_mov_b64 s[8:9], 0
	s_branch .LBB265_1332
.LBB265_1327:
	s_mov_b64 s[8:9], -1
                                        ; implicit-def: $vgpr3
	s_branch .LBB265_1338
.LBB265_1328:
	s_or_saveexec_b64 s[12:13], s[12:13]
	v_mov_b32_e32 v3, 0x7e00
	s_xor_b64 exec, exec, s[12:13]
	s_cbranch_execz .LBB265_1312
.LBB265_1329:
	v_cmp_ne_u16_e32 vcc, 0, v5
	s_andn2_b64 s[10:11], s[10:11], exec
	s_and_b64 s[14:15], vcc, exec
	s_or_b64 s[10:11], s[10:11], s[14:15]
	v_mov_b32_e32 v3, v5
	s_or_b64 exec, exec, s[12:13]
	s_and_saveexec_b64 s[12:13], s[10:11]
	s_cbranch_execnz .LBB265_1313
	s_branch .LBB265_1314
.LBB265_1330:
	s_mov_b64 s[8:9], -1
                                        ; implicit-def: $vgpr3
	s_branch .LBB265_1335
.LBB265_1331:
	s_mov_b64 s[8:9], -1
                                        ; implicit-def: $vgpr3
.LBB265_1332:
	s_and_b64 vcc, exec, s[8:9]
	s_cbranch_vccz .LBB265_1334
; %bb.1333:
	global_load_ubyte v3, v[12:13], off
	s_mov_b32 s8, 0x7f800000
	s_waitcnt vmcnt(0)
	v_lshlrev_b32_e32 v3, 24, v3
	v_and_b32_e32 v5, 0x7f000000, v3
	v_ffbh_u32_e32 v7, v5
	v_min_u32_e32 v7, 32, v7
	v_sub_u32_e64 v7, v7, 4 clamp
	v_lshlrev_b32_e32 v11, v7, v5
	v_lshlrev_b32_e32 v7, 23, v7
	v_lshrrev_b32_e32 v11, 4, v11
	v_add_u32_e32 v9, 0x1000000, v5
	v_sub_u32_e32 v7, v11, v7
	v_ashrrev_i32_e32 v9, 8, v9
	v_add_u32_e32 v7, 0x3c000000, v7
	v_and_or_b32 v7, v9, s8, v7
	v_cmp_ne_u32_e32 vcc, 0, v5
	s_brev_b32 s8, 1
	s_nop 0
	v_cndmask_b32_e32 v5, 0, v7, vcc
	v_and_or_b32 v3, v3, s8, v5
	v_cvt_f16_f32_e32 v3, v3
.LBB265_1334:
	s_mov_b64 s[8:9], 0
.LBB265_1335:
	s_andn2_b64 vcc, exec, s[8:9]
	s_cbranch_vccnz .LBB265_1337
; %bb.1336:
	global_load_ubyte v3, v[12:13], off
	s_movk_i32 s8, 0x7f00
	s_brev_b32 s9, 16
	s_waitcnt vmcnt(0)
	v_lshlrev_b16_e32 v5, 8, v3
	v_lshlrev_b32_e32 v3, 25, v3
	v_lshrrev_b32_e32 v7, 4, v3
	v_and_or_b32 v9, v5, s8, 0.5
	v_or_b32_e32 v7, 0x70000000, v7
	v_add_f32_e32 v9, -0.5, v9
	v_mul_f32_e32 v7, 0x7800000, v7
	v_cmp_gt_u32_e32 vcc, s9, v3
	v_bfe_i32 v5, v5, 0, 16
	s_brev_b32 s8, 1
	v_cndmask_b32_e32 v3, v7, v9, vcc
	v_and_or_b32 v3, v5, s8, v3
	v_cvt_f16_f32_e32 v3, v3
.LBB265_1337:
	s_mov_b64 s[8:9], 0
	s_mov_b64 s[10:11], -1
.LBB265_1338:
	s_andn2_b64 vcc, exec, s[8:9]
	s_mov_b64 s[8:9], 0
	s_cbranch_vccnz .LBB265_1349
; %bb.1339:
	s_cmp_gt_i32 s18, 14
	s_cbranch_scc0 .LBB265_1342
; %bb.1340:
	s_cmp_eq_u32 s18, 15
	s_cbranch_scc0 .LBB265_1345
; %bb.1341:
	global_load_ushort v3, v[12:13], off
	s_mov_b64 s[0:1], 0
	s_mov_b64 s[10:11], -1
	s_waitcnt vmcnt(0)
	v_lshlrev_b32_e32 v3, 16, v3
	v_cvt_f16_f32_e32 v3, v3
	s_branch .LBB265_1346
.LBB265_1342:
	s_mov_b64 s[12:13], -1
                                        ; implicit-def: $vgpr3
	s_branch .LBB265_1347
.LBB265_1343:
	s_or_saveexec_b64 s[10:11], s[10:11]
	v_mov_b32_e32 v3, 0x7e00
	s_xor_b64 exec, exec, s[10:11]
	s_cbranch_execz .LBB265_1324
.LBB265_1344:
	v_cmp_ne_u16_e32 vcc, 0, v5
	s_andn2_b64 s[8:9], s[8:9], exec
	s_and_b64 s[12:13], vcc, exec
	s_or_b64 s[8:9], s[8:9], s[12:13]
	v_mov_b32_e32 v3, v5
	s_or_b64 exec, exec, s[10:11]
	s_and_saveexec_b64 s[10:11], s[8:9]
	s_cbranch_execnz .LBB265_1325
	s_branch .LBB265_1326
.LBB265_1345:
	s_mov_b64 s[0:1], -1
                                        ; implicit-def: $vgpr3
.LBB265_1346:
	s_mov_b64 s[12:13], 0
.LBB265_1347:
	s_and_b64 vcc, exec, s[12:13]
	s_cbranch_vccz .LBB265_1349
; %bb.1348:
	s_cmp_lg_u32 s18, 11
	s_mov_b64 s[8:9], -1
	s_cselect_b64 s[0:1], -1, 0
.LBB265_1349:
	s_and_b64 vcc, exec, s[0:1]
	s_cbranch_vccnz .LBB265_1412
; %bb.1350:
	s_andn2_b64 vcc, exec, s[8:9]
	s_cbranch_vccnz .LBB265_1352
.LBB265_1351:
	global_load_ubyte v3, v[12:13], off
	v_mov_b32_e32 v5, 0x3c00
	s_mov_b64 s[10:11], -1
	s_waitcnt vmcnt(0)
	v_cmp_ne_u16_e32 vcc, 0, v3
	s_nop 1
	v_cndmask_b32_e32 v3, 0, v5, vcc
.LBB265_1352:
	s_branch .LBB265_1279
.LBB265_1353:
	s_and_b32 s8, 0xffff, s17
	s_cmp_lt_i32 s8, 5
	s_cbranch_scc1 .LBB265_1358
; %bb.1354:
	s_cmp_lt_i32 s8, 8
	s_cbranch_scc1 .LBB265_1359
; %bb.1355:
	;; [unrolled: 3-line block ×3, first 2 shown]
	s_cmp_gt_i32 s8, 9
	s_cbranch_scc0 .LBB265_1361
; %bb.1357:
	global_load_dwordx2 v[14:15], v[12:13], off
	s_movk_i32 s0, 0x1ff
	s_movk_i32 s1, 0xffe
	v_mov_b32_e32 v3, 0x7c00
	v_mov_b32_e32 v5, 0x7e00
	s_movk_i32 s9, 0x40f
	s_mov_b32 s10, 0x8000
	s_waitcnt vmcnt(0)
	v_and_or_b32 v7, v15, s0, v14
	v_cmp_ne_u32_e32 vcc, 0, v7
	v_lshrrev_b32_e32 v9, 8, v15
	v_bfe_u32 v11, v15, 20, 11
	v_cndmask_b32_e64 v7, 0, 1, vcc
	v_lshrrev_b32_e32 v14, 16, v15
	v_sub_u32_e32 v15, 0x3f1, v11
	v_and_or_b32 v7, v9, s1, v7
	v_add_u32_e32 v11, 0xfffffc10, v11
	v_med3_i32 v9, v15, 0, 13
	v_or_b32_e32 v15, 0x1000, v7
	v_lshl_or_b32 v16, v11, 12, v7
	v_cmp_ne_u32_e32 vcc, 0, v7
	v_lshrrev_b32_e32 v7, v9, v15
	v_lshlrev_b32_e32 v9, v9, v7
	v_cndmask_b32_e32 v5, v3, v5, vcc
	v_cmp_ne_u32_e32 vcc, v9, v15
	s_mov_b64 s[0:1], 0
	s_nop 0
	v_cndmask_b32_e64 v9, 0, 1, vcc
	v_or_b32_e32 v7, v7, v9
	v_cmp_gt_i32_e32 vcc, 1, v11
	s_nop 1
	v_cndmask_b32_e32 v7, v16, v7, vcc
	v_and_b32_e32 v9, 7, v7
	v_cmp_lt_i32_e32 vcc, 5, v9
	v_lshrrev_b32_e32 v7, 2, v7
	s_nop 0
	v_cndmask_b32_e64 v15, 0, 1, vcc
	v_cmp_eq_u32_e32 vcc, 3, v9
	s_nop 1
	v_cndmask_b32_e64 v9, 0, 1, vcc
	v_or_b32_e32 v9, v9, v15
	v_add_u32_e32 v7, v7, v9
	v_cmp_gt_i32_e32 vcc, 31, v11
	s_nop 1
	v_cndmask_b32_e32 v3, v3, v7, vcc
	v_cmp_eq_u32_e32 vcc, s9, v11
	s_nop 1
	v_cndmask_b32_e32 v3, v3, v5, vcc
	v_and_or_b32 v3, v14, s10, v3
	s_branch .LBB265_1362
.LBB265_1358:
                                        ; implicit-def: $vgpr3
	s_branch .LBB265_1380
.LBB265_1359:
	s_mov_b64 s[0:1], -1
                                        ; implicit-def: $vgpr3
	s_branch .LBB265_1368
.LBB265_1360:
	s_mov_b64 s[0:1], -1
                                        ; implicit-def: $vgpr3
	s_branch .LBB265_1365
.LBB265_1361:
	s_mov_b64 s[0:1], -1
                                        ; implicit-def: $vgpr3
.LBB265_1362:
	s_andn2_b64 vcc, exec, s[0:1]
	s_cbranch_vccnz .LBB265_1364
; %bb.1363:
	global_load_dword v3, v[12:13], off
	s_waitcnt vmcnt(0)
	v_cvt_f16_f32_e32 v3, v3
.LBB265_1364:
	s_mov_b64 s[0:1], 0
.LBB265_1365:
	s_andn2_b64 vcc, exec, s[0:1]
	s_cbranch_vccnz .LBB265_1367
; %bb.1366:
	global_load_dword v3, v[12:13], off
.LBB265_1367:
	s_mov_b64 s[0:1], 0
.LBB265_1368:
	s_andn2_b64 vcc, exec, s[0:1]
	s_cbranch_vccnz .LBB265_1379
; %bb.1369:
	s_cmp_lt_i32 s8, 6
	s_cbranch_scc1 .LBB265_1372
; %bb.1370:
	s_cmp_gt_i32 s8, 6
	s_cbranch_scc0 .LBB265_1373
; %bb.1371:
	global_load_dwordx2 v[14:15], v[12:13], off
	s_movk_i32 s0, 0x1ff
	s_movk_i32 s1, 0xffe
	s_waitcnt vmcnt(1)
	v_mov_b32_e32 v3, 0x7c00
	v_mov_b32_e32 v5, 0x7e00
	s_movk_i32 s9, 0x40f
	s_mov_b32 s10, 0x8000
	s_waitcnt vmcnt(0)
	v_and_or_b32 v7, v15, s0, v14
	v_cmp_ne_u32_e32 vcc, 0, v7
	v_lshrrev_b32_e32 v9, 8, v15
	v_bfe_u32 v11, v15, 20, 11
	v_cndmask_b32_e64 v7, 0, 1, vcc
	v_lshrrev_b32_e32 v14, 16, v15
	v_sub_u32_e32 v15, 0x3f1, v11
	v_and_or_b32 v7, v9, s1, v7
	v_add_u32_e32 v11, 0xfffffc10, v11
	v_med3_i32 v9, v15, 0, 13
	v_or_b32_e32 v15, 0x1000, v7
	v_lshl_or_b32 v16, v11, 12, v7
	v_cmp_ne_u32_e32 vcc, 0, v7
	v_lshrrev_b32_e32 v7, v9, v15
	v_lshlrev_b32_e32 v9, v9, v7
	v_cndmask_b32_e32 v5, v3, v5, vcc
	v_cmp_ne_u32_e32 vcc, v9, v15
	s_mov_b64 s[0:1], 0
	s_nop 0
	v_cndmask_b32_e64 v9, 0, 1, vcc
	v_or_b32_e32 v7, v7, v9
	v_cmp_gt_i32_e32 vcc, 1, v11
	s_nop 1
	v_cndmask_b32_e32 v7, v16, v7, vcc
	v_and_b32_e32 v9, 7, v7
	v_cmp_lt_i32_e32 vcc, 5, v9
	v_lshrrev_b32_e32 v7, 2, v7
	s_nop 0
	v_cndmask_b32_e64 v15, 0, 1, vcc
	v_cmp_eq_u32_e32 vcc, 3, v9
	s_nop 1
	v_cndmask_b32_e64 v9, 0, 1, vcc
	v_or_b32_e32 v9, v9, v15
	v_add_u32_e32 v7, v7, v9
	v_cmp_gt_i32_e32 vcc, 31, v11
	s_nop 1
	v_cndmask_b32_e32 v3, v3, v7, vcc
	v_cmp_eq_u32_e32 vcc, s9, v11
	s_nop 1
	v_cndmask_b32_e32 v3, v3, v5, vcc
	v_and_or_b32 v3, v14, s10, v3
	s_branch .LBB265_1374
.LBB265_1372:
	s_mov_b64 s[0:1], -1
                                        ; implicit-def: $vgpr3
	s_branch .LBB265_1377
.LBB265_1373:
	s_mov_b64 s[0:1], -1
                                        ; implicit-def: $vgpr3
.LBB265_1374:
	s_andn2_b64 vcc, exec, s[0:1]
	s_cbranch_vccnz .LBB265_1376
; %bb.1375:
	global_load_dword v3, v[12:13], off
	s_waitcnt vmcnt(0)
	v_cvt_f16_f32_e32 v3, v3
.LBB265_1376:
	s_mov_b64 s[0:1], 0
.LBB265_1377:
	s_andn2_b64 vcc, exec, s[0:1]
	s_cbranch_vccnz .LBB265_1379
; %bb.1378:
	global_load_ushort v3, v[12:13], off
.LBB265_1379:
	s_cbranch_execnz .LBB265_1399
.LBB265_1380:
	s_cmp_lt_i32 s8, 2
	s_cbranch_scc1 .LBB265_1384
; %bb.1381:
	s_cmp_lt_i32 s8, 3
	s_cbranch_scc1 .LBB265_1385
; %bb.1382:
	s_cmp_gt_i32 s8, 3
	s_cbranch_scc0 .LBB265_1386
; %bb.1383:
	global_load_dwordx2 v[14:15], v[12:13], off
	s_mov_b64 s[0:1], 0
	s_waitcnt vmcnt(0)
	v_xor_b32_e32 v5, v14, v15
	v_ffbh_i32_e32 v3, v15
	v_ashrrev_i32_e32 v5, 31, v5
	v_add_u32_e32 v3, -1, v3
	v_add_u32_e32 v5, 32, v5
	v_min_u32_e32 v3, v3, v5
	v_lshlrev_b64 v[14:15], v3, v[14:15]
	v_min_u32_e32 v5, 1, v14
	v_or_b32_e32 v5, v15, v5
	v_cvt_f32_i32_e32 v5, v5
	v_sub_u32_e32 v3, 32, v3
	v_ldexp_f32 v3, v5, v3
	v_cvt_f16_f32_e32 v3, v3
	s_branch .LBB265_1387
.LBB265_1384:
	s_mov_b64 s[0:1], -1
                                        ; implicit-def: $vgpr3
	s_branch .LBB265_1393
.LBB265_1385:
	s_mov_b64 s[0:1], -1
                                        ; implicit-def: $vgpr3
	s_branch .LBB265_1390
.LBB265_1386:
	s_mov_b64 s[0:1], -1
                                        ; implicit-def: $vgpr3
.LBB265_1387:
	s_andn2_b64 vcc, exec, s[0:1]
	s_cbranch_vccnz .LBB265_1389
; %bb.1388:
	global_load_dword v3, v[12:13], off
	s_waitcnt vmcnt(0)
	v_cvt_f32_i32_e32 v3, v3
	v_cvt_f16_f32_e32 v3, v3
.LBB265_1389:
	s_mov_b64 s[0:1], 0
.LBB265_1390:
	s_andn2_b64 vcc, exec, s[0:1]
	s_cbranch_vccnz .LBB265_1392
; %bb.1391:
	global_load_ushort v3, v[12:13], off
	s_waitcnt vmcnt(0)
	v_cvt_f16_i16_e32 v3, v3
.LBB265_1392:
	s_mov_b64 s[0:1], 0
.LBB265_1393:
	s_andn2_b64 vcc, exec, s[0:1]
	s_cbranch_vccnz .LBB265_1399
; %bb.1394:
	s_cmp_gt_i32 s8, 0
	s_cbranch_scc0 .LBB265_1396
; %bb.1395:
	global_load_sbyte v3, v[12:13], off
	s_mov_b64 s[0:1], 0
	s_waitcnt vmcnt(0)
	v_cvt_f16_i16_e32 v3, v3
	s_branch .LBB265_1397
.LBB265_1396:
	s_mov_b64 s[0:1], -1
                                        ; implicit-def: $vgpr3
.LBB265_1397:
	s_andn2_b64 vcc, exec, s[0:1]
	s_cbranch_vccnz .LBB265_1399
; %bb.1398:
	global_load_ubyte v3, v[12:13], off
	s_waitcnt vmcnt(0)
	v_cvt_f16_u16_e32 v3, v3
.LBB265_1399:
.LBB265_1400:
	v_mov_b32_e32 v11, 0
	s_cmp_lt_i32 s17, 11
	v_lshl_add_u64 v[10:11], s[6:7], 0, v[10:11]
	s_cbranch_scc1 .LBB265_1407
; %bb.1401:
	s_and_b32 s18, 0xffff, s17
	s_cmp_gt_i32 s18, 25
	s_mov_b64 s[8:9], 0
	s_cbranch_scc0 .LBB265_1409
; %bb.1402:
	s_cmp_gt_i32 s18, 28
	s_cbranch_scc0 .LBB265_1410
; %bb.1403:
	s_cmp_gt_i32 s18, 43
	;; [unrolled: 3-line block ×3, first 2 shown]
	s_cbranch_scc0 .LBB265_1413
; %bb.1405:
	s_cmp_eq_u32 s18, 46
	s_mov_b64 s[12:13], 0
	s_cbranch_scc0 .LBB265_1414
; %bb.1406:
	global_load_dword v5, v[10:11], off
	s_mov_b64 s[0:1], 0
	s_mov_b64 s[10:11], -1
	s_waitcnt vmcnt(0)
	v_lshlrev_b32_e32 v5, 16, v5
	v_cvt_f16_f32_e32 v12, v5
	s_branch .LBB265_1415
.LBB265_1407:
	s_mov_b64 s[10:11], 0
                                        ; implicit-def: $vgpr12
	s_cbranch_execnz .LBB265_1481
.LBB265_1408:
	s_andn2_b64 vcc, exec, s[10:11]
	s_cbranch_vccnz .LBB265_2092
	s_branch .LBB265_1529
.LBB265_1409:
	s_mov_b64 s[12:13], -1
	s_mov_b64 s[10:11], 0
	s_mov_b64 s[0:1], 0
                                        ; implicit-def: $vgpr12
	s_branch .LBB265_1444
.LBB265_1410:
	s_mov_b64 s[12:13], -1
	s_mov_b64 s[10:11], 0
	s_mov_b64 s[0:1], 0
                                        ; implicit-def: $vgpr12
	s_branch .LBB265_1425
.LBB265_1411:
	s_mov_b64 s[12:13], -1
	s_mov_b64 s[10:11], 0
	s_mov_b64 s[0:1], 0
                                        ; implicit-def: $vgpr12
	s_branch .LBB265_1420
.LBB265_1412:
	s_trap 2
	s_or_b64 s[2:3], s[2:3], exec
	s_cbranch_execz .LBB265_1351
	s_branch .LBB265_1352
.LBB265_1413:
	s_mov_b64 s[12:13], -1
	s_mov_b64 s[10:11], 0
	s_mov_b64 s[0:1], 0
                                        ; implicit-def: $vgpr12
	s_branch .LBB265_1415
.LBB265_1414:
	s_mov_b64 s[0:1], -1
                                        ; implicit-def: $vgpr12
	s_mov_b64 s[10:11], 0
.LBB265_1415:
	s_and_b64 vcc, exec, s[12:13]
	s_cbranch_vccz .LBB265_1419
; %bb.1416:
	s_cmp_eq_u32 s18, 44
	s_cbranch_scc0 .LBB265_1418
; %bb.1417:
	global_load_ubyte v5, v[10:11], off
	s_movk_i32 s10, 0xff
	v_mov_b32_e32 v9, 0x7e00
	s_mov_b64 s[0:1], 0
	s_waitcnt vmcnt(0)
	v_lshlrev_b32_e32 v7, 23, v5
	v_cvt_f16_f32_e32 v7, v7
	v_cmp_ne_u32_e32 vcc, s10, v5
	s_mov_b64 s[10:11], -1
	s_nop 0
	v_cndmask_b32_e32 v7, v9, v7, vcc
	v_cmp_ne_u32_e32 vcc, 0, v5
	s_nop 1
	v_cndmask_b32_e32 v12, 0, v7, vcc
	s_branch .LBB265_1419
.LBB265_1418:
	s_mov_b64 s[0:1], -1
                                        ; implicit-def: $vgpr12
.LBB265_1419:
	s_mov_b64 s[12:13], 0
.LBB265_1420:
	s_and_b64 vcc, exec, s[12:13]
	s_cbranch_vccz .LBB265_1424
; %bb.1421:
	s_cmp_eq_u32 s18, 29
	s_cbranch_scc0 .LBB265_1423
; %bb.1422:
	global_load_dwordx2 v[12:13], v[10:11], off
	s_mov_b64 s[0:1], 0
	s_mov_b64 s[10:11], -1
	s_mov_b64 s[12:13], 0
	s_waitcnt vmcnt(0)
	v_ffbh_u32_e32 v5, v13
	v_min_u32_e32 v5, 32, v5
	v_lshlrev_b64 v[12:13], v5, v[12:13]
	v_min_u32_e32 v7, 1, v12
	v_or_b32_e32 v7, v13, v7
	v_cvt_f32_u32_e32 v7, v7
	v_sub_u32_e32 v5, 32, v5
	v_ldexp_f32 v5, v7, v5
	v_cvt_f16_f32_e32 v12, v5
	s_branch .LBB265_1425
.LBB265_1423:
	s_mov_b64 s[0:1], -1
                                        ; implicit-def: $vgpr12
.LBB265_1424:
	s_mov_b64 s[12:13], 0
.LBB265_1425:
	s_and_b64 vcc, exec, s[12:13]
	s_cbranch_vccz .LBB265_1443
; %bb.1426:
	s_cmp_lt_i32 s18, 27
	s_cbranch_scc1 .LBB265_1429
; %bb.1427:
	s_cmp_gt_i32 s18, 27
	s_cbranch_scc0 .LBB265_1430
; %bb.1428:
	global_load_dword v5, v[10:11], off
	s_mov_b64 s[10:11], 0
	s_waitcnt vmcnt(0)
	v_cvt_f32_u32_e32 v5, v5
	v_cvt_f16_f32_e32 v12, v5
	s_branch .LBB265_1431
.LBB265_1429:
	s_mov_b64 s[10:11], -1
                                        ; implicit-def: $vgpr12
	s_branch .LBB265_1434
.LBB265_1430:
	s_mov_b64 s[10:11], -1
                                        ; implicit-def: $vgpr12
.LBB265_1431:
	s_andn2_b64 vcc, exec, s[10:11]
	s_cbranch_vccnz .LBB265_1433
; %bb.1432:
	global_load_ushort v5, v[10:11], off
	s_waitcnt vmcnt(0)
	v_cvt_f16_u16_e32 v12, v5
.LBB265_1433:
	s_mov_b64 s[10:11], 0
.LBB265_1434:
	s_andn2_b64 vcc, exec, s[10:11]
	s_cbranch_vccnz .LBB265_1442
; %bb.1435:
	global_load_ubyte v5, v[10:11], off
	s_movk_i32 s10, 0x7f
	s_waitcnt vmcnt(0)
	v_cmp_lt_i16_e32 vcc, s10, v5
	s_mov_b64 s[10:11], 0
	s_and_saveexec_b64 s[12:13], vcc
	s_xor_b64 s[12:13], exec, s[12:13]
	s_cbranch_execz .LBB265_1456
; %bb.1436:
	s_movk_i32 s10, 0x80
	v_cmp_eq_u16_e32 vcc, s10, v5
	s_mov_b64 s[10:11], -1
	s_and_saveexec_b64 s[14:15], vcc
; %bb.1437:
	s_xor_b64 s[10:11], exec, -1
; %bb.1438:
	s_or_b64 exec, exec, s[14:15]
	s_and_b64 s[10:11], s[10:11], exec
	s_or_saveexec_b64 s[12:13], s[12:13]
	v_mov_b32_e32 v12, 0x7e00
	s_xor_b64 exec, exec, s[12:13]
	s_cbranch_execnz .LBB265_1457
.LBB265_1439:
	s_or_b64 exec, exec, s[12:13]
	s_and_saveexec_b64 s[12:13], s[10:11]
	s_cbranch_execz .LBB265_1441
.LBB265_1440:
	v_lshlrev_b32_e32 v7, 24, v5
	v_and_b32_e32 v5, 0xffff, v5
	v_and_b32_e32 v9, 7, v5
	v_ffbh_u32_e32 v13, v9
	v_min_u32_e32 v13, 32, v13
	v_subrev_u32_e32 v14, 28, v13
	v_bfe_u32 v12, v5, 3, 4
	v_lshlrev_b32_e32 v5, v14, v5
	v_sub_u32_e32 v13, 29, v13
	v_and_b32_e32 v5, 7, v5
	v_cmp_eq_u32_e32 vcc, 0, v12
	v_and_b32_e32 v7, 0x80000000, v7
	s_nop 0
	v_cndmask_b32_e32 v12, v12, v13, vcc
	v_cndmask_b32_e32 v5, v9, v5, vcc
	v_mov_b32_e32 v9, 0x3b800000
	v_lshlrev_b32_e32 v5, 20, v5
	v_lshl_add_u32 v9, v12, 23, v9
	v_or3_b32 v5, v7, v9, v5
	v_cvt_f16_f32_e32 v12, v5
.LBB265_1441:
	s_or_b64 exec, exec, s[12:13]
.LBB265_1442:
	s_mov_b64 s[10:11], -1
.LBB265_1443:
	s_mov_b64 s[12:13], 0
.LBB265_1444:
	s_and_b64 vcc, exec, s[12:13]
	s_cbranch_vccz .LBB265_1477
; %bb.1445:
	s_cmp_gt_i32 s18, 22
	s_cbranch_scc0 .LBB265_1455
; %bb.1446:
	s_cmp_lt_i32 s18, 24
	s_cbranch_scc1 .LBB265_1458
; %bb.1447:
	s_cmp_gt_i32 s18, 24
	s_cbranch_scc0 .LBB265_1459
; %bb.1448:
	global_load_ubyte v5, v[10:11], off
	s_movk_i32 s8, 0x7f
	s_waitcnt vmcnt(0)
	v_cmp_lt_i16_e32 vcc, s8, v5
	s_mov_b64 s[8:9], 0
	s_and_saveexec_b64 s[10:11], vcc
	s_xor_b64 s[10:11], exec, s[10:11]
	s_cbranch_execz .LBB265_1471
; %bb.1449:
	s_movk_i32 s8, 0x80
	v_cmp_eq_u16_e32 vcc, s8, v5
	s_mov_b64 s[8:9], -1
	s_and_saveexec_b64 s[12:13], vcc
; %bb.1450:
	s_xor_b64 s[8:9], exec, -1
; %bb.1451:
	s_or_b64 exec, exec, s[12:13]
	s_and_b64 s[8:9], s[8:9], exec
	s_or_saveexec_b64 s[10:11], s[10:11]
	v_mov_b32_e32 v12, 0x7e00
	s_xor_b64 exec, exec, s[10:11]
	s_cbranch_execnz .LBB265_1472
.LBB265_1452:
	s_or_b64 exec, exec, s[10:11]
	s_and_saveexec_b64 s[10:11], s[8:9]
	s_cbranch_execz .LBB265_1454
.LBB265_1453:
	v_lshlrev_b32_e32 v7, 24, v5
	v_and_b32_e32 v5, 0xffff, v5
	v_and_b32_e32 v9, 3, v5
	v_ffbh_u32_e32 v13, v9
	v_min_u32_e32 v13, 32, v13
	v_subrev_u32_e32 v14, 29, v13
	v_bfe_u32 v12, v5, 2, 5
	v_lshlrev_b32_e32 v5, v14, v5
	v_sub_u32_e32 v13, 30, v13
	v_and_b32_e32 v5, 3, v5
	v_cmp_eq_u32_e32 vcc, 0, v12
	v_and_b32_e32 v7, 0x80000000, v7
	s_nop 0
	v_cndmask_b32_e32 v12, v12, v13, vcc
	v_cndmask_b32_e32 v5, v9, v5, vcc
	v_mov_b32_e32 v9, 0x37800000
	v_lshlrev_b32_e32 v5, 21, v5
	v_lshl_add_u32 v9, v12, 23, v9
	v_or3_b32 v5, v7, v9, v5
	v_cvt_f16_f32_e32 v12, v5
.LBB265_1454:
	s_or_b64 exec, exec, s[10:11]
	s_mov_b64 s[8:9], 0
	s_branch .LBB265_1460
.LBB265_1455:
	s_mov_b64 s[8:9], -1
                                        ; implicit-def: $vgpr12
	s_branch .LBB265_1466
.LBB265_1456:
	s_or_saveexec_b64 s[12:13], s[12:13]
	v_mov_b32_e32 v12, 0x7e00
	s_xor_b64 exec, exec, s[12:13]
	s_cbranch_execz .LBB265_1439
.LBB265_1457:
	v_cmp_ne_u16_e32 vcc, 0, v5
	s_andn2_b64 s[10:11], s[10:11], exec
	s_and_b64 s[14:15], vcc, exec
	s_or_b64 s[10:11], s[10:11], s[14:15]
	v_mov_b32_e32 v12, v5
	s_or_b64 exec, exec, s[12:13]
	s_and_saveexec_b64 s[12:13], s[10:11]
	s_cbranch_execnz .LBB265_1440
	s_branch .LBB265_1441
.LBB265_1458:
	s_mov_b64 s[8:9], -1
                                        ; implicit-def: $vgpr12
	s_branch .LBB265_1463
.LBB265_1459:
	s_mov_b64 s[8:9], -1
                                        ; implicit-def: $vgpr12
.LBB265_1460:
	s_and_b64 vcc, exec, s[8:9]
	s_cbranch_vccz .LBB265_1462
; %bb.1461:
	global_load_ubyte v5, v[10:11], off
	s_mov_b32 s8, 0x7f800000
	s_waitcnt vmcnt(0)
	v_lshlrev_b32_e32 v5, 24, v5
	v_and_b32_e32 v7, 0x7f000000, v5
	v_ffbh_u32_e32 v9, v7
	v_min_u32_e32 v9, 32, v9
	v_sub_u32_e64 v9, v9, 4 clamp
	v_lshlrev_b32_e32 v13, v9, v7
	v_lshlrev_b32_e32 v9, 23, v9
	v_lshrrev_b32_e32 v13, 4, v13
	v_add_u32_e32 v12, 0x1000000, v7
	v_sub_u32_e32 v9, v13, v9
	v_ashrrev_i32_e32 v12, 8, v12
	v_add_u32_e32 v9, 0x3c000000, v9
	v_and_or_b32 v9, v12, s8, v9
	v_cmp_ne_u32_e32 vcc, 0, v7
	s_brev_b32 s8, 1
	s_nop 0
	v_cndmask_b32_e32 v7, 0, v9, vcc
	v_and_or_b32 v5, v5, s8, v7
	v_cvt_f16_f32_e32 v12, v5
.LBB265_1462:
	s_mov_b64 s[8:9], 0
.LBB265_1463:
	s_andn2_b64 vcc, exec, s[8:9]
	s_cbranch_vccnz .LBB265_1465
; %bb.1464:
	global_load_ubyte v5, v[10:11], off
	s_movk_i32 s8, 0x7f00
	s_brev_b32 s9, 16
	s_waitcnt vmcnt(0)
	v_lshlrev_b16_e32 v7, 8, v5
	v_lshlrev_b32_e32 v5, 25, v5
	v_lshrrev_b32_e32 v9, 4, v5
	v_and_or_b32 v12, v7, s8, 0.5
	v_or_b32_e32 v9, 0x70000000, v9
	v_add_f32_e32 v12, -0.5, v12
	v_mul_f32_e32 v9, 0x7800000, v9
	v_cmp_gt_u32_e32 vcc, s9, v5
	v_bfe_i32 v7, v7, 0, 16
	s_brev_b32 s8, 1
	v_cndmask_b32_e32 v5, v9, v12, vcc
	v_and_or_b32 v5, v7, s8, v5
	v_cvt_f16_f32_e32 v12, v5
.LBB265_1465:
	s_mov_b64 s[8:9], 0
	s_mov_b64 s[10:11], -1
.LBB265_1466:
	s_andn2_b64 vcc, exec, s[8:9]
	s_mov_b64 s[8:9], 0
	s_cbranch_vccnz .LBB265_1477
; %bb.1467:
	s_cmp_gt_i32 s18, 14
	s_cbranch_scc0 .LBB265_1470
; %bb.1468:
	s_cmp_eq_u32 s18, 15
	s_cbranch_scc0 .LBB265_1473
; %bb.1469:
	global_load_ushort v5, v[10:11], off
	s_mov_b64 s[0:1], 0
	s_mov_b64 s[10:11], -1
	s_waitcnt vmcnt(0)
	v_lshlrev_b32_e32 v5, 16, v5
	v_cvt_f16_f32_e32 v12, v5
	s_branch .LBB265_1474
.LBB265_1470:
	s_mov_b64 s[12:13], -1
                                        ; implicit-def: $vgpr12
	s_branch .LBB265_1475
.LBB265_1471:
	s_or_saveexec_b64 s[10:11], s[10:11]
	v_mov_b32_e32 v12, 0x7e00
	s_xor_b64 exec, exec, s[10:11]
	s_cbranch_execz .LBB265_1452
.LBB265_1472:
	v_cmp_ne_u16_e32 vcc, 0, v5
	s_andn2_b64 s[8:9], s[8:9], exec
	s_and_b64 s[12:13], vcc, exec
	s_or_b64 s[8:9], s[8:9], s[12:13]
	v_mov_b32_e32 v12, v5
	s_or_b64 exec, exec, s[10:11]
	s_and_saveexec_b64 s[10:11], s[8:9]
	s_cbranch_execnz .LBB265_1453
	s_branch .LBB265_1454
.LBB265_1473:
	s_mov_b64 s[0:1], -1
                                        ; implicit-def: $vgpr12
.LBB265_1474:
	s_mov_b64 s[12:13], 0
.LBB265_1475:
	s_and_b64 vcc, exec, s[12:13]
	s_cbranch_vccz .LBB265_1477
; %bb.1476:
	s_cmp_lg_u32 s18, 11
	s_mov_b64 s[8:9], -1
	s_cselect_b64 s[0:1], -1, 0
.LBB265_1477:
	s_and_b64 vcc, exec, s[0:1]
	s_cbranch_vccnz .LBB265_1540
; %bb.1478:
	s_andn2_b64 vcc, exec, s[8:9]
	s_cbranch_vccnz .LBB265_1480
.LBB265_1479:
	global_load_ubyte v5, v[10:11], off
	v_mov_b32_e32 v7, 0x3c00
	s_mov_b64 s[10:11], -1
	s_waitcnt vmcnt(0)
	v_cmp_ne_u16_e32 vcc, 0, v5
	s_nop 1
	v_cndmask_b32_e32 v12, 0, v7, vcc
.LBB265_1480:
	s_branch .LBB265_1408
.LBB265_1481:
	s_and_b32 s8, 0xffff, s17
	s_cmp_lt_i32 s8, 5
	s_cbranch_scc1 .LBB265_1486
; %bb.1482:
	s_cmp_lt_i32 s8, 8
	s_cbranch_scc1 .LBB265_1487
; %bb.1483:
	;; [unrolled: 3-line block ×3, first 2 shown]
	s_cmp_gt_i32 s8, 9
	s_cbranch_scc0 .LBB265_1489
; %bb.1485:
	global_load_dwordx2 v[12:13], v[10:11], off
	s_movk_i32 s0, 0x1ff
	s_movk_i32 s1, 0xffe
	v_mov_b32_e32 v5, 0x7c00
	v_mov_b32_e32 v7, 0x7e00
	s_movk_i32 s9, 0x40f
	s_mov_b32 s10, 0x8000
	s_waitcnt vmcnt(0)
	v_and_or_b32 v9, v13, s0, v12
	v_cmp_ne_u32_e32 vcc, 0, v9
	v_lshrrev_b32_e32 v12, 8, v13
	v_bfe_u32 v14, v13, 20, 11
	v_cndmask_b32_e64 v9, 0, 1, vcc
	v_sub_u32_e32 v15, 0x3f1, v14
	v_and_or_b32 v9, v12, s1, v9
	v_add_u32_e32 v14, 0xfffffc10, v14
	v_med3_i32 v12, v15, 0, 13
	v_or_b32_e32 v15, 0x1000, v9
	v_lshl_or_b32 v16, v14, 12, v9
	v_cmp_ne_u32_e32 vcc, 0, v9
	v_lshrrev_b32_e32 v9, v12, v15
	v_lshlrev_b32_e32 v12, v12, v9
	v_cndmask_b32_e32 v7, v5, v7, vcc
	v_cmp_ne_u32_e32 vcc, v12, v15
	v_lshrrev_b32_e32 v13, 16, v13
	s_mov_b64 s[0:1], 0
	v_cndmask_b32_e64 v12, 0, 1, vcc
	v_or_b32_e32 v9, v9, v12
	v_cmp_gt_i32_e32 vcc, 1, v14
	s_nop 1
	v_cndmask_b32_e32 v9, v16, v9, vcc
	v_and_b32_e32 v12, 7, v9
	v_cmp_lt_i32_e32 vcc, 5, v12
	v_lshrrev_b32_e32 v9, 2, v9
	s_nop 0
	v_cndmask_b32_e64 v15, 0, 1, vcc
	v_cmp_eq_u32_e32 vcc, 3, v12
	s_nop 1
	v_cndmask_b32_e64 v12, 0, 1, vcc
	v_or_b32_e32 v12, v12, v15
	v_add_u32_e32 v9, v9, v12
	v_cmp_gt_i32_e32 vcc, 31, v14
	s_nop 1
	v_cndmask_b32_e32 v5, v5, v9, vcc
	v_cmp_eq_u32_e32 vcc, s9, v14
	s_nop 1
	v_cndmask_b32_e32 v5, v5, v7, vcc
	v_and_or_b32 v12, v13, s10, v5
	s_branch .LBB265_1490
.LBB265_1486:
	s_mov_b64 s[0:1], -1
                                        ; implicit-def: $vgpr12
	s_branch .LBB265_1508
.LBB265_1487:
	s_mov_b64 s[0:1], -1
                                        ; implicit-def: $vgpr12
	s_branch .LBB265_1496
.LBB265_1488:
	s_mov_b64 s[0:1], -1
                                        ; implicit-def: $vgpr12
	s_branch .LBB265_1493
.LBB265_1489:
	s_mov_b64 s[0:1], -1
                                        ; implicit-def: $vgpr12
.LBB265_1490:
	s_andn2_b64 vcc, exec, s[0:1]
	s_cbranch_vccnz .LBB265_1492
; %bb.1491:
	global_load_dword v5, v[10:11], off
	s_waitcnt vmcnt(0)
	v_cvt_f16_f32_e32 v12, v5
.LBB265_1492:
	s_mov_b64 s[0:1], 0
.LBB265_1493:
	s_andn2_b64 vcc, exec, s[0:1]
	s_cbranch_vccnz .LBB265_1495
; %bb.1494:
	global_load_dword v12, v[10:11], off
.LBB265_1495:
	s_mov_b64 s[0:1], 0
.LBB265_1496:
	s_andn2_b64 vcc, exec, s[0:1]
	s_cbranch_vccnz .LBB265_1507
; %bb.1497:
	s_cmp_lt_i32 s8, 6
	s_cbranch_scc1 .LBB265_1500
; %bb.1498:
	s_cmp_gt_i32 s8, 6
	s_cbranch_scc0 .LBB265_1501
; %bb.1499:
	global_load_dwordx2 v[12:13], v[10:11], off
	s_movk_i32 s0, 0x1ff
	s_movk_i32 s1, 0xffe
	v_mov_b32_e32 v5, 0x7c00
	v_mov_b32_e32 v7, 0x7e00
	s_movk_i32 s9, 0x40f
	s_mov_b32 s10, 0x8000
	s_waitcnt vmcnt(0)
	v_and_or_b32 v9, v13, s0, v12
	v_cmp_ne_u32_e32 vcc, 0, v9
	v_lshrrev_b32_e32 v12, 8, v13
	v_bfe_u32 v14, v13, 20, 11
	v_cndmask_b32_e64 v9, 0, 1, vcc
	v_sub_u32_e32 v15, 0x3f1, v14
	v_and_or_b32 v9, v12, s1, v9
	v_add_u32_e32 v14, 0xfffffc10, v14
	v_med3_i32 v12, v15, 0, 13
	v_or_b32_e32 v15, 0x1000, v9
	v_lshl_or_b32 v16, v14, 12, v9
	v_cmp_ne_u32_e32 vcc, 0, v9
	v_lshrrev_b32_e32 v9, v12, v15
	v_lshlrev_b32_e32 v12, v12, v9
	v_cndmask_b32_e32 v7, v5, v7, vcc
	v_cmp_ne_u32_e32 vcc, v12, v15
	v_lshrrev_b32_e32 v13, 16, v13
	s_mov_b64 s[0:1], 0
	v_cndmask_b32_e64 v12, 0, 1, vcc
	v_or_b32_e32 v9, v9, v12
	v_cmp_gt_i32_e32 vcc, 1, v14
	s_nop 1
	v_cndmask_b32_e32 v9, v16, v9, vcc
	v_and_b32_e32 v12, 7, v9
	v_cmp_lt_i32_e32 vcc, 5, v12
	v_lshrrev_b32_e32 v9, 2, v9
	s_nop 0
	v_cndmask_b32_e64 v15, 0, 1, vcc
	v_cmp_eq_u32_e32 vcc, 3, v12
	s_nop 1
	v_cndmask_b32_e64 v12, 0, 1, vcc
	v_or_b32_e32 v12, v12, v15
	v_add_u32_e32 v9, v9, v12
	v_cmp_gt_i32_e32 vcc, 31, v14
	s_nop 1
	v_cndmask_b32_e32 v5, v5, v9, vcc
	v_cmp_eq_u32_e32 vcc, s9, v14
	s_nop 1
	v_cndmask_b32_e32 v5, v5, v7, vcc
	v_and_or_b32 v12, v13, s10, v5
	s_branch .LBB265_1502
.LBB265_1500:
	s_mov_b64 s[0:1], -1
                                        ; implicit-def: $vgpr12
	s_branch .LBB265_1505
.LBB265_1501:
	s_mov_b64 s[0:1], -1
                                        ; implicit-def: $vgpr12
.LBB265_1502:
	s_andn2_b64 vcc, exec, s[0:1]
	s_cbranch_vccnz .LBB265_1504
; %bb.1503:
	global_load_dword v5, v[10:11], off
	s_waitcnt vmcnt(0)
	v_cvt_f16_f32_e32 v12, v5
.LBB265_1504:
	s_mov_b64 s[0:1], 0
.LBB265_1505:
	s_andn2_b64 vcc, exec, s[0:1]
	s_cbranch_vccnz .LBB265_1507
; %bb.1506:
	global_load_ushort v12, v[10:11], off
.LBB265_1507:
	s_mov_b64 s[0:1], 0
.LBB265_1508:
	s_andn2_b64 vcc, exec, s[0:1]
	s_cbranch_vccnz .LBB265_1528
; %bb.1509:
	s_cmp_lt_i32 s8, 2
	s_cbranch_scc1 .LBB265_1513
; %bb.1510:
	s_cmp_lt_i32 s8, 3
	s_cbranch_scc1 .LBB265_1514
; %bb.1511:
	s_cmp_gt_i32 s8, 3
	s_cbranch_scc0 .LBB265_1515
; %bb.1512:
	global_load_dwordx2 v[12:13], v[10:11], off
	s_mov_b64 s[0:1], 0
	s_waitcnt vmcnt(0)
	v_xor_b32_e32 v7, v12, v13
	v_ffbh_i32_e32 v5, v13
	v_ashrrev_i32_e32 v7, 31, v7
	v_add_u32_e32 v5, -1, v5
	v_add_u32_e32 v7, 32, v7
	v_min_u32_e32 v5, v5, v7
	v_lshlrev_b64 v[12:13], v5, v[12:13]
	v_min_u32_e32 v7, 1, v12
	v_or_b32_e32 v7, v13, v7
	v_cvt_f32_i32_e32 v7, v7
	v_sub_u32_e32 v5, 32, v5
	v_ldexp_f32 v5, v7, v5
	v_cvt_f16_f32_e32 v12, v5
	s_branch .LBB265_1516
.LBB265_1513:
	s_mov_b64 s[0:1], -1
                                        ; implicit-def: $vgpr12
	s_branch .LBB265_1522
.LBB265_1514:
	s_mov_b64 s[0:1], -1
                                        ; implicit-def: $vgpr12
	s_branch .LBB265_1519
.LBB265_1515:
	s_mov_b64 s[0:1], -1
                                        ; implicit-def: $vgpr12
.LBB265_1516:
	s_andn2_b64 vcc, exec, s[0:1]
	s_cbranch_vccnz .LBB265_1518
; %bb.1517:
	global_load_dword v5, v[10:11], off
	s_waitcnt vmcnt(0)
	v_cvt_f32_i32_e32 v5, v5
	v_cvt_f16_f32_e32 v12, v5
.LBB265_1518:
	s_mov_b64 s[0:1], 0
.LBB265_1519:
	s_andn2_b64 vcc, exec, s[0:1]
	s_cbranch_vccnz .LBB265_1521
; %bb.1520:
	global_load_ushort v5, v[10:11], off
	s_waitcnt vmcnt(0)
	v_cvt_f16_i16_e32 v12, v5
.LBB265_1521:
	s_mov_b64 s[0:1], 0
.LBB265_1522:
	s_andn2_b64 vcc, exec, s[0:1]
	s_cbranch_vccnz .LBB265_1528
; %bb.1523:
	s_cmp_gt_i32 s8, 0
	s_cbranch_scc0 .LBB265_1525
; %bb.1524:
	global_load_sbyte v5, v[10:11], off
	s_mov_b64 s[0:1], 0
	s_waitcnt vmcnt(0)
	v_cvt_f16_i16_e32 v12, v5
	s_branch .LBB265_1526
.LBB265_1525:
	s_mov_b64 s[0:1], -1
                                        ; implicit-def: $vgpr12
.LBB265_1526:
	s_andn2_b64 vcc, exec, s[0:1]
	s_cbranch_vccnz .LBB265_1528
; %bb.1527:
	global_load_ubyte v5, v[10:11], off
	s_waitcnt vmcnt(0)
	v_cvt_f16_u16_e32 v12, v5
.LBB265_1528:
.LBB265_1529:
	v_mov_b32_e32 v9, 0
	s_cmp_lt_i32 s17, 11
	v_lshl_add_u64 v[8:9], s[6:7], 0, v[8:9]
	s_cbranch_scc1 .LBB265_1536
; %bb.1530:
	s_and_b32 s14, 0xffff, s17
	s_cmp_gt_i32 s14, 25
	s_mov_b64 s[6:7], 0
	s_cbranch_scc0 .LBB265_1537
; %bb.1531:
	s_cmp_gt_i32 s14, 28
	s_cbranch_scc0 .LBB265_1538
; %bb.1532:
	s_cmp_gt_i32 s14, 43
	;; [unrolled: 3-line block ×3, first 2 shown]
	s_cbranch_scc0 .LBB265_1541
; %bb.1534:
	s_cmp_eq_u32 s14, 46
	s_mov_b64 s[10:11], 0
	s_cbranch_scc0 .LBB265_1542
; %bb.1535:
	global_load_dword v5, v[8:9], off
	s_mov_b64 s[0:1], 0
	s_mov_b64 s[8:9], -1
	s_waitcnt vmcnt(0)
	v_lshlrev_b32_e32 v5, 16, v5
	v_cvt_f16_f32_e32 v10, v5
	s_branch .LBB265_1543
.LBB265_1536:
	s_mov_b64 s[0:1], -1
	s_mov_b64 s[8:9], 0
                                        ; implicit-def: $vgpr10
	s_branch .LBB265_1609
.LBB265_1537:
	s_mov_b64 s[10:11], -1
	s_mov_b64 s[8:9], 0
	s_mov_b64 s[0:1], 0
                                        ; implicit-def: $vgpr10
	s_branch .LBB265_1572
.LBB265_1538:
	s_mov_b64 s[10:11], -1
	s_mov_b64 s[8:9], 0
	s_mov_b64 s[0:1], 0
                                        ; implicit-def: $vgpr10
	s_branch .LBB265_1553
.LBB265_1539:
	s_mov_b64 s[10:11], -1
	s_mov_b64 s[8:9], 0
	s_mov_b64 s[0:1], 0
                                        ; implicit-def: $vgpr10
	s_branch .LBB265_1548
.LBB265_1540:
	s_trap 2
	s_or_b64 s[2:3], s[2:3], exec
	s_cbranch_execz .LBB265_1479
	s_branch .LBB265_1480
.LBB265_1541:
	s_mov_b64 s[10:11], -1
	s_mov_b64 s[8:9], 0
	s_mov_b64 s[0:1], 0
                                        ; implicit-def: $vgpr10
	s_branch .LBB265_1543
.LBB265_1542:
	s_mov_b64 s[0:1], -1
                                        ; implicit-def: $vgpr10
	s_mov_b64 s[8:9], 0
.LBB265_1543:
	s_and_b64 vcc, exec, s[10:11]
	s_cbranch_vccz .LBB265_1547
; %bb.1544:
	s_cmp_eq_u32 s14, 44
	s_cbranch_scc0 .LBB265_1546
; %bb.1545:
	global_load_ubyte v5, v[8:9], off
	s_movk_i32 s8, 0xff
	v_mov_b32_e32 v10, 0x7e00
	s_mov_b64 s[0:1], 0
	s_waitcnt vmcnt(0)
	v_lshlrev_b32_e32 v7, 23, v5
	v_cvt_f16_f32_e32 v7, v7
	v_cmp_ne_u32_e32 vcc, s8, v5
	s_mov_b64 s[8:9], -1
	s_nop 0
	v_cndmask_b32_e32 v7, v10, v7, vcc
	v_cmp_ne_u32_e32 vcc, 0, v5
	s_nop 1
	v_cndmask_b32_e32 v10, 0, v7, vcc
	s_branch .LBB265_1547
.LBB265_1546:
	s_mov_b64 s[0:1], -1
                                        ; implicit-def: $vgpr10
.LBB265_1547:
	s_mov_b64 s[10:11], 0
.LBB265_1548:
	s_and_b64 vcc, exec, s[10:11]
	s_cbranch_vccz .LBB265_1552
; %bb.1549:
	s_cmp_eq_u32 s14, 29
	s_cbranch_scc0 .LBB265_1551
; %bb.1550:
	global_load_dwordx2 v[10:11], v[8:9], off
	s_mov_b64 s[0:1], 0
	s_mov_b64 s[8:9], -1
	s_mov_b64 s[10:11], 0
	s_waitcnt vmcnt(0)
	v_ffbh_u32_e32 v5, v11
	v_min_u32_e32 v5, 32, v5
	v_lshlrev_b64 v[10:11], v5, v[10:11]
	v_min_u32_e32 v7, 1, v10
	v_or_b32_e32 v7, v11, v7
	v_cvt_f32_u32_e32 v7, v7
	v_sub_u32_e32 v5, 32, v5
	v_ldexp_f32 v5, v7, v5
	v_cvt_f16_f32_e32 v10, v5
	s_branch .LBB265_1553
.LBB265_1551:
	s_mov_b64 s[0:1], -1
                                        ; implicit-def: $vgpr10
.LBB265_1552:
	s_mov_b64 s[10:11], 0
.LBB265_1553:
	s_and_b64 vcc, exec, s[10:11]
	s_cbranch_vccz .LBB265_1571
; %bb.1554:
	s_cmp_lt_i32 s14, 27
	s_cbranch_scc1 .LBB265_1557
; %bb.1555:
	s_cmp_gt_i32 s14, 27
	s_cbranch_scc0 .LBB265_1558
; %bb.1556:
	global_load_dword v5, v[8:9], off
	s_mov_b64 s[8:9], 0
	s_waitcnt vmcnt(0)
	v_cvt_f32_u32_e32 v5, v5
	v_cvt_f16_f32_e32 v10, v5
	s_branch .LBB265_1559
.LBB265_1557:
	s_mov_b64 s[8:9], -1
                                        ; implicit-def: $vgpr10
	s_branch .LBB265_1562
.LBB265_1558:
	s_mov_b64 s[8:9], -1
                                        ; implicit-def: $vgpr10
.LBB265_1559:
	s_andn2_b64 vcc, exec, s[8:9]
	s_cbranch_vccnz .LBB265_1561
; %bb.1560:
	global_load_ushort v5, v[8:9], off
	s_waitcnt vmcnt(0)
	v_cvt_f16_u16_e32 v10, v5
.LBB265_1561:
	s_mov_b64 s[8:9], 0
.LBB265_1562:
	s_andn2_b64 vcc, exec, s[8:9]
	s_cbranch_vccnz .LBB265_1570
; %bb.1563:
	global_load_ubyte v5, v[8:9], off
	s_movk_i32 s8, 0x7f
	s_waitcnt vmcnt(0)
	v_cmp_lt_i16_e32 vcc, s8, v5
	s_mov_b64 s[8:9], 0
	s_and_saveexec_b64 s[10:11], vcc
	s_xor_b64 s[10:11], exec, s[10:11]
	s_cbranch_execz .LBB265_1584
; %bb.1564:
	s_movk_i32 s8, 0x80
	v_cmp_eq_u16_e32 vcc, s8, v5
	s_mov_b64 s[8:9], -1
	s_and_saveexec_b64 s[12:13], vcc
; %bb.1565:
	s_xor_b64 s[8:9], exec, -1
; %bb.1566:
	s_or_b64 exec, exec, s[12:13]
	s_and_b64 s[8:9], s[8:9], exec
	s_or_saveexec_b64 s[10:11], s[10:11]
	v_mov_b32_e32 v10, 0x7e00
	s_xor_b64 exec, exec, s[10:11]
	s_cbranch_execnz .LBB265_1585
.LBB265_1567:
	s_or_b64 exec, exec, s[10:11]
	s_and_saveexec_b64 s[10:11], s[8:9]
	s_cbranch_execz .LBB265_1569
.LBB265_1568:
	v_lshlrev_b32_e32 v7, 24, v5
	v_and_b32_e32 v5, 0xffff, v5
	v_and_b32_e32 v10, 7, v5
	v_ffbh_u32_e32 v13, v10
	v_min_u32_e32 v13, 32, v13
	v_subrev_u32_e32 v14, 28, v13
	v_bfe_u32 v11, v5, 3, 4
	v_lshlrev_b32_e32 v5, v14, v5
	v_sub_u32_e32 v13, 29, v13
	v_and_b32_e32 v5, 7, v5
	v_cmp_eq_u32_e32 vcc, 0, v11
	v_and_b32_e32 v7, 0x80000000, v7
	s_nop 0
	v_cndmask_b32_e32 v11, v11, v13, vcc
	v_cndmask_b32_e32 v5, v10, v5, vcc
	v_mov_b32_e32 v10, 0x3b800000
	v_lshlrev_b32_e32 v5, 20, v5
	v_lshl_add_u32 v10, v11, 23, v10
	v_or3_b32 v5, v7, v10, v5
	v_cvt_f16_f32_e32 v10, v5
.LBB265_1569:
	s_or_b64 exec, exec, s[10:11]
.LBB265_1570:
	s_mov_b64 s[8:9], -1
.LBB265_1571:
	s_mov_b64 s[10:11], 0
.LBB265_1572:
	s_and_b64 vcc, exec, s[10:11]
	s_cbranch_vccz .LBB265_1605
; %bb.1573:
	s_cmp_gt_i32 s14, 22
	s_cbranch_scc0 .LBB265_1583
; %bb.1574:
	s_cmp_lt_i32 s14, 24
	s_cbranch_scc1 .LBB265_1586
; %bb.1575:
	s_cmp_gt_i32 s14, 24
	s_cbranch_scc0 .LBB265_1587
; %bb.1576:
	global_load_ubyte v5, v[8:9], off
	s_movk_i32 s6, 0x7f
	s_waitcnt vmcnt(0)
	v_cmp_lt_i16_e32 vcc, s6, v5
	s_mov_b64 s[6:7], 0
	s_and_saveexec_b64 s[8:9], vcc
	s_xor_b64 s[8:9], exec, s[8:9]
	s_cbranch_execz .LBB265_1599
; %bb.1577:
	s_movk_i32 s6, 0x80
	v_cmp_eq_u16_e32 vcc, s6, v5
	s_mov_b64 s[6:7], -1
	s_and_saveexec_b64 s[10:11], vcc
; %bb.1578:
	s_xor_b64 s[6:7], exec, -1
; %bb.1579:
	s_or_b64 exec, exec, s[10:11]
	s_and_b64 s[6:7], s[6:7], exec
	s_or_saveexec_b64 s[8:9], s[8:9]
	v_mov_b32_e32 v10, 0x7e00
	s_xor_b64 exec, exec, s[8:9]
	s_cbranch_execnz .LBB265_1600
.LBB265_1580:
	s_or_b64 exec, exec, s[8:9]
	s_and_saveexec_b64 s[8:9], s[6:7]
	s_cbranch_execz .LBB265_1582
.LBB265_1581:
	v_lshlrev_b32_e32 v7, 24, v5
	v_and_b32_e32 v5, 0xffff, v5
	v_and_b32_e32 v10, 3, v5
	v_ffbh_u32_e32 v13, v10
	v_min_u32_e32 v13, 32, v13
	v_subrev_u32_e32 v14, 29, v13
	v_bfe_u32 v11, v5, 2, 5
	v_lshlrev_b32_e32 v5, v14, v5
	v_sub_u32_e32 v13, 30, v13
	v_and_b32_e32 v5, 3, v5
	v_cmp_eq_u32_e32 vcc, 0, v11
	v_and_b32_e32 v7, 0x80000000, v7
	s_nop 0
	v_cndmask_b32_e32 v11, v11, v13, vcc
	v_cndmask_b32_e32 v5, v10, v5, vcc
	v_mov_b32_e32 v10, 0x37800000
	v_lshlrev_b32_e32 v5, 21, v5
	v_lshl_add_u32 v10, v11, 23, v10
	v_or3_b32 v5, v7, v10, v5
	v_cvt_f16_f32_e32 v10, v5
.LBB265_1582:
	s_or_b64 exec, exec, s[8:9]
	s_mov_b64 s[6:7], 0
	s_branch .LBB265_1588
.LBB265_1583:
	s_mov_b64 s[6:7], -1
                                        ; implicit-def: $vgpr10
	s_branch .LBB265_1594
.LBB265_1584:
	s_or_saveexec_b64 s[10:11], s[10:11]
	v_mov_b32_e32 v10, 0x7e00
	s_xor_b64 exec, exec, s[10:11]
	s_cbranch_execz .LBB265_1567
.LBB265_1585:
	v_cmp_ne_u16_e32 vcc, 0, v5
	s_andn2_b64 s[8:9], s[8:9], exec
	s_and_b64 s[12:13], vcc, exec
	s_or_b64 s[8:9], s[8:9], s[12:13]
	v_mov_b32_e32 v10, v5
	s_or_b64 exec, exec, s[10:11]
	s_and_saveexec_b64 s[10:11], s[8:9]
	s_cbranch_execnz .LBB265_1568
	s_branch .LBB265_1569
.LBB265_1586:
	s_mov_b64 s[6:7], -1
                                        ; implicit-def: $vgpr10
	s_branch .LBB265_1591
.LBB265_1587:
	s_mov_b64 s[6:7], -1
                                        ; implicit-def: $vgpr10
.LBB265_1588:
	s_and_b64 vcc, exec, s[6:7]
	s_cbranch_vccz .LBB265_1590
; %bb.1589:
	global_load_ubyte v5, v[8:9], off
	s_mov_b32 s6, 0x7f800000
	s_waitcnt vmcnt(0)
	v_lshlrev_b32_e32 v5, 24, v5
	v_and_b32_e32 v7, 0x7f000000, v5
	v_ffbh_u32_e32 v10, v7
	v_min_u32_e32 v10, 32, v10
	v_sub_u32_e64 v10, v10, 4 clamp
	v_lshlrev_b32_e32 v13, v10, v7
	v_lshlrev_b32_e32 v10, 23, v10
	v_lshrrev_b32_e32 v13, 4, v13
	v_add_u32_e32 v11, 0x1000000, v7
	v_sub_u32_e32 v10, v13, v10
	v_ashrrev_i32_e32 v11, 8, v11
	v_add_u32_e32 v10, 0x3c000000, v10
	v_and_or_b32 v10, v11, s6, v10
	v_cmp_ne_u32_e32 vcc, 0, v7
	s_brev_b32 s6, 1
	s_nop 0
	v_cndmask_b32_e32 v7, 0, v10, vcc
	v_and_or_b32 v5, v5, s6, v7
	v_cvt_f16_f32_e32 v10, v5
.LBB265_1590:
	s_mov_b64 s[6:7], 0
.LBB265_1591:
	s_andn2_b64 vcc, exec, s[6:7]
	s_cbranch_vccnz .LBB265_1593
; %bb.1592:
	global_load_ubyte v5, v[8:9], off
	s_movk_i32 s6, 0x7f00
	s_brev_b32 s7, 16
	s_waitcnt vmcnt(0)
	v_lshlrev_b16_e32 v7, 8, v5
	v_lshlrev_b32_e32 v5, 25, v5
	v_lshrrev_b32_e32 v10, 4, v5
	v_and_or_b32 v11, v7, s6, 0.5
	v_or_b32_e32 v10, 0x70000000, v10
	v_add_f32_e32 v11, -0.5, v11
	v_mul_f32_e32 v10, 0x7800000, v10
	v_cmp_gt_u32_e32 vcc, s7, v5
	v_bfe_i32 v7, v7, 0, 16
	s_brev_b32 s6, 1
	v_cndmask_b32_e32 v5, v10, v11, vcc
	v_and_or_b32 v5, v7, s6, v5
	v_cvt_f16_f32_e32 v10, v5
.LBB265_1593:
	s_mov_b64 s[6:7], 0
	s_mov_b64 s[8:9], -1
.LBB265_1594:
	s_andn2_b64 vcc, exec, s[6:7]
	s_mov_b64 s[6:7], 0
	s_cbranch_vccnz .LBB265_1605
; %bb.1595:
	s_cmp_gt_i32 s14, 14
	s_cbranch_scc0 .LBB265_1598
; %bb.1596:
	s_cmp_eq_u32 s14, 15
	s_cbranch_scc0 .LBB265_1601
; %bb.1597:
	global_load_ushort v5, v[8:9], off
	s_mov_b64 s[0:1], 0
	s_mov_b64 s[8:9], -1
	s_waitcnt vmcnt(0)
	v_lshlrev_b32_e32 v5, 16, v5
	v_cvt_f16_f32_e32 v10, v5
	s_branch .LBB265_1602
.LBB265_1598:
	s_mov_b64 s[10:11], -1
                                        ; implicit-def: $vgpr10
	s_branch .LBB265_1603
.LBB265_1599:
	s_or_saveexec_b64 s[8:9], s[8:9]
	v_mov_b32_e32 v10, 0x7e00
	s_xor_b64 exec, exec, s[8:9]
	s_cbranch_execz .LBB265_1580
.LBB265_1600:
	v_cmp_ne_u16_e32 vcc, 0, v5
	s_andn2_b64 s[6:7], s[6:7], exec
	s_and_b64 s[10:11], vcc, exec
	s_or_b64 s[6:7], s[6:7], s[10:11]
	v_mov_b32_e32 v10, v5
	s_or_b64 exec, exec, s[8:9]
	s_and_saveexec_b64 s[8:9], s[6:7]
	s_cbranch_execnz .LBB265_1581
	s_branch .LBB265_1582
.LBB265_1601:
	s_mov_b64 s[0:1], -1
                                        ; implicit-def: $vgpr10
.LBB265_1602:
	s_mov_b64 s[10:11], 0
.LBB265_1603:
	s_and_b64 vcc, exec, s[10:11]
	s_cbranch_vccz .LBB265_1605
; %bb.1604:
	s_cmp_lg_u32 s14, 11
	s_mov_b64 s[6:7], -1
	s_cselect_b64 s[0:1], -1, 0
.LBB265_1605:
	s_and_b64 vcc, exec, s[0:1]
	s_cbranch_vccnz .LBB265_2138
; %bb.1606:
	s_andn2_b64 vcc, exec, s[6:7]
	s_cbranch_vccnz .LBB265_1608
.LBB265_1607:
	global_load_ubyte v5, v[8:9], off
	v_mov_b32_e32 v7, 0x3c00
	s_mov_b64 s[8:9], -1
	s_waitcnt vmcnt(0)
	v_cmp_ne_u16_e32 vcc, 0, v5
	s_nop 1
	v_cndmask_b32_e32 v10, 0, v7, vcc
.LBB265_1608:
	s_mov_b64 s[0:1], 0
.LBB265_1609:
	s_and_b64 vcc, exec, s[0:1]
	s_cbranch_vccz .LBB265_1658
; %bb.1610:
	s_and_b32 s6, 0xffff, s17
	s_cmp_lt_i32 s6, 5
	s_cbranch_scc1 .LBB265_1615
; %bb.1611:
	s_cmp_lt_i32 s6, 8
	s_cbranch_scc1 .LBB265_1616
; %bb.1612:
	;; [unrolled: 3-line block ×3, first 2 shown]
	s_cmp_gt_i32 s6, 9
	s_cbranch_scc0 .LBB265_1618
; %bb.1614:
	global_load_dwordx2 v[10:11], v[8:9], off
	s_movk_i32 s0, 0x1ff
	s_movk_i32 s1, 0xffe
	v_mov_b32_e32 v5, 0x7c00
	v_mov_b32_e32 v7, 0x7e00
	s_movk_i32 s7, 0x40f
	s_mov_b32 s8, 0x8000
	s_waitcnt vmcnt(0)
	v_and_or_b32 v10, v11, s0, v10
	v_cmp_ne_u32_e32 vcc, 0, v10
	v_lshrrev_b32_e32 v13, 8, v11
	v_bfe_u32 v14, v11, 20, 11
	v_cndmask_b32_e64 v10, 0, 1, vcc
	v_sub_u32_e32 v15, 0x3f1, v14
	v_and_or_b32 v10, v13, s1, v10
	v_add_u32_e32 v14, 0xfffffc10, v14
	v_med3_i32 v13, v15, 0, 13
	v_or_b32_e32 v15, 0x1000, v10
	v_lshl_or_b32 v16, v14, 12, v10
	v_cmp_ne_u32_e32 vcc, 0, v10
	v_lshrrev_b32_e32 v10, v13, v15
	v_lshlrev_b32_e32 v13, v13, v10
	v_cndmask_b32_e32 v7, v5, v7, vcc
	v_cmp_ne_u32_e32 vcc, v13, v15
	v_lshrrev_b32_e32 v11, 16, v11
	s_mov_b64 s[0:1], 0
	v_cndmask_b32_e64 v13, 0, 1, vcc
	v_or_b32_e32 v10, v10, v13
	v_cmp_gt_i32_e32 vcc, 1, v14
	s_nop 1
	v_cndmask_b32_e32 v10, v16, v10, vcc
	v_and_b32_e32 v13, 7, v10
	v_cmp_lt_i32_e32 vcc, 5, v13
	v_lshrrev_b32_e32 v10, 2, v10
	s_nop 0
	v_cndmask_b32_e64 v15, 0, 1, vcc
	v_cmp_eq_u32_e32 vcc, 3, v13
	s_nop 1
	v_cndmask_b32_e64 v13, 0, 1, vcc
	v_or_b32_e32 v13, v13, v15
	v_add_u32_e32 v10, v10, v13
	v_cmp_gt_i32_e32 vcc, 31, v14
	s_nop 1
	v_cndmask_b32_e32 v5, v5, v10, vcc
	v_cmp_eq_u32_e32 vcc, s7, v14
	s_nop 1
	v_cndmask_b32_e32 v5, v5, v7, vcc
	v_and_or_b32 v10, v11, s8, v5
	s_branch .LBB265_1619
.LBB265_1615:
	s_mov_b64 s[0:1], -1
                                        ; implicit-def: $vgpr10
	s_branch .LBB265_1637
.LBB265_1616:
	s_mov_b64 s[0:1], -1
                                        ; implicit-def: $vgpr10
	s_branch .LBB265_1625
.LBB265_1617:
	s_mov_b64 s[0:1], -1
                                        ; implicit-def: $vgpr10
	s_branch .LBB265_1622
.LBB265_1618:
	s_mov_b64 s[0:1], -1
                                        ; implicit-def: $vgpr10
.LBB265_1619:
	s_andn2_b64 vcc, exec, s[0:1]
	s_cbranch_vccnz .LBB265_1621
; %bb.1620:
	global_load_dword v5, v[8:9], off
	s_waitcnt vmcnt(0)
	v_cvt_f16_f32_e32 v10, v5
.LBB265_1621:
	s_mov_b64 s[0:1], 0
.LBB265_1622:
	s_andn2_b64 vcc, exec, s[0:1]
	s_cbranch_vccnz .LBB265_1624
; %bb.1623:
	global_load_dword v10, v[8:9], off
.LBB265_1624:
	s_mov_b64 s[0:1], 0
.LBB265_1625:
	s_andn2_b64 vcc, exec, s[0:1]
	s_cbranch_vccnz .LBB265_1636
; %bb.1626:
	s_cmp_lt_i32 s6, 6
	s_cbranch_scc1 .LBB265_1629
; %bb.1627:
	s_cmp_gt_i32 s6, 6
	s_cbranch_scc0 .LBB265_1630
; %bb.1628:
	global_load_dwordx2 v[10:11], v[8:9], off
	s_movk_i32 s0, 0x1ff
	s_movk_i32 s1, 0xffe
	v_mov_b32_e32 v5, 0x7c00
	v_mov_b32_e32 v7, 0x7e00
	s_movk_i32 s7, 0x40f
	s_mov_b32 s8, 0x8000
	s_waitcnt vmcnt(0)
	v_and_or_b32 v10, v11, s0, v10
	v_cmp_ne_u32_e32 vcc, 0, v10
	v_lshrrev_b32_e32 v13, 8, v11
	v_bfe_u32 v14, v11, 20, 11
	v_cndmask_b32_e64 v10, 0, 1, vcc
	v_sub_u32_e32 v15, 0x3f1, v14
	v_and_or_b32 v10, v13, s1, v10
	v_add_u32_e32 v14, 0xfffffc10, v14
	v_med3_i32 v13, v15, 0, 13
	v_or_b32_e32 v15, 0x1000, v10
	v_lshl_or_b32 v16, v14, 12, v10
	v_cmp_ne_u32_e32 vcc, 0, v10
	v_lshrrev_b32_e32 v10, v13, v15
	v_lshlrev_b32_e32 v13, v13, v10
	v_cndmask_b32_e32 v7, v5, v7, vcc
	v_cmp_ne_u32_e32 vcc, v13, v15
	v_lshrrev_b32_e32 v11, 16, v11
	s_mov_b64 s[0:1], 0
	v_cndmask_b32_e64 v13, 0, 1, vcc
	v_or_b32_e32 v10, v10, v13
	v_cmp_gt_i32_e32 vcc, 1, v14
	s_nop 1
	v_cndmask_b32_e32 v10, v16, v10, vcc
	v_and_b32_e32 v13, 7, v10
	v_cmp_lt_i32_e32 vcc, 5, v13
	v_lshrrev_b32_e32 v10, 2, v10
	s_nop 0
	v_cndmask_b32_e64 v15, 0, 1, vcc
	v_cmp_eq_u32_e32 vcc, 3, v13
	s_nop 1
	v_cndmask_b32_e64 v13, 0, 1, vcc
	v_or_b32_e32 v13, v13, v15
	v_add_u32_e32 v10, v10, v13
	v_cmp_gt_i32_e32 vcc, 31, v14
	s_nop 1
	v_cndmask_b32_e32 v5, v5, v10, vcc
	v_cmp_eq_u32_e32 vcc, s7, v14
	s_nop 1
	v_cndmask_b32_e32 v5, v5, v7, vcc
	v_and_or_b32 v10, v11, s8, v5
	s_branch .LBB265_1631
.LBB265_1629:
	s_mov_b64 s[0:1], -1
                                        ; implicit-def: $vgpr10
	s_branch .LBB265_1634
.LBB265_1630:
	s_mov_b64 s[0:1], -1
                                        ; implicit-def: $vgpr10
.LBB265_1631:
	s_andn2_b64 vcc, exec, s[0:1]
	s_cbranch_vccnz .LBB265_1633
; %bb.1632:
	global_load_dword v5, v[8:9], off
	s_waitcnt vmcnt(0)
	v_cvt_f16_f32_e32 v10, v5
.LBB265_1633:
	s_mov_b64 s[0:1], 0
.LBB265_1634:
	s_andn2_b64 vcc, exec, s[0:1]
	s_cbranch_vccnz .LBB265_1636
; %bb.1635:
	global_load_ushort v10, v[8:9], off
.LBB265_1636:
	s_mov_b64 s[0:1], 0
.LBB265_1637:
	s_andn2_b64 vcc, exec, s[0:1]
	s_cbranch_vccnz .LBB265_1657
; %bb.1638:
	s_cmp_lt_i32 s6, 2
	s_cbranch_scc1 .LBB265_1642
; %bb.1639:
	s_cmp_lt_i32 s6, 3
	s_cbranch_scc1 .LBB265_1643
; %bb.1640:
	s_cmp_gt_i32 s6, 3
	s_cbranch_scc0 .LBB265_1644
; %bb.1641:
	global_load_dwordx2 v[10:11], v[8:9], off
	s_mov_b64 s[0:1], 0
	s_waitcnt vmcnt(0)
	v_xor_b32_e32 v7, v10, v11
	v_ffbh_i32_e32 v5, v11
	v_ashrrev_i32_e32 v7, 31, v7
	v_add_u32_e32 v5, -1, v5
	v_add_u32_e32 v7, 32, v7
	v_min_u32_e32 v5, v5, v7
	v_lshlrev_b64 v[10:11], v5, v[10:11]
	v_min_u32_e32 v7, 1, v10
	v_or_b32_e32 v7, v11, v7
	v_cvt_f32_i32_e32 v7, v7
	v_sub_u32_e32 v5, 32, v5
	v_ldexp_f32 v5, v7, v5
	v_cvt_f16_f32_e32 v10, v5
	s_branch .LBB265_1645
.LBB265_1642:
	s_mov_b64 s[0:1], -1
                                        ; implicit-def: $vgpr10
	s_branch .LBB265_1651
.LBB265_1643:
	s_mov_b64 s[0:1], -1
                                        ; implicit-def: $vgpr10
	s_branch .LBB265_1648
.LBB265_1644:
	s_mov_b64 s[0:1], -1
                                        ; implicit-def: $vgpr10
.LBB265_1645:
	s_andn2_b64 vcc, exec, s[0:1]
	s_cbranch_vccnz .LBB265_1647
; %bb.1646:
	global_load_dword v5, v[8:9], off
	s_waitcnt vmcnt(0)
	v_cvt_f32_i32_e32 v5, v5
	v_cvt_f16_f32_e32 v10, v5
.LBB265_1647:
	s_mov_b64 s[0:1], 0
.LBB265_1648:
	s_andn2_b64 vcc, exec, s[0:1]
	s_cbranch_vccnz .LBB265_1650
; %bb.1649:
	global_load_ushort v5, v[8:9], off
	s_waitcnt vmcnt(0)
	v_cvt_f16_i16_e32 v10, v5
.LBB265_1650:
	s_mov_b64 s[0:1], 0
.LBB265_1651:
	s_andn2_b64 vcc, exec, s[0:1]
	s_cbranch_vccnz .LBB265_1657
; %bb.1652:
	s_cmp_gt_i32 s6, 0
	s_cbranch_scc0 .LBB265_1654
; %bb.1653:
	global_load_sbyte v5, v[8:9], off
	s_mov_b64 s[0:1], 0
	s_waitcnt vmcnt(0)
	v_cvt_f16_i16_e32 v10, v5
	s_branch .LBB265_1655
.LBB265_1654:
	s_mov_b64 s[0:1], -1
                                        ; implicit-def: $vgpr10
.LBB265_1655:
	s_andn2_b64 vcc, exec, s[0:1]
	s_cbranch_vccnz .LBB265_1657
; %bb.1656:
	global_load_ubyte v5, v[8:9], off
	s_waitcnt vmcnt(0)
	v_cvt_f16_u16_e32 v10, v5
.LBB265_1657:
	s_mov_b64 s[8:9], -1
.LBB265_1658:
	s_andn2_b64 vcc, exec, s[8:9]
	s_cbranch_vccnz .LBB265_2092
; %bb.1659:
	s_waitcnt vmcnt(0)
	v_cvt_f32_f16_e32 v1, v1
	s_mov_b32 s0, 0xf800000
	v_mov_b32_e32 v7, 0x260
	s_bfe_u32 s14, s16, 0x80008
	v_mul_f32_e32 v5, 0x4f800000, v1
	v_cmp_gt_f32_e32 vcc, s0, v1
	s_cmp_lt_i32 s14, 11
	s_nop 0
	v_cndmask_b32_e32 v1, v1, v5, vcc
	v_rsq_f32_e32 v5, v1
	s_nop 0
	v_mul_f32_e32 v8, v1, v5
	v_mul_f32_e32 v5, 0.5, v5
	v_fma_f32 v9, -v5, v8, 0.5
	v_fmac_f32_e32 v8, v8, v9
	v_fmac_f32_e32 v5, v5, v9
	v_fma_f32 v9, -v8, v8, v1
	v_fmac_f32_e32 v8, v9, v5
	v_mul_f32_e32 v5, 0x37800000, v8
	v_cndmask_b32_e32 v5, v8, v5, vcc
	v_cmp_class_f32_e32 vcc, v1, v7
	v_mov_b32_e32 v7, 0
	v_lshl_add_u64 v[6:7], s[4:5], 0, v[6:7]
	v_cndmask_b32_e32 v1, v5, v1, vcc
	v_cvt_f16_f32_e32 v1, v1
	s_cbranch_scc1 .LBB265_1737
; %bb.1660:
	s_and_b32 s15, 0xffff, s14
	s_mov_b64 s[10:11], -1
	s_mov_b64 s[6:7], 0
	s_cmp_gt_i32 s15, 25
	s_mov_b64 s[8:9], 0
	s_mov_b64 s[0:1], 0
	s_cbranch_scc0 .LBB265_1693
; %bb.1661:
	s_cmp_gt_i32 s15, 28
	s_cbranch_scc0 .LBB265_1676
; %bb.1662:
	s_cmp_gt_i32 s15, 43
	;; [unrolled: 3-line block ×3, first 2 shown]
	s_cbranch_scc0 .LBB265_1666
; %bb.1664:
	s_mov_b64 s[0:1], -1
	s_mov_b64 s[10:11], 0
	s_cmp_eq_u32 s15, 46
	s_cbranch_scc0 .LBB265_1666
; %bb.1665:
	v_cvt_f32_f16_e32 v5, v1
	s_movk_i32 s0, 0x7fff
	v_cmp_o_f16_e32 vcc, v1, v1
	v_mov_b32_e32 v8, 0x7fc0
	v_bfe_u32 v9, v5, 16, 1
	v_add3_u32 v5, v5, v9, s0
	v_cndmask_b32_sdwa v5, v8, v5, vcc dst_sel:DWORD dst_unused:UNUSED_PAD src0_sel:DWORD src1_sel:WORD_1
	global_store_dword v[6:7], v5, off
	s_mov_b64 s[0:1], 0
	s_mov_b64 s[8:9], -1
.LBB265_1666:
	s_and_b64 vcc, exec, s[10:11]
	s_cbranch_vccz .LBB265_1671
; %bb.1667:
	s_cmp_eq_u32 s15, 44
	s_mov_b64 s[0:1], -1
	s_cbranch_scc0 .LBB265_1671
; %bb.1668:
	v_cvt_f32_f16_e32 v5, v1
	s_movk_i32 s0, 0xff
	v_mov_b32_e32 v9, 0xff
	v_bfe_u32 v8, v5, 23, 8
	v_cmp_ne_u32_e32 vcc, s0, v8
	s_and_saveexec_b64 s[8:9], vcc
; %bb.1669:
	s_mov_b32 s0, 0x3fffff
	v_lshrrev_b32_e32 v9, 23, v5
	v_and_b32_e32 v11, 0x400000, v5
	v_and_or_b32 v5, v5, s0, v8
	v_cmp_ne_u32_e32 vcc, 0, v11
	v_cmp_ne_u32_e64 s[0:1], 0, v5
	s_and_b64 s[0:1], vcc, s[0:1]
	s_nop 0
	v_cndmask_b32_e64 v5, 0, 1, s[0:1]
	v_add_u32_e32 v9, v9, v5
; %bb.1670:
	s_or_b64 exec, exec, s[8:9]
	s_mov_b64 s[0:1], 0
	s_mov_b64 s[8:9], -1
	global_store_byte v[6:7], v9, off
.LBB265_1671:
	s_mov_b64 s[10:11], 0
.LBB265_1672:
	s_and_b64 vcc, exec, s[10:11]
	s_cbranch_vccz .LBB265_1675
; %bb.1673:
	s_cmp_eq_u32 s15, 29
	s_mov_b64 s[0:1], -1
	s_cbranch_scc0 .LBB265_1675
; %bb.1674:
	v_cvt_f32_f16_e32 v5, v1
	v_mov_b32_e32 v9, 0
	s_mov_b64 s[0:1], 0
	s_mov_b64 s[8:9], -1
	v_cvt_u32_f32_e32 v8, v5
	global_store_dwordx2 v[6:7], v[8:9], off
.LBB265_1675:
	s_mov_b64 s[10:11], 0
.LBB265_1676:
	s_and_b64 vcc, exec, s[10:11]
	s_cbranch_vccz .LBB265_1692
; %bb.1677:
	s_cmp_lt_i32 s15, 27
	s_mov_b64 s[8:9], -1
	s_cbranch_scc1 .LBB265_1683
; %bb.1678:
	s_cmp_gt_i32 s15, 27
	s_cbranch_scc0 .LBB265_1680
; %bb.1679:
	v_cvt_f32_f16_e32 v5, v1
	s_mov_b64 s[8:9], 0
	v_cvt_u32_f32_e32 v5, v5
	global_store_dword v[6:7], v5, off
.LBB265_1680:
	s_andn2_b64 vcc, exec, s[8:9]
	s_cbranch_vccnz .LBB265_1682
; %bb.1681:
	v_cvt_u16_f16_e32 v5, v1
	global_store_short v[6:7], v5, off
.LBB265_1682:
	s_mov_b64 s[8:9], 0
.LBB265_1683:
	s_andn2_b64 vcc, exec, s[8:9]
	s_cbranch_vccnz .LBB265_1691
; %bb.1684:
	v_cvt_f32_f16_e32 v5, v1
	s_mov_b32 s8, 0x43800000
	v_mov_b32_e32 v9, 0x80
	v_and_b32_e32 v8, 0x7fffffff, v5
	v_cmp_gt_u32_e32 vcc, s8, v8
	s_and_saveexec_b64 s[8:9], vcc
	s_cbranch_execz .LBB265_1690
; %bb.1685:
	s_mov_b32 s10, 0x3bffffff
	v_cmp_lt_u32_e32 vcc, s10, v8
	s_mov_b64 s[10:11], 0
                                        ; implicit-def: $vgpr8
	s_and_saveexec_b64 s[12:13], vcc
	s_xor_b64 s[12:13], exec, s[12:13]
	s_cbranch_execz .LBB265_2139
; %bb.1686:
	v_bfe_u32 v8, v5, 20, 1
	s_mov_b32 s17, 0x487ffff
	v_add3_u32 v8, v5, v8, s17
	s_mov_b64 s[10:11], exec
	v_lshrrev_b32_e32 v8, 20, v8
	s_andn2_saveexec_b64 s[12:13], s[12:13]
	s_cbranch_execnz .LBB265_2140
.LBB265_1687:
	s_or_b64 exec, exec, s[12:13]
	v_mov_b32_e32 v9, 0
	s_and_saveexec_b64 s[12:13], s[10:11]
.LBB265_1688:
	v_lshrrev_b32_e32 v5, 24, v5
	s_movk_i32 s10, 0x80
	v_and_or_b32 v9, v5, s10, v8
.LBB265_1689:
	s_or_b64 exec, exec, s[12:13]
.LBB265_1690:
	s_or_b64 exec, exec, s[8:9]
	global_store_byte v[6:7], v9, off
.LBB265_1691:
	s_mov_b64 s[8:9], -1
.LBB265_1692:
	s_mov_b64 s[10:11], 0
.LBB265_1693:
	s_and_b64 vcc, exec, s[10:11]
	s_cbranch_vccz .LBB265_1733
; %bb.1694:
	s_cmp_gt_i32 s15, 22
	s_mov_b64 s[6:7], -1
	s_cbranch_scc0 .LBB265_1726
; %bb.1695:
	s_cmp_lt_i32 s15, 24
	s_cbranch_scc1 .LBB265_1715
; %bb.1696:
	s_cmp_gt_i32 s15, 24
	s_cbranch_scc0 .LBB265_1704
; %bb.1697:
	v_cvt_f32_f16_e32 v5, v1
	s_mov_b32 s6, 0x47800000
	v_mov_b32_e32 v9, 0x80
	v_and_b32_e32 v8, 0x7fffffff, v5
	v_cmp_gt_u32_e32 vcc, s6, v8
	s_and_saveexec_b64 s[6:7], vcc
	s_cbranch_execz .LBB265_1703
; %bb.1698:
	s_mov_b32 s8, 0x37ffffff
	v_cmp_lt_u32_e32 vcc, s8, v8
	s_mov_b64 s[8:9], 0
                                        ; implicit-def: $vgpr8
	s_and_saveexec_b64 s[10:11], vcc
	s_xor_b64 s[10:11], exec, s[10:11]
	s_cbranch_execz .LBB265_2142
; %bb.1699:
	v_bfe_u32 v8, v5, 21, 1
	s_mov_b32 s12, 0x88fffff
	v_add3_u32 v8, v5, v8, s12
	s_mov_b64 s[8:9], exec
	v_lshrrev_b32_e32 v8, 21, v8
	s_andn2_saveexec_b64 s[10:11], s[10:11]
	s_cbranch_execnz .LBB265_2143
.LBB265_1700:
	s_or_b64 exec, exec, s[10:11]
	v_mov_b32_e32 v9, 0
	s_and_saveexec_b64 s[10:11], s[8:9]
.LBB265_1701:
	v_lshrrev_b32_e32 v5, 24, v5
	s_movk_i32 s8, 0x80
	v_and_or_b32 v9, v5, s8, v8
.LBB265_1702:
	s_or_b64 exec, exec, s[10:11]
.LBB265_1703:
	s_or_b64 exec, exec, s[6:7]
	s_mov_b64 s[6:7], 0
	global_store_byte v[6:7], v9, off
.LBB265_1704:
	s_and_b64 vcc, exec, s[6:7]
	s_cbranch_vccz .LBB265_1714
; %bb.1705:
	v_cvt_f32_f16_e32 v5, v1
	s_mov_b32 s6, 0x43f00000
                                        ; implicit-def: $vgpr8
	v_and_b32_e32 v9, 0x7fffffff, v5
	v_cmp_gt_u32_e32 vcc, s6, v9
	s_and_saveexec_b64 s[6:7], vcc
	s_xor_b64 s[6:7], exec, s[6:7]
	s_cbranch_execz .LBB265_1711
; %bb.1706:
	s_mov_b32 s8, 0x3c7fffff
	v_cmp_lt_u32_e32 vcc, s8, v9
                                        ; implicit-def: $vgpr8
	s_and_saveexec_b64 s[8:9], vcc
	s_xor_b64 s[8:9], exec, s[8:9]
; %bb.1707:
	v_bfe_u32 v8, v5, 20, 1
	s_mov_b32 s10, 0x407ffff
	v_add3_u32 v8, v5, v8, s10
	v_lshrrev_b32_e32 v9, 20, v8
	v_and_b32_e32 v8, 0xff00000, v8
	s_mov_b32 s10, 0x7f00000
	v_mov_b32_e32 v11, 0x7e
	v_cmp_ne_u32_e32 vcc, s10, v8
	s_nop 1
	v_cndmask_b32_e32 v8, v11, v9, vcc
; %bb.1708:
	s_andn2_saveexec_b64 s[8:9], s[8:9]
; %bb.1709:
	s_mov_b32 s10, 0x46800000
	v_add_f32_e64 v8, |v5|, s10
; %bb.1710:
	s_or_b64 exec, exec, s[8:9]
                                        ; implicit-def: $vgpr9
.LBB265_1711:
	s_andn2_saveexec_b64 s[6:7], s[6:7]
; %bb.1712:
	s_mov_b32 s8, 0x7f800000
	v_mov_b32_e32 v8, 0x7e
	v_mov_b32_e32 v11, 0x7f
	v_cmp_lt_u32_e32 vcc, s8, v9
	s_nop 1
	v_cndmask_b32_e32 v8, v8, v11, vcc
; %bb.1713:
	s_or_b64 exec, exec, s[6:7]
	v_lshrrev_b32_e32 v5, 24, v5
	s_movk_i32 s6, 0x80
	v_and_or_b32 v5, v5, s6, v8
	global_store_byte v[6:7], v5, off
.LBB265_1714:
	s_mov_b64 s[6:7], 0
.LBB265_1715:
	s_andn2_b64 vcc, exec, s[6:7]
	s_cbranch_vccnz .LBB265_1725
; %bb.1716:
	v_cvt_f32_f16_e32 v5, v1
	s_mov_b32 s6, 0x47800000
                                        ; implicit-def: $vgpr8
	v_and_b32_e32 v9, 0x7fffffff, v5
	v_cmp_gt_u32_e32 vcc, s6, v9
	s_and_saveexec_b64 s[6:7], vcc
	s_xor_b64 s[6:7], exec, s[6:7]
	s_cbranch_execz .LBB265_1722
; %bb.1717:
	s_mov_b32 s8, 0x387fffff
	v_cmp_lt_u32_e32 vcc, s8, v9
                                        ; implicit-def: $vgpr8
	s_and_saveexec_b64 s[8:9], vcc
	s_xor_b64 s[8:9], exec, s[8:9]
; %bb.1718:
	v_bfe_u32 v8, v5, 21, 1
	s_mov_b32 s10, 0x80fffff
	v_add3_u32 v8, v5, v8, s10
	v_lshrrev_b32_e32 v8, 21, v8
; %bb.1719:
	s_andn2_saveexec_b64 s[8:9], s[8:9]
; %bb.1720:
	s_mov_b32 s10, 0x43000000
	v_add_f32_e64 v8, |v5|, s10
; %bb.1721:
	s_or_b64 exec, exec, s[8:9]
                                        ; implicit-def: $vgpr9
.LBB265_1722:
	s_andn2_saveexec_b64 s[6:7], s[6:7]
; %bb.1723:
	s_mov_b32 s8, 0x7f800000
	v_mov_b32_e32 v8, 0x7c
	v_mov_b32_e32 v11, 0x7f
	v_cmp_lt_u32_e32 vcc, s8, v9
	s_nop 1
	v_cndmask_b32_e32 v8, v8, v11, vcc
; %bb.1724:
	s_or_b64 exec, exec, s[6:7]
	v_lshrrev_b32_e32 v5, 24, v5
	s_movk_i32 s6, 0x80
	v_and_or_b32 v5, v5, s6, v8
	global_store_byte v[6:7], v5, off
.LBB265_1725:
	s_mov_b64 s[6:7], 0
	s_mov_b64 s[8:9], -1
.LBB265_1726:
	s_andn2_b64 vcc, exec, s[6:7]
	s_mov_b64 s[6:7], 0
	s_cbranch_vccnz .LBB265_1733
; %bb.1727:
	s_cmp_gt_i32 s15, 14
	s_mov_b64 s[10:11], -1
	s_cbranch_scc0 .LBB265_1731
; %bb.1728:
	s_cmp_eq_u32 s15, 15
	s_mov_b64 s[0:1], -1
	s_cbranch_scc0 .LBB265_1730
; %bb.1729:
	v_cvt_f32_f16_e32 v5, v1
	s_movk_i32 s0, 0x7fff
	v_cmp_o_f16_e32 vcc, v1, v1
	v_mov_b32_e32 v8, 0x7fc0
	v_bfe_u32 v9, v5, 16, 1
	v_add3_u32 v5, v5, v9, s0
	v_cndmask_b32_sdwa v5, v8, v5, vcc dst_sel:DWORD dst_unused:UNUSED_PAD src0_sel:DWORD src1_sel:WORD_1
	global_store_short v[6:7], v5, off
	s_mov_b64 s[0:1], 0
	s_mov_b64 s[8:9], -1
.LBB265_1730:
	s_mov_b64 s[10:11], 0
.LBB265_1731:
	s_and_b64 vcc, exec, s[10:11]
	s_cbranch_vccz .LBB265_1733
; %bb.1732:
	s_cmp_lg_u32 s15, 11
	s_mov_b64 s[6:7], -1
	s_cselect_b64 s[0:1], -1, 0
.LBB265_1733:
	s_and_b64 vcc, exec, s[0:1]
	s_cbranch_vccnz .LBB265_2141
; %bb.1734:
	s_andn2_b64 vcc, exec, s[6:7]
	s_cbranch_vccnz .LBB265_1736
.LBB265_1735:
	v_cmp_neq_f16_e32 vcc, 0, v1
	s_mov_b64 s[8:9], -1
	s_nop 0
	v_cndmask_b32_e64 v5, 0, 1, vcc
	global_store_byte v[6:7], v5, off
.LBB265_1736:
	s_mov_b64 s[0:1], 0
	s_branch .LBB265_1738
.LBB265_1737:
	s_mov_b64 s[0:1], -1
	s_mov_b64 s[8:9], 0
.LBB265_1738:
	s_and_b64 vcc, exec, s[0:1]
	s_cbranch_vccz .LBB265_1777
; %bb.1739:
	s_and_b32 s6, 0xffff, s14
	s_cmp_lt_i32 s6, 5
	s_mov_b64 s[0:1], -1
	s_cbranch_scc1 .LBB265_1760
; %bb.1740:
	s_cmp_lt_i32 s6, 8
	s_cbranch_scc1 .LBB265_1750
; %bb.1741:
	s_cmp_lt_i32 s6, 9
	s_cbranch_scc1 .LBB265_1747
; %bb.1742:
	s_cmp_gt_i32 s6, 9
	s_cbranch_scc0 .LBB265_1744
; %bb.1743:
	v_cvt_f32_f16_e32 v5, v1
	v_mov_b32_e32 v16, 0
	v_mov_b32_e32 v17, v16
	s_mov_b64 s[0:1], 0
	v_cvt_f64_f32_e32 v[14:15], v5
	global_store_dwordx4 v[6:7], v[14:17], off
.LBB265_1744:
	s_andn2_b64 vcc, exec, s[0:1]
	s_cbranch_vccnz .LBB265_1746
; %bb.1745:
	v_cvt_f32_f16_e32 v8, v1
	v_mov_b32_e32 v9, 0
	global_store_dwordx2 v[6:7], v[8:9], off
.LBB265_1746:
	s_mov_b64 s[0:1], 0
.LBB265_1747:
	s_andn2_b64 vcc, exec, s[0:1]
	s_cbranch_vccnz .LBB265_1749
; %bb.1748:
	global_store_dword v[6:7], v1, off
.LBB265_1749:
	s_mov_b64 s[0:1], 0
.LBB265_1750:
	s_andn2_b64 vcc, exec, s[0:1]
	s_cbranch_vccnz .LBB265_1759
; %bb.1751:
	s_cmp_lt_i32 s6, 6
	s_mov_b64 s[0:1], -1
	s_cbranch_scc1 .LBB265_1757
; %bb.1752:
	s_cmp_gt_i32 s6, 6
	s_cbranch_scc0 .LBB265_1754
; %bb.1753:
	v_cvt_f32_f16_e32 v5, v1
	s_mov_b64 s[0:1], 0
	v_cvt_f64_f32_e32 v[8:9], v5
	global_store_dwordx2 v[6:7], v[8:9], off
.LBB265_1754:
	s_andn2_b64 vcc, exec, s[0:1]
	s_cbranch_vccnz .LBB265_1756
; %bb.1755:
	v_cvt_f32_f16_e32 v5, v1
	global_store_dword v[6:7], v5, off
.LBB265_1756:
	s_mov_b64 s[0:1], 0
.LBB265_1757:
	s_andn2_b64 vcc, exec, s[0:1]
	s_cbranch_vccnz .LBB265_1759
; %bb.1758:
	global_store_short v[6:7], v1, off
.LBB265_1759:
	s_mov_b64 s[0:1], 0
.LBB265_1760:
	s_andn2_b64 vcc, exec, s[0:1]
	s_cbranch_vccnz .LBB265_1776
; %bb.1761:
	s_cmp_lt_i32 s6, 2
	s_mov_b64 s[0:1], -1
	s_cbranch_scc1 .LBB265_1771
; %bb.1762:
	s_cmp_lt_i32 s6, 3
	s_cbranch_scc1 .LBB265_1768
; %bb.1763:
	s_cmp_gt_i32 s6, 3
	s_cbranch_scc0 .LBB265_1765
; %bb.1764:
	v_cvt_f32_f16_e32 v5, v1
	s_mov_b64 s[0:1], 0
	v_cvt_i32_f32_e32 v8, v5
	v_ashrrev_i32_e32 v9, 31, v8
	global_store_dwordx2 v[6:7], v[8:9], off
.LBB265_1765:
	s_andn2_b64 vcc, exec, s[0:1]
	s_cbranch_vccnz .LBB265_1767
; %bb.1766:
	v_cvt_f32_f16_e32 v5, v1
	v_cvt_i32_f32_e32 v5, v5
	global_store_dword v[6:7], v5, off
.LBB265_1767:
	s_mov_b64 s[0:1], 0
.LBB265_1768:
	s_andn2_b64 vcc, exec, s[0:1]
	s_cbranch_vccnz .LBB265_1770
; %bb.1769:
	v_cvt_i16_f16_e32 v5, v1
	global_store_short v[6:7], v5, off
.LBB265_1770:
	s_mov_b64 s[0:1], 0
.LBB265_1771:
	s_andn2_b64 vcc, exec, s[0:1]
	s_cbranch_vccnz .LBB265_1776
; %bb.1772:
	s_cmp_gt_i32 s6, 0
	s_mov_b64 s[0:1], -1
	s_cbranch_scc0 .LBB265_1774
; %bb.1773:
	v_cvt_i16_f16_e32 v5, v1
	global_store_byte v[6:7], v5, off
	s_mov_b64 s[0:1], 0
.LBB265_1774:
	s_andn2_b64 vcc, exec, s[0:1]
	s_cbranch_vccnz .LBB265_1776
; %bb.1775:
	v_cvt_f32_f16_e32 v1, v1
	v_cvt_i32_f32_e32 v1, v1
	global_store_byte v[6:7], v1, off
.LBB265_1776:
	s_mov_b64 s[8:9], -1
.LBB265_1777:
	s_andn2_b64 vcc, exec, s[8:9]
	s_cbranch_vccnz .LBB265_2092
; %bb.1778:
	v_cvt_f32_f16_e32 v1, v3
	s_mov_b32 s0, 0xf800000
	v_mul_f32_e32 v3, 0x4f800000, v1
	v_cmp_gt_f32_e32 vcc, s0, v1
	s_lshr_b32 s0, s16, 8
	s_and_b32 s14, s0, 0xff
	v_cndmask_b32_e32 v1, v1, v3, vcc
	v_rsq_f32_e32 v3, v1
	s_cmp_lt_i32 s14, 11
	v_mul_f32_e32 v5, v1, v3
	v_mul_f32_e32 v3, 0.5, v3
	v_fma_f32 v6, -v3, v5, 0.5
	v_fmac_f32_e32 v5, v5, v6
	v_fmac_f32_e32 v3, v3, v6
	v_fma_f32 v6, -v5, v5, v1
	v_fmac_f32_e32 v5, v6, v3
	v_mul_f32_e32 v3, 0x37800000, v5
	v_cndmask_b32_e32 v3, v5, v3, vcc
	v_mov_b32_e32 v5, 0x260
	v_cmp_class_f32_e32 vcc, v1, v5
	v_mov_b32_e32 v5, 0
	v_lshl_add_u64 v[4:5], s[4:5], 0, v[4:5]
	v_cndmask_b32_e32 v1, v3, v1, vcc
	v_cvt_f16_f32_e32 v1, v1
	s_cbranch_scc1 .LBB265_1856
; %bb.1779:
	s_and_b32 s15, 0xffff, s14
	s_mov_b64 s[10:11], -1
	s_mov_b64 s[6:7], 0
	s_cmp_gt_i32 s15, 25
	s_mov_b64 s[8:9], 0
	s_mov_b64 s[0:1], 0
	s_cbranch_scc0 .LBB265_1812
; %bb.1780:
	s_cmp_gt_i32 s15, 28
	s_cbranch_scc0 .LBB265_1795
; %bb.1781:
	s_cmp_gt_i32 s15, 43
	;; [unrolled: 3-line block ×3, first 2 shown]
	s_cbranch_scc0 .LBB265_1785
; %bb.1783:
	s_mov_b64 s[0:1], -1
	s_mov_b64 s[10:11], 0
	s_cmp_eq_u32 s15, 46
	s_cbranch_scc0 .LBB265_1785
; %bb.1784:
	v_cvt_f32_f16_e32 v3, v1
	s_movk_i32 s0, 0x7fff
	v_cmp_o_f16_e32 vcc, v1, v1
	v_mov_b32_e32 v6, 0x7fc0
	v_bfe_u32 v7, v3, 16, 1
	v_add3_u32 v3, v3, v7, s0
	v_cndmask_b32_sdwa v3, v6, v3, vcc dst_sel:DWORD dst_unused:UNUSED_PAD src0_sel:DWORD src1_sel:WORD_1
	global_store_dword v[4:5], v3, off
	s_mov_b64 s[0:1], 0
	s_mov_b64 s[8:9], -1
.LBB265_1785:
	s_and_b64 vcc, exec, s[10:11]
	s_cbranch_vccz .LBB265_1790
; %bb.1786:
	s_cmp_eq_u32 s15, 44
	s_mov_b64 s[0:1], -1
	s_cbranch_scc0 .LBB265_1790
; %bb.1787:
	v_cvt_f32_f16_e32 v3, v1
	s_movk_i32 s0, 0xff
	v_mov_b32_e32 v7, 0xff
	v_bfe_u32 v6, v3, 23, 8
	v_cmp_ne_u32_e32 vcc, s0, v6
	s_and_saveexec_b64 s[8:9], vcc
; %bb.1788:
	s_mov_b32 s0, 0x3fffff
	v_lshrrev_b32_e32 v7, 23, v3
	v_and_b32_e32 v8, 0x400000, v3
	v_and_or_b32 v3, v3, s0, v6
	v_cmp_ne_u32_e32 vcc, 0, v8
	v_cmp_ne_u32_e64 s[0:1], 0, v3
	s_and_b64 s[0:1], vcc, s[0:1]
	s_nop 0
	v_cndmask_b32_e64 v3, 0, 1, s[0:1]
	v_add_u32_e32 v7, v7, v3
; %bb.1789:
	s_or_b64 exec, exec, s[8:9]
	s_mov_b64 s[0:1], 0
	s_mov_b64 s[8:9], -1
	global_store_byte v[4:5], v7, off
.LBB265_1790:
	s_mov_b64 s[10:11], 0
.LBB265_1791:
	s_and_b64 vcc, exec, s[10:11]
	s_cbranch_vccz .LBB265_1794
; %bb.1792:
	s_cmp_eq_u32 s15, 29
	s_mov_b64 s[0:1], -1
	s_cbranch_scc0 .LBB265_1794
; %bb.1793:
	v_cvt_f32_f16_e32 v3, v1
	v_mov_b32_e32 v7, 0
	s_mov_b64 s[0:1], 0
	s_mov_b64 s[8:9], -1
	v_cvt_u32_f32_e32 v6, v3
	global_store_dwordx2 v[4:5], v[6:7], off
.LBB265_1794:
	s_mov_b64 s[10:11], 0
.LBB265_1795:
	s_and_b64 vcc, exec, s[10:11]
	s_cbranch_vccz .LBB265_1811
; %bb.1796:
	s_cmp_lt_i32 s15, 27
	s_mov_b64 s[8:9], -1
	s_cbranch_scc1 .LBB265_1802
; %bb.1797:
	s_cmp_gt_i32 s15, 27
	s_cbranch_scc0 .LBB265_1799
; %bb.1798:
	v_cvt_f32_f16_e32 v3, v1
	s_mov_b64 s[8:9], 0
	v_cvt_u32_f32_e32 v3, v3
	global_store_dword v[4:5], v3, off
.LBB265_1799:
	s_andn2_b64 vcc, exec, s[8:9]
	s_cbranch_vccnz .LBB265_1801
; %bb.1800:
	v_cvt_u16_f16_e32 v3, v1
	global_store_short v[4:5], v3, off
.LBB265_1801:
	s_mov_b64 s[8:9], 0
.LBB265_1802:
	s_andn2_b64 vcc, exec, s[8:9]
	s_cbranch_vccnz .LBB265_1810
; %bb.1803:
	v_cvt_f32_f16_e32 v3, v1
	s_mov_b32 s8, 0x43800000
	v_mov_b32_e32 v7, 0x80
	v_and_b32_e32 v6, 0x7fffffff, v3
	v_cmp_gt_u32_e32 vcc, s8, v6
	s_and_saveexec_b64 s[8:9], vcc
	s_cbranch_execz .LBB265_1809
; %bb.1804:
	s_mov_b32 s10, 0x3bffffff
	v_cmp_lt_u32_e32 vcc, s10, v6
	s_mov_b64 s[10:11], 0
                                        ; implicit-def: $vgpr6
	s_and_saveexec_b64 s[12:13], vcc
	s_xor_b64 s[12:13], exec, s[12:13]
	s_cbranch_execz .LBB265_2144
; %bb.1805:
	v_bfe_u32 v6, v3, 20, 1
	s_mov_b32 s16, 0x487ffff
	v_add3_u32 v6, v3, v6, s16
	s_mov_b64 s[10:11], exec
	v_lshrrev_b32_e32 v6, 20, v6
	s_andn2_saveexec_b64 s[12:13], s[12:13]
	s_cbranch_execnz .LBB265_2145
.LBB265_1806:
	s_or_b64 exec, exec, s[12:13]
	v_mov_b32_e32 v7, 0
	s_and_saveexec_b64 s[12:13], s[10:11]
.LBB265_1807:
	v_lshrrev_b32_e32 v3, 24, v3
	s_movk_i32 s10, 0x80
	v_and_or_b32 v7, v3, s10, v6
.LBB265_1808:
	s_or_b64 exec, exec, s[12:13]
.LBB265_1809:
	s_or_b64 exec, exec, s[8:9]
	global_store_byte v[4:5], v7, off
.LBB265_1810:
	s_mov_b64 s[8:9], -1
.LBB265_1811:
	s_mov_b64 s[10:11], 0
.LBB265_1812:
	s_and_b64 vcc, exec, s[10:11]
	s_cbranch_vccz .LBB265_1852
; %bb.1813:
	s_cmp_gt_i32 s15, 22
	s_mov_b64 s[6:7], -1
	s_cbranch_scc0 .LBB265_1845
; %bb.1814:
	s_cmp_lt_i32 s15, 24
	s_cbranch_scc1 .LBB265_1834
; %bb.1815:
	s_cmp_gt_i32 s15, 24
	s_cbranch_scc0 .LBB265_1823
; %bb.1816:
	v_cvt_f32_f16_e32 v3, v1
	s_mov_b32 s6, 0x47800000
	v_mov_b32_e32 v7, 0x80
	v_and_b32_e32 v6, 0x7fffffff, v3
	v_cmp_gt_u32_e32 vcc, s6, v6
	s_and_saveexec_b64 s[6:7], vcc
	s_cbranch_execz .LBB265_1822
; %bb.1817:
	s_mov_b32 s8, 0x37ffffff
	v_cmp_lt_u32_e32 vcc, s8, v6
	s_mov_b64 s[8:9], 0
                                        ; implicit-def: $vgpr6
	s_and_saveexec_b64 s[10:11], vcc
	s_xor_b64 s[10:11], exec, s[10:11]
	s_cbranch_execz .LBB265_2147
; %bb.1818:
	v_bfe_u32 v6, v3, 21, 1
	s_mov_b32 s12, 0x88fffff
	v_add3_u32 v6, v3, v6, s12
	s_mov_b64 s[8:9], exec
	v_lshrrev_b32_e32 v6, 21, v6
	s_andn2_saveexec_b64 s[10:11], s[10:11]
	s_cbranch_execnz .LBB265_2148
.LBB265_1819:
	s_or_b64 exec, exec, s[10:11]
	v_mov_b32_e32 v7, 0
	s_and_saveexec_b64 s[10:11], s[8:9]
.LBB265_1820:
	v_lshrrev_b32_e32 v3, 24, v3
	s_movk_i32 s8, 0x80
	v_and_or_b32 v7, v3, s8, v6
.LBB265_1821:
	s_or_b64 exec, exec, s[10:11]
.LBB265_1822:
	s_or_b64 exec, exec, s[6:7]
	s_mov_b64 s[6:7], 0
	global_store_byte v[4:5], v7, off
.LBB265_1823:
	s_and_b64 vcc, exec, s[6:7]
	s_cbranch_vccz .LBB265_1833
; %bb.1824:
	v_cvt_f32_f16_e32 v3, v1
	s_mov_b32 s6, 0x43f00000
                                        ; implicit-def: $vgpr6
	v_and_b32_e32 v7, 0x7fffffff, v3
	v_cmp_gt_u32_e32 vcc, s6, v7
	s_and_saveexec_b64 s[6:7], vcc
	s_xor_b64 s[6:7], exec, s[6:7]
	s_cbranch_execz .LBB265_1830
; %bb.1825:
	s_mov_b32 s8, 0x3c7fffff
	v_cmp_lt_u32_e32 vcc, s8, v7
                                        ; implicit-def: $vgpr6
	s_and_saveexec_b64 s[8:9], vcc
	s_xor_b64 s[8:9], exec, s[8:9]
; %bb.1826:
	v_bfe_u32 v6, v3, 20, 1
	s_mov_b32 s10, 0x407ffff
	v_add3_u32 v6, v3, v6, s10
	v_lshrrev_b32_e32 v7, 20, v6
	v_and_b32_e32 v6, 0xff00000, v6
	s_mov_b32 s10, 0x7f00000
	v_mov_b32_e32 v8, 0x7e
	v_cmp_ne_u32_e32 vcc, s10, v6
	s_nop 1
	v_cndmask_b32_e32 v6, v8, v7, vcc
; %bb.1827:
	s_andn2_saveexec_b64 s[8:9], s[8:9]
; %bb.1828:
	s_mov_b32 s10, 0x46800000
	v_add_f32_e64 v6, |v3|, s10
; %bb.1829:
	s_or_b64 exec, exec, s[8:9]
                                        ; implicit-def: $vgpr7
.LBB265_1830:
	s_andn2_saveexec_b64 s[6:7], s[6:7]
; %bb.1831:
	s_mov_b32 s8, 0x7f800000
	v_mov_b32_e32 v6, 0x7e
	v_mov_b32_e32 v8, 0x7f
	v_cmp_lt_u32_e32 vcc, s8, v7
	s_nop 1
	v_cndmask_b32_e32 v6, v6, v8, vcc
; %bb.1832:
	s_or_b64 exec, exec, s[6:7]
	v_lshrrev_b32_e32 v3, 24, v3
	s_movk_i32 s6, 0x80
	v_and_or_b32 v3, v3, s6, v6
	global_store_byte v[4:5], v3, off
.LBB265_1833:
	s_mov_b64 s[6:7], 0
.LBB265_1834:
	s_andn2_b64 vcc, exec, s[6:7]
	s_cbranch_vccnz .LBB265_1844
; %bb.1835:
	v_cvt_f32_f16_e32 v3, v1
	s_mov_b32 s6, 0x47800000
                                        ; implicit-def: $vgpr6
	v_and_b32_e32 v7, 0x7fffffff, v3
	v_cmp_gt_u32_e32 vcc, s6, v7
	s_and_saveexec_b64 s[6:7], vcc
	s_xor_b64 s[6:7], exec, s[6:7]
	s_cbranch_execz .LBB265_1841
; %bb.1836:
	s_mov_b32 s8, 0x387fffff
	v_cmp_lt_u32_e32 vcc, s8, v7
                                        ; implicit-def: $vgpr6
	s_and_saveexec_b64 s[8:9], vcc
	s_xor_b64 s[8:9], exec, s[8:9]
; %bb.1837:
	v_bfe_u32 v6, v3, 21, 1
	s_mov_b32 s10, 0x80fffff
	v_add3_u32 v6, v3, v6, s10
	v_lshrrev_b32_e32 v6, 21, v6
; %bb.1838:
	s_andn2_saveexec_b64 s[8:9], s[8:9]
; %bb.1839:
	s_mov_b32 s10, 0x43000000
	v_add_f32_e64 v6, |v3|, s10
; %bb.1840:
	s_or_b64 exec, exec, s[8:9]
                                        ; implicit-def: $vgpr7
.LBB265_1841:
	s_andn2_saveexec_b64 s[6:7], s[6:7]
; %bb.1842:
	s_mov_b32 s8, 0x7f800000
	v_mov_b32_e32 v6, 0x7c
	v_mov_b32_e32 v8, 0x7f
	v_cmp_lt_u32_e32 vcc, s8, v7
	s_nop 1
	v_cndmask_b32_e32 v6, v6, v8, vcc
; %bb.1843:
	s_or_b64 exec, exec, s[6:7]
	v_lshrrev_b32_e32 v3, 24, v3
	s_movk_i32 s6, 0x80
	v_and_or_b32 v3, v3, s6, v6
	global_store_byte v[4:5], v3, off
.LBB265_1844:
	s_mov_b64 s[6:7], 0
	s_mov_b64 s[8:9], -1
.LBB265_1845:
	s_andn2_b64 vcc, exec, s[6:7]
	s_mov_b64 s[6:7], 0
	s_cbranch_vccnz .LBB265_1852
; %bb.1846:
	s_cmp_gt_i32 s15, 14
	s_mov_b64 s[10:11], -1
	s_cbranch_scc0 .LBB265_1850
; %bb.1847:
	s_cmp_eq_u32 s15, 15
	s_mov_b64 s[0:1], -1
	s_cbranch_scc0 .LBB265_1849
; %bb.1848:
	v_cvt_f32_f16_e32 v3, v1
	s_movk_i32 s0, 0x7fff
	v_cmp_o_f16_e32 vcc, v1, v1
	v_mov_b32_e32 v6, 0x7fc0
	v_bfe_u32 v7, v3, 16, 1
	v_add3_u32 v3, v3, v7, s0
	v_cndmask_b32_sdwa v3, v6, v3, vcc dst_sel:DWORD dst_unused:UNUSED_PAD src0_sel:DWORD src1_sel:WORD_1
	global_store_short v[4:5], v3, off
	s_mov_b64 s[0:1], 0
	s_mov_b64 s[8:9], -1
.LBB265_1849:
	s_mov_b64 s[10:11], 0
.LBB265_1850:
	s_and_b64 vcc, exec, s[10:11]
	s_cbranch_vccz .LBB265_1852
; %bb.1851:
	s_cmp_lg_u32 s15, 11
	s_mov_b64 s[6:7], -1
	s_cselect_b64 s[0:1], -1, 0
.LBB265_1852:
	s_and_b64 vcc, exec, s[0:1]
	s_cbranch_vccnz .LBB265_2146
; %bb.1853:
	s_andn2_b64 vcc, exec, s[6:7]
	s_cbranch_vccnz .LBB265_1855
.LBB265_1854:
	v_cmp_neq_f16_e32 vcc, 0, v1
	s_mov_b64 s[8:9], -1
	s_nop 0
	v_cndmask_b32_e64 v3, 0, 1, vcc
	global_store_byte v[4:5], v3, off
.LBB265_1855:
	s_mov_b64 s[0:1], 0
	s_branch .LBB265_1857
.LBB265_1856:
	s_mov_b64 s[0:1], -1
	s_mov_b64 s[8:9], 0
.LBB265_1857:
	s_and_b64 vcc, exec, s[0:1]
	s_cbranch_vccz .LBB265_1896
; %bb.1858:
	s_and_b32 s6, 0xffff, s14
	s_cmp_lt_i32 s6, 5
	s_mov_b64 s[0:1], -1
	s_cbranch_scc1 .LBB265_1879
; %bb.1859:
	s_cmp_lt_i32 s6, 8
	s_cbranch_scc1 .LBB265_1869
; %bb.1860:
	s_cmp_lt_i32 s6, 9
	s_cbranch_scc1 .LBB265_1866
; %bb.1861:
	s_cmp_gt_i32 s6, 9
	s_cbranch_scc0 .LBB265_1863
; %bb.1862:
	v_cvt_f32_f16_e32 v3, v1
	v_mov_b32_e32 v8, 0
	v_mov_b32_e32 v9, v8
	s_mov_b64 s[0:1], 0
	v_cvt_f64_f32_e32 v[6:7], v3
	global_store_dwordx4 v[4:5], v[6:9], off
.LBB265_1863:
	s_andn2_b64 vcc, exec, s[0:1]
	s_cbranch_vccnz .LBB265_1865
; %bb.1864:
	v_cvt_f32_f16_e32 v6, v1
	v_mov_b32_e32 v7, 0
	global_store_dwordx2 v[4:5], v[6:7], off
.LBB265_1865:
	s_mov_b64 s[0:1], 0
.LBB265_1866:
	s_andn2_b64 vcc, exec, s[0:1]
	s_cbranch_vccnz .LBB265_1868
; %bb.1867:
	global_store_dword v[4:5], v1, off
.LBB265_1868:
	s_mov_b64 s[0:1], 0
.LBB265_1869:
	s_andn2_b64 vcc, exec, s[0:1]
	s_cbranch_vccnz .LBB265_1878
; %bb.1870:
	s_cmp_lt_i32 s6, 6
	s_mov_b64 s[0:1], -1
	s_cbranch_scc1 .LBB265_1876
; %bb.1871:
	s_cmp_gt_i32 s6, 6
	s_cbranch_scc0 .LBB265_1873
; %bb.1872:
	v_cvt_f32_f16_e32 v3, v1
	s_mov_b64 s[0:1], 0
	v_cvt_f64_f32_e32 v[6:7], v3
	global_store_dwordx2 v[4:5], v[6:7], off
.LBB265_1873:
	s_andn2_b64 vcc, exec, s[0:1]
	s_cbranch_vccnz .LBB265_1875
; %bb.1874:
	v_cvt_f32_f16_e32 v3, v1
	global_store_dword v[4:5], v3, off
.LBB265_1875:
	s_mov_b64 s[0:1], 0
.LBB265_1876:
	s_andn2_b64 vcc, exec, s[0:1]
	s_cbranch_vccnz .LBB265_1878
; %bb.1877:
	global_store_short v[4:5], v1, off
.LBB265_1878:
	s_mov_b64 s[0:1], 0
.LBB265_1879:
	s_andn2_b64 vcc, exec, s[0:1]
	s_cbranch_vccnz .LBB265_1895
; %bb.1880:
	s_cmp_lt_i32 s6, 2
	s_mov_b64 s[0:1], -1
	s_cbranch_scc1 .LBB265_1890
; %bb.1881:
	s_cmp_lt_i32 s6, 3
	s_cbranch_scc1 .LBB265_1887
; %bb.1882:
	s_cmp_gt_i32 s6, 3
	s_cbranch_scc0 .LBB265_1884
; %bb.1883:
	v_cvt_f32_f16_e32 v3, v1
	s_mov_b64 s[0:1], 0
	v_cvt_i32_f32_e32 v6, v3
	v_ashrrev_i32_e32 v7, 31, v6
	global_store_dwordx2 v[4:5], v[6:7], off
.LBB265_1884:
	s_andn2_b64 vcc, exec, s[0:1]
	s_cbranch_vccnz .LBB265_1886
; %bb.1885:
	v_cvt_f32_f16_e32 v3, v1
	v_cvt_i32_f32_e32 v3, v3
	global_store_dword v[4:5], v3, off
.LBB265_1886:
	s_mov_b64 s[0:1], 0
.LBB265_1887:
	s_andn2_b64 vcc, exec, s[0:1]
	s_cbranch_vccnz .LBB265_1889
; %bb.1888:
	v_cvt_i16_f16_e32 v3, v1
	global_store_short v[4:5], v3, off
.LBB265_1889:
	s_mov_b64 s[0:1], 0
.LBB265_1890:
	s_andn2_b64 vcc, exec, s[0:1]
	s_cbranch_vccnz .LBB265_1895
; %bb.1891:
	s_cmp_gt_i32 s6, 0
	s_mov_b64 s[0:1], -1
	s_cbranch_scc0 .LBB265_1893
; %bb.1892:
	v_cvt_i16_f16_e32 v3, v1
	global_store_byte v[4:5], v3, off
	s_mov_b64 s[0:1], 0
.LBB265_1893:
	s_andn2_b64 vcc, exec, s[0:1]
	s_cbranch_vccnz .LBB265_1895
; %bb.1894:
	v_cvt_f32_f16_e32 v1, v1
	v_cvt_i32_f32_e32 v1, v1
	global_store_byte v[4:5], v1, off
.LBB265_1895:
	s_mov_b64 s[8:9], -1
.LBB265_1896:
	s_andn2_b64 vcc, exec, s[8:9]
	s_cbranch_vccnz .LBB265_2092
; %bb.1897:
	v_cvt_f32_f16_e32 v1, v12
	s_mov_b32 s0, 0xf800000
	v_mov_b32_e32 v4, 0x260
	s_cmp_lt_i32 s14, 11
	v_mul_f32_e32 v3, 0x4f800000, v1
	v_cmp_gt_f32_e32 vcc, s0, v1
	s_nop 1
	v_cndmask_b32_e32 v1, v1, v3, vcc
	v_rsq_f32_e32 v3, v1
	s_nop 0
	v_mul_f32_e32 v5, v1, v3
	v_mul_f32_e32 v3, 0.5, v3
	v_fma_f32 v6, -v3, v5, 0.5
	v_fmac_f32_e32 v5, v5, v6
	v_fmac_f32_e32 v3, v3, v6
	v_fma_f32 v6, -v5, v5, v1
	v_fmac_f32_e32 v5, v6, v3
	v_mul_f32_e32 v3, 0x37800000, v5
	v_cndmask_b32_e32 v3, v5, v3, vcc
	v_cmp_class_f32_e32 vcc, v1, v4
	s_nop 1
	v_cndmask_b32_e32 v1, v3, v1, vcc
	v_cvt_f16_f32_e32 v1, v1
	v_mov_b32_e32 v3, 0
	v_lshl_add_u64 v[2:3], s[4:5], 0, v[2:3]
	s_cbranch_scc1 .LBB265_1975
; %bb.1898:
	s_and_b32 s15, 0xffff, s14
	s_mov_b64 s[10:11], -1
	s_mov_b64 s[6:7], 0
	s_cmp_gt_i32 s15, 25
	s_mov_b64 s[8:9], 0
	s_mov_b64 s[0:1], 0
	s_cbranch_scc0 .LBB265_1931
; %bb.1899:
	s_cmp_gt_i32 s15, 28
	s_cbranch_scc0 .LBB265_1914
; %bb.1900:
	s_cmp_gt_i32 s15, 43
	;; [unrolled: 3-line block ×3, first 2 shown]
	s_cbranch_scc0 .LBB265_1904
; %bb.1902:
	s_mov_b64 s[0:1], -1
	s_mov_b64 s[10:11], 0
	s_cmp_eq_u32 s15, 46
	s_cbranch_scc0 .LBB265_1904
; %bb.1903:
	v_cvt_f32_f16_e32 v4, v1
	s_movk_i32 s0, 0x7fff
	v_cmp_o_f16_e32 vcc, v1, v1
	v_mov_b32_e32 v5, 0x7fc0
	v_bfe_u32 v6, v4, 16, 1
	v_add3_u32 v4, v4, v6, s0
	v_cndmask_b32_sdwa v4, v5, v4, vcc dst_sel:DWORD dst_unused:UNUSED_PAD src0_sel:DWORD src1_sel:WORD_1
	global_store_dword v[2:3], v4, off
	s_mov_b64 s[0:1], 0
	s_mov_b64 s[8:9], -1
.LBB265_1904:
	s_and_b64 vcc, exec, s[10:11]
	s_cbranch_vccz .LBB265_1909
; %bb.1905:
	s_cmp_eq_u32 s15, 44
	s_mov_b64 s[0:1], -1
	s_cbranch_scc0 .LBB265_1909
; %bb.1906:
	v_cvt_f32_f16_e32 v4, v1
	s_movk_i32 s0, 0xff
	v_mov_b32_e32 v6, 0xff
	v_bfe_u32 v5, v4, 23, 8
	v_cmp_ne_u32_e32 vcc, s0, v5
	s_and_saveexec_b64 s[8:9], vcc
; %bb.1907:
	s_mov_b32 s0, 0x3fffff
	v_lshrrev_b32_e32 v6, 23, v4
	v_and_b32_e32 v7, 0x400000, v4
	v_and_or_b32 v4, v4, s0, v5
	v_cmp_ne_u32_e32 vcc, 0, v7
	v_cmp_ne_u32_e64 s[0:1], 0, v4
	s_and_b64 s[0:1], vcc, s[0:1]
	s_nop 0
	v_cndmask_b32_e64 v4, 0, 1, s[0:1]
	v_add_u32_e32 v6, v6, v4
; %bb.1908:
	s_or_b64 exec, exec, s[8:9]
	s_mov_b64 s[0:1], 0
	s_mov_b64 s[8:9], -1
	global_store_byte v[2:3], v6, off
.LBB265_1909:
	s_mov_b64 s[10:11], 0
.LBB265_1910:
	s_and_b64 vcc, exec, s[10:11]
	s_cbranch_vccz .LBB265_1913
; %bb.1911:
	s_cmp_eq_u32 s15, 29
	s_mov_b64 s[0:1], -1
	s_cbranch_scc0 .LBB265_1913
; %bb.1912:
	v_cvt_f32_f16_e32 v4, v1
	v_mov_b32_e32 v5, 0
	s_mov_b64 s[0:1], 0
	s_mov_b64 s[8:9], -1
	v_cvt_u32_f32_e32 v4, v4
	global_store_dwordx2 v[2:3], v[4:5], off
.LBB265_1913:
	s_mov_b64 s[10:11], 0
.LBB265_1914:
	s_and_b64 vcc, exec, s[10:11]
	s_cbranch_vccz .LBB265_1930
; %bb.1915:
	s_cmp_lt_i32 s15, 27
	s_mov_b64 s[8:9], -1
	s_cbranch_scc1 .LBB265_1921
; %bb.1916:
	s_cmp_gt_i32 s15, 27
	s_cbranch_scc0 .LBB265_1918
; %bb.1917:
	v_cvt_f32_f16_e32 v4, v1
	s_mov_b64 s[8:9], 0
	v_cvt_u32_f32_e32 v4, v4
	global_store_dword v[2:3], v4, off
.LBB265_1918:
	s_andn2_b64 vcc, exec, s[8:9]
	s_cbranch_vccnz .LBB265_1920
; %bb.1919:
	v_cvt_u16_f16_e32 v4, v1
	global_store_short v[2:3], v4, off
.LBB265_1920:
	s_mov_b64 s[8:9], 0
.LBB265_1921:
	s_andn2_b64 vcc, exec, s[8:9]
	s_cbranch_vccnz .LBB265_1929
; %bb.1922:
	v_cvt_f32_f16_e32 v4, v1
	s_mov_b32 s8, 0x43800000
	v_mov_b32_e32 v6, 0x80
	v_and_b32_e32 v5, 0x7fffffff, v4
	v_cmp_gt_u32_e32 vcc, s8, v5
	s_and_saveexec_b64 s[8:9], vcc
	s_cbranch_execz .LBB265_1928
; %bb.1923:
	s_mov_b32 s10, 0x3bffffff
	v_cmp_lt_u32_e32 vcc, s10, v5
	s_mov_b64 s[10:11], 0
                                        ; implicit-def: $vgpr5
	s_and_saveexec_b64 s[12:13], vcc
	s_xor_b64 s[12:13], exec, s[12:13]
	s_cbranch_execz .LBB265_2149
; %bb.1924:
	v_bfe_u32 v5, v4, 20, 1
	s_mov_b32 s16, 0x487ffff
	v_add3_u32 v5, v4, v5, s16
	s_mov_b64 s[10:11], exec
	v_lshrrev_b32_e32 v5, 20, v5
	s_andn2_saveexec_b64 s[12:13], s[12:13]
	s_cbranch_execnz .LBB265_2150
.LBB265_1925:
	s_or_b64 exec, exec, s[12:13]
	v_mov_b32_e32 v6, 0
	s_and_saveexec_b64 s[12:13], s[10:11]
.LBB265_1926:
	v_lshrrev_b32_e32 v4, 24, v4
	s_movk_i32 s10, 0x80
	v_and_or_b32 v6, v4, s10, v5
.LBB265_1927:
	s_or_b64 exec, exec, s[12:13]
.LBB265_1928:
	s_or_b64 exec, exec, s[8:9]
	global_store_byte v[2:3], v6, off
.LBB265_1929:
	s_mov_b64 s[8:9], -1
.LBB265_1930:
	s_mov_b64 s[10:11], 0
.LBB265_1931:
	s_and_b64 vcc, exec, s[10:11]
	s_cbranch_vccz .LBB265_1971
; %bb.1932:
	s_cmp_gt_i32 s15, 22
	s_mov_b64 s[6:7], -1
	s_cbranch_scc0 .LBB265_1964
; %bb.1933:
	s_cmp_lt_i32 s15, 24
	s_cbranch_scc1 .LBB265_1953
; %bb.1934:
	s_cmp_gt_i32 s15, 24
	s_cbranch_scc0 .LBB265_1942
; %bb.1935:
	v_cvt_f32_f16_e32 v4, v1
	s_mov_b32 s6, 0x47800000
	v_mov_b32_e32 v6, 0x80
	v_and_b32_e32 v5, 0x7fffffff, v4
	v_cmp_gt_u32_e32 vcc, s6, v5
	s_and_saveexec_b64 s[6:7], vcc
	s_cbranch_execz .LBB265_1941
; %bb.1936:
	s_mov_b32 s8, 0x37ffffff
	v_cmp_lt_u32_e32 vcc, s8, v5
	s_mov_b64 s[8:9], 0
                                        ; implicit-def: $vgpr5
	s_and_saveexec_b64 s[10:11], vcc
	s_xor_b64 s[10:11], exec, s[10:11]
	s_cbranch_execz .LBB265_2152
; %bb.1937:
	v_bfe_u32 v5, v4, 21, 1
	s_mov_b32 s12, 0x88fffff
	v_add3_u32 v5, v4, v5, s12
	s_mov_b64 s[8:9], exec
	v_lshrrev_b32_e32 v5, 21, v5
	s_andn2_saveexec_b64 s[10:11], s[10:11]
	s_cbranch_execnz .LBB265_2153
.LBB265_1938:
	s_or_b64 exec, exec, s[10:11]
	v_mov_b32_e32 v6, 0
	s_and_saveexec_b64 s[10:11], s[8:9]
.LBB265_1939:
	v_lshrrev_b32_e32 v4, 24, v4
	s_movk_i32 s8, 0x80
	v_and_or_b32 v6, v4, s8, v5
.LBB265_1940:
	s_or_b64 exec, exec, s[10:11]
.LBB265_1941:
	s_or_b64 exec, exec, s[6:7]
	s_mov_b64 s[6:7], 0
	global_store_byte v[2:3], v6, off
.LBB265_1942:
	s_and_b64 vcc, exec, s[6:7]
	s_cbranch_vccz .LBB265_1952
; %bb.1943:
	v_cvt_f32_f16_e32 v4, v1
	s_mov_b32 s6, 0x43f00000
                                        ; implicit-def: $vgpr5
	v_and_b32_e32 v6, 0x7fffffff, v4
	v_cmp_gt_u32_e32 vcc, s6, v6
	s_and_saveexec_b64 s[6:7], vcc
	s_xor_b64 s[6:7], exec, s[6:7]
	s_cbranch_execz .LBB265_1949
; %bb.1944:
	s_mov_b32 s8, 0x3c7fffff
	v_cmp_lt_u32_e32 vcc, s8, v6
                                        ; implicit-def: $vgpr5
	s_and_saveexec_b64 s[8:9], vcc
	s_xor_b64 s[8:9], exec, s[8:9]
; %bb.1945:
	v_bfe_u32 v5, v4, 20, 1
	s_mov_b32 s10, 0x407ffff
	v_add3_u32 v5, v4, v5, s10
	v_lshrrev_b32_e32 v6, 20, v5
	v_and_b32_e32 v5, 0xff00000, v5
	s_mov_b32 s10, 0x7f00000
	v_mov_b32_e32 v7, 0x7e
	v_cmp_ne_u32_e32 vcc, s10, v5
	s_nop 1
	v_cndmask_b32_e32 v5, v7, v6, vcc
; %bb.1946:
	s_andn2_saveexec_b64 s[8:9], s[8:9]
; %bb.1947:
	s_mov_b32 s10, 0x46800000
	v_add_f32_e64 v5, |v4|, s10
; %bb.1948:
	s_or_b64 exec, exec, s[8:9]
                                        ; implicit-def: $vgpr6
.LBB265_1949:
	s_andn2_saveexec_b64 s[6:7], s[6:7]
; %bb.1950:
	s_mov_b32 s8, 0x7f800000
	v_mov_b32_e32 v5, 0x7e
	v_mov_b32_e32 v7, 0x7f
	v_cmp_lt_u32_e32 vcc, s8, v6
	s_nop 1
	v_cndmask_b32_e32 v5, v5, v7, vcc
; %bb.1951:
	s_or_b64 exec, exec, s[6:7]
	v_lshrrev_b32_e32 v4, 24, v4
	s_movk_i32 s6, 0x80
	v_and_or_b32 v4, v4, s6, v5
	global_store_byte v[2:3], v4, off
.LBB265_1952:
	s_mov_b64 s[6:7], 0
.LBB265_1953:
	s_andn2_b64 vcc, exec, s[6:7]
	s_cbranch_vccnz .LBB265_1963
; %bb.1954:
	v_cvt_f32_f16_e32 v4, v1
	s_mov_b32 s6, 0x47800000
                                        ; implicit-def: $vgpr5
	v_and_b32_e32 v6, 0x7fffffff, v4
	v_cmp_gt_u32_e32 vcc, s6, v6
	s_and_saveexec_b64 s[6:7], vcc
	s_xor_b64 s[6:7], exec, s[6:7]
	s_cbranch_execz .LBB265_1960
; %bb.1955:
	s_mov_b32 s8, 0x387fffff
	v_cmp_lt_u32_e32 vcc, s8, v6
                                        ; implicit-def: $vgpr5
	s_and_saveexec_b64 s[8:9], vcc
	s_xor_b64 s[8:9], exec, s[8:9]
; %bb.1956:
	v_bfe_u32 v5, v4, 21, 1
	s_mov_b32 s10, 0x80fffff
	v_add3_u32 v5, v4, v5, s10
	v_lshrrev_b32_e32 v5, 21, v5
; %bb.1957:
	s_andn2_saveexec_b64 s[8:9], s[8:9]
; %bb.1958:
	s_mov_b32 s10, 0x43000000
	v_add_f32_e64 v5, |v4|, s10
; %bb.1959:
	s_or_b64 exec, exec, s[8:9]
                                        ; implicit-def: $vgpr6
.LBB265_1960:
	s_andn2_saveexec_b64 s[6:7], s[6:7]
; %bb.1961:
	s_mov_b32 s8, 0x7f800000
	v_mov_b32_e32 v5, 0x7c
	v_mov_b32_e32 v7, 0x7f
	v_cmp_lt_u32_e32 vcc, s8, v6
	s_nop 1
	v_cndmask_b32_e32 v5, v5, v7, vcc
; %bb.1962:
	s_or_b64 exec, exec, s[6:7]
	v_lshrrev_b32_e32 v4, 24, v4
	s_movk_i32 s6, 0x80
	v_and_or_b32 v4, v4, s6, v5
	global_store_byte v[2:3], v4, off
.LBB265_1963:
	s_mov_b64 s[6:7], 0
	s_mov_b64 s[8:9], -1
.LBB265_1964:
	s_andn2_b64 vcc, exec, s[6:7]
	s_mov_b64 s[6:7], 0
	s_cbranch_vccnz .LBB265_1971
; %bb.1965:
	s_cmp_gt_i32 s15, 14
	s_mov_b64 s[10:11], -1
	s_cbranch_scc0 .LBB265_1969
; %bb.1966:
	s_cmp_eq_u32 s15, 15
	s_mov_b64 s[0:1], -1
	s_cbranch_scc0 .LBB265_1968
; %bb.1967:
	v_cvt_f32_f16_e32 v4, v1
	s_movk_i32 s0, 0x7fff
	v_cmp_o_f16_e32 vcc, v1, v1
	v_mov_b32_e32 v5, 0x7fc0
	v_bfe_u32 v6, v4, 16, 1
	v_add3_u32 v4, v4, v6, s0
	v_cndmask_b32_sdwa v4, v5, v4, vcc dst_sel:DWORD dst_unused:UNUSED_PAD src0_sel:DWORD src1_sel:WORD_1
	global_store_short v[2:3], v4, off
	s_mov_b64 s[0:1], 0
	s_mov_b64 s[8:9], -1
.LBB265_1968:
	s_mov_b64 s[10:11], 0
.LBB265_1969:
	s_and_b64 vcc, exec, s[10:11]
	s_cbranch_vccz .LBB265_1971
; %bb.1970:
	s_cmp_lg_u32 s15, 11
	s_mov_b64 s[6:7], -1
	s_cselect_b64 s[0:1], -1, 0
.LBB265_1971:
	s_and_b64 vcc, exec, s[0:1]
	s_cbranch_vccnz .LBB265_2151
; %bb.1972:
	s_andn2_b64 vcc, exec, s[6:7]
	s_cbranch_vccnz .LBB265_1974
.LBB265_1973:
	v_cmp_neq_f16_e32 vcc, 0, v1
	s_mov_b64 s[8:9], -1
	s_nop 0
	v_cndmask_b32_e64 v4, 0, 1, vcc
	global_store_byte v[2:3], v4, off
.LBB265_1974:
	s_mov_b64 s[0:1], 0
	s_branch .LBB265_1976
.LBB265_1975:
	s_mov_b64 s[0:1], -1
	s_mov_b64 s[8:9], 0
.LBB265_1976:
	s_and_b64 vcc, exec, s[0:1]
	s_cbranch_vccz .LBB265_2015
; %bb.1977:
	s_and_b32 s6, 0xffff, s14
	s_cmp_lt_i32 s6, 5
	s_mov_b64 s[0:1], -1
	s_cbranch_scc1 .LBB265_1998
; %bb.1978:
	s_cmp_lt_i32 s6, 8
	s_cbranch_scc1 .LBB265_1988
; %bb.1979:
	s_cmp_lt_i32 s6, 9
	s_cbranch_scc1 .LBB265_1985
; %bb.1980:
	s_cmp_gt_i32 s6, 9
	s_cbranch_scc0 .LBB265_1982
; %bb.1981:
	v_cvt_f32_f16_e32 v4, v1
	v_mov_b32_e32 v6, 0
	v_mov_b32_e32 v7, v6
	s_mov_b64 s[0:1], 0
	v_cvt_f64_f32_e32 v[4:5], v4
	global_store_dwordx4 v[2:3], v[4:7], off
.LBB265_1982:
	s_andn2_b64 vcc, exec, s[0:1]
	s_cbranch_vccnz .LBB265_1984
; %bb.1983:
	v_cvt_f32_f16_e32 v4, v1
	v_mov_b32_e32 v5, 0
	global_store_dwordx2 v[2:3], v[4:5], off
.LBB265_1984:
	s_mov_b64 s[0:1], 0
.LBB265_1985:
	s_andn2_b64 vcc, exec, s[0:1]
	s_cbranch_vccnz .LBB265_1987
; %bb.1986:
	global_store_dword v[2:3], v1, off
.LBB265_1987:
	s_mov_b64 s[0:1], 0
.LBB265_1988:
	s_andn2_b64 vcc, exec, s[0:1]
	s_cbranch_vccnz .LBB265_1997
; %bb.1989:
	s_cmp_lt_i32 s6, 6
	s_mov_b64 s[0:1], -1
	s_cbranch_scc1 .LBB265_1995
; %bb.1990:
	s_cmp_gt_i32 s6, 6
	s_cbranch_scc0 .LBB265_1992
; %bb.1991:
	v_cvt_f32_f16_e32 v4, v1
	s_mov_b64 s[0:1], 0
	v_cvt_f64_f32_e32 v[4:5], v4
	global_store_dwordx2 v[2:3], v[4:5], off
.LBB265_1992:
	s_andn2_b64 vcc, exec, s[0:1]
	s_cbranch_vccnz .LBB265_1994
; %bb.1993:
	v_cvt_f32_f16_e32 v4, v1
	global_store_dword v[2:3], v4, off
.LBB265_1994:
	s_mov_b64 s[0:1], 0
.LBB265_1995:
	s_andn2_b64 vcc, exec, s[0:1]
	s_cbranch_vccnz .LBB265_1997
; %bb.1996:
	global_store_short v[2:3], v1, off
.LBB265_1997:
	s_mov_b64 s[0:1], 0
.LBB265_1998:
	s_andn2_b64 vcc, exec, s[0:1]
	s_cbranch_vccnz .LBB265_2014
; %bb.1999:
	s_cmp_lt_i32 s6, 2
	s_mov_b64 s[0:1], -1
	s_cbranch_scc1 .LBB265_2009
; %bb.2000:
	s_cmp_lt_i32 s6, 3
	s_cbranch_scc1 .LBB265_2006
; %bb.2001:
	s_cmp_gt_i32 s6, 3
	s_cbranch_scc0 .LBB265_2003
; %bb.2002:
	v_cvt_f32_f16_e32 v4, v1
	s_mov_b64 s[0:1], 0
	v_cvt_i32_f32_e32 v4, v4
	v_ashrrev_i32_e32 v5, 31, v4
	global_store_dwordx2 v[2:3], v[4:5], off
.LBB265_2003:
	s_andn2_b64 vcc, exec, s[0:1]
	s_cbranch_vccnz .LBB265_2005
; %bb.2004:
	v_cvt_f32_f16_e32 v4, v1
	v_cvt_i32_f32_e32 v4, v4
	global_store_dword v[2:3], v4, off
.LBB265_2005:
	s_mov_b64 s[0:1], 0
.LBB265_2006:
	s_andn2_b64 vcc, exec, s[0:1]
	s_cbranch_vccnz .LBB265_2008
; %bb.2007:
	v_cvt_i16_f16_e32 v4, v1
	global_store_short v[2:3], v4, off
.LBB265_2008:
	s_mov_b64 s[0:1], 0
.LBB265_2009:
	s_andn2_b64 vcc, exec, s[0:1]
	s_cbranch_vccnz .LBB265_2014
; %bb.2010:
	s_cmp_gt_i32 s6, 0
	s_mov_b64 s[0:1], -1
	s_cbranch_scc0 .LBB265_2012
; %bb.2011:
	v_cvt_i16_f16_e32 v4, v1
	global_store_byte v[2:3], v4, off
	s_mov_b64 s[0:1], 0
.LBB265_2012:
	s_andn2_b64 vcc, exec, s[0:1]
	s_cbranch_vccnz .LBB265_2014
; %bb.2013:
	v_cvt_f32_f16_e32 v1, v1
	v_cvt_i32_f32_e32 v1, v1
	global_store_byte v[2:3], v1, off
.LBB265_2014:
	s_mov_b64 s[8:9], -1
.LBB265_2015:
	s_andn2_b64 vcc, exec, s[8:9]
	s_cbranch_vccnz .LBB265_2092
; %bb.2016:
	v_cvt_f32_f16_e32 v1, v10
	s_mov_b32 s0, 0xf800000
	v_mov_b32_e32 v3, 0x260
	s_cmp_lt_i32 s14, 11
	v_mul_f32_e32 v2, 0x4f800000, v1
	v_cmp_gt_f32_e32 vcc, s0, v1
	s_nop 1
	v_cndmask_b32_e32 v1, v1, v2, vcc
	v_rsq_f32_e32 v2, v1
	s_nop 0
	v_mul_f32_e32 v4, v1, v2
	v_mul_f32_e32 v2, 0.5, v2
	v_fma_f32 v5, -v2, v4, 0.5
	v_fmac_f32_e32 v4, v4, v5
	v_fmac_f32_e32 v2, v2, v5
	v_fma_f32 v5, -v4, v4, v1
	v_fmac_f32_e32 v4, v5, v2
	v_mul_f32_e32 v2, 0x37800000, v4
	v_cndmask_b32_e32 v2, v4, v2, vcc
	v_cmp_class_f32_e32 vcc, v1, v3
	s_nop 1
	v_cndmask_b32_e32 v1, v2, v1, vcc
	v_cvt_f16_f32_e32 v2, v1
	v_mov_b32_e32 v1, 0
	v_lshl_add_u64 v[0:1], s[4:5], 0, v[0:1]
	s_cbranch_scc1 .LBB265_2137
; %bb.2017:
	s_and_b32 s12, 0xffff, s14
	s_mov_b64 s[6:7], -1
	s_mov_b64 s[4:5], 0
	s_cmp_gt_i32 s12, 25
	s_mov_b64 s[0:1], 0
	s_cbranch_scc0 .LBB265_2050
; %bb.2018:
	s_cmp_gt_i32 s12, 28
	s_cbranch_scc0 .LBB265_2034
; %bb.2019:
	s_cmp_gt_i32 s12, 43
	;; [unrolled: 3-line block ×3, first 2 shown]
	s_cbranch_scc0 .LBB265_2024
; %bb.2021:
	s_cmp_eq_u32 s12, 46
	s_mov_b64 s[0:1], -1
	s_cbranch_scc0 .LBB265_2023
; %bb.2022:
	v_cvt_f32_f16_e32 v3, v2
	s_movk_i32 s0, 0x7fff
	v_cmp_o_f16_e32 vcc, v2, v2
	v_mov_b32_e32 v4, 0x7fc0
	v_bfe_u32 v5, v3, 16, 1
	v_add3_u32 v3, v3, v5, s0
	v_cndmask_b32_sdwa v3, v4, v3, vcc dst_sel:DWORD dst_unused:UNUSED_PAD src0_sel:DWORD src1_sel:WORD_1
	global_store_dword v[0:1], v3, off
	s_mov_b64 s[0:1], 0
.LBB265_2023:
	s_mov_b64 s[6:7], 0
.LBB265_2024:
	s_and_b64 vcc, exec, s[6:7]
	s_cbranch_vccz .LBB265_2029
; %bb.2025:
	s_cmp_eq_u32 s12, 44
	s_mov_b64 s[0:1], -1
	s_cbranch_scc0 .LBB265_2029
; %bb.2026:
	v_cvt_f32_f16_e32 v3, v2
	s_movk_i32 s0, 0xff
	v_mov_b32_e32 v5, 0xff
	v_bfe_u32 v4, v3, 23, 8
	v_cmp_ne_u32_e32 vcc, s0, v4
	s_and_saveexec_b64 s[6:7], vcc
; %bb.2027:
	s_mov_b32 s0, 0x3fffff
	v_lshrrev_b32_e32 v5, 23, v3
	v_and_b32_e32 v6, 0x400000, v3
	v_and_or_b32 v3, v3, s0, v4
	v_cmp_ne_u32_e32 vcc, 0, v6
	v_cmp_ne_u32_e64 s[0:1], 0, v3
	s_and_b64 s[0:1], vcc, s[0:1]
	s_nop 0
	v_cndmask_b32_e64 v3, 0, 1, s[0:1]
	v_add_u32_e32 v5, v5, v3
; %bb.2028:
	s_or_b64 exec, exec, s[6:7]
	s_mov_b64 s[0:1], 0
	global_store_byte v[0:1], v5, off
.LBB265_2029:
	s_mov_b64 s[6:7], 0
.LBB265_2030:
	s_and_b64 vcc, exec, s[6:7]
	s_cbranch_vccz .LBB265_2033
; %bb.2031:
	s_cmp_eq_u32 s12, 29
	s_mov_b64 s[0:1], -1
	s_cbranch_scc0 .LBB265_2033
; %bb.2032:
	v_cvt_f32_f16_e32 v3, v2
	v_mov_b32_e32 v5, 0
	s_mov_b64 s[0:1], 0
	v_cvt_u32_f32_e32 v4, v3
	global_store_dwordx2 v[0:1], v[4:5], off
.LBB265_2033:
	s_mov_b64 s[6:7], 0
.LBB265_2034:
	s_and_b64 vcc, exec, s[6:7]
	s_cbranch_vccz .LBB265_2049
; %bb.2035:
	s_cmp_lt_i32 s12, 27
	s_mov_b64 s[6:7], -1
	s_cbranch_scc1 .LBB265_2041
; %bb.2036:
	s_cmp_gt_i32 s12, 27
	s_cbranch_scc0 .LBB265_2038
; %bb.2037:
	v_cvt_f32_f16_e32 v3, v2
	s_mov_b64 s[6:7], 0
	v_cvt_u32_f32_e32 v3, v3
	global_store_dword v[0:1], v3, off
.LBB265_2038:
	s_andn2_b64 vcc, exec, s[6:7]
	s_cbranch_vccnz .LBB265_2040
; %bb.2039:
	v_cvt_u16_f16_e32 v3, v2
	global_store_short v[0:1], v3, off
.LBB265_2040:
	s_mov_b64 s[6:7], 0
.LBB265_2041:
	s_andn2_b64 vcc, exec, s[6:7]
	s_cbranch_vccnz .LBB265_2049
; %bb.2042:
	v_cvt_f32_f16_e32 v3, v2
	s_mov_b32 s6, 0x43800000
	v_mov_b32_e32 v5, 0x80
	v_and_b32_e32 v4, 0x7fffffff, v3
	v_cmp_gt_u32_e32 vcc, s6, v4
	s_and_saveexec_b64 s[6:7], vcc
	s_cbranch_execz .LBB265_2048
; %bb.2043:
	s_mov_b32 s8, 0x3bffffff
	v_cmp_lt_u32_e32 vcc, s8, v4
	s_mov_b64 s[8:9], 0
                                        ; implicit-def: $vgpr4
	s_and_saveexec_b64 s[10:11], vcc
	s_xor_b64 s[10:11], exec, s[10:11]
	s_cbranch_execz .LBB265_2154
; %bb.2044:
	v_bfe_u32 v4, v3, 20, 1
	s_mov_b32 s13, 0x487ffff
	v_add3_u32 v4, v3, v4, s13
	s_mov_b64 s[8:9], exec
	v_lshrrev_b32_e32 v4, 20, v4
	s_andn2_saveexec_b64 s[10:11], s[10:11]
	s_cbranch_execnz .LBB265_2155
.LBB265_2045:
	s_or_b64 exec, exec, s[10:11]
	v_mov_b32_e32 v5, 0
	s_and_saveexec_b64 s[10:11], s[8:9]
.LBB265_2046:
	v_lshrrev_b32_e32 v3, 24, v3
	s_movk_i32 s8, 0x80
	v_and_or_b32 v5, v3, s8, v4
.LBB265_2047:
	s_or_b64 exec, exec, s[10:11]
.LBB265_2048:
	s_or_b64 exec, exec, s[6:7]
	global_store_byte v[0:1], v5, off
.LBB265_2049:
	s_mov_b64 s[6:7], 0
.LBB265_2050:
	s_and_b64 vcc, exec, s[6:7]
	s_cbranch_vccz .LBB265_2090
; %bb.2051:
	s_cmp_gt_i32 s12, 22
	s_mov_b64 s[4:5], -1
	s_cbranch_scc0 .LBB265_2083
; %bb.2052:
	s_cmp_lt_i32 s12, 24
	s_cbranch_scc1 .LBB265_2072
; %bb.2053:
	s_cmp_gt_i32 s12, 24
	s_cbranch_scc0 .LBB265_2061
; %bb.2054:
	v_cvt_f32_f16_e32 v3, v2
	s_mov_b32 s4, 0x47800000
	v_mov_b32_e32 v5, 0x80
	v_and_b32_e32 v4, 0x7fffffff, v3
	v_cmp_gt_u32_e32 vcc, s4, v4
	s_and_saveexec_b64 s[4:5], vcc
	s_cbranch_execz .LBB265_2060
; %bb.2055:
	s_mov_b32 s6, 0x37ffffff
	v_cmp_lt_u32_e32 vcc, s6, v4
	s_mov_b64 s[6:7], 0
                                        ; implicit-def: $vgpr4
	s_and_saveexec_b64 s[8:9], vcc
	s_xor_b64 s[8:9], exec, s[8:9]
	s_cbranch_execz .LBB265_2157
; %bb.2056:
	v_bfe_u32 v4, v3, 21, 1
	s_mov_b32 s10, 0x88fffff
	v_add3_u32 v4, v3, v4, s10
	s_mov_b64 s[6:7], exec
	v_lshrrev_b32_e32 v4, 21, v4
	s_andn2_saveexec_b64 s[8:9], s[8:9]
	s_cbranch_execnz .LBB265_2158
.LBB265_2057:
	s_or_b64 exec, exec, s[8:9]
	v_mov_b32_e32 v5, 0
	s_and_saveexec_b64 s[8:9], s[6:7]
.LBB265_2058:
	v_lshrrev_b32_e32 v3, 24, v3
	s_movk_i32 s6, 0x80
	v_and_or_b32 v5, v3, s6, v4
.LBB265_2059:
	s_or_b64 exec, exec, s[8:9]
.LBB265_2060:
	s_or_b64 exec, exec, s[4:5]
	s_mov_b64 s[4:5], 0
	global_store_byte v[0:1], v5, off
.LBB265_2061:
	s_and_b64 vcc, exec, s[4:5]
	s_cbranch_vccz .LBB265_2071
; %bb.2062:
	v_cvt_f32_f16_e32 v3, v2
	s_mov_b32 s4, 0x43f00000
                                        ; implicit-def: $vgpr4
	v_and_b32_e32 v5, 0x7fffffff, v3
	v_cmp_gt_u32_e32 vcc, s4, v5
	s_and_saveexec_b64 s[4:5], vcc
	s_xor_b64 s[4:5], exec, s[4:5]
	s_cbranch_execz .LBB265_2068
; %bb.2063:
	s_mov_b32 s6, 0x3c7fffff
	v_cmp_lt_u32_e32 vcc, s6, v5
                                        ; implicit-def: $vgpr4
	s_and_saveexec_b64 s[6:7], vcc
	s_xor_b64 s[6:7], exec, s[6:7]
; %bb.2064:
	v_bfe_u32 v4, v3, 20, 1
	s_mov_b32 s8, 0x407ffff
	v_add3_u32 v4, v3, v4, s8
	v_lshrrev_b32_e32 v5, 20, v4
	v_and_b32_e32 v4, 0xff00000, v4
	s_mov_b32 s8, 0x7f00000
	v_mov_b32_e32 v6, 0x7e
	v_cmp_ne_u32_e32 vcc, s8, v4
	s_nop 1
	v_cndmask_b32_e32 v4, v6, v5, vcc
; %bb.2065:
	s_andn2_saveexec_b64 s[6:7], s[6:7]
; %bb.2066:
	s_mov_b32 s8, 0x46800000
	v_add_f32_e64 v4, |v3|, s8
; %bb.2067:
	s_or_b64 exec, exec, s[6:7]
                                        ; implicit-def: $vgpr5
.LBB265_2068:
	s_andn2_saveexec_b64 s[4:5], s[4:5]
; %bb.2069:
	s_mov_b32 s6, 0x7f800000
	v_mov_b32_e32 v4, 0x7e
	v_mov_b32_e32 v6, 0x7f
	v_cmp_lt_u32_e32 vcc, s6, v5
	s_nop 1
	v_cndmask_b32_e32 v4, v4, v6, vcc
; %bb.2070:
	s_or_b64 exec, exec, s[4:5]
	v_lshrrev_b32_e32 v3, 24, v3
	s_movk_i32 s4, 0x80
	v_and_or_b32 v3, v3, s4, v4
	global_store_byte v[0:1], v3, off
.LBB265_2071:
	s_mov_b64 s[4:5], 0
.LBB265_2072:
	s_andn2_b64 vcc, exec, s[4:5]
	s_cbranch_vccnz .LBB265_2082
; %bb.2073:
	v_cvt_f32_f16_e32 v3, v2
	s_mov_b32 s4, 0x47800000
                                        ; implicit-def: $vgpr4
	v_and_b32_e32 v5, 0x7fffffff, v3
	v_cmp_gt_u32_e32 vcc, s4, v5
	s_and_saveexec_b64 s[4:5], vcc
	s_xor_b64 s[4:5], exec, s[4:5]
	s_cbranch_execz .LBB265_2079
; %bb.2074:
	s_mov_b32 s6, 0x387fffff
	v_cmp_lt_u32_e32 vcc, s6, v5
                                        ; implicit-def: $vgpr4
	s_and_saveexec_b64 s[6:7], vcc
	s_xor_b64 s[6:7], exec, s[6:7]
; %bb.2075:
	v_bfe_u32 v4, v3, 21, 1
	s_mov_b32 s8, 0x80fffff
	v_add3_u32 v4, v3, v4, s8
	v_lshrrev_b32_e32 v4, 21, v4
; %bb.2076:
	s_andn2_saveexec_b64 s[6:7], s[6:7]
; %bb.2077:
	s_mov_b32 s8, 0x43000000
	v_add_f32_e64 v4, |v3|, s8
; %bb.2078:
	s_or_b64 exec, exec, s[6:7]
                                        ; implicit-def: $vgpr5
.LBB265_2079:
	s_andn2_saveexec_b64 s[4:5], s[4:5]
; %bb.2080:
	s_mov_b32 s6, 0x7f800000
	v_mov_b32_e32 v4, 0x7c
	v_mov_b32_e32 v6, 0x7f
	v_cmp_lt_u32_e32 vcc, s6, v5
	s_nop 1
	v_cndmask_b32_e32 v4, v4, v6, vcc
; %bb.2081:
	s_or_b64 exec, exec, s[4:5]
	v_lshrrev_b32_e32 v3, 24, v3
	s_movk_i32 s4, 0x80
	v_and_or_b32 v3, v3, s4, v4
	global_store_byte v[0:1], v3, off
.LBB265_2082:
	s_mov_b64 s[4:5], 0
.LBB265_2083:
	s_andn2_b64 vcc, exec, s[4:5]
	s_mov_b64 s[4:5], 0
	s_cbranch_vccnz .LBB265_2090
; %bb.2084:
	s_cmp_gt_i32 s12, 14
	s_mov_b64 s[6:7], -1
	s_cbranch_scc0 .LBB265_2088
; %bb.2085:
	s_cmp_eq_u32 s12, 15
	s_mov_b64 s[0:1], -1
	s_cbranch_scc0 .LBB265_2087
; %bb.2086:
	v_cvt_f32_f16_e32 v3, v2
	s_movk_i32 s0, 0x7fff
	v_cmp_o_f16_e32 vcc, v2, v2
	v_mov_b32_e32 v4, 0x7fc0
	v_bfe_u32 v5, v3, 16, 1
	v_add3_u32 v3, v3, v5, s0
	v_cndmask_b32_sdwa v3, v4, v3, vcc dst_sel:DWORD dst_unused:UNUSED_PAD src0_sel:DWORD src1_sel:WORD_1
	global_store_short v[0:1], v3, off
	s_mov_b64 s[0:1], 0
.LBB265_2087:
	s_mov_b64 s[6:7], 0
.LBB265_2088:
	s_and_b64 vcc, exec, s[6:7]
	s_cbranch_vccz .LBB265_2090
; %bb.2089:
	s_cmp_lg_u32 s12, 11
	s_mov_b64 s[4:5], -1
	s_cselect_b64 s[0:1], -1, 0
.LBB265_2090:
	s_and_b64 vcc, exec, s[0:1]
	s_cbranch_vccnz .LBB265_2156
.LBB265_2091:
	s_mov_b64 s[0:1], 0
	s_branch .LBB265_2093
.LBB265_2092:
	s_mov_b64 s[0:1], 0
	s_mov_b64 s[4:5], 0
                                        ; implicit-def: $vgpr0_vgpr1
                                        ; implicit-def: $sgpr14
                                        ; implicit-def: $vgpr2
.LBB265_2093:
	s_and_b64 s[6:7], s[0:1], exec
	s_andn2_b64 s[0:1], s[24:25], exec
	s_and_b64 s[2:3], s[2:3], exec
	s_and_b64 s[40:41], s[4:5], exec
	s_or_b64 s[24:25], s[0:1], s[2:3]
.LBB265_2094:
	s_or_b64 exec, exec, s[26:27]
	s_and_saveexec_b64 s[0:1], s[24:25]
	s_cbranch_execz .LBB265_2097
; %bb.2095:
	; divergent unreachable
	s_or_b64 exec, exec, s[0:1]
	s_and_saveexec_b64 s[0:1], s[40:41]
	s_xor_b64 s[0:1], exec, s[0:1]
	s_cbranch_execnz .LBB265_2098
.LBB265_2096:
	s_or_b64 exec, exec, s[0:1]
	s_and_saveexec_b64 s[0:1], s[6:7]
	s_cbranch_execnz .LBB265_2099
	s_branch .LBB265_2136
.LBB265_2097:
	s_or_b64 exec, exec, s[0:1]
	s_and_saveexec_b64 s[0:1], s[40:41]
	s_xor_b64 s[0:1], exec, s[0:1]
	s_cbranch_execz .LBB265_2096
.LBB265_2098:
	v_cmp_neq_f16_e32 vcc, 0, v2
	s_waitcnt vmcnt(0)
	s_nop 0
	v_cndmask_b32_e64 v3, 0, 1, vcc
	global_store_byte v[0:1], v3, off
	s_or_b64 exec, exec, s[0:1]
	s_and_saveexec_b64 s[0:1], s[6:7]
	s_cbranch_execz .LBB265_2136
.LBB265_2099:
	s_sext_i32_i16 s2, s14
	s_cmp_lt_i32 s2, 5
	s_mov_b64 s[0:1], -1
	s_cbranch_scc1 .LBB265_2120
; %bb.2100:
	s_cmp_lt_i32 s2, 8
	s_cbranch_scc1 .LBB265_2110
; %bb.2101:
	s_cmp_lt_i32 s2, 9
	s_cbranch_scc1 .LBB265_2107
; %bb.2102:
	s_cmp_gt_i32 s2, 9
	s_cbranch_scc0 .LBB265_2104
; %bb.2103:
	s_waitcnt vmcnt(0)
	v_cvt_f32_f16_e32 v3, v2
	v_mov_b32_e32 v6, 0
	v_mov_b32_e32 v7, v6
	s_mov_b64 s[0:1], 0
	v_cvt_f64_f32_e32 v[4:5], v3
	global_store_dwordx4 v[0:1], v[4:7], off
.LBB265_2104:
	s_andn2_b64 vcc, exec, s[0:1]
	s_cbranch_vccnz .LBB265_2106
; %bb.2105:
	v_cvt_f32_f16_e32 v4, v2
	v_mov_b32_e32 v5, 0
	s_waitcnt vmcnt(0)
	global_store_dwordx2 v[0:1], v[4:5], off
.LBB265_2106:
	s_mov_b64 s[0:1], 0
.LBB265_2107:
	s_andn2_b64 vcc, exec, s[0:1]
	s_cbranch_vccnz .LBB265_2109
; %bb.2108:
	s_waitcnt vmcnt(0)
	v_and_b32_e32 v3, 0xffff, v2
	global_store_dword v[0:1], v3, off
.LBB265_2109:
	s_mov_b64 s[0:1], 0
.LBB265_2110:
	s_andn2_b64 vcc, exec, s[0:1]
	s_cbranch_vccnz .LBB265_2119
; %bb.2111:
	s_sext_i32_i16 s2, s14
	s_cmp_lt_i32 s2, 6
	s_mov_b64 s[0:1], -1
	s_cbranch_scc1 .LBB265_2117
; %bb.2112:
	s_cmp_gt_i32 s2, 6
	s_cbranch_scc0 .LBB265_2114
; %bb.2113:
	s_waitcnt vmcnt(0)
	v_cvt_f32_f16_e32 v3, v2
	s_mov_b64 s[0:1], 0
	v_cvt_f64_f32_e32 v[4:5], v3
	global_store_dwordx2 v[0:1], v[4:5], off
.LBB265_2114:
	s_andn2_b64 vcc, exec, s[0:1]
	s_cbranch_vccnz .LBB265_2116
; %bb.2115:
	s_waitcnt vmcnt(0)
	v_cvt_f32_f16_e32 v3, v2
	global_store_dword v[0:1], v3, off
.LBB265_2116:
	s_mov_b64 s[0:1], 0
.LBB265_2117:
	s_andn2_b64 vcc, exec, s[0:1]
	s_cbranch_vccnz .LBB265_2119
; %bb.2118:
	s_waitcnt vmcnt(0)
	global_store_short v[0:1], v2, off
.LBB265_2119:
	s_mov_b64 s[0:1], 0
.LBB265_2120:
	s_andn2_b64 vcc, exec, s[0:1]
	s_cbranch_vccnz .LBB265_2136
; %bb.2121:
	s_sext_i32_i16 s2, s14
	s_cmp_lt_i32 s2, 2
	s_mov_b64 s[0:1], -1
	s_cbranch_scc1 .LBB265_2131
; %bb.2122:
	s_cmp_lt_i32 s2, 3
	s_cbranch_scc1 .LBB265_2128
; %bb.2123:
	s_cmp_gt_i32 s2, 3
	s_cbranch_scc0 .LBB265_2125
; %bb.2124:
	s_waitcnt vmcnt(0)
	v_cvt_f32_f16_e32 v3, v2
	s_mov_b64 s[0:1], 0
	v_cvt_i32_f32_e32 v4, v3
	v_ashrrev_i32_e32 v5, 31, v4
	global_store_dwordx2 v[0:1], v[4:5], off
.LBB265_2125:
	s_andn2_b64 vcc, exec, s[0:1]
	s_cbranch_vccnz .LBB265_2127
; %bb.2126:
	s_waitcnt vmcnt(0)
	v_cvt_f32_f16_e32 v3, v2
	v_cvt_i32_f32_e32 v3, v3
	global_store_dword v[0:1], v3, off
.LBB265_2127:
	s_mov_b64 s[0:1], 0
.LBB265_2128:
	s_andn2_b64 vcc, exec, s[0:1]
	s_cbranch_vccnz .LBB265_2130
; %bb.2129:
	s_waitcnt vmcnt(0)
	v_cvt_i16_f16_e32 v3, v2
	global_store_short v[0:1], v3, off
.LBB265_2130:
	s_mov_b64 s[0:1], 0
.LBB265_2131:
	s_andn2_b64 vcc, exec, s[0:1]
	s_cbranch_vccnz .LBB265_2136
; %bb.2132:
	s_sext_i32_i16 s0, s14
	s_cmp_gt_i32 s0, 0
	s_mov_b64 s[0:1], -1
	s_cbranch_scc0 .LBB265_2134
; %bb.2133:
	s_waitcnt vmcnt(0)
	v_cvt_i16_f16_e32 v3, v2
	global_store_byte v[0:1], v3, off
	s_mov_b64 s[0:1], 0
.LBB265_2134:
	s_andn2_b64 vcc, exec, s[0:1]
	s_cbranch_vccnz .LBB265_2136
; %bb.2135:
	v_cvt_f32_f16_e32 v2, v2
	v_cvt_i32_f32_e32 v2, v2
	s_waitcnt vmcnt(0)
	global_store_byte v[0:1], v2, off
	s_endpgm
.LBB265_2136:
	s_endpgm
.LBB265_2137:
	s_mov_b64 s[4:5], 0
	s_mov_b64 s[0:1], -1
	s_branch .LBB265_2093
.LBB265_2138:
	s_trap 2
	s_or_b64 s[2:3], s[2:3], exec
	s_cbranch_execz .LBB265_1607
	s_branch .LBB265_1608
.LBB265_2139:
	s_andn2_saveexec_b64 s[12:13], s[12:13]
	s_cbranch_execz .LBB265_1687
.LBB265_2140:
	s_mov_b32 s17, 0x46000000
	v_add_f32_e64 v8, |v5|, s17
	v_and_b32_e32 v8, 0xff, v8
	v_cmp_ne_u32_e32 vcc, 0, v8
	s_andn2_b64 s[10:11], s[10:11], exec
	s_and_b64 s[18:19], vcc, exec
	s_or_b64 s[10:11], s[10:11], s[18:19]
	s_or_b64 exec, exec, s[12:13]
	v_mov_b32_e32 v9, 0
	s_and_saveexec_b64 s[12:13], s[10:11]
	s_cbranch_execnz .LBB265_1688
	s_branch .LBB265_1689
.LBB265_2141:
	s_trap 2
	s_or_b64 s[2:3], s[2:3], exec
	s_cbranch_execz .LBB265_1735
	s_branch .LBB265_1736
.LBB265_2142:
	s_andn2_saveexec_b64 s[10:11], s[10:11]
	s_cbranch_execz .LBB265_1700
.LBB265_2143:
	s_mov_b32 s12, 0x42800000
	v_add_f32_e64 v8, |v5|, s12
	v_and_b32_e32 v8, 0xff, v8
	v_cmp_ne_u32_e32 vcc, 0, v8
	s_andn2_b64 s[8:9], s[8:9], exec
	s_and_b64 s[12:13], vcc, exec
	s_or_b64 s[8:9], s[8:9], s[12:13]
	s_or_b64 exec, exec, s[10:11]
	v_mov_b32_e32 v9, 0
	s_and_saveexec_b64 s[10:11], s[8:9]
	s_cbranch_execnz .LBB265_1701
	s_branch .LBB265_1702
.LBB265_2144:
	s_andn2_saveexec_b64 s[12:13], s[12:13]
	s_cbranch_execz .LBB265_1806
.LBB265_2145:
	s_mov_b32 s16, 0x46000000
	v_add_f32_e64 v6, |v3|, s16
	v_and_b32_e32 v6, 0xff, v6
	v_cmp_ne_u32_e32 vcc, 0, v6
	s_andn2_b64 s[10:11], s[10:11], exec
	s_and_b64 s[16:17], vcc, exec
	s_or_b64 s[10:11], s[10:11], s[16:17]
	s_or_b64 exec, exec, s[12:13]
	v_mov_b32_e32 v7, 0
	s_and_saveexec_b64 s[12:13], s[10:11]
	s_cbranch_execnz .LBB265_1807
	s_branch .LBB265_1808
.LBB265_2146:
	s_trap 2
	s_or_b64 s[2:3], s[2:3], exec
	s_cbranch_execz .LBB265_1854
	s_branch .LBB265_1855
.LBB265_2147:
	s_andn2_saveexec_b64 s[10:11], s[10:11]
	s_cbranch_execz .LBB265_1819
.LBB265_2148:
	s_mov_b32 s12, 0x42800000
	v_add_f32_e64 v6, |v3|, s12
	v_and_b32_e32 v6, 0xff, v6
	v_cmp_ne_u32_e32 vcc, 0, v6
	s_andn2_b64 s[8:9], s[8:9], exec
	s_and_b64 s[12:13], vcc, exec
	s_or_b64 s[8:9], s[8:9], s[12:13]
	s_or_b64 exec, exec, s[10:11]
	v_mov_b32_e32 v7, 0
	s_and_saveexec_b64 s[10:11], s[8:9]
	s_cbranch_execnz .LBB265_1820
	s_branch .LBB265_1821
.LBB265_2149:
	s_andn2_saveexec_b64 s[12:13], s[12:13]
	s_cbranch_execz .LBB265_1925
.LBB265_2150:
	s_mov_b32 s16, 0x46000000
	v_add_f32_e64 v5, |v4|, s16
	v_and_b32_e32 v5, 0xff, v5
	v_cmp_ne_u32_e32 vcc, 0, v5
	s_andn2_b64 s[10:11], s[10:11], exec
	s_and_b64 s[16:17], vcc, exec
	s_or_b64 s[10:11], s[10:11], s[16:17]
	s_or_b64 exec, exec, s[12:13]
	v_mov_b32_e32 v6, 0
	s_and_saveexec_b64 s[12:13], s[10:11]
	s_cbranch_execnz .LBB265_1926
	s_branch .LBB265_1927
.LBB265_2151:
	s_trap 2
	s_or_b64 s[2:3], s[2:3], exec
	s_cbranch_execz .LBB265_1973
	s_branch .LBB265_1974
.LBB265_2152:
	s_andn2_saveexec_b64 s[10:11], s[10:11]
	s_cbranch_execz .LBB265_1938
.LBB265_2153:
	s_mov_b32 s12, 0x42800000
	v_add_f32_e64 v5, |v4|, s12
	v_and_b32_e32 v5, 0xff, v5
	v_cmp_ne_u32_e32 vcc, 0, v5
	s_andn2_b64 s[8:9], s[8:9], exec
	s_and_b64 s[12:13], vcc, exec
	s_or_b64 s[8:9], s[8:9], s[12:13]
	s_or_b64 exec, exec, s[10:11]
	v_mov_b32_e32 v6, 0
	s_and_saveexec_b64 s[10:11], s[8:9]
	s_cbranch_execnz .LBB265_1939
	s_branch .LBB265_1940
.LBB265_2154:
	s_andn2_saveexec_b64 s[10:11], s[10:11]
	s_cbranch_execz .LBB265_2045
.LBB265_2155:
	s_mov_b32 s13, 0x46000000
	v_add_f32_e64 v4, |v3|, s13
	v_and_b32_e32 v4, 0xff, v4
	v_cmp_ne_u32_e32 vcc, 0, v4
	s_andn2_b64 s[8:9], s[8:9], exec
	s_and_b64 s[16:17], vcc, exec
	s_or_b64 s[8:9], s[8:9], s[16:17]
	s_or_b64 exec, exec, s[10:11]
	v_mov_b32_e32 v5, 0
	s_and_saveexec_b64 s[10:11], s[8:9]
	s_cbranch_execnz .LBB265_2046
	s_branch .LBB265_2047
.LBB265_2156:
	s_mov_b64 s[4:5], 0
	s_or_b64 s[2:3], s[2:3], exec
	s_trap 2
	s_branch .LBB265_2091
.LBB265_2157:
	s_andn2_saveexec_b64 s[8:9], s[8:9]
	s_cbranch_execz .LBB265_2057
.LBB265_2158:
	s_mov_b32 s10, 0x42800000
	v_add_f32_e64 v4, |v3|, s10
	v_and_b32_e32 v4, 0xff, v4
	v_cmp_ne_u32_e32 vcc, 0, v4
	s_andn2_b64 s[6:7], s[6:7], exec
	s_and_b64 s[10:11], vcc, exec
	s_or_b64 s[6:7], s[6:7], s[10:11]
	s_or_b64 exec, exec, s[8:9]
	v_mov_b32_e32 v5, 0
	s_and_saveexec_b64 s[8:9], s[6:7]
	s_cbranch_execnz .LBB265_2058
	s_branch .LBB265_2059
	.section	.rodata,"a",@progbits
	.p2align	6, 0x0
	.amdhsa_kernel _ZN2at6native32elementwise_kernel_manual_unrollILi128ELi4EZNS0_15gpu_kernel_implIZZZNS0_16sqrt_kernel_cudaERNS_18TensorIteratorBaseEENKUlvE0_clEvENKUlvE1_clEvEUlN3c104HalfEE_EEvS4_RKT_EUlibE0_EEviT1_
		.amdhsa_group_segment_fixed_size 0
		.amdhsa_private_segment_fixed_size 0
		.amdhsa_kernarg_size 360
		.amdhsa_user_sgpr_count 2
		.amdhsa_user_sgpr_dispatch_ptr 0
		.amdhsa_user_sgpr_queue_ptr 0
		.amdhsa_user_sgpr_kernarg_segment_ptr 1
		.amdhsa_user_sgpr_dispatch_id 0
		.amdhsa_user_sgpr_kernarg_preload_length 0
		.amdhsa_user_sgpr_kernarg_preload_offset 0
		.amdhsa_user_sgpr_private_segment_size 0
		.amdhsa_uses_dynamic_stack 0
		.amdhsa_enable_private_segment 0
		.amdhsa_system_sgpr_workgroup_id_x 1
		.amdhsa_system_sgpr_workgroup_id_y 0
		.amdhsa_system_sgpr_workgroup_id_z 0
		.amdhsa_system_sgpr_workgroup_info 0
		.amdhsa_system_vgpr_workitem_id 0
		.amdhsa_next_free_vgpr 18
		.amdhsa_next_free_sgpr 78
		.amdhsa_accum_offset 20
		.amdhsa_reserve_vcc 1
		.amdhsa_float_round_mode_32 0
		.amdhsa_float_round_mode_16_64 0
		.amdhsa_float_denorm_mode_32 3
		.amdhsa_float_denorm_mode_16_64 3
		.amdhsa_dx10_clamp 1
		.amdhsa_ieee_mode 1
		.amdhsa_fp16_overflow 0
		.amdhsa_tg_split 0
		.amdhsa_exception_fp_ieee_invalid_op 0
		.amdhsa_exception_fp_denorm_src 0
		.amdhsa_exception_fp_ieee_div_zero 0
		.amdhsa_exception_fp_ieee_overflow 0
		.amdhsa_exception_fp_ieee_underflow 0
		.amdhsa_exception_fp_ieee_inexact 0
		.amdhsa_exception_int_div_zero 0
	.end_amdhsa_kernel
	.section	.text._ZN2at6native32elementwise_kernel_manual_unrollILi128ELi4EZNS0_15gpu_kernel_implIZZZNS0_16sqrt_kernel_cudaERNS_18TensorIteratorBaseEENKUlvE0_clEvENKUlvE1_clEvEUlN3c104HalfEE_EEvS4_RKT_EUlibE0_EEviT1_,"axG",@progbits,_ZN2at6native32elementwise_kernel_manual_unrollILi128ELi4EZNS0_15gpu_kernel_implIZZZNS0_16sqrt_kernel_cudaERNS_18TensorIteratorBaseEENKUlvE0_clEvENKUlvE1_clEvEUlN3c104HalfEE_EEvS4_RKT_EUlibE0_EEviT1_,comdat
.Lfunc_end265:
	.size	_ZN2at6native32elementwise_kernel_manual_unrollILi128ELi4EZNS0_15gpu_kernel_implIZZZNS0_16sqrt_kernel_cudaERNS_18TensorIteratorBaseEENKUlvE0_clEvENKUlvE1_clEvEUlN3c104HalfEE_EEvS4_RKT_EUlibE0_EEviT1_, .Lfunc_end265-_ZN2at6native32elementwise_kernel_manual_unrollILi128ELi4EZNS0_15gpu_kernel_implIZZZNS0_16sqrt_kernel_cudaERNS_18TensorIteratorBaseEENKUlvE0_clEvENKUlvE1_clEvEUlN3c104HalfEE_EEvS4_RKT_EUlibE0_EEviT1_
                                        ; -- End function
	.set _ZN2at6native32elementwise_kernel_manual_unrollILi128ELi4EZNS0_15gpu_kernel_implIZZZNS0_16sqrt_kernel_cudaERNS_18TensorIteratorBaseEENKUlvE0_clEvENKUlvE1_clEvEUlN3c104HalfEE_EEvS4_RKT_EUlibE0_EEviT1_.num_vgpr, 18
	.set _ZN2at6native32elementwise_kernel_manual_unrollILi128ELi4EZNS0_15gpu_kernel_implIZZZNS0_16sqrt_kernel_cudaERNS_18TensorIteratorBaseEENKUlvE0_clEvENKUlvE1_clEvEUlN3c104HalfEE_EEvS4_RKT_EUlibE0_EEviT1_.num_agpr, 0
	.set _ZN2at6native32elementwise_kernel_manual_unrollILi128ELi4EZNS0_15gpu_kernel_implIZZZNS0_16sqrt_kernel_cudaERNS_18TensorIteratorBaseEENKUlvE0_clEvENKUlvE1_clEvEUlN3c104HalfEE_EEvS4_RKT_EUlibE0_EEviT1_.numbered_sgpr, 78
	.set _ZN2at6native32elementwise_kernel_manual_unrollILi128ELi4EZNS0_15gpu_kernel_implIZZZNS0_16sqrt_kernel_cudaERNS_18TensorIteratorBaseEENKUlvE0_clEvENKUlvE1_clEvEUlN3c104HalfEE_EEvS4_RKT_EUlibE0_EEviT1_.num_named_barrier, 0
	.set _ZN2at6native32elementwise_kernel_manual_unrollILi128ELi4EZNS0_15gpu_kernel_implIZZZNS0_16sqrt_kernel_cudaERNS_18TensorIteratorBaseEENKUlvE0_clEvENKUlvE1_clEvEUlN3c104HalfEE_EEvS4_RKT_EUlibE0_EEviT1_.private_seg_size, 0
	.set _ZN2at6native32elementwise_kernel_manual_unrollILi128ELi4EZNS0_15gpu_kernel_implIZZZNS0_16sqrt_kernel_cudaERNS_18TensorIteratorBaseEENKUlvE0_clEvENKUlvE1_clEvEUlN3c104HalfEE_EEvS4_RKT_EUlibE0_EEviT1_.uses_vcc, 1
	.set _ZN2at6native32elementwise_kernel_manual_unrollILi128ELi4EZNS0_15gpu_kernel_implIZZZNS0_16sqrt_kernel_cudaERNS_18TensorIteratorBaseEENKUlvE0_clEvENKUlvE1_clEvEUlN3c104HalfEE_EEvS4_RKT_EUlibE0_EEviT1_.uses_flat_scratch, 0
	.set _ZN2at6native32elementwise_kernel_manual_unrollILi128ELi4EZNS0_15gpu_kernel_implIZZZNS0_16sqrt_kernel_cudaERNS_18TensorIteratorBaseEENKUlvE0_clEvENKUlvE1_clEvEUlN3c104HalfEE_EEvS4_RKT_EUlibE0_EEviT1_.has_dyn_sized_stack, 0
	.set _ZN2at6native32elementwise_kernel_manual_unrollILi128ELi4EZNS0_15gpu_kernel_implIZZZNS0_16sqrt_kernel_cudaERNS_18TensorIteratorBaseEENKUlvE0_clEvENKUlvE1_clEvEUlN3c104HalfEE_EEvS4_RKT_EUlibE0_EEviT1_.has_recursion, 0
	.set _ZN2at6native32elementwise_kernel_manual_unrollILi128ELi4EZNS0_15gpu_kernel_implIZZZNS0_16sqrt_kernel_cudaERNS_18TensorIteratorBaseEENKUlvE0_clEvENKUlvE1_clEvEUlN3c104HalfEE_EEvS4_RKT_EUlibE0_EEviT1_.has_indirect_call, 0
	.section	.AMDGPU.csdata,"",@progbits
; Kernel info:
; codeLenInByte = 42464
; TotalNumSgprs: 84
; NumVgprs: 18
; NumAgprs: 0
; TotalNumVgprs: 18
; ScratchSize: 0
; MemoryBound: 0
; FloatMode: 240
; IeeeMode: 1
; LDSByteSize: 0 bytes/workgroup (compile time only)
; SGPRBlocks: 10
; VGPRBlocks: 2
; NumSGPRsForWavesPerEU: 84
; NumVGPRsForWavesPerEU: 18
; AccumOffset: 20
; Occupancy: 8
; WaveLimiterHint : 1
; COMPUTE_PGM_RSRC2:SCRATCH_EN: 0
; COMPUTE_PGM_RSRC2:USER_SGPR: 2
; COMPUTE_PGM_RSRC2:TRAP_HANDLER: 0
; COMPUTE_PGM_RSRC2:TGID_X_EN: 1
; COMPUTE_PGM_RSRC2:TGID_Y_EN: 0
; COMPUTE_PGM_RSRC2:TGID_Z_EN: 0
; COMPUTE_PGM_RSRC2:TIDIG_COMP_CNT: 0
; COMPUTE_PGM_RSRC3_GFX90A:ACCUM_OFFSET: 4
; COMPUTE_PGM_RSRC3_GFX90A:TG_SPLIT: 0
	.section	.text._ZN2at6native29vectorized_elementwise_kernelILi16EZZZNS0_16sqrt_kernel_cudaERNS_18TensorIteratorBaseEENKUlvE0_clEvENKUlvE2_clEvEUlN3c108BFloat16EE_St5arrayIPcLm2EEEEviT0_T1_,"axG",@progbits,_ZN2at6native29vectorized_elementwise_kernelILi16EZZZNS0_16sqrt_kernel_cudaERNS_18TensorIteratorBaseEENKUlvE0_clEvENKUlvE2_clEvEUlN3c108BFloat16EE_St5arrayIPcLm2EEEEviT0_T1_,comdat
	.globl	_ZN2at6native29vectorized_elementwise_kernelILi16EZZZNS0_16sqrt_kernel_cudaERNS_18TensorIteratorBaseEENKUlvE0_clEvENKUlvE2_clEvEUlN3c108BFloat16EE_St5arrayIPcLm2EEEEviT0_T1_ ; -- Begin function _ZN2at6native29vectorized_elementwise_kernelILi16EZZZNS0_16sqrt_kernel_cudaERNS_18TensorIteratorBaseEENKUlvE0_clEvENKUlvE2_clEvEUlN3c108BFloat16EE_St5arrayIPcLm2EEEEviT0_T1_
	.p2align	8
	.type	_ZN2at6native29vectorized_elementwise_kernelILi16EZZZNS0_16sqrt_kernel_cudaERNS_18TensorIteratorBaseEENKUlvE0_clEvENKUlvE2_clEvEUlN3c108BFloat16EE_St5arrayIPcLm2EEEEviT0_T1_,@function
_ZN2at6native29vectorized_elementwise_kernelILi16EZZZNS0_16sqrt_kernel_cudaERNS_18TensorIteratorBaseEENKUlvE0_clEvENKUlvE2_clEvEUlN3c108BFloat16EE_St5arrayIPcLm2EEEEviT0_T1_: ; @_ZN2at6native29vectorized_elementwise_kernelILi16EZZZNS0_16sqrt_kernel_cudaERNS_18TensorIteratorBaseEENKUlvE0_clEvENKUlvE2_clEvEUlN3c108BFloat16EE_St5arrayIPcLm2EEEEviT0_T1_
; %bb.0:
	s_load_dword s3, s[0:1], 0x0
	s_load_dwordx4 s[8:11], s[0:1], 0x8
	s_lshl_b32 s12, s2, 11
	s_mov_b64 s[0:1], -1
	s_waitcnt lgkmcnt(0)
	s_sub_i32 s16, s3, s12
	s_cmpk_gt_i32 s16, 0x7ff
	s_cbranch_scc0 .LBB266_2
; %bb.1:
	s_ashr_i32 s13, s12, 31
	s_lshl_b64 s[0:1], s[12:13], 1
	s_add_u32 s2, s10, s0
	s_addc_u32 s3, s11, s1
	v_lshlrev_b32_e32 v1, 4, v0
	global_load_dwordx4 v[2:5], v1, s[2:3]
	s_mov_b32 s13, 0xf800000
	s_add_u32 s14, s8, s0
	s_addc_u32 s15, s9, s1
	v_mov_b32_e32 v6, 0x260
	s_movk_i32 s17, 0x7fff
	v_mov_b32_e32 v7, 0x7fc0
	s_waitcnt vmcnt(0)
	v_and_b32_e32 v9, 0xffff0000, v2
	v_lshlrev_b32_e32 v2, 16, v2
	v_mul_f32_e32 v11, 0x4f800000, v2
	v_cmp_gt_f32_e32 vcc, s13, v2
	v_and_b32_e32 v8, 0xffff0000, v3
	v_lshlrev_b32_e32 v3, 16, v3
	v_mul_f32_e32 v12, 0x4f800000, v9
	v_cndmask_b32_e32 v11, v2, v11, vcc
	v_cmp_gt_f32_e64 s[0:1], s13, v9
	v_mul_f32_e32 v13, 0x4f800000, v3
	v_cmp_gt_f32_e64 s[2:3], s13, v3
	v_cndmask_b32_e64 v12, v9, v12, s[0:1]
	v_sqrt_f32_e32 v16, v11
	v_mul_f32_e32 v14, 0x4f800000, v8
	v_cndmask_b32_e64 v13, v3, v13, s[2:3]
	v_cmp_gt_f32_e64 s[4:5], s13, v8
	v_sqrt_f32_e32 v17, v12
	v_sqrt_f32_e32 v18, v13
	v_cndmask_b32_e64 v14, v8, v14, s[4:5]
	v_sqrt_f32_e32 v19, v14
	v_add_u32_e32 v20, -1, v16
	v_add_u32_e32 v22, -1, v17
	v_fma_f32 v28, -v20, v16, v11
	v_add_u32_e32 v21, 1, v16
	v_add_u32_e32 v24, -1, v18
	v_fma_f32 v30, -v22, v17, v12
	v_cmp_ge_f32_e64 s[6:7], 0, v28
	v_add_u32_e32 v23, 1, v17
	v_add_u32_e32 v26, -1, v19
	v_fma_f32 v29, -v21, v16, v11
	v_fma_f32 v32, -v24, v18, v13
	v_cndmask_b32_e64 v16, v16, v20, s[6:7]
	v_cmp_ge_f32_e64 s[6:7], 0, v30
	v_add_u32_e32 v25, 1, v18
	v_fma_f32 v31, -v23, v17, v12
	v_fma_f32 v34, -v26, v19, v14
	v_cndmask_b32_e64 v17, v17, v22, s[6:7]
	v_cmp_ge_f32_e64 s[6:7], 0, v32
	v_add_u32_e32 v27, 1, v19
	v_fma_f32 v33, -v25, v18, v13
	v_cndmask_b32_e64 v18, v18, v24, s[6:7]
	v_cmp_ge_f32_e64 s[6:7], 0, v34
	v_fma_f32 v35, -v27, v19, v14
	v_lshlrev_b32_e32 v10, 16, v4
	v_cndmask_b32_e64 v19, v19, v26, s[6:7]
	v_cmp_lt_f32_e64 s[6:7], 0, v29
	v_mul_f32_e32 v15, 0x4f800000, v10
	v_and_b32_e32 v4, 0xffff0000, v4
	v_cndmask_b32_e64 v16, v16, v21, s[6:7]
	v_cmp_lt_f32_e64 s[6:7], 0, v31
	v_mul_f32_e32 v20, 0x37800000, v16
	v_cndmask_b32_e32 v16, v16, v20, vcc
	v_cndmask_b32_e64 v17, v17, v23, s[6:7]
	v_cmp_lt_f32_e64 s[6:7], 0, v33
	v_mul_f32_e32 v21, 0x37800000, v17
	v_cmp_class_f32_e32 vcc, v11, v6
	v_cndmask_b32_e64 v18, v18, v25, s[6:7]
	v_cmp_lt_f32_e64 s[6:7], 0, v35
	v_mul_f32_e32 v22, 0x37800000, v18
	v_cndmask_b32_e64 v17, v17, v21, s[0:1]
	v_cndmask_b32_e64 v19, v19, v27, s[6:7]
	v_cndmask_b32_e32 v11, v16, v11, vcc
	v_cmp_class_f32_e32 vcc, v12, v6
	v_mul_f32_e32 v23, 0x37800000, v19
	v_cndmask_b32_e64 v18, v18, v22, s[2:3]
	v_cndmask_b32_e32 v12, v17, v12, vcc
	v_cmp_class_f32_e32 vcc, v13, v6
	v_cndmask_b32_e64 v19, v19, v23, s[4:5]
	v_bfe_u32 v16, v12, 16, 1
	v_cndmask_b32_e32 v13, v18, v13, vcc
	v_cmp_class_f32_e32 vcc, v14, v6
	v_bfe_u32 v17, v11, 16, 1
	v_add3_u32 v12, v12, v16, s17
	v_cndmask_b32_e32 v14, v19, v14, vcc
	v_bfe_u32 v18, v14, 16, 1
	v_add3_u32 v11, v11, v17, s17
	v_lshrrev_b32_e32 v12, 16, v12
	v_cmp_le_f32_e32 vcc, 0, v9
	v_bfe_u32 v19, v13, 16, 1
	v_add3_u32 v14, v14, v18, s17
	v_lshrrev_b32_e32 v11, 16, v11
	v_cndmask_b32_e32 v9, v7, v12, vcc
	v_cmp_le_f32_e32 vcc, 0, v2
	v_add3_u32 v13, v13, v19, s17
	v_lshrrev_b32_e32 v14, 16, v14
	v_cndmask_b32_e32 v2, v7, v11, vcc
	v_cmp_le_f32_e32 vcc, 0, v8
	v_lshrrev_b32_e32 v13, 16, v13
	s_nop 0
	v_cndmask_b32_e32 v8, v7, v14, vcc
	v_cmp_le_f32_e32 vcc, 0, v3
	s_nop 1
	v_cndmask_b32_e32 v3, v7, v13, vcc
	v_cmp_gt_f32_e32 vcc, s13, v10
	v_and_b32_e32 v13, 0xffff0000, v5
	v_lshlrev_b32_e32 v5, 16, v5
	v_cndmask_b32_e32 v11, v10, v15, vcc
	v_sqrt_f32_e32 v12, v11
	s_nop 0
	v_add_u32_e32 v14, -1, v12
	v_fma_f32 v15, -v14, v12, v11
	v_cmp_ge_f32_e64 s[0:1], 0, v15
	v_add_u32_e32 v15, 1, v12
	s_nop 0
	v_cndmask_b32_e64 v14, v12, v14, s[0:1]
	v_fma_f32 v12, -v15, v12, v11
	v_cmp_lt_f32_e64 s[0:1], 0, v12
	s_nop 1
	v_cndmask_b32_e64 v12, v14, v15, s[0:1]
	v_mul_f32_e32 v15, 0x4f800000, v4
	v_cmp_gt_f32_e64 s[0:1], s13, v4
	v_mul_f32_e32 v14, 0x37800000, v12
	v_cndmask_b32_e32 v12, v12, v14, vcc
	v_cndmask_b32_e64 v15, v4, v15, s[0:1]
	v_sqrt_f32_e32 v16, v15
	v_cmp_class_f32_e32 vcc, v11, v6
	s_nop 1
	v_cndmask_b32_e32 v11, v12, v11, vcc
	v_add_u32_e32 v12, -1, v16
	v_fma_f32 v14, -v12, v16, v15
	v_cmp_ge_f32_e32 vcc, 0, v14
	v_add_u32_e32 v14, 1, v16
	s_nop 0
	v_cndmask_b32_e32 v12, v16, v12, vcc
	v_fma_f32 v16, -v14, v16, v15
	v_cmp_lt_f32_e32 vcc, 0, v16
	v_mul_f32_e32 v16, 0x4f800000, v5
	s_nop 0
	v_cndmask_b32_e32 v12, v12, v14, vcc
	v_cmp_gt_f32_e32 vcc, s13, v5
	v_mul_f32_e32 v14, 0x37800000, v12
	v_cndmask_b32_e64 v12, v12, v14, s[0:1]
	v_cndmask_b32_e32 v16, v5, v16, vcc
	v_sqrt_f32_e32 v17, v16
	v_cmp_class_f32_e64 s[0:1], v15, v6
	v_add_u32_e32 v14, -1, v17
	s_nop 0
	v_cndmask_b32_e64 v12, v12, v15, s[0:1]
	v_fma_f32 v15, -v14, v17, v16
	v_cmp_ge_f32_e64 s[0:1], 0, v15
	v_add_u32_e32 v15, 1, v17
	s_nop 0
	v_cndmask_b32_e64 v14, v17, v14, s[0:1]
	v_fma_f32 v17, -v15, v17, v16
	v_cmp_lt_f32_e64 s[0:1], 0, v17
	v_mul_f32_e32 v17, 0x4f800000, v13
	s_nop 0
	v_cndmask_b32_e64 v14, v14, v15, s[0:1]
	v_cmp_gt_f32_e64 s[0:1], s13, v13
	v_mul_f32_e32 v15, 0x37800000, v14
	v_cndmask_b32_e32 v14, v14, v15, vcc
	v_cndmask_b32_e64 v17, v13, v17, s[0:1]
	v_sqrt_f32_e32 v18, v17
	v_cmp_class_f32_e32 vcc, v16, v6
	v_add_u32_e32 v15, -1, v18
	s_nop 0
	v_cndmask_b32_e32 v14, v14, v16, vcc
	v_fma_f32 v16, -v15, v18, v17
	v_cmp_ge_f32_e32 vcc, 0, v16
	v_add_u32_e32 v16, 1, v18
	s_nop 0
	v_cndmask_b32_e32 v15, v18, v15, vcc
	v_fma_f32 v18, -v16, v18, v17
	v_cmp_lt_f32_e32 vcc, 0, v18
	v_bfe_u32 v18, v14, 16, 1
	v_add3_u32 v14, v14, v18, s17
	v_cndmask_b32_e32 v15, v15, v16, vcc
	v_mul_f32_e32 v16, 0x37800000, v15
	v_cndmask_b32_e64 v15, v15, v16, s[0:1]
	v_cmp_class_f32_e32 vcc, v17, v6
	v_bfe_u32 v16, v11, 16, 1
	v_add3_u32 v11, v11, v16, s17
	v_cndmask_b32_e32 v6, v15, v17, vcc
	v_bfe_u32 v15, v12, 16, 1
	v_add3_u32 v12, v12, v15, s17
	v_cmp_le_f32_e32 vcc, 0, v4
	v_bfe_u32 v17, v6, 16, 1
	v_add3_u32 v6, v6, v17, s17
	v_cndmask_b32_sdwa v4, v7, v12, vcc dst_sel:DWORD dst_unused:UNUSED_PAD src0_sel:DWORD src1_sel:WORD_1
	v_cmp_le_f32_e32 vcc, 0, v10
	s_mov_b32 s0, 0x5040100
	v_perm_b32 v3, v8, v3, s0
	v_cndmask_b32_sdwa v10, v7, v11, vcc dst_sel:DWORD dst_unused:UNUSED_PAD src0_sel:DWORD src1_sel:WORD_1
	v_cmp_le_f32_e32 vcc, 0, v13
	v_perm_b32 v4, v4, v10, s0
	v_perm_b32 v2, v9, v2, s0
	v_cndmask_b32_sdwa v6, v7, v6, vcc dst_sel:DWORD dst_unused:UNUSED_PAD src0_sel:DWORD src1_sel:WORD_1
	v_cmp_le_f32_e32 vcc, 0, v5
	s_nop 1
	v_cndmask_b32_sdwa v5, v7, v14, vcc dst_sel:DWORD dst_unused:UNUSED_PAD src0_sel:DWORD src1_sel:WORD_1
	v_perm_b32 v5, v6, v5, s0
	global_store_dwordx4 v1, v[2:5], s[14:15]
	s_mov_b64 s[0:1], 0
.LBB266_2:
	s_andn2_b64 vcc, exec, s[0:1]
	s_cbranch_vccnz .LBB266_41
; %bb.3:
	v_cmp_gt_i32_e64 s[0:1], s16, v0
	v_mov_b32_e32 v10, 0
	v_or_b32_e32 v2, s12, v0
	v_mov_b32_e32 v6, 0
	v_mov_b32_e32 v5, v0
	s_and_saveexec_b64 s[2:3], s[0:1]
	s_cbranch_execz .LBB266_5
; %bb.4:
	v_mov_b32_e32 v3, 0
	v_lshl_add_u64 v[4:5], v[2:3], 1, s[10:11]
	global_load_ushort v1, v[4:5], off
	v_or_b32_e32 v5, 0x100, v0
	s_waitcnt vmcnt(0)
	v_lshlrev_b32_e32 v6, 16, v1
.LBB266_5:
	s_or_b64 exec, exec, s[2:3]
	v_cmp_gt_i32_e32 vcc, s16, v5
	s_and_saveexec_b64 s[2:3], vcc
	s_cbranch_execz .LBB266_7
; %bb.6:
	v_add_u32_e32 v8, s12, v5
	v_mov_b32_e32 v9, 0
	v_lshl_add_u64 v[8:9], v[8:9], 1, s[10:11]
	global_load_ushort v1, v[8:9], off
	v_add_u32_e32 v5, 0x100, v5
	s_waitcnt vmcnt(0)
	v_lshlrev_b32_e32 v10, 16, v1
.LBB266_7:
	s_or_b64 exec, exec, s[2:3]
	v_cmp_gt_i32_e32 vcc, s16, v5
	v_mov_b32_e32 v7, 0
	v_mov_b32_e32 v11, 0
	s_and_saveexec_b64 s[2:3], vcc
	s_cbranch_execz .LBB266_9
; %bb.8:
	v_add_u32_e32 v8, s12, v5
	v_mov_b32_e32 v9, 0
	v_lshl_add_u64 v[8:9], v[8:9], 1, s[10:11]
	global_load_ushort v1, v[8:9], off
	v_add_u32_e32 v5, 0x100, v5
	s_waitcnt vmcnt(0)
	v_lshlrev_b32_e32 v11, 16, v1
.LBB266_9:
	s_or_b64 exec, exec, s[2:3]
	v_cmp_gt_i32_e32 vcc, s16, v5
	s_and_saveexec_b64 s[2:3], vcc
	s_cbranch_execz .LBB266_11
; %bb.10:
	v_add_u32_e32 v8, s12, v5
	v_mov_b32_e32 v9, 0
	v_lshl_add_u64 v[8:9], v[8:9], 1, s[10:11]
	global_load_ushort v1, v[8:9], off
	v_add_u32_e32 v5, 0x100, v5
	s_waitcnt vmcnt(0)
	v_lshlrev_b32_e32 v7, 16, v1
.LBB266_11:
	s_or_b64 exec, exec, s[2:3]
	v_cmp_gt_i32_e32 vcc, s16, v5
	v_mov_b32_e32 v3, 0
	v_mov_b32_e32 v9, 0
	s_and_saveexec_b64 s[2:3], vcc
	s_cbranch_execz .LBB266_13
; %bb.12:
	v_add_u32_e32 v8, s12, v5
	v_mov_b32_e32 v9, 0
	v_lshl_add_u64 v[8:9], v[8:9], 1, s[10:11]
	global_load_ushort v1, v[8:9], off
	v_add_u32_e32 v5, 0x100, v5
	s_waitcnt vmcnt(0)
	v_lshlrev_b32_e32 v9, 16, v1
.LBB266_13:
	s_or_b64 exec, exec, s[2:3]
	v_cmp_gt_i32_e32 vcc, s16, v5
	s_and_saveexec_b64 s[2:3], vcc
	s_cbranch_execz .LBB266_15
; %bb.14:
	v_add_u32_e32 v12, s12, v5
	v_mov_b32_e32 v13, 0
	v_lshl_add_u64 v[12:13], v[12:13], 1, s[10:11]
	global_load_ushort v1, v[12:13], off
	v_add_u32_e32 v5, 0x100, v5
	s_waitcnt vmcnt(0)
	v_lshlrev_b32_e32 v3, 16, v1
.LBB266_15:
	s_or_b64 exec, exec, s[2:3]
	v_cmp_gt_i32_e32 vcc, s16, v5
	v_mov_b32_e32 v1, 0
	v_mov_b32_e32 v4, 0
	s_and_saveexec_b64 s[2:3], vcc
	s_cbranch_execnz .LBB266_42
; %bb.16:
	s_or_b64 exec, exec, s[2:3]
	v_cmp_gt_i32_e32 vcc, s16, v5
	s_and_saveexec_b64 s[2:3], vcc
	s_cbranch_execnz .LBB266_43
.LBB266_17:
	s_or_b64 exec, exec, s[2:3]
                                        ; implicit-def: $vgpr5
	s_and_saveexec_b64 s[4:5], s[0:1]
	s_cbranch_execz .LBB266_19
.LBB266_18:
	s_mov_b32 s2, 0xf800000
	v_mul_f32_e32 v5, 0x4f800000, v6
	v_cmp_gt_f32_e32 vcc, s2, v6
	s_nop 1
	v_cndmask_b32_e32 v5, v6, v5, vcc
	v_sqrt_f32_e32 v8, v5
	s_nop 0
	v_add_u32_e32 v12, -1, v8
	v_fma_f32 v13, -v12, v8, v5
	v_cmp_ge_f32_e64 s[2:3], 0, v13
	v_add_u32_e32 v13, 1, v8
	s_nop 0
	v_cndmask_b32_e64 v12, v8, v12, s[2:3]
	v_fma_f32 v8, -v13, v8, v5
	v_cmp_lt_f32_e64 s[2:3], 0, v8
	s_nop 1
	v_cndmask_b32_e64 v8, v12, v13, s[2:3]
	v_mul_f32_e32 v12, 0x37800000, v8
	v_cndmask_b32_e32 v8, v8, v12, vcc
	v_mov_b32_e32 v12, 0x260
	v_cmp_class_f32_e32 vcc, v5, v12
	s_movk_i32 s2, 0x7fff
	s_nop 0
	v_cndmask_b32_e32 v5, v8, v5, vcc
	v_bfe_u32 v8, v5, 16, 1
	v_add3_u32 v5, v5, v8, s2
	v_cmp_le_f32_e32 vcc, 0, v6
	v_mov_b32_e32 v6, 0x7fc0
	s_nop 0
	v_cndmask_b32_sdwa v5, v6, v5, vcc dst_sel:DWORD dst_unused:UNUSED_PAD src0_sel:DWORD src1_sel:WORD_1
.LBB266_19:
	s_or_b64 exec, exec, s[4:5]
	v_or_b32_e32 v6, 0x100, v0
	v_cmp_gt_i32_e32 vcc, s16, v6
                                        ; implicit-def: $vgpr8
	s_and_saveexec_b64 s[4:5], vcc
	s_cbranch_execz .LBB266_21
; %bb.20:
	s_mov_b32 s2, 0xf800000
	v_mul_f32_e32 v8, 0x4f800000, v10
	v_cmp_gt_f32_e32 vcc, s2, v10
	s_nop 1
	v_cndmask_b32_e32 v8, v10, v8, vcc
	v_sqrt_f32_e32 v12, v8
	s_nop 0
	v_add_u32_e32 v13, -1, v12
	v_fma_f32 v14, -v13, v12, v8
	v_cmp_ge_f32_e64 s[2:3], 0, v14
	v_add_u32_e32 v14, 1, v12
	s_nop 0
	v_cndmask_b32_e64 v13, v12, v13, s[2:3]
	v_fma_f32 v12, -v14, v12, v8
	v_cmp_lt_f32_e64 s[2:3], 0, v12
	s_nop 1
	v_cndmask_b32_e64 v12, v13, v14, s[2:3]
	v_mul_f32_e32 v13, 0x37800000, v12
	v_cndmask_b32_e32 v12, v12, v13, vcc
	v_mov_b32_e32 v13, 0x260
	v_cmp_class_f32_e32 vcc, v8, v13
	s_movk_i32 s2, 0x7fff
	s_nop 0
	v_cndmask_b32_e32 v8, v12, v8, vcc
	v_bfe_u32 v12, v8, 16, 1
	v_add3_u32 v8, v8, v12, s2
	v_cmp_le_f32_e32 vcc, 0, v10
	v_mov_b32_e32 v10, 0x7fc0
	s_nop 0
	v_cndmask_b32_sdwa v8, v10, v8, vcc dst_sel:DWORD dst_unused:UNUSED_PAD src0_sel:DWORD src1_sel:WORD_1
.LBB266_21:
	s_or_b64 exec, exec, s[4:5]
	v_or_b32_e32 v10, 0x200, v0
	v_cmp_gt_i32_e32 vcc, s16, v10
                                        ; implicit-def: $vgpr10
	s_and_saveexec_b64 s[4:5], vcc
	s_cbranch_execz .LBB266_23
; %bb.22:
	s_mov_b32 s2, 0xf800000
	v_mul_f32_e32 v10, 0x4f800000, v11
	v_cmp_gt_f32_e32 vcc, s2, v11
	s_nop 1
	v_cndmask_b32_e32 v10, v11, v10, vcc
	v_sqrt_f32_e32 v12, v10
	s_nop 0
	v_add_u32_e32 v13, -1, v12
	v_fma_f32 v14, -v13, v12, v10
	v_cmp_ge_f32_e64 s[2:3], 0, v14
	v_add_u32_e32 v14, 1, v12
	s_nop 0
	v_cndmask_b32_e64 v13, v12, v13, s[2:3]
	v_fma_f32 v12, -v14, v12, v10
	v_cmp_lt_f32_e64 s[2:3], 0, v12
	s_nop 1
	v_cndmask_b32_e64 v12, v13, v14, s[2:3]
	v_mul_f32_e32 v13, 0x37800000, v12
	v_cndmask_b32_e32 v12, v12, v13, vcc
	v_mov_b32_e32 v13, 0x260
	v_cmp_class_f32_e32 vcc, v10, v13
	s_movk_i32 s2, 0x7fff
	s_nop 0
	v_cndmask_b32_e32 v10, v12, v10, vcc
	v_bfe_u32 v12, v10, 16, 1
	v_add3_u32 v10, v10, v12, s2
	v_cmp_le_f32_e32 vcc, 0, v11
	v_mov_b32_e32 v11, 0x7fc0
	s_nop 0
	v_cndmask_b32_sdwa v10, v11, v10, vcc dst_sel:DWORD dst_unused:UNUSED_PAD src0_sel:DWORD src1_sel:WORD_1
.LBB266_23:
	s_or_b64 exec, exec, s[4:5]
	v_or_b32_e32 v11, 0x300, v0
	v_cmp_gt_i32_e32 vcc, s16, v11
                                        ; implicit-def: $vgpr11
	s_and_saveexec_b64 s[4:5], vcc
	s_cbranch_execz .LBB266_25
; %bb.24:
	s_mov_b32 s2, 0xf800000
	v_mul_f32_e32 v11, 0x4f800000, v7
	v_cmp_gt_f32_e32 vcc, s2, v7
	s_nop 1
	v_cndmask_b32_e32 v11, v7, v11, vcc
	v_sqrt_f32_e32 v12, v11
	s_nop 0
	v_add_u32_e32 v13, -1, v12
	v_fma_f32 v14, -v13, v12, v11
	v_cmp_ge_f32_e64 s[2:3], 0, v14
	v_add_u32_e32 v14, 1, v12
	s_nop 0
	v_cndmask_b32_e64 v13, v12, v13, s[2:3]
	v_fma_f32 v12, -v14, v12, v11
	v_cmp_lt_f32_e64 s[2:3], 0, v12
	s_nop 1
	v_cndmask_b32_e64 v12, v13, v14, s[2:3]
	v_mul_f32_e32 v13, 0x37800000, v12
	v_cndmask_b32_e32 v12, v12, v13, vcc
	v_mov_b32_e32 v13, 0x260
	v_cmp_class_f32_e32 vcc, v11, v13
	s_movk_i32 s2, 0x7fff
	s_nop 0
	v_cndmask_b32_e32 v11, v12, v11, vcc
	v_bfe_u32 v12, v11, 16, 1
	v_add3_u32 v11, v11, v12, s2
	v_cmp_le_f32_e32 vcc, 0, v7
	v_mov_b32_e32 v7, 0x7fc0
	s_nop 0
	v_cndmask_b32_sdwa v11, v7, v11, vcc dst_sel:DWORD dst_unused:UNUSED_PAD src0_sel:DWORD src1_sel:WORD_1
.LBB266_25:
	s_or_b64 exec, exec, s[4:5]
	v_or_b32_e32 v7, 0x400, v0
	v_cmp_gt_i32_e32 vcc, s16, v7
                                        ; implicit-def: $vgpr7
	s_and_saveexec_b64 s[4:5], vcc
	s_cbranch_execz .LBB266_27
; %bb.26:
	s_mov_b32 s2, 0xf800000
	v_mul_f32_e32 v7, 0x4f800000, v9
	v_cmp_gt_f32_e32 vcc, s2, v9
	s_nop 1
	v_cndmask_b32_e32 v7, v9, v7, vcc
	v_sqrt_f32_e32 v12, v7
	s_nop 0
	v_add_u32_e32 v13, -1, v12
	v_fma_f32 v14, -v13, v12, v7
	v_cmp_ge_f32_e64 s[2:3], 0, v14
	v_add_u32_e32 v14, 1, v12
	s_nop 0
	v_cndmask_b32_e64 v13, v12, v13, s[2:3]
	v_fma_f32 v12, -v14, v12, v7
	v_cmp_lt_f32_e64 s[2:3], 0, v12
	s_nop 1
	v_cndmask_b32_e64 v12, v13, v14, s[2:3]
	v_mul_f32_e32 v13, 0x37800000, v12
	v_cndmask_b32_e32 v12, v12, v13, vcc
	v_mov_b32_e32 v13, 0x260
	v_cmp_class_f32_e32 vcc, v7, v13
	s_movk_i32 s2, 0x7fff
	s_nop 0
	v_cndmask_b32_e32 v7, v12, v7, vcc
	v_bfe_u32 v12, v7, 16, 1
	v_add3_u32 v7, v7, v12, s2
	v_cmp_le_f32_e32 vcc, 0, v9
	v_mov_b32_e32 v9, 0x7fc0
	s_nop 0
	v_cndmask_b32_sdwa v7, v9, v7, vcc dst_sel:DWORD dst_unused:UNUSED_PAD src0_sel:DWORD src1_sel:WORD_1
.LBB266_27:
	s_or_b64 exec, exec, s[4:5]
	v_or_b32_e32 v9, 0x500, v0
	v_cmp_gt_i32_e32 vcc, s16, v9
                                        ; implicit-def: $vgpr9
	s_and_saveexec_b64 s[4:5], vcc
	s_cbranch_execz .LBB266_29
; %bb.28:
	s_mov_b32 s2, 0xf800000
	v_mul_f32_e32 v9, 0x4f800000, v3
	v_cmp_gt_f32_e32 vcc, s2, v3
	s_nop 1
	v_cndmask_b32_e32 v9, v3, v9, vcc
	v_sqrt_f32_e32 v12, v9
	s_nop 0
	v_add_u32_e32 v13, -1, v12
	v_fma_f32 v14, -v13, v12, v9
	v_cmp_ge_f32_e64 s[2:3], 0, v14
	v_add_u32_e32 v14, 1, v12
	s_nop 0
	v_cndmask_b32_e64 v13, v12, v13, s[2:3]
	v_fma_f32 v12, -v14, v12, v9
	v_cmp_lt_f32_e64 s[2:3], 0, v12
	s_nop 1
	v_cndmask_b32_e64 v12, v13, v14, s[2:3]
	v_mul_f32_e32 v13, 0x37800000, v12
	v_cndmask_b32_e32 v12, v12, v13, vcc
	v_mov_b32_e32 v13, 0x260
	v_cmp_class_f32_e32 vcc, v9, v13
	s_movk_i32 s2, 0x7fff
	s_nop 0
	v_cndmask_b32_e32 v9, v12, v9, vcc
	v_bfe_u32 v12, v9, 16, 1
	v_add3_u32 v9, v9, v12, s2
	v_cmp_le_f32_e32 vcc, 0, v3
	v_mov_b32_e32 v3, 0x7fc0
	s_nop 0
	v_cndmask_b32_sdwa v9, v3, v9, vcc dst_sel:DWORD dst_unused:UNUSED_PAD src0_sel:DWORD src1_sel:WORD_1
.LBB266_29:
	s_or_b64 exec, exec, s[4:5]
	v_or_b32_e32 v3, 0x600, v0
	v_cmp_gt_i32_e32 vcc, s16, v3
                                        ; implicit-def: $vgpr12
	s_and_saveexec_b64 s[4:5], vcc
	s_cbranch_execz .LBB266_31
; %bb.30:
	s_mov_b32 s2, 0xf800000
	v_mul_f32_e32 v3, 0x4f800000, v4
	v_cmp_gt_f32_e32 vcc, s2, v4
	s_nop 1
	v_cndmask_b32_e32 v3, v4, v3, vcc
	v_sqrt_f32_e32 v12, v3
	s_nop 0
	v_add_u32_e32 v13, -1, v12
	v_fma_f32 v14, -v13, v12, v3
	v_cmp_ge_f32_e64 s[2:3], 0, v14
	v_add_u32_e32 v14, 1, v12
	s_nop 0
	v_cndmask_b32_e64 v13, v12, v13, s[2:3]
	v_fma_f32 v12, -v14, v12, v3
	v_cmp_lt_f32_e64 s[2:3], 0, v12
	s_nop 1
	v_cndmask_b32_e64 v12, v13, v14, s[2:3]
	v_mul_f32_e32 v13, 0x37800000, v12
	v_cndmask_b32_e32 v12, v12, v13, vcc
	v_mov_b32_e32 v13, 0x260
	v_cmp_class_f32_e32 vcc, v3, v13
	s_movk_i32 s2, 0x7fff
	s_nop 0
	v_cndmask_b32_e32 v3, v12, v3, vcc
	v_bfe_u32 v12, v3, 16, 1
	v_add3_u32 v3, v3, v12, s2
	v_cmp_le_f32_e32 vcc, 0, v4
	v_mov_b32_e32 v4, 0x7fc0
	s_nop 0
	v_cndmask_b32_sdwa v12, v4, v3, vcc dst_sel:DWORD dst_unused:UNUSED_PAD src0_sel:DWORD src1_sel:WORD_1
.LBB266_31:
	s_or_b64 exec, exec, s[4:5]
	v_or_b32_e32 v3, 0x700, v0
	v_cmp_gt_i32_e32 vcc, s16, v3
                                        ; implicit-def: $vgpr4
	s_and_saveexec_b64 s[4:5], vcc
	s_cbranch_execnz .LBB266_44
; %bb.32:
	s_or_b64 exec, exec, s[4:5]
	s_and_saveexec_b64 s[2:3], s[0:1]
	s_xor_b64 s[0:1], exec, s[2:3]
	s_cbranch_execnz .LBB266_45
.LBB266_33:
	s_or_b64 exec, exec, s[0:1]
	v_cmp_gt_i32_e32 vcc, s16, v0
	s_and_saveexec_b64 s[0:1], vcc
	s_cbranch_execnz .LBB266_46
.LBB266_34:
	s_or_b64 exec, exec, s[0:1]
	v_cmp_gt_i32_e32 vcc, s16, v0
	s_and_saveexec_b64 s[0:1], vcc
	s_cbranch_execnz .LBB266_47
.LBB266_35:
	s_or_b64 exec, exec, s[0:1]
	v_cmp_gt_i32_e32 vcc, s16, v0
	s_and_saveexec_b64 s[0:1], vcc
	s_cbranch_execnz .LBB266_48
.LBB266_36:
	s_or_b64 exec, exec, s[0:1]
	v_cmp_gt_i32_e32 vcc, s16, v0
	s_and_saveexec_b64 s[0:1], vcc
	s_cbranch_execnz .LBB266_49
.LBB266_37:
	s_or_b64 exec, exec, s[0:1]
	v_cmp_gt_i32_e32 vcc, s16, v0
	s_and_saveexec_b64 s[0:1], vcc
	s_cbranch_execnz .LBB266_50
.LBB266_38:
	s_or_b64 exec, exec, s[0:1]
	v_cmp_gt_i32_e32 vcc, s16, v0
	s_and_saveexec_b64 s[0:1], vcc
	s_cbranch_execnz .LBB266_51
.LBB266_39:
	s_or_b64 exec, exec, s[0:1]
	v_cmp_gt_i32_e32 vcc, s16, v0
	s_and_saveexec_b64 s[0:1], vcc
	s_cbranch_execz .LBB266_41
.LBB266_40:
	v_add_u32_e32 v0, s12, v0
	v_mov_b32_e32 v1, 0
	v_lshl_add_u64 v[0:1], v[0:1], 1, s[8:9]
	global_store_short v[0:1], v4, off
.LBB266_41:
	s_endpgm
.LBB266_42:
	v_add_u32_e32 v12, s12, v5
	v_mov_b32_e32 v13, 0
	v_lshl_add_u64 v[12:13], v[12:13], 1, s[10:11]
	global_load_ushort v4, v[12:13], off
	v_add_u32_e32 v5, 0x100, v5
	s_waitcnt vmcnt(0)
	v_lshlrev_b32_e32 v4, 16, v4
	s_or_b64 exec, exec, s[2:3]
	v_cmp_gt_i32_e32 vcc, s16, v5
	s_and_saveexec_b64 s[2:3], vcc
	s_cbranch_execz .LBB266_17
.LBB266_43:
	v_add_u32_e32 v12, s12, v5
	v_mov_b32_e32 v13, 0
	v_lshl_add_u64 v[12:13], v[12:13], 1, s[10:11]
	global_load_ushort v1, v[12:13], off
	s_waitcnt vmcnt(0)
	v_lshlrev_b32_e32 v1, 16, v1
	s_or_b64 exec, exec, s[2:3]
                                        ; implicit-def: $vgpr5
	s_and_saveexec_b64 s[4:5], s[0:1]
	s_cbranch_execnz .LBB266_18
	s_branch .LBB266_19
.LBB266_44:
	s_mov_b32 s2, 0xf800000
	v_mul_f32_e32 v3, 0x4f800000, v1
	v_cmp_gt_f32_e32 vcc, s2, v1
	s_nop 1
	v_cndmask_b32_e32 v3, v1, v3, vcc
	v_sqrt_f32_e32 v4, v3
	s_nop 0
	v_add_u32_e32 v13, -1, v4
	v_fma_f32 v14, -v13, v4, v3
	v_cmp_ge_f32_e64 s[2:3], 0, v14
	v_add_u32_e32 v14, 1, v4
	s_nop 0
	v_cndmask_b32_e64 v13, v4, v13, s[2:3]
	v_fma_f32 v4, -v14, v4, v3
	v_cmp_lt_f32_e64 s[2:3], 0, v4
	s_nop 1
	v_cndmask_b32_e64 v4, v13, v14, s[2:3]
	v_mul_f32_e32 v13, 0x37800000, v4
	v_cndmask_b32_e32 v4, v4, v13, vcc
	v_mov_b32_e32 v13, 0x260
	v_cmp_class_f32_e32 vcc, v3, v13
	s_movk_i32 s2, 0x7fff
	s_nop 0
	v_cndmask_b32_e32 v3, v4, v3, vcc
	v_bfe_u32 v4, v3, 16, 1
	v_add3_u32 v3, v3, v4, s2
	v_cmp_le_f32_e32 vcc, 0, v1
	v_mov_b32_e32 v1, 0x7fc0
	s_nop 0
	v_cndmask_b32_sdwa v4, v1, v3, vcc dst_sel:DWORD dst_unused:UNUSED_PAD src0_sel:DWORD src1_sel:WORD_1
	s_or_b64 exec, exec, s[4:5]
	s_and_saveexec_b64 s[2:3], s[0:1]
	s_xor_b64 s[0:1], exec, s[2:3]
	s_cbranch_execz .LBB266_33
.LBB266_45:
	v_mov_b32_e32 v3, 0
	v_lshl_add_u64 v[0:1], v[2:3], 1, s[8:9]
	global_store_short v[0:1], v5, off
	v_mov_b32_e32 v0, v6
	s_or_b64 exec, exec, s[0:1]
	v_cmp_gt_i32_e32 vcc, s16, v0
	s_and_saveexec_b64 s[0:1], vcc
	s_cbranch_execz .LBB266_34
.LBB266_46:
	v_add_u32_e32 v2, s12, v0
	v_mov_b32_e32 v3, 0
	v_lshl_add_u64 v[2:3], v[2:3], 1, s[8:9]
	v_add_u32_e32 v0, 0x100, v0
	global_store_short v[2:3], v8, off
	s_or_b64 exec, exec, s[0:1]
	v_cmp_gt_i32_e32 vcc, s16, v0
	s_and_saveexec_b64 s[0:1], vcc
	s_cbranch_execz .LBB266_35
.LBB266_47:
	v_add_u32_e32 v2, s12, v0
	v_mov_b32_e32 v3, 0
	v_lshl_add_u64 v[2:3], v[2:3], 1, s[8:9]
	v_add_u32_e32 v0, 0x100, v0
	global_store_short v[2:3], v10, off
	s_or_b64 exec, exec, s[0:1]
	v_cmp_gt_i32_e32 vcc, s16, v0
	s_and_saveexec_b64 s[0:1], vcc
	s_cbranch_execz .LBB266_36
.LBB266_48:
	v_add_u32_e32 v2, s12, v0
	v_mov_b32_e32 v3, 0
	v_lshl_add_u64 v[2:3], v[2:3], 1, s[8:9]
	v_add_u32_e32 v0, 0x100, v0
	global_store_short v[2:3], v11, off
	s_or_b64 exec, exec, s[0:1]
	v_cmp_gt_i32_e32 vcc, s16, v0
	s_and_saveexec_b64 s[0:1], vcc
	s_cbranch_execz .LBB266_37
.LBB266_49:
	v_add_u32_e32 v2, s12, v0
	v_mov_b32_e32 v3, 0
	v_lshl_add_u64 v[2:3], v[2:3], 1, s[8:9]
	v_add_u32_e32 v0, 0x100, v0
	global_store_short v[2:3], v7, off
	s_or_b64 exec, exec, s[0:1]
	v_cmp_gt_i32_e32 vcc, s16, v0
	s_and_saveexec_b64 s[0:1], vcc
	s_cbranch_execz .LBB266_38
.LBB266_50:
	v_add_u32_e32 v2, s12, v0
	v_mov_b32_e32 v3, 0
	v_lshl_add_u64 v[2:3], v[2:3], 1, s[8:9]
	v_add_u32_e32 v0, 0x100, v0
	global_store_short v[2:3], v9, off
	s_or_b64 exec, exec, s[0:1]
	v_cmp_gt_i32_e32 vcc, s16, v0
	s_and_saveexec_b64 s[0:1], vcc
	s_cbranch_execz .LBB266_39
.LBB266_51:
	v_add_u32_e32 v2, s12, v0
	v_mov_b32_e32 v3, 0
	v_lshl_add_u64 v[2:3], v[2:3], 1, s[8:9]
	v_add_u32_e32 v0, 0x100, v0
	global_store_short v[2:3], v12, off
	s_or_b64 exec, exec, s[0:1]
	v_cmp_gt_i32_e32 vcc, s16, v0
	s_and_saveexec_b64 s[0:1], vcc
	s_cbranch_execnz .LBB266_40
	s_branch .LBB266_41
	.section	.rodata,"a",@progbits
	.p2align	6, 0x0
	.amdhsa_kernel _ZN2at6native29vectorized_elementwise_kernelILi16EZZZNS0_16sqrt_kernel_cudaERNS_18TensorIteratorBaseEENKUlvE0_clEvENKUlvE2_clEvEUlN3c108BFloat16EE_St5arrayIPcLm2EEEEviT0_T1_
		.amdhsa_group_segment_fixed_size 0
		.amdhsa_private_segment_fixed_size 0
		.amdhsa_kernarg_size 24
		.amdhsa_user_sgpr_count 2
		.amdhsa_user_sgpr_dispatch_ptr 0
		.amdhsa_user_sgpr_queue_ptr 0
		.amdhsa_user_sgpr_kernarg_segment_ptr 1
		.amdhsa_user_sgpr_dispatch_id 0
		.amdhsa_user_sgpr_kernarg_preload_length 0
		.amdhsa_user_sgpr_kernarg_preload_offset 0
		.amdhsa_user_sgpr_private_segment_size 0
		.amdhsa_uses_dynamic_stack 0
		.amdhsa_enable_private_segment 0
		.amdhsa_system_sgpr_workgroup_id_x 1
		.amdhsa_system_sgpr_workgroup_id_y 0
		.amdhsa_system_sgpr_workgroup_id_z 0
		.amdhsa_system_sgpr_workgroup_info 0
		.amdhsa_system_vgpr_workitem_id 0
		.amdhsa_next_free_vgpr 36
		.amdhsa_next_free_sgpr 18
		.amdhsa_accum_offset 36
		.amdhsa_reserve_vcc 1
		.amdhsa_float_round_mode_32 0
		.amdhsa_float_round_mode_16_64 0
		.amdhsa_float_denorm_mode_32 3
		.amdhsa_float_denorm_mode_16_64 3
		.amdhsa_dx10_clamp 1
		.amdhsa_ieee_mode 1
		.amdhsa_fp16_overflow 0
		.amdhsa_tg_split 0
		.amdhsa_exception_fp_ieee_invalid_op 0
		.amdhsa_exception_fp_denorm_src 0
		.amdhsa_exception_fp_ieee_div_zero 0
		.amdhsa_exception_fp_ieee_overflow 0
		.amdhsa_exception_fp_ieee_underflow 0
		.amdhsa_exception_fp_ieee_inexact 0
		.amdhsa_exception_int_div_zero 0
	.end_amdhsa_kernel
	.section	.text._ZN2at6native29vectorized_elementwise_kernelILi16EZZZNS0_16sqrt_kernel_cudaERNS_18TensorIteratorBaseEENKUlvE0_clEvENKUlvE2_clEvEUlN3c108BFloat16EE_St5arrayIPcLm2EEEEviT0_T1_,"axG",@progbits,_ZN2at6native29vectorized_elementwise_kernelILi16EZZZNS0_16sqrt_kernel_cudaERNS_18TensorIteratorBaseEENKUlvE0_clEvENKUlvE2_clEvEUlN3c108BFloat16EE_St5arrayIPcLm2EEEEviT0_T1_,comdat
.Lfunc_end266:
	.size	_ZN2at6native29vectorized_elementwise_kernelILi16EZZZNS0_16sqrt_kernel_cudaERNS_18TensorIteratorBaseEENKUlvE0_clEvENKUlvE2_clEvEUlN3c108BFloat16EE_St5arrayIPcLm2EEEEviT0_T1_, .Lfunc_end266-_ZN2at6native29vectorized_elementwise_kernelILi16EZZZNS0_16sqrt_kernel_cudaERNS_18TensorIteratorBaseEENKUlvE0_clEvENKUlvE2_clEvEUlN3c108BFloat16EE_St5arrayIPcLm2EEEEviT0_T1_
                                        ; -- End function
	.set _ZN2at6native29vectorized_elementwise_kernelILi16EZZZNS0_16sqrt_kernel_cudaERNS_18TensorIteratorBaseEENKUlvE0_clEvENKUlvE2_clEvEUlN3c108BFloat16EE_St5arrayIPcLm2EEEEviT0_T1_.num_vgpr, 36
	.set _ZN2at6native29vectorized_elementwise_kernelILi16EZZZNS0_16sqrt_kernel_cudaERNS_18TensorIteratorBaseEENKUlvE0_clEvENKUlvE2_clEvEUlN3c108BFloat16EE_St5arrayIPcLm2EEEEviT0_T1_.num_agpr, 0
	.set _ZN2at6native29vectorized_elementwise_kernelILi16EZZZNS0_16sqrt_kernel_cudaERNS_18TensorIteratorBaseEENKUlvE0_clEvENKUlvE2_clEvEUlN3c108BFloat16EE_St5arrayIPcLm2EEEEviT0_T1_.numbered_sgpr, 18
	.set _ZN2at6native29vectorized_elementwise_kernelILi16EZZZNS0_16sqrt_kernel_cudaERNS_18TensorIteratorBaseEENKUlvE0_clEvENKUlvE2_clEvEUlN3c108BFloat16EE_St5arrayIPcLm2EEEEviT0_T1_.num_named_barrier, 0
	.set _ZN2at6native29vectorized_elementwise_kernelILi16EZZZNS0_16sqrt_kernel_cudaERNS_18TensorIteratorBaseEENKUlvE0_clEvENKUlvE2_clEvEUlN3c108BFloat16EE_St5arrayIPcLm2EEEEviT0_T1_.private_seg_size, 0
	.set _ZN2at6native29vectorized_elementwise_kernelILi16EZZZNS0_16sqrt_kernel_cudaERNS_18TensorIteratorBaseEENKUlvE0_clEvENKUlvE2_clEvEUlN3c108BFloat16EE_St5arrayIPcLm2EEEEviT0_T1_.uses_vcc, 1
	.set _ZN2at6native29vectorized_elementwise_kernelILi16EZZZNS0_16sqrt_kernel_cudaERNS_18TensorIteratorBaseEENKUlvE0_clEvENKUlvE2_clEvEUlN3c108BFloat16EE_St5arrayIPcLm2EEEEviT0_T1_.uses_flat_scratch, 0
	.set _ZN2at6native29vectorized_elementwise_kernelILi16EZZZNS0_16sqrt_kernel_cudaERNS_18TensorIteratorBaseEENKUlvE0_clEvENKUlvE2_clEvEUlN3c108BFloat16EE_St5arrayIPcLm2EEEEviT0_T1_.has_dyn_sized_stack, 0
	.set _ZN2at6native29vectorized_elementwise_kernelILi16EZZZNS0_16sqrt_kernel_cudaERNS_18TensorIteratorBaseEENKUlvE0_clEvENKUlvE2_clEvEUlN3c108BFloat16EE_St5arrayIPcLm2EEEEviT0_T1_.has_recursion, 0
	.set _ZN2at6native29vectorized_elementwise_kernelILi16EZZZNS0_16sqrt_kernel_cudaERNS_18TensorIteratorBaseEENKUlvE0_clEvENKUlvE2_clEvEUlN3c108BFloat16EE_St5arrayIPcLm2EEEEviT0_T1_.has_indirect_call, 0
	.section	.AMDGPU.csdata,"",@progbits
; Kernel info:
; codeLenInByte = 3900
; TotalNumSgprs: 24
; NumVgprs: 36
; NumAgprs: 0
; TotalNumVgprs: 36
; ScratchSize: 0
; MemoryBound: 0
; FloatMode: 240
; IeeeMode: 1
; LDSByteSize: 0 bytes/workgroup (compile time only)
; SGPRBlocks: 2
; VGPRBlocks: 4
; NumSGPRsForWavesPerEU: 24
; NumVGPRsForWavesPerEU: 36
; AccumOffset: 36
; Occupancy: 8
; WaveLimiterHint : 0
; COMPUTE_PGM_RSRC2:SCRATCH_EN: 0
; COMPUTE_PGM_RSRC2:USER_SGPR: 2
; COMPUTE_PGM_RSRC2:TRAP_HANDLER: 0
; COMPUTE_PGM_RSRC2:TGID_X_EN: 1
; COMPUTE_PGM_RSRC2:TGID_Y_EN: 0
; COMPUTE_PGM_RSRC2:TGID_Z_EN: 0
; COMPUTE_PGM_RSRC2:TIDIG_COMP_CNT: 0
; COMPUTE_PGM_RSRC3_GFX90A:ACCUM_OFFSET: 8
; COMPUTE_PGM_RSRC3_GFX90A:TG_SPLIT: 0
	.section	.text._ZN2at6native29vectorized_elementwise_kernelILi8EZZZNS0_16sqrt_kernel_cudaERNS_18TensorIteratorBaseEENKUlvE0_clEvENKUlvE2_clEvEUlN3c108BFloat16EE_St5arrayIPcLm2EEEEviT0_T1_,"axG",@progbits,_ZN2at6native29vectorized_elementwise_kernelILi8EZZZNS0_16sqrt_kernel_cudaERNS_18TensorIteratorBaseEENKUlvE0_clEvENKUlvE2_clEvEUlN3c108BFloat16EE_St5arrayIPcLm2EEEEviT0_T1_,comdat
	.globl	_ZN2at6native29vectorized_elementwise_kernelILi8EZZZNS0_16sqrt_kernel_cudaERNS_18TensorIteratorBaseEENKUlvE0_clEvENKUlvE2_clEvEUlN3c108BFloat16EE_St5arrayIPcLm2EEEEviT0_T1_ ; -- Begin function _ZN2at6native29vectorized_elementwise_kernelILi8EZZZNS0_16sqrt_kernel_cudaERNS_18TensorIteratorBaseEENKUlvE0_clEvENKUlvE2_clEvEUlN3c108BFloat16EE_St5arrayIPcLm2EEEEviT0_T1_
	.p2align	8
	.type	_ZN2at6native29vectorized_elementwise_kernelILi8EZZZNS0_16sqrt_kernel_cudaERNS_18TensorIteratorBaseEENKUlvE0_clEvENKUlvE2_clEvEUlN3c108BFloat16EE_St5arrayIPcLm2EEEEviT0_T1_,@function
_ZN2at6native29vectorized_elementwise_kernelILi8EZZZNS0_16sqrt_kernel_cudaERNS_18TensorIteratorBaseEENKUlvE0_clEvENKUlvE2_clEvEUlN3c108BFloat16EE_St5arrayIPcLm2EEEEviT0_T1_: ; @_ZN2at6native29vectorized_elementwise_kernelILi8EZZZNS0_16sqrt_kernel_cudaERNS_18TensorIteratorBaseEENKUlvE0_clEvENKUlvE2_clEvEUlN3c108BFloat16EE_St5arrayIPcLm2EEEEviT0_T1_
; %bb.0:
	s_load_dword s3, s[0:1], 0x0
	s_load_dwordx4 s[8:11], s[0:1], 0x8
	s_lshl_b32 s12, s2, 11
	s_mov_b64 s[0:1], -1
	s_waitcnt lgkmcnt(0)
	s_sub_i32 s16, s3, s12
	s_cmpk_gt_i32 s16, 0x7ff
	s_cbranch_scc0 .LBB267_2
; %bb.1:
	s_ashr_i32 s13, s12, 31
	s_lshl_b64 s[0:1], s[12:13], 1
	s_add_u32 s2, s10, s0
	s_addc_u32 s3, s11, s1
	v_lshlrev_b32_e32 v1, 4, v0
	global_load_dwordx4 v[2:5], v1, s[2:3]
	s_mov_b32 s13, 0xf800000
	s_add_u32 s14, s8, s0
	s_addc_u32 s15, s9, s1
	v_mov_b32_e32 v6, 0x260
	s_movk_i32 s17, 0x7fff
	v_mov_b32_e32 v7, 0x7fc0
	s_waitcnt vmcnt(0)
	v_and_b32_e32 v9, 0xffff0000, v2
	v_lshlrev_b32_e32 v2, 16, v2
	v_mul_f32_e32 v11, 0x4f800000, v2
	v_cmp_gt_f32_e32 vcc, s13, v2
	v_and_b32_e32 v8, 0xffff0000, v3
	v_lshlrev_b32_e32 v3, 16, v3
	v_mul_f32_e32 v12, 0x4f800000, v9
	v_cndmask_b32_e32 v11, v2, v11, vcc
	v_cmp_gt_f32_e64 s[0:1], s13, v9
	v_mul_f32_e32 v13, 0x4f800000, v3
	v_cmp_gt_f32_e64 s[2:3], s13, v3
	v_cndmask_b32_e64 v12, v9, v12, s[0:1]
	v_sqrt_f32_e32 v16, v11
	v_mul_f32_e32 v14, 0x4f800000, v8
	v_cndmask_b32_e64 v13, v3, v13, s[2:3]
	v_cmp_gt_f32_e64 s[4:5], s13, v8
	v_sqrt_f32_e32 v17, v12
	v_sqrt_f32_e32 v18, v13
	v_cndmask_b32_e64 v14, v8, v14, s[4:5]
	v_sqrt_f32_e32 v19, v14
	v_add_u32_e32 v20, -1, v16
	v_add_u32_e32 v22, -1, v17
	v_fma_f32 v28, -v20, v16, v11
	v_add_u32_e32 v21, 1, v16
	v_add_u32_e32 v24, -1, v18
	v_fma_f32 v30, -v22, v17, v12
	v_cmp_ge_f32_e64 s[6:7], 0, v28
	v_add_u32_e32 v23, 1, v17
	v_add_u32_e32 v26, -1, v19
	v_fma_f32 v29, -v21, v16, v11
	v_fma_f32 v32, -v24, v18, v13
	v_cndmask_b32_e64 v16, v16, v20, s[6:7]
	v_cmp_ge_f32_e64 s[6:7], 0, v30
	v_add_u32_e32 v25, 1, v18
	v_fma_f32 v31, -v23, v17, v12
	v_fma_f32 v34, -v26, v19, v14
	v_cndmask_b32_e64 v17, v17, v22, s[6:7]
	v_cmp_ge_f32_e64 s[6:7], 0, v32
	v_add_u32_e32 v27, 1, v19
	v_fma_f32 v33, -v25, v18, v13
	v_cndmask_b32_e64 v18, v18, v24, s[6:7]
	v_cmp_ge_f32_e64 s[6:7], 0, v34
	v_fma_f32 v35, -v27, v19, v14
	v_lshlrev_b32_e32 v10, 16, v4
	v_cndmask_b32_e64 v19, v19, v26, s[6:7]
	v_cmp_lt_f32_e64 s[6:7], 0, v29
	v_mul_f32_e32 v15, 0x4f800000, v10
	v_and_b32_e32 v4, 0xffff0000, v4
	v_cndmask_b32_e64 v16, v16, v21, s[6:7]
	v_cmp_lt_f32_e64 s[6:7], 0, v31
	v_mul_f32_e32 v20, 0x37800000, v16
	v_cndmask_b32_e32 v16, v16, v20, vcc
	v_cndmask_b32_e64 v17, v17, v23, s[6:7]
	v_cmp_lt_f32_e64 s[6:7], 0, v33
	v_mul_f32_e32 v21, 0x37800000, v17
	v_cmp_class_f32_e32 vcc, v11, v6
	v_cndmask_b32_e64 v18, v18, v25, s[6:7]
	v_cmp_lt_f32_e64 s[6:7], 0, v35
	v_mul_f32_e32 v22, 0x37800000, v18
	v_cndmask_b32_e64 v17, v17, v21, s[0:1]
	v_cndmask_b32_e64 v19, v19, v27, s[6:7]
	v_cndmask_b32_e32 v11, v16, v11, vcc
	v_cmp_class_f32_e32 vcc, v12, v6
	v_mul_f32_e32 v23, 0x37800000, v19
	v_cndmask_b32_e64 v18, v18, v22, s[2:3]
	v_cndmask_b32_e32 v12, v17, v12, vcc
	v_cmp_class_f32_e32 vcc, v13, v6
	v_cndmask_b32_e64 v19, v19, v23, s[4:5]
	v_bfe_u32 v16, v12, 16, 1
	v_cndmask_b32_e32 v13, v18, v13, vcc
	v_cmp_class_f32_e32 vcc, v14, v6
	v_bfe_u32 v17, v11, 16, 1
	v_add3_u32 v12, v12, v16, s17
	v_cndmask_b32_e32 v14, v19, v14, vcc
	v_bfe_u32 v18, v14, 16, 1
	v_add3_u32 v11, v11, v17, s17
	v_lshrrev_b32_e32 v12, 16, v12
	v_cmp_le_f32_e32 vcc, 0, v9
	v_bfe_u32 v19, v13, 16, 1
	v_add3_u32 v14, v14, v18, s17
	v_lshrrev_b32_e32 v11, 16, v11
	v_cndmask_b32_e32 v9, v7, v12, vcc
	v_cmp_le_f32_e32 vcc, 0, v2
	v_add3_u32 v13, v13, v19, s17
	v_lshrrev_b32_e32 v14, 16, v14
	v_cndmask_b32_e32 v2, v7, v11, vcc
	v_cmp_le_f32_e32 vcc, 0, v8
	v_lshrrev_b32_e32 v13, 16, v13
	s_nop 0
	v_cndmask_b32_e32 v8, v7, v14, vcc
	v_cmp_le_f32_e32 vcc, 0, v3
	s_nop 1
	v_cndmask_b32_e32 v3, v7, v13, vcc
	v_cmp_gt_f32_e32 vcc, s13, v10
	v_and_b32_e32 v13, 0xffff0000, v5
	v_lshlrev_b32_e32 v5, 16, v5
	v_cndmask_b32_e32 v11, v10, v15, vcc
	v_sqrt_f32_e32 v12, v11
	s_nop 0
	v_add_u32_e32 v14, -1, v12
	v_fma_f32 v15, -v14, v12, v11
	v_cmp_ge_f32_e64 s[0:1], 0, v15
	v_add_u32_e32 v15, 1, v12
	s_nop 0
	v_cndmask_b32_e64 v14, v12, v14, s[0:1]
	v_fma_f32 v12, -v15, v12, v11
	v_cmp_lt_f32_e64 s[0:1], 0, v12
	s_nop 1
	v_cndmask_b32_e64 v12, v14, v15, s[0:1]
	v_mul_f32_e32 v15, 0x4f800000, v4
	v_cmp_gt_f32_e64 s[0:1], s13, v4
	v_mul_f32_e32 v14, 0x37800000, v12
	v_cndmask_b32_e32 v12, v12, v14, vcc
	v_cndmask_b32_e64 v15, v4, v15, s[0:1]
	v_sqrt_f32_e32 v16, v15
	v_cmp_class_f32_e32 vcc, v11, v6
	s_nop 1
	v_cndmask_b32_e32 v11, v12, v11, vcc
	v_add_u32_e32 v12, -1, v16
	v_fma_f32 v14, -v12, v16, v15
	v_cmp_ge_f32_e32 vcc, 0, v14
	v_add_u32_e32 v14, 1, v16
	s_nop 0
	v_cndmask_b32_e32 v12, v16, v12, vcc
	v_fma_f32 v16, -v14, v16, v15
	v_cmp_lt_f32_e32 vcc, 0, v16
	v_mul_f32_e32 v16, 0x4f800000, v5
	s_nop 0
	v_cndmask_b32_e32 v12, v12, v14, vcc
	v_cmp_gt_f32_e32 vcc, s13, v5
	v_mul_f32_e32 v14, 0x37800000, v12
	v_cndmask_b32_e64 v12, v12, v14, s[0:1]
	v_cndmask_b32_e32 v16, v5, v16, vcc
	v_sqrt_f32_e32 v17, v16
	v_cmp_class_f32_e64 s[0:1], v15, v6
	v_add_u32_e32 v14, -1, v17
	s_nop 0
	v_cndmask_b32_e64 v12, v12, v15, s[0:1]
	v_fma_f32 v15, -v14, v17, v16
	v_cmp_ge_f32_e64 s[0:1], 0, v15
	v_add_u32_e32 v15, 1, v17
	s_nop 0
	v_cndmask_b32_e64 v14, v17, v14, s[0:1]
	v_fma_f32 v17, -v15, v17, v16
	v_cmp_lt_f32_e64 s[0:1], 0, v17
	v_mul_f32_e32 v17, 0x4f800000, v13
	s_nop 0
	v_cndmask_b32_e64 v14, v14, v15, s[0:1]
	v_cmp_gt_f32_e64 s[0:1], s13, v13
	v_mul_f32_e32 v15, 0x37800000, v14
	v_cndmask_b32_e32 v14, v14, v15, vcc
	v_cndmask_b32_e64 v17, v13, v17, s[0:1]
	v_sqrt_f32_e32 v18, v17
	v_cmp_class_f32_e32 vcc, v16, v6
	v_add_u32_e32 v15, -1, v18
	s_nop 0
	v_cndmask_b32_e32 v14, v14, v16, vcc
	v_fma_f32 v16, -v15, v18, v17
	v_cmp_ge_f32_e32 vcc, 0, v16
	v_add_u32_e32 v16, 1, v18
	s_nop 0
	v_cndmask_b32_e32 v15, v18, v15, vcc
	v_fma_f32 v18, -v16, v18, v17
	v_cmp_lt_f32_e32 vcc, 0, v18
	v_bfe_u32 v18, v14, 16, 1
	v_add3_u32 v14, v14, v18, s17
	v_cndmask_b32_e32 v15, v15, v16, vcc
	v_mul_f32_e32 v16, 0x37800000, v15
	v_cndmask_b32_e64 v15, v15, v16, s[0:1]
	v_cmp_class_f32_e32 vcc, v17, v6
	v_bfe_u32 v16, v11, 16, 1
	v_add3_u32 v11, v11, v16, s17
	v_cndmask_b32_e32 v6, v15, v17, vcc
	v_bfe_u32 v15, v12, 16, 1
	v_add3_u32 v12, v12, v15, s17
	v_cmp_le_f32_e32 vcc, 0, v4
	v_bfe_u32 v17, v6, 16, 1
	v_add3_u32 v6, v6, v17, s17
	v_cndmask_b32_sdwa v4, v7, v12, vcc dst_sel:DWORD dst_unused:UNUSED_PAD src0_sel:DWORD src1_sel:WORD_1
	v_cmp_le_f32_e32 vcc, 0, v10
	s_mov_b32 s0, 0x5040100
	v_perm_b32 v3, v8, v3, s0
	v_cndmask_b32_sdwa v10, v7, v11, vcc dst_sel:DWORD dst_unused:UNUSED_PAD src0_sel:DWORD src1_sel:WORD_1
	v_cmp_le_f32_e32 vcc, 0, v13
	v_perm_b32 v4, v4, v10, s0
	v_perm_b32 v2, v9, v2, s0
	v_cndmask_b32_sdwa v6, v7, v6, vcc dst_sel:DWORD dst_unused:UNUSED_PAD src0_sel:DWORD src1_sel:WORD_1
	v_cmp_le_f32_e32 vcc, 0, v5
	s_nop 1
	v_cndmask_b32_sdwa v5, v7, v14, vcc dst_sel:DWORD dst_unused:UNUSED_PAD src0_sel:DWORD src1_sel:WORD_1
	v_perm_b32 v5, v6, v5, s0
	global_store_dwordx4 v1, v[2:5], s[14:15]
	s_mov_b64 s[0:1], 0
.LBB267_2:
	s_andn2_b64 vcc, exec, s[0:1]
	s_cbranch_vccnz .LBB267_41
; %bb.3:
	v_cmp_gt_i32_e64 s[0:1], s16, v0
	v_mov_b32_e32 v10, 0
	v_or_b32_e32 v2, s12, v0
	v_mov_b32_e32 v6, 0
	v_mov_b32_e32 v5, v0
	s_and_saveexec_b64 s[2:3], s[0:1]
	s_cbranch_execz .LBB267_5
; %bb.4:
	v_mov_b32_e32 v3, 0
	v_lshl_add_u64 v[4:5], v[2:3], 1, s[10:11]
	global_load_ushort v1, v[4:5], off
	v_or_b32_e32 v5, 0x100, v0
	s_waitcnt vmcnt(0)
	v_lshlrev_b32_e32 v6, 16, v1
.LBB267_5:
	s_or_b64 exec, exec, s[2:3]
	v_cmp_gt_i32_e32 vcc, s16, v5
	s_and_saveexec_b64 s[2:3], vcc
	s_cbranch_execz .LBB267_7
; %bb.6:
	v_add_u32_e32 v8, s12, v5
	v_mov_b32_e32 v9, 0
	v_lshl_add_u64 v[8:9], v[8:9], 1, s[10:11]
	global_load_ushort v1, v[8:9], off
	v_add_u32_e32 v5, 0x100, v5
	s_waitcnt vmcnt(0)
	v_lshlrev_b32_e32 v10, 16, v1
.LBB267_7:
	s_or_b64 exec, exec, s[2:3]
	v_cmp_gt_i32_e32 vcc, s16, v5
	v_mov_b32_e32 v7, 0
	v_mov_b32_e32 v11, 0
	s_and_saveexec_b64 s[2:3], vcc
	s_cbranch_execz .LBB267_9
; %bb.8:
	v_add_u32_e32 v8, s12, v5
	v_mov_b32_e32 v9, 0
	v_lshl_add_u64 v[8:9], v[8:9], 1, s[10:11]
	global_load_ushort v1, v[8:9], off
	v_add_u32_e32 v5, 0x100, v5
	s_waitcnt vmcnt(0)
	v_lshlrev_b32_e32 v11, 16, v1
.LBB267_9:
	s_or_b64 exec, exec, s[2:3]
	v_cmp_gt_i32_e32 vcc, s16, v5
	s_and_saveexec_b64 s[2:3], vcc
	s_cbranch_execz .LBB267_11
; %bb.10:
	v_add_u32_e32 v8, s12, v5
	v_mov_b32_e32 v9, 0
	v_lshl_add_u64 v[8:9], v[8:9], 1, s[10:11]
	global_load_ushort v1, v[8:9], off
	v_add_u32_e32 v5, 0x100, v5
	s_waitcnt vmcnt(0)
	v_lshlrev_b32_e32 v7, 16, v1
.LBB267_11:
	s_or_b64 exec, exec, s[2:3]
	v_cmp_gt_i32_e32 vcc, s16, v5
	v_mov_b32_e32 v3, 0
	v_mov_b32_e32 v9, 0
	s_and_saveexec_b64 s[2:3], vcc
	s_cbranch_execz .LBB267_13
; %bb.12:
	v_add_u32_e32 v8, s12, v5
	v_mov_b32_e32 v9, 0
	v_lshl_add_u64 v[8:9], v[8:9], 1, s[10:11]
	global_load_ushort v1, v[8:9], off
	v_add_u32_e32 v5, 0x100, v5
	s_waitcnt vmcnt(0)
	v_lshlrev_b32_e32 v9, 16, v1
.LBB267_13:
	s_or_b64 exec, exec, s[2:3]
	v_cmp_gt_i32_e32 vcc, s16, v5
	s_and_saveexec_b64 s[2:3], vcc
	s_cbranch_execz .LBB267_15
; %bb.14:
	v_add_u32_e32 v12, s12, v5
	v_mov_b32_e32 v13, 0
	v_lshl_add_u64 v[12:13], v[12:13], 1, s[10:11]
	global_load_ushort v1, v[12:13], off
	v_add_u32_e32 v5, 0x100, v5
	s_waitcnt vmcnt(0)
	v_lshlrev_b32_e32 v3, 16, v1
.LBB267_15:
	s_or_b64 exec, exec, s[2:3]
	v_cmp_gt_i32_e32 vcc, s16, v5
	v_mov_b32_e32 v1, 0
	v_mov_b32_e32 v4, 0
	s_and_saveexec_b64 s[2:3], vcc
	s_cbranch_execnz .LBB267_42
; %bb.16:
	s_or_b64 exec, exec, s[2:3]
	v_cmp_gt_i32_e32 vcc, s16, v5
	s_and_saveexec_b64 s[2:3], vcc
	s_cbranch_execnz .LBB267_43
.LBB267_17:
	s_or_b64 exec, exec, s[2:3]
                                        ; implicit-def: $vgpr5
	s_and_saveexec_b64 s[4:5], s[0:1]
	s_cbranch_execz .LBB267_19
.LBB267_18:
	s_mov_b32 s2, 0xf800000
	v_mul_f32_e32 v5, 0x4f800000, v6
	v_cmp_gt_f32_e32 vcc, s2, v6
	s_nop 1
	v_cndmask_b32_e32 v5, v6, v5, vcc
	v_sqrt_f32_e32 v8, v5
	s_nop 0
	v_add_u32_e32 v12, -1, v8
	v_fma_f32 v13, -v12, v8, v5
	v_cmp_ge_f32_e64 s[2:3], 0, v13
	v_add_u32_e32 v13, 1, v8
	s_nop 0
	v_cndmask_b32_e64 v12, v8, v12, s[2:3]
	v_fma_f32 v8, -v13, v8, v5
	v_cmp_lt_f32_e64 s[2:3], 0, v8
	s_nop 1
	v_cndmask_b32_e64 v8, v12, v13, s[2:3]
	v_mul_f32_e32 v12, 0x37800000, v8
	v_cndmask_b32_e32 v8, v8, v12, vcc
	v_mov_b32_e32 v12, 0x260
	v_cmp_class_f32_e32 vcc, v5, v12
	s_movk_i32 s2, 0x7fff
	s_nop 0
	v_cndmask_b32_e32 v5, v8, v5, vcc
	v_bfe_u32 v8, v5, 16, 1
	v_add3_u32 v5, v5, v8, s2
	v_cmp_le_f32_e32 vcc, 0, v6
	v_mov_b32_e32 v6, 0x7fc0
	s_nop 0
	v_cndmask_b32_sdwa v5, v6, v5, vcc dst_sel:DWORD dst_unused:UNUSED_PAD src0_sel:DWORD src1_sel:WORD_1
.LBB267_19:
	s_or_b64 exec, exec, s[4:5]
	v_or_b32_e32 v6, 0x100, v0
	v_cmp_gt_i32_e32 vcc, s16, v6
                                        ; implicit-def: $vgpr8
	s_and_saveexec_b64 s[4:5], vcc
	s_cbranch_execz .LBB267_21
; %bb.20:
	s_mov_b32 s2, 0xf800000
	v_mul_f32_e32 v8, 0x4f800000, v10
	v_cmp_gt_f32_e32 vcc, s2, v10
	s_nop 1
	v_cndmask_b32_e32 v8, v10, v8, vcc
	v_sqrt_f32_e32 v12, v8
	s_nop 0
	v_add_u32_e32 v13, -1, v12
	v_fma_f32 v14, -v13, v12, v8
	v_cmp_ge_f32_e64 s[2:3], 0, v14
	v_add_u32_e32 v14, 1, v12
	s_nop 0
	v_cndmask_b32_e64 v13, v12, v13, s[2:3]
	v_fma_f32 v12, -v14, v12, v8
	v_cmp_lt_f32_e64 s[2:3], 0, v12
	s_nop 1
	v_cndmask_b32_e64 v12, v13, v14, s[2:3]
	v_mul_f32_e32 v13, 0x37800000, v12
	v_cndmask_b32_e32 v12, v12, v13, vcc
	v_mov_b32_e32 v13, 0x260
	v_cmp_class_f32_e32 vcc, v8, v13
	s_movk_i32 s2, 0x7fff
	s_nop 0
	v_cndmask_b32_e32 v8, v12, v8, vcc
	v_bfe_u32 v12, v8, 16, 1
	v_add3_u32 v8, v8, v12, s2
	v_cmp_le_f32_e32 vcc, 0, v10
	v_mov_b32_e32 v10, 0x7fc0
	s_nop 0
	v_cndmask_b32_sdwa v8, v10, v8, vcc dst_sel:DWORD dst_unused:UNUSED_PAD src0_sel:DWORD src1_sel:WORD_1
.LBB267_21:
	s_or_b64 exec, exec, s[4:5]
	v_or_b32_e32 v10, 0x200, v0
	v_cmp_gt_i32_e32 vcc, s16, v10
                                        ; implicit-def: $vgpr10
	s_and_saveexec_b64 s[4:5], vcc
	s_cbranch_execz .LBB267_23
; %bb.22:
	s_mov_b32 s2, 0xf800000
	v_mul_f32_e32 v10, 0x4f800000, v11
	v_cmp_gt_f32_e32 vcc, s2, v11
	s_nop 1
	v_cndmask_b32_e32 v10, v11, v10, vcc
	v_sqrt_f32_e32 v12, v10
	s_nop 0
	v_add_u32_e32 v13, -1, v12
	v_fma_f32 v14, -v13, v12, v10
	v_cmp_ge_f32_e64 s[2:3], 0, v14
	v_add_u32_e32 v14, 1, v12
	s_nop 0
	v_cndmask_b32_e64 v13, v12, v13, s[2:3]
	v_fma_f32 v12, -v14, v12, v10
	v_cmp_lt_f32_e64 s[2:3], 0, v12
	s_nop 1
	v_cndmask_b32_e64 v12, v13, v14, s[2:3]
	v_mul_f32_e32 v13, 0x37800000, v12
	v_cndmask_b32_e32 v12, v12, v13, vcc
	v_mov_b32_e32 v13, 0x260
	v_cmp_class_f32_e32 vcc, v10, v13
	s_movk_i32 s2, 0x7fff
	s_nop 0
	v_cndmask_b32_e32 v10, v12, v10, vcc
	v_bfe_u32 v12, v10, 16, 1
	v_add3_u32 v10, v10, v12, s2
	v_cmp_le_f32_e32 vcc, 0, v11
	v_mov_b32_e32 v11, 0x7fc0
	s_nop 0
	v_cndmask_b32_sdwa v10, v11, v10, vcc dst_sel:DWORD dst_unused:UNUSED_PAD src0_sel:DWORD src1_sel:WORD_1
.LBB267_23:
	s_or_b64 exec, exec, s[4:5]
	v_or_b32_e32 v11, 0x300, v0
	v_cmp_gt_i32_e32 vcc, s16, v11
                                        ; implicit-def: $vgpr11
	s_and_saveexec_b64 s[4:5], vcc
	s_cbranch_execz .LBB267_25
; %bb.24:
	s_mov_b32 s2, 0xf800000
	v_mul_f32_e32 v11, 0x4f800000, v7
	v_cmp_gt_f32_e32 vcc, s2, v7
	s_nop 1
	v_cndmask_b32_e32 v11, v7, v11, vcc
	v_sqrt_f32_e32 v12, v11
	s_nop 0
	v_add_u32_e32 v13, -1, v12
	v_fma_f32 v14, -v13, v12, v11
	v_cmp_ge_f32_e64 s[2:3], 0, v14
	v_add_u32_e32 v14, 1, v12
	s_nop 0
	v_cndmask_b32_e64 v13, v12, v13, s[2:3]
	v_fma_f32 v12, -v14, v12, v11
	v_cmp_lt_f32_e64 s[2:3], 0, v12
	s_nop 1
	v_cndmask_b32_e64 v12, v13, v14, s[2:3]
	v_mul_f32_e32 v13, 0x37800000, v12
	v_cndmask_b32_e32 v12, v12, v13, vcc
	v_mov_b32_e32 v13, 0x260
	v_cmp_class_f32_e32 vcc, v11, v13
	s_movk_i32 s2, 0x7fff
	s_nop 0
	v_cndmask_b32_e32 v11, v12, v11, vcc
	v_bfe_u32 v12, v11, 16, 1
	v_add3_u32 v11, v11, v12, s2
	v_cmp_le_f32_e32 vcc, 0, v7
	v_mov_b32_e32 v7, 0x7fc0
	s_nop 0
	v_cndmask_b32_sdwa v11, v7, v11, vcc dst_sel:DWORD dst_unused:UNUSED_PAD src0_sel:DWORD src1_sel:WORD_1
.LBB267_25:
	s_or_b64 exec, exec, s[4:5]
	v_or_b32_e32 v7, 0x400, v0
	v_cmp_gt_i32_e32 vcc, s16, v7
                                        ; implicit-def: $vgpr7
	s_and_saveexec_b64 s[4:5], vcc
	s_cbranch_execz .LBB267_27
; %bb.26:
	s_mov_b32 s2, 0xf800000
	v_mul_f32_e32 v7, 0x4f800000, v9
	v_cmp_gt_f32_e32 vcc, s2, v9
	s_nop 1
	v_cndmask_b32_e32 v7, v9, v7, vcc
	v_sqrt_f32_e32 v12, v7
	s_nop 0
	v_add_u32_e32 v13, -1, v12
	v_fma_f32 v14, -v13, v12, v7
	v_cmp_ge_f32_e64 s[2:3], 0, v14
	v_add_u32_e32 v14, 1, v12
	s_nop 0
	v_cndmask_b32_e64 v13, v12, v13, s[2:3]
	v_fma_f32 v12, -v14, v12, v7
	v_cmp_lt_f32_e64 s[2:3], 0, v12
	s_nop 1
	v_cndmask_b32_e64 v12, v13, v14, s[2:3]
	v_mul_f32_e32 v13, 0x37800000, v12
	v_cndmask_b32_e32 v12, v12, v13, vcc
	v_mov_b32_e32 v13, 0x260
	v_cmp_class_f32_e32 vcc, v7, v13
	s_movk_i32 s2, 0x7fff
	s_nop 0
	v_cndmask_b32_e32 v7, v12, v7, vcc
	v_bfe_u32 v12, v7, 16, 1
	v_add3_u32 v7, v7, v12, s2
	v_cmp_le_f32_e32 vcc, 0, v9
	v_mov_b32_e32 v9, 0x7fc0
	s_nop 0
	v_cndmask_b32_sdwa v7, v9, v7, vcc dst_sel:DWORD dst_unused:UNUSED_PAD src0_sel:DWORD src1_sel:WORD_1
.LBB267_27:
	s_or_b64 exec, exec, s[4:5]
	v_or_b32_e32 v9, 0x500, v0
	v_cmp_gt_i32_e32 vcc, s16, v9
                                        ; implicit-def: $vgpr9
	s_and_saveexec_b64 s[4:5], vcc
	s_cbranch_execz .LBB267_29
; %bb.28:
	s_mov_b32 s2, 0xf800000
	v_mul_f32_e32 v9, 0x4f800000, v3
	v_cmp_gt_f32_e32 vcc, s2, v3
	s_nop 1
	v_cndmask_b32_e32 v9, v3, v9, vcc
	v_sqrt_f32_e32 v12, v9
	s_nop 0
	v_add_u32_e32 v13, -1, v12
	v_fma_f32 v14, -v13, v12, v9
	v_cmp_ge_f32_e64 s[2:3], 0, v14
	v_add_u32_e32 v14, 1, v12
	s_nop 0
	v_cndmask_b32_e64 v13, v12, v13, s[2:3]
	v_fma_f32 v12, -v14, v12, v9
	v_cmp_lt_f32_e64 s[2:3], 0, v12
	s_nop 1
	v_cndmask_b32_e64 v12, v13, v14, s[2:3]
	v_mul_f32_e32 v13, 0x37800000, v12
	v_cndmask_b32_e32 v12, v12, v13, vcc
	v_mov_b32_e32 v13, 0x260
	v_cmp_class_f32_e32 vcc, v9, v13
	s_movk_i32 s2, 0x7fff
	s_nop 0
	v_cndmask_b32_e32 v9, v12, v9, vcc
	v_bfe_u32 v12, v9, 16, 1
	v_add3_u32 v9, v9, v12, s2
	v_cmp_le_f32_e32 vcc, 0, v3
	v_mov_b32_e32 v3, 0x7fc0
	s_nop 0
	v_cndmask_b32_sdwa v9, v3, v9, vcc dst_sel:DWORD dst_unused:UNUSED_PAD src0_sel:DWORD src1_sel:WORD_1
.LBB267_29:
	s_or_b64 exec, exec, s[4:5]
	v_or_b32_e32 v3, 0x600, v0
	v_cmp_gt_i32_e32 vcc, s16, v3
                                        ; implicit-def: $vgpr12
	s_and_saveexec_b64 s[4:5], vcc
	s_cbranch_execz .LBB267_31
; %bb.30:
	s_mov_b32 s2, 0xf800000
	v_mul_f32_e32 v3, 0x4f800000, v4
	v_cmp_gt_f32_e32 vcc, s2, v4
	s_nop 1
	v_cndmask_b32_e32 v3, v4, v3, vcc
	v_sqrt_f32_e32 v12, v3
	s_nop 0
	v_add_u32_e32 v13, -1, v12
	v_fma_f32 v14, -v13, v12, v3
	v_cmp_ge_f32_e64 s[2:3], 0, v14
	v_add_u32_e32 v14, 1, v12
	s_nop 0
	v_cndmask_b32_e64 v13, v12, v13, s[2:3]
	v_fma_f32 v12, -v14, v12, v3
	v_cmp_lt_f32_e64 s[2:3], 0, v12
	s_nop 1
	v_cndmask_b32_e64 v12, v13, v14, s[2:3]
	v_mul_f32_e32 v13, 0x37800000, v12
	v_cndmask_b32_e32 v12, v12, v13, vcc
	v_mov_b32_e32 v13, 0x260
	v_cmp_class_f32_e32 vcc, v3, v13
	s_movk_i32 s2, 0x7fff
	s_nop 0
	v_cndmask_b32_e32 v3, v12, v3, vcc
	v_bfe_u32 v12, v3, 16, 1
	v_add3_u32 v3, v3, v12, s2
	v_cmp_le_f32_e32 vcc, 0, v4
	v_mov_b32_e32 v4, 0x7fc0
	s_nop 0
	v_cndmask_b32_sdwa v12, v4, v3, vcc dst_sel:DWORD dst_unused:UNUSED_PAD src0_sel:DWORD src1_sel:WORD_1
.LBB267_31:
	s_or_b64 exec, exec, s[4:5]
	v_or_b32_e32 v3, 0x700, v0
	v_cmp_gt_i32_e32 vcc, s16, v3
                                        ; implicit-def: $vgpr4
	s_and_saveexec_b64 s[4:5], vcc
	s_cbranch_execnz .LBB267_44
; %bb.32:
	s_or_b64 exec, exec, s[4:5]
	s_and_saveexec_b64 s[2:3], s[0:1]
	s_xor_b64 s[0:1], exec, s[2:3]
	s_cbranch_execnz .LBB267_45
.LBB267_33:
	s_or_b64 exec, exec, s[0:1]
	v_cmp_gt_i32_e32 vcc, s16, v0
	s_and_saveexec_b64 s[0:1], vcc
	s_cbranch_execnz .LBB267_46
.LBB267_34:
	s_or_b64 exec, exec, s[0:1]
	v_cmp_gt_i32_e32 vcc, s16, v0
	s_and_saveexec_b64 s[0:1], vcc
	s_cbranch_execnz .LBB267_47
.LBB267_35:
	s_or_b64 exec, exec, s[0:1]
	v_cmp_gt_i32_e32 vcc, s16, v0
	s_and_saveexec_b64 s[0:1], vcc
	s_cbranch_execnz .LBB267_48
.LBB267_36:
	s_or_b64 exec, exec, s[0:1]
	v_cmp_gt_i32_e32 vcc, s16, v0
	s_and_saveexec_b64 s[0:1], vcc
	s_cbranch_execnz .LBB267_49
.LBB267_37:
	s_or_b64 exec, exec, s[0:1]
	v_cmp_gt_i32_e32 vcc, s16, v0
	s_and_saveexec_b64 s[0:1], vcc
	s_cbranch_execnz .LBB267_50
.LBB267_38:
	s_or_b64 exec, exec, s[0:1]
	v_cmp_gt_i32_e32 vcc, s16, v0
	s_and_saveexec_b64 s[0:1], vcc
	s_cbranch_execnz .LBB267_51
.LBB267_39:
	s_or_b64 exec, exec, s[0:1]
	v_cmp_gt_i32_e32 vcc, s16, v0
	s_and_saveexec_b64 s[0:1], vcc
	s_cbranch_execz .LBB267_41
.LBB267_40:
	v_add_u32_e32 v0, s12, v0
	v_mov_b32_e32 v1, 0
	v_lshl_add_u64 v[0:1], v[0:1], 1, s[8:9]
	global_store_short v[0:1], v4, off
.LBB267_41:
	s_endpgm
.LBB267_42:
	v_add_u32_e32 v12, s12, v5
	v_mov_b32_e32 v13, 0
	v_lshl_add_u64 v[12:13], v[12:13], 1, s[10:11]
	global_load_ushort v4, v[12:13], off
	v_add_u32_e32 v5, 0x100, v5
	s_waitcnt vmcnt(0)
	v_lshlrev_b32_e32 v4, 16, v4
	s_or_b64 exec, exec, s[2:3]
	v_cmp_gt_i32_e32 vcc, s16, v5
	s_and_saveexec_b64 s[2:3], vcc
	s_cbranch_execz .LBB267_17
.LBB267_43:
	v_add_u32_e32 v12, s12, v5
	v_mov_b32_e32 v13, 0
	v_lshl_add_u64 v[12:13], v[12:13], 1, s[10:11]
	global_load_ushort v1, v[12:13], off
	s_waitcnt vmcnt(0)
	v_lshlrev_b32_e32 v1, 16, v1
	s_or_b64 exec, exec, s[2:3]
                                        ; implicit-def: $vgpr5
	s_and_saveexec_b64 s[4:5], s[0:1]
	s_cbranch_execnz .LBB267_18
	s_branch .LBB267_19
.LBB267_44:
	s_mov_b32 s2, 0xf800000
	v_mul_f32_e32 v3, 0x4f800000, v1
	v_cmp_gt_f32_e32 vcc, s2, v1
	s_nop 1
	v_cndmask_b32_e32 v3, v1, v3, vcc
	v_sqrt_f32_e32 v4, v3
	s_nop 0
	v_add_u32_e32 v13, -1, v4
	v_fma_f32 v14, -v13, v4, v3
	v_cmp_ge_f32_e64 s[2:3], 0, v14
	v_add_u32_e32 v14, 1, v4
	s_nop 0
	v_cndmask_b32_e64 v13, v4, v13, s[2:3]
	v_fma_f32 v4, -v14, v4, v3
	v_cmp_lt_f32_e64 s[2:3], 0, v4
	s_nop 1
	v_cndmask_b32_e64 v4, v13, v14, s[2:3]
	v_mul_f32_e32 v13, 0x37800000, v4
	v_cndmask_b32_e32 v4, v4, v13, vcc
	v_mov_b32_e32 v13, 0x260
	v_cmp_class_f32_e32 vcc, v3, v13
	s_movk_i32 s2, 0x7fff
	s_nop 0
	v_cndmask_b32_e32 v3, v4, v3, vcc
	v_bfe_u32 v4, v3, 16, 1
	v_add3_u32 v3, v3, v4, s2
	v_cmp_le_f32_e32 vcc, 0, v1
	v_mov_b32_e32 v1, 0x7fc0
	s_nop 0
	v_cndmask_b32_sdwa v4, v1, v3, vcc dst_sel:DWORD dst_unused:UNUSED_PAD src0_sel:DWORD src1_sel:WORD_1
	s_or_b64 exec, exec, s[4:5]
	s_and_saveexec_b64 s[2:3], s[0:1]
	s_xor_b64 s[0:1], exec, s[2:3]
	s_cbranch_execz .LBB267_33
.LBB267_45:
	v_mov_b32_e32 v3, 0
	v_lshl_add_u64 v[0:1], v[2:3], 1, s[8:9]
	global_store_short v[0:1], v5, off
	v_mov_b32_e32 v0, v6
	s_or_b64 exec, exec, s[0:1]
	v_cmp_gt_i32_e32 vcc, s16, v0
	s_and_saveexec_b64 s[0:1], vcc
	s_cbranch_execz .LBB267_34
.LBB267_46:
	v_add_u32_e32 v2, s12, v0
	v_mov_b32_e32 v3, 0
	v_lshl_add_u64 v[2:3], v[2:3], 1, s[8:9]
	v_add_u32_e32 v0, 0x100, v0
	global_store_short v[2:3], v8, off
	s_or_b64 exec, exec, s[0:1]
	v_cmp_gt_i32_e32 vcc, s16, v0
	s_and_saveexec_b64 s[0:1], vcc
	s_cbranch_execz .LBB267_35
.LBB267_47:
	v_add_u32_e32 v2, s12, v0
	v_mov_b32_e32 v3, 0
	v_lshl_add_u64 v[2:3], v[2:3], 1, s[8:9]
	v_add_u32_e32 v0, 0x100, v0
	global_store_short v[2:3], v10, off
	s_or_b64 exec, exec, s[0:1]
	v_cmp_gt_i32_e32 vcc, s16, v0
	s_and_saveexec_b64 s[0:1], vcc
	s_cbranch_execz .LBB267_36
.LBB267_48:
	v_add_u32_e32 v2, s12, v0
	v_mov_b32_e32 v3, 0
	v_lshl_add_u64 v[2:3], v[2:3], 1, s[8:9]
	v_add_u32_e32 v0, 0x100, v0
	global_store_short v[2:3], v11, off
	s_or_b64 exec, exec, s[0:1]
	v_cmp_gt_i32_e32 vcc, s16, v0
	s_and_saveexec_b64 s[0:1], vcc
	s_cbranch_execz .LBB267_37
.LBB267_49:
	v_add_u32_e32 v2, s12, v0
	v_mov_b32_e32 v3, 0
	v_lshl_add_u64 v[2:3], v[2:3], 1, s[8:9]
	v_add_u32_e32 v0, 0x100, v0
	global_store_short v[2:3], v7, off
	s_or_b64 exec, exec, s[0:1]
	v_cmp_gt_i32_e32 vcc, s16, v0
	s_and_saveexec_b64 s[0:1], vcc
	s_cbranch_execz .LBB267_38
.LBB267_50:
	v_add_u32_e32 v2, s12, v0
	v_mov_b32_e32 v3, 0
	v_lshl_add_u64 v[2:3], v[2:3], 1, s[8:9]
	v_add_u32_e32 v0, 0x100, v0
	global_store_short v[2:3], v9, off
	s_or_b64 exec, exec, s[0:1]
	v_cmp_gt_i32_e32 vcc, s16, v0
	s_and_saveexec_b64 s[0:1], vcc
	s_cbranch_execz .LBB267_39
.LBB267_51:
	v_add_u32_e32 v2, s12, v0
	v_mov_b32_e32 v3, 0
	v_lshl_add_u64 v[2:3], v[2:3], 1, s[8:9]
	v_add_u32_e32 v0, 0x100, v0
	global_store_short v[2:3], v12, off
	s_or_b64 exec, exec, s[0:1]
	v_cmp_gt_i32_e32 vcc, s16, v0
	s_and_saveexec_b64 s[0:1], vcc
	s_cbranch_execnz .LBB267_40
	s_branch .LBB267_41
	.section	.rodata,"a",@progbits
	.p2align	6, 0x0
	.amdhsa_kernel _ZN2at6native29vectorized_elementwise_kernelILi8EZZZNS0_16sqrt_kernel_cudaERNS_18TensorIteratorBaseEENKUlvE0_clEvENKUlvE2_clEvEUlN3c108BFloat16EE_St5arrayIPcLm2EEEEviT0_T1_
		.amdhsa_group_segment_fixed_size 0
		.amdhsa_private_segment_fixed_size 0
		.amdhsa_kernarg_size 24
		.amdhsa_user_sgpr_count 2
		.amdhsa_user_sgpr_dispatch_ptr 0
		.amdhsa_user_sgpr_queue_ptr 0
		.amdhsa_user_sgpr_kernarg_segment_ptr 1
		.amdhsa_user_sgpr_dispatch_id 0
		.amdhsa_user_sgpr_kernarg_preload_length 0
		.amdhsa_user_sgpr_kernarg_preload_offset 0
		.amdhsa_user_sgpr_private_segment_size 0
		.amdhsa_uses_dynamic_stack 0
		.amdhsa_enable_private_segment 0
		.amdhsa_system_sgpr_workgroup_id_x 1
		.amdhsa_system_sgpr_workgroup_id_y 0
		.amdhsa_system_sgpr_workgroup_id_z 0
		.amdhsa_system_sgpr_workgroup_info 0
		.amdhsa_system_vgpr_workitem_id 0
		.amdhsa_next_free_vgpr 36
		.amdhsa_next_free_sgpr 18
		.amdhsa_accum_offset 36
		.amdhsa_reserve_vcc 1
		.amdhsa_float_round_mode_32 0
		.amdhsa_float_round_mode_16_64 0
		.amdhsa_float_denorm_mode_32 3
		.amdhsa_float_denorm_mode_16_64 3
		.amdhsa_dx10_clamp 1
		.amdhsa_ieee_mode 1
		.amdhsa_fp16_overflow 0
		.amdhsa_tg_split 0
		.amdhsa_exception_fp_ieee_invalid_op 0
		.amdhsa_exception_fp_denorm_src 0
		.amdhsa_exception_fp_ieee_div_zero 0
		.amdhsa_exception_fp_ieee_overflow 0
		.amdhsa_exception_fp_ieee_underflow 0
		.amdhsa_exception_fp_ieee_inexact 0
		.amdhsa_exception_int_div_zero 0
	.end_amdhsa_kernel
	.section	.text._ZN2at6native29vectorized_elementwise_kernelILi8EZZZNS0_16sqrt_kernel_cudaERNS_18TensorIteratorBaseEENKUlvE0_clEvENKUlvE2_clEvEUlN3c108BFloat16EE_St5arrayIPcLm2EEEEviT0_T1_,"axG",@progbits,_ZN2at6native29vectorized_elementwise_kernelILi8EZZZNS0_16sqrt_kernel_cudaERNS_18TensorIteratorBaseEENKUlvE0_clEvENKUlvE2_clEvEUlN3c108BFloat16EE_St5arrayIPcLm2EEEEviT0_T1_,comdat
.Lfunc_end267:
	.size	_ZN2at6native29vectorized_elementwise_kernelILi8EZZZNS0_16sqrt_kernel_cudaERNS_18TensorIteratorBaseEENKUlvE0_clEvENKUlvE2_clEvEUlN3c108BFloat16EE_St5arrayIPcLm2EEEEviT0_T1_, .Lfunc_end267-_ZN2at6native29vectorized_elementwise_kernelILi8EZZZNS0_16sqrt_kernel_cudaERNS_18TensorIteratorBaseEENKUlvE0_clEvENKUlvE2_clEvEUlN3c108BFloat16EE_St5arrayIPcLm2EEEEviT0_T1_
                                        ; -- End function
	.set _ZN2at6native29vectorized_elementwise_kernelILi8EZZZNS0_16sqrt_kernel_cudaERNS_18TensorIteratorBaseEENKUlvE0_clEvENKUlvE2_clEvEUlN3c108BFloat16EE_St5arrayIPcLm2EEEEviT0_T1_.num_vgpr, 36
	.set _ZN2at6native29vectorized_elementwise_kernelILi8EZZZNS0_16sqrt_kernel_cudaERNS_18TensorIteratorBaseEENKUlvE0_clEvENKUlvE2_clEvEUlN3c108BFloat16EE_St5arrayIPcLm2EEEEviT0_T1_.num_agpr, 0
	.set _ZN2at6native29vectorized_elementwise_kernelILi8EZZZNS0_16sqrt_kernel_cudaERNS_18TensorIteratorBaseEENKUlvE0_clEvENKUlvE2_clEvEUlN3c108BFloat16EE_St5arrayIPcLm2EEEEviT0_T1_.numbered_sgpr, 18
	.set _ZN2at6native29vectorized_elementwise_kernelILi8EZZZNS0_16sqrt_kernel_cudaERNS_18TensorIteratorBaseEENKUlvE0_clEvENKUlvE2_clEvEUlN3c108BFloat16EE_St5arrayIPcLm2EEEEviT0_T1_.num_named_barrier, 0
	.set _ZN2at6native29vectorized_elementwise_kernelILi8EZZZNS0_16sqrt_kernel_cudaERNS_18TensorIteratorBaseEENKUlvE0_clEvENKUlvE2_clEvEUlN3c108BFloat16EE_St5arrayIPcLm2EEEEviT0_T1_.private_seg_size, 0
	.set _ZN2at6native29vectorized_elementwise_kernelILi8EZZZNS0_16sqrt_kernel_cudaERNS_18TensorIteratorBaseEENKUlvE0_clEvENKUlvE2_clEvEUlN3c108BFloat16EE_St5arrayIPcLm2EEEEviT0_T1_.uses_vcc, 1
	.set _ZN2at6native29vectorized_elementwise_kernelILi8EZZZNS0_16sqrt_kernel_cudaERNS_18TensorIteratorBaseEENKUlvE0_clEvENKUlvE2_clEvEUlN3c108BFloat16EE_St5arrayIPcLm2EEEEviT0_T1_.uses_flat_scratch, 0
	.set _ZN2at6native29vectorized_elementwise_kernelILi8EZZZNS0_16sqrt_kernel_cudaERNS_18TensorIteratorBaseEENKUlvE0_clEvENKUlvE2_clEvEUlN3c108BFloat16EE_St5arrayIPcLm2EEEEviT0_T1_.has_dyn_sized_stack, 0
	.set _ZN2at6native29vectorized_elementwise_kernelILi8EZZZNS0_16sqrt_kernel_cudaERNS_18TensorIteratorBaseEENKUlvE0_clEvENKUlvE2_clEvEUlN3c108BFloat16EE_St5arrayIPcLm2EEEEviT0_T1_.has_recursion, 0
	.set _ZN2at6native29vectorized_elementwise_kernelILi8EZZZNS0_16sqrt_kernel_cudaERNS_18TensorIteratorBaseEENKUlvE0_clEvENKUlvE2_clEvEUlN3c108BFloat16EE_St5arrayIPcLm2EEEEviT0_T1_.has_indirect_call, 0
	.section	.AMDGPU.csdata,"",@progbits
; Kernel info:
; codeLenInByte = 3900
; TotalNumSgprs: 24
; NumVgprs: 36
; NumAgprs: 0
; TotalNumVgprs: 36
; ScratchSize: 0
; MemoryBound: 0
; FloatMode: 240
; IeeeMode: 1
; LDSByteSize: 0 bytes/workgroup (compile time only)
; SGPRBlocks: 2
; VGPRBlocks: 4
; NumSGPRsForWavesPerEU: 24
; NumVGPRsForWavesPerEU: 36
; AccumOffset: 36
; Occupancy: 8
; WaveLimiterHint : 0
; COMPUTE_PGM_RSRC2:SCRATCH_EN: 0
; COMPUTE_PGM_RSRC2:USER_SGPR: 2
; COMPUTE_PGM_RSRC2:TRAP_HANDLER: 0
; COMPUTE_PGM_RSRC2:TGID_X_EN: 1
; COMPUTE_PGM_RSRC2:TGID_Y_EN: 0
; COMPUTE_PGM_RSRC2:TGID_Z_EN: 0
; COMPUTE_PGM_RSRC2:TIDIG_COMP_CNT: 0
; COMPUTE_PGM_RSRC3_GFX90A:ACCUM_OFFSET: 8
; COMPUTE_PGM_RSRC3_GFX90A:TG_SPLIT: 0
	.section	.text._ZN2at6native29vectorized_elementwise_kernelILi4EZZZNS0_16sqrt_kernel_cudaERNS_18TensorIteratorBaseEENKUlvE0_clEvENKUlvE2_clEvEUlN3c108BFloat16EE_St5arrayIPcLm2EEEEviT0_T1_,"axG",@progbits,_ZN2at6native29vectorized_elementwise_kernelILi4EZZZNS0_16sqrt_kernel_cudaERNS_18TensorIteratorBaseEENKUlvE0_clEvENKUlvE2_clEvEUlN3c108BFloat16EE_St5arrayIPcLm2EEEEviT0_T1_,comdat
	.globl	_ZN2at6native29vectorized_elementwise_kernelILi4EZZZNS0_16sqrt_kernel_cudaERNS_18TensorIteratorBaseEENKUlvE0_clEvENKUlvE2_clEvEUlN3c108BFloat16EE_St5arrayIPcLm2EEEEviT0_T1_ ; -- Begin function _ZN2at6native29vectorized_elementwise_kernelILi4EZZZNS0_16sqrt_kernel_cudaERNS_18TensorIteratorBaseEENKUlvE0_clEvENKUlvE2_clEvEUlN3c108BFloat16EE_St5arrayIPcLm2EEEEviT0_T1_
	.p2align	8
	.type	_ZN2at6native29vectorized_elementwise_kernelILi4EZZZNS0_16sqrt_kernel_cudaERNS_18TensorIteratorBaseEENKUlvE0_clEvENKUlvE2_clEvEUlN3c108BFloat16EE_St5arrayIPcLm2EEEEviT0_T1_,@function
_ZN2at6native29vectorized_elementwise_kernelILi4EZZZNS0_16sqrt_kernel_cudaERNS_18TensorIteratorBaseEENKUlvE0_clEvENKUlvE2_clEvEUlN3c108BFloat16EE_St5arrayIPcLm2EEEEviT0_T1_: ; @_ZN2at6native29vectorized_elementwise_kernelILi4EZZZNS0_16sqrt_kernel_cudaERNS_18TensorIteratorBaseEENKUlvE0_clEvENKUlvE2_clEvEUlN3c108BFloat16EE_St5arrayIPcLm2EEEEviT0_T1_
; %bb.0:
	s_load_dword s3, s[0:1], 0x0
	s_load_dwordx4 s[12:15], s[0:1], 0x8
	s_lshl_b32 s10, s2, 11
	s_mov_b64 s[0:1], -1
	s_waitcnt lgkmcnt(0)
	s_sub_i32 s18, s3, s10
	s_cmpk_gt_i32 s18, 0x7ff
	s_cbranch_scc0 .LBB268_2
; %bb.1:
	s_ashr_i32 s11, s10, 31
	s_lshl_b64 s[16:17], s[10:11], 1
	s_add_u32 s0, s14, s16
	s_addc_u32 s1, s15, s17
	v_lshlrev_b32_e32 v1, 3, v0
	global_load_dwordx2 v[4:5], v1, s[0:1]
	global_load_dwordx2 v[2:3], v1, s[0:1] offset:2048
	s_mov_b32 s11, 0xf800000
	v_mov_b32_e32 v6, 0x260
	s_movk_i32 s19, 0x7fff
	v_mov_b32_e32 v7, 0x7fc0
	v_mov_b32_e32 v8, 0x7fc00000
	s_waitcnt vmcnt(1)
	v_lshlrev_b32_e32 v9, 16, v4
	v_and_b32_e32 v4, 0xffff0000, v4
	v_mul_f32_e32 v12, 0x4f800000, v9
	v_cmp_gt_f32_e32 vcc, s11, v9
	v_lshlrev_b32_e32 v10, 16, v5
	v_mul_f32_e32 v13, 0x4f800000, v4
	v_cndmask_b32_e32 v12, v9, v12, vcc
	v_cmp_gt_f32_e64 s[0:1], s11, v4
	v_and_b32_e32 v5, 0xffff0000, v5
	v_mul_f32_e32 v14, 0x4f800000, v10
	v_cndmask_b32_e64 v13, v4, v13, s[0:1]
	v_cmp_gt_f32_e64 s[2:3], s11, v10
	v_sqrt_f32_e32 v17, v12
	v_mul_f32_e32 v15, 0x4f800000, v5
	v_cndmask_b32_e64 v14, v10, v14, s[2:3]
	v_cmp_gt_f32_e64 s[4:5], s11, v5
	v_sqrt_f32_e32 v18, v13
	v_sqrt_f32_e32 v19, v14
	v_cndmask_b32_e64 v15, v5, v15, s[4:5]
	v_sqrt_f32_e32 v20, v15
	v_add_u32_e32 v21, -1, v17
	v_add_u32_e32 v23, -1, v18
	v_fma_f32 v29, -v21, v17, v12
	v_add_u32_e32 v22, 1, v17
	v_add_u32_e32 v25, -1, v19
	v_fma_f32 v31, -v23, v18, v13
	v_cmp_ge_f32_e64 s[8:9], 0, v29
	v_add_u32_e32 v24, 1, v18
	v_add_u32_e32 v27, -1, v20
	v_fma_f32 v30, -v22, v17, v12
	v_fma_f32 v33, -v25, v19, v14
	v_cndmask_b32_e64 v17, v17, v21, s[8:9]
	v_cmp_ge_f32_e64 s[8:9], 0, v31
	v_add_u32_e32 v26, 1, v19
	v_fma_f32 v32, -v24, v18, v13
	v_fma_f32 v35, -v27, v20, v15
	v_cndmask_b32_e64 v18, v18, v23, s[8:9]
	v_cmp_ge_f32_e64 s[8:9], 0, v33
	v_add_u32_e32 v28, 1, v20
	v_fma_f32 v34, -v26, v19, v14
	v_cndmask_b32_e64 v19, v19, v25, s[8:9]
	v_cmp_ge_f32_e64 s[8:9], 0, v35
	v_fma_f32 v36, -v28, v20, v15
	s_waitcnt vmcnt(0)
	v_lshlrev_b32_e32 v11, 16, v2
	v_cndmask_b32_e64 v20, v20, v27, s[8:9]
	v_cmp_lt_f32_e64 s[8:9], 0, v30
	v_mul_f32_e32 v16, 0x4f800000, v11
	v_cmp_gt_f32_e64 s[6:7], s11, v11
	v_cndmask_b32_e64 v17, v17, v22, s[8:9]
	v_cmp_lt_f32_e64 s[8:9], 0, v32
	v_mul_f32_e32 v21, 0x37800000, v17
	v_cndmask_b32_e32 v17, v17, v21, vcc
	v_cndmask_b32_e64 v18, v18, v24, s[8:9]
	v_cmp_lt_f32_e64 s[8:9], 0, v34
	v_mul_f32_e32 v22, 0x37800000, v18
	v_cmp_class_f32_e32 vcc, v12, v6
	v_cndmask_b32_e64 v19, v19, v26, s[8:9]
	v_cmp_lt_f32_e64 s[8:9], 0, v36
	v_mul_f32_e32 v23, 0x37800000, v19
	v_cndmask_b32_e64 v18, v18, v22, s[0:1]
	v_cndmask_b32_e64 v20, v20, v28, s[8:9]
	v_cndmask_b32_e32 v12, v17, v12, vcc
	v_cmp_class_f32_e32 vcc, v13, v6
	v_mul_f32_e32 v24, 0x37800000, v20
	v_cndmask_b32_e64 v19, v19, v23, s[2:3]
	v_cndmask_b32_e32 v13, v18, v13, vcc
	v_cmp_class_f32_e32 vcc, v14, v6
	v_bfe_u32 v17, v12, 16, 1
	v_cndmask_b32_e64 v20, v20, v24, s[4:5]
	v_cndmask_b32_e32 v14, v19, v14, vcc
	v_cmp_class_f32_e32 vcc, v15, v6
	v_bfe_u32 v18, v13, 16, 1
	v_add3_u32 v12, v12, v17, s19
	v_cndmask_b32_e32 v15, v20, v15, vcc
	v_add3_u32 v13, v13, v18, s19
	v_lshrrev_b32_e32 v12, 16, v12
	v_cmp_le_f32_e32 vcc, 0, v9
	v_and_b32_e32 v13, 0xffff0000, v13
	v_cndmask_b32_e64 v16, v11, v16, s[6:7]
	v_cndmask_b32_e32 v9, v7, v12, vcc
	v_cmp_le_f32_e32 vcc, 0, v4
	v_bfe_u32 v19, v14, 16, 1
	v_bfe_u32 v20, v15, 16, 1
	v_cndmask_b32_e32 v4, v8, v13, vcc
	v_add3_u32 v14, v14, v19, s19
	v_or_b32_e32 v4, v9, v4
	v_sqrt_f32_e32 v9, v16
	v_add3_u32 v15, v15, v20, s19
	v_lshrrev_b32_e32 v14, 16, v14
	v_cmp_le_f32_e32 vcc, 0, v10
	v_and_b32_e32 v15, 0xffff0000, v15
	v_and_b32_e32 v2, 0xffff0000, v2
	v_cndmask_b32_e32 v10, v7, v14, vcc
	v_cmp_le_f32_e32 vcc, 0, v5
	v_cmp_le_f32_e64 s[0:1], 0, v11
	v_or3_b32 v4, v4, 0, 0
	v_cndmask_b32_e32 v5, v8, v15, vcc
	v_or3_b32 v5, 0, v10, v5
	v_add_u32_e32 v10, -1, v9
	v_fma_f32 v12, -v10, v9, v16
	v_cmp_ge_f32_e32 vcc, 0, v12
	v_add_u32_e32 v12, 1, v9
	s_nop 0
	v_cndmask_b32_e32 v10, v9, v10, vcc
	v_fma_f32 v9, -v12, v9, v16
	v_cmp_lt_f32_e32 vcc, 0, v9
	s_nop 1
	v_cndmask_b32_e32 v9, v10, v12, vcc
	v_mul_f32_e32 v10, 0x37800000, v9
	v_cndmask_b32_e64 v9, v9, v10, s[6:7]
	v_cmp_class_f32_e32 vcc, v16, v6
	s_nop 1
	v_cndmask_b32_e32 v9, v9, v16, vcc
	v_bfe_u32 v10, v9, 16, 1
	v_add3_u32 v9, v9, v10, s19
	v_mul_f32_e32 v10, 0x4f800000, v2
	v_cmp_gt_f32_e32 vcc, s11, v2
	v_lshrrev_b32_e32 v9, 16, v9
	v_cndmask_b32_e64 v9, v7, v9, s[0:1]
	v_cndmask_b32_e32 v10, v2, v10, vcc
	v_sqrt_f32_e32 v12, v10
	s_nop 0
	v_add_u32_e32 v11, -1, v12
	v_fma_f32 v13, -v11, v12, v10
	v_cmp_ge_f32_e64 s[0:1], 0, v13
	v_add_u32_e32 v13, 1, v12
	s_nop 0
	v_cndmask_b32_e64 v11, v12, v11, s[0:1]
	v_fma_f32 v12, -v13, v12, v10
	v_cmp_lt_f32_e64 s[0:1], 0, v12
	s_nop 1
	v_cndmask_b32_e64 v11, v11, v13, s[0:1]
	v_mul_f32_e32 v12, 0x37800000, v11
	v_cndmask_b32_e32 v11, v11, v12, vcc
	v_cmp_class_f32_e32 vcc, v10, v6
	v_cmp_le_f32_e64 s[0:1], 0, v2
	s_nop 0
	v_cndmask_b32_e32 v10, v11, v10, vcc
	v_bfe_u32 v11, v10, 16, 1
	v_add3_u32 v10, v10, v11, s19
	v_lshlrev_b32_e32 v11, 16, v3
	v_mul_f32_e32 v12, 0x4f800000, v11
	v_cmp_gt_f32_e32 vcc, s11, v11
	v_and_b32_e32 v10, 0xffff0000, v10
	v_cndmask_b32_e64 v2, v8, v10, s[0:1]
	v_cndmask_b32_e32 v12, v11, v12, vcc
	v_sqrt_f32_e32 v13, v12
	v_or_b32_e32 v2, v9, v2
	v_and_b32_e32 v3, 0xffff0000, v3
	v_or3_b32 v2, v2, 0, 0
	v_add_u32_e32 v9, -1, v13
	v_fma_f32 v10, -v9, v13, v12
	v_cmp_ge_f32_e64 s[0:1], 0, v10
	v_add_u32_e32 v10, 1, v13
	s_nop 0
	v_cndmask_b32_e64 v9, v13, v9, s[0:1]
	v_fma_f32 v13, -v10, v13, v12
	v_cmp_lt_f32_e64 s[0:1], 0, v13
	s_nop 1
	v_cndmask_b32_e64 v9, v9, v10, s[0:1]
	v_mul_f32_e32 v10, 0x37800000, v9
	v_cndmask_b32_e32 v9, v9, v10, vcc
	v_cmp_class_f32_e32 vcc, v12, v6
	v_cmp_le_f32_e64 s[0:1], 0, v11
	s_nop 0
	v_cndmask_b32_e32 v9, v9, v12, vcc
	v_bfe_u32 v10, v9, 16, 1
	v_add3_u32 v9, v9, v10, s19
	v_mul_f32_e32 v10, 0x4f800000, v3
	v_cmp_gt_f32_e32 vcc, s11, v3
	v_lshrrev_b32_e32 v9, 16, v9
	v_cndmask_b32_e64 v7, v7, v9, s[0:1]
	v_cndmask_b32_e32 v10, v3, v10, vcc
	v_sqrt_f32_e32 v12, v10
	s_nop 0
	v_add_u32_e32 v9, -1, v12
	v_fma_f32 v11, -v9, v12, v10
	v_cmp_ge_f32_e64 s[0:1], 0, v11
	v_add_u32_e32 v11, 1, v12
	s_nop 0
	v_cndmask_b32_e64 v9, v12, v9, s[0:1]
	v_fma_f32 v12, -v11, v12, v10
	v_cmp_lt_f32_e64 s[0:1], 0, v12
	s_nop 1
	v_cndmask_b32_e64 v9, v9, v11, s[0:1]
	v_mul_f32_e32 v11, 0x37800000, v9
	v_cndmask_b32_e32 v9, v9, v11, vcc
	v_cmp_class_f32_e32 vcc, v10, v6
	s_add_u32 s0, s12, s16
	s_addc_u32 s1, s13, s17
	v_cndmask_b32_e32 v6, v9, v10, vcc
	v_bfe_u32 v9, v6, 16, 1
	v_add3_u32 v6, v6, v9, s19
	v_and_b32_e32 v6, 0xffff0000, v6
	v_cmp_le_f32_e32 vcc, 0, v3
	s_nop 1
	v_cndmask_b32_e32 v3, v8, v6, vcc
	v_or3_b32 v3, 0, v7, v3
	global_store_dwordx2 v1, v[4:5], s[0:1]
	global_store_dwordx2 v1, v[2:3], s[0:1] offset:2048
	s_mov_b64 s[0:1], 0
.LBB268_2:
	s_andn2_b64 vcc, exec, s[0:1]
	s_cbranch_vccnz .LBB268_41
; %bb.3:
	v_cmp_gt_i32_e64 s[0:1], s18, v0
	v_mov_b32_e32 v10, 0
	v_or_b32_e32 v2, s10, v0
	v_mov_b32_e32 v6, 0
	v_mov_b32_e32 v5, v0
	s_and_saveexec_b64 s[2:3], s[0:1]
	s_cbranch_execz .LBB268_5
; %bb.4:
	v_mov_b32_e32 v3, 0
	v_lshl_add_u64 v[4:5], v[2:3], 1, s[14:15]
	global_load_ushort v1, v[4:5], off
	v_or_b32_e32 v5, 0x100, v0
	s_waitcnt vmcnt(0)
	v_lshlrev_b32_e32 v6, 16, v1
.LBB268_5:
	s_or_b64 exec, exec, s[2:3]
	v_cmp_gt_i32_e32 vcc, s18, v5
	s_and_saveexec_b64 s[2:3], vcc
	s_cbranch_execz .LBB268_7
; %bb.6:
	v_add_u32_e32 v8, s10, v5
	v_mov_b32_e32 v9, 0
	v_lshl_add_u64 v[8:9], v[8:9], 1, s[14:15]
	global_load_ushort v1, v[8:9], off
	v_add_u32_e32 v5, 0x100, v5
	s_waitcnt vmcnt(0)
	v_lshlrev_b32_e32 v10, 16, v1
.LBB268_7:
	s_or_b64 exec, exec, s[2:3]
	v_cmp_gt_i32_e32 vcc, s18, v5
	v_mov_b32_e32 v7, 0
	v_mov_b32_e32 v11, 0
	s_and_saveexec_b64 s[2:3], vcc
	s_cbranch_execz .LBB268_9
; %bb.8:
	v_add_u32_e32 v8, s10, v5
	v_mov_b32_e32 v9, 0
	v_lshl_add_u64 v[8:9], v[8:9], 1, s[14:15]
	global_load_ushort v1, v[8:9], off
	v_add_u32_e32 v5, 0x100, v5
	s_waitcnt vmcnt(0)
	v_lshlrev_b32_e32 v11, 16, v1
.LBB268_9:
	s_or_b64 exec, exec, s[2:3]
	v_cmp_gt_i32_e32 vcc, s18, v5
	s_and_saveexec_b64 s[2:3], vcc
	s_cbranch_execz .LBB268_11
; %bb.10:
	v_add_u32_e32 v8, s10, v5
	v_mov_b32_e32 v9, 0
	v_lshl_add_u64 v[8:9], v[8:9], 1, s[14:15]
	global_load_ushort v1, v[8:9], off
	v_add_u32_e32 v5, 0x100, v5
	s_waitcnt vmcnt(0)
	v_lshlrev_b32_e32 v7, 16, v1
.LBB268_11:
	s_or_b64 exec, exec, s[2:3]
	v_cmp_gt_i32_e32 vcc, s18, v5
	v_mov_b32_e32 v3, 0
	v_mov_b32_e32 v9, 0
	s_and_saveexec_b64 s[2:3], vcc
	s_cbranch_execz .LBB268_13
; %bb.12:
	v_add_u32_e32 v8, s10, v5
	v_mov_b32_e32 v9, 0
	v_lshl_add_u64 v[8:9], v[8:9], 1, s[14:15]
	global_load_ushort v1, v[8:9], off
	v_add_u32_e32 v5, 0x100, v5
	s_waitcnt vmcnt(0)
	v_lshlrev_b32_e32 v9, 16, v1
.LBB268_13:
	s_or_b64 exec, exec, s[2:3]
	v_cmp_gt_i32_e32 vcc, s18, v5
	s_and_saveexec_b64 s[2:3], vcc
	s_cbranch_execz .LBB268_15
; %bb.14:
	v_add_u32_e32 v12, s10, v5
	v_mov_b32_e32 v13, 0
	v_lshl_add_u64 v[12:13], v[12:13], 1, s[14:15]
	global_load_ushort v1, v[12:13], off
	v_add_u32_e32 v5, 0x100, v5
	s_waitcnt vmcnt(0)
	v_lshlrev_b32_e32 v3, 16, v1
.LBB268_15:
	s_or_b64 exec, exec, s[2:3]
	v_cmp_gt_i32_e32 vcc, s18, v5
	v_mov_b32_e32 v1, 0
	v_mov_b32_e32 v4, 0
	s_and_saveexec_b64 s[2:3], vcc
	s_cbranch_execnz .LBB268_42
; %bb.16:
	s_or_b64 exec, exec, s[2:3]
	v_cmp_gt_i32_e32 vcc, s18, v5
	s_and_saveexec_b64 s[2:3], vcc
	s_cbranch_execnz .LBB268_43
.LBB268_17:
	s_or_b64 exec, exec, s[2:3]
                                        ; implicit-def: $vgpr5
	s_and_saveexec_b64 s[4:5], s[0:1]
	s_cbranch_execz .LBB268_19
.LBB268_18:
	s_mov_b32 s2, 0xf800000
	v_mul_f32_e32 v5, 0x4f800000, v6
	v_cmp_gt_f32_e32 vcc, s2, v6
	s_nop 1
	v_cndmask_b32_e32 v5, v6, v5, vcc
	v_sqrt_f32_e32 v8, v5
	s_nop 0
	v_add_u32_e32 v12, -1, v8
	v_fma_f32 v13, -v12, v8, v5
	v_cmp_ge_f32_e64 s[2:3], 0, v13
	v_add_u32_e32 v13, 1, v8
	s_nop 0
	v_cndmask_b32_e64 v12, v8, v12, s[2:3]
	v_fma_f32 v8, -v13, v8, v5
	v_cmp_lt_f32_e64 s[2:3], 0, v8
	s_nop 1
	v_cndmask_b32_e64 v8, v12, v13, s[2:3]
	v_mul_f32_e32 v12, 0x37800000, v8
	v_cndmask_b32_e32 v8, v8, v12, vcc
	v_mov_b32_e32 v12, 0x260
	v_cmp_class_f32_e32 vcc, v5, v12
	s_movk_i32 s2, 0x7fff
	s_nop 0
	v_cndmask_b32_e32 v5, v8, v5, vcc
	v_bfe_u32 v8, v5, 16, 1
	v_add3_u32 v5, v5, v8, s2
	v_cmp_le_f32_e32 vcc, 0, v6
	v_mov_b32_e32 v6, 0x7fc0
	s_nop 0
	v_cndmask_b32_sdwa v5, v6, v5, vcc dst_sel:DWORD dst_unused:UNUSED_PAD src0_sel:DWORD src1_sel:WORD_1
.LBB268_19:
	s_or_b64 exec, exec, s[4:5]
	v_or_b32_e32 v6, 0x100, v0
	v_cmp_gt_i32_e32 vcc, s18, v6
                                        ; implicit-def: $vgpr8
	s_and_saveexec_b64 s[4:5], vcc
	s_cbranch_execz .LBB268_21
; %bb.20:
	s_mov_b32 s2, 0xf800000
	v_mul_f32_e32 v8, 0x4f800000, v10
	v_cmp_gt_f32_e32 vcc, s2, v10
	s_nop 1
	v_cndmask_b32_e32 v8, v10, v8, vcc
	v_sqrt_f32_e32 v12, v8
	s_nop 0
	v_add_u32_e32 v13, -1, v12
	v_fma_f32 v14, -v13, v12, v8
	v_cmp_ge_f32_e64 s[2:3], 0, v14
	v_add_u32_e32 v14, 1, v12
	s_nop 0
	v_cndmask_b32_e64 v13, v12, v13, s[2:3]
	v_fma_f32 v12, -v14, v12, v8
	v_cmp_lt_f32_e64 s[2:3], 0, v12
	s_nop 1
	v_cndmask_b32_e64 v12, v13, v14, s[2:3]
	v_mul_f32_e32 v13, 0x37800000, v12
	v_cndmask_b32_e32 v12, v12, v13, vcc
	v_mov_b32_e32 v13, 0x260
	v_cmp_class_f32_e32 vcc, v8, v13
	s_movk_i32 s2, 0x7fff
	s_nop 0
	v_cndmask_b32_e32 v8, v12, v8, vcc
	v_bfe_u32 v12, v8, 16, 1
	v_add3_u32 v8, v8, v12, s2
	v_cmp_le_f32_e32 vcc, 0, v10
	v_mov_b32_e32 v10, 0x7fc0
	s_nop 0
	v_cndmask_b32_sdwa v8, v10, v8, vcc dst_sel:DWORD dst_unused:UNUSED_PAD src0_sel:DWORD src1_sel:WORD_1
.LBB268_21:
	s_or_b64 exec, exec, s[4:5]
	v_or_b32_e32 v10, 0x200, v0
	v_cmp_gt_i32_e32 vcc, s18, v10
                                        ; implicit-def: $vgpr10
	s_and_saveexec_b64 s[4:5], vcc
	s_cbranch_execz .LBB268_23
; %bb.22:
	s_mov_b32 s2, 0xf800000
	v_mul_f32_e32 v10, 0x4f800000, v11
	v_cmp_gt_f32_e32 vcc, s2, v11
	s_nop 1
	v_cndmask_b32_e32 v10, v11, v10, vcc
	v_sqrt_f32_e32 v12, v10
	s_nop 0
	v_add_u32_e32 v13, -1, v12
	v_fma_f32 v14, -v13, v12, v10
	v_cmp_ge_f32_e64 s[2:3], 0, v14
	v_add_u32_e32 v14, 1, v12
	s_nop 0
	v_cndmask_b32_e64 v13, v12, v13, s[2:3]
	v_fma_f32 v12, -v14, v12, v10
	v_cmp_lt_f32_e64 s[2:3], 0, v12
	s_nop 1
	v_cndmask_b32_e64 v12, v13, v14, s[2:3]
	v_mul_f32_e32 v13, 0x37800000, v12
	v_cndmask_b32_e32 v12, v12, v13, vcc
	v_mov_b32_e32 v13, 0x260
	v_cmp_class_f32_e32 vcc, v10, v13
	s_movk_i32 s2, 0x7fff
	s_nop 0
	v_cndmask_b32_e32 v10, v12, v10, vcc
	v_bfe_u32 v12, v10, 16, 1
	v_add3_u32 v10, v10, v12, s2
	v_cmp_le_f32_e32 vcc, 0, v11
	v_mov_b32_e32 v11, 0x7fc0
	s_nop 0
	v_cndmask_b32_sdwa v10, v11, v10, vcc dst_sel:DWORD dst_unused:UNUSED_PAD src0_sel:DWORD src1_sel:WORD_1
.LBB268_23:
	s_or_b64 exec, exec, s[4:5]
	v_or_b32_e32 v11, 0x300, v0
	v_cmp_gt_i32_e32 vcc, s18, v11
                                        ; implicit-def: $vgpr11
	s_and_saveexec_b64 s[4:5], vcc
	s_cbranch_execz .LBB268_25
; %bb.24:
	s_mov_b32 s2, 0xf800000
	v_mul_f32_e32 v11, 0x4f800000, v7
	v_cmp_gt_f32_e32 vcc, s2, v7
	s_nop 1
	v_cndmask_b32_e32 v11, v7, v11, vcc
	v_sqrt_f32_e32 v12, v11
	s_nop 0
	v_add_u32_e32 v13, -1, v12
	v_fma_f32 v14, -v13, v12, v11
	v_cmp_ge_f32_e64 s[2:3], 0, v14
	v_add_u32_e32 v14, 1, v12
	s_nop 0
	v_cndmask_b32_e64 v13, v12, v13, s[2:3]
	v_fma_f32 v12, -v14, v12, v11
	v_cmp_lt_f32_e64 s[2:3], 0, v12
	s_nop 1
	v_cndmask_b32_e64 v12, v13, v14, s[2:3]
	v_mul_f32_e32 v13, 0x37800000, v12
	v_cndmask_b32_e32 v12, v12, v13, vcc
	v_mov_b32_e32 v13, 0x260
	v_cmp_class_f32_e32 vcc, v11, v13
	s_movk_i32 s2, 0x7fff
	s_nop 0
	v_cndmask_b32_e32 v11, v12, v11, vcc
	v_bfe_u32 v12, v11, 16, 1
	v_add3_u32 v11, v11, v12, s2
	v_cmp_le_f32_e32 vcc, 0, v7
	v_mov_b32_e32 v7, 0x7fc0
	s_nop 0
	v_cndmask_b32_sdwa v11, v7, v11, vcc dst_sel:DWORD dst_unused:UNUSED_PAD src0_sel:DWORD src1_sel:WORD_1
.LBB268_25:
	s_or_b64 exec, exec, s[4:5]
	v_or_b32_e32 v7, 0x400, v0
	v_cmp_gt_i32_e32 vcc, s18, v7
                                        ; implicit-def: $vgpr7
	s_and_saveexec_b64 s[4:5], vcc
	s_cbranch_execz .LBB268_27
; %bb.26:
	s_mov_b32 s2, 0xf800000
	v_mul_f32_e32 v7, 0x4f800000, v9
	v_cmp_gt_f32_e32 vcc, s2, v9
	s_nop 1
	v_cndmask_b32_e32 v7, v9, v7, vcc
	v_sqrt_f32_e32 v12, v7
	s_nop 0
	v_add_u32_e32 v13, -1, v12
	v_fma_f32 v14, -v13, v12, v7
	v_cmp_ge_f32_e64 s[2:3], 0, v14
	v_add_u32_e32 v14, 1, v12
	s_nop 0
	v_cndmask_b32_e64 v13, v12, v13, s[2:3]
	v_fma_f32 v12, -v14, v12, v7
	v_cmp_lt_f32_e64 s[2:3], 0, v12
	s_nop 1
	v_cndmask_b32_e64 v12, v13, v14, s[2:3]
	v_mul_f32_e32 v13, 0x37800000, v12
	v_cndmask_b32_e32 v12, v12, v13, vcc
	v_mov_b32_e32 v13, 0x260
	v_cmp_class_f32_e32 vcc, v7, v13
	s_movk_i32 s2, 0x7fff
	s_nop 0
	v_cndmask_b32_e32 v7, v12, v7, vcc
	v_bfe_u32 v12, v7, 16, 1
	v_add3_u32 v7, v7, v12, s2
	v_cmp_le_f32_e32 vcc, 0, v9
	v_mov_b32_e32 v9, 0x7fc0
	s_nop 0
	v_cndmask_b32_sdwa v7, v9, v7, vcc dst_sel:DWORD dst_unused:UNUSED_PAD src0_sel:DWORD src1_sel:WORD_1
.LBB268_27:
	s_or_b64 exec, exec, s[4:5]
	v_or_b32_e32 v9, 0x500, v0
	v_cmp_gt_i32_e32 vcc, s18, v9
                                        ; implicit-def: $vgpr9
	s_and_saveexec_b64 s[4:5], vcc
	s_cbranch_execz .LBB268_29
; %bb.28:
	s_mov_b32 s2, 0xf800000
	v_mul_f32_e32 v9, 0x4f800000, v3
	v_cmp_gt_f32_e32 vcc, s2, v3
	s_nop 1
	v_cndmask_b32_e32 v9, v3, v9, vcc
	v_sqrt_f32_e32 v12, v9
	s_nop 0
	v_add_u32_e32 v13, -1, v12
	v_fma_f32 v14, -v13, v12, v9
	v_cmp_ge_f32_e64 s[2:3], 0, v14
	v_add_u32_e32 v14, 1, v12
	s_nop 0
	v_cndmask_b32_e64 v13, v12, v13, s[2:3]
	v_fma_f32 v12, -v14, v12, v9
	v_cmp_lt_f32_e64 s[2:3], 0, v12
	s_nop 1
	v_cndmask_b32_e64 v12, v13, v14, s[2:3]
	v_mul_f32_e32 v13, 0x37800000, v12
	v_cndmask_b32_e32 v12, v12, v13, vcc
	v_mov_b32_e32 v13, 0x260
	v_cmp_class_f32_e32 vcc, v9, v13
	s_movk_i32 s2, 0x7fff
	s_nop 0
	v_cndmask_b32_e32 v9, v12, v9, vcc
	v_bfe_u32 v12, v9, 16, 1
	v_add3_u32 v9, v9, v12, s2
	v_cmp_le_f32_e32 vcc, 0, v3
	v_mov_b32_e32 v3, 0x7fc0
	s_nop 0
	v_cndmask_b32_sdwa v9, v3, v9, vcc dst_sel:DWORD dst_unused:UNUSED_PAD src0_sel:DWORD src1_sel:WORD_1
.LBB268_29:
	s_or_b64 exec, exec, s[4:5]
	v_or_b32_e32 v3, 0x600, v0
	v_cmp_gt_i32_e32 vcc, s18, v3
                                        ; implicit-def: $vgpr12
	s_and_saveexec_b64 s[4:5], vcc
	s_cbranch_execz .LBB268_31
; %bb.30:
	s_mov_b32 s2, 0xf800000
	v_mul_f32_e32 v3, 0x4f800000, v4
	v_cmp_gt_f32_e32 vcc, s2, v4
	s_nop 1
	v_cndmask_b32_e32 v3, v4, v3, vcc
	v_sqrt_f32_e32 v12, v3
	s_nop 0
	v_add_u32_e32 v13, -1, v12
	v_fma_f32 v14, -v13, v12, v3
	v_cmp_ge_f32_e64 s[2:3], 0, v14
	v_add_u32_e32 v14, 1, v12
	s_nop 0
	v_cndmask_b32_e64 v13, v12, v13, s[2:3]
	v_fma_f32 v12, -v14, v12, v3
	v_cmp_lt_f32_e64 s[2:3], 0, v12
	s_nop 1
	v_cndmask_b32_e64 v12, v13, v14, s[2:3]
	v_mul_f32_e32 v13, 0x37800000, v12
	v_cndmask_b32_e32 v12, v12, v13, vcc
	v_mov_b32_e32 v13, 0x260
	v_cmp_class_f32_e32 vcc, v3, v13
	s_movk_i32 s2, 0x7fff
	s_nop 0
	v_cndmask_b32_e32 v3, v12, v3, vcc
	v_bfe_u32 v12, v3, 16, 1
	v_add3_u32 v3, v3, v12, s2
	v_cmp_le_f32_e32 vcc, 0, v4
	v_mov_b32_e32 v4, 0x7fc0
	s_nop 0
	v_cndmask_b32_sdwa v12, v4, v3, vcc dst_sel:DWORD dst_unused:UNUSED_PAD src0_sel:DWORD src1_sel:WORD_1
.LBB268_31:
	s_or_b64 exec, exec, s[4:5]
	v_or_b32_e32 v3, 0x700, v0
	v_cmp_gt_i32_e32 vcc, s18, v3
                                        ; implicit-def: $vgpr4
	s_and_saveexec_b64 s[4:5], vcc
	s_cbranch_execnz .LBB268_44
; %bb.32:
	s_or_b64 exec, exec, s[4:5]
	s_and_saveexec_b64 s[2:3], s[0:1]
	s_xor_b64 s[0:1], exec, s[2:3]
	s_cbranch_execnz .LBB268_45
.LBB268_33:
	s_or_b64 exec, exec, s[0:1]
	v_cmp_gt_i32_e32 vcc, s18, v0
	s_and_saveexec_b64 s[0:1], vcc
	s_cbranch_execnz .LBB268_46
.LBB268_34:
	s_or_b64 exec, exec, s[0:1]
	v_cmp_gt_i32_e32 vcc, s18, v0
	s_and_saveexec_b64 s[0:1], vcc
	s_cbranch_execnz .LBB268_47
.LBB268_35:
	s_or_b64 exec, exec, s[0:1]
	v_cmp_gt_i32_e32 vcc, s18, v0
	s_and_saveexec_b64 s[0:1], vcc
	s_cbranch_execnz .LBB268_48
.LBB268_36:
	s_or_b64 exec, exec, s[0:1]
	v_cmp_gt_i32_e32 vcc, s18, v0
	s_and_saveexec_b64 s[0:1], vcc
	s_cbranch_execnz .LBB268_49
.LBB268_37:
	s_or_b64 exec, exec, s[0:1]
	v_cmp_gt_i32_e32 vcc, s18, v0
	s_and_saveexec_b64 s[0:1], vcc
	s_cbranch_execnz .LBB268_50
.LBB268_38:
	s_or_b64 exec, exec, s[0:1]
	v_cmp_gt_i32_e32 vcc, s18, v0
	s_and_saveexec_b64 s[0:1], vcc
	s_cbranch_execnz .LBB268_51
.LBB268_39:
	s_or_b64 exec, exec, s[0:1]
	v_cmp_gt_i32_e32 vcc, s18, v0
	s_and_saveexec_b64 s[0:1], vcc
	s_cbranch_execz .LBB268_41
.LBB268_40:
	v_add_u32_e32 v0, s10, v0
	v_mov_b32_e32 v1, 0
	v_lshl_add_u64 v[0:1], v[0:1], 1, s[12:13]
	global_store_short v[0:1], v4, off
.LBB268_41:
	s_endpgm
.LBB268_42:
	v_add_u32_e32 v12, s10, v5
	v_mov_b32_e32 v13, 0
	v_lshl_add_u64 v[12:13], v[12:13], 1, s[14:15]
	global_load_ushort v4, v[12:13], off
	v_add_u32_e32 v5, 0x100, v5
	s_waitcnt vmcnt(0)
	v_lshlrev_b32_e32 v4, 16, v4
	s_or_b64 exec, exec, s[2:3]
	v_cmp_gt_i32_e32 vcc, s18, v5
	s_and_saveexec_b64 s[2:3], vcc
	s_cbranch_execz .LBB268_17
.LBB268_43:
	v_add_u32_e32 v12, s10, v5
	v_mov_b32_e32 v13, 0
	v_lshl_add_u64 v[12:13], v[12:13], 1, s[14:15]
	global_load_ushort v1, v[12:13], off
	s_waitcnt vmcnt(0)
	v_lshlrev_b32_e32 v1, 16, v1
	s_or_b64 exec, exec, s[2:3]
                                        ; implicit-def: $vgpr5
	s_and_saveexec_b64 s[4:5], s[0:1]
	s_cbranch_execnz .LBB268_18
	s_branch .LBB268_19
.LBB268_44:
	s_mov_b32 s2, 0xf800000
	v_mul_f32_e32 v3, 0x4f800000, v1
	v_cmp_gt_f32_e32 vcc, s2, v1
	s_nop 1
	v_cndmask_b32_e32 v3, v1, v3, vcc
	v_sqrt_f32_e32 v4, v3
	s_nop 0
	v_add_u32_e32 v13, -1, v4
	v_fma_f32 v14, -v13, v4, v3
	v_cmp_ge_f32_e64 s[2:3], 0, v14
	v_add_u32_e32 v14, 1, v4
	s_nop 0
	v_cndmask_b32_e64 v13, v4, v13, s[2:3]
	v_fma_f32 v4, -v14, v4, v3
	v_cmp_lt_f32_e64 s[2:3], 0, v4
	s_nop 1
	v_cndmask_b32_e64 v4, v13, v14, s[2:3]
	v_mul_f32_e32 v13, 0x37800000, v4
	v_cndmask_b32_e32 v4, v4, v13, vcc
	v_mov_b32_e32 v13, 0x260
	v_cmp_class_f32_e32 vcc, v3, v13
	s_movk_i32 s2, 0x7fff
	s_nop 0
	v_cndmask_b32_e32 v3, v4, v3, vcc
	v_bfe_u32 v4, v3, 16, 1
	v_add3_u32 v3, v3, v4, s2
	v_cmp_le_f32_e32 vcc, 0, v1
	v_mov_b32_e32 v1, 0x7fc0
	s_nop 0
	v_cndmask_b32_sdwa v4, v1, v3, vcc dst_sel:DWORD dst_unused:UNUSED_PAD src0_sel:DWORD src1_sel:WORD_1
	s_or_b64 exec, exec, s[4:5]
	s_and_saveexec_b64 s[2:3], s[0:1]
	s_xor_b64 s[0:1], exec, s[2:3]
	s_cbranch_execz .LBB268_33
.LBB268_45:
	v_mov_b32_e32 v3, 0
	v_lshl_add_u64 v[0:1], v[2:3], 1, s[12:13]
	global_store_short v[0:1], v5, off
	v_mov_b32_e32 v0, v6
	s_or_b64 exec, exec, s[0:1]
	v_cmp_gt_i32_e32 vcc, s18, v0
	s_and_saveexec_b64 s[0:1], vcc
	s_cbranch_execz .LBB268_34
.LBB268_46:
	v_add_u32_e32 v2, s10, v0
	v_mov_b32_e32 v3, 0
	v_lshl_add_u64 v[2:3], v[2:3], 1, s[12:13]
	v_add_u32_e32 v0, 0x100, v0
	global_store_short v[2:3], v8, off
	s_or_b64 exec, exec, s[0:1]
	v_cmp_gt_i32_e32 vcc, s18, v0
	s_and_saveexec_b64 s[0:1], vcc
	s_cbranch_execz .LBB268_35
.LBB268_47:
	v_add_u32_e32 v2, s10, v0
	v_mov_b32_e32 v3, 0
	v_lshl_add_u64 v[2:3], v[2:3], 1, s[12:13]
	v_add_u32_e32 v0, 0x100, v0
	global_store_short v[2:3], v10, off
	s_or_b64 exec, exec, s[0:1]
	v_cmp_gt_i32_e32 vcc, s18, v0
	s_and_saveexec_b64 s[0:1], vcc
	s_cbranch_execz .LBB268_36
.LBB268_48:
	v_add_u32_e32 v2, s10, v0
	v_mov_b32_e32 v3, 0
	v_lshl_add_u64 v[2:3], v[2:3], 1, s[12:13]
	v_add_u32_e32 v0, 0x100, v0
	global_store_short v[2:3], v11, off
	s_or_b64 exec, exec, s[0:1]
	v_cmp_gt_i32_e32 vcc, s18, v0
	s_and_saveexec_b64 s[0:1], vcc
	s_cbranch_execz .LBB268_37
.LBB268_49:
	v_add_u32_e32 v2, s10, v0
	v_mov_b32_e32 v3, 0
	v_lshl_add_u64 v[2:3], v[2:3], 1, s[12:13]
	v_add_u32_e32 v0, 0x100, v0
	global_store_short v[2:3], v7, off
	s_or_b64 exec, exec, s[0:1]
	v_cmp_gt_i32_e32 vcc, s18, v0
	s_and_saveexec_b64 s[0:1], vcc
	s_cbranch_execz .LBB268_38
.LBB268_50:
	v_add_u32_e32 v2, s10, v0
	v_mov_b32_e32 v3, 0
	v_lshl_add_u64 v[2:3], v[2:3], 1, s[12:13]
	v_add_u32_e32 v0, 0x100, v0
	global_store_short v[2:3], v9, off
	s_or_b64 exec, exec, s[0:1]
	v_cmp_gt_i32_e32 vcc, s18, v0
	s_and_saveexec_b64 s[0:1], vcc
	s_cbranch_execz .LBB268_39
.LBB268_51:
	v_add_u32_e32 v2, s10, v0
	v_mov_b32_e32 v3, 0
	v_lshl_add_u64 v[2:3], v[2:3], 1, s[12:13]
	v_add_u32_e32 v0, 0x100, v0
	global_store_short v[2:3], v12, off
	s_or_b64 exec, exec, s[0:1]
	v_cmp_gt_i32_e32 vcc, s18, v0
	s_and_saveexec_b64 s[0:1], vcc
	s_cbranch_execnz .LBB268_40
	s_branch .LBB268_41
	.section	.rodata,"a",@progbits
	.p2align	6, 0x0
	.amdhsa_kernel _ZN2at6native29vectorized_elementwise_kernelILi4EZZZNS0_16sqrt_kernel_cudaERNS_18TensorIteratorBaseEENKUlvE0_clEvENKUlvE2_clEvEUlN3c108BFloat16EE_St5arrayIPcLm2EEEEviT0_T1_
		.amdhsa_group_segment_fixed_size 0
		.amdhsa_private_segment_fixed_size 0
		.amdhsa_kernarg_size 24
		.amdhsa_user_sgpr_count 2
		.amdhsa_user_sgpr_dispatch_ptr 0
		.amdhsa_user_sgpr_queue_ptr 0
		.amdhsa_user_sgpr_kernarg_segment_ptr 1
		.amdhsa_user_sgpr_dispatch_id 0
		.amdhsa_user_sgpr_kernarg_preload_length 0
		.amdhsa_user_sgpr_kernarg_preload_offset 0
		.amdhsa_user_sgpr_private_segment_size 0
		.amdhsa_uses_dynamic_stack 0
		.amdhsa_enable_private_segment 0
		.amdhsa_system_sgpr_workgroup_id_x 1
		.amdhsa_system_sgpr_workgroup_id_y 0
		.amdhsa_system_sgpr_workgroup_id_z 0
		.amdhsa_system_sgpr_workgroup_info 0
		.amdhsa_system_vgpr_workitem_id 0
		.amdhsa_next_free_vgpr 37
		.amdhsa_next_free_sgpr 20
		.amdhsa_accum_offset 40
		.amdhsa_reserve_vcc 1
		.amdhsa_float_round_mode_32 0
		.amdhsa_float_round_mode_16_64 0
		.amdhsa_float_denorm_mode_32 3
		.amdhsa_float_denorm_mode_16_64 3
		.amdhsa_dx10_clamp 1
		.amdhsa_ieee_mode 1
		.amdhsa_fp16_overflow 0
		.amdhsa_tg_split 0
		.amdhsa_exception_fp_ieee_invalid_op 0
		.amdhsa_exception_fp_denorm_src 0
		.amdhsa_exception_fp_ieee_div_zero 0
		.amdhsa_exception_fp_ieee_overflow 0
		.amdhsa_exception_fp_ieee_underflow 0
		.amdhsa_exception_fp_ieee_inexact 0
		.amdhsa_exception_int_div_zero 0
	.end_amdhsa_kernel
	.section	.text._ZN2at6native29vectorized_elementwise_kernelILi4EZZZNS0_16sqrt_kernel_cudaERNS_18TensorIteratorBaseEENKUlvE0_clEvENKUlvE2_clEvEUlN3c108BFloat16EE_St5arrayIPcLm2EEEEviT0_T1_,"axG",@progbits,_ZN2at6native29vectorized_elementwise_kernelILi4EZZZNS0_16sqrt_kernel_cudaERNS_18TensorIteratorBaseEENKUlvE0_clEvENKUlvE2_clEvEUlN3c108BFloat16EE_St5arrayIPcLm2EEEEviT0_T1_,comdat
.Lfunc_end268:
	.size	_ZN2at6native29vectorized_elementwise_kernelILi4EZZZNS0_16sqrt_kernel_cudaERNS_18TensorIteratorBaseEENKUlvE0_clEvENKUlvE2_clEvEUlN3c108BFloat16EE_St5arrayIPcLm2EEEEviT0_T1_, .Lfunc_end268-_ZN2at6native29vectorized_elementwise_kernelILi4EZZZNS0_16sqrt_kernel_cudaERNS_18TensorIteratorBaseEENKUlvE0_clEvENKUlvE2_clEvEUlN3c108BFloat16EE_St5arrayIPcLm2EEEEviT0_T1_
                                        ; -- End function
	.set _ZN2at6native29vectorized_elementwise_kernelILi4EZZZNS0_16sqrt_kernel_cudaERNS_18TensorIteratorBaseEENKUlvE0_clEvENKUlvE2_clEvEUlN3c108BFloat16EE_St5arrayIPcLm2EEEEviT0_T1_.num_vgpr, 37
	.set _ZN2at6native29vectorized_elementwise_kernelILi4EZZZNS0_16sqrt_kernel_cudaERNS_18TensorIteratorBaseEENKUlvE0_clEvENKUlvE2_clEvEUlN3c108BFloat16EE_St5arrayIPcLm2EEEEviT0_T1_.num_agpr, 0
	.set _ZN2at6native29vectorized_elementwise_kernelILi4EZZZNS0_16sqrt_kernel_cudaERNS_18TensorIteratorBaseEENKUlvE0_clEvENKUlvE2_clEvEUlN3c108BFloat16EE_St5arrayIPcLm2EEEEviT0_T1_.numbered_sgpr, 20
	.set _ZN2at6native29vectorized_elementwise_kernelILi4EZZZNS0_16sqrt_kernel_cudaERNS_18TensorIteratorBaseEENKUlvE0_clEvENKUlvE2_clEvEUlN3c108BFloat16EE_St5arrayIPcLm2EEEEviT0_T1_.num_named_barrier, 0
	.set _ZN2at6native29vectorized_elementwise_kernelILi4EZZZNS0_16sqrt_kernel_cudaERNS_18TensorIteratorBaseEENKUlvE0_clEvENKUlvE2_clEvEUlN3c108BFloat16EE_St5arrayIPcLm2EEEEviT0_T1_.private_seg_size, 0
	.set _ZN2at6native29vectorized_elementwise_kernelILi4EZZZNS0_16sqrt_kernel_cudaERNS_18TensorIteratorBaseEENKUlvE0_clEvENKUlvE2_clEvEUlN3c108BFloat16EE_St5arrayIPcLm2EEEEviT0_T1_.uses_vcc, 1
	.set _ZN2at6native29vectorized_elementwise_kernelILi4EZZZNS0_16sqrt_kernel_cudaERNS_18TensorIteratorBaseEENKUlvE0_clEvENKUlvE2_clEvEUlN3c108BFloat16EE_St5arrayIPcLm2EEEEviT0_T1_.uses_flat_scratch, 0
	.set _ZN2at6native29vectorized_elementwise_kernelILi4EZZZNS0_16sqrt_kernel_cudaERNS_18TensorIteratorBaseEENKUlvE0_clEvENKUlvE2_clEvEUlN3c108BFloat16EE_St5arrayIPcLm2EEEEviT0_T1_.has_dyn_sized_stack, 0
	.set _ZN2at6native29vectorized_elementwise_kernelILi4EZZZNS0_16sqrt_kernel_cudaERNS_18TensorIteratorBaseEENKUlvE0_clEvENKUlvE2_clEvEUlN3c108BFloat16EE_St5arrayIPcLm2EEEEviT0_T1_.has_recursion, 0
	.set _ZN2at6native29vectorized_elementwise_kernelILi4EZZZNS0_16sqrt_kernel_cudaERNS_18TensorIteratorBaseEENKUlvE0_clEvENKUlvE2_clEvEUlN3c108BFloat16EE_St5arrayIPcLm2EEEEviT0_T1_.has_indirect_call, 0
	.section	.AMDGPU.csdata,"",@progbits
; Kernel info:
; codeLenInByte = 3964
; TotalNumSgprs: 26
; NumVgprs: 37
; NumAgprs: 0
; TotalNumVgprs: 37
; ScratchSize: 0
; MemoryBound: 0
; FloatMode: 240
; IeeeMode: 1
; LDSByteSize: 0 bytes/workgroup (compile time only)
; SGPRBlocks: 3
; VGPRBlocks: 4
; NumSGPRsForWavesPerEU: 26
; NumVGPRsForWavesPerEU: 37
; AccumOffset: 40
; Occupancy: 8
; WaveLimiterHint : 1
; COMPUTE_PGM_RSRC2:SCRATCH_EN: 0
; COMPUTE_PGM_RSRC2:USER_SGPR: 2
; COMPUTE_PGM_RSRC2:TRAP_HANDLER: 0
; COMPUTE_PGM_RSRC2:TGID_X_EN: 1
; COMPUTE_PGM_RSRC2:TGID_Y_EN: 0
; COMPUTE_PGM_RSRC2:TGID_Z_EN: 0
; COMPUTE_PGM_RSRC2:TIDIG_COMP_CNT: 0
; COMPUTE_PGM_RSRC3_GFX90A:ACCUM_OFFSET: 9
; COMPUTE_PGM_RSRC3_GFX90A:TG_SPLIT: 0
	.section	.text._ZN2at6native29vectorized_elementwise_kernelILi2EZZZNS0_16sqrt_kernel_cudaERNS_18TensorIteratorBaseEENKUlvE0_clEvENKUlvE2_clEvEUlN3c108BFloat16EE_St5arrayIPcLm2EEEEviT0_T1_,"axG",@progbits,_ZN2at6native29vectorized_elementwise_kernelILi2EZZZNS0_16sqrt_kernel_cudaERNS_18TensorIteratorBaseEENKUlvE0_clEvENKUlvE2_clEvEUlN3c108BFloat16EE_St5arrayIPcLm2EEEEviT0_T1_,comdat
	.globl	_ZN2at6native29vectorized_elementwise_kernelILi2EZZZNS0_16sqrt_kernel_cudaERNS_18TensorIteratorBaseEENKUlvE0_clEvENKUlvE2_clEvEUlN3c108BFloat16EE_St5arrayIPcLm2EEEEviT0_T1_ ; -- Begin function _ZN2at6native29vectorized_elementwise_kernelILi2EZZZNS0_16sqrt_kernel_cudaERNS_18TensorIteratorBaseEENKUlvE0_clEvENKUlvE2_clEvEUlN3c108BFloat16EE_St5arrayIPcLm2EEEEviT0_T1_
	.p2align	8
	.type	_ZN2at6native29vectorized_elementwise_kernelILi2EZZZNS0_16sqrt_kernel_cudaERNS_18TensorIteratorBaseEENKUlvE0_clEvENKUlvE2_clEvEUlN3c108BFloat16EE_St5arrayIPcLm2EEEEviT0_T1_,@function
_ZN2at6native29vectorized_elementwise_kernelILi2EZZZNS0_16sqrt_kernel_cudaERNS_18TensorIteratorBaseEENKUlvE0_clEvENKUlvE2_clEvEUlN3c108BFloat16EE_St5arrayIPcLm2EEEEviT0_T1_: ; @_ZN2at6native29vectorized_elementwise_kernelILi2EZZZNS0_16sqrt_kernel_cudaERNS_18TensorIteratorBaseEENKUlvE0_clEvENKUlvE2_clEvEUlN3c108BFloat16EE_St5arrayIPcLm2EEEEviT0_T1_
; %bb.0:
	s_load_dword s3, s[0:1], 0x0
	s_load_dwordx4 s[8:11], s[0:1], 0x8
	s_lshl_b32 s12, s2, 11
	s_mov_b64 s[0:1], -1
	s_waitcnt lgkmcnt(0)
	s_sub_i32 s16, s3, s12
	s_cmpk_gt_i32 s16, 0x7ff
	s_cbranch_scc0 .LBB269_2
; %bb.1:
	s_ashr_i32 s13, s12, 31
	s_lshl_b64 s[14:15], s[12:13], 1
	s_add_u32 s0, s10, s14
	s_addc_u32 s1, s11, s15
	v_lshlrev_b32_e32 v1, 2, v0
	global_load_dword v2, v1, s[0:1]
	global_load_dword v3, v1, s[0:1] offset:1024
	global_load_dword v4, v1, s[0:1] offset:2048
	;; [unrolled: 1-line block ×3, first 2 shown]
	s_mov_b32 s13, 0xf800000
	v_mov_b32_e32 v5, 0x260
	s_movk_i32 s17, 0x7fff
	v_mov_b32_e32 v6, 0x7fc0
	v_mov_b32_e32 v7, 0x7fc00000
	s_waitcnt vmcnt(3)
	v_lshlrev_b32_e32 v9, 16, v2
	v_and_b32_e32 v2, 0xffff0000, v2
	v_mul_f32_e32 v12, 0x4f800000, v9
	v_cmp_gt_f32_e32 vcc, s13, v9
	s_waitcnt vmcnt(2)
	v_lshlrev_b32_e32 v10, 16, v3
	v_mul_f32_e32 v13, 0x4f800000, v2
	v_cndmask_b32_e32 v12, v9, v12, vcc
	v_cmp_gt_f32_e64 s[0:1], s13, v2
	v_and_b32_e32 v3, 0xffff0000, v3
	v_mul_f32_e32 v14, 0x4f800000, v10
	v_cndmask_b32_e64 v13, v2, v13, s[0:1]
	v_cmp_gt_f32_e64 s[2:3], s13, v10
	v_sqrt_f32_e32 v17, v12
	v_mul_f32_e32 v15, 0x4f800000, v3
	v_cndmask_b32_e64 v14, v10, v14, s[2:3]
	v_cmp_gt_f32_e64 s[4:5], s13, v3
	v_sqrt_f32_e32 v18, v13
	v_sqrt_f32_e32 v19, v14
	v_cndmask_b32_e64 v15, v3, v15, s[4:5]
	v_sqrt_f32_e32 v20, v15
	v_add_u32_e32 v21, -1, v17
	v_add_u32_e32 v23, -1, v18
	v_fma_f32 v29, -v21, v17, v12
	v_add_u32_e32 v22, 1, v17
	v_add_u32_e32 v25, -1, v19
	v_fma_f32 v31, -v23, v18, v13
	v_cmp_ge_f32_e64 s[6:7], 0, v29
	v_add_u32_e32 v24, 1, v18
	v_add_u32_e32 v27, -1, v20
	v_fma_f32 v30, -v22, v17, v12
	v_fma_f32 v33, -v25, v19, v14
	v_cndmask_b32_e64 v17, v17, v21, s[6:7]
	v_cmp_ge_f32_e64 s[6:7], 0, v31
	v_add_u32_e32 v26, 1, v19
	v_fma_f32 v32, -v24, v18, v13
	v_fma_f32 v35, -v27, v20, v15
	v_cndmask_b32_e64 v18, v18, v23, s[6:7]
	v_cmp_ge_f32_e64 s[6:7], 0, v33
	v_add_u32_e32 v28, 1, v20
	v_fma_f32 v34, -v26, v19, v14
	v_cndmask_b32_e64 v19, v19, v25, s[6:7]
	v_cmp_ge_f32_e64 s[6:7], 0, v35
	v_fma_f32 v36, -v28, v20, v15
	s_waitcnt vmcnt(1)
	v_lshlrev_b32_e32 v11, 16, v4
	v_cndmask_b32_e64 v20, v20, v27, s[6:7]
	v_cmp_lt_f32_e64 s[6:7], 0, v30
	v_mul_f32_e32 v16, 0x4f800000, v11
	v_and_b32_e32 v4, 0xffff0000, v4
	v_cndmask_b32_e64 v17, v17, v22, s[6:7]
	v_cmp_lt_f32_e64 s[6:7], 0, v32
	v_mul_f32_e32 v21, 0x37800000, v17
	v_cndmask_b32_e32 v17, v17, v21, vcc
	v_cndmask_b32_e64 v18, v18, v24, s[6:7]
	v_cmp_lt_f32_e64 s[6:7], 0, v34
	v_mul_f32_e32 v22, 0x37800000, v18
	v_cmp_class_f32_e32 vcc, v12, v5
	v_cndmask_b32_e64 v19, v19, v26, s[6:7]
	v_cmp_lt_f32_e64 s[6:7], 0, v36
	v_mul_f32_e32 v23, 0x37800000, v19
	v_cndmask_b32_e64 v18, v18, v22, s[0:1]
	v_cndmask_b32_e64 v20, v20, v28, s[6:7]
	v_cndmask_b32_e32 v12, v17, v12, vcc
	v_cmp_class_f32_e32 vcc, v13, v5
	v_mul_f32_e32 v24, 0x37800000, v20
	v_cndmask_b32_e64 v19, v19, v23, s[2:3]
	v_cndmask_b32_e32 v13, v18, v13, vcc
	v_cmp_class_f32_e32 vcc, v14, v5
	v_bfe_u32 v17, v12, 16, 1
	v_cndmask_b32_e64 v20, v20, v24, s[4:5]
	v_cndmask_b32_e32 v14, v19, v14, vcc
	v_cmp_class_f32_e32 vcc, v15, v5
	v_bfe_u32 v18, v13, 16, 1
	v_add3_u32 v12, v12, v17, s17
	v_cndmask_b32_e32 v15, v20, v15, vcc
	v_bfe_u32 v19, v14, 16, 1
	v_add3_u32 v13, v13, v18, s17
	v_lshrrev_b32_e32 v12, 16, v12
	v_cmp_le_f32_e32 vcc, 0, v9
	v_add3_u32 v14, v14, v19, s17
	v_and_b32_e32 v13, 0xffff0000, v13
	v_cndmask_b32_e32 v9, v6, v12, vcc
	v_cmp_le_f32_e32 vcc, 0, v2
	v_lshrrev_b32_e32 v14, 16, v14
	v_bfe_u32 v20, v15, 16, 1
	v_cndmask_b32_e32 v2, v7, v13, vcc
	v_cmp_le_f32_e32 vcc, 0, v10
	v_or_b32_e32 v2, v9, v2
	v_add3_u32 v15, v15, v20, s17
	v_cndmask_b32_e32 v10, v6, v14, vcc
	v_cmp_gt_f32_e32 vcc, s13, v11
	v_and_b32_e32 v15, 0xffff0000, v15
	v_cmp_le_f32_e64 s[0:1], 0, v3
	v_cndmask_b32_e32 v9, v11, v16, vcc
	v_sqrt_f32_e32 v12, v9
	v_cndmask_b32_e64 v3, v7, v15, s[0:1]
	v_or_b32_e32 v3, v10, v3
	v_add_u32_e32 v10, -1, v12
	v_fma_f32 v13, -v10, v12, v9
	v_cmp_ge_f32_e64 s[0:1], 0, v13
	v_add_u32_e32 v13, 1, v12
	s_nop 0
	v_cndmask_b32_e64 v10, v12, v10, s[0:1]
	v_fma_f32 v12, -v13, v12, v9
	v_cmp_lt_f32_e64 s[0:1], 0, v12
	s_nop 1
	v_cndmask_b32_e64 v10, v10, v13, s[0:1]
	v_mul_f32_e32 v12, 0x37800000, v10
	v_cndmask_b32_e32 v10, v10, v12, vcc
	v_cmp_class_f32_e32 vcc, v9, v5
	v_cmp_le_f32_e64 s[0:1], 0, v11
	s_nop 0
	v_cndmask_b32_e32 v9, v10, v9, vcc
	v_bfe_u32 v10, v9, 16, 1
	v_add3_u32 v9, v9, v10, s17
	v_mul_f32_e32 v10, 0x4f800000, v4
	v_cmp_gt_f32_e32 vcc, s13, v4
	v_lshrrev_b32_e32 v9, 16, v9
	v_cndmask_b32_e64 v9, v6, v9, s[0:1]
	v_cndmask_b32_e32 v10, v4, v10, vcc
	v_sqrt_f32_e32 v12, v10
	s_nop 0
	v_add_u32_e32 v11, -1, v12
	v_fma_f32 v13, -v11, v12, v10
	v_cmp_ge_f32_e64 s[0:1], 0, v13
	v_add_u32_e32 v13, 1, v12
	s_nop 0
	v_cndmask_b32_e64 v11, v12, v11, s[0:1]
	v_fma_f32 v12, -v13, v12, v10
	v_cmp_lt_f32_e64 s[0:1], 0, v12
	s_nop 1
	v_cndmask_b32_e64 v11, v11, v13, s[0:1]
	v_mul_f32_e32 v12, 0x37800000, v11
	v_cndmask_b32_e32 v11, v11, v12, vcc
	v_cmp_class_f32_e32 vcc, v10, v5
	v_cmp_le_f32_e64 s[0:1], 0, v4
	s_nop 0
	v_cndmask_b32_e32 v10, v11, v10, vcc
	v_bfe_u32 v11, v10, 16, 1
	v_add3_u32 v10, v10, v11, s17
	s_waitcnt vmcnt(0)
	v_lshlrev_b32_e32 v11, 16, v8
	v_mul_f32_e32 v12, 0x4f800000, v11
	v_cmp_gt_f32_e32 vcc, s13, v11
	v_and_b32_e32 v10, 0xffff0000, v10
	v_cndmask_b32_e64 v4, v7, v10, s[0:1]
	v_cndmask_b32_e32 v12, v11, v12, vcc
	v_sqrt_f32_e32 v13, v12
	v_or_b32_e32 v4, v9, v4
	v_and_b32_e32 v8, 0xffff0000, v8
	v_add_u32_e32 v9, -1, v13
	v_fma_f32 v10, -v9, v13, v12
	v_cmp_ge_f32_e64 s[0:1], 0, v10
	v_add_u32_e32 v10, 1, v13
	s_nop 0
	v_cndmask_b32_e64 v9, v13, v9, s[0:1]
	v_fma_f32 v13, -v10, v13, v12
	v_cmp_lt_f32_e64 s[0:1], 0, v13
	s_nop 1
	v_cndmask_b32_e64 v9, v9, v10, s[0:1]
	v_mul_f32_e32 v10, 0x37800000, v9
	v_cndmask_b32_e32 v9, v9, v10, vcc
	v_cmp_class_f32_e32 vcc, v12, v5
	v_cmp_le_f32_e64 s[0:1], 0, v11
	s_nop 0
	v_cndmask_b32_e32 v9, v9, v12, vcc
	v_bfe_u32 v10, v9, 16, 1
	v_add3_u32 v9, v9, v10, s17
	v_mul_f32_e32 v10, 0x4f800000, v8
	v_cmp_gt_f32_e32 vcc, s13, v8
	v_lshrrev_b32_e32 v9, 16, v9
	v_cndmask_b32_e64 v6, v6, v9, s[0:1]
	v_cndmask_b32_e32 v10, v8, v10, vcc
	v_sqrt_f32_e32 v12, v10
	s_nop 0
	v_add_u32_e32 v9, -1, v12
	v_fma_f32 v11, -v9, v12, v10
	v_cmp_ge_f32_e64 s[0:1], 0, v11
	v_add_u32_e32 v11, 1, v12
	s_nop 0
	v_cndmask_b32_e64 v9, v12, v9, s[0:1]
	v_fma_f32 v12, -v11, v12, v10
	v_cmp_lt_f32_e64 s[0:1], 0, v12
	s_nop 1
	v_cndmask_b32_e64 v9, v9, v11, s[0:1]
	v_mul_f32_e32 v11, 0x37800000, v9
	v_cndmask_b32_e32 v9, v9, v11, vcc
	v_cmp_class_f32_e32 vcc, v10, v5
	s_add_u32 s0, s8, s14
	s_addc_u32 s1, s9, s15
	v_cndmask_b32_e32 v5, v9, v10, vcc
	v_bfe_u32 v9, v5, 16, 1
	v_add3_u32 v5, v5, v9, s17
	v_and_b32_e32 v5, 0xffff0000, v5
	v_cmp_le_f32_e32 vcc, 0, v8
	s_nop 1
	v_cndmask_b32_e32 v5, v7, v5, vcc
	v_or_b32_e32 v5, v6, v5
	global_store_dword v1, v2, s[0:1]
	global_store_dword v1, v3, s[0:1] offset:1024
	global_store_dword v1, v4, s[0:1] offset:2048
	;; [unrolled: 1-line block ×3, first 2 shown]
	s_mov_b64 s[0:1], 0
.LBB269_2:
	s_andn2_b64 vcc, exec, s[0:1]
	s_cbranch_vccnz .LBB269_41
; %bb.3:
	v_cmp_gt_i32_e64 s[0:1], s16, v0
	v_mov_b32_e32 v10, 0
	v_or_b32_e32 v2, s12, v0
	v_mov_b32_e32 v6, 0
	v_mov_b32_e32 v5, v0
	s_and_saveexec_b64 s[2:3], s[0:1]
	s_cbranch_execz .LBB269_5
; %bb.4:
	v_mov_b32_e32 v3, 0
	v_lshl_add_u64 v[4:5], v[2:3], 1, s[10:11]
	global_load_ushort v1, v[4:5], off
	v_or_b32_e32 v5, 0x100, v0
	s_waitcnt vmcnt(0)
	v_lshlrev_b32_e32 v6, 16, v1
.LBB269_5:
	s_or_b64 exec, exec, s[2:3]
	v_cmp_gt_i32_e32 vcc, s16, v5
	s_and_saveexec_b64 s[2:3], vcc
	s_cbranch_execz .LBB269_7
; %bb.6:
	v_add_u32_e32 v8, s12, v5
	v_mov_b32_e32 v9, 0
	v_lshl_add_u64 v[8:9], v[8:9], 1, s[10:11]
	global_load_ushort v1, v[8:9], off
	v_add_u32_e32 v5, 0x100, v5
	s_waitcnt vmcnt(0)
	v_lshlrev_b32_e32 v10, 16, v1
.LBB269_7:
	s_or_b64 exec, exec, s[2:3]
	v_cmp_gt_i32_e32 vcc, s16, v5
	v_mov_b32_e32 v7, 0
	v_mov_b32_e32 v11, 0
	s_and_saveexec_b64 s[2:3], vcc
	s_cbranch_execz .LBB269_9
; %bb.8:
	v_add_u32_e32 v8, s12, v5
	v_mov_b32_e32 v9, 0
	v_lshl_add_u64 v[8:9], v[8:9], 1, s[10:11]
	global_load_ushort v1, v[8:9], off
	v_add_u32_e32 v5, 0x100, v5
	s_waitcnt vmcnt(0)
	v_lshlrev_b32_e32 v11, 16, v1
.LBB269_9:
	s_or_b64 exec, exec, s[2:3]
	v_cmp_gt_i32_e32 vcc, s16, v5
	s_and_saveexec_b64 s[2:3], vcc
	s_cbranch_execz .LBB269_11
; %bb.10:
	v_add_u32_e32 v8, s12, v5
	v_mov_b32_e32 v9, 0
	v_lshl_add_u64 v[8:9], v[8:9], 1, s[10:11]
	global_load_ushort v1, v[8:9], off
	v_add_u32_e32 v5, 0x100, v5
	s_waitcnt vmcnt(0)
	v_lshlrev_b32_e32 v7, 16, v1
.LBB269_11:
	s_or_b64 exec, exec, s[2:3]
	v_cmp_gt_i32_e32 vcc, s16, v5
	v_mov_b32_e32 v3, 0
	v_mov_b32_e32 v9, 0
	s_and_saveexec_b64 s[2:3], vcc
	s_cbranch_execz .LBB269_13
; %bb.12:
	v_add_u32_e32 v8, s12, v5
	v_mov_b32_e32 v9, 0
	v_lshl_add_u64 v[8:9], v[8:9], 1, s[10:11]
	global_load_ushort v1, v[8:9], off
	v_add_u32_e32 v5, 0x100, v5
	s_waitcnt vmcnt(0)
	v_lshlrev_b32_e32 v9, 16, v1
.LBB269_13:
	s_or_b64 exec, exec, s[2:3]
	v_cmp_gt_i32_e32 vcc, s16, v5
	s_and_saveexec_b64 s[2:3], vcc
	s_cbranch_execz .LBB269_15
; %bb.14:
	v_add_u32_e32 v12, s12, v5
	v_mov_b32_e32 v13, 0
	v_lshl_add_u64 v[12:13], v[12:13], 1, s[10:11]
	global_load_ushort v1, v[12:13], off
	v_add_u32_e32 v5, 0x100, v5
	s_waitcnt vmcnt(0)
	v_lshlrev_b32_e32 v3, 16, v1
.LBB269_15:
	s_or_b64 exec, exec, s[2:3]
	v_cmp_gt_i32_e32 vcc, s16, v5
	v_mov_b32_e32 v1, 0
	v_mov_b32_e32 v4, 0
	s_and_saveexec_b64 s[2:3], vcc
	s_cbranch_execnz .LBB269_42
; %bb.16:
	s_or_b64 exec, exec, s[2:3]
	v_cmp_gt_i32_e32 vcc, s16, v5
	s_and_saveexec_b64 s[2:3], vcc
	s_cbranch_execnz .LBB269_43
.LBB269_17:
	s_or_b64 exec, exec, s[2:3]
                                        ; implicit-def: $vgpr5
	s_and_saveexec_b64 s[4:5], s[0:1]
	s_cbranch_execz .LBB269_19
.LBB269_18:
	s_mov_b32 s2, 0xf800000
	v_mul_f32_e32 v5, 0x4f800000, v6
	v_cmp_gt_f32_e32 vcc, s2, v6
	s_nop 1
	v_cndmask_b32_e32 v5, v6, v5, vcc
	v_sqrt_f32_e32 v8, v5
	s_nop 0
	v_add_u32_e32 v12, -1, v8
	v_fma_f32 v13, -v12, v8, v5
	v_cmp_ge_f32_e64 s[2:3], 0, v13
	v_add_u32_e32 v13, 1, v8
	s_nop 0
	v_cndmask_b32_e64 v12, v8, v12, s[2:3]
	v_fma_f32 v8, -v13, v8, v5
	v_cmp_lt_f32_e64 s[2:3], 0, v8
	s_nop 1
	v_cndmask_b32_e64 v8, v12, v13, s[2:3]
	v_mul_f32_e32 v12, 0x37800000, v8
	v_cndmask_b32_e32 v8, v8, v12, vcc
	v_mov_b32_e32 v12, 0x260
	v_cmp_class_f32_e32 vcc, v5, v12
	s_movk_i32 s2, 0x7fff
	s_nop 0
	v_cndmask_b32_e32 v5, v8, v5, vcc
	v_bfe_u32 v8, v5, 16, 1
	v_add3_u32 v5, v5, v8, s2
	v_cmp_le_f32_e32 vcc, 0, v6
	v_mov_b32_e32 v6, 0x7fc0
	s_nop 0
	v_cndmask_b32_sdwa v5, v6, v5, vcc dst_sel:DWORD dst_unused:UNUSED_PAD src0_sel:DWORD src1_sel:WORD_1
.LBB269_19:
	s_or_b64 exec, exec, s[4:5]
	v_or_b32_e32 v6, 0x100, v0
	v_cmp_gt_i32_e32 vcc, s16, v6
                                        ; implicit-def: $vgpr8
	s_and_saveexec_b64 s[4:5], vcc
	s_cbranch_execz .LBB269_21
; %bb.20:
	s_mov_b32 s2, 0xf800000
	v_mul_f32_e32 v8, 0x4f800000, v10
	v_cmp_gt_f32_e32 vcc, s2, v10
	s_nop 1
	v_cndmask_b32_e32 v8, v10, v8, vcc
	v_sqrt_f32_e32 v12, v8
	s_nop 0
	v_add_u32_e32 v13, -1, v12
	v_fma_f32 v14, -v13, v12, v8
	v_cmp_ge_f32_e64 s[2:3], 0, v14
	v_add_u32_e32 v14, 1, v12
	s_nop 0
	v_cndmask_b32_e64 v13, v12, v13, s[2:3]
	v_fma_f32 v12, -v14, v12, v8
	v_cmp_lt_f32_e64 s[2:3], 0, v12
	s_nop 1
	v_cndmask_b32_e64 v12, v13, v14, s[2:3]
	v_mul_f32_e32 v13, 0x37800000, v12
	v_cndmask_b32_e32 v12, v12, v13, vcc
	v_mov_b32_e32 v13, 0x260
	v_cmp_class_f32_e32 vcc, v8, v13
	s_movk_i32 s2, 0x7fff
	s_nop 0
	v_cndmask_b32_e32 v8, v12, v8, vcc
	v_bfe_u32 v12, v8, 16, 1
	v_add3_u32 v8, v8, v12, s2
	v_cmp_le_f32_e32 vcc, 0, v10
	v_mov_b32_e32 v10, 0x7fc0
	s_nop 0
	v_cndmask_b32_sdwa v8, v10, v8, vcc dst_sel:DWORD dst_unused:UNUSED_PAD src0_sel:DWORD src1_sel:WORD_1
.LBB269_21:
	s_or_b64 exec, exec, s[4:5]
	v_or_b32_e32 v10, 0x200, v0
	v_cmp_gt_i32_e32 vcc, s16, v10
                                        ; implicit-def: $vgpr10
	s_and_saveexec_b64 s[4:5], vcc
	s_cbranch_execz .LBB269_23
; %bb.22:
	s_mov_b32 s2, 0xf800000
	v_mul_f32_e32 v10, 0x4f800000, v11
	v_cmp_gt_f32_e32 vcc, s2, v11
	s_nop 1
	v_cndmask_b32_e32 v10, v11, v10, vcc
	v_sqrt_f32_e32 v12, v10
	s_nop 0
	v_add_u32_e32 v13, -1, v12
	v_fma_f32 v14, -v13, v12, v10
	v_cmp_ge_f32_e64 s[2:3], 0, v14
	v_add_u32_e32 v14, 1, v12
	s_nop 0
	v_cndmask_b32_e64 v13, v12, v13, s[2:3]
	v_fma_f32 v12, -v14, v12, v10
	v_cmp_lt_f32_e64 s[2:3], 0, v12
	s_nop 1
	v_cndmask_b32_e64 v12, v13, v14, s[2:3]
	v_mul_f32_e32 v13, 0x37800000, v12
	v_cndmask_b32_e32 v12, v12, v13, vcc
	v_mov_b32_e32 v13, 0x260
	v_cmp_class_f32_e32 vcc, v10, v13
	s_movk_i32 s2, 0x7fff
	s_nop 0
	v_cndmask_b32_e32 v10, v12, v10, vcc
	v_bfe_u32 v12, v10, 16, 1
	v_add3_u32 v10, v10, v12, s2
	v_cmp_le_f32_e32 vcc, 0, v11
	v_mov_b32_e32 v11, 0x7fc0
	s_nop 0
	v_cndmask_b32_sdwa v10, v11, v10, vcc dst_sel:DWORD dst_unused:UNUSED_PAD src0_sel:DWORD src1_sel:WORD_1
.LBB269_23:
	s_or_b64 exec, exec, s[4:5]
	v_or_b32_e32 v11, 0x300, v0
	v_cmp_gt_i32_e32 vcc, s16, v11
                                        ; implicit-def: $vgpr11
	s_and_saveexec_b64 s[4:5], vcc
	s_cbranch_execz .LBB269_25
; %bb.24:
	s_mov_b32 s2, 0xf800000
	v_mul_f32_e32 v11, 0x4f800000, v7
	v_cmp_gt_f32_e32 vcc, s2, v7
	s_nop 1
	v_cndmask_b32_e32 v11, v7, v11, vcc
	v_sqrt_f32_e32 v12, v11
	s_nop 0
	v_add_u32_e32 v13, -1, v12
	v_fma_f32 v14, -v13, v12, v11
	v_cmp_ge_f32_e64 s[2:3], 0, v14
	v_add_u32_e32 v14, 1, v12
	s_nop 0
	v_cndmask_b32_e64 v13, v12, v13, s[2:3]
	v_fma_f32 v12, -v14, v12, v11
	v_cmp_lt_f32_e64 s[2:3], 0, v12
	s_nop 1
	v_cndmask_b32_e64 v12, v13, v14, s[2:3]
	v_mul_f32_e32 v13, 0x37800000, v12
	v_cndmask_b32_e32 v12, v12, v13, vcc
	v_mov_b32_e32 v13, 0x260
	v_cmp_class_f32_e32 vcc, v11, v13
	s_movk_i32 s2, 0x7fff
	s_nop 0
	v_cndmask_b32_e32 v11, v12, v11, vcc
	v_bfe_u32 v12, v11, 16, 1
	v_add3_u32 v11, v11, v12, s2
	v_cmp_le_f32_e32 vcc, 0, v7
	v_mov_b32_e32 v7, 0x7fc0
	s_nop 0
	v_cndmask_b32_sdwa v11, v7, v11, vcc dst_sel:DWORD dst_unused:UNUSED_PAD src0_sel:DWORD src1_sel:WORD_1
.LBB269_25:
	s_or_b64 exec, exec, s[4:5]
	v_or_b32_e32 v7, 0x400, v0
	v_cmp_gt_i32_e32 vcc, s16, v7
                                        ; implicit-def: $vgpr7
	s_and_saveexec_b64 s[4:5], vcc
	s_cbranch_execz .LBB269_27
; %bb.26:
	s_mov_b32 s2, 0xf800000
	v_mul_f32_e32 v7, 0x4f800000, v9
	v_cmp_gt_f32_e32 vcc, s2, v9
	s_nop 1
	v_cndmask_b32_e32 v7, v9, v7, vcc
	v_sqrt_f32_e32 v12, v7
	s_nop 0
	v_add_u32_e32 v13, -1, v12
	v_fma_f32 v14, -v13, v12, v7
	v_cmp_ge_f32_e64 s[2:3], 0, v14
	v_add_u32_e32 v14, 1, v12
	s_nop 0
	v_cndmask_b32_e64 v13, v12, v13, s[2:3]
	v_fma_f32 v12, -v14, v12, v7
	v_cmp_lt_f32_e64 s[2:3], 0, v12
	s_nop 1
	v_cndmask_b32_e64 v12, v13, v14, s[2:3]
	v_mul_f32_e32 v13, 0x37800000, v12
	v_cndmask_b32_e32 v12, v12, v13, vcc
	v_mov_b32_e32 v13, 0x260
	v_cmp_class_f32_e32 vcc, v7, v13
	s_movk_i32 s2, 0x7fff
	s_nop 0
	v_cndmask_b32_e32 v7, v12, v7, vcc
	v_bfe_u32 v12, v7, 16, 1
	v_add3_u32 v7, v7, v12, s2
	v_cmp_le_f32_e32 vcc, 0, v9
	v_mov_b32_e32 v9, 0x7fc0
	s_nop 0
	v_cndmask_b32_sdwa v7, v9, v7, vcc dst_sel:DWORD dst_unused:UNUSED_PAD src0_sel:DWORD src1_sel:WORD_1
.LBB269_27:
	s_or_b64 exec, exec, s[4:5]
	v_or_b32_e32 v9, 0x500, v0
	v_cmp_gt_i32_e32 vcc, s16, v9
                                        ; implicit-def: $vgpr9
	s_and_saveexec_b64 s[4:5], vcc
	s_cbranch_execz .LBB269_29
; %bb.28:
	s_mov_b32 s2, 0xf800000
	v_mul_f32_e32 v9, 0x4f800000, v3
	v_cmp_gt_f32_e32 vcc, s2, v3
	s_nop 1
	v_cndmask_b32_e32 v9, v3, v9, vcc
	v_sqrt_f32_e32 v12, v9
	s_nop 0
	v_add_u32_e32 v13, -1, v12
	v_fma_f32 v14, -v13, v12, v9
	v_cmp_ge_f32_e64 s[2:3], 0, v14
	v_add_u32_e32 v14, 1, v12
	s_nop 0
	v_cndmask_b32_e64 v13, v12, v13, s[2:3]
	v_fma_f32 v12, -v14, v12, v9
	v_cmp_lt_f32_e64 s[2:3], 0, v12
	s_nop 1
	v_cndmask_b32_e64 v12, v13, v14, s[2:3]
	v_mul_f32_e32 v13, 0x37800000, v12
	v_cndmask_b32_e32 v12, v12, v13, vcc
	v_mov_b32_e32 v13, 0x260
	v_cmp_class_f32_e32 vcc, v9, v13
	s_movk_i32 s2, 0x7fff
	s_nop 0
	v_cndmask_b32_e32 v9, v12, v9, vcc
	v_bfe_u32 v12, v9, 16, 1
	v_add3_u32 v9, v9, v12, s2
	v_cmp_le_f32_e32 vcc, 0, v3
	v_mov_b32_e32 v3, 0x7fc0
	s_nop 0
	v_cndmask_b32_sdwa v9, v3, v9, vcc dst_sel:DWORD dst_unused:UNUSED_PAD src0_sel:DWORD src1_sel:WORD_1
.LBB269_29:
	s_or_b64 exec, exec, s[4:5]
	v_or_b32_e32 v3, 0x600, v0
	v_cmp_gt_i32_e32 vcc, s16, v3
                                        ; implicit-def: $vgpr12
	s_and_saveexec_b64 s[4:5], vcc
	s_cbranch_execz .LBB269_31
; %bb.30:
	s_mov_b32 s2, 0xf800000
	v_mul_f32_e32 v3, 0x4f800000, v4
	v_cmp_gt_f32_e32 vcc, s2, v4
	s_nop 1
	v_cndmask_b32_e32 v3, v4, v3, vcc
	v_sqrt_f32_e32 v12, v3
	s_nop 0
	v_add_u32_e32 v13, -1, v12
	v_fma_f32 v14, -v13, v12, v3
	v_cmp_ge_f32_e64 s[2:3], 0, v14
	v_add_u32_e32 v14, 1, v12
	s_nop 0
	v_cndmask_b32_e64 v13, v12, v13, s[2:3]
	v_fma_f32 v12, -v14, v12, v3
	v_cmp_lt_f32_e64 s[2:3], 0, v12
	s_nop 1
	v_cndmask_b32_e64 v12, v13, v14, s[2:3]
	v_mul_f32_e32 v13, 0x37800000, v12
	v_cndmask_b32_e32 v12, v12, v13, vcc
	v_mov_b32_e32 v13, 0x260
	v_cmp_class_f32_e32 vcc, v3, v13
	s_movk_i32 s2, 0x7fff
	s_nop 0
	v_cndmask_b32_e32 v3, v12, v3, vcc
	v_bfe_u32 v12, v3, 16, 1
	v_add3_u32 v3, v3, v12, s2
	v_cmp_le_f32_e32 vcc, 0, v4
	v_mov_b32_e32 v4, 0x7fc0
	s_nop 0
	v_cndmask_b32_sdwa v12, v4, v3, vcc dst_sel:DWORD dst_unused:UNUSED_PAD src0_sel:DWORD src1_sel:WORD_1
.LBB269_31:
	s_or_b64 exec, exec, s[4:5]
	v_or_b32_e32 v3, 0x700, v0
	v_cmp_gt_i32_e32 vcc, s16, v3
                                        ; implicit-def: $vgpr4
	s_and_saveexec_b64 s[4:5], vcc
	s_cbranch_execnz .LBB269_44
; %bb.32:
	s_or_b64 exec, exec, s[4:5]
	s_and_saveexec_b64 s[2:3], s[0:1]
	s_xor_b64 s[0:1], exec, s[2:3]
	s_cbranch_execnz .LBB269_45
.LBB269_33:
	s_or_b64 exec, exec, s[0:1]
	v_cmp_gt_i32_e32 vcc, s16, v0
	s_and_saveexec_b64 s[0:1], vcc
	s_cbranch_execnz .LBB269_46
.LBB269_34:
	s_or_b64 exec, exec, s[0:1]
	v_cmp_gt_i32_e32 vcc, s16, v0
	s_and_saveexec_b64 s[0:1], vcc
	s_cbranch_execnz .LBB269_47
.LBB269_35:
	s_or_b64 exec, exec, s[0:1]
	v_cmp_gt_i32_e32 vcc, s16, v0
	s_and_saveexec_b64 s[0:1], vcc
	s_cbranch_execnz .LBB269_48
.LBB269_36:
	s_or_b64 exec, exec, s[0:1]
	v_cmp_gt_i32_e32 vcc, s16, v0
	s_and_saveexec_b64 s[0:1], vcc
	s_cbranch_execnz .LBB269_49
.LBB269_37:
	s_or_b64 exec, exec, s[0:1]
	v_cmp_gt_i32_e32 vcc, s16, v0
	s_and_saveexec_b64 s[0:1], vcc
	s_cbranch_execnz .LBB269_50
.LBB269_38:
	s_or_b64 exec, exec, s[0:1]
	v_cmp_gt_i32_e32 vcc, s16, v0
	s_and_saveexec_b64 s[0:1], vcc
	s_cbranch_execnz .LBB269_51
.LBB269_39:
	s_or_b64 exec, exec, s[0:1]
	v_cmp_gt_i32_e32 vcc, s16, v0
	s_and_saveexec_b64 s[0:1], vcc
	s_cbranch_execz .LBB269_41
.LBB269_40:
	v_add_u32_e32 v0, s12, v0
	v_mov_b32_e32 v1, 0
	v_lshl_add_u64 v[0:1], v[0:1], 1, s[8:9]
	global_store_short v[0:1], v4, off
.LBB269_41:
	s_endpgm
.LBB269_42:
	v_add_u32_e32 v12, s12, v5
	v_mov_b32_e32 v13, 0
	v_lshl_add_u64 v[12:13], v[12:13], 1, s[10:11]
	global_load_ushort v4, v[12:13], off
	v_add_u32_e32 v5, 0x100, v5
	s_waitcnt vmcnt(0)
	v_lshlrev_b32_e32 v4, 16, v4
	s_or_b64 exec, exec, s[2:3]
	v_cmp_gt_i32_e32 vcc, s16, v5
	s_and_saveexec_b64 s[2:3], vcc
	s_cbranch_execz .LBB269_17
.LBB269_43:
	v_add_u32_e32 v12, s12, v5
	v_mov_b32_e32 v13, 0
	v_lshl_add_u64 v[12:13], v[12:13], 1, s[10:11]
	global_load_ushort v1, v[12:13], off
	s_waitcnt vmcnt(0)
	v_lshlrev_b32_e32 v1, 16, v1
	s_or_b64 exec, exec, s[2:3]
                                        ; implicit-def: $vgpr5
	s_and_saveexec_b64 s[4:5], s[0:1]
	s_cbranch_execnz .LBB269_18
	s_branch .LBB269_19
.LBB269_44:
	s_mov_b32 s2, 0xf800000
	v_mul_f32_e32 v3, 0x4f800000, v1
	v_cmp_gt_f32_e32 vcc, s2, v1
	s_nop 1
	v_cndmask_b32_e32 v3, v1, v3, vcc
	v_sqrt_f32_e32 v4, v3
	s_nop 0
	v_add_u32_e32 v13, -1, v4
	v_fma_f32 v14, -v13, v4, v3
	v_cmp_ge_f32_e64 s[2:3], 0, v14
	v_add_u32_e32 v14, 1, v4
	s_nop 0
	v_cndmask_b32_e64 v13, v4, v13, s[2:3]
	v_fma_f32 v4, -v14, v4, v3
	v_cmp_lt_f32_e64 s[2:3], 0, v4
	s_nop 1
	v_cndmask_b32_e64 v4, v13, v14, s[2:3]
	v_mul_f32_e32 v13, 0x37800000, v4
	v_cndmask_b32_e32 v4, v4, v13, vcc
	v_mov_b32_e32 v13, 0x260
	v_cmp_class_f32_e32 vcc, v3, v13
	s_movk_i32 s2, 0x7fff
	s_nop 0
	v_cndmask_b32_e32 v3, v4, v3, vcc
	v_bfe_u32 v4, v3, 16, 1
	v_add3_u32 v3, v3, v4, s2
	v_cmp_le_f32_e32 vcc, 0, v1
	v_mov_b32_e32 v1, 0x7fc0
	s_nop 0
	v_cndmask_b32_sdwa v4, v1, v3, vcc dst_sel:DWORD dst_unused:UNUSED_PAD src0_sel:DWORD src1_sel:WORD_1
	s_or_b64 exec, exec, s[4:5]
	s_and_saveexec_b64 s[2:3], s[0:1]
	s_xor_b64 s[0:1], exec, s[2:3]
	s_cbranch_execz .LBB269_33
.LBB269_45:
	v_mov_b32_e32 v3, 0
	v_lshl_add_u64 v[0:1], v[2:3], 1, s[8:9]
	global_store_short v[0:1], v5, off
	v_mov_b32_e32 v0, v6
	s_or_b64 exec, exec, s[0:1]
	v_cmp_gt_i32_e32 vcc, s16, v0
	s_and_saveexec_b64 s[0:1], vcc
	s_cbranch_execz .LBB269_34
.LBB269_46:
	v_add_u32_e32 v2, s12, v0
	v_mov_b32_e32 v3, 0
	v_lshl_add_u64 v[2:3], v[2:3], 1, s[8:9]
	v_add_u32_e32 v0, 0x100, v0
	global_store_short v[2:3], v8, off
	s_or_b64 exec, exec, s[0:1]
	v_cmp_gt_i32_e32 vcc, s16, v0
	s_and_saveexec_b64 s[0:1], vcc
	s_cbranch_execz .LBB269_35
.LBB269_47:
	v_add_u32_e32 v2, s12, v0
	v_mov_b32_e32 v3, 0
	v_lshl_add_u64 v[2:3], v[2:3], 1, s[8:9]
	v_add_u32_e32 v0, 0x100, v0
	global_store_short v[2:3], v10, off
	s_or_b64 exec, exec, s[0:1]
	v_cmp_gt_i32_e32 vcc, s16, v0
	s_and_saveexec_b64 s[0:1], vcc
	s_cbranch_execz .LBB269_36
.LBB269_48:
	v_add_u32_e32 v2, s12, v0
	v_mov_b32_e32 v3, 0
	v_lshl_add_u64 v[2:3], v[2:3], 1, s[8:9]
	v_add_u32_e32 v0, 0x100, v0
	global_store_short v[2:3], v11, off
	s_or_b64 exec, exec, s[0:1]
	v_cmp_gt_i32_e32 vcc, s16, v0
	s_and_saveexec_b64 s[0:1], vcc
	s_cbranch_execz .LBB269_37
.LBB269_49:
	v_add_u32_e32 v2, s12, v0
	v_mov_b32_e32 v3, 0
	v_lshl_add_u64 v[2:3], v[2:3], 1, s[8:9]
	v_add_u32_e32 v0, 0x100, v0
	global_store_short v[2:3], v7, off
	s_or_b64 exec, exec, s[0:1]
	v_cmp_gt_i32_e32 vcc, s16, v0
	s_and_saveexec_b64 s[0:1], vcc
	s_cbranch_execz .LBB269_38
.LBB269_50:
	v_add_u32_e32 v2, s12, v0
	v_mov_b32_e32 v3, 0
	v_lshl_add_u64 v[2:3], v[2:3], 1, s[8:9]
	v_add_u32_e32 v0, 0x100, v0
	global_store_short v[2:3], v9, off
	s_or_b64 exec, exec, s[0:1]
	v_cmp_gt_i32_e32 vcc, s16, v0
	s_and_saveexec_b64 s[0:1], vcc
	s_cbranch_execz .LBB269_39
.LBB269_51:
	v_add_u32_e32 v2, s12, v0
	v_mov_b32_e32 v3, 0
	v_lshl_add_u64 v[2:3], v[2:3], 1, s[8:9]
	v_add_u32_e32 v0, 0x100, v0
	global_store_short v[2:3], v12, off
	s_or_b64 exec, exec, s[0:1]
	v_cmp_gt_i32_e32 vcc, s16, v0
	s_and_saveexec_b64 s[0:1], vcc
	s_cbranch_execnz .LBB269_40
	s_branch .LBB269_41
	.section	.rodata,"a",@progbits
	.p2align	6, 0x0
	.amdhsa_kernel _ZN2at6native29vectorized_elementwise_kernelILi2EZZZNS0_16sqrt_kernel_cudaERNS_18TensorIteratorBaseEENKUlvE0_clEvENKUlvE2_clEvEUlN3c108BFloat16EE_St5arrayIPcLm2EEEEviT0_T1_
		.amdhsa_group_segment_fixed_size 0
		.amdhsa_private_segment_fixed_size 0
		.amdhsa_kernarg_size 24
		.amdhsa_user_sgpr_count 2
		.amdhsa_user_sgpr_dispatch_ptr 0
		.amdhsa_user_sgpr_queue_ptr 0
		.amdhsa_user_sgpr_kernarg_segment_ptr 1
		.amdhsa_user_sgpr_dispatch_id 0
		.amdhsa_user_sgpr_kernarg_preload_length 0
		.amdhsa_user_sgpr_kernarg_preload_offset 0
		.amdhsa_user_sgpr_private_segment_size 0
		.amdhsa_uses_dynamic_stack 0
		.amdhsa_enable_private_segment 0
		.amdhsa_system_sgpr_workgroup_id_x 1
		.amdhsa_system_sgpr_workgroup_id_y 0
		.amdhsa_system_sgpr_workgroup_id_z 0
		.amdhsa_system_sgpr_workgroup_info 0
		.amdhsa_system_vgpr_workitem_id 0
		.amdhsa_next_free_vgpr 37
		.amdhsa_next_free_sgpr 18
		.amdhsa_accum_offset 40
		.amdhsa_reserve_vcc 1
		.amdhsa_float_round_mode_32 0
		.amdhsa_float_round_mode_16_64 0
		.amdhsa_float_denorm_mode_32 3
		.amdhsa_float_denorm_mode_16_64 3
		.amdhsa_dx10_clamp 1
		.amdhsa_ieee_mode 1
		.amdhsa_fp16_overflow 0
		.amdhsa_tg_split 0
		.amdhsa_exception_fp_ieee_invalid_op 0
		.amdhsa_exception_fp_denorm_src 0
		.amdhsa_exception_fp_ieee_div_zero 0
		.amdhsa_exception_fp_ieee_overflow 0
		.amdhsa_exception_fp_ieee_underflow 0
		.amdhsa_exception_fp_ieee_inexact 0
		.amdhsa_exception_int_div_zero 0
	.end_amdhsa_kernel
	.section	.text._ZN2at6native29vectorized_elementwise_kernelILi2EZZZNS0_16sqrt_kernel_cudaERNS_18TensorIteratorBaseEENKUlvE0_clEvENKUlvE2_clEvEUlN3c108BFloat16EE_St5arrayIPcLm2EEEEviT0_T1_,"axG",@progbits,_ZN2at6native29vectorized_elementwise_kernelILi2EZZZNS0_16sqrt_kernel_cudaERNS_18TensorIteratorBaseEENKUlvE0_clEvENKUlvE2_clEvEUlN3c108BFloat16EE_St5arrayIPcLm2EEEEviT0_T1_,comdat
.Lfunc_end269:
	.size	_ZN2at6native29vectorized_elementwise_kernelILi2EZZZNS0_16sqrt_kernel_cudaERNS_18TensorIteratorBaseEENKUlvE0_clEvENKUlvE2_clEvEUlN3c108BFloat16EE_St5arrayIPcLm2EEEEviT0_T1_, .Lfunc_end269-_ZN2at6native29vectorized_elementwise_kernelILi2EZZZNS0_16sqrt_kernel_cudaERNS_18TensorIteratorBaseEENKUlvE0_clEvENKUlvE2_clEvEUlN3c108BFloat16EE_St5arrayIPcLm2EEEEviT0_T1_
                                        ; -- End function
	.set _ZN2at6native29vectorized_elementwise_kernelILi2EZZZNS0_16sqrt_kernel_cudaERNS_18TensorIteratorBaseEENKUlvE0_clEvENKUlvE2_clEvEUlN3c108BFloat16EE_St5arrayIPcLm2EEEEviT0_T1_.num_vgpr, 37
	.set _ZN2at6native29vectorized_elementwise_kernelILi2EZZZNS0_16sqrt_kernel_cudaERNS_18TensorIteratorBaseEENKUlvE0_clEvENKUlvE2_clEvEUlN3c108BFloat16EE_St5arrayIPcLm2EEEEviT0_T1_.num_agpr, 0
	.set _ZN2at6native29vectorized_elementwise_kernelILi2EZZZNS0_16sqrt_kernel_cudaERNS_18TensorIteratorBaseEENKUlvE0_clEvENKUlvE2_clEvEUlN3c108BFloat16EE_St5arrayIPcLm2EEEEviT0_T1_.numbered_sgpr, 18
	.set _ZN2at6native29vectorized_elementwise_kernelILi2EZZZNS0_16sqrt_kernel_cudaERNS_18TensorIteratorBaseEENKUlvE0_clEvENKUlvE2_clEvEUlN3c108BFloat16EE_St5arrayIPcLm2EEEEviT0_T1_.num_named_barrier, 0
	.set _ZN2at6native29vectorized_elementwise_kernelILi2EZZZNS0_16sqrt_kernel_cudaERNS_18TensorIteratorBaseEENKUlvE0_clEvENKUlvE2_clEvEUlN3c108BFloat16EE_St5arrayIPcLm2EEEEviT0_T1_.private_seg_size, 0
	.set _ZN2at6native29vectorized_elementwise_kernelILi2EZZZNS0_16sqrt_kernel_cudaERNS_18TensorIteratorBaseEENKUlvE0_clEvENKUlvE2_clEvEUlN3c108BFloat16EE_St5arrayIPcLm2EEEEviT0_T1_.uses_vcc, 1
	.set _ZN2at6native29vectorized_elementwise_kernelILi2EZZZNS0_16sqrt_kernel_cudaERNS_18TensorIteratorBaseEENKUlvE0_clEvENKUlvE2_clEvEUlN3c108BFloat16EE_St5arrayIPcLm2EEEEviT0_T1_.uses_flat_scratch, 0
	.set _ZN2at6native29vectorized_elementwise_kernelILi2EZZZNS0_16sqrt_kernel_cudaERNS_18TensorIteratorBaseEENKUlvE0_clEvENKUlvE2_clEvEUlN3c108BFloat16EE_St5arrayIPcLm2EEEEviT0_T1_.has_dyn_sized_stack, 0
	.set _ZN2at6native29vectorized_elementwise_kernelILi2EZZZNS0_16sqrt_kernel_cudaERNS_18TensorIteratorBaseEENKUlvE0_clEvENKUlvE2_clEvEUlN3c108BFloat16EE_St5arrayIPcLm2EEEEviT0_T1_.has_recursion, 0
	.set _ZN2at6native29vectorized_elementwise_kernelILi2EZZZNS0_16sqrt_kernel_cudaERNS_18TensorIteratorBaseEENKUlvE0_clEvENKUlvE2_clEvEUlN3c108BFloat16EE_St5arrayIPcLm2EEEEviT0_T1_.has_indirect_call, 0
	.section	.AMDGPU.csdata,"",@progbits
; Kernel info:
; codeLenInByte = 3992
; TotalNumSgprs: 24
; NumVgprs: 37
; NumAgprs: 0
; TotalNumVgprs: 37
; ScratchSize: 0
; MemoryBound: 0
; FloatMode: 240
; IeeeMode: 1
; LDSByteSize: 0 bytes/workgroup (compile time only)
; SGPRBlocks: 2
; VGPRBlocks: 4
; NumSGPRsForWavesPerEU: 24
; NumVGPRsForWavesPerEU: 37
; AccumOffset: 40
; Occupancy: 8
; WaveLimiterHint : 1
; COMPUTE_PGM_RSRC2:SCRATCH_EN: 0
; COMPUTE_PGM_RSRC2:USER_SGPR: 2
; COMPUTE_PGM_RSRC2:TRAP_HANDLER: 0
; COMPUTE_PGM_RSRC2:TGID_X_EN: 1
; COMPUTE_PGM_RSRC2:TGID_Y_EN: 0
; COMPUTE_PGM_RSRC2:TGID_Z_EN: 0
; COMPUTE_PGM_RSRC2:TIDIG_COMP_CNT: 0
; COMPUTE_PGM_RSRC3_GFX90A:ACCUM_OFFSET: 9
; COMPUTE_PGM_RSRC3_GFX90A:TG_SPLIT: 0
	.section	.text._ZN2at6native27unrolled_elementwise_kernelIZZZNS0_16sqrt_kernel_cudaERNS_18TensorIteratorBaseEENKUlvE0_clEvENKUlvE2_clEvEUlN3c108BFloat16EE_St5arrayIPcLm2EELi4E23TrivialOffsetCalculatorILi1EjESD_NS0_6memory15LoadWithoutCastENSE_16StoreWithoutCastEEEviT_T0_T2_T3_T4_T5_,"axG",@progbits,_ZN2at6native27unrolled_elementwise_kernelIZZZNS0_16sqrt_kernel_cudaERNS_18TensorIteratorBaseEENKUlvE0_clEvENKUlvE2_clEvEUlN3c108BFloat16EE_St5arrayIPcLm2EELi4E23TrivialOffsetCalculatorILi1EjESD_NS0_6memory15LoadWithoutCastENSE_16StoreWithoutCastEEEviT_T0_T2_T3_T4_T5_,comdat
	.globl	_ZN2at6native27unrolled_elementwise_kernelIZZZNS0_16sqrt_kernel_cudaERNS_18TensorIteratorBaseEENKUlvE0_clEvENKUlvE2_clEvEUlN3c108BFloat16EE_St5arrayIPcLm2EELi4E23TrivialOffsetCalculatorILi1EjESD_NS0_6memory15LoadWithoutCastENSE_16StoreWithoutCastEEEviT_T0_T2_T3_T4_T5_ ; -- Begin function _ZN2at6native27unrolled_elementwise_kernelIZZZNS0_16sqrt_kernel_cudaERNS_18TensorIteratorBaseEENKUlvE0_clEvENKUlvE2_clEvEUlN3c108BFloat16EE_St5arrayIPcLm2EELi4E23TrivialOffsetCalculatorILi1EjESD_NS0_6memory15LoadWithoutCastENSE_16StoreWithoutCastEEEviT_T0_T2_T3_T4_T5_
	.p2align	8
	.type	_ZN2at6native27unrolled_elementwise_kernelIZZZNS0_16sqrt_kernel_cudaERNS_18TensorIteratorBaseEENKUlvE0_clEvENKUlvE2_clEvEUlN3c108BFloat16EE_St5arrayIPcLm2EELi4E23TrivialOffsetCalculatorILi1EjESD_NS0_6memory15LoadWithoutCastENSE_16StoreWithoutCastEEEviT_T0_T2_T3_T4_T5_,@function
_ZN2at6native27unrolled_elementwise_kernelIZZZNS0_16sqrt_kernel_cudaERNS_18TensorIteratorBaseEENKUlvE0_clEvENKUlvE2_clEvEUlN3c108BFloat16EE_St5arrayIPcLm2EELi4E23TrivialOffsetCalculatorILi1EjESD_NS0_6memory15LoadWithoutCastENSE_16StoreWithoutCastEEEviT_T0_T2_T3_T4_T5_: ; @_ZN2at6native27unrolled_elementwise_kernelIZZZNS0_16sqrt_kernel_cudaERNS_18TensorIteratorBaseEENKUlvE0_clEvENKUlvE2_clEvEUlN3c108BFloat16EE_St5arrayIPcLm2EELi4E23TrivialOffsetCalculatorILi1EjESD_NS0_6memory15LoadWithoutCastENSE_16StoreWithoutCastEEEviT_T0_T2_T3_T4_T5_
; %bb.0:
	s_load_dword s3, s[0:1], 0x0
	s_load_dwordx4 s[4:7], s[0:1], 0x8
	s_lshl_b32 s8, s2, 10
	v_mov_b32_e32 v4, 0
	v_or_b32_e32 v2, s8, v0
	s_waitcnt lgkmcnt(0)
	s_sub_i32 s9, s3, s8
	v_cmp_gt_i32_e64 s[0:1], s9, v0
	v_mov_b32_e32 v6, 0
	v_mov_b32_e32 v5, v0
	s_and_saveexec_b64 s[2:3], s[0:1]
	s_cbranch_execz .LBB270_2
; %bb.1:
	v_mov_b32_e32 v3, 0
	v_lshl_add_u64 v[6:7], v[2:3], 1, s[6:7]
	global_load_ushort v1, v[6:7], off
	v_or_b32_e32 v5, 0x100, v0
	s_waitcnt vmcnt(0)
	v_lshlrev_b32_e32 v6, 16, v1
.LBB270_2:
	s_or_b64 exec, exec, s[2:3]
	v_cmp_gt_i32_e32 vcc, s9, v5
	s_and_saveexec_b64 s[2:3], vcc
	s_cbranch_execz .LBB270_4
; %bb.3:
	v_add_u32_e32 v8, s8, v5
	v_mov_b32_e32 v9, 0
	v_lshl_add_u64 v[8:9], v[8:9], 1, s[6:7]
	global_load_ushort v1, v[8:9], off
	v_add_u32_e32 v5, 0x100, v5
	s_waitcnt vmcnt(0)
	v_lshlrev_b32_e32 v4, 16, v1
.LBB270_4:
	s_or_b64 exec, exec, s[2:3]
	v_cmp_gt_i32_e32 vcc, s9, v5
	v_mov_b32_e32 v1, 0
	v_mov_b32_e32 v3, 0
	s_and_saveexec_b64 s[2:3], vcc
	s_cbranch_execnz .LBB270_18
; %bb.5:
	s_or_b64 exec, exec, s[2:3]
	v_cmp_gt_i32_e32 vcc, s9, v5
	s_and_saveexec_b64 s[2:3], vcc
	s_cbranch_execnz .LBB270_19
.LBB270_6:
	s_or_b64 exec, exec, s[2:3]
                                        ; implicit-def: $vgpr5
	s_and_saveexec_b64 s[6:7], s[0:1]
	s_cbranch_execz .LBB270_8
.LBB270_7:
	s_mov_b32 s2, 0xf800000
	v_mul_f32_e32 v5, 0x4f800000, v6
	v_cmp_gt_f32_e32 vcc, s2, v6
	s_nop 1
	v_cndmask_b32_e32 v5, v6, v5, vcc
	v_sqrt_f32_e32 v7, v5
	s_nop 0
	v_add_u32_e32 v8, -1, v7
	v_fma_f32 v9, -v8, v7, v5
	v_cmp_ge_f32_e64 s[2:3], 0, v9
	v_add_u32_e32 v9, 1, v7
	s_nop 0
	v_cndmask_b32_e64 v8, v7, v8, s[2:3]
	v_fma_f32 v7, -v9, v7, v5
	v_cmp_lt_f32_e64 s[2:3], 0, v7
	s_nop 1
	v_cndmask_b32_e64 v7, v8, v9, s[2:3]
	v_mul_f32_e32 v8, 0x37800000, v7
	v_cndmask_b32_e32 v7, v7, v8, vcc
	v_mov_b32_e32 v8, 0x260
	v_cmp_class_f32_e32 vcc, v5, v8
	s_movk_i32 s2, 0x7fff
	s_nop 0
	v_cndmask_b32_e32 v5, v7, v5, vcc
	v_bfe_u32 v7, v5, 16, 1
	v_add3_u32 v5, v5, v7, s2
	v_cmp_le_f32_e32 vcc, 0, v6
	v_mov_b32_e32 v6, 0x7fc0
	s_nop 0
	v_cndmask_b32_sdwa v5, v6, v5, vcc dst_sel:DWORD dst_unused:UNUSED_PAD src0_sel:DWORD src1_sel:WORD_1
.LBB270_8:
	s_or_b64 exec, exec, s[6:7]
	v_or_b32_e32 v6, 0x100, v0
	v_cmp_gt_i32_e32 vcc, s9, v6
                                        ; implicit-def: $vgpr7
	s_and_saveexec_b64 s[6:7], vcc
	s_cbranch_execz .LBB270_10
; %bb.9:
	s_mov_b32 s2, 0xf800000
	v_mul_f32_e32 v7, 0x4f800000, v4
	v_cmp_gt_f32_e32 vcc, s2, v4
	s_nop 1
	v_cndmask_b32_e32 v7, v4, v7, vcc
	v_sqrt_f32_e32 v8, v7
	s_nop 0
	v_add_u32_e32 v9, -1, v8
	v_fma_f32 v10, -v9, v8, v7
	v_cmp_ge_f32_e64 s[2:3], 0, v10
	v_add_u32_e32 v10, 1, v8
	s_nop 0
	v_cndmask_b32_e64 v9, v8, v9, s[2:3]
	v_fma_f32 v8, -v10, v8, v7
	v_cmp_lt_f32_e64 s[2:3], 0, v8
	s_nop 1
	v_cndmask_b32_e64 v8, v9, v10, s[2:3]
	v_mul_f32_e32 v9, 0x37800000, v8
	v_cndmask_b32_e32 v8, v8, v9, vcc
	v_mov_b32_e32 v9, 0x260
	v_cmp_class_f32_e32 vcc, v7, v9
	s_movk_i32 s2, 0x7fff
	s_nop 0
	v_cndmask_b32_e32 v7, v8, v7, vcc
	v_bfe_u32 v8, v7, 16, 1
	v_add3_u32 v7, v7, v8, s2
	v_cmp_le_f32_e32 vcc, 0, v4
	v_mov_b32_e32 v4, 0x7fc0
	s_nop 0
	v_cndmask_b32_sdwa v7, v4, v7, vcc dst_sel:DWORD dst_unused:UNUSED_PAD src0_sel:DWORD src1_sel:WORD_1
.LBB270_10:
	s_or_b64 exec, exec, s[6:7]
	v_or_b32_e32 v4, 0x200, v0
	v_cmp_gt_i32_e32 vcc, s9, v4
                                        ; implicit-def: $vgpr4
	s_and_saveexec_b64 s[6:7], vcc
	s_cbranch_execz .LBB270_12
; %bb.11:
	s_mov_b32 s2, 0xf800000
	v_mul_f32_e32 v4, 0x4f800000, v3
	v_cmp_gt_f32_e32 vcc, s2, v3
	s_nop 1
	v_cndmask_b32_e32 v4, v3, v4, vcc
	v_sqrt_f32_e32 v8, v4
	s_nop 0
	v_add_u32_e32 v9, -1, v8
	v_fma_f32 v10, -v9, v8, v4
	v_cmp_ge_f32_e64 s[2:3], 0, v10
	v_add_u32_e32 v10, 1, v8
	s_nop 0
	v_cndmask_b32_e64 v9, v8, v9, s[2:3]
	v_fma_f32 v8, -v10, v8, v4
	v_cmp_lt_f32_e64 s[2:3], 0, v8
	s_nop 1
	v_cndmask_b32_e64 v8, v9, v10, s[2:3]
	v_mul_f32_e32 v9, 0x37800000, v8
	v_cndmask_b32_e32 v8, v8, v9, vcc
	v_mov_b32_e32 v9, 0x260
	v_cmp_class_f32_e32 vcc, v4, v9
	s_movk_i32 s2, 0x7fff
	s_nop 0
	v_cndmask_b32_e32 v4, v8, v4, vcc
	v_bfe_u32 v8, v4, 16, 1
	v_add3_u32 v4, v4, v8, s2
	v_cmp_le_f32_e32 vcc, 0, v3
	v_mov_b32_e32 v3, 0x7fc0
	s_nop 0
	v_cndmask_b32_sdwa v4, v3, v4, vcc dst_sel:DWORD dst_unused:UNUSED_PAD src0_sel:DWORD src1_sel:WORD_1
.LBB270_12:
	s_or_b64 exec, exec, s[6:7]
	v_or_b32_e32 v3, 0x300, v0
	v_cmp_gt_i32_e32 vcc, s9, v3
                                        ; implicit-def: $vgpr8
	s_and_saveexec_b64 s[6:7], vcc
	s_cbranch_execnz .LBB270_20
; %bb.13:
	s_or_b64 exec, exec, s[6:7]
	s_and_saveexec_b64 s[2:3], s[0:1]
	s_xor_b64 s[0:1], exec, s[2:3]
	s_cbranch_execnz .LBB270_21
.LBB270_14:
	s_or_b64 exec, exec, s[0:1]
	v_cmp_gt_i32_e32 vcc, s9, v0
	s_and_saveexec_b64 s[0:1], vcc
	s_cbranch_execnz .LBB270_22
.LBB270_15:
	s_or_b64 exec, exec, s[0:1]
	v_cmp_gt_i32_e32 vcc, s9, v0
	s_and_saveexec_b64 s[0:1], vcc
	s_cbranch_execnz .LBB270_23
.LBB270_16:
	s_or_b64 exec, exec, s[0:1]
	v_cmp_gt_i32_e32 vcc, s9, v0
	s_and_saveexec_b64 s[0:1], vcc
	s_cbranch_execnz .LBB270_24
.LBB270_17:
	s_endpgm
.LBB270_18:
	v_add_u32_e32 v8, s8, v5
	v_mov_b32_e32 v9, 0
	v_lshl_add_u64 v[8:9], v[8:9], 1, s[6:7]
	global_load_ushort v3, v[8:9], off
	v_add_u32_e32 v5, 0x100, v5
	s_waitcnt vmcnt(0)
	v_lshlrev_b32_e32 v3, 16, v3
	s_or_b64 exec, exec, s[2:3]
	v_cmp_gt_i32_e32 vcc, s9, v5
	s_and_saveexec_b64 s[2:3], vcc
	s_cbranch_execz .LBB270_6
.LBB270_19:
	v_add_u32_e32 v8, s8, v5
	v_mov_b32_e32 v9, 0
	v_lshl_add_u64 v[8:9], v[8:9], 1, s[6:7]
	global_load_ushort v1, v[8:9], off
	s_waitcnt vmcnt(0)
	v_lshlrev_b32_e32 v1, 16, v1
	s_or_b64 exec, exec, s[2:3]
                                        ; implicit-def: $vgpr5
	s_and_saveexec_b64 s[6:7], s[0:1]
	s_cbranch_execnz .LBB270_7
	s_branch .LBB270_8
.LBB270_20:
	s_mov_b32 s2, 0xf800000
	v_mul_f32_e32 v3, 0x4f800000, v1
	v_cmp_gt_f32_e32 vcc, s2, v1
	s_nop 1
	v_cndmask_b32_e32 v3, v1, v3, vcc
	v_sqrt_f32_e32 v8, v3
	s_nop 0
	v_add_u32_e32 v9, -1, v8
	v_fma_f32 v10, -v9, v8, v3
	v_cmp_ge_f32_e64 s[2:3], 0, v10
	v_add_u32_e32 v10, 1, v8
	s_nop 0
	v_cndmask_b32_e64 v9, v8, v9, s[2:3]
	v_fma_f32 v8, -v10, v8, v3
	v_cmp_lt_f32_e64 s[2:3], 0, v8
	s_nop 1
	v_cndmask_b32_e64 v8, v9, v10, s[2:3]
	v_mul_f32_e32 v9, 0x37800000, v8
	v_cndmask_b32_e32 v8, v8, v9, vcc
	v_mov_b32_e32 v9, 0x260
	v_cmp_class_f32_e32 vcc, v3, v9
	s_movk_i32 s2, 0x7fff
	s_nop 0
	v_cndmask_b32_e32 v3, v8, v3, vcc
	v_bfe_u32 v8, v3, 16, 1
	v_add3_u32 v3, v3, v8, s2
	v_cmp_le_f32_e32 vcc, 0, v1
	v_mov_b32_e32 v1, 0x7fc0
	s_nop 0
	v_cndmask_b32_sdwa v8, v1, v3, vcc dst_sel:DWORD dst_unused:UNUSED_PAD src0_sel:DWORD src1_sel:WORD_1
	s_or_b64 exec, exec, s[6:7]
	s_and_saveexec_b64 s[2:3], s[0:1]
	s_xor_b64 s[0:1], exec, s[2:3]
	s_cbranch_execz .LBB270_14
.LBB270_21:
	v_mov_b32_e32 v3, 0
	v_lshl_add_u64 v[0:1], v[2:3], 1, s[4:5]
	global_store_short v[0:1], v5, off
	v_mov_b32_e32 v0, v6
	s_or_b64 exec, exec, s[0:1]
	v_cmp_gt_i32_e32 vcc, s9, v0
	s_and_saveexec_b64 s[0:1], vcc
	s_cbranch_execz .LBB270_15
.LBB270_22:
	v_add_u32_e32 v2, 0x100, v0
	v_add_u32_e32 v0, s8, v0
	v_mov_b32_e32 v1, 0
	v_lshl_add_u64 v[0:1], v[0:1], 1, s[4:5]
	global_store_short v[0:1], v7, off
	v_mov_b32_e32 v0, v2
	s_or_b64 exec, exec, s[0:1]
	v_cmp_gt_i32_e32 vcc, s9, v0
	s_and_saveexec_b64 s[0:1], vcc
	s_cbranch_execz .LBB270_16
.LBB270_23:
	v_add_u32_e32 v2, 0x100, v0
	v_add_u32_e32 v0, s8, v0
	v_mov_b32_e32 v1, 0
	v_lshl_add_u64 v[0:1], v[0:1], 1, s[4:5]
	global_store_short v[0:1], v4, off
	v_mov_b32_e32 v0, v2
	s_or_b64 exec, exec, s[0:1]
	v_cmp_gt_i32_e32 vcc, s9, v0
	s_and_saveexec_b64 s[0:1], vcc
	s_cbranch_execz .LBB270_17
.LBB270_24:
	v_add_u32_e32 v0, s8, v0
	v_mov_b32_e32 v1, 0
	v_lshl_add_u64 v[0:1], v[0:1], 1, s[4:5]
	global_store_short v[0:1], v8, off
	s_endpgm
	.section	.rodata,"a",@progbits
	.p2align	6, 0x0
	.amdhsa_kernel _ZN2at6native27unrolled_elementwise_kernelIZZZNS0_16sqrt_kernel_cudaERNS_18TensorIteratorBaseEENKUlvE0_clEvENKUlvE2_clEvEUlN3c108BFloat16EE_St5arrayIPcLm2EELi4E23TrivialOffsetCalculatorILi1EjESD_NS0_6memory15LoadWithoutCastENSE_16StoreWithoutCastEEEviT_T0_T2_T3_T4_T5_
		.amdhsa_group_segment_fixed_size 0
		.amdhsa_private_segment_fixed_size 0
		.amdhsa_kernarg_size 28
		.amdhsa_user_sgpr_count 2
		.amdhsa_user_sgpr_dispatch_ptr 0
		.amdhsa_user_sgpr_queue_ptr 0
		.amdhsa_user_sgpr_kernarg_segment_ptr 1
		.amdhsa_user_sgpr_dispatch_id 0
		.amdhsa_user_sgpr_kernarg_preload_length 0
		.amdhsa_user_sgpr_kernarg_preload_offset 0
		.amdhsa_user_sgpr_private_segment_size 0
		.amdhsa_uses_dynamic_stack 0
		.amdhsa_enable_private_segment 0
		.amdhsa_system_sgpr_workgroup_id_x 1
		.amdhsa_system_sgpr_workgroup_id_y 0
		.amdhsa_system_sgpr_workgroup_id_z 0
		.amdhsa_system_sgpr_workgroup_info 0
		.amdhsa_system_vgpr_workitem_id 0
		.amdhsa_next_free_vgpr 11
		.amdhsa_next_free_sgpr 10
		.amdhsa_accum_offset 12
		.amdhsa_reserve_vcc 1
		.amdhsa_float_round_mode_32 0
		.amdhsa_float_round_mode_16_64 0
		.amdhsa_float_denorm_mode_32 3
		.amdhsa_float_denorm_mode_16_64 3
		.amdhsa_dx10_clamp 1
		.amdhsa_ieee_mode 1
		.amdhsa_fp16_overflow 0
		.amdhsa_tg_split 0
		.amdhsa_exception_fp_ieee_invalid_op 0
		.amdhsa_exception_fp_denorm_src 0
		.amdhsa_exception_fp_ieee_div_zero 0
		.amdhsa_exception_fp_ieee_overflow 0
		.amdhsa_exception_fp_ieee_underflow 0
		.amdhsa_exception_fp_ieee_inexact 0
		.amdhsa_exception_int_div_zero 0
	.end_amdhsa_kernel
	.section	.text._ZN2at6native27unrolled_elementwise_kernelIZZZNS0_16sqrt_kernel_cudaERNS_18TensorIteratorBaseEENKUlvE0_clEvENKUlvE2_clEvEUlN3c108BFloat16EE_St5arrayIPcLm2EELi4E23TrivialOffsetCalculatorILi1EjESD_NS0_6memory15LoadWithoutCastENSE_16StoreWithoutCastEEEviT_T0_T2_T3_T4_T5_,"axG",@progbits,_ZN2at6native27unrolled_elementwise_kernelIZZZNS0_16sqrt_kernel_cudaERNS_18TensorIteratorBaseEENKUlvE0_clEvENKUlvE2_clEvEUlN3c108BFloat16EE_St5arrayIPcLm2EELi4E23TrivialOffsetCalculatorILi1EjESD_NS0_6memory15LoadWithoutCastENSE_16StoreWithoutCastEEEviT_T0_T2_T3_T4_T5_,comdat
.Lfunc_end270:
	.size	_ZN2at6native27unrolled_elementwise_kernelIZZZNS0_16sqrt_kernel_cudaERNS_18TensorIteratorBaseEENKUlvE0_clEvENKUlvE2_clEvEUlN3c108BFloat16EE_St5arrayIPcLm2EELi4E23TrivialOffsetCalculatorILi1EjESD_NS0_6memory15LoadWithoutCastENSE_16StoreWithoutCastEEEviT_T0_T2_T3_T4_T5_, .Lfunc_end270-_ZN2at6native27unrolled_elementwise_kernelIZZZNS0_16sqrt_kernel_cudaERNS_18TensorIteratorBaseEENKUlvE0_clEvENKUlvE2_clEvEUlN3c108BFloat16EE_St5arrayIPcLm2EELi4E23TrivialOffsetCalculatorILi1EjESD_NS0_6memory15LoadWithoutCastENSE_16StoreWithoutCastEEEviT_T0_T2_T3_T4_T5_
                                        ; -- End function
	.set _ZN2at6native27unrolled_elementwise_kernelIZZZNS0_16sqrt_kernel_cudaERNS_18TensorIteratorBaseEENKUlvE0_clEvENKUlvE2_clEvEUlN3c108BFloat16EE_St5arrayIPcLm2EELi4E23TrivialOffsetCalculatorILi1EjESD_NS0_6memory15LoadWithoutCastENSE_16StoreWithoutCastEEEviT_T0_T2_T3_T4_T5_.num_vgpr, 11
	.set _ZN2at6native27unrolled_elementwise_kernelIZZZNS0_16sqrt_kernel_cudaERNS_18TensorIteratorBaseEENKUlvE0_clEvENKUlvE2_clEvEUlN3c108BFloat16EE_St5arrayIPcLm2EELi4E23TrivialOffsetCalculatorILi1EjESD_NS0_6memory15LoadWithoutCastENSE_16StoreWithoutCastEEEviT_T0_T2_T3_T4_T5_.num_agpr, 0
	.set _ZN2at6native27unrolled_elementwise_kernelIZZZNS0_16sqrt_kernel_cudaERNS_18TensorIteratorBaseEENKUlvE0_clEvENKUlvE2_clEvEUlN3c108BFloat16EE_St5arrayIPcLm2EELi4E23TrivialOffsetCalculatorILi1EjESD_NS0_6memory15LoadWithoutCastENSE_16StoreWithoutCastEEEviT_T0_T2_T3_T4_T5_.numbered_sgpr, 10
	.set _ZN2at6native27unrolled_elementwise_kernelIZZZNS0_16sqrt_kernel_cudaERNS_18TensorIteratorBaseEENKUlvE0_clEvENKUlvE2_clEvEUlN3c108BFloat16EE_St5arrayIPcLm2EELi4E23TrivialOffsetCalculatorILi1EjESD_NS0_6memory15LoadWithoutCastENSE_16StoreWithoutCastEEEviT_T0_T2_T3_T4_T5_.num_named_barrier, 0
	.set _ZN2at6native27unrolled_elementwise_kernelIZZZNS0_16sqrt_kernel_cudaERNS_18TensorIteratorBaseEENKUlvE0_clEvENKUlvE2_clEvEUlN3c108BFloat16EE_St5arrayIPcLm2EELi4E23TrivialOffsetCalculatorILi1EjESD_NS0_6memory15LoadWithoutCastENSE_16StoreWithoutCastEEEviT_T0_T2_T3_T4_T5_.private_seg_size, 0
	.set _ZN2at6native27unrolled_elementwise_kernelIZZZNS0_16sqrt_kernel_cudaERNS_18TensorIteratorBaseEENKUlvE0_clEvENKUlvE2_clEvEUlN3c108BFloat16EE_St5arrayIPcLm2EELi4E23TrivialOffsetCalculatorILi1EjESD_NS0_6memory15LoadWithoutCastENSE_16StoreWithoutCastEEEviT_T0_T2_T3_T4_T5_.uses_vcc, 1
	.set _ZN2at6native27unrolled_elementwise_kernelIZZZNS0_16sqrt_kernel_cudaERNS_18TensorIteratorBaseEENKUlvE0_clEvENKUlvE2_clEvEUlN3c108BFloat16EE_St5arrayIPcLm2EELi4E23TrivialOffsetCalculatorILi1EjESD_NS0_6memory15LoadWithoutCastENSE_16StoreWithoutCastEEEviT_T0_T2_T3_T4_T5_.uses_flat_scratch, 0
	.set _ZN2at6native27unrolled_elementwise_kernelIZZZNS0_16sqrt_kernel_cudaERNS_18TensorIteratorBaseEENKUlvE0_clEvENKUlvE2_clEvEUlN3c108BFloat16EE_St5arrayIPcLm2EELi4E23TrivialOffsetCalculatorILi1EjESD_NS0_6memory15LoadWithoutCastENSE_16StoreWithoutCastEEEviT_T0_T2_T3_T4_T5_.has_dyn_sized_stack, 0
	.set _ZN2at6native27unrolled_elementwise_kernelIZZZNS0_16sqrt_kernel_cudaERNS_18TensorIteratorBaseEENKUlvE0_clEvENKUlvE2_clEvEUlN3c108BFloat16EE_St5arrayIPcLm2EELi4E23TrivialOffsetCalculatorILi1EjESD_NS0_6memory15LoadWithoutCastENSE_16StoreWithoutCastEEEviT_T0_T2_T3_T4_T5_.has_recursion, 0
	.set _ZN2at6native27unrolled_elementwise_kernelIZZZNS0_16sqrt_kernel_cudaERNS_18TensorIteratorBaseEENKUlvE0_clEvENKUlvE2_clEvEUlN3c108BFloat16EE_St5arrayIPcLm2EELi4E23TrivialOffsetCalculatorILi1EjESD_NS0_6memory15LoadWithoutCastENSE_16StoreWithoutCastEEEviT_T0_T2_T3_T4_T5_.has_indirect_call, 0
	.section	.AMDGPU.csdata,"",@progbits
; Kernel info:
; codeLenInByte = 1340
; TotalNumSgprs: 16
; NumVgprs: 11
; NumAgprs: 0
; TotalNumVgprs: 11
; ScratchSize: 0
; MemoryBound: 0
; FloatMode: 240
; IeeeMode: 1
; LDSByteSize: 0 bytes/workgroup (compile time only)
; SGPRBlocks: 1
; VGPRBlocks: 1
; NumSGPRsForWavesPerEU: 16
; NumVGPRsForWavesPerEU: 11
; AccumOffset: 12
; Occupancy: 8
; WaveLimiterHint : 0
; COMPUTE_PGM_RSRC2:SCRATCH_EN: 0
; COMPUTE_PGM_RSRC2:USER_SGPR: 2
; COMPUTE_PGM_RSRC2:TRAP_HANDLER: 0
; COMPUTE_PGM_RSRC2:TGID_X_EN: 1
; COMPUTE_PGM_RSRC2:TGID_Y_EN: 0
; COMPUTE_PGM_RSRC2:TGID_Z_EN: 0
; COMPUTE_PGM_RSRC2:TIDIG_COMP_CNT: 0
; COMPUTE_PGM_RSRC3_GFX90A:ACCUM_OFFSET: 2
; COMPUTE_PGM_RSRC3_GFX90A:TG_SPLIT: 0
	.section	.text._ZN2at6native32elementwise_kernel_manual_unrollILi128ELi8EZNS0_22gpu_kernel_impl_nocastIZZZNS0_16sqrt_kernel_cudaERNS_18TensorIteratorBaseEENKUlvE0_clEvENKUlvE2_clEvEUlN3c108BFloat16EE_EEvS4_RKT_EUlibE_EEviT1_,"axG",@progbits,_ZN2at6native32elementwise_kernel_manual_unrollILi128ELi8EZNS0_22gpu_kernel_impl_nocastIZZZNS0_16sqrt_kernel_cudaERNS_18TensorIteratorBaseEENKUlvE0_clEvENKUlvE2_clEvEUlN3c108BFloat16EE_EEvS4_RKT_EUlibE_EEviT1_,comdat
	.globl	_ZN2at6native32elementwise_kernel_manual_unrollILi128ELi8EZNS0_22gpu_kernel_impl_nocastIZZZNS0_16sqrt_kernel_cudaERNS_18TensorIteratorBaseEENKUlvE0_clEvENKUlvE2_clEvEUlN3c108BFloat16EE_EEvS4_RKT_EUlibE_EEviT1_ ; -- Begin function _ZN2at6native32elementwise_kernel_manual_unrollILi128ELi8EZNS0_22gpu_kernel_impl_nocastIZZZNS0_16sqrt_kernel_cudaERNS_18TensorIteratorBaseEENKUlvE0_clEvENKUlvE2_clEvEUlN3c108BFloat16EE_EEvS4_RKT_EUlibE_EEviT1_
	.p2align	8
	.type	_ZN2at6native32elementwise_kernel_manual_unrollILi128ELi8EZNS0_22gpu_kernel_impl_nocastIZZZNS0_16sqrt_kernel_cudaERNS_18TensorIteratorBaseEENKUlvE0_clEvENKUlvE2_clEvEUlN3c108BFloat16EE_EEvS4_RKT_EUlibE_EEviT1_,@function
_ZN2at6native32elementwise_kernel_manual_unrollILi128ELi8EZNS0_22gpu_kernel_impl_nocastIZZZNS0_16sqrt_kernel_cudaERNS_18TensorIteratorBaseEENKUlvE0_clEvENKUlvE2_clEvEUlN3c108BFloat16EE_EEvS4_RKT_EUlibE_EEviT1_: ; @_ZN2at6native32elementwise_kernel_manual_unrollILi128ELi8EZNS0_22gpu_kernel_impl_nocastIZZZNS0_16sqrt_kernel_cudaERNS_18TensorIteratorBaseEENKUlvE0_clEvENKUlvE2_clEvEUlN3c108BFloat16EE_EEvS4_RKT_EUlibE_EEviT1_
; %bb.0:
	s_load_dword s55, s[0:1], 0x0
	s_load_dword s33, s[0:1], 0x8
	s_add_u32 s34, s0, 8
	s_addc_u32 s35, s1, 0
	v_lshl_or_b32 v24, s2, 10, v0
	v_or_b32_e32 v32, 0x380, v24
	s_waitcnt lgkmcnt(0)
	s_add_i32 s54, s33, -1
	s_cmp_gt_u32 s54, 1
	v_cmp_le_i32_e32 vcc, s55, v32
	s_cselect_b64 s[36:37], -1, 0
	s_and_saveexec_b64 s[0:1], vcc
	s_xor_b64 s[38:39], exec, s[0:1]
	s_cbranch_execz .LBB271_8
; %bb.1:
	s_load_dwordx4 s[24:27], s[34:35], 0x4
	s_load_dwordx2 s[40:41], s[34:35], 0x14
	s_load_dwordx4 s[20:23], s[34:35], 0xc4
	s_load_dwordx4 s[16:19], s[34:35], 0x148
	s_cmp_lg_u32 s33, 0
	s_cselect_b64 s[46:47], -1, 0
	s_add_u32 s44, s34, 0xc4
	s_addc_u32 s45, s35, 0
	s_min_u32 s56, s54, 15
	s_cmp_gt_u32 s33, 1
	s_cselect_b64 s[42:43], -1, 0
	v_cmp_gt_i32_e32 vcc, s55, v24
	s_and_saveexec_b64 s[48:49], vcc
	s_cbranch_execz .LBB271_15
; %bb.2:
	s_andn2_b64 vcc, exec, s[36:37]
	s_cbranch_vccnz .LBB271_23
; %bb.3:
	s_andn2_b64 vcc, exec, s[46:47]
	s_cbranch_vccnz .LBB271_131
; %bb.4:
	s_add_i32 s58, s56, 1
	s_cmp_eq_u32 s54, 2
	s_cbranch_scc1 .LBB271_133
; %bb.5:
	s_and_b32 s57, s58, 28
	s_mov_b32 s59, 0
	v_mov_b32_e32 v0, 0
	v_mov_b32_e32 v2, 0
	s_mov_b64 s[50:51], s[34:35]
	s_mov_b64 s[52:53], s[44:45]
	v_mov_b32_e32 v4, v24
.LBB271_6:                              ; =>This Inner Loop Header: Depth=1
	s_load_dwordx8 s[8:15], s[50:51], 0x4
	s_load_dwordx4 s[28:31], s[50:51], 0x24
	s_load_dwordx8 s[0:7], s[52:53], 0x0
	s_add_u32 s50, s50, 48
	s_addc_u32 s51, s51, 0
	s_waitcnt lgkmcnt(0)
	v_mul_hi_u32 v1, s9, v4
	v_add_u32_e32 v1, v4, v1
	v_lshrrev_b32_e32 v1, s10, v1
	v_mul_lo_u32 v3, v1, s8
	v_mul_hi_u32 v5, s12, v1
	v_sub_u32_e32 v3, v4, v3
	v_add_u32_e32 v4, v1, v5
	v_lshrrev_b32_e32 v4, s13, v4
	v_mul_lo_u32 v6, v4, s11
	v_mul_hi_u32 v7, s15, v4
	v_sub_u32_e32 v1, v1, v6
	v_add_u32_e32 v6, v4, v7
	v_mul_lo_u32 v5, v3, s1
	v_mul_lo_u32 v3, v3, s0
	;; [unrolled: 1-line block ×4, first 2 shown]
	v_lshrrev_b32_e32 v6, s28, v6
	v_add3_u32 v0, v3, v0, v1
	v_mul_hi_u32 v3, s30, v6
	v_add3_u32 v1, v5, v2, v7
	v_mul_lo_u32 v2, v6, s14
	v_add_u32_e32 v3, v6, v3
	v_sub_u32_e32 v2, v4, v2
	v_lshrrev_b32_e32 v4, s31, v3
	s_add_i32 s59, s59, 4
	v_mul_lo_u32 v3, v4, s29
	s_add_u32 s52, s52, 32
	v_sub_u32_e32 v3, v6, v3
	s_addc_u32 s53, s53, 0
	v_mul_lo_u32 v5, v2, s4
	v_mul_lo_u32 v2, v2, s5
	;; [unrolled: 1-line block ×4, first 2 shown]
	s_cmp_lg_u32 s57, s59
	v_add3_u32 v2, v2, v1, v3
	v_add3_u32 v0, v5, v0, v6
	s_cbranch_scc1 .LBB271_6
; %bb.7:
	v_mov_b32_e32 v1, v2
	s_branch .LBB271_134
.LBB271_8:
	s_andn2_saveexec_b64 s[0:1], s[38:39]
	s_cbranch_execz .LBB271_228
.LBB271_9:
	v_cndmask_b32_e64 v0, 0, 1, s[36:37]
	v_cmp_ne_u32_e64 s[0:1], 1, v0
	s_andn2_b64 vcc, exec, s[36:37]
	s_cbranch_vccnz .LBB271_22
; %bb.10:
	s_cmp_lg_u32 s33, 0
	s_waitcnt lgkmcnt(0)
	s_mov_b32 s26, 0
	s_cbranch_scc0 .LBB271_25
; %bb.11:
	s_min_u32 s27, s54, 15
	s_add_i32 s27, s27, 1
	s_cmp_eq_u32 s54, 2
	s_cbranch_scc1 .LBB271_26
; %bb.12:
	s_and_b32 s26, s27, 28
	s_add_u32 s2, s34, 0xc4
	s_addc_u32 s3, s35, 0
	s_mov_b32 s28, 0
	v_mov_b32_e32 v0, 0
	v_mov_b32_e32 v4, 0
	s_mov_b64 s[24:25], s[34:35]
	v_mov_b32_e32 v2, v24
.LBB271_13:                             ; =>This Inner Loop Header: Depth=1
	s_load_dwordx8 s[12:19], s[24:25], 0x4
	s_load_dwordx4 s[20:23], s[24:25], 0x24
	s_load_dwordx8 s[4:11], s[2:3], 0x0
	s_add_u32 s24, s24, 48
	s_addc_u32 s25, s25, 0
	s_waitcnt lgkmcnt(0)
	v_mul_hi_u32 v1, s13, v2
	v_add_u32_e32 v1, v2, v1
	v_lshrrev_b32_e32 v1, s14, v1
	v_mul_lo_u32 v3, v1, s12
	v_mul_hi_u32 v5, s16, v1
	v_sub_u32_e32 v2, v2, v3
	v_add_u32_e32 v3, v1, v5
	v_lshrrev_b32_e32 v3, s17, v3
	v_mul_lo_u32 v6, v3, s15
	v_mul_hi_u32 v7, s19, v3
	v_sub_u32_e32 v1, v1, v6
	v_add_u32_e32 v6, v3, v7
	v_mul_lo_u32 v5, v2, s5
	v_mul_lo_u32 v2, v2, s4
	;; [unrolled: 1-line block ×4, first 2 shown]
	v_lshrrev_b32_e32 v6, s20, v6
	v_add3_u32 v0, v2, v0, v1
	v_add3_u32 v1, v5, v4, v7
	v_mul_lo_u32 v2, v6, s18
	v_mul_hi_u32 v4, s22, v6
	v_sub_u32_e32 v2, v3, v2
	v_add_u32_e32 v3, v6, v4
	v_mul_lo_u32 v5, v2, s8
	v_mul_lo_u32 v4, v2, s9
	v_lshrrev_b32_e32 v2, s23, v3
	s_add_i32 s28, s28, 4
	v_mul_lo_u32 v3, v2, s21
	s_add_u32 s2, s2, 32
	v_sub_u32_e32 v3, v6, v3
	s_addc_u32 s3, s3, 0
	v_mul_lo_u32 v6, v3, s10
	v_mul_lo_u32 v3, v3, s11
	s_cmp_lg_u32 s26, s28
	v_add3_u32 v4, v4, v1, v3
	v_add3_u32 v0, v5, v0, v6
	s_cbranch_scc1 .LBB271_13
; %bb.14:
	v_mov_b32_e32 v1, v4
	s_and_b32 s6, s27, 3
	s_cmp_eq_u32 s6, 0
	s_cbranch_scc0 .LBB271_27
	s_branch .LBB271_29
.LBB271_15:
	s_or_b64 exec, exec, s[48:49]
	v_cmp_gt_i32_e32 vcc, s55, v24
	s_and_saveexec_b64 s[48:49], vcc
	s_cbranch_execz .LBB271_141
.LBB271_16:
	s_andn2_b64 vcc, exec, s[36:37]
	s_cbranch_vccnz .LBB271_24
; %bb.17:
	s_andn2_b64 vcc, exec, s[46:47]
	s_cbranch_vccnz .LBB271_132
; %bb.18:
	s_add_i32 s58, s56, 1
	s_cmp_eq_u32 s54, 2
	s_cbranch_scc1 .LBB271_150
; %bb.19:
	s_and_b32 s57, s58, 28
	s_mov_b32 s59, 0
	v_mov_b32_e32 v0, 0
	v_mov_b32_e32 v2, 0
	s_mov_b64 s[50:51], s[34:35]
	s_mov_b64 s[52:53], s[44:45]
	v_mov_b32_e32 v4, v24
.LBB271_20:                             ; =>This Inner Loop Header: Depth=1
	s_load_dwordx8 s[8:15], s[50:51], 0x4
	s_load_dwordx4 s[28:31], s[50:51], 0x24
	s_load_dwordx8 s[0:7], s[52:53], 0x0
	s_add_u32 s50, s50, 48
	s_addc_u32 s51, s51, 0
	s_waitcnt lgkmcnt(0)
	v_mul_hi_u32 v1, s9, v4
	v_add_u32_e32 v1, v4, v1
	v_lshrrev_b32_e32 v1, s10, v1
	v_mul_lo_u32 v3, v1, s8
	v_mul_hi_u32 v5, s12, v1
	v_sub_u32_e32 v3, v4, v3
	v_add_u32_e32 v4, v1, v5
	v_lshrrev_b32_e32 v4, s13, v4
	v_mul_lo_u32 v6, v4, s11
	v_mul_hi_u32 v7, s15, v4
	v_sub_u32_e32 v1, v1, v6
	v_add_u32_e32 v6, v4, v7
	v_mul_lo_u32 v5, v3, s1
	v_mul_lo_u32 v3, v3, s0
	v_mul_lo_u32 v7, v1, s3
	v_mul_lo_u32 v1, v1, s2
	v_lshrrev_b32_e32 v6, s28, v6
	v_add3_u32 v0, v3, v0, v1
	v_mul_hi_u32 v3, s30, v6
	v_add3_u32 v1, v5, v2, v7
	v_mul_lo_u32 v2, v6, s14
	v_add_u32_e32 v3, v6, v3
	v_sub_u32_e32 v2, v4, v2
	v_lshrrev_b32_e32 v4, s31, v3
	s_add_i32 s59, s59, 4
	v_mul_lo_u32 v3, v4, s29
	s_add_u32 s52, s52, 32
	v_sub_u32_e32 v3, v6, v3
	s_addc_u32 s53, s53, 0
	v_mul_lo_u32 v5, v2, s4
	v_mul_lo_u32 v2, v2, s5
	;; [unrolled: 1-line block ×4, first 2 shown]
	s_cmp_eq_u32 s57, s59
	v_add3_u32 v2, v2, v1, v3
	v_add3_u32 v0, v5, v0, v6
	s_cbranch_scc0 .LBB271_20
; %bb.21:
	v_mov_b32_e32 v1, v2
	s_branch .LBB271_151
.LBB271_22:
                                        ; implicit-def: $vgpr4
                                        ; implicit-def: $vgpr0
	s_branch .LBB271_30
.LBB271_23:
                                        ; implicit-def: $vgpr2
                                        ; implicit-def: $vgpr0
	s_branch .LBB271_138
.LBB271_24:
                                        ; implicit-def: $vgpr2
                                        ; implicit-def: $vgpr0
	s_branch .LBB271_155
.LBB271_25:
	v_mov_b32_e32 v4, 0
	v_mov_b32_e32 v0, 0
	s_branch .LBB271_29
.LBB271_26:
	v_mov_b32_e32 v0, 0
                                        ; implicit-def: $vgpr4
	v_mov_b32_e32 v1, v0
	v_mov_b32_e32 v2, v24
	s_and_b32 s6, s27, 3
	s_cmp_eq_u32 s6, 0
	s_cbranch_scc1 .LBB271_29
.LBB271_27:
	s_lshl_b32 s2, s26, 3
	s_add_u32 s2, s34, s2
	s_addc_u32 s3, s35, 0
	s_add_u32 s2, s2, 0xc4
	s_addc_u32 s3, s3, 0
	s_mul_i32 s4, s26, 12
	s_add_u32 s4, s34, s4
	s_addc_u32 s5, s35, 0
.LBB271_28:                             ; =>This Inner Loop Header: Depth=1
	s_load_dwordx2 s[8:9], s[4:5], 0x4
	s_load_dword s7, s[4:5], 0xc
	s_load_dwordx2 s[10:11], s[2:3], 0x0
	v_mov_b32_e32 v4, v1
	s_add_u32 s4, s4, 12
	s_waitcnt lgkmcnt(0)
	v_mul_hi_u32 v1, s9, v2
	v_add_u32_e32 v1, v2, v1
	v_lshrrev_b32_e32 v1, s7, v1
	s_addc_u32 s5, s5, 0
	v_mul_lo_u32 v3, v1, s8
	s_add_u32 s2, s2, 8
	v_sub_u32_e32 v3, v2, v3
	s_addc_u32 s3, s3, 0
	s_add_i32 s6, s6, -1
	v_mov_b32_e32 v2, v1
	v_mad_u64_u32 v[4:5], s[8:9], v3, s11, v[4:5]
	v_mad_u64_u32 v[0:1], s[8:9], v3, s10, v[0:1]
	s_cmp_lg_u32 s6, 0
	v_mov_b32_e32 v1, v4
	s_cbranch_scc1 .LBB271_28
.LBB271_29:
	s_cbranch_execnz .LBB271_32
.LBB271_30:
	s_load_dwordx4 s[4:7], s[34:35], 0x4
	s_load_dwordx2 s[2:3], s[34:35], 0xc4
	s_cmp_lt_u32 s33, 2
	s_waitcnt lgkmcnt(0)
	v_mul_hi_u32 v0, s5, v24
	v_add_u32_e32 v0, v24, v0
	v_lshrrev_b32_e32 v1, s6, v0
	v_mul_lo_u32 v0, v1, s4
	v_sub_u32_e32 v0, v24, v0
	v_mul_lo_u32 v4, v0, s3
	v_mul_lo_u32 v0, v0, s2
	s_cbranch_scc1 .LBB271_32
; %bb.31:
	s_load_dwordx4 s[4:7], s[34:35], 0x10
	s_load_dwordx2 s[2:3], s[34:35], 0xcc
	s_waitcnt lgkmcnt(0)
	v_mul_hi_u32 v2, s5, v1
	v_add_u32_e32 v2, v1, v2
	v_lshrrev_b32_e32 v2, s6, v2
	v_mul_lo_u32 v2, v2, s4
	v_sub_u32_e32 v2, v1, v2
	v_mad_u64_u32 v[0:1], s[4:5], v2, s2, v[0:1]
	v_mad_u64_u32 v[4:5], s[2:3], v2, s3, v[4:5]
.LBB271_32:
	s_and_b64 vcc, exec, s[0:1]
	v_add_u32_e32 v5, 0x80, v24
	s_cbranch_vccnz .LBB271_38
; %bb.33:
	s_cmp_lg_u32 s33, 0
	s_waitcnt lgkmcnt(0)
	s_mov_b32 s26, 0
	s_cbranch_scc0 .LBB271_39
; %bb.34:
	s_min_u32 s27, s54, 15
	s_add_i32 s27, s27, 1
	s_cmp_eq_u32 s54, 2
	s_cbranch_scc1 .LBB271_40
; %bb.35:
	s_and_b32 s26, s27, 28
	s_add_u32 s2, s34, 0xc4
	s_addc_u32 s3, s35, 0
	s_mov_b32 s28, 0
	v_mov_b32_e32 v2, 0
	v_mov_b32_e32 v6, 0
	s_mov_b64 s[24:25], s[34:35]
	v_mov_b32_e32 v8, v5
.LBB271_36:                             ; =>This Inner Loop Header: Depth=1
	s_load_dwordx8 s[12:19], s[24:25], 0x4
	s_load_dwordx4 s[20:23], s[24:25], 0x24
	s_load_dwordx8 s[4:11], s[2:3], 0x0
	s_add_u32 s24, s24, 48
	s_addc_u32 s25, s25, 0
	s_waitcnt lgkmcnt(0)
	v_mul_hi_u32 v1, s13, v8
	v_add_u32_e32 v1, v8, v1
	v_lshrrev_b32_e32 v1, s14, v1
	v_mul_hi_u32 v7, s16, v1
	v_add_u32_e32 v7, v1, v7
	v_lshrrev_b32_e32 v7, s17, v7
	v_mul_lo_u32 v3, v1, s12
	v_mul_lo_u32 v9, v7, s15
	v_mul_hi_u32 v10, s19, v7
	v_sub_u32_e32 v3, v8, v3
	v_sub_u32_e32 v1, v1, v9
	v_add_u32_e32 v9, v7, v10
	v_mul_lo_u32 v8, v3, s5
	v_mul_lo_u32 v3, v3, s4
	;; [unrolled: 1-line block ×4, first 2 shown]
	v_lshrrev_b32_e32 v9, s20, v9
	v_add3_u32 v1, v3, v2, v1
	v_add3_u32 v2, v8, v6, v10
	v_mul_hi_u32 v6, s22, v9
	v_add_u32_e32 v6, v9, v6
	v_lshrrev_b32_e32 v8, s23, v6
	s_add_i32 s28, s28, 4
	v_mul_lo_u32 v3, v9, s18
	v_mul_lo_u32 v6, v8, s21
	s_add_u32 s2, s2, 32
	v_sub_u32_e32 v3, v7, v3
	v_sub_u32_e32 v6, v9, v6
	s_addc_u32 s3, s3, 0
	v_mul_lo_u32 v7, v3, s8
	v_mul_lo_u32 v3, v3, s9
	;; [unrolled: 1-line block ×4, first 2 shown]
	s_cmp_lg_u32 s26, s28
	v_add3_u32 v6, v3, v2, v6
	v_add3_u32 v2, v7, v1, v9
	s_cbranch_scc1 .LBB271_36
; %bb.37:
	v_mov_b32_e32 v1, v6
	s_and_b32 s6, s27, 3
	s_cmp_eq_u32 s6, 0
	s_cbranch_scc0 .LBB271_41
	s_branch .LBB271_43
.LBB271_38:
                                        ; implicit-def: $vgpr6
                                        ; implicit-def: $vgpr2
	s_branch .LBB271_44
.LBB271_39:
	v_mov_b32_e32 v6, 0
	v_mov_b32_e32 v2, 0
	s_branch .LBB271_43
.LBB271_40:
	v_mov_b32_e32 v2, 0
                                        ; implicit-def: $vgpr6
	v_mov_b32_e32 v1, v2
	v_mov_b32_e32 v8, v5
	s_and_b32 s6, s27, 3
	s_cmp_eq_u32 s6, 0
	s_cbranch_scc1 .LBB271_43
.LBB271_41:
	s_lshl_b32 s2, s26, 3
	s_add_u32 s2, s34, s2
	s_addc_u32 s3, s35, 0
	s_add_u32 s2, s2, 0xc4
	s_addc_u32 s3, s3, 0
	s_mul_i32 s4, s26, 12
	s_add_u32 s4, s34, s4
	s_addc_u32 s5, s35, 0
.LBB271_42:                             ; =>This Inner Loop Header: Depth=1
	s_load_dwordx2 s[8:9], s[4:5], 0x4
	s_load_dword s7, s[4:5], 0xc
	s_load_dwordx2 s[10:11], s[2:3], 0x0
	v_mov_b32_e32 v6, v1
	s_add_u32 s4, s4, 12
	s_waitcnt lgkmcnt(0)
	v_mul_hi_u32 v1, s9, v8
	v_add_u32_e32 v1, v8, v1
	v_lshrrev_b32_e32 v1, s7, v1
	s_addc_u32 s5, s5, 0
	v_mul_lo_u32 v3, v1, s8
	s_add_u32 s2, s2, 8
	v_sub_u32_e32 v3, v8, v3
	s_addc_u32 s3, s3, 0
	s_add_i32 s6, s6, -1
	v_mad_u64_u32 v[6:7], s[8:9], v3, s11, v[6:7]
	s_cmp_lg_u32 s6, 0
	v_mov_b32_e32 v8, v1
	v_mad_u64_u32 v[2:3], s[8:9], v3, s10, v[2:3]
	v_mov_b32_e32 v1, v6
	s_cbranch_scc1 .LBB271_42
.LBB271_43:
	s_cbranch_execnz .LBB271_46
.LBB271_44:
	s_load_dwordx4 s[4:7], s[34:35], 0x4
	s_load_dwordx2 s[2:3], s[34:35], 0xc4
	s_cmp_lt_u32 s33, 2
	s_waitcnt lgkmcnt(0)
	v_mul_hi_u32 v1, s5, v5
	v_add_u32_e32 v1, v5, v1
	v_lshrrev_b32_e32 v1, s6, v1
	v_mul_lo_u32 v2, v1, s4
	v_sub_u32_e32 v2, v5, v2
	v_mul_lo_u32 v6, v2, s3
	v_mul_lo_u32 v2, v2, s2
	s_cbranch_scc1 .LBB271_46
; %bb.45:
	s_load_dwordx4 s[4:7], s[34:35], 0x10
	s_load_dwordx2 s[2:3], s[34:35], 0xcc
	s_waitcnt lgkmcnt(0)
	v_mul_hi_u32 v3, s5, v1
	v_add_u32_e32 v3, v1, v3
	v_lshrrev_b32_e32 v3, s6, v3
	v_mul_lo_u32 v3, v3, s4
	v_sub_u32_e32 v1, v1, v3
	v_mad_u64_u32 v[2:3], s[4:5], v1, s2, v[2:3]
	v_mad_u64_u32 v[6:7], s[2:3], v1, s3, v[6:7]
.LBB271_46:
	s_and_b64 vcc, exec, s[0:1]
	v_add_u32_e32 v3, 0x100, v24
	s_cbranch_vccnz .LBB271_52
; %bb.47:
	s_cmp_lg_u32 s33, 0
	s_waitcnt lgkmcnt(0)
	s_mov_b32 s26, 0
	s_cbranch_scc0 .LBB271_53
; %bb.48:
	s_min_u32 s27, s54, 15
	s_add_i32 s27, s27, 1
	s_cmp_eq_u32 s54, 2
	s_cbranch_scc1 .LBB271_54
; %bb.49:
	s_and_b32 s26, s27, 28
	s_add_u32 s2, s34, 0xc4
	s_addc_u32 s3, s35, 0
	s_mov_b32 s28, 0
	v_mov_b32_e32 v8, 0
	v_mov_b32_e32 v12, 0
	s_mov_b64 s[24:25], s[34:35]
	v_mov_b32_e32 v5, v3
.LBB271_50:                             ; =>This Inner Loop Header: Depth=1
	s_load_dwordx8 s[12:19], s[24:25], 0x4
	s_load_dwordx4 s[20:23], s[24:25], 0x24
	s_load_dwordx8 s[4:11], s[2:3], 0x0
	s_add_u32 s24, s24, 48
	s_addc_u32 s25, s25, 0
	s_waitcnt lgkmcnt(0)
	v_mul_hi_u32 v1, s13, v5
	v_add_u32_e32 v1, v5, v1
	v_lshrrev_b32_e32 v1, s14, v1
	v_mul_lo_u32 v7, v1, s12
	v_mul_hi_u32 v9, s16, v1
	v_sub_u32_e32 v5, v5, v7
	v_add_u32_e32 v7, v1, v9
	v_lshrrev_b32_e32 v7, s17, v7
	v_mul_lo_u32 v10, v7, s15
	v_mul_hi_u32 v11, s19, v7
	v_sub_u32_e32 v1, v1, v10
	v_add_u32_e32 v10, v7, v11
	v_mul_lo_u32 v9, v5, s5
	v_mul_lo_u32 v5, v5, s4
	;; [unrolled: 1-line block ×4, first 2 shown]
	v_lshrrev_b32_e32 v10, s20, v10
	v_add3_u32 v1, v5, v8, v1
	v_add3_u32 v8, v9, v12, v11
	v_mul_lo_u32 v5, v10, s18
	v_mul_hi_u32 v9, s22, v10
	v_sub_u32_e32 v5, v7, v5
	v_add_u32_e32 v7, v10, v9
	v_mul_lo_u32 v9, v5, s8
	v_mul_lo_u32 v11, v5, s9
	v_lshrrev_b32_e32 v5, s23, v7
	s_add_i32 s28, s28, 4
	v_mul_lo_u32 v7, v5, s21
	s_add_u32 s2, s2, 32
	v_sub_u32_e32 v7, v10, v7
	s_addc_u32 s3, s3, 0
	v_mul_lo_u32 v10, v7, s10
	v_mul_lo_u32 v7, v7, s11
	s_cmp_lg_u32 s26, s28
	v_add3_u32 v12, v11, v8, v7
	v_add3_u32 v8, v9, v1, v10
	s_cbranch_scc1 .LBB271_50
; %bb.51:
	v_mov_b32_e32 v1, v12
	s_and_b32 s6, s27, 3
	s_cmp_eq_u32 s6, 0
	s_cbranch_scc0 .LBB271_55
	s_branch .LBB271_57
.LBB271_52:
                                        ; implicit-def: $vgpr12
                                        ; implicit-def: $vgpr8
	s_branch .LBB271_58
.LBB271_53:
	v_mov_b32_e32 v12, 0
	v_mov_b32_e32 v8, 0
	s_branch .LBB271_57
.LBB271_54:
	v_mov_b32_e32 v8, 0
                                        ; implicit-def: $vgpr12
	v_mov_b32_e32 v1, v8
	v_mov_b32_e32 v5, v3
	s_and_b32 s6, s27, 3
	s_cmp_eq_u32 s6, 0
	s_cbranch_scc1 .LBB271_57
.LBB271_55:
	s_lshl_b32 s2, s26, 3
	s_add_u32 s2, s34, s2
	s_addc_u32 s3, s35, 0
	s_add_u32 s2, s2, 0xc4
	s_addc_u32 s3, s3, 0
	s_mul_i32 s4, s26, 12
	s_add_u32 s4, s34, s4
	s_addc_u32 s5, s35, 0
.LBB271_56:                             ; =>This Inner Loop Header: Depth=1
	s_load_dwordx2 s[8:9], s[4:5], 0x4
	s_load_dword s7, s[4:5], 0xc
	s_load_dwordx2 s[10:11], s[2:3], 0x0
	v_mov_b32_e32 v10, v1
	s_add_u32 s4, s4, 12
	s_waitcnt lgkmcnt(0)
	v_mul_hi_u32 v1, s9, v5
	v_add_u32_e32 v1, v5, v1
	v_lshrrev_b32_e32 v1, s7, v1
	s_addc_u32 s5, s5, 0
	v_mul_lo_u32 v7, v1, s8
	s_add_u32 s2, s2, 8
	v_sub_u32_e32 v7, v5, v7
	s_addc_u32 s3, s3, 0
	s_add_i32 s6, s6, -1
	v_mad_u64_u32 v[12:13], s[8:9], v7, s11, v[10:11]
	s_cmp_lg_u32 s6, 0
	v_mov_b32_e32 v5, v1
	v_mad_u64_u32 v[8:9], s[8:9], v7, s10, v[8:9]
	v_mov_b32_e32 v1, v12
	s_cbranch_scc1 .LBB271_56
.LBB271_57:
	s_cbranch_execnz .LBB271_60
.LBB271_58:
	s_load_dwordx4 s[4:7], s[34:35], 0x4
	s_load_dwordx2 s[2:3], s[34:35], 0xc4
	s_cmp_lt_u32 s33, 2
	s_waitcnt lgkmcnt(0)
	v_mul_hi_u32 v1, s5, v3
	v_add_u32_e32 v1, v3, v1
	v_lshrrev_b32_e32 v1, s6, v1
	v_mul_lo_u32 v5, v1, s4
	v_sub_u32_e32 v3, v3, v5
	v_mul_lo_u32 v12, v3, s3
	v_mul_lo_u32 v8, v3, s2
	s_cbranch_scc1 .LBB271_60
; %bb.59:
	s_load_dwordx4 s[4:7], s[34:35], 0x10
	s_load_dwordx2 s[2:3], s[34:35], 0xcc
	s_waitcnt lgkmcnt(0)
	v_mul_hi_u32 v3, s5, v1
	v_add_u32_e32 v3, v1, v3
	v_lshrrev_b32_e32 v3, s6, v3
	v_mul_lo_u32 v3, v3, s4
	v_sub_u32_e32 v1, v1, v3
	v_mad_u64_u32 v[8:9], s[4:5], v1, s2, v[8:9]
	v_mad_u64_u32 v[12:13], s[2:3], v1, s3, v[12:13]
.LBB271_60:
	s_and_b64 vcc, exec, s[0:1]
	v_add_u32_e32 v3, 0x180, v24
	s_cbranch_vccnz .LBB271_66
; %bb.61:
	s_cmp_lg_u32 s33, 0
	s_waitcnt lgkmcnt(0)
	s_mov_b32 s26, 0
	s_cbranch_scc0 .LBB271_67
; %bb.62:
	s_min_u32 s27, s54, 15
	s_add_i32 s27, s27, 1
	s_cmp_eq_u32 s54, 2
	s_cbranch_scc1 .LBB271_68
; %bb.63:
	s_and_b32 s26, s27, 28
	s_add_u32 s2, s34, 0xc4
	s_addc_u32 s3, s35, 0
	s_mov_b32 s28, 0
	v_mov_b32_e32 v10, 0
	v_mov_b32_e32 v16, 0
	s_mov_b64 s[24:25], s[34:35]
	v_mov_b32_e32 v5, v3
.LBB271_64:                             ; =>This Inner Loop Header: Depth=1
	s_load_dwordx8 s[12:19], s[24:25], 0x4
	s_load_dwordx4 s[20:23], s[24:25], 0x24
	s_load_dwordx8 s[4:11], s[2:3], 0x0
	s_add_u32 s24, s24, 48
	s_addc_u32 s25, s25, 0
	s_waitcnt lgkmcnt(0)
	v_mul_hi_u32 v1, s13, v5
	v_add_u32_e32 v1, v5, v1
	v_lshrrev_b32_e32 v1, s14, v1
	v_mul_lo_u32 v7, v1, s12
	v_mul_hi_u32 v9, s16, v1
	v_sub_u32_e32 v5, v5, v7
	v_add_u32_e32 v7, v1, v9
	v_lshrrev_b32_e32 v7, s17, v7
	v_mul_lo_u32 v11, v7, s15
	v_mul_hi_u32 v13, s19, v7
	v_sub_u32_e32 v1, v1, v11
	v_add_u32_e32 v11, v7, v13
	v_mul_lo_u32 v9, v5, s5
	v_mul_lo_u32 v5, v5, s4
	v_mul_lo_u32 v13, v1, s7
	v_mul_lo_u32 v1, v1, s6
	v_lshrrev_b32_e32 v11, s20, v11
	v_add3_u32 v1, v5, v10, v1
	v_mul_lo_u32 v5, v11, s18
	v_mul_hi_u32 v10, s22, v11
	v_sub_u32_e32 v5, v7, v5
	v_add_u32_e32 v7, v11, v10
	v_add3_u32 v9, v9, v16, v13
	v_mul_lo_u32 v10, v5, s8
	v_mul_lo_u32 v13, v5, s9
	v_lshrrev_b32_e32 v5, s23, v7
	s_add_i32 s28, s28, 4
	v_mul_lo_u32 v7, v5, s21
	s_add_u32 s2, s2, 32
	v_sub_u32_e32 v7, v11, v7
	s_addc_u32 s3, s3, 0
	v_mul_lo_u32 v11, v7, s10
	v_mul_lo_u32 v7, v7, s11
	s_cmp_lg_u32 s26, s28
	v_add3_u32 v16, v13, v9, v7
	v_add3_u32 v10, v10, v1, v11
	s_cbranch_scc1 .LBB271_64
; %bb.65:
	v_mov_b32_e32 v1, v16
	s_and_b32 s6, s27, 3
	s_cmp_eq_u32 s6, 0
	s_cbranch_scc0 .LBB271_69
	s_branch .LBB271_71
.LBB271_66:
                                        ; implicit-def: $vgpr16
                                        ; implicit-def: $vgpr10
	s_branch .LBB271_72
.LBB271_67:
	v_mov_b32_e32 v16, 0
	v_mov_b32_e32 v10, 0
	s_branch .LBB271_71
.LBB271_68:
	v_mov_b32_e32 v10, 0
                                        ; implicit-def: $vgpr16
	v_mov_b32_e32 v1, v10
	v_mov_b32_e32 v5, v3
	s_and_b32 s6, s27, 3
	s_cmp_eq_u32 s6, 0
	s_cbranch_scc1 .LBB271_71
.LBB271_69:
	s_lshl_b32 s2, s26, 3
	s_add_u32 s2, s34, s2
	s_addc_u32 s3, s35, 0
	s_add_u32 s2, s2, 0xc4
	s_addc_u32 s3, s3, 0
	s_mul_i32 s4, s26, 12
	s_add_u32 s4, s34, s4
	s_addc_u32 s5, s35, 0
.LBB271_70:                             ; =>This Inner Loop Header: Depth=1
	s_load_dwordx2 s[8:9], s[4:5], 0x4
	s_load_dword s7, s[4:5], 0xc
	s_load_dwordx2 s[10:11], s[2:3], 0x0
	v_mov_b32_e32 v14, v1
	s_add_u32 s4, s4, 12
	s_waitcnt lgkmcnt(0)
	v_mul_hi_u32 v1, s9, v5
	v_add_u32_e32 v1, v5, v1
	v_lshrrev_b32_e32 v1, s7, v1
	s_addc_u32 s5, s5, 0
	v_mul_lo_u32 v7, v1, s8
	s_add_u32 s2, s2, 8
	v_sub_u32_e32 v7, v5, v7
	s_addc_u32 s3, s3, 0
	s_add_i32 s6, s6, -1
	v_mad_u64_u32 v[16:17], s[8:9], v7, s11, v[14:15]
	s_cmp_lg_u32 s6, 0
	v_mov_b32_e32 v5, v1
	v_mad_u64_u32 v[10:11], s[8:9], v7, s10, v[10:11]
	v_mov_b32_e32 v1, v16
	s_cbranch_scc1 .LBB271_70
.LBB271_71:
	s_cbranch_execnz .LBB271_74
.LBB271_72:
	s_load_dwordx4 s[4:7], s[34:35], 0x4
	s_load_dwordx2 s[2:3], s[34:35], 0xc4
	s_cmp_lt_u32 s33, 2
	s_waitcnt lgkmcnt(0)
	v_mul_hi_u32 v1, s5, v3
	v_add_u32_e32 v1, v3, v1
	v_lshrrev_b32_e32 v1, s6, v1
	v_mul_lo_u32 v5, v1, s4
	v_sub_u32_e32 v3, v3, v5
	v_mul_lo_u32 v16, v3, s3
	v_mul_lo_u32 v10, v3, s2
	s_cbranch_scc1 .LBB271_74
; %bb.73:
	s_load_dwordx4 s[4:7], s[34:35], 0x10
	s_load_dwordx2 s[2:3], s[34:35], 0xcc
	s_waitcnt lgkmcnt(0)
	v_mul_hi_u32 v3, s5, v1
	v_add_u32_e32 v3, v1, v3
	v_lshrrev_b32_e32 v3, s6, v3
	v_mul_lo_u32 v3, v3, s4
	v_sub_u32_e32 v1, v1, v3
	v_mad_u64_u32 v[10:11], s[4:5], v1, s2, v[10:11]
	v_mad_u64_u32 v[16:17], s[2:3], v1, s3, v[16:17]
.LBB271_74:
	s_and_b64 vcc, exec, s[0:1]
	v_add_u32_e32 v3, 0x200, v24
	s_cbranch_vccnz .LBB271_80
; %bb.75:
	s_cmp_lg_u32 s33, 0
	s_waitcnt lgkmcnt(0)
	s_mov_b32 s26, 0
	s_cbranch_scc0 .LBB271_81
; %bb.76:
	s_min_u32 s27, s54, 15
	s_add_i32 s27, s27, 1
	s_cmp_eq_u32 s54, 2
	s_cbranch_scc1 .LBB271_82
; %bb.77:
	s_and_b32 s26, s27, 28
	s_add_u32 s2, s34, 0xc4
	s_addc_u32 s3, s35, 0
	s_mov_b32 s28, 0
	v_mov_b32_e32 v14, 0
	v_mov_b32_e32 v20, 0
	s_mov_b64 s[24:25], s[34:35]
	v_mov_b32_e32 v5, v3
.LBB271_78:                             ; =>This Inner Loop Header: Depth=1
	s_load_dwordx8 s[12:19], s[24:25], 0x4
	s_load_dwordx4 s[20:23], s[24:25], 0x24
	s_load_dwordx8 s[4:11], s[2:3], 0x0
	s_add_u32 s24, s24, 48
	s_addc_u32 s25, s25, 0
	s_waitcnt lgkmcnt(0)
	v_mul_hi_u32 v1, s13, v5
	v_add_u32_e32 v1, v5, v1
	v_lshrrev_b32_e32 v1, s14, v1
	v_mul_lo_u32 v7, v1, s12
	v_mul_hi_u32 v9, s16, v1
	v_sub_u32_e32 v5, v5, v7
	v_add_u32_e32 v7, v1, v9
	v_lshrrev_b32_e32 v7, s17, v7
	v_mul_lo_u32 v11, v7, s15
	v_mul_hi_u32 v13, s19, v7
	v_sub_u32_e32 v1, v1, v11
	v_add_u32_e32 v11, v7, v13
	v_mul_lo_u32 v9, v5, s5
	v_mul_lo_u32 v5, v5, s4
	;; [unrolled: 1-line block ×4, first 2 shown]
	v_lshrrev_b32_e32 v11, s20, v11
	v_add3_u32 v1, v5, v14, v1
	v_add3_u32 v9, v9, v20, v13
	v_mul_lo_u32 v5, v11, s18
	v_mul_hi_u32 v13, s22, v11
	v_sub_u32_e32 v5, v7, v5
	v_add_u32_e32 v7, v11, v13
	v_mul_lo_u32 v13, v5, s8
	v_mul_lo_u32 v14, v5, s9
	v_lshrrev_b32_e32 v5, s23, v7
	s_add_i32 s28, s28, 4
	v_mul_lo_u32 v7, v5, s21
	s_add_u32 s2, s2, 32
	v_sub_u32_e32 v7, v11, v7
	s_addc_u32 s3, s3, 0
	v_mul_lo_u32 v11, v7, s10
	v_mul_lo_u32 v7, v7, s11
	s_cmp_lg_u32 s26, s28
	v_add3_u32 v20, v14, v9, v7
	v_add3_u32 v14, v13, v1, v11
	s_cbranch_scc1 .LBB271_78
; %bb.79:
	v_mov_b32_e32 v1, v20
	s_and_b32 s6, s27, 3
	s_cmp_eq_u32 s6, 0
	s_cbranch_scc0 .LBB271_83
	s_branch .LBB271_85
.LBB271_80:
                                        ; implicit-def: $vgpr20
                                        ; implicit-def: $vgpr14
	s_branch .LBB271_86
.LBB271_81:
	v_mov_b32_e32 v20, 0
	v_mov_b32_e32 v14, 0
	s_branch .LBB271_85
.LBB271_82:
	v_mov_b32_e32 v14, 0
                                        ; implicit-def: $vgpr20
	v_mov_b32_e32 v1, v14
	v_mov_b32_e32 v5, v3
	s_and_b32 s6, s27, 3
	s_cmp_eq_u32 s6, 0
	s_cbranch_scc1 .LBB271_85
.LBB271_83:
	s_lshl_b32 s2, s26, 3
	s_add_u32 s2, s34, s2
	s_addc_u32 s3, s35, 0
	s_add_u32 s2, s2, 0xc4
	s_addc_u32 s3, s3, 0
	s_mul_i32 s4, s26, 12
	s_add_u32 s4, s34, s4
	s_addc_u32 s5, s35, 0
.LBB271_84:                             ; =>This Inner Loop Header: Depth=1
	s_load_dwordx2 s[8:9], s[4:5], 0x4
	s_load_dword s7, s[4:5], 0xc
	s_load_dwordx2 s[10:11], s[2:3], 0x0
	v_mov_b32_e32 v18, v1
	s_add_u32 s4, s4, 12
	s_waitcnt lgkmcnt(0)
	v_mul_hi_u32 v1, s9, v5
	v_add_u32_e32 v1, v5, v1
	v_lshrrev_b32_e32 v1, s7, v1
	s_addc_u32 s5, s5, 0
	v_mul_lo_u32 v7, v1, s8
	s_add_u32 s2, s2, 8
	v_sub_u32_e32 v7, v5, v7
	s_addc_u32 s3, s3, 0
	s_add_i32 s6, s6, -1
	v_mad_u64_u32 v[20:21], s[8:9], v7, s11, v[18:19]
	s_cmp_lg_u32 s6, 0
	v_mov_b32_e32 v5, v1
	v_mad_u64_u32 v[14:15], s[8:9], v7, s10, v[14:15]
	v_mov_b32_e32 v1, v20
	s_cbranch_scc1 .LBB271_84
.LBB271_85:
	s_cbranch_execnz .LBB271_88
.LBB271_86:
	s_load_dwordx4 s[4:7], s[34:35], 0x4
	s_load_dwordx2 s[2:3], s[34:35], 0xc4
	s_cmp_lt_u32 s33, 2
	s_waitcnt lgkmcnt(0)
	v_mul_hi_u32 v1, s5, v3
	v_add_u32_e32 v1, v3, v1
	v_lshrrev_b32_e32 v1, s6, v1
	v_mul_lo_u32 v5, v1, s4
	v_sub_u32_e32 v3, v3, v5
	v_mul_lo_u32 v20, v3, s3
	v_mul_lo_u32 v14, v3, s2
	s_cbranch_scc1 .LBB271_88
; %bb.87:
	s_load_dwordx4 s[4:7], s[34:35], 0x10
	s_load_dwordx2 s[2:3], s[34:35], 0xcc
	s_waitcnt lgkmcnt(0)
	v_mul_hi_u32 v3, s5, v1
	v_add_u32_e32 v3, v1, v3
	v_lshrrev_b32_e32 v3, s6, v3
	v_mul_lo_u32 v3, v3, s4
	v_sub_u32_e32 v1, v1, v3
	v_mad_u64_u32 v[14:15], s[4:5], v1, s2, v[14:15]
	v_mad_u64_u32 v[20:21], s[2:3], v1, s3, v[20:21]
.LBB271_88:
	s_and_b64 vcc, exec, s[0:1]
	v_add_u32_e32 v3, 0x280, v24
	s_cbranch_vccnz .LBB271_94
; %bb.89:
	s_cmp_lg_u32 s33, 0
	s_waitcnt lgkmcnt(0)
	s_mov_b32 s26, 0
	s_cbranch_scc0 .LBB271_95
; %bb.90:
	s_min_u32 s27, s54, 15
	s_add_i32 s27, s27, 1
	s_cmp_eq_u32 s54, 2
	s_cbranch_scc1 .LBB271_96
; %bb.91:
	s_and_b32 s26, s27, 28
	s_add_u32 s2, s34, 0xc4
	s_addc_u32 s3, s35, 0
	s_mov_b32 s28, 0
	v_mov_b32_e32 v18, 0
	v_mov_b32_e32 v22, 0
	s_mov_b64 s[24:25], s[34:35]
	v_mov_b32_e32 v5, v3
.LBB271_92:                             ; =>This Inner Loop Header: Depth=1
	s_load_dwordx8 s[12:19], s[24:25], 0x4
	s_load_dwordx4 s[20:23], s[24:25], 0x24
	s_load_dwordx8 s[4:11], s[2:3], 0x0
	s_add_u32 s24, s24, 48
	s_addc_u32 s25, s25, 0
	s_waitcnt lgkmcnt(0)
	v_mul_hi_u32 v1, s13, v5
	v_add_u32_e32 v1, v5, v1
	v_lshrrev_b32_e32 v1, s14, v1
	v_mul_lo_u32 v7, v1, s12
	v_mul_hi_u32 v9, s16, v1
	v_sub_u32_e32 v5, v5, v7
	v_add_u32_e32 v7, v1, v9
	v_lshrrev_b32_e32 v7, s17, v7
	v_mul_lo_u32 v11, v7, s15
	v_mul_hi_u32 v13, s19, v7
	v_sub_u32_e32 v1, v1, v11
	v_add_u32_e32 v11, v7, v13
	v_mul_lo_u32 v9, v5, s5
	v_mul_lo_u32 v5, v5, s4
	;; [unrolled: 1-line block ×4, first 2 shown]
	v_lshrrev_b32_e32 v11, s20, v11
	v_add3_u32 v1, v5, v18, v1
	v_add3_u32 v9, v9, v22, v13
	v_mul_lo_u32 v5, v11, s18
	v_mul_hi_u32 v13, s22, v11
	v_sub_u32_e32 v5, v7, v5
	v_add_u32_e32 v7, v11, v13
	v_mul_lo_u32 v13, v5, s8
	v_mul_lo_u32 v15, v5, s9
	v_lshrrev_b32_e32 v5, s23, v7
	s_add_i32 s28, s28, 4
	v_mul_lo_u32 v7, v5, s21
	s_add_u32 s2, s2, 32
	v_sub_u32_e32 v7, v11, v7
	s_addc_u32 s3, s3, 0
	v_mul_lo_u32 v11, v7, s10
	v_mul_lo_u32 v7, v7, s11
	s_cmp_lg_u32 s26, s28
	v_add3_u32 v22, v15, v9, v7
	v_add3_u32 v18, v13, v1, v11
	s_cbranch_scc1 .LBB271_92
; %bb.93:
	v_mov_b32_e32 v1, v22
	s_and_b32 s6, s27, 3
	s_cmp_eq_u32 s6, 0
	s_cbranch_scc0 .LBB271_97
	s_branch .LBB271_99
.LBB271_94:
                                        ; implicit-def: $vgpr22
                                        ; implicit-def: $vgpr18
	s_branch .LBB271_100
.LBB271_95:
	v_mov_b32_e32 v22, 0
	v_mov_b32_e32 v18, 0
	s_branch .LBB271_99
.LBB271_96:
	v_mov_b32_e32 v18, 0
                                        ; implicit-def: $vgpr22
	v_mov_b32_e32 v1, v18
	v_mov_b32_e32 v5, v3
	s_and_b32 s6, s27, 3
	s_cmp_eq_u32 s6, 0
	s_cbranch_scc1 .LBB271_99
.LBB271_97:
	s_lshl_b32 s2, s26, 3
	s_add_u32 s2, s34, s2
	s_addc_u32 s3, s35, 0
	s_add_u32 s2, s2, 0xc4
	s_addc_u32 s3, s3, 0
	s_mul_i32 s4, s26, 12
	s_add_u32 s4, s34, s4
	s_addc_u32 s5, s35, 0
.LBB271_98:                             ; =>This Inner Loop Header: Depth=1
	s_load_dwordx2 s[8:9], s[4:5], 0x4
	s_load_dword s7, s[4:5], 0xc
	s_load_dwordx2 s[10:11], s[2:3], 0x0
	v_mov_b32_e32 v22, v1
	s_add_u32 s4, s4, 12
	s_waitcnt lgkmcnt(0)
	v_mul_hi_u32 v1, s9, v5
	v_add_u32_e32 v1, v5, v1
	v_lshrrev_b32_e32 v1, s7, v1
	s_addc_u32 s5, s5, 0
	v_mul_lo_u32 v7, v1, s8
	s_add_u32 s2, s2, 8
	v_sub_u32_e32 v7, v5, v7
	s_addc_u32 s3, s3, 0
	s_add_i32 s6, s6, -1
	v_mad_u64_u32 v[22:23], s[8:9], v7, s11, v[22:23]
	s_cmp_lg_u32 s6, 0
	v_mov_b32_e32 v5, v1
	v_mad_u64_u32 v[18:19], s[8:9], v7, s10, v[18:19]
	v_mov_b32_e32 v1, v22
	s_cbranch_scc1 .LBB271_98
.LBB271_99:
	s_cbranch_execnz .LBB271_102
.LBB271_100:
	s_load_dwordx4 s[4:7], s[34:35], 0x4
	s_load_dwordx2 s[2:3], s[34:35], 0xc4
	s_cmp_lt_u32 s33, 2
	s_waitcnt lgkmcnt(0)
	v_mul_hi_u32 v1, s5, v3
	v_add_u32_e32 v1, v3, v1
	v_lshrrev_b32_e32 v1, s6, v1
	v_mul_lo_u32 v5, v1, s4
	v_sub_u32_e32 v3, v3, v5
	v_mul_lo_u32 v22, v3, s3
	v_mul_lo_u32 v18, v3, s2
	s_cbranch_scc1 .LBB271_102
; %bb.101:
	s_load_dwordx4 s[4:7], s[34:35], 0x10
	s_load_dwordx2 s[2:3], s[34:35], 0xcc
	s_waitcnt lgkmcnt(0)
	v_mul_hi_u32 v3, s5, v1
	v_add_u32_e32 v3, v1, v3
	v_lshrrev_b32_e32 v3, s6, v3
	v_mul_lo_u32 v3, v3, s4
	v_sub_u32_e32 v1, v1, v3
	v_mad_u64_u32 v[18:19], s[4:5], v1, s2, v[18:19]
	v_mad_u64_u32 v[22:23], s[2:3], v1, s3, v[22:23]
.LBB271_102:
	s_and_b64 vcc, exec, s[0:1]
	v_add_u32_e32 v3, 0x300, v24
	s_cbranch_vccnz .LBB271_108
; %bb.103:
	s_cmp_lg_u32 s33, 0
	s_waitcnt lgkmcnt(0)
	s_mov_b32 s26, 0
	s_cbranch_scc0 .LBB271_109
; %bb.104:
	s_min_u32 s27, s54, 15
	s_add_i32 s27, s27, 1
	s_cmp_eq_u32 s54, 2
	s_cbranch_scc1 .LBB271_110
; %bb.105:
	s_and_b32 s26, s27, 28
	s_add_u32 s2, s34, 0xc4
	s_addc_u32 s3, s35, 0
	s_mov_b32 s28, 0
	v_mov_b32_e32 v24, 0
	v_mov_b32_e32 v26, 0
	s_mov_b64 s[24:25], s[34:35]
	v_mov_b32_e32 v5, v3
.LBB271_106:                            ; =>This Inner Loop Header: Depth=1
	s_load_dwordx8 s[12:19], s[24:25], 0x4
	s_load_dwordx4 s[20:23], s[24:25], 0x24
	s_load_dwordx8 s[4:11], s[2:3], 0x0
	s_add_u32 s24, s24, 48
	s_addc_u32 s25, s25, 0
	s_waitcnt lgkmcnt(0)
	v_mul_hi_u32 v1, s13, v5
	v_add_u32_e32 v1, v5, v1
	v_lshrrev_b32_e32 v1, s14, v1
	v_mul_lo_u32 v7, v1, s12
	v_mul_hi_u32 v9, s16, v1
	v_sub_u32_e32 v5, v5, v7
	v_add_u32_e32 v7, v1, v9
	v_lshrrev_b32_e32 v7, s17, v7
	v_mul_lo_u32 v11, v7, s15
	v_mul_hi_u32 v13, s19, v7
	v_sub_u32_e32 v1, v1, v11
	v_add_u32_e32 v11, v7, v13
	v_mul_lo_u32 v9, v5, s5
	v_mul_lo_u32 v5, v5, s4
	;; [unrolled: 1-line block ×4, first 2 shown]
	v_lshrrev_b32_e32 v11, s20, v11
	v_add3_u32 v1, v5, v24, v1
	v_add3_u32 v9, v9, v26, v13
	v_mul_lo_u32 v5, v11, s18
	v_mul_hi_u32 v13, s22, v11
	v_sub_u32_e32 v5, v7, v5
	v_add_u32_e32 v7, v11, v13
	v_mul_lo_u32 v13, v5, s8
	v_mul_lo_u32 v15, v5, s9
	v_lshrrev_b32_e32 v5, s23, v7
	s_add_i32 s28, s28, 4
	v_mul_lo_u32 v7, v5, s21
	s_add_u32 s2, s2, 32
	v_sub_u32_e32 v7, v11, v7
	s_addc_u32 s3, s3, 0
	v_mul_lo_u32 v11, v7, s10
	v_mul_lo_u32 v7, v7, s11
	s_cmp_lg_u32 s26, s28
	v_add3_u32 v26, v15, v9, v7
	v_add3_u32 v24, v13, v1, v11
	s_cbranch_scc1 .LBB271_106
; %bb.107:
	v_mov_b32_e32 v1, v26
	s_and_b32 s6, s27, 3
	s_cmp_eq_u32 s6, 0
	s_cbranch_scc0 .LBB271_111
	s_branch .LBB271_113
.LBB271_108:
                                        ; implicit-def: $vgpr26
                                        ; implicit-def: $vgpr24
	s_branch .LBB271_114
.LBB271_109:
	v_mov_b32_e32 v26, 0
	v_mov_b32_e32 v24, 0
	s_branch .LBB271_113
.LBB271_110:
	v_mov_b32_e32 v24, 0
                                        ; implicit-def: $vgpr26
	v_mov_b32_e32 v1, v24
	v_mov_b32_e32 v5, v3
	s_and_b32 s6, s27, 3
	s_cmp_eq_u32 s6, 0
	s_cbranch_scc1 .LBB271_113
.LBB271_111:
	s_lshl_b32 s2, s26, 3
	s_add_u32 s2, s34, s2
	s_addc_u32 s3, s35, 0
	s_add_u32 s2, s2, 0xc4
	s_addc_u32 s3, s3, 0
	s_mul_i32 s4, s26, 12
	s_add_u32 s4, s34, s4
	s_addc_u32 s5, s35, 0
.LBB271_112:                            ; =>This Inner Loop Header: Depth=1
	s_load_dwordx2 s[8:9], s[4:5], 0x4
	s_load_dword s7, s[4:5], 0xc
	s_load_dwordx2 s[10:11], s[2:3], 0x0
	v_mov_b32_e32 v26, v1
	s_add_u32 s4, s4, 12
	s_waitcnt lgkmcnt(0)
	v_mul_hi_u32 v1, s9, v5
	v_add_u32_e32 v1, v5, v1
	v_lshrrev_b32_e32 v1, s7, v1
	s_addc_u32 s5, s5, 0
	v_mul_lo_u32 v7, v1, s8
	s_add_u32 s2, s2, 8
	v_sub_u32_e32 v7, v5, v7
	s_addc_u32 s3, s3, 0
	s_add_i32 s6, s6, -1
	v_mad_u64_u32 v[26:27], s[8:9], v7, s11, v[26:27]
	s_cmp_lg_u32 s6, 0
	v_mov_b32_e32 v5, v1
	v_mad_u64_u32 v[24:25], s[8:9], v7, s10, v[24:25]
	v_mov_b32_e32 v1, v26
	s_cbranch_scc1 .LBB271_112
.LBB271_113:
	s_cbranch_execnz .LBB271_116
.LBB271_114:
	s_load_dwordx4 s[4:7], s[34:35], 0x4
	s_load_dwordx2 s[2:3], s[34:35], 0xc4
	s_cmp_lt_u32 s33, 2
	s_waitcnt lgkmcnt(0)
	v_mul_hi_u32 v1, s5, v3
	v_add_u32_e32 v1, v3, v1
	v_lshrrev_b32_e32 v1, s6, v1
	v_mul_lo_u32 v5, v1, s4
	v_sub_u32_e32 v3, v3, v5
	v_mul_lo_u32 v26, v3, s3
	v_mul_lo_u32 v24, v3, s2
	s_cbranch_scc1 .LBB271_116
; %bb.115:
	s_load_dwordx4 s[4:7], s[34:35], 0x10
	s_load_dwordx2 s[2:3], s[34:35], 0xcc
	s_waitcnt lgkmcnt(0)
	v_mul_hi_u32 v3, s5, v1
	v_add_u32_e32 v3, v1, v3
	v_lshrrev_b32_e32 v3, s6, v3
	v_mul_lo_u32 v3, v3, s4
	v_sub_u32_e32 v1, v1, v3
	v_mad_u64_u32 v[24:25], s[4:5], v1, s2, v[24:25]
	v_mad_u64_u32 v[26:27], s[2:3], v1, s3, v[26:27]
.LBB271_116:
	s_and_b64 vcc, exec, s[0:1]
	s_cbranch_vccnz .LBB271_122
; %bb.117:
	s_cmp_lg_u32 s33, 0
	s_waitcnt lgkmcnt(0)
	s_mov_b32 s24, 0
	s_cbranch_scc0 .LBB271_123
; %bb.118:
	s_min_u32 s25, s54, 15
	s_add_i32 s25, s25, 1
	s_cmp_eq_u32 s54, 2
	s_cbranch_scc1 .LBB271_124
; %bb.119:
	s_and_b32 s24, s25, 28
	s_add_u32 s20, s34, 0xc4
	s_addc_u32 s21, s35, 0
	s_mov_b32 s26, 0
	v_mov_b32_e32 v28, 0
	v_mov_b32_e32 v30, 0
	s_mov_b64 s[22:23], s[34:35]
	v_mov_b32_e32 v3, v32
.LBB271_120:                            ; =>This Inner Loop Header: Depth=1
	s_load_dwordx8 s[8:15], s[22:23], 0x4
	s_load_dwordx4 s[16:19], s[22:23], 0x24
	s_load_dwordx8 s[0:7], s[20:21], 0x0
	s_add_u32 s22, s22, 48
	s_addc_u32 s23, s23, 0
	s_waitcnt lgkmcnt(0)
	v_mul_hi_u32 v1, s9, v3
	v_add_u32_e32 v1, v3, v1
	v_lshrrev_b32_e32 v1, s10, v1
	v_mul_lo_u32 v5, v1, s8
	v_mul_hi_u32 v7, s12, v1
	v_sub_u32_e32 v3, v3, v5
	v_add_u32_e32 v5, v1, v7
	v_lshrrev_b32_e32 v5, s13, v5
	v_mul_lo_u32 v9, v5, s11
	v_mul_hi_u32 v11, s15, v5
	v_sub_u32_e32 v1, v1, v9
	v_add_u32_e32 v9, v5, v11
	v_mul_lo_u32 v7, v3, s1
	v_mul_lo_u32 v3, v3, s0
	;; [unrolled: 1-line block ×4, first 2 shown]
	v_lshrrev_b32_e32 v9, s16, v9
	v_add3_u32 v1, v3, v28, v1
	v_add3_u32 v7, v7, v30, v11
	v_mul_lo_u32 v3, v9, s14
	v_mul_hi_u32 v11, s18, v9
	v_sub_u32_e32 v3, v5, v3
	v_add_u32_e32 v5, v9, v11
	v_mul_lo_u32 v11, v3, s4
	v_mul_lo_u32 v13, v3, s5
	v_lshrrev_b32_e32 v3, s19, v5
	s_add_i32 s26, s26, 4
	v_mul_lo_u32 v5, v3, s17
	s_add_u32 s20, s20, 32
	v_sub_u32_e32 v5, v9, v5
	s_addc_u32 s21, s21, 0
	v_mul_lo_u32 v9, v5, s6
	v_mul_lo_u32 v5, v5, s7
	s_cmp_lg_u32 s24, s26
	v_add3_u32 v30, v13, v7, v5
	v_add3_u32 v28, v11, v1, v9
	s_cbranch_scc1 .LBB271_120
; %bb.121:
	v_mov_b32_e32 v1, v30
	s_and_b32 s4, s25, 3
	s_cmp_eq_u32 s4, 0
	s_cbranch_scc0 .LBB271_125
	s_branch .LBB271_127
.LBB271_122:
                                        ; implicit-def: $vgpr30
                                        ; implicit-def: $vgpr28
	s_branch .LBB271_128
.LBB271_123:
	v_mov_b32_e32 v30, 0
	v_mov_b32_e32 v28, 0
	s_branch .LBB271_127
.LBB271_124:
	v_mov_b32_e32 v28, 0
                                        ; implicit-def: $vgpr30
	v_mov_b32_e32 v1, v28
	v_mov_b32_e32 v3, v32
	s_and_b32 s4, s25, 3
	s_cmp_eq_u32 s4, 0
	s_cbranch_scc1 .LBB271_127
.LBB271_125:
	s_lshl_b32 s0, s24, 3
	s_add_u32 s0, s34, s0
	s_addc_u32 s1, s35, 0
	s_add_u32 s0, s0, 0xc4
	s_addc_u32 s1, s1, 0
	s_mul_i32 s2, s24, 12
	s_add_u32 s2, s34, s2
	s_addc_u32 s3, s35, 0
.LBB271_126:                            ; =>This Inner Loop Header: Depth=1
	s_load_dwordx2 s[6:7], s[2:3], 0x4
	s_load_dword s5, s[2:3], 0xc
	s_load_dwordx2 s[8:9], s[0:1], 0x0
	v_mov_b32_e32 v30, v1
	s_add_u32 s2, s2, 12
	s_waitcnt lgkmcnt(0)
	v_mul_hi_u32 v1, s7, v3
	v_add_u32_e32 v1, v3, v1
	v_lshrrev_b32_e32 v1, s5, v1
	s_addc_u32 s3, s3, 0
	v_mul_lo_u32 v5, v1, s6
	s_add_u32 s0, s0, 8
	v_sub_u32_e32 v5, v3, v5
	s_addc_u32 s1, s1, 0
	s_add_i32 s4, s4, -1
	v_mad_u64_u32 v[30:31], s[6:7], v5, s9, v[30:31]
	s_cmp_lg_u32 s4, 0
	v_mov_b32_e32 v3, v1
	v_mad_u64_u32 v[28:29], s[6:7], v5, s8, v[28:29]
	v_mov_b32_e32 v1, v30
	s_cbranch_scc1 .LBB271_126
.LBB271_127:
	s_cbranch_execnz .LBB271_130
.LBB271_128:
	s_load_dwordx4 s[0:3], s[34:35], 0x4
	s_load_dwordx2 s[4:5], s[34:35], 0xc4
	s_cmp_lt_u32 s33, 2
	s_waitcnt lgkmcnt(0)
	v_mul_hi_u32 v1, s1, v32
	v_add_u32_e32 v1, v32, v1
	v_lshrrev_b32_e32 v1, s2, v1
	v_mul_lo_u32 v3, v1, s0
	v_sub_u32_e32 v3, v32, v3
	v_mul_lo_u32 v30, v3, s5
	v_mul_lo_u32 v28, v3, s4
	s_cbranch_scc1 .LBB271_130
; %bb.129:
	s_load_dwordx4 s[0:3], s[34:35], 0x10
	s_load_dwordx2 s[4:5], s[34:35], 0xcc
	s_waitcnt lgkmcnt(0)
	v_mul_hi_u32 v3, s1, v1
	v_add_u32_e32 v3, v1, v3
	v_lshrrev_b32_e32 v3, s2, v3
	v_mul_lo_u32 v3, v3, s0
	v_sub_u32_e32 v1, v1, v3
	v_mad_u64_u32 v[28:29], s[0:1], v1, s4, v[28:29]
	v_mad_u64_u32 v[30:31], s[0:1], v1, s5, v[30:31]
.LBB271_130:
	s_load_dwordx4 s[12:15], s[34:35], 0x148
	s_mov_b32 s11, 0xf800000
	s_movk_i32 s10, 0x7fff
	s_waitcnt lgkmcnt(0)
	global_load_ushort v1, v4, s[14:15]
	global_load_ushort v3, v6, s[14:15]
	;; [unrolled: 1-line block ×6, first 2 shown]
	s_nop 0
	global_load_ushort v12, v26, s[14:15]
	global_load_ushort v13, v30, s[14:15]
	v_mov_b32_e32 v4, 0x260
	v_mov_b32_e32 v6, 0x7fc0
	s_waitcnt vmcnt(7)
	v_lshlrev_b32_e32 v1, 16, v1
	s_waitcnt vmcnt(6)
	v_lshlrev_b32_e32 v3, 16, v3
	v_mul_f32_e32 v15, 0x4f800000, v1
	v_cmp_gt_f32_e32 vcc, s11, v1
	s_waitcnt vmcnt(5)
	v_lshlrev_b32_e32 v5, 16, v5
	v_mul_f32_e32 v16, 0x4f800000, v3
	v_cndmask_b32_e32 v15, v1, v15, vcc
	v_cmp_gt_f32_e64 s[0:1], s11, v3
	s_waitcnt vmcnt(4)
	v_lshlrev_b32_e32 v7, 16, v7
	v_mul_f32_e32 v17, 0x4f800000, v5
	v_cndmask_b32_e64 v16, v3, v16, s[0:1]
	v_cmp_gt_f32_e64 s[2:3], s11, v5
	v_sqrt_f32_e32 v21, v15
	v_mul_f32_e32 v19, 0x4f800000, v7
	v_cndmask_b32_e64 v17, v5, v17, s[2:3]
	v_cmp_gt_f32_e64 s[4:5], s11, v7
	v_sqrt_f32_e32 v22, v16
	v_sqrt_f32_e32 v23, v17
	v_cndmask_b32_e64 v19, v7, v19, s[4:5]
	v_sqrt_f32_e32 v25, v19
	v_add_u32_e32 v27, -1, v21
	v_add_u32_e32 v30, -1, v22
	v_fma_f32 v36, -v27, v21, v15
	v_add_u32_e32 v29, 1, v21
	v_add_u32_e32 v32, -1, v23
	v_fma_f32 v38, -v30, v22, v16
	v_cmp_ge_f32_e64 s[8:9], 0, v36
	v_add_u32_e32 v31, 1, v22
	v_add_u32_e32 v34, -1, v25
	v_fma_f32 v37, -v29, v21, v15
	v_fma_f32 v40, -v32, v23, v17
	v_cndmask_b32_e64 v21, v21, v27, s[8:9]
	v_cmp_ge_f32_e64 s[8:9], 0, v38
	v_add_u32_e32 v33, 1, v23
	v_fma_f32 v39, -v31, v22, v16
	v_fma_f32 v42, -v34, v25, v19
	v_cndmask_b32_e64 v22, v22, v30, s[8:9]
	v_cmp_ge_f32_e64 s[8:9], 0, v40
	v_add_u32_e32 v35, 1, v25
	v_fma_f32 v41, -v33, v23, v17
	v_cndmask_b32_e64 v23, v23, v32, s[8:9]
	v_cmp_ge_f32_e64 s[8:9], 0, v42
	v_fma_f32 v43, -v35, v25, v19
	s_waitcnt vmcnt(3)
	v_lshlrev_b32_e32 v9, 16, v9
	v_cndmask_b32_e64 v25, v25, v34, s[8:9]
	v_cmp_lt_f32_e64 s[8:9], 0, v37
	v_mul_f32_e32 v20, 0x4f800000, v9
	v_cmp_gt_f32_e64 s[6:7], s11, v9
	v_cndmask_b32_e64 v21, v21, v29, s[8:9]
	v_cmp_lt_f32_e64 s[8:9], 0, v39
	v_mul_f32_e32 v27, 0x37800000, v21
	v_cndmask_b32_e32 v21, v21, v27, vcc
	v_cndmask_b32_e64 v22, v22, v31, s[8:9]
	v_cmp_lt_f32_e64 s[8:9], 0, v41
	v_mul_f32_e32 v29, 0x37800000, v22
	v_cmp_class_f32_e32 vcc, v15, v4
	v_cndmask_b32_e64 v23, v23, v33, s[8:9]
	v_cmp_lt_f32_e64 s[8:9], 0, v43
	v_mul_f32_e32 v30, 0x37800000, v23
	v_cndmask_b32_e64 v22, v22, v29, s[0:1]
	v_cndmask_b32_e64 v25, v25, v35, s[8:9]
	v_cndmask_b32_e32 v15, v21, v15, vcc
	v_cmp_class_f32_e32 vcc, v16, v4
	v_mul_f32_e32 v31, 0x37800000, v25
	v_cndmask_b32_e64 v23, v23, v30, s[2:3]
	v_cndmask_b32_e32 v16, v22, v16, vcc
	v_cmp_class_f32_e32 vcc, v17, v4
	v_bfe_u32 v21, v15, 16, 1
	v_cndmask_b32_e64 v20, v9, v20, s[6:7]
	v_cndmask_b32_e64 v25, v25, v31, s[4:5]
	v_cndmask_b32_e32 v17, v23, v17, vcc
	v_cmp_class_f32_e32 vcc, v19, v4
	v_bfe_u32 v22, v16, 16, 1
	v_add3_u32 v15, v15, v21, s10
	v_sqrt_f32_e32 v26, v20
	v_cndmask_b32_e32 v19, v25, v19, vcc
	v_bfe_u32 v23, v17, 16, 1
	v_add3_u32 v16, v16, v22, s10
	v_lshrrev_b32_e32 v15, 16, v15
	v_cmp_le_f32_e32 vcc, 0, v1
	v_bfe_u32 v25, v19, 16, 1
	v_add3_u32 v17, v17, v23, s10
	v_lshrrev_b32_e32 v16, 16, v16
	v_cndmask_b32_e32 v1, v6, v15, vcc
	v_cmp_le_f32_e32 vcc, 0, v3
	v_add3_u32 v19, v19, v25, s10
	v_lshrrev_b32_e32 v17, 16, v17
	v_cndmask_b32_e32 v3, v6, v16, vcc
	v_cmp_le_f32_e32 vcc, 0, v5
	v_lshrrev_b32_e32 v15, 16, v19
	s_waitcnt vmcnt(2)
	v_lshlrev_b32_e32 v11, 16, v11
	v_cndmask_b32_e32 v5, v6, v17, vcc
	v_cmp_le_f32_e32 vcc, 0, v7
	v_cmp_le_f32_e64 s[0:1], 0, v9
	s_waitcnt vmcnt(1)
	v_lshlrev_b32_e32 v12, 16, v12
	v_cndmask_b32_e32 v7, v6, v15, vcc
	v_add_u32_e32 v15, -1, v26
	v_fma_f32 v16, -v15, v26, v20
	v_cmp_ge_f32_e32 vcc, 0, v16
	v_add_u32_e32 v16, 1, v26
	v_fma_f32 v17, -v16, v26, v20
	v_cndmask_b32_e32 v15, v26, v15, vcc
	v_cmp_lt_f32_e32 vcc, 0, v17
	s_waitcnt vmcnt(0)
	v_lshlrev_b32_e32 v13, 16, v13
	v_cndmask_b32_e32 v15, v15, v16, vcc
	v_mul_f32_e32 v16, 0x37800000, v15
	v_cndmask_b32_e64 v15, v15, v16, s[6:7]
	v_cmp_class_f32_e32 vcc, v20, v4
	s_nop 1
	v_cndmask_b32_e32 v15, v15, v20, vcc
	v_bfe_u32 v16, v15, 16, 1
	v_add3_u32 v15, v15, v16, s10
	v_mul_f32_e32 v16, 0x4f800000, v11
	v_cmp_gt_f32_e32 vcc, s11, v11
	v_lshrrev_b32_e32 v15, 16, v15
	v_cndmask_b32_e64 v9, v6, v15, s[0:1]
	v_cndmask_b32_e32 v16, v11, v16, vcc
	v_sqrt_f32_e32 v17, v16
	s_nop 0
	v_add_u32_e32 v15, -1, v17
	v_fma_f32 v19, -v15, v17, v16
	v_cmp_ge_f32_e64 s[0:1], 0, v19
	v_add_u32_e32 v19, 1, v17
	s_nop 0
	v_cndmask_b32_e64 v15, v17, v15, s[0:1]
	v_fma_f32 v17, -v19, v17, v16
	v_cmp_lt_f32_e64 s[0:1], 0, v17
	s_nop 1
	v_cndmask_b32_e64 v15, v15, v19, s[0:1]
	v_mul_f32_e32 v17, 0x37800000, v15
	v_cndmask_b32_e32 v15, v15, v17, vcc
	v_cmp_class_f32_e32 vcc, v16, v4
	v_cmp_le_f32_e64 s[0:1], 0, v11
	s_nop 0
	v_cndmask_b32_e32 v15, v15, v16, vcc
	v_bfe_u32 v16, v15, 16, 1
	v_add3_u32 v15, v15, v16, s10
	v_mul_f32_e32 v16, 0x4f800000, v12
	v_cmp_gt_f32_e32 vcc, s11, v12
	v_lshrrev_b32_e32 v15, 16, v15
	v_cndmask_b32_e64 v11, v6, v15, s[0:1]
	v_cndmask_b32_e32 v16, v12, v16, vcc
	v_sqrt_f32_e32 v17, v16
	s_nop 0
	v_add_u32_e32 v15, -1, v17
	v_fma_f32 v19, -v15, v17, v16
	v_cmp_ge_f32_e64 s[0:1], 0, v19
	v_add_u32_e32 v19, 1, v17
	s_nop 0
	v_cndmask_b32_e64 v15, v17, v15, s[0:1]
	v_fma_f32 v17, -v19, v17, v16
	v_cmp_lt_f32_e64 s[0:1], 0, v17
	s_nop 1
	v_cndmask_b32_e64 v15, v15, v19, s[0:1]
	v_mul_f32_e32 v17, 0x37800000, v15
	v_cndmask_b32_e32 v15, v15, v17, vcc
	v_cmp_class_f32_e32 vcc, v16, v4
	v_cmp_le_f32_e64 s[0:1], 0, v12
	s_nop 0
	v_cndmask_b32_e32 v15, v15, v16, vcc
	v_bfe_u32 v16, v15, 16, 1
	v_add3_u32 v15, v15, v16, s10
	v_mul_f32_e32 v16, 0x4f800000, v13
	v_cmp_gt_f32_e32 vcc, s11, v13
	v_lshrrev_b32_e32 v15, 16, v15
	v_cndmask_b32_e64 v12, v6, v15, s[0:1]
	v_cndmask_b32_e32 v16, v13, v16, vcc
	v_sqrt_f32_e32 v17, v16
	s_nop 0
	v_add_u32_e32 v15, -1, v17
	v_fma_f32 v19, -v15, v17, v16
	v_cmp_ge_f32_e64 s[0:1], 0, v19
	v_add_u32_e32 v19, 1, v17
	s_nop 0
	v_cndmask_b32_e64 v15, v17, v15, s[0:1]
	v_fma_f32 v17, -v19, v17, v16
	v_cmp_lt_f32_e64 s[0:1], 0, v17
	s_nop 1
	v_cndmask_b32_e64 v15, v15, v19, s[0:1]
	v_mul_f32_e32 v17, 0x37800000, v15
	v_cndmask_b32_e32 v15, v15, v17, vcc
	v_cmp_class_f32_e32 vcc, v16, v4
	s_nop 1
	v_cndmask_b32_e32 v4, v15, v16, vcc
	v_bfe_u32 v15, v4, 16, 1
	v_add3_u32 v4, v4, v15, s10
	v_cmp_le_f32_e32 vcc, 0, v13
	s_nop 1
	v_cndmask_b32_sdwa v4, v6, v4, vcc dst_sel:DWORD dst_unused:UNUSED_PAD src0_sel:DWORD src1_sel:WORD_1
	global_store_short v0, v1, s[12:13]
	global_store_short v2, v3, s[12:13]
	;; [unrolled: 1-line block ×8, first 2 shown]
	s_endpgm
.LBB271_131:
	v_mov_b32_e32 v2, 0
	v_mov_b32_e32 v0, 0
	s_branch .LBB271_137
.LBB271_132:
	v_mov_b32_e32 v2, 0
	v_mov_b32_e32 v0, 0
	s_branch .LBB271_154
.LBB271_133:
	v_mov_b32_e32 v0, 0
	s_mov_b32 s57, 0
	v_mov_b32_e32 v1, v0
                                        ; implicit-def: $vgpr2
	v_mov_b32_e32 v4, v24
.LBB271_134:
	s_and_b32 s4, s58, 3
	s_cmp_eq_u32 s4, 0
	s_cbranch_scc1 .LBB271_137
; %bb.135:
	s_lshl_b32 s0, s57, 3
	s_add_u32 s0, s34, s0
	s_addc_u32 s1, s35, 0
	s_add_u32 s0, s0, 0xc4
	s_addc_u32 s1, s1, 0
	s_mul_i32 s2, s57, 12
	s_add_u32 s2, s34, s2
	s_addc_u32 s3, s35, 0
.LBB271_136:                            ; =>This Inner Loop Header: Depth=1
	s_load_dwordx2 s[6:7], s[2:3], 0x4
	s_load_dword s5, s[2:3], 0xc
	s_load_dwordx2 s[8:9], s[0:1], 0x0
	v_mov_b32_e32 v2, v1
	s_add_u32 s2, s2, 12
	s_waitcnt lgkmcnt(0)
	v_mul_hi_u32 v1, s7, v4
	v_add_u32_e32 v1, v4, v1
	v_lshrrev_b32_e32 v1, s5, v1
	s_addc_u32 s3, s3, 0
	v_mul_lo_u32 v3, v1, s6
	s_add_u32 s0, s0, 8
	v_sub_u32_e32 v5, v4, v3
	s_addc_u32 s1, s1, 0
	s_add_i32 s4, s4, -1
	v_mov_b32_e32 v4, v1
	v_mad_u64_u32 v[2:3], s[6:7], v5, s9, v[2:3]
	v_mad_u64_u32 v[0:1], s[6:7], v5, s8, v[0:1]
	s_cmp_lg_u32 s4, 0
	v_mov_b32_e32 v1, v2
	s_cbranch_scc1 .LBB271_136
.LBB271_137:
	s_cbranch_execnz .LBB271_140
.LBB271_138:
	s_waitcnt lgkmcnt(0)
	v_mul_hi_u32 v0, s25, v24
	v_add_u32_e32 v0, v24, v0
	v_lshrrev_b32_e32 v1, s26, v0
	v_mul_lo_u32 v0, v1, s24
	v_sub_u32_e32 v0, v24, v0
	v_mul_lo_u32 v2, v0, s21
	s_andn2_b64 vcc, exec, s[42:43]
	v_mul_lo_u32 v0, v0, s20
	s_cbranch_vccnz .LBB271_140
; %bb.139:
	v_mul_hi_u32 v3, s40, v1
	v_add_u32_e32 v3, v1, v3
	v_lshrrev_b32_e32 v3, s41, v3
	v_mul_lo_u32 v3, v3, s27
	v_sub_u32_e32 v3, v1, v3
	v_mad_u64_u32 v[0:1], s[0:1], v3, s22, v[0:1]
	v_mad_u64_u32 v[2:3], s[0:1], v3, s23, v[2:3]
.LBB271_140:
	s_waitcnt lgkmcnt(0)
	global_load_ushort v1, v2, s[18:19]
	s_mov_b32 s0, 0xf800000
	v_mov_b32_e32 v2, 0x260
	s_movk_i32 s4, 0x7fff
	v_mov_b32_e32 v5, 0x7fc0
	v_add_u32_e32 v24, 0x80, v24
	s_waitcnt vmcnt(0)
	v_lshlrev_b32_e32 v1, 16, v1
	v_mul_f32_e32 v3, 0x4f800000, v1
	v_cmp_gt_f32_e32 vcc, s0, v1
	v_cmp_le_f32_e64 s[0:1], 0, v1
	s_nop 0
	v_cndmask_b32_e32 v3, v1, v3, vcc
	v_sqrt_f32_e32 v4, v3
	s_nop 0
	v_add_u32_e32 v1, -1, v4
	v_add_u32_e32 v6, 1, v4
	v_fma_f32 v7, -v1, v4, v3
	v_fma_f32 v8, -v6, v4, v3
	v_cmp_ge_f32_e64 s[2:3], 0, v7
	s_nop 1
	v_cndmask_b32_e64 v1, v4, v1, s[2:3]
	v_cmp_lt_f32_e64 s[2:3], 0, v8
	s_nop 1
	v_cndmask_b32_e64 v1, v1, v6, s[2:3]
	v_mul_f32_e32 v4, 0x37800000, v1
	v_cndmask_b32_e32 v1, v1, v4, vcc
	v_cmp_class_f32_e32 vcc, v3, v2
	s_nop 1
	v_cndmask_b32_e32 v1, v1, v3, vcc
	v_bfe_u32 v2, v1, 16, 1
	v_add3_u32 v1, v1, v2, s4
	s_mov_b64 vcc, s[0:1]
	v_cndmask_b32_sdwa v1, v5, v1, vcc dst_sel:DWORD dst_unused:UNUSED_PAD src0_sel:DWORD src1_sel:WORD_1
	global_store_short v0, v1, s[16:17]
	s_or_b64 exec, exec, s[48:49]
	v_cmp_gt_i32_e32 vcc, s55, v24
	s_and_saveexec_b64 s[48:49], vcc
	s_cbranch_execnz .LBB271_16
.LBB271_141:
	s_or_b64 exec, exec, s[48:49]
	v_cmp_gt_i32_e32 vcc, s55, v24
	s_and_saveexec_b64 s[48:49], vcc
	s_cbranch_execz .LBB271_158
.LBB271_142:
	s_andn2_b64 vcc, exec, s[36:37]
	s_cbranch_vccnz .LBB271_148
; %bb.143:
	s_andn2_b64 vcc, exec, s[46:47]
	s_cbranch_vccnz .LBB271_149
; %bb.144:
	s_add_i32 s58, s56, 1
	s_cmp_eq_u32 s54, 2
	s_cbranch_scc1 .LBB271_167
; %bb.145:
	s_and_b32 s57, s58, 28
	s_mov_b32 s59, 0
	v_mov_b32_e32 v0, 0
	v_mov_b32_e32 v2, 0
	s_mov_b64 s[50:51], s[34:35]
	s_mov_b64 s[52:53], s[44:45]
	v_mov_b32_e32 v4, v24
.LBB271_146:                            ; =>This Inner Loop Header: Depth=1
	s_load_dwordx8 s[8:15], s[50:51], 0x4
	s_load_dwordx4 s[28:31], s[50:51], 0x24
	s_load_dwordx8 s[0:7], s[52:53], 0x0
	s_add_u32 s50, s50, 48
	s_addc_u32 s51, s51, 0
	s_waitcnt lgkmcnt(0)
	v_mul_hi_u32 v1, s9, v4
	v_add_u32_e32 v1, v4, v1
	v_lshrrev_b32_e32 v1, s10, v1
	v_mul_lo_u32 v3, v1, s8
	v_mul_hi_u32 v5, s12, v1
	v_sub_u32_e32 v3, v4, v3
	v_add_u32_e32 v4, v1, v5
	v_lshrrev_b32_e32 v4, s13, v4
	v_mul_lo_u32 v6, v4, s11
	v_mul_hi_u32 v7, s15, v4
	v_sub_u32_e32 v1, v1, v6
	v_add_u32_e32 v6, v4, v7
	v_mul_lo_u32 v5, v3, s1
	v_mul_lo_u32 v3, v3, s0
	;; [unrolled: 1-line block ×4, first 2 shown]
	v_lshrrev_b32_e32 v6, s28, v6
	v_add3_u32 v0, v3, v0, v1
	v_mul_hi_u32 v3, s30, v6
	v_add3_u32 v1, v5, v2, v7
	v_mul_lo_u32 v2, v6, s14
	v_add_u32_e32 v3, v6, v3
	v_sub_u32_e32 v2, v4, v2
	v_lshrrev_b32_e32 v4, s31, v3
	s_add_i32 s59, s59, 4
	v_mul_lo_u32 v3, v4, s29
	s_add_u32 s52, s52, 32
	v_sub_u32_e32 v3, v6, v3
	s_addc_u32 s53, s53, 0
	v_mul_lo_u32 v5, v2, s4
	v_mul_lo_u32 v2, v2, s5
	;; [unrolled: 1-line block ×4, first 2 shown]
	s_cmp_eq_u32 s57, s59
	v_add3_u32 v2, v2, v1, v3
	v_add3_u32 v0, v5, v0, v6
	s_cbranch_scc0 .LBB271_146
; %bb.147:
	v_mov_b32_e32 v1, v2
	s_branch .LBB271_168
.LBB271_148:
                                        ; implicit-def: $vgpr2
                                        ; implicit-def: $vgpr0
	s_branch .LBB271_172
.LBB271_149:
	v_mov_b32_e32 v2, 0
	v_mov_b32_e32 v0, 0
	s_branch .LBB271_171
.LBB271_150:
	v_mov_b32_e32 v0, 0
	s_mov_b32 s57, 0
	v_mov_b32_e32 v1, v0
                                        ; implicit-def: $vgpr2
	v_mov_b32_e32 v4, v24
.LBB271_151:
	s_and_b32 s4, s58, 3
	s_cmp_eq_u32 s4, 0
	s_cbranch_scc1 .LBB271_154
; %bb.152:
	s_lshl_b32 s0, s57, 3
	s_add_u32 s0, s34, s0
	s_addc_u32 s1, s35, 0
	s_add_u32 s0, s0, 0xc4
	s_addc_u32 s1, s1, 0
	s_mul_i32 s2, s57, 12
	s_add_u32 s2, s34, s2
	s_addc_u32 s3, s35, 0
.LBB271_153:                            ; =>This Inner Loop Header: Depth=1
	s_load_dwordx2 s[6:7], s[2:3], 0x4
	s_load_dword s5, s[2:3], 0xc
	s_load_dwordx2 s[8:9], s[0:1], 0x0
	v_mov_b32_e32 v2, v1
	s_add_u32 s2, s2, 12
	s_waitcnt lgkmcnt(0)
	v_mul_hi_u32 v1, s7, v4
	v_add_u32_e32 v1, v4, v1
	v_lshrrev_b32_e32 v1, s5, v1
	s_addc_u32 s3, s3, 0
	v_mul_lo_u32 v3, v1, s6
	s_add_u32 s0, s0, 8
	v_sub_u32_e32 v5, v4, v3
	s_addc_u32 s1, s1, 0
	s_add_i32 s4, s4, -1
	v_mov_b32_e32 v4, v1
	v_mad_u64_u32 v[2:3], s[6:7], v5, s9, v[2:3]
	v_mad_u64_u32 v[0:1], s[6:7], v5, s8, v[0:1]
	s_cmp_lg_u32 s4, 0
	v_mov_b32_e32 v1, v2
	s_cbranch_scc1 .LBB271_153
.LBB271_154:
	s_cbranch_execnz .LBB271_157
.LBB271_155:
	s_waitcnt lgkmcnt(0)
	v_mul_hi_u32 v0, s25, v24
	v_add_u32_e32 v0, v24, v0
	v_lshrrev_b32_e32 v1, s26, v0
	v_mul_lo_u32 v0, v1, s24
	v_sub_u32_e32 v0, v24, v0
	v_mul_lo_u32 v2, v0, s21
	s_andn2_b64 vcc, exec, s[42:43]
	v_mul_lo_u32 v0, v0, s20
	s_cbranch_vccnz .LBB271_157
; %bb.156:
	v_mul_hi_u32 v3, s40, v1
	v_add_u32_e32 v3, v1, v3
	v_lshrrev_b32_e32 v3, s41, v3
	v_mul_lo_u32 v3, v3, s27
	v_sub_u32_e32 v3, v1, v3
	v_mad_u64_u32 v[0:1], s[0:1], v3, s22, v[0:1]
	v_mad_u64_u32 v[2:3], s[0:1], v3, s23, v[2:3]
.LBB271_157:
	s_waitcnt lgkmcnt(0)
	global_load_ushort v1, v2, s[18:19]
	s_mov_b32 s0, 0xf800000
	v_mov_b32_e32 v2, 0x260
	s_movk_i32 s4, 0x7fff
	v_mov_b32_e32 v5, 0x7fc0
	v_add_u32_e32 v24, 0x80, v24
	s_waitcnt vmcnt(0)
	v_lshlrev_b32_e32 v1, 16, v1
	v_mul_f32_e32 v3, 0x4f800000, v1
	v_cmp_gt_f32_e32 vcc, s0, v1
	v_cmp_le_f32_e64 s[0:1], 0, v1
	s_nop 0
	v_cndmask_b32_e32 v3, v1, v3, vcc
	v_sqrt_f32_e32 v4, v3
	s_nop 0
	v_add_u32_e32 v1, -1, v4
	v_add_u32_e32 v6, 1, v4
	v_fma_f32 v7, -v1, v4, v3
	v_fma_f32 v8, -v6, v4, v3
	v_cmp_ge_f32_e64 s[2:3], 0, v7
	s_nop 1
	v_cndmask_b32_e64 v1, v4, v1, s[2:3]
	v_cmp_lt_f32_e64 s[2:3], 0, v8
	s_nop 1
	v_cndmask_b32_e64 v1, v1, v6, s[2:3]
	v_mul_f32_e32 v4, 0x37800000, v1
	v_cndmask_b32_e32 v1, v1, v4, vcc
	v_cmp_class_f32_e32 vcc, v3, v2
	s_nop 1
	v_cndmask_b32_e32 v1, v1, v3, vcc
	v_bfe_u32 v2, v1, 16, 1
	v_add3_u32 v1, v1, v2, s4
	s_mov_b64 vcc, s[0:1]
	v_cndmask_b32_sdwa v1, v5, v1, vcc dst_sel:DWORD dst_unused:UNUSED_PAD src0_sel:DWORD src1_sel:WORD_1
	global_store_short v0, v1, s[16:17]
	s_or_b64 exec, exec, s[48:49]
	v_cmp_gt_i32_e32 vcc, s55, v24
	s_and_saveexec_b64 s[48:49], vcc
	s_cbranch_execnz .LBB271_142
.LBB271_158:
	s_or_b64 exec, exec, s[48:49]
	v_cmp_gt_i32_e32 vcc, s55, v24
	s_and_saveexec_b64 s[48:49], vcc
	s_cbranch_execz .LBB271_175
.LBB271_159:
	s_andn2_b64 vcc, exec, s[36:37]
	s_cbranch_vccnz .LBB271_165
; %bb.160:
	s_andn2_b64 vcc, exec, s[46:47]
	s_cbranch_vccnz .LBB271_166
; %bb.161:
	s_add_i32 s58, s56, 1
	s_cmp_eq_u32 s54, 2
	s_cbranch_scc1 .LBB271_184
; %bb.162:
	s_and_b32 s57, s58, 28
	s_mov_b32 s59, 0
	v_mov_b32_e32 v0, 0
	v_mov_b32_e32 v2, 0
	s_mov_b64 s[50:51], s[34:35]
	s_mov_b64 s[52:53], s[44:45]
	v_mov_b32_e32 v4, v24
.LBB271_163:                            ; =>This Inner Loop Header: Depth=1
	s_load_dwordx8 s[8:15], s[50:51], 0x4
	s_load_dwordx4 s[28:31], s[50:51], 0x24
	s_load_dwordx8 s[0:7], s[52:53], 0x0
	s_add_u32 s50, s50, 48
	s_addc_u32 s51, s51, 0
	s_waitcnt lgkmcnt(0)
	v_mul_hi_u32 v1, s9, v4
	v_add_u32_e32 v1, v4, v1
	v_lshrrev_b32_e32 v1, s10, v1
	v_mul_lo_u32 v3, v1, s8
	v_mul_hi_u32 v5, s12, v1
	v_sub_u32_e32 v3, v4, v3
	v_add_u32_e32 v4, v1, v5
	v_lshrrev_b32_e32 v4, s13, v4
	v_mul_lo_u32 v6, v4, s11
	v_mul_hi_u32 v7, s15, v4
	v_sub_u32_e32 v1, v1, v6
	v_add_u32_e32 v6, v4, v7
	v_mul_lo_u32 v5, v3, s1
	v_mul_lo_u32 v3, v3, s0
	;; [unrolled: 1-line block ×4, first 2 shown]
	v_lshrrev_b32_e32 v6, s28, v6
	v_add3_u32 v0, v3, v0, v1
	v_mul_hi_u32 v3, s30, v6
	v_add3_u32 v1, v5, v2, v7
	v_mul_lo_u32 v2, v6, s14
	v_add_u32_e32 v3, v6, v3
	v_sub_u32_e32 v2, v4, v2
	v_lshrrev_b32_e32 v4, s31, v3
	s_add_i32 s59, s59, 4
	v_mul_lo_u32 v3, v4, s29
	s_add_u32 s52, s52, 32
	v_sub_u32_e32 v3, v6, v3
	s_addc_u32 s53, s53, 0
	v_mul_lo_u32 v5, v2, s4
	v_mul_lo_u32 v2, v2, s5
	;; [unrolled: 1-line block ×4, first 2 shown]
	s_cmp_eq_u32 s57, s59
	v_add3_u32 v2, v2, v1, v3
	v_add3_u32 v0, v5, v0, v6
	s_cbranch_scc0 .LBB271_163
; %bb.164:
	v_mov_b32_e32 v1, v2
	s_branch .LBB271_185
.LBB271_165:
                                        ; implicit-def: $vgpr2
                                        ; implicit-def: $vgpr0
	s_branch .LBB271_189
.LBB271_166:
	v_mov_b32_e32 v2, 0
	v_mov_b32_e32 v0, 0
	s_branch .LBB271_188
.LBB271_167:
	v_mov_b32_e32 v0, 0
	s_mov_b32 s57, 0
	v_mov_b32_e32 v1, v0
                                        ; implicit-def: $vgpr2
	v_mov_b32_e32 v4, v24
.LBB271_168:
	s_and_b32 s4, s58, 3
	s_cmp_eq_u32 s4, 0
	s_cbranch_scc1 .LBB271_171
; %bb.169:
	s_lshl_b32 s0, s57, 3
	s_add_u32 s0, s34, s0
	s_addc_u32 s1, s35, 0
	s_add_u32 s0, s0, 0xc4
	s_addc_u32 s1, s1, 0
	s_mul_i32 s2, s57, 12
	s_add_u32 s2, s34, s2
	s_addc_u32 s3, s35, 0
.LBB271_170:                            ; =>This Inner Loop Header: Depth=1
	s_load_dwordx2 s[6:7], s[2:3], 0x4
	s_load_dword s5, s[2:3], 0xc
	s_load_dwordx2 s[8:9], s[0:1], 0x0
	v_mov_b32_e32 v2, v1
	s_add_u32 s2, s2, 12
	s_waitcnt lgkmcnt(0)
	v_mul_hi_u32 v1, s7, v4
	v_add_u32_e32 v1, v4, v1
	v_lshrrev_b32_e32 v1, s5, v1
	s_addc_u32 s3, s3, 0
	v_mul_lo_u32 v3, v1, s6
	s_add_u32 s0, s0, 8
	v_sub_u32_e32 v5, v4, v3
	s_addc_u32 s1, s1, 0
	s_add_i32 s4, s4, -1
	v_mov_b32_e32 v4, v1
	v_mad_u64_u32 v[2:3], s[6:7], v5, s9, v[2:3]
	v_mad_u64_u32 v[0:1], s[6:7], v5, s8, v[0:1]
	s_cmp_lg_u32 s4, 0
	v_mov_b32_e32 v1, v2
	s_cbranch_scc1 .LBB271_170
.LBB271_171:
	s_cbranch_execnz .LBB271_174
.LBB271_172:
	s_waitcnt lgkmcnt(0)
	v_mul_hi_u32 v0, s25, v24
	v_add_u32_e32 v0, v24, v0
	v_lshrrev_b32_e32 v1, s26, v0
	v_mul_lo_u32 v0, v1, s24
	v_sub_u32_e32 v0, v24, v0
	v_mul_lo_u32 v2, v0, s21
	s_andn2_b64 vcc, exec, s[42:43]
	v_mul_lo_u32 v0, v0, s20
	s_cbranch_vccnz .LBB271_174
; %bb.173:
	v_mul_hi_u32 v3, s40, v1
	v_add_u32_e32 v3, v1, v3
	v_lshrrev_b32_e32 v3, s41, v3
	v_mul_lo_u32 v3, v3, s27
	v_sub_u32_e32 v3, v1, v3
	v_mad_u64_u32 v[0:1], s[0:1], v3, s22, v[0:1]
	v_mad_u64_u32 v[2:3], s[0:1], v3, s23, v[2:3]
.LBB271_174:
	s_waitcnt lgkmcnt(0)
	global_load_ushort v1, v2, s[18:19]
	s_mov_b32 s0, 0xf800000
	v_mov_b32_e32 v2, 0x260
	s_movk_i32 s4, 0x7fff
	v_mov_b32_e32 v5, 0x7fc0
	v_add_u32_e32 v24, 0x80, v24
	s_waitcnt vmcnt(0)
	v_lshlrev_b32_e32 v1, 16, v1
	v_mul_f32_e32 v3, 0x4f800000, v1
	v_cmp_gt_f32_e32 vcc, s0, v1
	v_cmp_le_f32_e64 s[0:1], 0, v1
	s_nop 0
	v_cndmask_b32_e32 v3, v1, v3, vcc
	v_sqrt_f32_e32 v4, v3
	s_nop 0
	v_add_u32_e32 v1, -1, v4
	v_add_u32_e32 v6, 1, v4
	v_fma_f32 v7, -v1, v4, v3
	v_fma_f32 v8, -v6, v4, v3
	v_cmp_ge_f32_e64 s[2:3], 0, v7
	s_nop 1
	v_cndmask_b32_e64 v1, v4, v1, s[2:3]
	v_cmp_lt_f32_e64 s[2:3], 0, v8
	s_nop 1
	v_cndmask_b32_e64 v1, v1, v6, s[2:3]
	v_mul_f32_e32 v4, 0x37800000, v1
	v_cndmask_b32_e32 v1, v1, v4, vcc
	v_cmp_class_f32_e32 vcc, v3, v2
	s_nop 1
	v_cndmask_b32_e32 v1, v1, v3, vcc
	v_bfe_u32 v2, v1, 16, 1
	v_add3_u32 v1, v1, v2, s4
	s_mov_b64 vcc, s[0:1]
	v_cndmask_b32_sdwa v1, v5, v1, vcc dst_sel:DWORD dst_unused:UNUSED_PAD src0_sel:DWORD src1_sel:WORD_1
	global_store_short v0, v1, s[16:17]
	s_or_b64 exec, exec, s[48:49]
	v_cmp_gt_i32_e32 vcc, s55, v24
	s_and_saveexec_b64 s[48:49], vcc
	s_cbranch_execnz .LBB271_159
.LBB271_175:
	s_or_b64 exec, exec, s[48:49]
	v_cmp_gt_i32_e32 vcc, s55, v24
	s_and_saveexec_b64 s[48:49], vcc
	s_cbranch_execz .LBB271_192
.LBB271_176:
	s_andn2_b64 vcc, exec, s[36:37]
	s_cbranch_vccnz .LBB271_182
; %bb.177:
	s_andn2_b64 vcc, exec, s[46:47]
	s_cbranch_vccnz .LBB271_183
; %bb.178:
	s_add_i32 s58, s56, 1
	s_cmp_eq_u32 s54, 2
	s_cbranch_scc1 .LBB271_201
; %bb.179:
	s_and_b32 s57, s58, 28
	s_mov_b32 s59, 0
	v_mov_b32_e32 v0, 0
	v_mov_b32_e32 v2, 0
	s_mov_b64 s[50:51], s[34:35]
	s_mov_b64 s[52:53], s[44:45]
	v_mov_b32_e32 v4, v24
.LBB271_180:                            ; =>This Inner Loop Header: Depth=1
	s_load_dwordx8 s[8:15], s[50:51], 0x4
	s_load_dwordx4 s[28:31], s[50:51], 0x24
	s_load_dwordx8 s[0:7], s[52:53], 0x0
	s_add_u32 s50, s50, 48
	s_addc_u32 s51, s51, 0
	s_waitcnt lgkmcnt(0)
	v_mul_hi_u32 v1, s9, v4
	v_add_u32_e32 v1, v4, v1
	v_lshrrev_b32_e32 v1, s10, v1
	v_mul_lo_u32 v3, v1, s8
	v_mul_hi_u32 v5, s12, v1
	v_sub_u32_e32 v3, v4, v3
	v_add_u32_e32 v4, v1, v5
	v_lshrrev_b32_e32 v4, s13, v4
	v_mul_lo_u32 v6, v4, s11
	v_mul_hi_u32 v7, s15, v4
	v_sub_u32_e32 v1, v1, v6
	v_add_u32_e32 v6, v4, v7
	v_mul_lo_u32 v5, v3, s1
	v_mul_lo_u32 v3, v3, s0
	;; [unrolled: 1-line block ×4, first 2 shown]
	v_lshrrev_b32_e32 v6, s28, v6
	v_add3_u32 v0, v3, v0, v1
	v_mul_hi_u32 v3, s30, v6
	v_add3_u32 v1, v5, v2, v7
	v_mul_lo_u32 v2, v6, s14
	v_add_u32_e32 v3, v6, v3
	v_sub_u32_e32 v2, v4, v2
	v_lshrrev_b32_e32 v4, s31, v3
	s_add_i32 s59, s59, 4
	v_mul_lo_u32 v3, v4, s29
	s_add_u32 s52, s52, 32
	v_sub_u32_e32 v3, v6, v3
	s_addc_u32 s53, s53, 0
	v_mul_lo_u32 v5, v2, s4
	v_mul_lo_u32 v2, v2, s5
	;; [unrolled: 1-line block ×4, first 2 shown]
	s_cmp_eq_u32 s57, s59
	v_add3_u32 v2, v2, v1, v3
	v_add3_u32 v0, v5, v0, v6
	s_cbranch_scc0 .LBB271_180
; %bb.181:
	v_mov_b32_e32 v1, v2
	s_branch .LBB271_202
.LBB271_182:
                                        ; implicit-def: $vgpr2
                                        ; implicit-def: $vgpr0
	s_branch .LBB271_206
.LBB271_183:
	v_mov_b32_e32 v2, 0
	v_mov_b32_e32 v0, 0
	s_branch .LBB271_205
.LBB271_184:
	v_mov_b32_e32 v0, 0
	s_mov_b32 s57, 0
	v_mov_b32_e32 v1, v0
                                        ; implicit-def: $vgpr2
	v_mov_b32_e32 v4, v24
.LBB271_185:
	s_and_b32 s4, s58, 3
	s_cmp_eq_u32 s4, 0
	s_cbranch_scc1 .LBB271_188
; %bb.186:
	s_lshl_b32 s0, s57, 3
	s_add_u32 s0, s34, s0
	s_addc_u32 s1, s35, 0
	s_add_u32 s0, s0, 0xc4
	s_addc_u32 s1, s1, 0
	s_mul_i32 s2, s57, 12
	s_add_u32 s2, s34, s2
	s_addc_u32 s3, s35, 0
.LBB271_187:                            ; =>This Inner Loop Header: Depth=1
	s_load_dwordx2 s[6:7], s[2:3], 0x4
	s_load_dword s5, s[2:3], 0xc
	s_load_dwordx2 s[8:9], s[0:1], 0x0
	v_mov_b32_e32 v2, v1
	s_add_u32 s2, s2, 12
	s_waitcnt lgkmcnt(0)
	v_mul_hi_u32 v1, s7, v4
	v_add_u32_e32 v1, v4, v1
	v_lshrrev_b32_e32 v1, s5, v1
	s_addc_u32 s3, s3, 0
	v_mul_lo_u32 v3, v1, s6
	s_add_u32 s0, s0, 8
	v_sub_u32_e32 v5, v4, v3
	s_addc_u32 s1, s1, 0
	s_add_i32 s4, s4, -1
	v_mov_b32_e32 v4, v1
	v_mad_u64_u32 v[2:3], s[6:7], v5, s9, v[2:3]
	v_mad_u64_u32 v[0:1], s[6:7], v5, s8, v[0:1]
	s_cmp_lg_u32 s4, 0
	v_mov_b32_e32 v1, v2
	s_cbranch_scc1 .LBB271_187
.LBB271_188:
	s_cbranch_execnz .LBB271_191
.LBB271_189:
	s_waitcnt lgkmcnt(0)
	v_mul_hi_u32 v0, s25, v24
	v_add_u32_e32 v0, v24, v0
	v_lshrrev_b32_e32 v1, s26, v0
	v_mul_lo_u32 v0, v1, s24
	v_sub_u32_e32 v0, v24, v0
	v_mul_lo_u32 v2, v0, s21
	s_andn2_b64 vcc, exec, s[42:43]
	v_mul_lo_u32 v0, v0, s20
	s_cbranch_vccnz .LBB271_191
; %bb.190:
	v_mul_hi_u32 v3, s40, v1
	v_add_u32_e32 v3, v1, v3
	v_lshrrev_b32_e32 v3, s41, v3
	v_mul_lo_u32 v3, v3, s27
	v_sub_u32_e32 v3, v1, v3
	v_mad_u64_u32 v[0:1], s[0:1], v3, s22, v[0:1]
	v_mad_u64_u32 v[2:3], s[0:1], v3, s23, v[2:3]
.LBB271_191:
	s_waitcnt lgkmcnt(0)
	global_load_ushort v1, v2, s[18:19]
	s_mov_b32 s0, 0xf800000
	v_mov_b32_e32 v2, 0x260
	s_movk_i32 s4, 0x7fff
	v_mov_b32_e32 v5, 0x7fc0
	v_add_u32_e32 v24, 0x80, v24
	s_waitcnt vmcnt(0)
	v_lshlrev_b32_e32 v1, 16, v1
	v_mul_f32_e32 v3, 0x4f800000, v1
	v_cmp_gt_f32_e32 vcc, s0, v1
	v_cmp_le_f32_e64 s[0:1], 0, v1
	s_nop 0
	v_cndmask_b32_e32 v3, v1, v3, vcc
	v_sqrt_f32_e32 v4, v3
	s_nop 0
	v_add_u32_e32 v1, -1, v4
	v_add_u32_e32 v6, 1, v4
	v_fma_f32 v7, -v1, v4, v3
	v_fma_f32 v8, -v6, v4, v3
	v_cmp_ge_f32_e64 s[2:3], 0, v7
	s_nop 1
	v_cndmask_b32_e64 v1, v4, v1, s[2:3]
	v_cmp_lt_f32_e64 s[2:3], 0, v8
	s_nop 1
	v_cndmask_b32_e64 v1, v1, v6, s[2:3]
	v_mul_f32_e32 v4, 0x37800000, v1
	v_cndmask_b32_e32 v1, v1, v4, vcc
	v_cmp_class_f32_e32 vcc, v3, v2
	s_nop 1
	v_cndmask_b32_e32 v1, v1, v3, vcc
	v_bfe_u32 v2, v1, 16, 1
	v_add3_u32 v1, v1, v2, s4
	s_mov_b64 vcc, s[0:1]
	v_cndmask_b32_sdwa v1, v5, v1, vcc dst_sel:DWORD dst_unused:UNUSED_PAD src0_sel:DWORD src1_sel:WORD_1
	global_store_short v0, v1, s[16:17]
	s_or_b64 exec, exec, s[48:49]
	v_cmp_gt_i32_e32 vcc, s55, v24
	s_and_saveexec_b64 s[48:49], vcc
	s_cbranch_execnz .LBB271_176
.LBB271_192:
	s_or_b64 exec, exec, s[48:49]
	v_cmp_gt_i32_e32 vcc, s55, v24
	s_and_saveexec_b64 s[48:49], vcc
	s_cbranch_execz .LBB271_209
.LBB271_193:
	s_andn2_b64 vcc, exec, s[36:37]
	s_cbranch_vccnz .LBB271_199
; %bb.194:
	s_andn2_b64 vcc, exec, s[46:47]
	s_cbranch_vccnz .LBB271_200
; %bb.195:
	s_add_i32 s58, s56, 1
	s_cmp_eq_u32 s54, 2
	s_cbranch_scc1 .LBB271_218
; %bb.196:
	s_and_b32 s57, s58, 28
	s_mov_b32 s59, 0
	v_mov_b32_e32 v0, 0
	v_mov_b32_e32 v2, 0
	s_mov_b64 s[50:51], s[34:35]
	s_mov_b64 s[52:53], s[44:45]
	v_mov_b32_e32 v4, v24
.LBB271_197:                            ; =>This Inner Loop Header: Depth=1
	s_load_dwordx8 s[8:15], s[50:51], 0x4
	s_load_dwordx4 s[28:31], s[50:51], 0x24
	s_load_dwordx8 s[0:7], s[52:53], 0x0
	s_add_u32 s50, s50, 48
	s_addc_u32 s51, s51, 0
	s_waitcnt lgkmcnt(0)
	v_mul_hi_u32 v1, s9, v4
	v_add_u32_e32 v1, v4, v1
	v_lshrrev_b32_e32 v1, s10, v1
	v_mul_lo_u32 v3, v1, s8
	v_mul_hi_u32 v5, s12, v1
	v_sub_u32_e32 v3, v4, v3
	v_add_u32_e32 v4, v1, v5
	v_lshrrev_b32_e32 v4, s13, v4
	v_mul_lo_u32 v6, v4, s11
	v_mul_hi_u32 v7, s15, v4
	v_sub_u32_e32 v1, v1, v6
	v_add_u32_e32 v6, v4, v7
	v_mul_lo_u32 v5, v3, s1
	v_mul_lo_u32 v3, v3, s0
	;; [unrolled: 1-line block ×4, first 2 shown]
	v_lshrrev_b32_e32 v6, s28, v6
	v_add3_u32 v0, v3, v0, v1
	v_mul_hi_u32 v3, s30, v6
	v_add3_u32 v1, v5, v2, v7
	v_mul_lo_u32 v2, v6, s14
	v_add_u32_e32 v3, v6, v3
	v_sub_u32_e32 v2, v4, v2
	v_lshrrev_b32_e32 v4, s31, v3
	s_add_i32 s59, s59, 4
	v_mul_lo_u32 v3, v4, s29
	s_add_u32 s52, s52, 32
	v_sub_u32_e32 v3, v6, v3
	s_addc_u32 s53, s53, 0
	v_mul_lo_u32 v5, v2, s4
	v_mul_lo_u32 v2, v2, s5
	;; [unrolled: 1-line block ×4, first 2 shown]
	s_cmp_eq_u32 s57, s59
	v_add3_u32 v2, v2, v1, v3
	v_add3_u32 v0, v5, v0, v6
	s_cbranch_scc0 .LBB271_197
; %bb.198:
	v_mov_b32_e32 v1, v2
	s_branch .LBB271_219
.LBB271_199:
                                        ; implicit-def: $vgpr2
                                        ; implicit-def: $vgpr0
	s_branch .LBB271_223
.LBB271_200:
	v_mov_b32_e32 v2, 0
	v_mov_b32_e32 v0, 0
	s_branch .LBB271_222
.LBB271_201:
	v_mov_b32_e32 v0, 0
	s_mov_b32 s57, 0
	v_mov_b32_e32 v1, v0
                                        ; implicit-def: $vgpr2
	v_mov_b32_e32 v4, v24
.LBB271_202:
	s_and_b32 s4, s58, 3
	s_cmp_eq_u32 s4, 0
	s_cbranch_scc1 .LBB271_205
; %bb.203:
	s_lshl_b32 s0, s57, 3
	s_add_u32 s0, s34, s0
	s_addc_u32 s1, s35, 0
	s_add_u32 s0, s0, 0xc4
	s_addc_u32 s1, s1, 0
	s_mul_i32 s2, s57, 12
	s_add_u32 s2, s34, s2
	s_addc_u32 s3, s35, 0
.LBB271_204:                            ; =>This Inner Loop Header: Depth=1
	s_load_dwordx2 s[6:7], s[2:3], 0x4
	s_load_dword s5, s[2:3], 0xc
	s_load_dwordx2 s[8:9], s[0:1], 0x0
	v_mov_b32_e32 v2, v1
	s_add_u32 s2, s2, 12
	s_waitcnt lgkmcnt(0)
	v_mul_hi_u32 v1, s7, v4
	v_add_u32_e32 v1, v4, v1
	v_lshrrev_b32_e32 v1, s5, v1
	s_addc_u32 s3, s3, 0
	v_mul_lo_u32 v3, v1, s6
	s_add_u32 s0, s0, 8
	v_sub_u32_e32 v5, v4, v3
	s_addc_u32 s1, s1, 0
	s_add_i32 s4, s4, -1
	v_mov_b32_e32 v4, v1
	v_mad_u64_u32 v[2:3], s[6:7], v5, s9, v[2:3]
	v_mad_u64_u32 v[0:1], s[6:7], v5, s8, v[0:1]
	s_cmp_lg_u32 s4, 0
	v_mov_b32_e32 v1, v2
	s_cbranch_scc1 .LBB271_204
.LBB271_205:
	s_cbranch_execnz .LBB271_208
.LBB271_206:
	s_waitcnt lgkmcnt(0)
	v_mul_hi_u32 v0, s25, v24
	v_add_u32_e32 v0, v24, v0
	v_lshrrev_b32_e32 v1, s26, v0
	v_mul_lo_u32 v0, v1, s24
	v_sub_u32_e32 v0, v24, v0
	v_mul_lo_u32 v2, v0, s21
	s_andn2_b64 vcc, exec, s[42:43]
	v_mul_lo_u32 v0, v0, s20
	s_cbranch_vccnz .LBB271_208
; %bb.207:
	v_mul_hi_u32 v3, s40, v1
	v_add_u32_e32 v3, v1, v3
	v_lshrrev_b32_e32 v3, s41, v3
	v_mul_lo_u32 v3, v3, s27
	v_sub_u32_e32 v3, v1, v3
	v_mad_u64_u32 v[0:1], s[0:1], v3, s22, v[0:1]
	v_mad_u64_u32 v[2:3], s[0:1], v3, s23, v[2:3]
.LBB271_208:
	s_waitcnt lgkmcnt(0)
	global_load_ushort v1, v2, s[18:19]
	s_mov_b32 s0, 0xf800000
	v_mov_b32_e32 v2, 0x260
	s_movk_i32 s4, 0x7fff
	v_mov_b32_e32 v5, 0x7fc0
	v_add_u32_e32 v24, 0x80, v24
	s_waitcnt vmcnt(0)
	v_lshlrev_b32_e32 v1, 16, v1
	v_mul_f32_e32 v3, 0x4f800000, v1
	v_cmp_gt_f32_e32 vcc, s0, v1
	v_cmp_le_f32_e64 s[0:1], 0, v1
	s_nop 0
	v_cndmask_b32_e32 v3, v1, v3, vcc
	v_sqrt_f32_e32 v4, v3
	s_nop 0
	v_add_u32_e32 v1, -1, v4
	v_add_u32_e32 v6, 1, v4
	v_fma_f32 v7, -v1, v4, v3
	v_fma_f32 v8, -v6, v4, v3
	v_cmp_ge_f32_e64 s[2:3], 0, v7
	s_nop 1
	v_cndmask_b32_e64 v1, v4, v1, s[2:3]
	v_cmp_lt_f32_e64 s[2:3], 0, v8
	s_nop 1
	v_cndmask_b32_e64 v1, v1, v6, s[2:3]
	v_mul_f32_e32 v4, 0x37800000, v1
	v_cndmask_b32_e32 v1, v1, v4, vcc
	v_cmp_class_f32_e32 vcc, v3, v2
	s_nop 1
	v_cndmask_b32_e32 v1, v1, v3, vcc
	v_bfe_u32 v2, v1, 16, 1
	v_add3_u32 v1, v1, v2, s4
	s_mov_b64 vcc, s[0:1]
	v_cndmask_b32_sdwa v1, v5, v1, vcc dst_sel:DWORD dst_unused:UNUSED_PAD src0_sel:DWORD src1_sel:WORD_1
	global_store_short v0, v1, s[16:17]
	s_or_b64 exec, exec, s[48:49]
	v_cmp_gt_i32_e32 vcc, s55, v24
	s_and_saveexec_b64 s[48:49], vcc
	s_cbranch_execnz .LBB271_193
.LBB271_209:
	s_or_b64 exec, exec, s[48:49]
	v_cmp_gt_i32_e32 vcc, s55, v24
	s_and_saveexec_b64 s[48:49], vcc
	s_cbranch_execz .LBB271_226
.LBB271_210:
	s_andn2_b64 vcc, exec, s[36:37]
	s_cbranch_vccnz .LBB271_216
; %bb.211:
	s_andn2_b64 vcc, exec, s[46:47]
	s_cbranch_vccnz .LBB271_217
; %bb.212:
	s_add_i32 s58, s56, 1
	s_cmp_eq_u32 s54, 2
	s_cbranch_scc1 .LBB271_229
; %bb.213:
	s_and_b32 s57, s58, 28
	s_mov_b32 s59, 0
	v_mov_b32_e32 v0, 0
	v_mov_b32_e32 v2, 0
	s_mov_b64 s[50:51], s[34:35]
	s_mov_b64 s[52:53], s[44:45]
	v_mov_b32_e32 v4, v24
.LBB271_214:                            ; =>This Inner Loop Header: Depth=1
	s_load_dwordx8 s[8:15], s[50:51], 0x4
	s_load_dwordx4 s[28:31], s[50:51], 0x24
	s_load_dwordx8 s[0:7], s[52:53], 0x0
	s_add_u32 s50, s50, 48
	s_addc_u32 s51, s51, 0
	s_waitcnt lgkmcnt(0)
	v_mul_hi_u32 v1, s9, v4
	v_add_u32_e32 v1, v4, v1
	v_lshrrev_b32_e32 v1, s10, v1
	v_mul_lo_u32 v3, v1, s8
	v_mul_hi_u32 v5, s12, v1
	v_sub_u32_e32 v3, v4, v3
	v_add_u32_e32 v4, v1, v5
	v_lshrrev_b32_e32 v4, s13, v4
	v_mul_lo_u32 v6, v4, s11
	v_mul_hi_u32 v7, s15, v4
	v_sub_u32_e32 v1, v1, v6
	v_add_u32_e32 v6, v4, v7
	v_mul_lo_u32 v5, v3, s1
	v_mul_lo_u32 v3, v3, s0
	;; [unrolled: 1-line block ×4, first 2 shown]
	v_lshrrev_b32_e32 v6, s28, v6
	v_add3_u32 v0, v3, v0, v1
	v_mul_hi_u32 v3, s30, v6
	v_add3_u32 v1, v5, v2, v7
	v_mul_lo_u32 v2, v6, s14
	v_add_u32_e32 v3, v6, v3
	v_sub_u32_e32 v2, v4, v2
	v_lshrrev_b32_e32 v4, s31, v3
	s_add_i32 s59, s59, 4
	v_mul_lo_u32 v3, v4, s29
	s_add_u32 s52, s52, 32
	v_sub_u32_e32 v3, v6, v3
	s_addc_u32 s53, s53, 0
	v_mul_lo_u32 v5, v2, s4
	v_mul_lo_u32 v2, v2, s5
	;; [unrolled: 1-line block ×4, first 2 shown]
	s_cmp_eq_u32 s57, s59
	v_add3_u32 v2, v2, v1, v3
	v_add3_u32 v0, v5, v0, v6
	s_cbranch_scc0 .LBB271_214
; %bb.215:
	v_mov_b32_e32 v1, v2
	s_branch .LBB271_230
.LBB271_216:
                                        ; implicit-def: $vgpr2
                                        ; implicit-def: $vgpr0
	s_branch .LBB271_234
.LBB271_217:
	v_mov_b32_e32 v2, 0
	v_mov_b32_e32 v0, 0
	s_branch .LBB271_233
.LBB271_218:
	v_mov_b32_e32 v0, 0
	s_mov_b32 s57, 0
	v_mov_b32_e32 v1, v0
                                        ; implicit-def: $vgpr2
	v_mov_b32_e32 v4, v24
.LBB271_219:
	s_and_b32 s4, s58, 3
	s_cmp_eq_u32 s4, 0
	s_cbranch_scc1 .LBB271_222
; %bb.220:
	s_lshl_b32 s0, s57, 3
	s_add_u32 s0, s34, s0
	s_addc_u32 s1, s35, 0
	s_add_u32 s0, s0, 0xc4
	s_addc_u32 s1, s1, 0
	s_mul_i32 s2, s57, 12
	s_add_u32 s2, s34, s2
	s_addc_u32 s3, s35, 0
.LBB271_221:                            ; =>This Inner Loop Header: Depth=1
	s_load_dwordx2 s[6:7], s[2:3], 0x4
	s_load_dword s5, s[2:3], 0xc
	s_load_dwordx2 s[8:9], s[0:1], 0x0
	v_mov_b32_e32 v2, v1
	s_add_u32 s2, s2, 12
	s_waitcnt lgkmcnt(0)
	v_mul_hi_u32 v1, s7, v4
	v_add_u32_e32 v1, v4, v1
	v_lshrrev_b32_e32 v1, s5, v1
	s_addc_u32 s3, s3, 0
	v_mul_lo_u32 v3, v1, s6
	s_add_u32 s0, s0, 8
	v_sub_u32_e32 v5, v4, v3
	s_addc_u32 s1, s1, 0
	s_add_i32 s4, s4, -1
	v_mov_b32_e32 v4, v1
	v_mad_u64_u32 v[2:3], s[6:7], v5, s9, v[2:3]
	v_mad_u64_u32 v[0:1], s[6:7], v5, s8, v[0:1]
	s_cmp_lg_u32 s4, 0
	v_mov_b32_e32 v1, v2
	s_cbranch_scc1 .LBB271_221
.LBB271_222:
	s_cbranch_execnz .LBB271_225
.LBB271_223:
	s_waitcnt lgkmcnt(0)
	v_mul_hi_u32 v0, s25, v24
	v_add_u32_e32 v0, v24, v0
	v_lshrrev_b32_e32 v1, s26, v0
	v_mul_lo_u32 v0, v1, s24
	v_sub_u32_e32 v0, v24, v0
	v_mul_lo_u32 v2, v0, s21
	s_andn2_b64 vcc, exec, s[42:43]
	v_mul_lo_u32 v0, v0, s20
	s_cbranch_vccnz .LBB271_225
; %bb.224:
	v_mul_hi_u32 v3, s40, v1
	v_add_u32_e32 v3, v1, v3
	v_lshrrev_b32_e32 v3, s41, v3
	v_mul_lo_u32 v3, v3, s27
	v_sub_u32_e32 v3, v1, v3
	v_mad_u64_u32 v[0:1], s[0:1], v3, s22, v[0:1]
	v_mad_u64_u32 v[2:3], s[0:1], v3, s23, v[2:3]
.LBB271_225:
	s_waitcnt lgkmcnt(0)
	global_load_ushort v1, v2, s[18:19]
	s_mov_b32 s0, 0xf800000
	v_mov_b32_e32 v2, 0x260
	s_movk_i32 s4, 0x7fff
	v_mov_b32_e32 v5, 0x7fc0
	v_add_u32_e32 v24, 0x80, v24
	s_waitcnt vmcnt(0)
	v_lshlrev_b32_e32 v1, 16, v1
	v_mul_f32_e32 v3, 0x4f800000, v1
	v_cmp_gt_f32_e32 vcc, s0, v1
	v_cmp_le_f32_e64 s[0:1], 0, v1
	s_nop 0
	v_cndmask_b32_e32 v3, v1, v3, vcc
	v_sqrt_f32_e32 v4, v3
	s_nop 0
	v_add_u32_e32 v1, -1, v4
	v_add_u32_e32 v6, 1, v4
	v_fma_f32 v7, -v1, v4, v3
	v_fma_f32 v8, -v6, v4, v3
	v_cmp_ge_f32_e64 s[2:3], 0, v7
	s_nop 1
	v_cndmask_b32_e64 v1, v4, v1, s[2:3]
	v_cmp_lt_f32_e64 s[2:3], 0, v8
	s_nop 1
	v_cndmask_b32_e64 v1, v1, v6, s[2:3]
	v_mul_f32_e32 v4, 0x37800000, v1
	v_cndmask_b32_e32 v1, v1, v4, vcc
	v_cmp_class_f32_e32 vcc, v3, v2
	s_nop 1
	v_cndmask_b32_e32 v1, v1, v3, vcc
	v_bfe_u32 v2, v1, 16, 1
	v_add3_u32 v1, v1, v2, s4
	s_mov_b64 vcc, s[0:1]
	v_cndmask_b32_sdwa v1, v5, v1, vcc dst_sel:DWORD dst_unused:UNUSED_PAD src0_sel:DWORD src1_sel:WORD_1
	global_store_short v0, v1, s[16:17]
	s_or_b64 exec, exec, s[48:49]
	v_cmp_gt_i32_e32 vcc, s55, v24
	s_and_saveexec_b64 s[48:49], vcc
	s_cbranch_execnz .LBB271_210
.LBB271_226:
	s_or_b64 exec, exec, s[48:49]
	v_cmp_gt_i32_e32 vcc, s55, v24
	s_and_saveexec_b64 s[48:49], vcc
	s_cbranch_execnz .LBB271_237
.LBB271_227:
	s_or_b64 exec, exec, s[48:49]
                                        ; implicit-def: $vgpr32
                                        ; implicit-def: $vgpr24
	s_andn2_saveexec_b64 s[0:1], s[38:39]
	s_cbranch_execnz .LBB271_9
.LBB271_228:
	s_endpgm
.LBB271_229:
	v_mov_b32_e32 v0, 0
	s_mov_b32 s57, 0
	v_mov_b32_e32 v1, v0
                                        ; implicit-def: $vgpr2
	v_mov_b32_e32 v4, v24
.LBB271_230:
	s_and_b32 s4, s58, 3
	s_cmp_eq_u32 s4, 0
	s_cbranch_scc1 .LBB271_233
; %bb.231:
	s_lshl_b32 s0, s57, 3
	s_add_u32 s0, s34, s0
	s_addc_u32 s1, s35, 0
	s_add_u32 s0, s0, 0xc4
	s_addc_u32 s1, s1, 0
	s_mul_i32 s2, s57, 12
	s_add_u32 s2, s34, s2
	s_addc_u32 s3, s35, 0
.LBB271_232:                            ; =>This Inner Loop Header: Depth=1
	s_load_dwordx2 s[6:7], s[2:3], 0x4
	s_load_dword s5, s[2:3], 0xc
	s_load_dwordx2 s[8:9], s[0:1], 0x0
	v_mov_b32_e32 v2, v1
	s_add_u32 s2, s2, 12
	s_waitcnt lgkmcnt(0)
	v_mul_hi_u32 v1, s7, v4
	v_add_u32_e32 v1, v4, v1
	v_lshrrev_b32_e32 v1, s5, v1
	s_addc_u32 s3, s3, 0
	v_mul_lo_u32 v3, v1, s6
	s_add_u32 s0, s0, 8
	v_sub_u32_e32 v5, v4, v3
	s_addc_u32 s1, s1, 0
	s_add_i32 s4, s4, -1
	v_mov_b32_e32 v4, v1
	v_mad_u64_u32 v[2:3], s[6:7], v5, s9, v[2:3]
	v_mad_u64_u32 v[0:1], s[6:7], v5, s8, v[0:1]
	s_cmp_lg_u32 s4, 0
	v_mov_b32_e32 v1, v2
	s_cbranch_scc1 .LBB271_232
.LBB271_233:
	s_cbranch_execnz .LBB271_236
.LBB271_234:
	s_waitcnt lgkmcnt(0)
	v_mul_hi_u32 v0, s25, v24
	v_add_u32_e32 v0, v24, v0
	v_lshrrev_b32_e32 v1, s26, v0
	v_mul_lo_u32 v0, v1, s24
	v_sub_u32_e32 v0, v24, v0
	v_mul_lo_u32 v2, v0, s21
	s_andn2_b64 vcc, exec, s[42:43]
	v_mul_lo_u32 v0, v0, s20
	s_cbranch_vccnz .LBB271_236
; %bb.235:
	v_mul_hi_u32 v3, s40, v1
	v_add_u32_e32 v3, v1, v3
	v_lshrrev_b32_e32 v3, s41, v3
	v_mul_lo_u32 v3, v3, s27
	v_sub_u32_e32 v3, v1, v3
	v_mad_u64_u32 v[0:1], s[0:1], v3, s22, v[0:1]
	v_mad_u64_u32 v[2:3], s[0:1], v3, s23, v[2:3]
.LBB271_236:
	s_waitcnt lgkmcnt(0)
	global_load_ushort v1, v2, s[18:19]
	s_mov_b32 s0, 0xf800000
	v_mov_b32_e32 v2, 0x260
	s_movk_i32 s4, 0x7fff
	v_mov_b32_e32 v5, 0x7fc0
	v_add_u32_e32 v24, 0x80, v24
	s_waitcnt vmcnt(0)
	v_lshlrev_b32_e32 v1, 16, v1
	v_mul_f32_e32 v3, 0x4f800000, v1
	v_cmp_gt_f32_e32 vcc, s0, v1
	v_cmp_le_f32_e64 s[0:1], 0, v1
	s_nop 0
	v_cndmask_b32_e32 v3, v1, v3, vcc
	v_sqrt_f32_e32 v4, v3
	s_nop 0
	v_add_u32_e32 v1, -1, v4
	v_add_u32_e32 v6, 1, v4
	v_fma_f32 v7, -v1, v4, v3
	v_fma_f32 v8, -v6, v4, v3
	v_cmp_ge_f32_e64 s[2:3], 0, v7
	s_nop 1
	v_cndmask_b32_e64 v1, v4, v1, s[2:3]
	v_cmp_lt_f32_e64 s[2:3], 0, v8
	s_nop 1
	v_cndmask_b32_e64 v1, v1, v6, s[2:3]
	v_mul_f32_e32 v4, 0x37800000, v1
	v_cndmask_b32_e32 v1, v1, v4, vcc
	v_cmp_class_f32_e32 vcc, v3, v2
	s_nop 1
	v_cndmask_b32_e32 v1, v1, v3, vcc
	v_bfe_u32 v2, v1, 16, 1
	v_add3_u32 v1, v1, v2, s4
	s_mov_b64 vcc, s[0:1]
	v_cndmask_b32_sdwa v1, v5, v1, vcc dst_sel:DWORD dst_unused:UNUSED_PAD src0_sel:DWORD src1_sel:WORD_1
	global_store_short v0, v1, s[16:17]
	s_or_b64 exec, exec, s[48:49]
	v_cmp_gt_i32_e32 vcc, s55, v24
	s_and_saveexec_b64 s[48:49], vcc
	s_cbranch_execz .LBB271_227
.LBB271_237:
	s_andn2_b64 vcc, exec, s[36:37]
	s_cbranch_vccnz .LBB271_243
; %bb.238:
	s_andn2_b64 vcc, exec, s[46:47]
	s_cbranch_vccnz .LBB271_244
; %bb.239:
	s_add_i32 s56, s56, 1
	s_cmp_eq_u32 s54, 2
	s_cbranch_scc1 .LBB271_245
; %bb.240:
	s_and_b32 s50, s56, 28
	s_mov_b32 s51, 0
	v_mov_b32_e32 v0, 0
	v_mov_b32_e32 v2, 0
	s_mov_b64 s[46:47], s[34:35]
	v_mov_b32_e32 v4, v24
.LBB271_241:                            ; =>This Inner Loop Header: Depth=1
	s_load_dwordx8 s[8:15], s[46:47], 0x4
	s_load_dwordx4 s[28:31], s[46:47], 0x24
	s_load_dwordx8 s[0:7], s[44:45], 0x0
	s_add_u32 s46, s46, 48
	s_addc_u32 s47, s47, 0
	s_waitcnt lgkmcnt(0)
	v_mul_hi_u32 v1, s9, v4
	v_add_u32_e32 v1, v4, v1
	v_lshrrev_b32_e32 v1, s10, v1
	v_mul_lo_u32 v3, v1, s8
	v_mul_hi_u32 v5, s12, v1
	v_sub_u32_e32 v3, v4, v3
	v_add_u32_e32 v4, v1, v5
	v_lshrrev_b32_e32 v4, s13, v4
	v_mul_lo_u32 v6, v4, s11
	v_mul_hi_u32 v7, s15, v4
	v_sub_u32_e32 v1, v1, v6
	v_add_u32_e32 v6, v4, v7
	v_mul_lo_u32 v5, v3, s1
	v_mul_lo_u32 v3, v3, s0
	;; [unrolled: 1-line block ×4, first 2 shown]
	v_lshrrev_b32_e32 v6, s28, v6
	v_add3_u32 v0, v3, v0, v1
	v_mul_hi_u32 v3, s30, v6
	v_add3_u32 v1, v5, v2, v7
	v_mul_lo_u32 v2, v6, s14
	v_add_u32_e32 v3, v6, v3
	v_sub_u32_e32 v2, v4, v2
	v_lshrrev_b32_e32 v4, s31, v3
	s_add_i32 s51, s51, 4
	v_mul_lo_u32 v3, v4, s29
	s_add_u32 s44, s44, 32
	v_sub_u32_e32 v3, v6, v3
	s_addc_u32 s45, s45, 0
	v_mul_lo_u32 v5, v2, s4
	v_mul_lo_u32 v2, v2, s5
	;; [unrolled: 1-line block ×4, first 2 shown]
	s_cmp_eq_u32 s50, s51
	v_add3_u32 v2, v2, v1, v3
	v_add3_u32 v0, v5, v0, v6
	s_cbranch_scc0 .LBB271_241
; %bb.242:
	v_mov_b32_e32 v1, v2
	s_branch .LBB271_246
.LBB271_243:
                                        ; implicit-def: $vgpr2
                                        ; implicit-def: $vgpr0
	s_branch .LBB271_250
.LBB271_244:
	v_mov_b32_e32 v2, 0
	v_mov_b32_e32 v0, 0
	s_branch .LBB271_249
.LBB271_245:
	v_mov_b32_e32 v0, 0
	s_mov_b32 s50, 0
	v_mov_b32_e32 v1, v0
                                        ; implicit-def: $vgpr2
	v_mov_b32_e32 v4, v24
.LBB271_246:
	s_and_b32 s4, s56, 3
	s_cmp_eq_u32 s4, 0
	s_cbranch_scc1 .LBB271_249
; %bb.247:
	s_lshl_b32 s0, s50, 3
	s_add_u32 s0, s34, s0
	s_addc_u32 s1, s35, 0
	s_add_u32 s0, s0, 0xc4
	s_addc_u32 s1, s1, 0
	s_mul_i32 s2, s50, 12
	s_add_u32 s2, s34, s2
	s_addc_u32 s3, s35, 0
.LBB271_248:                            ; =>This Inner Loop Header: Depth=1
	s_load_dwordx2 s[6:7], s[2:3], 0x4
	s_load_dword s5, s[2:3], 0xc
	s_load_dwordx2 s[8:9], s[0:1], 0x0
	v_mov_b32_e32 v2, v1
	s_add_u32 s2, s2, 12
	s_waitcnt lgkmcnt(0)
	v_mul_hi_u32 v1, s7, v4
	v_add_u32_e32 v1, v4, v1
	v_lshrrev_b32_e32 v1, s5, v1
	s_addc_u32 s3, s3, 0
	v_mul_lo_u32 v3, v1, s6
	s_add_u32 s0, s0, 8
	v_sub_u32_e32 v5, v4, v3
	s_addc_u32 s1, s1, 0
	s_add_i32 s4, s4, -1
	v_mov_b32_e32 v4, v1
	v_mad_u64_u32 v[2:3], s[6:7], v5, s9, v[2:3]
	v_mad_u64_u32 v[0:1], s[6:7], v5, s8, v[0:1]
	s_cmp_lg_u32 s4, 0
	v_mov_b32_e32 v1, v2
	s_cbranch_scc1 .LBB271_248
.LBB271_249:
	s_cbranch_execnz .LBB271_252
.LBB271_250:
	s_waitcnt lgkmcnt(0)
	v_mul_hi_u32 v0, s25, v24
	v_add_u32_e32 v0, v24, v0
	v_lshrrev_b32_e32 v1, s26, v0
	v_mul_lo_u32 v0, v1, s24
	v_sub_u32_e32 v0, v24, v0
	v_mul_lo_u32 v2, v0, s21
	s_andn2_b64 vcc, exec, s[42:43]
	v_mul_lo_u32 v0, v0, s20
	s_cbranch_vccnz .LBB271_252
; %bb.251:
	v_mul_hi_u32 v3, s40, v1
	v_add_u32_e32 v3, v1, v3
	v_lshrrev_b32_e32 v3, s41, v3
	v_mul_lo_u32 v3, v3, s27
	v_sub_u32_e32 v3, v1, v3
	v_mad_u64_u32 v[0:1], s[0:1], v3, s22, v[0:1]
	v_mad_u64_u32 v[2:3], s[0:1], v3, s23, v[2:3]
.LBB271_252:
	s_waitcnt lgkmcnt(0)
	global_load_ushort v1, v2, s[18:19]
	s_mov_b32 s0, 0xf800000
	v_mov_b32_e32 v2, 0x260
	s_movk_i32 s4, 0x7fff
	v_mov_b32_e32 v5, 0x7fc0
	s_waitcnt vmcnt(0)
	v_lshlrev_b32_e32 v1, 16, v1
	v_mul_f32_e32 v3, 0x4f800000, v1
	v_cmp_gt_f32_e32 vcc, s0, v1
	v_cmp_le_f32_e64 s[0:1], 0, v1
	s_nop 0
	v_cndmask_b32_e32 v3, v1, v3, vcc
	v_sqrt_f32_e32 v4, v3
	s_nop 0
	v_add_u32_e32 v1, -1, v4
	v_add_u32_e32 v6, 1, v4
	v_fma_f32 v7, -v1, v4, v3
	v_fma_f32 v8, -v6, v4, v3
	v_cmp_ge_f32_e64 s[2:3], 0, v7
	s_nop 1
	v_cndmask_b32_e64 v1, v4, v1, s[2:3]
	v_cmp_lt_f32_e64 s[2:3], 0, v8
	s_nop 1
	v_cndmask_b32_e64 v1, v1, v6, s[2:3]
	v_mul_f32_e32 v4, 0x37800000, v1
	v_cndmask_b32_e32 v1, v1, v4, vcc
	v_cmp_class_f32_e32 vcc, v3, v2
	s_nop 1
	v_cndmask_b32_e32 v1, v1, v3, vcc
	v_bfe_u32 v2, v1, 16, 1
	v_add3_u32 v1, v1, v2, s4
	s_mov_b64 vcc, s[0:1]
	v_cndmask_b32_sdwa v1, v5, v1, vcc dst_sel:DWORD dst_unused:UNUSED_PAD src0_sel:DWORD src1_sel:WORD_1
	global_store_short v0, v1, s[16:17]
	s_or_b64 exec, exec, s[48:49]
                                        ; implicit-def: $vgpr32
                                        ; implicit-def: $vgpr24
	s_andn2_saveexec_b64 s[0:1], s[38:39]
	s_cbranch_execz .LBB271_228
	s_branch .LBB271_9
	.section	.rodata,"a",@progbits
	.p2align	6, 0x0
	.amdhsa_kernel _ZN2at6native32elementwise_kernel_manual_unrollILi128ELi8EZNS0_22gpu_kernel_impl_nocastIZZZNS0_16sqrt_kernel_cudaERNS_18TensorIteratorBaseEENKUlvE0_clEvENKUlvE2_clEvEUlN3c108BFloat16EE_EEvS4_RKT_EUlibE_EEviT1_
		.amdhsa_group_segment_fixed_size 0
		.amdhsa_private_segment_fixed_size 0
		.amdhsa_kernarg_size 360
		.amdhsa_user_sgpr_count 2
		.amdhsa_user_sgpr_dispatch_ptr 0
		.amdhsa_user_sgpr_queue_ptr 0
		.amdhsa_user_sgpr_kernarg_segment_ptr 1
		.amdhsa_user_sgpr_dispatch_id 0
		.amdhsa_user_sgpr_kernarg_preload_length 0
		.amdhsa_user_sgpr_kernarg_preload_offset 0
		.amdhsa_user_sgpr_private_segment_size 0
		.amdhsa_uses_dynamic_stack 0
		.amdhsa_enable_private_segment 0
		.amdhsa_system_sgpr_workgroup_id_x 1
		.amdhsa_system_sgpr_workgroup_id_y 0
		.amdhsa_system_sgpr_workgroup_id_z 0
		.amdhsa_system_sgpr_workgroup_info 0
		.amdhsa_system_vgpr_workitem_id 0
		.amdhsa_next_free_vgpr 44
		.amdhsa_next_free_sgpr 60
		.amdhsa_accum_offset 44
		.amdhsa_reserve_vcc 1
		.amdhsa_float_round_mode_32 0
		.amdhsa_float_round_mode_16_64 0
		.amdhsa_float_denorm_mode_32 3
		.amdhsa_float_denorm_mode_16_64 3
		.amdhsa_dx10_clamp 1
		.amdhsa_ieee_mode 1
		.amdhsa_fp16_overflow 0
		.amdhsa_tg_split 0
		.amdhsa_exception_fp_ieee_invalid_op 0
		.amdhsa_exception_fp_denorm_src 0
		.amdhsa_exception_fp_ieee_div_zero 0
		.amdhsa_exception_fp_ieee_overflow 0
		.amdhsa_exception_fp_ieee_underflow 0
		.amdhsa_exception_fp_ieee_inexact 0
		.amdhsa_exception_int_div_zero 0
	.end_amdhsa_kernel
	.section	.text._ZN2at6native32elementwise_kernel_manual_unrollILi128ELi8EZNS0_22gpu_kernel_impl_nocastIZZZNS0_16sqrt_kernel_cudaERNS_18TensorIteratorBaseEENKUlvE0_clEvENKUlvE2_clEvEUlN3c108BFloat16EE_EEvS4_RKT_EUlibE_EEviT1_,"axG",@progbits,_ZN2at6native32elementwise_kernel_manual_unrollILi128ELi8EZNS0_22gpu_kernel_impl_nocastIZZZNS0_16sqrt_kernel_cudaERNS_18TensorIteratorBaseEENKUlvE0_clEvENKUlvE2_clEvEUlN3c108BFloat16EE_EEvS4_RKT_EUlibE_EEviT1_,comdat
.Lfunc_end271:
	.size	_ZN2at6native32elementwise_kernel_manual_unrollILi128ELi8EZNS0_22gpu_kernel_impl_nocastIZZZNS0_16sqrt_kernel_cudaERNS_18TensorIteratorBaseEENKUlvE0_clEvENKUlvE2_clEvEUlN3c108BFloat16EE_EEvS4_RKT_EUlibE_EEviT1_, .Lfunc_end271-_ZN2at6native32elementwise_kernel_manual_unrollILi128ELi8EZNS0_22gpu_kernel_impl_nocastIZZZNS0_16sqrt_kernel_cudaERNS_18TensorIteratorBaseEENKUlvE0_clEvENKUlvE2_clEvEUlN3c108BFloat16EE_EEvS4_RKT_EUlibE_EEviT1_
                                        ; -- End function
	.set _ZN2at6native32elementwise_kernel_manual_unrollILi128ELi8EZNS0_22gpu_kernel_impl_nocastIZZZNS0_16sqrt_kernel_cudaERNS_18TensorIteratorBaseEENKUlvE0_clEvENKUlvE2_clEvEUlN3c108BFloat16EE_EEvS4_RKT_EUlibE_EEviT1_.num_vgpr, 44
	.set _ZN2at6native32elementwise_kernel_manual_unrollILi128ELi8EZNS0_22gpu_kernel_impl_nocastIZZZNS0_16sqrt_kernel_cudaERNS_18TensorIteratorBaseEENKUlvE0_clEvENKUlvE2_clEvEUlN3c108BFloat16EE_EEvS4_RKT_EUlibE_EEviT1_.num_agpr, 0
	.set _ZN2at6native32elementwise_kernel_manual_unrollILi128ELi8EZNS0_22gpu_kernel_impl_nocastIZZZNS0_16sqrt_kernel_cudaERNS_18TensorIteratorBaseEENKUlvE0_clEvENKUlvE2_clEvEUlN3c108BFloat16EE_EEvS4_RKT_EUlibE_EEviT1_.numbered_sgpr, 60
	.set _ZN2at6native32elementwise_kernel_manual_unrollILi128ELi8EZNS0_22gpu_kernel_impl_nocastIZZZNS0_16sqrt_kernel_cudaERNS_18TensorIteratorBaseEENKUlvE0_clEvENKUlvE2_clEvEUlN3c108BFloat16EE_EEvS4_RKT_EUlibE_EEviT1_.num_named_barrier, 0
	.set _ZN2at6native32elementwise_kernel_manual_unrollILi128ELi8EZNS0_22gpu_kernel_impl_nocastIZZZNS0_16sqrt_kernel_cudaERNS_18TensorIteratorBaseEENKUlvE0_clEvENKUlvE2_clEvEUlN3c108BFloat16EE_EEvS4_RKT_EUlibE_EEviT1_.private_seg_size, 0
	.set _ZN2at6native32elementwise_kernel_manual_unrollILi128ELi8EZNS0_22gpu_kernel_impl_nocastIZZZNS0_16sqrt_kernel_cudaERNS_18TensorIteratorBaseEENKUlvE0_clEvENKUlvE2_clEvEUlN3c108BFloat16EE_EEvS4_RKT_EUlibE_EEviT1_.uses_vcc, 1
	.set _ZN2at6native32elementwise_kernel_manual_unrollILi128ELi8EZNS0_22gpu_kernel_impl_nocastIZZZNS0_16sqrt_kernel_cudaERNS_18TensorIteratorBaseEENKUlvE0_clEvENKUlvE2_clEvEUlN3c108BFloat16EE_EEvS4_RKT_EUlibE_EEviT1_.uses_flat_scratch, 0
	.set _ZN2at6native32elementwise_kernel_manual_unrollILi128ELi8EZNS0_22gpu_kernel_impl_nocastIZZZNS0_16sqrt_kernel_cudaERNS_18TensorIteratorBaseEENKUlvE0_clEvENKUlvE2_clEvEUlN3c108BFloat16EE_EEvS4_RKT_EUlibE_EEviT1_.has_dyn_sized_stack, 0
	.set _ZN2at6native32elementwise_kernel_manual_unrollILi128ELi8EZNS0_22gpu_kernel_impl_nocastIZZZNS0_16sqrt_kernel_cudaERNS_18TensorIteratorBaseEENKUlvE0_clEvENKUlvE2_clEvEUlN3c108BFloat16EE_EEvS4_RKT_EUlibE_EEviT1_.has_recursion, 0
	.set _ZN2at6native32elementwise_kernel_manual_unrollILi128ELi8EZNS0_22gpu_kernel_impl_nocastIZZZNS0_16sqrt_kernel_cudaERNS_18TensorIteratorBaseEENKUlvE0_clEvENKUlvE2_clEvEUlN3c108BFloat16EE_EEvS4_RKT_EUlibE_EEviT1_.has_indirect_call, 0
	.section	.AMDGPU.csdata,"",@progbits
; Kernel info:
; codeLenInByte = 14032
; TotalNumSgprs: 66
; NumVgprs: 44
; NumAgprs: 0
; TotalNumVgprs: 44
; ScratchSize: 0
; MemoryBound: 0
; FloatMode: 240
; IeeeMode: 1
; LDSByteSize: 0 bytes/workgroup (compile time only)
; SGPRBlocks: 8
; VGPRBlocks: 5
; NumSGPRsForWavesPerEU: 66
; NumVGPRsForWavesPerEU: 44
; AccumOffset: 44
; Occupancy: 8
; WaveLimiterHint : 1
; COMPUTE_PGM_RSRC2:SCRATCH_EN: 0
; COMPUTE_PGM_RSRC2:USER_SGPR: 2
; COMPUTE_PGM_RSRC2:TRAP_HANDLER: 0
; COMPUTE_PGM_RSRC2:TGID_X_EN: 1
; COMPUTE_PGM_RSRC2:TGID_Y_EN: 0
; COMPUTE_PGM_RSRC2:TGID_Z_EN: 0
; COMPUTE_PGM_RSRC2:TIDIG_COMP_CNT: 0
; COMPUTE_PGM_RSRC3_GFX90A:ACCUM_OFFSET: 10
; COMPUTE_PGM_RSRC3_GFX90A:TG_SPLIT: 0
	.section	.text._ZN2at6native32elementwise_kernel_manual_unrollILi128ELi4EZNS0_15gpu_kernel_implIZZZNS0_16sqrt_kernel_cudaERNS_18TensorIteratorBaseEENKUlvE0_clEvENKUlvE2_clEvEUlN3c108BFloat16EE_EEvS4_RKT_EUlibE_EEviT1_,"axG",@progbits,_ZN2at6native32elementwise_kernel_manual_unrollILi128ELi4EZNS0_15gpu_kernel_implIZZZNS0_16sqrt_kernel_cudaERNS_18TensorIteratorBaseEENKUlvE0_clEvENKUlvE2_clEvEUlN3c108BFloat16EE_EEvS4_RKT_EUlibE_EEviT1_,comdat
	.globl	_ZN2at6native32elementwise_kernel_manual_unrollILi128ELi4EZNS0_15gpu_kernel_implIZZZNS0_16sqrt_kernel_cudaERNS_18TensorIteratorBaseEENKUlvE0_clEvENKUlvE2_clEvEUlN3c108BFloat16EE_EEvS4_RKT_EUlibE_EEviT1_ ; -- Begin function _ZN2at6native32elementwise_kernel_manual_unrollILi128ELi4EZNS0_15gpu_kernel_implIZZZNS0_16sqrt_kernel_cudaERNS_18TensorIteratorBaseEENKUlvE0_clEvENKUlvE2_clEvEUlN3c108BFloat16EE_EEvS4_RKT_EUlibE_EEviT1_
	.p2align	8
	.type	_ZN2at6native32elementwise_kernel_manual_unrollILi128ELi4EZNS0_15gpu_kernel_implIZZZNS0_16sqrt_kernel_cudaERNS_18TensorIteratorBaseEENKUlvE0_clEvENKUlvE2_clEvEUlN3c108BFloat16EE_EEvS4_RKT_EUlibE_EEviT1_,@function
_ZN2at6native32elementwise_kernel_manual_unrollILi128ELi4EZNS0_15gpu_kernel_implIZZZNS0_16sqrt_kernel_cudaERNS_18TensorIteratorBaseEENKUlvE0_clEvENKUlvE2_clEvEUlN3c108BFloat16EE_EEvS4_RKT_EUlibE_EEviT1_: ; @_ZN2at6native32elementwise_kernel_manual_unrollILi128ELi4EZNS0_15gpu_kernel_implIZZZNS0_16sqrt_kernel_cudaERNS_18TensorIteratorBaseEENKUlvE0_clEvENKUlvE2_clEvEUlN3c108BFloat16EE_EEvS4_RKT_EUlibE_EEviT1_
; %bb.0:
	v_mov_b32_e32 v1, 0
	global_load_ushort v1, v1, s[0:1] offset:33
	s_load_dwordx4 s[4:7], s[0:1], 0x8
	s_load_dwordx2 s[8:9], s[0:1], 0x18
	s_load_dword s38, s[0:1], 0x0
	v_lshl_or_b32 v4, s2, 9, v0
	v_or_b32_e32 v0, 0x180, v4
	s_mov_b64 s[10:11], 0
	s_mov_b64 s[12:13], 0
	s_waitcnt lgkmcnt(0)
	v_cmp_le_i32_e32 vcc, s38, v0
	s_waitcnt vmcnt(0)
	v_readfirstlane_b32 s33, v1
	s_and_b32 s0, 0xffff, s33
	s_lshr_b32 s42, s0, 8
	s_and_saveexec_b64 s[0:1], vcc
	s_xor_b64 s[2:3], exec, s[0:1]
	s_cbranch_execz .LBB272_1029
; %bb.1:
	v_cmp_gt_i32_e32 vcc, s38, v4
	s_mov_b64 s[18:19], -1
	s_mov_b64 s[20:21], 0
	s_mov_b64 s[14:15], 0
	s_and_saveexec_b64 s[16:17], vcc
	s_cbranch_execz .LBB272_252
; %bb.2:
	v_mul_lo_u32 v0, v4, s9
	v_ashrrev_i32_e32 v1, 31, v0
	s_and_b32 s22, 0xffff, s42
	s_cmp_lt_i32 s22, 11
	v_lshl_add_u64 v[0:1], s[6:7], 0, v[0:1]
	s_cbranch_scc1 .LBB272_9
; %bb.3:
	s_cmp_gt_i32 s22, 25
	s_cbranch_scc0 .LBB272_18
; %bb.4:
	s_cmp_gt_i32 s22, 28
	s_cbranch_scc0 .LBB272_22
; %bb.5:
	s_cmp_gt_i32 s22, 43
	s_cbranch_scc0 .LBB272_24
; %bb.6:
	s_cmp_gt_i32 s22, 45
	s_cbranch_scc0 .LBB272_26
; %bb.7:
	s_cmp_eq_u32 s22, 46
	s_cbranch_scc0 .LBB272_28
; %bb.8:
	global_load_dword v2, v[0:1], off
	s_mov_b64 s[0:1], -1
	s_branch .LBB272_30
.LBB272_9:
                                        ; implicit-def: $vgpr2
	s_mov_b64 s[0:1], 0
	s_cbranch_execnz .LBB272_203
.LBB272_10:
	s_andn2_b64 vcc, exec, s[0:1]
	s_cbranch_vccnz .LBB272_250
.LBB272_11:
	s_waitcnt vmcnt(0)
	v_lshlrev_b32_e32 v0, 16, v2
	s_mov_b32 s0, 0xf800000
	v_mul_f32_e32 v1, 0x4f800000, v0
	v_cmp_gt_f32_e32 vcc, s0, v0
	s_and_b32 s24, s33, 0xff
	s_cmp_lt_i32 s24, 11
	v_cndmask_b32_e32 v1, v0, v1, vcc
	v_sqrt_f32_e32 v2, v1
	s_nop 0
	v_add_u32_e32 v3, -1, v2
	v_fma_f32 v5, -v3, v2, v1
	v_cmp_ge_f32_e64 s[0:1], 0, v5
	v_add_u32_e32 v5, 1, v2
	s_nop 0
	v_cndmask_b32_e64 v3, v2, v3, s[0:1]
	v_fma_f32 v2, -v5, v2, v1
	v_cmp_lt_f32_e64 s[0:1], 0, v2
	s_nop 1
	v_cndmask_b32_e64 v2, v3, v5, s[0:1]
	v_mul_f32_e32 v3, 0x37800000, v2
	v_cndmask_b32_e32 v2, v2, v3, vcc
	v_mov_b32_e32 v3, 0x260
	v_cmp_class_f32_e32 vcc, v1, v3
	s_movk_i32 s0, 0x7fff
	s_nop 0
	v_cndmask_b32_e32 v1, v2, v1, vcc
	v_bfe_u32 v2, v1, 16, 1
	v_add3_u32 v1, v1, v2, s0
	v_cmp_le_f32_e32 vcc, 0, v0
	v_mov_b32_e32 v0, 0x7fc0
	s_nop 0
	v_cndmask_b32_sdwa v2, v0, v1, vcc dst_sel:DWORD dst_unused:UNUSED_PAD src0_sel:DWORD src1_sel:WORD_1
	v_mul_lo_u32 v0, v4, s8
	v_ashrrev_i32_e32 v1, 31, v0
	v_lshl_add_u64 v[0:1], s[4:5], 0, v[0:1]
	s_cbranch_scc1 .LBB272_19
; %bb.12:
	s_and_b32 s25, 0xffff, s24
	s_cmp_gt_i32 s25, 25
	s_cbranch_scc0 .LBB272_23
; %bb.13:
	s_cmp_gt_i32 s25, 28
	s_cbranch_scc0 .LBB272_25
; %bb.14:
	;; [unrolled: 3-line block ×4, first 2 shown]
	s_mov_b64 s[18:19], 0
	s_mov_b64 s[0:1], -1
	s_cmp_eq_u32 s25, 46
	s_mov_b64 s[12:13], 0
	s_cbranch_scc0 .LBB272_34
; %bb.17:
	v_and_b32_e32 v3, 0xffff, v2
	global_store_dword v[0:1], v3, off
	s_mov_b64 s[12:13], -1
	s_mov_b64 s[0:1], 0
	s_branch .LBB272_34
.LBB272_18:
	s_mov_b64 s[0:1], 0
                                        ; implicit-def: $vgpr2
	s_cbranch_execnz .LBB272_168
	s_branch .LBB272_202
.LBB272_19:
	s_mov_b64 s[0:1], 0
	s_mov_b64 s[12:13], 0
	s_cbranch_execnz .LBB272_103
.LBB272_20:
	s_andn2_b64 vcc, exec, s[12:13]
	s_cbranch_vccnz .LBB272_141
.LBB272_21:
	v_add_u32_e32 v4, 0x80, v4
	s_mov_b64 s[18:19], -1
	s_branch .LBB272_251
.LBB272_22:
	s_mov_b64 s[12:13], -1
	s_mov_b64 s[0:1], 0
                                        ; implicit-def: $vgpr2
	s_branch .LBB272_149
.LBB272_23:
	s_mov_b64 s[18:19], -1
	s_mov_b64 s[0:1], 0
	s_mov_b64 s[12:13], 0
	s_branch .LBB272_61
.LBB272_24:
	s_mov_b64 s[12:13], -1
	s_mov_b64 s[0:1], 0
                                        ; implicit-def: $vgpr2
	s_branch .LBB272_144
.LBB272_25:
	s_mov_b64 s[18:19], -1
	s_mov_b64 s[0:1], 0
	s_mov_b64 s[12:13], 0
	s_branch .LBB272_44
.LBB272_26:
	s_mov_b64 s[12:13], -1
	s_branch .LBB272_29
.LBB272_27:
	s_mov_b64 s[18:19], -1
	s_mov_b64 s[0:1], 0
	s_mov_b64 s[12:13], 0
	s_branch .LBB272_40
.LBB272_28:
	s_mov_b64 s[14:15], -1
.LBB272_29:
	s_mov_b64 s[0:1], 0
                                        ; implicit-def: $vgpr2
.LBB272_30:
	s_and_b64 vcc, exec, s[12:13]
	s_cbranch_vccz .LBB272_143
; %bb.31:
	s_cmp_eq_u32 s22, 44
	s_cbranch_scc0 .LBB272_142
; %bb.32:
	global_load_ubyte v2, v[0:1], off
	s_movk_i32 s12, 0xff
	v_mov_b32_e32 v3, 0x7f800001
	v_mov_b32_e32 v5, 0x400000
	;; [unrolled: 1-line block ×3, first 2 shown]
	s_mov_b64 s[0:1], -1
	s_mov_b64 s[14:15], 0
	s_waitcnt vmcnt(0)
	v_lshlrev_b32_e32 v7, 23, v2
	v_cmp_ne_u32_e32 vcc, s12, v2
	s_nop 1
	v_cndmask_b32_e32 v3, v3, v7, vcc
	v_cmp_ne_u32_e32 vcc, 0, v2
	s_nop 1
	v_cndmask_b32_e32 v2, v5, v3, vcc
	v_add_u32_e32 v3, 0x7fff, v2
	v_cmp_o_f32_e32 vcc, v2, v2
	s_nop 1
	v_cndmask_b32_sdwa v2, v6, v3, vcc dst_sel:DWORD dst_unused:UNUSED_PAD src0_sel:DWORD src1_sel:WORD_1
	s_branch .LBB272_143
.LBB272_33:
	s_mov_b64 s[18:19], -1
	s_mov_b64 s[0:1], 0
	s_mov_b64 s[12:13], 0
.LBB272_34:
	s_and_b64 vcc, exec, s[18:19]
	s_cbranch_vccz .LBB272_39
; %bb.35:
	s_cmp_eq_u32 s25, 44
	s_mov_b64 s[0:1], -1
	s_cbranch_scc0 .LBB272_39
; %bb.36:
	v_and_b32_e32 v5, 0xffff, v2
	v_bfe_u32 v3, v5, 7, 8
	s_movk_i32 s0, 0xff
	v_cmp_ne_u32_e32 vcc, s0, v3
	v_mov_b32_e32 v6, 0xff
	s_and_saveexec_b64 s[12:13], vcc
	s_cbranch_execz .LBB272_38
; %bb.37:
	v_lshlrev_b32_e32 v7, 16, v5
	s_mov_b32 s0, 0x3f0000
	v_lshrrev_b32_e32 v6, 7, v5
	v_and_b32_e32 v5, 64, v5
	v_and_or_b32 v3, v7, s0, v3
	v_cmp_ne_u32_e32 vcc, 0, v5
	v_cmp_ne_u32_e64 s[0:1], 0, v3
	s_and_b64 s[0:1], vcc, s[0:1]
	s_nop 0
	v_cndmask_b32_e64 v3, 0, 1, s[0:1]
	v_add_u32_e32 v6, v6, v3
.LBB272_38:
	s_or_b64 exec, exec, s[12:13]
	s_mov_b64 s[12:13], -1
	s_mov_b64 s[0:1], 0
	global_store_byte v[0:1], v6, off
.LBB272_39:
	s_mov_b64 s[18:19], 0
.LBB272_40:
	s_and_b64 vcc, exec, s[18:19]
	s_cbranch_vccz .LBB272_43
; %bb.41:
	s_cmp_eq_u32 s25, 29
	s_mov_b64 s[0:1], -1
	s_cbranch_scc0 .LBB272_43
; %bb.42:
	v_lshlrev_b32_e32 v3, 16, v2
	v_trunc_f32_e32 v3, v3
	v_mul_f32_e32 v5, 0x2f800000, v3
	v_floor_f32_e32 v5, v5
	v_fmamk_f32 v3, v5, 0xcf800000, v3
	v_cvt_u32_f32_e32 v7, v5
	v_cvt_u32_f32_e32 v6, v3
	s_mov_b64 s[12:13], -1
	s_mov_b64 s[0:1], 0
	s_mov_b64 s[18:19], 0
	global_store_dwordx2 v[0:1], v[6:7], off
	s_branch .LBB272_44
.LBB272_43:
	s_mov_b64 s[18:19], 0
.LBB272_44:
	s_and_b64 vcc, exec, s[18:19]
	s_cbranch_vccz .LBB272_60
; %bb.45:
	s_cmp_lt_i32 s25, 27
	s_mov_b64 s[12:13], -1
	s_cbranch_scc1 .LBB272_51
; %bb.46:
	s_cmp_gt_i32 s25, 27
	s_cbranch_scc0 .LBB272_48
; %bb.47:
	v_lshlrev_b32_e32 v3, 16, v2
	v_cvt_u32_f32_e32 v3, v3
	s_mov_b64 s[12:13], 0
	global_store_dword v[0:1], v3, off
.LBB272_48:
	s_andn2_b64 vcc, exec, s[12:13]
	s_cbranch_vccnz .LBB272_50
; %bb.49:
	v_lshlrev_b32_e32 v3, 16, v2
	v_cvt_u32_f32_e32 v3, v3
	global_store_short v[0:1], v3, off
.LBB272_50:
	s_mov_b64 s[12:13], 0
.LBB272_51:
	s_andn2_b64 vcc, exec, s[12:13]
	s_cbranch_vccnz .LBB272_59
; %bb.52:
	v_lshlrev_b32_e32 v6, 16, v2
	v_and_b32_e32 v5, 0x7fffffff, v6
	s_mov_b32 s12, 0x43800000
	v_cmp_gt_u32_e32 vcc, s12, v5
	v_mov_b32_e32 v7, 0x80
	s_and_saveexec_b64 s[12:13], vcc
	s_cbranch_execz .LBB272_58
; %bb.53:
	s_mov_b32 s18, 0x3bffffff
	v_and_b32_e32 v3, 0xffff, v2
	v_cmp_lt_u32_e32 vcc, s18, v5
	s_mov_b64 s[18:19], 0
                                        ; implicit-def: $vgpr5
	s_and_saveexec_b64 s[22:23], vcc
	s_xor_b64 s[22:23], exec, s[22:23]
	s_cbranch_execz .LBB272_279
; %bb.54:
	v_bfe_u32 v5, v3, 4, 1
	s_mov_b32 s26, 0x487ffff
	v_add3_u32 v5, v6, v5, s26
	s_mov_b64 s[18:19], exec
	v_lshrrev_b32_e32 v5, 20, v5
                                        ; implicit-def: $vgpr6
	s_andn2_saveexec_b64 s[22:23], s[22:23]
	s_cbranch_execnz .LBB272_280
.LBB272_55:
	s_or_b64 exec, exec, s[22:23]
	v_mov_b32_e32 v7, 0
	s_and_saveexec_b64 s[22:23], s[18:19]
.LBB272_56:
	v_lshrrev_b32_e32 v3, 8, v3
	s_movk_i32 s18, 0x80
	v_and_or_b32 v7, v3, s18, v5
.LBB272_57:
	s_or_b64 exec, exec, s[22:23]
.LBB272_58:
	s_or_b64 exec, exec, s[12:13]
	global_store_byte v[0:1], v7, off
.LBB272_59:
	s_mov_b64 s[12:13], -1
.LBB272_60:
	s_mov_b64 s[18:19], 0
.LBB272_61:
	s_and_b64 vcc, exec, s[18:19]
	s_cbranch_vccz .LBB272_102
; %bb.62:
	s_cmp_gt_i32 s25, 22
	s_mov_b64 s[18:19], -1
	s_cbranch_scc0 .LBB272_94
; %bb.63:
	s_cmp_lt_i32 s25, 24
	s_mov_b64 s[12:13], -1
	s_cbranch_scc1 .LBB272_83
; %bb.64:
	s_cmp_gt_i32 s25, 24
	s_cbranch_scc0 .LBB272_72
; %bb.65:
	v_lshlrev_b32_e32 v6, 16, v2
	v_and_b32_e32 v5, 0x7fffffff, v6
	s_mov_b32 s12, 0x47800000
	v_cmp_gt_u32_e32 vcc, s12, v5
	v_mov_b32_e32 v7, 0x80
	s_and_saveexec_b64 s[12:13], vcc
	s_cbranch_execz .LBB272_71
; %bb.66:
	s_mov_b32 s18, 0x37ffffff
	v_and_b32_e32 v3, 0xffff, v2
	v_cmp_lt_u32_e32 vcc, s18, v5
	s_mov_b64 s[18:19], 0
                                        ; implicit-def: $vgpr5
	s_and_saveexec_b64 s[22:23], vcc
	s_xor_b64 s[22:23], exec, s[22:23]
	s_cbranch_execz .LBB272_283
; %bb.67:
	v_bfe_u32 v5, v3, 5, 1
	s_mov_b32 s26, 0x88fffff
	v_add3_u32 v5, v6, v5, s26
	s_mov_b64 s[18:19], exec
	v_lshrrev_b32_e32 v5, 21, v5
                                        ; implicit-def: $vgpr6
	s_andn2_saveexec_b64 s[22:23], s[22:23]
	s_cbranch_execnz .LBB272_284
.LBB272_68:
	s_or_b64 exec, exec, s[22:23]
	v_mov_b32_e32 v7, 0
	s_and_saveexec_b64 s[22:23], s[18:19]
.LBB272_69:
	v_lshrrev_b32_e32 v3, 8, v3
	s_movk_i32 s18, 0x80
	v_and_or_b32 v7, v3, s18, v5
.LBB272_70:
	s_or_b64 exec, exec, s[22:23]
.LBB272_71:
	s_or_b64 exec, exec, s[12:13]
	s_mov_b64 s[12:13], 0
	global_store_byte v[0:1], v7, off
.LBB272_72:
	s_and_b64 vcc, exec, s[12:13]
	s_cbranch_vccz .LBB272_82
; %bb.73:
	v_lshlrev_b32_e32 v6, 16, v2
	v_and_b32_e32 v7, 0x7fffffff, v6
	s_mov_b32 s12, 0x43f00000
	v_and_b32_e32 v3, 0xffff, v2
	v_cmp_gt_u32_e32 vcc, s12, v7
                                        ; implicit-def: $vgpr5
	s_and_saveexec_b64 s[12:13], vcc
	s_xor_b64 s[12:13], exec, s[12:13]
	s_cbranch_execz .LBB272_79
; %bb.74:
	s_mov_b32 s18, 0x3c7fffff
	v_cmp_lt_u32_e32 vcc, s18, v7
                                        ; implicit-def: $vgpr5
	s_and_saveexec_b64 s[18:19], vcc
	s_xor_b64 s[18:19], exec, s[18:19]
; %bb.75:
	v_bfe_u32 v5, v3, 4, 1
	s_mov_b32 s22, 0x407ffff
	v_add3_u32 v5, v6, v5, s22
	v_lshrrev_b32_e32 v6, 20, v5
	v_and_b32_e32 v5, 0xff00000, v5
	s_mov_b32 s22, 0x7f00000
	v_mov_b32_e32 v7, 0x7e
	v_cmp_ne_u32_e32 vcc, s22, v5
	s_nop 1
	v_cndmask_b32_e32 v5, v7, v6, vcc
                                        ; implicit-def: $vgpr6
; %bb.76:
	s_andn2_saveexec_b64 s[18:19], s[18:19]
; %bb.77:
	s_mov_b32 s22, 0x46800000
	v_add_f32_e64 v5, |v6|, s22
; %bb.78:
	s_or_b64 exec, exec, s[18:19]
                                        ; implicit-def: $vgpr7
.LBB272_79:
	s_andn2_saveexec_b64 s[12:13], s[12:13]
; %bb.80:
	s_mov_b32 s18, 0x7f800000
	v_mov_b32_e32 v5, 0x7e
	v_mov_b32_e32 v6, 0x7f
	v_cmp_lt_u32_e32 vcc, s18, v7
	s_nop 1
	v_cndmask_b32_e32 v5, v5, v6, vcc
; %bb.81:
	s_or_b64 exec, exec, s[12:13]
	v_lshrrev_b32_e32 v3, 8, v3
	s_movk_i32 s12, 0x80
	v_and_or_b32 v3, v3, s12, v5
	global_store_byte v[0:1], v3, off
.LBB272_82:
	s_mov_b64 s[12:13], 0
.LBB272_83:
	s_andn2_b64 vcc, exec, s[12:13]
	s_cbranch_vccnz .LBB272_93
; %bb.84:
	v_lshlrev_b32_e32 v6, 16, v2
	v_and_b32_e32 v7, 0x7fffffff, v6
	s_mov_b32 s12, 0x47800000
	v_and_b32_e32 v3, 0xffff, v2
	v_cmp_gt_u32_e32 vcc, s12, v7
                                        ; implicit-def: $vgpr5
	s_and_saveexec_b64 s[12:13], vcc
	s_xor_b64 s[12:13], exec, s[12:13]
	s_cbranch_execz .LBB272_90
; %bb.85:
	s_mov_b32 s18, 0x387fffff
	v_cmp_lt_u32_e32 vcc, s18, v7
                                        ; implicit-def: $vgpr5
	s_and_saveexec_b64 s[18:19], vcc
	s_xor_b64 s[18:19], exec, s[18:19]
; %bb.86:
	v_bfe_u32 v5, v3, 5, 1
	s_mov_b32 s22, 0x80fffff
	v_add3_u32 v5, v6, v5, s22
	v_lshrrev_b32_e32 v5, 21, v5
                                        ; implicit-def: $vgpr6
; %bb.87:
	s_andn2_saveexec_b64 s[18:19], s[18:19]
; %bb.88:
	s_mov_b32 s22, 0x43000000
	v_add_f32_e64 v5, |v6|, s22
; %bb.89:
	s_or_b64 exec, exec, s[18:19]
                                        ; implicit-def: $vgpr7
.LBB272_90:
	s_andn2_saveexec_b64 s[12:13], s[12:13]
; %bb.91:
	s_mov_b32 s18, 0x7f800000
	v_mov_b32_e32 v5, 0x7c
	v_mov_b32_e32 v6, 0x7f
	v_cmp_lt_u32_e32 vcc, s18, v7
	s_nop 1
	v_cndmask_b32_e32 v5, v5, v6, vcc
; %bb.92:
	s_or_b64 exec, exec, s[12:13]
	v_lshrrev_b32_e32 v3, 8, v3
	s_movk_i32 s12, 0x80
	v_and_or_b32 v3, v3, s12, v5
	global_store_byte v[0:1], v3, off
.LBB272_93:
	s_mov_b64 s[18:19], 0
	s_mov_b64 s[12:13], -1
.LBB272_94:
	s_andn2_b64 vcc, exec, s[18:19]
	s_cbranch_vccnz .LBB272_102
; %bb.95:
	s_cmp_gt_i32 s25, 14
	s_mov_b64 s[18:19], -1
	s_cbranch_scc0 .LBB272_99
; %bb.96:
	s_cmp_eq_u32 s25, 15
	s_mov_b64 s[0:1], -1
	s_cbranch_scc0 .LBB272_98
; %bb.97:
	global_store_short v[0:1], v2, off
	s_mov_b64 s[12:13], -1
	s_mov_b64 s[0:1], 0
.LBB272_98:
	s_mov_b64 s[18:19], 0
.LBB272_99:
	s_and_b64 vcc, exec, s[18:19]
	s_cbranch_vccz .LBB272_102
; %bb.100:
	s_cmp_eq_u32 s25, 11
	s_mov_b64 s[0:1], -1
	s_cbranch_scc0 .LBB272_102
; %bb.101:
	v_and_b32_e32 v3, 0x7fff, v2
	v_cmp_ne_u16_e32 vcc, 0, v3
	s_mov_b64 s[12:13], -1
	s_mov_b64 s[0:1], 0
	v_cndmask_b32_e64 v3, 0, 1, vcc
	global_store_byte v[0:1], v3, off
.LBB272_102:
	s_branch .LBB272_20
.LBB272_103:
	s_and_b32 s18, 0xffff, s24
	s_cmp_lt_i32 s18, 5
	s_mov_b64 s[12:13], -1
	s_cbranch_scc1 .LBB272_124
; %bb.104:
	s_cmp_lt_i32 s18, 8
	s_cbranch_scc1 .LBB272_114
; %bb.105:
	s_cmp_lt_i32 s18, 9
	s_cbranch_scc1 .LBB272_111
; %bb.106:
	s_cmp_gt_i32 s18, 9
	s_cbranch_scc0 .LBB272_108
; %bb.107:
	v_lshlrev_b32_e32 v3, 16, v2
	v_mov_b32_e32 v8, 0
	v_cvt_f64_f32_e32 v[6:7], v3
	v_mov_b32_e32 v9, v8
	global_store_dwordx4 v[0:1], v[6:9], off
	s_mov_b64 s[12:13], 0
.LBB272_108:
	s_andn2_b64 vcc, exec, s[12:13]
	s_cbranch_vccnz .LBB272_110
; %bb.109:
	v_lshlrev_b32_e32 v6, 16, v2
	v_mov_b32_e32 v7, 0
	global_store_dwordx2 v[0:1], v[6:7], off
.LBB272_110:
	s_mov_b64 s[12:13], 0
.LBB272_111:
	s_andn2_b64 vcc, exec, s[12:13]
	s_cbranch_vccnz .LBB272_113
; %bb.112:
	v_lshlrev_b32_e32 v3, 16, v2
	v_cvt_f16_f32_e32 v3, v3
	global_store_dword v[0:1], v3, off
.LBB272_113:
	s_mov_b64 s[12:13], 0
.LBB272_114:
	s_andn2_b64 vcc, exec, s[12:13]
	s_cbranch_vccnz .LBB272_123
; %bb.115:
	s_cmp_lt_i32 s18, 6
	s_mov_b64 s[12:13], -1
	s_cbranch_scc1 .LBB272_121
; %bb.116:
	s_cmp_gt_i32 s18, 6
	s_cbranch_scc0 .LBB272_118
; %bb.117:
	v_lshlrev_b32_e32 v3, 16, v2
	v_cvt_f64_f32_e32 v[6:7], v3
	global_store_dwordx2 v[0:1], v[6:7], off
	s_mov_b64 s[12:13], 0
.LBB272_118:
	s_andn2_b64 vcc, exec, s[12:13]
	s_cbranch_vccnz .LBB272_120
; %bb.119:
	v_lshlrev_b32_e32 v3, 16, v2
	global_store_dword v[0:1], v3, off
.LBB272_120:
	s_mov_b64 s[12:13], 0
.LBB272_121:
	s_andn2_b64 vcc, exec, s[12:13]
	s_cbranch_vccnz .LBB272_123
; %bb.122:
	v_lshlrev_b32_e32 v3, 16, v2
	v_cvt_f16_f32_e32 v3, v3
	global_store_short v[0:1], v3, off
.LBB272_123:
	s_mov_b64 s[12:13], 0
.LBB272_124:
	s_andn2_b64 vcc, exec, s[12:13]
	s_cbranch_vccnz .LBB272_140
; %bb.125:
	s_cmp_lt_i32 s18, 2
	s_mov_b64 s[12:13], -1
	s_cbranch_scc1 .LBB272_135
; %bb.126:
	s_cmp_lt_i32 s18, 3
	s_cbranch_scc1 .LBB272_132
; %bb.127:
	s_cmp_gt_i32 s18, 3
	s_cbranch_scc0 .LBB272_129
; %bb.128:
	v_lshlrev_b32_e32 v3, 16, v2
	v_trunc_f32_e32 v3, v3
	s_mov_b32 s12, 0x2f800000
	v_mul_f32_e64 v5, |v3|, s12
	v_floor_f32_e32 v5, v5
	s_mov_b32 s12, 0xcf800000
	v_cvt_u32_f32_e32 v6, v5
	v_fma_f32 v5, v5, s12, |v3|
	v_cvt_u32_f32_e32 v5, v5
	v_ashrrev_i32_e32 v3, 31, v3
	v_xor_b32_e32 v7, v6, v3
	s_mov_b64 s[12:13], 0
	v_xor_b32_e32 v5, v5, v3
	v_sub_co_u32_e32 v6, vcc, v5, v3
	s_nop 1
	v_subb_co_u32_e32 v7, vcc, v7, v3, vcc
	global_store_dwordx2 v[0:1], v[6:7], off
.LBB272_129:
	s_andn2_b64 vcc, exec, s[12:13]
	s_cbranch_vccnz .LBB272_131
; %bb.130:
	v_lshlrev_b32_e32 v3, 16, v2
	v_cvt_i32_f32_e32 v3, v3
	global_store_dword v[0:1], v3, off
.LBB272_131:
	s_mov_b64 s[12:13], 0
.LBB272_132:
	s_andn2_b64 vcc, exec, s[12:13]
	s_cbranch_vccnz .LBB272_134
; %bb.133:
	v_lshlrev_b32_e32 v3, 16, v2
	v_cvt_i32_f32_e32 v3, v3
	global_store_short v[0:1], v3, off
.LBB272_134:
	s_mov_b64 s[12:13], 0
.LBB272_135:
	s_andn2_b64 vcc, exec, s[12:13]
	s_cbranch_vccnz .LBB272_140
; %bb.136:
	s_mov_b64 s[12:13], -1
	s_cmp_gt_i32 s18, 0
	v_lshlrev_b32_e32 v2, 16, v2
	s_cbranch_scc0 .LBB272_138
; %bb.137:
	v_cvt_i32_f32_e32 v3, v2
	s_mov_b64 s[12:13], 0
	global_store_byte v[0:1], v3, off
.LBB272_138:
	s_andn2_b64 vcc, exec, s[12:13]
	s_cbranch_vccnz .LBB272_140
; %bb.139:
	v_trunc_f32_e32 v2, v2
	s_mov_b32 s12, 0x2f800000
	v_mul_f32_e64 v3, |v2|, s12
	v_floor_f32_e32 v3, v3
	s_mov_b32 s12, 0xcf800000
	v_fma_f32 v3, v3, s12, |v2|
	v_cvt_u32_f32_e32 v3, v3
	v_ashrrev_i32_e32 v2, 31, v2
	v_xor_b32_e32 v3, v3, v2
	v_sub_u32_e32 v2, v3, v2
	global_store_byte v[0:1], v2, off
.LBB272_140:
	s_branch .LBB272_21
.LBB272_141:
	s_mov_b64 s[18:19], 0
                                        ; implicit-def: $vgpr4
	s_branch .LBB272_251
.LBB272_142:
	s_mov_b64 s[14:15], -1
                                        ; implicit-def: $vgpr2
.LBB272_143:
	s_mov_b64 s[12:13], 0
.LBB272_144:
	s_and_b64 vcc, exec, s[12:13]
	s_cbranch_vccz .LBB272_148
; %bb.145:
	s_cmp_eq_u32 s22, 29
	s_cbranch_scc0 .LBB272_147
; %bb.146:
	global_load_dwordx2 v[2:3], v[0:1], off
	s_movk_i32 s12, 0x7fff
	s_mov_b64 s[0:1], -1
	s_mov_b64 s[14:15], 0
	s_waitcnt vmcnt(0)
	v_ffbh_u32_e32 v5, v3
	v_min_u32_e32 v5, 32, v5
	v_lshlrev_b64 v[2:3], v5, v[2:3]
	v_min_u32_e32 v2, 1, v2
	v_or_b32_e32 v2, v3, v2
	v_cvt_f32_u32_e32 v2, v2
	v_sub_u32_e32 v3, 32, v5
	v_ldexp_f32 v2, v2, v3
	v_bfe_u32 v3, v2, 16, 1
	v_add3_u32 v2, v2, v3, s12
	v_lshrrev_b32_e32 v2, 16, v2
	s_branch .LBB272_148
.LBB272_147:
	s_mov_b64 s[14:15], -1
                                        ; implicit-def: $vgpr2
.LBB272_148:
	s_mov_b64 s[12:13], 0
.LBB272_149:
	s_and_b64 vcc, exec, s[12:13]
	s_cbranch_vccz .LBB272_167
; %bb.150:
	s_cmp_lt_i32 s22, 27
	s_cbranch_scc1 .LBB272_153
; %bb.151:
	s_cmp_gt_i32 s22, 27
	s_cbranch_scc0 .LBB272_154
; %bb.152:
	global_load_dword v2, v[0:1], off
	s_movk_i32 s0, 0x7fff
	s_waitcnt vmcnt(0)
	v_cvt_f32_u32_e32 v2, v2
	v_bfe_u32 v3, v2, 16, 1
	v_add3_u32 v2, v2, v3, s0
	v_lshrrev_b32_e32 v2, 16, v2
	s_mov_b64 s[0:1], 0
	s_branch .LBB272_155
.LBB272_153:
	s_mov_b64 s[0:1], -1
                                        ; implicit-def: $vgpr2
	s_branch .LBB272_158
.LBB272_154:
	s_mov_b64 s[0:1], -1
                                        ; implicit-def: $vgpr2
.LBB272_155:
	s_andn2_b64 vcc, exec, s[0:1]
	s_cbranch_vccnz .LBB272_157
; %bb.156:
	global_load_ushort v2, v[0:1], off
	s_movk_i32 s0, 0x7fff
	s_waitcnt vmcnt(0)
	v_cvt_f32_u32_e32 v2, v2
	v_bfe_u32 v3, v2, 16, 1
	v_add3_u32 v2, v2, v3, s0
	v_lshrrev_b32_e32 v2, 16, v2
.LBB272_157:
	s_mov_b64 s[0:1], 0
.LBB272_158:
	s_andn2_b64 vcc, exec, s[0:1]
	s_cbranch_vccnz .LBB272_166
; %bb.159:
	global_load_ubyte v2, v[0:1], off
	s_movk_i32 s0, 0x7f
	s_waitcnt vmcnt(0)
	v_cmp_lt_i16_e32 vcc, s0, v2
	s_mov_b64 s[0:1], 0
	s_and_saveexec_b64 s[12:13], vcc
	s_xor_b64 s[12:13], exec, s[12:13]
	s_cbranch_execz .LBB272_179
; %bb.160:
	s_movk_i32 s0, 0x80
	v_cmp_eq_u16_e32 vcc, s0, v2
	s_mov_b64 s[0:1], -1
	s_and_saveexec_b64 s[18:19], vcc
; %bb.161:
	s_xor_b64 s[0:1], exec, -1
; %bb.162:
	s_or_b64 exec, exec, s[18:19]
	s_and_b64 s[0:1], s[0:1], exec
	s_or_saveexec_b64 s[12:13], s[12:13]
	v_mov_b32_e32 v3, 0x7f800001
	s_xor_b64 exec, exec, s[12:13]
	s_cbranch_execnz .LBB272_180
.LBB272_163:
	s_or_b64 exec, exec, s[12:13]
	s_and_saveexec_b64 s[12:13], s[0:1]
	s_cbranch_execz .LBB272_165
.LBB272_164:
	v_lshlrev_b32_e32 v3, 24, v2
	v_and_b32_e32 v2, 0xffff, v2
	v_and_b32_e32 v5, 7, v2
	v_ffbh_u32_e32 v7, v5
	v_min_u32_e32 v7, 32, v7
	v_subrev_u32_e32 v8, 28, v7
	v_bfe_u32 v6, v2, 3, 4
	v_lshlrev_b32_e32 v2, v8, v2
	v_sub_u32_e32 v7, 29, v7
	v_and_b32_e32 v2, 7, v2
	v_cmp_eq_u32_e32 vcc, 0, v6
	v_and_b32_e32 v3, 0x80000000, v3
	s_nop 0
	v_cndmask_b32_e32 v6, v6, v7, vcc
	v_cndmask_b32_e32 v2, v5, v2, vcc
	v_mov_b32_e32 v5, 0x3b800000
	v_lshlrev_b32_e32 v2, 20, v2
	v_lshl_add_u32 v5, v6, 23, v5
	v_or3_b32 v3, v3, v5, v2
.LBB272_165:
	s_or_b64 exec, exec, s[12:13]
	v_bfe_u32 v2, v3, 16, 1
	s_movk_i32 s0, 0x7fff
	v_add3_u32 v2, v3, v2, s0
	v_cmp_o_f32_e32 vcc, v3, v3
	v_mov_b32_e32 v3, 0x7fc0
	s_nop 0
	v_cndmask_b32_sdwa v2, v3, v2, vcc dst_sel:DWORD dst_unused:UNUSED_PAD src0_sel:DWORD src1_sel:WORD_1
.LBB272_166:
	s_mov_b64 s[0:1], -1
.LBB272_167:
	s_branch .LBB272_202
.LBB272_168:
	s_cmp_gt_i32 s22, 22
	s_cbranch_scc0 .LBB272_178
; %bb.169:
	s_cmp_lt_i32 s22, 24
	s_cbranch_scc1 .LBB272_181
; %bb.170:
	s_cmp_gt_i32 s22, 24
	s_cbranch_scc0 .LBB272_182
; %bb.171:
	global_load_ubyte v2, v[0:1], off
	s_movk_i32 s0, 0x7f
	s_waitcnt vmcnt(0)
	v_cmp_lt_i16_e32 vcc, s0, v2
	s_mov_b64 s[0:1], 0
	s_and_saveexec_b64 s[12:13], vcc
	s_xor_b64 s[12:13], exec, s[12:13]
	s_cbranch_execz .LBB272_194
; %bb.172:
	s_movk_i32 s0, 0x80
	v_cmp_eq_u16_e32 vcc, s0, v2
	s_mov_b64 s[0:1], -1
	s_and_saveexec_b64 s[18:19], vcc
; %bb.173:
	s_xor_b64 s[0:1], exec, -1
; %bb.174:
	s_or_b64 exec, exec, s[18:19]
	s_and_b64 s[0:1], s[0:1], exec
	s_or_saveexec_b64 s[12:13], s[12:13]
	v_mov_b32_e32 v3, 0x7f800001
	s_xor_b64 exec, exec, s[12:13]
	s_cbranch_execnz .LBB272_195
.LBB272_175:
	s_or_b64 exec, exec, s[12:13]
	s_and_saveexec_b64 s[12:13], s[0:1]
	s_cbranch_execz .LBB272_177
.LBB272_176:
	v_lshlrev_b32_e32 v3, 24, v2
	v_and_b32_e32 v2, 0xffff, v2
	v_and_b32_e32 v5, 3, v2
	v_ffbh_u32_e32 v7, v5
	v_min_u32_e32 v7, 32, v7
	v_subrev_u32_e32 v8, 29, v7
	v_bfe_u32 v6, v2, 2, 5
	v_lshlrev_b32_e32 v2, v8, v2
	v_sub_u32_e32 v7, 30, v7
	v_and_b32_e32 v2, 3, v2
	v_cmp_eq_u32_e32 vcc, 0, v6
	v_and_b32_e32 v3, 0x80000000, v3
	s_nop 0
	v_cndmask_b32_e32 v6, v6, v7, vcc
	v_cndmask_b32_e32 v2, v5, v2, vcc
	v_mov_b32_e32 v5, 0x37800000
	v_lshlrev_b32_e32 v2, 21, v2
	v_lshl_add_u32 v5, v6, 23, v5
	v_or3_b32 v3, v3, v5, v2
.LBB272_177:
	s_or_b64 exec, exec, s[12:13]
	v_bfe_u32 v2, v3, 16, 1
	s_movk_i32 s0, 0x7fff
	v_add3_u32 v2, v3, v2, s0
	v_cmp_o_f32_e32 vcc, v3, v3
	v_mov_b32_e32 v3, 0x7fc0
	s_mov_b64 s[0:1], 0
	v_cndmask_b32_sdwa v2, v3, v2, vcc dst_sel:DWORD dst_unused:UNUSED_PAD src0_sel:DWORD src1_sel:WORD_1
	s_branch .LBB272_183
.LBB272_178:
	s_mov_b64 s[12:13], -1
                                        ; implicit-def: $vgpr2
	s_branch .LBB272_189
.LBB272_179:
	s_or_saveexec_b64 s[12:13], s[12:13]
	v_mov_b32_e32 v3, 0x7f800001
	s_xor_b64 exec, exec, s[12:13]
	s_cbranch_execz .LBB272_163
.LBB272_180:
	v_cmp_ne_u16_e32 vcc, 0, v2
	s_andn2_b64 s[0:1], s[0:1], exec
	s_and_b64 s[18:19], vcc, exec
	v_mov_b32_e32 v3, 0
	s_or_b64 s[0:1], s[0:1], s[18:19]
	s_or_b64 exec, exec, s[12:13]
	s_and_saveexec_b64 s[12:13], s[0:1]
	s_cbranch_execnz .LBB272_164
	s_branch .LBB272_165
.LBB272_181:
	s_mov_b64 s[0:1], -1
                                        ; implicit-def: $vgpr2
	s_branch .LBB272_186
.LBB272_182:
	s_mov_b64 s[0:1], -1
                                        ; implicit-def: $vgpr2
.LBB272_183:
	s_and_b64 vcc, exec, s[0:1]
	s_cbranch_vccz .LBB272_185
; %bb.184:
	global_load_ubyte v2, v[0:1], off
	s_mov_b32 s0, 0x7f800000
	s_brev_b32 s1, 1
	s_movk_i32 s12, 0x7fff
	s_waitcnt vmcnt(0)
	v_lshlrev_b32_e32 v2, 24, v2
	v_and_b32_e32 v3, 0x7f000000, v2
	v_ffbh_u32_e32 v5, v3
	v_min_u32_e32 v5, 32, v5
	v_sub_u32_e64 v5, v5, 4 clamp
	v_lshlrev_b32_e32 v7, v5, v3
	v_lshlrev_b32_e32 v5, 23, v5
	v_lshrrev_b32_e32 v7, 4, v7
	v_add_u32_e32 v6, 0x1000000, v3
	v_sub_u32_e32 v5, v7, v5
	v_ashrrev_i32_e32 v6, 8, v6
	v_add_u32_e32 v5, 0x3c000000, v5
	v_and_or_b32 v5, v6, s0, v5
	v_cmp_ne_u32_e32 vcc, 0, v3
	s_nop 1
	v_cndmask_b32_e32 v3, 0, v5, vcc
	v_and_or_b32 v2, v2, s1, v3
	v_bfe_u32 v3, v3, 16, 1
	v_add3_u32 v3, v2, v3, s12
	v_cmp_o_f32_e32 vcc, v2, v2
	v_mov_b32_e32 v2, 0x7fc0
	s_nop 0
	v_cndmask_b32_sdwa v2, v2, v3, vcc dst_sel:DWORD dst_unused:UNUSED_PAD src0_sel:DWORD src1_sel:WORD_1
.LBB272_185:
	s_mov_b64 s[0:1], 0
.LBB272_186:
	s_andn2_b64 vcc, exec, s[0:1]
	s_cbranch_vccnz .LBB272_188
; %bb.187:
	global_load_ubyte v2, v[0:1], off
	s_movk_i32 s0, 0x7f00
	s_brev_b32 s1, 16
	s_brev_b32 s12, 1
	s_movk_i32 s13, 0x7fff
	s_waitcnt vmcnt(0)
	v_lshlrev_b16_e32 v3, 8, v2
	v_lshlrev_b32_e32 v2, 25, v2
	v_lshrrev_b32_e32 v5, 4, v2
	v_and_or_b32 v6, v3, s0, 0.5
	v_or_b32_e32 v5, 0x70000000, v5
	v_add_f32_e32 v6, -0.5, v6
	v_mul_f32_e32 v5, 0x7800000, v5
	v_cmp_gt_u32_e32 vcc, s1, v2
	v_bfe_i32 v3, v3, 0, 16
	s_nop 0
	v_cndmask_b32_e32 v2, v5, v6, vcc
	v_and_or_b32 v3, v3, s12, v2
	v_bfe_u32 v2, v2, 16, 1
	v_add3_u32 v2, v3, v2, s13
	v_cmp_o_f32_e32 vcc, v3, v3
	v_mov_b32_e32 v3, 0x7fc0
	s_nop 0
	v_cndmask_b32_sdwa v2, v3, v2, vcc dst_sel:DWORD dst_unused:UNUSED_PAD src0_sel:DWORD src1_sel:WORD_1
.LBB272_188:
	s_mov_b64 s[12:13], 0
	s_mov_b64 s[0:1], -1
.LBB272_189:
	s_andn2_b64 vcc, exec, s[12:13]
	s_cbranch_vccnz .LBB272_202
; %bb.190:
	s_cmp_gt_i32 s22, 14
	s_cbranch_scc0 .LBB272_193
; %bb.191:
	s_cmp_eq_u32 s22, 15
	s_cbranch_scc0 .LBB272_196
; %bb.192:
	global_load_ushort v2, v[0:1], off
	s_mov_b64 s[0:1], -1
	s_mov_b64 s[14:15], 0
	s_branch .LBB272_197
.LBB272_193:
	s_mov_b64 s[12:13], -1
                                        ; implicit-def: $vgpr2
	s_branch .LBB272_198
.LBB272_194:
	s_or_saveexec_b64 s[12:13], s[12:13]
	v_mov_b32_e32 v3, 0x7f800001
	s_xor_b64 exec, exec, s[12:13]
	s_cbranch_execz .LBB272_175
.LBB272_195:
	v_cmp_ne_u16_e32 vcc, 0, v2
	s_andn2_b64 s[0:1], s[0:1], exec
	s_and_b64 s[18:19], vcc, exec
	v_mov_b32_e32 v3, 0
	s_or_b64 s[0:1], s[0:1], s[18:19]
	s_or_b64 exec, exec, s[12:13]
	s_and_saveexec_b64 s[12:13], s[0:1]
	s_cbranch_execnz .LBB272_176
	s_branch .LBB272_177
.LBB272_196:
	s_mov_b64 s[14:15], -1
                                        ; implicit-def: $vgpr2
.LBB272_197:
	s_mov_b64 s[12:13], 0
.LBB272_198:
	s_and_b64 vcc, exec, s[12:13]
	s_cbranch_vccz .LBB272_202
; %bb.199:
	s_cmp_eq_u32 s22, 11
	s_cbranch_scc0 .LBB272_201
; %bb.200:
	global_load_ubyte v2, v[0:1], off
	s_mov_b64 s[0:1], -1
	s_mov_b64 s[14:15], 0
	s_waitcnt vmcnt(0)
	v_cmp_ne_u16_e32 vcc, 0, v2
	s_nop 1
	v_cndmask_b32_e64 v2, 0, 1.0, vcc
	v_lshrrev_b32_e32 v2, 16, v2
	s_branch .LBB272_202
.LBB272_201:
	s_mov_b64 s[14:15], -1
                                        ; implicit-def: $vgpr2
.LBB272_202:
	s_branch .LBB272_10
.LBB272_203:
	s_cmp_lt_i32 s22, 5
	s_cbranch_scc1 .LBB272_208
; %bb.204:
	s_cmp_lt_i32 s22, 8
	s_cbranch_scc1 .LBB272_209
; %bb.205:
	;; [unrolled: 3-line block ×3, first 2 shown]
	s_cmp_gt_i32 s22, 9
	s_cbranch_scc0 .LBB272_211
; %bb.207:
	global_load_dwordx2 v[2:3], v[0:1], off
	s_movk_i32 s0, 0x7fff
	v_mov_b32_e32 v5, 0x7fc0
	s_waitcnt vmcnt(0)
	v_cvt_f32_f64_e32 v2, v[2:3]
	v_bfe_u32 v3, v2, 16, 1
	v_cmp_o_f32_e32 vcc, v2, v2
	v_add3_u32 v2, v2, v3, s0
	s_mov_b64 s[0:1], 0
	v_cndmask_b32_sdwa v2, v5, v2, vcc dst_sel:DWORD dst_unused:UNUSED_PAD src0_sel:DWORD src1_sel:WORD_1
	s_branch .LBB272_212
.LBB272_208:
                                        ; implicit-def: $vgpr2
	s_branch .LBB272_230
.LBB272_209:
	s_mov_b64 s[0:1], -1
                                        ; implicit-def: $vgpr2
	s_branch .LBB272_218
.LBB272_210:
	s_mov_b64 s[0:1], -1
                                        ; implicit-def: $vgpr2
	s_branch .LBB272_215
.LBB272_211:
	s_mov_b64 s[0:1], -1
                                        ; implicit-def: $vgpr2
.LBB272_212:
	s_andn2_b64 vcc, exec, s[0:1]
	s_cbranch_vccnz .LBB272_214
; %bb.213:
	global_load_dword v2, v[0:1], off
	s_movk_i32 s0, 0x7fff
	v_mov_b32_e32 v3, 0x7fc0
	s_waitcnt vmcnt(0)
	v_bfe_u32 v5, v2, 16, 1
	v_cmp_o_f32_e32 vcc, v2, v2
	v_add3_u32 v2, v2, v5, s0
	s_nop 0
	v_cndmask_b32_sdwa v2, v3, v2, vcc dst_sel:DWORD dst_unused:UNUSED_PAD src0_sel:DWORD src1_sel:WORD_1
.LBB272_214:
	s_mov_b64 s[0:1], 0
.LBB272_215:
	s_andn2_b64 vcc, exec, s[0:1]
	s_cbranch_vccnz .LBB272_217
; %bb.216:
	global_load_dword v2, v[0:1], off
	s_movk_i32 s0, 0x7fff
	v_mov_b32_e32 v5, 0x7fc0
	s_waitcnt vmcnt(0)
	v_cvt_f32_f16_e32 v3, v2
	v_cmp_o_f16_e32 vcc, v2, v2
	v_bfe_u32 v2, v3, 16, 1
	v_add3_u32 v2, v3, v2, s0
	v_cndmask_b32_sdwa v2, v5, v2, vcc dst_sel:DWORD dst_unused:UNUSED_PAD src0_sel:DWORD src1_sel:WORD_1
.LBB272_217:
	s_mov_b64 s[0:1], 0
.LBB272_218:
	s_andn2_b64 vcc, exec, s[0:1]
	s_cbranch_vccnz .LBB272_229
; %bb.219:
	s_cmp_lt_i32 s22, 6
	s_cbranch_scc1 .LBB272_222
; %bb.220:
	s_cmp_gt_i32 s22, 6
	s_cbranch_scc0 .LBB272_223
; %bb.221:
	global_load_dwordx2 v[2:3], v[0:1], off
	s_movk_i32 s0, 0x7fff
	v_mov_b32_e32 v5, 0x7fc0
	s_waitcnt vmcnt(0)
	v_cvt_f32_f64_e32 v2, v[2:3]
	v_bfe_u32 v3, v2, 16, 1
	v_cmp_o_f32_e32 vcc, v2, v2
	v_add3_u32 v2, v2, v3, s0
	s_mov_b64 s[0:1], 0
	v_cndmask_b32_sdwa v2, v5, v2, vcc dst_sel:DWORD dst_unused:UNUSED_PAD src0_sel:DWORD src1_sel:WORD_1
	s_branch .LBB272_224
.LBB272_222:
	s_mov_b64 s[0:1], -1
                                        ; implicit-def: $vgpr2
	s_branch .LBB272_227
.LBB272_223:
	s_mov_b64 s[0:1], -1
                                        ; implicit-def: $vgpr2
.LBB272_224:
	s_andn2_b64 vcc, exec, s[0:1]
	s_cbranch_vccnz .LBB272_226
; %bb.225:
	global_load_dword v2, v[0:1], off
	s_movk_i32 s0, 0x7fff
	v_mov_b32_e32 v3, 0x7fc0
	s_waitcnt vmcnt(0)
	v_bfe_u32 v5, v2, 16, 1
	v_cmp_o_f32_e32 vcc, v2, v2
	v_add3_u32 v2, v2, v5, s0
	s_nop 0
	v_cndmask_b32_sdwa v2, v3, v2, vcc dst_sel:DWORD dst_unused:UNUSED_PAD src0_sel:DWORD src1_sel:WORD_1
.LBB272_226:
	s_mov_b64 s[0:1], 0
.LBB272_227:
	s_andn2_b64 vcc, exec, s[0:1]
	s_cbranch_vccnz .LBB272_229
; %bb.228:
	global_load_ushort v2, v[0:1], off
	s_movk_i32 s0, 0x7fff
	v_mov_b32_e32 v5, 0x7fc0
	s_waitcnt vmcnt(0)
	v_cvt_f32_f16_e32 v3, v2
	v_cmp_o_f16_e32 vcc, v2, v2
	v_bfe_u32 v2, v3, 16, 1
	v_add3_u32 v2, v3, v2, s0
	v_cndmask_b32_sdwa v2, v5, v2, vcc dst_sel:DWORD dst_unused:UNUSED_PAD src0_sel:DWORD src1_sel:WORD_1
.LBB272_229:
	s_cbranch_execnz .LBB272_249
.LBB272_230:
	s_cmp_lt_i32 s22, 2
	s_cbranch_scc1 .LBB272_234
; %bb.231:
	s_cmp_lt_i32 s22, 3
	s_cbranch_scc1 .LBB272_235
; %bb.232:
	s_cmp_gt_i32 s22, 3
	s_cbranch_scc0 .LBB272_236
; %bb.233:
	global_load_dwordx2 v[2:3], v[0:1], off
	s_movk_i32 s0, 0x7fff
	s_waitcnt vmcnt(0)
	v_xor_b32_e32 v6, v2, v3
	v_ffbh_i32_e32 v5, v3
	v_ashrrev_i32_e32 v6, 31, v6
	v_add_u32_e32 v5, -1, v5
	v_add_u32_e32 v6, 32, v6
	v_min_u32_e32 v5, v5, v6
	v_lshlrev_b64 v[2:3], v5, v[2:3]
	v_min_u32_e32 v2, 1, v2
	v_or_b32_e32 v2, v3, v2
	v_cvt_f32_i32_e32 v2, v2
	v_sub_u32_e32 v3, 32, v5
	v_ldexp_f32 v2, v2, v3
	v_bfe_u32 v3, v2, 16, 1
	v_add3_u32 v2, v2, v3, s0
	v_lshrrev_b32_e32 v2, 16, v2
	s_mov_b64 s[0:1], 0
	s_branch .LBB272_237
.LBB272_234:
	s_mov_b64 s[0:1], -1
                                        ; implicit-def: $vgpr2
	s_branch .LBB272_243
.LBB272_235:
	s_mov_b64 s[0:1], -1
                                        ; implicit-def: $vgpr2
	s_branch .LBB272_240
.LBB272_236:
	s_mov_b64 s[0:1], -1
                                        ; implicit-def: $vgpr2
.LBB272_237:
	s_andn2_b64 vcc, exec, s[0:1]
	s_cbranch_vccnz .LBB272_239
; %bb.238:
	global_load_dword v2, v[0:1], off
	s_movk_i32 s0, 0x7fff
	s_waitcnt vmcnt(0)
	v_cvt_f32_i32_e32 v2, v2
	v_bfe_u32 v3, v2, 16, 1
	v_add3_u32 v2, v2, v3, s0
	v_lshrrev_b32_e32 v2, 16, v2
.LBB272_239:
	s_mov_b64 s[0:1], 0
.LBB272_240:
	s_andn2_b64 vcc, exec, s[0:1]
	s_cbranch_vccnz .LBB272_242
; %bb.241:
	global_load_sshort v2, v[0:1], off
	s_movk_i32 s0, 0x7fff
	s_waitcnt vmcnt(0)
	v_cvt_f32_i32_e32 v2, v2
	v_bfe_u32 v3, v2, 16, 1
	v_add3_u32 v2, v2, v3, s0
	v_lshrrev_b32_e32 v2, 16, v2
.LBB272_242:
	s_mov_b64 s[0:1], 0
.LBB272_243:
	s_andn2_b64 vcc, exec, s[0:1]
	s_cbranch_vccnz .LBB272_249
; %bb.244:
	s_cmp_gt_i32 s22, 0
	s_cbranch_scc0 .LBB272_246
; %bb.245:
	global_load_sbyte v2, v[0:1], off
	s_movk_i32 s0, 0x7fff
	s_waitcnt vmcnt(0)
	v_cvt_f32_i32_e32 v2, v2
	v_bfe_u32 v3, v2, 16, 1
	v_add3_u32 v2, v2, v3, s0
	v_lshrrev_b32_e32 v2, 16, v2
	s_mov_b64 s[0:1], 0
	s_branch .LBB272_247
.LBB272_246:
	s_mov_b64 s[0:1], -1
                                        ; implicit-def: $vgpr2
.LBB272_247:
	s_andn2_b64 vcc, exec, s[0:1]
	s_cbranch_vccnz .LBB272_249
; %bb.248:
	global_load_ubyte v0, v[0:1], off
	s_movk_i32 s0, 0x7fff
	s_waitcnt vmcnt(0)
	v_cvt_f32_ubyte0_e32 v0, v0
	v_bfe_u32 v1, v0, 16, 1
	v_add3_u32 v0, v0, v1, s0
	v_lshrrev_b32_e32 v2, 16, v0
.LBB272_249:
	s_branch .LBB272_11
.LBB272_250:
	s_mov_b64 s[0:1], 0
                                        ; implicit-def: $vgpr4
	s_mov_b64 s[18:19], 0
.LBB272_251:
	s_and_b64 s[12:13], s[0:1], exec
	s_and_b64 s[14:15], s[14:15], exec
	s_orn2_b64 s[18:19], s[18:19], exec
.LBB272_252:
	s_or_b64 exec, exec, s[16:17]
	s_mov_b64 s[22:23], 0
	s_mov_b64 s[0:1], 0
                                        ; implicit-def: $vgpr0_vgpr1
                                        ; implicit-def: $vgpr3
	s_and_saveexec_b64 s[16:17], s[18:19]
	s_cbranch_execz .LBB272_261
; %bb.253:
	v_cmp_gt_i32_e32 vcc, s38, v4
	s_mov_b64 s[0:1], -1
	s_mov_b64 s[18:19], s[14:15]
	s_mov_b64 s[20:21], s[12:13]
	s_and_saveexec_b64 s[22:23], vcc
	s_cbranch_execz .LBB272_514
; %bb.254:
	v_mul_lo_u32 v0, v4, s9
	v_ashrrev_i32_e32 v1, 31, v0
	s_and_b32 s26, 0xffff, s42
	s_cmp_lt_i32 s26, 11
	v_lshl_add_u64 v[0:1], s[6:7], 0, v[0:1]
	s_cbranch_scc1 .LBB272_264
; %bb.255:
	s_cmp_gt_i32 s26, 25
	s_cbranch_scc0 .LBB272_273
; %bb.256:
	s_cmp_gt_i32 s26, 28
	s_cbranch_scc0 .LBB272_275
	;; [unrolled: 3-line block ×4, first 2 shown]
; %bb.259:
	s_cmp_eq_u32 s26, 46
	s_mov_b64 s[20:21], 0
	s_cbranch_scc0 .LBB272_285
; %bb.260:
	global_load_dword v2, v[0:1], off
	s_mov_b64 s[18:19], 0
	s_branch .LBB272_286
.LBB272_261:
	s_or_b64 exec, exec, s[16:17]
	s_mov_b64 s[16:17], 0
	s_and_saveexec_b64 s[18:19], s[14:15]
	s_cbranch_execnz .LBB272_861
.LBB272_262:
	s_or_b64 exec, exec, s[18:19]
	s_and_saveexec_b64 s[14:15], s[20:21]
	s_xor_b64 s[14:15], exec, s[14:15]
	s_cbranch_execz .LBB272_862
.LBB272_263:
	global_load_ubyte v2, v[0:1], off
	s_or_b64 s[0:1], s[0:1], exec
	s_waitcnt vmcnt(0)
	v_cmp_ne_u16_e32 vcc, 0, v2
	s_nop 1
	v_cndmask_b32_e64 v2, 0, 1.0, vcc
	v_lshrrev_b32_e32 v3, 16, v2
	s_or_b64 exec, exec, s[14:15]
	s_and_saveexec_b64 s[14:15], s[22:23]
	s_cbranch_execz .LBB272_908
	s_branch .LBB272_863
.LBB272_264:
	s_mov_b64 s[0:1], 0
                                        ; implicit-def: $vgpr2
	s_mov_b64 s[18:19], s[14:15]
	s_cbranch_execnz .LBB272_463
.LBB272_265:
	s_andn2_b64 vcc, exec, s[0:1]
	s_cbranch_vccnz .LBB272_511
.LBB272_266:
	s_waitcnt vmcnt(0)
	v_lshlrev_b32_e32 v0, 16, v2
	s_mov_b32 s0, 0xf800000
	v_mul_f32_e32 v1, 0x4f800000, v0
	v_cmp_gt_f32_e32 vcc, s0, v0
	s_and_b32 s28, s33, 0xff
	s_cmp_lt_i32 s28, 11
	v_cndmask_b32_e32 v1, v0, v1, vcc
	v_sqrt_f32_e32 v2, v1
	s_nop 0
	v_add_u32_e32 v3, -1, v2
	v_fma_f32 v5, -v3, v2, v1
	v_cmp_ge_f32_e64 s[0:1], 0, v5
	v_add_u32_e32 v5, 1, v2
	s_nop 0
	v_cndmask_b32_e64 v3, v2, v3, s[0:1]
	v_fma_f32 v2, -v5, v2, v1
	v_cmp_lt_f32_e64 s[0:1], 0, v2
	s_nop 1
	v_cndmask_b32_e64 v2, v3, v5, s[0:1]
	v_mul_f32_e32 v3, 0x37800000, v2
	v_cndmask_b32_e32 v2, v2, v3, vcc
	v_mov_b32_e32 v3, 0x260
	v_cmp_class_f32_e32 vcc, v1, v3
	s_movk_i32 s0, 0x7fff
	s_nop 0
	v_cndmask_b32_e32 v1, v2, v1, vcc
	v_bfe_u32 v2, v1, 16, 1
	v_add3_u32 v1, v1, v2, s0
	v_cmp_le_f32_e32 vcc, 0, v0
	v_mov_b32_e32 v0, 0x7fc0
	s_nop 0
	v_cndmask_b32_sdwa v2, v0, v1, vcc dst_sel:DWORD dst_unused:UNUSED_PAD src0_sel:DWORD src1_sel:WORD_1
	v_mul_lo_u32 v0, v4, s8
	v_ashrrev_i32_e32 v1, 31, v0
	v_lshl_add_u64 v[0:1], s[4:5], 0, v[0:1]
	s_cbranch_scc1 .LBB272_274
; %bb.267:
	s_and_b32 s29, 0xffff, s28
	s_cmp_gt_i32 s29, 25
	s_cbranch_scc0 .LBB272_276
; %bb.268:
	s_cmp_gt_i32 s29, 28
	s_cbranch_scc0 .LBB272_278
; %bb.269:
	;; [unrolled: 3-line block ×4, first 2 shown]
	s_mov_b64 s[24:25], 0
	s_mov_b64 s[0:1], -1
	s_cmp_eq_u32 s29, 46
	s_mov_b64 s[20:21], 0
	s_cbranch_scc0 .LBB272_290
; %bb.272:
	v_and_b32_e32 v3, 0xffff, v2
	global_store_dword v[0:1], v3, off
	s_mov_b64 s[20:21], -1
	s_mov_b64 s[0:1], 0
	s_branch .LBB272_290
.LBB272_273:
	s_mov_b64 s[20:21], -1
	s_mov_b64 s[0:1], 0
	s_mov_b64 s[18:19], s[14:15]
                                        ; implicit-def: $vgpr2
	s_branch .LBB272_427
.LBB272_274:
	s_mov_b64 s[24:25], -1
	s_mov_b64 s[20:21], 0
	s_mov_b64 s[0:1], s[12:13]
	s_branch .LBB272_359
.LBB272_275:
	s_mov_b64 s[20:21], -1
	s_mov_b64 s[0:1], 0
	s_mov_b64 s[18:19], s[14:15]
                                        ; implicit-def: $vgpr2
	s_branch .LBB272_408
.LBB272_276:
	s_mov_b64 s[24:25], -1
	s_mov_b64 s[20:21], 0
	s_mov_b64 s[0:1], s[12:13]
	s_branch .LBB272_317
.LBB272_277:
	s_mov_b64 s[20:21], -1
	s_mov_b64 s[0:1], 0
	s_mov_b64 s[18:19], s[14:15]
                                        ; implicit-def: $vgpr2
	s_branch .LBB272_403
.LBB272_278:
	s_mov_b64 s[24:25], -1
	s_mov_b64 s[20:21], 0
	s_mov_b64 s[0:1], s[12:13]
	s_branch .LBB272_300
.LBB272_279:
	s_andn2_saveexec_b64 s[22:23], s[22:23]
	s_cbranch_execz .LBB272_55
.LBB272_280:
	s_mov_b32 s26, 0x46000000
	v_add_f32_e64 v5, |v6|, s26
	v_and_b32_e32 v5, 0xff, v5
	v_cmp_ne_u32_e32 vcc, 0, v5
	s_andn2_b64 s[18:19], s[18:19], exec
	s_and_b64 s[26:27], vcc, exec
	s_or_b64 s[18:19], s[18:19], s[26:27]
	s_or_b64 exec, exec, s[22:23]
	v_mov_b32_e32 v7, 0
	s_and_saveexec_b64 s[22:23], s[18:19]
	s_cbranch_execnz .LBB272_56
	s_branch .LBB272_57
.LBB272_281:
	s_mov_b64 s[20:21], -1
	s_mov_b64 s[0:1], 0
	s_mov_b64 s[18:19], s[14:15]
                                        ; implicit-def: $vgpr2
	s_branch .LBB272_286
.LBB272_282:
	s_mov_b64 s[24:25], -1
	s_mov_b64 s[20:21], 0
	s_mov_b64 s[0:1], s[12:13]
	s_branch .LBB272_296
.LBB272_283:
	s_andn2_saveexec_b64 s[22:23], s[22:23]
	s_cbranch_execz .LBB272_68
.LBB272_284:
	s_mov_b32 s26, 0x42800000
	v_add_f32_e64 v5, |v6|, s26
	v_and_b32_e32 v5, 0xff, v5
	v_cmp_ne_u32_e32 vcc, 0, v5
	s_andn2_b64 s[18:19], s[18:19], exec
	s_and_b64 s[26:27], vcc, exec
	s_or_b64 s[18:19], s[18:19], s[26:27]
	s_or_b64 exec, exec, s[22:23]
	v_mov_b32_e32 v7, 0
	s_and_saveexec_b64 s[22:23], s[18:19]
	s_cbranch_execnz .LBB272_69
	s_branch .LBB272_70
.LBB272_285:
	s_mov_b64 s[18:19], -1
                                        ; implicit-def: $vgpr2
	s_mov_b64 s[0:1], 0
.LBB272_286:
	s_and_b64 vcc, exec, s[20:21]
	s_cbranch_vccz .LBB272_402
; %bb.287:
	s_cmp_eq_u32 s26, 44
	s_cbranch_scc0 .LBB272_401
; %bb.288:
	global_load_ubyte v2, v[0:1], off
	s_movk_i32 s18, 0xff
	v_mov_b32_e32 v3, 0x7f800001
	v_mov_b32_e32 v5, 0x400000
	;; [unrolled: 1-line block ×3, first 2 shown]
	s_mov_b64 s[0:1], -1
	s_waitcnt vmcnt(0)
	v_lshlrev_b32_e32 v7, 23, v2
	v_cmp_ne_u32_e32 vcc, s18, v2
	s_mov_b64 s[18:19], 0
	s_nop 0
	v_cndmask_b32_e32 v3, v3, v7, vcc
	v_cmp_ne_u32_e32 vcc, 0, v2
	s_nop 1
	v_cndmask_b32_e32 v2, v5, v3, vcc
	v_add_u32_e32 v3, 0x7fff, v2
	v_cmp_o_f32_e32 vcc, v2, v2
	s_nop 1
	v_cndmask_b32_sdwa v2, v6, v3, vcc dst_sel:DWORD dst_unused:UNUSED_PAD src0_sel:DWORD src1_sel:WORD_1
	s_branch .LBB272_402
.LBB272_289:
	s_mov_b64 s[24:25], -1
	s_mov_b64 s[20:21], 0
	s_mov_b64 s[0:1], s[12:13]
.LBB272_290:
	s_and_b64 vcc, exec, s[24:25]
	s_cbranch_vccz .LBB272_295
; %bb.291:
	s_cmp_eq_u32 s29, 44
	s_mov_b64 s[0:1], -1
	s_cbranch_scc0 .LBB272_295
; %bb.292:
	v_and_b32_e32 v5, 0xffff, v2
	v_bfe_u32 v3, v5, 7, 8
	s_movk_i32 s0, 0xff
	v_cmp_ne_u32_e32 vcc, s0, v3
	v_mov_b32_e32 v6, 0xff
	s_and_saveexec_b64 s[20:21], vcc
	s_cbranch_execz .LBB272_294
; %bb.293:
	v_lshlrev_b32_e32 v7, 16, v5
	s_mov_b32 s0, 0x3f0000
	v_lshrrev_b32_e32 v6, 7, v5
	v_and_b32_e32 v5, 64, v5
	v_and_or_b32 v3, v7, s0, v3
	v_cmp_ne_u32_e32 vcc, 0, v5
	v_cmp_ne_u32_e64 s[0:1], 0, v3
	s_and_b64 s[0:1], vcc, s[0:1]
	s_nop 0
	v_cndmask_b32_e64 v3, 0, 1, s[0:1]
	v_add_u32_e32 v6, v6, v3
.LBB272_294:
	s_or_b64 exec, exec, s[20:21]
	s_mov_b64 s[20:21], -1
	s_mov_b64 s[0:1], 0
	global_store_byte v[0:1], v6, off
.LBB272_295:
	s_mov_b64 s[24:25], 0
.LBB272_296:
	s_and_b64 vcc, exec, s[24:25]
	s_cbranch_vccz .LBB272_299
; %bb.297:
	s_cmp_eq_u32 s29, 29
	s_mov_b64 s[0:1], -1
	s_cbranch_scc0 .LBB272_299
; %bb.298:
	v_lshlrev_b32_e32 v3, 16, v2
	v_trunc_f32_e32 v3, v3
	v_mul_f32_e32 v5, 0x2f800000, v3
	v_floor_f32_e32 v5, v5
	v_fmamk_f32 v3, v5, 0xcf800000, v3
	v_cvt_u32_f32_e32 v7, v5
	v_cvt_u32_f32_e32 v6, v3
	s_mov_b64 s[20:21], -1
	s_mov_b64 s[0:1], 0
	s_mov_b64 s[24:25], 0
	global_store_dwordx2 v[0:1], v[6:7], off
	s_branch .LBB272_300
.LBB272_299:
	s_mov_b64 s[24:25], 0
.LBB272_300:
	s_and_b64 vcc, exec, s[24:25]
	s_cbranch_vccz .LBB272_316
; %bb.301:
	s_cmp_lt_i32 s29, 27
	s_mov_b64 s[20:21], -1
	s_cbranch_scc1 .LBB272_307
; %bb.302:
	s_cmp_gt_i32 s29, 27
	s_cbranch_scc0 .LBB272_304
; %bb.303:
	v_lshlrev_b32_e32 v3, 16, v2
	v_cvt_u32_f32_e32 v3, v3
	s_mov_b64 s[20:21], 0
	global_store_dword v[0:1], v3, off
.LBB272_304:
	s_andn2_b64 vcc, exec, s[20:21]
	s_cbranch_vccnz .LBB272_306
; %bb.305:
	v_lshlrev_b32_e32 v3, 16, v2
	v_cvt_u32_f32_e32 v3, v3
	global_store_short v[0:1], v3, off
.LBB272_306:
	s_mov_b64 s[20:21], 0
.LBB272_307:
	s_andn2_b64 vcc, exec, s[20:21]
	s_cbranch_vccnz .LBB272_315
; %bb.308:
	v_lshlrev_b32_e32 v6, 16, v2
	v_and_b32_e32 v5, 0x7fffffff, v6
	s_mov_b32 s20, 0x43800000
	v_cmp_gt_u32_e32 vcc, s20, v5
	v_mov_b32_e32 v7, 0x80
	s_and_saveexec_b64 s[20:21], vcc
	s_cbranch_execz .LBB272_314
; %bb.309:
	s_mov_b32 s24, 0x3bffffff
	v_and_b32_e32 v3, 0xffff, v2
	v_cmp_lt_u32_e32 vcc, s24, v5
	s_mov_b64 s[24:25], 0
                                        ; implicit-def: $vgpr5
	s_and_saveexec_b64 s[26:27], vcc
	s_xor_b64 s[26:27], exec, s[26:27]
	s_cbranch_execz .LBB272_527
; %bb.310:
	v_bfe_u32 v5, v3, 4, 1
	s_mov_b32 s30, 0x487ffff
	v_add3_u32 v5, v6, v5, s30
	s_mov_b64 s[24:25], exec
	v_lshrrev_b32_e32 v5, 20, v5
                                        ; implicit-def: $vgpr6
	s_andn2_saveexec_b64 s[26:27], s[26:27]
	s_cbranch_execnz .LBB272_528
.LBB272_311:
	s_or_b64 exec, exec, s[26:27]
	v_mov_b32_e32 v7, 0
	s_and_saveexec_b64 s[26:27], s[24:25]
.LBB272_312:
	v_lshrrev_b32_e32 v3, 8, v3
	s_movk_i32 s24, 0x80
	v_and_or_b32 v7, v3, s24, v5
.LBB272_313:
	s_or_b64 exec, exec, s[26:27]
.LBB272_314:
	s_or_b64 exec, exec, s[20:21]
	global_store_byte v[0:1], v7, off
.LBB272_315:
	s_mov_b64 s[20:21], -1
.LBB272_316:
	s_mov_b64 s[24:25], 0
.LBB272_317:
	s_and_b64 vcc, exec, s[24:25]
	s_cbranch_vccz .LBB272_358
; %bb.318:
	s_cmp_gt_i32 s29, 22
	s_mov_b64 s[24:25], -1
	s_cbranch_scc0 .LBB272_350
; %bb.319:
	s_cmp_lt_i32 s29, 24
	s_mov_b64 s[20:21], -1
	s_cbranch_scc1 .LBB272_339
; %bb.320:
	s_cmp_gt_i32 s29, 24
	s_cbranch_scc0 .LBB272_328
; %bb.321:
	v_lshlrev_b32_e32 v6, 16, v2
	v_and_b32_e32 v5, 0x7fffffff, v6
	s_mov_b32 s20, 0x47800000
	v_cmp_gt_u32_e32 vcc, s20, v5
	v_mov_b32_e32 v7, 0x80
	s_and_saveexec_b64 s[20:21], vcc
	s_cbranch_execz .LBB272_327
; %bb.322:
	s_mov_b32 s24, 0x37ffffff
	v_and_b32_e32 v3, 0xffff, v2
	v_cmp_lt_u32_e32 vcc, s24, v5
	s_mov_b64 s[24:25], 0
                                        ; implicit-def: $vgpr5
	s_and_saveexec_b64 s[26:27], vcc
	s_xor_b64 s[26:27], exec, s[26:27]
	s_cbranch_execz .LBB272_530
; %bb.323:
	v_bfe_u32 v5, v3, 5, 1
	s_mov_b32 s30, 0x88fffff
	v_add3_u32 v5, v6, v5, s30
	s_mov_b64 s[24:25], exec
	v_lshrrev_b32_e32 v5, 21, v5
                                        ; implicit-def: $vgpr6
	s_andn2_saveexec_b64 s[26:27], s[26:27]
	s_cbranch_execnz .LBB272_531
.LBB272_324:
	s_or_b64 exec, exec, s[26:27]
	v_mov_b32_e32 v7, 0
	s_and_saveexec_b64 s[26:27], s[24:25]
.LBB272_325:
	v_lshrrev_b32_e32 v3, 8, v3
	s_movk_i32 s24, 0x80
	v_and_or_b32 v7, v3, s24, v5
.LBB272_326:
	s_or_b64 exec, exec, s[26:27]
.LBB272_327:
	s_or_b64 exec, exec, s[20:21]
	s_mov_b64 s[20:21], 0
	global_store_byte v[0:1], v7, off
.LBB272_328:
	s_and_b64 vcc, exec, s[20:21]
	s_cbranch_vccz .LBB272_338
; %bb.329:
	v_lshlrev_b32_e32 v6, 16, v2
	v_and_b32_e32 v7, 0x7fffffff, v6
	s_mov_b32 s20, 0x43f00000
	v_and_b32_e32 v3, 0xffff, v2
	v_cmp_gt_u32_e32 vcc, s20, v7
                                        ; implicit-def: $vgpr5
	s_and_saveexec_b64 s[20:21], vcc
	s_xor_b64 s[20:21], exec, s[20:21]
	s_cbranch_execz .LBB272_335
; %bb.330:
	s_mov_b32 s24, 0x3c7fffff
	v_cmp_lt_u32_e32 vcc, s24, v7
                                        ; implicit-def: $vgpr5
	s_and_saveexec_b64 s[24:25], vcc
	s_xor_b64 s[24:25], exec, s[24:25]
; %bb.331:
	v_bfe_u32 v5, v3, 4, 1
	s_mov_b32 s26, 0x407ffff
	v_add3_u32 v5, v6, v5, s26
	v_lshrrev_b32_e32 v6, 20, v5
	v_and_b32_e32 v5, 0xff00000, v5
	s_mov_b32 s26, 0x7f00000
	v_mov_b32_e32 v7, 0x7e
	v_cmp_ne_u32_e32 vcc, s26, v5
	s_nop 1
	v_cndmask_b32_e32 v5, v7, v6, vcc
                                        ; implicit-def: $vgpr6
; %bb.332:
	s_andn2_saveexec_b64 s[24:25], s[24:25]
; %bb.333:
	s_mov_b32 s26, 0x46800000
	v_add_f32_e64 v5, |v6|, s26
; %bb.334:
	s_or_b64 exec, exec, s[24:25]
                                        ; implicit-def: $vgpr7
.LBB272_335:
	s_andn2_saveexec_b64 s[20:21], s[20:21]
; %bb.336:
	s_mov_b32 s24, 0x7f800000
	v_mov_b32_e32 v5, 0x7e
	v_mov_b32_e32 v6, 0x7f
	v_cmp_lt_u32_e32 vcc, s24, v7
	s_nop 1
	v_cndmask_b32_e32 v5, v5, v6, vcc
; %bb.337:
	s_or_b64 exec, exec, s[20:21]
	v_lshrrev_b32_e32 v3, 8, v3
	s_movk_i32 s20, 0x80
	v_and_or_b32 v3, v3, s20, v5
	global_store_byte v[0:1], v3, off
.LBB272_338:
	s_mov_b64 s[20:21], 0
.LBB272_339:
	s_andn2_b64 vcc, exec, s[20:21]
	s_cbranch_vccnz .LBB272_349
; %bb.340:
	v_lshlrev_b32_e32 v6, 16, v2
	v_and_b32_e32 v7, 0x7fffffff, v6
	s_mov_b32 s20, 0x47800000
	v_and_b32_e32 v3, 0xffff, v2
	v_cmp_gt_u32_e32 vcc, s20, v7
                                        ; implicit-def: $vgpr5
	s_and_saveexec_b64 s[20:21], vcc
	s_xor_b64 s[20:21], exec, s[20:21]
	s_cbranch_execz .LBB272_346
; %bb.341:
	s_mov_b32 s24, 0x387fffff
	v_cmp_lt_u32_e32 vcc, s24, v7
                                        ; implicit-def: $vgpr5
	s_and_saveexec_b64 s[24:25], vcc
	s_xor_b64 s[24:25], exec, s[24:25]
; %bb.342:
	v_bfe_u32 v5, v3, 5, 1
	s_mov_b32 s26, 0x80fffff
	v_add3_u32 v5, v6, v5, s26
	v_lshrrev_b32_e32 v5, 21, v5
                                        ; implicit-def: $vgpr6
; %bb.343:
	s_andn2_saveexec_b64 s[24:25], s[24:25]
; %bb.344:
	s_mov_b32 s26, 0x43000000
	v_add_f32_e64 v5, |v6|, s26
; %bb.345:
	s_or_b64 exec, exec, s[24:25]
                                        ; implicit-def: $vgpr7
.LBB272_346:
	s_andn2_saveexec_b64 s[20:21], s[20:21]
; %bb.347:
	s_mov_b32 s24, 0x7f800000
	v_mov_b32_e32 v5, 0x7c
	v_mov_b32_e32 v6, 0x7f
	v_cmp_lt_u32_e32 vcc, s24, v7
	s_nop 1
	v_cndmask_b32_e32 v5, v5, v6, vcc
; %bb.348:
	s_or_b64 exec, exec, s[20:21]
	v_lshrrev_b32_e32 v3, 8, v3
	s_movk_i32 s20, 0x80
	v_and_or_b32 v3, v3, s20, v5
	global_store_byte v[0:1], v3, off
.LBB272_349:
	s_mov_b64 s[24:25], 0
	s_mov_b64 s[20:21], -1
.LBB272_350:
	s_andn2_b64 vcc, exec, s[24:25]
	s_cbranch_vccnz .LBB272_358
; %bb.351:
	s_cmp_gt_i32 s29, 14
	s_mov_b64 s[24:25], -1
	s_cbranch_scc0 .LBB272_355
; %bb.352:
	s_cmp_eq_u32 s29, 15
	s_mov_b64 s[0:1], -1
	s_cbranch_scc0 .LBB272_354
; %bb.353:
	global_store_short v[0:1], v2, off
	s_mov_b64 s[20:21], -1
	s_mov_b64 s[0:1], 0
.LBB272_354:
	s_mov_b64 s[24:25], 0
.LBB272_355:
	s_and_b64 vcc, exec, s[24:25]
	s_cbranch_vccz .LBB272_358
; %bb.356:
	s_cmp_eq_u32 s29, 11
	s_mov_b64 s[0:1], -1
	s_cbranch_scc0 .LBB272_358
; %bb.357:
	v_and_b32_e32 v3, 0x7fff, v2
	v_cmp_ne_u16_e32 vcc, 0, v3
	s_mov_b64 s[20:21], -1
	s_mov_b64 s[0:1], 0
	v_cndmask_b32_e64 v3, 0, 1, vcc
	global_store_byte v[0:1], v3, off
.LBB272_358:
	s_mov_b64 s[24:25], 0
.LBB272_359:
	s_and_b64 vcc, exec, s[24:25]
	s_cbranch_vccz .LBB272_398
; %bb.360:
	s_and_b32 s24, 0xffff, s28
	s_cmp_lt_i32 s24, 5
	s_mov_b64 s[20:21], -1
	s_cbranch_scc1 .LBB272_381
; %bb.361:
	s_cmp_lt_i32 s24, 8
	s_cbranch_scc1 .LBB272_371
; %bb.362:
	s_cmp_lt_i32 s24, 9
	s_cbranch_scc1 .LBB272_368
; %bb.363:
	s_cmp_gt_i32 s24, 9
	s_cbranch_scc0 .LBB272_365
; %bb.364:
	v_lshlrev_b32_e32 v3, 16, v2
	v_mov_b32_e32 v8, 0
	v_cvt_f64_f32_e32 v[6:7], v3
	v_mov_b32_e32 v9, v8
	s_mov_b64 s[20:21], 0
	global_store_dwordx4 v[0:1], v[6:9], off
.LBB272_365:
	s_andn2_b64 vcc, exec, s[20:21]
	s_cbranch_vccnz .LBB272_367
; %bb.366:
	v_lshlrev_b32_e32 v6, 16, v2
	v_mov_b32_e32 v7, 0
	global_store_dwordx2 v[0:1], v[6:7], off
.LBB272_367:
	s_mov_b64 s[20:21], 0
.LBB272_368:
	s_andn2_b64 vcc, exec, s[20:21]
	s_cbranch_vccnz .LBB272_370
; %bb.369:
	v_lshlrev_b32_e32 v3, 16, v2
	v_cvt_f16_f32_e32 v3, v3
	global_store_dword v[0:1], v3, off
.LBB272_370:
	s_mov_b64 s[20:21], 0
.LBB272_371:
	s_andn2_b64 vcc, exec, s[20:21]
	s_cbranch_vccnz .LBB272_380
; %bb.372:
	s_cmp_lt_i32 s24, 6
	s_mov_b64 s[20:21], -1
	s_cbranch_scc1 .LBB272_378
; %bb.373:
	s_cmp_gt_i32 s24, 6
	s_cbranch_scc0 .LBB272_375
; %bb.374:
	v_lshlrev_b32_e32 v3, 16, v2
	v_cvt_f64_f32_e32 v[6:7], v3
	s_mov_b64 s[20:21], 0
	global_store_dwordx2 v[0:1], v[6:7], off
.LBB272_375:
	s_andn2_b64 vcc, exec, s[20:21]
	s_cbranch_vccnz .LBB272_377
; %bb.376:
	v_lshlrev_b32_e32 v3, 16, v2
	global_store_dword v[0:1], v3, off
.LBB272_377:
	s_mov_b64 s[20:21], 0
.LBB272_378:
	s_andn2_b64 vcc, exec, s[20:21]
	s_cbranch_vccnz .LBB272_380
; %bb.379:
	v_lshlrev_b32_e32 v3, 16, v2
	v_cvt_f16_f32_e32 v3, v3
	global_store_short v[0:1], v3, off
.LBB272_380:
	s_mov_b64 s[20:21], 0
.LBB272_381:
	s_andn2_b64 vcc, exec, s[20:21]
	s_cbranch_vccnz .LBB272_397
; %bb.382:
	s_cmp_lt_i32 s24, 2
	s_mov_b64 s[20:21], -1
	s_cbranch_scc1 .LBB272_392
; %bb.383:
	s_cmp_lt_i32 s24, 3
	s_cbranch_scc1 .LBB272_389
; %bb.384:
	s_cmp_gt_i32 s24, 3
	s_cbranch_scc0 .LBB272_386
; %bb.385:
	v_lshlrev_b32_e32 v3, 16, v2
	v_trunc_f32_e32 v3, v3
	s_mov_b32 s20, 0x2f800000
	v_mul_f32_e64 v5, |v3|, s20
	v_floor_f32_e32 v5, v5
	s_mov_b32 s20, 0xcf800000
	v_cvt_u32_f32_e32 v6, v5
	v_fma_f32 v5, v5, s20, |v3|
	v_cvt_u32_f32_e32 v5, v5
	v_ashrrev_i32_e32 v3, 31, v3
	v_xor_b32_e32 v7, v6, v3
	s_mov_b64 s[20:21], 0
	v_xor_b32_e32 v5, v5, v3
	v_sub_co_u32_e32 v6, vcc, v5, v3
	s_nop 1
	v_subb_co_u32_e32 v7, vcc, v7, v3, vcc
	global_store_dwordx2 v[0:1], v[6:7], off
.LBB272_386:
	s_andn2_b64 vcc, exec, s[20:21]
	s_cbranch_vccnz .LBB272_388
; %bb.387:
	v_lshlrev_b32_e32 v3, 16, v2
	v_cvt_i32_f32_e32 v3, v3
	global_store_dword v[0:1], v3, off
.LBB272_388:
	s_mov_b64 s[20:21], 0
.LBB272_389:
	s_andn2_b64 vcc, exec, s[20:21]
	s_cbranch_vccnz .LBB272_391
; %bb.390:
	v_lshlrev_b32_e32 v3, 16, v2
	v_cvt_i32_f32_e32 v3, v3
	global_store_short v[0:1], v3, off
.LBB272_391:
	s_mov_b64 s[20:21], 0
.LBB272_392:
	s_andn2_b64 vcc, exec, s[20:21]
	s_cbranch_vccnz .LBB272_397
; %bb.393:
	s_mov_b64 s[20:21], -1
	s_cmp_gt_i32 s24, 0
	v_lshlrev_b32_e32 v2, 16, v2
	s_cbranch_scc0 .LBB272_395
; %bb.394:
	v_cvt_i32_f32_e32 v3, v2
	s_mov_b64 s[20:21], 0
	global_store_byte v[0:1], v3, off
.LBB272_395:
	s_andn2_b64 vcc, exec, s[20:21]
	s_cbranch_vccnz .LBB272_397
; %bb.396:
	v_trunc_f32_e32 v2, v2
	s_mov_b32 s20, 0x2f800000
	v_mul_f32_e64 v3, |v2|, s20
	v_floor_f32_e32 v3, v3
	s_mov_b32 s20, 0xcf800000
	v_fma_f32 v3, v3, s20, |v2|
	v_cvt_u32_f32_e32 v3, v3
	v_ashrrev_i32_e32 v2, 31, v2
	v_xor_b32_e32 v3, v3, v2
	v_sub_u32_e32 v2, v3, v2
	global_store_byte v[0:1], v2, off
.LBB272_397:
	s_mov_b64 s[20:21], -1
.LBB272_398:
	s_andn2_b64 vcc, exec, s[20:21]
	s_cbranch_vccnz .LBB272_400
; %bb.399:
	v_add_u32_e32 v4, 0x80, v4
	s_mov_b64 s[24:25], -1
	s_branch .LBB272_513
.LBB272_400:
	s_mov_b64 s[24:25], 0
	s_branch .LBB272_512
.LBB272_401:
	s_mov_b64 s[18:19], -1
                                        ; implicit-def: $vgpr2
.LBB272_402:
	s_mov_b64 s[20:21], 0
.LBB272_403:
	s_and_b64 vcc, exec, s[20:21]
	s_cbranch_vccz .LBB272_407
; %bb.404:
	s_cmp_eq_u32 s26, 29
	s_cbranch_scc0 .LBB272_406
; %bb.405:
	global_load_dwordx2 v[2:3], v[0:1], off
	s_movk_i32 s18, 0x7fff
	s_mov_b64 s[0:1], -1
	s_mov_b64 s[20:21], 0
	s_waitcnt vmcnt(0)
	v_ffbh_u32_e32 v5, v3
	v_min_u32_e32 v5, 32, v5
	v_lshlrev_b64 v[2:3], v5, v[2:3]
	v_min_u32_e32 v2, 1, v2
	v_or_b32_e32 v2, v3, v2
	v_cvt_f32_u32_e32 v2, v2
	v_sub_u32_e32 v3, 32, v5
	v_ldexp_f32 v2, v2, v3
	v_bfe_u32 v3, v2, 16, 1
	v_add3_u32 v2, v2, v3, s18
	v_lshrrev_b32_e32 v2, 16, v2
	s_mov_b64 s[18:19], 0
	s_branch .LBB272_408
.LBB272_406:
	s_mov_b64 s[18:19], -1
                                        ; implicit-def: $vgpr2
.LBB272_407:
	s_mov_b64 s[20:21], 0
.LBB272_408:
	s_and_b64 vcc, exec, s[20:21]
	s_cbranch_vccz .LBB272_426
; %bb.409:
	s_cmp_lt_i32 s26, 27
	s_cbranch_scc1 .LBB272_412
; %bb.410:
	s_cmp_gt_i32 s26, 27
	s_cbranch_scc0 .LBB272_413
; %bb.411:
	global_load_dword v2, v[0:1], off
	s_movk_i32 s0, 0x7fff
	s_waitcnt vmcnt(0)
	v_cvt_f32_u32_e32 v2, v2
	v_bfe_u32 v3, v2, 16, 1
	v_add3_u32 v2, v2, v3, s0
	v_lshrrev_b32_e32 v2, 16, v2
	s_mov_b64 s[0:1], 0
	s_branch .LBB272_414
.LBB272_412:
	s_mov_b64 s[0:1], -1
                                        ; implicit-def: $vgpr2
	s_branch .LBB272_417
.LBB272_413:
	s_mov_b64 s[0:1], -1
                                        ; implicit-def: $vgpr2
.LBB272_414:
	s_andn2_b64 vcc, exec, s[0:1]
	s_cbranch_vccnz .LBB272_416
; %bb.415:
	global_load_ushort v2, v[0:1], off
	s_movk_i32 s0, 0x7fff
	s_waitcnt vmcnt(0)
	v_cvt_f32_u32_e32 v2, v2
	v_bfe_u32 v3, v2, 16, 1
	v_add3_u32 v2, v2, v3, s0
	v_lshrrev_b32_e32 v2, 16, v2
.LBB272_416:
	s_mov_b64 s[0:1], 0
.LBB272_417:
	s_andn2_b64 vcc, exec, s[0:1]
	s_cbranch_vccnz .LBB272_425
; %bb.418:
	global_load_ubyte v2, v[0:1], off
	s_movk_i32 s0, 0x7f
	s_waitcnt vmcnt(0)
	v_cmp_lt_i16_e32 vcc, s0, v2
	s_mov_b64 s[0:1], 0
	s_and_saveexec_b64 s[20:21], vcc
	s_xor_b64 s[20:21], exec, s[20:21]
	s_cbranch_execz .LBB272_439
; %bb.419:
	s_movk_i32 s0, 0x80
	v_cmp_eq_u16_e32 vcc, s0, v2
	s_mov_b64 s[0:1], -1
	s_and_saveexec_b64 s[24:25], vcc
; %bb.420:
	s_xor_b64 s[0:1], exec, -1
; %bb.421:
	s_or_b64 exec, exec, s[24:25]
	s_and_b64 s[0:1], s[0:1], exec
	s_or_saveexec_b64 s[20:21], s[20:21]
	v_mov_b32_e32 v3, 0x7f800001
	s_xor_b64 exec, exec, s[20:21]
	s_cbranch_execnz .LBB272_440
.LBB272_422:
	s_or_b64 exec, exec, s[20:21]
	s_and_saveexec_b64 s[20:21], s[0:1]
	s_cbranch_execz .LBB272_424
.LBB272_423:
	v_lshlrev_b32_e32 v3, 24, v2
	v_and_b32_e32 v2, 0xffff, v2
	v_and_b32_e32 v5, 7, v2
	v_ffbh_u32_e32 v7, v5
	v_min_u32_e32 v7, 32, v7
	v_subrev_u32_e32 v8, 28, v7
	v_bfe_u32 v6, v2, 3, 4
	v_lshlrev_b32_e32 v2, v8, v2
	v_sub_u32_e32 v7, 29, v7
	v_and_b32_e32 v2, 7, v2
	v_cmp_eq_u32_e32 vcc, 0, v6
	v_and_b32_e32 v3, 0x80000000, v3
	s_nop 0
	v_cndmask_b32_e32 v6, v6, v7, vcc
	v_cndmask_b32_e32 v2, v5, v2, vcc
	v_mov_b32_e32 v5, 0x3b800000
	v_lshlrev_b32_e32 v2, 20, v2
	v_lshl_add_u32 v5, v6, 23, v5
	v_or3_b32 v3, v3, v5, v2
.LBB272_424:
	s_or_b64 exec, exec, s[20:21]
	v_bfe_u32 v2, v3, 16, 1
	s_movk_i32 s0, 0x7fff
	v_add3_u32 v2, v3, v2, s0
	v_cmp_o_f32_e32 vcc, v3, v3
	v_mov_b32_e32 v3, 0x7fc0
	s_nop 0
	v_cndmask_b32_sdwa v2, v3, v2, vcc dst_sel:DWORD dst_unused:UNUSED_PAD src0_sel:DWORD src1_sel:WORD_1
.LBB272_425:
	s_mov_b64 s[0:1], -1
.LBB272_426:
	s_mov_b64 s[20:21], 0
.LBB272_427:
	s_and_b64 vcc, exec, s[20:21]
	s_cbranch_vccz .LBB272_462
; %bb.428:
	s_cmp_gt_i32 s26, 22
	s_cbranch_scc0 .LBB272_438
; %bb.429:
	s_cmp_lt_i32 s26, 24
	s_cbranch_scc1 .LBB272_441
; %bb.430:
	s_cmp_gt_i32 s26, 24
	s_cbranch_scc0 .LBB272_442
; %bb.431:
	global_load_ubyte v2, v[0:1], off
	s_movk_i32 s0, 0x7f
	s_waitcnt vmcnt(0)
	v_cmp_lt_i16_e32 vcc, s0, v2
	s_mov_b64 s[0:1], 0
	s_and_saveexec_b64 s[20:21], vcc
	s_xor_b64 s[20:21], exec, s[20:21]
	s_cbranch_execz .LBB272_454
; %bb.432:
	s_movk_i32 s0, 0x80
	v_cmp_eq_u16_e32 vcc, s0, v2
	s_mov_b64 s[0:1], -1
	s_and_saveexec_b64 s[24:25], vcc
; %bb.433:
	s_xor_b64 s[0:1], exec, -1
; %bb.434:
	s_or_b64 exec, exec, s[24:25]
	s_and_b64 s[0:1], s[0:1], exec
	s_or_saveexec_b64 s[20:21], s[20:21]
	v_mov_b32_e32 v3, 0x7f800001
	s_xor_b64 exec, exec, s[20:21]
	s_cbranch_execnz .LBB272_455
.LBB272_435:
	s_or_b64 exec, exec, s[20:21]
	s_and_saveexec_b64 s[20:21], s[0:1]
	s_cbranch_execz .LBB272_437
.LBB272_436:
	v_lshlrev_b32_e32 v3, 24, v2
	v_and_b32_e32 v2, 0xffff, v2
	v_and_b32_e32 v5, 3, v2
	v_ffbh_u32_e32 v7, v5
	v_min_u32_e32 v7, 32, v7
	v_subrev_u32_e32 v8, 29, v7
	v_bfe_u32 v6, v2, 2, 5
	v_lshlrev_b32_e32 v2, v8, v2
	v_sub_u32_e32 v7, 30, v7
	v_and_b32_e32 v2, 3, v2
	v_cmp_eq_u32_e32 vcc, 0, v6
	v_and_b32_e32 v3, 0x80000000, v3
	s_nop 0
	v_cndmask_b32_e32 v6, v6, v7, vcc
	v_cndmask_b32_e32 v2, v5, v2, vcc
	v_mov_b32_e32 v5, 0x37800000
	v_lshlrev_b32_e32 v2, 21, v2
	v_lshl_add_u32 v5, v6, 23, v5
	v_or3_b32 v3, v3, v5, v2
.LBB272_437:
	s_or_b64 exec, exec, s[20:21]
	v_bfe_u32 v2, v3, 16, 1
	s_movk_i32 s0, 0x7fff
	v_add3_u32 v2, v3, v2, s0
	v_cmp_o_f32_e32 vcc, v3, v3
	v_mov_b32_e32 v3, 0x7fc0
	s_mov_b64 s[0:1], 0
	v_cndmask_b32_sdwa v2, v3, v2, vcc dst_sel:DWORD dst_unused:UNUSED_PAD src0_sel:DWORD src1_sel:WORD_1
	s_branch .LBB272_443
.LBB272_438:
	s_mov_b64 s[20:21], -1
                                        ; implicit-def: $vgpr2
	s_branch .LBB272_449
.LBB272_439:
	s_or_saveexec_b64 s[20:21], s[20:21]
	v_mov_b32_e32 v3, 0x7f800001
	s_xor_b64 exec, exec, s[20:21]
	s_cbranch_execz .LBB272_422
.LBB272_440:
	v_cmp_ne_u16_e32 vcc, 0, v2
	s_andn2_b64 s[0:1], s[0:1], exec
	s_and_b64 s[24:25], vcc, exec
	v_mov_b32_e32 v3, 0
	s_or_b64 s[0:1], s[0:1], s[24:25]
	s_or_b64 exec, exec, s[20:21]
	s_and_saveexec_b64 s[20:21], s[0:1]
	s_cbranch_execnz .LBB272_423
	s_branch .LBB272_424
.LBB272_441:
	s_mov_b64 s[0:1], -1
                                        ; implicit-def: $vgpr2
	s_branch .LBB272_446
.LBB272_442:
	s_mov_b64 s[0:1], -1
                                        ; implicit-def: $vgpr2
.LBB272_443:
	s_and_b64 vcc, exec, s[0:1]
	s_cbranch_vccz .LBB272_445
; %bb.444:
	global_load_ubyte v2, v[0:1], off
	s_mov_b32 s0, 0x7f800000
	s_brev_b32 s1, 1
	s_movk_i32 s20, 0x7fff
	s_waitcnt vmcnt(0)
	v_lshlrev_b32_e32 v2, 24, v2
	v_and_b32_e32 v3, 0x7f000000, v2
	v_ffbh_u32_e32 v5, v3
	v_min_u32_e32 v5, 32, v5
	v_sub_u32_e64 v5, v5, 4 clamp
	v_lshlrev_b32_e32 v7, v5, v3
	v_lshlrev_b32_e32 v5, 23, v5
	v_lshrrev_b32_e32 v7, 4, v7
	v_add_u32_e32 v6, 0x1000000, v3
	v_sub_u32_e32 v5, v7, v5
	v_ashrrev_i32_e32 v6, 8, v6
	v_add_u32_e32 v5, 0x3c000000, v5
	v_and_or_b32 v5, v6, s0, v5
	v_cmp_ne_u32_e32 vcc, 0, v3
	s_nop 1
	v_cndmask_b32_e32 v3, 0, v5, vcc
	v_and_or_b32 v2, v2, s1, v3
	v_bfe_u32 v3, v3, 16, 1
	v_add3_u32 v3, v2, v3, s20
	v_cmp_o_f32_e32 vcc, v2, v2
	v_mov_b32_e32 v2, 0x7fc0
	s_nop 0
	v_cndmask_b32_sdwa v2, v2, v3, vcc dst_sel:DWORD dst_unused:UNUSED_PAD src0_sel:DWORD src1_sel:WORD_1
.LBB272_445:
	s_mov_b64 s[0:1], 0
.LBB272_446:
	s_andn2_b64 vcc, exec, s[0:1]
	s_cbranch_vccnz .LBB272_448
; %bb.447:
	global_load_ubyte v2, v[0:1], off
	s_movk_i32 s0, 0x7f00
	s_brev_b32 s1, 16
	s_brev_b32 s20, 1
	s_movk_i32 s21, 0x7fff
	s_waitcnt vmcnt(0)
	v_lshlrev_b16_e32 v3, 8, v2
	v_lshlrev_b32_e32 v2, 25, v2
	v_lshrrev_b32_e32 v5, 4, v2
	v_and_or_b32 v6, v3, s0, 0.5
	v_or_b32_e32 v5, 0x70000000, v5
	v_add_f32_e32 v6, -0.5, v6
	v_mul_f32_e32 v5, 0x7800000, v5
	v_cmp_gt_u32_e32 vcc, s1, v2
	v_bfe_i32 v3, v3, 0, 16
	s_nop 0
	v_cndmask_b32_e32 v2, v5, v6, vcc
	v_and_or_b32 v3, v3, s20, v2
	v_bfe_u32 v2, v2, 16, 1
	v_add3_u32 v2, v3, v2, s21
	v_cmp_o_f32_e32 vcc, v3, v3
	v_mov_b32_e32 v3, 0x7fc0
	s_nop 0
	v_cndmask_b32_sdwa v2, v3, v2, vcc dst_sel:DWORD dst_unused:UNUSED_PAD src0_sel:DWORD src1_sel:WORD_1
.LBB272_448:
	s_mov_b64 s[20:21], 0
	s_mov_b64 s[0:1], -1
.LBB272_449:
	s_andn2_b64 vcc, exec, s[20:21]
	s_cbranch_vccnz .LBB272_462
; %bb.450:
	s_cmp_gt_i32 s26, 14
	s_cbranch_scc0 .LBB272_453
; %bb.451:
	s_cmp_eq_u32 s26, 15
	s_cbranch_scc0 .LBB272_456
; %bb.452:
	global_load_ushort v2, v[0:1], off
	s_mov_b64 s[0:1], -1
	s_mov_b64 s[18:19], 0
	s_branch .LBB272_457
.LBB272_453:
	s_mov_b64 s[20:21], -1
                                        ; implicit-def: $vgpr2
	s_branch .LBB272_458
.LBB272_454:
	s_or_saveexec_b64 s[20:21], s[20:21]
	v_mov_b32_e32 v3, 0x7f800001
	s_xor_b64 exec, exec, s[20:21]
	s_cbranch_execz .LBB272_435
.LBB272_455:
	v_cmp_ne_u16_e32 vcc, 0, v2
	s_andn2_b64 s[0:1], s[0:1], exec
	s_and_b64 s[24:25], vcc, exec
	v_mov_b32_e32 v3, 0
	s_or_b64 s[0:1], s[0:1], s[24:25]
	s_or_b64 exec, exec, s[20:21]
	s_and_saveexec_b64 s[20:21], s[0:1]
	s_cbranch_execnz .LBB272_436
	s_branch .LBB272_437
.LBB272_456:
	s_mov_b64 s[18:19], -1
                                        ; implicit-def: $vgpr2
.LBB272_457:
	s_mov_b64 s[20:21], 0
.LBB272_458:
	s_and_b64 vcc, exec, s[20:21]
	s_cbranch_vccz .LBB272_462
; %bb.459:
	s_cmp_eq_u32 s26, 11
	s_cbranch_scc0 .LBB272_461
; %bb.460:
	global_load_ubyte v2, v[0:1], off
	s_mov_b64 s[0:1], -1
	s_mov_b64 s[18:19], 0
	s_waitcnt vmcnt(0)
	v_cmp_ne_u16_e32 vcc, 0, v2
	s_nop 1
	v_cndmask_b32_e64 v2, 0, 1.0, vcc
	v_lshrrev_b32_e32 v2, 16, v2
	s_branch .LBB272_462
.LBB272_461:
	s_mov_b64 s[18:19], -1
                                        ; implicit-def: $vgpr2
.LBB272_462:
	s_branch .LBB272_265
.LBB272_463:
	s_cmp_lt_i32 s26, 5
	s_cbranch_scc1 .LBB272_468
; %bb.464:
	s_cmp_lt_i32 s26, 8
	s_cbranch_scc1 .LBB272_469
; %bb.465:
	s_cmp_lt_i32 s26, 9
	s_cbranch_scc1 .LBB272_470
; %bb.466:
	s_cmp_gt_i32 s26, 9
	s_cbranch_scc0 .LBB272_471
; %bb.467:
	global_load_dwordx2 v[2:3], v[0:1], off
	s_movk_i32 s0, 0x7fff
	v_mov_b32_e32 v5, 0x7fc0
	s_waitcnt vmcnt(0)
	v_cvt_f32_f64_e32 v2, v[2:3]
	v_bfe_u32 v3, v2, 16, 1
	v_cmp_o_f32_e32 vcc, v2, v2
	v_add3_u32 v2, v2, v3, s0
	s_mov_b64 s[0:1], 0
	v_cndmask_b32_sdwa v2, v5, v2, vcc dst_sel:DWORD dst_unused:UNUSED_PAD src0_sel:DWORD src1_sel:WORD_1
	s_branch .LBB272_472
.LBB272_468:
	s_mov_b64 s[0:1], -1
                                        ; implicit-def: $vgpr2
	s_branch .LBB272_490
.LBB272_469:
	s_mov_b64 s[0:1], -1
                                        ; implicit-def: $vgpr2
	s_branch .LBB272_478
.LBB272_470:
	s_mov_b64 s[0:1], -1
                                        ; implicit-def: $vgpr2
	s_branch .LBB272_475
.LBB272_471:
	s_mov_b64 s[0:1], -1
                                        ; implicit-def: $vgpr2
.LBB272_472:
	s_andn2_b64 vcc, exec, s[0:1]
	s_cbranch_vccnz .LBB272_474
; %bb.473:
	global_load_dword v2, v[0:1], off
	s_movk_i32 s0, 0x7fff
	v_mov_b32_e32 v3, 0x7fc0
	s_waitcnt vmcnt(0)
	v_bfe_u32 v5, v2, 16, 1
	v_cmp_o_f32_e32 vcc, v2, v2
	v_add3_u32 v2, v2, v5, s0
	s_nop 0
	v_cndmask_b32_sdwa v2, v3, v2, vcc dst_sel:DWORD dst_unused:UNUSED_PAD src0_sel:DWORD src1_sel:WORD_1
.LBB272_474:
	s_mov_b64 s[0:1], 0
.LBB272_475:
	s_andn2_b64 vcc, exec, s[0:1]
	s_cbranch_vccnz .LBB272_477
; %bb.476:
	global_load_dword v2, v[0:1], off
	s_movk_i32 s0, 0x7fff
	v_mov_b32_e32 v5, 0x7fc0
	s_waitcnt vmcnt(0)
	v_cvt_f32_f16_e32 v3, v2
	v_cmp_o_f16_e32 vcc, v2, v2
	v_bfe_u32 v2, v3, 16, 1
	v_add3_u32 v2, v3, v2, s0
	v_cndmask_b32_sdwa v2, v5, v2, vcc dst_sel:DWORD dst_unused:UNUSED_PAD src0_sel:DWORD src1_sel:WORD_1
.LBB272_477:
	s_mov_b64 s[0:1], 0
.LBB272_478:
	s_andn2_b64 vcc, exec, s[0:1]
	s_cbranch_vccnz .LBB272_489
; %bb.479:
	s_cmp_lt_i32 s26, 6
	s_cbranch_scc1 .LBB272_482
; %bb.480:
	s_cmp_gt_i32 s26, 6
	s_cbranch_scc0 .LBB272_483
; %bb.481:
	global_load_dwordx2 v[2:3], v[0:1], off
	s_movk_i32 s0, 0x7fff
	v_mov_b32_e32 v5, 0x7fc0
	s_waitcnt vmcnt(0)
	v_cvt_f32_f64_e32 v2, v[2:3]
	v_bfe_u32 v3, v2, 16, 1
	v_cmp_o_f32_e32 vcc, v2, v2
	v_add3_u32 v2, v2, v3, s0
	s_mov_b64 s[0:1], 0
	v_cndmask_b32_sdwa v2, v5, v2, vcc dst_sel:DWORD dst_unused:UNUSED_PAD src0_sel:DWORD src1_sel:WORD_1
	s_branch .LBB272_484
.LBB272_482:
	s_mov_b64 s[0:1], -1
                                        ; implicit-def: $vgpr2
	s_branch .LBB272_487
.LBB272_483:
	s_mov_b64 s[0:1], -1
                                        ; implicit-def: $vgpr2
.LBB272_484:
	s_andn2_b64 vcc, exec, s[0:1]
	s_cbranch_vccnz .LBB272_486
; %bb.485:
	global_load_dword v2, v[0:1], off
	s_movk_i32 s0, 0x7fff
	v_mov_b32_e32 v3, 0x7fc0
	s_waitcnt vmcnt(0)
	v_bfe_u32 v5, v2, 16, 1
	v_cmp_o_f32_e32 vcc, v2, v2
	v_add3_u32 v2, v2, v5, s0
	s_nop 0
	v_cndmask_b32_sdwa v2, v3, v2, vcc dst_sel:DWORD dst_unused:UNUSED_PAD src0_sel:DWORD src1_sel:WORD_1
.LBB272_486:
	s_mov_b64 s[0:1], 0
.LBB272_487:
	s_andn2_b64 vcc, exec, s[0:1]
	s_cbranch_vccnz .LBB272_489
; %bb.488:
	global_load_ushort v2, v[0:1], off
	s_movk_i32 s0, 0x7fff
	v_mov_b32_e32 v5, 0x7fc0
	s_waitcnt vmcnt(0)
	v_cvt_f32_f16_e32 v3, v2
	v_cmp_o_f16_e32 vcc, v2, v2
	v_bfe_u32 v2, v3, 16, 1
	v_add3_u32 v2, v3, v2, s0
	v_cndmask_b32_sdwa v2, v5, v2, vcc dst_sel:DWORD dst_unused:UNUSED_PAD src0_sel:DWORD src1_sel:WORD_1
.LBB272_489:
	s_mov_b64 s[0:1], 0
.LBB272_490:
	s_andn2_b64 vcc, exec, s[0:1]
	s_cbranch_vccnz .LBB272_510
; %bb.491:
	s_cmp_lt_i32 s26, 2
	s_cbranch_scc1 .LBB272_495
; %bb.492:
	s_cmp_lt_i32 s26, 3
	s_cbranch_scc1 .LBB272_496
; %bb.493:
	s_cmp_gt_i32 s26, 3
	s_cbranch_scc0 .LBB272_497
; %bb.494:
	global_load_dwordx2 v[2:3], v[0:1], off
	s_movk_i32 s0, 0x7fff
	s_waitcnt vmcnt(0)
	v_xor_b32_e32 v6, v2, v3
	v_ffbh_i32_e32 v5, v3
	v_ashrrev_i32_e32 v6, 31, v6
	v_add_u32_e32 v5, -1, v5
	v_add_u32_e32 v6, 32, v6
	v_min_u32_e32 v5, v5, v6
	v_lshlrev_b64 v[2:3], v5, v[2:3]
	v_min_u32_e32 v2, 1, v2
	v_or_b32_e32 v2, v3, v2
	v_cvt_f32_i32_e32 v2, v2
	v_sub_u32_e32 v3, 32, v5
	v_ldexp_f32 v2, v2, v3
	v_bfe_u32 v3, v2, 16, 1
	v_add3_u32 v2, v2, v3, s0
	v_lshrrev_b32_e32 v2, 16, v2
	s_mov_b64 s[0:1], 0
	s_branch .LBB272_498
.LBB272_495:
	s_mov_b64 s[0:1], -1
                                        ; implicit-def: $vgpr2
	s_branch .LBB272_504
.LBB272_496:
	s_mov_b64 s[0:1], -1
                                        ; implicit-def: $vgpr2
	s_branch .LBB272_501
.LBB272_497:
	s_mov_b64 s[0:1], -1
                                        ; implicit-def: $vgpr2
.LBB272_498:
	s_andn2_b64 vcc, exec, s[0:1]
	s_cbranch_vccnz .LBB272_500
; %bb.499:
	global_load_dword v2, v[0:1], off
	s_movk_i32 s0, 0x7fff
	s_waitcnt vmcnt(0)
	v_cvt_f32_i32_e32 v2, v2
	v_bfe_u32 v3, v2, 16, 1
	v_add3_u32 v2, v2, v3, s0
	v_lshrrev_b32_e32 v2, 16, v2
.LBB272_500:
	s_mov_b64 s[0:1], 0
.LBB272_501:
	s_andn2_b64 vcc, exec, s[0:1]
	s_cbranch_vccnz .LBB272_503
; %bb.502:
	global_load_sshort v2, v[0:1], off
	s_movk_i32 s0, 0x7fff
	s_waitcnt vmcnt(0)
	v_cvt_f32_i32_e32 v2, v2
	v_bfe_u32 v3, v2, 16, 1
	v_add3_u32 v2, v2, v3, s0
	v_lshrrev_b32_e32 v2, 16, v2
.LBB272_503:
	s_mov_b64 s[0:1], 0
.LBB272_504:
	s_andn2_b64 vcc, exec, s[0:1]
	s_cbranch_vccnz .LBB272_510
; %bb.505:
	s_cmp_gt_i32 s26, 0
	s_cbranch_scc0 .LBB272_507
; %bb.506:
	global_load_sbyte v2, v[0:1], off
	s_movk_i32 s0, 0x7fff
	s_waitcnt vmcnt(0)
	v_cvt_f32_i32_e32 v2, v2
	v_bfe_u32 v3, v2, 16, 1
	v_add3_u32 v2, v2, v3, s0
	v_lshrrev_b32_e32 v2, 16, v2
	s_mov_b64 s[0:1], 0
	s_branch .LBB272_508
.LBB272_507:
	s_mov_b64 s[0:1], -1
                                        ; implicit-def: $vgpr2
.LBB272_508:
	s_andn2_b64 vcc, exec, s[0:1]
	s_cbranch_vccnz .LBB272_510
; %bb.509:
	global_load_ubyte v0, v[0:1], off
	s_movk_i32 s0, 0x7fff
	s_waitcnt vmcnt(0)
	v_cvt_f32_ubyte0_e32 v0, v0
	v_bfe_u32 v1, v0, 16, 1
	v_add3_u32 v0, v0, v1, s0
	v_lshrrev_b32_e32 v2, 16, v0
.LBB272_510:
	s_branch .LBB272_266
.LBB272_511:
	s_mov_b64 s[24:25], 0
	s_mov_b64 s[0:1], s[12:13]
.LBB272_512:
                                        ; implicit-def: $vgpr4
.LBB272_513:
	s_andn2_b64 s[20:21], s[12:13], exec
	s_and_b64 s[0:1], s[0:1], exec
	s_or_b64 s[20:21], s[20:21], s[0:1]
	s_andn2_b64 s[0:1], s[14:15], exec
	s_and_b64 s[18:19], s[18:19], exec
	s_or_b64 s[18:19], s[0:1], s[18:19]
	s_orn2_b64 s[0:1], s[24:25], exec
.LBB272_514:
	s_or_b64 exec, exec, s[22:23]
	s_mov_b64 s[24:25], 0
	s_mov_b64 s[26:27], 0
	;; [unrolled: 1-line block ×3, first 2 shown]
                                        ; implicit-def: $vgpr0_vgpr1
                                        ; implicit-def: $vgpr3
	s_and_saveexec_b64 s[22:23], s[0:1]
	s_cbranch_execz .LBB272_860
; %bb.515:
	v_cmp_gt_i32_e32 vcc, s38, v4
	s_mov_b64 s[34:35], -1
	s_mov_b64 s[0:1], s[18:19]
	s_mov_b64 s[28:29], s[20:21]
	s_and_saveexec_b64 s[24:25], vcc
	s_cbranch_execz .LBB272_774
; %bb.516:
	v_mul_lo_u32 v0, v4, s9
	v_ashrrev_i32_e32 v1, 31, v0
	s_and_b32 s34, 0xffff, s42
	s_cmp_lt_i32 s34, 11
	v_lshl_add_u64 v[0:1], s[6:7], 0, v[0:1]
	s_cbranch_scc1 .LBB272_523
; %bb.517:
	s_cmp_gt_i32 s34, 25
	s_cbranch_scc0 .LBB272_524
; %bb.518:
	s_cmp_gt_i32 s34, 28
	s_cbranch_scc0 .LBB272_525
	;; [unrolled: 3-line block ×4, first 2 shown]
; %bb.521:
	s_cmp_eq_u32 s34, 46
	s_mov_b64 s[28:29], 0
	s_cbranch_scc0 .LBB272_532
; %bb.522:
	global_load_dword v2, v[0:1], off
	s_mov_b64 s[0:1], -1
	s_branch .LBB272_533
.LBB272_523:
	s_mov_b64 s[28:29], -1
	s_mov_b64 s[0:1], 0
                                        ; implicit-def: $vgpr2
	s_mov_b64 s[26:27], s[18:19]
	s_branch .LBB272_598
.LBB272_524:
	s_mov_b64 s[28:29], -1
	s_mov_b64 s[0:1], 0
	s_mov_b64 s[26:27], s[18:19]
                                        ; implicit-def: $vgpr2
	s_branch .LBB272_562
.LBB272_525:
	s_mov_b64 s[28:29], -1
	s_mov_b64 s[0:1], 0
	s_mov_b64 s[26:27], s[18:19]
                                        ; implicit-def: $vgpr2
	s_branch .LBB272_543
.LBB272_526:
	s_mov_b64 s[28:29], -1
	s_mov_b64 s[0:1], 0
	s_mov_b64 s[26:27], s[18:19]
                                        ; implicit-def: $vgpr2
	s_branch .LBB272_538
.LBB272_527:
	s_andn2_saveexec_b64 s[26:27], s[26:27]
	s_cbranch_execz .LBB272_311
.LBB272_528:
	s_mov_b32 s30, 0x46000000
	v_add_f32_e64 v5, |v6|, s30
	v_and_b32_e32 v5, 0xff, v5
	v_cmp_ne_u32_e32 vcc, 0, v5
	s_andn2_b64 s[24:25], s[24:25], exec
	s_and_b64 s[30:31], vcc, exec
	s_or_b64 s[24:25], s[24:25], s[30:31]
	s_or_b64 exec, exec, s[26:27]
	v_mov_b32_e32 v7, 0
	s_and_saveexec_b64 s[26:27], s[24:25]
	s_cbranch_execnz .LBB272_312
	s_branch .LBB272_313
.LBB272_529:
	s_mov_b64 s[28:29], -1
	s_mov_b64 s[0:1], 0
	s_mov_b64 s[26:27], s[18:19]
                                        ; implicit-def: $vgpr2
	s_branch .LBB272_533
.LBB272_530:
	s_andn2_saveexec_b64 s[26:27], s[26:27]
	s_cbranch_execz .LBB272_324
.LBB272_531:
	s_mov_b32 s30, 0x42800000
	v_add_f32_e64 v5, |v6|, s30
	v_and_b32_e32 v5, 0xff, v5
	v_cmp_ne_u32_e32 vcc, 0, v5
	s_andn2_b64 s[24:25], s[24:25], exec
	s_and_b64 s[30:31], vcc, exec
	s_or_b64 s[24:25], s[24:25], s[30:31]
	s_or_b64 exec, exec, s[26:27]
	v_mov_b32_e32 v7, 0
	s_and_saveexec_b64 s[26:27], s[24:25]
	s_cbranch_execnz .LBB272_325
	s_branch .LBB272_326
.LBB272_532:
	s_mov_b64 s[26:27], -1
                                        ; implicit-def: $vgpr2
	s_mov_b64 s[0:1], 0
.LBB272_533:
	s_and_b64 vcc, exec, s[28:29]
	s_cbranch_vccz .LBB272_537
; %bb.534:
	s_cmp_eq_u32 s34, 44
	s_cbranch_scc0 .LBB272_536
; %bb.535:
	global_load_ubyte v2, v[0:1], off
	s_movk_i32 s26, 0xff
	v_mov_b32_e32 v3, 0x7f800001
	v_mov_b32_e32 v5, 0x400000
	;; [unrolled: 1-line block ×3, first 2 shown]
	s_mov_b64 s[0:1], -1
	s_waitcnt vmcnt(0)
	v_lshlrev_b32_e32 v7, 23, v2
	v_cmp_ne_u32_e32 vcc, s26, v2
	s_mov_b64 s[26:27], 0
	s_nop 0
	v_cndmask_b32_e32 v3, v3, v7, vcc
	v_cmp_ne_u32_e32 vcc, 0, v2
	s_nop 1
	v_cndmask_b32_e32 v2, v5, v3, vcc
	v_add_u32_e32 v3, 0x7fff, v2
	v_cmp_o_f32_e32 vcc, v2, v2
	s_nop 1
	v_cndmask_b32_sdwa v2, v6, v3, vcc dst_sel:DWORD dst_unused:UNUSED_PAD src0_sel:DWORD src1_sel:WORD_1
	s_branch .LBB272_537
.LBB272_536:
	s_mov_b64 s[26:27], -1
                                        ; implicit-def: $vgpr2
.LBB272_537:
	s_mov_b64 s[28:29], 0
.LBB272_538:
	s_and_b64 vcc, exec, s[28:29]
	s_cbranch_vccz .LBB272_542
; %bb.539:
	s_cmp_eq_u32 s34, 29
	s_cbranch_scc0 .LBB272_541
; %bb.540:
	global_load_dwordx2 v[2:3], v[0:1], off
	s_movk_i32 s26, 0x7fff
	s_mov_b64 s[0:1], -1
	s_mov_b64 s[28:29], 0
	s_waitcnt vmcnt(0)
	v_ffbh_u32_e32 v5, v3
	v_min_u32_e32 v5, 32, v5
	v_lshlrev_b64 v[2:3], v5, v[2:3]
	v_min_u32_e32 v2, 1, v2
	v_or_b32_e32 v2, v3, v2
	v_cvt_f32_u32_e32 v2, v2
	v_sub_u32_e32 v3, 32, v5
	v_ldexp_f32 v2, v2, v3
	v_bfe_u32 v3, v2, 16, 1
	v_add3_u32 v2, v2, v3, s26
	v_lshrrev_b32_e32 v2, 16, v2
	s_mov_b64 s[26:27], 0
	s_branch .LBB272_543
.LBB272_541:
	s_mov_b64 s[26:27], -1
                                        ; implicit-def: $vgpr2
.LBB272_542:
	s_mov_b64 s[28:29], 0
.LBB272_543:
	s_and_b64 vcc, exec, s[28:29]
	s_cbranch_vccz .LBB272_561
; %bb.544:
	s_cmp_lt_i32 s34, 27
	s_cbranch_scc1 .LBB272_547
; %bb.545:
	s_cmp_gt_i32 s34, 27
	s_cbranch_scc0 .LBB272_548
; %bb.546:
	global_load_dword v2, v[0:1], off
	s_movk_i32 s0, 0x7fff
	s_waitcnt vmcnt(0)
	v_cvt_f32_u32_e32 v2, v2
	v_bfe_u32 v3, v2, 16, 1
	v_add3_u32 v2, v2, v3, s0
	v_lshrrev_b32_e32 v2, 16, v2
	s_mov_b64 s[0:1], 0
	s_branch .LBB272_549
.LBB272_547:
	s_mov_b64 s[0:1], -1
                                        ; implicit-def: $vgpr2
	s_branch .LBB272_552
.LBB272_548:
	s_mov_b64 s[0:1], -1
                                        ; implicit-def: $vgpr2
.LBB272_549:
	s_andn2_b64 vcc, exec, s[0:1]
	s_cbranch_vccnz .LBB272_551
; %bb.550:
	global_load_ushort v2, v[0:1], off
	s_movk_i32 s0, 0x7fff
	s_waitcnt vmcnt(0)
	v_cvt_f32_u32_e32 v2, v2
	v_bfe_u32 v3, v2, 16, 1
	v_add3_u32 v2, v2, v3, s0
	v_lshrrev_b32_e32 v2, 16, v2
.LBB272_551:
	s_mov_b64 s[0:1], 0
.LBB272_552:
	s_andn2_b64 vcc, exec, s[0:1]
	s_cbranch_vccnz .LBB272_560
; %bb.553:
	global_load_ubyte v2, v[0:1], off
	s_movk_i32 s0, 0x7f
	s_waitcnt vmcnt(0)
	v_cmp_lt_i16_e32 vcc, s0, v2
	s_mov_b64 s[0:1], 0
	s_and_saveexec_b64 s[28:29], vcc
	s_xor_b64 s[28:29], exec, s[28:29]
	s_cbranch_execz .LBB272_574
; %bb.554:
	s_movk_i32 s0, 0x80
	v_cmp_eq_u16_e32 vcc, s0, v2
	s_mov_b64 s[0:1], -1
	s_and_saveexec_b64 s[30:31], vcc
; %bb.555:
	s_xor_b64 s[0:1], exec, -1
; %bb.556:
	s_or_b64 exec, exec, s[30:31]
	s_and_b64 s[0:1], s[0:1], exec
	s_or_saveexec_b64 s[28:29], s[28:29]
	v_mov_b32_e32 v3, 0x7f800001
	s_xor_b64 exec, exec, s[28:29]
	s_cbranch_execnz .LBB272_575
.LBB272_557:
	s_or_b64 exec, exec, s[28:29]
	s_and_saveexec_b64 s[28:29], s[0:1]
	s_cbranch_execz .LBB272_559
.LBB272_558:
	v_lshlrev_b32_e32 v3, 24, v2
	v_and_b32_e32 v2, 0xffff, v2
	v_and_b32_e32 v5, 7, v2
	v_ffbh_u32_e32 v7, v5
	v_min_u32_e32 v7, 32, v7
	v_subrev_u32_e32 v8, 28, v7
	v_bfe_u32 v6, v2, 3, 4
	v_lshlrev_b32_e32 v2, v8, v2
	v_sub_u32_e32 v7, 29, v7
	v_and_b32_e32 v2, 7, v2
	v_cmp_eq_u32_e32 vcc, 0, v6
	v_and_b32_e32 v3, 0x80000000, v3
	s_nop 0
	v_cndmask_b32_e32 v6, v6, v7, vcc
	v_cndmask_b32_e32 v2, v5, v2, vcc
	v_mov_b32_e32 v5, 0x3b800000
	v_lshlrev_b32_e32 v2, 20, v2
	v_lshl_add_u32 v5, v6, 23, v5
	v_or3_b32 v3, v3, v5, v2
.LBB272_559:
	s_or_b64 exec, exec, s[28:29]
	v_bfe_u32 v2, v3, 16, 1
	s_movk_i32 s0, 0x7fff
	v_add3_u32 v2, v3, v2, s0
	v_cmp_o_f32_e32 vcc, v3, v3
	v_mov_b32_e32 v3, 0x7fc0
	s_nop 0
	v_cndmask_b32_sdwa v2, v3, v2, vcc dst_sel:DWORD dst_unused:UNUSED_PAD src0_sel:DWORD src1_sel:WORD_1
.LBB272_560:
	s_mov_b64 s[0:1], -1
.LBB272_561:
	s_mov_b64 s[28:29], 0
.LBB272_562:
	s_and_b64 vcc, exec, s[28:29]
	s_cbranch_vccz .LBB272_597
; %bb.563:
	s_cmp_gt_i32 s34, 22
	s_cbranch_scc0 .LBB272_573
; %bb.564:
	s_cmp_lt_i32 s34, 24
	s_cbranch_scc1 .LBB272_576
; %bb.565:
	s_cmp_gt_i32 s34, 24
	s_cbranch_scc0 .LBB272_577
; %bb.566:
	global_load_ubyte v2, v[0:1], off
	s_movk_i32 s0, 0x7f
	s_waitcnt vmcnt(0)
	v_cmp_lt_i16_e32 vcc, s0, v2
	s_mov_b64 s[0:1], 0
	s_and_saveexec_b64 s[28:29], vcc
	s_xor_b64 s[28:29], exec, s[28:29]
	s_cbranch_execz .LBB272_589
; %bb.567:
	s_movk_i32 s0, 0x80
	v_cmp_eq_u16_e32 vcc, s0, v2
	s_mov_b64 s[0:1], -1
	s_and_saveexec_b64 s[30:31], vcc
; %bb.568:
	s_xor_b64 s[0:1], exec, -1
; %bb.569:
	s_or_b64 exec, exec, s[30:31]
	s_and_b64 s[0:1], s[0:1], exec
	s_or_saveexec_b64 s[28:29], s[28:29]
	v_mov_b32_e32 v3, 0x7f800001
	s_xor_b64 exec, exec, s[28:29]
	s_cbranch_execnz .LBB272_590
.LBB272_570:
	s_or_b64 exec, exec, s[28:29]
	s_and_saveexec_b64 s[28:29], s[0:1]
	s_cbranch_execz .LBB272_572
.LBB272_571:
	v_lshlrev_b32_e32 v3, 24, v2
	v_and_b32_e32 v2, 0xffff, v2
	v_and_b32_e32 v5, 3, v2
	v_ffbh_u32_e32 v7, v5
	v_min_u32_e32 v7, 32, v7
	v_subrev_u32_e32 v8, 29, v7
	v_bfe_u32 v6, v2, 2, 5
	v_lshlrev_b32_e32 v2, v8, v2
	v_sub_u32_e32 v7, 30, v7
	v_and_b32_e32 v2, 3, v2
	v_cmp_eq_u32_e32 vcc, 0, v6
	v_and_b32_e32 v3, 0x80000000, v3
	s_nop 0
	v_cndmask_b32_e32 v6, v6, v7, vcc
	v_cndmask_b32_e32 v2, v5, v2, vcc
	v_mov_b32_e32 v5, 0x37800000
	v_lshlrev_b32_e32 v2, 21, v2
	v_lshl_add_u32 v5, v6, 23, v5
	v_or3_b32 v3, v3, v5, v2
.LBB272_572:
	s_or_b64 exec, exec, s[28:29]
	v_bfe_u32 v2, v3, 16, 1
	s_movk_i32 s0, 0x7fff
	v_add3_u32 v2, v3, v2, s0
	v_cmp_o_f32_e32 vcc, v3, v3
	v_mov_b32_e32 v3, 0x7fc0
	s_mov_b64 s[0:1], 0
	v_cndmask_b32_sdwa v2, v3, v2, vcc dst_sel:DWORD dst_unused:UNUSED_PAD src0_sel:DWORD src1_sel:WORD_1
	s_branch .LBB272_578
.LBB272_573:
	s_mov_b64 s[28:29], -1
                                        ; implicit-def: $vgpr2
	s_branch .LBB272_584
.LBB272_574:
	s_or_saveexec_b64 s[28:29], s[28:29]
	v_mov_b32_e32 v3, 0x7f800001
	s_xor_b64 exec, exec, s[28:29]
	s_cbranch_execz .LBB272_557
.LBB272_575:
	v_cmp_ne_u16_e32 vcc, 0, v2
	s_andn2_b64 s[0:1], s[0:1], exec
	s_and_b64 s[30:31], vcc, exec
	v_mov_b32_e32 v3, 0
	s_or_b64 s[0:1], s[0:1], s[30:31]
	s_or_b64 exec, exec, s[28:29]
	s_and_saveexec_b64 s[28:29], s[0:1]
	s_cbranch_execnz .LBB272_558
	s_branch .LBB272_559
.LBB272_576:
	s_mov_b64 s[0:1], -1
                                        ; implicit-def: $vgpr2
	s_branch .LBB272_581
.LBB272_577:
	s_mov_b64 s[0:1], -1
                                        ; implicit-def: $vgpr2
.LBB272_578:
	s_and_b64 vcc, exec, s[0:1]
	s_cbranch_vccz .LBB272_580
; %bb.579:
	global_load_ubyte v2, v[0:1], off
	s_mov_b32 s0, 0x7f800000
	s_brev_b32 s1, 1
	s_movk_i32 s28, 0x7fff
	s_waitcnt vmcnt(0)
	v_lshlrev_b32_e32 v2, 24, v2
	v_and_b32_e32 v3, 0x7f000000, v2
	v_ffbh_u32_e32 v5, v3
	v_min_u32_e32 v5, 32, v5
	v_sub_u32_e64 v5, v5, 4 clamp
	v_lshlrev_b32_e32 v7, v5, v3
	v_lshlrev_b32_e32 v5, 23, v5
	v_lshrrev_b32_e32 v7, 4, v7
	v_add_u32_e32 v6, 0x1000000, v3
	v_sub_u32_e32 v5, v7, v5
	v_ashrrev_i32_e32 v6, 8, v6
	v_add_u32_e32 v5, 0x3c000000, v5
	v_and_or_b32 v5, v6, s0, v5
	v_cmp_ne_u32_e32 vcc, 0, v3
	s_nop 1
	v_cndmask_b32_e32 v3, 0, v5, vcc
	v_and_or_b32 v2, v2, s1, v3
	v_bfe_u32 v3, v3, 16, 1
	v_add3_u32 v3, v2, v3, s28
	v_cmp_o_f32_e32 vcc, v2, v2
	v_mov_b32_e32 v2, 0x7fc0
	s_nop 0
	v_cndmask_b32_sdwa v2, v2, v3, vcc dst_sel:DWORD dst_unused:UNUSED_PAD src0_sel:DWORD src1_sel:WORD_1
.LBB272_580:
	s_mov_b64 s[0:1], 0
.LBB272_581:
	s_andn2_b64 vcc, exec, s[0:1]
	s_cbranch_vccnz .LBB272_583
; %bb.582:
	global_load_ubyte v2, v[0:1], off
	s_movk_i32 s0, 0x7f00
	s_brev_b32 s1, 16
	s_brev_b32 s28, 1
	s_movk_i32 s29, 0x7fff
	s_waitcnt vmcnt(0)
	v_lshlrev_b16_e32 v3, 8, v2
	v_lshlrev_b32_e32 v2, 25, v2
	v_lshrrev_b32_e32 v5, 4, v2
	v_and_or_b32 v6, v3, s0, 0.5
	v_or_b32_e32 v5, 0x70000000, v5
	v_add_f32_e32 v6, -0.5, v6
	v_mul_f32_e32 v5, 0x7800000, v5
	v_cmp_gt_u32_e32 vcc, s1, v2
	v_bfe_i32 v3, v3, 0, 16
	s_nop 0
	v_cndmask_b32_e32 v2, v5, v6, vcc
	v_and_or_b32 v3, v3, s28, v2
	v_bfe_u32 v2, v2, 16, 1
	v_add3_u32 v2, v3, v2, s29
	v_cmp_o_f32_e32 vcc, v3, v3
	v_mov_b32_e32 v3, 0x7fc0
	s_nop 0
	v_cndmask_b32_sdwa v2, v3, v2, vcc dst_sel:DWORD dst_unused:UNUSED_PAD src0_sel:DWORD src1_sel:WORD_1
.LBB272_583:
	s_mov_b64 s[28:29], 0
	s_mov_b64 s[0:1], -1
.LBB272_584:
	s_andn2_b64 vcc, exec, s[28:29]
	s_cbranch_vccnz .LBB272_597
; %bb.585:
	s_cmp_gt_i32 s34, 14
	s_cbranch_scc0 .LBB272_588
; %bb.586:
	s_cmp_eq_u32 s34, 15
	s_cbranch_scc0 .LBB272_591
; %bb.587:
	global_load_ushort v2, v[0:1], off
	s_mov_b64 s[0:1], -1
	s_mov_b64 s[26:27], 0
	s_branch .LBB272_592
.LBB272_588:
	s_mov_b64 s[28:29], -1
                                        ; implicit-def: $vgpr2
	s_branch .LBB272_593
.LBB272_589:
	s_or_saveexec_b64 s[28:29], s[28:29]
	v_mov_b32_e32 v3, 0x7f800001
	s_xor_b64 exec, exec, s[28:29]
	s_cbranch_execz .LBB272_570
.LBB272_590:
	v_cmp_ne_u16_e32 vcc, 0, v2
	s_andn2_b64 s[0:1], s[0:1], exec
	s_and_b64 s[30:31], vcc, exec
	v_mov_b32_e32 v3, 0
	s_or_b64 s[0:1], s[0:1], s[30:31]
	s_or_b64 exec, exec, s[28:29]
	s_and_saveexec_b64 s[28:29], s[0:1]
	s_cbranch_execnz .LBB272_571
	s_branch .LBB272_572
.LBB272_591:
	s_mov_b64 s[26:27], -1
                                        ; implicit-def: $vgpr2
.LBB272_592:
	s_mov_b64 s[28:29], 0
.LBB272_593:
	s_and_b64 vcc, exec, s[28:29]
	s_cbranch_vccz .LBB272_597
; %bb.594:
	s_cmp_eq_u32 s34, 11
	s_cbranch_scc0 .LBB272_596
; %bb.595:
	global_load_ubyte v2, v[0:1], off
	s_mov_b64 s[0:1], -1
	s_mov_b64 s[26:27], 0
	s_waitcnt vmcnt(0)
	v_cmp_ne_u16_e32 vcc, 0, v2
	s_nop 1
	v_cndmask_b32_e64 v2, 0, 1.0, vcc
	v_lshrrev_b32_e32 v2, 16, v2
	s_branch .LBB272_597
.LBB272_596:
	s_mov_b64 s[26:27], -1
                                        ; implicit-def: $vgpr2
.LBB272_597:
	s_mov_b64 s[28:29], 0
.LBB272_598:
	s_and_b64 vcc, exec, s[28:29]
	s_cbranch_vccz .LBB272_647
; %bb.599:
	s_cmp_lt_i32 s34, 5
	s_cbranch_scc1 .LBB272_604
; %bb.600:
	s_cmp_lt_i32 s34, 8
	s_cbranch_scc1 .LBB272_605
; %bb.601:
	s_cmp_lt_i32 s34, 9
	s_cbranch_scc1 .LBB272_606
; %bb.602:
	s_cmp_gt_i32 s34, 9
	s_cbranch_scc0 .LBB272_607
; %bb.603:
	global_load_dwordx2 v[2:3], v[0:1], off
	s_movk_i32 s0, 0x7fff
	v_mov_b32_e32 v5, 0x7fc0
	s_waitcnt vmcnt(0)
	v_cvt_f32_f64_e32 v2, v[2:3]
	v_bfe_u32 v3, v2, 16, 1
	v_cmp_o_f32_e32 vcc, v2, v2
	v_add3_u32 v2, v2, v3, s0
	s_mov_b64 s[0:1], 0
	v_cndmask_b32_sdwa v2, v5, v2, vcc dst_sel:DWORD dst_unused:UNUSED_PAD src0_sel:DWORD src1_sel:WORD_1
	s_branch .LBB272_608
.LBB272_604:
	s_mov_b64 s[0:1], -1
                                        ; implicit-def: $vgpr2
	s_branch .LBB272_626
.LBB272_605:
	s_mov_b64 s[0:1], -1
                                        ; implicit-def: $vgpr2
	s_branch .LBB272_614
.LBB272_606:
	s_mov_b64 s[0:1], -1
                                        ; implicit-def: $vgpr2
	s_branch .LBB272_611
.LBB272_607:
	s_mov_b64 s[0:1], -1
                                        ; implicit-def: $vgpr2
.LBB272_608:
	s_andn2_b64 vcc, exec, s[0:1]
	s_cbranch_vccnz .LBB272_610
; %bb.609:
	global_load_dword v2, v[0:1], off
	s_movk_i32 s0, 0x7fff
	v_mov_b32_e32 v3, 0x7fc0
	s_waitcnt vmcnt(0)
	v_bfe_u32 v5, v2, 16, 1
	v_cmp_o_f32_e32 vcc, v2, v2
	v_add3_u32 v2, v2, v5, s0
	s_nop 0
	v_cndmask_b32_sdwa v2, v3, v2, vcc dst_sel:DWORD dst_unused:UNUSED_PAD src0_sel:DWORD src1_sel:WORD_1
.LBB272_610:
	s_mov_b64 s[0:1], 0
.LBB272_611:
	s_andn2_b64 vcc, exec, s[0:1]
	s_cbranch_vccnz .LBB272_613
; %bb.612:
	global_load_dword v2, v[0:1], off
	s_movk_i32 s0, 0x7fff
	v_mov_b32_e32 v5, 0x7fc0
	s_waitcnt vmcnt(0)
	v_cvt_f32_f16_e32 v3, v2
	v_cmp_o_f16_e32 vcc, v2, v2
	v_bfe_u32 v2, v3, 16, 1
	v_add3_u32 v2, v3, v2, s0
	v_cndmask_b32_sdwa v2, v5, v2, vcc dst_sel:DWORD dst_unused:UNUSED_PAD src0_sel:DWORD src1_sel:WORD_1
.LBB272_613:
	s_mov_b64 s[0:1], 0
.LBB272_614:
	s_andn2_b64 vcc, exec, s[0:1]
	s_cbranch_vccnz .LBB272_625
; %bb.615:
	s_cmp_lt_i32 s34, 6
	s_cbranch_scc1 .LBB272_618
; %bb.616:
	s_cmp_gt_i32 s34, 6
	s_cbranch_scc0 .LBB272_619
; %bb.617:
	global_load_dwordx2 v[2:3], v[0:1], off
	s_movk_i32 s0, 0x7fff
	v_mov_b32_e32 v5, 0x7fc0
	s_waitcnt vmcnt(0)
	v_cvt_f32_f64_e32 v2, v[2:3]
	v_bfe_u32 v3, v2, 16, 1
	v_cmp_o_f32_e32 vcc, v2, v2
	v_add3_u32 v2, v2, v3, s0
	s_mov_b64 s[0:1], 0
	v_cndmask_b32_sdwa v2, v5, v2, vcc dst_sel:DWORD dst_unused:UNUSED_PAD src0_sel:DWORD src1_sel:WORD_1
	s_branch .LBB272_620
.LBB272_618:
	s_mov_b64 s[0:1], -1
                                        ; implicit-def: $vgpr2
	s_branch .LBB272_623
.LBB272_619:
	s_mov_b64 s[0:1], -1
                                        ; implicit-def: $vgpr2
.LBB272_620:
	s_andn2_b64 vcc, exec, s[0:1]
	s_cbranch_vccnz .LBB272_622
; %bb.621:
	global_load_dword v2, v[0:1], off
	s_movk_i32 s0, 0x7fff
	v_mov_b32_e32 v3, 0x7fc0
	s_waitcnt vmcnt(0)
	v_bfe_u32 v5, v2, 16, 1
	v_cmp_o_f32_e32 vcc, v2, v2
	v_add3_u32 v2, v2, v5, s0
	s_nop 0
	v_cndmask_b32_sdwa v2, v3, v2, vcc dst_sel:DWORD dst_unused:UNUSED_PAD src0_sel:DWORD src1_sel:WORD_1
.LBB272_622:
	s_mov_b64 s[0:1], 0
.LBB272_623:
	s_andn2_b64 vcc, exec, s[0:1]
	s_cbranch_vccnz .LBB272_625
; %bb.624:
	global_load_ushort v2, v[0:1], off
	s_movk_i32 s0, 0x7fff
	v_mov_b32_e32 v5, 0x7fc0
	s_waitcnt vmcnt(0)
	v_cvt_f32_f16_e32 v3, v2
	v_cmp_o_f16_e32 vcc, v2, v2
	v_bfe_u32 v2, v3, 16, 1
	v_add3_u32 v2, v3, v2, s0
	v_cndmask_b32_sdwa v2, v5, v2, vcc dst_sel:DWORD dst_unused:UNUSED_PAD src0_sel:DWORD src1_sel:WORD_1
.LBB272_625:
	s_mov_b64 s[0:1], 0
.LBB272_626:
	s_andn2_b64 vcc, exec, s[0:1]
	s_cbranch_vccnz .LBB272_646
; %bb.627:
	s_cmp_lt_i32 s34, 2
	s_cbranch_scc1 .LBB272_631
; %bb.628:
	s_cmp_lt_i32 s34, 3
	s_cbranch_scc1 .LBB272_632
; %bb.629:
	s_cmp_gt_i32 s34, 3
	s_cbranch_scc0 .LBB272_633
; %bb.630:
	global_load_dwordx2 v[2:3], v[0:1], off
	s_movk_i32 s0, 0x7fff
	s_waitcnt vmcnt(0)
	v_xor_b32_e32 v6, v2, v3
	v_ffbh_i32_e32 v5, v3
	v_ashrrev_i32_e32 v6, 31, v6
	v_add_u32_e32 v5, -1, v5
	v_add_u32_e32 v6, 32, v6
	v_min_u32_e32 v5, v5, v6
	v_lshlrev_b64 v[2:3], v5, v[2:3]
	v_min_u32_e32 v2, 1, v2
	v_or_b32_e32 v2, v3, v2
	v_cvt_f32_i32_e32 v2, v2
	v_sub_u32_e32 v3, 32, v5
	v_ldexp_f32 v2, v2, v3
	v_bfe_u32 v3, v2, 16, 1
	v_add3_u32 v2, v2, v3, s0
	v_lshrrev_b32_e32 v2, 16, v2
	s_mov_b64 s[0:1], 0
	s_branch .LBB272_634
.LBB272_631:
	s_mov_b64 s[0:1], -1
                                        ; implicit-def: $vgpr2
	s_branch .LBB272_640
.LBB272_632:
	s_mov_b64 s[0:1], -1
                                        ; implicit-def: $vgpr2
	s_branch .LBB272_637
.LBB272_633:
	s_mov_b64 s[0:1], -1
                                        ; implicit-def: $vgpr2
.LBB272_634:
	s_andn2_b64 vcc, exec, s[0:1]
	s_cbranch_vccnz .LBB272_636
; %bb.635:
	global_load_dword v2, v[0:1], off
	s_movk_i32 s0, 0x7fff
	s_waitcnt vmcnt(0)
	v_cvt_f32_i32_e32 v2, v2
	v_bfe_u32 v3, v2, 16, 1
	v_add3_u32 v2, v2, v3, s0
	v_lshrrev_b32_e32 v2, 16, v2
.LBB272_636:
	s_mov_b64 s[0:1], 0
.LBB272_637:
	s_andn2_b64 vcc, exec, s[0:1]
	s_cbranch_vccnz .LBB272_639
; %bb.638:
	global_load_sshort v2, v[0:1], off
	s_movk_i32 s0, 0x7fff
	s_waitcnt vmcnt(0)
	v_cvt_f32_i32_e32 v2, v2
	v_bfe_u32 v3, v2, 16, 1
	v_add3_u32 v2, v2, v3, s0
	v_lshrrev_b32_e32 v2, 16, v2
.LBB272_639:
	s_mov_b64 s[0:1], 0
.LBB272_640:
	s_andn2_b64 vcc, exec, s[0:1]
	s_cbranch_vccnz .LBB272_646
; %bb.641:
	s_cmp_gt_i32 s34, 0
	s_cbranch_scc0 .LBB272_643
; %bb.642:
	global_load_sbyte v2, v[0:1], off
	s_movk_i32 s0, 0x7fff
	s_waitcnt vmcnt(0)
	v_cvt_f32_i32_e32 v2, v2
	v_bfe_u32 v3, v2, 16, 1
	v_add3_u32 v2, v2, v3, s0
	v_lshrrev_b32_e32 v2, 16, v2
	s_mov_b64 s[0:1], 0
	s_branch .LBB272_644
.LBB272_643:
	s_mov_b64 s[0:1], -1
                                        ; implicit-def: $vgpr2
.LBB272_644:
	s_andn2_b64 vcc, exec, s[0:1]
	s_cbranch_vccnz .LBB272_646
; %bb.645:
	global_load_ubyte v0, v[0:1], off
	s_movk_i32 s0, 0x7fff
	s_waitcnt vmcnt(0)
	v_cvt_f32_ubyte0_e32 v0, v0
	v_bfe_u32 v1, v0, 16, 1
	v_add3_u32 v0, v0, v1, s0
	v_lshrrev_b32_e32 v2, 16, v0
.LBB272_646:
	s_mov_b64 s[0:1], -1
.LBB272_647:
	s_andn2_b64 vcc, exec, s[0:1]
	s_cbranch_vccnz .LBB272_655
; %bb.648:
	s_waitcnt vmcnt(0)
	v_lshlrev_b32_e32 v0, 16, v2
	s_mov_b32 s0, 0xf800000
	v_mul_f32_e32 v1, 0x4f800000, v0
	v_cmp_gt_f32_e32 vcc, s0, v0
	s_and_b32 s36, s33, 0xff
	s_cmp_lt_i32 s36, 11
	v_cndmask_b32_e32 v1, v0, v1, vcc
	v_sqrt_f32_e32 v2, v1
	s_nop 0
	v_add_u32_e32 v3, -1, v2
	v_fma_f32 v5, -v3, v2, v1
	v_cmp_ge_f32_e64 s[0:1], 0, v5
	v_add_u32_e32 v5, 1, v2
	s_nop 0
	v_cndmask_b32_e64 v3, v2, v3, s[0:1]
	v_fma_f32 v2, -v5, v2, v1
	v_cmp_lt_f32_e64 s[0:1], 0, v2
	s_nop 1
	v_cndmask_b32_e64 v2, v3, v5, s[0:1]
	v_mul_f32_e32 v3, 0x37800000, v2
	v_cndmask_b32_e32 v2, v2, v3, vcc
	v_mov_b32_e32 v3, 0x260
	v_cmp_class_f32_e32 vcc, v1, v3
	s_movk_i32 s0, 0x7fff
	s_nop 0
	v_cndmask_b32_e32 v1, v2, v1, vcc
	v_bfe_u32 v2, v1, 16, 1
	v_add3_u32 v1, v1, v2, s0
	v_cmp_le_f32_e32 vcc, 0, v0
	v_mov_b32_e32 v0, 0x7fc0
	s_nop 0
	v_cndmask_b32_sdwa v2, v0, v1, vcc dst_sel:DWORD dst_unused:UNUSED_PAD src0_sel:DWORD src1_sel:WORD_1
	v_mul_lo_u32 v0, v4, s8
	v_ashrrev_i32_e32 v1, 31, v0
	v_lshl_add_u64 v[0:1], s[4:5], 0, v[0:1]
	s_cbranch_scc1 .LBB272_656
; %bb.649:
	s_and_b32 s37, 0xffff, s36
	s_cmp_gt_i32 s37, 25
	s_cbranch_scc0 .LBB272_657
; %bb.650:
	s_cmp_gt_i32 s37, 28
	s_cbranch_scc0 .LBB272_658
; %bb.651:
	;; [unrolled: 3-line block ×4, first 2 shown]
	s_mov_b64 s[30:31], 0
	s_mov_b64 s[0:1], -1
	s_cmp_eq_u32 s37, 46
	s_mov_b64 s[28:29], 0
	s_cbranch_scc0 .LBB272_661
; %bb.654:
	v_and_b32_e32 v3, 0xffff, v2
	global_store_dword v[0:1], v3, off
	s_mov_b64 s[28:29], -1
	s_mov_b64 s[0:1], 0
	s_branch .LBB272_661
.LBB272_655:
	s_mov_b64 s[30:31], 0
	s_mov_b64 s[0:1], s[20:21]
	s_branch .LBB272_772
.LBB272_656:
	s_mov_b64 s[30:31], -1
	s_mov_b64 s[28:29], 0
	s_mov_b64 s[0:1], s[20:21]
	s_branch .LBB272_730
.LBB272_657:
	s_mov_b64 s[30:31], -1
	s_mov_b64 s[28:29], 0
	s_mov_b64 s[0:1], s[20:21]
	s_branch .LBB272_688
.LBB272_658:
	s_mov_b64 s[30:31], -1
	s_mov_b64 s[28:29], 0
	s_mov_b64 s[0:1], s[20:21]
	s_branch .LBB272_671
.LBB272_659:
	s_mov_b64 s[30:31], -1
	s_mov_b64 s[28:29], 0
	s_mov_b64 s[0:1], s[20:21]
	s_branch .LBB272_667
.LBB272_660:
	s_mov_b64 s[30:31], -1
	s_mov_b64 s[28:29], 0
	s_mov_b64 s[0:1], s[20:21]
.LBB272_661:
	s_and_b64 vcc, exec, s[30:31]
	s_cbranch_vccz .LBB272_666
; %bb.662:
	s_cmp_eq_u32 s37, 44
	s_mov_b64 s[0:1], -1
	s_cbranch_scc0 .LBB272_666
; %bb.663:
	v_and_b32_e32 v5, 0xffff, v2
	v_bfe_u32 v3, v5, 7, 8
	s_movk_i32 s0, 0xff
	v_cmp_ne_u32_e32 vcc, s0, v3
	v_mov_b32_e32 v6, 0xff
	s_and_saveexec_b64 s[28:29], vcc
	s_cbranch_execz .LBB272_665
; %bb.664:
	v_lshlrev_b32_e32 v7, 16, v5
	s_mov_b32 s0, 0x3f0000
	v_lshrrev_b32_e32 v6, 7, v5
	v_and_b32_e32 v5, 64, v5
	v_and_or_b32 v3, v7, s0, v3
	v_cmp_ne_u32_e32 vcc, 0, v5
	v_cmp_ne_u32_e64 s[0:1], 0, v3
	s_and_b64 s[0:1], vcc, s[0:1]
	s_nop 0
	v_cndmask_b32_e64 v3, 0, 1, s[0:1]
	v_add_u32_e32 v6, v6, v3
.LBB272_665:
	s_or_b64 exec, exec, s[28:29]
	s_mov_b64 s[28:29], -1
	s_mov_b64 s[0:1], 0
	global_store_byte v[0:1], v6, off
.LBB272_666:
	s_mov_b64 s[30:31], 0
.LBB272_667:
	s_and_b64 vcc, exec, s[30:31]
	s_cbranch_vccz .LBB272_670
; %bb.668:
	s_cmp_eq_u32 s37, 29
	s_mov_b64 s[0:1], -1
	s_cbranch_scc0 .LBB272_670
; %bb.669:
	v_lshlrev_b32_e32 v3, 16, v2
	v_trunc_f32_e32 v3, v3
	v_mul_f32_e32 v5, 0x2f800000, v3
	v_floor_f32_e32 v5, v5
	v_fmamk_f32 v3, v5, 0xcf800000, v3
	v_cvt_u32_f32_e32 v7, v5
	v_cvt_u32_f32_e32 v6, v3
	s_mov_b64 s[28:29], -1
	s_mov_b64 s[0:1], 0
	s_mov_b64 s[30:31], 0
	global_store_dwordx2 v[0:1], v[6:7], off
	s_branch .LBB272_671
.LBB272_670:
	s_mov_b64 s[30:31], 0
.LBB272_671:
	s_and_b64 vcc, exec, s[30:31]
	s_cbranch_vccz .LBB272_687
; %bb.672:
	s_cmp_lt_i32 s37, 27
	s_mov_b64 s[28:29], -1
	s_cbranch_scc1 .LBB272_678
; %bb.673:
	s_cmp_gt_i32 s37, 27
	s_cbranch_scc0 .LBB272_675
; %bb.674:
	v_lshlrev_b32_e32 v3, 16, v2
	v_cvt_u32_f32_e32 v3, v3
	s_mov_b64 s[28:29], 0
	global_store_dword v[0:1], v3, off
.LBB272_675:
	s_andn2_b64 vcc, exec, s[28:29]
	s_cbranch_vccnz .LBB272_677
; %bb.676:
	v_lshlrev_b32_e32 v3, 16, v2
	v_cvt_u32_f32_e32 v3, v3
	global_store_short v[0:1], v3, off
.LBB272_677:
	s_mov_b64 s[28:29], 0
.LBB272_678:
	s_andn2_b64 vcc, exec, s[28:29]
	s_cbranch_vccnz .LBB272_686
; %bb.679:
	v_lshlrev_b32_e32 v6, 16, v2
	v_and_b32_e32 v5, 0x7fffffff, v6
	s_mov_b32 s28, 0x43800000
	v_cmp_gt_u32_e32 vcc, s28, v5
	v_mov_b32_e32 v7, 0x80
	s_and_saveexec_b64 s[28:29], vcc
	s_cbranch_execz .LBB272_685
; %bb.680:
	s_mov_b32 s30, 0x3bffffff
	v_and_b32_e32 v3, 0xffff, v2
	v_cmp_lt_u32_e32 vcc, s30, v5
	s_mov_b64 s[30:31], 0
                                        ; implicit-def: $vgpr5
	s_and_saveexec_b64 s[34:35], vcc
	s_xor_b64 s[34:35], exec, s[34:35]
	s_cbranch_execz .LBB272_787
; %bb.681:
	v_bfe_u32 v5, v3, 4, 1
	s_mov_b32 s39, 0x487ffff
	v_add3_u32 v5, v6, v5, s39
	s_mov_b64 s[30:31], exec
	v_lshrrev_b32_e32 v5, 20, v5
                                        ; implicit-def: $vgpr6
	s_andn2_saveexec_b64 s[34:35], s[34:35]
	s_cbranch_execnz .LBB272_788
.LBB272_682:
	s_or_b64 exec, exec, s[34:35]
	v_mov_b32_e32 v7, 0
	s_and_saveexec_b64 s[34:35], s[30:31]
.LBB272_683:
	v_lshrrev_b32_e32 v3, 8, v3
	s_movk_i32 s30, 0x80
	v_and_or_b32 v7, v3, s30, v5
.LBB272_684:
	s_or_b64 exec, exec, s[34:35]
.LBB272_685:
	s_or_b64 exec, exec, s[28:29]
	global_store_byte v[0:1], v7, off
.LBB272_686:
	s_mov_b64 s[28:29], -1
.LBB272_687:
	s_mov_b64 s[30:31], 0
.LBB272_688:
	s_and_b64 vcc, exec, s[30:31]
	s_cbranch_vccz .LBB272_729
; %bb.689:
	s_cmp_gt_i32 s37, 22
	s_mov_b64 s[30:31], -1
	s_cbranch_scc0 .LBB272_721
; %bb.690:
	s_cmp_lt_i32 s37, 24
	s_mov_b64 s[28:29], -1
	s_cbranch_scc1 .LBB272_710
; %bb.691:
	s_cmp_gt_i32 s37, 24
	s_cbranch_scc0 .LBB272_699
; %bb.692:
	v_lshlrev_b32_e32 v6, 16, v2
	v_and_b32_e32 v5, 0x7fffffff, v6
	s_mov_b32 s28, 0x47800000
	v_cmp_gt_u32_e32 vcc, s28, v5
	v_mov_b32_e32 v7, 0x80
	s_and_saveexec_b64 s[28:29], vcc
	s_cbranch_execz .LBB272_698
; %bb.693:
	s_mov_b32 s30, 0x37ffffff
	v_and_b32_e32 v3, 0xffff, v2
	v_cmp_lt_u32_e32 vcc, s30, v5
	s_mov_b64 s[30:31], 0
                                        ; implicit-def: $vgpr5
	s_and_saveexec_b64 s[34:35], vcc
	s_xor_b64 s[34:35], exec, s[34:35]
	s_cbranch_execz .LBB272_790
; %bb.694:
	v_bfe_u32 v5, v3, 5, 1
	s_mov_b32 s39, 0x88fffff
	v_add3_u32 v5, v6, v5, s39
	s_mov_b64 s[30:31], exec
	v_lshrrev_b32_e32 v5, 21, v5
                                        ; implicit-def: $vgpr6
	s_andn2_saveexec_b64 s[34:35], s[34:35]
	s_cbranch_execnz .LBB272_791
.LBB272_695:
	s_or_b64 exec, exec, s[34:35]
	v_mov_b32_e32 v7, 0
	s_and_saveexec_b64 s[34:35], s[30:31]
.LBB272_696:
	v_lshrrev_b32_e32 v3, 8, v3
	s_movk_i32 s30, 0x80
	v_and_or_b32 v7, v3, s30, v5
.LBB272_697:
	s_or_b64 exec, exec, s[34:35]
.LBB272_698:
	s_or_b64 exec, exec, s[28:29]
	s_mov_b64 s[28:29], 0
	global_store_byte v[0:1], v7, off
.LBB272_699:
	s_and_b64 vcc, exec, s[28:29]
	s_cbranch_vccz .LBB272_709
; %bb.700:
	v_lshlrev_b32_e32 v6, 16, v2
	v_and_b32_e32 v7, 0x7fffffff, v6
	s_mov_b32 s28, 0x43f00000
	v_and_b32_e32 v3, 0xffff, v2
	v_cmp_gt_u32_e32 vcc, s28, v7
                                        ; implicit-def: $vgpr5
	s_and_saveexec_b64 s[28:29], vcc
	s_xor_b64 s[28:29], exec, s[28:29]
	s_cbranch_execz .LBB272_706
; %bb.701:
	s_mov_b32 s30, 0x3c7fffff
	v_cmp_lt_u32_e32 vcc, s30, v7
                                        ; implicit-def: $vgpr5
	s_and_saveexec_b64 s[30:31], vcc
	s_xor_b64 s[30:31], exec, s[30:31]
; %bb.702:
	v_bfe_u32 v5, v3, 4, 1
	s_mov_b32 s34, 0x407ffff
	v_add3_u32 v5, v6, v5, s34
	v_lshrrev_b32_e32 v6, 20, v5
	v_and_b32_e32 v5, 0xff00000, v5
	s_mov_b32 s34, 0x7f00000
	v_mov_b32_e32 v7, 0x7e
	v_cmp_ne_u32_e32 vcc, s34, v5
	s_nop 1
	v_cndmask_b32_e32 v5, v7, v6, vcc
                                        ; implicit-def: $vgpr6
; %bb.703:
	s_andn2_saveexec_b64 s[30:31], s[30:31]
; %bb.704:
	s_mov_b32 s34, 0x46800000
	v_add_f32_e64 v5, |v6|, s34
; %bb.705:
	s_or_b64 exec, exec, s[30:31]
                                        ; implicit-def: $vgpr7
.LBB272_706:
	s_andn2_saveexec_b64 s[28:29], s[28:29]
; %bb.707:
	s_mov_b32 s30, 0x7f800000
	v_mov_b32_e32 v5, 0x7e
	v_mov_b32_e32 v6, 0x7f
	v_cmp_lt_u32_e32 vcc, s30, v7
	s_nop 1
	v_cndmask_b32_e32 v5, v5, v6, vcc
; %bb.708:
	s_or_b64 exec, exec, s[28:29]
	v_lshrrev_b32_e32 v3, 8, v3
	s_movk_i32 s28, 0x80
	v_and_or_b32 v3, v3, s28, v5
	global_store_byte v[0:1], v3, off
.LBB272_709:
	s_mov_b64 s[28:29], 0
.LBB272_710:
	s_andn2_b64 vcc, exec, s[28:29]
	s_cbranch_vccnz .LBB272_720
; %bb.711:
	v_lshlrev_b32_e32 v6, 16, v2
	v_and_b32_e32 v7, 0x7fffffff, v6
	s_mov_b32 s28, 0x47800000
	v_and_b32_e32 v3, 0xffff, v2
	v_cmp_gt_u32_e32 vcc, s28, v7
                                        ; implicit-def: $vgpr5
	s_and_saveexec_b64 s[28:29], vcc
	s_xor_b64 s[28:29], exec, s[28:29]
	s_cbranch_execz .LBB272_717
; %bb.712:
	s_mov_b32 s30, 0x387fffff
	v_cmp_lt_u32_e32 vcc, s30, v7
                                        ; implicit-def: $vgpr5
	s_and_saveexec_b64 s[30:31], vcc
	s_xor_b64 s[30:31], exec, s[30:31]
; %bb.713:
	v_bfe_u32 v5, v3, 5, 1
	s_mov_b32 s34, 0x80fffff
	v_add3_u32 v5, v6, v5, s34
	v_lshrrev_b32_e32 v5, 21, v5
                                        ; implicit-def: $vgpr6
; %bb.714:
	s_andn2_saveexec_b64 s[30:31], s[30:31]
; %bb.715:
	s_mov_b32 s34, 0x43000000
	v_add_f32_e64 v5, |v6|, s34
; %bb.716:
	s_or_b64 exec, exec, s[30:31]
                                        ; implicit-def: $vgpr7
.LBB272_717:
	s_andn2_saveexec_b64 s[28:29], s[28:29]
; %bb.718:
	s_mov_b32 s30, 0x7f800000
	v_mov_b32_e32 v5, 0x7c
	v_mov_b32_e32 v6, 0x7f
	v_cmp_lt_u32_e32 vcc, s30, v7
	s_nop 1
	v_cndmask_b32_e32 v5, v5, v6, vcc
; %bb.719:
	s_or_b64 exec, exec, s[28:29]
	v_lshrrev_b32_e32 v3, 8, v3
	s_movk_i32 s28, 0x80
	v_and_or_b32 v3, v3, s28, v5
	global_store_byte v[0:1], v3, off
.LBB272_720:
	s_mov_b64 s[30:31], 0
	s_mov_b64 s[28:29], -1
.LBB272_721:
	s_andn2_b64 vcc, exec, s[30:31]
	s_cbranch_vccnz .LBB272_729
; %bb.722:
	s_cmp_gt_i32 s37, 14
	s_mov_b64 s[30:31], -1
	s_cbranch_scc0 .LBB272_726
; %bb.723:
	s_cmp_eq_u32 s37, 15
	s_mov_b64 s[0:1], -1
	s_cbranch_scc0 .LBB272_725
; %bb.724:
	global_store_short v[0:1], v2, off
	s_mov_b64 s[28:29], -1
	s_mov_b64 s[0:1], 0
.LBB272_725:
	s_mov_b64 s[30:31], 0
.LBB272_726:
	s_and_b64 vcc, exec, s[30:31]
	s_cbranch_vccz .LBB272_729
; %bb.727:
	s_cmp_eq_u32 s37, 11
	s_mov_b64 s[0:1], -1
	s_cbranch_scc0 .LBB272_729
; %bb.728:
	v_and_b32_e32 v3, 0x7fff, v2
	v_cmp_ne_u16_e32 vcc, 0, v3
	s_mov_b64 s[28:29], -1
	s_mov_b64 s[0:1], 0
	v_cndmask_b32_e64 v3, 0, 1, vcc
	global_store_byte v[0:1], v3, off
.LBB272_729:
	s_mov_b64 s[30:31], 0
.LBB272_730:
	s_and_b64 vcc, exec, s[30:31]
	s_cbranch_vccz .LBB272_769
; %bb.731:
	s_and_b32 s30, 0xffff, s36
	s_cmp_lt_i32 s30, 5
	s_mov_b64 s[28:29], -1
	s_cbranch_scc1 .LBB272_752
; %bb.732:
	s_cmp_lt_i32 s30, 8
	s_cbranch_scc1 .LBB272_742
; %bb.733:
	s_cmp_lt_i32 s30, 9
	s_cbranch_scc1 .LBB272_739
; %bb.734:
	s_cmp_gt_i32 s30, 9
	s_cbranch_scc0 .LBB272_736
; %bb.735:
	v_lshlrev_b32_e32 v3, 16, v2
	v_mov_b32_e32 v8, 0
	v_cvt_f64_f32_e32 v[6:7], v3
	v_mov_b32_e32 v9, v8
	s_mov_b64 s[28:29], 0
	global_store_dwordx4 v[0:1], v[6:9], off
.LBB272_736:
	s_andn2_b64 vcc, exec, s[28:29]
	s_cbranch_vccnz .LBB272_738
; %bb.737:
	v_lshlrev_b32_e32 v6, 16, v2
	v_mov_b32_e32 v7, 0
	global_store_dwordx2 v[0:1], v[6:7], off
.LBB272_738:
	s_mov_b64 s[28:29], 0
.LBB272_739:
	s_andn2_b64 vcc, exec, s[28:29]
	s_cbranch_vccnz .LBB272_741
; %bb.740:
	v_lshlrev_b32_e32 v3, 16, v2
	v_cvt_f16_f32_e32 v3, v3
	global_store_dword v[0:1], v3, off
.LBB272_741:
	s_mov_b64 s[28:29], 0
.LBB272_742:
	s_andn2_b64 vcc, exec, s[28:29]
	s_cbranch_vccnz .LBB272_751
; %bb.743:
	s_cmp_lt_i32 s30, 6
	s_mov_b64 s[28:29], -1
	s_cbranch_scc1 .LBB272_749
; %bb.744:
	s_cmp_gt_i32 s30, 6
	s_cbranch_scc0 .LBB272_746
; %bb.745:
	v_lshlrev_b32_e32 v3, 16, v2
	v_cvt_f64_f32_e32 v[6:7], v3
	s_mov_b64 s[28:29], 0
	global_store_dwordx2 v[0:1], v[6:7], off
.LBB272_746:
	s_andn2_b64 vcc, exec, s[28:29]
	s_cbranch_vccnz .LBB272_748
; %bb.747:
	v_lshlrev_b32_e32 v3, 16, v2
	global_store_dword v[0:1], v3, off
.LBB272_748:
	s_mov_b64 s[28:29], 0
.LBB272_749:
	s_andn2_b64 vcc, exec, s[28:29]
	s_cbranch_vccnz .LBB272_751
; %bb.750:
	v_lshlrev_b32_e32 v3, 16, v2
	v_cvt_f16_f32_e32 v3, v3
	global_store_short v[0:1], v3, off
.LBB272_751:
	s_mov_b64 s[28:29], 0
.LBB272_752:
	s_andn2_b64 vcc, exec, s[28:29]
	s_cbranch_vccnz .LBB272_768
; %bb.753:
	s_cmp_lt_i32 s30, 2
	s_mov_b64 s[28:29], -1
	s_cbranch_scc1 .LBB272_763
; %bb.754:
	s_cmp_lt_i32 s30, 3
	s_cbranch_scc1 .LBB272_760
; %bb.755:
	s_cmp_gt_i32 s30, 3
	s_cbranch_scc0 .LBB272_757
; %bb.756:
	v_lshlrev_b32_e32 v3, 16, v2
	v_trunc_f32_e32 v3, v3
	s_mov_b32 s28, 0x2f800000
	v_mul_f32_e64 v5, |v3|, s28
	v_floor_f32_e32 v5, v5
	s_mov_b32 s28, 0xcf800000
	v_cvt_u32_f32_e32 v6, v5
	v_fma_f32 v5, v5, s28, |v3|
	v_cvt_u32_f32_e32 v5, v5
	v_ashrrev_i32_e32 v3, 31, v3
	v_xor_b32_e32 v7, v6, v3
	s_mov_b64 s[28:29], 0
	v_xor_b32_e32 v5, v5, v3
	v_sub_co_u32_e32 v6, vcc, v5, v3
	s_nop 1
	v_subb_co_u32_e32 v7, vcc, v7, v3, vcc
	global_store_dwordx2 v[0:1], v[6:7], off
.LBB272_757:
	s_andn2_b64 vcc, exec, s[28:29]
	s_cbranch_vccnz .LBB272_759
; %bb.758:
	v_lshlrev_b32_e32 v3, 16, v2
	v_cvt_i32_f32_e32 v3, v3
	global_store_dword v[0:1], v3, off
.LBB272_759:
	s_mov_b64 s[28:29], 0
.LBB272_760:
	s_andn2_b64 vcc, exec, s[28:29]
	s_cbranch_vccnz .LBB272_762
; %bb.761:
	v_lshlrev_b32_e32 v3, 16, v2
	v_cvt_i32_f32_e32 v3, v3
	global_store_short v[0:1], v3, off
.LBB272_762:
	s_mov_b64 s[28:29], 0
.LBB272_763:
	s_andn2_b64 vcc, exec, s[28:29]
	s_cbranch_vccnz .LBB272_768
; %bb.764:
	s_mov_b64 s[28:29], -1
	s_cmp_gt_i32 s30, 0
	v_lshlrev_b32_e32 v2, 16, v2
	s_cbranch_scc0 .LBB272_766
; %bb.765:
	v_cvt_i32_f32_e32 v3, v2
	s_mov_b64 s[28:29], 0
	global_store_byte v[0:1], v3, off
.LBB272_766:
	s_andn2_b64 vcc, exec, s[28:29]
	s_cbranch_vccnz .LBB272_768
; %bb.767:
	v_trunc_f32_e32 v2, v2
	s_mov_b32 s28, 0x2f800000
	v_mul_f32_e64 v3, |v2|, s28
	v_floor_f32_e32 v3, v3
	s_mov_b32 s28, 0xcf800000
	v_fma_f32 v3, v3, s28, |v2|
	v_cvt_u32_f32_e32 v3, v3
	v_ashrrev_i32_e32 v2, 31, v2
	v_xor_b32_e32 v3, v3, v2
	v_sub_u32_e32 v2, v3, v2
	global_store_byte v[0:1], v2, off
.LBB272_768:
	s_mov_b64 s[28:29], -1
.LBB272_769:
	s_andn2_b64 vcc, exec, s[28:29]
	s_cbranch_vccnz .LBB272_771
; %bb.770:
	v_add_u32_e32 v4, 0x80, v4
	s_mov_b64 s[30:31], -1
	s_branch .LBB272_773
.LBB272_771:
	s_mov_b64 s[30:31], 0
.LBB272_772:
                                        ; implicit-def: $vgpr4
.LBB272_773:
	s_andn2_b64 s[28:29], s[20:21], exec
	s_and_b64 s[0:1], s[0:1], exec
	s_or_b64 s[28:29], s[28:29], s[0:1]
	s_andn2_b64 s[0:1], s[18:19], exec
	s_and_b64 s[26:27], s[26:27], exec
	s_or_b64 s[0:1], s[0:1], s[26:27]
	s_orn2_b64 s[34:35], s[30:31], exec
.LBB272_774:
	s_or_b64 exec, exec, s[24:25]
	s_mov_b64 s[30:31], 0
	s_mov_b64 s[26:27], 0
	;; [unrolled: 1-line block ×3, first 2 shown]
                                        ; implicit-def: $vgpr0_vgpr1
                                        ; implicit-def: $vgpr3
	s_and_saveexec_b64 s[24:25], s[34:35]
	s_cbranch_execz .LBB272_859
; %bb.775:
	v_cmp_gt_i32_e32 vcc, s38, v4
	s_mov_b64 s[34:35], 0
	s_mov_b64 s[38:39], s[0:1]
	;; [unrolled: 1-line block ×3, first 2 shown]
                                        ; implicit-def: $vgpr0_vgpr1
                                        ; implicit-def: $vgpr3
	s_and_saveexec_b64 s[26:27], vcc
	s_cbranch_execz .LBB272_858
; %bb.776:
	v_mul_lo_u32 v0, v4, s9
	v_ashrrev_i32_e32 v1, 31, v0
	s_and_b32 s43, 0xffff, s42
	s_cmp_lt_i32 s43, 11
	v_lshl_add_u64 v[0:1], s[6:7], 0, v[0:1]
	s_cbranch_scc1 .LBB272_783
; %bb.777:
	s_cmp_gt_i32 s43, 25
	s_cbranch_scc0 .LBB272_784
; %bb.778:
	s_cmp_gt_i32 s43, 28
	s_cbranch_scc0 .LBB272_785
	;; [unrolled: 3-line block ×4, first 2 shown]
; %bb.781:
	s_cmp_eq_u32 s43, 46
	s_mov_b64 s[38:39], 0
	s_cbranch_scc0 .LBB272_792
; %bb.782:
	global_load_dword v3, v[0:1], off
	s_mov_b64 s[36:37], -1
	s_branch .LBB272_794
.LBB272_783:
	s_mov_b64 s[38:39], -1
                                        ; implicit-def: $vgpr3
	s_mov_b64 s[30:31], s[0:1]
	s_branch .LBB272_857
.LBB272_784:
	s_mov_b64 s[38:39], -1
	s_mov_b64 s[30:31], s[0:1]
                                        ; implicit-def: $vgpr3
	s_branch .LBB272_823
.LBB272_785:
	s_mov_b64 s[38:39], -1
	s_mov_b64 s[30:31], s[0:1]
                                        ; implicit-def: $vgpr3
	s_branch .LBB272_804
.LBB272_786:
	s_mov_b64 s[38:39], -1
	s_mov_b64 s[30:31], s[0:1]
                                        ; implicit-def: $vgpr3
	s_branch .LBB272_799
.LBB272_787:
	s_andn2_saveexec_b64 s[34:35], s[34:35]
	s_cbranch_execz .LBB272_682
.LBB272_788:
	s_mov_b32 s39, 0x46000000
	v_add_f32_e64 v5, |v6|, s39
	v_and_b32_e32 v5, 0xff, v5
	v_cmp_ne_u32_e32 vcc, 0, v5
	s_andn2_b64 s[30:31], s[30:31], exec
	s_and_b64 s[40:41], vcc, exec
	s_or_b64 s[30:31], s[30:31], s[40:41]
	s_or_b64 exec, exec, s[34:35]
	v_mov_b32_e32 v7, 0
	s_and_saveexec_b64 s[34:35], s[30:31]
	s_cbranch_execnz .LBB272_683
	s_branch .LBB272_684
.LBB272_789:
	s_mov_b64 s[38:39], -1
	s_mov_b64 s[30:31], s[0:1]
	s_branch .LBB272_793
.LBB272_790:
	s_andn2_saveexec_b64 s[34:35], s[34:35]
	s_cbranch_execz .LBB272_695
.LBB272_791:
	s_mov_b32 s39, 0x42800000
	v_add_f32_e64 v5, |v6|, s39
	v_and_b32_e32 v5, 0xff, v5
	v_cmp_ne_u32_e32 vcc, 0, v5
	s_andn2_b64 s[30:31], s[30:31], exec
	s_and_b64 s[40:41], vcc, exec
	s_or_b64 s[30:31], s[30:31], s[40:41]
	s_or_b64 exec, exec, s[34:35]
	v_mov_b32_e32 v7, 0
	s_and_saveexec_b64 s[34:35], s[30:31]
	s_cbranch_execnz .LBB272_696
	s_branch .LBB272_697
.LBB272_792:
	s_mov_b64 s[30:31], -1
.LBB272_793:
                                        ; implicit-def: $vgpr3
.LBB272_794:
	s_and_b64 vcc, exec, s[38:39]
	s_cbranch_vccz .LBB272_798
; %bb.795:
	s_cmp_eq_u32 s43, 44
	s_cbranch_scc0 .LBB272_797
; %bb.796:
	global_load_ubyte v2, v[0:1], off
	s_movk_i32 s36, 0xff
	s_waitcnt vmcnt(1)
	v_mov_b32_e32 v3, 0x7f800001
	v_mov_b32_e32 v5, 0x400000
	;; [unrolled: 1-line block ×3, first 2 shown]
	s_mov_b64 s[30:31], 0
	s_waitcnt vmcnt(0)
	v_lshlrev_b32_e32 v7, 23, v2
	v_cmp_ne_u32_e32 vcc, s36, v2
	s_mov_b64 s[36:37], -1
	s_nop 0
	v_cndmask_b32_e32 v3, v3, v7, vcc
	v_cmp_ne_u32_e32 vcc, 0, v2
	s_nop 1
	v_cndmask_b32_e32 v2, v5, v3, vcc
	v_add_u32_e32 v3, 0x7fff, v2
	v_cmp_o_f32_e32 vcc, v2, v2
	s_nop 1
	v_cndmask_b32_sdwa v3, v6, v3, vcc dst_sel:DWORD dst_unused:UNUSED_PAD src0_sel:DWORD src1_sel:WORD_1
	s_branch .LBB272_798
.LBB272_797:
	s_mov_b64 s[30:31], -1
                                        ; implicit-def: $vgpr3
.LBB272_798:
	s_mov_b64 s[38:39], 0
.LBB272_799:
	s_and_b64 vcc, exec, s[38:39]
	s_cbranch_vccz .LBB272_803
; %bb.800:
	s_cmp_eq_u32 s43, 29
	s_cbranch_scc0 .LBB272_802
; %bb.801:
	global_load_dwordx2 v[2:3], v[0:1], off
	s_movk_i32 s36, 0x7fff
	s_mov_b64 s[30:31], 0
	s_mov_b64 s[38:39], 0
	s_waitcnt vmcnt(0)
	v_ffbh_u32_e32 v5, v3
	v_min_u32_e32 v5, 32, v5
	v_lshlrev_b64 v[2:3], v5, v[2:3]
	v_min_u32_e32 v2, 1, v2
	v_or_b32_e32 v2, v3, v2
	v_cvt_f32_u32_e32 v2, v2
	v_sub_u32_e32 v3, 32, v5
	v_ldexp_f32 v2, v2, v3
	v_bfe_u32 v3, v2, 16, 1
	v_add3_u32 v2, v2, v3, s36
	v_lshrrev_b32_e32 v3, 16, v2
	s_mov_b64 s[36:37], -1
	s_branch .LBB272_804
.LBB272_802:
	s_mov_b64 s[30:31], -1
                                        ; implicit-def: $vgpr3
.LBB272_803:
	s_mov_b64 s[38:39], 0
.LBB272_804:
	s_and_b64 vcc, exec, s[38:39]
	s_cbranch_vccz .LBB272_822
; %bb.805:
	s_cmp_lt_i32 s43, 27
	s_cbranch_scc1 .LBB272_808
; %bb.806:
	s_cmp_gt_i32 s43, 27
	s_cbranch_scc0 .LBB272_809
; %bb.807:
	global_load_dword v2, v[0:1], off
	s_movk_i32 s36, 0x7fff
	s_waitcnt vmcnt(0)
	v_cvt_f32_u32_e32 v2, v2
	v_bfe_u32 v3, v2, 16, 1
	v_add3_u32 v2, v2, v3, s36
	v_lshrrev_b32_e32 v3, 16, v2
	s_mov_b64 s[36:37], 0
	s_branch .LBB272_810
.LBB272_808:
	s_mov_b64 s[36:37], -1
                                        ; implicit-def: $vgpr3
	s_branch .LBB272_813
.LBB272_809:
	s_mov_b64 s[36:37], -1
                                        ; implicit-def: $vgpr3
.LBB272_810:
	s_andn2_b64 vcc, exec, s[36:37]
	s_cbranch_vccnz .LBB272_812
; %bb.811:
	global_load_ushort v2, v[0:1], off
	s_movk_i32 s36, 0x7fff
	s_waitcnt vmcnt(0)
	v_cvt_f32_u32_e32 v2, v2
	v_bfe_u32 v3, v2, 16, 1
	v_add3_u32 v2, v2, v3, s36
	v_lshrrev_b32_e32 v3, 16, v2
.LBB272_812:
	s_mov_b64 s[36:37], 0
.LBB272_813:
	s_andn2_b64 vcc, exec, s[36:37]
	s_cbranch_vccnz .LBB272_821
; %bb.814:
	global_load_ubyte v2, v[0:1], off
	s_movk_i32 s36, 0x7f
	s_waitcnt vmcnt(0)
	v_cmp_lt_i16_e32 vcc, s36, v2
	s_mov_b64 s[36:37], 0
	s_and_saveexec_b64 s[38:39], vcc
	s_xor_b64 s[38:39], exec, s[38:39]
	s_cbranch_execz .LBB272_835
; %bb.815:
	s_movk_i32 s36, 0x80
	v_cmp_eq_u16_e32 vcc, s36, v2
	s_mov_b64 s[36:37], -1
	s_and_saveexec_b64 s[40:41], vcc
; %bb.816:
	s_xor_b64 s[36:37], exec, -1
; %bb.817:
	s_or_b64 exec, exec, s[40:41]
	s_and_b64 s[36:37], s[36:37], exec
	s_or_saveexec_b64 s[38:39], s[38:39]
	v_mov_b32_e32 v3, 0x7f800001
	s_xor_b64 exec, exec, s[38:39]
	s_cbranch_execnz .LBB272_836
.LBB272_818:
	s_or_b64 exec, exec, s[38:39]
	s_and_saveexec_b64 s[38:39], s[36:37]
	s_cbranch_execz .LBB272_820
.LBB272_819:
	v_lshlrev_b32_e32 v3, 24, v2
	v_and_b32_e32 v2, 0xffff, v2
	v_and_b32_e32 v5, 7, v2
	v_ffbh_u32_e32 v7, v5
	v_min_u32_e32 v7, 32, v7
	v_subrev_u32_e32 v8, 28, v7
	v_bfe_u32 v6, v2, 3, 4
	v_lshlrev_b32_e32 v2, v8, v2
	v_sub_u32_e32 v7, 29, v7
	v_and_b32_e32 v2, 7, v2
	v_cmp_eq_u32_e32 vcc, 0, v6
	v_and_b32_e32 v3, 0x80000000, v3
	s_nop 0
	v_cndmask_b32_e32 v6, v6, v7, vcc
	v_cndmask_b32_e32 v2, v5, v2, vcc
	v_mov_b32_e32 v5, 0x3b800000
	v_lshlrev_b32_e32 v2, 20, v2
	v_lshl_add_u32 v5, v6, 23, v5
	v_or3_b32 v3, v3, v5, v2
.LBB272_820:
	s_or_b64 exec, exec, s[38:39]
	v_bfe_u32 v2, v3, 16, 1
	s_movk_i32 s36, 0x7fff
	v_add3_u32 v2, v3, v2, s36
	v_cmp_o_f32_e32 vcc, v3, v3
	v_mov_b32_e32 v3, 0x7fc0
	s_nop 0
	v_cndmask_b32_sdwa v3, v3, v2, vcc dst_sel:DWORD dst_unused:UNUSED_PAD src0_sel:DWORD src1_sel:WORD_1
.LBB272_821:
	s_mov_b64 s[36:37], -1
.LBB272_822:
	s_mov_b64 s[38:39], 0
.LBB272_823:
	s_and_b64 vcc, exec, s[38:39]
	s_cbranch_vccz .LBB272_856
; %bb.824:
	s_cmp_gt_i32 s43, 22
	s_cbranch_scc0 .LBB272_834
; %bb.825:
	s_cmp_lt_i32 s43, 24
	s_cbranch_scc1 .LBB272_837
; %bb.826:
	s_cmp_gt_i32 s43, 24
	s_cbranch_scc0 .LBB272_838
; %bb.827:
	global_load_ubyte v2, v[0:1], off
	s_movk_i32 s34, 0x7f
	s_waitcnt vmcnt(0)
	v_cmp_lt_i16_e32 vcc, s34, v2
	s_mov_b64 s[34:35], 0
	s_and_saveexec_b64 s[36:37], vcc
	s_xor_b64 s[36:37], exec, s[36:37]
	s_cbranch_execz .LBB272_850
; %bb.828:
	s_movk_i32 s34, 0x80
	v_cmp_eq_u16_e32 vcc, s34, v2
	s_mov_b64 s[34:35], -1
	s_and_saveexec_b64 s[38:39], vcc
; %bb.829:
	s_xor_b64 s[34:35], exec, -1
; %bb.830:
	s_or_b64 exec, exec, s[38:39]
	s_and_b64 s[34:35], s[34:35], exec
	s_or_saveexec_b64 s[36:37], s[36:37]
	v_mov_b32_e32 v3, 0x7f800001
	s_xor_b64 exec, exec, s[36:37]
	s_cbranch_execnz .LBB272_851
.LBB272_831:
	s_or_b64 exec, exec, s[36:37]
	s_and_saveexec_b64 s[36:37], s[34:35]
	s_cbranch_execz .LBB272_833
.LBB272_832:
	v_lshlrev_b32_e32 v3, 24, v2
	v_and_b32_e32 v2, 0xffff, v2
	v_and_b32_e32 v5, 3, v2
	v_ffbh_u32_e32 v7, v5
	v_min_u32_e32 v7, 32, v7
	v_subrev_u32_e32 v8, 29, v7
	v_bfe_u32 v6, v2, 2, 5
	v_lshlrev_b32_e32 v2, v8, v2
	v_sub_u32_e32 v7, 30, v7
	v_and_b32_e32 v2, 3, v2
	v_cmp_eq_u32_e32 vcc, 0, v6
	v_and_b32_e32 v3, 0x80000000, v3
	s_nop 0
	v_cndmask_b32_e32 v6, v6, v7, vcc
	v_cndmask_b32_e32 v2, v5, v2, vcc
	v_mov_b32_e32 v5, 0x37800000
	v_lshlrev_b32_e32 v2, 21, v2
	v_lshl_add_u32 v5, v6, 23, v5
	v_or3_b32 v3, v3, v5, v2
.LBB272_833:
	s_or_b64 exec, exec, s[36:37]
	v_bfe_u32 v2, v3, 16, 1
	s_movk_i32 s34, 0x7fff
	v_add3_u32 v2, v3, v2, s34
	v_cmp_o_f32_e32 vcc, v3, v3
	v_mov_b32_e32 v3, 0x7fc0
	s_mov_b64 s[34:35], 0
	v_cndmask_b32_sdwa v3, v3, v2, vcc dst_sel:DWORD dst_unused:UNUSED_PAD src0_sel:DWORD src1_sel:WORD_1
	s_branch .LBB272_839
.LBB272_834:
	s_mov_b64 s[34:35], -1
                                        ; implicit-def: $vgpr3
	s_branch .LBB272_845
.LBB272_835:
	s_or_saveexec_b64 s[38:39], s[38:39]
	v_mov_b32_e32 v3, 0x7f800001
	s_xor_b64 exec, exec, s[38:39]
	s_cbranch_execz .LBB272_818
.LBB272_836:
	v_cmp_ne_u16_e32 vcc, 0, v2
	s_andn2_b64 s[36:37], s[36:37], exec
	s_and_b64 s[40:41], vcc, exec
	v_mov_b32_e32 v3, 0
	s_or_b64 s[36:37], s[36:37], s[40:41]
	s_or_b64 exec, exec, s[38:39]
	s_and_saveexec_b64 s[38:39], s[36:37]
	s_cbranch_execnz .LBB272_819
	s_branch .LBB272_820
.LBB272_837:
	s_mov_b64 s[34:35], -1
                                        ; implicit-def: $vgpr3
	s_branch .LBB272_842
.LBB272_838:
	s_mov_b64 s[34:35], -1
                                        ; implicit-def: $vgpr3
.LBB272_839:
	s_and_b64 vcc, exec, s[34:35]
	s_cbranch_vccz .LBB272_841
; %bb.840:
	global_load_ubyte v2, v[0:1], off
	s_mov_b32 s34, 0x7f800000
	s_brev_b32 s35, 1
	s_movk_i32 s36, 0x7fff
	s_waitcnt vmcnt(0)
	v_lshlrev_b32_e32 v2, 24, v2
	v_and_b32_e32 v3, 0x7f000000, v2
	v_ffbh_u32_e32 v5, v3
	v_min_u32_e32 v5, 32, v5
	v_sub_u32_e64 v5, v5, 4 clamp
	v_lshlrev_b32_e32 v7, v5, v3
	v_lshlrev_b32_e32 v5, 23, v5
	v_lshrrev_b32_e32 v7, 4, v7
	v_add_u32_e32 v6, 0x1000000, v3
	v_sub_u32_e32 v5, v7, v5
	v_ashrrev_i32_e32 v6, 8, v6
	v_add_u32_e32 v5, 0x3c000000, v5
	v_and_or_b32 v5, v6, s34, v5
	v_cmp_ne_u32_e32 vcc, 0, v3
	s_nop 1
	v_cndmask_b32_e32 v3, 0, v5, vcc
	v_and_or_b32 v2, v2, s35, v3
	v_bfe_u32 v3, v3, 16, 1
	v_add3_u32 v3, v2, v3, s36
	v_cmp_o_f32_e32 vcc, v2, v2
	v_mov_b32_e32 v2, 0x7fc0
	s_nop 0
	v_cndmask_b32_sdwa v3, v2, v3, vcc dst_sel:DWORD dst_unused:UNUSED_PAD src0_sel:DWORD src1_sel:WORD_1
.LBB272_841:
	s_mov_b64 s[34:35], 0
.LBB272_842:
	s_andn2_b64 vcc, exec, s[34:35]
	s_cbranch_vccnz .LBB272_844
; %bb.843:
	global_load_ubyte v2, v[0:1], off
	s_movk_i32 s34, 0x7f00
	s_brev_b32 s35, 16
	s_brev_b32 s36, 1
	s_movk_i32 s37, 0x7fff
	s_waitcnt vmcnt(0)
	v_lshlrev_b16_e32 v3, 8, v2
	v_lshlrev_b32_e32 v2, 25, v2
	v_lshrrev_b32_e32 v5, 4, v2
	v_and_or_b32 v6, v3, s34, 0.5
	v_or_b32_e32 v5, 0x70000000, v5
	v_add_f32_e32 v6, -0.5, v6
	v_mul_f32_e32 v5, 0x7800000, v5
	v_cmp_gt_u32_e32 vcc, s35, v2
	v_bfe_i32 v3, v3, 0, 16
	s_nop 0
	v_cndmask_b32_e32 v2, v5, v6, vcc
	v_and_or_b32 v3, v3, s36, v2
	v_bfe_u32 v2, v2, 16, 1
	v_add3_u32 v2, v3, v2, s37
	v_cmp_o_f32_e32 vcc, v3, v3
	v_mov_b32_e32 v3, 0x7fc0
	s_nop 0
	v_cndmask_b32_sdwa v3, v3, v2, vcc dst_sel:DWORD dst_unused:UNUSED_PAD src0_sel:DWORD src1_sel:WORD_1
.LBB272_844:
	s_mov_b64 s[34:35], 0
	s_mov_b64 s[36:37], -1
.LBB272_845:
	s_andn2_b64 vcc, exec, s[34:35]
	s_mov_b64 s[34:35], 0
	s_cbranch_vccnz .LBB272_856
; %bb.846:
	s_cmp_gt_i32 s43, 14
	s_cbranch_scc0 .LBB272_849
; %bb.847:
	s_cmp_eq_u32 s43, 15
	s_cbranch_scc0 .LBB272_852
; %bb.848:
	global_load_ushort v3, v[0:1], off
	s_mov_b64 s[30:31], 0
	s_mov_b64 s[36:37], -1
	s_branch .LBB272_853
.LBB272_849:
	s_mov_b64 s[38:39], -1
                                        ; implicit-def: $vgpr3
	s_branch .LBB272_854
.LBB272_850:
	s_or_saveexec_b64 s[36:37], s[36:37]
	v_mov_b32_e32 v3, 0x7f800001
	s_xor_b64 exec, exec, s[36:37]
	s_cbranch_execz .LBB272_831
.LBB272_851:
	v_cmp_ne_u16_e32 vcc, 0, v2
	s_andn2_b64 s[34:35], s[34:35], exec
	s_and_b64 s[38:39], vcc, exec
	v_mov_b32_e32 v3, 0
	s_or_b64 s[34:35], s[34:35], s[38:39]
	s_or_b64 exec, exec, s[36:37]
	s_and_saveexec_b64 s[36:37], s[34:35]
	s_cbranch_execnz .LBB272_832
	s_branch .LBB272_833
.LBB272_852:
	s_mov_b64 s[30:31], -1
                                        ; implicit-def: $vgpr3
.LBB272_853:
	s_mov_b64 s[38:39], 0
.LBB272_854:
	s_and_b64 vcc, exec, s[38:39]
	s_cbranch_vccz .LBB272_856
; %bb.855:
	s_cmp_lg_u32 s43, 11
	s_cselect_b64 s[38:39], -1, 0
	s_andn2_b64 s[30:31], s[30:31], exec
	s_and_b64 s[38:39], s[38:39], exec
	s_mov_b64 s[34:35], -1
	s_or_b64 s[30:31], s[30:31], s[38:39]
.LBB272_856:
	s_mov_b64 s[38:39], 0
.LBB272_857:
	s_and_b64 s[40:41], s[38:39], exec
	s_andn2_b64 s[38:39], s[0:1], exec
	s_and_b64 s[30:31], s[30:31], exec
	s_and_b64 s[36:37], s[36:37], exec
	;; [unrolled: 1-line block ×3, first 2 shown]
	s_or_b64 s[38:39], s[38:39], s[30:31]
.LBB272_858:
	s_or_b64 exec, exec, s[26:27]
	s_and_b64 s[30:31], s[34:35], exec
	s_andn2_b64 s[0:1], s[0:1], exec
	s_and_b64 s[34:35], s[38:39], exec
	s_and_b64 s[36:37], s[36:37], exec
	;; [unrolled: 1-line block ×3, first 2 shown]
	s_or_b64 s[0:1], s[0:1], s[34:35]
.LBB272_859:
	s_or_b64 exec, exec, s[24:25]
	s_andn2_b64 s[20:21], s[20:21], exec
	s_and_b64 s[24:25], s[28:29], exec
	s_andn2_b64 s[18:19], s[18:19], exec
	s_and_b64 s[0:1], s[0:1], exec
	s_or_b64 s[20:21], s[20:21], s[24:25]
	s_and_b64 s[28:29], s[36:37], exec
	s_and_b64 s[26:27], s[26:27], exec
	;; [unrolled: 1-line block ×3, first 2 shown]
	s_or_b64 s[18:19], s[18:19], s[0:1]
.LBB272_860:
	s_or_b64 exec, exec, s[22:23]
	s_andn2_b64 s[0:1], s[12:13], exec
	s_and_b64 s[12:13], s[20:21], exec
	s_andn2_b64 s[14:15], s[14:15], exec
	s_and_b64 s[18:19], s[18:19], exec
	s_or_b64 s[12:13], s[0:1], s[12:13]
	s_and_b64 s[0:1], s[28:29], exec
	s_and_b64 s[22:23], s[26:27], exec
	;; [unrolled: 1-line block ×3, first 2 shown]
	s_or_b64 s[14:15], s[14:15], s[18:19]
	s_or_b64 exec, exec, s[16:17]
	s_mov_b64 s[16:17], 0
	s_and_saveexec_b64 s[18:19], s[14:15]
	s_cbranch_execz .LBB272_262
.LBB272_861:
	s_mov_b64 s[16:17], exec
	s_andn2_b64 s[20:21], s[20:21], exec
	s_trap 2
	s_or_b64 exec, exec, s[18:19]
	s_and_saveexec_b64 s[14:15], s[20:21]
	s_xor_b64 s[14:15], exec, s[14:15]
	s_cbranch_execnz .LBB272_263
.LBB272_862:
	s_or_b64 exec, exec, s[14:15]
	s_and_saveexec_b64 s[14:15], s[22:23]
	s_cbranch_execz .LBB272_908
.LBB272_863:
	s_sext_i32_i16 s18, s42
	s_cmp_lt_i32 s18, 5
	s_cbranch_scc1 .LBB272_868
; %bb.864:
	s_cmp_lt_i32 s18, 8
	s_cbranch_scc1 .LBB272_869
; %bb.865:
	s_cmp_lt_i32 s18, 9
	s_cbranch_scc1 .LBB272_870
; %bb.866:
	s_cmp_gt_i32 s18, 9
	s_cbranch_scc0 .LBB272_871
; %bb.867:
	global_load_dwordx2 v[2:3], v[0:1], off
	s_movk_i32 s18, 0x7fff
	v_mov_b32_e32 v5, 0x7fc0
	s_waitcnt vmcnt(0)
	v_cvt_f32_f64_e32 v2, v[2:3]
	v_bfe_u32 v3, v2, 16, 1
	v_cmp_o_f32_e32 vcc, v2, v2
	v_add3_u32 v2, v2, v3, s18
	s_mov_b64 s[18:19], 0
	v_cndmask_b32_sdwa v3, v5, v2, vcc dst_sel:DWORD dst_unused:UNUSED_PAD src0_sel:DWORD src1_sel:WORD_1
	s_branch .LBB272_872
.LBB272_868:
                                        ; implicit-def: $vgpr3
	s_branch .LBB272_889
.LBB272_869:
                                        ; implicit-def: $vgpr3
	s_branch .LBB272_878
.LBB272_870:
	s_mov_b64 s[18:19], -1
                                        ; implicit-def: $vgpr3
	s_branch .LBB272_875
.LBB272_871:
	s_mov_b64 s[18:19], -1
                                        ; implicit-def: $vgpr3
.LBB272_872:
	s_andn2_b64 vcc, exec, s[18:19]
	s_cbranch_vccnz .LBB272_874
; %bb.873:
	global_load_dword v2, v[0:1], off
	s_movk_i32 s18, 0x7fff
	s_waitcnt vmcnt(1)
	v_mov_b32_e32 v3, 0x7fc0
	s_waitcnt vmcnt(0)
	v_bfe_u32 v5, v2, 16, 1
	v_cmp_o_f32_e32 vcc, v2, v2
	v_add3_u32 v2, v2, v5, s18
	s_nop 0
	v_cndmask_b32_sdwa v3, v3, v2, vcc dst_sel:DWORD dst_unused:UNUSED_PAD src0_sel:DWORD src1_sel:WORD_1
.LBB272_874:
	s_mov_b64 s[18:19], 0
.LBB272_875:
	s_andn2_b64 vcc, exec, s[18:19]
	s_cbranch_vccnz .LBB272_877
; %bb.876:
	global_load_dword v2, v[0:1], off
	s_movk_i32 s18, 0x7fff
	v_mov_b32_e32 v5, 0x7fc0
	s_waitcnt vmcnt(0)
	v_cvt_f32_f16_e32 v3, v2
	v_cmp_o_f16_e32 vcc, v2, v2
	v_bfe_u32 v2, v3, 16, 1
	v_add3_u32 v2, v3, v2, s18
	v_cndmask_b32_sdwa v3, v5, v2, vcc dst_sel:DWORD dst_unused:UNUSED_PAD src0_sel:DWORD src1_sel:WORD_1
.LBB272_877:
	s_cbranch_execnz .LBB272_888
.LBB272_878:
	s_sext_i32_i16 s18, s42
	s_cmp_lt_i32 s18, 6
	s_cbranch_scc1 .LBB272_881
; %bb.879:
	s_cmp_gt_i32 s18, 6
	s_cbranch_scc0 .LBB272_882
; %bb.880:
	global_load_dwordx2 v[2:3], v[0:1], off
	s_movk_i32 s18, 0x7fff
	v_mov_b32_e32 v5, 0x7fc0
	s_waitcnt vmcnt(0)
	v_cvt_f32_f64_e32 v2, v[2:3]
	v_bfe_u32 v3, v2, 16, 1
	v_cmp_o_f32_e32 vcc, v2, v2
	v_add3_u32 v2, v2, v3, s18
	s_mov_b64 s[18:19], 0
	v_cndmask_b32_sdwa v3, v5, v2, vcc dst_sel:DWORD dst_unused:UNUSED_PAD src0_sel:DWORD src1_sel:WORD_1
	s_branch .LBB272_883
.LBB272_881:
	s_mov_b64 s[18:19], -1
                                        ; implicit-def: $vgpr3
	s_branch .LBB272_886
.LBB272_882:
	s_mov_b64 s[18:19], -1
                                        ; implicit-def: $vgpr3
.LBB272_883:
	s_andn2_b64 vcc, exec, s[18:19]
	s_cbranch_vccnz .LBB272_885
; %bb.884:
	global_load_dword v2, v[0:1], off
	s_movk_i32 s18, 0x7fff
	s_waitcnt vmcnt(1)
	v_mov_b32_e32 v3, 0x7fc0
	s_waitcnt vmcnt(0)
	v_bfe_u32 v5, v2, 16, 1
	v_cmp_o_f32_e32 vcc, v2, v2
	v_add3_u32 v2, v2, v5, s18
	s_nop 0
	v_cndmask_b32_sdwa v3, v3, v2, vcc dst_sel:DWORD dst_unused:UNUSED_PAD src0_sel:DWORD src1_sel:WORD_1
.LBB272_885:
	s_mov_b64 s[18:19], 0
.LBB272_886:
	s_andn2_b64 vcc, exec, s[18:19]
	s_cbranch_vccnz .LBB272_888
; %bb.887:
	global_load_ushort v2, v[0:1], off
	s_movk_i32 s18, 0x7fff
	v_mov_b32_e32 v5, 0x7fc0
	s_waitcnt vmcnt(0)
	v_cvt_f32_f16_e32 v3, v2
	v_cmp_o_f16_e32 vcc, v2, v2
	v_bfe_u32 v2, v3, 16, 1
	v_add3_u32 v2, v3, v2, s18
	v_cndmask_b32_sdwa v3, v5, v2, vcc dst_sel:DWORD dst_unused:UNUSED_PAD src0_sel:DWORD src1_sel:WORD_1
.LBB272_888:
	s_cbranch_execnz .LBB272_907
.LBB272_889:
	s_sext_i32_i16 s18, s42
	s_cmp_lt_i32 s18, 2
	s_cbranch_scc1 .LBB272_893
; %bb.890:
	s_cmp_lt_i32 s18, 3
	s_cbranch_scc1 .LBB272_894
; %bb.891:
	s_cmp_gt_i32 s18, 3
	s_cbranch_scc0 .LBB272_895
; %bb.892:
	global_load_dwordx2 v[2:3], v[0:1], off
	s_movk_i32 s18, 0x7fff
	s_waitcnt vmcnt(0)
	v_xor_b32_e32 v6, v2, v3
	v_ffbh_i32_e32 v5, v3
	v_ashrrev_i32_e32 v6, 31, v6
	v_add_u32_e32 v5, -1, v5
	v_add_u32_e32 v6, 32, v6
	v_min_u32_e32 v5, v5, v6
	v_lshlrev_b64 v[2:3], v5, v[2:3]
	v_min_u32_e32 v2, 1, v2
	v_or_b32_e32 v2, v3, v2
	v_cvt_f32_i32_e32 v2, v2
	v_sub_u32_e32 v3, 32, v5
	v_ldexp_f32 v2, v2, v3
	v_bfe_u32 v3, v2, 16, 1
	v_add3_u32 v2, v2, v3, s18
	v_lshrrev_b32_e32 v3, 16, v2
	s_mov_b64 s[18:19], 0
	s_branch .LBB272_896
.LBB272_893:
                                        ; implicit-def: $vgpr3
	s_branch .LBB272_902
.LBB272_894:
	s_mov_b64 s[18:19], -1
                                        ; implicit-def: $vgpr3
	s_branch .LBB272_899
.LBB272_895:
	s_mov_b64 s[18:19], -1
                                        ; implicit-def: $vgpr3
.LBB272_896:
	s_andn2_b64 vcc, exec, s[18:19]
	s_cbranch_vccnz .LBB272_898
; %bb.897:
	global_load_dword v2, v[0:1], off
	s_movk_i32 s18, 0x7fff
	s_waitcnt vmcnt(0)
	v_cvt_f32_i32_e32 v2, v2
	v_bfe_u32 v3, v2, 16, 1
	v_add3_u32 v2, v2, v3, s18
	v_lshrrev_b32_e32 v3, 16, v2
.LBB272_898:
	s_mov_b64 s[18:19], 0
.LBB272_899:
	s_andn2_b64 vcc, exec, s[18:19]
	s_cbranch_vccnz .LBB272_901
; %bb.900:
	global_load_sshort v2, v[0:1], off
	s_movk_i32 s18, 0x7fff
	s_waitcnt vmcnt(0)
	v_cvt_f32_i32_e32 v2, v2
	v_bfe_u32 v3, v2, 16, 1
	v_add3_u32 v2, v2, v3, s18
	v_lshrrev_b32_e32 v3, 16, v2
.LBB272_901:
	s_cbranch_execnz .LBB272_907
.LBB272_902:
	s_sext_i32_i16 s18, s42
	s_cmp_gt_i32 s18, 0
	s_cbranch_scc0 .LBB272_904
; %bb.903:
	global_load_sbyte v2, v[0:1], off
	s_movk_i32 s18, 0x7fff
	s_waitcnt vmcnt(0)
	v_cvt_f32_i32_e32 v2, v2
	v_bfe_u32 v3, v2, 16, 1
	v_add3_u32 v2, v2, v3, s18
	v_lshrrev_b32_e32 v3, 16, v2
	s_mov_b64 s[18:19], 0
	s_branch .LBB272_905
.LBB272_904:
	s_mov_b64 s[18:19], -1
                                        ; implicit-def: $vgpr3
.LBB272_905:
	s_andn2_b64 vcc, exec, s[18:19]
	s_cbranch_vccnz .LBB272_907
; %bb.906:
	global_load_ubyte v0, v[0:1], off
	s_movk_i32 s18, 0x7fff
	s_waitcnt vmcnt(0)
	v_cvt_f32_ubyte0_e32 v0, v0
	v_bfe_u32 v1, v0, 16, 1
	v_add3_u32 v0, v0, v1, s18
	v_lshrrev_b32_e32 v3, 16, v0
.LBB272_907:
	s_or_b64 s[0:1], s[0:1], exec
.LBB272_908:
	s_or_b64 exec, exec, s[14:15]
	s_mov_b64 s[20:21], 0
	s_mov_b64 s[18:19], 0
                                        ; implicit-def: $sgpr26
                                        ; implicit-def: $vgpr0_vgpr1
                                        ; implicit-def: $vgpr2
	s_and_saveexec_b64 s[14:15], s[0:1]
	s_cbranch_execz .LBB272_926
; %bb.909:
	s_waitcnt vmcnt(0)
	v_lshlrev_b32_e32 v0, 16, v3
	s_mov_b32 s0, 0xf800000
	v_mul_f32_e32 v1, 0x4f800000, v0
	v_cmp_gt_f32_e32 vcc, s0, v0
	s_and_b32 s26, s33, 0xff
	s_cmp_lt_i32 s26, 11
	v_cndmask_b32_e32 v1, v0, v1, vcc
	v_sqrt_f32_e32 v2, v1
	s_nop 0
	v_add_u32_e32 v3, -1, v2
	v_fma_f32 v5, -v3, v2, v1
	v_cmp_ge_f32_e64 s[0:1], 0, v5
	v_add_u32_e32 v5, 1, v2
	s_nop 0
	v_cndmask_b32_e64 v3, v2, v3, s[0:1]
	v_fma_f32 v2, -v5, v2, v1
	v_cmp_lt_f32_e64 s[0:1], 0, v2
	s_nop 1
	v_cndmask_b32_e64 v2, v3, v5, s[0:1]
	v_mul_f32_e32 v3, 0x37800000, v2
	v_cndmask_b32_e32 v2, v2, v3, vcc
	v_mov_b32_e32 v3, 0x260
	v_cmp_class_f32_e32 vcc, v1, v3
	s_movk_i32 s0, 0x7fff
	s_nop 0
	v_cndmask_b32_e32 v1, v2, v1, vcc
	v_bfe_u32 v2, v1, 16, 1
	v_add3_u32 v1, v1, v2, s0
	v_cmp_le_f32_e32 vcc, 0, v0
	v_mov_b32_e32 v0, 0x7fc0
	s_nop 0
	v_cndmask_b32_sdwa v2, v0, v1, vcc dst_sel:DWORD dst_unused:UNUSED_PAD src0_sel:DWORD src1_sel:WORD_1
	v_mul_lo_u32 v0, v4, s8
	v_ashrrev_i32_e32 v1, 31, v0
	v_lshl_add_u64 v[0:1], s[4:5], 0, v[0:1]
	s_cbranch_scc1 .LBB272_929
; %bb.910:
	s_and_b32 s27, 0xffff, s26
	s_mov_b64 s[20:21], -1
	s_cmp_gt_i32 s27, 25
	s_mov_b64 s[0:1], s[12:13]
	s_cbranch_scc0 .LBB272_947
; %bb.911:
	s_mov_b64 s[18:19], -1
	s_cmp_gt_i32 s27, 28
	s_mov_b64 s[0:1], s[12:13]
	s_cbranch_scc0 .LBB272_931
; %bb.912:
	s_cmp_gt_i32 s27, 43
	s_mov_b64 s[0:1], s[12:13]
	s_cbranch_scc0 .LBB272_923
; %bb.913:
	;; [unrolled: 4-line block ×3, first 2 shown]
	s_cmp_eq_u32 s27, 46
	s_mov_b64 s[0:1], -1
	s_cbranch_scc0 .LBB272_916
; %bb.915:
	v_and_b32_e32 v3, 0xffff, v2
	global_store_dword v[0:1], v3, off
	s_mov_b64 s[0:1], 0
.LBB272_916:
	s_mov_b64 s[18:19], 0
.LBB272_917:
	s_and_b64 vcc, exec, s[18:19]
	s_cbranch_vccz .LBB272_922
; %bb.918:
	s_cmp_eq_u32 s27, 44
	s_mov_b64 s[0:1], -1
	s_cbranch_scc0 .LBB272_922
; %bb.919:
	v_and_b32_e32 v4, 0xffff, v2
	v_bfe_u32 v3, v4, 7, 8
	s_movk_i32 s0, 0xff
	v_cmp_ne_u32_e32 vcc, s0, v3
	v_mov_b32_e32 v5, 0xff
	s_and_saveexec_b64 s[18:19], vcc
	s_cbranch_execz .LBB272_921
; %bb.920:
	v_lshlrev_b32_e32 v6, 16, v4
	s_mov_b32 s0, 0x3f0000
	v_lshrrev_b32_e32 v5, 7, v4
	v_and_b32_e32 v4, 64, v4
	v_and_or_b32 v3, v6, s0, v3
	v_cmp_ne_u32_e32 vcc, 0, v4
	v_cmp_ne_u32_e64 s[0:1], 0, v3
	s_and_b64 s[0:1], vcc, s[0:1]
	s_nop 0
	v_cndmask_b32_e64 v3, 0, 1, s[0:1]
	v_add_u32_e32 v5, v5, v3
.LBB272_921:
	s_or_b64 exec, exec, s[18:19]
	s_mov_b64 s[0:1], 0
	global_store_byte v[0:1], v5, off
.LBB272_922:
	s_mov_b64 s[18:19], 0
.LBB272_923:
	s_and_b64 vcc, exec, s[18:19]
	s_cbranch_vccz .LBB272_930
; %bb.924:
	s_cmp_eq_u32 s27, 29
	s_mov_b64 s[0:1], -1
	s_cbranch_scc0 .LBB272_930
; %bb.925:
	v_lshlrev_b32_e32 v3, 16, v2
	v_trunc_f32_e32 v3, v3
	v_mul_f32_e32 v4, 0x2f800000, v3
	v_floor_f32_e32 v4, v4
	v_fmamk_f32 v3, v4, 0xcf800000, v3
	v_cvt_u32_f32_e32 v5, v4
	v_cvt_u32_f32_e32 v4, v3
	s_mov_b64 s[0:1], 0
	s_mov_b64 s[18:19], 0
	global_store_dwordx2 v[0:1], v[4:5], off
	s_branch .LBB272_931
.LBB272_926:
	s_or_b64 exec, exec, s[14:15]
	s_and_saveexec_b64 s[0:1], s[12:13]
	s_cbranch_execnz .LBB272_989
.LBB272_927:
	s_or_b64 exec, exec, s[0:1]
	s_and_saveexec_b64 s[0:1], s[20:21]
	s_xor_b64 s[0:1], exec, s[0:1]
	s_cbranch_execz .LBB272_990
.LBB272_928:
	s_waitcnt vmcnt(0)
	v_and_b32_e32 v3, 0x7fff, v2
	v_cmp_ne_u16_e32 vcc, 0, v3
	s_nop 1
	v_cndmask_b32_e64 v3, 0, 1, vcc
	global_store_byte v[0:1], v3, off
	s_or_b64 exec, exec, s[0:1]
	s_and_saveexec_b64 s[0:1], s[18:19]
	s_xor_b64 s[0:1], exec, s[0:1]
	s_cbranch_execz .LBB272_1028
	s_branch .LBB272_991
.LBB272_929:
	s_mov_b64 s[18:19], -1
	s_mov_b64 s[0:1], s[12:13]
	s_branch .LBB272_988
.LBB272_930:
	s_mov_b64 s[18:19], 0
.LBB272_931:
	s_and_b64 vcc, exec, s[18:19]
	s_cbranch_vccz .LBB272_946
; %bb.932:
	s_cmp_lt_i32 s27, 27
	s_mov_b64 s[18:19], -1
	s_cbranch_scc1 .LBB272_938
; %bb.933:
	s_cmp_gt_i32 s27, 27
	s_cbranch_scc0 .LBB272_935
; %bb.934:
	v_lshlrev_b32_e32 v3, 16, v2
	v_cvt_u32_f32_e32 v3, v3
	s_mov_b64 s[18:19], 0
	global_store_dword v[0:1], v3, off
.LBB272_935:
	s_andn2_b64 vcc, exec, s[18:19]
	s_cbranch_vccnz .LBB272_937
; %bb.936:
	v_lshlrev_b32_e32 v3, 16, v2
	v_cvt_u32_f32_e32 v3, v3
	global_store_short v[0:1], v3, off
.LBB272_937:
	s_mov_b64 s[18:19], 0
.LBB272_938:
	s_andn2_b64 vcc, exec, s[18:19]
	s_cbranch_vccnz .LBB272_946
; %bb.939:
	v_lshlrev_b32_e32 v5, 16, v2
	v_and_b32_e32 v4, 0x7fffffff, v5
	s_mov_b32 s18, 0x43800000
	v_cmp_gt_u32_e32 vcc, s18, v4
	v_mov_b32_e32 v6, 0x80
	s_and_saveexec_b64 s[18:19], vcc
	s_cbranch_execz .LBB272_945
; %bb.940:
	s_mov_b32 s20, 0x3bffffff
	v_and_b32_e32 v3, 0xffff, v2
	v_cmp_lt_u32_e32 vcc, s20, v4
	s_mov_b64 s[20:21], 0
                                        ; implicit-def: $vgpr4
	s_and_saveexec_b64 s[22:23], vcc
	s_xor_b64 s[22:23], exec, s[22:23]
	s_cbranch_execz .LBB272_1043
; %bb.941:
	v_bfe_u32 v4, v3, 4, 1
	s_mov_b32 s24, 0x487ffff
	v_add3_u32 v4, v5, v4, s24
	s_mov_b64 s[20:21], exec
	v_lshrrev_b32_e32 v4, 20, v4
                                        ; implicit-def: $vgpr5
	s_andn2_saveexec_b64 s[22:23], s[22:23]
	s_cbranch_execnz .LBB272_1044
.LBB272_942:
	s_or_b64 exec, exec, s[22:23]
	v_mov_b32_e32 v6, 0
	s_and_saveexec_b64 s[22:23], s[20:21]
.LBB272_943:
	v_lshrrev_b32_e32 v3, 8, v3
	s_movk_i32 s20, 0x80
	v_and_or_b32 v6, v3, s20, v4
.LBB272_944:
	s_or_b64 exec, exec, s[22:23]
.LBB272_945:
	s_or_b64 exec, exec, s[18:19]
	global_store_byte v[0:1], v6, off
.LBB272_946:
	s_mov_b64 s[20:21], 0
.LBB272_947:
	s_mov_b64 s[18:19], 0
	s_and_b64 vcc, exec, s[20:21]
	s_cbranch_vccz .LBB272_987
; %bb.948:
	s_cmp_gt_i32 s27, 22
	s_mov_b64 s[20:21], -1
	s_cbranch_scc0 .LBB272_980
; %bb.949:
	s_cmp_lt_i32 s27, 24
	s_cbranch_scc1 .LBB272_969
; %bb.950:
	s_cmp_gt_i32 s27, 24
	s_cbranch_scc0 .LBB272_958
; %bb.951:
	v_lshlrev_b32_e32 v5, 16, v2
	v_and_b32_e32 v4, 0x7fffffff, v5
	s_mov_b32 s20, 0x47800000
	v_cmp_gt_u32_e32 vcc, s20, v4
	v_mov_b32_e32 v6, 0x80
	s_and_saveexec_b64 s[20:21], vcc
	s_cbranch_execz .LBB272_957
; %bb.952:
	s_mov_b32 s22, 0x37ffffff
	v_and_b32_e32 v3, 0xffff, v2
	v_cmp_lt_u32_e32 vcc, s22, v4
	s_mov_b64 s[22:23], 0
                                        ; implicit-def: $vgpr4
	s_and_saveexec_b64 s[24:25], vcc
	s_xor_b64 s[24:25], exec, s[24:25]
	s_cbranch_execz .LBB272_1167
; %bb.953:
	v_bfe_u32 v4, v3, 5, 1
	s_mov_b32 s28, 0x88fffff
	v_add3_u32 v4, v5, v4, s28
	s_mov_b64 s[22:23], exec
	v_lshrrev_b32_e32 v4, 21, v4
                                        ; implicit-def: $vgpr5
	s_andn2_saveexec_b64 s[24:25], s[24:25]
	s_cbranch_execnz .LBB272_1168
.LBB272_954:
	s_or_b64 exec, exec, s[24:25]
	v_mov_b32_e32 v6, 0
	s_and_saveexec_b64 s[24:25], s[22:23]
.LBB272_955:
	v_lshrrev_b32_e32 v3, 8, v3
	s_movk_i32 s22, 0x80
	v_and_or_b32 v6, v3, s22, v4
.LBB272_956:
	s_or_b64 exec, exec, s[24:25]
.LBB272_957:
	s_or_b64 exec, exec, s[20:21]
	s_mov_b64 s[20:21], 0
	global_store_byte v[0:1], v6, off
.LBB272_958:
	s_and_b64 vcc, exec, s[20:21]
	s_cbranch_vccz .LBB272_968
; %bb.959:
	v_lshlrev_b32_e32 v5, 16, v2
	v_and_b32_e32 v6, 0x7fffffff, v5
	s_mov_b32 s20, 0x43f00000
	v_and_b32_e32 v3, 0xffff, v2
	v_cmp_gt_u32_e32 vcc, s20, v6
                                        ; implicit-def: $vgpr4
	s_and_saveexec_b64 s[20:21], vcc
	s_xor_b64 s[20:21], exec, s[20:21]
	s_cbranch_execz .LBB272_965
; %bb.960:
	s_mov_b32 s22, 0x3c7fffff
	v_cmp_lt_u32_e32 vcc, s22, v6
                                        ; implicit-def: $vgpr4
	s_and_saveexec_b64 s[22:23], vcc
	s_xor_b64 s[22:23], exec, s[22:23]
; %bb.961:
	v_bfe_u32 v4, v3, 4, 1
	s_mov_b32 s24, 0x407ffff
	v_add3_u32 v4, v5, v4, s24
	v_lshrrev_b32_e32 v5, 20, v4
	v_and_b32_e32 v4, 0xff00000, v4
	s_mov_b32 s24, 0x7f00000
	v_mov_b32_e32 v6, 0x7e
	v_cmp_ne_u32_e32 vcc, s24, v4
	s_nop 1
	v_cndmask_b32_e32 v4, v6, v5, vcc
                                        ; implicit-def: $vgpr5
; %bb.962:
	s_andn2_saveexec_b64 s[22:23], s[22:23]
; %bb.963:
	s_mov_b32 s24, 0x46800000
	v_add_f32_e64 v4, |v5|, s24
; %bb.964:
	s_or_b64 exec, exec, s[22:23]
                                        ; implicit-def: $vgpr6
.LBB272_965:
	s_andn2_saveexec_b64 s[20:21], s[20:21]
; %bb.966:
	s_mov_b32 s22, 0x7f800000
	v_mov_b32_e32 v4, 0x7e
	v_mov_b32_e32 v5, 0x7f
	v_cmp_lt_u32_e32 vcc, s22, v6
	s_nop 1
	v_cndmask_b32_e32 v4, v4, v5, vcc
; %bb.967:
	s_or_b64 exec, exec, s[20:21]
	v_lshrrev_b32_e32 v3, 8, v3
	s_movk_i32 s20, 0x80
	v_and_or_b32 v3, v3, s20, v4
	global_store_byte v[0:1], v3, off
.LBB272_968:
	s_mov_b64 s[20:21], 0
.LBB272_969:
	s_andn2_b64 vcc, exec, s[20:21]
	s_cbranch_vccnz .LBB272_979
; %bb.970:
	v_lshlrev_b32_e32 v5, 16, v2
	v_and_b32_e32 v6, 0x7fffffff, v5
	s_mov_b32 s20, 0x47800000
	v_and_b32_e32 v3, 0xffff, v2
	v_cmp_gt_u32_e32 vcc, s20, v6
                                        ; implicit-def: $vgpr4
	s_and_saveexec_b64 s[20:21], vcc
	s_xor_b64 s[20:21], exec, s[20:21]
	s_cbranch_execz .LBB272_976
; %bb.971:
	s_mov_b32 s22, 0x387fffff
	v_cmp_lt_u32_e32 vcc, s22, v6
                                        ; implicit-def: $vgpr4
	s_and_saveexec_b64 s[22:23], vcc
	s_xor_b64 s[22:23], exec, s[22:23]
; %bb.972:
	v_bfe_u32 v4, v3, 5, 1
	s_mov_b32 s24, 0x80fffff
	v_add3_u32 v4, v5, v4, s24
	v_lshrrev_b32_e32 v4, 21, v4
                                        ; implicit-def: $vgpr5
; %bb.973:
	s_andn2_saveexec_b64 s[22:23], s[22:23]
; %bb.974:
	s_mov_b32 s24, 0x43000000
	v_add_f32_e64 v4, |v5|, s24
; %bb.975:
	s_or_b64 exec, exec, s[22:23]
                                        ; implicit-def: $vgpr6
.LBB272_976:
	s_andn2_saveexec_b64 s[20:21], s[20:21]
; %bb.977:
	s_mov_b32 s22, 0x7f800000
	v_mov_b32_e32 v4, 0x7c
	v_mov_b32_e32 v5, 0x7f
	v_cmp_lt_u32_e32 vcc, s22, v6
	s_nop 1
	v_cndmask_b32_e32 v4, v4, v5, vcc
; %bb.978:
	s_or_b64 exec, exec, s[20:21]
	v_lshrrev_b32_e32 v3, 8, v3
	s_movk_i32 s20, 0x80
	v_and_or_b32 v3, v3, s20, v4
	global_store_byte v[0:1], v3, off
.LBB272_979:
	s_mov_b64 s[20:21], 0
.LBB272_980:
	s_andn2_b64 vcc, exec, s[20:21]
	s_mov_b64 s[20:21], 0
	s_cbranch_vccnz .LBB272_988
; %bb.981:
	s_cmp_gt_i32 s27, 14
	s_mov_b64 s[22:23], -1
	s_cbranch_scc0 .LBB272_985
; %bb.982:
	s_cmp_eq_u32 s27, 15
	s_mov_b64 s[0:1], -1
	s_cbranch_scc0 .LBB272_984
; %bb.983:
	global_store_short v[0:1], v2, off
	s_mov_b64 s[0:1], 0
.LBB272_984:
	s_mov_b64 s[22:23], 0
.LBB272_985:
	s_and_b64 vcc, exec, s[22:23]
	s_cbranch_vccz .LBB272_988
; %bb.986:
	s_cmp_lg_u32 s27, 11
	s_cselect_b64 s[22:23], -1, 0
	s_andn2_b64 s[0:1], s[0:1], exec
	s_and_b64 s[22:23], s[22:23], exec
	s_mov_b64 s[20:21], -1
	s_or_b64 s[0:1], s[0:1], s[22:23]
	s_branch .LBB272_988
.LBB272_987:
	s_mov_b64 s[20:21], 0
.LBB272_988:
	s_andn2_b64 s[12:13], s[12:13], exec
	s_and_b64 s[0:1], s[0:1], exec
	s_and_b64 s[18:19], s[18:19], exec
	;; [unrolled: 1-line block ×3, first 2 shown]
	s_or_b64 s[12:13], s[12:13], s[0:1]
	s_or_b64 exec, exec, s[14:15]
	s_and_saveexec_b64 s[0:1], s[12:13]
	s_cbranch_execz .LBB272_927
.LBB272_989:
	s_or_b64 s[16:17], s[16:17], exec
	s_andn2_b64 s[20:21], s[20:21], exec
	s_trap 2
	s_or_b64 exec, exec, s[0:1]
	s_and_saveexec_b64 s[0:1], s[20:21]
	s_xor_b64 s[0:1], exec, s[0:1]
	s_cbranch_execnz .LBB272_928
.LBB272_990:
	s_or_b64 exec, exec, s[0:1]
	s_and_saveexec_b64 s[0:1], s[18:19]
	s_xor_b64 s[0:1], exec, s[0:1]
	s_cbranch_execz .LBB272_1028
.LBB272_991:
	s_sext_i32_i16 s14, s26
	s_cmp_lt_i32 s14, 5
	s_mov_b64 s[12:13], -1
	s_cbranch_scc1 .LBB272_1012
; %bb.992:
	s_cmp_lt_i32 s14, 8
	s_cbranch_scc1 .LBB272_1002
; %bb.993:
	s_cmp_lt_i32 s14, 9
	s_cbranch_scc1 .LBB272_999
; %bb.994:
	s_cmp_gt_i32 s14, 9
	s_cbranch_scc0 .LBB272_996
; %bb.995:
	s_waitcnt vmcnt(0)
	v_lshlrev_b32_e32 v3, 16, v2
	v_mov_b32_e32 v6, 0
	v_cvt_f64_f32_e32 v[4:5], v3
	v_mov_b32_e32 v7, v6
	s_mov_b64 s[12:13], 0
	global_store_dwordx4 v[0:1], v[4:7], off
.LBB272_996:
	s_andn2_b64 vcc, exec, s[12:13]
	s_cbranch_vccnz .LBB272_998
; %bb.997:
	s_waitcnt vmcnt(0)
	v_lshlrev_b32_e32 v4, 16, v2
	v_mov_b32_e32 v5, 0
	global_store_dwordx2 v[0:1], v[4:5], off
.LBB272_998:
	s_mov_b64 s[12:13], 0
.LBB272_999:
	s_andn2_b64 vcc, exec, s[12:13]
	s_cbranch_vccnz .LBB272_1001
; %bb.1000:
	s_waitcnt vmcnt(0)
	v_lshlrev_b32_e32 v3, 16, v2
	v_cvt_f16_f32_e32 v3, v3
	global_store_dword v[0:1], v3, off
.LBB272_1001:
	s_mov_b64 s[12:13], 0
.LBB272_1002:
	s_andn2_b64 vcc, exec, s[12:13]
	s_cbranch_vccnz .LBB272_1011
; %bb.1003:
	s_sext_i32_i16 s14, s26
	s_cmp_lt_i32 s14, 6
	s_mov_b64 s[12:13], -1
	s_cbranch_scc1 .LBB272_1009
; %bb.1004:
	s_cmp_gt_i32 s14, 6
	s_cbranch_scc0 .LBB272_1006
; %bb.1005:
	s_waitcnt vmcnt(0)
	v_lshlrev_b32_e32 v3, 16, v2
	v_cvt_f64_f32_e32 v[4:5], v3
	s_mov_b64 s[12:13], 0
	global_store_dwordx2 v[0:1], v[4:5], off
.LBB272_1006:
	s_andn2_b64 vcc, exec, s[12:13]
	s_cbranch_vccnz .LBB272_1008
; %bb.1007:
	s_waitcnt vmcnt(0)
	v_lshlrev_b32_e32 v3, 16, v2
	global_store_dword v[0:1], v3, off
.LBB272_1008:
	s_mov_b64 s[12:13], 0
.LBB272_1009:
	s_andn2_b64 vcc, exec, s[12:13]
	s_cbranch_vccnz .LBB272_1011
; %bb.1010:
	s_waitcnt vmcnt(0)
	v_lshlrev_b32_e32 v3, 16, v2
	v_cvt_f16_f32_e32 v3, v3
	global_store_short v[0:1], v3, off
.LBB272_1011:
	s_mov_b64 s[12:13], 0
.LBB272_1012:
	s_andn2_b64 vcc, exec, s[12:13]
	s_cbranch_vccnz .LBB272_1028
; %bb.1013:
	s_sext_i32_i16 s14, s26
	s_cmp_lt_i32 s14, 2
	s_mov_b64 s[12:13], -1
	s_cbranch_scc1 .LBB272_1023
; %bb.1014:
	s_cmp_lt_i32 s14, 3
	s_cbranch_scc1 .LBB272_1020
; %bb.1015:
	s_cmp_gt_i32 s14, 3
	s_cbranch_scc0 .LBB272_1017
; %bb.1016:
	s_waitcnt vmcnt(0)
	v_lshlrev_b32_e32 v3, 16, v2
	v_trunc_f32_e32 v3, v3
	s_mov_b32 s12, 0x2f800000
	v_mul_f32_e64 v4, |v3|, s12
	v_floor_f32_e32 v4, v4
	s_mov_b32 s12, 0xcf800000
	v_cvt_u32_f32_e32 v5, v4
	v_fma_f32 v4, v4, s12, |v3|
	v_cvt_u32_f32_e32 v4, v4
	v_ashrrev_i32_e32 v3, 31, v3
	v_xor_b32_e32 v5, v5, v3
	s_mov_b64 s[12:13], 0
	v_xor_b32_e32 v4, v4, v3
	v_sub_co_u32_e32 v4, vcc, v4, v3
	s_nop 1
	v_subb_co_u32_e32 v5, vcc, v5, v3, vcc
	global_store_dwordx2 v[0:1], v[4:5], off
.LBB272_1017:
	s_andn2_b64 vcc, exec, s[12:13]
	s_cbranch_vccnz .LBB272_1019
; %bb.1018:
	s_waitcnt vmcnt(0)
	v_lshlrev_b32_e32 v3, 16, v2
	v_cvt_i32_f32_e32 v3, v3
	global_store_dword v[0:1], v3, off
.LBB272_1019:
	s_mov_b64 s[12:13], 0
.LBB272_1020:
	s_andn2_b64 vcc, exec, s[12:13]
	s_cbranch_vccnz .LBB272_1022
; %bb.1021:
	s_waitcnt vmcnt(0)
	v_lshlrev_b32_e32 v3, 16, v2
	v_cvt_i32_f32_e32 v3, v3
	global_store_short v[0:1], v3, off
.LBB272_1022:
	s_mov_b64 s[12:13], 0
.LBB272_1023:
	s_andn2_b64 vcc, exec, s[12:13]
	s_cbranch_vccnz .LBB272_1028
; %bb.1024:
	s_sext_i32_i16 s14, s26
	s_mov_b64 s[12:13], -1
	s_cmp_gt_i32 s14, 0
	s_waitcnt vmcnt(0)
	v_lshlrev_b32_e32 v2, 16, v2
	s_cbranch_scc0 .LBB272_1026
; %bb.1025:
	v_cvt_i32_f32_e32 v3, v2
	s_mov_b64 s[12:13], 0
	global_store_byte v[0:1], v3, off
.LBB272_1026:
	s_andn2_b64 vcc, exec, s[12:13]
	s_cbranch_vccnz .LBB272_1028
; %bb.1027:
	v_trunc_f32_e32 v2, v2
	s_mov_b32 s12, 0x2f800000
	v_mul_f32_e64 v3, |v2|, s12
	v_floor_f32_e32 v3, v3
	s_mov_b32 s12, 0xcf800000
	v_fma_f32 v3, v3, s12, |v2|
	v_cvt_u32_f32_e32 v3, v3
	v_ashrrev_i32_e32 v2, 31, v2
	v_xor_b32_e32 v3, v3, v2
	v_sub_u32_e32 v2, v3, v2
	global_store_byte v[0:1], v2, off
.LBB272_1028:
	s_or_b64 exec, exec, s[0:1]
	s_and_b64 s[12:13], s[16:17], exec
                                        ; implicit-def: $vgpr4
.LBB272_1029:
	s_or_saveexec_b64 s[2:3], s[2:3]
	s_mov_b64 s[0:1], 0
                                        ; implicit-def: $sgpr20
                                        ; implicit-def: $vgpr0_vgpr1
                                        ; implicit-def: $vgpr2
	s_xor_b64 exec, exec, s[2:3]
	s_cbranch_execz .LBB272_1976
; %bb.1030:
	v_mul_lo_u32 v0, s9, v4
	v_ashrrev_i32_e32 v1, 31, v0
	s_and_b32 s22, 0xffff, s42
	s_cmp_lt_i32 s22, 11
	s_waitcnt vmcnt(0)
	v_lshl_add_u64 v[2:3], s[6:7], 0, v[0:1]
	s_cbranch_scc1 .LBB272_1037
; %bb.1031:
	s_cmp_gt_i32 s22, 25
	s_cbranch_scc0 .LBB272_1039
; %bb.1032:
	s_cmp_gt_i32 s22, 28
	s_cbranch_scc0 .LBB272_1040
	;; [unrolled: 3-line block ×4, first 2 shown]
; %bb.1035:
	s_cmp_eq_u32 s22, 46
	s_mov_b64 s[14:15], 0
	s_cbranch_scc0 .LBB272_1045
; %bb.1036:
	global_load_dword v5, v[2:3], off
	s_mov_b64 s[16:17], -1
	s_branch .LBB272_1046
.LBB272_1037:
	s_mov_b64 s[16:17], 0
                                        ; implicit-def: $vgpr5
	s_mov_b64 s[14:15], s[12:13]
	s_cbranch_execnz .LBB272_1108
.LBB272_1038:
	s_andn2_b64 vcc, exec, s[16:17]
	s_cbranch_vccz .LBB272_1153
	s_branch .LBB272_1974
.LBB272_1039:
	s_mov_b64 s[16:17], 0
                                        ; implicit-def: $vgpr5
	s_cbranch_execnz .LBB272_1073
	s_branch .LBB272_1104
.LBB272_1040:
	s_mov_b64 s[16:17], 0
                                        ; implicit-def: $vgpr5
	s_cbranch_execz .LBB272_1072
	s_branch .LBB272_1055
.LBB272_1041:
	s_mov_b64 s[16:17], 0
                                        ; implicit-def: $vgpr5
	s_cbranch_execnz .LBB272_1051
	s_branch .LBB272_1054
.LBB272_1042:
	s_mov_b64 s[14:15], -1
	s_mov_b64 s[16:17], 0
                                        ; implicit-def: $vgpr5
	s_branch .LBB272_1046
.LBB272_1043:
	s_andn2_saveexec_b64 s[22:23], s[22:23]
	s_cbranch_execz .LBB272_942
.LBB272_1044:
	s_mov_b32 s24, 0x46000000
	v_add_f32_e64 v4, |v5|, s24
	v_and_b32_e32 v4, 0xff, v4
	v_cmp_ne_u32_e32 vcc, 0, v4
	s_andn2_b64 s[20:21], s[20:21], exec
	s_and_b64 s[24:25], vcc, exec
	s_or_b64 s[20:21], s[20:21], s[24:25]
	s_or_b64 exec, exec, s[22:23]
	v_mov_b32_e32 v6, 0
	s_and_saveexec_b64 s[22:23], s[20:21]
	s_cbranch_execnz .LBB272_943
	s_branch .LBB272_944
.LBB272_1045:
	s_mov_b64 s[0:1], -1
                                        ; implicit-def: $vgpr5
	s_mov_b64 s[16:17], 0
.LBB272_1046:
	s_and_b64 vcc, exec, s[14:15]
	s_cbranch_vccz .LBB272_1049
; %bb.1047:
	s_cmp_eq_u32 s22, 44
	s_cbranch_scc0 .LBB272_1050
; %bb.1048:
	global_load_ubyte v1, v[2:3], off
	s_movk_i32 s14, 0xff
	s_waitcnt vmcnt(1)
	v_mov_b32_e32 v5, 0x7f800001
	v_mov_b32_e32 v6, 0x400000
	;; [unrolled: 1-line block ×3, first 2 shown]
	s_mov_b64 s[0:1], 0
	s_mov_b64 s[16:17], -1
	s_waitcnt vmcnt(0)
	v_lshlrev_b32_e32 v8, 23, v1
	v_cmp_ne_u32_e32 vcc, s14, v1
	s_nop 1
	v_cndmask_b32_e32 v5, v5, v8, vcc
	v_cmp_ne_u32_e32 vcc, 0, v1
	s_nop 1
	v_cndmask_b32_e32 v1, v6, v5, vcc
	v_add_u32_e32 v5, 0x7fff, v1
	v_cmp_o_f32_e32 vcc, v1, v1
	s_nop 1
	v_cndmask_b32_sdwa v5, v7, v5, vcc dst_sel:DWORD dst_unused:UNUSED_PAD src0_sel:DWORD src1_sel:WORD_1
.LBB272_1049:
	s_branch .LBB272_1054
.LBB272_1050:
	s_mov_b64 s[0:1], -1
                                        ; implicit-def: $vgpr5
	s_branch .LBB272_1054
.LBB272_1051:
	s_cmp_eq_u32 s22, 29
	s_cbranch_scc0 .LBB272_1053
; %bb.1052:
	global_load_dwordx2 v[6:7], v[2:3], off
	s_movk_i32 s14, 0x7fff
	s_mov_b64 s[0:1], 0
	s_mov_b64 s[16:17], -1
	s_waitcnt vmcnt(0)
	v_ffbh_u32_e32 v1, v7
	v_min_u32_e32 v1, 32, v1
	v_lshlrev_b64 v[6:7], v1, v[6:7]
	v_min_u32_e32 v5, 1, v6
	v_or_b32_e32 v5, v7, v5
	v_cvt_f32_u32_e32 v5, v5
	v_sub_u32_e32 v1, 32, v1
	v_ldexp_f32 v1, v5, v1
	v_bfe_u32 v5, v1, 16, 1
	v_add3_u32 v1, v1, v5, s14
	v_lshrrev_b32_e32 v5, 16, v1
	s_branch .LBB272_1054
.LBB272_1053:
	s_mov_b64 s[0:1], -1
                                        ; implicit-def: $vgpr5
.LBB272_1054:
	s_branch .LBB272_1072
.LBB272_1055:
	s_cmp_lt_i32 s22, 27
	s_cbranch_scc1 .LBB272_1058
; %bb.1056:
	s_cmp_gt_i32 s22, 27
	s_cbranch_scc0 .LBB272_1059
; %bb.1057:
	global_load_dword v1, v[2:3], off
	s_movk_i32 s14, 0x7fff
	s_waitcnt vmcnt(0)
	v_cvt_f32_u32_e32 v1, v1
	v_bfe_u32 v5, v1, 16, 1
	v_add3_u32 v1, v1, v5, s14
	v_lshrrev_b32_e32 v5, 16, v1
	s_mov_b64 s[14:15], 0
	s_branch .LBB272_1060
.LBB272_1058:
	s_mov_b64 s[14:15], -1
                                        ; implicit-def: $vgpr5
	s_branch .LBB272_1063
.LBB272_1059:
	s_mov_b64 s[14:15], -1
                                        ; implicit-def: $vgpr5
.LBB272_1060:
	s_andn2_b64 vcc, exec, s[14:15]
	s_cbranch_vccnz .LBB272_1062
; %bb.1061:
	global_load_ushort v1, v[2:3], off
	s_movk_i32 s14, 0x7fff
	s_waitcnt vmcnt(0)
	v_cvt_f32_u32_e32 v1, v1
	v_bfe_u32 v5, v1, 16, 1
	v_add3_u32 v1, v1, v5, s14
	v_lshrrev_b32_e32 v5, 16, v1
.LBB272_1062:
	s_mov_b64 s[14:15], 0
.LBB272_1063:
	s_andn2_b64 vcc, exec, s[14:15]
	s_cbranch_vccnz .LBB272_1071
; %bb.1064:
	global_load_ubyte v1, v[2:3], off
	s_movk_i32 s14, 0x7f
	s_waitcnt vmcnt(0)
	v_cmp_lt_i16_e32 vcc, s14, v1
	s_mov_b64 s[14:15], 0
	s_and_saveexec_b64 s[16:17], vcc
	s_xor_b64 s[16:17], exec, s[16:17]
	s_cbranch_execz .LBB272_1084
; %bb.1065:
	s_movk_i32 s14, 0x80
	v_cmp_eq_u16_e32 vcc, s14, v1
	s_mov_b64 s[14:15], -1
	s_and_saveexec_b64 s[18:19], vcc
; %bb.1066:
	s_xor_b64 s[14:15], exec, -1
; %bb.1067:
	s_or_b64 exec, exec, s[18:19]
	s_and_b64 s[14:15], s[14:15], exec
	s_or_saveexec_b64 s[16:17], s[16:17]
	v_mov_b32_e32 v5, 0x7f800001
	s_xor_b64 exec, exec, s[16:17]
	s_cbranch_execnz .LBB272_1085
.LBB272_1068:
	s_or_b64 exec, exec, s[16:17]
	s_and_saveexec_b64 s[16:17], s[14:15]
	s_cbranch_execz .LBB272_1070
.LBB272_1069:
	v_lshlrev_b32_e32 v5, 24, v1
	v_and_b32_e32 v1, 0xffff, v1
	v_and_b32_e32 v6, 7, v1
	v_ffbh_u32_e32 v8, v6
	v_min_u32_e32 v8, 32, v8
	v_subrev_u32_e32 v9, 28, v8
	v_bfe_u32 v7, v1, 3, 4
	v_lshlrev_b32_e32 v1, v9, v1
	v_sub_u32_e32 v8, 29, v8
	v_and_b32_e32 v1, 7, v1
	v_cmp_eq_u32_e32 vcc, 0, v7
	v_and_b32_e32 v5, 0x80000000, v5
	s_nop 0
	v_cndmask_b32_e32 v7, v7, v8, vcc
	v_cndmask_b32_e32 v1, v6, v1, vcc
	v_mov_b32_e32 v6, 0x3b800000
	v_lshlrev_b32_e32 v1, 20, v1
	v_lshl_add_u32 v6, v7, 23, v6
	v_or3_b32 v5, v5, v6, v1
.LBB272_1070:
	s_or_b64 exec, exec, s[16:17]
	v_bfe_u32 v1, v5, 16, 1
	s_movk_i32 s14, 0x7fff
	v_add3_u32 v1, v5, v1, s14
	v_cmp_o_f32_e32 vcc, v5, v5
	v_mov_b32_e32 v5, 0x7fc0
	s_nop 0
	v_cndmask_b32_sdwa v5, v5, v1, vcc dst_sel:DWORD dst_unused:UNUSED_PAD src0_sel:DWORD src1_sel:WORD_1
.LBB272_1071:
	s_mov_b64 s[16:17], -1
.LBB272_1072:
	s_branch .LBB272_1104
.LBB272_1073:
	s_cmp_gt_i32 s22, 22
	s_cbranch_scc0 .LBB272_1083
; %bb.1074:
	s_cmp_lt_i32 s22, 24
	s_cbranch_scc1 .LBB272_1086
; %bb.1075:
	s_cmp_gt_i32 s22, 24
	s_cbranch_scc0 .LBB272_1087
; %bb.1076:
	global_load_ubyte v1, v[2:3], off
	s_movk_i32 s10, 0x7f
	s_waitcnt vmcnt(0)
	v_cmp_lt_i16_e32 vcc, s10, v1
	s_mov_b64 s[10:11], 0
	s_and_saveexec_b64 s[14:15], vcc
	s_xor_b64 s[14:15], exec, s[14:15]
	s_cbranch_execz .LBB272_1098
; %bb.1077:
	s_movk_i32 s10, 0x80
	v_cmp_eq_u16_e32 vcc, s10, v1
	s_mov_b64 s[10:11], -1
	s_and_saveexec_b64 s[16:17], vcc
; %bb.1078:
	s_xor_b64 s[10:11], exec, -1
; %bb.1079:
	s_or_b64 exec, exec, s[16:17]
	s_and_b64 s[10:11], s[10:11], exec
	s_or_saveexec_b64 s[14:15], s[14:15]
	v_mov_b32_e32 v5, 0x7f800001
	s_xor_b64 exec, exec, s[14:15]
	s_cbranch_execnz .LBB272_1099
.LBB272_1080:
	s_or_b64 exec, exec, s[14:15]
	s_and_saveexec_b64 s[14:15], s[10:11]
	s_cbranch_execz .LBB272_1082
.LBB272_1081:
	v_lshlrev_b32_e32 v5, 24, v1
	v_and_b32_e32 v1, 0xffff, v1
	v_and_b32_e32 v6, 3, v1
	v_ffbh_u32_e32 v8, v6
	v_min_u32_e32 v8, 32, v8
	v_subrev_u32_e32 v9, 29, v8
	v_bfe_u32 v7, v1, 2, 5
	v_lshlrev_b32_e32 v1, v9, v1
	v_sub_u32_e32 v8, 30, v8
	v_and_b32_e32 v1, 3, v1
	v_cmp_eq_u32_e32 vcc, 0, v7
	v_and_b32_e32 v5, 0x80000000, v5
	s_nop 0
	v_cndmask_b32_e32 v7, v7, v8, vcc
	v_cndmask_b32_e32 v1, v6, v1, vcc
	v_mov_b32_e32 v6, 0x37800000
	v_lshlrev_b32_e32 v1, 21, v1
	v_lshl_add_u32 v6, v7, 23, v6
	v_or3_b32 v5, v5, v6, v1
.LBB272_1082:
	s_or_b64 exec, exec, s[14:15]
	v_bfe_u32 v1, v5, 16, 1
	s_movk_i32 s10, 0x7fff
	v_add3_u32 v1, v5, v1, s10
	v_cmp_o_f32_e32 vcc, v5, v5
	v_mov_b32_e32 v5, 0x7fc0
	s_mov_b64 s[10:11], 0
	v_cndmask_b32_sdwa v5, v5, v1, vcc dst_sel:DWORD dst_unused:UNUSED_PAD src0_sel:DWORD src1_sel:WORD_1
	s_branch .LBB272_1088
.LBB272_1083:
                                        ; implicit-def: $vgpr5
	s_mov_b64 s[10:11], 0
	s_branch .LBB272_1094
.LBB272_1084:
	s_or_saveexec_b64 s[16:17], s[16:17]
	v_mov_b32_e32 v5, 0x7f800001
	s_xor_b64 exec, exec, s[16:17]
	s_cbranch_execz .LBB272_1068
.LBB272_1085:
	v_cmp_ne_u16_e32 vcc, 0, v1
	s_andn2_b64 s[14:15], s[14:15], exec
	s_and_b64 s[18:19], vcc, exec
	v_mov_b32_e32 v5, 0
	s_or_b64 s[14:15], s[14:15], s[18:19]
	s_or_b64 exec, exec, s[16:17]
	s_and_saveexec_b64 s[16:17], s[14:15]
	s_cbranch_execnz .LBB272_1069
	s_branch .LBB272_1070
.LBB272_1086:
	s_mov_b64 s[10:11], -1
                                        ; implicit-def: $vgpr5
	s_branch .LBB272_1091
.LBB272_1087:
	s_mov_b64 s[10:11], -1
                                        ; implicit-def: $vgpr5
.LBB272_1088:
	s_and_b64 vcc, exec, s[10:11]
	s_cbranch_vccz .LBB272_1090
; %bb.1089:
	global_load_ubyte v1, v[2:3], off
	s_mov_b32 s10, 0x7f800000
	s_brev_b32 s11, 1
	s_movk_i32 s14, 0x7fff
	s_waitcnt vmcnt(0)
	v_lshlrev_b32_e32 v1, 24, v1
	v_and_b32_e32 v5, 0x7f000000, v1
	v_ffbh_u32_e32 v6, v5
	v_min_u32_e32 v6, 32, v6
	v_sub_u32_e64 v6, v6, 4 clamp
	v_lshlrev_b32_e32 v8, v6, v5
	v_lshlrev_b32_e32 v6, 23, v6
	v_lshrrev_b32_e32 v8, 4, v8
	v_add_u32_e32 v7, 0x1000000, v5
	v_sub_u32_e32 v6, v8, v6
	v_ashrrev_i32_e32 v7, 8, v7
	v_add_u32_e32 v6, 0x3c000000, v6
	v_and_or_b32 v6, v7, s10, v6
	v_cmp_ne_u32_e32 vcc, 0, v5
	s_nop 1
	v_cndmask_b32_e32 v5, 0, v6, vcc
	v_and_or_b32 v1, v1, s11, v5
	v_bfe_u32 v5, v5, 16, 1
	v_add3_u32 v5, v1, v5, s14
	v_cmp_o_f32_e32 vcc, v1, v1
	v_mov_b32_e32 v1, 0x7fc0
	s_nop 0
	v_cndmask_b32_sdwa v5, v1, v5, vcc dst_sel:DWORD dst_unused:UNUSED_PAD src0_sel:DWORD src1_sel:WORD_1
.LBB272_1090:
	s_mov_b64 s[10:11], 0
.LBB272_1091:
	s_andn2_b64 vcc, exec, s[10:11]
	s_cbranch_vccnz .LBB272_1093
; %bb.1092:
	global_load_ubyte v1, v[2:3], off
	s_movk_i32 s10, 0x7f00
	s_brev_b32 s11, 16
	s_brev_b32 s14, 1
	s_movk_i32 s15, 0x7fff
	s_waitcnt vmcnt(0)
	v_lshlrev_b16_e32 v5, 8, v1
	v_lshlrev_b32_e32 v1, 25, v1
	v_lshrrev_b32_e32 v6, 4, v1
	v_and_or_b32 v7, v5, s10, 0.5
	v_or_b32_e32 v6, 0x70000000, v6
	v_add_f32_e32 v7, -0.5, v7
	v_mul_f32_e32 v6, 0x7800000, v6
	v_cmp_gt_u32_e32 vcc, s11, v1
	v_bfe_i32 v5, v5, 0, 16
	s_nop 0
	v_cndmask_b32_e32 v1, v6, v7, vcc
	v_and_or_b32 v5, v5, s14, v1
	v_bfe_u32 v1, v1, 16, 1
	v_add3_u32 v1, v5, v1, s15
	v_cmp_o_f32_e32 vcc, v5, v5
	v_mov_b32_e32 v5, 0x7fc0
	s_nop 0
	v_cndmask_b32_sdwa v5, v5, v1, vcc dst_sel:DWORD dst_unused:UNUSED_PAD src0_sel:DWORD src1_sel:WORD_1
.LBB272_1093:
	s_mov_b64 s[16:17], -1
	s_mov_b64 s[10:11], 0
	s_cbranch_execnz .LBB272_1104
.LBB272_1094:
	s_cmp_gt_i32 s22, 14
	s_cbranch_scc0 .LBB272_1097
; %bb.1095:
	s_cmp_eq_u32 s22, 15
	s_cbranch_scc0 .LBB272_1100
; %bb.1096:
	global_load_ushort v5, v[2:3], off
	s_mov_b64 s[0:1], 0
	s_mov_b64 s[16:17], -1
	s_branch .LBB272_1101
.LBB272_1097:
	s_mov_b64 s[14:15], -1
                                        ; implicit-def: $vgpr5
	s_branch .LBB272_1102
.LBB272_1098:
	s_or_saveexec_b64 s[14:15], s[14:15]
	v_mov_b32_e32 v5, 0x7f800001
	s_xor_b64 exec, exec, s[14:15]
	s_cbranch_execz .LBB272_1080
.LBB272_1099:
	v_cmp_ne_u16_e32 vcc, 0, v1
	s_andn2_b64 s[10:11], s[10:11], exec
	s_and_b64 s[16:17], vcc, exec
	v_mov_b32_e32 v5, 0
	s_or_b64 s[10:11], s[10:11], s[16:17]
	s_or_b64 exec, exec, s[14:15]
	s_and_saveexec_b64 s[14:15], s[10:11]
	s_cbranch_execnz .LBB272_1081
	s_branch .LBB272_1082
.LBB272_1100:
	s_mov_b64 s[0:1], -1
                                        ; implicit-def: $vgpr5
.LBB272_1101:
	s_mov_b64 s[14:15], 0
.LBB272_1102:
	s_and_b64 vcc, exec, s[14:15]
	s_cbranch_vccz .LBB272_1104
; %bb.1103:
	s_cmp_lg_u32 s22, 11
	s_mov_b64 s[10:11], -1
	s_cselect_b64 s[0:1], -1, 0
.LBB272_1104:
	s_and_b64 vcc, exec, s[0:1]
	s_mov_b64 s[14:15], s[12:13]
	s_cbranch_vccnz .LBB272_1165
; %bb.1105:
	s_andn2_b64 vcc, exec, s[10:11]
	s_cbranch_vccnz .LBB272_1107
.LBB272_1106:
	global_load_ubyte v1, v[2:3], off
	s_mov_b64 s[16:17], -1
	s_waitcnt vmcnt(0)
	v_cmp_ne_u16_e32 vcc, 0, v1
	s_nop 1
	v_cndmask_b32_e64 v1, 0, 1.0, vcc
	v_lshrrev_b32_e32 v5, 16, v1
.LBB272_1107:
	s_branch .LBB272_1038
.LBB272_1108:
	s_cmp_lt_i32 s22, 5
	s_cbranch_scc1 .LBB272_1113
; %bb.1109:
	s_cmp_lt_i32 s22, 8
	s_cbranch_scc1 .LBB272_1114
; %bb.1110:
	;; [unrolled: 3-line block ×3, first 2 shown]
	s_cmp_gt_i32 s22, 9
	s_cbranch_scc0 .LBB272_1116
; %bb.1112:
	global_load_dwordx2 v[6:7], v[2:3], off
	s_movk_i32 s0, 0x7fff
	v_mov_b32_e32 v1, 0x7fc0
	s_waitcnt vmcnt(0)
	v_cvt_f32_f64_e32 v5, v[6:7]
	v_bfe_u32 v6, v5, 16, 1
	v_cmp_o_f32_e32 vcc, v5, v5
	v_add3_u32 v5, v5, v6, s0
	s_mov_b64 s[0:1], 0
	v_cndmask_b32_sdwa v5, v1, v5, vcc dst_sel:DWORD dst_unused:UNUSED_PAD src0_sel:DWORD src1_sel:WORD_1
	s_branch .LBB272_1117
.LBB272_1113:
                                        ; implicit-def: $vgpr5
	s_branch .LBB272_1134
.LBB272_1114:
                                        ; implicit-def: $vgpr5
	s_branch .LBB272_1123
.LBB272_1115:
	s_mov_b64 s[0:1], -1
                                        ; implicit-def: $vgpr5
	s_branch .LBB272_1120
.LBB272_1116:
	s_mov_b64 s[0:1], -1
                                        ; implicit-def: $vgpr5
.LBB272_1117:
	s_andn2_b64 vcc, exec, s[0:1]
	s_cbranch_vccnz .LBB272_1119
; %bb.1118:
	global_load_dword v1, v[2:3], off
	s_movk_i32 s0, 0x7fff
	s_waitcnt vmcnt(1)
	v_mov_b32_e32 v5, 0x7fc0
	s_waitcnt vmcnt(0)
	v_bfe_u32 v6, v1, 16, 1
	v_cmp_o_f32_e32 vcc, v1, v1
	v_add3_u32 v1, v1, v6, s0
	s_nop 0
	v_cndmask_b32_sdwa v5, v5, v1, vcc dst_sel:DWORD dst_unused:UNUSED_PAD src0_sel:DWORD src1_sel:WORD_1
.LBB272_1119:
	s_mov_b64 s[0:1], 0
.LBB272_1120:
	s_andn2_b64 vcc, exec, s[0:1]
	s_cbranch_vccnz .LBB272_1122
; %bb.1121:
	global_load_dword v1, v[2:3], off
	s_movk_i32 s0, 0x7fff
	v_mov_b32_e32 v6, 0x7fc0
	s_waitcnt vmcnt(0)
	v_cvt_f32_f16_e32 v5, v1
	v_cmp_o_f16_e32 vcc, v1, v1
	v_bfe_u32 v1, v5, 16, 1
	v_add3_u32 v1, v5, v1, s0
	v_cndmask_b32_sdwa v5, v6, v1, vcc dst_sel:DWORD dst_unused:UNUSED_PAD src0_sel:DWORD src1_sel:WORD_1
.LBB272_1122:
	s_cbranch_execnz .LBB272_1133
.LBB272_1123:
	s_cmp_lt_i32 s22, 6
	s_cbranch_scc1 .LBB272_1126
; %bb.1124:
	s_cmp_gt_i32 s22, 6
	s_cbranch_scc0 .LBB272_1127
; %bb.1125:
	global_load_dwordx2 v[6:7], v[2:3], off
	s_movk_i32 s0, 0x7fff
	v_mov_b32_e32 v1, 0x7fc0
	s_waitcnt vmcnt(0)
	v_cvt_f32_f64_e32 v5, v[6:7]
	v_bfe_u32 v6, v5, 16, 1
	v_cmp_o_f32_e32 vcc, v5, v5
	v_add3_u32 v5, v5, v6, s0
	s_mov_b64 s[0:1], 0
	v_cndmask_b32_sdwa v5, v1, v5, vcc dst_sel:DWORD dst_unused:UNUSED_PAD src0_sel:DWORD src1_sel:WORD_1
	s_branch .LBB272_1128
.LBB272_1126:
	s_mov_b64 s[0:1], -1
                                        ; implicit-def: $vgpr5
	s_branch .LBB272_1131
.LBB272_1127:
	s_mov_b64 s[0:1], -1
                                        ; implicit-def: $vgpr5
.LBB272_1128:
	s_andn2_b64 vcc, exec, s[0:1]
	s_cbranch_vccnz .LBB272_1130
; %bb.1129:
	global_load_dword v1, v[2:3], off
	s_movk_i32 s0, 0x7fff
	s_waitcnt vmcnt(1)
	v_mov_b32_e32 v5, 0x7fc0
	s_waitcnt vmcnt(0)
	v_bfe_u32 v6, v1, 16, 1
	v_cmp_o_f32_e32 vcc, v1, v1
	v_add3_u32 v1, v1, v6, s0
	s_nop 0
	v_cndmask_b32_sdwa v5, v5, v1, vcc dst_sel:DWORD dst_unused:UNUSED_PAD src0_sel:DWORD src1_sel:WORD_1
.LBB272_1130:
	s_mov_b64 s[0:1], 0
.LBB272_1131:
	s_andn2_b64 vcc, exec, s[0:1]
	s_cbranch_vccnz .LBB272_1133
; %bb.1132:
	global_load_ushort v1, v[2:3], off
	s_movk_i32 s0, 0x7fff
	v_mov_b32_e32 v6, 0x7fc0
	s_waitcnt vmcnt(0)
	v_cvt_f32_f16_e32 v5, v1
	v_cmp_o_f16_e32 vcc, v1, v1
	v_bfe_u32 v1, v5, 16, 1
	v_add3_u32 v1, v5, v1, s0
	v_cndmask_b32_sdwa v5, v6, v1, vcc dst_sel:DWORD dst_unused:UNUSED_PAD src0_sel:DWORD src1_sel:WORD_1
.LBB272_1133:
	s_cbranch_execnz .LBB272_1152
.LBB272_1134:
	s_cmp_lt_i32 s22, 2
	s_cbranch_scc1 .LBB272_1138
; %bb.1135:
	s_cmp_lt_i32 s22, 3
	s_cbranch_scc1 .LBB272_1139
; %bb.1136:
	s_cmp_gt_i32 s22, 3
	s_cbranch_scc0 .LBB272_1140
; %bb.1137:
	global_load_dwordx2 v[6:7], v[2:3], off
	s_movk_i32 s0, 0x7fff
	s_waitcnt vmcnt(0)
	v_xor_b32_e32 v5, v6, v7
	v_ffbh_i32_e32 v1, v7
	v_ashrrev_i32_e32 v5, 31, v5
	v_add_u32_e32 v1, -1, v1
	v_add_u32_e32 v5, 32, v5
	v_min_u32_e32 v1, v1, v5
	v_lshlrev_b64 v[6:7], v1, v[6:7]
	v_min_u32_e32 v5, 1, v6
	v_or_b32_e32 v5, v7, v5
	v_cvt_f32_i32_e32 v5, v5
	v_sub_u32_e32 v1, 32, v1
	v_ldexp_f32 v1, v5, v1
	v_bfe_u32 v5, v1, 16, 1
	v_add3_u32 v1, v1, v5, s0
	v_lshrrev_b32_e32 v5, 16, v1
	s_mov_b64 s[0:1], 0
	s_branch .LBB272_1141
.LBB272_1138:
                                        ; implicit-def: $vgpr5
	s_branch .LBB272_1147
.LBB272_1139:
	s_mov_b64 s[0:1], -1
                                        ; implicit-def: $vgpr5
	s_branch .LBB272_1144
.LBB272_1140:
	s_mov_b64 s[0:1], -1
                                        ; implicit-def: $vgpr5
.LBB272_1141:
	s_andn2_b64 vcc, exec, s[0:1]
	s_cbranch_vccnz .LBB272_1143
; %bb.1142:
	global_load_dword v1, v[2:3], off
	s_movk_i32 s0, 0x7fff
	s_waitcnt vmcnt(0)
	v_cvt_f32_i32_e32 v1, v1
	v_bfe_u32 v5, v1, 16, 1
	v_add3_u32 v1, v1, v5, s0
	v_lshrrev_b32_e32 v5, 16, v1
.LBB272_1143:
	s_mov_b64 s[0:1], 0
.LBB272_1144:
	s_andn2_b64 vcc, exec, s[0:1]
	s_cbranch_vccnz .LBB272_1146
; %bb.1145:
	global_load_sshort v1, v[2:3], off
	s_movk_i32 s0, 0x7fff
	s_waitcnt vmcnt(0)
	v_cvt_f32_i32_e32 v1, v1
	v_bfe_u32 v5, v1, 16, 1
	v_add3_u32 v1, v1, v5, s0
	v_lshrrev_b32_e32 v5, 16, v1
.LBB272_1146:
	s_cbranch_execnz .LBB272_1152
.LBB272_1147:
	s_cmp_gt_i32 s22, 0
	s_cbranch_scc0 .LBB272_1149
; %bb.1148:
	global_load_sbyte v1, v[2:3], off
	s_movk_i32 s0, 0x7fff
	s_waitcnt vmcnt(0)
	v_cvt_f32_i32_e32 v1, v1
	v_bfe_u32 v5, v1, 16, 1
	v_add3_u32 v1, v1, v5, s0
	v_lshrrev_b32_e32 v5, 16, v1
	s_mov_b64 s[0:1], 0
	s_branch .LBB272_1150
.LBB272_1149:
	s_mov_b64 s[0:1], -1
                                        ; implicit-def: $vgpr5
.LBB272_1150:
	s_andn2_b64 vcc, exec, s[0:1]
	s_cbranch_vccnz .LBB272_1152
; %bb.1151:
	global_load_ubyte v1, v[2:3], off
	s_movk_i32 s0, 0x7fff
	s_waitcnt vmcnt(0)
	v_cvt_f32_ubyte0_e32 v1, v1
	v_bfe_u32 v2, v1, 16, 1
	v_add3_u32 v1, v1, v2, s0
	v_lshrrev_b32_e32 v5, 16, v1
.LBB272_1152:
.LBB272_1153:
	s_lshl_b32 s9, s9, 7
	v_add_u32_e32 v0, s9, v0
	v_ashrrev_i32_e32 v1, 31, v0
	s_cmp_lt_i32 s22, 11
	v_lshl_add_u64 v[2:3], s[6:7], 0, v[0:1]
	s_cbranch_scc1 .LBB272_1160
; %bb.1154:
	s_cmp_gt_i32 s22, 25
	s_mov_b64 s[10:11], 0
	s_cbranch_scc0 .LBB272_1162
; %bb.1155:
	s_cmp_gt_i32 s22, 28
	s_cbranch_scc0 .LBB272_1163
; %bb.1156:
	s_cmp_gt_i32 s22, 43
	;; [unrolled: 3-line block ×3, first 2 shown]
	s_cbranch_scc0 .LBB272_1166
; %bb.1158:
	s_cmp_eq_u32 s22, 46
	s_mov_b64 s[18:19], 0
	s_cbranch_scc0 .LBB272_1169
; %bb.1159:
	global_load_dword v6, v[2:3], off
	s_mov_b64 s[0:1], 0
	s_mov_b64 s[16:17], -1
	s_branch .LBB272_1170
.LBB272_1160:
	s_mov_b64 s[16:17], 0
                                        ; implicit-def: $vgpr6
	s_cbranch_execnz .LBB272_1235
.LBB272_1161:
	s_andn2_b64 vcc, exec, s[16:17]
	s_cbranch_vccnz .LBB272_1974
	s_branch .LBB272_1282
.LBB272_1162:
	s_mov_b64 s[16:17], 0
	s_mov_b64 s[0:1], 0
                                        ; implicit-def: $vgpr6
	s_cbranch_execnz .LBB272_1199
	s_branch .LBB272_1231
.LBB272_1163:
	s_mov_b64 s[18:19], -1
	s_mov_b64 s[16:17], 0
	s_mov_b64 s[0:1], 0
                                        ; implicit-def: $vgpr6
	s_branch .LBB272_1180
.LBB272_1164:
	s_mov_b64 s[18:19], -1
	s_mov_b64 s[16:17], 0
	s_mov_b64 s[0:1], 0
                                        ; implicit-def: $vgpr6
	s_branch .LBB272_1175
.LBB272_1165:
	s_or_b64 s[14:15], s[12:13], exec
	s_trap 2
	s_cbranch_execz .LBB272_1106
	s_branch .LBB272_1107
.LBB272_1166:
	s_mov_b64 s[18:19], -1
	s_mov_b64 s[16:17], 0
	s_mov_b64 s[0:1], 0
                                        ; implicit-def: $vgpr6
	s_branch .LBB272_1170
.LBB272_1167:
	s_andn2_saveexec_b64 s[24:25], s[24:25]
	s_cbranch_execz .LBB272_954
.LBB272_1168:
	s_mov_b32 s28, 0x42800000
	v_add_f32_e64 v4, |v5|, s28
	v_and_b32_e32 v4, 0xff, v4
	v_cmp_ne_u32_e32 vcc, 0, v4
	s_andn2_b64 s[22:23], s[22:23], exec
	s_and_b64 s[28:29], vcc, exec
	s_or_b64 s[22:23], s[22:23], s[28:29]
	s_or_b64 exec, exec, s[24:25]
	v_mov_b32_e32 v6, 0
	s_and_saveexec_b64 s[24:25], s[22:23]
	s_cbranch_execnz .LBB272_955
	s_branch .LBB272_956
.LBB272_1169:
	s_mov_b64 s[0:1], -1
                                        ; implicit-def: $vgpr6
	s_mov_b64 s[16:17], 0
.LBB272_1170:
	s_and_b64 vcc, exec, s[18:19]
	s_cbranch_vccz .LBB272_1174
; %bb.1171:
	s_cmp_eq_u32 s22, 44
	s_cbranch_scc0 .LBB272_1173
; %bb.1172:
	global_load_ubyte v1, v[2:3], off
	s_movk_i32 s16, 0xff
	s_waitcnt vmcnt(1)
	v_mov_b32_e32 v6, 0x7f800001
	v_mov_b32_e32 v7, 0x400000
	;; [unrolled: 1-line block ×3, first 2 shown]
	s_mov_b64 s[0:1], 0
	s_waitcnt vmcnt(0)
	v_lshlrev_b32_e32 v9, 23, v1
	v_cmp_ne_u32_e32 vcc, s16, v1
	s_mov_b64 s[16:17], -1
	s_nop 0
	v_cndmask_b32_e32 v6, v6, v9, vcc
	v_cmp_ne_u32_e32 vcc, 0, v1
	s_nop 1
	v_cndmask_b32_e32 v1, v7, v6, vcc
	v_add_u32_e32 v6, 0x7fff, v1
	v_cmp_o_f32_e32 vcc, v1, v1
	s_nop 1
	v_cndmask_b32_sdwa v6, v8, v6, vcc dst_sel:DWORD dst_unused:UNUSED_PAD src0_sel:DWORD src1_sel:WORD_1
	s_branch .LBB272_1174
.LBB272_1173:
	s_mov_b64 s[0:1], -1
                                        ; implicit-def: $vgpr6
.LBB272_1174:
	s_mov_b64 s[18:19], 0
.LBB272_1175:
	s_and_b64 vcc, exec, s[18:19]
	s_cbranch_vccz .LBB272_1179
; %bb.1176:
	s_cmp_eq_u32 s22, 29
	s_cbranch_scc0 .LBB272_1178
; %bb.1177:
	global_load_dwordx2 v[6:7], v[2:3], off
	s_movk_i32 s16, 0x7fff
	s_mov_b64 s[0:1], 0
	s_mov_b64 s[18:19], 0
	s_waitcnt vmcnt(0)
	v_ffbh_u32_e32 v1, v7
	v_min_u32_e32 v1, 32, v1
	v_lshlrev_b64 v[6:7], v1, v[6:7]
	v_min_u32_e32 v6, 1, v6
	v_or_b32_e32 v6, v7, v6
	v_cvt_f32_u32_e32 v6, v6
	v_sub_u32_e32 v1, 32, v1
	v_ldexp_f32 v1, v6, v1
	v_bfe_u32 v6, v1, 16, 1
	v_add3_u32 v1, v1, v6, s16
	v_lshrrev_b32_e32 v6, 16, v1
	s_mov_b64 s[16:17], -1
	s_branch .LBB272_1180
.LBB272_1178:
	s_mov_b64 s[0:1], -1
                                        ; implicit-def: $vgpr6
.LBB272_1179:
	s_mov_b64 s[18:19], 0
.LBB272_1180:
	s_and_b64 vcc, exec, s[18:19]
	s_cbranch_vccz .LBB272_1198
; %bb.1181:
	s_cmp_lt_i32 s22, 27
	s_cbranch_scc1 .LBB272_1184
; %bb.1182:
	s_cmp_gt_i32 s22, 27
	s_cbranch_scc0 .LBB272_1185
; %bb.1183:
	global_load_dword v1, v[2:3], off
	s_movk_i32 s16, 0x7fff
	s_waitcnt vmcnt(0)
	v_cvt_f32_u32_e32 v1, v1
	v_bfe_u32 v6, v1, 16, 1
	v_add3_u32 v1, v1, v6, s16
	v_lshrrev_b32_e32 v6, 16, v1
	s_mov_b64 s[16:17], 0
	s_branch .LBB272_1186
.LBB272_1184:
	s_mov_b64 s[16:17], -1
                                        ; implicit-def: $vgpr6
	s_branch .LBB272_1189
.LBB272_1185:
	s_mov_b64 s[16:17], -1
                                        ; implicit-def: $vgpr6
.LBB272_1186:
	s_andn2_b64 vcc, exec, s[16:17]
	s_cbranch_vccnz .LBB272_1188
; %bb.1187:
	global_load_ushort v1, v[2:3], off
	s_movk_i32 s16, 0x7fff
	s_waitcnt vmcnt(0)
	v_cvt_f32_u32_e32 v1, v1
	v_bfe_u32 v6, v1, 16, 1
	v_add3_u32 v1, v1, v6, s16
	v_lshrrev_b32_e32 v6, 16, v1
.LBB272_1188:
	s_mov_b64 s[16:17], 0
.LBB272_1189:
	s_andn2_b64 vcc, exec, s[16:17]
	s_cbranch_vccnz .LBB272_1197
; %bb.1190:
	global_load_ubyte v1, v[2:3], off
	s_movk_i32 s16, 0x7f
	s_waitcnt vmcnt(0)
	v_cmp_lt_i16_e32 vcc, s16, v1
	s_mov_b64 s[16:17], 0
	s_and_saveexec_b64 s[18:19], vcc
	s_xor_b64 s[18:19], exec, s[18:19]
	s_cbranch_execz .LBB272_1210
; %bb.1191:
	s_movk_i32 s16, 0x80
	v_cmp_eq_u16_e32 vcc, s16, v1
	s_mov_b64 s[16:17], -1
	s_and_saveexec_b64 s[20:21], vcc
; %bb.1192:
	s_xor_b64 s[16:17], exec, -1
; %bb.1193:
	s_or_b64 exec, exec, s[20:21]
	s_and_b64 s[16:17], s[16:17], exec
	s_or_saveexec_b64 s[18:19], s[18:19]
	v_mov_b32_e32 v6, 0x7f800001
	s_xor_b64 exec, exec, s[18:19]
	s_cbranch_execnz .LBB272_1211
.LBB272_1194:
	s_or_b64 exec, exec, s[18:19]
	s_and_saveexec_b64 s[18:19], s[16:17]
	s_cbranch_execz .LBB272_1196
.LBB272_1195:
	v_lshlrev_b32_e32 v6, 24, v1
	v_and_b32_e32 v1, 0xffff, v1
	v_and_b32_e32 v7, 7, v1
	v_ffbh_u32_e32 v9, v7
	v_min_u32_e32 v9, 32, v9
	v_subrev_u32_e32 v10, 28, v9
	v_bfe_u32 v8, v1, 3, 4
	v_lshlrev_b32_e32 v1, v10, v1
	v_sub_u32_e32 v9, 29, v9
	v_and_b32_e32 v1, 7, v1
	v_cmp_eq_u32_e32 vcc, 0, v8
	v_and_b32_e32 v6, 0x80000000, v6
	s_nop 0
	v_cndmask_b32_e32 v8, v8, v9, vcc
	v_cndmask_b32_e32 v1, v7, v1, vcc
	v_mov_b32_e32 v7, 0x3b800000
	v_lshlrev_b32_e32 v1, 20, v1
	v_lshl_add_u32 v7, v8, 23, v7
	v_or3_b32 v6, v6, v7, v1
.LBB272_1196:
	s_or_b64 exec, exec, s[18:19]
	v_bfe_u32 v1, v6, 16, 1
	s_movk_i32 s16, 0x7fff
	v_add3_u32 v1, v6, v1, s16
	v_cmp_o_f32_e32 vcc, v6, v6
	v_mov_b32_e32 v6, 0x7fc0
	s_nop 0
	v_cndmask_b32_sdwa v6, v6, v1, vcc dst_sel:DWORD dst_unused:UNUSED_PAD src0_sel:DWORD src1_sel:WORD_1
.LBB272_1197:
	s_mov_b64 s[16:17], -1
.LBB272_1198:
	s_branch .LBB272_1231
.LBB272_1199:
	s_cmp_gt_i32 s22, 22
	s_cbranch_scc0 .LBB272_1209
; %bb.1200:
	s_cmp_lt_i32 s22, 24
	s_cbranch_scc1 .LBB272_1212
; %bb.1201:
	s_cmp_gt_i32 s22, 24
	s_cbranch_scc0 .LBB272_1213
; %bb.1202:
	global_load_ubyte v1, v[2:3], off
	s_movk_i32 s10, 0x7f
	s_waitcnt vmcnt(0)
	v_cmp_lt_i16_e32 vcc, s10, v1
	s_mov_b64 s[10:11], 0
	s_and_saveexec_b64 s[16:17], vcc
	s_xor_b64 s[16:17], exec, s[16:17]
	s_cbranch_execz .LBB272_1225
; %bb.1203:
	s_movk_i32 s10, 0x80
	v_cmp_eq_u16_e32 vcc, s10, v1
	s_mov_b64 s[10:11], -1
	s_and_saveexec_b64 s[18:19], vcc
; %bb.1204:
	s_xor_b64 s[10:11], exec, -1
; %bb.1205:
	s_or_b64 exec, exec, s[18:19]
	s_and_b64 s[10:11], s[10:11], exec
	s_or_saveexec_b64 s[16:17], s[16:17]
	v_mov_b32_e32 v6, 0x7f800001
	s_xor_b64 exec, exec, s[16:17]
	s_cbranch_execnz .LBB272_1226
.LBB272_1206:
	s_or_b64 exec, exec, s[16:17]
	s_and_saveexec_b64 s[16:17], s[10:11]
	s_cbranch_execz .LBB272_1208
.LBB272_1207:
	v_lshlrev_b32_e32 v6, 24, v1
	v_and_b32_e32 v1, 0xffff, v1
	v_and_b32_e32 v7, 3, v1
	v_ffbh_u32_e32 v9, v7
	v_min_u32_e32 v9, 32, v9
	v_subrev_u32_e32 v10, 29, v9
	v_bfe_u32 v8, v1, 2, 5
	v_lshlrev_b32_e32 v1, v10, v1
	v_sub_u32_e32 v9, 30, v9
	v_and_b32_e32 v1, 3, v1
	v_cmp_eq_u32_e32 vcc, 0, v8
	v_and_b32_e32 v6, 0x80000000, v6
	s_nop 0
	v_cndmask_b32_e32 v8, v8, v9, vcc
	v_cndmask_b32_e32 v1, v7, v1, vcc
	v_mov_b32_e32 v7, 0x37800000
	v_lshlrev_b32_e32 v1, 21, v1
	v_lshl_add_u32 v7, v8, 23, v7
	v_or3_b32 v6, v6, v7, v1
.LBB272_1208:
	s_or_b64 exec, exec, s[16:17]
	v_bfe_u32 v1, v6, 16, 1
	s_movk_i32 s10, 0x7fff
	v_add3_u32 v1, v6, v1, s10
	v_cmp_o_f32_e32 vcc, v6, v6
	v_mov_b32_e32 v6, 0x7fc0
	s_mov_b64 s[10:11], 0
	v_cndmask_b32_sdwa v6, v6, v1, vcc dst_sel:DWORD dst_unused:UNUSED_PAD src0_sel:DWORD src1_sel:WORD_1
	s_branch .LBB272_1214
.LBB272_1209:
	s_mov_b64 s[10:11], -1
                                        ; implicit-def: $vgpr6
	s_branch .LBB272_1220
.LBB272_1210:
	s_or_saveexec_b64 s[18:19], s[18:19]
	v_mov_b32_e32 v6, 0x7f800001
	s_xor_b64 exec, exec, s[18:19]
	s_cbranch_execz .LBB272_1194
.LBB272_1211:
	v_cmp_ne_u16_e32 vcc, 0, v1
	s_andn2_b64 s[16:17], s[16:17], exec
	s_and_b64 s[20:21], vcc, exec
	v_mov_b32_e32 v6, 0
	s_or_b64 s[16:17], s[16:17], s[20:21]
	s_or_b64 exec, exec, s[18:19]
	s_and_saveexec_b64 s[18:19], s[16:17]
	s_cbranch_execnz .LBB272_1195
	s_branch .LBB272_1196
.LBB272_1212:
	s_mov_b64 s[10:11], -1
                                        ; implicit-def: $vgpr6
	s_branch .LBB272_1217
.LBB272_1213:
	s_mov_b64 s[10:11], -1
                                        ; implicit-def: $vgpr6
.LBB272_1214:
	s_and_b64 vcc, exec, s[10:11]
	s_cbranch_vccz .LBB272_1216
; %bb.1215:
	global_load_ubyte v1, v[2:3], off
	s_mov_b32 s10, 0x7f800000
	s_brev_b32 s11, 1
	s_movk_i32 s16, 0x7fff
	s_waitcnt vmcnt(0)
	v_lshlrev_b32_e32 v1, 24, v1
	v_and_b32_e32 v6, 0x7f000000, v1
	v_ffbh_u32_e32 v7, v6
	v_min_u32_e32 v7, 32, v7
	v_sub_u32_e64 v7, v7, 4 clamp
	v_lshlrev_b32_e32 v9, v7, v6
	v_lshlrev_b32_e32 v7, 23, v7
	v_lshrrev_b32_e32 v9, 4, v9
	v_add_u32_e32 v8, 0x1000000, v6
	v_sub_u32_e32 v7, v9, v7
	v_ashrrev_i32_e32 v8, 8, v8
	v_add_u32_e32 v7, 0x3c000000, v7
	v_and_or_b32 v7, v8, s10, v7
	v_cmp_ne_u32_e32 vcc, 0, v6
	s_nop 1
	v_cndmask_b32_e32 v6, 0, v7, vcc
	v_and_or_b32 v1, v1, s11, v6
	v_bfe_u32 v6, v6, 16, 1
	v_add3_u32 v6, v1, v6, s16
	v_cmp_o_f32_e32 vcc, v1, v1
	v_mov_b32_e32 v1, 0x7fc0
	s_nop 0
	v_cndmask_b32_sdwa v6, v1, v6, vcc dst_sel:DWORD dst_unused:UNUSED_PAD src0_sel:DWORD src1_sel:WORD_1
.LBB272_1216:
	s_mov_b64 s[10:11], 0
.LBB272_1217:
	s_andn2_b64 vcc, exec, s[10:11]
	s_cbranch_vccnz .LBB272_1219
; %bb.1218:
	global_load_ubyte v1, v[2:3], off
	s_movk_i32 s10, 0x7f00
	s_brev_b32 s11, 16
	s_brev_b32 s16, 1
	s_movk_i32 s17, 0x7fff
	s_waitcnt vmcnt(0)
	v_lshlrev_b16_e32 v6, 8, v1
	v_lshlrev_b32_e32 v1, 25, v1
	v_lshrrev_b32_e32 v7, 4, v1
	v_and_or_b32 v8, v6, s10, 0.5
	v_or_b32_e32 v7, 0x70000000, v7
	v_add_f32_e32 v8, -0.5, v8
	v_mul_f32_e32 v7, 0x7800000, v7
	v_cmp_gt_u32_e32 vcc, s11, v1
	v_bfe_i32 v6, v6, 0, 16
	s_nop 0
	v_cndmask_b32_e32 v1, v7, v8, vcc
	v_and_or_b32 v6, v6, s16, v1
	v_bfe_u32 v1, v1, 16, 1
	v_add3_u32 v1, v6, v1, s17
	v_cmp_o_f32_e32 vcc, v6, v6
	v_mov_b32_e32 v6, 0x7fc0
	s_nop 0
	v_cndmask_b32_sdwa v6, v6, v1, vcc dst_sel:DWORD dst_unused:UNUSED_PAD src0_sel:DWORD src1_sel:WORD_1
.LBB272_1219:
	s_mov_b64 s[10:11], 0
	s_mov_b64 s[16:17], -1
.LBB272_1220:
	s_andn2_b64 vcc, exec, s[10:11]
	s_mov_b64 s[10:11], 0
	s_cbranch_vccnz .LBB272_1231
; %bb.1221:
	s_cmp_gt_i32 s22, 14
	s_cbranch_scc0 .LBB272_1224
; %bb.1222:
	s_cmp_eq_u32 s22, 15
	s_cbranch_scc0 .LBB272_1227
; %bb.1223:
	global_load_ushort v6, v[2:3], off
	s_mov_b64 s[0:1], 0
	s_mov_b64 s[16:17], -1
	s_branch .LBB272_1228
.LBB272_1224:
	s_mov_b64 s[18:19], -1
                                        ; implicit-def: $vgpr6
	s_branch .LBB272_1229
.LBB272_1225:
	s_or_saveexec_b64 s[16:17], s[16:17]
	v_mov_b32_e32 v6, 0x7f800001
	s_xor_b64 exec, exec, s[16:17]
	s_cbranch_execz .LBB272_1206
.LBB272_1226:
	v_cmp_ne_u16_e32 vcc, 0, v1
	s_andn2_b64 s[10:11], s[10:11], exec
	s_and_b64 s[18:19], vcc, exec
	v_mov_b32_e32 v6, 0
	s_or_b64 s[10:11], s[10:11], s[18:19]
	s_or_b64 exec, exec, s[16:17]
	s_and_saveexec_b64 s[16:17], s[10:11]
	s_cbranch_execnz .LBB272_1207
	s_branch .LBB272_1208
.LBB272_1227:
	s_mov_b64 s[0:1], -1
                                        ; implicit-def: $vgpr6
.LBB272_1228:
	s_mov_b64 s[18:19], 0
.LBB272_1229:
	s_and_b64 vcc, exec, s[18:19]
	s_cbranch_vccz .LBB272_1231
; %bb.1230:
	s_cmp_lg_u32 s22, 11
	s_mov_b64 s[10:11], -1
	s_cselect_b64 s[0:1], -1, 0
.LBB272_1231:
	s_and_b64 vcc, exec, s[0:1]
	s_cbranch_vccnz .LBB272_1294
; %bb.1232:
	s_andn2_b64 vcc, exec, s[10:11]
	s_cbranch_vccnz .LBB272_1234
.LBB272_1233:
	global_load_ubyte v1, v[2:3], off
	s_mov_b64 s[16:17], -1
	s_waitcnt vmcnt(0)
	v_cmp_ne_u16_e32 vcc, 0, v1
	s_nop 1
	v_cndmask_b32_e64 v1, 0, 1.0, vcc
	v_lshrrev_b32_e32 v6, 16, v1
.LBB272_1234:
	s_branch .LBB272_1161
.LBB272_1235:
	s_cmp_lt_i32 s22, 5
	s_cbranch_scc1 .LBB272_1240
; %bb.1236:
	s_cmp_lt_i32 s22, 8
	s_cbranch_scc1 .LBB272_1241
; %bb.1237:
	;; [unrolled: 3-line block ×3, first 2 shown]
	s_cmp_gt_i32 s22, 9
	s_cbranch_scc0 .LBB272_1243
; %bb.1239:
	global_load_dwordx2 v[6:7], v[2:3], off
	s_movk_i32 s0, 0x7fff
	v_mov_b32_e32 v1, 0x7fc0
	s_waitcnt vmcnt(0)
	v_cvt_f32_f64_e32 v6, v[6:7]
	v_bfe_u32 v7, v6, 16, 1
	v_cmp_o_f32_e32 vcc, v6, v6
	v_add3_u32 v6, v6, v7, s0
	s_mov_b64 s[0:1], 0
	v_cndmask_b32_sdwa v6, v1, v6, vcc dst_sel:DWORD dst_unused:UNUSED_PAD src0_sel:DWORD src1_sel:WORD_1
	s_branch .LBB272_1244
.LBB272_1240:
                                        ; implicit-def: $vgpr6
	s_branch .LBB272_1262
.LBB272_1241:
	s_mov_b64 s[0:1], -1
                                        ; implicit-def: $vgpr6
	s_branch .LBB272_1250
.LBB272_1242:
	s_mov_b64 s[0:1], -1
                                        ; implicit-def: $vgpr6
	s_branch .LBB272_1247
.LBB272_1243:
	s_mov_b64 s[0:1], -1
                                        ; implicit-def: $vgpr6
.LBB272_1244:
	s_andn2_b64 vcc, exec, s[0:1]
	s_cbranch_vccnz .LBB272_1246
; %bb.1245:
	global_load_dword v1, v[2:3], off
	s_movk_i32 s0, 0x7fff
	s_waitcnt vmcnt(1)
	v_mov_b32_e32 v6, 0x7fc0
	s_waitcnt vmcnt(0)
	v_bfe_u32 v7, v1, 16, 1
	v_cmp_o_f32_e32 vcc, v1, v1
	v_add3_u32 v1, v1, v7, s0
	s_nop 0
	v_cndmask_b32_sdwa v6, v6, v1, vcc dst_sel:DWORD dst_unused:UNUSED_PAD src0_sel:DWORD src1_sel:WORD_1
.LBB272_1246:
	s_mov_b64 s[0:1], 0
.LBB272_1247:
	s_andn2_b64 vcc, exec, s[0:1]
	s_cbranch_vccnz .LBB272_1249
; %bb.1248:
	global_load_dword v1, v[2:3], off
	s_movk_i32 s0, 0x7fff
	v_mov_b32_e32 v7, 0x7fc0
	s_waitcnt vmcnt(0)
	v_cvt_f32_f16_e32 v6, v1
	v_cmp_o_f16_e32 vcc, v1, v1
	v_bfe_u32 v1, v6, 16, 1
	v_add3_u32 v1, v6, v1, s0
	v_cndmask_b32_sdwa v6, v7, v1, vcc dst_sel:DWORD dst_unused:UNUSED_PAD src0_sel:DWORD src1_sel:WORD_1
.LBB272_1249:
	s_mov_b64 s[0:1], 0
.LBB272_1250:
	s_andn2_b64 vcc, exec, s[0:1]
	s_cbranch_vccnz .LBB272_1261
; %bb.1251:
	s_cmp_lt_i32 s22, 6
	s_cbranch_scc1 .LBB272_1254
; %bb.1252:
	s_cmp_gt_i32 s22, 6
	s_cbranch_scc0 .LBB272_1255
; %bb.1253:
	global_load_dwordx2 v[6:7], v[2:3], off
	s_movk_i32 s0, 0x7fff
	v_mov_b32_e32 v1, 0x7fc0
	s_waitcnt vmcnt(0)
	v_cvt_f32_f64_e32 v6, v[6:7]
	v_bfe_u32 v7, v6, 16, 1
	v_cmp_o_f32_e32 vcc, v6, v6
	v_add3_u32 v6, v6, v7, s0
	s_mov_b64 s[0:1], 0
	v_cndmask_b32_sdwa v6, v1, v6, vcc dst_sel:DWORD dst_unused:UNUSED_PAD src0_sel:DWORD src1_sel:WORD_1
	s_branch .LBB272_1256
.LBB272_1254:
	s_mov_b64 s[0:1], -1
                                        ; implicit-def: $vgpr6
	s_branch .LBB272_1259
.LBB272_1255:
	s_mov_b64 s[0:1], -1
                                        ; implicit-def: $vgpr6
.LBB272_1256:
	s_andn2_b64 vcc, exec, s[0:1]
	s_cbranch_vccnz .LBB272_1258
; %bb.1257:
	global_load_dword v1, v[2:3], off
	s_movk_i32 s0, 0x7fff
	s_waitcnt vmcnt(1)
	v_mov_b32_e32 v6, 0x7fc0
	s_waitcnt vmcnt(0)
	v_bfe_u32 v7, v1, 16, 1
	v_cmp_o_f32_e32 vcc, v1, v1
	v_add3_u32 v1, v1, v7, s0
	s_nop 0
	v_cndmask_b32_sdwa v6, v6, v1, vcc dst_sel:DWORD dst_unused:UNUSED_PAD src0_sel:DWORD src1_sel:WORD_1
.LBB272_1258:
	s_mov_b64 s[0:1], 0
.LBB272_1259:
	s_andn2_b64 vcc, exec, s[0:1]
	s_cbranch_vccnz .LBB272_1261
; %bb.1260:
	global_load_ushort v1, v[2:3], off
	s_movk_i32 s0, 0x7fff
	v_mov_b32_e32 v7, 0x7fc0
	s_waitcnt vmcnt(0)
	v_cvt_f32_f16_e32 v6, v1
	v_cmp_o_f16_e32 vcc, v1, v1
	v_bfe_u32 v1, v6, 16, 1
	v_add3_u32 v1, v6, v1, s0
	v_cndmask_b32_sdwa v6, v7, v1, vcc dst_sel:DWORD dst_unused:UNUSED_PAD src0_sel:DWORD src1_sel:WORD_1
.LBB272_1261:
	s_cbranch_execnz .LBB272_1281
.LBB272_1262:
	s_cmp_lt_i32 s22, 2
	s_cbranch_scc1 .LBB272_1266
; %bb.1263:
	s_cmp_lt_i32 s22, 3
	s_cbranch_scc1 .LBB272_1267
; %bb.1264:
	s_cmp_gt_i32 s22, 3
	s_cbranch_scc0 .LBB272_1268
; %bb.1265:
	global_load_dwordx2 v[6:7], v[2:3], off
	s_movk_i32 s0, 0x7fff
	s_waitcnt vmcnt(0)
	v_xor_b32_e32 v8, v6, v7
	v_ffbh_i32_e32 v1, v7
	v_ashrrev_i32_e32 v8, 31, v8
	v_add_u32_e32 v1, -1, v1
	v_add_u32_e32 v8, 32, v8
	v_min_u32_e32 v1, v1, v8
	v_lshlrev_b64 v[6:7], v1, v[6:7]
	v_min_u32_e32 v6, 1, v6
	v_or_b32_e32 v6, v7, v6
	v_cvt_f32_i32_e32 v6, v6
	v_sub_u32_e32 v1, 32, v1
	v_ldexp_f32 v1, v6, v1
	v_bfe_u32 v6, v1, 16, 1
	v_add3_u32 v1, v1, v6, s0
	v_lshrrev_b32_e32 v6, 16, v1
	s_mov_b64 s[0:1], 0
	s_branch .LBB272_1269
.LBB272_1266:
	s_mov_b64 s[0:1], -1
                                        ; implicit-def: $vgpr6
	s_branch .LBB272_1275
.LBB272_1267:
	s_mov_b64 s[0:1], -1
                                        ; implicit-def: $vgpr6
	s_branch .LBB272_1272
.LBB272_1268:
	s_mov_b64 s[0:1], -1
                                        ; implicit-def: $vgpr6
.LBB272_1269:
	s_andn2_b64 vcc, exec, s[0:1]
	s_cbranch_vccnz .LBB272_1271
; %bb.1270:
	global_load_dword v1, v[2:3], off
	s_movk_i32 s0, 0x7fff
	s_waitcnt vmcnt(0)
	v_cvt_f32_i32_e32 v1, v1
	v_bfe_u32 v6, v1, 16, 1
	v_add3_u32 v1, v1, v6, s0
	v_lshrrev_b32_e32 v6, 16, v1
.LBB272_1271:
	s_mov_b64 s[0:1], 0
.LBB272_1272:
	s_andn2_b64 vcc, exec, s[0:1]
	s_cbranch_vccnz .LBB272_1274
; %bb.1273:
	global_load_sshort v1, v[2:3], off
	s_movk_i32 s0, 0x7fff
	s_waitcnt vmcnt(0)
	v_cvt_f32_i32_e32 v1, v1
	v_bfe_u32 v6, v1, 16, 1
	v_add3_u32 v1, v1, v6, s0
	v_lshrrev_b32_e32 v6, 16, v1
.LBB272_1274:
	s_mov_b64 s[0:1], 0
.LBB272_1275:
	s_andn2_b64 vcc, exec, s[0:1]
	s_cbranch_vccnz .LBB272_1281
; %bb.1276:
	s_cmp_gt_i32 s22, 0
	s_cbranch_scc0 .LBB272_1278
; %bb.1277:
	global_load_sbyte v1, v[2:3], off
	s_movk_i32 s0, 0x7fff
	s_waitcnt vmcnt(0)
	v_cvt_f32_i32_e32 v1, v1
	v_bfe_u32 v6, v1, 16, 1
	v_add3_u32 v1, v1, v6, s0
	v_lshrrev_b32_e32 v6, 16, v1
	s_mov_b64 s[0:1], 0
	s_branch .LBB272_1279
.LBB272_1278:
	s_mov_b64 s[0:1], -1
                                        ; implicit-def: $vgpr6
.LBB272_1279:
	s_andn2_b64 vcc, exec, s[0:1]
	s_cbranch_vccnz .LBB272_1281
; %bb.1280:
	global_load_ubyte v1, v[2:3], off
	s_movk_i32 s0, 0x7fff
	s_waitcnt vmcnt(0)
	v_cvt_f32_ubyte0_e32 v1, v1
	v_bfe_u32 v2, v1, 16, 1
	v_add3_u32 v1, v1, v2, s0
	v_lshrrev_b32_e32 v6, 16, v1
.LBB272_1281:
.LBB272_1282:
	v_add_u32_e32 v0, s9, v0
	v_ashrrev_i32_e32 v1, 31, v0
	s_cmp_lt_i32 s22, 11
	v_lshl_add_u64 v[2:3], s[6:7], 0, v[0:1]
	s_cbranch_scc1 .LBB272_1289
; %bb.1283:
	s_cmp_gt_i32 s22, 25
	s_mov_b64 s[10:11], 0
	s_cbranch_scc0 .LBB272_1291
; %bb.1284:
	s_cmp_gt_i32 s22, 28
	s_cbranch_scc0 .LBB272_1292
; %bb.1285:
	s_cmp_gt_i32 s22, 43
	;; [unrolled: 3-line block ×3, first 2 shown]
	s_cbranch_scc0 .LBB272_1295
; %bb.1287:
	s_cmp_eq_u32 s22, 46
	s_mov_b64 s[18:19], 0
	s_cbranch_scc0 .LBB272_1296
; %bb.1288:
	global_load_dword v7, v[2:3], off
	s_mov_b64 s[0:1], 0
	s_mov_b64 s[16:17], -1
	s_branch .LBB272_1297
.LBB272_1289:
	s_mov_b64 s[16:17], 0
                                        ; implicit-def: $vgpr7
	s_cbranch_execnz .LBB272_1363
.LBB272_1290:
	s_andn2_b64 vcc, exec, s[16:17]
	s_cbranch_vccnz .LBB272_1974
	s_branch .LBB272_1411
.LBB272_1291:
	s_mov_b64 s[18:19], -1
	s_mov_b64 s[16:17], 0
	s_mov_b64 s[0:1], 0
                                        ; implicit-def: $vgpr7
	s_branch .LBB272_1326
.LBB272_1292:
	s_mov_b64 s[18:19], -1
	s_mov_b64 s[16:17], 0
	s_mov_b64 s[0:1], 0
                                        ; implicit-def: $vgpr7
	s_branch .LBB272_1307
.LBB272_1293:
	s_mov_b64 s[18:19], -1
	s_mov_b64 s[16:17], 0
	s_mov_b64 s[0:1], 0
                                        ; implicit-def: $vgpr7
	s_branch .LBB272_1302
.LBB272_1294:
	s_trap 2
	s_or_b64 s[14:15], s[14:15], exec
	s_cbranch_execz .LBB272_1233
	s_branch .LBB272_1234
.LBB272_1295:
	s_mov_b64 s[18:19], -1
	s_mov_b64 s[16:17], 0
	s_mov_b64 s[0:1], 0
                                        ; implicit-def: $vgpr7
	s_branch .LBB272_1297
.LBB272_1296:
	s_mov_b64 s[0:1], -1
                                        ; implicit-def: $vgpr7
	s_mov_b64 s[16:17], 0
.LBB272_1297:
	s_and_b64 vcc, exec, s[18:19]
	s_cbranch_vccz .LBB272_1301
; %bb.1298:
	s_cmp_eq_u32 s22, 44
	s_cbranch_scc0 .LBB272_1300
; %bb.1299:
	global_load_ubyte v1, v[2:3], off
	s_movk_i32 s16, 0xff
	s_waitcnt vmcnt(1)
	v_mov_b32_e32 v7, 0x7f800001
	v_mov_b32_e32 v8, 0x400000
	;; [unrolled: 1-line block ×3, first 2 shown]
	s_mov_b64 s[0:1], 0
	s_waitcnt vmcnt(0)
	v_lshlrev_b32_e32 v10, 23, v1
	v_cmp_ne_u32_e32 vcc, s16, v1
	s_mov_b64 s[16:17], -1
	s_nop 0
	v_cndmask_b32_e32 v7, v7, v10, vcc
	v_cmp_ne_u32_e32 vcc, 0, v1
	s_nop 1
	v_cndmask_b32_e32 v1, v8, v7, vcc
	v_add_u32_e32 v7, 0x7fff, v1
	v_cmp_o_f32_e32 vcc, v1, v1
	s_nop 1
	v_cndmask_b32_sdwa v7, v9, v7, vcc dst_sel:DWORD dst_unused:UNUSED_PAD src0_sel:DWORD src1_sel:WORD_1
	s_branch .LBB272_1301
.LBB272_1300:
	s_mov_b64 s[0:1], -1
                                        ; implicit-def: $vgpr7
.LBB272_1301:
	s_mov_b64 s[18:19], 0
.LBB272_1302:
	s_and_b64 vcc, exec, s[18:19]
	s_cbranch_vccz .LBB272_1306
; %bb.1303:
	s_cmp_eq_u32 s22, 29
	s_cbranch_scc0 .LBB272_1305
; %bb.1304:
	global_load_dwordx2 v[8:9], v[2:3], off
	s_movk_i32 s16, 0x7fff
	s_mov_b64 s[0:1], 0
	s_mov_b64 s[18:19], 0
	s_waitcnt vmcnt(0)
	v_ffbh_u32_e32 v1, v9
	v_min_u32_e32 v1, 32, v1
	v_lshlrev_b64 v[8:9], v1, v[8:9]
	v_min_u32_e32 v7, 1, v8
	v_or_b32_e32 v7, v9, v7
	v_cvt_f32_u32_e32 v7, v7
	v_sub_u32_e32 v1, 32, v1
	v_ldexp_f32 v1, v7, v1
	v_bfe_u32 v7, v1, 16, 1
	v_add3_u32 v1, v1, v7, s16
	v_lshrrev_b32_e32 v7, 16, v1
	s_mov_b64 s[16:17], -1
	s_branch .LBB272_1307
.LBB272_1305:
	s_mov_b64 s[0:1], -1
                                        ; implicit-def: $vgpr7
.LBB272_1306:
	s_mov_b64 s[18:19], 0
.LBB272_1307:
	s_and_b64 vcc, exec, s[18:19]
	s_cbranch_vccz .LBB272_1325
; %bb.1308:
	s_cmp_lt_i32 s22, 27
	s_cbranch_scc1 .LBB272_1311
; %bb.1309:
	s_cmp_gt_i32 s22, 27
	s_cbranch_scc0 .LBB272_1312
; %bb.1310:
	global_load_dword v1, v[2:3], off
	s_movk_i32 s16, 0x7fff
	s_waitcnt vmcnt(0)
	v_cvt_f32_u32_e32 v1, v1
	v_bfe_u32 v7, v1, 16, 1
	v_add3_u32 v1, v1, v7, s16
	v_lshrrev_b32_e32 v7, 16, v1
	s_mov_b64 s[16:17], 0
	s_branch .LBB272_1313
.LBB272_1311:
	s_mov_b64 s[16:17], -1
                                        ; implicit-def: $vgpr7
	s_branch .LBB272_1316
.LBB272_1312:
	s_mov_b64 s[16:17], -1
                                        ; implicit-def: $vgpr7
.LBB272_1313:
	s_andn2_b64 vcc, exec, s[16:17]
	s_cbranch_vccnz .LBB272_1315
; %bb.1314:
	global_load_ushort v1, v[2:3], off
	s_movk_i32 s16, 0x7fff
	s_waitcnt vmcnt(0)
	v_cvt_f32_u32_e32 v1, v1
	v_bfe_u32 v7, v1, 16, 1
	v_add3_u32 v1, v1, v7, s16
	v_lshrrev_b32_e32 v7, 16, v1
.LBB272_1315:
	s_mov_b64 s[16:17], 0
.LBB272_1316:
	s_andn2_b64 vcc, exec, s[16:17]
	s_cbranch_vccnz .LBB272_1324
; %bb.1317:
	global_load_ubyte v1, v[2:3], off
	s_movk_i32 s16, 0x7f
	s_waitcnt vmcnt(0)
	v_cmp_lt_i16_e32 vcc, s16, v1
	s_mov_b64 s[16:17], 0
	s_and_saveexec_b64 s[18:19], vcc
	s_xor_b64 s[18:19], exec, s[18:19]
	s_cbranch_execz .LBB272_1338
; %bb.1318:
	s_movk_i32 s16, 0x80
	v_cmp_eq_u16_e32 vcc, s16, v1
	s_mov_b64 s[16:17], -1
	s_and_saveexec_b64 s[20:21], vcc
; %bb.1319:
	s_xor_b64 s[16:17], exec, -1
; %bb.1320:
	s_or_b64 exec, exec, s[20:21]
	s_and_b64 s[16:17], s[16:17], exec
	s_or_saveexec_b64 s[18:19], s[18:19]
	v_mov_b32_e32 v7, 0x7f800001
	s_xor_b64 exec, exec, s[18:19]
	s_cbranch_execnz .LBB272_1339
.LBB272_1321:
	s_or_b64 exec, exec, s[18:19]
	s_and_saveexec_b64 s[18:19], s[16:17]
	s_cbranch_execz .LBB272_1323
.LBB272_1322:
	v_lshlrev_b32_e32 v7, 24, v1
	v_and_b32_e32 v1, 0xffff, v1
	v_and_b32_e32 v8, 7, v1
	v_ffbh_u32_e32 v10, v8
	v_min_u32_e32 v10, 32, v10
	v_subrev_u32_e32 v11, 28, v10
	v_bfe_u32 v9, v1, 3, 4
	v_lshlrev_b32_e32 v1, v11, v1
	v_sub_u32_e32 v10, 29, v10
	v_and_b32_e32 v1, 7, v1
	v_cmp_eq_u32_e32 vcc, 0, v9
	v_and_b32_e32 v7, 0x80000000, v7
	s_nop 0
	v_cndmask_b32_e32 v9, v9, v10, vcc
	v_cndmask_b32_e32 v1, v8, v1, vcc
	v_mov_b32_e32 v8, 0x3b800000
	v_lshlrev_b32_e32 v1, 20, v1
	v_lshl_add_u32 v8, v9, 23, v8
	v_or3_b32 v7, v7, v8, v1
.LBB272_1323:
	s_or_b64 exec, exec, s[18:19]
	v_bfe_u32 v1, v7, 16, 1
	s_movk_i32 s16, 0x7fff
	v_add3_u32 v1, v7, v1, s16
	v_cmp_o_f32_e32 vcc, v7, v7
	v_mov_b32_e32 v7, 0x7fc0
	s_nop 0
	v_cndmask_b32_sdwa v7, v7, v1, vcc dst_sel:DWORD dst_unused:UNUSED_PAD src0_sel:DWORD src1_sel:WORD_1
.LBB272_1324:
	s_mov_b64 s[16:17], -1
.LBB272_1325:
	s_mov_b64 s[18:19], 0
.LBB272_1326:
	s_and_b64 vcc, exec, s[18:19]
	s_cbranch_vccz .LBB272_1359
; %bb.1327:
	s_cmp_gt_i32 s22, 22
	s_cbranch_scc0 .LBB272_1337
; %bb.1328:
	s_cmp_lt_i32 s22, 24
	s_cbranch_scc1 .LBB272_1340
; %bb.1329:
	s_cmp_gt_i32 s22, 24
	s_cbranch_scc0 .LBB272_1341
; %bb.1330:
	global_load_ubyte v1, v[2:3], off
	s_movk_i32 s10, 0x7f
	s_waitcnt vmcnt(0)
	v_cmp_lt_i16_e32 vcc, s10, v1
	s_mov_b64 s[10:11], 0
	s_and_saveexec_b64 s[16:17], vcc
	s_xor_b64 s[16:17], exec, s[16:17]
	s_cbranch_execz .LBB272_1353
; %bb.1331:
	s_movk_i32 s10, 0x80
	v_cmp_eq_u16_e32 vcc, s10, v1
	s_mov_b64 s[10:11], -1
	s_and_saveexec_b64 s[18:19], vcc
; %bb.1332:
	s_xor_b64 s[10:11], exec, -1
; %bb.1333:
	s_or_b64 exec, exec, s[18:19]
	s_and_b64 s[10:11], s[10:11], exec
	s_or_saveexec_b64 s[16:17], s[16:17]
	v_mov_b32_e32 v7, 0x7f800001
	s_xor_b64 exec, exec, s[16:17]
	s_cbranch_execnz .LBB272_1354
.LBB272_1334:
	s_or_b64 exec, exec, s[16:17]
	s_and_saveexec_b64 s[16:17], s[10:11]
	s_cbranch_execz .LBB272_1336
.LBB272_1335:
	v_lshlrev_b32_e32 v7, 24, v1
	v_and_b32_e32 v1, 0xffff, v1
	v_and_b32_e32 v8, 3, v1
	v_ffbh_u32_e32 v10, v8
	v_min_u32_e32 v10, 32, v10
	v_subrev_u32_e32 v11, 29, v10
	v_bfe_u32 v9, v1, 2, 5
	v_lshlrev_b32_e32 v1, v11, v1
	v_sub_u32_e32 v10, 30, v10
	v_and_b32_e32 v1, 3, v1
	v_cmp_eq_u32_e32 vcc, 0, v9
	v_and_b32_e32 v7, 0x80000000, v7
	s_nop 0
	v_cndmask_b32_e32 v9, v9, v10, vcc
	v_cndmask_b32_e32 v1, v8, v1, vcc
	v_mov_b32_e32 v8, 0x37800000
	v_lshlrev_b32_e32 v1, 21, v1
	v_lshl_add_u32 v8, v9, 23, v8
	v_or3_b32 v7, v7, v8, v1
.LBB272_1336:
	s_or_b64 exec, exec, s[16:17]
	v_bfe_u32 v1, v7, 16, 1
	s_movk_i32 s10, 0x7fff
	v_add3_u32 v1, v7, v1, s10
	v_cmp_o_f32_e32 vcc, v7, v7
	v_mov_b32_e32 v7, 0x7fc0
	s_mov_b64 s[10:11], 0
	v_cndmask_b32_sdwa v7, v7, v1, vcc dst_sel:DWORD dst_unused:UNUSED_PAD src0_sel:DWORD src1_sel:WORD_1
	s_branch .LBB272_1342
.LBB272_1337:
	s_mov_b64 s[10:11], -1
                                        ; implicit-def: $vgpr7
	s_branch .LBB272_1348
.LBB272_1338:
	s_or_saveexec_b64 s[18:19], s[18:19]
	v_mov_b32_e32 v7, 0x7f800001
	s_xor_b64 exec, exec, s[18:19]
	s_cbranch_execz .LBB272_1321
.LBB272_1339:
	v_cmp_ne_u16_e32 vcc, 0, v1
	s_andn2_b64 s[16:17], s[16:17], exec
	s_and_b64 s[20:21], vcc, exec
	v_mov_b32_e32 v7, 0
	s_or_b64 s[16:17], s[16:17], s[20:21]
	s_or_b64 exec, exec, s[18:19]
	s_and_saveexec_b64 s[18:19], s[16:17]
	s_cbranch_execnz .LBB272_1322
	s_branch .LBB272_1323
.LBB272_1340:
	s_mov_b64 s[10:11], -1
                                        ; implicit-def: $vgpr7
	s_branch .LBB272_1345
.LBB272_1341:
	s_mov_b64 s[10:11], -1
                                        ; implicit-def: $vgpr7
.LBB272_1342:
	s_and_b64 vcc, exec, s[10:11]
	s_cbranch_vccz .LBB272_1344
; %bb.1343:
	global_load_ubyte v1, v[2:3], off
	s_mov_b32 s10, 0x7f800000
	s_brev_b32 s11, 1
	s_movk_i32 s16, 0x7fff
	s_waitcnt vmcnt(0)
	v_lshlrev_b32_e32 v1, 24, v1
	v_and_b32_e32 v7, 0x7f000000, v1
	v_ffbh_u32_e32 v8, v7
	v_min_u32_e32 v8, 32, v8
	v_sub_u32_e64 v8, v8, 4 clamp
	v_lshlrev_b32_e32 v10, v8, v7
	v_lshlrev_b32_e32 v8, 23, v8
	v_lshrrev_b32_e32 v10, 4, v10
	v_add_u32_e32 v9, 0x1000000, v7
	v_sub_u32_e32 v8, v10, v8
	v_ashrrev_i32_e32 v9, 8, v9
	v_add_u32_e32 v8, 0x3c000000, v8
	v_and_or_b32 v8, v9, s10, v8
	v_cmp_ne_u32_e32 vcc, 0, v7
	s_nop 1
	v_cndmask_b32_e32 v7, 0, v8, vcc
	v_and_or_b32 v1, v1, s11, v7
	v_bfe_u32 v7, v7, 16, 1
	v_add3_u32 v7, v1, v7, s16
	v_cmp_o_f32_e32 vcc, v1, v1
	v_mov_b32_e32 v1, 0x7fc0
	s_nop 0
	v_cndmask_b32_sdwa v7, v1, v7, vcc dst_sel:DWORD dst_unused:UNUSED_PAD src0_sel:DWORD src1_sel:WORD_1
.LBB272_1344:
	s_mov_b64 s[10:11], 0
.LBB272_1345:
	s_andn2_b64 vcc, exec, s[10:11]
	s_cbranch_vccnz .LBB272_1347
; %bb.1346:
	global_load_ubyte v1, v[2:3], off
	s_movk_i32 s10, 0x7f00
	s_brev_b32 s11, 16
	s_brev_b32 s16, 1
	s_movk_i32 s17, 0x7fff
	s_waitcnt vmcnt(0)
	v_lshlrev_b16_e32 v7, 8, v1
	v_lshlrev_b32_e32 v1, 25, v1
	v_lshrrev_b32_e32 v8, 4, v1
	v_and_or_b32 v9, v7, s10, 0.5
	v_or_b32_e32 v8, 0x70000000, v8
	v_add_f32_e32 v9, -0.5, v9
	v_mul_f32_e32 v8, 0x7800000, v8
	v_cmp_gt_u32_e32 vcc, s11, v1
	v_bfe_i32 v7, v7, 0, 16
	s_nop 0
	v_cndmask_b32_e32 v1, v8, v9, vcc
	v_and_or_b32 v7, v7, s16, v1
	v_bfe_u32 v1, v1, 16, 1
	v_add3_u32 v1, v7, v1, s17
	v_cmp_o_f32_e32 vcc, v7, v7
	v_mov_b32_e32 v7, 0x7fc0
	s_nop 0
	v_cndmask_b32_sdwa v7, v7, v1, vcc dst_sel:DWORD dst_unused:UNUSED_PAD src0_sel:DWORD src1_sel:WORD_1
.LBB272_1347:
	s_mov_b64 s[10:11], 0
	s_mov_b64 s[16:17], -1
.LBB272_1348:
	s_andn2_b64 vcc, exec, s[10:11]
	s_mov_b64 s[10:11], 0
	s_cbranch_vccnz .LBB272_1359
; %bb.1349:
	s_cmp_gt_i32 s22, 14
	s_cbranch_scc0 .LBB272_1352
; %bb.1350:
	s_cmp_eq_u32 s22, 15
	s_cbranch_scc0 .LBB272_1355
; %bb.1351:
	global_load_ushort v7, v[2:3], off
	s_mov_b64 s[0:1], 0
	s_mov_b64 s[16:17], -1
	s_branch .LBB272_1356
.LBB272_1352:
	s_mov_b64 s[18:19], -1
                                        ; implicit-def: $vgpr7
	s_branch .LBB272_1357
.LBB272_1353:
	s_or_saveexec_b64 s[16:17], s[16:17]
	v_mov_b32_e32 v7, 0x7f800001
	s_xor_b64 exec, exec, s[16:17]
	s_cbranch_execz .LBB272_1334
.LBB272_1354:
	v_cmp_ne_u16_e32 vcc, 0, v1
	s_andn2_b64 s[10:11], s[10:11], exec
	s_and_b64 s[18:19], vcc, exec
	v_mov_b32_e32 v7, 0
	s_or_b64 s[10:11], s[10:11], s[18:19]
	s_or_b64 exec, exec, s[16:17]
	s_and_saveexec_b64 s[16:17], s[10:11]
	s_cbranch_execnz .LBB272_1335
	s_branch .LBB272_1336
.LBB272_1355:
	s_mov_b64 s[0:1], -1
                                        ; implicit-def: $vgpr7
.LBB272_1356:
	s_mov_b64 s[18:19], 0
.LBB272_1357:
	s_and_b64 vcc, exec, s[18:19]
	s_cbranch_vccz .LBB272_1359
; %bb.1358:
	s_cmp_lg_u32 s22, 11
	s_mov_b64 s[10:11], -1
	s_cselect_b64 s[0:1], -1, 0
.LBB272_1359:
	s_and_b64 vcc, exec, s[0:1]
	s_cbranch_vccnz .LBB272_1422
; %bb.1360:
	s_andn2_b64 vcc, exec, s[10:11]
	s_cbranch_vccnz .LBB272_1362
.LBB272_1361:
	global_load_ubyte v1, v[2:3], off
	s_mov_b64 s[16:17], -1
	s_waitcnt vmcnt(0)
	v_cmp_ne_u16_e32 vcc, 0, v1
	s_nop 1
	v_cndmask_b32_e64 v1, 0, 1.0, vcc
	v_lshrrev_b32_e32 v7, 16, v1
.LBB272_1362:
	s_branch .LBB272_1290
.LBB272_1363:
	s_cmp_lt_i32 s22, 5
	s_cbranch_scc1 .LBB272_1368
; %bb.1364:
	s_cmp_lt_i32 s22, 8
	s_cbranch_scc1 .LBB272_1369
; %bb.1365:
	;; [unrolled: 3-line block ×3, first 2 shown]
	s_cmp_gt_i32 s22, 9
	s_cbranch_scc0 .LBB272_1371
; %bb.1367:
	global_load_dwordx2 v[8:9], v[2:3], off
	s_movk_i32 s0, 0x7fff
	v_mov_b32_e32 v1, 0x7fc0
	s_waitcnt vmcnt(0)
	v_cvt_f32_f64_e32 v7, v[8:9]
	v_bfe_u32 v8, v7, 16, 1
	v_cmp_o_f32_e32 vcc, v7, v7
	v_add3_u32 v7, v7, v8, s0
	s_mov_b64 s[0:1], 0
	v_cndmask_b32_sdwa v7, v1, v7, vcc dst_sel:DWORD dst_unused:UNUSED_PAD src0_sel:DWORD src1_sel:WORD_1
	s_branch .LBB272_1372
.LBB272_1368:
	s_mov_b64 s[0:1], -1
                                        ; implicit-def: $vgpr7
	s_branch .LBB272_1390
.LBB272_1369:
	s_mov_b64 s[0:1], -1
                                        ; implicit-def: $vgpr7
	s_branch .LBB272_1378
.LBB272_1370:
	s_mov_b64 s[0:1], -1
                                        ; implicit-def: $vgpr7
	s_branch .LBB272_1375
.LBB272_1371:
	s_mov_b64 s[0:1], -1
                                        ; implicit-def: $vgpr7
.LBB272_1372:
	s_andn2_b64 vcc, exec, s[0:1]
	s_cbranch_vccnz .LBB272_1374
; %bb.1373:
	global_load_dword v1, v[2:3], off
	s_movk_i32 s0, 0x7fff
	s_waitcnt vmcnt(1)
	v_mov_b32_e32 v7, 0x7fc0
	s_waitcnt vmcnt(0)
	v_bfe_u32 v8, v1, 16, 1
	v_cmp_o_f32_e32 vcc, v1, v1
	v_add3_u32 v1, v1, v8, s0
	s_nop 0
	v_cndmask_b32_sdwa v7, v7, v1, vcc dst_sel:DWORD dst_unused:UNUSED_PAD src0_sel:DWORD src1_sel:WORD_1
.LBB272_1374:
	s_mov_b64 s[0:1], 0
.LBB272_1375:
	s_andn2_b64 vcc, exec, s[0:1]
	s_cbranch_vccnz .LBB272_1377
; %bb.1376:
	global_load_dword v1, v[2:3], off
	s_movk_i32 s0, 0x7fff
	v_mov_b32_e32 v8, 0x7fc0
	s_waitcnt vmcnt(0)
	v_cvt_f32_f16_e32 v7, v1
	v_cmp_o_f16_e32 vcc, v1, v1
	v_bfe_u32 v1, v7, 16, 1
	v_add3_u32 v1, v7, v1, s0
	v_cndmask_b32_sdwa v7, v8, v1, vcc dst_sel:DWORD dst_unused:UNUSED_PAD src0_sel:DWORD src1_sel:WORD_1
.LBB272_1377:
	s_mov_b64 s[0:1], 0
.LBB272_1378:
	s_andn2_b64 vcc, exec, s[0:1]
	s_cbranch_vccnz .LBB272_1389
; %bb.1379:
	s_cmp_lt_i32 s22, 6
	s_cbranch_scc1 .LBB272_1382
; %bb.1380:
	s_cmp_gt_i32 s22, 6
	s_cbranch_scc0 .LBB272_1383
; %bb.1381:
	global_load_dwordx2 v[8:9], v[2:3], off
	s_movk_i32 s0, 0x7fff
	v_mov_b32_e32 v1, 0x7fc0
	s_waitcnt vmcnt(0)
	v_cvt_f32_f64_e32 v7, v[8:9]
	v_bfe_u32 v8, v7, 16, 1
	v_cmp_o_f32_e32 vcc, v7, v7
	v_add3_u32 v7, v7, v8, s0
	s_mov_b64 s[0:1], 0
	v_cndmask_b32_sdwa v7, v1, v7, vcc dst_sel:DWORD dst_unused:UNUSED_PAD src0_sel:DWORD src1_sel:WORD_1
	s_branch .LBB272_1384
.LBB272_1382:
	s_mov_b64 s[0:1], -1
                                        ; implicit-def: $vgpr7
	s_branch .LBB272_1387
.LBB272_1383:
	s_mov_b64 s[0:1], -1
                                        ; implicit-def: $vgpr7
.LBB272_1384:
	s_andn2_b64 vcc, exec, s[0:1]
	s_cbranch_vccnz .LBB272_1386
; %bb.1385:
	global_load_dword v1, v[2:3], off
	s_movk_i32 s0, 0x7fff
	s_waitcnt vmcnt(1)
	v_mov_b32_e32 v7, 0x7fc0
	s_waitcnt vmcnt(0)
	v_bfe_u32 v8, v1, 16, 1
	v_cmp_o_f32_e32 vcc, v1, v1
	v_add3_u32 v1, v1, v8, s0
	s_nop 0
	v_cndmask_b32_sdwa v7, v7, v1, vcc dst_sel:DWORD dst_unused:UNUSED_PAD src0_sel:DWORD src1_sel:WORD_1
.LBB272_1386:
	s_mov_b64 s[0:1], 0
.LBB272_1387:
	s_andn2_b64 vcc, exec, s[0:1]
	s_cbranch_vccnz .LBB272_1389
; %bb.1388:
	global_load_ushort v1, v[2:3], off
	s_movk_i32 s0, 0x7fff
	v_mov_b32_e32 v8, 0x7fc0
	s_waitcnt vmcnt(0)
	v_cvt_f32_f16_e32 v7, v1
	v_cmp_o_f16_e32 vcc, v1, v1
	v_bfe_u32 v1, v7, 16, 1
	v_add3_u32 v1, v7, v1, s0
	v_cndmask_b32_sdwa v7, v8, v1, vcc dst_sel:DWORD dst_unused:UNUSED_PAD src0_sel:DWORD src1_sel:WORD_1
.LBB272_1389:
	s_mov_b64 s[0:1], 0
.LBB272_1390:
	s_andn2_b64 vcc, exec, s[0:1]
	s_cbranch_vccnz .LBB272_1410
; %bb.1391:
	s_cmp_lt_i32 s22, 2
	s_cbranch_scc1 .LBB272_1395
; %bb.1392:
	s_cmp_lt_i32 s22, 3
	s_cbranch_scc1 .LBB272_1396
; %bb.1393:
	s_cmp_gt_i32 s22, 3
	s_cbranch_scc0 .LBB272_1397
; %bb.1394:
	global_load_dwordx2 v[8:9], v[2:3], off
	s_movk_i32 s0, 0x7fff
	s_waitcnt vmcnt(0)
	v_xor_b32_e32 v7, v8, v9
	v_ffbh_i32_e32 v1, v9
	v_ashrrev_i32_e32 v7, 31, v7
	v_add_u32_e32 v1, -1, v1
	v_add_u32_e32 v7, 32, v7
	v_min_u32_e32 v1, v1, v7
	v_lshlrev_b64 v[8:9], v1, v[8:9]
	v_min_u32_e32 v7, 1, v8
	v_or_b32_e32 v7, v9, v7
	v_cvt_f32_i32_e32 v7, v7
	v_sub_u32_e32 v1, 32, v1
	v_ldexp_f32 v1, v7, v1
	v_bfe_u32 v7, v1, 16, 1
	v_add3_u32 v1, v1, v7, s0
	v_lshrrev_b32_e32 v7, 16, v1
	s_mov_b64 s[0:1], 0
	s_branch .LBB272_1398
.LBB272_1395:
	s_mov_b64 s[0:1], -1
                                        ; implicit-def: $vgpr7
	s_branch .LBB272_1404
.LBB272_1396:
	s_mov_b64 s[0:1], -1
                                        ; implicit-def: $vgpr7
	s_branch .LBB272_1401
.LBB272_1397:
	s_mov_b64 s[0:1], -1
                                        ; implicit-def: $vgpr7
.LBB272_1398:
	s_andn2_b64 vcc, exec, s[0:1]
	s_cbranch_vccnz .LBB272_1400
; %bb.1399:
	global_load_dword v1, v[2:3], off
	s_movk_i32 s0, 0x7fff
	s_waitcnt vmcnt(0)
	v_cvt_f32_i32_e32 v1, v1
	v_bfe_u32 v7, v1, 16, 1
	v_add3_u32 v1, v1, v7, s0
	v_lshrrev_b32_e32 v7, 16, v1
.LBB272_1400:
	s_mov_b64 s[0:1], 0
.LBB272_1401:
	s_andn2_b64 vcc, exec, s[0:1]
	s_cbranch_vccnz .LBB272_1403
; %bb.1402:
	global_load_sshort v1, v[2:3], off
	s_movk_i32 s0, 0x7fff
	s_waitcnt vmcnt(0)
	v_cvt_f32_i32_e32 v1, v1
	v_bfe_u32 v7, v1, 16, 1
	v_add3_u32 v1, v1, v7, s0
	v_lshrrev_b32_e32 v7, 16, v1
.LBB272_1403:
	s_mov_b64 s[0:1], 0
.LBB272_1404:
	s_andn2_b64 vcc, exec, s[0:1]
	s_cbranch_vccnz .LBB272_1410
; %bb.1405:
	s_cmp_gt_i32 s22, 0
	s_cbranch_scc0 .LBB272_1407
; %bb.1406:
	global_load_sbyte v1, v[2:3], off
	s_movk_i32 s0, 0x7fff
	s_waitcnt vmcnt(0)
	v_cvt_f32_i32_e32 v1, v1
	v_bfe_u32 v7, v1, 16, 1
	v_add3_u32 v1, v1, v7, s0
	v_lshrrev_b32_e32 v7, 16, v1
	s_mov_b64 s[0:1], 0
	s_branch .LBB272_1408
.LBB272_1407:
	s_mov_b64 s[0:1], -1
                                        ; implicit-def: $vgpr7
.LBB272_1408:
	s_andn2_b64 vcc, exec, s[0:1]
	s_cbranch_vccnz .LBB272_1410
; %bb.1409:
	global_load_ubyte v1, v[2:3], off
	s_movk_i32 s0, 0x7fff
	s_waitcnt vmcnt(0)
	v_cvt_f32_ubyte0_e32 v1, v1
	v_bfe_u32 v2, v1, 16, 1
	v_add3_u32 v1, v1, v2, s0
	v_lshrrev_b32_e32 v7, 16, v1
.LBB272_1410:
.LBB272_1411:
	v_add_u32_e32 v0, s9, v0
	v_ashrrev_i32_e32 v1, 31, v0
	s_cmp_lt_i32 s22, 11
	v_lshl_add_u64 v[0:1], s[6:7], 0, v[0:1]
	s_cbranch_scc1 .LBB272_1418
; %bb.1412:
	s_cmp_gt_i32 s22, 25
	s_mov_b64 s[6:7], 0
	s_cbranch_scc0 .LBB272_1419
; %bb.1413:
	s_cmp_gt_i32 s22, 28
	s_cbranch_scc0 .LBB272_1420
; %bb.1414:
	s_cmp_gt_i32 s22, 43
	;; [unrolled: 3-line block ×3, first 2 shown]
	s_cbranch_scc0 .LBB272_1423
; %bb.1416:
	s_cmp_eq_u32 s22, 46
	s_mov_b64 s[16:17], 0
	s_cbranch_scc0 .LBB272_1424
; %bb.1417:
	global_load_dword v8, v[0:1], off
	s_mov_b64 s[0:1], 0
	s_mov_b64 s[10:11], -1
	s_branch .LBB272_1425
.LBB272_1418:
	s_mov_b64 s[0:1], -1
	s_mov_b64 s[10:11], 0
                                        ; implicit-def: $vgpr8
	s_branch .LBB272_1491
.LBB272_1419:
	s_mov_b64 s[16:17], -1
	s_mov_b64 s[10:11], 0
	s_mov_b64 s[0:1], 0
                                        ; implicit-def: $vgpr8
	s_branch .LBB272_1454
.LBB272_1420:
	s_mov_b64 s[16:17], -1
	s_mov_b64 s[10:11], 0
	s_mov_b64 s[0:1], 0
                                        ; implicit-def: $vgpr8
	s_branch .LBB272_1435
.LBB272_1421:
	s_mov_b64 s[16:17], -1
	s_mov_b64 s[10:11], 0
	s_mov_b64 s[0:1], 0
                                        ; implicit-def: $vgpr8
	s_branch .LBB272_1430
.LBB272_1422:
	s_trap 2
	s_or_b64 s[14:15], s[14:15], exec
	s_cbranch_execz .LBB272_1361
	s_branch .LBB272_1362
.LBB272_1423:
	s_mov_b64 s[16:17], -1
	s_mov_b64 s[10:11], 0
	s_mov_b64 s[0:1], 0
                                        ; implicit-def: $vgpr8
	s_branch .LBB272_1425
.LBB272_1424:
	s_mov_b64 s[0:1], -1
                                        ; implicit-def: $vgpr8
	s_mov_b64 s[10:11], 0
.LBB272_1425:
	s_and_b64 vcc, exec, s[16:17]
	s_cbranch_vccz .LBB272_1429
; %bb.1426:
	s_cmp_eq_u32 s22, 44
	s_cbranch_scc0 .LBB272_1428
; %bb.1427:
	global_load_ubyte v2, v[0:1], off
	s_movk_i32 s9, 0xff
	v_mov_b32_e32 v3, 0x7f800001
	s_waitcnt vmcnt(1)
	v_mov_b32_e32 v8, 0x400000
	v_mov_b32_e32 v9, 0x7fc0
	s_mov_b64 s[0:1], 0
	s_mov_b64 s[10:11], -1
	s_waitcnt vmcnt(0)
	v_lshlrev_b32_e32 v10, 23, v2
	v_cmp_ne_u32_e32 vcc, s9, v2
	s_nop 1
	v_cndmask_b32_e32 v3, v3, v10, vcc
	v_cmp_ne_u32_e32 vcc, 0, v2
	s_nop 1
	v_cndmask_b32_e32 v2, v8, v3, vcc
	v_add_u32_e32 v3, 0x7fff, v2
	v_cmp_o_f32_e32 vcc, v2, v2
	s_nop 1
	v_cndmask_b32_sdwa v8, v9, v3, vcc dst_sel:DWORD dst_unused:UNUSED_PAD src0_sel:DWORD src1_sel:WORD_1
	s_branch .LBB272_1429
.LBB272_1428:
	s_mov_b64 s[0:1], -1
                                        ; implicit-def: $vgpr8
.LBB272_1429:
	s_mov_b64 s[16:17], 0
.LBB272_1430:
	s_and_b64 vcc, exec, s[16:17]
	s_cbranch_vccz .LBB272_1434
; %bb.1431:
	s_cmp_eq_u32 s22, 29
	s_cbranch_scc0 .LBB272_1433
; %bb.1432:
	global_load_dwordx2 v[2:3], v[0:1], off
	s_movk_i32 s9, 0x7fff
	s_mov_b64 s[0:1], 0
	s_mov_b64 s[10:11], -1
	s_mov_b64 s[16:17], 0
	s_waitcnt vmcnt(0)
	v_ffbh_u32_e32 v8, v3
	v_min_u32_e32 v8, 32, v8
	v_lshlrev_b64 v[2:3], v8, v[2:3]
	v_min_u32_e32 v2, 1, v2
	v_or_b32_e32 v2, v3, v2
	v_cvt_f32_u32_e32 v2, v2
	v_sub_u32_e32 v3, 32, v8
	v_ldexp_f32 v2, v2, v3
	v_bfe_u32 v3, v2, 16, 1
	v_add3_u32 v2, v2, v3, s9
	v_lshrrev_b32_e32 v8, 16, v2
	s_branch .LBB272_1435
.LBB272_1433:
	s_mov_b64 s[0:1], -1
                                        ; implicit-def: $vgpr8
.LBB272_1434:
	s_mov_b64 s[16:17], 0
.LBB272_1435:
	s_and_b64 vcc, exec, s[16:17]
	s_cbranch_vccz .LBB272_1453
; %bb.1436:
	s_cmp_lt_i32 s22, 27
	s_cbranch_scc1 .LBB272_1439
; %bb.1437:
	s_cmp_gt_i32 s22, 27
	s_cbranch_scc0 .LBB272_1440
; %bb.1438:
	global_load_dword v2, v[0:1], off
	s_movk_i32 s9, 0x7fff
	s_mov_b64 s[10:11], 0
	s_waitcnt vmcnt(0)
	v_cvt_f32_u32_e32 v2, v2
	v_bfe_u32 v3, v2, 16, 1
	v_add3_u32 v2, v2, v3, s9
	v_lshrrev_b32_e32 v8, 16, v2
	s_branch .LBB272_1441
.LBB272_1439:
	s_mov_b64 s[10:11], -1
                                        ; implicit-def: $vgpr8
	s_branch .LBB272_1444
.LBB272_1440:
	s_mov_b64 s[10:11], -1
                                        ; implicit-def: $vgpr8
.LBB272_1441:
	s_andn2_b64 vcc, exec, s[10:11]
	s_cbranch_vccnz .LBB272_1443
; %bb.1442:
	global_load_ushort v2, v[0:1], off
	s_movk_i32 s9, 0x7fff
	s_waitcnt vmcnt(0)
	v_cvt_f32_u32_e32 v2, v2
	v_bfe_u32 v3, v2, 16, 1
	v_add3_u32 v2, v2, v3, s9
	v_lshrrev_b32_e32 v8, 16, v2
.LBB272_1443:
	s_mov_b64 s[10:11], 0
.LBB272_1444:
	s_andn2_b64 vcc, exec, s[10:11]
	s_cbranch_vccnz .LBB272_1452
; %bb.1445:
	global_load_ubyte v2, v[0:1], off
	s_movk_i32 s9, 0x7f
	s_mov_b64 s[10:11], 0
	s_waitcnt vmcnt(0)
	v_cmp_lt_i16_e32 vcc, s9, v2
	s_and_saveexec_b64 s[16:17], vcc
	s_xor_b64 s[16:17], exec, s[16:17]
	s_cbranch_execz .LBB272_1466
; %bb.1446:
	s_movk_i32 s9, 0x80
	v_cmp_eq_u16_e32 vcc, s9, v2
	s_mov_b64 s[10:11], -1
	s_and_saveexec_b64 s[18:19], vcc
; %bb.1447:
	s_xor_b64 s[10:11], exec, -1
; %bb.1448:
	s_or_b64 exec, exec, s[18:19]
	s_and_b64 s[10:11], s[10:11], exec
	s_or_saveexec_b64 s[16:17], s[16:17]
	v_mov_b32_e32 v3, 0x7f800001
	s_xor_b64 exec, exec, s[16:17]
	s_cbranch_execnz .LBB272_1467
.LBB272_1449:
	s_or_b64 exec, exec, s[16:17]
	s_and_saveexec_b64 s[16:17], s[10:11]
	s_cbranch_execz .LBB272_1451
.LBB272_1450:
	v_lshlrev_b32_e32 v3, 24, v2
	v_and_b32_e32 v2, 0xffff, v2
	v_and_b32_e32 v8, 7, v2
	v_ffbh_u32_e32 v10, v8
	v_min_u32_e32 v10, 32, v10
	v_subrev_u32_e32 v11, 28, v10
	v_bfe_u32 v9, v2, 3, 4
	v_lshlrev_b32_e32 v2, v11, v2
	v_sub_u32_e32 v10, 29, v10
	v_and_b32_e32 v2, 7, v2
	v_cmp_eq_u32_e32 vcc, 0, v9
	v_and_b32_e32 v3, 0x80000000, v3
	s_nop 0
	v_cndmask_b32_e32 v9, v9, v10, vcc
	v_cndmask_b32_e32 v2, v8, v2, vcc
	v_mov_b32_e32 v8, 0x3b800000
	v_lshlrev_b32_e32 v2, 20, v2
	v_lshl_add_u32 v8, v9, 23, v8
	v_or3_b32 v3, v3, v8, v2
.LBB272_1451:
	s_or_b64 exec, exec, s[16:17]
	v_bfe_u32 v2, v3, 16, 1
	s_movk_i32 s9, 0x7fff
	v_add3_u32 v2, v3, v2, s9
	v_cmp_o_f32_e32 vcc, v3, v3
	v_mov_b32_e32 v3, 0x7fc0
	s_nop 0
	v_cndmask_b32_sdwa v8, v3, v2, vcc dst_sel:DWORD dst_unused:UNUSED_PAD src0_sel:DWORD src1_sel:WORD_1
.LBB272_1452:
	s_mov_b64 s[10:11], -1
.LBB272_1453:
	s_mov_b64 s[16:17], 0
.LBB272_1454:
	s_and_b64 vcc, exec, s[16:17]
	s_cbranch_vccz .LBB272_1487
; %bb.1455:
	s_cmp_gt_i32 s22, 22
	s_cbranch_scc0 .LBB272_1465
; %bb.1456:
	s_cmp_lt_i32 s22, 24
	s_cbranch_scc1 .LBB272_1468
; %bb.1457:
	s_cmp_gt_i32 s22, 24
	s_cbranch_scc0 .LBB272_1469
; %bb.1458:
	global_load_ubyte v2, v[0:1], off
	s_movk_i32 s6, 0x7f
	s_waitcnt vmcnt(0)
	v_cmp_lt_i16_e32 vcc, s6, v2
	s_mov_b64 s[6:7], 0
	s_and_saveexec_b64 s[10:11], vcc
	s_xor_b64 s[10:11], exec, s[10:11]
	s_cbranch_execz .LBB272_1481
; %bb.1459:
	s_movk_i32 s6, 0x80
	v_cmp_eq_u16_e32 vcc, s6, v2
	s_mov_b64 s[6:7], -1
	s_and_saveexec_b64 s[16:17], vcc
; %bb.1460:
	s_xor_b64 s[6:7], exec, -1
; %bb.1461:
	s_or_b64 exec, exec, s[16:17]
	s_and_b64 s[6:7], s[6:7], exec
	s_or_saveexec_b64 s[10:11], s[10:11]
	v_mov_b32_e32 v3, 0x7f800001
	s_xor_b64 exec, exec, s[10:11]
	s_cbranch_execnz .LBB272_1482
.LBB272_1462:
	s_or_b64 exec, exec, s[10:11]
	s_and_saveexec_b64 s[10:11], s[6:7]
	s_cbranch_execz .LBB272_1464
.LBB272_1463:
	v_lshlrev_b32_e32 v3, 24, v2
	v_and_b32_e32 v2, 0xffff, v2
	v_and_b32_e32 v8, 3, v2
	v_ffbh_u32_e32 v10, v8
	v_min_u32_e32 v10, 32, v10
	v_subrev_u32_e32 v11, 29, v10
	v_bfe_u32 v9, v2, 2, 5
	v_lshlrev_b32_e32 v2, v11, v2
	v_sub_u32_e32 v10, 30, v10
	v_and_b32_e32 v2, 3, v2
	v_cmp_eq_u32_e32 vcc, 0, v9
	v_and_b32_e32 v3, 0x80000000, v3
	s_nop 0
	v_cndmask_b32_e32 v9, v9, v10, vcc
	v_cndmask_b32_e32 v2, v8, v2, vcc
	v_mov_b32_e32 v8, 0x37800000
	v_lshlrev_b32_e32 v2, 21, v2
	v_lshl_add_u32 v8, v9, 23, v8
	v_or3_b32 v3, v3, v8, v2
.LBB272_1464:
	s_or_b64 exec, exec, s[10:11]
	v_bfe_u32 v2, v3, 16, 1
	s_movk_i32 s6, 0x7fff
	v_add3_u32 v2, v3, v2, s6
	v_cmp_o_f32_e32 vcc, v3, v3
	v_mov_b32_e32 v3, 0x7fc0
	s_mov_b64 s[6:7], 0
	v_cndmask_b32_sdwa v8, v3, v2, vcc dst_sel:DWORD dst_unused:UNUSED_PAD src0_sel:DWORD src1_sel:WORD_1
	s_branch .LBB272_1470
.LBB272_1465:
	s_mov_b64 s[6:7], -1
                                        ; implicit-def: $vgpr8
	s_branch .LBB272_1476
.LBB272_1466:
	s_or_saveexec_b64 s[16:17], s[16:17]
	v_mov_b32_e32 v3, 0x7f800001
	s_xor_b64 exec, exec, s[16:17]
	s_cbranch_execz .LBB272_1449
.LBB272_1467:
	v_cmp_ne_u16_e32 vcc, 0, v2
	s_andn2_b64 s[10:11], s[10:11], exec
	s_and_b64 s[18:19], vcc, exec
	v_mov_b32_e32 v3, 0
	s_or_b64 s[10:11], s[10:11], s[18:19]
	s_or_b64 exec, exec, s[16:17]
	s_and_saveexec_b64 s[16:17], s[10:11]
	s_cbranch_execnz .LBB272_1450
	s_branch .LBB272_1451
.LBB272_1468:
	s_mov_b64 s[6:7], -1
                                        ; implicit-def: $vgpr8
	s_branch .LBB272_1473
.LBB272_1469:
	s_mov_b64 s[6:7], -1
                                        ; implicit-def: $vgpr8
.LBB272_1470:
	s_and_b64 vcc, exec, s[6:7]
	s_cbranch_vccz .LBB272_1472
; %bb.1471:
	global_load_ubyte v2, v[0:1], off
	s_mov_b32 s6, 0x7f800000
	s_brev_b32 s7, 1
	s_movk_i32 s9, 0x7fff
	s_waitcnt vmcnt(0)
	v_lshlrev_b32_e32 v2, 24, v2
	v_and_b32_e32 v3, 0x7f000000, v2
	v_ffbh_u32_e32 v8, v3
	v_min_u32_e32 v8, 32, v8
	v_sub_u32_e64 v8, v8, 4 clamp
	v_lshlrev_b32_e32 v10, v8, v3
	v_lshlrev_b32_e32 v8, 23, v8
	v_lshrrev_b32_e32 v10, 4, v10
	v_add_u32_e32 v9, 0x1000000, v3
	v_sub_u32_e32 v8, v10, v8
	v_ashrrev_i32_e32 v9, 8, v9
	v_add_u32_e32 v8, 0x3c000000, v8
	v_and_or_b32 v8, v9, s6, v8
	v_cmp_ne_u32_e32 vcc, 0, v3
	s_nop 1
	v_cndmask_b32_e32 v3, 0, v8, vcc
	v_and_or_b32 v2, v2, s7, v3
	v_bfe_u32 v3, v3, 16, 1
	v_add3_u32 v3, v2, v3, s9
	v_cmp_o_f32_e32 vcc, v2, v2
	v_mov_b32_e32 v2, 0x7fc0
	s_nop 0
	v_cndmask_b32_sdwa v8, v2, v3, vcc dst_sel:DWORD dst_unused:UNUSED_PAD src0_sel:DWORD src1_sel:WORD_1
.LBB272_1472:
	s_mov_b64 s[6:7], 0
.LBB272_1473:
	s_andn2_b64 vcc, exec, s[6:7]
	s_cbranch_vccnz .LBB272_1475
; %bb.1474:
	global_load_ubyte v2, v[0:1], off
	s_movk_i32 s6, 0x7f00
	s_brev_b32 s7, 16
	s_brev_b32 s9, 1
	s_movk_i32 s10, 0x7fff
	s_waitcnt vmcnt(0)
	v_lshlrev_b16_e32 v3, 8, v2
	v_lshlrev_b32_e32 v2, 25, v2
	v_lshrrev_b32_e32 v8, 4, v2
	v_and_or_b32 v9, v3, s6, 0.5
	v_or_b32_e32 v8, 0x70000000, v8
	v_add_f32_e32 v9, -0.5, v9
	v_mul_f32_e32 v8, 0x7800000, v8
	v_cmp_gt_u32_e32 vcc, s7, v2
	v_bfe_i32 v3, v3, 0, 16
	s_nop 0
	v_cndmask_b32_e32 v2, v8, v9, vcc
	v_and_or_b32 v3, v3, s9, v2
	v_bfe_u32 v2, v2, 16, 1
	v_add3_u32 v2, v3, v2, s10
	v_cmp_o_f32_e32 vcc, v3, v3
	v_mov_b32_e32 v3, 0x7fc0
	s_nop 0
	v_cndmask_b32_sdwa v8, v3, v2, vcc dst_sel:DWORD dst_unused:UNUSED_PAD src0_sel:DWORD src1_sel:WORD_1
.LBB272_1475:
	s_mov_b64 s[6:7], 0
	s_mov_b64 s[10:11], -1
.LBB272_1476:
	s_andn2_b64 vcc, exec, s[6:7]
	s_mov_b64 s[6:7], 0
	s_cbranch_vccnz .LBB272_1487
; %bb.1477:
	s_cmp_gt_i32 s22, 14
	s_cbranch_scc0 .LBB272_1480
; %bb.1478:
	s_cmp_eq_u32 s22, 15
	s_cbranch_scc0 .LBB272_1483
; %bb.1479:
	global_load_ushort v8, v[0:1], off
	s_mov_b64 s[0:1], 0
	s_mov_b64 s[10:11], -1
	s_branch .LBB272_1484
.LBB272_1480:
	s_mov_b64 s[16:17], -1
                                        ; implicit-def: $vgpr8
	s_branch .LBB272_1485
.LBB272_1481:
	s_or_saveexec_b64 s[10:11], s[10:11]
	v_mov_b32_e32 v3, 0x7f800001
	s_xor_b64 exec, exec, s[10:11]
	s_cbranch_execz .LBB272_1462
.LBB272_1482:
	v_cmp_ne_u16_e32 vcc, 0, v2
	s_andn2_b64 s[6:7], s[6:7], exec
	s_and_b64 s[16:17], vcc, exec
	v_mov_b32_e32 v3, 0
	s_or_b64 s[6:7], s[6:7], s[16:17]
	s_or_b64 exec, exec, s[10:11]
	s_and_saveexec_b64 s[10:11], s[6:7]
	s_cbranch_execnz .LBB272_1463
	s_branch .LBB272_1464
.LBB272_1483:
	s_mov_b64 s[0:1], -1
                                        ; implicit-def: $vgpr8
.LBB272_1484:
	s_mov_b64 s[16:17], 0
.LBB272_1485:
	s_and_b64 vcc, exec, s[16:17]
	s_cbranch_vccz .LBB272_1487
; %bb.1486:
	s_cmp_lg_u32 s22, 11
	s_mov_b64 s[6:7], -1
	s_cselect_b64 s[0:1], -1, 0
.LBB272_1487:
	s_and_b64 vcc, exec, s[0:1]
	s_cbranch_vccnz .LBB272_2020
; %bb.1488:
	s_andn2_b64 vcc, exec, s[6:7]
	s_cbranch_vccnz .LBB272_1490
.LBB272_1489:
	global_load_ubyte v2, v[0:1], off
	s_mov_b64 s[10:11], -1
	s_waitcnt vmcnt(0)
	v_cmp_ne_u16_e32 vcc, 0, v2
	s_nop 1
	v_cndmask_b32_e64 v2, 0, 1.0, vcc
	v_lshrrev_b32_e32 v8, 16, v2
.LBB272_1490:
	s_mov_b64 s[0:1], 0
.LBB272_1491:
	s_and_b64 vcc, exec, s[0:1]
	s_cbranch_vccz .LBB272_1540
; %bb.1492:
	s_cmp_lt_i32 s22, 5
	s_cbranch_scc1 .LBB272_1497
; %bb.1493:
	s_cmp_lt_i32 s22, 8
	s_cbranch_scc1 .LBB272_1498
	;; [unrolled: 3-line block ×3, first 2 shown]
; %bb.1495:
	s_cmp_gt_i32 s22, 9
	s_cbranch_scc0 .LBB272_1500
; %bb.1496:
	global_load_dwordx2 v[2:3], v[0:1], off
	s_movk_i32 s0, 0x7fff
	s_waitcnt vmcnt(1)
	v_mov_b32_e32 v8, 0x7fc0
	s_waitcnt vmcnt(0)
	v_cvt_f32_f64_e32 v2, v[2:3]
	v_bfe_u32 v3, v2, 16, 1
	v_cmp_o_f32_e32 vcc, v2, v2
	v_add3_u32 v2, v2, v3, s0
	s_mov_b64 s[0:1], 0
	v_cndmask_b32_sdwa v8, v8, v2, vcc dst_sel:DWORD dst_unused:UNUSED_PAD src0_sel:DWORD src1_sel:WORD_1
	s_branch .LBB272_1501
.LBB272_1497:
	s_mov_b64 s[0:1], -1
                                        ; implicit-def: $vgpr8
	s_branch .LBB272_1519
.LBB272_1498:
	s_mov_b64 s[0:1], -1
                                        ; implicit-def: $vgpr8
	s_branch .LBB272_1507
.LBB272_1499:
	s_mov_b64 s[0:1], -1
                                        ; implicit-def: $vgpr8
	s_branch .LBB272_1504
.LBB272_1500:
	s_mov_b64 s[0:1], -1
                                        ; implicit-def: $vgpr8
.LBB272_1501:
	s_andn2_b64 vcc, exec, s[0:1]
	s_cbranch_vccnz .LBB272_1503
; %bb.1502:
	global_load_dword v2, v[0:1], off
	s_movk_i32 s0, 0x7fff
	v_mov_b32_e32 v3, 0x7fc0
	s_waitcnt vmcnt(0)
	v_bfe_u32 v8, v2, 16, 1
	v_cmp_o_f32_e32 vcc, v2, v2
	v_add3_u32 v2, v2, v8, s0
	s_nop 0
	v_cndmask_b32_sdwa v8, v3, v2, vcc dst_sel:DWORD dst_unused:UNUSED_PAD src0_sel:DWORD src1_sel:WORD_1
.LBB272_1503:
	s_mov_b64 s[0:1], 0
.LBB272_1504:
	s_andn2_b64 vcc, exec, s[0:1]
	s_cbranch_vccnz .LBB272_1506
; %bb.1505:
	global_load_dword v2, v[0:1], off
	s_movk_i32 s0, 0x7fff
	s_waitcnt vmcnt(1)
	v_mov_b32_e32 v8, 0x7fc0
	s_waitcnt vmcnt(0)
	v_cvt_f32_f16_e32 v3, v2
	v_cmp_o_f16_e32 vcc, v2, v2
	v_bfe_u32 v2, v3, 16, 1
	v_add3_u32 v2, v3, v2, s0
	v_cndmask_b32_sdwa v8, v8, v2, vcc dst_sel:DWORD dst_unused:UNUSED_PAD src0_sel:DWORD src1_sel:WORD_1
.LBB272_1506:
	s_mov_b64 s[0:1], 0
.LBB272_1507:
	s_andn2_b64 vcc, exec, s[0:1]
	s_cbranch_vccnz .LBB272_1518
; %bb.1508:
	s_cmp_lt_i32 s22, 6
	s_cbranch_scc1 .LBB272_1511
; %bb.1509:
	s_cmp_gt_i32 s22, 6
	s_cbranch_scc0 .LBB272_1512
; %bb.1510:
	global_load_dwordx2 v[2:3], v[0:1], off
	s_movk_i32 s0, 0x7fff
	s_waitcnt vmcnt(1)
	v_mov_b32_e32 v8, 0x7fc0
	s_waitcnt vmcnt(0)
	v_cvt_f32_f64_e32 v2, v[2:3]
	v_bfe_u32 v3, v2, 16, 1
	v_cmp_o_f32_e32 vcc, v2, v2
	v_add3_u32 v2, v2, v3, s0
	s_mov_b64 s[0:1], 0
	v_cndmask_b32_sdwa v8, v8, v2, vcc dst_sel:DWORD dst_unused:UNUSED_PAD src0_sel:DWORD src1_sel:WORD_1
	s_branch .LBB272_1513
.LBB272_1511:
	s_mov_b64 s[0:1], -1
                                        ; implicit-def: $vgpr8
	s_branch .LBB272_1516
.LBB272_1512:
	s_mov_b64 s[0:1], -1
                                        ; implicit-def: $vgpr8
.LBB272_1513:
	s_andn2_b64 vcc, exec, s[0:1]
	s_cbranch_vccnz .LBB272_1515
; %bb.1514:
	global_load_dword v2, v[0:1], off
	s_movk_i32 s0, 0x7fff
	v_mov_b32_e32 v3, 0x7fc0
	s_waitcnt vmcnt(0)
	v_bfe_u32 v8, v2, 16, 1
	v_cmp_o_f32_e32 vcc, v2, v2
	v_add3_u32 v2, v2, v8, s0
	s_nop 0
	v_cndmask_b32_sdwa v8, v3, v2, vcc dst_sel:DWORD dst_unused:UNUSED_PAD src0_sel:DWORD src1_sel:WORD_1
.LBB272_1515:
	s_mov_b64 s[0:1], 0
.LBB272_1516:
	s_andn2_b64 vcc, exec, s[0:1]
	s_cbranch_vccnz .LBB272_1518
; %bb.1517:
	global_load_ushort v2, v[0:1], off
	s_movk_i32 s0, 0x7fff
	s_waitcnt vmcnt(1)
	v_mov_b32_e32 v8, 0x7fc0
	s_waitcnt vmcnt(0)
	v_cvt_f32_f16_e32 v3, v2
	v_cmp_o_f16_e32 vcc, v2, v2
	v_bfe_u32 v2, v3, 16, 1
	v_add3_u32 v2, v3, v2, s0
	v_cndmask_b32_sdwa v8, v8, v2, vcc dst_sel:DWORD dst_unused:UNUSED_PAD src0_sel:DWORD src1_sel:WORD_1
.LBB272_1518:
	s_mov_b64 s[0:1], 0
.LBB272_1519:
	s_andn2_b64 vcc, exec, s[0:1]
	s_cbranch_vccnz .LBB272_1539
; %bb.1520:
	s_cmp_lt_i32 s22, 2
	s_cbranch_scc1 .LBB272_1524
; %bb.1521:
	s_cmp_lt_i32 s22, 3
	s_cbranch_scc1 .LBB272_1525
; %bb.1522:
	s_cmp_gt_i32 s22, 3
	s_cbranch_scc0 .LBB272_1526
; %bb.1523:
	global_load_dwordx2 v[2:3], v[0:1], off
	s_movk_i32 s0, 0x7fff
	s_waitcnt vmcnt(0)
	v_xor_b32_e32 v9, v2, v3
	v_ffbh_i32_e32 v8, v3
	v_ashrrev_i32_e32 v9, 31, v9
	v_add_u32_e32 v8, -1, v8
	v_add_u32_e32 v9, 32, v9
	v_min_u32_e32 v8, v8, v9
	v_lshlrev_b64 v[2:3], v8, v[2:3]
	v_min_u32_e32 v2, 1, v2
	v_or_b32_e32 v2, v3, v2
	v_cvt_f32_i32_e32 v2, v2
	v_sub_u32_e32 v3, 32, v8
	v_ldexp_f32 v2, v2, v3
	v_bfe_u32 v3, v2, 16, 1
	v_add3_u32 v2, v2, v3, s0
	v_lshrrev_b32_e32 v8, 16, v2
	s_mov_b64 s[0:1], 0
	s_branch .LBB272_1527
.LBB272_1524:
	s_mov_b64 s[0:1], -1
                                        ; implicit-def: $vgpr8
	s_branch .LBB272_1533
.LBB272_1525:
	s_mov_b64 s[0:1], -1
                                        ; implicit-def: $vgpr8
	s_branch .LBB272_1530
.LBB272_1526:
	s_mov_b64 s[0:1], -1
                                        ; implicit-def: $vgpr8
.LBB272_1527:
	s_andn2_b64 vcc, exec, s[0:1]
	s_cbranch_vccnz .LBB272_1529
; %bb.1528:
	global_load_dword v2, v[0:1], off
	s_movk_i32 s0, 0x7fff
	s_waitcnt vmcnt(0)
	v_cvt_f32_i32_e32 v2, v2
	v_bfe_u32 v3, v2, 16, 1
	v_add3_u32 v2, v2, v3, s0
	v_lshrrev_b32_e32 v8, 16, v2
.LBB272_1529:
	s_mov_b64 s[0:1], 0
.LBB272_1530:
	s_andn2_b64 vcc, exec, s[0:1]
	s_cbranch_vccnz .LBB272_1532
; %bb.1531:
	global_load_sshort v2, v[0:1], off
	s_movk_i32 s0, 0x7fff
	s_waitcnt vmcnt(0)
	v_cvt_f32_i32_e32 v2, v2
	v_bfe_u32 v3, v2, 16, 1
	v_add3_u32 v2, v2, v3, s0
	v_lshrrev_b32_e32 v8, 16, v2
.LBB272_1532:
	s_mov_b64 s[0:1], 0
.LBB272_1533:
	s_andn2_b64 vcc, exec, s[0:1]
	s_cbranch_vccnz .LBB272_1539
; %bb.1534:
	s_cmp_gt_i32 s22, 0
	s_cbranch_scc0 .LBB272_1536
; %bb.1535:
	global_load_sbyte v2, v[0:1], off
	s_movk_i32 s0, 0x7fff
	s_waitcnt vmcnt(0)
	v_cvt_f32_i32_e32 v2, v2
	v_bfe_u32 v3, v2, 16, 1
	v_add3_u32 v2, v2, v3, s0
	v_lshrrev_b32_e32 v8, 16, v2
	s_mov_b64 s[0:1], 0
	s_branch .LBB272_1537
.LBB272_1536:
	s_mov_b64 s[0:1], -1
                                        ; implicit-def: $vgpr8
.LBB272_1537:
	s_andn2_b64 vcc, exec, s[0:1]
	s_cbranch_vccnz .LBB272_1539
; %bb.1538:
	global_load_ubyte v0, v[0:1], off
	s_movk_i32 s0, 0x7fff
	s_waitcnt vmcnt(0)
	v_cvt_f32_ubyte0_e32 v0, v0
	v_bfe_u32 v1, v0, 16, 1
	v_add3_u32 v0, v0, v1, s0
	v_lshrrev_b32_e32 v8, 16, v0
.LBB272_1539:
	s_mov_b64 s[10:11], -1
.LBB272_1540:
	s_andn2_b64 vcc, exec, s[10:11]
	s_cbranch_vccnz .LBB272_1974
; %bb.1541:
	s_waitcnt vmcnt(0)
	v_lshlrev_b32_e32 v0, 16, v5
	s_mov_b32 s0, 0xf800000
	v_mul_f32_e32 v1, 0x4f800000, v0
	v_cmp_gt_f32_e32 vcc, s0, v0
	s_and_b32 s20, s33, 0xff
	s_cmp_lt_i32 s20, 11
	v_cndmask_b32_e32 v1, v0, v1, vcc
	v_sqrt_f32_e32 v2, v1
	s_nop 0
	v_add_u32_e32 v3, -1, v2
	v_fma_f32 v5, -v3, v2, v1
	v_cmp_ge_f32_e64 s[0:1], 0, v5
	v_add_u32_e32 v5, 1, v2
	s_nop 0
	v_cndmask_b32_e64 v3, v2, v3, s[0:1]
	v_fma_f32 v2, -v5, v2, v1
	v_cmp_lt_f32_e64 s[0:1], 0, v2
	s_nop 1
	v_cndmask_b32_e64 v2, v3, v5, s[0:1]
	v_mul_f32_e32 v3, 0x37800000, v2
	v_cndmask_b32_e32 v2, v2, v3, vcc
	v_mov_b32_e32 v3, 0x260
	v_cmp_class_f32_e32 vcc, v1, v3
	s_movk_i32 s0, 0x7fff
	s_nop 0
	v_cndmask_b32_e32 v1, v2, v1, vcc
	v_bfe_u32 v2, v1, 16, 1
	v_add3_u32 v1, v1, v2, s0
	v_cmp_le_f32_e32 vcc, 0, v0
	v_mov_b32_e32 v0, 0x7fc0
	s_nop 0
	v_cndmask_b32_sdwa v5, v0, v1, vcc dst_sel:DWORD dst_unused:UNUSED_PAD src0_sel:DWORD src1_sel:WORD_1
	v_mul_lo_u32 v0, s8, v4
	v_ashrrev_i32_e32 v1, 31, v0
	v_lshl_add_u64 v[2:3], s[4:5], 0, v[0:1]
	s_cbranch_scc1 .LBB272_1619
; %bb.1542:
	s_and_b32 s9, 0xffff, s20
	s_mov_b64 s[16:17], -1
	s_mov_b64 s[6:7], 0
	s_cmp_gt_i32 s9, 25
	s_mov_b64 s[10:11], 0
	s_mov_b64 s[0:1], 0
	s_cbranch_scc0 .LBB272_1575
; %bb.1543:
	s_cmp_gt_i32 s9, 28
	s_cbranch_scc0 .LBB272_1558
; %bb.1544:
	s_cmp_gt_i32 s9, 43
	;; [unrolled: 3-line block ×3, first 2 shown]
	s_cbranch_scc0 .LBB272_1548
; %bb.1546:
	s_mov_b64 s[0:1], -1
	s_mov_b64 s[16:17], 0
	s_cmp_eq_u32 s9, 46
	s_cbranch_scc0 .LBB272_1548
; %bb.1547:
	v_and_b32_e32 v1, 0xffff, v5
	global_store_dword v[2:3], v1, off
	s_mov_b64 s[0:1], 0
	s_mov_b64 s[10:11], -1
.LBB272_1548:
	s_and_b64 vcc, exec, s[16:17]
	s_cbranch_vccz .LBB272_1553
; %bb.1549:
	s_cmp_eq_u32 s9, 44
	s_mov_b64 s[0:1], -1
	s_cbranch_scc0 .LBB272_1553
; %bb.1550:
	v_and_b32_e32 v4, 0xffff, v5
	v_bfe_u32 v1, v4, 7, 8
	s_movk_i32 s0, 0xff
	v_cmp_ne_u32_e32 vcc, s0, v1
	v_mov_b32_e32 v9, 0xff
	s_and_saveexec_b64 s[10:11], vcc
	s_cbranch_execz .LBB272_1552
; %bb.1551:
	v_lshlrev_b32_e32 v10, 16, v4
	s_mov_b32 s0, 0x3f0000
	v_lshrrev_b32_e32 v9, 7, v4
	v_and_b32_e32 v4, 64, v4
	v_and_or_b32 v1, v10, s0, v1
	v_cmp_ne_u32_e32 vcc, 0, v4
	v_cmp_ne_u32_e64 s[0:1], 0, v1
	s_and_b64 s[0:1], vcc, s[0:1]
	s_nop 0
	v_cndmask_b32_e64 v1, 0, 1, s[0:1]
	v_add_u32_e32 v9, v9, v1
.LBB272_1552:
	s_or_b64 exec, exec, s[10:11]
	s_mov_b64 s[0:1], 0
	s_mov_b64 s[10:11], -1
	global_store_byte v[2:3], v9, off
.LBB272_1553:
	s_mov_b64 s[16:17], 0
.LBB272_1554:
	s_and_b64 vcc, exec, s[16:17]
	s_cbranch_vccz .LBB272_1557
; %bb.1555:
	s_cmp_eq_u32 s9, 29
	s_mov_b64 s[0:1], -1
	s_cbranch_scc0 .LBB272_1557
; %bb.1556:
	v_lshlrev_b32_e32 v1, 16, v5
	v_trunc_f32_e32 v1, v1
	v_mul_f32_e32 v4, 0x2f800000, v1
	v_floor_f32_e32 v4, v4
	v_fmamk_f32 v1, v4, 0xcf800000, v1
	v_cvt_u32_f32_e32 v11, v4
	v_cvt_u32_f32_e32 v10, v1
	s_mov_b64 s[0:1], 0
	s_mov_b64 s[10:11], -1
	global_store_dwordx2 v[2:3], v[10:11], off
.LBB272_1557:
	s_mov_b64 s[16:17], 0
.LBB272_1558:
	s_and_b64 vcc, exec, s[16:17]
	s_cbranch_vccz .LBB272_1574
; %bb.1559:
	s_cmp_lt_i32 s9, 27
	s_mov_b64 s[10:11], -1
	s_cbranch_scc1 .LBB272_1565
; %bb.1560:
	s_cmp_gt_i32 s9, 27
	s_cbranch_scc0 .LBB272_1562
; %bb.1561:
	v_lshlrev_b32_e32 v1, 16, v5
	v_cvt_u32_f32_e32 v1, v1
	s_mov_b64 s[10:11], 0
	global_store_dword v[2:3], v1, off
.LBB272_1562:
	s_andn2_b64 vcc, exec, s[10:11]
	s_cbranch_vccnz .LBB272_1564
; %bb.1563:
	v_lshlrev_b32_e32 v1, 16, v5
	v_cvt_u32_f32_e32 v1, v1
	global_store_short v[2:3], v1, off
.LBB272_1564:
	s_mov_b64 s[10:11], 0
.LBB272_1565:
	s_andn2_b64 vcc, exec, s[10:11]
	s_cbranch_vccnz .LBB272_1573
; %bb.1566:
	v_lshlrev_b32_e32 v9, 16, v5
	v_and_b32_e32 v4, 0x7fffffff, v9
	s_mov_b32 s10, 0x43800000
	v_cmp_gt_u32_e32 vcc, s10, v4
	v_mov_b32_e32 v10, 0x80
	s_and_saveexec_b64 s[10:11], vcc
	s_cbranch_execz .LBB272_1572
; %bb.1567:
	s_mov_b32 s16, 0x3bffffff
	v_and_b32_e32 v1, 0xffff, v5
	v_cmp_lt_u32_e32 vcc, s16, v4
	s_mov_b64 s[16:17], 0
                                        ; implicit-def: $vgpr4
	s_and_saveexec_b64 s[18:19], vcc
	s_xor_b64 s[18:19], exec, s[18:19]
	s_cbranch_execz .LBB272_2021
; %bb.1568:
	v_bfe_u32 v4, v1, 4, 1
	s_mov_b32 s21, 0x487ffff
	v_add3_u32 v4, v9, v4, s21
	s_mov_b64 s[16:17], exec
	v_lshrrev_b32_e32 v4, 20, v4
                                        ; implicit-def: $vgpr9
	s_andn2_saveexec_b64 s[18:19], s[18:19]
	s_cbranch_execnz .LBB272_2022
.LBB272_1569:
	s_or_b64 exec, exec, s[18:19]
	v_mov_b32_e32 v10, 0
	s_and_saveexec_b64 s[18:19], s[16:17]
.LBB272_1570:
	v_lshrrev_b32_e32 v1, 8, v1
	s_movk_i32 s16, 0x80
	v_and_or_b32 v10, v1, s16, v4
.LBB272_1571:
	s_or_b64 exec, exec, s[18:19]
.LBB272_1572:
	s_or_b64 exec, exec, s[10:11]
	global_store_byte v[2:3], v10, off
.LBB272_1573:
	s_mov_b64 s[10:11], -1
.LBB272_1574:
	s_mov_b64 s[16:17], 0
.LBB272_1575:
	s_and_b64 vcc, exec, s[16:17]
	s_cbranch_vccz .LBB272_1615
; %bb.1576:
	s_cmp_gt_i32 s9, 22
	s_mov_b64 s[6:7], -1
	s_cbranch_scc0 .LBB272_1608
; %bb.1577:
	s_cmp_lt_i32 s9, 24
	s_cbranch_scc1 .LBB272_1597
; %bb.1578:
	s_cmp_gt_i32 s9, 24
	s_cbranch_scc0 .LBB272_1586
; %bb.1579:
	v_lshlrev_b32_e32 v9, 16, v5
	v_and_b32_e32 v4, 0x7fffffff, v9
	s_mov_b32 s6, 0x47800000
	v_cmp_gt_u32_e32 vcc, s6, v4
	v_mov_b32_e32 v10, 0x80
	s_and_saveexec_b64 s[6:7], vcc
	s_cbranch_execz .LBB272_1585
; %bb.1580:
	s_mov_b32 s10, 0x37ffffff
	v_and_b32_e32 v1, 0xffff, v5
	v_cmp_lt_u32_e32 vcc, s10, v4
	s_mov_b64 s[10:11], 0
                                        ; implicit-def: $vgpr4
	s_and_saveexec_b64 s[16:17], vcc
	s_xor_b64 s[16:17], exec, s[16:17]
	s_cbranch_execz .LBB272_2024
; %bb.1581:
	v_bfe_u32 v4, v1, 5, 1
	s_mov_b32 s18, 0x88fffff
	v_add3_u32 v4, v9, v4, s18
	s_mov_b64 s[10:11], exec
	v_lshrrev_b32_e32 v4, 21, v4
                                        ; implicit-def: $vgpr9
	s_andn2_saveexec_b64 s[16:17], s[16:17]
	s_cbranch_execnz .LBB272_2025
.LBB272_1582:
	s_or_b64 exec, exec, s[16:17]
	v_mov_b32_e32 v10, 0
	s_and_saveexec_b64 s[16:17], s[10:11]
.LBB272_1583:
	v_lshrrev_b32_e32 v1, 8, v1
	s_movk_i32 s10, 0x80
	v_and_or_b32 v10, v1, s10, v4
.LBB272_1584:
	s_or_b64 exec, exec, s[16:17]
.LBB272_1585:
	s_or_b64 exec, exec, s[6:7]
	s_mov_b64 s[6:7], 0
	global_store_byte v[2:3], v10, off
.LBB272_1586:
	s_and_b64 vcc, exec, s[6:7]
	s_cbranch_vccz .LBB272_1596
; %bb.1587:
	v_lshlrev_b32_e32 v9, 16, v5
	v_and_b32_e32 v10, 0x7fffffff, v9
	s_mov_b32 s6, 0x43f00000
	v_and_b32_e32 v1, 0xffff, v5
	v_cmp_gt_u32_e32 vcc, s6, v10
                                        ; implicit-def: $vgpr4
	s_and_saveexec_b64 s[6:7], vcc
	s_xor_b64 s[6:7], exec, s[6:7]
	s_cbranch_execz .LBB272_1593
; %bb.1588:
	s_mov_b32 s10, 0x3c7fffff
	v_cmp_lt_u32_e32 vcc, s10, v10
                                        ; implicit-def: $vgpr4
	s_and_saveexec_b64 s[10:11], vcc
	s_xor_b64 s[10:11], exec, s[10:11]
; %bb.1589:
	v_bfe_u32 v4, v1, 4, 1
	s_mov_b32 s16, 0x407ffff
	v_add3_u32 v4, v9, v4, s16
	v_lshrrev_b32_e32 v9, 20, v4
	v_and_b32_e32 v4, 0xff00000, v4
	s_mov_b32 s16, 0x7f00000
	v_mov_b32_e32 v10, 0x7e
	v_cmp_ne_u32_e32 vcc, s16, v4
	s_nop 1
	v_cndmask_b32_e32 v4, v10, v9, vcc
                                        ; implicit-def: $vgpr9
; %bb.1590:
	s_andn2_saveexec_b64 s[10:11], s[10:11]
; %bb.1591:
	s_mov_b32 s16, 0x46800000
	v_add_f32_e64 v4, |v9|, s16
; %bb.1592:
	s_or_b64 exec, exec, s[10:11]
                                        ; implicit-def: $vgpr10
.LBB272_1593:
	s_andn2_saveexec_b64 s[6:7], s[6:7]
; %bb.1594:
	s_mov_b32 s10, 0x7f800000
	v_mov_b32_e32 v4, 0x7e
	v_mov_b32_e32 v9, 0x7f
	v_cmp_lt_u32_e32 vcc, s10, v10
	s_nop 1
	v_cndmask_b32_e32 v4, v4, v9, vcc
; %bb.1595:
	s_or_b64 exec, exec, s[6:7]
	v_lshrrev_b32_e32 v1, 8, v1
	s_movk_i32 s6, 0x80
	v_and_or_b32 v1, v1, s6, v4
	global_store_byte v[2:3], v1, off
.LBB272_1596:
	s_mov_b64 s[6:7], 0
.LBB272_1597:
	s_andn2_b64 vcc, exec, s[6:7]
	s_cbranch_vccnz .LBB272_1607
; %bb.1598:
	v_lshlrev_b32_e32 v9, 16, v5
	v_and_b32_e32 v10, 0x7fffffff, v9
	s_mov_b32 s6, 0x47800000
	v_and_b32_e32 v1, 0xffff, v5
	v_cmp_gt_u32_e32 vcc, s6, v10
                                        ; implicit-def: $vgpr4
	s_and_saveexec_b64 s[6:7], vcc
	s_xor_b64 s[6:7], exec, s[6:7]
	s_cbranch_execz .LBB272_1604
; %bb.1599:
	s_mov_b32 s10, 0x387fffff
	v_cmp_lt_u32_e32 vcc, s10, v10
                                        ; implicit-def: $vgpr4
	s_and_saveexec_b64 s[10:11], vcc
	s_xor_b64 s[10:11], exec, s[10:11]
; %bb.1600:
	v_bfe_u32 v4, v1, 5, 1
	s_mov_b32 s16, 0x80fffff
	v_add3_u32 v4, v9, v4, s16
	v_lshrrev_b32_e32 v4, 21, v4
                                        ; implicit-def: $vgpr9
; %bb.1601:
	s_andn2_saveexec_b64 s[10:11], s[10:11]
; %bb.1602:
	s_mov_b32 s16, 0x43000000
	v_add_f32_e64 v4, |v9|, s16
; %bb.1603:
	s_or_b64 exec, exec, s[10:11]
                                        ; implicit-def: $vgpr10
.LBB272_1604:
	s_andn2_saveexec_b64 s[6:7], s[6:7]
; %bb.1605:
	s_mov_b32 s10, 0x7f800000
	v_mov_b32_e32 v4, 0x7c
	v_mov_b32_e32 v9, 0x7f
	v_cmp_lt_u32_e32 vcc, s10, v10
	s_nop 1
	v_cndmask_b32_e32 v4, v4, v9, vcc
; %bb.1606:
	s_or_b64 exec, exec, s[6:7]
	v_lshrrev_b32_e32 v1, 8, v1
	s_movk_i32 s6, 0x80
	v_and_or_b32 v1, v1, s6, v4
	global_store_byte v[2:3], v1, off
.LBB272_1607:
	s_mov_b64 s[6:7], 0
	s_mov_b64 s[10:11], -1
.LBB272_1608:
	s_andn2_b64 vcc, exec, s[6:7]
	s_mov_b64 s[6:7], 0
	s_cbranch_vccnz .LBB272_1615
; %bb.1609:
	s_cmp_gt_i32 s9, 14
	s_mov_b64 s[16:17], -1
	s_cbranch_scc0 .LBB272_1613
; %bb.1610:
	s_cmp_eq_u32 s9, 15
	s_mov_b64 s[0:1], -1
	s_cbranch_scc0 .LBB272_1612
; %bb.1611:
	global_store_short v[2:3], v5, off
	s_mov_b64 s[0:1], 0
	s_mov_b64 s[10:11], -1
.LBB272_1612:
	s_mov_b64 s[16:17], 0
.LBB272_1613:
	s_and_b64 vcc, exec, s[16:17]
	s_cbranch_vccz .LBB272_1615
; %bb.1614:
	s_cmp_lg_u32 s9, 11
	s_mov_b64 s[6:7], -1
	s_cselect_b64 s[0:1], -1, 0
.LBB272_1615:
	s_and_b64 vcc, exec, s[0:1]
	s_cbranch_vccnz .LBB272_2023
; %bb.1616:
	s_andn2_b64 vcc, exec, s[6:7]
	s_cbranch_vccnz .LBB272_1618
.LBB272_1617:
	v_and_b32_e32 v1, 0x7fff, v5
	v_cmp_ne_u16_e32 vcc, 0, v1
	s_mov_b64 s[10:11], -1
	s_nop 0
	v_cndmask_b32_e64 v1, 0, 1, vcc
	global_store_byte v[2:3], v1, off
.LBB272_1618:
	s_mov_b64 s[0:1], 0
	s_branch .LBB272_1620
.LBB272_1619:
	s_mov_b64 s[0:1], -1
	s_mov_b64 s[10:11], 0
.LBB272_1620:
	s_and_b64 vcc, exec, s[0:1]
	s_cbranch_vccz .LBB272_1659
; %bb.1621:
	s_and_b32 s6, 0xffff, s20
	s_cmp_lt_i32 s6, 5
	s_mov_b64 s[0:1], -1
	s_cbranch_scc1 .LBB272_1642
; %bb.1622:
	s_cmp_lt_i32 s6, 8
	s_cbranch_scc1 .LBB272_1632
; %bb.1623:
	s_cmp_lt_i32 s6, 9
	s_cbranch_scc1 .LBB272_1629
; %bb.1624:
	s_cmp_gt_i32 s6, 9
	s_cbranch_scc0 .LBB272_1626
; %bb.1625:
	v_lshlrev_b32_e32 v1, 16, v5
	v_mov_b32_e32 v12, 0
	v_cvt_f64_f32_e32 v[10:11], v1
	v_mov_b32_e32 v13, v12
	global_store_dwordx4 v[2:3], v[10:13], off
	s_mov_b64 s[0:1], 0
.LBB272_1626:
	s_andn2_b64 vcc, exec, s[0:1]
	s_cbranch_vccnz .LBB272_1628
; %bb.1627:
	v_lshlrev_b32_e32 v10, 16, v5
	v_mov_b32_e32 v11, 0
	global_store_dwordx2 v[2:3], v[10:11], off
.LBB272_1628:
	s_mov_b64 s[0:1], 0
.LBB272_1629:
	s_andn2_b64 vcc, exec, s[0:1]
	s_cbranch_vccnz .LBB272_1631
; %bb.1630:
	v_lshlrev_b32_e32 v1, 16, v5
	v_cvt_f16_f32_e32 v1, v1
	global_store_dword v[2:3], v1, off
.LBB272_1631:
	s_mov_b64 s[0:1], 0
.LBB272_1632:
	s_andn2_b64 vcc, exec, s[0:1]
	s_cbranch_vccnz .LBB272_1641
; %bb.1633:
	s_cmp_lt_i32 s6, 6
	s_mov_b64 s[0:1], -1
	s_cbranch_scc1 .LBB272_1639
; %bb.1634:
	s_cmp_gt_i32 s6, 6
	s_cbranch_scc0 .LBB272_1636
; %bb.1635:
	v_lshlrev_b32_e32 v1, 16, v5
	v_cvt_f64_f32_e32 v[10:11], v1
	global_store_dwordx2 v[2:3], v[10:11], off
	s_mov_b64 s[0:1], 0
.LBB272_1636:
	s_andn2_b64 vcc, exec, s[0:1]
	s_cbranch_vccnz .LBB272_1638
; %bb.1637:
	v_lshlrev_b32_e32 v1, 16, v5
	global_store_dword v[2:3], v1, off
.LBB272_1638:
	s_mov_b64 s[0:1], 0
.LBB272_1639:
	s_andn2_b64 vcc, exec, s[0:1]
	s_cbranch_vccnz .LBB272_1641
; %bb.1640:
	v_lshlrev_b32_e32 v1, 16, v5
	v_cvt_f16_f32_e32 v1, v1
	global_store_short v[2:3], v1, off
.LBB272_1641:
	s_mov_b64 s[0:1], 0
.LBB272_1642:
	s_andn2_b64 vcc, exec, s[0:1]
	s_cbranch_vccnz .LBB272_1658
; %bb.1643:
	s_cmp_lt_i32 s6, 2
	s_mov_b64 s[0:1], -1
	s_cbranch_scc1 .LBB272_1653
; %bb.1644:
	s_cmp_lt_i32 s6, 3
	s_cbranch_scc1 .LBB272_1650
; %bb.1645:
	s_cmp_gt_i32 s6, 3
	s_cbranch_scc0 .LBB272_1647
; %bb.1646:
	v_lshlrev_b32_e32 v1, 16, v5
	v_trunc_f32_e32 v1, v1
	s_mov_b32 s0, 0x2f800000
	v_mul_f32_e64 v4, |v1|, s0
	v_floor_f32_e32 v4, v4
	s_mov_b32 s0, 0xcf800000
	v_cvt_u32_f32_e32 v9, v4
	v_fma_f32 v4, v4, s0, |v1|
	v_cvt_u32_f32_e32 v4, v4
	v_ashrrev_i32_e32 v1, 31, v1
	v_xor_b32_e32 v9, v9, v1
	s_mov_b64 s[0:1], 0
	v_xor_b32_e32 v4, v4, v1
	v_sub_co_u32_e32 v10, vcc, v4, v1
	s_nop 1
	v_subb_co_u32_e32 v11, vcc, v9, v1, vcc
	global_store_dwordx2 v[2:3], v[10:11], off
.LBB272_1647:
	s_andn2_b64 vcc, exec, s[0:1]
	s_cbranch_vccnz .LBB272_1649
; %bb.1648:
	v_lshlrev_b32_e32 v1, 16, v5
	v_cvt_i32_f32_e32 v1, v1
	global_store_dword v[2:3], v1, off
.LBB272_1649:
	s_mov_b64 s[0:1], 0
.LBB272_1650:
	s_andn2_b64 vcc, exec, s[0:1]
	s_cbranch_vccnz .LBB272_1652
; %bb.1651:
	v_lshlrev_b32_e32 v1, 16, v5
	v_cvt_i32_f32_e32 v1, v1
	global_store_short v[2:3], v1, off
.LBB272_1652:
	s_mov_b64 s[0:1], 0
.LBB272_1653:
	s_andn2_b64 vcc, exec, s[0:1]
	s_cbranch_vccnz .LBB272_1658
; %bb.1654:
	s_mov_b64 s[0:1], -1
	s_cmp_gt_i32 s6, 0
	v_lshlrev_b32_e32 v1, 16, v5
	s_cbranch_scc0 .LBB272_1656
; %bb.1655:
	v_cvt_i32_f32_e32 v4, v1
	s_mov_b64 s[0:1], 0
	global_store_byte v[2:3], v4, off
.LBB272_1656:
	s_andn2_b64 vcc, exec, s[0:1]
	s_cbranch_vccnz .LBB272_1658
; %bb.1657:
	v_trunc_f32_e32 v1, v1
	s_mov_b32 s0, 0x2f800000
	v_mul_f32_e64 v4, |v1|, s0
	v_floor_f32_e32 v4, v4
	s_mov_b32 s0, 0xcf800000
	v_fma_f32 v4, v4, s0, |v1|
	v_cvt_u32_f32_e32 v4, v4
	v_ashrrev_i32_e32 v1, 31, v1
	v_xor_b32_e32 v4, v4, v1
	v_sub_u32_e32 v1, v4, v1
	global_store_byte v[2:3], v1, off
.LBB272_1658:
	s_mov_b64 s[10:11], -1
.LBB272_1659:
	s_andn2_b64 vcc, exec, s[10:11]
	s_cbranch_vccnz .LBB272_1974
; %bb.1660:
	v_lshlrev_b32_e32 v1, 16, v6
	s_mov_b32 s0, 0xf800000
	v_mul_f32_e32 v2, 0x4f800000, v1
	v_cmp_gt_f32_e32 vcc, s0, v1
	s_lshl_b32 s18, s8, 7
	v_add_u32_e32 v0, s18, v0
	v_cndmask_b32_e32 v2, v1, v2, vcc
	v_sqrt_f32_e32 v3, v2
	s_cmp_lt_i32 s20, 11
	v_add_u32_e32 v4, -1, v3
	v_fma_f32 v5, -v4, v3, v2
	v_cmp_ge_f32_e64 s[0:1], 0, v5
	v_add_u32_e32 v5, 1, v3
	s_nop 0
	v_cndmask_b32_e64 v4, v3, v4, s[0:1]
	v_fma_f32 v3, -v5, v3, v2
	v_cmp_lt_f32_e64 s[0:1], 0, v3
	s_nop 1
	v_cndmask_b32_e64 v3, v4, v5, s[0:1]
	v_mul_f32_e32 v4, 0x37800000, v3
	v_cndmask_b32_e32 v3, v3, v4, vcc
	v_mov_b32_e32 v4, 0x260
	v_cmp_class_f32_e32 vcc, v2, v4
	s_movk_i32 s0, 0x7fff
	s_nop 0
	v_cndmask_b32_e32 v2, v3, v2, vcc
	v_bfe_u32 v3, v2, 16, 1
	v_add3_u32 v2, v2, v3, s0
	v_cmp_le_f32_e32 vcc, 0, v1
	v_mov_b32_e32 v1, 0x7fc0
	s_nop 0
	v_cndmask_b32_sdwa v4, v1, v2, vcc dst_sel:DWORD dst_unused:UNUSED_PAD src0_sel:DWORD src1_sel:WORD_1
	v_ashrrev_i32_e32 v1, 31, v0
	v_lshl_add_u64 v[2:3], s[4:5], 0, v[0:1]
	s_cbranch_scc1 .LBB272_1738
; %bb.1661:
	s_and_b32 s19, 0xffff, s20
	s_mov_b64 s[10:11], -1
	s_mov_b64 s[6:7], 0
	s_cmp_gt_i32 s19, 25
	s_mov_b64 s[8:9], 0
	s_mov_b64 s[0:1], 0
	s_cbranch_scc0 .LBB272_1694
; %bb.1662:
	s_cmp_gt_i32 s19, 28
	s_cbranch_scc0 .LBB272_1677
; %bb.1663:
	s_cmp_gt_i32 s19, 43
	s_cbranch_scc0 .LBB272_1673
; %bb.1664:
	s_cmp_gt_i32 s19, 45
	s_cbranch_scc0 .LBB272_1667
; %bb.1665:
	s_mov_b64 s[0:1], -1
	s_mov_b64 s[10:11], 0
	s_cmp_eq_u32 s19, 46
	s_cbranch_scc0 .LBB272_1667
; %bb.1666:
	v_and_b32_e32 v1, 0xffff, v4
	global_store_dword v[2:3], v1, off
	s_mov_b64 s[0:1], 0
	s_mov_b64 s[8:9], -1
.LBB272_1667:
	s_and_b64 vcc, exec, s[10:11]
	s_cbranch_vccz .LBB272_1672
; %bb.1668:
	s_cmp_eq_u32 s19, 44
	s_mov_b64 s[0:1], -1
	s_cbranch_scc0 .LBB272_1672
; %bb.1669:
	v_and_b32_e32 v5, 0xffff, v4
	v_bfe_u32 v1, v5, 7, 8
	s_movk_i32 s0, 0xff
	v_cmp_ne_u32_e32 vcc, s0, v1
	v_mov_b32_e32 v6, 0xff
	s_and_saveexec_b64 s[8:9], vcc
	s_cbranch_execz .LBB272_1671
; %bb.1670:
	v_lshlrev_b32_e32 v9, 16, v5
	s_mov_b32 s0, 0x3f0000
	v_lshrrev_b32_e32 v6, 7, v5
	v_and_b32_e32 v5, 64, v5
	v_and_or_b32 v1, v9, s0, v1
	v_cmp_ne_u32_e32 vcc, 0, v5
	v_cmp_ne_u32_e64 s[0:1], 0, v1
	s_and_b64 s[0:1], vcc, s[0:1]
	s_nop 0
	v_cndmask_b32_e64 v1, 0, 1, s[0:1]
	v_add_u32_e32 v6, v6, v1
.LBB272_1671:
	s_or_b64 exec, exec, s[8:9]
	s_mov_b64 s[0:1], 0
	s_mov_b64 s[8:9], -1
	global_store_byte v[2:3], v6, off
.LBB272_1672:
	s_mov_b64 s[10:11], 0
.LBB272_1673:
	s_and_b64 vcc, exec, s[10:11]
	s_cbranch_vccz .LBB272_1676
; %bb.1674:
	s_cmp_eq_u32 s19, 29
	s_mov_b64 s[0:1], -1
	s_cbranch_scc0 .LBB272_1676
; %bb.1675:
	v_lshlrev_b32_e32 v1, 16, v4
	v_trunc_f32_e32 v1, v1
	v_mul_f32_e32 v5, 0x2f800000, v1
	v_floor_f32_e32 v5, v5
	v_fmamk_f32 v1, v5, 0xcf800000, v1
	v_cvt_u32_f32_e32 v11, v5
	v_cvt_u32_f32_e32 v10, v1
	s_mov_b64 s[0:1], 0
	s_mov_b64 s[8:9], -1
	global_store_dwordx2 v[2:3], v[10:11], off
.LBB272_1676:
	s_mov_b64 s[10:11], 0
.LBB272_1677:
	s_and_b64 vcc, exec, s[10:11]
	s_cbranch_vccz .LBB272_1693
; %bb.1678:
	s_cmp_lt_i32 s19, 27
	s_mov_b64 s[8:9], -1
	s_cbranch_scc1 .LBB272_1684
; %bb.1679:
	s_cmp_gt_i32 s19, 27
	s_cbranch_scc0 .LBB272_1681
; %bb.1680:
	v_lshlrev_b32_e32 v1, 16, v4
	v_cvt_u32_f32_e32 v1, v1
	s_mov_b64 s[8:9], 0
	global_store_dword v[2:3], v1, off
.LBB272_1681:
	s_andn2_b64 vcc, exec, s[8:9]
	s_cbranch_vccnz .LBB272_1683
; %bb.1682:
	v_lshlrev_b32_e32 v1, 16, v4
	v_cvt_u32_f32_e32 v1, v1
	global_store_short v[2:3], v1, off
.LBB272_1683:
	s_mov_b64 s[8:9], 0
.LBB272_1684:
	s_andn2_b64 vcc, exec, s[8:9]
	s_cbranch_vccnz .LBB272_1692
; %bb.1685:
	v_lshlrev_b32_e32 v6, 16, v4
	v_and_b32_e32 v5, 0x7fffffff, v6
	s_mov_b32 s8, 0x43800000
	v_cmp_gt_u32_e32 vcc, s8, v5
	v_mov_b32_e32 v9, 0x80
	s_and_saveexec_b64 s[8:9], vcc
	s_cbranch_execz .LBB272_1691
; %bb.1686:
	s_mov_b32 s10, 0x3bffffff
	v_and_b32_e32 v1, 0xffff, v4
	v_cmp_lt_u32_e32 vcc, s10, v5
	s_mov_b64 s[10:11], 0
                                        ; implicit-def: $vgpr5
	s_and_saveexec_b64 s[16:17], vcc
	s_xor_b64 s[16:17], exec, s[16:17]
	s_cbranch_execz .LBB272_2026
; %bb.1687:
	v_bfe_u32 v5, v1, 4, 1
	s_mov_b32 s21, 0x487ffff
	v_add3_u32 v5, v6, v5, s21
	s_mov_b64 s[10:11], exec
	v_lshrrev_b32_e32 v5, 20, v5
                                        ; implicit-def: $vgpr6
	s_andn2_saveexec_b64 s[16:17], s[16:17]
	s_cbranch_execnz .LBB272_2027
.LBB272_1688:
	s_or_b64 exec, exec, s[16:17]
	v_mov_b32_e32 v9, 0
	s_and_saveexec_b64 s[16:17], s[10:11]
.LBB272_1689:
	v_lshrrev_b32_e32 v1, 8, v1
	s_movk_i32 s10, 0x80
	v_and_or_b32 v9, v1, s10, v5
.LBB272_1690:
	s_or_b64 exec, exec, s[16:17]
.LBB272_1691:
	s_or_b64 exec, exec, s[8:9]
	global_store_byte v[2:3], v9, off
.LBB272_1692:
	s_mov_b64 s[8:9], -1
.LBB272_1693:
	s_mov_b64 s[10:11], 0
.LBB272_1694:
	s_and_b64 vcc, exec, s[10:11]
	s_cbranch_vccz .LBB272_1734
; %bb.1695:
	s_cmp_gt_i32 s19, 22
	s_mov_b64 s[6:7], -1
	s_cbranch_scc0 .LBB272_1727
; %bb.1696:
	s_cmp_lt_i32 s19, 24
	s_cbranch_scc1 .LBB272_1716
; %bb.1697:
	s_cmp_gt_i32 s19, 24
	s_cbranch_scc0 .LBB272_1705
; %bb.1698:
	v_lshlrev_b32_e32 v6, 16, v4
	v_and_b32_e32 v5, 0x7fffffff, v6
	s_mov_b32 s6, 0x47800000
	v_cmp_gt_u32_e32 vcc, s6, v5
	v_mov_b32_e32 v9, 0x80
	s_and_saveexec_b64 s[6:7], vcc
	s_cbranch_execz .LBB272_1704
; %bb.1699:
	s_mov_b32 s8, 0x37ffffff
	v_and_b32_e32 v1, 0xffff, v4
	v_cmp_lt_u32_e32 vcc, s8, v5
	s_mov_b64 s[8:9], 0
                                        ; implicit-def: $vgpr5
	s_and_saveexec_b64 s[10:11], vcc
	s_xor_b64 s[10:11], exec, s[10:11]
	s_cbranch_execz .LBB272_2029
; %bb.1700:
	v_bfe_u32 v5, v1, 5, 1
	s_mov_b32 s16, 0x88fffff
	v_add3_u32 v5, v6, v5, s16
	s_mov_b64 s[8:9], exec
	v_lshrrev_b32_e32 v5, 21, v5
                                        ; implicit-def: $vgpr6
	s_andn2_saveexec_b64 s[10:11], s[10:11]
	s_cbranch_execnz .LBB272_2030
.LBB272_1701:
	s_or_b64 exec, exec, s[10:11]
	v_mov_b32_e32 v9, 0
	s_and_saveexec_b64 s[10:11], s[8:9]
.LBB272_1702:
	v_lshrrev_b32_e32 v1, 8, v1
	s_movk_i32 s8, 0x80
	v_and_or_b32 v9, v1, s8, v5
.LBB272_1703:
	s_or_b64 exec, exec, s[10:11]
.LBB272_1704:
	s_or_b64 exec, exec, s[6:7]
	s_mov_b64 s[6:7], 0
	global_store_byte v[2:3], v9, off
.LBB272_1705:
	s_and_b64 vcc, exec, s[6:7]
	s_cbranch_vccz .LBB272_1715
; %bb.1706:
	v_lshlrev_b32_e32 v6, 16, v4
	v_and_b32_e32 v9, 0x7fffffff, v6
	s_mov_b32 s6, 0x43f00000
	v_and_b32_e32 v1, 0xffff, v4
	v_cmp_gt_u32_e32 vcc, s6, v9
                                        ; implicit-def: $vgpr5
	s_and_saveexec_b64 s[6:7], vcc
	s_xor_b64 s[6:7], exec, s[6:7]
	s_cbranch_execz .LBB272_1712
; %bb.1707:
	s_mov_b32 s8, 0x3c7fffff
	v_cmp_lt_u32_e32 vcc, s8, v9
                                        ; implicit-def: $vgpr5
	s_and_saveexec_b64 s[8:9], vcc
	s_xor_b64 s[8:9], exec, s[8:9]
; %bb.1708:
	v_bfe_u32 v5, v1, 4, 1
	s_mov_b32 s10, 0x407ffff
	v_add3_u32 v5, v6, v5, s10
	v_lshrrev_b32_e32 v6, 20, v5
	v_and_b32_e32 v5, 0xff00000, v5
	s_mov_b32 s10, 0x7f00000
	v_mov_b32_e32 v9, 0x7e
	v_cmp_ne_u32_e32 vcc, s10, v5
	s_nop 1
	v_cndmask_b32_e32 v5, v9, v6, vcc
                                        ; implicit-def: $vgpr6
; %bb.1709:
	s_andn2_saveexec_b64 s[8:9], s[8:9]
; %bb.1710:
	s_mov_b32 s10, 0x46800000
	v_add_f32_e64 v5, |v6|, s10
; %bb.1711:
	s_or_b64 exec, exec, s[8:9]
                                        ; implicit-def: $vgpr9
.LBB272_1712:
	s_andn2_saveexec_b64 s[6:7], s[6:7]
; %bb.1713:
	s_mov_b32 s8, 0x7f800000
	v_mov_b32_e32 v5, 0x7e
	v_mov_b32_e32 v6, 0x7f
	v_cmp_lt_u32_e32 vcc, s8, v9
	s_nop 1
	v_cndmask_b32_e32 v5, v5, v6, vcc
; %bb.1714:
	s_or_b64 exec, exec, s[6:7]
	v_lshrrev_b32_e32 v1, 8, v1
	s_movk_i32 s6, 0x80
	v_and_or_b32 v1, v1, s6, v5
	global_store_byte v[2:3], v1, off
.LBB272_1715:
	s_mov_b64 s[6:7], 0
.LBB272_1716:
	s_andn2_b64 vcc, exec, s[6:7]
	s_cbranch_vccnz .LBB272_1726
; %bb.1717:
	v_lshlrev_b32_e32 v6, 16, v4
	v_and_b32_e32 v9, 0x7fffffff, v6
	s_mov_b32 s6, 0x47800000
	v_and_b32_e32 v1, 0xffff, v4
	v_cmp_gt_u32_e32 vcc, s6, v9
                                        ; implicit-def: $vgpr5
	s_and_saveexec_b64 s[6:7], vcc
	s_xor_b64 s[6:7], exec, s[6:7]
	s_cbranch_execz .LBB272_1723
; %bb.1718:
	s_mov_b32 s8, 0x387fffff
	v_cmp_lt_u32_e32 vcc, s8, v9
                                        ; implicit-def: $vgpr5
	s_and_saveexec_b64 s[8:9], vcc
	s_xor_b64 s[8:9], exec, s[8:9]
; %bb.1719:
	v_bfe_u32 v5, v1, 5, 1
	s_mov_b32 s10, 0x80fffff
	v_add3_u32 v5, v6, v5, s10
	v_lshrrev_b32_e32 v5, 21, v5
                                        ; implicit-def: $vgpr6
; %bb.1720:
	s_andn2_saveexec_b64 s[8:9], s[8:9]
; %bb.1721:
	s_mov_b32 s10, 0x43000000
	v_add_f32_e64 v5, |v6|, s10
; %bb.1722:
	s_or_b64 exec, exec, s[8:9]
                                        ; implicit-def: $vgpr9
.LBB272_1723:
	s_andn2_saveexec_b64 s[6:7], s[6:7]
; %bb.1724:
	s_mov_b32 s8, 0x7f800000
	v_mov_b32_e32 v5, 0x7c
	v_mov_b32_e32 v6, 0x7f
	v_cmp_lt_u32_e32 vcc, s8, v9
	s_nop 1
	v_cndmask_b32_e32 v5, v5, v6, vcc
; %bb.1725:
	s_or_b64 exec, exec, s[6:7]
	v_lshrrev_b32_e32 v1, 8, v1
	s_movk_i32 s6, 0x80
	v_and_or_b32 v1, v1, s6, v5
	global_store_byte v[2:3], v1, off
.LBB272_1726:
	s_mov_b64 s[6:7], 0
	s_mov_b64 s[8:9], -1
.LBB272_1727:
	s_andn2_b64 vcc, exec, s[6:7]
	s_mov_b64 s[6:7], 0
	s_cbranch_vccnz .LBB272_1734
; %bb.1728:
	s_cmp_gt_i32 s19, 14
	s_mov_b64 s[10:11], -1
	s_cbranch_scc0 .LBB272_1732
; %bb.1729:
	s_cmp_eq_u32 s19, 15
	s_mov_b64 s[0:1], -1
	s_cbranch_scc0 .LBB272_1731
; %bb.1730:
	global_store_short v[2:3], v4, off
	s_mov_b64 s[0:1], 0
	s_mov_b64 s[8:9], -1
.LBB272_1731:
	s_mov_b64 s[10:11], 0
.LBB272_1732:
	s_and_b64 vcc, exec, s[10:11]
	s_cbranch_vccz .LBB272_1734
; %bb.1733:
	s_cmp_lg_u32 s19, 11
	s_mov_b64 s[6:7], -1
	s_cselect_b64 s[0:1], -1, 0
.LBB272_1734:
	s_and_b64 vcc, exec, s[0:1]
	s_cbranch_vccnz .LBB272_2028
; %bb.1735:
	s_andn2_b64 vcc, exec, s[6:7]
	s_cbranch_vccnz .LBB272_1737
.LBB272_1736:
	v_and_b32_e32 v1, 0x7fff, v4
	v_cmp_ne_u16_e32 vcc, 0, v1
	s_mov_b64 s[8:9], -1
	s_nop 0
	v_cndmask_b32_e64 v1, 0, 1, vcc
	global_store_byte v[2:3], v1, off
.LBB272_1737:
	s_mov_b64 s[0:1], 0
	s_branch .LBB272_1739
.LBB272_1738:
	s_mov_b64 s[0:1], -1
	s_mov_b64 s[8:9], 0
.LBB272_1739:
	s_and_b64 vcc, exec, s[0:1]
	s_cbranch_vccz .LBB272_1778
; %bb.1740:
	s_and_b32 s6, 0xffff, s20
	s_cmp_lt_i32 s6, 5
	s_mov_b64 s[0:1], -1
	s_cbranch_scc1 .LBB272_1761
; %bb.1741:
	s_cmp_lt_i32 s6, 8
	s_cbranch_scc1 .LBB272_1751
; %bb.1742:
	s_cmp_lt_i32 s6, 9
	s_cbranch_scc1 .LBB272_1748
; %bb.1743:
	s_cmp_gt_i32 s6, 9
	s_cbranch_scc0 .LBB272_1745
; %bb.1744:
	v_lshlrev_b32_e32 v1, 16, v4
	v_mov_b32_e32 v12, 0
	v_cvt_f64_f32_e32 v[10:11], v1
	v_mov_b32_e32 v13, v12
	global_store_dwordx4 v[2:3], v[10:13], off
	s_mov_b64 s[0:1], 0
.LBB272_1745:
	s_andn2_b64 vcc, exec, s[0:1]
	s_cbranch_vccnz .LBB272_1747
; %bb.1746:
	v_lshlrev_b32_e32 v10, 16, v4
	v_mov_b32_e32 v11, 0
	global_store_dwordx2 v[2:3], v[10:11], off
.LBB272_1747:
	s_mov_b64 s[0:1], 0
.LBB272_1748:
	s_andn2_b64 vcc, exec, s[0:1]
	s_cbranch_vccnz .LBB272_1750
; %bb.1749:
	v_lshlrev_b32_e32 v1, 16, v4
	v_cvt_f16_f32_e32 v1, v1
	global_store_dword v[2:3], v1, off
.LBB272_1750:
	s_mov_b64 s[0:1], 0
.LBB272_1751:
	s_andn2_b64 vcc, exec, s[0:1]
	s_cbranch_vccnz .LBB272_1760
; %bb.1752:
	s_cmp_lt_i32 s6, 6
	s_mov_b64 s[0:1], -1
	s_cbranch_scc1 .LBB272_1758
; %bb.1753:
	s_cmp_gt_i32 s6, 6
	s_cbranch_scc0 .LBB272_1755
; %bb.1754:
	v_lshlrev_b32_e32 v1, 16, v4
	v_cvt_f64_f32_e32 v[10:11], v1
	global_store_dwordx2 v[2:3], v[10:11], off
	s_mov_b64 s[0:1], 0
.LBB272_1755:
	s_andn2_b64 vcc, exec, s[0:1]
	s_cbranch_vccnz .LBB272_1757
; %bb.1756:
	v_lshlrev_b32_e32 v1, 16, v4
	global_store_dword v[2:3], v1, off
.LBB272_1757:
	s_mov_b64 s[0:1], 0
.LBB272_1758:
	s_andn2_b64 vcc, exec, s[0:1]
	s_cbranch_vccnz .LBB272_1760
; %bb.1759:
	v_lshlrev_b32_e32 v1, 16, v4
	v_cvt_f16_f32_e32 v1, v1
	global_store_short v[2:3], v1, off
.LBB272_1760:
	s_mov_b64 s[0:1], 0
.LBB272_1761:
	s_andn2_b64 vcc, exec, s[0:1]
	s_cbranch_vccnz .LBB272_1777
; %bb.1762:
	s_cmp_lt_i32 s6, 2
	s_mov_b64 s[0:1], -1
	s_cbranch_scc1 .LBB272_1772
; %bb.1763:
	s_cmp_lt_i32 s6, 3
	s_cbranch_scc1 .LBB272_1769
; %bb.1764:
	s_cmp_gt_i32 s6, 3
	s_cbranch_scc0 .LBB272_1766
; %bb.1765:
	v_lshlrev_b32_e32 v1, 16, v4
	v_trunc_f32_e32 v1, v1
	s_mov_b32 s0, 0x2f800000
	v_mul_f32_e64 v5, |v1|, s0
	v_floor_f32_e32 v5, v5
	s_mov_b32 s0, 0xcf800000
	v_cvt_u32_f32_e32 v6, v5
	v_fma_f32 v5, v5, s0, |v1|
	v_cvt_u32_f32_e32 v5, v5
	v_ashrrev_i32_e32 v1, 31, v1
	v_xor_b32_e32 v6, v6, v1
	s_mov_b64 s[0:1], 0
	v_xor_b32_e32 v5, v5, v1
	v_sub_co_u32_e32 v10, vcc, v5, v1
	s_nop 1
	v_subb_co_u32_e32 v11, vcc, v6, v1, vcc
	global_store_dwordx2 v[2:3], v[10:11], off
.LBB272_1766:
	s_andn2_b64 vcc, exec, s[0:1]
	s_cbranch_vccnz .LBB272_1768
; %bb.1767:
	v_lshlrev_b32_e32 v1, 16, v4
	v_cvt_i32_f32_e32 v1, v1
	global_store_dword v[2:3], v1, off
.LBB272_1768:
	s_mov_b64 s[0:1], 0
.LBB272_1769:
	s_andn2_b64 vcc, exec, s[0:1]
	s_cbranch_vccnz .LBB272_1771
; %bb.1770:
	v_lshlrev_b32_e32 v1, 16, v4
	v_cvt_i32_f32_e32 v1, v1
	global_store_short v[2:3], v1, off
.LBB272_1771:
	s_mov_b64 s[0:1], 0
.LBB272_1772:
	s_andn2_b64 vcc, exec, s[0:1]
	s_cbranch_vccnz .LBB272_1777
; %bb.1773:
	s_mov_b64 s[0:1], -1
	s_cmp_gt_i32 s6, 0
	v_lshlrev_b32_e32 v1, 16, v4
	s_cbranch_scc0 .LBB272_1775
; %bb.1774:
	v_cvt_i32_f32_e32 v4, v1
	s_mov_b64 s[0:1], 0
	global_store_byte v[2:3], v4, off
.LBB272_1775:
	s_andn2_b64 vcc, exec, s[0:1]
	s_cbranch_vccnz .LBB272_1777
; %bb.1776:
	v_trunc_f32_e32 v1, v1
	s_mov_b32 s0, 0x2f800000
	v_mul_f32_e64 v4, |v1|, s0
	v_floor_f32_e32 v4, v4
	s_mov_b32 s0, 0xcf800000
	v_fma_f32 v4, v4, s0, |v1|
	v_cvt_u32_f32_e32 v4, v4
	v_ashrrev_i32_e32 v1, 31, v1
	v_xor_b32_e32 v4, v4, v1
	v_sub_u32_e32 v1, v4, v1
	global_store_byte v[2:3], v1, off
.LBB272_1777:
	s_mov_b64 s[8:9], -1
.LBB272_1778:
	s_andn2_b64 vcc, exec, s[8:9]
	s_cbranch_vccnz .LBB272_1974
; %bb.1779:
	v_lshlrev_b32_e32 v1, 16, v7
	s_mov_b32 s0, 0xf800000
	v_mul_f32_e32 v2, 0x4f800000, v1
	v_cmp_gt_f32_e32 vcc, s0, v1
	v_add_u32_e32 v0, s18, v0
	s_cmp_lt_i32 s20, 11
	v_cndmask_b32_e32 v2, v1, v2, vcc
	v_sqrt_f32_e32 v3, v2
	s_nop 0
	v_add_u32_e32 v4, -1, v3
	v_fma_f32 v5, -v4, v3, v2
	v_cmp_ge_f32_e64 s[0:1], 0, v5
	v_add_u32_e32 v5, 1, v3
	s_nop 0
	v_cndmask_b32_e64 v4, v3, v4, s[0:1]
	v_fma_f32 v3, -v5, v3, v2
	v_cmp_lt_f32_e64 s[0:1], 0, v3
	s_nop 1
	v_cndmask_b32_e64 v3, v4, v5, s[0:1]
	v_mul_f32_e32 v4, 0x37800000, v3
	v_cndmask_b32_e32 v3, v3, v4, vcc
	v_mov_b32_e32 v4, 0x260
	v_cmp_class_f32_e32 vcc, v2, v4
	s_movk_i32 s0, 0x7fff
	s_nop 0
	v_cndmask_b32_e32 v2, v3, v2, vcc
	v_bfe_u32 v3, v2, 16, 1
	v_add3_u32 v2, v2, v3, s0
	v_cmp_le_f32_e32 vcc, 0, v1
	v_mov_b32_e32 v1, 0x7fc0
	s_nop 0
	v_cndmask_b32_sdwa v4, v1, v2, vcc dst_sel:DWORD dst_unused:UNUSED_PAD src0_sel:DWORD src1_sel:WORD_1
	v_ashrrev_i32_e32 v1, 31, v0
	v_lshl_add_u64 v[2:3], s[4:5], 0, v[0:1]
	s_cbranch_scc1 .LBB272_1857
; %bb.1780:
	s_and_b32 s19, 0xffff, s20
	s_mov_b64 s[10:11], -1
	s_mov_b64 s[6:7], 0
	s_cmp_gt_i32 s19, 25
	s_mov_b64 s[8:9], 0
	s_mov_b64 s[0:1], 0
	s_cbranch_scc0 .LBB272_1813
; %bb.1781:
	s_cmp_gt_i32 s19, 28
	s_cbranch_scc0 .LBB272_1796
; %bb.1782:
	s_cmp_gt_i32 s19, 43
	;; [unrolled: 3-line block ×3, first 2 shown]
	s_cbranch_scc0 .LBB272_1786
; %bb.1784:
	s_mov_b64 s[0:1], -1
	s_mov_b64 s[10:11], 0
	s_cmp_eq_u32 s19, 46
	s_cbranch_scc0 .LBB272_1786
; %bb.1785:
	v_and_b32_e32 v1, 0xffff, v4
	global_store_dword v[2:3], v1, off
	s_mov_b64 s[0:1], 0
	s_mov_b64 s[8:9], -1
.LBB272_1786:
	s_and_b64 vcc, exec, s[10:11]
	s_cbranch_vccz .LBB272_1791
; %bb.1787:
	s_cmp_eq_u32 s19, 44
	s_mov_b64 s[0:1], -1
	s_cbranch_scc0 .LBB272_1791
; %bb.1788:
	v_and_b32_e32 v5, 0xffff, v4
	v_bfe_u32 v1, v5, 7, 8
	s_movk_i32 s0, 0xff
	v_cmp_ne_u32_e32 vcc, s0, v1
	v_mov_b32_e32 v6, 0xff
	s_and_saveexec_b64 s[8:9], vcc
	s_cbranch_execz .LBB272_1790
; %bb.1789:
	v_lshlrev_b32_e32 v7, 16, v5
	s_mov_b32 s0, 0x3f0000
	v_lshrrev_b32_e32 v6, 7, v5
	v_and_b32_e32 v5, 64, v5
	v_and_or_b32 v1, v7, s0, v1
	v_cmp_ne_u32_e32 vcc, 0, v5
	v_cmp_ne_u32_e64 s[0:1], 0, v1
	s_and_b64 s[0:1], vcc, s[0:1]
	s_nop 0
	v_cndmask_b32_e64 v1, 0, 1, s[0:1]
	v_add_u32_e32 v6, v6, v1
.LBB272_1790:
	s_or_b64 exec, exec, s[8:9]
	s_mov_b64 s[0:1], 0
	s_mov_b64 s[8:9], -1
	global_store_byte v[2:3], v6, off
.LBB272_1791:
	s_mov_b64 s[10:11], 0
.LBB272_1792:
	s_and_b64 vcc, exec, s[10:11]
	s_cbranch_vccz .LBB272_1795
; %bb.1793:
	s_cmp_eq_u32 s19, 29
	s_mov_b64 s[0:1], -1
	s_cbranch_scc0 .LBB272_1795
; %bb.1794:
	v_lshlrev_b32_e32 v1, 16, v4
	v_trunc_f32_e32 v1, v1
	v_mul_f32_e32 v5, 0x2f800000, v1
	v_floor_f32_e32 v5, v5
	v_fmamk_f32 v1, v5, 0xcf800000, v1
	v_cvt_u32_f32_e32 v7, v5
	v_cvt_u32_f32_e32 v6, v1
	s_mov_b64 s[0:1], 0
	s_mov_b64 s[8:9], -1
	global_store_dwordx2 v[2:3], v[6:7], off
.LBB272_1795:
	s_mov_b64 s[10:11], 0
.LBB272_1796:
	s_and_b64 vcc, exec, s[10:11]
	s_cbranch_vccz .LBB272_1812
; %bb.1797:
	s_cmp_lt_i32 s19, 27
	s_mov_b64 s[8:9], -1
	s_cbranch_scc1 .LBB272_1803
; %bb.1798:
	s_cmp_gt_i32 s19, 27
	s_cbranch_scc0 .LBB272_1800
; %bb.1799:
	v_lshlrev_b32_e32 v1, 16, v4
	v_cvt_u32_f32_e32 v1, v1
	s_mov_b64 s[8:9], 0
	global_store_dword v[2:3], v1, off
.LBB272_1800:
	s_andn2_b64 vcc, exec, s[8:9]
	s_cbranch_vccnz .LBB272_1802
; %bb.1801:
	v_lshlrev_b32_e32 v1, 16, v4
	v_cvt_u32_f32_e32 v1, v1
	global_store_short v[2:3], v1, off
.LBB272_1802:
	s_mov_b64 s[8:9], 0
.LBB272_1803:
	s_andn2_b64 vcc, exec, s[8:9]
	s_cbranch_vccnz .LBB272_1811
; %bb.1804:
	v_lshlrev_b32_e32 v6, 16, v4
	v_and_b32_e32 v5, 0x7fffffff, v6
	s_mov_b32 s8, 0x43800000
	v_cmp_gt_u32_e32 vcc, s8, v5
	v_mov_b32_e32 v7, 0x80
	s_and_saveexec_b64 s[8:9], vcc
	s_cbranch_execz .LBB272_1810
; %bb.1805:
	s_mov_b32 s10, 0x3bffffff
	v_and_b32_e32 v1, 0xffff, v4
	v_cmp_lt_u32_e32 vcc, s10, v5
	s_mov_b64 s[10:11], 0
                                        ; implicit-def: $vgpr5
	s_and_saveexec_b64 s[16:17], vcc
	s_xor_b64 s[16:17], exec, s[16:17]
	s_cbranch_execz .LBB272_2031
; %bb.1806:
	v_bfe_u32 v5, v1, 4, 1
	s_mov_b32 s21, 0x487ffff
	v_add3_u32 v5, v6, v5, s21
	s_mov_b64 s[10:11], exec
	v_lshrrev_b32_e32 v5, 20, v5
                                        ; implicit-def: $vgpr6
	s_andn2_saveexec_b64 s[16:17], s[16:17]
	s_cbranch_execnz .LBB272_2032
.LBB272_1807:
	s_or_b64 exec, exec, s[16:17]
	v_mov_b32_e32 v7, 0
	s_and_saveexec_b64 s[16:17], s[10:11]
.LBB272_1808:
	v_lshrrev_b32_e32 v1, 8, v1
	s_movk_i32 s10, 0x80
	v_and_or_b32 v7, v1, s10, v5
.LBB272_1809:
	s_or_b64 exec, exec, s[16:17]
.LBB272_1810:
	s_or_b64 exec, exec, s[8:9]
	global_store_byte v[2:3], v7, off
.LBB272_1811:
	s_mov_b64 s[8:9], -1
.LBB272_1812:
	s_mov_b64 s[10:11], 0
.LBB272_1813:
	s_and_b64 vcc, exec, s[10:11]
	s_cbranch_vccz .LBB272_1853
; %bb.1814:
	s_cmp_gt_i32 s19, 22
	s_mov_b64 s[6:7], -1
	s_cbranch_scc0 .LBB272_1846
; %bb.1815:
	s_cmp_lt_i32 s19, 24
	s_cbranch_scc1 .LBB272_1835
; %bb.1816:
	s_cmp_gt_i32 s19, 24
	s_cbranch_scc0 .LBB272_1824
; %bb.1817:
	v_lshlrev_b32_e32 v6, 16, v4
	v_and_b32_e32 v5, 0x7fffffff, v6
	s_mov_b32 s6, 0x47800000
	v_cmp_gt_u32_e32 vcc, s6, v5
	v_mov_b32_e32 v7, 0x80
	s_and_saveexec_b64 s[6:7], vcc
	s_cbranch_execz .LBB272_1823
; %bb.1818:
	s_mov_b32 s8, 0x37ffffff
	v_and_b32_e32 v1, 0xffff, v4
	v_cmp_lt_u32_e32 vcc, s8, v5
	s_mov_b64 s[8:9], 0
                                        ; implicit-def: $vgpr5
	s_and_saveexec_b64 s[10:11], vcc
	s_xor_b64 s[10:11], exec, s[10:11]
	s_cbranch_execz .LBB272_2034
; %bb.1819:
	v_bfe_u32 v5, v1, 5, 1
	s_mov_b32 s16, 0x88fffff
	v_add3_u32 v5, v6, v5, s16
	s_mov_b64 s[8:9], exec
	v_lshrrev_b32_e32 v5, 21, v5
                                        ; implicit-def: $vgpr6
	s_andn2_saveexec_b64 s[10:11], s[10:11]
	s_cbranch_execnz .LBB272_2035
.LBB272_1820:
	s_or_b64 exec, exec, s[10:11]
	v_mov_b32_e32 v7, 0
	s_and_saveexec_b64 s[10:11], s[8:9]
.LBB272_1821:
	v_lshrrev_b32_e32 v1, 8, v1
	s_movk_i32 s8, 0x80
	v_and_or_b32 v7, v1, s8, v5
.LBB272_1822:
	s_or_b64 exec, exec, s[10:11]
.LBB272_1823:
	s_or_b64 exec, exec, s[6:7]
	s_mov_b64 s[6:7], 0
	global_store_byte v[2:3], v7, off
.LBB272_1824:
	s_and_b64 vcc, exec, s[6:7]
	s_cbranch_vccz .LBB272_1834
; %bb.1825:
	v_lshlrev_b32_e32 v6, 16, v4
	v_and_b32_e32 v7, 0x7fffffff, v6
	s_mov_b32 s6, 0x43f00000
	v_and_b32_e32 v1, 0xffff, v4
	v_cmp_gt_u32_e32 vcc, s6, v7
                                        ; implicit-def: $vgpr5
	s_and_saveexec_b64 s[6:7], vcc
	s_xor_b64 s[6:7], exec, s[6:7]
	s_cbranch_execz .LBB272_1831
; %bb.1826:
	s_mov_b32 s8, 0x3c7fffff
	v_cmp_lt_u32_e32 vcc, s8, v7
                                        ; implicit-def: $vgpr5
	s_and_saveexec_b64 s[8:9], vcc
	s_xor_b64 s[8:9], exec, s[8:9]
; %bb.1827:
	v_bfe_u32 v5, v1, 4, 1
	s_mov_b32 s10, 0x407ffff
	v_add3_u32 v5, v6, v5, s10
	v_lshrrev_b32_e32 v6, 20, v5
	v_and_b32_e32 v5, 0xff00000, v5
	s_mov_b32 s10, 0x7f00000
	v_mov_b32_e32 v7, 0x7e
	v_cmp_ne_u32_e32 vcc, s10, v5
	s_nop 1
	v_cndmask_b32_e32 v5, v7, v6, vcc
                                        ; implicit-def: $vgpr6
; %bb.1828:
	s_andn2_saveexec_b64 s[8:9], s[8:9]
; %bb.1829:
	s_mov_b32 s10, 0x46800000
	v_add_f32_e64 v5, |v6|, s10
; %bb.1830:
	s_or_b64 exec, exec, s[8:9]
                                        ; implicit-def: $vgpr7
.LBB272_1831:
	s_andn2_saveexec_b64 s[6:7], s[6:7]
; %bb.1832:
	s_mov_b32 s8, 0x7f800000
	v_mov_b32_e32 v5, 0x7e
	v_mov_b32_e32 v6, 0x7f
	v_cmp_lt_u32_e32 vcc, s8, v7
	s_nop 1
	v_cndmask_b32_e32 v5, v5, v6, vcc
; %bb.1833:
	s_or_b64 exec, exec, s[6:7]
	v_lshrrev_b32_e32 v1, 8, v1
	s_movk_i32 s6, 0x80
	v_and_or_b32 v1, v1, s6, v5
	global_store_byte v[2:3], v1, off
.LBB272_1834:
	s_mov_b64 s[6:7], 0
.LBB272_1835:
	s_andn2_b64 vcc, exec, s[6:7]
	s_cbranch_vccnz .LBB272_1845
; %bb.1836:
	v_lshlrev_b32_e32 v6, 16, v4
	v_and_b32_e32 v7, 0x7fffffff, v6
	s_mov_b32 s6, 0x47800000
	v_and_b32_e32 v1, 0xffff, v4
	v_cmp_gt_u32_e32 vcc, s6, v7
                                        ; implicit-def: $vgpr5
	s_and_saveexec_b64 s[6:7], vcc
	s_xor_b64 s[6:7], exec, s[6:7]
	s_cbranch_execz .LBB272_1842
; %bb.1837:
	s_mov_b32 s8, 0x387fffff
	v_cmp_lt_u32_e32 vcc, s8, v7
                                        ; implicit-def: $vgpr5
	s_and_saveexec_b64 s[8:9], vcc
	s_xor_b64 s[8:9], exec, s[8:9]
; %bb.1838:
	v_bfe_u32 v5, v1, 5, 1
	s_mov_b32 s10, 0x80fffff
	v_add3_u32 v5, v6, v5, s10
	v_lshrrev_b32_e32 v5, 21, v5
                                        ; implicit-def: $vgpr6
; %bb.1839:
	s_andn2_saveexec_b64 s[8:9], s[8:9]
; %bb.1840:
	s_mov_b32 s10, 0x43000000
	v_add_f32_e64 v5, |v6|, s10
; %bb.1841:
	s_or_b64 exec, exec, s[8:9]
                                        ; implicit-def: $vgpr7
.LBB272_1842:
	s_andn2_saveexec_b64 s[6:7], s[6:7]
; %bb.1843:
	s_mov_b32 s8, 0x7f800000
	v_mov_b32_e32 v5, 0x7c
	v_mov_b32_e32 v6, 0x7f
	v_cmp_lt_u32_e32 vcc, s8, v7
	s_nop 1
	v_cndmask_b32_e32 v5, v5, v6, vcc
; %bb.1844:
	s_or_b64 exec, exec, s[6:7]
	v_lshrrev_b32_e32 v1, 8, v1
	s_movk_i32 s6, 0x80
	v_and_or_b32 v1, v1, s6, v5
	global_store_byte v[2:3], v1, off
.LBB272_1845:
	s_mov_b64 s[6:7], 0
	s_mov_b64 s[8:9], -1
.LBB272_1846:
	s_andn2_b64 vcc, exec, s[6:7]
	s_mov_b64 s[6:7], 0
	s_cbranch_vccnz .LBB272_1853
; %bb.1847:
	s_cmp_gt_i32 s19, 14
	s_mov_b64 s[10:11], -1
	s_cbranch_scc0 .LBB272_1851
; %bb.1848:
	s_cmp_eq_u32 s19, 15
	s_mov_b64 s[0:1], -1
	s_cbranch_scc0 .LBB272_1850
; %bb.1849:
	global_store_short v[2:3], v4, off
	s_mov_b64 s[0:1], 0
	s_mov_b64 s[8:9], -1
.LBB272_1850:
	s_mov_b64 s[10:11], 0
.LBB272_1851:
	s_and_b64 vcc, exec, s[10:11]
	s_cbranch_vccz .LBB272_1853
; %bb.1852:
	s_cmp_lg_u32 s19, 11
	s_mov_b64 s[6:7], -1
	s_cselect_b64 s[0:1], -1, 0
.LBB272_1853:
	s_and_b64 vcc, exec, s[0:1]
	s_cbranch_vccnz .LBB272_2033
; %bb.1854:
	s_andn2_b64 vcc, exec, s[6:7]
	s_cbranch_vccnz .LBB272_1856
.LBB272_1855:
	v_and_b32_e32 v1, 0x7fff, v4
	v_cmp_ne_u16_e32 vcc, 0, v1
	s_mov_b64 s[8:9], -1
	s_nop 0
	v_cndmask_b32_e64 v1, 0, 1, vcc
	global_store_byte v[2:3], v1, off
.LBB272_1856:
	s_mov_b64 s[0:1], 0
	s_branch .LBB272_1858
.LBB272_1857:
	s_mov_b64 s[0:1], -1
	s_mov_b64 s[8:9], 0
.LBB272_1858:
	s_and_b64 vcc, exec, s[0:1]
	s_cbranch_vccz .LBB272_1897
; %bb.1859:
	s_and_b32 s6, 0xffff, s20
	s_cmp_lt_i32 s6, 5
	s_mov_b64 s[0:1], -1
	s_cbranch_scc1 .LBB272_1880
; %bb.1860:
	s_cmp_lt_i32 s6, 8
	s_cbranch_scc1 .LBB272_1870
; %bb.1861:
	s_cmp_lt_i32 s6, 9
	s_cbranch_scc1 .LBB272_1867
; %bb.1862:
	s_cmp_gt_i32 s6, 9
	s_cbranch_scc0 .LBB272_1864
; %bb.1863:
	v_lshlrev_b32_e32 v1, 16, v4
	v_mov_b32_e32 v12, 0
	v_cvt_f64_f32_e32 v[10:11], v1
	v_mov_b32_e32 v13, v12
	global_store_dwordx4 v[2:3], v[10:13], off
	s_mov_b64 s[0:1], 0
.LBB272_1864:
	s_andn2_b64 vcc, exec, s[0:1]
	s_cbranch_vccnz .LBB272_1866
; %bb.1865:
	v_lshlrev_b32_e32 v6, 16, v4
	v_mov_b32_e32 v7, 0
	global_store_dwordx2 v[2:3], v[6:7], off
.LBB272_1866:
	s_mov_b64 s[0:1], 0
.LBB272_1867:
	s_andn2_b64 vcc, exec, s[0:1]
	s_cbranch_vccnz .LBB272_1869
; %bb.1868:
	v_lshlrev_b32_e32 v1, 16, v4
	v_cvt_f16_f32_e32 v1, v1
	global_store_dword v[2:3], v1, off
.LBB272_1869:
	s_mov_b64 s[0:1], 0
.LBB272_1870:
	s_andn2_b64 vcc, exec, s[0:1]
	s_cbranch_vccnz .LBB272_1879
; %bb.1871:
	s_cmp_lt_i32 s6, 6
	s_mov_b64 s[0:1], -1
	s_cbranch_scc1 .LBB272_1877
; %bb.1872:
	s_cmp_gt_i32 s6, 6
	s_cbranch_scc0 .LBB272_1874
; %bb.1873:
	v_lshlrev_b32_e32 v1, 16, v4
	v_cvt_f64_f32_e32 v[6:7], v1
	global_store_dwordx2 v[2:3], v[6:7], off
	s_mov_b64 s[0:1], 0
.LBB272_1874:
	s_andn2_b64 vcc, exec, s[0:1]
	s_cbranch_vccnz .LBB272_1876
; %bb.1875:
	v_lshlrev_b32_e32 v1, 16, v4
	global_store_dword v[2:3], v1, off
.LBB272_1876:
	s_mov_b64 s[0:1], 0
.LBB272_1877:
	s_andn2_b64 vcc, exec, s[0:1]
	s_cbranch_vccnz .LBB272_1879
; %bb.1878:
	v_lshlrev_b32_e32 v1, 16, v4
	v_cvt_f16_f32_e32 v1, v1
	global_store_short v[2:3], v1, off
.LBB272_1879:
	s_mov_b64 s[0:1], 0
.LBB272_1880:
	s_andn2_b64 vcc, exec, s[0:1]
	s_cbranch_vccnz .LBB272_1896
; %bb.1881:
	s_cmp_lt_i32 s6, 2
	s_mov_b64 s[0:1], -1
	s_cbranch_scc1 .LBB272_1891
; %bb.1882:
	s_cmp_lt_i32 s6, 3
	s_cbranch_scc1 .LBB272_1888
; %bb.1883:
	s_cmp_gt_i32 s6, 3
	s_cbranch_scc0 .LBB272_1885
; %bb.1884:
	v_lshlrev_b32_e32 v1, 16, v4
	v_trunc_f32_e32 v1, v1
	s_mov_b32 s0, 0x2f800000
	v_mul_f32_e64 v5, |v1|, s0
	v_floor_f32_e32 v5, v5
	s_mov_b32 s0, 0xcf800000
	v_cvt_u32_f32_e32 v6, v5
	v_fma_f32 v5, v5, s0, |v1|
	v_cvt_u32_f32_e32 v5, v5
	v_ashrrev_i32_e32 v1, 31, v1
	v_xor_b32_e32 v7, v6, v1
	s_mov_b64 s[0:1], 0
	v_xor_b32_e32 v5, v5, v1
	v_sub_co_u32_e32 v6, vcc, v5, v1
	s_nop 1
	v_subb_co_u32_e32 v7, vcc, v7, v1, vcc
	global_store_dwordx2 v[2:3], v[6:7], off
.LBB272_1885:
	s_andn2_b64 vcc, exec, s[0:1]
	s_cbranch_vccnz .LBB272_1887
; %bb.1886:
	v_lshlrev_b32_e32 v1, 16, v4
	v_cvt_i32_f32_e32 v1, v1
	global_store_dword v[2:3], v1, off
.LBB272_1887:
	s_mov_b64 s[0:1], 0
.LBB272_1888:
	s_andn2_b64 vcc, exec, s[0:1]
	s_cbranch_vccnz .LBB272_1890
; %bb.1889:
	v_lshlrev_b32_e32 v1, 16, v4
	v_cvt_i32_f32_e32 v1, v1
	global_store_short v[2:3], v1, off
.LBB272_1890:
	s_mov_b64 s[0:1], 0
.LBB272_1891:
	s_andn2_b64 vcc, exec, s[0:1]
	s_cbranch_vccnz .LBB272_1896
; %bb.1892:
	s_mov_b64 s[0:1], -1
	s_cmp_gt_i32 s6, 0
	v_lshlrev_b32_e32 v1, 16, v4
	s_cbranch_scc0 .LBB272_1894
; %bb.1893:
	v_cvt_i32_f32_e32 v4, v1
	s_mov_b64 s[0:1], 0
	global_store_byte v[2:3], v4, off
.LBB272_1894:
	s_andn2_b64 vcc, exec, s[0:1]
	s_cbranch_vccnz .LBB272_1896
; %bb.1895:
	v_trunc_f32_e32 v1, v1
	s_mov_b32 s0, 0x2f800000
	v_mul_f32_e64 v4, |v1|, s0
	v_floor_f32_e32 v4, v4
	s_mov_b32 s0, 0xcf800000
	v_fma_f32 v4, v4, s0, |v1|
	v_cvt_u32_f32_e32 v4, v4
	v_ashrrev_i32_e32 v1, 31, v1
	v_xor_b32_e32 v4, v4, v1
	v_sub_u32_e32 v1, v4, v1
	global_store_byte v[2:3], v1, off
.LBB272_1896:
	s_mov_b64 s[8:9], -1
.LBB272_1897:
	s_andn2_b64 vcc, exec, s[8:9]
	s_cbranch_vccnz .LBB272_1974
; %bb.1898:
	v_lshlrev_b32_e32 v1, 16, v8
	s_mov_b32 s0, 0xf800000
	v_mul_f32_e32 v2, 0x4f800000, v1
	v_cmp_gt_f32_e32 vcc, s0, v1
	v_add_u32_e32 v0, s18, v0
	s_cmp_lt_i32 s20, 11
	v_cndmask_b32_e32 v2, v1, v2, vcc
	v_sqrt_f32_e32 v3, v2
	s_nop 0
	v_add_u32_e32 v4, -1, v3
	v_fma_f32 v5, -v4, v3, v2
	v_cmp_ge_f32_e64 s[0:1], 0, v5
	v_add_u32_e32 v5, 1, v3
	s_nop 0
	v_cndmask_b32_e64 v4, v3, v4, s[0:1]
	v_fma_f32 v3, -v5, v3, v2
	v_cmp_lt_f32_e64 s[0:1], 0, v3
	s_nop 1
	v_cndmask_b32_e64 v3, v4, v5, s[0:1]
	v_mul_f32_e32 v4, 0x37800000, v3
	v_cndmask_b32_e32 v3, v3, v4, vcc
	v_mov_b32_e32 v4, 0x260
	v_cmp_class_f32_e32 vcc, v2, v4
	s_movk_i32 s0, 0x7fff
	s_nop 0
	v_cndmask_b32_e32 v2, v3, v2, vcc
	v_bfe_u32 v3, v2, 16, 1
	v_add3_u32 v2, v2, v3, s0
	v_cmp_le_f32_e32 vcc, 0, v1
	v_mov_b32_e32 v1, 0x7fc0
	s_nop 0
	v_cndmask_b32_sdwa v2, v1, v2, vcc dst_sel:DWORD dst_unused:UNUSED_PAD src0_sel:DWORD src1_sel:WORD_1
	v_ashrrev_i32_e32 v1, 31, v0
	v_lshl_add_u64 v[0:1], s[4:5], 0, v[0:1]
	s_cbranch_scc1 .LBB272_2019
; %bb.1899:
	s_and_b32 s16, 0xffff, s20
	s_mov_b64 s[6:7], -1
	s_mov_b64 s[4:5], 0
	s_cmp_gt_i32 s16, 25
	s_mov_b64 s[0:1], 0
	s_cbranch_scc0 .LBB272_1932
; %bb.1900:
	s_cmp_gt_i32 s16, 28
	s_cbranch_scc0 .LBB272_1916
; %bb.1901:
	s_cmp_gt_i32 s16, 43
	;; [unrolled: 3-line block ×3, first 2 shown]
	s_cbranch_scc0 .LBB272_1906
; %bb.1903:
	s_cmp_eq_u32 s16, 46
	s_mov_b64 s[0:1], -1
	s_cbranch_scc0 .LBB272_1905
; %bb.1904:
	v_and_b32_e32 v3, 0xffff, v2
	global_store_dword v[0:1], v3, off
	s_mov_b64 s[0:1], 0
.LBB272_1905:
	s_mov_b64 s[6:7], 0
.LBB272_1906:
	s_and_b64 vcc, exec, s[6:7]
	s_cbranch_vccz .LBB272_1911
; %bb.1907:
	s_cmp_eq_u32 s16, 44
	s_mov_b64 s[0:1], -1
	s_cbranch_scc0 .LBB272_1911
; %bb.1908:
	v_and_b32_e32 v4, 0xffff, v2
	v_bfe_u32 v3, v4, 7, 8
	s_movk_i32 s0, 0xff
	v_cmp_ne_u32_e32 vcc, s0, v3
	v_mov_b32_e32 v5, 0xff
	s_and_saveexec_b64 s[6:7], vcc
	s_cbranch_execz .LBB272_1910
; %bb.1909:
	v_lshlrev_b32_e32 v6, 16, v4
	s_mov_b32 s0, 0x3f0000
	v_lshrrev_b32_e32 v5, 7, v4
	v_and_b32_e32 v4, 64, v4
	v_and_or_b32 v3, v6, s0, v3
	v_cmp_ne_u32_e32 vcc, 0, v4
	v_cmp_ne_u32_e64 s[0:1], 0, v3
	s_and_b64 s[0:1], vcc, s[0:1]
	s_nop 0
	v_cndmask_b32_e64 v3, 0, 1, s[0:1]
	v_add_u32_e32 v5, v5, v3
.LBB272_1910:
	s_or_b64 exec, exec, s[6:7]
	s_mov_b64 s[0:1], 0
	global_store_byte v[0:1], v5, off
.LBB272_1911:
	s_mov_b64 s[6:7], 0
.LBB272_1912:
	s_and_b64 vcc, exec, s[6:7]
	s_cbranch_vccz .LBB272_1915
; %bb.1913:
	s_cmp_eq_u32 s16, 29
	s_mov_b64 s[0:1], -1
	s_cbranch_scc0 .LBB272_1915
; %bb.1914:
	v_lshlrev_b32_e32 v3, 16, v2
	v_trunc_f32_e32 v3, v3
	v_mul_f32_e32 v4, 0x2f800000, v3
	v_floor_f32_e32 v4, v4
	v_fmamk_f32 v3, v4, 0xcf800000, v3
	v_cvt_u32_f32_e32 v5, v4
	v_cvt_u32_f32_e32 v4, v3
	s_mov_b64 s[0:1], 0
	global_store_dwordx2 v[0:1], v[4:5], off
.LBB272_1915:
	s_mov_b64 s[6:7], 0
.LBB272_1916:
	s_and_b64 vcc, exec, s[6:7]
	s_cbranch_vccz .LBB272_1931
; %bb.1917:
	s_cmp_lt_i32 s16, 27
	s_mov_b64 s[6:7], -1
	s_cbranch_scc1 .LBB272_1923
; %bb.1918:
	s_cmp_gt_i32 s16, 27
	s_cbranch_scc0 .LBB272_1920
; %bb.1919:
	v_lshlrev_b32_e32 v3, 16, v2
	v_cvt_u32_f32_e32 v3, v3
	s_mov_b64 s[6:7], 0
	global_store_dword v[0:1], v3, off
.LBB272_1920:
	s_andn2_b64 vcc, exec, s[6:7]
	s_cbranch_vccnz .LBB272_1922
; %bb.1921:
	v_lshlrev_b32_e32 v3, 16, v2
	v_cvt_u32_f32_e32 v3, v3
	global_store_short v[0:1], v3, off
.LBB272_1922:
	s_mov_b64 s[6:7], 0
.LBB272_1923:
	s_andn2_b64 vcc, exec, s[6:7]
	s_cbranch_vccnz .LBB272_1931
; %bb.1924:
	v_lshlrev_b32_e32 v5, 16, v2
	v_and_b32_e32 v4, 0x7fffffff, v5
	s_mov_b32 s6, 0x43800000
	v_cmp_gt_u32_e32 vcc, s6, v4
	v_mov_b32_e32 v6, 0x80
	s_and_saveexec_b64 s[6:7], vcc
	s_cbranch_execz .LBB272_1930
; %bb.1925:
	s_mov_b32 s8, 0x3bffffff
	v_and_b32_e32 v3, 0xffff, v2
	v_cmp_lt_u32_e32 vcc, s8, v4
	s_mov_b64 s[8:9], 0
                                        ; implicit-def: $vgpr4
	s_and_saveexec_b64 s[10:11], vcc
	s_xor_b64 s[10:11], exec, s[10:11]
	s_cbranch_execz .LBB272_2036
; %bb.1926:
	v_bfe_u32 v4, v3, 4, 1
	s_mov_b32 s17, 0x487ffff
	v_add3_u32 v4, v5, v4, s17
	s_mov_b64 s[8:9], exec
	v_lshrrev_b32_e32 v4, 20, v4
                                        ; implicit-def: $vgpr5
	s_andn2_saveexec_b64 s[10:11], s[10:11]
	s_cbranch_execnz .LBB272_2037
.LBB272_1927:
	s_or_b64 exec, exec, s[10:11]
	v_mov_b32_e32 v6, 0
	s_and_saveexec_b64 s[10:11], s[8:9]
.LBB272_1928:
	v_lshrrev_b32_e32 v3, 8, v3
	s_movk_i32 s8, 0x80
	v_and_or_b32 v6, v3, s8, v4
.LBB272_1929:
	s_or_b64 exec, exec, s[10:11]
.LBB272_1930:
	s_or_b64 exec, exec, s[6:7]
	global_store_byte v[0:1], v6, off
.LBB272_1931:
	s_mov_b64 s[6:7], 0
.LBB272_1932:
	s_and_b64 vcc, exec, s[6:7]
	s_cbranch_vccz .LBB272_1972
; %bb.1933:
	s_cmp_gt_i32 s16, 22
	s_mov_b64 s[4:5], -1
	s_cbranch_scc0 .LBB272_1965
; %bb.1934:
	s_cmp_lt_i32 s16, 24
	s_cbranch_scc1 .LBB272_1954
; %bb.1935:
	s_cmp_gt_i32 s16, 24
	s_cbranch_scc0 .LBB272_1943
; %bb.1936:
	v_lshlrev_b32_e32 v5, 16, v2
	v_and_b32_e32 v4, 0x7fffffff, v5
	s_mov_b32 s4, 0x47800000
	v_cmp_gt_u32_e32 vcc, s4, v4
	v_mov_b32_e32 v6, 0x80
	s_and_saveexec_b64 s[4:5], vcc
	s_cbranch_execz .LBB272_1942
; %bb.1937:
	s_mov_b32 s6, 0x37ffffff
	v_and_b32_e32 v3, 0xffff, v2
	v_cmp_lt_u32_e32 vcc, s6, v4
	s_mov_b64 s[6:7], 0
                                        ; implicit-def: $vgpr4
	s_and_saveexec_b64 s[8:9], vcc
	s_xor_b64 s[8:9], exec, s[8:9]
	s_cbranch_execz .LBB272_2039
; %bb.1938:
	v_bfe_u32 v4, v3, 5, 1
	s_mov_b32 s10, 0x88fffff
	v_add3_u32 v4, v5, v4, s10
	s_mov_b64 s[6:7], exec
	v_lshrrev_b32_e32 v4, 21, v4
                                        ; implicit-def: $vgpr5
	s_andn2_saveexec_b64 s[8:9], s[8:9]
	s_cbranch_execnz .LBB272_2040
.LBB272_1939:
	s_or_b64 exec, exec, s[8:9]
	v_mov_b32_e32 v6, 0
	s_and_saveexec_b64 s[8:9], s[6:7]
.LBB272_1940:
	v_lshrrev_b32_e32 v3, 8, v3
	s_movk_i32 s6, 0x80
	v_and_or_b32 v6, v3, s6, v4
.LBB272_1941:
	s_or_b64 exec, exec, s[8:9]
.LBB272_1942:
	s_or_b64 exec, exec, s[4:5]
	s_mov_b64 s[4:5], 0
	global_store_byte v[0:1], v6, off
.LBB272_1943:
	s_and_b64 vcc, exec, s[4:5]
	s_cbranch_vccz .LBB272_1953
; %bb.1944:
	v_lshlrev_b32_e32 v5, 16, v2
	v_and_b32_e32 v6, 0x7fffffff, v5
	s_mov_b32 s4, 0x43f00000
	v_and_b32_e32 v3, 0xffff, v2
	v_cmp_gt_u32_e32 vcc, s4, v6
                                        ; implicit-def: $vgpr4
	s_and_saveexec_b64 s[4:5], vcc
	s_xor_b64 s[4:5], exec, s[4:5]
	s_cbranch_execz .LBB272_1950
; %bb.1945:
	s_mov_b32 s6, 0x3c7fffff
	v_cmp_lt_u32_e32 vcc, s6, v6
                                        ; implicit-def: $vgpr4
	s_and_saveexec_b64 s[6:7], vcc
	s_xor_b64 s[6:7], exec, s[6:7]
; %bb.1946:
	v_bfe_u32 v4, v3, 4, 1
	s_mov_b32 s8, 0x407ffff
	v_add3_u32 v4, v5, v4, s8
	v_lshrrev_b32_e32 v5, 20, v4
	v_and_b32_e32 v4, 0xff00000, v4
	s_mov_b32 s8, 0x7f00000
	v_mov_b32_e32 v6, 0x7e
	v_cmp_ne_u32_e32 vcc, s8, v4
	s_nop 1
	v_cndmask_b32_e32 v4, v6, v5, vcc
                                        ; implicit-def: $vgpr5
; %bb.1947:
	s_andn2_saveexec_b64 s[6:7], s[6:7]
; %bb.1948:
	s_mov_b32 s8, 0x46800000
	v_add_f32_e64 v4, |v5|, s8
; %bb.1949:
	s_or_b64 exec, exec, s[6:7]
                                        ; implicit-def: $vgpr6
.LBB272_1950:
	s_andn2_saveexec_b64 s[4:5], s[4:5]
; %bb.1951:
	s_mov_b32 s6, 0x7f800000
	v_mov_b32_e32 v4, 0x7e
	v_mov_b32_e32 v5, 0x7f
	v_cmp_lt_u32_e32 vcc, s6, v6
	s_nop 1
	v_cndmask_b32_e32 v4, v4, v5, vcc
; %bb.1952:
	s_or_b64 exec, exec, s[4:5]
	v_lshrrev_b32_e32 v3, 8, v3
	s_movk_i32 s4, 0x80
	v_and_or_b32 v3, v3, s4, v4
	global_store_byte v[0:1], v3, off
.LBB272_1953:
	s_mov_b64 s[4:5], 0
.LBB272_1954:
	s_andn2_b64 vcc, exec, s[4:5]
	s_cbranch_vccnz .LBB272_1964
; %bb.1955:
	v_lshlrev_b32_e32 v5, 16, v2
	v_and_b32_e32 v6, 0x7fffffff, v5
	s_mov_b32 s4, 0x47800000
	v_and_b32_e32 v3, 0xffff, v2
	v_cmp_gt_u32_e32 vcc, s4, v6
                                        ; implicit-def: $vgpr4
	s_and_saveexec_b64 s[4:5], vcc
	s_xor_b64 s[4:5], exec, s[4:5]
	s_cbranch_execz .LBB272_1961
; %bb.1956:
	s_mov_b32 s6, 0x387fffff
	v_cmp_lt_u32_e32 vcc, s6, v6
                                        ; implicit-def: $vgpr4
	s_and_saveexec_b64 s[6:7], vcc
	s_xor_b64 s[6:7], exec, s[6:7]
; %bb.1957:
	v_bfe_u32 v4, v3, 5, 1
	s_mov_b32 s8, 0x80fffff
	v_add3_u32 v4, v5, v4, s8
	v_lshrrev_b32_e32 v4, 21, v4
                                        ; implicit-def: $vgpr5
; %bb.1958:
	s_andn2_saveexec_b64 s[6:7], s[6:7]
; %bb.1959:
	s_mov_b32 s8, 0x43000000
	v_add_f32_e64 v4, |v5|, s8
; %bb.1960:
	s_or_b64 exec, exec, s[6:7]
                                        ; implicit-def: $vgpr6
.LBB272_1961:
	s_andn2_saveexec_b64 s[4:5], s[4:5]
; %bb.1962:
	s_mov_b32 s6, 0x7f800000
	v_mov_b32_e32 v4, 0x7c
	v_mov_b32_e32 v5, 0x7f
	v_cmp_lt_u32_e32 vcc, s6, v6
	s_nop 1
	v_cndmask_b32_e32 v4, v4, v5, vcc
; %bb.1963:
	s_or_b64 exec, exec, s[4:5]
	v_lshrrev_b32_e32 v3, 8, v3
	s_movk_i32 s4, 0x80
	v_and_or_b32 v3, v3, s4, v4
	global_store_byte v[0:1], v3, off
.LBB272_1964:
	s_mov_b64 s[4:5], 0
.LBB272_1965:
	s_andn2_b64 vcc, exec, s[4:5]
	s_mov_b64 s[4:5], 0
	s_cbranch_vccnz .LBB272_1972
; %bb.1966:
	s_cmp_gt_i32 s16, 14
	s_mov_b64 s[6:7], -1
	s_cbranch_scc0 .LBB272_1970
; %bb.1967:
	s_cmp_eq_u32 s16, 15
	s_mov_b64 s[0:1], -1
	s_cbranch_scc0 .LBB272_1969
; %bb.1968:
	global_store_short v[0:1], v2, off
	s_mov_b64 s[0:1], 0
.LBB272_1969:
	s_mov_b64 s[6:7], 0
.LBB272_1970:
	s_and_b64 vcc, exec, s[6:7]
	s_cbranch_vccz .LBB272_1972
; %bb.1971:
	s_cmp_lg_u32 s16, 11
	s_mov_b64 s[4:5], -1
	s_cselect_b64 s[0:1], -1, 0
.LBB272_1972:
	s_and_b64 vcc, exec, s[0:1]
	s_cbranch_vccnz .LBB272_2038
.LBB272_1973:
	s_mov_b64 s[0:1], 0
	s_branch .LBB272_1975
.LBB272_1974:
	s_mov_b64 s[0:1], 0
	s_mov_b64 s[4:5], 0
                                        ; implicit-def: $sgpr20
                                        ; implicit-def: $vgpr0_vgpr1
                                        ; implicit-def: $vgpr2
.LBB272_1975:
	s_and_b64 s[10:11], s[4:5], exec
	s_andn2_b64 s[4:5], s[12:13], exec
	s_and_b64 s[6:7], s[14:15], exec
	s_and_b64 s[0:1], s[0:1], exec
	s_or_b64 s[12:13], s[4:5], s[6:7]
.LBB272_1976:
	s_or_b64 exec, exec, s[2:3]
	s_and_saveexec_b64 s[2:3], s[12:13]
	s_cbranch_execz .LBB272_1979
; %bb.1977:
	; divergent unreachable
	s_or_b64 exec, exec, s[2:3]
	s_and_saveexec_b64 s[2:3], s[10:11]
	s_xor_b64 s[2:3], exec, s[2:3]
	s_cbranch_execnz .LBB272_1980
.LBB272_1978:
	s_or_b64 exec, exec, s[2:3]
	s_and_saveexec_b64 s[2:3], s[0:1]
	s_cbranch_execnz .LBB272_1981
	s_branch .LBB272_2018
.LBB272_1979:
	s_or_b64 exec, exec, s[2:3]
	s_and_saveexec_b64 s[2:3], s[10:11]
	s_xor_b64 s[2:3], exec, s[2:3]
	s_cbranch_execz .LBB272_1978
.LBB272_1980:
	s_waitcnt vmcnt(0)
	v_and_b32_e32 v3, 0x7fff, v2
	v_cmp_ne_u16_e32 vcc, 0, v3
	s_nop 1
	v_cndmask_b32_e64 v3, 0, 1, vcc
	global_store_byte v[0:1], v3, off
	s_or_b64 exec, exec, s[2:3]
	s_and_saveexec_b64 s[2:3], s[0:1]
	s_cbranch_execz .LBB272_2018
.LBB272_1981:
	s_sext_i32_i16 s2, s20
	s_cmp_lt_i32 s2, 5
	s_mov_b64 s[0:1], -1
	s_cbranch_scc1 .LBB272_2002
; %bb.1982:
	s_cmp_lt_i32 s2, 8
	s_cbranch_scc1 .LBB272_1992
; %bb.1983:
	s_cmp_lt_i32 s2, 9
	s_cbranch_scc1 .LBB272_1989
; %bb.1984:
	s_cmp_gt_i32 s2, 9
	s_cbranch_scc0 .LBB272_1986
; %bb.1985:
	s_waitcnt vmcnt(0)
	v_lshlrev_b32_e32 v3, 16, v2
	v_mov_b32_e32 v6, 0
	v_cvt_f64_f32_e32 v[4:5], v3
	v_mov_b32_e32 v7, v6
	global_store_dwordx4 v[0:1], v[4:7], off
	s_mov_b64 s[0:1], 0
.LBB272_1986:
	s_andn2_b64 vcc, exec, s[0:1]
	s_cbranch_vccnz .LBB272_1988
; %bb.1987:
	s_waitcnt vmcnt(0)
	v_lshlrev_b32_e32 v4, 16, v2
	v_mov_b32_e32 v5, 0
	global_store_dwordx2 v[0:1], v[4:5], off
.LBB272_1988:
	s_mov_b64 s[0:1], 0
.LBB272_1989:
	s_andn2_b64 vcc, exec, s[0:1]
	s_cbranch_vccnz .LBB272_1991
; %bb.1990:
	s_waitcnt vmcnt(0)
	v_lshlrev_b32_e32 v3, 16, v2
	v_cvt_f16_f32_e32 v3, v3
	global_store_dword v[0:1], v3, off
.LBB272_1991:
	s_mov_b64 s[0:1], 0
.LBB272_1992:
	s_andn2_b64 vcc, exec, s[0:1]
	s_cbranch_vccnz .LBB272_2001
; %bb.1993:
	s_sext_i32_i16 s2, s20
	s_cmp_lt_i32 s2, 6
	s_mov_b64 s[0:1], -1
	s_cbranch_scc1 .LBB272_1999
; %bb.1994:
	s_cmp_gt_i32 s2, 6
	s_cbranch_scc0 .LBB272_1996
; %bb.1995:
	s_waitcnt vmcnt(0)
	v_lshlrev_b32_e32 v3, 16, v2
	v_cvt_f64_f32_e32 v[4:5], v3
	global_store_dwordx2 v[0:1], v[4:5], off
	s_mov_b64 s[0:1], 0
.LBB272_1996:
	s_andn2_b64 vcc, exec, s[0:1]
	s_cbranch_vccnz .LBB272_1998
; %bb.1997:
	s_waitcnt vmcnt(0)
	v_lshlrev_b32_e32 v3, 16, v2
	global_store_dword v[0:1], v3, off
.LBB272_1998:
	s_mov_b64 s[0:1], 0
.LBB272_1999:
	s_andn2_b64 vcc, exec, s[0:1]
	s_cbranch_vccnz .LBB272_2001
; %bb.2000:
	s_waitcnt vmcnt(0)
	v_lshlrev_b32_e32 v3, 16, v2
	v_cvt_f16_f32_e32 v3, v3
	global_store_short v[0:1], v3, off
.LBB272_2001:
	s_mov_b64 s[0:1], 0
.LBB272_2002:
	s_andn2_b64 vcc, exec, s[0:1]
	s_cbranch_vccnz .LBB272_2018
; %bb.2003:
	s_sext_i32_i16 s2, s20
	s_cmp_lt_i32 s2, 2
	s_mov_b64 s[0:1], -1
	s_cbranch_scc1 .LBB272_2013
; %bb.2004:
	s_cmp_lt_i32 s2, 3
	s_cbranch_scc1 .LBB272_2010
; %bb.2005:
	s_cmp_gt_i32 s2, 3
	s_cbranch_scc0 .LBB272_2007
; %bb.2006:
	s_waitcnt vmcnt(0)
	v_lshlrev_b32_e32 v3, 16, v2
	v_trunc_f32_e32 v3, v3
	s_mov_b32 s0, 0x2f800000
	v_mul_f32_e64 v4, |v3|, s0
	v_floor_f32_e32 v4, v4
	s_mov_b32 s0, 0xcf800000
	v_cvt_u32_f32_e32 v5, v4
	v_fma_f32 v4, v4, s0, |v3|
	v_cvt_u32_f32_e32 v4, v4
	v_ashrrev_i32_e32 v3, 31, v3
	v_xor_b32_e32 v5, v5, v3
	s_mov_b64 s[0:1], 0
	v_xor_b32_e32 v4, v4, v3
	v_sub_co_u32_e32 v4, vcc, v4, v3
	s_nop 1
	v_subb_co_u32_e32 v5, vcc, v5, v3, vcc
	global_store_dwordx2 v[0:1], v[4:5], off
.LBB272_2007:
	s_andn2_b64 vcc, exec, s[0:1]
	s_cbranch_vccnz .LBB272_2009
; %bb.2008:
	s_waitcnt vmcnt(0)
	v_lshlrev_b32_e32 v3, 16, v2
	v_cvt_i32_f32_e32 v3, v3
	global_store_dword v[0:1], v3, off
.LBB272_2009:
	s_mov_b64 s[0:1], 0
.LBB272_2010:
	s_andn2_b64 vcc, exec, s[0:1]
	s_cbranch_vccnz .LBB272_2012
; %bb.2011:
	s_waitcnt vmcnt(0)
	v_lshlrev_b32_e32 v3, 16, v2
	v_cvt_i32_f32_e32 v3, v3
	global_store_short v[0:1], v3, off
.LBB272_2012:
	s_mov_b64 s[0:1], 0
.LBB272_2013:
	s_andn2_b64 vcc, exec, s[0:1]
	s_cbranch_vccnz .LBB272_2018
; %bb.2014:
	s_sext_i32_i16 s2, s20
	s_mov_b64 s[0:1], -1
	s_cmp_gt_i32 s2, 0
	s_waitcnt vmcnt(0)
	v_lshlrev_b32_e32 v2, 16, v2
	s_cbranch_scc0 .LBB272_2016
; %bb.2015:
	v_cvt_i32_f32_e32 v3, v2
	s_mov_b64 s[0:1], 0
	global_store_byte v[0:1], v3, off
.LBB272_2016:
	s_andn2_b64 vcc, exec, s[0:1]
	s_cbranch_vccnz .LBB272_2018
; %bb.2017:
	v_trunc_f32_e32 v2, v2
	s_mov_b32 s0, 0x2f800000
	v_mul_f32_e64 v3, |v2|, s0
	v_floor_f32_e32 v3, v3
	s_mov_b32 s0, 0xcf800000
	v_fma_f32 v3, v3, s0, |v2|
	v_cvt_u32_f32_e32 v3, v3
	v_ashrrev_i32_e32 v2, 31, v2
	v_xor_b32_e32 v3, v3, v2
	v_sub_u32_e32 v2, v3, v2
	global_store_byte v[0:1], v2, off
	s_endpgm
.LBB272_2018:
	s_endpgm
.LBB272_2019:
	s_mov_b64 s[4:5], 0
	s_mov_b64 s[0:1], -1
	s_branch .LBB272_1975
.LBB272_2020:
	s_trap 2
	s_or_b64 s[14:15], s[14:15], exec
	s_cbranch_execz .LBB272_1489
	s_branch .LBB272_1490
.LBB272_2021:
	s_andn2_saveexec_b64 s[18:19], s[18:19]
	s_cbranch_execz .LBB272_1569
.LBB272_2022:
	s_mov_b32 s21, 0x46000000
	v_add_f32_e64 v4, |v9|, s21
	v_and_b32_e32 v4, 0xff, v4
	v_cmp_ne_u32_e32 vcc, 0, v4
	s_andn2_b64 s[16:17], s[16:17], exec
	s_and_b64 s[22:23], vcc, exec
	s_or_b64 s[16:17], s[16:17], s[22:23]
	s_or_b64 exec, exec, s[18:19]
	v_mov_b32_e32 v10, 0
	s_and_saveexec_b64 s[18:19], s[16:17]
	s_cbranch_execnz .LBB272_1570
	s_branch .LBB272_1571
.LBB272_2023:
	s_trap 2
	s_or_b64 s[14:15], s[14:15], exec
	s_cbranch_execz .LBB272_1617
	s_branch .LBB272_1618
.LBB272_2024:
	s_andn2_saveexec_b64 s[16:17], s[16:17]
	s_cbranch_execz .LBB272_1582
.LBB272_2025:
	s_mov_b32 s18, 0x42800000
	v_add_f32_e64 v4, |v9|, s18
	v_and_b32_e32 v4, 0xff, v4
	v_cmp_ne_u32_e32 vcc, 0, v4
	s_andn2_b64 s[10:11], s[10:11], exec
	s_and_b64 s[18:19], vcc, exec
	s_or_b64 s[10:11], s[10:11], s[18:19]
	s_or_b64 exec, exec, s[16:17]
	v_mov_b32_e32 v10, 0
	s_and_saveexec_b64 s[16:17], s[10:11]
	s_cbranch_execnz .LBB272_1583
	s_branch .LBB272_1584
.LBB272_2026:
	s_andn2_saveexec_b64 s[16:17], s[16:17]
	s_cbranch_execz .LBB272_1688
.LBB272_2027:
	s_mov_b32 s21, 0x46000000
	v_add_f32_e64 v5, |v6|, s21
	v_and_b32_e32 v5, 0xff, v5
	v_cmp_ne_u32_e32 vcc, 0, v5
	s_andn2_b64 s[10:11], s[10:11], exec
	s_and_b64 s[22:23], vcc, exec
	s_or_b64 s[10:11], s[10:11], s[22:23]
	s_or_b64 exec, exec, s[16:17]
	v_mov_b32_e32 v9, 0
	s_and_saveexec_b64 s[16:17], s[10:11]
	s_cbranch_execnz .LBB272_1689
	s_branch .LBB272_1690
.LBB272_2028:
	s_trap 2
	s_or_b64 s[14:15], s[14:15], exec
	s_cbranch_execz .LBB272_1736
	s_branch .LBB272_1737
.LBB272_2029:
	s_andn2_saveexec_b64 s[10:11], s[10:11]
	s_cbranch_execz .LBB272_1701
.LBB272_2030:
	s_mov_b32 s16, 0x42800000
	v_add_f32_e64 v5, |v6|, s16
	v_and_b32_e32 v5, 0xff, v5
	v_cmp_ne_u32_e32 vcc, 0, v5
	s_andn2_b64 s[8:9], s[8:9], exec
	s_and_b64 s[16:17], vcc, exec
	s_or_b64 s[8:9], s[8:9], s[16:17]
	s_or_b64 exec, exec, s[10:11]
	v_mov_b32_e32 v9, 0
	s_and_saveexec_b64 s[10:11], s[8:9]
	s_cbranch_execnz .LBB272_1702
	s_branch .LBB272_1703
.LBB272_2031:
	s_andn2_saveexec_b64 s[16:17], s[16:17]
	s_cbranch_execz .LBB272_1807
.LBB272_2032:
	s_mov_b32 s21, 0x46000000
	v_add_f32_e64 v5, |v6|, s21
	v_and_b32_e32 v5, 0xff, v5
	v_cmp_ne_u32_e32 vcc, 0, v5
	s_andn2_b64 s[10:11], s[10:11], exec
	s_and_b64 s[22:23], vcc, exec
	s_or_b64 s[10:11], s[10:11], s[22:23]
	s_or_b64 exec, exec, s[16:17]
	v_mov_b32_e32 v7, 0
	s_and_saveexec_b64 s[16:17], s[10:11]
	s_cbranch_execnz .LBB272_1808
	s_branch .LBB272_1809
.LBB272_2033:
	s_trap 2
	s_or_b64 s[14:15], s[14:15], exec
	s_cbranch_execz .LBB272_1855
	s_branch .LBB272_1856
.LBB272_2034:
	s_andn2_saveexec_b64 s[10:11], s[10:11]
	s_cbranch_execz .LBB272_1820
.LBB272_2035:
	s_mov_b32 s16, 0x42800000
	v_add_f32_e64 v5, |v6|, s16
	v_and_b32_e32 v5, 0xff, v5
	v_cmp_ne_u32_e32 vcc, 0, v5
	s_andn2_b64 s[8:9], s[8:9], exec
	s_and_b64 s[16:17], vcc, exec
	s_or_b64 s[8:9], s[8:9], s[16:17]
	s_or_b64 exec, exec, s[10:11]
	v_mov_b32_e32 v7, 0
	s_and_saveexec_b64 s[10:11], s[8:9]
	s_cbranch_execnz .LBB272_1821
	s_branch .LBB272_1822
.LBB272_2036:
	s_andn2_saveexec_b64 s[10:11], s[10:11]
	s_cbranch_execz .LBB272_1927
.LBB272_2037:
	s_mov_b32 s17, 0x46000000
	v_add_f32_e64 v4, |v5|, s17
	v_and_b32_e32 v4, 0xff, v4
	v_cmp_ne_u32_e32 vcc, 0, v4
	s_andn2_b64 s[8:9], s[8:9], exec
	s_and_b64 s[18:19], vcc, exec
	s_or_b64 s[8:9], s[8:9], s[18:19]
	s_or_b64 exec, exec, s[10:11]
	v_mov_b32_e32 v6, 0
	s_and_saveexec_b64 s[10:11], s[8:9]
	s_cbranch_execnz .LBB272_1928
	s_branch .LBB272_1929
.LBB272_2038:
	s_mov_b64 s[4:5], 0
	s_or_b64 s[14:15], s[14:15], exec
	s_trap 2
	s_branch .LBB272_1973
.LBB272_2039:
	s_andn2_saveexec_b64 s[8:9], s[8:9]
	s_cbranch_execz .LBB272_1939
.LBB272_2040:
	s_mov_b32 s10, 0x42800000
	v_add_f32_e64 v4, |v5|, s10
	v_and_b32_e32 v4, 0xff, v4
	v_cmp_ne_u32_e32 vcc, 0, v4
	s_andn2_b64 s[6:7], s[6:7], exec
	s_and_b64 s[10:11], vcc, exec
	s_or_b64 s[6:7], s[6:7], s[10:11]
	s_or_b64 exec, exec, s[8:9]
	v_mov_b32_e32 v6, 0
	s_and_saveexec_b64 s[8:9], s[6:7]
	s_cbranch_execnz .LBB272_1940
	s_branch .LBB272_1941
	.section	.rodata,"a",@progbits
	.p2align	6, 0x0
	.amdhsa_kernel _ZN2at6native32elementwise_kernel_manual_unrollILi128ELi4EZNS0_15gpu_kernel_implIZZZNS0_16sqrt_kernel_cudaERNS_18TensorIteratorBaseEENKUlvE0_clEvENKUlvE2_clEvEUlN3c108BFloat16EE_EEvS4_RKT_EUlibE_EEviT1_
		.amdhsa_group_segment_fixed_size 0
		.amdhsa_private_segment_fixed_size 0
		.amdhsa_kernarg_size 40
		.amdhsa_user_sgpr_count 2
		.amdhsa_user_sgpr_dispatch_ptr 0
		.amdhsa_user_sgpr_queue_ptr 0
		.amdhsa_user_sgpr_kernarg_segment_ptr 1
		.amdhsa_user_sgpr_dispatch_id 0
		.amdhsa_user_sgpr_kernarg_preload_length 0
		.amdhsa_user_sgpr_kernarg_preload_offset 0
		.amdhsa_user_sgpr_private_segment_size 0
		.amdhsa_uses_dynamic_stack 0
		.amdhsa_enable_private_segment 0
		.amdhsa_system_sgpr_workgroup_id_x 1
		.amdhsa_system_sgpr_workgroup_id_y 0
		.amdhsa_system_sgpr_workgroup_id_z 0
		.amdhsa_system_sgpr_workgroup_info 0
		.amdhsa_system_vgpr_workitem_id 0
		.amdhsa_next_free_vgpr 14
		.amdhsa_next_free_sgpr 44
		.amdhsa_accum_offset 16
		.amdhsa_reserve_vcc 1
		.amdhsa_float_round_mode_32 0
		.amdhsa_float_round_mode_16_64 0
		.amdhsa_float_denorm_mode_32 3
		.amdhsa_float_denorm_mode_16_64 3
		.amdhsa_dx10_clamp 1
		.amdhsa_ieee_mode 1
		.amdhsa_fp16_overflow 0
		.amdhsa_tg_split 0
		.amdhsa_exception_fp_ieee_invalid_op 0
		.amdhsa_exception_fp_denorm_src 0
		.amdhsa_exception_fp_ieee_div_zero 0
		.amdhsa_exception_fp_ieee_overflow 0
		.amdhsa_exception_fp_ieee_underflow 0
		.amdhsa_exception_fp_ieee_inexact 0
		.amdhsa_exception_int_div_zero 0
	.end_amdhsa_kernel
	.section	.text._ZN2at6native32elementwise_kernel_manual_unrollILi128ELi4EZNS0_15gpu_kernel_implIZZZNS0_16sqrt_kernel_cudaERNS_18TensorIteratorBaseEENKUlvE0_clEvENKUlvE2_clEvEUlN3c108BFloat16EE_EEvS4_RKT_EUlibE_EEviT1_,"axG",@progbits,_ZN2at6native32elementwise_kernel_manual_unrollILi128ELi4EZNS0_15gpu_kernel_implIZZZNS0_16sqrt_kernel_cudaERNS_18TensorIteratorBaseEENKUlvE0_clEvENKUlvE2_clEvEUlN3c108BFloat16EE_EEvS4_RKT_EUlibE_EEviT1_,comdat
.Lfunc_end272:
	.size	_ZN2at6native32elementwise_kernel_manual_unrollILi128ELi4EZNS0_15gpu_kernel_implIZZZNS0_16sqrt_kernel_cudaERNS_18TensorIteratorBaseEENKUlvE0_clEvENKUlvE2_clEvEUlN3c108BFloat16EE_EEvS4_RKT_EUlibE_EEviT1_, .Lfunc_end272-_ZN2at6native32elementwise_kernel_manual_unrollILi128ELi4EZNS0_15gpu_kernel_implIZZZNS0_16sqrt_kernel_cudaERNS_18TensorIteratorBaseEENKUlvE0_clEvENKUlvE2_clEvEUlN3c108BFloat16EE_EEvS4_RKT_EUlibE_EEviT1_
                                        ; -- End function
	.set _ZN2at6native32elementwise_kernel_manual_unrollILi128ELi4EZNS0_15gpu_kernel_implIZZZNS0_16sqrt_kernel_cudaERNS_18TensorIteratorBaseEENKUlvE0_clEvENKUlvE2_clEvEUlN3c108BFloat16EE_EEvS4_RKT_EUlibE_EEviT1_.num_vgpr, 14
	.set _ZN2at6native32elementwise_kernel_manual_unrollILi128ELi4EZNS0_15gpu_kernel_implIZZZNS0_16sqrt_kernel_cudaERNS_18TensorIteratorBaseEENKUlvE0_clEvENKUlvE2_clEvEUlN3c108BFloat16EE_EEvS4_RKT_EUlibE_EEviT1_.num_agpr, 0
	.set _ZN2at6native32elementwise_kernel_manual_unrollILi128ELi4EZNS0_15gpu_kernel_implIZZZNS0_16sqrt_kernel_cudaERNS_18TensorIteratorBaseEENKUlvE0_clEvENKUlvE2_clEvEUlN3c108BFloat16EE_EEvS4_RKT_EUlibE_EEviT1_.numbered_sgpr, 44
	.set _ZN2at6native32elementwise_kernel_manual_unrollILi128ELi4EZNS0_15gpu_kernel_implIZZZNS0_16sqrt_kernel_cudaERNS_18TensorIteratorBaseEENKUlvE0_clEvENKUlvE2_clEvEUlN3c108BFloat16EE_EEvS4_RKT_EUlibE_EEviT1_.num_named_barrier, 0
	.set _ZN2at6native32elementwise_kernel_manual_unrollILi128ELi4EZNS0_15gpu_kernel_implIZZZNS0_16sqrt_kernel_cudaERNS_18TensorIteratorBaseEENKUlvE0_clEvENKUlvE2_clEvEUlN3c108BFloat16EE_EEvS4_RKT_EUlibE_EEviT1_.private_seg_size, 0
	.set _ZN2at6native32elementwise_kernel_manual_unrollILi128ELi4EZNS0_15gpu_kernel_implIZZZNS0_16sqrt_kernel_cudaERNS_18TensorIteratorBaseEENKUlvE0_clEvENKUlvE2_clEvEUlN3c108BFloat16EE_EEvS4_RKT_EUlibE_EEviT1_.uses_vcc, 1
	.set _ZN2at6native32elementwise_kernel_manual_unrollILi128ELi4EZNS0_15gpu_kernel_implIZZZNS0_16sqrt_kernel_cudaERNS_18TensorIteratorBaseEENKUlvE0_clEvENKUlvE2_clEvEUlN3c108BFloat16EE_EEvS4_RKT_EUlibE_EEviT1_.uses_flat_scratch, 0
	.set _ZN2at6native32elementwise_kernel_manual_unrollILi128ELi4EZNS0_15gpu_kernel_implIZZZNS0_16sqrt_kernel_cudaERNS_18TensorIteratorBaseEENKUlvE0_clEvENKUlvE2_clEvEUlN3c108BFloat16EE_EEvS4_RKT_EUlibE_EEviT1_.has_dyn_sized_stack, 0
	.set _ZN2at6native32elementwise_kernel_manual_unrollILi128ELi4EZNS0_15gpu_kernel_implIZZZNS0_16sqrt_kernel_cudaERNS_18TensorIteratorBaseEENKUlvE0_clEvENKUlvE2_clEvEUlN3c108BFloat16EE_EEvS4_RKT_EUlibE_EEviT1_.has_recursion, 0
	.set _ZN2at6native32elementwise_kernel_manual_unrollILi128ELi4EZNS0_15gpu_kernel_implIZZZNS0_16sqrt_kernel_cudaERNS_18TensorIteratorBaseEENKUlvE0_clEvENKUlvE2_clEvEUlN3c108BFloat16EE_EEvS4_RKT_EUlibE_EEviT1_.has_indirect_call, 0
	.section	.AMDGPU.csdata,"",@progbits
; Kernel info:
; codeLenInByte = 39500
; TotalNumSgprs: 50
; NumVgprs: 14
; NumAgprs: 0
; TotalNumVgprs: 14
; ScratchSize: 0
; MemoryBound: 0
; FloatMode: 240
; IeeeMode: 1
; LDSByteSize: 0 bytes/workgroup (compile time only)
; SGPRBlocks: 6
; VGPRBlocks: 1
; NumSGPRsForWavesPerEU: 50
; NumVGPRsForWavesPerEU: 14
; AccumOffset: 16
; Occupancy: 8
; WaveLimiterHint : 0
; COMPUTE_PGM_RSRC2:SCRATCH_EN: 0
; COMPUTE_PGM_RSRC2:USER_SGPR: 2
; COMPUTE_PGM_RSRC2:TRAP_HANDLER: 0
; COMPUTE_PGM_RSRC2:TGID_X_EN: 1
; COMPUTE_PGM_RSRC2:TGID_Y_EN: 0
; COMPUTE_PGM_RSRC2:TGID_Z_EN: 0
; COMPUTE_PGM_RSRC2:TIDIG_COMP_CNT: 0
; COMPUTE_PGM_RSRC3_GFX90A:ACCUM_OFFSET: 3
; COMPUTE_PGM_RSRC3_GFX90A:TG_SPLIT: 0
	.section	.text._ZN2at6native32elementwise_kernel_manual_unrollILi128ELi4EZNS0_15gpu_kernel_implIZZZNS0_16sqrt_kernel_cudaERNS_18TensorIteratorBaseEENKUlvE0_clEvENKUlvE2_clEvEUlN3c108BFloat16EE_EEvS4_RKT_EUlibE0_EEviT1_,"axG",@progbits,_ZN2at6native32elementwise_kernel_manual_unrollILi128ELi4EZNS0_15gpu_kernel_implIZZZNS0_16sqrt_kernel_cudaERNS_18TensorIteratorBaseEENKUlvE0_clEvENKUlvE2_clEvEUlN3c108BFloat16EE_EEvS4_RKT_EUlibE0_EEviT1_,comdat
	.globl	_ZN2at6native32elementwise_kernel_manual_unrollILi128ELi4EZNS0_15gpu_kernel_implIZZZNS0_16sqrt_kernel_cudaERNS_18TensorIteratorBaseEENKUlvE0_clEvENKUlvE2_clEvEUlN3c108BFloat16EE_EEvS4_RKT_EUlibE0_EEviT1_ ; -- Begin function _ZN2at6native32elementwise_kernel_manual_unrollILi128ELi4EZNS0_15gpu_kernel_implIZZZNS0_16sqrt_kernel_cudaERNS_18TensorIteratorBaseEENKUlvE0_clEvENKUlvE2_clEvEUlN3c108BFloat16EE_EEvS4_RKT_EUlibE0_EEviT1_
	.p2align	8
	.type	_ZN2at6native32elementwise_kernel_manual_unrollILi128ELi4EZNS0_15gpu_kernel_implIZZZNS0_16sqrt_kernel_cudaERNS_18TensorIteratorBaseEENKUlvE0_clEvENKUlvE2_clEvEUlN3c108BFloat16EE_EEvS4_RKT_EUlibE0_EEviT1_,@function
_ZN2at6native32elementwise_kernel_manual_unrollILi128ELi4EZNS0_15gpu_kernel_implIZZZNS0_16sqrt_kernel_cudaERNS_18TensorIteratorBaseEENKUlvE0_clEvENKUlvE2_clEvEUlN3c108BFloat16EE_EEvS4_RKT_EUlibE0_EEviT1_: ; @_ZN2at6native32elementwise_kernel_manual_unrollILi128ELi4EZNS0_15gpu_kernel_implIZZZNS0_16sqrt_kernel_cudaERNS_18TensorIteratorBaseEENKUlvE0_clEvENKUlvE2_clEvEUlN3c108BFloat16EE_EEvS4_RKT_EUlibE0_EEviT1_
; %bb.0:
	s_load_dword s70, s[0:1], 0x0
	s_load_dword s33, s[0:1], 0x8
	s_add_u32 s34, s0, 8
	s_addc_u32 s35, s1, 0
	v_lshl_or_b32 v8, s2, 9, v0
	v_or_b32_e32 v16, 0x180, v8
	s_waitcnt lgkmcnt(0)
	s_add_i32 s72, s33, -1
	s_cmp_gt_u32 s72, 1
	v_cmp_le_i32_e32 vcc, s70, v16
	s_cselect_b64 s[42:43], -1, 0
	s_mov_b64 s[40:41], 0
	s_mov_b64 s[24:25], 0
	s_and_saveexec_b64 s[2:3], vcc
	s_xor_b64 s[44:45], exec, s[2:3]
	s_cbranch_execz .LBB273_1090
; %bb.1:
	v_mov_b32_e32 v0, 0
	global_load_ushort v0, v0, s[34:35] offset:345
	s_load_dwordx4 s[28:31], s[34:35], 0x4
	s_load_dwordx2 s[46:47], s[34:35], 0x14
	s_load_dwordx4 s[24:27], s[34:35], 0xc4
	s_load_dwordx4 s[20:23], s[34:35], 0x148
	s_cmp_lg_u32 s33, 0
	s_cselect_b64 s[52:53], -1, 0
	s_add_u32 s50, s34, 0xc4
	s_addc_u32 s51, s35, 0
	s_min_u32 s75, s72, 15
	s_cmp_gt_u32 s33, 1
	s_cselect_b64 s[48:49], -1, 0
	v_cmp_gt_i32_e32 vcc, s70, v8
	s_mov_b64 s[4:5], -1
	s_mov_b64 s[62:63], 0
	s_mov_b64 s[56:57], 0
	;; [unrolled: 1-line block ×3, first 2 shown]
	s_waitcnt vmcnt(0)
	v_readfirstlane_b32 s73, v0
	s_and_b32 s2, 0xffff, s73
	s_lshr_b32 s74, s2, 8
	s_and_saveexec_b64 s[58:59], vcc
	s_cbranch_execz .LBB273_267
; %bb.2:
	s_andn2_b64 vcc, exec, s[42:43]
	s_cbranch_vccnz .LBB273_8
; %bb.3:
	s_andn2_b64 vcc, exec, s[52:53]
	s_cbranch_vccnz .LBB273_9
; %bb.4:
	s_add_i32 s57, s75, 1
	s_cmp_eq_u32 s72, 2
	s_cbranch_scc1 .LBB273_10
; %bb.5:
	s_and_b32 s56, s57, 28
	s_mov_b32 s60, 0
	v_mov_b32_e32 v0, 0
	v_mov_b32_e32 v2, 0
	s_mov_b64 s[2:3], s[34:35]
	s_mov_b64 s[54:55], s[50:51]
	v_mov_b32_e32 v4, v8
.LBB273_6:                              ; =>This Inner Loop Header: Depth=1
	s_load_dwordx8 s[12:19], s[2:3], 0x4
	s_load_dwordx4 s[36:39], s[2:3], 0x24
	s_load_dwordx8 s[4:11], s[54:55], 0x0
	s_add_u32 s2, s2, 48
	s_addc_u32 s3, s3, 0
	s_waitcnt lgkmcnt(0)
	v_mul_hi_u32 v1, s13, v4
	v_add_u32_e32 v1, v4, v1
	v_lshrrev_b32_e32 v1, s14, v1
	v_mul_lo_u32 v3, v1, s12
	v_mul_hi_u32 v5, s16, v1
	v_sub_u32_e32 v3, v4, v3
	v_add_u32_e32 v4, v1, v5
	v_lshrrev_b32_e32 v4, s17, v4
	v_mul_lo_u32 v6, v4, s15
	v_mul_hi_u32 v7, s19, v4
	v_sub_u32_e32 v1, v1, v6
	v_add_u32_e32 v6, v4, v7
	v_mul_lo_u32 v5, v3, s5
	v_mul_lo_u32 v3, v3, s4
	;; [unrolled: 1-line block ×4, first 2 shown]
	v_lshrrev_b32_e32 v6, s36, v6
	v_add3_u32 v0, v3, v0, v1
	v_mul_hi_u32 v3, s38, v6
	v_add3_u32 v1, v5, v2, v7
	v_mul_lo_u32 v2, v6, s18
	v_add_u32_e32 v3, v6, v3
	v_sub_u32_e32 v2, v4, v2
	v_lshrrev_b32_e32 v4, s39, v3
	s_add_i32 s60, s60, 4
	v_mul_lo_u32 v3, v4, s37
	s_add_u32 s54, s54, 32
	v_sub_u32_e32 v3, v6, v3
	s_addc_u32 s55, s55, 0
	v_mul_lo_u32 v5, v2, s8
	v_mul_lo_u32 v2, v2, s9
	;; [unrolled: 1-line block ×4, first 2 shown]
	s_cmp_lg_u32 s56, s60
	v_add3_u32 v2, v2, v1, v3
	v_add3_u32 v0, v5, v0, v6
	s_cbranch_scc1 .LBB273_6
; %bb.7:
	v_mov_b32_e32 v1, v2
	s_branch .LBB273_11
.LBB273_8:
                                        ; implicit-def: $vgpr2
                                        ; implicit-def: $vgpr0
	s_branch .LBB273_15
.LBB273_9:
	v_mov_b32_e32 v2, 0
	v_mov_b32_e32 v0, 0
	s_branch .LBB273_14
.LBB273_10:
	v_mov_b32_e32 v0, 0
	s_mov_b32 s56, 0
	v_mov_b32_e32 v1, v0
                                        ; implicit-def: $vgpr2
	v_mov_b32_e32 v4, v8
.LBB273_11:
	s_and_b32 s6, s57, 3
	s_cmp_eq_u32 s6, 0
	s_cbranch_scc1 .LBB273_14
; %bb.12:
	s_lshl_b32 s2, s56, 3
	s_add_u32 s2, s34, s2
	s_addc_u32 s3, s35, 0
	s_add_u32 s2, s2, 0xc4
	s_addc_u32 s3, s3, 0
	s_mul_i32 s4, s56, 12
	s_add_u32 s4, s34, s4
	s_addc_u32 s5, s35, 0
.LBB273_13:                             ; =>This Inner Loop Header: Depth=1
	s_load_dwordx2 s[8:9], s[4:5], 0x4
	s_load_dword s7, s[4:5], 0xc
	s_load_dwordx2 s[10:11], s[2:3], 0x0
	v_mov_b32_e32 v2, v1
	s_add_u32 s4, s4, 12
	s_waitcnt lgkmcnt(0)
	v_mul_hi_u32 v1, s9, v4
	v_add_u32_e32 v1, v4, v1
	v_lshrrev_b32_e32 v1, s7, v1
	s_addc_u32 s5, s5, 0
	v_mul_lo_u32 v3, v1, s8
	s_add_u32 s2, s2, 8
	v_sub_u32_e32 v5, v4, v3
	s_addc_u32 s3, s3, 0
	s_add_i32 s6, s6, -1
	v_mov_b32_e32 v4, v1
	v_mad_u64_u32 v[2:3], s[8:9], v5, s11, v[2:3]
	v_mad_u64_u32 v[0:1], s[8:9], v5, s10, v[0:1]
	s_cmp_lg_u32 s6, 0
	v_mov_b32_e32 v1, v2
	s_cbranch_scc1 .LBB273_13
.LBB273_14:
	s_cbranch_execnz .LBB273_17
.LBB273_15:
	s_waitcnt lgkmcnt(0)
	v_mul_hi_u32 v0, s29, v8
	v_add_u32_e32 v0, v8, v0
	v_lshrrev_b32_e32 v1, s30, v0
	v_mul_lo_u32 v0, v1, s28
	v_sub_u32_e32 v0, v8, v0
	v_mul_lo_u32 v2, v0, s25
	s_andn2_b64 vcc, exec, s[48:49]
	v_mul_lo_u32 v0, v0, s24
	s_cbranch_vccnz .LBB273_17
; %bb.16:
	v_mul_hi_u32 v3, s46, v1
	v_add_u32_e32 v3, v1, v3
	v_lshrrev_b32_e32 v3, s47, v3
	v_mul_lo_u32 v3, v3, s31
	v_sub_u32_e32 v3, v1, v3
	v_mad_u64_u32 v[0:1], s[2:3], v3, s26, v[0:1]
	v_mad_u64_u32 v[2:3], s[2:3], v3, s27, v[2:3]
.LBB273_17:
	v_mov_b32_e32 v3, 0
	s_and_b32 s10, 0xffff, s74
	s_cmp_lt_i32 s10, 11
	s_waitcnt lgkmcnt(0)
	v_lshl_add_u64 v[2:3], s[22:23], 0, v[2:3]
	s_cbranch_scc1 .LBB273_24
; %bb.18:
	s_cmp_gt_i32 s10, 25
	s_cbranch_scc0 .LBB273_33
; %bb.19:
	s_cmp_gt_i32 s10, 28
	s_cbranch_scc0 .LBB273_36
	;; [unrolled: 3-line block ×4, first 2 shown]
; %bb.22:
	s_cmp_eq_u32 s10, 46
	s_mov_b64 s[6:7], 0
	s_cbranch_scc0 .LBB273_42
; %bb.23:
	global_load_dword v1, v[2:3], off
	s_mov_b64 s[2:3], -1
	s_mov_b64 s[4:5], 0
	s_branch .LBB273_44
.LBB273_24:
	s_mov_b64 s[4:5], 0
                                        ; implicit-def: $vgpr1
	s_mov_b64 s[2:3], 0
	s_cbranch_execnz .LBB273_217
.LBB273_25:
	s_andn2_b64 vcc, exec, s[2:3]
	s_cbranch_vccnz .LBB273_264
.LBB273_26:
	s_waitcnt vmcnt(0)
	v_lshlrev_b32_e32 v1, 16, v1
	s_mov_b32 s2, 0xf800000
	v_mul_f32_e32 v2, 0x4f800000, v1
	v_cmp_gt_f32_e32 vcc, s2, v1
	s_and_b32 s12, s73, 0xff
	s_cmp_lt_i32 s12, 11
	v_cndmask_b32_e32 v2, v1, v2, vcc
	v_sqrt_f32_e32 v3, v2
	s_nop 0
	v_add_u32_e32 v4, -1, v3
	v_fma_f32 v5, -v4, v3, v2
	v_cmp_ge_f32_e64 s[2:3], 0, v5
	v_add_u32_e32 v5, 1, v3
	s_nop 0
	v_cndmask_b32_e64 v4, v3, v4, s[2:3]
	v_fma_f32 v3, -v5, v3, v2
	v_cmp_lt_f32_e64 s[2:3], 0, v3
	s_nop 1
	v_cndmask_b32_e64 v3, v4, v5, s[2:3]
	v_mul_f32_e32 v4, 0x37800000, v3
	v_cndmask_b32_e32 v3, v3, v4, vcc
	v_mov_b32_e32 v4, 0x260
	v_cmp_class_f32_e32 vcc, v2, v4
	s_movk_i32 s2, 0x7fff
	s_nop 0
	v_cndmask_b32_e32 v2, v3, v2, vcc
	v_bfe_u32 v3, v2, 16, 1
	v_add3_u32 v2, v2, v3, s2
	v_cmp_le_f32_e32 vcc, 0, v1
	v_mov_b32_e32 v1, 0x7fc0
	s_nop 0
	v_cndmask_b32_sdwa v2, v1, v2, vcc dst_sel:DWORD dst_unused:UNUSED_PAD src0_sel:DWORD src1_sel:WORD_1
	v_mov_b32_e32 v1, 0
	v_lshl_add_u64 v[0:1], s[20:21], 0, v[0:1]
	s_cbranch_scc1 .LBB273_34
; %bb.27:
	s_and_b32 s13, 0xffff, s12
	s_cmp_gt_i32 s13, 25
	s_cbranch_scc0 .LBB273_37
; %bb.28:
	s_cmp_gt_i32 s13, 28
	s_cbranch_scc0 .LBB273_39
; %bb.29:
	;; [unrolled: 3-line block ×4, first 2 shown]
	s_mov_b64 s[8:9], 0
	s_mov_b64 s[2:3], -1
	s_cmp_eq_u32 s13, 46
	s_mov_b64 s[6:7], 0
	s_cbranch_scc0 .LBB273_48
; %bb.32:
	v_and_b32_e32 v3, 0xffff, v2
	global_store_dword v[0:1], v3, off
	s_mov_b64 s[6:7], -1
	s_mov_b64 s[2:3], 0
	s_branch .LBB273_48
.LBB273_33:
	s_mov_b64 s[4:5], 0
	s_mov_b64 s[2:3], 0
                                        ; implicit-def: $vgpr1
	s_cbranch_execnz .LBB273_182
	s_branch .LBB273_216
.LBB273_34:
	s_mov_b64 s[2:3], 0
	s_mov_b64 s[6:7], 0
	s_cbranch_execnz .LBB273_117
.LBB273_35:
	s_andn2_b64 vcc, exec, s[6:7]
	s_cbranch_vccnz .LBB273_265
	s_branch .LBB273_155
.LBB273_36:
	s_mov_b64 s[6:7], -1
	s_mov_b64 s[4:5], 0
	s_mov_b64 s[2:3], 0
                                        ; implicit-def: $vgpr1
	s_branch .LBB273_163
.LBB273_37:
	s_mov_b64 s[8:9], -1
	s_mov_b64 s[2:3], 0
	s_mov_b64 s[6:7], 0
	s_branch .LBB273_75
.LBB273_38:
	s_mov_b64 s[6:7], -1
	s_mov_b64 s[4:5], 0
	s_mov_b64 s[2:3], 0
                                        ; implicit-def: $vgpr1
	s_branch .LBB273_158
.LBB273_39:
	s_mov_b64 s[8:9], -1
	s_mov_b64 s[2:3], 0
	s_mov_b64 s[6:7], 0
	s_branch .LBB273_58
.LBB273_40:
	s_mov_b64 s[6:7], -1
	s_mov_b64 s[4:5], 0
	s_branch .LBB273_43
.LBB273_41:
	s_mov_b64 s[8:9], -1
	s_mov_b64 s[2:3], 0
	s_mov_b64 s[6:7], 0
	s_branch .LBB273_54
.LBB273_42:
	s_mov_b64 s[4:5], -1
.LBB273_43:
	s_mov_b64 s[2:3], 0
                                        ; implicit-def: $vgpr1
.LBB273_44:
	s_and_b64 vcc, exec, s[6:7]
	s_cbranch_vccz .LBB273_157
; %bb.45:
	s_cmp_eq_u32 s10, 44
	s_cbranch_scc0 .LBB273_156
; %bb.46:
	global_load_ubyte v1, v[2:3], off
	s_movk_i32 s4, 0xff
	v_mov_b32_e32 v4, 0x7f800001
	v_mov_b32_e32 v5, 0x400000
	;; [unrolled: 1-line block ×3, first 2 shown]
	s_mov_b64 s[2:3], -1
	s_waitcnt vmcnt(0)
	v_lshlrev_b32_e32 v7, 23, v1
	v_cmp_ne_u32_e32 vcc, s4, v1
	s_mov_b64 s[4:5], 0
	s_nop 0
	v_cndmask_b32_e32 v4, v4, v7, vcc
	v_cmp_ne_u32_e32 vcc, 0, v1
	s_nop 1
	v_cndmask_b32_e32 v1, v5, v4, vcc
	v_add_u32_e32 v4, 0x7fff, v1
	v_cmp_o_f32_e32 vcc, v1, v1
	s_nop 1
	v_cndmask_b32_sdwa v1, v6, v4, vcc dst_sel:DWORD dst_unused:UNUSED_PAD src0_sel:DWORD src1_sel:WORD_1
	s_branch .LBB273_157
.LBB273_47:
	s_mov_b64 s[8:9], -1
	s_mov_b64 s[2:3], 0
	s_mov_b64 s[6:7], 0
.LBB273_48:
	s_and_b64 vcc, exec, s[8:9]
	s_cbranch_vccz .LBB273_53
; %bb.49:
	s_cmp_eq_u32 s13, 44
	s_mov_b64 s[2:3], -1
	s_cbranch_scc0 .LBB273_53
; %bb.50:
	v_and_b32_e32 v4, 0xffff, v2
	v_bfe_u32 v3, v4, 7, 8
	s_movk_i32 s2, 0xff
	v_cmp_ne_u32_e32 vcc, s2, v3
	v_mov_b32_e32 v5, 0xff
	s_and_saveexec_b64 s[6:7], vcc
	s_cbranch_execz .LBB273_52
; %bb.51:
	v_lshlrev_b32_e32 v6, 16, v4
	s_mov_b32 s2, 0x3f0000
	v_lshrrev_b32_e32 v5, 7, v4
	v_and_b32_e32 v4, 64, v4
	v_and_or_b32 v3, v6, s2, v3
	v_cmp_ne_u32_e32 vcc, 0, v4
	v_cmp_ne_u32_e64 s[2:3], 0, v3
	s_and_b64 s[2:3], vcc, s[2:3]
	s_nop 0
	v_cndmask_b32_e64 v3, 0, 1, s[2:3]
	v_add_u32_e32 v5, v5, v3
.LBB273_52:
	s_or_b64 exec, exec, s[6:7]
	s_mov_b64 s[6:7], -1
	s_mov_b64 s[2:3], 0
	global_store_byte v[0:1], v5, off
.LBB273_53:
	s_mov_b64 s[8:9], 0
.LBB273_54:
	s_and_b64 vcc, exec, s[8:9]
	s_cbranch_vccz .LBB273_57
; %bb.55:
	s_cmp_eq_u32 s13, 29
	s_mov_b64 s[2:3], -1
	s_cbranch_scc0 .LBB273_57
; %bb.56:
	v_lshlrev_b32_e32 v3, 16, v2
	v_trunc_f32_e32 v3, v3
	v_mul_f32_e32 v4, 0x2f800000, v3
	v_floor_f32_e32 v4, v4
	v_fmamk_f32 v3, v4, 0xcf800000, v3
	v_cvt_u32_f32_e32 v5, v4
	v_cvt_u32_f32_e32 v4, v3
	s_mov_b64 s[6:7], -1
	s_mov_b64 s[2:3], 0
	s_mov_b64 s[8:9], 0
	global_store_dwordx2 v[0:1], v[4:5], off
	s_branch .LBB273_58
.LBB273_57:
	s_mov_b64 s[8:9], 0
.LBB273_58:
	s_and_b64 vcc, exec, s[8:9]
	s_cbranch_vccz .LBB273_74
; %bb.59:
	s_cmp_lt_i32 s13, 27
	s_mov_b64 s[6:7], -1
	s_cbranch_scc1 .LBB273_65
; %bb.60:
	s_cmp_gt_i32 s13, 27
	s_cbranch_scc0 .LBB273_62
; %bb.61:
	v_lshlrev_b32_e32 v3, 16, v2
	v_cvt_u32_f32_e32 v3, v3
	s_mov_b64 s[6:7], 0
	global_store_dword v[0:1], v3, off
.LBB273_62:
	s_andn2_b64 vcc, exec, s[6:7]
	s_cbranch_vccnz .LBB273_64
; %bb.63:
	v_lshlrev_b32_e32 v3, 16, v2
	v_cvt_u32_f32_e32 v3, v3
	global_store_short v[0:1], v3, off
.LBB273_64:
	s_mov_b64 s[6:7], 0
.LBB273_65:
	s_andn2_b64 vcc, exec, s[6:7]
	s_cbranch_vccnz .LBB273_73
; %bb.66:
	v_lshlrev_b32_e32 v5, 16, v2
	v_and_b32_e32 v4, 0x7fffffff, v5
	s_mov_b32 s6, 0x43800000
	v_cmp_gt_u32_e32 vcc, s6, v4
	v_mov_b32_e32 v6, 0x80
	s_and_saveexec_b64 s[6:7], vcc
	s_cbranch_execz .LBB273_72
; %bb.67:
	s_mov_b32 s8, 0x3bffffff
	v_and_b32_e32 v3, 0xffff, v2
	v_cmp_lt_u32_e32 vcc, s8, v4
	s_mov_b64 s[8:9], 0
                                        ; implicit-def: $vgpr4
	s_and_saveexec_b64 s[10:11], vcc
	s_xor_b64 s[10:11], exec, s[10:11]
	s_cbranch_execz .LBB273_309
; %bb.68:
	v_bfe_u32 v4, v3, 4, 1
	s_mov_b32 s14, 0x487ffff
	v_add3_u32 v4, v5, v4, s14
	s_mov_b64 s[8:9], exec
	v_lshrrev_b32_e32 v4, 20, v4
                                        ; implicit-def: $vgpr5
	s_andn2_saveexec_b64 s[10:11], s[10:11]
	s_cbranch_execnz .LBB273_310
.LBB273_69:
	s_or_b64 exec, exec, s[10:11]
	v_mov_b32_e32 v6, 0
	s_and_saveexec_b64 s[10:11], s[8:9]
.LBB273_70:
	v_lshrrev_b32_e32 v3, 8, v3
	s_movk_i32 s8, 0x80
	v_and_or_b32 v6, v3, s8, v4
.LBB273_71:
	s_or_b64 exec, exec, s[10:11]
.LBB273_72:
	s_or_b64 exec, exec, s[6:7]
	global_store_byte v[0:1], v6, off
.LBB273_73:
	s_mov_b64 s[6:7], -1
.LBB273_74:
	s_mov_b64 s[8:9], 0
.LBB273_75:
	s_and_b64 vcc, exec, s[8:9]
	s_cbranch_vccz .LBB273_116
; %bb.76:
	s_cmp_gt_i32 s13, 22
	s_mov_b64 s[8:9], -1
	s_cbranch_scc0 .LBB273_108
; %bb.77:
	s_cmp_lt_i32 s13, 24
	s_mov_b64 s[6:7], -1
	s_cbranch_scc1 .LBB273_97
; %bb.78:
	s_cmp_gt_i32 s13, 24
	s_cbranch_scc0 .LBB273_86
; %bb.79:
	v_lshlrev_b32_e32 v5, 16, v2
	v_and_b32_e32 v4, 0x7fffffff, v5
	s_mov_b32 s6, 0x47800000
	v_cmp_gt_u32_e32 vcc, s6, v4
	v_mov_b32_e32 v6, 0x80
	s_and_saveexec_b64 s[6:7], vcc
	s_cbranch_execz .LBB273_85
; %bb.80:
	s_mov_b32 s8, 0x37ffffff
	v_and_b32_e32 v3, 0xffff, v2
	v_cmp_lt_u32_e32 vcc, s8, v4
	s_mov_b64 s[8:9], 0
                                        ; implicit-def: $vgpr4
	s_and_saveexec_b64 s[10:11], vcc
	s_xor_b64 s[10:11], exec, s[10:11]
	s_cbranch_execz .LBB273_313
; %bb.81:
	v_bfe_u32 v4, v3, 5, 1
	s_mov_b32 s14, 0x88fffff
	v_add3_u32 v4, v5, v4, s14
	s_mov_b64 s[8:9], exec
	v_lshrrev_b32_e32 v4, 21, v4
                                        ; implicit-def: $vgpr5
	s_andn2_saveexec_b64 s[10:11], s[10:11]
	s_cbranch_execnz .LBB273_314
.LBB273_82:
	s_or_b64 exec, exec, s[10:11]
	v_mov_b32_e32 v6, 0
	s_and_saveexec_b64 s[10:11], s[8:9]
.LBB273_83:
	v_lshrrev_b32_e32 v3, 8, v3
	s_movk_i32 s8, 0x80
	v_and_or_b32 v6, v3, s8, v4
.LBB273_84:
	s_or_b64 exec, exec, s[10:11]
.LBB273_85:
	s_or_b64 exec, exec, s[6:7]
	s_mov_b64 s[6:7], 0
	global_store_byte v[0:1], v6, off
.LBB273_86:
	s_and_b64 vcc, exec, s[6:7]
	s_cbranch_vccz .LBB273_96
; %bb.87:
	v_lshlrev_b32_e32 v5, 16, v2
	v_and_b32_e32 v6, 0x7fffffff, v5
	s_mov_b32 s6, 0x43f00000
	v_and_b32_e32 v3, 0xffff, v2
	v_cmp_gt_u32_e32 vcc, s6, v6
                                        ; implicit-def: $vgpr4
	s_and_saveexec_b64 s[6:7], vcc
	s_xor_b64 s[6:7], exec, s[6:7]
	s_cbranch_execz .LBB273_93
; %bb.88:
	s_mov_b32 s8, 0x3c7fffff
	v_cmp_lt_u32_e32 vcc, s8, v6
                                        ; implicit-def: $vgpr4
	s_and_saveexec_b64 s[8:9], vcc
	s_xor_b64 s[8:9], exec, s[8:9]
; %bb.89:
	v_bfe_u32 v4, v3, 4, 1
	s_mov_b32 s10, 0x407ffff
	v_add3_u32 v4, v5, v4, s10
	v_lshrrev_b32_e32 v5, 20, v4
	v_and_b32_e32 v4, 0xff00000, v4
	s_mov_b32 s10, 0x7f00000
	v_mov_b32_e32 v6, 0x7e
	v_cmp_ne_u32_e32 vcc, s10, v4
	s_nop 1
	v_cndmask_b32_e32 v4, v6, v5, vcc
                                        ; implicit-def: $vgpr5
; %bb.90:
	s_andn2_saveexec_b64 s[8:9], s[8:9]
; %bb.91:
	s_mov_b32 s10, 0x46800000
	v_add_f32_e64 v4, |v5|, s10
; %bb.92:
	s_or_b64 exec, exec, s[8:9]
                                        ; implicit-def: $vgpr6
.LBB273_93:
	s_andn2_saveexec_b64 s[6:7], s[6:7]
; %bb.94:
	s_mov_b32 s8, 0x7f800000
	v_mov_b32_e32 v4, 0x7e
	v_mov_b32_e32 v5, 0x7f
	v_cmp_lt_u32_e32 vcc, s8, v6
	s_nop 1
	v_cndmask_b32_e32 v4, v4, v5, vcc
; %bb.95:
	s_or_b64 exec, exec, s[6:7]
	v_lshrrev_b32_e32 v3, 8, v3
	s_movk_i32 s6, 0x80
	v_and_or_b32 v3, v3, s6, v4
	global_store_byte v[0:1], v3, off
.LBB273_96:
	s_mov_b64 s[6:7], 0
.LBB273_97:
	s_andn2_b64 vcc, exec, s[6:7]
	s_cbranch_vccnz .LBB273_107
; %bb.98:
	v_lshlrev_b32_e32 v5, 16, v2
	v_and_b32_e32 v6, 0x7fffffff, v5
	s_mov_b32 s6, 0x47800000
	v_and_b32_e32 v3, 0xffff, v2
	v_cmp_gt_u32_e32 vcc, s6, v6
                                        ; implicit-def: $vgpr4
	s_and_saveexec_b64 s[6:7], vcc
	s_xor_b64 s[6:7], exec, s[6:7]
	s_cbranch_execz .LBB273_104
; %bb.99:
	s_mov_b32 s8, 0x387fffff
	v_cmp_lt_u32_e32 vcc, s8, v6
                                        ; implicit-def: $vgpr4
	s_and_saveexec_b64 s[8:9], vcc
	s_xor_b64 s[8:9], exec, s[8:9]
; %bb.100:
	v_bfe_u32 v4, v3, 5, 1
	s_mov_b32 s10, 0x80fffff
	v_add3_u32 v4, v5, v4, s10
	v_lshrrev_b32_e32 v4, 21, v4
                                        ; implicit-def: $vgpr5
; %bb.101:
	s_andn2_saveexec_b64 s[8:9], s[8:9]
; %bb.102:
	s_mov_b32 s10, 0x43000000
	v_add_f32_e64 v4, |v5|, s10
; %bb.103:
	s_or_b64 exec, exec, s[8:9]
                                        ; implicit-def: $vgpr6
.LBB273_104:
	s_andn2_saveexec_b64 s[6:7], s[6:7]
; %bb.105:
	s_mov_b32 s8, 0x7f800000
	v_mov_b32_e32 v4, 0x7c
	v_mov_b32_e32 v5, 0x7f
	v_cmp_lt_u32_e32 vcc, s8, v6
	s_nop 1
	v_cndmask_b32_e32 v4, v4, v5, vcc
; %bb.106:
	s_or_b64 exec, exec, s[6:7]
	v_lshrrev_b32_e32 v3, 8, v3
	s_movk_i32 s6, 0x80
	v_and_or_b32 v3, v3, s6, v4
	global_store_byte v[0:1], v3, off
.LBB273_107:
	s_mov_b64 s[8:9], 0
	s_mov_b64 s[6:7], -1
.LBB273_108:
	s_andn2_b64 vcc, exec, s[8:9]
	s_cbranch_vccnz .LBB273_116
; %bb.109:
	s_cmp_gt_i32 s13, 14
	s_mov_b64 s[8:9], -1
	s_cbranch_scc0 .LBB273_113
; %bb.110:
	s_cmp_eq_u32 s13, 15
	s_mov_b64 s[2:3], -1
	s_cbranch_scc0 .LBB273_112
; %bb.111:
	global_store_short v[0:1], v2, off
	s_mov_b64 s[6:7], -1
	s_mov_b64 s[2:3], 0
.LBB273_112:
	s_mov_b64 s[8:9], 0
.LBB273_113:
	s_and_b64 vcc, exec, s[8:9]
	s_cbranch_vccz .LBB273_116
; %bb.114:
	s_cmp_eq_u32 s13, 11
	s_mov_b64 s[2:3], -1
	s_cbranch_scc0 .LBB273_116
; %bb.115:
	v_and_b32_e32 v3, 0x7fff, v2
	v_cmp_ne_u16_e32 vcc, 0, v3
	s_mov_b64 s[6:7], -1
	s_mov_b64 s[2:3], 0
	v_cndmask_b32_e64 v3, 0, 1, vcc
	global_store_byte v[0:1], v3, off
.LBB273_116:
	s_branch .LBB273_35
.LBB273_117:
	s_and_b32 s8, 0xffff, s12
	s_cmp_lt_i32 s8, 5
	s_mov_b64 s[6:7], -1
	s_cbranch_scc1 .LBB273_138
; %bb.118:
	s_cmp_lt_i32 s8, 8
	s_cbranch_scc1 .LBB273_128
; %bb.119:
	s_cmp_lt_i32 s8, 9
	s_cbranch_scc1 .LBB273_125
; %bb.120:
	s_cmp_gt_i32 s8, 9
	s_cbranch_scc0 .LBB273_122
; %bb.121:
	v_lshlrev_b32_e32 v3, 16, v2
	v_mov_b32_e32 v6, 0
	v_cvt_f64_f32_e32 v[4:5], v3
	v_mov_b32_e32 v7, v6
	global_store_dwordx4 v[0:1], v[4:7], off
	s_mov_b64 s[6:7], 0
.LBB273_122:
	s_andn2_b64 vcc, exec, s[6:7]
	s_cbranch_vccnz .LBB273_124
; %bb.123:
	v_lshlrev_b32_e32 v4, 16, v2
	v_mov_b32_e32 v5, 0
	global_store_dwordx2 v[0:1], v[4:5], off
.LBB273_124:
	s_mov_b64 s[6:7], 0
.LBB273_125:
	s_andn2_b64 vcc, exec, s[6:7]
	s_cbranch_vccnz .LBB273_127
; %bb.126:
	v_lshlrev_b32_e32 v3, 16, v2
	v_cvt_f16_f32_e32 v3, v3
	global_store_dword v[0:1], v3, off
.LBB273_127:
	s_mov_b64 s[6:7], 0
.LBB273_128:
	s_andn2_b64 vcc, exec, s[6:7]
	s_cbranch_vccnz .LBB273_137
; %bb.129:
	s_cmp_lt_i32 s8, 6
	s_mov_b64 s[6:7], -1
	s_cbranch_scc1 .LBB273_135
; %bb.130:
	s_cmp_gt_i32 s8, 6
	s_cbranch_scc0 .LBB273_132
; %bb.131:
	v_lshlrev_b32_e32 v3, 16, v2
	v_cvt_f64_f32_e32 v[4:5], v3
	global_store_dwordx2 v[0:1], v[4:5], off
	s_mov_b64 s[6:7], 0
.LBB273_132:
	s_andn2_b64 vcc, exec, s[6:7]
	s_cbranch_vccnz .LBB273_134
; %bb.133:
	v_lshlrev_b32_e32 v3, 16, v2
	global_store_dword v[0:1], v3, off
.LBB273_134:
	s_mov_b64 s[6:7], 0
.LBB273_135:
	s_andn2_b64 vcc, exec, s[6:7]
	s_cbranch_vccnz .LBB273_137
; %bb.136:
	v_lshlrev_b32_e32 v3, 16, v2
	v_cvt_f16_f32_e32 v3, v3
	global_store_short v[0:1], v3, off
.LBB273_137:
	s_mov_b64 s[6:7], 0
.LBB273_138:
	s_andn2_b64 vcc, exec, s[6:7]
	s_cbranch_vccnz .LBB273_154
; %bb.139:
	s_cmp_lt_i32 s8, 2
	s_mov_b64 s[6:7], -1
	s_cbranch_scc1 .LBB273_149
; %bb.140:
	s_cmp_lt_i32 s8, 3
	s_cbranch_scc1 .LBB273_146
; %bb.141:
	s_cmp_gt_i32 s8, 3
	s_cbranch_scc0 .LBB273_143
; %bb.142:
	v_lshlrev_b32_e32 v3, 16, v2
	v_trunc_f32_e32 v3, v3
	s_mov_b32 s6, 0x2f800000
	v_mul_f32_e64 v4, |v3|, s6
	v_floor_f32_e32 v4, v4
	s_mov_b32 s6, 0xcf800000
	v_cvt_u32_f32_e32 v5, v4
	v_fma_f32 v4, v4, s6, |v3|
	v_cvt_u32_f32_e32 v4, v4
	v_ashrrev_i32_e32 v3, 31, v3
	v_xor_b32_e32 v5, v5, v3
	s_mov_b64 s[6:7], 0
	v_xor_b32_e32 v4, v4, v3
	v_sub_co_u32_e32 v4, vcc, v4, v3
	s_nop 1
	v_subb_co_u32_e32 v5, vcc, v5, v3, vcc
	global_store_dwordx2 v[0:1], v[4:5], off
.LBB273_143:
	s_andn2_b64 vcc, exec, s[6:7]
	s_cbranch_vccnz .LBB273_145
; %bb.144:
	v_lshlrev_b32_e32 v3, 16, v2
	v_cvt_i32_f32_e32 v3, v3
	global_store_dword v[0:1], v3, off
.LBB273_145:
	s_mov_b64 s[6:7], 0
.LBB273_146:
	s_andn2_b64 vcc, exec, s[6:7]
	s_cbranch_vccnz .LBB273_148
; %bb.147:
	v_lshlrev_b32_e32 v3, 16, v2
	v_cvt_i32_f32_e32 v3, v3
	global_store_short v[0:1], v3, off
.LBB273_148:
	s_mov_b64 s[6:7], 0
.LBB273_149:
	s_andn2_b64 vcc, exec, s[6:7]
	s_cbranch_vccnz .LBB273_154
; %bb.150:
	s_cmp_gt_i32 s8, 0
	s_mov_b64 s[6:7], -1
	s_cbranch_scc0 .LBB273_152
; %bb.151:
	v_lshlrev_b32_e32 v3, 16, v2
	v_cvt_i32_f32_e32 v3, v3
	s_mov_b64 s[6:7], 0
	global_store_byte v[0:1], v3, off
.LBB273_152:
	s_andn2_b64 vcc, exec, s[6:7]
	s_cbranch_vccnz .LBB273_154
; %bb.153:
	v_lshlrev_b32_e32 v2, 16, v2
	v_trunc_f32_e32 v2, v2
	s_mov_b32 s6, 0x2f800000
	v_mul_f32_e64 v3, |v2|, s6
	v_floor_f32_e32 v3, v3
	s_mov_b32 s6, 0xcf800000
	v_fma_f32 v3, v3, s6, |v2|
	v_cvt_u32_f32_e32 v3, v3
	v_ashrrev_i32_e32 v2, 31, v2
	v_xor_b32_e32 v3, v3, v2
	v_sub_u32_e32 v2, v3, v2
	global_store_byte v[0:1], v2, off
.LBB273_154:
.LBB273_155:
	v_add_u32_e32 v8, 0x80, v8
	s_mov_b64 s[6:7], -1
	s_branch .LBB273_266
.LBB273_156:
	s_mov_b64 s[4:5], -1
                                        ; implicit-def: $vgpr1
.LBB273_157:
	s_mov_b64 s[6:7], 0
.LBB273_158:
	s_and_b64 vcc, exec, s[6:7]
	s_cbranch_vccz .LBB273_162
; %bb.159:
	s_cmp_eq_u32 s10, 29
	s_cbranch_scc0 .LBB273_161
; %bb.160:
	global_load_dwordx2 v[4:5], v[2:3], off
	s_movk_i32 s4, 0x7fff
	s_mov_b64 s[2:3], -1
	s_mov_b64 s[6:7], 0
	s_waitcnt vmcnt(0)
	v_ffbh_u32_e32 v1, v5
	v_min_u32_e32 v1, 32, v1
	v_lshlrev_b64 v[4:5], v1, v[4:5]
	v_min_u32_e32 v4, 1, v4
	v_or_b32_e32 v4, v5, v4
	v_cvt_f32_u32_e32 v4, v4
	v_sub_u32_e32 v1, 32, v1
	v_ldexp_f32 v1, v4, v1
	v_bfe_u32 v4, v1, 16, 1
	v_add3_u32 v1, v1, v4, s4
	v_lshrrev_b32_e32 v1, 16, v1
	s_mov_b64 s[4:5], 0
	s_branch .LBB273_163
.LBB273_161:
	s_mov_b64 s[4:5], -1
                                        ; implicit-def: $vgpr1
.LBB273_162:
	s_mov_b64 s[6:7], 0
.LBB273_163:
	s_and_b64 vcc, exec, s[6:7]
	s_cbranch_vccz .LBB273_181
; %bb.164:
	s_cmp_lt_i32 s10, 27
	s_cbranch_scc1 .LBB273_167
; %bb.165:
	s_cmp_gt_i32 s10, 27
	s_cbranch_scc0 .LBB273_168
; %bb.166:
	global_load_dword v1, v[2:3], off
	s_movk_i32 s2, 0x7fff
	s_waitcnt vmcnt(0)
	v_cvt_f32_u32_e32 v1, v1
	v_bfe_u32 v4, v1, 16, 1
	v_add3_u32 v1, v1, v4, s2
	v_lshrrev_b32_e32 v1, 16, v1
	s_mov_b64 s[2:3], 0
	s_branch .LBB273_169
.LBB273_167:
	s_mov_b64 s[2:3], -1
                                        ; implicit-def: $vgpr1
	s_branch .LBB273_172
.LBB273_168:
	s_mov_b64 s[2:3], -1
                                        ; implicit-def: $vgpr1
.LBB273_169:
	s_andn2_b64 vcc, exec, s[2:3]
	s_cbranch_vccnz .LBB273_171
; %bb.170:
	global_load_ushort v1, v[2:3], off
	s_movk_i32 s2, 0x7fff
	s_waitcnt vmcnt(0)
	v_cvt_f32_u32_e32 v1, v1
	v_bfe_u32 v4, v1, 16, 1
	v_add3_u32 v1, v1, v4, s2
	v_lshrrev_b32_e32 v1, 16, v1
.LBB273_171:
	s_mov_b64 s[2:3], 0
.LBB273_172:
	s_andn2_b64 vcc, exec, s[2:3]
	s_cbranch_vccnz .LBB273_180
; %bb.173:
	global_load_ubyte v1, v[2:3], off
	s_movk_i32 s2, 0x7f
	s_waitcnt vmcnt(0)
	v_cmp_lt_i16_e32 vcc, s2, v1
	s_mov_b64 s[2:3], 0
	s_and_saveexec_b64 s[6:7], vcc
	s_xor_b64 s[6:7], exec, s[6:7]
	s_cbranch_execz .LBB273_193
; %bb.174:
	s_movk_i32 s2, 0x80
	v_cmp_eq_u16_e32 vcc, s2, v1
	s_mov_b64 s[2:3], -1
	s_and_saveexec_b64 s[8:9], vcc
; %bb.175:
	s_xor_b64 s[2:3], exec, -1
; %bb.176:
	s_or_b64 exec, exec, s[8:9]
	s_and_b64 s[2:3], s[2:3], exec
	s_or_saveexec_b64 s[6:7], s[6:7]
	v_mov_b32_e32 v4, 0x7f800001
	s_xor_b64 exec, exec, s[6:7]
	s_cbranch_execnz .LBB273_194
.LBB273_177:
	s_or_b64 exec, exec, s[6:7]
	s_and_saveexec_b64 s[6:7], s[2:3]
	s_cbranch_execz .LBB273_179
.LBB273_178:
	v_lshlrev_b32_e32 v4, 24, v1
	v_and_b32_e32 v1, 0xffff, v1
	v_and_b32_e32 v5, 7, v1
	v_ffbh_u32_e32 v7, v5
	v_min_u32_e32 v7, 32, v7
	v_subrev_u32_e32 v9, 28, v7
	v_bfe_u32 v6, v1, 3, 4
	v_lshlrev_b32_e32 v1, v9, v1
	v_sub_u32_e32 v7, 29, v7
	v_and_b32_e32 v1, 7, v1
	v_cmp_eq_u32_e32 vcc, 0, v6
	v_and_b32_e32 v4, 0x80000000, v4
	s_nop 0
	v_cndmask_b32_e32 v6, v6, v7, vcc
	v_cndmask_b32_e32 v1, v5, v1, vcc
	v_mov_b32_e32 v5, 0x3b800000
	v_lshlrev_b32_e32 v1, 20, v1
	v_lshl_add_u32 v5, v6, 23, v5
	v_or3_b32 v4, v4, v5, v1
.LBB273_179:
	s_or_b64 exec, exec, s[6:7]
	v_bfe_u32 v1, v4, 16, 1
	s_movk_i32 s2, 0x7fff
	v_add3_u32 v1, v4, v1, s2
	v_cmp_o_f32_e32 vcc, v4, v4
	v_mov_b32_e32 v4, 0x7fc0
	s_nop 0
	v_cndmask_b32_sdwa v1, v4, v1, vcc dst_sel:DWORD dst_unused:UNUSED_PAD src0_sel:DWORD src1_sel:WORD_1
.LBB273_180:
	s_mov_b64 s[2:3], -1
.LBB273_181:
	s_branch .LBB273_216
.LBB273_182:
	s_cmp_gt_i32 s10, 22
	s_cbranch_scc0 .LBB273_192
; %bb.183:
	s_cmp_lt_i32 s10, 24
	s_cbranch_scc1 .LBB273_195
; %bb.184:
	s_cmp_gt_i32 s10, 24
	s_cbranch_scc0 .LBB273_196
; %bb.185:
	global_load_ubyte v1, v[2:3], off
	s_movk_i32 s2, 0x7f
	s_waitcnt vmcnt(0)
	v_cmp_lt_i16_e32 vcc, s2, v1
	s_mov_b64 s[2:3], 0
	s_and_saveexec_b64 s[6:7], vcc
	s_xor_b64 s[6:7], exec, s[6:7]
	s_cbranch_execz .LBB273_208
; %bb.186:
	s_movk_i32 s2, 0x80
	v_cmp_eq_u16_e32 vcc, s2, v1
	s_mov_b64 s[2:3], -1
	s_and_saveexec_b64 s[8:9], vcc
; %bb.187:
	s_xor_b64 s[2:3], exec, -1
; %bb.188:
	s_or_b64 exec, exec, s[8:9]
	s_and_b64 s[2:3], s[2:3], exec
	s_or_saveexec_b64 s[6:7], s[6:7]
	v_mov_b32_e32 v4, 0x7f800001
	s_xor_b64 exec, exec, s[6:7]
	s_cbranch_execnz .LBB273_209
.LBB273_189:
	s_or_b64 exec, exec, s[6:7]
	s_and_saveexec_b64 s[6:7], s[2:3]
	s_cbranch_execz .LBB273_191
.LBB273_190:
	v_lshlrev_b32_e32 v4, 24, v1
	v_and_b32_e32 v1, 0xffff, v1
	v_and_b32_e32 v5, 3, v1
	v_ffbh_u32_e32 v7, v5
	v_min_u32_e32 v7, 32, v7
	v_subrev_u32_e32 v9, 29, v7
	v_bfe_u32 v6, v1, 2, 5
	v_lshlrev_b32_e32 v1, v9, v1
	v_sub_u32_e32 v7, 30, v7
	v_and_b32_e32 v1, 3, v1
	v_cmp_eq_u32_e32 vcc, 0, v6
	v_and_b32_e32 v4, 0x80000000, v4
	s_nop 0
	v_cndmask_b32_e32 v6, v6, v7, vcc
	v_cndmask_b32_e32 v1, v5, v1, vcc
	v_mov_b32_e32 v5, 0x37800000
	v_lshlrev_b32_e32 v1, 21, v1
	v_lshl_add_u32 v5, v6, 23, v5
	v_or3_b32 v4, v4, v5, v1
.LBB273_191:
	s_or_b64 exec, exec, s[6:7]
	v_bfe_u32 v1, v4, 16, 1
	s_movk_i32 s2, 0x7fff
	v_add3_u32 v1, v4, v1, s2
	v_cmp_o_f32_e32 vcc, v4, v4
	v_mov_b32_e32 v4, 0x7fc0
	s_mov_b64 s[2:3], 0
	v_cndmask_b32_sdwa v1, v4, v1, vcc dst_sel:DWORD dst_unused:UNUSED_PAD src0_sel:DWORD src1_sel:WORD_1
	s_branch .LBB273_197
.LBB273_192:
	s_mov_b64 s[6:7], -1
                                        ; implicit-def: $vgpr1
	s_branch .LBB273_203
.LBB273_193:
	s_or_saveexec_b64 s[6:7], s[6:7]
	v_mov_b32_e32 v4, 0x7f800001
	s_xor_b64 exec, exec, s[6:7]
	s_cbranch_execz .LBB273_177
.LBB273_194:
	v_cmp_ne_u16_e32 vcc, 0, v1
	s_andn2_b64 s[2:3], s[2:3], exec
	s_and_b64 s[8:9], vcc, exec
	v_mov_b32_e32 v4, 0
	s_or_b64 s[2:3], s[2:3], s[8:9]
	s_or_b64 exec, exec, s[6:7]
	s_and_saveexec_b64 s[6:7], s[2:3]
	s_cbranch_execnz .LBB273_178
	s_branch .LBB273_179
.LBB273_195:
	s_mov_b64 s[2:3], -1
                                        ; implicit-def: $vgpr1
	s_branch .LBB273_200
.LBB273_196:
	s_mov_b64 s[2:3], -1
                                        ; implicit-def: $vgpr1
.LBB273_197:
	s_and_b64 vcc, exec, s[2:3]
	s_cbranch_vccz .LBB273_199
; %bb.198:
	global_load_ubyte v1, v[2:3], off
	s_mov_b32 s2, 0x7f800000
	s_brev_b32 s3, 1
	s_movk_i32 s6, 0x7fff
	s_waitcnt vmcnt(0)
	v_lshlrev_b32_e32 v1, 24, v1
	v_and_b32_e32 v4, 0x7f000000, v1
	v_ffbh_u32_e32 v5, v4
	v_min_u32_e32 v5, 32, v5
	v_sub_u32_e64 v5, v5, 4 clamp
	v_lshlrev_b32_e32 v7, v5, v4
	v_lshlrev_b32_e32 v5, 23, v5
	v_lshrrev_b32_e32 v7, 4, v7
	v_add_u32_e32 v6, 0x1000000, v4
	v_sub_u32_e32 v5, v7, v5
	v_ashrrev_i32_e32 v6, 8, v6
	v_add_u32_e32 v5, 0x3c000000, v5
	v_and_or_b32 v5, v6, s2, v5
	v_cmp_ne_u32_e32 vcc, 0, v4
	s_nop 1
	v_cndmask_b32_e32 v4, 0, v5, vcc
	v_and_or_b32 v1, v1, s3, v4
	v_bfe_u32 v4, v4, 16, 1
	v_add3_u32 v4, v1, v4, s6
	v_cmp_o_f32_e32 vcc, v1, v1
	v_mov_b32_e32 v1, 0x7fc0
	s_nop 0
	v_cndmask_b32_sdwa v1, v1, v4, vcc dst_sel:DWORD dst_unused:UNUSED_PAD src0_sel:DWORD src1_sel:WORD_1
.LBB273_199:
	s_mov_b64 s[2:3], 0
.LBB273_200:
	s_andn2_b64 vcc, exec, s[2:3]
	s_cbranch_vccnz .LBB273_202
; %bb.201:
	global_load_ubyte v1, v[2:3], off
	s_movk_i32 s2, 0x7f00
	s_brev_b32 s3, 16
	s_brev_b32 s6, 1
	s_movk_i32 s7, 0x7fff
	s_waitcnt vmcnt(0)
	v_lshlrev_b16_e32 v4, 8, v1
	v_lshlrev_b32_e32 v1, 25, v1
	v_lshrrev_b32_e32 v5, 4, v1
	v_and_or_b32 v6, v4, s2, 0.5
	v_or_b32_e32 v5, 0x70000000, v5
	v_add_f32_e32 v6, -0.5, v6
	v_mul_f32_e32 v5, 0x7800000, v5
	v_cmp_gt_u32_e32 vcc, s3, v1
	v_bfe_i32 v4, v4, 0, 16
	s_nop 0
	v_cndmask_b32_e32 v1, v5, v6, vcc
	v_and_or_b32 v4, v4, s6, v1
	v_bfe_u32 v1, v1, 16, 1
	v_add3_u32 v1, v4, v1, s7
	v_cmp_o_f32_e32 vcc, v4, v4
	v_mov_b32_e32 v4, 0x7fc0
	s_nop 0
	v_cndmask_b32_sdwa v1, v4, v1, vcc dst_sel:DWORD dst_unused:UNUSED_PAD src0_sel:DWORD src1_sel:WORD_1
.LBB273_202:
	s_mov_b64 s[6:7], 0
	s_mov_b64 s[2:3], -1
.LBB273_203:
	s_andn2_b64 vcc, exec, s[6:7]
	s_cbranch_vccnz .LBB273_216
; %bb.204:
	s_cmp_gt_i32 s10, 14
	s_cbranch_scc0 .LBB273_207
; %bb.205:
	s_cmp_eq_u32 s10, 15
	s_cbranch_scc0 .LBB273_210
; %bb.206:
	global_load_ushort v1, v[2:3], off
	s_mov_b64 s[2:3], -1
	s_mov_b64 s[4:5], 0
	s_branch .LBB273_211
.LBB273_207:
	s_mov_b64 s[6:7], -1
                                        ; implicit-def: $vgpr1
	s_branch .LBB273_212
.LBB273_208:
	s_or_saveexec_b64 s[6:7], s[6:7]
	v_mov_b32_e32 v4, 0x7f800001
	s_xor_b64 exec, exec, s[6:7]
	s_cbranch_execz .LBB273_189
.LBB273_209:
	v_cmp_ne_u16_e32 vcc, 0, v1
	s_andn2_b64 s[2:3], s[2:3], exec
	s_and_b64 s[8:9], vcc, exec
	v_mov_b32_e32 v4, 0
	s_or_b64 s[2:3], s[2:3], s[8:9]
	s_or_b64 exec, exec, s[6:7]
	s_and_saveexec_b64 s[6:7], s[2:3]
	s_cbranch_execnz .LBB273_190
	s_branch .LBB273_191
.LBB273_210:
	s_mov_b64 s[4:5], -1
                                        ; implicit-def: $vgpr1
.LBB273_211:
	s_mov_b64 s[6:7], 0
.LBB273_212:
	s_and_b64 vcc, exec, s[6:7]
	s_cbranch_vccz .LBB273_216
; %bb.213:
	s_cmp_eq_u32 s10, 11
	s_cbranch_scc0 .LBB273_215
; %bb.214:
	global_load_ubyte v1, v[2:3], off
	s_mov_b64 s[2:3], -1
	s_mov_b64 s[4:5], 0
	s_waitcnt vmcnt(0)
	v_cmp_ne_u16_e32 vcc, 0, v1
	s_nop 1
	v_cndmask_b32_e64 v1, 0, 1.0, vcc
	v_lshrrev_b32_e32 v1, 16, v1
	s_branch .LBB273_216
.LBB273_215:
	s_mov_b64 s[4:5], -1
                                        ; implicit-def: $vgpr1
.LBB273_216:
	s_branch .LBB273_25
.LBB273_217:
	s_cmp_lt_i32 s10, 5
	s_cbranch_scc1 .LBB273_222
; %bb.218:
	s_cmp_lt_i32 s10, 8
	s_cbranch_scc1 .LBB273_223
; %bb.219:
	;; [unrolled: 3-line block ×3, first 2 shown]
	s_cmp_gt_i32 s10, 9
	s_cbranch_scc0 .LBB273_225
; %bb.221:
	global_load_dwordx2 v[4:5], v[2:3], off
	s_movk_i32 s2, 0x7fff
	s_waitcnt vmcnt(1)
	v_mov_b32_e32 v1, 0x7fc0
	s_waitcnt vmcnt(0)
	v_cvt_f32_f64_e32 v4, v[4:5]
	v_bfe_u32 v5, v4, 16, 1
	v_cmp_o_f32_e32 vcc, v4, v4
	v_add3_u32 v4, v4, v5, s2
	s_mov_b64 s[2:3], 0
	v_cndmask_b32_sdwa v1, v1, v4, vcc dst_sel:DWORD dst_unused:UNUSED_PAD src0_sel:DWORD src1_sel:WORD_1
	s_branch .LBB273_226
.LBB273_222:
                                        ; implicit-def: $vgpr1
	s_branch .LBB273_244
.LBB273_223:
	s_mov_b64 s[2:3], -1
                                        ; implicit-def: $vgpr1
	s_branch .LBB273_232
.LBB273_224:
	s_mov_b64 s[2:3], -1
                                        ; implicit-def: $vgpr1
	s_branch .LBB273_229
.LBB273_225:
	s_mov_b64 s[2:3], -1
                                        ; implicit-def: $vgpr1
.LBB273_226:
	s_andn2_b64 vcc, exec, s[2:3]
	s_cbranch_vccnz .LBB273_228
; %bb.227:
	global_load_dword v1, v[2:3], off
	s_movk_i32 s2, 0x7fff
	v_mov_b32_e32 v4, 0x7fc0
	s_waitcnt vmcnt(0)
	v_bfe_u32 v5, v1, 16, 1
	v_cmp_o_f32_e32 vcc, v1, v1
	v_add3_u32 v1, v1, v5, s2
	s_nop 0
	v_cndmask_b32_sdwa v1, v4, v1, vcc dst_sel:DWORD dst_unused:UNUSED_PAD src0_sel:DWORD src1_sel:WORD_1
.LBB273_228:
	s_mov_b64 s[2:3], 0
.LBB273_229:
	s_andn2_b64 vcc, exec, s[2:3]
	s_cbranch_vccnz .LBB273_231
; %bb.230:
	global_load_dword v1, v[2:3], off
	s_movk_i32 s2, 0x7fff
	v_mov_b32_e32 v5, 0x7fc0
	s_waitcnt vmcnt(0)
	v_cvt_f32_f16_e32 v4, v1
	v_cmp_o_f16_e32 vcc, v1, v1
	v_bfe_u32 v1, v4, 16, 1
	v_add3_u32 v1, v4, v1, s2
	v_cndmask_b32_sdwa v1, v5, v1, vcc dst_sel:DWORD dst_unused:UNUSED_PAD src0_sel:DWORD src1_sel:WORD_1
.LBB273_231:
	s_mov_b64 s[2:3], 0
.LBB273_232:
	s_andn2_b64 vcc, exec, s[2:3]
	s_cbranch_vccnz .LBB273_243
; %bb.233:
	s_cmp_lt_i32 s10, 6
	s_cbranch_scc1 .LBB273_236
; %bb.234:
	s_cmp_gt_i32 s10, 6
	s_cbranch_scc0 .LBB273_237
; %bb.235:
	global_load_dwordx2 v[4:5], v[2:3], off
	s_movk_i32 s2, 0x7fff
	s_waitcnt vmcnt(1)
	v_mov_b32_e32 v1, 0x7fc0
	s_waitcnt vmcnt(0)
	v_cvt_f32_f64_e32 v4, v[4:5]
	v_bfe_u32 v5, v4, 16, 1
	v_cmp_o_f32_e32 vcc, v4, v4
	v_add3_u32 v4, v4, v5, s2
	s_mov_b64 s[2:3], 0
	v_cndmask_b32_sdwa v1, v1, v4, vcc dst_sel:DWORD dst_unused:UNUSED_PAD src0_sel:DWORD src1_sel:WORD_1
	s_branch .LBB273_238
.LBB273_236:
	s_mov_b64 s[2:3], -1
                                        ; implicit-def: $vgpr1
	s_branch .LBB273_241
.LBB273_237:
	s_mov_b64 s[2:3], -1
                                        ; implicit-def: $vgpr1
.LBB273_238:
	s_andn2_b64 vcc, exec, s[2:3]
	s_cbranch_vccnz .LBB273_240
; %bb.239:
	global_load_dword v1, v[2:3], off
	s_movk_i32 s2, 0x7fff
	v_mov_b32_e32 v4, 0x7fc0
	s_waitcnt vmcnt(0)
	v_bfe_u32 v5, v1, 16, 1
	v_cmp_o_f32_e32 vcc, v1, v1
	v_add3_u32 v1, v1, v5, s2
	s_nop 0
	v_cndmask_b32_sdwa v1, v4, v1, vcc dst_sel:DWORD dst_unused:UNUSED_PAD src0_sel:DWORD src1_sel:WORD_1
.LBB273_240:
	s_mov_b64 s[2:3], 0
.LBB273_241:
	s_andn2_b64 vcc, exec, s[2:3]
	s_cbranch_vccnz .LBB273_243
; %bb.242:
	global_load_ushort v1, v[2:3], off
	s_movk_i32 s2, 0x7fff
	v_mov_b32_e32 v5, 0x7fc0
	s_waitcnt vmcnt(0)
	v_cvt_f32_f16_e32 v4, v1
	v_cmp_o_f16_e32 vcc, v1, v1
	v_bfe_u32 v1, v4, 16, 1
	v_add3_u32 v1, v4, v1, s2
	v_cndmask_b32_sdwa v1, v5, v1, vcc dst_sel:DWORD dst_unused:UNUSED_PAD src0_sel:DWORD src1_sel:WORD_1
.LBB273_243:
	s_cbranch_execnz .LBB273_263
.LBB273_244:
	s_cmp_lt_i32 s10, 2
	s_cbranch_scc1 .LBB273_248
; %bb.245:
	s_cmp_lt_i32 s10, 3
	s_cbranch_scc1 .LBB273_249
; %bb.246:
	s_cmp_gt_i32 s10, 3
	s_cbranch_scc0 .LBB273_250
; %bb.247:
	global_load_dwordx2 v[4:5], v[2:3], off
	s_movk_i32 s2, 0x7fff
	s_waitcnt vmcnt(0)
	v_xor_b32_e32 v6, v4, v5
	v_ffbh_i32_e32 v1, v5
	v_ashrrev_i32_e32 v6, 31, v6
	v_add_u32_e32 v1, -1, v1
	v_add_u32_e32 v6, 32, v6
	v_min_u32_e32 v1, v1, v6
	v_lshlrev_b64 v[4:5], v1, v[4:5]
	v_min_u32_e32 v4, 1, v4
	v_or_b32_e32 v4, v5, v4
	v_cvt_f32_i32_e32 v4, v4
	v_sub_u32_e32 v1, 32, v1
	v_ldexp_f32 v1, v4, v1
	v_bfe_u32 v4, v1, 16, 1
	v_add3_u32 v1, v1, v4, s2
	v_lshrrev_b32_e32 v1, 16, v1
	s_mov_b64 s[2:3], 0
	s_branch .LBB273_251
.LBB273_248:
	s_mov_b64 s[2:3], -1
                                        ; implicit-def: $vgpr1
	s_branch .LBB273_257
.LBB273_249:
	s_mov_b64 s[2:3], -1
                                        ; implicit-def: $vgpr1
	s_branch .LBB273_254
.LBB273_250:
	s_mov_b64 s[2:3], -1
                                        ; implicit-def: $vgpr1
.LBB273_251:
	s_andn2_b64 vcc, exec, s[2:3]
	s_cbranch_vccnz .LBB273_253
; %bb.252:
	global_load_dword v1, v[2:3], off
	s_movk_i32 s2, 0x7fff
	s_waitcnt vmcnt(0)
	v_cvt_f32_i32_e32 v1, v1
	v_bfe_u32 v4, v1, 16, 1
	v_add3_u32 v1, v1, v4, s2
	v_lshrrev_b32_e32 v1, 16, v1
.LBB273_253:
	s_mov_b64 s[2:3], 0
.LBB273_254:
	s_andn2_b64 vcc, exec, s[2:3]
	s_cbranch_vccnz .LBB273_256
; %bb.255:
	global_load_sshort v1, v[2:3], off
	s_movk_i32 s2, 0x7fff
	s_waitcnt vmcnt(0)
	v_cvt_f32_i32_e32 v1, v1
	v_bfe_u32 v4, v1, 16, 1
	v_add3_u32 v1, v1, v4, s2
	v_lshrrev_b32_e32 v1, 16, v1
.LBB273_256:
	s_mov_b64 s[2:3], 0
.LBB273_257:
	s_andn2_b64 vcc, exec, s[2:3]
	s_cbranch_vccnz .LBB273_263
; %bb.258:
	s_cmp_gt_i32 s10, 0
	s_cbranch_scc0 .LBB273_260
; %bb.259:
	global_load_sbyte v1, v[2:3], off
	s_movk_i32 s2, 0x7fff
	s_waitcnt vmcnt(0)
	v_cvt_f32_i32_e32 v1, v1
	v_bfe_u32 v4, v1, 16, 1
	v_add3_u32 v1, v1, v4, s2
	v_lshrrev_b32_e32 v1, 16, v1
	s_mov_b64 s[2:3], 0
	s_branch .LBB273_261
.LBB273_260:
	s_mov_b64 s[2:3], -1
                                        ; implicit-def: $vgpr1
.LBB273_261:
	s_andn2_b64 vcc, exec, s[2:3]
	s_cbranch_vccnz .LBB273_263
; %bb.262:
	global_load_ubyte v1, v[2:3], off
	s_movk_i32 s2, 0x7fff
	s_waitcnt vmcnt(0)
	v_cvt_f32_ubyte0_e32 v1, v1
	v_bfe_u32 v2, v1, 16, 1
	v_add3_u32 v1, v1, v2, s2
	v_lshrrev_b32_e32 v1, 16, v1
.LBB273_263:
	s_branch .LBB273_26
.LBB273_264:
	s_mov_b64 s[2:3], 0
.LBB273_265:
	s_mov_b64 s[6:7], 0
                                        ; implicit-def: $vgpr8
.LBB273_266:
	s_and_b64 s[54:55], s[2:3], exec
	s_and_b64 s[56:57], s[4:5], exec
	s_orn2_b64 s[4:5], s[6:7], exec
.LBB273_267:
	s_or_b64 exec, exec, s[58:59]
	s_mov_b64 s[8:9], 0
	s_mov_b64 s[2:3], 0
                                        ; implicit-def: $vgpr2_vgpr3
                                        ; implicit-def: $vgpr0
                                        ; implicit-def: $vgpr1
	s_and_saveexec_b64 s[58:59], s[4:5]
	s_cbranch_execz .LBB273_275
; %bb.268:
	v_cmp_gt_i32_e32 vcc, s70, v8
	s_mov_b64 s[2:3], -1
	s_mov_b64 s[60:61], s[56:57]
	s_mov_b64 s[62:63], s[54:55]
	s_and_saveexec_b64 s[64:65], vcc
	s_cbranch_execz .LBB273_544
; %bb.269:
	s_andn2_b64 vcc, exec, s[42:43]
	s_cbranch_vccnz .LBB273_278
; %bb.270:
	s_andn2_b64 vcc, exec, s[52:53]
	s_cbranch_vccnz .LBB273_279
; %bb.271:
	s_add_i32 s63, s75, 1
	s_cmp_eq_u32 s72, 2
	s_cbranch_scc1 .LBB273_280
; %bb.272:
	s_and_b32 s62, s63, 28
	s_mov_b32 s66, 0
	v_mov_b32_e32 v0, 0
	v_mov_b32_e32 v2, 0
	s_mov_b64 s[2:3], s[34:35]
	s_mov_b64 s[60:61], s[50:51]
	v_mov_b32_e32 v4, v8
.LBB273_273:                            ; =>This Inner Loop Header: Depth=1
	s_load_dwordx8 s[12:19], s[2:3], 0x4
	s_load_dwordx4 s[36:39], s[2:3], 0x24
	s_load_dwordx8 s[4:11], s[60:61], 0x0
	s_add_u32 s2, s2, 48
	s_addc_u32 s3, s3, 0
	s_waitcnt vmcnt(0) lgkmcnt(0)
	v_mul_hi_u32 v1, s13, v4
	v_add_u32_e32 v1, v4, v1
	v_lshrrev_b32_e32 v1, s14, v1
	v_mul_lo_u32 v3, v1, s12
	v_mul_hi_u32 v5, s16, v1
	v_sub_u32_e32 v3, v4, v3
	v_add_u32_e32 v4, v1, v5
	v_lshrrev_b32_e32 v4, s17, v4
	v_mul_lo_u32 v6, v4, s15
	v_mul_hi_u32 v7, s19, v4
	v_sub_u32_e32 v1, v1, v6
	v_add_u32_e32 v6, v4, v7
	v_mul_lo_u32 v5, v3, s5
	v_mul_lo_u32 v3, v3, s4
	;; [unrolled: 1-line block ×4, first 2 shown]
	v_lshrrev_b32_e32 v6, s36, v6
	v_add3_u32 v0, v3, v0, v1
	v_mul_hi_u32 v3, s38, v6
	v_add3_u32 v1, v5, v2, v7
	v_mul_lo_u32 v2, v6, s18
	v_add_u32_e32 v3, v6, v3
	v_sub_u32_e32 v2, v4, v2
	v_lshrrev_b32_e32 v4, s39, v3
	s_add_i32 s66, s66, 4
	v_mul_lo_u32 v3, v4, s37
	s_add_u32 s60, s60, 32
	v_sub_u32_e32 v3, v6, v3
	s_addc_u32 s61, s61, 0
	v_mul_lo_u32 v5, v2, s8
	v_mul_lo_u32 v2, v2, s9
	;; [unrolled: 1-line block ×4, first 2 shown]
	s_cmp_eq_u32 s62, s66
	v_add3_u32 v2, v2, v1, v3
	v_add3_u32 v0, v5, v0, v6
	s_cbranch_scc0 .LBB273_273
; %bb.274:
	v_mov_b32_e32 v1, v2
	s_branch .LBB273_281
.LBB273_275:
	s_or_b64 exec, exec, s[58:59]
	s_mov_b64 s[4:5], 0
	s_and_saveexec_b64 s[6:7], s[56:57]
	s_cbranch_execnz .LBB273_922
.LBB273_276:
	s_or_b64 exec, exec, s[6:7]
	s_and_saveexec_b64 s[6:7], s[62:63]
	s_xor_b64 s[6:7], exec, s[6:7]
	s_cbranch_execz .LBB273_923
.LBB273_277:
	global_load_ubyte v1, v[2:3], off
	s_or_b64 s[2:3], s[2:3], exec
	s_waitcnt vmcnt(0)
	v_cmp_ne_u16_e32 vcc, 0, v1
	s_nop 1
	v_cndmask_b32_e64 v1, 0, 1.0, vcc
	v_lshrrev_b32_e32 v1, 16, v1
	s_or_b64 exec, exec, s[6:7]
	s_and_saveexec_b64 s[6:7], s[8:9]
	s_cbranch_execz .LBB273_969
	s_branch .LBB273_924
.LBB273_278:
                                        ; implicit-def: $vgpr2
                                        ; implicit-def: $vgpr0
	s_andn2_b64 vcc, exec, s[2:3]
	s_cbranch_vccz .LBB273_285
	s_branch .LBB273_287
.LBB273_279:
	v_mov_b32_e32 v2, 0
	v_mov_b32_e32 v0, 0
	s_branch .LBB273_284
.LBB273_280:
	v_mov_b32_e32 v0, 0
	s_mov_b32 s62, 0
	s_waitcnt vmcnt(0)
	v_mov_b32_e32 v1, v0
                                        ; implicit-def: $vgpr2
	v_mov_b32_e32 v4, v8
.LBB273_281:
	s_and_b32 s6, s63, 3
	s_cmp_eq_u32 s6, 0
	s_cbranch_scc1 .LBB273_284
; %bb.282:
	s_lshl_b32 s2, s62, 3
	s_add_u32 s2, s34, s2
	s_addc_u32 s3, s35, 0
	s_add_u32 s2, s2, 0xc4
	s_addc_u32 s3, s3, 0
	s_mul_i32 s4, s62, 12
	s_add_u32 s4, s34, s4
	s_addc_u32 s5, s35, 0
.LBB273_283:                            ; =>This Inner Loop Header: Depth=1
	s_load_dwordx2 s[8:9], s[4:5], 0x4
	s_load_dword s7, s[4:5], 0xc
	s_load_dwordx2 s[10:11], s[2:3], 0x0
	v_mov_b32_e32 v2, v1
	s_add_u32 s4, s4, 12
	s_waitcnt lgkmcnt(0)
	v_mul_hi_u32 v1, s9, v4
	v_add_u32_e32 v1, v4, v1
	v_lshrrev_b32_e32 v1, s7, v1
	s_addc_u32 s5, s5, 0
	v_mul_lo_u32 v3, v1, s8
	s_add_u32 s2, s2, 8
	v_sub_u32_e32 v5, v4, v3
	s_addc_u32 s3, s3, 0
	s_add_i32 s6, s6, -1
	v_mov_b32_e32 v4, v1
	v_mad_u64_u32 v[2:3], s[8:9], v5, s11, v[2:3]
	v_mad_u64_u32 v[0:1], s[8:9], v5, s10, v[0:1]
	s_cmp_lg_u32 s6, 0
	v_mov_b32_e32 v1, v2
	s_cbranch_scc1 .LBB273_283
.LBB273_284:
	s_cbranch_execnz .LBB273_287
.LBB273_285:
	s_waitcnt lgkmcnt(0)
	v_mul_hi_u32 v0, s29, v8
	v_add_u32_e32 v0, v8, v0
	s_waitcnt vmcnt(0)
	v_lshrrev_b32_e32 v1, s30, v0
	v_mul_lo_u32 v0, v1, s28
	v_sub_u32_e32 v0, v8, v0
	v_mul_lo_u32 v2, v0, s25
	s_andn2_b64 vcc, exec, s[48:49]
	v_mul_lo_u32 v0, v0, s24
	s_cbranch_vccnz .LBB273_287
; %bb.286:
	v_mul_hi_u32 v3, s46, v1
	v_add_u32_e32 v3, v1, v3
	v_lshrrev_b32_e32 v3, s47, v3
	v_mul_lo_u32 v3, v3, s31
	v_sub_u32_e32 v3, v1, v3
	v_mad_u64_u32 v[0:1], s[2:3], v3, s26, v[0:1]
	v_mad_u64_u32 v[2:3], s[2:3], v3, s27, v[2:3]
.LBB273_287:
	v_mov_b32_e32 v3, 0
	s_and_b32 s10, 0xffff, s74
	s_cmp_lt_i32 s10, 11
	s_waitcnt lgkmcnt(0)
	v_lshl_add_u64 v[2:3], s[22:23], 0, v[2:3]
	s_cbranch_scc1 .LBB273_294
; %bb.288:
	s_cmp_gt_i32 s10, 25
	s_cbranch_scc0 .LBB273_303
; %bb.289:
	s_cmp_gt_i32 s10, 28
	s_cbranch_scc0 .LBB273_305
	;; [unrolled: 3-line block ×4, first 2 shown]
; %bb.292:
	s_cmp_eq_u32 s10, 46
	s_mov_b64 s[6:7], 0
	s_cbranch_scc0 .LBB273_315
; %bb.293:
	global_load_dword v1, v[2:3], off
	s_mov_b64 s[2:3], -1
	s_mov_b64 s[4:5], 0
	s_branch .LBB273_316
.LBB273_294:
	s_mov_b64 s[2:3], 0
                                        ; implicit-def: $vgpr1
	s_mov_b64 s[4:5], s[56:57]
	s_cbranch_execnz .LBB273_493
.LBB273_295:
	s_andn2_b64 vcc, exec, s[2:3]
	s_cbranch_vccnz .LBB273_541
.LBB273_296:
	s_waitcnt vmcnt(0)
	v_lshlrev_b32_e32 v1, 16, v1
	s_mov_b32 s2, 0xf800000
	v_mul_f32_e32 v2, 0x4f800000, v1
	v_cmp_gt_f32_e32 vcc, s2, v1
	s_and_b32 s12, s73, 0xff
	s_cmp_lt_i32 s12, 11
	v_cndmask_b32_e32 v2, v1, v2, vcc
	v_sqrt_f32_e32 v3, v2
	s_nop 0
	v_add_u32_e32 v4, -1, v3
	v_fma_f32 v5, -v4, v3, v2
	v_cmp_ge_f32_e64 s[2:3], 0, v5
	v_add_u32_e32 v5, 1, v3
	s_nop 0
	v_cndmask_b32_e64 v4, v3, v4, s[2:3]
	v_fma_f32 v3, -v5, v3, v2
	v_cmp_lt_f32_e64 s[2:3], 0, v3
	s_nop 1
	v_cndmask_b32_e64 v3, v4, v5, s[2:3]
	v_mul_f32_e32 v4, 0x37800000, v3
	v_cndmask_b32_e32 v3, v3, v4, vcc
	v_mov_b32_e32 v4, 0x260
	v_cmp_class_f32_e32 vcc, v2, v4
	s_movk_i32 s2, 0x7fff
	s_nop 0
	v_cndmask_b32_e32 v2, v3, v2, vcc
	v_bfe_u32 v3, v2, 16, 1
	v_add3_u32 v2, v2, v3, s2
	v_cmp_le_f32_e32 vcc, 0, v1
	v_mov_b32_e32 v1, 0x7fc0
	s_nop 0
	v_cndmask_b32_sdwa v2, v1, v2, vcc dst_sel:DWORD dst_unused:UNUSED_PAD src0_sel:DWORD src1_sel:WORD_1
	v_mov_b32_e32 v1, 0
	v_lshl_add_u64 v[0:1], s[20:21], 0, v[0:1]
	s_cbranch_scc1 .LBB273_304
; %bb.297:
	s_and_b32 s13, 0xffff, s12
	s_cmp_gt_i32 s13, 25
	s_cbranch_scc0 .LBB273_306
; %bb.298:
	s_cmp_gt_i32 s13, 28
	s_cbranch_scc0 .LBB273_308
; %bb.299:
	;; [unrolled: 3-line block ×4, first 2 shown]
	s_mov_b64 s[8:9], 0
	s_mov_b64 s[2:3], -1
	s_cmp_eq_u32 s13, 46
	s_mov_b64 s[6:7], 0
	s_cbranch_scc0 .LBB273_320
; %bb.302:
	v_and_b32_e32 v3, 0xffff, v2
	global_store_dword v[0:1], v3, off
	s_mov_b64 s[6:7], -1
	s_mov_b64 s[2:3], 0
	s_branch .LBB273_320
.LBB273_303:
	s_mov_b64 s[6:7], -1
	s_mov_b64 s[2:3], 0
	s_mov_b64 s[4:5], s[56:57]
                                        ; implicit-def: $vgpr1
	s_branch .LBB273_457
.LBB273_304:
	s_mov_b64 s[8:9], -1
	s_mov_b64 s[6:7], 0
	s_mov_b64 s[2:3], s[54:55]
	s_branch .LBB273_389
.LBB273_305:
	s_mov_b64 s[6:7], -1
	s_mov_b64 s[2:3], 0
	s_mov_b64 s[4:5], s[56:57]
                                        ; implicit-def: $vgpr1
	s_branch .LBB273_438
.LBB273_306:
	s_mov_b64 s[8:9], -1
	s_mov_b64 s[6:7], 0
	s_mov_b64 s[2:3], s[54:55]
	s_branch .LBB273_347
.LBB273_307:
	s_mov_b64 s[6:7], -1
	s_mov_b64 s[2:3], 0
	s_mov_b64 s[4:5], s[56:57]
                                        ; implicit-def: $vgpr1
	s_branch .LBB273_433
.LBB273_308:
	s_mov_b64 s[8:9], -1
	s_mov_b64 s[6:7], 0
	s_mov_b64 s[2:3], s[54:55]
	s_branch .LBB273_330
.LBB273_309:
	s_andn2_saveexec_b64 s[10:11], s[10:11]
	s_cbranch_execz .LBB273_69
.LBB273_310:
	s_mov_b32 s14, 0x46000000
	v_add_f32_e64 v4, |v5|, s14
	v_and_b32_e32 v4, 0xff, v4
	v_cmp_ne_u32_e32 vcc, 0, v4
	s_andn2_b64 s[8:9], s[8:9], exec
	s_and_b64 s[14:15], vcc, exec
	s_or_b64 s[8:9], s[8:9], s[14:15]
	s_or_b64 exec, exec, s[10:11]
	v_mov_b32_e32 v6, 0
	s_and_saveexec_b64 s[10:11], s[8:9]
	s_cbranch_execnz .LBB273_70
	s_branch .LBB273_71
.LBB273_311:
	s_mov_b64 s[6:7], -1
	s_mov_b64 s[2:3], 0
	s_mov_b64 s[4:5], s[56:57]
                                        ; implicit-def: $vgpr1
	s_branch .LBB273_316
.LBB273_312:
	s_mov_b64 s[8:9], -1
	s_mov_b64 s[6:7], 0
	s_mov_b64 s[2:3], s[54:55]
	s_branch .LBB273_326
.LBB273_313:
	s_andn2_saveexec_b64 s[10:11], s[10:11]
	s_cbranch_execz .LBB273_82
.LBB273_314:
	s_mov_b32 s14, 0x42800000
	v_add_f32_e64 v4, |v5|, s14
	v_and_b32_e32 v4, 0xff, v4
	v_cmp_ne_u32_e32 vcc, 0, v4
	s_andn2_b64 s[8:9], s[8:9], exec
	s_and_b64 s[14:15], vcc, exec
	s_or_b64 s[8:9], s[8:9], s[14:15]
	s_or_b64 exec, exec, s[10:11]
	v_mov_b32_e32 v6, 0
	s_and_saveexec_b64 s[10:11], s[8:9]
	s_cbranch_execnz .LBB273_83
	s_branch .LBB273_84
.LBB273_315:
	s_mov_b64 s[4:5], -1
                                        ; implicit-def: $vgpr1
	s_mov_b64 s[2:3], 0
.LBB273_316:
	s_and_b64 vcc, exec, s[6:7]
	s_cbranch_vccz .LBB273_432
; %bb.317:
	s_cmp_eq_u32 s10, 44
	s_cbranch_scc0 .LBB273_431
; %bb.318:
	global_load_ubyte v1, v[2:3], off
	s_movk_i32 s4, 0xff
	v_mov_b32_e32 v4, 0x7f800001
	v_mov_b32_e32 v5, 0x400000
	;; [unrolled: 1-line block ×3, first 2 shown]
	s_mov_b64 s[2:3], -1
	s_waitcnt vmcnt(0)
	v_lshlrev_b32_e32 v7, 23, v1
	v_cmp_ne_u32_e32 vcc, s4, v1
	s_mov_b64 s[4:5], 0
	s_nop 0
	v_cndmask_b32_e32 v4, v4, v7, vcc
	v_cmp_ne_u32_e32 vcc, 0, v1
	s_nop 1
	v_cndmask_b32_e32 v1, v5, v4, vcc
	v_add_u32_e32 v4, 0x7fff, v1
	v_cmp_o_f32_e32 vcc, v1, v1
	s_nop 1
	v_cndmask_b32_sdwa v1, v6, v4, vcc dst_sel:DWORD dst_unused:UNUSED_PAD src0_sel:DWORD src1_sel:WORD_1
	s_branch .LBB273_432
.LBB273_319:
	s_mov_b64 s[8:9], -1
	s_mov_b64 s[6:7], 0
	s_mov_b64 s[2:3], s[54:55]
.LBB273_320:
	s_and_b64 vcc, exec, s[8:9]
	s_cbranch_vccz .LBB273_325
; %bb.321:
	s_cmp_eq_u32 s13, 44
	s_mov_b64 s[2:3], -1
	s_cbranch_scc0 .LBB273_325
; %bb.322:
	v_and_b32_e32 v4, 0xffff, v2
	v_bfe_u32 v3, v4, 7, 8
	s_movk_i32 s2, 0xff
	v_cmp_ne_u32_e32 vcc, s2, v3
	v_mov_b32_e32 v5, 0xff
	s_and_saveexec_b64 s[6:7], vcc
	s_cbranch_execz .LBB273_324
; %bb.323:
	v_lshlrev_b32_e32 v6, 16, v4
	s_mov_b32 s2, 0x3f0000
	v_lshrrev_b32_e32 v5, 7, v4
	v_and_b32_e32 v4, 64, v4
	v_and_or_b32 v3, v6, s2, v3
	v_cmp_ne_u32_e32 vcc, 0, v4
	v_cmp_ne_u32_e64 s[2:3], 0, v3
	s_and_b64 s[2:3], vcc, s[2:3]
	s_nop 0
	v_cndmask_b32_e64 v3, 0, 1, s[2:3]
	v_add_u32_e32 v5, v5, v3
.LBB273_324:
	s_or_b64 exec, exec, s[6:7]
	s_mov_b64 s[6:7], -1
	s_mov_b64 s[2:3], 0
	global_store_byte v[0:1], v5, off
.LBB273_325:
	s_mov_b64 s[8:9], 0
.LBB273_326:
	s_and_b64 vcc, exec, s[8:9]
	s_cbranch_vccz .LBB273_329
; %bb.327:
	s_cmp_eq_u32 s13, 29
	s_mov_b64 s[2:3], -1
	s_cbranch_scc0 .LBB273_329
; %bb.328:
	v_lshlrev_b32_e32 v3, 16, v2
	v_trunc_f32_e32 v3, v3
	v_mul_f32_e32 v4, 0x2f800000, v3
	v_floor_f32_e32 v4, v4
	v_fmamk_f32 v3, v4, 0xcf800000, v3
	v_cvt_u32_f32_e32 v5, v4
	v_cvt_u32_f32_e32 v4, v3
	s_mov_b64 s[6:7], -1
	s_mov_b64 s[2:3], 0
	s_mov_b64 s[8:9], 0
	global_store_dwordx2 v[0:1], v[4:5], off
	s_branch .LBB273_330
.LBB273_329:
	s_mov_b64 s[8:9], 0
.LBB273_330:
	s_and_b64 vcc, exec, s[8:9]
	s_cbranch_vccz .LBB273_346
; %bb.331:
	s_cmp_lt_i32 s13, 27
	s_mov_b64 s[6:7], -1
	s_cbranch_scc1 .LBB273_337
; %bb.332:
	s_cmp_gt_i32 s13, 27
	s_cbranch_scc0 .LBB273_334
; %bb.333:
	v_lshlrev_b32_e32 v3, 16, v2
	v_cvt_u32_f32_e32 v3, v3
	s_mov_b64 s[6:7], 0
	global_store_dword v[0:1], v3, off
.LBB273_334:
	s_andn2_b64 vcc, exec, s[6:7]
	s_cbranch_vccnz .LBB273_336
; %bb.335:
	v_lshlrev_b32_e32 v3, 16, v2
	v_cvt_u32_f32_e32 v3, v3
	global_store_short v[0:1], v3, off
.LBB273_336:
	s_mov_b64 s[6:7], 0
.LBB273_337:
	s_andn2_b64 vcc, exec, s[6:7]
	s_cbranch_vccnz .LBB273_345
; %bb.338:
	v_lshlrev_b32_e32 v5, 16, v2
	v_and_b32_e32 v4, 0x7fffffff, v5
	s_mov_b32 s6, 0x43800000
	v_cmp_gt_u32_e32 vcc, s6, v4
	v_mov_b32_e32 v6, 0x80
	s_and_saveexec_b64 s[6:7], vcc
	s_cbranch_execz .LBB273_344
; %bb.339:
	s_mov_b32 s8, 0x3bffffff
	v_and_b32_e32 v3, 0xffff, v2
	v_cmp_lt_u32_e32 vcc, s8, v4
	s_mov_b64 s[8:9], 0
                                        ; implicit-def: $vgpr4
	s_and_saveexec_b64 s[10:11], vcc
	s_xor_b64 s[10:11], exec, s[10:11]
	s_cbranch_execz .LBB273_573
; %bb.340:
	v_bfe_u32 v4, v3, 4, 1
	s_mov_b32 s14, 0x487ffff
	v_add3_u32 v4, v5, v4, s14
	s_mov_b64 s[8:9], exec
	v_lshrrev_b32_e32 v4, 20, v4
                                        ; implicit-def: $vgpr5
	s_andn2_saveexec_b64 s[10:11], s[10:11]
	s_cbranch_execnz .LBB273_574
.LBB273_341:
	s_or_b64 exec, exec, s[10:11]
	v_mov_b32_e32 v6, 0
	s_and_saveexec_b64 s[10:11], s[8:9]
.LBB273_342:
	v_lshrrev_b32_e32 v3, 8, v3
	s_movk_i32 s8, 0x80
	v_and_or_b32 v6, v3, s8, v4
.LBB273_343:
	s_or_b64 exec, exec, s[10:11]
.LBB273_344:
	s_or_b64 exec, exec, s[6:7]
	global_store_byte v[0:1], v6, off
.LBB273_345:
	s_mov_b64 s[6:7], -1
.LBB273_346:
	s_mov_b64 s[8:9], 0
.LBB273_347:
	s_and_b64 vcc, exec, s[8:9]
	s_cbranch_vccz .LBB273_388
; %bb.348:
	s_cmp_gt_i32 s13, 22
	s_mov_b64 s[8:9], -1
	s_cbranch_scc0 .LBB273_380
; %bb.349:
	s_cmp_lt_i32 s13, 24
	s_mov_b64 s[6:7], -1
	s_cbranch_scc1 .LBB273_369
; %bb.350:
	s_cmp_gt_i32 s13, 24
	s_cbranch_scc0 .LBB273_358
; %bb.351:
	v_lshlrev_b32_e32 v5, 16, v2
	v_and_b32_e32 v4, 0x7fffffff, v5
	s_mov_b32 s6, 0x47800000
	v_cmp_gt_u32_e32 vcc, s6, v4
	v_mov_b32_e32 v6, 0x80
	s_and_saveexec_b64 s[6:7], vcc
	s_cbranch_execz .LBB273_357
; %bb.352:
	s_mov_b32 s8, 0x37ffffff
	v_and_b32_e32 v3, 0xffff, v2
	v_cmp_lt_u32_e32 vcc, s8, v4
	s_mov_b64 s[8:9], 0
                                        ; implicit-def: $vgpr4
	s_and_saveexec_b64 s[10:11], vcc
	s_xor_b64 s[10:11], exec, s[10:11]
	s_cbranch_execz .LBB273_576
; %bb.353:
	v_bfe_u32 v4, v3, 5, 1
	s_mov_b32 s14, 0x88fffff
	v_add3_u32 v4, v5, v4, s14
	s_mov_b64 s[8:9], exec
	v_lshrrev_b32_e32 v4, 21, v4
                                        ; implicit-def: $vgpr5
	s_andn2_saveexec_b64 s[10:11], s[10:11]
	s_cbranch_execnz .LBB273_577
.LBB273_354:
	s_or_b64 exec, exec, s[10:11]
	v_mov_b32_e32 v6, 0
	s_and_saveexec_b64 s[10:11], s[8:9]
.LBB273_355:
	v_lshrrev_b32_e32 v3, 8, v3
	s_movk_i32 s8, 0x80
	v_and_or_b32 v6, v3, s8, v4
.LBB273_356:
	s_or_b64 exec, exec, s[10:11]
.LBB273_357:
	s_or_b64 exec, exec, s[6:7]
	s_mov_b64 s[6:7], 0
	global_store_byte v[0:1], v6, off
.LBB273_358:
	s_and_b64 vcc, exec, s[6:7]
	s_cbranch_vccz .LBB273_368
; %bb.359:
	v_lshlrev_b32_e32 v5, 16, v2
	v_and_b32_e32 v6, 0x7fffffff, v5
	s_mov_b32 s6, 0x43f00000
	v_and_b32_e32 v3, 0xffff, v2
	v_cmp_gt_u32_e32 vcc, s6, v6
                                        ; implicit-def: $vgpr4
	s_and_saveexec_b64 s[6:7], vcc
	s_xor_b64 s[6:7], exec, s[6:7]
	s_cbranch_execz .LBB273_365
; %bb.360:
	s_mov_b32 s8, 0x3c7fffff
	v_cmp_lt_u32_e32 vcc, s8, v6
                                        ; implicit-def: $vgpr4
	s_and_saveexec_b64 s[8:9], vcc
	s_xor_b64 s[8:9], exec, s[8:9]
; %bb.361:
	v_bfe_u32 v4, v3, 4, 1
	s_mov_b32 s10, 0x407ffff
	v_add3_u32 v4, v5, v4, s10
	v_lshrrev_b32_e32 v5, 20, v4
	v_and_b32_e32 v4, 0xff00000, v4
	s_mov_b32 s10, 0x7f00000
	v_mov_b32_e32 v6, 0x7e
	v_cmp_ne_u32_e32 vcc, s10, v4
	s_nop 1
	v_cndmask_b32_e32 v4, v6, v5, vcc
                                        ; implicit-def: $vgpr5
; %bb.362:
	s_andn2_saveexec_b64 s[8:9], s[8:9]
; %bb.363:
	s_mov_b32 s10, 0x46800000
	v_add_f32_e64 v4, |v5|, s10
; %bb.364:
	s_or_b64 exec, exec, s[8:9]
                                        ; implicit-def: $vgpr6
.LBB273_365:
	s_andn2_saveexec_b64 s[6:7], s[6:7]
; %bb.366:
	s_mov_b32 s8, 0x7f800000
	v_mov_b32_e32 v4, 0x7e
	v_mov_b32_e32 v5, 0x7f
	v_cmp_lt_u32_e32 vcc, s8, v6
	s_nop 1
	v_cndmask_b32_e32 v4, v4, v5, vcc
; %bb.367:
	s_or_b64 exec, exec, s[6:7]
	v_lshrrev_b32_e32 v3, 8, v3
	s_movk_i32 s6, 0x80
	v_and_or_b32 v3, v3, s6, v4
	global_store_byte v[0:1], v3, off
.LBB273_368:
	s_mov_b64 s[6:7], 0
.LBB273_369:
	s_andn2_b64 vcc, exec, s[6:7]
	s_cbranch_vccnz .LBB273_379
; %bb.370:
	v_lshlrev_b32_e32 v5, 16, v2
	v_and_b32_e32 v6, 0x7fffffff, v5
	s_mov_b32 s6, 0x47800000
	v_and_b32_e32 v3, 0xffff, v2
	v_cmp_gt_u32_e32 vcc, s6, v6
                                        ; implicit-def: $vgpr4
	s_and_saveexec_b64 s[6:7], vcc
	s_xor_b64 s[6:7], exec, s[6:7]
	s_cbranch_execz .LBB273_376
; %bb.371:
	s_mov_b32 s8, 0x387fffff
	v_cmp_lt_u32_e32 vcc, s8, v6
                                        ; implicit-def: $vgpr4
	s_and_saveexec_b64 s[8:9], vcc
	s_xor_b64 s[8:9], exec, s[8:9]
; %bb.372:
	v_bfe_u32 v4, v3, 5, 1
	s_mov_b32 s10, 0x80fffff
	v_add3_u32 v4, v5, v4, s10
	v_lshrrev_b32_e32 v4, 21, v4
                                        ; implicit-def: $vgpr5
; %bb.373:
	s_andn2_saveexec_b64 s[8:9], s[8:9]
; %bb.374:
	s_mov_b32 s10, 0x43000000
	v_add_f32_e64 v4, |v5|, s10
; %bb.375:
	s_or_b64 exec, exec, s[8:9]
                                        ; implicit-def: $vgpr6
.LBB273_376:
	s_andn2_saveexec_b64 s[6:7], s[6:7]
; %bb.377:
	s_mov_b32 s8, 0x7f800000
	v_mov_b32_e32 v4, 0x7c
	v_mov_b32_e32 v5, 0x7f
	v_cmp_lt_u32_e32 vcc, s8, v6
	s_nop 1
	v_cndmask_b32_e32 v4, v4, v5, vcc
; %bb.378:
	s_or_b64 exec, exec, s[6:7]
	v_lshrrev_b32_e32 v3, 8, v3
	s_movk_i32 s6, 0x80
	v_and_or_b32 v3, v3, s6, v4
	global_store_byte v[0:1], v3, off
.LBB273_379:
	s_mov_b64 s[8:9], 0
	s_mov_b64 s[6:7], -1
.LBB273_380:
	s_andn2_b64 vcc, exec, s[8:9]
	s_cbranch_vccnz .LBB273_388
; %bb.381:
	s_cmp_gt_i32 s13, 14
	s_mov_b64 s[8:9], -1
	s_cbranch_scc0 .LBB273_385
; %bb.382:
	s_cmp_eq_u32 s13, 15
	s_mov_b64 s[2:3], -1
	s_cbranch_scc0 .LBB273_384
; %bb.383:
	global_store_short v[0:1], v2, off
	s_mov_b64 s[6:7], -1
	s_mov_b64 s[2:3], 0
.LBB273_384:
	s_mov_b64 s[8:9], 0
.LBB273_385:
	s_and_b64 vcc, exec, s[8:9]
	s_cbranch_vccz .LBB273_388
; %bb.386:
	s_cmp_eq_u32 s13, 11
	s_mov_b64 s[2:3], -1
	s_cbranch_scc0 .LBB273_388
; %bb.387:
	v_and_b32_e32 v3, 0x7fff, v2
	v_cmp_ne_u16_e32 vcc, 0, v3
	s_mov_b64 s[6:7], -1
	s_mov_b64 s[2:3], 0
	v_cndmask_b32_e64 v3, 0, 1, vcc
	global_store_byte v[0:1], v3, off
.LBB273_388:
	s_mov_b64 s[8:9], 0
.LBB273_389:
	s_and_b64 vcc, exec, s[8:9]
	s_cbranch_vccz .LBB273_428
; %bb.390:
	s_and_b32 s8, 0xffff, s12
	s_cmp_lt_i32 s8, 5
	s_mov_b64 s[6:7], -1
	s_cbranch_scc1 .LBB273_411
; %bb.391:
	s_cmp_lt_i32 s8, 8
	s_cbranch_scc1 .LBB273_401
; %bb.392:
	s_cmp_lt_i32 s8, 9
	s_cbranch_scc1 .LBB273_398
; %bb.393:
	s_cmp_gt_i32 s8, 9
	s_cbranch_scc0 .LBB273_395
; %bb.394:
	v_lshlrev_b32_e32 v3, 16, v2
	v_mov_b32_e32 v6, 0
	v_cvt_f64_f32_e32 v[4:5], v3
	v_mov_b32_e32 v7, v6
	s_mov_b64 s[6:7], 0
	global_store_dwordx4 v[0:1], v[4:7], off
.LBB273_395:
	s_andn2_b64 vcc, exec, s[6:7]
	s_cbranch_vccnz .LBB273_397
; %bb.396:
	v_lshlrev_b32_e32 v4, 16, v2
	v_mov_b32_e32 v5, 0
	global_store_dwordx2 v[0:1], v[4:5], off
.LBB273_397:
	s_mov_b64 s[6:7], 0
.LBB273_398:
	s_andn2_b64 vcc, exec, s[6:7]
	s_cbranch_vccnz .LBB273_400
; %bb.399:
	v_lshlrev_b32_e32 v3, 16, v2
	v_cvt_f16_f32_e32 v3, v3
	global_store_dword v[0:1], v3, off
.LBB273_400:
	s_mov_b64 s[6:7], 0
.LBB273_401:
	s_andn2_b64 vcc, exec, s[6:7]
	s_cbranch_vccnz .LBB273_410
; %bb.402:
	s_cmp_lt_i32 s8, 6
	s_mov_b64 s[6:7], -1
	s_cbranch_scc1 .LBB273_408
; %bb.403:
	s_cmp_gt_i32 s8, 6
	s_cbranch_scc0 .LBB273_405
; %bb.404:
	v_lshlrev_b32_e32 v3, 16, v2
	v_cvt_f64_f32_e32 v[4:5], v3
	s_mov_b64 s[6:7], 0
	global_store_dwordx2 v[0:1], v[4:5], off
.LBB273_405:
	s_andn2_b64 vcc, exec, s[6:7]
	s_cbranch_vccnz .LBB273_407
; %bb.406:
	v_lshlrev_b32_e32 v3, 16, v2
	global_store_dword v[0:1], v3, off
.LBB273_407:
	s_mov_b64 s[6:7], 0
.LBB273_408:
	s_andn2_b64 vcc, exec, s[6:7]
	s_cbranch_vccnz .LBB273_410
; %bb.409:
	v_lshlrev_b32_e32 v3, 16, v2
	v_cvt_f16_f32_e32 v3, v3
	global_store_short v[0:1], v3, off
.LBB273_410:
	s_mov_b64 s[6:7], 0
.LBB273_411:
	s_andn2_b64 vcc, exec, s[6:7]
	s_cbranch_vccnz .LBB273_427
; %bb.412:
	s_cmp_lt_i32 s8, 2
	s_mov_b64 s[6:7], -1
	s_cbranch_scc1 .LBB273_422
; %bb.413:
	s_cmp_lt_i32 s8, 3
	s_cbranch_scc1 .LBB273_419
; %bb.414:
	s_cmp_gt_i32 s8, 3
	s_cbranch_scc0 .LBB273_416
; %bb.415:
	v_lshlrev_b32_e32 v3, 16, v2
	v_trunc_f32_e32 v3, v3
	s_mov_b32 s6, 0x2f800000
	v_mul_f32_e64 v4, |v3|, s6
	v_floor_f32_e32 v4, v4
	s_mov_b32 s6, 0xcf800000
	v_cvt_u32_f32_e32 v5, v4
	v_fma_f32 v4, v4, s6, |v3|
	v_cvt_u32_f32_e32 v4, v4
	v_ashrrev_i32_e32 v3, 31, v3
	v_xor_b32_e32 v5, v5, v3
	s_mov_b64 s[6:7], 0
	v_xor_b32_e32 v4, v4, v3
	v_sub_co_u32_e32 v4, vcc, v4, v3
	s_nop 1
	v_subb_co_u32_e32 v5, vcc, v5, v3, vcc
	global_store_dwordx2 v[0:1], v[4:5], off
.LBB273_416:
	s_andn2_b64 vcc, exec, s[6:7]
	s_cbranch_vccnz .LBB273_418
; %bb.417:
	v_lshlrev_b32_e32 v3, 16, v2
	v_cvt_i32_f32_e32 v3, v3
	global_store_dword v[0:1], v3, off
.LBB273_418:
	s_mov_b64 s[6:7], 0
.LBB273_419:
	s_andn2_b64 vcc, exec, s[6:7]
	s_cbranch_vccnz .LBB273_421
; %bb.420:
	v_lshlrev_b32_e32 v3, 16, v2
	v_cvt_i32_f32_e32 v3, v3
	global_store_short v[0:1], v3, off
.LBB273_421:
	s_mov_b64 s[6:7], 0
.LBB273_422:
	s_andn2_b64 vcc, exec, s[6:7]
	s_cbranch_vccnz .LBB273_427
; %bb.423:
	s_mov_b64 s[6:7], -1
	s_cmp_gt_i32 s8, 0
	v_lshlrev_b32_e32 v2, 16, v2
	s_cbranch_scc0 .LBB273_425
; %bb.424:
	v_cvt_i32_f32_e32 v3, v2
	s_mov_b64 s[6:7], 0
	global_store_byte v[0:1], v3, off
.LBB273_425:
	s_andn2_b64 vcc, exec, s[6:7]
	s_cbranch_vccnz .LBB273_427
; %bb.426:
	v_trunc_f32_e32 v2, v2
	s_mov_b32 s6, 0x2f800000
	v_mul_f32_e64 v3, |v2|, s6
	v_floor_f32_e32 v3, v3
	s_mov_b32 s6, 0xcf800000
	v_fma_f32 v3, v3, s6, |v2|
	v_cvt_u32_f32_e32 v3, v3
	v_ashrrev_i32_e32 v2, 31, v2
	v_xor_b32_e32 v3, v3, v2
	v_sub_u32_e32 v2, v3, v2
	global_store_byte v[0:1], v2, off
.LBB273_427:
	s_mov_b64 s[6:7], -1
.LBB273_428:
	s_andn2_b64 vcc, exec, s[6:7]
	s_cbranch_vccnz .LBB273_430
; %bb.429:
	v_add_u32_e32 v8, 0x80, v8
	s_mov_b64 s[6:7], -1
	s_branch .LBB273_543
.LBB273_430:
	s_mov_b64 s[6:7], 0
	s_branch .LBB273_542
.LBB273_431:
	s_mov_b64 s[4:5], -1
                                        ; implicit-def: $vgpr1
.LBB273_432:
	s_mov_b64 s[6:7], 0
.LBB273_433:
	s_and_b64 vcc, exec, s[6:7]
	s_cbranch_vccz .LBB273_437
; %bb.434:
	s_cmp_eq_u32 s10, 29
	s_cbranch_scc0 .LBB273_436
; %bb.435:
	global_load_dwordx2 v[4:5], v[2:3], off
	s_movk_i32 s4, 0x7fff
	s_mov_b64 s[2:3], -1
	s_mov_b64 s[6:7], 0
	s_waitcnt vmcnt(0)
	v_ffbh_u32_e32 v1, v5
	v_min_u32_e32 v1, 32, v1
	v_lshlrev_b64 v[4:5], v1, v[4:5]
	v_min_u32_e32 v4, 1, v4
	v_or_b32_e32 v4, v5, v4
	v_cvt_f32_u32_e32 v4, v4
	v_sub_u32_e32 v1, 32, v1
	v_ldexp_f32 v1, v4, v1
	v_bfe_u32 v4, v1, 16, 1
	v_add3_u32 v1, v1, v4, s4
	v_lshrrev_b32_e32 v1, 16, v1
	s_mov_b64 s[4:5], 0
	s_branch .LBB273_438
.LBB273_436:
	s_mov_b64 s[4:5], -1
                                        ; implicit-def: $vgpr1
.LBB273_437:
	s_mov_b64 s[6:7], 0
.LBB273_438:
	s_and_b64 vcc, exec, s[6:7]
	s_cbranch_vccz .LBB273_456
; %bb.439:
	s_cmp_lt_i32 s10, 27
	s_cbranch_scc1 .LBB273_442
; %bb.440:
	s_cmp_gt_i32 s10, 27
	s_cbranch_scc0 .LBB273_443
; %bb.441:
	global_load_dword v1, v[2:3], off
	s_movk_i32 s2, 0x7fff
	s_waitcnt vmcnt(0)
	v_cvt_f32_u32_e32 v1, v1
	v_bfe_u32 v4, v1, 16, 1
	v_add3_u32 v1, v1, v4, s2
	v_lshrrev_b32_e32 v1, 16, v1
	s_mov_b64 s[2:3], 0
	s_branch .LBB273_444
.LBB273_442:
	s_mov_b64 s[2:3], -1
                                        ; implicit-def: $vgpr1
	s_branch .LBB273_447
.LBB273_443:
	s_mov_b64 s[2:3], -1
                                        ; implicit-def: $vgpr1
.LBB273_444:
	s_andn2_b64 vcc, exec, s[2:3]
	s_cbranch_vccnz .LBB273_446
; %bb.445:
	global_load_ushort v1, v[2:3], off
	s_movk_i32 s2, 0x7fff
	s_waitcnt vmcnt(0)
	v_cvt_f32_u32_e32 v1, v1
	v_bfe_u32 v4, v1, 16, 1
	v_add3_u32 v1, v1, v4, s2
	v_lshrrev_b32_e32 v1, 16, v1
.LBB273_446:
	s_mov_b64 s[2:3], 0
.LBB273_447:
	s_andn2_b64 vcc, exec, s[2:3]
	s_cbranch_vccnz .LBB273_455
; %bb.448:
	global_load_ubyte v1, v[2:3], off
	s_movk_i32 s2, 0x7f
	s_waitcnt vmcnt(0)
	v_cmp_lt_i16_e32 vcc, s2, v1
	s_mov_b64 s[2:3], 0
	s_and_saveexec_b64 s[6:7], vcc
	s_xor_b64 s[6:7], exec, s[6:7]
	s_cbranch_execz .LBB273_469
; %bb.449:
	s_movk_i32 s2, 0x80
	v_cmp_eq_u16_e32 vcc, s2, v1
	s_mov_b64 s[2:3], -1
	s_and_saveexec_b64 s[8:9], vcc
; %bb.450:
	s_xor_b64 s[2:3], exec, -1
; %bb.451:
	s_or_b64 exec, exec, s[8:9]
	s_and_b64 s[2:3], s[2:3], exec
	s_or_saveexec_b64 s[6:7], s[6:7]
	v_mov_b32_e32 v4, 0x7f800001
	s_xor_b64 exec, exec, s[6:7]
	s_cbranch_execnz .LBB273_470
.LBB273_452:
	s_or_b64 exec, exec, s[6:7]
	s_and_saveexec_b64 s[6:7], s[2:3]
	s_cbranch_execz .LBB273_454
.LBB273_453:
	v_lshlrev_b32_e32 v4, 24, v1
	v_and_b32_e32 v1, 0xffff, v1
	v_and_b32_e32 v5, 7, v1
	v_ffbh_u32_e32 v7, v5
	v_min_u32_e32 v7, 32, v7
	v_subrev_u32_e32 v9, 28, v7
	v_bfe_u32 v6, v1, 3, 4
	v_lshlrev_b32_e32 v1, v9, v1
	v_sub_u32_e32 v7, 29, v7
	v_and_b32_e32 v1, 7, v1
	v_cmp_eq_u32_e32 vcc, 0, v6
	v_and_b32_e32 v4, 0x80000000, v4
	s_nop 0
	v_cndmask_b32_e32 v6, v6, v7, vcc
	v_cndmask_b32_e32 v1, v5, v1, vcc
	v_mov_b32_e32 v5, 0x3b800000
	v_lshlrev_b32_e32 v1, 20, v1
	v_lshl_add_u32 v5, v6, 23, v5
	v_or3_b32 v4, v4, v5, v1
.LBB273_454:
	s_or_b64 exec, exec, s[6:7]
	v_bfe_u32 v1, v4, 16, 1
	s_movk_i32 s2, 0x7fff
	v_add3_u32 v1, v4, v1, s2
	v_cmp_o_f32_e32 vcc, v4, v4
	v_mov_b32_e32 v4, 0x7fc0
	s_nop 0
	v_cndmask_b32_sdwa v1, v4, v1, vcc dst_sel:DWORD dst_unused:UNUSED_PAD src0_sel:DWORD src1_sel:WORD_1
.LBB273_455:
	s_mov_b64 s[2:3], -1
.LBB273_456:
	s_mov_b64 s[6:7], 0
.LBB273_457:
	s_and_b64 vcc, exec, s[6:7]
	s_cbranch_vccz .LBB273_492
; %bb.458:
	s_cmp_gt_i32 s10, 22
	s_cbranch_scc0 .LBB273_468
; %bb.459:
	s_cmp_lt_i32 s10, 24
	s_cbranch_scc1 .LBB273_471
; %bb.460:
	s_cmp_gt_i32 s10, 24
	s_cbranch_scc0 .LBB273_472
; %bb.461:
	global_load_ubyte v1, v[2:3], off
	s_movk_i32 s2, 0x7f
	s_waitcnt vmcnt(0)
	v_cmp_lt_i16_e32 vcc, s2, v1
	s_mov_b64 s[2:3], 0
	s_and_saveexec_b64 s[6:7], vcc
	s_xor_b64 s[6:7], exec, s[6:7]
	s_cbranch_execz .LBB273_484
; %bb.462:
	s_movk_i32 s2, 0x80
	v_cmp_eq_u16_e32 vcc, s2, v1
	s_mov_b64 s[2:3], -1
	s_and_saveexec_b64 s[8:9], vcc
; %bb.463:
	s_xor_b64 s[2:3], exec, -1
; %bb.464:
	s_or_b64 exec, exec, s[8:9]
	s_and_b64 s[2:3], s[2:3], exec
	s_or_saveexec_b64 s[6:7], s[6:7]
	v_mov_b32_e32 v4, 0x7f800001
	s_xor_b64 exec, exec, s[6:7]
	s_cbranch_execnz .LBB273_485
.LBB273_465:
	s_or_b64 exec, exec, s[6:7]
	s_and_saveexec_b64 s[6:7], s[2:3]
	s_cbranch_execz .LBB273_467
.LBB273_466:
	v_lshlrev_b32_e32 v4, 24, v1
	v_and_b32_e32 v1, 0xffff, v1
	v_and_b32_e32 v5, 3, v1
	v_ffbh_u32_e32 v7, v5
	v_min_u32_e32 v7, 32, v7
	v_subrev_u32_e32 v9, 29, v7
	v_bfe_u32 v6, v1, 2, 5
	v_lshlrev_b32_e32 v1, v9, v1
	v_sub_u32_e32 v7, 30, v7
	v_and_b32_e32 v1, 3, v1
	v_cmp_eq_u32_e32 vcc, 0, v6
	v_and_b32_e32 v4, 0x80000000, v4
	s_nop 0
	v_cndmask_b32_e32 v6, v6, v7, vcc
	v_cndmask_b32_e32 v1, v5, v1, vcc
	v_mov_b32_e32 v5, 0x37800000
	v_lshlrev_b32_e32 v1, 21, v1
	v_lshl_add_u32 v5, v6, 23, v5
	v_or3_b32 v4, v4, v5, v1
.LBB273_467:
	s_or_b64 exec, exec, s[6:7]
	v_bfe_u32 v1, v4, 16, 1
	s_movk_i32 s2, 0x7fff
	v_add3_u32 v1, v4, v1, s2
	v_cmp_o_f32_e32 vcc, v4, v4
	v_mov_b32_e32 v4, 0x7fc0
	s_mov_b64 s[2:3], 0
	v_cndmask_b32_sdwa v1, v4, v1, vcc dst_sel:DWORD dst_unused:UNUSED_PAD src0_sel:DWORD src1_sel:WORD_1
	s_branch .LBB273_473
.LBB273_468:
	s_mov_b64 s[6:7], -1
                                        ; implicit-def: $vgpr1
	s_branch .LBB273_479
.LBB273_469:
	s_or_saveexec_b64 s[6:7], s[6:7]
	v_mov_b32_e32 v4, 0x7f800001
	s_xor_b64 exec, exec, s[6:7]
	s_cbranch_execz .LBB273_452
.LBB273_470:
	v_cmp_ne_u16_e32 vcc, 0, v1
	s_andn2_b64 s[2:3], s[2:3], exec
	s_and_b64 s[8:9], vcc, exec
	v_mov_b32_e32 v4, 0
	s_or_b64 s[2:3], s[2:3], s[8:9]
	s_or_b64 exec, exec, s[6:7]
	s_and_saveexec_b64 s[6:7], s[2:3]
	s_cbranch_execnz .LBB273_453
	s_branch .LBB273_454
.LBB273_471:
	s_mov_b64 s[2:3], -1
                                        ; implicit-def: $vgpr1
	s_branch .LBB273_476
.LBB273_472:
	s_mov_b64 s[2:3], -1
                                        ; implicit-def: $vgpr1
.LBB273_473:
	s_and_b64 vcc, exec, s[2:3]
	s_cbranch_vccz .LBB273_475
; %bb.474:
	global_load_ubyte v1, v[2:3], off
	s_mov_b32 s2, 0x7f800000
	s_brev_b32 s3, 1
	s_movk_i32 s6, 0x7fff
	s_waitcnt vmcnt(0)
	v_lshlrev_b32_e32 v1, 24, v1
	v_and_b32_e32 v4, 0x7f000000, v1
	v_ffbh_u32_e32 v5, v4
	v_min_u32_e32 v5, 32, v5
	v_sub_u32_e64 v5, v5, 4 clamp
	v_lshlrev_b32_e32 v7, v5, v4
	v_lshlrev_b32_e32 v5, 23, v5
	v_lshrrev_b32_e32 v7, 4, v7
	v_add_u32_e32 v6, 0x1000000, v4
	v_sub_u32_e32 v5, v7, v5
	v_ashrrev_i32_e32 v6, 8, v6
	v_add_u32_e32 v5, 0x3c000000, v5
	v_and_or_b32 v5, v6, s2, v5
	v_cmp_ne_u32_e32 vcc, 0, v4
	s_nop 1
	v_cndmask_b32_e32 v4, 0, v5, vcc
	v_and_or_b32 v1, v1, s3, v4
	v_bfe_u32 v4, v4, 16, 1
	v_add3_u32 v4, v1, v4, s6
	v_cmp_o_f32_e32 vcc, v1, v1
	v_mov_b32_e32 v1, 0x7fc0
	s_nop 0
	v_cndmask_b32_sdwa v1, v1, v4, vcc dst_sel:DWORD dst_unused:UNUSED_PAD src0_sel:DWORD src1_sel:WORD_1
.LBB273_475:
	s_mov_b64 s[2:3], 0
.LBB273_476:
	s_andn2_b64 vcc, exec, s[2:3]
	s_cbranch_vccnz .LBB273_478
; %bb.477:
	global_load_ubyte v1, v[2:3], off
	s_movk_i32 s2, 0x7f00
	s_brev_b32 s3, 16
	s_brev_b32 s6, 1
	s_movk_i32 s7, 0x7fff
	s_waitcnt vmcnt(0)
	v_lshlrev_b16_e32 v4, 8, v1
	v_lshlrev_b32_e32 v1, 25, v1
	v_lshrrev_b32_e32 v5, 4, v1
	v_and_or_b32 v6, v4, s2, 0.5
	v_or_b32_e32 v5, 0x70000000, v5
	v_add_f32_e32 v6, -0.5, v6
	v_mul_f32_e32 v5, 0x7800000, v5
	v_cmp_gt_u32_e32 vcc, s3, v1
	v_bfe_i32 v4, v4, 0, 16
	s_nop 0
	v_cndmask_b32_e32 v1, v5, v6, vcc
	v_and_or_b32 v4, v4, s6, v1
	v_bfe_u32 v1, v1, 16, 1
	v_add3_u32 v1, v4, v1, s7
	v_cmp_o_f32_e32 vcc, v4, v4
	v_mov_b32_e32 v4, 0x7fc0
	s_nop 0
	v_cndmask_b32_sdwa v1, v4, v1, vcc dst_sel:DWORD dst_unused:UNUSED_PAD src0_sel:DWORD src1_sel:WORD_1
.LBB273_478:
	s_mov_b64 s[6:7], 0
	s_mov_b64 s[2:3], -1
.LBB273_479:
	s_andn2_b64 vcc, exec, s[6:7]
	s_cbranch_vccnz .LBB273_492
; %bb.480:
	s_cmp_gt_i32 s10, 14
	s_cbranch_scc0 .LBB273_483
; %bb.481:
	s_cmp_eq_u32 s10, 15
	s_cbranch_scc0 .LBB273_486
; %bb.482:
	global_load_ushort v1, v[2:3], off
	s_mov_b64 s[2:3], -1
	s_mov_b64 s[4:5], 0
	s_branch .LBB273_487
.LBB273_483:
	s_mov_b64 s[6:7], -1
                                        ; implicit-def: $vgpr1
	s_branch .LBB273_488
.LBB273_484:
	s_or_saveexec_b64 s[6:7], s[6:7]
	v_mov_b32_e32 v4, 0x7f800001
	s_xor_b64 exec, exec, s[6:7]
	s_cbranch_execz .LBB273_465
.LBB273_485:
	v_cmp_ne_u16_e32 vcc, 0, v1
	s_andn2_b64 s[2:3], s[2:3], exec
	s_and_b64 s[8:9], vcc, exec
	v_mov_b32_e32 v4, 0
	s_or_b64 s[2:3], s[2:3], s[8:9]
	s_or_b64 exec, exec, s[6:7]
	s_and_saveexec_b64 s[6:7], s[2:3]
	s_cbranch_execnz .LBB273_466
	s_branch .LBB273_467
.LBB273_486:
	s_mov_b64 s[4:5], -1
                                        ; implicit-def: $vgpr1
.LBB273_487:
	s_mov_b64 s[6:7], 0
.LBB273_488:
	s_and_b64 vcc, exec, s[6:7]
	s_cbranch_vccz .LBB273_492
; %bb.489:
	s_cmp_eq_u32 s10, 11
	s_cbranch_scc0 .LBB273_491
; %bb.490:
	global_load_ubyte v1, v[2:3], off
	s_mov_b64 s[2:3], -1
	s_mov_b64 s[4:5], 0
	s_waitcnt vmcnt(0)
	v_cmp_ne_u16_e32 vcc, 0, v1
	s_nop 1
	v_cndmask_b32_e64 v1, 0, 1.0, vcc
	v_lshrrev_b32_e32 v1, 16, v1
	s_branch .LBB273_492
.LBB273_491:
	s_mov_b64 s[4:5], -1
                                        ; implicit-def: $vgpr1
.LBB273_492:
	s_branch .LBB273_295
.LBB273_493:
	s_cmp_lt_i32 s10, 5
	s_cbranch_scc1 .LBB273_498
; %bb.494:
	s_cmp_lt_i32 s10, 8
	s_cbranch_scc1 .LBB273_499
; %bb.495:
	;; [unrolled: 3-line block ×3, first 2 shown]
	s_cmp_gt_i32 s10, 9
	s_cbranch_scc0 .LBB273_501
; %bb.497:
	global_load_dwordx2 v[4:5], v[2:3], off
	s_movk_i32 s2, 0x7fff
	s_waitcnt vmcnt(1)
	v_mov_b32_e32 v1, 0x7fc0
	s_waitcnt vmcnt(0)
	v_cvt_f32_f64_e32 v4, v[4:5]
	v_bfe_u32 v5, v4, 16, 1
	v_cmp_o_f32_e32 vcc, v4, v4
	v_add3_u32 v4, v4, v5, s2
	s_mov_b64 s[2:3], 0
	v_cndmask_b32_sdwa v1, v1, v4, vcc dst_sel:DWORD dst_unused:UNUSED_PAD src0_sel:DWORD src1_sel:WORD_1
	s_branch .LBB273_502
.LBB273_498:
	s_mov_b64 s[2:3], -1
                                        ; implicit-def: $vgpr1
	s_branch .LBB273_520
.LBB273_499:
	s_mov_b64 s[2:3], -1
                                        ; implicit-def: $vgpr1
	s_branch .LBB273_508
.LBB273_500:
	s_mov_b64 s[2:3], -1
                                        ; implicit-def: $vgpr1
	s_branch .LBB273_505
.LBB273_501:
	s_mov_b64 s[2:3], -1
                                        ; implicit-def: $vgpr1
.LBB273_502:
	s_andn2_b64 vcc, exec, s[2:3]
	s_cbranch_vccnz .LBB273_504
; %bb.503:
	global_load_dword v1, v[2:3], off
	s_movk_i32 s2, 0x7fff
	v_mov_b32_e32 v4, 0x7fc0
	s_waitcnt vmcnt(0)
	v_bfe_u32 v5, v1, 16, 1
	v_cmp_o_f32_e32 vcc, v1, v1
	v_add3_u32 v1, v1, v5, s2
	s_nop 0
	v_cndmask_b32_sdwa v1, v4, v1, vcc dst_sel:DWORD dst_unused:UNUSED_PAD src0_sel:DWORD src1_sel:WORD_1
.LBB273_504:
	s_mov_b64 s[2:3], 0
.LBB273_505:
	s_andn2_b64 vcc, exec, s[2:3]
	s_cbranch_vccnz .LBB273_507
; %bb.506:
	global_load_dword v1, v[2:3], off
	s_movk_i32 s2, 0x7fff
	v_mov_b32_e32 v5, 0x7fc0
	s_waitcnt vmcnt(0)
	v_cvt_f32_f16_e32 v4, v1
	v_cmp_o_f16_e32 vcc, v1, v1
	v_bfe_u32 v1, v4, 16, 1
	v_add3_u32 v1, v4, v1, s2
	v_cndmask_b32_sdwa v1, v5, v1, vcc dst_sel:DWORD dst_unused:UNUSED_PAD src0_sel:DWORD src1_sel:WORD_1
.LBB273_507:
	s_mov_b64 s[2:3], 0
.LBB273_508:
	s_andn2_b64 vcc, exec, s[2:3]
	s_cbranch_vccnz .LBB273_519
; %bb.509:
	s_cmp_lt_i32 s10, 6
	s_cbranch_scc1 .LBB273_512
; %bb.510:
	s_cmp_gt_i32 s10, 6
	s_cbranch_scc0 .LBB273_513
; %bb.511:
	global_load_dwordx2 v[4:5], v[2:3], off
	s_movk_i32 s2, 0x7fff
	s_waitcnt vmcnt(1)
	v_mov_b32_e32 v1, 0x7fc0
	s_waitcnt vmcnt(0)
	v_cvt_f32_f64_e32 v4, v[4:5]
	v_bfe_u32 v5, v4, 16, 1
	v_cmp_o_f32_e32 vcc, v4, v4
	v_add3_u32 v4, v4, v5, s2
	s_mov_b64 s[2:3], 0
	v_cndmask_b32_sdwa v1, v1, v4, vcc dst_sel:DWORD dst_unused:UNUSED_PAD src0_sel:DWORD src1_sel:WORD_1
	s_branch .LBB273_514
.LBB273_512:
	s_mov_b64 s[2:3], -1
                                        ; implicit-def: $vgpr1
	s_branch .LBB273_517
.LBB273_513:
	s_mov_b64 s[2:3], -1
                                        ; implicit-def: $vgpr1
.LBB273_514:
	s_andn2_b64 vcc, exec, s[2:3]
	s_cbranch_vccnz .LBB273_516
; %bb.515:
	global_load_dword v1, v[2:3], off
	s_movk_i32 s2, 0x7fff
	v_mov_b32_e32 v4, 0x7fc0
	s_waitcnt vmcnt(0)
	v_bfe_u32 v5, v1, 16, 1
	v_cmp_o_f32_e32 vcc, v1, v1
	v_add3_u32 v1, v1, v5, s2
	s_nop 0
	v_cndmask_b32_sdwa v1, v4, v1, vcc dst_sel:DWORD dst_unused:UNUSED_PAD src0_sel:DWORD src1_sel:WORD_1
.LBB273_516:
	s_mov_b64 s[2:3], 0
.LBB273_517:
	s_andn2_b64 vcc, exec, s[2:3]
	s_cbranch_vccnz .LBB273_519
; %bb.518:
	global_load_ushort v1, v[2:3], off
	s_movk_i32 s2, 0x7fff
	v_mov_b32_e32 v5, 0x7fc0
	s_waitcnt vmcnt(0)
	v_cvt_f32_f16_e32 v4, v1
	v_cmp_o_f16_e32 vcc, v1, v1
	v_bfe_u32 v1, v4, 16, 1
	v_add3_u32 v1, v4, v1, s2
	v_cndmask_b32_sdwa v1, v5, v1, vcc dst_sel:DWORD dst_unused:UNUSED_PAD src0_sel:DWORD src1_sel:WORD_1
.LBB273_519:
	s_mov_b64 s[2:3], 0
.LBB273_520:
	s_andn2_b64 vcc, exec, s[2:3]
	s_cbranch_vccnz .LBB273_540
; %bb.521:
	s_cmp_lt_i32 s10, 2
	s_cbranch_scc1 .LBB273_525
; %bb.522:
	s_cmp_lt_i32 s10, 3
	s_cbranch_scc1 .LBB273_526
; %bb.523:
	s_cmp_gt_i32 s10, 3
	s_cbranch_scc0 .LBB273_527
; %bb.524:
	global_load_dwordx2 v[4:5], v[2:3], off
	s_movk_i32 s2, 0x7fff
	s_waitcnt vmcnt(0)
	v_xor_b32_e32 v6, v4, v5
	v_ffbh_i32_e32 v1, v5
	v_ashrrev_i32_e32 v6, 31, v6
	v_add_u32_e32 v1, -1, v1
	v_add_u32_e32 v6, 32, v6
	v_min_u32_e32 v1, v1, v6
	v_lshlrev_b64 v[4:5], v1, v[4:5]
	v_min_u32_e32 v4, 1, v4
	v_or_b32_e32 v4, v5, v4
	v_cvt_f32_i32_e32 v4, v4
	v_sub_u32_e32 v1, 32, v1
	v_ldexp_f32 v1, v4, v1
	v_bfe_u32 v4, v1, 16, 1
	v_add3_u32 v1, v1, v4, s2
	v_lshrrev_b32_e32 v1, 16, v1
	s_mov_b64 s[2:3], 0
	s_branch .LBB273_528
.LBB273_525:
	s_mov_b64 s[2:3], -1
                                        ; implicit-def: $vgpr1
	s_branch .LBB273_534
.LBB273_526:
	s_mov_b64 s[2:3], -1
                                        ; implicit-def: $vgpr1
	s_branch .LBB273_531
.LBB273_527:
	s_mov_b64 s[2:3], -1
                                        ; implicit-def: $vgpr1
.LBB273_528:
	s_andn2_b64 vcc, exec, s[2:3]
	s_cbranch_vccnz .LBB273_530
; %bb.529:
	global_load_dword v1, v[2:3], off
	s_movk_i32 s2, 0x7fff
	s_waitcnt vmcnt(0)
	v_cvt_f32_i32_e32 v1, v1
	v_bfe_u32 v4, v1, 16, 1
	v_add3_u32 v1, v1, v4, s2
	v_lshrrev_b32_e32 v1, 16, v1
.LBB273_530:
	s_mov_b64 s[2:3], 0
.LBB273_531:
	s_andn2_b64 vcc, exec, s[2:3]
	s_cbranch_vccnz .LBB273_533
; %bb.532:
	global_load_sshort v1, v[2:3], off
	s_movk_i32 s2, 0x7fff
	s_waitcnt vmcnt(0)
	v_cvt_f32_i32_e32 v1, v1
	v_bfe_u32 v4, v1, 16, 1
	v_add3_u32 v1, v1, v4, s2
	v_lshrrev_b32_e32 v1, 16, v1
.LBB273_533:
	s_mov_b64 s[2:3], 0
.LBB273_534:
	s_andn2_b64 vcc, exec, s[2:3]
	s_cbranch_vccnz .LBB273_540
; %bb.535:
	s_cmp_gt_i32 s10, 0
	s_cbranch_scc0 .LBB273_537
; %bb.536:
	global_load_sbyte v1, v[2:3], off
	s_movk_i32 s2, 0x7fff
	s_waitcnt vmcnt(0)
	v_cvt_f32_i32_e32 v1, v1
	v_bfe_u32 v4, v1, 16, 1
	v_add3_u32 v1, v1, v4, s2
	v_lshrrev_b32_e32 v1, 16, v1
	s_mov_b64 s[2:3], 0
	s_branch .LBB273_538
.LBB273_537:
	s_mov_b64 s[2:3], -1
                                        ; implicit-def: $vgpr1
.LBB273_538:
	s_andn2_b64 vcc, exec, s[2:3]
	s_cbranch_vccnz .LBB273_540
; %bb.539:
	global_load_ubyte v1, v[2:3], off
	s_movk_i32 s2, 0x7fff
	s_waitcnt vmcnt(0)
	v_cvt_f32_ubyte0_e32 v1, v1
	v_bfe_u32 v2, v1, 16, 1
	v_add3_u32 v1, v1, v2, s2
	v_lshrrev_b32_e32 v1, 16, v1
.LBB273_540:
	s_branch .LBB273_296
.LBB273_541:
	s_mov_b64 s[6:7], 0
	s_mov_b64 s[2:3], s[54:55]
.LBB273_542:
                                        ; implicit-def: $vgpr8
.LBB273_543:
	s_andn2_b64 s[8:9], s[54:55], exec
	s_and_b64 s[2:3], s[2:3], exec
	s_or_b64 s[62:63], s[8:9], s[2:3]
	s_andn2_b64 s[2:3], s[56:57], exec
	s_and_b64 s[4:5], s[4:5], exec
	s_or_b64 s[60:61], s[2:3], s[4:5]
	s_orn2_b64 s[2:3], s[6:7], exec
.LBB273_544:
	s_or_b64 exec, exec, s[64:65]
	s_mov_b64 s[4:5], 0
	s_mov_b64 s[6:7], 0
	;; [unrolled: 1-line block ×3, first 2 shown]
                                        ; implicit-def: $vgpr2_vgpr3
                                        ; implicit-def: $vgpr0
                                        ; implicit-def: $vgpr1
	s_and_saveexec_b64 s[64:65], s[2:3]
	s_cbranch_execz .LBB273_921
; %bb.545:
	v_cmp_gt_i32_e32 vcc, s70, v8
	s_mov_b64 s[6:7], -1
	s_mov_b64 s[2:3], s[60:61]
	s_mov_b64 s[68:69], s[62:63]
	s_and_saveexec_b64 s[66:67], vcc
	s_cbranch_execz .LBB273_820
; %bb.546:
	s_andn2_b64 vcc, exec, s[42:43]
	s_cbranch_vccnz .LBB273_552
; %bb.547:
	s_andn2_b64 vcc, exec, s[52:53]
	s_cbranch_vccnz .LBB273_553
; %bb.548:
	s_add_i32 s76, s75, 1
	s_cmp_eq_u32 s72, 2
	s_cbranch_scc1 .LBB273_554
; %bb.549:
	s_and_b32 s71, s76, 28
	s_mov_b32 s77, 0
	v_mov_b32_e32 v0, 0
	v_mov_b32_e32 v2, 0
	s_mov_b64 s[2:3], s[34:35]
	s_mov_b64 s[68:69], s[50:51]
	v_mov_b32_e32 v4, v8
.LBB273_550:                            ; =>This Inner Loop Header: Depth=1
	s_load_dwordx8 s[12:19], s[2:3], 0x4
	s_load_dwordx4 s[36:39], s[2:3], 0x24
	s_load_dwordx8 s[4:11], s[68:69], 0x0
	s_add_u32 s2, s2, 48
	s_addc_u32 s3, s3, 0
	s_waitcnt vmcnt(0) lgkmcnt(0)
	v_mul_hi_u32 v1, s13, v4
	v_add_u32_e32 v1, v4, v1
	v_lshrrev_b32_e32 v1, s14, v1
	v_mul_lo_u32 v3, v1, s12
	v_mul_hi_u32 v5, s16, v1
	v_sub_u32_e32 v3, v4, v3
	v_add_u32_e32 v4, v1, v5
	v_lshrrev_b32_e32 v4, s17, v4
	v_mul_lo_u32 v6, v4, s15
	v_mul_hi_u32 v7, s19, v4
	v_sub_u32_e32 v1, v1, v6
	v_add_u32_e32 v6, v4, v7
	v_mul_lo_u32 v5, v3, s5
	v_mul_lo_u32 v3, v3, s4
	;; [unrolled: 1-line block ×4, first 2 shown]
	v_lshrrev_b32_e32 v6, s36, v6
	v_add3_u32 v0, v3, v0, v1
	v_mul_hi_u32 v3, s38, v6
	v_add3_u32 v1, v5, v2, v7
	v_mul_lo_u32 v2, v6, s18
	v_add_u32_e32 v3, v6, v3
	v_sub_u32_e32 v2, v4, v2
	v_lshrrev_b32_e32 v4, s39, v3
	s_add_i32 s77, s77, 4
	v_mul_lo_u32 v3, v4, s37
	s_add_u32 s68, s68, 32
	v_sub_u32_e32 v3, v6, v3
	s_addc_u32 s69, s69, 0
	v_mul_lo_u32 v5, v2, s8
	v_mul_lo_u32 v2, v2, s9
	;; [unrolled: 1-line block ×4, first 2 shown]
	s_cmp_eq_u32 s71, s77
	v_add3_u32 v2, v2, v1, v3
	v_add3_u32 v0, v5, v0, v6
	s_cbranch_scc0 .LBB273_550
; %bb.551:
	v_mov_b32_e32 v1, v2
	s_branch .LBB273_555
.LBB273_552:
	s_mov_b64 s[2:3], -1
                                        ; implicit-def: $vgpr2
                                        ; implicit-def: $vgpr0
	s_branch .LBB273_559
.LBB273_553:
	v_mov_b32_e32 v2, 0
	v_mov_b32_e32 v0, 0
	s_branch .LBB273_558
.LBB273_554:
	v_mov_b32_e32 v0, 0
	s_mov_b32 s71, 0
	s_waitcnt vmcnt(0)
	v_mov_b32_e32 v1, v0
                                        ; implicit-def: $vgpr2
	v_mov_b32_e32 v4, v8
.LBB273_555:
	s_and_b32 s6, s76, 3
	s_cmp_eq_u32 s6, 0
	s_cbranch_scc1 .LBB273_558
; %bb.556:
	s_lshl_b32 s2, s71, 3
	s_add_u32 s2, s34, s2
	s_addc_u32 s3, s35, 0
	s_add_u32 s2, s2, 0xc4
	s_addc_u32 s3, s3, 0
	s_mul_i32 s4, s71, 12
	s_add_u32 s4, s34, s4
	s_addc_u32 s5, s35, 0
.LBB273_557:                            ; =>This Inner Loop Header: Depth=1
	s_load_dwordx2 s[8:9], s[4:5], 0x4
	s_load_dword s7, s[4:5], 0xc
	s_load_dwordx2 s[10:11], s[2:3], 0x0
	v_mov_b32_e32 v2, v1
	s_add_u32 s4, s4, 12
	s_waitcnt lgkmcnt(0)
	v_mul_hi_u32 v1, s9, v4
	v_add_u32_e32 v1, v4, v1
	v_lshrrev_b32_e32 v1, s7, v1
	s_addc_u32 s5, s5, 0
	v_mul_lo_u32 v3, v1, s8
	s_add_u32 s2, s2, 8
	v_sub_u32_e32 v5, v4, v3
	s_addc_u32 s3, s3, 0
	s_add_i32 s6, s6, -1
	v_mov_b32_e32 v4, v1
	v_mad_u64_u32 v[2:3], s[8:9], v5, s11, v[2:3]
	v_mad_u64_u32 v[0:1], s[8:9], v5, s10, v[0:1]
	s_cmp_lg_u32 s6, 0
	v_mov_b32_e32 v1, v2
	s_cbranch_scc1 .LBB273_557
.LBB273_558:
	s_mov_b64 s[2:3], 0
.LBB273_559:
	s_andn2_b64 vcc, exec, s[2:3]
	s_cbranch_vccnz .LBB273_562
; %bb.560:
	s_waitcnt lgkmcnt(0)
	v_mul_hi_u32 v0, s29, v8
	v_add_u32_e32 v0, v8, v0
	s_waitcnt vmcnt(0)
	v_lshrrev_b32_e32 v1, s30, v0
	v_mul_lo_u32 v0, v1, s28
	v_sub_u32_e32 v0, v8, v0
	v_mul_lo_u32 v2, v0, s25
	s_andn2_b64 vcc, exec, s[48:49]
	v_mul_lo_u32 v0, v0, s24
	s_cbranch_vccnz .LBB273_562
; %bb.561:
	v_mul_hi_u32 v3, s46, v1
	v_add_u32_e32 v3, v1, v3
	v_lshrrev_b32_e32 v3, s47, v3
	v_mul_lo_u32 v3, v3, s31
	v_sub_u32_e32 v3, v1, v3
	v_mad_u64_u32 v[0:1], s[2:3], v3, s26, v[0:1]
	v_mad_u64_u32 v[2:3], s[2:3], v3, s27, v[2:3]
.LBB273_562:
	v_mov_b32_e32 v3, 0
	s_and_b32 s10, 0xffff, s74
	s_cmp_lt_i32 s10, 11
	s_waitcnt lgkmcnt(0)
	v_lshl_add_u64 v[2:3], s[22:23], 0, v[2:3]
	s_cbranch_scc1 .LBB273_569
; %bb.563:
	s_cmp_gt_i32 s10, 25
	s_cbranch_scc0 .LBB273_570
; %bb.564:
	s_cmp_gt_i32 s10, 28
	s_cbranch_scc0 .LBB273_571
; %bb.565:
	s_cmp_gt_i32 s10, 43
	s_cbranch_scc0 .LBB273_572
; %bb.566:
	s_cmp_gt_i32 s10, 45
	s_cbranch_scc0 .LBB273_575
; %bb.567:
	s_cmp_eq_u32 s10, 46
	s_mov_b64 s[6:7], 0
	s_cbranch_scc0 .LBB273_578
; %bb.568:
	global_load_dword v1, v[2:3], off
	s_mov_b64 s[2:3], -1
	s_mov_b64 s[4:5], 0
	s_branch .LBB273_579
.LBB273_569:
	s_mov_b64 s[6:7], -1
	s_mov_b64 s[2:3], 0
                                        ; implicit-def: $vgpr1
	s_mov_b64 s[4:5], s[60:61]
	s_branch .LBB273_644
.LBB273_570:
	s_mov_b64 s[6:7], -1
	s_mov_b64 s[2:3], 0
	s_mov_b64 s[4:5], s[60:61]
                                        ; implicit-def: $vgpr1
	s_branch .LBB273_608
.LBB273_571:
	s_mov_b64 s[6:7], -1
	s_mov_b64 s[2:3], 0
	s_mov_b64 s[4:5], s[60:61]
                                        ; implicit-def: $vgpr1
	s_branch .LBB273_589
.LBB273_572:
	s_mov_b64 s[6:7], -1
	s_mov_b64 s[2:3], 0
	s_mov_b64 s[4:5], s[60:61]
                                        ; implicit-def: $vgpr1
	s_branch .LBB273_584
.LBB273_573:
	s_andn2_saveexec_b64 s[10:11], s[10:11]
	s_cbranch_execz .LBB273_341
.LBB273_574:
	s_mov_b32 s14, 0x46000000
	v_add_f32_e64 v4, |v5|, s14
	v_and_b32_e32 v4, 0xff, v4
	v_cmp_ne_u32_e32 vcc, 0, v4
	s_andn2_b64 s[8:9], s[8:9], exec
	s_and_b64 s[14:15], vcc, exec
	s_or_b64 s[8:9], s[8:9], s[14:15]
	s_or_b64 exec, exec, s[10:11]
	v_mov_b32_e32 v6, 0
	s_and_saveexec_b64 s[10:11], s[8:9]
	s_cbranch_execnz .LBB273_342
	s_branch .LBB273_343
.LBB273_575:
	s_mov_b64 s[6:7], -1
	s_mov_b64 s[2:3], 0
	s_mov_b64 s[4:5], s[60:61]
                                        ; implicit-def: $vgpr1
	s_branch .LBB273_579
.LBB273_576:
	s_andn2_saveexec_b64 s[10:11], s[10:11]
	s_cbranch_execz .LBB273_354
.LBB273_577:
	s_mov_b32 s14, 0x42800000
	v_add_f32_e64 v4, |v5|, s14
	v_and_b32_e32 v4, 0xff, v4
	v_cmp_ne_u32_e32 vcc, 0, v4
	s_andn2_b64 s[8:9], s[8:9], exec
	s_and_b64 s[14:15], vcc, exec
	s_or_b64 s[8:9], s[8:9], s[14:15]
	s_or_b64 exec, exec, s[10:11]
	v_mov_b32_e32 v6, 0
	s_and_saveexec_b64 s[10:11], s[8:9]
	s_cbranch_execnz .LBB273_355
	s_branch .LBB273_356
.LBB273_578:
	s_mov_b64 s[4:5], -1
                                        ; implicit-def: $vgpr1
	s_mov_b64 s[2:3], 0
.LBB273_579:
	s_and_b64 vcc, exec, s[6:7]
	s_cbranch_vccz .LBB273_583
; %bb.580:
	s_cmp_eq_u32 s10, 44
	s_cbranch_scc0 .LBB273_582
; %bb.581:
	global_load_ubyte v1, v[2:3], off
	s_movk_i32 s4, 0xff
	v_mov_b32_e32 v4, 0x7f800001
	v_mov_b32_e32 v5, 0x400000
	;; [unrolled: 1-line block ×3, first 2 shown]
	s_mov_b64 s[2:3], -1
	s_waitcnt vmcnt(0)
	v_lshlrev_b32_e32 v7, 23, v1
	v_cmp_ne_u32_e32 vcc, s4, v1
	s_mov_b64 s[4:5], 0
	s_nop 0
	v_cndmask_b32_e32 v4, v4, v7, vcc
	v_cmp_ne_u32_e32 vcc, 0, v1
	s_nop 1
	v_cndmask_b32_e32 v1, v5, v4, vcc
	v_add_u32_e32 v4, 0x7fff, v1
	v_cmp_o_f32_e32 vcc, v1, v1
	s_nop 1
	v_cndmask_b32_sdwa v1, v6, v4, vcc dst_sel:DWORD dst_unused:UNUSED_PAD src0_sel:DWORD src1_sel:WORD_1
	s_branch .LBB273_583
.LBB273_582:
	s_mov_b64 s[4:5], -1
                                        ; implicit-def: $vgpr1
.LBB273_583:
	s_mov_b64 s[6:7], 0
.LBB273_584:
	s_and_b64 vcc, exec, s[6:7]
	s_cbranch_vccz .LBB273_588
; %bb.585:
	s_cmp_eq_u32 s10, 29
	s_cbranch_scc0 .LBB273_587
; %bb.586:
	global_load_dwordx2 v[4:5], v[2:3], off
	s_movk_i32 s4, 0x7fff
	s_mov_b64 s[2:3], -1
	s_mov_b64 s[6:7], 0
	s_waitcnt vmcnt(0)
	v_ffbh_u32_e32 v1, v5
	v_min_u32_e32 v1, 32, v1
	v_lshlrev_b64 v[4:5], v1, v[4:5]
	v_min_u32_e32 v4, 1, v4
	v_or_b32_e32 v4, v5, v4
	v_cvt_f32_u32_e32 v4, v4
	v_sub_u32_e32 v1, 32, v1
	v_ldexp_f32 v1, v4, v1
	v_bfe_u32 v4, v1, 16, 1
	v_add3_u32 v1, v1, v4, s4
	v_lshrrev_b32_e32 v1, 16, v1
	s_mov_b64 s[4:5], 0
	s_branch .LBB273_589
.LBB273_587:
	s_mov_b64 s[4:5], -1
                                        ; implicit-def: $vgpr1
.LBB273_588:
	s_mov_b64 s[6:7], 0
.LBB273_589:
	s_and_b64 vcc, exec, s[6:7]
	s_cbranch_vccz .LBB273_607
; %bb.590:
	s_cmp_lt_i32 s10, 27
	s_cbranch_scc1 .LBB273_593
; %bb.591:
	s_cmp_gt_i32 s10, 27
	s_cbranch_scc0 .LBB273_594
; %bb.592:
	global_load_dword v1, v[2:3], off
	s_movk_i32 s2, 0x7fff
	s_waitcnt vmcnt(0)
	v_cvt_f32_u32_e32 v1, v1
	v_bfe_u32 v4, v1, 16, 1
	v_add3_u32 v1, v1, v4, s2
	v_lshrrev_b32_e32 v1, 16, v1
	s_mov_b64 s[2:3], 0
	s_branch .LBB273_595
.LBB273_593:
	s_mov_b64 s[2:3], -1
                                        ; implicit-def: $vgpr1
	s_branch .LBB273_598
.LBB273_594:
	s_mov_b64 s[2:3], -1
                                        ; implicit-def: $vgpr1
.LBB273_595:
	s_andn2_b64 vcc, exec, s[2:3]
	s_cbranch_vccnz .LBB273_597
; %bb.596:
	global_load_ushort v1, v[2:3], off
	s_movk_i32 s2, 0x7fff
	s_waitcnt vmcnt(0)
	v_cvt_f32_u32_e32 v1, v1
	v_bfe_u32 v4, v1, 16, 1
	v_add3_u32 v1, v1, v4, s2
	v_lshrrev_b32_e32 v1, 16, v1
.LBB273_597:
	s_mov_b64 s[2:3], 0
.LBB273_598:
	s_andn2_b64 vcc, exec, s[2:3]
	s_cbranch_vccnz .LBB273_606
; %bb.599:
	global_load_ubyte v1, v[2:3], off
	s_movk_i32 s2, 0x7f
	s_waitcnt vmcnt(0)
	v_cmp_lt_i16_e32 vcc, s2, v1
	s_mov_b64 s[2:3], 0
	s_and_saveexec_b64 s[6:7], vcc
	s_xor_b64 s[6:7], exec, s[6:7]
	s_cbranch_execz .LBB273_620
; %bb.600:
	s_movk_i32 s2, 0x80
	v_cmp_eq_u16_e32 vcc, s2, v1
	s_mov_b64 s[2:3], -1
	s_and_saveexec_b64 s[8:9], vcc
; %bb.601:
	s_xor_b64 s[2:3], exec, -1
; %bb.602:
	s_or_b64 exec, exec, s[8:9]
	s_and_b64 s[2:3], s[2:3], exec
	s_or_saveexec_b64 s[6:7], s[6:7]
	v_mov_b32_e32 v4, 0x7f800001
	s_xor_b64 exec, exec, s[6:7]
	s_cbranch_execnz .LBB273_621
.LBB273_603:
	s_or_b64 exec, exec, s[6:7]
	s_and_saveexec_b64 s[6:7], s[2:3]
	s_cbranch_execz .LBB273_605
.LBB273_604:
	v_lshlrev_b32_e32 v4, 24, v1
	v_and_b32_e32 v1, 0xffff, v1
	v_and_b32_e32 v5, 7, v1
	v_ffbh_u32_e32 v7, v5
	v_min_u32_e32 v7, 32, v7
	v_subrev_u32_e32 v9, 28, v7
	v_bfe_u32 v6, v1, 3, 4
	v_lshlrev_b32_e32 v1, v9, v1
	v_sub_u32_e32 v7, 29, v7
	v_and_b32_e32 v1, 7, v1
	v_cmp_eq_u32_e32 vcc, 0, v6
	v_and_b32_e32 v4, 0x80000000, v4
	s_nop 0
	v_cndmask_b32_e32 v6, v6, v7, vcc
	v_cndmask_b32_e32 v1, v5, v1, vcc
	v_mov_b32_e32 v5, 0x3b800000
	v_lshlrev_b32_e32 v1, 20, v1
	v_lshl_add_u32 v5, v6, 23, v5
	v_or3_b32 v4, v4, v5, v1
.LBB273_605:
	s_or_b64 exec, exec, s[6:7]
	v_bfe_u32 v1, v4, 16, 1
	s_movk_i32 s2, 0x7fff
	v_add3_u32 v1, v4, v1, s2
	v_cmp_o_f32_e32 vcc, v4, v4
	v_mov_b32_e32 v4, 0x7fc0
	s_nop 0
	v_cndmask_b32_sdwa v1, v4, v1, vcc dst_sel:DWORD dst_unused:UNUSED_PAD src0_sel:DWORD src1_sel:WORD_1
.LBB273_606:
	s_mov_b64 s[2:3], -1
.LBB273_607:
	s_mov_b64 s[6:7], 0
.LBB273_608:
	s_and_b64 vcc, exec, s[6:7]
	s_cbranch_vccz .LBB273_643
; %bb.609:
	s_cmp_gt_i32 s10, 22
	s_cbranch_scc0 .LBB273_619
; %bb.610:
	s_cmp_lt_i32 s10, 24
	s_cbranch_scc1 .LBB273_622
; %bb.611:
	s_cmp_gt_i32 s10, 24
	s_cbranch_scc0 .LBB273_623
; %bb.612:
	global_load_ubyte v1, v[2:3], off
	s_movk_i32 s2, 0x7f
	s_waitcnt vmcnt(0)
	v_cmp_lt_i16_e32 vcc, s2, v1
	s_mov_b64 s[2:3], 0
	s_and_saveexec_b64 s[6:7], vcc
	s_xor_b64 s[6:7], exec, s[6:7]
	s_cbranch_execz .LBB273_635
; %bb.613:
	s_movk_i32 s2, 0x80
	v_cmp_eq_u16_e32 vcc, s2, v1
	s_mov_b64 s[2:3], -1
	s_and_saveexec_b64 s[8:9], vcc
; %bb.614:
	s_xor_b64 s[2:3], exec, -1
; %bb.615:
	s_or_b64 exec, exec, s[8:9]
	s_and_b64 s[2:3], s[2:3], exec
	s_or_saveexec_b64 s[6:7], s[6:7]
	v_mov_b32_e32 v4, 0x7f800001
	s_xor_b64 exec, exec, s[6:7]
	s_cbranch_execnz .LBB273_636
.LBB273_616:
	s_or_b64 exec, exec, s[6:7]
	s_and_saveexec_b64 s[6:7], s[2:3]
	s_cbranch_execz .LBB273_618
.LBB273_617:
	v_lshlrev_b32_e32 v4, 24, v1
	v_and_b32_e32 v1, 0xffff, v1
	v_and_b32_e32 v5, 3, v1
	v_ffbh_u32_e32 v7, v5
	v_min_u32_e32 v7, 32, v7
	v_subrev_u32_e32 v9, 29, v7
	v_bfe_u32 v6, v1, 2, 5
	v_lshlrev_b32_e32 v1, v9, v1
	v_sub_u32_e32 v7, 30, v7
	v_and_b32_e32 v1, 3, v1
	v_cmp_eq_u32_e32 vcc, 0, v6
	v_and_b32_e32 v4, 0x80000000, v4
	s_nop 0
	v_cndmask_b32_e32 v6, v6, v7, vcc
	v_cndmask_b32_e32 v1, v5, v1, vcc
	v_mov_b32_e32 v5, 0x37800000
	v_lshlrev_b32_e32 v1, 21, v1
	v_lshl_add_u32 v5, v6, 23, v5
	v_or3_b32 v4, v4, v5, v1
.LBB273_618:
	s_or_b64 exec, exec, s[6:7]
	v_bfe_u32 v1, v4, 16, 1
	s_movk_i32 s2, 0x7fff
	v_add3_u32 v1, v4, v1, s2
	v_cmp_o_f32_e32 vcc, v4, v4
	v_mov_b32_e32 v4, 0x7fc0
	s_mov_b64 s[2:3], 0
	v_cndmask_b32_sdwa v1, v4, v1, vcc dst_sel:DWORD dst_unused:UNUSED_PAD src0_sel:DWORD src1_sel:WORD_1
	s_branch .LBB273_624
.LBB273_619:
	s_mov_b64 s[6:7], -1
                                        ; implicit-def: $vgpr1
	s_branch .LBB273_630
.LBB273_620:
	s_or_saveexec_b64 s[6:7], s[6:7]
	v_mov_b32_e32 v4, 0x7f800001
	s_xor_b64 exec, exec, s[6:7]
	s_cbranch_execz .LBB273_603
.LBB273_621:
	v_cmp_ne_u16_e32 vcc, 0, v1
	s_andn2_b64 s[2:3], s[2:3], exec
	s_and_b64 s[8:9], vcc, exec
	v_mov_b32_e32 v4, 0
	s_or_b64 s[2:3], s[2:3], s[8:9]
	s_or_b64 exec, exec, s[6:7]
	s_and_saveexec_b64 s[6:7], s[2:3]
	s_cbranch_execnz .LBB273_604
	s_branch .LBB273_605
.LBB273_622:
	s_mov_b64 s[2:3], -1
                                        ; implicit-def: $vgpr1
	s_branch .LBB273_627
.LBB273_623:
	s_mov_b64 s[2:3], -1
                                        ; implicit-def: $vgpr1
.LBB273_624:
	s_and_b64 vcc, exec, s[2:3]
	s_cbranch_vccz .LBB273_626
; %bb.625:
	global_load_ubyte v1, v[2:3], off
	s_mov_b32 s2, 0x7f800000
	s_brev_b32 s3, 1
	s_movk_i32 s6, 0x7fff
	s_waitcnt vmcnt(0)
	v_lshlrev_b32_e32 v1, 24, v1
	v_and_b32_e32 v4, 0x7f000000, v1
	v_ffbh_u32_e32 v5, v4
	v_min_u32_e32 v5, 32, v5
	v_sub_u32_e64 v5, v5, 4 clamp
	v_lshlrev_b32_e32 v7, v5, v4
	v_lshlrev_b32_e32 v5, 23, v5
	v_lshrrev_b32_e32 v7, 4, v7
	v_add_u32_e32 v6, 0x1000000, v4
	v_sub_u32_e32 v5, v7, v5
	v_ashrrev_i32_e32 v6, 8, v6
	v_add_u32_e32 v5, 0x3c000000, v5
	v_and_or_b32 v5, v6, s2, v5
	v_cmp_ne_u32_e32 vcc, 0, v4
	s_nop 1
	v_cndmask_b32_e32 v4, 0, v5, vcc
	v_and_or_b32 v1, v1, s3, v4
	v_bfe_u32 v4, v4, 16, 1
	v_add3_u32 v4, v1, v4, s6
	v_cmp_o_f32_e32 vcc, v1, v1
	v_mov_b32_e32 v1, 0x7fc0
	s_nop 0
	v_cndmask_b32_sdwa v1, v1, v4, vcc dst_sel:DWORD dst_unused:UNUSED_PAD src0_sel:DWORD src1_sel:WORD_1
.LBB273_626:
	s_mov_b64 s[2:3], 0
.LBB273_627:
	s_andn2_b64 vcc, exec, s[2:3]
	s_cbranch_vccnz .LBB273_629
; %bb.628:
	global_load_ubyte v1, v[2:3], off
	s_movk_i32 s2, 0x7f00
	s_brev_b32 s3, 16
	s_brev_b32 s6, 1
	s_movk_i32 s7, 0x7fff
	s_waitcnt vmcnt(0)
	v_lshlrev_b16_e32 v4, 8, v1
	v_lshlrev_b32_e32 v1, 25, v1
	v_lshrrev_b32_e32 v5, 4, v1
	v_and_or_b32 v6, v4, s2, 0.5
	v_or_b32_e32 v5, 0x70000000, v5
	v_add_f32_e32 v6, -0.5, v6
	v_mul_f32_e32 v5, 0x7800000, v5
	v_cmp_gt_u32_e32 vcc, s3, v1
	v_bfe_i32 v4, v4, 0, 16
	s_nop 0
	v_cndmask_b32_e32 v1, v5, v6, vcc
	v_and_or_b32 v4, v4, s6, v1
	v_bfe_u32 v1, v1, 16, 1
	v_add3_u32 v1, v4, v1, s7
	v_cmp_o_f32_e32 vcc, v4, v4
	v_mov_b32_e32 v4, 0x7fc0
	s_nop 0
	v_cndmask_b32_sdwa v1, v4, v1, vcc dst_sel:DWORD dst_unused:UNUSED_PAD src0_sel:DWORD src1_sel:WORD_1
.LBB273_629:
	s_mov_b64 s[6:7], 0
	s_mov_b64 s[2:3], -1
.LBB273_630:
	s_andn2_b64 vcc, exec, s[6:7]
	s_cbranch_vccnz .LBB273_643
; %bb.631:
	s_cmp_gt_i32 s10, 14
	s_cbranch_scc0 .LBB273_634
; %bb.632:
	s_cmp_eq_u32 s10, 15
	s_cbranch_scc0 .LBB273_637
; %bb.633:
	global_load_ushort v1, v[2:3], off
	s_mov_b64 s[2:3], -1
	s_mov_b64 s[4:5], 0
	s_branch .LBB273_638
.LBB273_634:
	s_mov_b64 s[6:7], -1
                                        ; implicit-def: $vgpr1
	s_branch .LBB273_639
.LBB273_635:
	s_or_saveexec_b64 s[6:7], s[6:7]
	v_mov_b32_e32 v4, 0x7f800001
	s_xor_b64 exec, exec, s[6:7]
	s_cbranch_execz .LBB273_616
.LBB273_636:
	v_cmp_ne_u16_e32 vcc, 0, v1
	s_andn2_b64 s[2:3], s[2:3], exec
	s_and_b64 s[8:9], vcc, exec
	v_mov_b32_e32 v4, 0
	s_or_b64 s[2:3], s[2:3], s[8:9]
	s_or_b64 exec, exec, s[6:7]
	s_and_saveexec_b64 s[6:7], s[2:3]
	s_cbranch_execnz .LBB273_617
	s_branch .LBB273_618
.LBB273_637:
	s_mov_b64 s[4:5], -1
                                        ; implicit-def: $vgpr1
.LBB273_638:
	s_mov_b64 s[6:7], 0
.LBB273_639:
	s_and_b64 vcc, exec, s[6:7]
	s_cbranch_vccz .LBB273_643
; %bb.640:
	s_cmp_eq_u32 s10, 11
	s_cbranch_scc0 .LBB273_642
; %bb.641:
	global_load_ubyte v1, v[2:3], off
	s_mov_b64 s[2:3], -1
	s_mov_b64 s[4:5], 0
	s_waitcnt vmcnt(0)
	v_cmp_ne_u16_e32 vcc, 0, v1
	s_nop 1
	v_cndmask_b32_e64 v1, 0, 1.0, vcc
	v_lshrrev_b32_e32 v1, 16, v1
	s_branch .LBB273_643
.LBB273_642:
	s_mov_b64 s[4:5], -1
                                        ; implicit-def: $vgpr1
.LBB273_643:
	s_mov_b64 s[6:7], 0
.LBB273_644:
	s_and_b64 vcc, exec, s[6:7]
	s_cbranch_vccz .LBB273_693
; %bb.645:
	s_cmp_lt_i32 s10, 5
	s_cbranch_scc1 .LBB273_650
; %bb.646:
	s_cmp_lt_i32 s10, 8
	s_cbranch_scc1 .LBB273_651
	;; [unrolled: 3-line block ×3, first 2 shown]
; %bb.648:
	s_cmp_gt_i32 s10, 9
	s_cbranch_scc0 .LBB273_653
; %bb.649:
	global_load_dwordx2 v[4:5], v[2:3], off
	s_movk_i32 s2, 0x7fff
	s_waitcnt vmcnt(1)
	v_mov_b32_e32 v1, 0x7fc0
	s_waitcnt vmcnt(0)
	v_cvt_f32_f64_e32 v4, v[4:5]
	v_bfe_u32 v5, v4, 16, 1
	v_cmp_o_f32_e32 vcc, v4, v4
	v_add3_u32 v4, v4, v5, s2
	s_mov_b64 s[2:3], 0
	v_cndmask_b32_sdwa v1, v1, v4, vcc dst_sel:DWORD dst_unused:UNUSED_PAD src0_sel:DWORD src1_sel:WORD_1
	s_branch .LBB273_654
.LBB273_650:
	s_mov_b64 s[2:3], -1
                                        ; implicit-def: $vgpr1
	s_branch .LBB273_672
.LBB273_651:
	s_mov_b64 s[2:3], -1
                                        ; implicit-def: $vgpr1
	s_branch .LBB273_660
.LBB273_652:
	s_mov_b64 s[2:3], -1
                                        ; implicit-def: $vgpr1
	s_branch .LBB273_657
.LBB273_653:
	s_mov_b64 s[2:3], -1
                                        ; implicit-def: $vgpr1
.LBB273_654:
	s_andn2_b64 vcc, exec, s[2:3]
	s_cbranch_vccnz .LBB273_656
; %bb.655:
	global_load_dword v1, v[2:3], off
	s_movk_i32 s2, 0x7fff
	v_mov_b32_e32 v4, 0x7fc0
	s_waitcnt vmcnt(0)
	v_bfe_u32 v5, v1, 16, 1
	v_cmp_o_f32_e32 vcc, v1, v1
	v_add3_u32 v1, v1, v5, s2
	s_nop 0
	v_cndmask_b32_sdwa v1, v4, v1, vcc dst_sel:DWORD dst_unused:UNUSED_PAD src0_sel:DWORD src1_sel:WORD_1
.LBB273_656:
	s_mov_b64 s[2:3], 0
.LBB273_657:
	s_andn2_b64 vcc, exec, s[2:3]
	s_cbranch_vccnz .LBB273_659
; %bb.658:
	global_load_dword v1, v[2:3], off
	s_movk_i32 s2, 0x7fff
	v_mov_b32_e32 v5, 0x7fc0
	s_waitcnt vmcnt(0)
	v_cvt_f32_f16_e32 v4, v1
	v_cmp_o_f16_e32 vcc, v1, v1
	v_bfe_u32 v1, v4, 16, 1
	v_add3_u32 v1, v4, v1, s2
	v_cndmask_b32_sdwa v1, v5, v1, vcc dst_sel:DWORD dst_unused:UNUSED_PAD src0_sel:DWORD src1_sel:WORD_1
.LBB273_659:
	s_mov_b64 s[2:3], 0
.LBB273_660:
	s_andn2_b64 vcc, exec, s[2:3]
	s_cbranch_vccnz .LBB273_671
; %bb.661:
	s_cmp_lt_i32 s10, 6
	s_cbranch_scc1 .LBB273_664
; %bb.662:
	s_cmp_gt_i32 s10, 6
	s_cbranch_scc0 .LBB273_665
; %bb.663:
	global_load_dwordx2 v[4:5], v[2:3], off
	s_movk_i32 s2, 0x7fff
	s_waitcnt vmcnt(1)
	v_mov_b32_e32 v1, 0x7fc0
	s_waitcnt vmcnt(0)
	v_cvt_f32_f64_e32 v4, v[4:5]
	v_bfe_u32 v5, v4, 16, 1
	v_cmp_o_f32_e32 vcc, v4, v4
	v_add3_u32 v4, v4, v5, s2
	s_mov_b64 s[2:3], 0
	v_cndmask_b32_sdwa v1, v1, v4, vcc dst_sel:DWORD dst_unused:UNUSED_PAD src0_sel:DWORD src1_sel:WORD_1
	s_branch .LBB273_666
.LBB273_664:
	s_mov_b64 s[2:3], -1
                                        ; implicit-def: $vgpr1
	s_branch .LBB273_669
.LBB273_665:
	s_mov_b64 s[2:3], -1
                                        ; implicit-def: $vgpr1
.LBB273_666:
	s_andn2_b64 vcc, exec, s[2:3]
	s_cbranch_vccnz .LBB273_668
; %bb.667:
	global_load_dword v1, v[2:3], off
	s_movk_i32 s2, 0x7fff
	v_mov_b32_e32 v4, 0x7fc0
	s_waitcnt vmcnt(0)
	v_bfe_u32 v5, v1, 16, 1
	v_cmp_o_f32_e32 vcc, v1, v1
	v_add3_u32 v1, v1, v5, s2
	s_nop 0
	v_cndmask_b32_sdwa v1, v4, v1, vcc dst_sel:DWORD dst_unused:UNUSED_PAD src0_sel:DWORD src1_sel:WORD_1
.LBB273_668:
	s_mov_b64 s[2:3], 0
.LBB273_669:
	s_andn2_b64 vcc, exec, s[2:3]
	s_cbranch_vccnz .LBB273_671
; %bb.670:
	global_load_ushort v1, v[2:3], off
	s_movk_i32 s2, 0x7fff
	v_mov_b32_e32 v5, 0x7fc0
	s_waitcnt vmcnt(0)
	v_cvt_f32_f16_e32 v4, v1
	v_cmp_o_f16_e32 vcc, v1, v1
	v_bfe_u32 v1, v4, 16, 1
	v_add3_u32 v1, v4, v1, s2
	v_cndmask_b32_sdwa v1, v5, v1, vcc dst_sel:DWORD dst_unused:UNUSED_PAD src0_sel:DWORD src1_sel:WORD_1
.LBB273_671:
	s_mov_b64 s[2:3], 0
.LBB273_672:
	s_andn2_b64 vcc, exec, s[2:3]
	s_cbranch_vccnz .LBB273_692
; %bb.673:
	s_cmp_lt_i32 s10, 2
	s_cbranch_scc1 .LBB273_677
; %bb.674:
	s_cmp_lt_i32 s10, 3
	s_cbranch_scc1 .LBB273_678
; %bb.675:
	s_cmp_gt_i32 s10, 3
	s_cbranch_scc0 .LBB273_679
; %bb.676:
	global_load_dwordx2 v[4:5], v[2:3], off
	s_movk_i32 s2, 0x7fff
	s_waitcnt vmcnt(0)
	v_xor_b32_e32 v6, v4, v5
	v_ffbh_i32_e32 v1, v5
	v_ashrrev_i32_e32 v6, 31, v6
	v_add_u32_e32 v1, -1, v1
	v_add_u32_e32 v6, 32, v6
	v_min_u32_e32 v1, v1, v6
	v_lshlrev_b64 v[4:5], v1, v[4:5]
	v_min_u32_e32 v4, 1, v4
	v_or_b32_e32 v4, v5, v4
	v_cvt_f32_i32_e32 v4, v4
	v_sub_u32_e32 v1, 32, v1
	v_ldexp_f32 v1, v4, v1
	v_bfe_u32 v4, v1, 16, 1
	v_add3_u32 v1, v1, v4, s2
	v_lshrrev_b32_e32 v1, 16, v1
	s_mov_b64 s[2:3], 0
	s_branch .LBB273_680
.LBB273_677:
	s_mov_b64 s[2:3], -1
                                        ; implicit-def: $vgpr1
	s_branch .LBB273_686
.LBB273_678:
	s_mov_b64 s[2:3], -1
                                        ; implicit-def: $vgpr1
	s_branch .LBB273_683
.LBB273_679:
	s_mov_b64 s[2:3], -1
                                        ; implicit-def: $vgpr1
.LBB273_680:
	s_andn2_b64 vcc, exec, s[2:3]
	s_cbranch_vccnz .LBB273_682
; %bb.681:
	global_load_dword v1, v[2:3], off
	s_movk_i32 s2, 0x7fff
	s_waitcnt vmcnt(0)
	v_cvt_f32_i32_e32 v1, v1
	v_bfe_u32 v4, v1, 16, 1
	v_add3_u32 v1, v1, v4, s2
	v_lshrrev_b32_e32 v1, 16, v1
.LBB273_682:
	s_mov_b64 s[2:3], 0
.LBB273_683:
	s_andn2_b64 vcc, exec, s[2:3]
	s_cbranch_vccnz .LBB273_685
; %bb.684:
	global_load_sshort v1, v[2:3], off
	s_movk_i32 s2, 0x7fff
	s_waitcnt vmcnt(0)
	v_cvt_f32_i32_e32 v1, v1
	v_bfe_u32 v4, v1, 16, 1
	v_add3_u32 v1, v1, v4, s2
	v_lshrrev_b32_e32 v1, 16, v1
.LBB273_685:
	s_mov_b64 s[2:3], 0
.LBB273_686:
	s_andn2_b64 vcc, exec, s[2:3]
	s_cbranch_vccnz .LBB273_692
; %bb.687:
	s_cmp_gt_i32 s10, 0
	s_cbranch_scc0 .LBB273_689
; %bb.688:
	global_load_sbyte v1, v[2:3], off
	s_movk_i32 s2, 0x7fff
	s_waitcnt vmcnt(0)
	v_cvt_f32_i32_e32 v1, v1
	v_bfe_u32 v4, v1, 16, 1
	v_add3_u32 v1, v1, v4, s2
	v_lshrrev_b32_e32 v1, 16, v1
	s_mov_b64 s[2:3], 0
	s_branch .LBB273_690
.LBB273_689:
	s_mov_b64 s[2:3], -1
                                        ; implicit-def: $vgpr1
.LBB273_690:
	s_andn2_b64 vcc, exec, s[2:3]
	s_cbranch_vccnz .LBB273_692
; %bb.691:
	global_load_ubyte v1, v[2:3], off
	s_movk_i32 s2, 0x7fff
	s_waitcnt vmcnt(0)
	v_cvt_f32_ubyte0_e32 v1, v1
	v_bfe_u32 v2, v1, 16, 1
	v_add3_u32 v1, v1, v2, s2
	v_lshrrev_b32_e32 v1, 16, v1
.LBB273_692:
	s_mov_b64 s[2:3], -1
.LBB273_693:
	s_andn2_b64 vcc, exec, s[2:3]
	s_cbranch_vccnz .LBB273_701
; %bb.694:
	s_waitcnt vmcnt(0)
	v_lshlrev_b32_e32 v1, 16, v1
	s_mov_b32 s2, 0xf800000
	v_mul_f32_e32 v2, 0x4f800000, v1
	v_cmp_gt_f32_e32 vcc, s2, v1
	s_and_b32 s12, s73, 0xff
	s_cmp_lt_i32 s12, 11
	v_cndmask_b32_e32 v2, v1, v2, vcc
	v_sqrt_f32_e32 v3, v2
	s_nop 0
	v_add_u32_e32 v4, -1, v3
	v_fma_f32 v5, -v4, v3, v2
	v_cmp_ge_f32_e64 s[2:3], 0, v5
	v_add_u32_e32 v5, 1, v3
	s_nop 0
	v_cndmask_b32_e64 v4, v3, v4, s[2:3]
	v_fma_f32 v3, -v5, v3, v2
	v_cmp_lt_f32_e64 s[2:3], 0, v3
	s_nop 1
	v_cndmask_b32_e64 v3, v4, v5, s[2:3]
	v_mul_f32_e32 v4, 0x37800000, v3
	v_cndmask_b32_e32 v3, v3, v4, vcc
	v_mov_b32_e32 v4, 0x260
	v_cmp_class_f32_e32 vcc, v2, v4
	s_movk_i32 s2, 0x7fff
	s_nop 0
	v_cndmask_b32_e32 v2, v3, v2, vcc
	v_bfe_u32 v3, v2, 16, 1
	v_add3_u32 v2, v2, v3, s2
	v_cmp_le_f32_e32 vcc, 0, v1
	v_mov_b32_e32 v1, 0x7fc0
	s_nop 0
	v_cndmask_b32_sdwa v2, v1, v2, vcc dst_sel:DWORD dst_unused:UNUSED_PAD src0_sel:DWORD src1_sel:WORD_1
	v_mov_b32_e32 v1, 0
	v_lshl_add_u64 v[0:1], s[20:21], 0, v[0:1]
	s_cbranch_scc1 .LBB273_702
; %bb.695:
	s_and_b32 s13, 0xffff, s12
	s_cmp_gt_i32 s13, 25
	s_cbranch_scc0 .LBB273_703
; %bb.696:
	s_cmp_gt_i32 s13, 28
	s_cbranch_scc0 .LBB273_704
; %bb.697:
	;; [unrolled: 3-line block ×4, first 2 shown]
	s_mov_b64 s[8:9], 0
	s_mov_b64 s[2:3], -1
	s_cmp_eq_u32 s13, 46
	s_mov_b64 s[6:7], 0
	s_cbranch_scc0 .LBB273_707
; %bb.700:
	v_and_b32_e32 v3, 0xffff, v2
	global_store_dword v[0:1], v3, off
	s_mov_b64 s[6:7], -1
	s_mov_b64 s[2:3], 0
	s_branch .LBB273_707
.LBB273_701:
	s_mov_b64 s[6:7], 0
	s_mov_b64 s[2:3], s[62:63]
	s_branch .LBB273_818
.LBB273_702:
	s_mov_b64 s[8:9], -1
	s_mov_b64 s[6:7], 0
	s_mov_b64 s[2:3], s[62:63]
	s_branch .LBB273_776
.LBB273_703:
	s_mov_b64 s[8:9], -1
	s_mov_b64 s[6:7], 0
	s_mov_b64 s[2:3], s[62:63]
	s_branch .LBB273_734
.LBB273_704:
	s_mov_b64 s[8:9], -1
	s_mov_b64 s[6:7], 0
	s_mov_b64 s[2:3], s[62:63]
	s_branch .LBB273_717
.LBB273_705:
	s_mov_b64 s[8:9], -1
	s_mov_b64 s[6:7], 0
	s_mov_b64 s[2:3], s[62:63]
	s_branch .LBB273_713
.LBB273_706:
	s_mov_b64 s[8:9], -1
	s_mov_b64 s[6:7], 0
	s_mov_b64 s[2:3], s[62:63]
.LBB273_707:
	s_and_b64 vcc, exec, s[8:9]
	s_cbranch_vccz .LBB273_712
; %bb.708:
	s_cmp_eq_u32 s13, 44
	s_mov_b64 s[2:3], -1
	s_cbranch_scc0 .LBB273_712
; %bb.709:
	v_and_b32_e32 v4, 0xffff, v2
	v_bfe_u32 v3, v4, 7, 8
	s_movk_i32 s2, 0xff
	v_cmp_ne_u32_e32 vcc, s2, v3
	v_mov_b32_e32 v5, 0xff
	s_and_saveexec_b64 s[6:7], vcc
	s_cbranch_execz .LBB273_711
; %bb.710:
	v_lshlrev_b32_e32 v6, 16, v4
	s_mov_b32 s2, 0x3f0000
	v_lshrrev_b32_e32 v5, 7, v4
	v_and_b32_e32 v4, 64, v4
	v_and_or_b32 v3, v6, s2, v3
	v_cmp_ne_u32_e32 vcc, 0, v4
	v_cmp_ne_u32_e64 s[2:3], 0, v3
	s_and_b64 s[2:3], vcc, s[2:3]
	s_nop 0
	v_cndmask_b32_e64 v3, 0, 1, s[2:3]
	v_add_u32_e32 v5, v5, v3
.LBB273_711:
	s_or_b64 exec, exec, s[6:7]
	s_mov_b64 s[6:7], -1
	s_mov_b64 s[2:3], 0
	global_store_byte v[0:1], v5, off
.LBB273_712:
	s_mov_b64 s[8:9], 0
.LBB273_713:
	s_and_b64 vcc, exec, s[8:9]
	s_cbranch_vccz .LBB273_716
; %bb.714:
	s_cmp_eq_u32 s13, 29
	s_mov_b64 s[2:3], -1
	s_cbranch_scc0 .LBB273_716
; %bb.715:
	v_lshlrev_b32_e32 v3, 16, v2
	v_trunc_f32_e32 v3, v3
	v_mul_f32_e32 v4, 0x2f800000, v3
	v_floor_f32_e32 v4, v4
	v_fmamk_f32 v3, v4, 0xcf800000, v3
	v_cvt_u32_f32_e32 v5, v4
	v_cvt_u32_f32_e32 v4, v3
	s_mov_b64 s[6:7], -1
	s_mov_b64 s[2:3], 0
	s_mov_b64 s[8:9], 0
	global_store_dwordx2 v[0:1], v[4:5], off
	s_branch .LBB273_717
.LBB273_716:
	s_mov_b64 s[8:9], 0
.LBB273_717:
	s_and_b64 vcc, exec, s[8:9]
	s_cbranch_vccz .LBB273_733
; %bb.718:
	s_cmp_lt_i32 s13, 27
	s_mov_b64 s[6:7], -1
	s_cbranch_scc1 .LBB273_724
; %bb.719:
	s_cmp_gt_i32 s13, 27
	s_cbranch_scc0 .LBB273_721
; %bb.720:
	v_lshlrev_b32_e32 v3, 16, v2
	v_cvt_u32_f32_e32 v3, v3
	s_mov_b64 s[6:7], 0
	global_store_dword v[0:1], v3, off
.LBB273_721:
	s_andn2_b64 vcc, exec, s[6:7]
	s_cbranch_vccnz .LBB273_723
; %bb.722:
	v_lshlrev_b32_e32 v3, 16, v2
	v_cvt_u32_f32_e32 v3, v3
	global_store_short v[0:1], v3, off
.LBB273_723:
	s_mov_b64 s[6:7], 0
.LBB273_724:
	s_andn2_b64 vcc, exec, s[6:7]
	s_cbranch_vccnz .LBB273_732
; %bb.725:
	v_lshlrev_b32_e32 v5, 16, v2
	v_and_b32_e32 v4, 0x7fffffff, v5
	s_mov_b32 s6, 0x43800000
	v_cmp_gt_u32_e32 vcc, s6, v4
	v_mov_b32_e32 v6, 0x80
	s_and_saveexec_b64 s[6:7], vcc
	s_cbranch_execz .LBB273_731
; %bb.726:
	s_mov_b32 s8, 0x3bffffff
	v_and_b32_e32 v3, 0xffff, v2
	v_cmp_lt_u32_e32 vcc, s8, v4
	s_mov_b64 s[8:9], 0
                                        ; implicit-def: $vgpr4
	s_and_saveexec_b64 s[10:11], vcc
	s_xor_b64 s[10:11], exec, s[10:11]
	s_cbranch_execz .LBB273_849
; %bb.727:
	v_bfe_u32 v4, v3, 4, 1
	s_mov_b32 s14, 0x487ffff
	v_add3_u32 v4, v5, v4, s14
	s_mov_b64 s[8:9], exec
	v_lshrrev_b32_e32 v4, 20, v4
                                        ; implicit-def: $vgpr5
	s_andn2_saveexec_b64 s[10:11], s[10:11]
	s_cbranch_execnz .LBB273_850
.LBB273_728:
	s_or_b64 exec, exec, s[10:11]
	v_mov_b32_e32 v6, 0
	s_and_saveexec_b64 s[10:11], s[8:9]
.LBB273_729:
	v_lshrrev_b32_e32 v3, 8, v3
	s_movk_i32 s8, 0x80
	v_and_or_b32 v6, v3, s8, v4
.LBB273_730:
	s_or_b64 exec, exec, s[10:11]
.LBB273_731:
	s_or_b64 exec, exec, s[6:7]
	global_store_byte v[0:1], v6, off
.LBB273_732:
	s_mov_b64 s[6:7], -1
.LBB273_733:
	s_mov_b64 s[8:9], 0
.LBB273_734:
	s_and_b64 vcc, exec, s[8:9]
	s_cbranch_vccz .LBB273_775
; %bb.735:
	s_cmp_gt_i32 s13, 22
	s_mov_b64 s[8:9], -1
	s_cbranch_scc0 .LBB273_767
; %bb.736:
	s_cmp_lt_i32 s13, 24
	s_mov_b64 s[6:7], -1
	s_cbranch_scc1 .LBB273_756
; %bb.737:
	s_cmp_gt_i32 s13, 24
	s_cbranch_scc0 .LBB273_745
; %bb.738:
	v_lshlrev_b32_e32 v5, 16, v2
	v_and_b32_e32 v4, 0x7fffffff, v5
	s_mov_b32 s6, 0x47800000
	v_cmp_gt_u32_e32 vcc, s6, v4
	v_mov_b32_e32 v6, 0x80
	s_and_saveexec_b64 s[6:7], vcc
	s_cbranch_execz .LBB273_744
; %bb.739:
	s_mov_b32 s8, 0x37ffffff
	v_and_b32_e32 v3, 0xffff, v2
	v_cmp_lt_u32_e32 vcc, s8, v4
	s_mov_b64 s[8:9], 0
                                        ; implicit-def: $vgpr4
	s_and_saveexec_b64 s[10:11], vcc
	s_xor_b64 s[10:11], exec, s[10:11]
	s_cbranch_execz .LBB273_852
; %bb.740:
	v_bfe_u32 v4, v3, 5, 1
	s_mov_b32 s14, 0x88fffff
	v_add3_u32 v4, v5, v4, s14
	s_mov_b64 s[8:9], exec
	v_lshrrev_b32_e32 v4, 21, v4
                                        ; implicit-def: $vgpr5
	s_andn2_saveexec_b64 s[10:11], s[10:11]
	s_cbranch_execnz .LBB273_853
.LBB273_741:
	s_or_b64 exec, exec, s[10:11]
	v_mov_b32_e32 v6, 0
	s_and_saveexec_b64 s[10:11], s[8:9]
.LBB273_742:
	v_lshrrev_b32_e32 v3, 8, v3
	s_movk_i32 s8, 0x80
	v_and_or_b32 v6, v3, s8, v4
.LBB273_743:
	s_or_b64 exec, exec, s[10:11]
.LBB273_744:
	s_or_b64 exec, exec, s[6:7]
	s_mov_b64 s[6:7], 0
	global_store_byte v[0:1], v6, off
.LBB273_745:
	s_and_b64 vcc, exec, s[6:7]
	s_cbranch_vccz .LBB273_755
; %bb.746:
	v_lshlrev_b32_e32 v5, 16, v2
	v_and_b32_e32 v6, 0x7fffffff, v5
	s_mov_b32 s6, 0x43f00000
	v_and_b32_e32 v3, 0xffff, v2
	v_cmp_gt_u32_e32 vcc, s6, v6
                                        ; implicit-def: $vgpr4
	s_and_saveexec_b64 s[6:7], vcc
	s_xor_b64 s[6:7], exec, s[6:7]
	s_cbranch_execz .LBB273_752
; %bb.747:
	s_mov_b32 s8, 0x3c7fffff
	v_cmp_lt_u32_e32 vcc, s8, v6
                                        ; implicit-def: $vgpr4
	s_and_saveexec_b64 s[8:9], vcc
	s_xor_b64 s[8:9], exec, s[8:9]
; %bb.748:
	v_bfe_u32 v4, v3, 4, 1
	s_mov_b32 s10, 0x407ffff
	v_add3_u32 v4, v5, v4, s10
	v_lshrrev_b32_e32 v5, 20, v4
	v_and_b32_e32 v4, 0xff00000, v4
	s_mov_b32 s10, 0x7f00000
	v_mov_b32_e32 v6, 0x7e
	v_cmp_ne_u32_e32 vcc, s10, v4
	s_nop 1
	v_cndmask_b32_e32 v4, v6, v5, vcc
                                        ; implicit-def: $vgpr5
; %bb.749:
	s_andn2_saveexec_b64 s[8:9], s[8:9]
; %bb.750:
	s_mov_b32 s10, 0x46800000
	v_add_f32_e64 v4, |v5|, s10
; %bb.751:
	s_or_b64 exec, exec, s[8:9]
                                        ; implicit-def: $vgpr6
.LBB273_752:
	s_andn2_saveexec_b64 s[6:7], s[6:7]
; %bb.753:
	s_mov_b32 s8, 0x7f800000
	v_mov_b32_e32 v4, 0x7e
	v_mov_b32_e32 v5, 0x7f
	v_cmp_lt_u32_e32 vcc, s8, v6
	s_nop 1
	v_cndmask_b32_e32 v4, v4, v5, vcc
; %bb.754:
	s_or_b64 exec, exec, s[6:7]
	v_lshrrev_b32_e32 v3, 8, v3
	s_movk_i32 s6, 0x80
	v_and_or_b32 v3, v3, s6, v4
	global_store_byte v[0:1], v3, off
.LBB273_755:
	s_mov_b64 s[6:7], 0
.LBB273_756:
	s_andn2_b64 vcc, exec, s[6:7]
	s_cbranch_vccnz .LBB273_766
; %bb.757:
	v_lshlrev_b32_e32 v5, 16, v2
	v_and_b32_e32 v6, 0x7fffffff, v5
	s_mov_b32 s6, 0x47800000
	v_and_b32_e32 v3, 0xffff, v2
	v_cmp_gt_u32_e32 vcc, s6, v6
                                        ; implicit-def: $vgpr4
	s_and_saveexec_b64 s[6:7], vcc
	s_xor_b64 s[6:7], exec, s[6:7]
	s_cbranch_execz .LBB273_763
; %bb.758:
	s_mov_b32 s8, 0x387fffff
	v_cmp_lt_u32_e32 vcc, s8, v6
                                        ; implicit-def: $vgpr4
	s_and_saveexec_b64 s[8:9], vcc
	s_xor_b64 s[8:9], exec, s[8:9]
; %bb.759:
	v_bfe_u32 v4, v3, 5, 1
	s_mov_b32 s10, 0x80fffff
	v_add3_u32 v4, v5, v4, s10
	v_lshrrev_b32_e32 v4, 21, v4
                                        ; implicit-def: $vgpr5
; %bb.760:
	s_andn2_saveexec_b64 s[8:9], s[8:9]
; %bb.761:
	s_mov_b32 s10, 0x43000000
	v_add_f32_e64 v4, |v5|, s10
; %bb.762:
	s_or_b64 exec, exec, s[8:9]
                                        ; implicit-def: $vgpr6
.LBB273_763:
	s_andn2_saveexec_b64 s[6:7], s[6:7]
; %bb.764:
	s_mov_b32 s8, 0x7f800000
	v_mov_b32_e32 v4, 0x7c
	v_mov_b32_e32 v5, 0x7f
	v_cmp_lt_u32_e32 vcc, s8, v6
	s_nop 1
	v_cndmask_b32_e32 v4, v4, v5, vcc
; %bb.765:
	s_or_b64 exec, exec, s[6:7]
	v_lshrrev_b32_e32 v3, 8, v3
	s_movk_i32 s6, 0x80
	v_and_or_b32 v3, v3, s6, v4
	global_store_byte v[0:1], v3, off
.LBB273_766:
	s_mov_b64 s[8:9], 0
	s_mov_b64 s[6:7], -1
.LBB273_767:
	s_andn2_b64 vcc, exec, s[8:9]
	s_cbranch_vccnz .LBB273_775
; %bb.768:
	s_cmp_gt_i32 s13, 14
	s_mov_b64 s[8:9], -1
	s_cbranch_scc0 .LBB273_772
; %bb.769:
	s_cmp_eq_u32 s13, 15
	s_mov_b64 s[2:3], -1
	s_cbranch_scc0 .LBB273_771
; %bb.770:
	global_store_short v[0:1], v2, off
	s_mov_b64 s[6:7], -1
	s_mov_b64 s[2:3], 0
.LBB273_771:
	s_mov_b64 s[8:9], 0
.LBB273_772:
	s_and_b64 vcc, exec, s[8:9]
	s_cbranch_vccz .LBB273_775
; %bb.773:
	s_cmp_eq_u32 s13, 11
	s_mov_b64 s[2:3], -1
	s_cbranch_scc0 .LBB273_775
; %bb.774:
	v_and_b32_e32 v3, 0x7fff, v2
	v_cmp_ne_u16_e32 vcc, 0, v3
	s_mov_b64 s[6:7], -1
	s_mov_b64 s[2:3], 0
	v_cndmask_b32_e64 v3, 0, 1, vcc
	global_store_byte v[0:1], v3, off
.LBB273_775:
	s_mov_b64 s[8:9], 0
.LBB273_776:
	s_and_b64 vcc, exec, s[8:9]
	s_cbranch_vccz .LBB273_815
; %bb.777:
	s_and_b32 s8, 0xffff, s12
	s_cmp_lt_i32 s8, 5
	s_mov_b64 s[6:7], -1
	s_cbranch_scc1 .LBB273_798
; %bb.778:
	s_cmp_lt_i32 s8, 8
	s_cbranch_scc1 .LBB273_788
; %bb.779:
	s_cmp_lt_i32 s8, 9
	s_cbranch_scc1 .LBB273_785
; %bb.780:
	s_cmp_gt_i32 s8, 9
	s_cbranch_scc0 .LBB273_782
; %bb.781:
	v_lshlrev_b32_e32 v3, 16, v2
	v_mov_b32_e32 v6, 0
	v_cvt_f64_f32_e32 v[4:5], v3
	v_mov_b32_e32 v7, v6
	s_mov_b64 s[6:7], 0
	global_store_dwordx4 v[0:1], v[4:7], off
.LBB273_782:
	s_andn2_b64 vcc, exec, s[6:7]
	s_cbranch_vccnz .LBB273_784
; %bb.783:
	v_lshlrev_b32_e32 v4, 16, v2
	v_mov_b32_e32 v5, 0
	global_store_dwordx2 v[0:1], v[4:5], off
.LBB273_784:
	s_mov_b64 s[6:7], 0
.LBB273_785:
	s_andn2_b64 vcc, exec, s[6:7]
	s_cbranch_vccnz .LBB273_787
; %bb.786:
	v_lshlrev_b32_e32 v3, 16, v2
	v_cvt_f16_f32_e32 v3, v3
	global_store_dword v[0:1], v3, off
.LBB273_787:
	s_mov_b64 s[6:7], 0
.LBB273_788:
	s_andn2_b64 vcc, exec, s[6:7]
	s_cbranch_vccnz .LBB273_797
; %bb.789:
	s_cmp_lt_i32 s8, 6
	s_mov_b64 s[6:7], -1
	s_cbranch_scc1 .LBB273_795
; %bb.790:
	s_cmp_gt_i32 s8, 6
	s_cbranch_scc0 .LBB273_792
; %bb.791:
	v_lshlrev_b32_e32 v3, 16, v2
	v_cvt_f64_f32_e32 v[4:5], v3
	s_mov_b64 s[6:7], 0
	global_store_dwordx2 v[0:1], v[4:5], off
.LBB273_792:
	s_andn2_b64 vcc, exec, s[6:7]
	s_cbranch_vccnz .LBB273_794
; %bb.793:
	v_lshlrev_b32_e32 v3, 16, v2
	global_store_dword v[0:1], v3, off
.LBB273_794:
	s_mov_b64 s[6:7], 0
.LBB273_795:
	s_andn2_b64 vcc, exec, s[6:7]
	s_cbranch_vccnz .LBB273_797
; %bb.796:
	v_lshlrev_b32_e32 v3, 16, v2
	v_cvt_f16_f32_e32 v3, v3
	global_store_short v[0:1], v3, off
.LBB273_797:
	s_mov_b64 s[6:7], 0
.LBB273_798:
	s_andn2_b64 vcc, exec, s[6:7]
	s_cbranch_vccnz .LBB273_814
; %bb.799:
	s_cmp_lt_i32 s8, 2
	s_mov_b64 s[6:7], -1
	s_cbranch_scc1 .LBB273_809
; %bb.800:
	s_cmp_lt_i32 s8, 3
	s_cbranch_scc1 .LBB273_806
; %bb.801:
	s_cmp_gt_i32 s8, 3
	s_cbranch_scc0 .LBB273_803
; %bb.802:
	v_lshlrev_b32_e32 v3, 16, v2
	v_trunc_f32_e32 v3, v3
	s_mov_b32 s6, 0x2f800000
	v_mul_f32_e64 v4, |v3|, s6
	v_floor_f32_e32 v4, v4
	s_mov_b32 s6, 0xcf800000
	v_cvt_u32_f32_e32 v5, v4
	v_fma_f32 v4, v4, s6, |v3|
	v_cvt_u32_f32_e32 v4, v4
	v_ashrrev_i32_e32 v3, 31, v3
	v_xor_b32_e32 v5, v5, v3
	s_mov_b64 s[6:7], 0
	v_xor_b32_e32 v4, v4, v3
	v_sub_co_u32_e32 v4, vcc, v4, v3
	s_nop 1
	v_subb_co_u32_e32 v5, vcc, v5, v3, vcc
	global_store_dwordx2 v[0:1], v[4:5], off
.LBB273_803:
	s_andn2_b64 vcc, exec, s[6:7]
	s_cbranch_vccnz .LBB273_805
; %bb.804:
	v_lshlrev_b32_e32 v3, 16, v2
	v_cvt_i32_f32_e32 v3, v3
	global_store_dword v[0:1], v3, off
.LBB273_805:
	s_mov_b64 s[6:7], 0
.LBB273_806:
	s_andn2_b64 vcc, exec, s[6:7]
	s_cbranch_vccnz .LBB273_808
; %bb.807:
	v_lshlrev_b32_e32 v3, 16, v2
	v_cvt_i32_f32_e32 v3, v3
	global_store_short v[0:1], v3, off
.LBB273_808:
	s_mov_b64 s[6:7], 0
.LBB273_809:
	s_andn2_b64 vcc, exec, s[6:7]
	s_cbranch_vccnz .LBB273_814
; %bb.810:
	s_mov_b64 s[6:7], -1
	s_cmp_gt_i32 s8, 0
	v_lshlrev_b32_e32 v2, 16, v2
	s_cbranch_scc0 .LBB273_812
; %bb.811:
	v_cvt_i32_f32_e32 v3, v2
	s_mov_b64 s[6:7], 0
	global_store_byte v[0:1], v3, off
.LBB273_812:
	s_andn2_b64 vcc, exec, s[6:7]
	s_cbranch_vccnz .LBB273_814
; %bb.813:
	v_trunc_f32_e32 v2, v2
	s_mov_b32 s6, 0x2f800000
	v_mul_f32_e64 v3, |v2|, s6
	v_floor_f32_e32 v3, v3
	s_mov_b32 s6, 0xcf800000
	v_fma_f32 v3, v3, s6, |v2|
	v_cvt_u32_f32_e32 v3, v3
	v_ashrrev_i32_e32 v2, 31, v2
	v_xor_b32_e32 v3, v3, v2
	v_sub_u32_e32 v2, v3, v2
	global_store_byte v[0:1], v2, off
.LBB273_814:
	s_mov_b64 s[6:7], -1
.LBB273_815:
	s_andn2_b64 vcc, exec, s[6:7]
	s_cbranch_vccnz .LBB273_817
; %bb.816:
	v_add_u32_e32 v8, 0x80, v8
	s_mov_b64 s[6:7], -1
	s_branch .LBB273_819
.LBB273_817:
	s_mov_b64 s[6:7], 0
.LBB273_818:
                                        ; implicit-def: $vgpr8
.LBB273_819:
	s_andn2_b64 s[8:9], s[62:63], exec
	s_and_b64 s[2:3], s[2:3], exec
	s_or_b64 s[68:69], s[8:9], s[2:3]
	s_andn2_b64 s[2:3], s[60:61], exec
	s_and_b64 s[4:5], s[4:5], exec
	s_or_b64 s[2:3], s[2:3], s[4:5]
	s_orn2_b64 s[6:7], s[6:7], exec
.LBB273_820:
	s_or_b64 exec, exec, s[66:67]
	s_mov_b64 s[4:5], 0
	s_mov_b64 s[10:11], 0
	;; [unrolled: 1-line block ×3, first 2 shown]
                                        ; implicit-def: $vgpr2_vgpr3
                                        ; implicit-def: $vgpr0
                                        ; implicit-def: $vgpr1
	s_and_saveexec_b64 s[66:67], s[6:7]
	s_cbranch_execz .LBB273_920
; %bb.821:
	v_cmp_gt_i32_e32 vcc, s70, v8
	s_mov_b64 s[6:7], 0
	s_mov_b64 s[12:13], s[2:3]
                                        ; implicit-def: $vgpr2_vgpr3
                                        ; implicit-def: $vgpr0
                                        ; implicit-def: $vgpr1
	s_and_saveexec_b64 s[70:71], vcc
	s_cbranch_execz .LBB273_919
; %bb.822:
	s_andn2_b64 vcc, exec, s[42:43]
	s_cbranch_vccnz .LBB273_828
; %bb.823:
	s_andn2_b64 vcc, exec, s[52:53]
	s_cbranch_vccnz .LBB273_829
; %bb.824:
	s_add_i32 s76, s75, 1
	s_cmp_eq_u32 s72, 2
	s_cbranch_scc1 .LBB273_830
; %bb.825:
	s_and_b32 s75, s76, 28
	s_mov_b32 s77, 0
	v_mov_b32_e32 v0, 0
	v_mov_b32_e32 v2, 0
	s_mov_b64 s[52:53], s[34:35]
	v_mov_b32_e32 v4, v8
.LBB273_826:                            ; =>This Inner Loop Header: Depth=1
	s_load_dwordx8 s[12:19], s[52:53], 0x4
	s_load_dwordx4 s[36:39], s[52:53], 0x24
	s_load_dwordx8 s[4:11], s[50:51], 0x0
	s_add_u32 s52, s52, 48
	s_addc_u32 s53, s53, 0
	s_waitcnt vmcnt(0) lgkmcnt(0)
	v_mul_hi_u32 v1, s13, v4
	v_add_u32_e32 v1, v4, v1
	v_lshrrev_b32_e32 v1, s14, v1
	v_mul_lo_u32 v3, v1, s12
	v_mul_hi_u32 v5, s16, v1
	v_sub_u32_e32 v3, v4, v3
	v_add_u32_e32 v4, v1, v5
	v_lshrrev_b32_e32 v4, s17, v4
	v_mul_lo_u32 v6, v4, s15
	v_mul_hi_u32 v7, s19, v4
	v_sub_u32_e32 v1, v1, v6
	v_add_u32_e32 v6, v4, v7
	v_mul_lo_u32 v5, v3, s5
	v_mul_lo_u32 v3, v3, s4
	;; [unrolled: 1-line block ×4, first 2 shown]
	v_lshrrev_b32_e32 v6, s36, v6
	v_add3_u32 v0, v3, v0, v1
	v_mul_hi_u32 v3, s38, v6
	v_add3_u32 v1, v5, v2, v7
	v_mul_lo_u32 v2, v6, s18
	v_add_u32_e32 v3, v6, v3
	v_sub_u32_e32 v2, v4, v2
	v_lshrrev_b32_e32 v4, s39, v3
	s_add_i32 s77, s77, 4
	v_mul_lo_u32 v3, v4, s37
	s_add_u32 s50, s50, 32
	v_sub_u32_e32 v3, v6, v3
	s_addc_u32 s51, s51, 0
	v_mul_lo_u32 v5, v2, s8
	v_mul_lo_u32 v2, v2, s9
	;; [unrolled: 1-line block ×4, first 2 shown]
	s_cmp_eq_u32 s75, s77
	v_add3_u32 v2, v2, v1, v3
	v_add3_u32 v0, v5, v0, v6
	s_cbranch_scc0 .LBB273_826
; %bb.827:
	v_mov_b32_e32 v1, v2
	s_branch .LBB273_831
.LBB273_828:
	s_mov_b64 s[4:5], -1
                                        ; implicit-def: $vgpr2
                                        ; implicit-def: $vgpr0
	s_branch .LBB273_835
.LBB273_829:
	v_mov_b32_e32 v2, 0
	v_mov_b32_e32 v0, 0
	s_branch .LBB273_834
.LBB273_830:
	v_mov_b32_e32 v0, 0
	s_mov_b32 s75, 0
	s_waitcnt vmcnt(0)
	v_mov_b32_e32 v1, v0
                                        ; implicit-def: $vgpr2
	v_mov_b32_e32 v4, v8
.LBB273_831:
	s_and_b32 s8, s76, 3
	s_cmp_eq_u32 s8, 0
	s_cbranch_scc1 .LBB273_834
; %bb.832:
	s_lshl_b32 s4, s75, 3
	s_add_u32 s4, s34, s4
	s_addc_u32 s5, s35, 0
	s_add_u32 s4, s4, 0xc4
	s_addc_u32 s5, s5, 0
	s_mul_i32 s6, s75, 12
	s_add_u32 s6, s34, s6
	s_addc_u32 s7, s35, 0
.LBB273_833:                            ; =>This Inner Loop Header: Depth=1
	s_load_dwordx2 s[10:11], s[6:7], 0x4
	s_load_dword s9, s[6:7], 0xc
	s_load_dwordx2 s[12:13], s[4:5], 0x0
	v_mov_b32_e32 v2, v1
	s_add_u32 s6, s6, 12
	s_waitcnt lgkmcnt(0)
	v_mul_hi_u32 v1, s11, v4
	v_add_u32_e32 v1, v4, v1
	v_lshrrev_b32_e32 v1, s9, v1
	s_addc_u32 s7, s7, 0
	v_mul_lo_u32 v3, v1, s10
	s_add_u32 s4, s4, 8
	v_sub_u32_e32 v5, v4, v3
	s_addc_u32 s5, s5, 0
	s_add_i32 s8, s8, -1
	v_mov_b32_e32 v4, v1
	v_mad_u64_u32 v[2:3], s[10:11], v5, s13, v[2:3]
	v_mad_u64_u32 v[0:1], s[10:11], v5, s12, v[0:1]
	s_cmp_lg_u32 s8, 0
	v_mov_b32_e32 v1, v2
	s_cbranch_scc1 .LBB273_833
.LBB273_834:
	s_mov_b64 s[4:5], 0
.LBB273_835:
	s_andn2_b64 vcc, exec, s[4:5]
	s_cbranch_vccnz .LBB273_838
; %bb.836:
	s_waitcnt lgkmcnt(0)
	v_mul_hi_u32 v0, s29, v8
	v_add_u32_e32 v0, v8, v0
	s_waitcnt vmcnt(0)
	v_lshrrev_b32_e32 v1, s30, v0
	v_mul_lo_u32 v0, v1, s28
	v_sub_u32_e32 v0, v8, v0
	v_mul_lo_u32 v2, v0, s25
	s_andn2_b64 vcc, exec, s[48:49]
	v_mul_lo_u32 v0, v0, s24
	s_cbranch_vccnz .LBB273_838
; %bb.837:
	v_mul_hi_u32 v3, s46, v1
	v_add_u32_e32 v3, v1, v3
	v_lshrrev_b32_e32 v3, s47, v3
	v_mul_lo_u32 v3, v3, s31
	v_sub_u32_e32 v3, v1, v3
	v_mad_u64_u32 v[0:1], s[4:5], v3, s26, v[0:1]
	v_mad_u64_u32 v[2:3], s[4:5], v3, s27, v[2:3]
.LBB273_838:
	v_mov_b32_e32 v3, 0
	s_and_b32 s14, 0xffff, s74
	s_cmp_lt_i32 s14, 11
	s_waitcnt lgkmcnt(0)
	v_lshl_add_u64 v[2:3], s[22:23], 0, v[2:3]
	s_cbranch_scc1 .LBB273_845
; %bb.839:
	s_cmp_gt_i32 s14, 25
	s_mov_b64 s[6:7], 0
	s_cbranch_scc0 .LBB273_846
; %bb.840:
	s_cmp_gt_i32 s14, 28
	s_cbranch_scc0 .LBB273_847
; %bb.841:
	s_cmp_gt_i32 s14, 43
	s_cbranch_scc0 .LBB273_848
; %bb.842:
	s_cmp_gt_i32 s14, 45
	s_cbranch_scc0 .LBB273_851
; %bb.843:
	s_cmp_eq_u32 s14, 46
	s_mov_b64 s[10:11], 0
	s_cbranch_scc0 .LBB273_854
; %bb.844:
	global_load_dword v1, v[2:3], off
	s_mov_b64 s[4:5], 0
	s_mov_b64 s[8:9], -1
	s_branch .LBB273_855
.LBB273_845:
	s_mov_b64 s[10:11], -1
	s_mov_b64 s[8:9], 0
	s_mov_b64 s[6:7], 0
	;; [unrolled: 1-line block ×3, first 2 shown]
                                        ; implicit-def: $vgpr1
	s_branch .LBB273_918
.LBB273_846:
	s_mov_b64 s[10:11], -1
	s_mov_b64 s[8:9], 0
	s_mov_b64 s[4:5], s[2:3]
                                        ; implicit-def: $vgpr1
	s_branch .LBB273_884
.LBB273_847:
	s_mov_b64 s[10:11], -1
	s_mov_b64 s[8:9], 0
	s_mov_b64 s[4:5], s[2:3]
                                        ; implicit-def: $vgpr1
	s_branch .LBB273_865
.LBB273_848:
	s_mov_b64 s[10:11], -1
	s_mov_b64 s[8:9], 0
	s_mov_b64 s[4:5], s[2:3]
                                        ; implicit-def: $vgpr1
	s_branch .LBB273_860
.LBB273_849:
	s_andn2_saveexec_b64 s[10:11], s[10:11]
	s_cbranch_execz .LBB273_728
.LBB273_850:
	s_mov_b32 s14, 0x46000000
	v_add_f32_e64 v4, |v5|, s14
	v_and_b32_e32 v4, 0xff, v4
	v_cmp_ne_u32_e32 vcc, 0, v4
	s_andn2_b64 s[8:9], s[8:9], exec
	s_and_b64 s[14:15], vcc, exec
	s_or_b64 s[8:9], s[8:9], s[14:15]
	s_or_b64 exec, exec, s[10:11]
	v_mov_b32_e32 v6, 0
	s_and_saveexec_b64 s[10:11], s[8:9]
	s_cbranch_execnz .LBB273_729
	s_branch .LBB273_730
.LBB273_851:
	s_mov_b64 s[10:11], -1
	s_mov_b64 s[8:9], 0
	s_mov_b64 s[4:5], s[2:3]
                                        ; implicit-def: $vgpr1
	s_branch .LBB273_855
.LBB273_852:
	s_andn2_saveexec_b64 s[10:11], s[10:11]
	s_cbranch_execz .LBB273_741
.LBB273_853:
	s_mov_b32 s14, 0x42800000
	v_add_f32_e64 v4, |v5|, s14
	v_and_b32_e32 v4, 0xff, v4
	v_cmp_ne_u32_e32 vcc, 0, v4
	s_andn2_b64 s[8:9], s[8:9], exec
	s_and_b64 s[14:15], vcc, exec
	s_or_b64 s[8:9], s[8:9], s[14:15]
	s_or_b64 exec, exec, s[10:11]
	v_mov_b32_e32 v6, 0
	s_and_saveexec_b64 s[10:11], s[8:9]
	s_cbranch_execnz .LBB273_742
	s_branch .LBB273_743
.LBB273_854:
	s_mov_b64 s[4:5], -1
                                        ; implicit-def: $vgpr1
	s_mov_b64 s[8:9], 0
.LBB273_855:
	s_and_b64 vcc, exec, s[10:11]
	s_cbranch_vccz .LBB273_859
; %bb.856:
	s_cmp_eq_u32 s14, 44
	s_cbranch_scc0 .LBB273_858
; %bb.857:
	global_load_ubyte v1, v[2:3], off
	s_movk_i32 s8, 0xff
	v_mov_b32_e32 v4, 0x7f800001
	v_mov_b32_e32 v5, 0x400000
	;; [unrolled: 1-line block ×3, first 2 shown]
	s_mov_b64 s[4:5], 0
	s_waitcnt vmcnt(0)
	v_lshlrev_b32_e32 v7, 23, v1
	v_cmp_ne_u32_e32 vcc, s8, v1
	s_mov_b64 s[8:9], -1
	s_nop 0
	v_cndmask_b32_e32 v4, v4, v7, vcc
	v_cmp_ne_u32_e32 vcc, 0, v1
	s_nop 1
	v_cndmask_b32_e32 v1, v5, v4, vcc
	v_add_u32_e32 v4, 0x7fff, v1
	v_cmp_o_f32_e32 vcc, v1, v1
	s_nop 1
	v_cndmask_b32_sdwa v1, v6, v4, vcc dst_sel:DWORD dst_unused:UNUSED_PAD src0_sel:DWORD src1_sel:WORD_1
	s_branch .LBB273_859
.LBB273_858:
	s_mov_b64 s[4:5], -1
                                        ; implicit-def: $vgpr1
.LBB273_859:
	s_mov_b64 s[10:11], 0
.LBB273_860:
	s_and_b64 vcc, exec, s[10:11]
	s_cbranch_vccz .LBB273_864
; %bb.861:
	s_cmp_eq_u32 s14, 29
	s_cbranch_scc0 .LBB273_863
; %bb.862:
	global_load_dwordx2 v[4:5], v[2:3], off
	s_movk_i32 s8, 0x7fff
	s_mov_b64 s[4:5], 0
	s_mov_b64 s[10:11], 0
	s_waitcnt vmcnt(0)
	v_ffbh_u32_e32 v1, v5
	v_min_u32_e32 v1, 32, v1
	v_lshlrev_b64 v[4:5], v1, v[4:5]
	v_min_u32_e32 v4, 1, v4
	v_or_b32_e32 v4, v5, v4
	v_cvt_f32_u32_e32 v4, v4
	v_sub_u32_e32 v1, 32, v1
	v_ldexp_f32 v1, v4, v1
	v_bfe_u32 v4, v1, 16, 1
	v_add3_u32 v1, v1, v4, s8
	v_lshrrev_b32_e32 v1, 16, v1
	s_mov_b64 s[8:9], -1
	s_branch .LBB273_865
.LBB273_863:
	s_mov_b64 s[4:5], -1
                                        ; implicit-def: $vgpr1
.LBB273_864:
	s_mov_b64 s[10:11], 0
.LBB273_865:
	s_and_b64 vcc, exec, s[10:11]
	s_cbranch_vccz .LBB273_883
; %bb.866:
	s_cmp_lt_i32 s14, 27
	s_cbranch_scc1 .LBB273_869
; %bb.867:
	s_cmp_gt_i32 s14, 27
	s_cbranch_scc0 .LBB273_870
; %bb.868:
	global_load_dword v1, v[2:3], off
	s_movk_i32 s8, 0x7fff
	s_waitcnt vmcnt(0)
	v_cvt_f32_u32_e32 v1, v1
	v_bfe_u32 v4, v1, 16, 1
	v_add3_u32 v1, v1, v4, s8
	v_lshrrev_b32_e32 v1, 16, v1
	s_mov_b64 s[8:9], 0
	s_branch .LBB273_871
.LBB273_869:
	s_mov_b64 s[8:9], -1
                                        ; implicit-def: $vgpr1
	s_branch .LBB273_874
.LBB273_870:
	s_mov_b64 s[8:9], -1
                                        ; implicit-def: $vgpr1
.LBB273_871:
	s_andn2_b64 vcc, exec, s[8:9]
	s_cbranch_vccnz .LBB273_873
; %bb.872:
	global_load_ushort v1, v[2:3], off
	s_movk_i32 s8, 0x7fff
	s_waitcnt vmcnt(0)
	v_cvt_f32_u32_e32 v1, v1
	v_bfe_u32 v4, v1, 16, 1
	v_add3_u32 v1, v1, v4, s8
	v_lshrrev_b32_e32 v1, 16, v1
.LBB273_873:
	s_mov_b64 s[8:9], 0
.LBB273_874:
	s_andn2_b64 vcc, exec, s[8:9]
	s_cbranch_vccnz .LBB273_882
; %bb.875:
	global_load_ubyte v1, v[2:3], off
	s_movk_i32 s8, 0x7f
	s_waitcnt vmcnt(0)
	v_cmp_lt_i16_e32 vcc, s8, v1
	s_mov_b64 s[8:9], 0
	s_and_saveexec_b64 s[10:11], vcc
	s_xor_b64 s[10:11], exec, s[10:11]
	s_cbranch_execz .LBB273_896
; %bb.876:
	s_movk_i32 s8, 0x80
	v_cmp_eq_u16_e32 vcc, s8, v1
	s_mov_b64 s[8:9], -1
	s_and_saveexec_b64 s[12:13], vcc
; %bb.877:
	s_xor_b64 s[8:9], exec, -1
; %bb.878:
	s_or_b64 exec, exec, s[12:13]
	s_and_b64 s[8:9], s[8:9], exec
	s_or_saveexec_b64 s[10:11], s[10:11]
	v_mov_b32_e32 v4, 0x7f800001
	s_xor_b64 exec, exec, s[10:11]
	s_cbranch_execnz .LBB273_897
.LBB273_879:
	s_or_b64 exec, exec, s[10:11]
	s_and_saveexec_b64 s[10:11], s[8:9]
	s_cbranch_execz .LBB273_881
.LBB273_880:
	v_lshlrev_b32_e32 v4, 24, v1
	v_and_b32_e32 v1, 0xffff, v1
	v_and_b32_e32 v5, 7, v1
	v_ffbh_u32_e32 v7, v5
	v_min_u32_e32 v7, 32, v7
	v_subrev_u32_e32 v8, 28, v7
	v_bfe_u32 v6, v1, 3, 4
	v_lshlrev_b32_e32 v1, v8, v1
	v_sub_u32_e32 v7, 29, v7
	v_and_b32_e32 v1, 7, v1
	v_cmp_eq_u32_e32 vcc, 0, v6
	v_and_b32_e32 v4, 0x80000000, v4
	s_nop 0
	v_cndmask_b32_e32 v6, v6, v7, vcc
	v_cndmask_b32_e32 v1, v5, v1, vcc
	v_mov_b32_e32 v5, 0x3b800000
	v_lshlrev_b32_e32 v1, 20, v1
	v_lshl_add_u32 v5, v6, 23, v5
	v_or3_b32 v4, v4, v5, v1
.LBB273_881:
	s_or_b64 exec, exec, s[10:11]
	v_bfe_u32 v1, v4, 16, 1
	s_movk_i32 s8, 0x7fff
	v_add3_u32 v1, v4, v1, s8
	v_cmp_o_f32_e32 vcc, v4, v4
	v_mov_b32_e32 v4, 0x7fc0
	s_nop 0
	v_cndmask_b32_sdwa v1, v4, v1, vcc dst_sel:DWORD dst_unused:UNUSED_PAD src0_sel:DWORD src1_sel:WORD_1
.LBB273_882:
	s_mov_b64 s[8:9], -1
.LBB273_883:
	s_mov_b64 s[10:11], 0
.LBB273_884:
	s_and_b64 vcc, exec, s[10:11]
	s_cbranch_vccz .LBB273_917
; %bb.885:
	s_cmp_gt_i32 s14, 22
	s_cbranch_scc0 .LBB273_895
; %bb.886:
	s_cmp_lt_i32 s14, 24
	s_cbranch_scc1 .LBB273_898
; %bb.887:
	s_cmp_gt_i32 s14, 24
	s_cbranch_scc0 .LBB273_899
; %bb.888:
	global_load_ubyte v1, v[2:3], off
	s_movk_i32 s6, 0x7f
	s_waitcnt vmcnt(0)
	v_cmp_lt_i16_e32 vcc, s6, v1
	s_mov_b64 s[6:7], 0
	s_and_saveexec_b64 s[8:9], vcc
	s_xor_b64 s[8:9], exec, s[8:9]
	s_cbranch_execz .LBB273_911
; %bb.889:
	s_movk_i32 s6, 0x80
	v_cmp_eq_u16_e32 vcc, s6, v1
	s_mov_b64 s[6:7], -1
	s_and_saveexec_b64 s[10:11], vcc
; %bb.890:
	s_xor_b64 s[6:7], exec, -1
; %bb.891:
	s_or_b64 exec, exec, s[10:11]
	s_and_b64 s[6:7], s[6:7], exec
	s_or_saveexec_b64 s[8:9], s[8:9]
	v_mov_b32_e32 v4, 0x7f800001
	s_xor_b64 exec, exec, s[8:9]
	s_cbranch_execnz .LBB273_912
.LBB273_892:
	s_or_b64 exec, exec, s[8:9]
	s_and_saveexec_b64 s[8:9], s[6:7]
	s_cbranch_execz .LBB273_894
.LBB273_893:
	v_lshlrev_b32_e32 v4, 24, v1
	v_and_b32_e32 v1, 0xffff, v1
	v_and_b32_e32 v5, 3, v1
	v_ffbh_u32_e32 v7, v5
	v_min_u32_e32 v7, 32, v7
	v_subrev_u32_e32 v8, 29, v7
	v_bfe_u32 v6, v1, 2, 5
	v_lshlrev_b32_e32 v1, v8, v1
	v_sub_u32_e32 v7, 30, v7
	v_and_b32_e32 v1, 3, v1
	v_cmp_eq_u32_e32 vcc, 0, v6
	v_and_b32_e32 v4, 0x80000000, v4
	s_nop 0
	v_cndmask_b32_e32 v6, v6, v7, vcc
	v_cndmask_b32_e32 v1, v5, v1, vcc
	v_mov_b32_e32 v5, 0x37800000
	v_lshlrev_b32_e32 v1, 21, v1
	v_lshl_add_u32 v5, v6, 23, v5
	v_or3_b32 v4, v4, v5, v1
.LBB273_894:
	s_or_b64 exec, exec, s[8:9]
	v_bfe_u32 v1, v4, 16, 1
	s_movk_i32 s6, 0x7fff
	v_add3_u32 v1, v4, v1, s6
	v_cmp_o_f32_e32 vcc, v4, v4
	v_mov_b32_e32 v4, 0x7fc0
	s_mov_b64 s[6:7], 0
	v_cndmask_b32_sdwa v1, v4, v1, vcc dst_sel:DWORD dst_unused:UNUSED_PAD src0_sel:DWORD src1_sel:WORD_1
	s_branch .LBB273_900
.LBB273_895:
	s_mov_b64 s[6:7], -1
                                        ; implicit-def: $vgpr1
	s_branch .LBB273_906
.LBB273_896:
	s_or_saveexec_b64 s[10:11], s[10:11]
	v_mov_b32_e32 v4, 0x7f800001
	s_xor_b64 exec, exec, s[10:11]
	s_cbranch_execz .LBB273_879
.LBB273_897:
	v_cmp_ne_u16_e32 vcc, 0, v1
	s_andn2_b64 s[8:9], s[8:9], exec
	s_and_b64 s[12:13], vcc, exec
	v_mov_b32_e32 v4, 0
	s_or_b64 s[8:9], s[8:9], s[12:13]
	s_or_b64 exec, exec, s[10:11]
	s_and_saveexec_b64 s[10:11], s[8:9]
	s_cbranch_execnz .LBB273_880
	s_branch .LBB273_881
.LBB273_898:
	s_mov_b64 s[6:7], -1
                                        ; implicit-def: $vgpr1
	s_branch .LBB273_903
.LBB273_899:
	s_mov_b64 s[6:7], -1
                                        ; implicit-def: $vgpr1
.LBB273_900:
	s_and_b64 vcc, exec, s[6:7]
	s_cbranch_vccz .LBB273_902
; %bb.901:
	global_load_ubyte v1, v[2:3], off
	s_mov_b32 s6, 0x7f800000
	s_brev_b32 s7, 1
	s_movk_i32 s8, 0x7fff
	s_waitcnt vmcnt(0)
	v_lshlrev_b32_e32 v1, 24, v1
	v_and_b32_e32 v4, 0x7f000000, v1
	v_ffbh_u32_e32 v5, v4
	v_min_u32_e32 v5, 32, v5
	v_sub_u32_e64 v5, v5, 4 clamp
	v_lshlrev_b32_e32 v7, v5, v4
	v_lshlrev_b32_e32 v5, 23, v5
	v_lshrrev_b32_e32 v7, 4, v7
	v_add_u32_e32 v6, 0x1000000, v4
	v_sub_u32_e32 v5, v7, v5
	v_ashrrev_i32_e32 v6, 8, v6
	v_add_u32_e32 v5, 0x3c000000, v5
	v_and_or_b32 v5, v6, s6, v5
	v_cmp_ne_u32_e32 vcc, 0, v4
	s_nop 1
	v_cndmask_b32_e32 v4, 0, v5, vcc
	v_and_or_b32 v1, v1, s7, v4
	v_bfe_u32 v4, v4, 16, 1
	v_add3_u32 v4, v1, v4, s8
	v_cmp_o_f32_e32 vcc, v1, v1
	v_mov_b32_e32 v1, 0x7fc0
	s_nop 0
	v_cndmask_b32_sdwa v1, v1, v4, vcc dst_sel:DWORD dst_unused:UNUSED_PAD src0_sel:DWORD src1_sel:WORD_1
.LBB273_902:
	s_mov_b64 s[6:7], 0
.LBB273_903:
	s_andn2_b64 vcc, exec, s[6:7]
	s_cbranch_vccnz .LBB273_905
; %bb.904:
	global_load_ubyte v1, v[2:3], off
	s_movk_i32 s6, 0x7f00
	s_brev_b32 s7, 16
	s_brev_b32 s8, 1
	s_movk_i32 s9, 0x7fff
	s_waitcnt vmcnt(0)
	v_lshlrev_b16_e32 v4, 8, v1
	v_lshlrev_b32_e32 v1, 25, v1
	v_lshrrev_b32_e32 v5, 4, v1
	v_and_or_b32 v6, v4, s6, 0.5
	v_or_b32_e32 v5, 0x70000000, v5
	v_add_f32_e32 v6, -0.5, v6
	v_mul_f32_e32 v5, 0x7800000, v5
	v_cmp_gt_u32_e32 vcc, s7, v1
	v_bfe_i32 v4, v4, 0, 16
	s_nop 0
	v_cndmask_b32_e32 v1, v5, v6, vcc
	v_and_or_b32 v4, v4, s8, v1
	v_bfe_u32 v1, v1, 16, 1
	v_add3_u32 v1, v4, v1, s9
	v_cmp_o_f32_e32 vcc, v4, v4
	v_mov_b32_e32 v4, 0x7fc0
	s_nop 0
	v_cndmask_b32_sdwa v1, v4, v1, vcc dst_sel:DWORD dst_unused:UNUSED_PAD src0_sel:DWORD src1_sel:WORD_1
.LBB273_905:
	s_mov_b64 s[6:7], 0
	s_mov_b64 s[8:9], -1
.LBB273_906:
	s_andn2_b64 vcc, exec, s[6:7]
	s_mov_b64 s[6:7], 0
	s_cbranch_vccnz .LBB273_917
; %bb.907:
	s_cmp_gt_i32 s14, 14
	s_cbranch_scc0 .LBB273_910
; %bb.908:
	s_cmp_eq_u32 s14, 15
	s_cbranch_scc0 .LBB273_913
; %bb.909:
	global_load_ushort v1, v[2:3], off
	s_mov_b64 s[4:5], 0
	s_mov_b64 s[8:9], -1
	s_branch .LBB273_914
.LBB273_910:
	s_mov_b64 s[10:11], -1
                                        ; implicit-def: $vgpr1
	s_branch .LBB273_915
.LBB273_911:
	s_or_saveexec_b64 s[8:9], s[8:9]
	v_mov_b32_e32 v4, 0x7f800001
	s_xor_b64 exec, exec, s[8:9]
	s_cbranch_execz .LBB273_892
.LBB273_912:
	v_cmp_ne_u16_e32 vcc, 0, v1
	s_andn2_b64 s[6:7], s[6:7], exec
	s_and_b64 s[10:11], vcc, exec
	v_mov_b32_e32 v4, 0
	s_or_b64 s[6:7], s[6:7], s[10:11]
	s_or_b64 exec, exec, s[8:9]
	s_and_saveexec_b64 s[8:9], s[6:7]
	s_cbranch_execnz .LBB273_893
	s_branch .LBB273_894
.LBB273_913:
	s_mov_b64 s[4:5], -1
                                        ; implicit-def: $vgpr1
.LBB273_914:
	s_mov_b64 s[10:11], 0
.LBB273_915:
	s_and_b64 vcc, exec, s[10:11]
	s_cbranch_vccz .LBB273_917
; %bb.916:
	s_cmp_lg_u32 s14, 11
	s_cselect_b64 s[10:11], -1, 0
	s_andn2_b64 s[4:5], s[4:5], exec
	s_and_b64 s[10:11], s[10:11], exec
	s_mov_b64 s[6:7], -1
	s_or_b64 s[4:5], s[4:5], s[10:11]
.LBB273_917:
	s_mov_b64 s[10:11], 0
.LBB273_918:
	s_andn2_b64 s[12:13], s[2:3], exec
	s_and_b64 s[4:5], s[4:5], exec
	s_and_b64 s[8:9], s[8:9], exec
	;; [unrolled: 1-line block ×4, first 2 shown]
	s_or_b64 s[12:13], s[12:13], s[4:5]
.LBB273_919:
	s_or_b64 exec, exec, s[70:71]
	s_and_b64 s[4:5], s[6:7], exec
	s_andn2_b64 s[2:3], s[2:3], exec
	s_and_b64 s[6:7], s[12:13], exec
	s_and_b64 s[8:9], s[8:9], exec
	;; [unrolled: 1-line block ×3, first 2 shown]
	s_or_b64 s[2:3], s[2:3], s[6:7]
.LBB273_920:
	s_or_b64 exec, exec, s[66:67]
	s_andn2_b64 s[6:7], s[62:63], exec
	s_and_b64 s[12:13], s[68:69], exec
	s_or_b64 s[62:63], s[6:7], s[12:13]
	s_and_b64 s[6:7], s[10:11], exec
	s_andn2_b64 s[10:11], s[60:61], exec
	s_and_b64 s[2:3], s[2:3], exec
	s_and_b64 s[8:9], s[8:9], exec
	;; [unrolled: 1-line block ×3, first 2 shown]
	s_or_b64 s[60:61], s[10:11], s[2:3]
.LBB273_921:
	s_or_b64 exec, exec, s[64:65]
	s_andn2_b64 s[2:3], s[54:55], exec
	s_and_b64 s[10:11], s[62:63], exec
	s_or_b64 s[54:55], s[2:3], s[10:11]
	s_and_b64 s[2:3], s[8:9], exec
	s_and_b64 s[8:9], s[6:7], exec
	;; [unrolled: 1-line block ×3, first 2 shown]
	s_andn2_b64 s[4:5], s[56:57], exec
	s_and_b64 s[6:7], s[60:61], exec
	s_or_b64 s[56:57], s[4:5], s[6:7]
	s_or_b64 exec, exec, s[58:59]
	s_mov_b64 s[4:5], 0
	s_and_saveexec_b64 s[6:7], s[56:57]
	s_cbranch_execz .LBB273_276
.LBB273_922:
	s_mov_b64 s[4:5], exec
	s_andn2_b64 s[62:63], s[62:63], exec
	s_trap 2
	s_or_b64 exec, exec, s[6:7]
	s_and_saveexec_b64 s[6:7], s[62:63]
	s_xor_b64 s[6:7], exec, s[6:7]
	s_cbranch_execnz .LBB273_277
.LBB273_923:
	s_or_b64 exec, exec, s[6:7]
	s_and_saveexec_b64 s[6:7], s[8:9]
	s_cbranch_execz .LBB273_969
.LBB273_924:
	s_sext_i32_i16 s8, s74
	s_cmp_lt_i32 s8, 5
	s_cbranch_scc1 .LBB273_929
; %bb.925:
	s_cmp_lt_i32 s8, 8
	s_cbranch_scc1 .LBB273_930
; %bb.926:
	;; [unrolled: 3-line block ×3, first 2 shown]
	s_cmp_gt_i32 s8, 9
	s_cbranch_scc0 .LBB273_932
; %bb.928:
	global_load_dwordx2 v[4:5], v[2:3], off
	s_movk_i32 s8, 0x7fff
	s_waitcnt vmcnt(1)
	v_mov_b32_e32 v1, 0x7fc0
	s_waitcnt vmcnt(0)
	v_cvt_f32_f64_e32 v4, v[4:5]
	v_bfe_u32 v5, v4, 16, 1
	v_cmp_o_f32_e32 vcc, v4, v4
	v_add3_u32 v4, v4, v5, s8
	s_mov_b64 s[8:9], 0
	v_cndmask_b32_sdwa v1, v1, v4, vcc dst_sel:DWORD dst_unused:UNUSED_PAD src0_sel:DWORD src1_sel:WORD_1
	s_branch .LBB273_933
.LBB273_929:
                                        ; implicit-def: $vgpr1
	s_branch .LBB273_950
.LBB273_930:
                                        ; implicit-def: $vgpr1
	s_branch .LBB273_939
.LBB273_931:
	s_mov_b64 s[8:9], -1
                                        ; implicit-def: $vgpr1
	s_branch .LBB273_936
.LBB273_932:
	s_mov_b64 s[8:9], -1
                                        ; implicit-def: $vgpr1
.LBB273_933:
	s_andn2_b64 vcc, exec, s[8:9]
	s_cbranch_vccnz .LBB273_935
; %bb.934:
	global_load_dword v1, v[2:3], off
	s_movk_i32 s8, 0x7fff
	v_mov_b32_e32 v4, 0x7fc0
	s_waitcnt vmcnt(0)
	v_bfe_u32 v5, v1, 16, 1
	v_cmp_o_f32_e32 vcc, v1, v1
	v_add3_u32 v1, v1, v5, s8
	s_nop 0
	v_cndmask_b32_sdwa v1, v4, v1, vcc dst_sel:DWORD dst_unused:UNUSED_PAD src0_sel:DWORD src1_sel:WORD_1
.LBB273_935:
	s_mov_b64 s[8:9], 0
.LBB273_936:
	s_andn2_b64 vcc, exec, s[8:9]
	s_cbranch_vccnz .LBB273_938
; %bb.937:
	global_load_dword v1, v[2:3], off
	s_movk_i32 s8, 0x7fff
	v_mov_b32_e32 v5, 0x7fc0
	s_waitcnt vmcnt(0)
	v_cvt_f32_f16_e32 v4, v1
	v_cmp_o_f16_e32 vcc, v1, v1
	v_bfe_u32 v1, v4, 16, 1
	v_add3_u32 v1, v4, v1, s8
	v_cndmask_b32_sdwa v1, v5, v1, vcc dst_sel:DWORD dst_unused:UNUSED_PAD src0_sel:DWORD src1_sel:WORD_1
.LBB273_938:
	s_cbranch_execnz .LBB273_949
.LBB273_939:
	s_sext_i32_i16 s8, s74
	s_cmp_lt_i32 s8, 6
	s_cbranch_scc1 .LBB273_942
; %bb.940:
	s_cmp_gt_i32 s8, 6
	s_cbranch_scc0 .LBB273_943
; %bb.941:
	global_load_dwordx2 v[4:5], v[2:3], off
	s_movk_i32 s8, 0x7fff
	s_waitcnt vmcnt(1)
	v_mov_b32_e32 v1, 0x7fc0
	s_waitcnt vmcnt(0)
	v_cvt_f32_f64_e32 v4, v[4:5]
	v_bfe_u32 v5, v4, 16, 1
	v_cmp_o_f32_e32 vcc, v4, v4
	v_add3_u32 v4, v4, v5, s8
	s_mov_b64 s[8:9], 0
	v_cndmask_b32_sdwa v1, v1, v4, vcc dst_sel:DWORD dst_unused:UNUSED_PAD src0_sel:DWORD src1_sel:WORD_1
	s_branch .LBB273_944
.LBB273_942:
	s_mov_b64 s[8:9], -1
                                        ; implicit-def: $vgpr1
	s_branch .LBB273_947
.LBB273_943:
	s_mov_b64 s[8:9], -1
                                        ; implicit-def: $vgpr1
.LBB273_944:
	s_andn2_b64 vcc, exec, s[8:9]
	s_cbranch_vccnz .LBB273_946
; %bb.945:
	global_load_dword v1, v[2:3], off
	s_movk_i32 s8, 0x7fff
	v_mov_b32_e32 v4, 0x7fc0
	s_waitcnt vmcnt(0)
	v_bfe_u32 v5, v1, 16, 1
	v_cmp_o_f32_e32 vcc, v1, v1
	v_add3_u32 v1, v1, v5, s8
	s_nop 0
	v_cndmask_b32_sdwa v1, v4, v1, vcc dst_sel:DWORD dst_unused:UNUSED_PAD src0_sel:DWORD src1_sel:WORD_1
.LBB273_946:
	s_mov_b64 s[8:9], 0
.LBB273_947:
	s_andn2_b64 vcc, exec, s[8:9]
	s_cbranch_vccnz .LBB273_949
; %bb.948:
	global_load_ushort v1, v[2:3], off
	s_movk_i32 s8, 0x7fff
	v_mov_b32_e32 v5, 0x7fc0
	s_waitcnt vmcnt(0)
	v_cvt_f32_f16_e32 v4, v1
	v_cmp_o_f16_e32 vcc, v1, v1
	v_bfe_u32 v1, v4, 16, 1
	v_add3_u32 v1, v4, v1, s8
	v_cndmask_b32_sdwa v1, v5, v1, vcc dst_sel:DWORD dst_unused:UNUSED_PAD src0_sel:DWORD src1_sel:WORD_1
.LBB273_949:
	s_cbranch_execnz .LBB273_968
.LBB273_950:
	s_sext_i32_i16 s8, s74
	s_cmp_lt_i32 s8, 2
	s_cbranch_scc1 .LBB273_954
; %bb.951:
	s_cmp_lt_i32 s8, 3
	s_cbranch_scc1 .LBB273_955
; %bb.952:
	s_cmp_gt_i32 s8, 3
	s_cbranch_scc0 .LBB273_956
; %bb.953:
	global_load_dwordx2 v[4:5], v[2:3], off
	s_movk_i32 s8, 0x7fff
	s_waitcnt vmcnt(0)
	v_xor_b32_e32 v6, v4, v5
	v_ffbh_i32_e32 v1, v5
	v_ashrrev_i32_e32 v6, 31, v6
	v_add_u32_e32 v1, -1, v1
	v_add_u32_e32 v6, 32, v6
	v_min_u32_e32 v1, v1, v6
	v_lshlrev_b64 v[4:5], v1, v[4:5]
	v_min_u32_e32 v4, 1, v4
	v_or_b32_e32 v4, v5, v4
	v_cvt_f32_i32_e32 v4, v4
	v_sub_u32_e32 v1, 32, v1
	v_ldexp_f32 v1, v4, v1
	v_bfe_u32 v4, v1, 16, 1
	v_add3_u32 v1, v1, v4, s8
	v_lshrrev_b32_e32 v1, 16, v1
	s_mov_b64 s[8:9], 0
	s_branch .LBB273_957
.LBB273_954:
                                        ; implicit-def: $vgpr1
	s_branch .LBB273_963
.LBB273_955:
	s_mov_b64 s[8:9], -1
                                        ; implicit-def: $vgpr1
	s_branch .LBB273_960
.LBB273_956:
	s_mov_b64 s[8:9], -1
                                        ; implicit-def: $vgpr1
.LBB273_957:
	s_andn2_b64 vcc, exec, s[8:9]
	s_cbranch_vccnz .LBB273_959
; %bb.958:
	global_load_dword v1, v[2:3], off
	s_movk_i32 s8, 0x7fff
	s_waitcnt vmcnt(0)
	v_cvt_f32_i32_e32 v1, v1
	v_bfe_u32 v4, v1, 16, 1
	v_add3_u32 v1, v1, v4, s8
	v_lshrrev_b32_e32 v1, 16, v1
.LBB273_959:
	s_mov_b64 s[8:9], 0
.LBB273_960:
	s_andn2_b64 vcc, exec, s[8:9]
	s_cbranch_vccnz .LBB273_962
; %bb.961:
	global_load_sshort v1, v[2:3], off
	s_movk_i32 s8, 0x7fff
	s_waitcnt vmcnt(0)
	v_cvt_f32_i32_e32 v1, v1
	v_bfe_u32 v4, v1, 16, 1
	v_add3_u32 v1, v1, v4, s8
	v_lshrrev_b32_e32 v1, 16, v1
.LBB273_962:
	s_cbranch_execnz .LBB273_968
.LBB273_963:
	s_sext_i32_i16 s8, s74
	s_cmp_gt_i32 s8, 0
	s_cbranch_scc0 .LBB273_965
; %bb.964:
	global_load_sbyte v1, v[2:3], off
	s_movk_i32 s8, 0x7fff
	s_waitcnt vmcnt(0)
	v_cvt_f32_i32_e32 v1, v1
	v_bfe_u32 v4, v1, 16, 1
	v_add3_u32 v1, v1, v4, s8
	v_lshrrev_b32_e32 v1, 16, v1
	s_mov_b64 s[8:9], 0
	s_branch .LBB273_966
.LBB273_965:
	s_mov_b64 s[8:9], -1
                                        ; implicit-def: $vgpr1
.LBB273_966:
	s_andn2_b64 vcc, exec, s[8:9]
	s_cbranch_vccnz .LBB273_968
; %bb.967:
	global_load_ubyte v1, v[2:3], off
	s_movk_i32 s8, 0x7fff
	s_waitcnt vmcnt(0)
	v_cvt_f32_ubyte0_e32 v1, v1
	v_bfe_u32 v2, v1, 16, 1
	v_add3_u32 v1, v1, v2, s8
	v_lshrrev_b32_e32 v1, 16, v1
.LBB273_968:
	s_or_b64 s[2:3], s[2:3], exec
.LBB273_969:
	s_or_b64 exec, exec, s[6:7]
	s_mov_b64 s[10:11], 0
	s_mov_b64 s[8:9], 0
                                        ; implicit-def: $sgpr16
                                        ; implicit-def: $vgpr2_vgpr3
                                        ; implicit-def: $vgpr4
	s_and_saveexec_b64 s[6:7], s[2:3]
	s_cbranch_execz .LBB273_987
; %bb.970:
	s_waitcnt vmcnt(0)
	v_lshlrev_b32_e32 v1, 16, v1
	s_mov_b32 s2, 0xf800000
	v_mul_f32_e32 v2, 0x4f800000, v1
	v_cmp_gt_f32_e32 vcc, s2, v1
	s_and_b32 s16, s73, 0xff
	s_cmp_lt_i32 s16, 11
	v_cndmask_b32_e32 v2, v1, v2, vcc
	v_sqrt_f32_e32 v3, v2
	s_nop 0
	v_add_u32_e32 v4, -1, v3
	v_fma_f32 v5, -v4, v3, v2
	v_cmp_ge_f32_e64 s[2:3], 0, v5
	v_add_u32_e32 v5, 1, v3
	s_nop 0
	v_cndmask_b32_e64 v4, v3, v4, s[2:3]
	v_fma_f32 v3, -v5, v3, v2
	v_cmp_lt_f32_e64 s[2:3], 0, v3
	s_nop 1
	v_cndmask_b32_e64 v3, v4, v5, s[2:3]
	v_mul_f32_e32 v4, 0x37800000, v3
	v_cndmask_b32_e32 v3, v3, v4, vcc
	v_mov_b32_e32 v4, 0x260
	v_cmp_class_f32_e32 vcc, v2, v4
	s_movk_i32 s2, 0x7fff
	s_nop 0
	v_cndmask_b32_e32 v2, v3, v2, vcc
	v_bfe_u32 v3, v2, 16, 1
	v_add3_u32 v2, v2, v3, s2
	v_cmp_le_f32_e32 vcc, 0, v1
	v_mov_b32_e32 v1, 0x7fc0
	s_nop 0
	v_cndmask_b32_sdwa v4, v1, v2, vcc dst_sel:DWORD dst_unused:UNUSED_PAD src0_sel:DWORD src1_sel:WORD_1
	v_mov_b32_e32 v1, 0
	s_waitcnt lgkmcnt(0)
	v_lshl_add_u64 v[2:3], s[20:21], 0, v[0:1]
	s_cbranch_scc1 .LBB273_990
; %bb.971:
	s_and_b32 s17, 0xffff, s16
	s_mov_b64 s[10:11], -1
	s_cmp_gt_i32 s17, 25
	s_mov_b64 s[2:3], s[54:55]
	s_cbranch_scc0 .LBB273_1008
; %bb.972:
	s_mov_b64 s[8:9], -1
	s_cmp_gt_i32 s17, 28
	s_mov_b64 s[2:3], s[54:55]
	s_cbranch_scc0 .LBB273_992
; %bb.973:
	s_cmp_gt_i32 s17, 43
	s_mov_b64 s[2:3], s[54:55]
	s_cbranch_scc0 .LBB273_984
; %bb.974:
	;; [unrolled: 4-line block ×3, first 2 shown]
	s_cmp_eq_u32 s17, 46
	s_mov_b64 s[2:3], -1
	s_cbranch_scc0 .LBB273_977
; %bb.976:
	v_and_b32_e32 v0, 0xffff, v4
	global_store_dword v[2:3], v0, off
	s_mov_b64 s[2:3], 0
.LBB273_977:
	s_mov_b64 s[8:9], 0
.LBB273_978:
	s_and_b64 vcc, exec, s[8:9]
	s_cbranch_vccz .LBB273_983
; %bb.979:
	s_cmp_eq_u32 s17, 44
	s_mov_b64 s[2:3], -1
	s_cbranch_scc0 .LBB273_983
; %bb.980:
	v_and_b32_e32 v1, 0xffff, v4
	v_bfe_u32 v0, v1, 7, 8
	s_movk_i32 s2, 0xff
	v_cmp_ne_u32_e32 vcc, s2, v0
	v_mov_b32_e32 v5, 0xff
	s_and_saveexec_b64 s[8:9], vcc
	s_cbranch_execz .LBB273_982
; %bb.981:
	v_lshlrev_b32_e32 v6, 16, v1
	s_mov_b32 s2, 0x3f0000
	v_lshrrev_b32_e32 v5, 7, v1
	v_and_b32_e32 v1, 64, v1
	v_and_or_b32 v0, v6, s2, v0
	v_cmp_ne_u32_e32 vcc, 0, v1
	v_cmp_ne_u32_e64 s[2:3], 0, v0
	s_and_b64 s[2:3], vcc, s[2:3]
	s_nop 0
	v_cndmask_b32_e64 v0, 0, 1, s[2:3]
	v_add_u32_e32 v5, v5, v0
.LBB273_982:
	s_or_b64 exec, exec, s[8:9]
	s_mov_b64 s[2:3], 0
	global_store_byte v[2:3], v5, off
.LBB273_983:
	s_mov_b64 s[8:9], 0
.LBB273_984:
	s_and_b64 vcc, exec, s[8:9]
	s_cbranch_vccz .LBB273_991
; %bb.985:
	s_cmp_eq_u32 s17, 29
	s_mov_b64 s[2:3], -1
	s_cbranch_scc0 .LBB273_991
; %bb.986:
	v_lshlrev_b32_e32 v0, 16, v4
	v_trunc_f32_e32 v0, v0
	v_mul_f32_e32 v1, 0x2f800000, v0
	v_floor_f32_e32 v5, v1
	v_fmamk_f32 v0, v5, 0xcf800000, v0
	v_cvt_u32_f32_e32 v1, v5
	v_cvt_u32_f32_e32 v0, v0
	s_mov_b64 s[2:3], 0
	s_mov_b64 s[8:9], 0
	global_store_dwordx2 v[2:3], v[0:1], off
	s_branch .LBB273_992
.LBB273_987:
	s_or_b64 exec, exec, s[6:7]
	s_and_saveexec_b64 s[2:3], s[54:55]
	s_cbranch_execnz .LBB273_1050
.LBB273_988:
	s_or_b64 exec, exec, s[2:3]
	s_and_saveexec_b64 s[2:3], s[10:11]
	s_xor_b64 s[2:3], exec, s[2:3]
	s_cbranch_execz .LBB273_1051
.LBB273_989:
	v_and_b32_e32 v0, 0x7fff, v4
	v_cmp_ne_u16_e32 vcc, 0, v0
	s_nop 1
	v_cndmask_b32_e64 v0, 0, 1, vcc
	global_store_byte v[2:3], v0, off
	s_or_b64 exec, exec, s[2:3]
	s_and_saveexec_b64 s[2:3], s[8:9]
	s_xor_b64 s[2:3], exec, s[2:3]
	s_cbranch_execz .LBB273_1089
	s_branch .LBB273_1052
.LBB273_990:
	s_mov_b64 s[8:9], -1
	s_mov_b64 s[2:3], s[54:55]
	s_branch .LBB273_1049
.LBB273_991:
	s_mov_b64 s[8:9], 0
.LBB273_992:
	s_and_b64 vcc, exec, s[8:9]
	s_cbranch_vccz .LBB273_1007
; %bb.993:
	s_cmp_lt_i32 s17, 27
	s_mov_b64 s[8:9], -1
	s_cbranch_scc1 .LBB273_999
; %bb.994:
	s_cmp_gt_i32 s17, 27
	s_cbranch_scc0 .LBB273_996
; %bb.995:
	v_lshlrev_b32_e32 v0, 16, v4
	v_cvt_u32_f32_e32 v0, v0
	s_mov_b64 s[8:9], 0
	global_store_dword v[2:3], v0, off
.LBB273_996:
	s_andn2_b64 vcc, exec, s[8:9]
	s_cbranch_vccnz .LBB273_998
; %bb.997:
	v_lshlrev_b32_e32 v0, 16, v4
	v_cvt_u32_f32_e32 v0, v0
	global_store_short v[2:3], v0, off
.LBB273_998:
	s_mov_b64 s[8:9], 0
.LBB273_999:
	s_andn2_b64 vcc, exec, s[8:9]
	s_cbranch_vccnz .LBB273_1007
; %bb.1000:
	v_lshlrev_b32_e32 v5, 16, v4
	v_and_b32_e32 v1, 0x7fffffff, v5
	s_mov_b32 s8, 0x43800000
	v_cmp_gt_u32_e32 vcc, s8, v1
	v_mov_b32_e32 v6, 0x80
	s_and_saveexec_b64 s[8:9], vcc
	s_cbranch_execz .LBB273_1006
; %bb.1001:
	s_mov_b32 s10, 0x3bffffff
	v_and_b32_e32 v0, 0xffff, v4
	v_cmp_lt_u32_e32 vcc, s10, v1
	s_mov_b64 s[10:11], 0
                                        ; implicit-def: $vgpr1
	s_and_saveexec_b64 s[12:13], vcc
	s_xor_b64 s[12:13], exec, s[12:13]
	s_cbranch_execz .LBB273_1160
; %bb.1002:
	v_bfe_u32 v1, v0, 4, 1
	s_mov_b32 s14, 0x487ffff
	v_add3_u32 v1, v5, v1, s14
	s_mov_b64 s[10:11], exec
	v_lshrrev_b32_e32 v1, 20, v1
                                        ; implicit-def: $vgpr5
	s_andn2_saveexec_b64 s[12:13], s[12:13]
	s_cbranch_execnz .LBB273_1161
.LBB273_1003:
	s_or_b64 exec, exec, s[12:13]
	v_mov_b32_e32 v6, 0
	s_and_saveexec_b64 s[12:13], s[10:11]
.LBB273_1004:
	v_lshrrev_b32_e32 v0, 8, v0
	s_movk_i32 s10, 0x80
	v_and_or_b32 v6, v0, s10, v1
.LBB273_1005:
	s_or_b64 exec, exec, s[12:13]
.LBB273_1006:
	s_or_b64 exec, exec, s[8:9]
	global_store_byte v[2:3], v6, off
.LBB273_1007:
	s_mov_b64 s[10:11], 0
.LBB273_1008:
	s_mov_b64 s[8:9], 0
	s_and_b64 vcc, exec, s[10:11]
	s_cbranch_vccz .LBB273_1048
; %bb.1009:
	s_cmp_gt_i32 s17, 22
	s_mov_b64 s[10:11], -1
	s_cbranch_scc0 .LBB273_1041
; %bb.1010:
	s_cmp_lt_i32 s17, 24
	s_cbranch_scc1 .LBB273_1030
; %bb.1011:
	s_cmp_gt_i32 s17, 24
	s_cbranch_scc0 .LBB273_1019
; %bb.1012:
	v_lshlrev_b32_e32 v5, 16, v4
	v_and_b32_e32 v1, 0x7fffffff, v5
	s_mov_b32 s10, 0x47800000
	v_cmp_gt_u32_e32 vcc, s10, v1
	v_mov_b32_e32 v6, 0x80
	s_and_saveexec_b64 s[10:11], vcc
	s_cbranch_execz .LBB273_1018
; %bb.1013:
	s_mov_b32 s12, 0x37ffffff
	v_and_b32_e32 v0, 0xffff, v4
	v_cmp_lt_u32_e32 vcc, s12, v1
	s_mov_b64 s[12:13], 0
                                        ; implicit-def: $vgpr1
	s_and_saveexec_b64 s[14:15], vcc
	s_xor_b64 s[14:15], exec, s[14:15]
	s_cbranch_execz .LBB273_1284
; %bb.1014:
	v_bfe_u32 v1, v0, 5, 1
	s_mov_b32 s18, 0x88fffff
	v_add3_u32 v1, v5, v1, s18
	s_mov_b64 s[12:13], exec
	v_lshrrev_b32_e32 v1, 21, v1
                                        ; implicit-def: $vgpr5
	s_andn2_saveexec_b64 s[14:15], s[14:15]
	s_cbranch_execnz .LBB273_1285
.LBB273_1015:
	s_or_b64 exec, exec, s[14:15]
	v_mov_b32_e32 v6, 0
	s_and_saveexec_b64 s[14:15], s[12:13]
.LBB273_1016:
	v_lshrrev_b32_e32 v0, 8, v0
	s_movk_i32 s12, 0x80
	v_and_or_b32 v6, v0, s12, v1
.LBB273_1017:
	s_or_b64 exec, exec, s[14:15]
.LBB273_1018:
	s_or_b64 exec, exec, s[10:11]
	s_mov_b64 s[10:11], 0
	global_store_byte v[2:3], v6, off
.LBB273_1019:
	s_and_b64 vcc, exec, s[10:11]
	s_cbranch_vccz .LBB273_1029
; %bb.1020:
	v_lshlrev_b32_e32 v5, 16, v4
	v_and_b32_e32 v6, 0x7fffffff, v5
	s_mov_b32 s10, 0x43f00000
	v_and_b32_e32 v0, 0xffff, v4
	v_cmp_gt_u32_e32 vcc, s10, v6
                                        ; implicit-def: $vgpr1
	s_and_saveexec_b64 s[10:11], vcc
	s_xor_b64 s[10:11], exec, s[10:11]
	s_cbranch_execz .LBB273_1026
; %bb.1021:
	s_mov_b32 s12, 0x3c7fffff
	v_cmp_lt_u32_e32 vcc, s12, v6
                                        ; implicit-def: $vgpr1
	s_and_saveexec_b64 s[12:13], vcc
	s_xor_b64 s[12:13], exec, s[12:13]
; %bb.1022:
	v_bfe_u32 v1, v0, 4, 1
	s_mov_b32 s14, 0x407ffff
	v_add3_u32 v1, v5, v1, s14
	v_lshrrev_b32_e32 v5, 20, v1
	v_and_b32_e32 v1, 0xff00000, v1
	s_mov_b32 s14, 0x7f00000
	v_mov_b32_e32 v6, 0x7e
	v_cmp_ne_u32_e32 vcc, s14, v1
	s_nop 1
	v_cndmask_b32_e32 v1, v6, v5, vcc
                                        ; implicit-def: $vgpr5
; %bb.1023:
	s_andn2_saveexec_b64 s[12:13], s[12:13]
; %bb.1024:
	s_mov_b32 s14, 0x46800000
	v_add_f32_e64 v1, |v5|, s14
; %bb.1025:
	s_or_b64 exec, exec, s[12:13]
                                        ; implicit-def: $vgpr6
.LBB273_1026:
	s_andn2_saveexec_b64 s[10:11], s[10:11]
; %bb.1027:
	s_mov_b32 s12, 0x7f800000
	v_mov_b32_e32 v1, 0x7e
	v_mov_b32_e32 v5, 0x7f
	v_cmp_lt_u32_e32 vcc, s12, v6
	s_nop 1
	v_cndmask_b32_e32 v1, v1, v5, vcc
; %bb.1028:
	s_or_b64 exec, exec, s[10:11]
	v_lshrrev_b32_e32 v0, 8, v0
	s_movk_i32 s10, 0x80
	v_and_or_b32 v0, v0, s10, v1
	global_store_byte v[2:3], v0, off
.LBB273_1029:
	s_mov_b64 s[10:11], 0
.LBB273_1030:
	s_andn2_b64 vcc, exec, s[10:11]
	s_cbranch_vccnz .LBB273_1040
; %bb.1031:
	v_lshlrev_b32_e32 v5, 16, v4
	v_and_b32_e32 v6, 0x7fffffff, v5
	s_mov_b32 s10, 0x47800000
	v_and_b32_e32 v0, 0xffff, v4
	v_cmp_gt_u32_e32 vcc, s10, v6
                                        ; implicit-def: $vgpr1
	s_and_saveexec_b64 s[10:11], vcc
	s_xor_b64 s[10:11], exec, s[10:11]
	s_cbranch_execz .LBB273_1037
; %bb.1032:
	s_mov_b32 s12, 0x387fffff
	v_cmp_lt_u32_e32 vcc, s12, v6
                                        ; implicit-def: $vgpr1
	s_and_saveexec_b64 s[12:13], vcc
	s_xor_b64 s[12:13], exec, s[12:13]
; %bb.1033:
	v_bfe_u32 v1, v0, 5, 1
	s_mov_b32 s14, 0x80fffff
	v_add3_u32 v1, v5, v1, s14
	v_lshrrev_b32_e32 v1, 21, v1
                                        ; implicit-def: $vgpr5
; %bb.1034:
	s_andn2_saveexec_b64 s[12:13], s[12:13]
; %bb.1035:
	s_mov_b32 s14, 0x43000000
	v_add_f32_e64 v1, |v5|, s14
; %bb.1036:
	s_or_b64 exec, exec, s[12:13]
                                        ; implicit-def: $vgpr6
.LBB273_1037:
	s_andn2_saveexec_b64 s[10:11], s[10:11]
; %bb.1038:
	s_mov_b32 s12, 0x7f800000
	v_mov_b32_e32 v1, 0x7c
	v_mov_b32_e32 v5, 0x7f
	v_cmp_lt_u32_e32 vcc, s12, v6
	s_nop 1
	v_cndmask_b32_e32 v1, v1, v5, vcc
; %bb.1039:
	s_or_b64 exec, exec, s[10:11]
	v_lshrrev_b32_e32 v0, 8, v0
	s_movk_i32 s10, 0x80
	v_and_or_b32 v0, v0, s10, v1
	global_store_byte v[2:3], v0, off
.LBB273_1040:
	s_mov_b64 s[10:11], 0
.LBB273_1041:
	s_andn2_b64 vcc, exec, s[10:11]
	s_mov_b64 s[10:11], 0
	s_cbranch_vccnz .LBB273_1049
; %bb.1042:
	s_cmp_gt_i32 s17, 14
	s_mov_b64 s[12:13], -1
	s_cbranch_scc0 .LBB273_1046
; %bb.1043:
	s_cmp_eq_u32 s17, 15
	s_mov_b64 s[2:3], -1
	s_cbranch_scc0 .LBB273_1045
; %bb.1044:
	global_store_short v[2:3], v4, off
	s_mov_b64 s[2:3], 0
.LBB273_1045:
	s_mov_b64 s[12:13], 0
.LBB273_1046:
	s_and_b64 vcc, exec, s[12:13]
	s_cbranch_vccz .LBB273_1049
; %bb.1047:
	s_cmp_lg_u32 s17, 11
	s_cselect_b64 s[12:13], -1, 0
	s_andn2_b64 s[2:3], s[2:3], exec
	s_and_b64 s[12:13], s[12:13], exec
	s_mov_b64 s[10:11], -1
	s_or_b64 s[2:3], s[2:3], s[12:13]
	s_branch .LBB273_1049
.LBB273_1048:
	s_mov_b64 s[10:11], 0
.LBB273_1049:
	s_andn2_b64 s[12:13], s[54:55], exec
	s_and_b64 s[2:3], s[2:3], exec
	s_and_b64 s[8:9], s[8:9], exec
	;; [unrolled: 1-line block ×3, first 2 shown]
	s_or_b64 s[54:55], s[12:13], s[2:3]
	s_or_b64 exec, exec, s[6:7]
	s_and_saveexec_b64 s[2:3], s[54:55]
	s_cbranch_execz .LBB273_988
.LBB273_1050:
	s_or_b64 s[4:5], s[4:5], exec
	s_andn2_b64 s[10:11], s[10:11], exec
	s_trap 2
	s_or_b64 exec, exec, s[2:3]
	s_and_saveexec_b64 s[2:3], s[10:11]
	s_xor_b64 s[2:3], exec, s[2:3]
	s_cbranch_execnz .LBB273_989
.LBB273_1051:
	s_or_b64 exec, exec, s[2:3]
	s_and_saveexec_b64 s[2:3], s[8:9]
	s_xor_b64 s[2:3], exec, s[2:3]
	s_cbranch_execz .LBB273_1089
.LBB273_1052:
	s_sext_i32_i16 s8, s16
	s_cmp_lt_i32 s8, 5
	s_mov_b64 s[6:7], -1
	s_cbranch_scc1 .LBB273_1073
; %bb.1053:
	s_cmp_lt_i32 s8, 8
	s_cbranch_scc1 .LBB273_1063
; %bb.1054:
	s_cmp_lt_i32 s8, 9
	s_cbranch_scc1 .LBB273_1060
; %bb.1055:
	s_cmp_gt_i32 s8, 9
	s_cbranch_scc0 .LBB273_1057
; %bb.1056:
	v_lshlrev_b32_e32 v0, 16, v4
	v_mov_b32_e32 v8, 0
	v_cvt_f64_f32_e32 v[6:7], v0
	v_mov_b32_e32 v9, v8
	s_mov_b64 s[6:7], 0
	global_store_dwordx4 v[2:3], v[6:9], off
.LBB273_1057:
	s_andn2_b64 vcc, exec, s[6:7]
	s_cbranch_vccnz .LBB273_1059
; %bb.1058:
	v_lshlrev_b32_e32 v0, 16, v4
	s_waitcnt vmcnt(0)
	v_mov_b32_e32 v1, 0
	global_store_dwordx2 v[2:3], v[0:1], off
.LBB273_1059:
	s_mov_b64 s[6:7], 0
.LBB273_1060:
	s_andn2_b64 vcc, exec, s[6:7]
	s_cbranch_vccnz .LBB273_1062
; %bb.1061:
	v_lshlrev_b32_e32 v0, 16, v4
	v_cvt_f16_f32_e32 v0, v0
	global_store_dword v[2:3], v0, off
.LBB273_1062:
	s_mov_b64 s[6:7], 0
.LBB273_1063:
	s_andn2_b64 vcc, exec, s[6:7]
	s_cbranch_vccnz .LBB273_1072
; %bb.1064:
	s_sext_i32_i16 s8, s16
	s_cmp_lt_i32 s8, 6
	s_mov_b64 s[6:7], -1
	s_cbranch_scc1 .LBB273_1070
; %bb.1065:
	s_cmp_gt_i32 s8, 6
	s_cbranch_scc0 .LBB273_1067
; %bb.1066:
	v_lshlrev_b32_e32 v0, 16, v4
	s_waitcnt vmcnt(0)
	v_cvt_f64_f32_e32 v[0:1], v0
	s_mov_b64 s[6:7], 0
	global_store_dwordx2 v[2:3], v[0:1], off
.LBB273_1067:
	s_andn2_b64 vcc, exec, s[6:7]
	s_cbranch_vccnz .LBB273_1069
; %bb.1068:
	v_lshlrev_b32_e32 v0, 16, v4
	global_store_dword v[2:3], v0, off
.LBB273_1069:
	s_mov_b64 s[6:7], 0
.LBB273_1070:
	s_andn2_b64 vcc, exec, s[6:7]
	s_cbranch_vccnz .LBB273_1072
; %bb.1071:
	v_lshlrev_b32_e32 v0, 16, v4
	v_cvt_f16_f32_e32 v0, v0
	global_store_short v[2:3], v0, off
.LBB273_1072:
	s_mov_b64 s[6:7], 0
.LBB273_1073:
	s_andn2_b64 vcc, exec, s[6:7]
	s_cbranch_vccnz .LBB273_1089
; %bb.1074:
	s_sext_i32_i16 s8, s16
	s_cmp_lt_i32 s8, 2
	s_mov_b64 s[6:7], -1
	s_cbranch_scc1 .LBB273_1084
; %bb.1075:
	s_cmp_lt_i32 s8, 3
	s_cbranch_scc1 .LBB273_1081
; %bb.1076:
	s_cmp_gt_i32 s8, 3
	s_cbranch_scc0 .LBB273_1078
; %bb.1077:
	v_lshlrev_b32_e32 v0, 16, v4
	v_trunc_f32_e32 v0, v0
	s_mov_b32 s6, 0x2f800000
	s_waitcnt vmcnt(0)
	v_mul_f32_e64 v1, |v0|, s6
	v_floor_f32_e32 v1, v1
	s_mov_b32 s6, 0xcf800000
	v_cvt_u32_f32_e32 v5, v1
	v_fma_f32 v1, v1, s6, |v0|
	v_cvt_u32_f32_e32 v1, v1
	v_ashrrev_i32_e32 v6, 31, v0
	v_xor_b32_e32 v5, v5, v6
	s_mov_b64 s[6:7], 0
	v_xor_b32_e32 v0, v1, v6
	v_sub_co_u32_e32 v0, vcc, v0, v6
	s_nop 1
	v_subb_co_u32_e32 v1, vcc, v5, v6, vcc
	global_store_dwordx2 v[2:3], v[0:1], off
.LBB273_1078:
	s_andn2_b64 vcc, exec, s[6:7]
	s_cbranch_vccnz .LBB273_1080
; %bb.1079:
	v_lshlrev_b32_e32 v0, 16, v4
	v_cvt_i32_f32_e32 v0, v0
	global_store_dword v[2:3], v0, off
.LBB273_1080:
	s_mov_b64 s[6:7], 0
.LBB273_1081:
	s_andn2_b64 vcc, exec, s[6:7]
	s_cbranch_vccnz .LBB273_1083
; %bb.1082:
	v_lshlrev_b32_e32 v0, 16, v4
	v_cvt_i32_f32_e32 v0, v0
	global_store_short v[2:3], v0, off
.LBB273_1083:
	s_mov_b64 s[6:7], 0
.LBB273_1084:
	s_andn2_b64 vcc, exec, s[6:7]
	s_cbranch_vccnz .LBB273_1089
; %bb.1085:
	s_sext_i32_i16 s6, s16
	s_cmp_gt_i32 s6, 0
	s_mov_b64 s[6:7], -1
	s_cbranch_scc0 .LBB273_1087
; %bb.1086:
	v_lshlrev_b32_e32 v0, 16, v4
	v_cvt_i32_f32_e32 v0, v0
	s_mov_b64 s[6:7], 0
	global_store_byte v[2:3], v0, off
.LBB273_1087:
	s_andn2_b64 vcc, exec, s[6:7]
	s_cbranch_vccnz .LBB273_1089
; %bb.1088:
	v_lshlrev_b32_e32 v0, 16, v4
	v_trunc_f32_e32 v0, v0
	s_mov_b32 s6, 0x2f800000
	s_waitcnt vmcnt(0)
	v_mul_f32_e64 v1, |v0|, s6
	v_floor_f32_e32 v1, v1
	s_mov_b32 s6, 0xcf800000
	v_fma_f32 v1, v1, s6, |v0|
	v_cvt_u32_f32_e32 v1, v1
	v_ashrrev_i32_e32 v0, 31, v0
	v_xor_b32_e32 v1, v1, v0
	v_sub_u32_e32 v0, v1, v0
	global_store_byte v[2:3], v0, off
.LBB273_1089:
	s_or_b64 exec, exec, s[2:3]
	s_waitcnt lgkmcnt(0)
	s_and_b64 s[24:25], s[4:5], exec
                                        ; implicit-def: $vgpr16
                                        ; implicit-def: $vgpr8
.LBB273_1090:
	s_or_saveexec_b64 s[26:27], s[44:45]
	s_mov_b64 s[6:7], 0
                                        ; implicit-def: $vgpr0_vgpr1
                                        ; implicit-def: $sgpr14
                                        ; implicit-def: $vgpr2
	s_xor_b64 exec, exec, s[26:27]
	s_cbranch_execz .LBB273_2093
; %bb.1091:
	v_cndmask_b32_e64 v0, 0, 1, s[42:43]
	v_cmp_ne_u32_e64 s[2:3], 1, v0
	s_andn2_b64 vcc, exec, s[42:43]
	s_cbranch_vccnz .LBB273_1097
; %bb.1092:
	s_cmp_lg_u32 s33, 0
	s_mov_b32 s36, 0
	s_cbranch_scc0 .LBB273_1098
; %bb.1093:
	s_min_u32 s37, s72, 15
	s_add_i32 s37, s37, 1
	s_cmp_eq_u32 s72, 2
	s_cbranch_scc1 .LBB273_1099
; %bb.1094:
	s_and_b32 s36, s37, 28
	s_add_u32 s28, s34, 0xc4
	s_addc_u32 s29, s35, 0
	s_mov_b32 s38, 0
	v_mov_b32_e32 v6, 0
	v_mov_b32_e32 v14, 0
	s_mov_b64 s[30:31], s[34:35]
	v_mov_b32_e32 v0, v8
.LBB273_1095:                           ; =>This Inner Loop Header: Depth=1
	s_load_dwordx8 s[12:19], s[30:31], 0x4
	s_load_dwordx4 s[20:23], s[30:31], 0x24
	s_load_dwordx8 s[4:11], s[28:29], 0x0
	s_add_u32 s30, s30, 48
	s_addc_u32 s31, s31, 0
	s_waitcnt vmcnt(0) lgkmcnt(0)
	v_mul_hi_u32 v1, s13, v0
	v_add_u32_e32 v1, v0, v1
	v_lshrrev_b32_e32 v1, s14, v1
	v_mul_lo_u32 v2, v1, s12
	v_mul_hi_u32 v3, s16, v1
	v_sub_u32_e32 v0, v0, v2
	v_add_u32_e32 v2, v1, v3
	v_lshrrev_b32_e32 v2, s17, v2
	v_mul_lo_u32 v4, v2, s15
	v_mul_hi_u32 v5, s19, v2
	v_sub_u32_e32 v1, v1, v4
	v_add_u32_e32 v4, v2, v5
	v_mul_lo_u32 v3, v0, s5
	v_mul_lo_u32 v0, v0, s4
	;; [unrolled: 1-line block ×4, first 2 shown]
	v_lshrrev_b32_e32 v4, s20, v4
	v_add3_u32 v1, v0, v6, v1
	v_add3_u32 v3, v3, v14, v5
	v_mul_lo_u32 v0, v4, s18
	v_mul_hi_u32 v5, s22, v4
	v_sub_u32_e32 v0, v2, v0
	v_add_u32_e32 v2, v4, v5
	v_mul_lo_u32 v5, v0, s8
	v_mul_lo_u32 v6, v0, s9
	v_lshrrev_b32_e32 v0, s23, v2
	s_add_i32 s38, s38, 4
	v_mul_lo_u32 v2, v0, s21
	s_add_u32 s28, s28, 32
	v_sub_u32_e32 v2, v4, v2
	s_addc_u32 s29, s29, 0
	v_mul_lo_u32 v4, v2, s10
	v_mul_lo_u32 v2, v2, s11
	s_cmp_lg_u32 s36, s38
	v_add3_u32 v14, v6, v3, v2
	v_add3_u32 v6, v5, v1, v4
	s_cbranch_scc1 .LBB273_1095
; %bb.1096:
	v_mov_b32_e32 v1, v14
	s_and_b32 s8, s37, 3
	s_cmp_eq_u32 s8, 0
	s_cbranch_scc0 .LBB273_1100
	s_branch .LBB273_1102
.LBB273_1097:
                                        ; implicit-def: $vgpr14
                                        ; implicit-def: $vgpr6
	s_branch .LBB273_1103
.LBB273_1098:
	v_mov_b32_e32 v14, 0
	v_mov_b32_e32 v6, 0
	s_branch .LBB273_1102
.LBB273_1099:
	v_mov_b32_e32 v6, 0
                                        ; implicit-def: $vgpr14
	s_waitcnt vmcnt(0)
	v_mov_b32_e32 v1, v6
	v_mov_b32_e32 v0, v8
	s_and_b32 s8, s37, 3
	s_cmp_eq_u32 s8, 0
	s_cbranch_scc1 .LBB273_1102
.LBB273_1100:
	s_lshl_b32 s4, s36, 3
	s_add_u32 s4, s34, s4
	s_addc_u32 s5, s35, 0
	s_add_u32 s4, s4, 0xc4
	s_addc_u32 s5, s5, 0
	s_mul_i32 s6, s36, 12
	s_add_u32 s6, s34, s6
	s_addc_u32 s7, s35, 0
.LBB273_1101:                           ; =>This Inner Loop Header: Depth=1
	s_load_dwordx2 s[10:11], s[6:7], 0x4
	s_load_dword s9, s[6:7], 0xc
	s_load_dwordx2 s[12:13], s[4:5], 0x0
	v_mov_b32_e32 v2, v1
	s_add_u32 s6, s6, 12
	s_waitcnt lgkmcnt(0)
	v_mul_hi_u32 v1, s11, v0
	v_add_u32_e32 v1, v0, v1
	v_lshrrev_b32_e32 v1, s9, v1
	s_addc_u32 s7, s7, 0
	v_mul_lo_u32 v3, v1, s10
	s_add_u32 s4, s4, 8
	v_sub_u32_e32 v3, v0, v3
	s_addc_u32 s5, s5, 0
	s_add_i32 s8, s8, -1
	v_mad_u64_u32 v[14:15], s[10:11], v3, s13, v[2:3]
	s_cmp_lg_u32 s8, 0
	v_mov_b32_e32 v0, v1
	v_mad_u64_u32 v[6:7], s[10:11], v3, s12, v[6:7]
	v_mov_b32_e32 v1, v14
	s_cbranch_scc1 .LBB273_1101
.LBB273_1102:
	s_cbranch_execnz .LBB273_1105
.LBB273_1103:
	s_load_dwordx4 s[4:7], s[34:35], 0x4
	s_load_dwordx2 s[8:9], s[34:35], 0xc4
	s_cmp_lt_u32 s33, 2
	s_waitcnt lgkmcnt(0)
	v_mul_hi_u32 v0, s5, v8
	v_add_u32_e32 v0, v8, v0
	v_lshrrev_b32_e32 v0, s6, v0
	s_waitcnt vmcnt(0)
	v_mul_lo_u32 v1, v0, s4
	v_sub_u32_e32 v1, v8, v1
	v_mul_lo_u32 v14, v1, s9
	v_mul_lo_u32 v6, v1, s8
	s_cbranch_scc1 .LBB273_1105
; %bb.1104:
	s_load_dwordx4 s[4:7], s[34:35], 0x10
	s_load_dwordx2 s[8:9], s[34:35], 0xcc
	s_waitcnt lgkmcnt(0)
	v_mul_hi_u32 v1, s5, v0
	v_add_u32_e32 v1, v0, v1
	v_lshrrev_b32_e32 v1, s6, v1
	v_mul_lo_u32 v1, v1, s4
	v_sub_u32_e32 v0, v0, v1
	v_mad_u64_u32 v[6:7], s[4:5], v0, s8, v[6:7]
	v_mad_u64_u32 v[14:15], s[4:5], v0, s9, v[14:15]
.LBB273_1105:
	s_and_b64 vcc, exec, s[2:3]
	v_add_u32_e32 v0, 0x80, v8
	s_cbranch_vccnz .LBB273_1111
; %bb.1106:
	s_cmp_lg_u32 s33, 0
	s_mov_b32 s36, 0
	s_cbranch_scc0 .LBB273_1112
; %bb.1107:
	s_min_u32 s37, s72, 15
	s_add_i32 s37, s37, 1
	s_cmp_eq_u32 s72, 2
	s_cbranch_scc1 .LBB273_1113
; %bb.1108:
	s_and_b32 s36, s37, 28
	s_add_u32 s28, s34, 0xc4
	s_addc_u32 s29, s35, 0
	s_mov_b32 s38, 0
	v_mov_b32_e32 v4, 0
	v_mov_b32_e32 v12, 0
	s_mov_b64 s[30:31], s[34:35]
	v_mov_b32_e32 v2, v0
.LBB273_1109:                           ; =>This Inner Loop Header: Depth=1
	s_load_dwordx8 s[12:19], s[30:31], 0x4
	s_load_dwordx4 s[20:23], s[30:31], 0x24
	s_load_dwordx8 s[4:11], s[28:29], 0x0
	s_add_u32 s30, s30, 48
	s_addc_u32 s31, s31, 0
	s_waitcnt vmcnt(0) lgkmcnt(0)
	v_mul_hi_u32 v1, s13, v2
	v_add_u32_e32 v1, v2, v1
	v_lshrrev_b32_e32 v1, s14, v1
	v_mul_lo_u32 v3, v1, s12
	v_mul_hi_u32 v5, s16, v1
	v_sub_u32_e32 v2, v2, v3
	v_add_u32_e32 v3, v1, v5
	v_lshrrev_b32_e32 v3, s17, v3
	v_mul_lo_u32 v7, v3, s15
	v_mul_hi_u32 v9, s19, v3
	v_sub_u32_e32 v1, v1, v7
	v_add_u32_e32 v7, v3, v9
	v_mul_lo_u32 v5, v2, s5
	v_mul_lo_u32 v2, v2, s4
	;; [unrolled: 1-line block ×4, first 2 shown]
	v_lshrrev_b32_e32 v7, s20, v7
	v_add3_u32 v1, v2, v4, v1
	v_add3_u32 v4, v5, v12, v9
	v_mul_lo_u32 v2, v7, s18
	v_mul_hi_u32 v5, s22, v7
	v_sub_u32_e32 v2, v3, v2
	v_add_u32_e32 v3, v7, v5
	v_mul_lo_u32 v5, v2, s8
	v_mul_lo_u32 v9, v2, s9
	v_lshrrev_b32_e32 v2, s23, v3
	s_add_i32 s38, s38, 4
	v_mul_lo_u32 v3, v2, s21
	s_add_u32 s28, s28, 32
	v_sub_u32_e32 v3, v7, v3
	s_addc_u32 s29, s29, 0
	v_mul_lo_u32 v7, v3, s10
	v_mul_lo_u32 v3, v3, s11
	s_cmp_lg_u32 s36, s38
	v_add3_u32 v12, v9, v4, v3
	v_add3_u32 v4, v5, v1, v7
	s_cbranch_scc1 .LBB273_1109
; %bb.1110:
	v_mov_b32_e32 v1, v12
	s_and_b32 s8, s37, 3
	s_cmp_eq_u32 s8, 0
	s_cbranch_scc0 .LBB273_1114
	s_branch .LBB273_1116
.LBB273_1111:
                                        ; implicit-def: $vgpr12
                                        ; implicit-def: $vgpr4
	s_branch .LBB273_1117
.LBB273_1112:
	v_mov_b32_e32 v12, 0
	v_mov_b32_e32 v4, 0
	s_branch .LBB273_1116
.LBB273_1113:
	v_mov_b32_e32 v4, 0
                                        ; implicit-def: $vgpr12
	s_waitcnt vmcnt(0)
	v_mov_b32_e32 v1, v4
	v_mov_b32_e32 v2, v0
	s_and_b32 s8, s37, 3
	s_cmp_eq_u32 s8, 0
	s_cbranch_scc1 .LBB273_1116
.LBB273_1114:
	s_lshl_b32 s4, s36, 3
	s_add_u32 s4, s34, s4
	s_addc_u32 s5, s35, 0
	s_add_u32 s4, s4, 0xc4
	s_addc_u32 s5, s5, 0
	s_mul_i32 s6, s36, 12
	s_add_u32 s6, s34, s6
	s_addc_u32 s7, s35, 0
.LBB273_1115:                           ; =>This Inner Loop Header: Depth=1
	s_load_dwordx2 s[10:11], s[6:7], 0x4
	s_load_dword s9, s[6:7], 0xc
	s_load_dwordx2 s[12:13], s[4:5], 0x0
	v_mov_b32_e32 v10, v1
	s_add_u32 s6, s6, 12
	s_waitcnt lgkmcnt(0)
	v_mul_hi_u32 v1, s11, v2
	v_add_u32_e32 v1, v2, v1
	v_lshrrev_b32_e32 v1, s9, v1
	s_addc_u32 s7, s7, 0
	v_mul_lo_u32 v3, v1, s10
	s_add_u32 s4, s4, 8
	v_sub_u32_e32 v3, v2, v3
	s_addc_u32 s5, s5, 0
	s_add_i32 s8, s8, -1
	v_mad_u64_u32 v[12:13], s[10:11], v3, s13, v[10:11]
	s_cmp_lg_u32 s8, 0
	v_mov_b32_e32 v2, v1
	v_mad_u64_u32 v[4:5], s[10:11], v3, s12, v[4:5]
	v_mov_b32_e32 v1, v12
	s_cbranch_scc1 .LBB273_1115
.LBB273_1116:
	s_cbranch_execnz .LBB273_1119
.LBB273_1117:
	s_load_dwordx4 s[4:7], s[34:35], 0x4
	s_load_dwordx2 s[8:9], s[34:35], 0xc4
	s_cmp_lt_u32 s33, 2
	s_waitcnt vmcnt(0) lgkmcnt(0)
	v_mul_hi_u32 v1, s5, v0
	v_add_u32_e32 v1, v0, v1
	v_lshrrev_b32_e32 v1, s6, v1
	v_mul_lo_u32 v2, v1, s4
	v_sub_u32_e32 v0, v0, v2
	v_mul_lo_u32 v12, v0, s9
	v_mul_lo_u32 v4, v0, s8
	s_cbranch_scc1 .LBB273_1119
; %bb.1118:
	s_load_dwordx4 s[4:7], s[34:35], 0x10
	s_load_dwordx2 s[8:9], s[34:35], 0xcc
	s_waitcnt lgkmcnt(0)
	v_mul_hi_u32 v0, s5, v1
	v_add_u32_e32 v0, v1, v0
	v_lshrrev_b32_e32 v0, s6, v0
	v_mul_lo_u32 v0, v0, s4
	v_sub_u32_e32 v0, v1, v0
	v_mad_u64_u32 v[4:5], s[4:5], v0, s8, v[4:5]
	v_mad_u64_u32 v[12:13], s[4:5], v0, s9, v[12:13]
.LBB273_1119:
	s_and_b64 vcc, exec, s[2:3]
	v_add_u32_e32 v0, 0x100, v8
	s_cbranch_vccnz .LBB273_1125
; %bb.1120:
	s_cmp_lg_u32 s33, 0
	s_mov_b32 s36, 0
	s_cbranch_scc0 .LBB273_1126
; %bb.1121:
	s_min_u32 s37, s72, 15
	s_add_i32 s37, s37, 1
	s_cmp_eq_u32 s72, 2
	s_cbranch_scc1 .LBB273_1127
; %bb.1122:
	s_and_b32 s36, s37, 28
	s_add_u32 s28, s34, 0xc4
	s_addc_u32 s29, s35, 0
	s_mov_b32 s38, 0
	v_mov_b32_e32 v2, 0
	v_mov_b32_e32 v10, 0
	s_mov_b64 s[30:31], s[34:35]
	v_mov_b32_e32 v5, v0
.LBB273_1123:                           ; =>This Inner Loop Header: Depth=1
	s_load_dwordx8 s[12:19], s[30:31], 0x4
	s_load_dwordx4 s[20:23], s[30:31], 0x24
	s_load_dwordx8 s[4:11], s[28:29], 0x0
	s_add_u32 s30, s30, 48
	s_addc_u32 s31, s31, 0
	s_waitcnt vmcnt(0) lgkmcnt(0)
	v_mul_hi_u32 v1, s13, v5
	v_add_u32_e32 v1, v5, v1
	v_lshrrev_b32_e32 v1, s14, v1
	v_mul_lo_u32 v3, v1, s12
	v_mul_hi_u32 v7, s16, v1
	v_sub_u32_e32 v3, v5, v3
	v_add_u32_e32 v5, v1, v7
	v_lshrrev_b32_e32 v5, s17, v5
	v_mul_lo_u32 v8, v5, s15
	v_mul_hi_u32 v9, s19, v5
	v_sub_u32_e32 v1, v1, v8
	v_add_u32_e32 v8, v5, v9
	v_mul_lo_u32 v7, v3, s5
	v_mul_lo_u32 v3, v3, s4
	;; [unrolled: 1-line block ×4, first 2 shown]
	v_lshrrev_b32_e32 v8, s20, v8
	v_add3_u32 v1, v3, v2, v1
	v_add3_u32 v2, v7, v10, v9
	v_mul_lo_u32 v3, v8, s18
	v_mul_hi_u32 v7, s22, v8
	v_sub_u32_e32 v3, v5, v3
	v_add_u32_e32 v5, v8, v7
	v_lshrrev_b32_e32 v5, s23, v5
	s_add_i32 s38, s38, 4
	v_mul_lo_u32 v9, v5, s21
	s_add_u32 s28, s28, 32
	v_sub_u32_e32 v8, v8, v9
	s_addc_u32 s29, s29, 0
	v_mul_lo_u32 v7, v3, s8
	v_mul_lo_u32 v3, v3, s9
	;; [unrolled: 1-line block ×4, first 2 shown]
	s_cmp_lg_u32 s36, s38
	v_add3_u32 v10, v3, v2, v8
	v_add3_u32 v2, v7, v1, v9
	s_cbranch_scc1 .LBB273_1123
; %bb.1124:
	v_mov_b32_e32 v1, v10
	s_and_b32 s8, s37, 3
	s_cmp_eq_u32 s8, 0
	s_cbranch_scc0 .LBB273_1128
	s_branch .LBB273_1130
.LBB273_1125:
                                        ; implicit-def: $vgpr10
                                        ; implicit-def: $vgpr2
	s_branch .LBB273_1131
.LBB273_1126:
	v_mov_b32_e32 v10, 0
	v_mov_b32_e32 v2, 0
	s_branch .LBB273_1130
.LBB273_1127:
	v_mov_b32_e32 v2, 0
                                        ; implicit-def: $vgpr10
	s_waitcnt vmcnt(0)
	v_mov_b32_e32 v1, v2
	v_mov_b32_e32 v5, v0
	s_and_b32 s8, s37, 3
	s_cmp_eq_u32 s8, 0
	s_cbranch_scc1 .LBB273_1130
.LBB273_1128:
	s_lshl_b32 s4, s36, 3
	s_add_u32 s4, s34, s4
	s_addc_u32 s5, s35, 0
	s_add_u32 s4, s4, 0xc4
	s_addc_u32 s5, s5, 0
	s_mul_i32 s6, s36, 12
	s_add_u32 s6, s34, s6
	s_addc_u32 s7, s35, 0
.LBB273_1129:                           ; =>This Inner Loop Header: Depth=1
	s_load_dwordx2 s[10:11], s[6:7], 0x4
	s_load_dword s9, s[6:7], 0xc
	s_load_dwordx2 s[12:13], s[4:5], 0x0
	v_mov_b32_e32 v8, v1
	s_add_u32 s6, s6, 12
	s_waitcnt lgkmcnt(0)
	v_mul_hi_u32 v1, s11, v5
	v_add_u32_e32 v1, v5, v1
	v_lshrrev_b32_e32 v1, s9, v1
	s_addc_u32 s7, s7, 0
	v_mul_lo_u32 v3, v1, s10
	s_add_u32 s4, s4, 8
	v_sub_u32_e32 v3, v5, v3
	s_addc_u32 s5, s5, 0
	s_add_i32 s8, s8, -1
	v_mad_u64_u32 v[10:11], s[10:11], v3, s13, v[8:9]
	s_cmp_lg_u32 s8, 0
	v_mov_b32_e32 v5, v1
	v_mad_u64_u32 v[2:3], s[10:11], v3, s12, v[2:3]
	v_mov_b32_e32 v1, v10
	s_cbranch_scc1 .LBB273_1129
.LBB273_1130:
	s_cbranch_execnz .LBB273_1133
.LBB273_1131:
	s_load_dwordx4 s[4:7], s[34:35], 0x4
	s_load_dwordx2 s[8:9], s[34:35], 0xc4
	s_cmp_lt_u32 s33, 2
	s_waitcnt vmcnt(0) lgkmcnt(0)
	v_mul_hi_u32 v1, s5, v0
	v_add_u32_e32 v1, v0, v1
	v_lshrrev_b32_e32 v1, s6, v1
	v_mul_lo_u32 v2, v1, s4
	v_sub_u32_e32 v0, v0, v2
	v_mul_lo_u32 v10, v0, s9
	v_mul_lo_u32 v2, v0, s8
	s_cbranch_scc1 .LBB273_1133
; %bb.1132:
	s_load_dwordx4 s[4:7], s[34:35], 0x10
	s_load_dwordx2 s[8:9], s[34:35], 0xcc
	s_waitcnt lgkmcnt(0)
	v_mul_hi_u32 v0, s5, v1
	v_add_u32_e32 v0, v1, v0
	v_lshrrev_b32_e32 v0, s6, v0
	v_mul_lo_u32 v0, v0, s4
	v_sub_u32_e32 v0, v1, v0
	v_mad_u64_u32 v[2:3], s[4:5], v0, s8, v[2:3]
	v_mad_u64_u32 v[10:11], s[4:5], v0, s9, v[10:11]
.LBB273_1133:
	s_and_b64 vcc, exec, s[2:3]
	s_cbranch_vccnz .LBB273_1139
; %bb.1134:
	s_cmp_lg_u32 s33, 0
	s_mov_b32 s30, 0
	s_cbranch_scc0 .LBB273_1140
; %bb.1135:
	s_min_u32 s31, s72, 15
	s_add_i32 s31, s31, 1
	s_cmp_eq_u32 s72, 2
	s_cbranch_scc1 .LBB273_1141
; %bb.1136:
	s_and_b32 s30, s31, 28
	s_add_u32 s2, s34, 0xc4
	s_addc_u32 s3, s35, 0
	s_mov_b32 s36, 0
	v_mov_b32_e32 v0, 0
	v_mov_b32_e32 v8, 0
	s_mov_b64 s[28:29], s[34:35]
	v_mov_b32_e32 v3, v16
.LBB273_1137:                           ; =>This Inner Loop Header: Depth=1
	s_load_dwordx8 s[12:19], s[28:29], 0x4
	s_load_dwordx4 s[20:23], s[28:29], 0x24
	s_load_dwordx8 s[4:11], s[2:3], 0x0
	s_add_u32 s28, s28, 48
	s_addc_u32 s29, s29, 0
	s_waitcnt vmcnt(0) lgkmcnt(0)
	v_mul_hi_u32 v1, s13, v3
	v_add_u32_e32 v1, v3, v1
	v_lshrrev_b32_e32 v1, s14, v1
	v_mul_lo_u32 v5, v1, s12
	v_mul_hi_u32 v7, s16, v1
	v_sub_u32_e32 v3, v3, v5
	v_add_u32_e32 v5, v1, v7
	v_lshrrev_b32_e32 v5, s17, v5
	v_mul_lo_u32 v9, v5, s15
	v_mul_hi_u32 v11, s19, v5
	v_sub_u32_e32 v1, v1, v9
	v_add_u32_e32 v9, v5, v11
	v_mul_lo_u32 v7, v3, s5
	v_mul_lo_u32 v3, v3, s4
	;; [unrolled: 1-line block ×4, first 2 shown]
	v_lshrrev_b32_e32 v9, s20, v9
	v_add3_u32 v0, v3, v0, v1
	v_add3_u32 v1, v7, v8, v11
	v_mul_lo_u32 v3, v9, s18
	v_mul_hi_u32 v7, s22, v9
	v_sub_u32_e32 v3, v5, v3
	v_add_u32_e32 v5, v9, v7
	v_mul_lo_u32 v7, v3, s8
	v_mul_lo_u32 v8, v3, s9
	v_lshrrev_b32_e32 v3, s23, v5
	s_add_i32 s36, s36, 4
	v_mul_lo_u32 v5, v3, s21
	s_add_u32 s2, s2, 32
	v_sub_u32_e32 v5, v9, v5
	s_addc_u32 s3, s3, 0
	v_mul_lo_u32 v9, v5, s10
	v_mul_lo_u32 v5, v5, s11
	s_cmp_lg_u32 s30, s36
	v_add3_u32 v8, v8, v1, v5
	v_add3_u32 v0, v7, v0, v9
	s_cbranch_scc1 .LBB273_1137
; %bb.1138:
	v_mov_b32_e32 v1, v8
	s_and_b32 s6, s31, 3
	s_cmp_eq_u32 s6, 0
	s_cbranch_scc0 .LBB273_1142
	s_branch .LBB273_1144
.LBB273_1139:
                                        ; implicit-def: $vgpr8
                                        ; implicit-def: $vgpr0
	s_branch .LBB273_1145
.LBB273_1140:
	v_mov_b32_e32 v8, 0
	v_mov_b32_e32 v0, 0
	s_branch .LBB273_1144
.LBB273_1141:
	v_mov_b32_e32 v0, 0
                                        ; implicit-def: $vgpr8
	s_waitcnt vmcnt(0)
	v_mov_b32_e32 v1, v0
	v_mov_b32_e32 v3, v16
	s_and_b32 s6, s31, 3
	s_cmp_eq_u32 s6, 0
	s_cbranch_scc1 .LBB273_1144
.LBB273_1142:
	s_lshl_b32 s2, s30, 3
	s_add_u32 s2, s34, s2
	s_addc_u32 s3, s35, 0
	s_add_u32 s2, s2, 0xc4
	s_addc_u32 s3, s3, 0
	s_mul_i32 s4, s30, 12
	s_add_u32 s4, s34, s4
	s_addc_u32 s5, s35, 0
.LBB273_1143:                           ; =>This Inner Loop Header: Depth=1
	s_load_dwordx2 s[8:9], s[4:5], 0x4
	s_load_dword s7, s[4:5], 0xc
	s_load_dwordx2 s[10:11], s[2:3], 0x0
	v_mov_b32_e32 v8, v1
	s_add_u32 s4, s4, 12
	s_waitcnt lgkmcnt(0)
	v_mul_hi_u32 v1, s9, v3
	v_add_u32_e32 v1, v3, v1
	v_lshrrev_b32_e32 v1, s7, v1
	s_addc_u32 s5, s5, 0
	v_mul_lo_u32 v5, v1, s8
	s_add_u32 s2, s2, 8
	v_sub_u32_e32 v5, v3, v5
	s_addc_u32 s3, s3, 0
	s_add_i32 s6, s6, -1
	v_mov_b32_e32 v3, v1
	v_mad_u64_u32 v[8:9], s[8:9], v5, s11, v[8:9]
	v_mad_u64_u32 v[0:1], s[8:9], v5, s10, v[0:1]
	s_cmp_lg_u32 s6, 0
	v_mov_b32_e32 v1, v8
	s_cbranch_scc1 .LBB273_1143
.LBB273_1144:
	s_cbranch_execnz .LBB273_1147
.LBB273_1145:
	s_load_dwordx4 s[4:7], s[34:35], 0x4
	s_load_dwordx2 s[2:3], s[34:35], 0xc4
	s_cmp_lt_u32 s33, 2
	s_waitcnt lgkmcnt(0)
	v_mul_hi_u32 v0, s5, v16
	v_add_u32_e32 v0, v16, v0
	s_waitcnt vmcnt(0)
	v_lshrrev_b32_e32 v1, s6, v0
	v_mul_lo_u32 v0, v1, s4
	v_sub_u32_e32 v0, v16, v0
	v_mul_lo_u32 v8, v0, s3
	v_mul_lo_u32 v0, v0, s2
	s_cbranch_scc1 .LBB273_1147
; %bb.1146:
	s_load_dwordx4 s[4:7], s[34:35], 0x10
	s_load_dwordx2 s[2:3], s[34:35], 0xcc
	s_waitcnt lgkmcnt(0)
	v_mul_hi_u32 v3, s5, v1
	v_add_u32_e32 v3, v1, v3
	v_lshrrev_b32_e32 v3, s6, v3
	v_mul_lo_u32 v3, v3, s4
	v_sub_u32_e32 v3, v1, v3
	v_mad_u64_u32 v[0:1], s[4:5], v3, s2, v[0:1]
	v_mad_u64_u32 v[8:9], s[2:3], v3, s3, v[8:9]
.LBB273_1147:
	s_load_dword s16, s[0:1], 0x160
	s_load_dwordx4 s[4:7], s[34:35], 0x148
	v_mov_b32_e32 v15, 0
	s_waitcnt lgkmcnt(0)
	s_bfe_u32 s14, s16, 0x80010
	s_cmp_lt_i32 s14, 11
	v_lshl_add_u64 v[14:15], s[6:7], 0, v[14:15]
	s_cbranch_scc1 .LBB273_1154
; %bb.1148:
	s_and_b32 s15, 0xffff, s14
	s_cmp_gt_i32 s15, 25
	s_mov_b64 s[8:9], 0
	s_cbranch_scc0 .LBB273_1156
; %bb.1149:
	s_cmp_gt_i32 s15, 28
	s_cbranch_scc0 .LBB273_1157
; %bb.1150:
	s_cmp_gt_i32 s15, 43
	;; [unrolled: 3-line block ×3, first 2 shown]
	s_cbranch_scc0 .LBB273_1159
; %bb.1152:
	s_cmp_eq_u32 s15, 46
	s_mov_b64 s[2:3], 0
	s_cbranch_scc0 .LBB273_1162
; %bb.1153:
	global_load_dword v1, v[14:15], off
	s_mov_b64 s[0:1], 0
	s_mov_b64 s[10:11], -1
	s_branch .LBB273_1163
.LBB273_1154:
	s_mov_b64 s[10:11], 0
                                        ; implicit-def: $vgpr1
	s_mov_b64 s[2:3], s[24:25]
	s_cbranch_execnz .LBB273_1225
.LBB273_1155:
	s_andn2_b64 vcc, exec, s[10:11]
	s_cbranch_vccz .LBB273_1270
	s_branch .LBB273_2091
.LBB273_1156:
	s_mov_b64 s[10:11], 0
	s_mov_b64 s[0:1], 0
                                        ; implicit-def: $vgpr1
	s_cbranch_execnz .LBB273_1190
	s_branch .LBB273_1221
.LBB273_1157:
	s_mov_b64 s[10:11], 0
	s_mov_b64 s[0:1], 0
                                        ; implicit-def: $vgpr1
	s_cbranch_execz .LBB273_1189
	s_branch .LBB273_1172
.LBB273_1158:
	s_mov_b64 s[10:11], 0
	s_mov_b64 s[0:1], 0
                                        ; implicit-def: $vgpr1
	s_cbranch_execnz .LBB273_1168
	s_branch .LBB273_1171
.LBB273_1159:
	s_mov_b64 s[2:3], -1
	s_mov_b64 s[10:11], 0
	s_mov_b64 s[0:1], 0
                                        ; implicit-def: $vgpr1
	s_branch .LBB273_1163
.LBB273_1160:
	s_andn2_saveexec_b64 s[12:13], s[12:13]
	s_cbranch_execz .LBB273_1003
.LBB273_1161:
	s_mov_b32 s14, 0x46000000
	v_add_f32_e64 v1, |v5|, s14
	v_and_b32_e32 v1, 0xff, v1
	v_cmp_ne_u32_e32 vcc, 0, v1
	s_andn2_b64 s[10:11], s[10:11], exec
	s_and_b64 s[14:15], vcc, exec
	s_or_b64 s[10:11], s[10:11], s[14:15]
	s_or_b64 exec, exec, s[12:13]
	v_mov_b32_e32 v6, 0
	s_and_saveexec_b64 s[12:13], s[10:11]
	s_cbranch_execnz .LBB273_1004
	s_branch .LBB273_1005
.LBB273_1162:
	s_mov_b64 s[0:1], -1
                                        ; implicit-def: $vgpr1
	s_mov_b64 s[10:11], 0
.LBB273_1163:
	s_and_b64 vcc, exec, s[2:3]
	s_cbranch_vccz .LBB273_1166
; %bb.1164:
	s_cmp_eq_u32 s15, 44
	s_cbranch_scc0 .LBB273_1167
; %bb.1165:
	global_load_ubyte v1, v[14:15], off
	s_movk_i32 s2, 0xff
	v_mov_b32_e32 v3, 0x7f800001
	v_mov_b32_e32 v5, 0x400000
	v_mov_b32_e32 v7, 0x7fc0
	s_mov_b64 s[0:1], 0
	s_mov_b64 s[10:11], -1
	s_waitcnt vmcnt(0)
	v_lshlrev_b32_e32 v9, 23, v1
	v_cmp_ne_u32_e32 vcc, s2, v1
	s_nop 1
	v_cndmask_b32_e32 v3, v3, v9, vcc
	v_cmp_ne_u32_e32 vcc, 0, v1
	s_nop 1
	v_cndmask_b32_e32 v1, v5, v3, vcc
	v_add_u32_e32 v3, 0x7fff, v1
	v_cmp_o_f32_e32 vcc, v1, v1
	s_nop 1
	v_cndmask_b32_sdwa v1, v7, v3, vcc dst_sel:DWORD dst_unused:UNUSED_PAD src0_sel:DWORD src1_sel:WORD_1
.LBB273_1166:
	s_branch .LBB273_1171
.LBB273_1167:
	s_mov_b64 s[0:1], -1
                                        ; implicit-def: $vgpr1
	s_branch .LBB273_1171
.LBB273_1168:
	s_cmp_eq_u32 s15, 29
	s_cbranch_scc0 .LBB273_1170
; %bb.1169:
	global_load_dwordx2 v[16:17], v[14:15], off
	s_movk_i32 s2, 0x7fff
	s_mov_b64 s[0:1], 0
	s_mov_b64 s[10:11], -1
	s_waitcnt vmcnt(0)
	v_ffbh_u32_e32 v1, v17
	v_min_u32_e32 v1, 32, v1
	v_lshlrev_b64 v[16:17], v1, v[16:17]
	v_min_u32_e32 v3, 1, v16
	v_or_b32_e32 v3, v17, v3
	v_cvt_f32_u32_e32 v3, v3
	v_sub_u32_e32 v1, 32, v1
	v_ldexp_f32 v1, v3, v1
	v_bfe_u32 v3, v1, 16, 1
	v_add3_u32 v1, v1, v3, s2
	v_lshrrev_b32_e32 v1, 16, v1
	s_branch .LBB273_1171
.LBB273_1170:
	s_mov_b64 s[0:1], -1
                                        ; implicit-def: $vgpr1
.LBB273_1171:
	s_branch .LBB273_1189
.LBB273_1172:
	s_cmp_lt_i32 s15, 27
	s_cbranch_scc1 .LBB273_1175
; %bb.1173:
	s_cmp_gt_i32 s15, 27
	s_cbranch_scc0 .LBB273_1176
; %bb.1174:
	global_load_dword v1, v[14:15], off
	s_movk_i32 s2, 0x7fff
	s_waitcnt vmcnt(0)
	v_cvt_f32_u32_e32 v1, v1
	v_bfe_u32 v3, v1, 16, 1
	v_add3_u32 v1, v1, v3, s2
	v_lshrrev_b32_e32 v1, 16, v1
	s_mov_b64 s[2:3], 0
	s_branch .LBB273_1177
.LBB273_1175:
	s_mov_b64 s[2:3], -1
                                        ; implicit-def: $vgpr1
	s_branch .LBB273_1180
.LBB273_1176:
	s_mov_b64 s[2:3], -1
                                        ; implicit-def: $vgpr1
.LBB273_1177:
	s_andn2_b64 vcc, exec, s[2:3]
	s_cbranch_vccnz .LBB273_1179
; %bb.1178:
	global_load_ushort v1, v[14:15], off
	s_movk_i32 s2, 0x7fff
	s_waitcnt vmcnt(0)
	v_cvt_f32_u32_e32 v1, v1
	v_bfe_u32 v3, v1, 16, 1
	v_add3_u32 v1, v1, v3, s2
	v_lshrrev_b32_e32 v1, 16, v1
.LBB273_1179:
	s_mov_b64 s[2:3], 0
.LBB273_1180:
	s_andn2_b64 vcc, exec, s[2:3]
	s_cbranch_vccnz .LBB273_1188
; %bb.1181:
	global_load_ubyte v1, v[14:15], off
	s_movk_i32 s2, 0x7f
	s_waitcnt vmcnt(0)
	v_cmp_lt_i16_e32 vcc, s2, v1
	s_mov_b64 s[2:3], 0
	s_and_saveexec_b64 s[10:11], vcc
	s_xor_b64 s[10:11], exec, s[10:11]
	s_cbranch_execz .LBB273_1201
; %bb.1182:
	s_movk_i32 s2, 0x80
	v_cmp_eq_u16_e32 vcc, s2, v1
	s_mov_b64 s[2:3], -1
	s_and_saveexec_b64 s[12:13], vcc
; %bb.1183:
	s_xor_b64 s[2:3], exec, -1
; %bb.1184:
	s_or_b64 exec, exec, s[12:13]
	s_and_b64 s[2:3], s[2:3], exec
	s_or_saveexec_b64 s[10:11], s[10:11]
	v_mov_b32_e32 v3, 0x7f800001
	s_xor_b64 exec, exec, s[10:11]
	s_cbranch_execnz .LBB273_1202
.LBB273_1185:
	s_or_b64 exec, exec, s[10:11]
	s_and_saveexec_b64 s[10:11], s[2:3]
	s_cbranch_execz .LBB273_1187
.LBB273_1186:
	v_lshlrev_b32_e32 v3, 24, v1
	v_and_b32_e32 v1, 0xffff, v1
	v_and_b32_e32 v5, 7, v1
	v_ffbh_u32_e32 v9, v5
	v_min_u32_e32 v9, 32, v9
	v_subrev_u32_e32 v11, 28, v9
	v_bfe_u32 v7, v1, 3, 4
	v_lshlrev_b32_e32 v1, v11, v1
	v_sub_u32_e32 v9, 29, v9
	v_and_b32_e32 v1, 7, v1
	v_cmp_eq_u32_e32 vcc, 0, v7
	v_and_b32_e32 v3, 0x80000000, v3
	s_nop 0
	v_cndmask_b32_e32 v7, v7, v9, vcc
	v_cndmask_b32_e32 v1, v5, v1, vcc
	v_mov_b32_e32 v5, 0x3b800000
	v_lshlrev_b32_e32 v1, 20, v1
	v_lshl_add_u32 v5, v7, 23, v5
	v_or3_b32 v3, v3, v5, v1
.LBB273_1187:
	s_or_b64 exec, exec, s[10:11]
	v_bfe_u32 v1, v3, 16, 1
	s_movk_i32 s2, 0x7fff
	v_add3_u32 v1, v3, v1, s2
	v_cmp_o_f32_e32 vcc, v3, v3
	v_mov_b32_e32 v3, 0x7fc0
	s_nop 0
	v_cndmask_b32_sdwa v1, v3, v1, vcc dst_sel:DWORD dst_unused:UNUSED_PAD src0_sel:DWORD src1_sel:WORD_1
.LBB273_1188:
	s_mov_b64 s[10:11], -1
.LBB273_1189:
	s_branch .LBB273_1221
.LBB273_1190:
	s_cmp_gt_i32 s15, 22
	s_cbranch_scc0 .LBB273_1200
; %bb.1191:
	s_cmp_lt_i32 s15, 24
	s_cbranch_scc1 .LBB273_1203
; %bb.1192:
	s_cmp_gt_i32 s15, 24
	s_cbranch_scc0 .LBB273_1204
; %bb.1193:
	global_load_ubyte v1, v[14:15], off
	s_movk_i32 s2, 0x7f
	s_waitcnt vmcnt(0)
	v_cmp_lt_i16_e32 vcc, s2, v1
	s_mov_b64 s[2:3], 0
	s_and_saveexec_b64 s[8:9], vcc
	s_xor_b64 s[8:9], exec, s[8:9]
	s_cbranch_execz .LBB273_1215
; %bb.1194:
	s_movk_i32 s2, 0x80
	v_cmp_eq_u16_e32 vcc, s2, v1
	s_mov_b64 s[2:3], -1
	s_and_saveexec_b64 s[10:11], vcc
; %bb.1195:
	s_xor_b64 s[2:3], exec, -1
; %bb.1196:
	s_or_b64 exec, exec, s[10:11]
	s_and_b64 s[2:3], s[2:3], exec
	s_or_saveexec_b64 s[8:9], s[8:9]
	v_mov_b32_e32 v3, 0x7f800001
	s_xor_b64 exec, exec, s[8:9]
	s_cbranch_execnz .LBB273_1216
.LBB273_1197:
	s_or_b64 exec, exec, s[8:9]
	s_and_saveexec_b64 s[8:9], s[2:3]
	s_cbranch_execz .LBB273_1199
.LBB273_1198:
	v_lshlrev_b32_e32 v3, 24, v1
	v_and_b32_e32 v1, 0xffff, v1
	v_and_b32_e32 v5, 3, v1
	v_ffbh_u32_e32 v9, v5
	v_min_u32_e32 v9, 32, v9
	v_subrev_u32_e32 v11, 29, v9
	v_bfe_u32 v7, v1, 2, 5
	v_lshlrev_b32_e32 v1, v11, v1
	v_sub_u32_e32 v9, 30, v9
	v_and_b32_e32 v1, 3, v1
	v_cmp_eq_u32_e32 vcc, 0, v7
	v_and_b32_e32 v3, 0x80000000, v3
	s_nop 0
	v_cndmask_b32_e32 v7, v7, v9, vcc
	v_cndmask_b32_e32 v1, v5, v1, vcc
	v_mov_b32_e32 v5, 0x37800000
	v_lshlrev_b32_e32 v1, 21, v1
	v_lshl_add_u32 v5, v7, 23, v5
	v_or3_b32 v3, v3, v5, v1
.LBB273_1199:
	s_or_b64 exec, exec, s[8:9]
	v_bfe_u32 v1, v3, 16, 1
	s_movk_i32 s2, 0x7fff
	v_add3_u32 v1, v3, v1, s2
	v_cmp_o_f32_e32 vcc, v3, v3
	v_mov_b32_e32 v3, 0x7fc0
	s_mov_b64 s[2:3], 0
	v_cndmask_b32_sdwa v1, v3, v1, vcc dst_sel:DWORD dst_unused:UNUSED_PAD src0_sel:DWORD src1_sel:WORD_1
	s_branch .LBB273_1205
.LBB273_1200:
                                        ; implicit-def: $vgpr1
	s_mov_b64 s[8:9], 0
	s_branch .LBB273_1211
.LBB273_1201:
	s_or_saveexec_b64 s[10:11], s[10:11]
	v_mov_b32_e32 v3, 0x7f800001
	s_xor_b64 exec, exec, s[10:11]
	s_cbranch_execz .LBB273_1185
.LBB273_1202:
	v_cmp_ne_u16_e32 vcc, 0, v1
	s_andn2_b64 s[2:3], s[2:3], exec
	s_and_b64 s[12:13], vcc, exec
	v_mov_b32_e32 v3, 0
	s_or_b64 s[2:3], s[2:3], s[12:13]
	s_or_b64 exec, exec, s[10:11]
	s_and_saveexec_b64 s[10:11], s[2:3]
	s_cbranch_execnz .LBB273_1186
	s_branch .LBB273_1187
.LBB273_1203:
	s_mov_b64 s[2:3], -1
                                        ; implicit-def: $vgpr1
	s_branch .LBB273_1208
.LBB273_1204:
	s_mov_b64 s[2:3], -1
                                        ; implicit-def: $vgpr1
.LBB273_1205:
	s_and_b64 vcc, exec, s[2:3]
	s_cbranch_vccz .LBB273_1207
; %bb.1206:
	global_load_ubyte v1, v[14:15], off
	s_mov_b32 s2, 0x7f800000
	s_brev_b32 s3, 1
	s_movk_i32 s8, 0x7fff
	s_waitcnt vmcnt(0)
	v_lshlrev_b32_e32 v1, 24, v1
	v_and_b32_e32 v3, 0x7f000000, v1
	v_ffbh_u32_e32 v5, v3
	v_min_u32_e32 v5, 32, v5
	v_sub_u32_e64 v5, v5, 4 clamp
	v_lshlrev_b32_e32 v9, v5, v3
	v_lshlrev_b32_e32 v5, 23, v5
	v_lshrrev_b32_e32 v9, 4, v9
	v_add_u32_e32 v7, 0x1000000, v3
	v_sub_u32_e32 v5, v9, v5
	v_ashrrev_i32_e32 v7, 8, v7
	v_add_u32_e32 v5, 0x3c000000, v5
	v_and_or_b32 v5, v7, s2, v5
	v_cmp_ne_u32_e32 vcc, 0, v3
	s_nop 1
	v_cndmask_b32_e32 v3, 0, v5, vcc
	v_and_or_b32 v1, v1, s3, v3
	v_bfe_u32 v3, v3, 16, 1
	v_add3_u32 v3, v1, v3, s8
	v_cmp_o_f32_e32 vcc, v1, v1
	v_mov_b32_e32 v1, 0x7fc0
	s_nop 0
	v_cndmask_b32_sdwa v1, v1, v3, vcc dst_sel:DWORD dst_unused:UNUSED_PAD src0_sel:DWORD src1_sel:WORD_1
.LBB273_1207:
	s_mov_b64 s[2:3], 0
.LBB273_1208:
	s_andn2_b64 vcc, exec, s[2:3]
	s_cbranch_vccnz .LBB273_1210
; %bb.1209:
	global_load_ubyte v1, v[14:15], off
	s_movk_i32 s2, 0x7f00
	s_brev_b32 s3, 16
	s_brev_b32 s8, 1
	s_movk_i32 s9, 0x7fff
	s_waitcnt vmcnt(0)
	v_lshlrev_b16_e32 v3, 8, v1
	v_lshlrev_b32_e32 v1, 25, v1
	v_lshrrev_b32_e32 v5, 4, v1
	v_and_or_b32 v7, v3, s2, 0.5
	v_or_b32_e32 v5, 0x70000000, v5
	v_add_f32_e32 v7, -0.5, v7
	v_mul_f32_e32 v5, 0x7800000, v5
	v_cmp_gt_u32_e32 vcc, s3, v1
	v_bfe_i32 v3, v3, 0, 16
	s_nop 0
	v_cndmask_b32_e32 v1, v5, v7, vcc
	v_and_or_b32 v3, v3, s8, v1
	v_bfe_u32 v1, v1, 16, 1
	v_add3_u32 v1, v3, v1, s9
	v_cmp_o_f32_e32 vcc, v3, v3
	v_mov_b32_e32 v3, 0x7fc0
	s_nop 0
	v_cndmask_b32_sdwa v1, v3, v1, vcc dst_sel:DWORD dst_unused:UNUSED_PAD src0_sel:DWORD src1_sel:WORD_1
.LBB273_1210:
	s_mov_b64 s[10:11], -1
	s_mov_b64 s[8:9], 0
	s_cbranch_execnz .LBB273_1221
.LBB273_1211:
	s_cmp_gt_i32 s15, 14
	s_cbranch_scc0 .LBB273_1214
; %bb.1212:
	s_cmp_eq_u32 s15, 15
	s_cbranch_scc0 .LBB273_1217
; %bb.1213:
	global_load_ushort v1, v[14:15], off
	s_mov_b64 s[0:1], 0
	s_mov_b64 s[10:11], -1
	s_branch .LBB273_1218
.LBB273_1214:
	s_mov_b64 s[2:3], -1
                                        ; implicit-def: $vgpr1
	s_branch .LBB273_1219
.LBB273_1215:
	s_or_saveexec_b64 s[8:9], s[8:9]
	v_mov_b32_e32 v3, 0x7f800001
	s_xor_b64 exec, exec, s[8:9]
	s_cbranch_execz .LBB273_1197
.LBB273_1216:
	v_cmp_ne_u16_e32 vcc, 0, v1
	s_andn2_b64 s[2:3], s[2:3], exec
	s_and_b64 s[10:11], vcc, exec
	v_mov_b32_e32 v3, 0
	s_or_b64 s[2:3], s[2:3], s[10:11]
	s_or_b64 exec, exec, s[8:9]
	s_and_saveexec_b64 s[8:9], s[2:3]
	s_cbranch_execnz .LBB273_1198
	s_branch .LBB273_1199
.LBB273_1217:
	s_mov_b64 s[0:1], -1
                                        ; implicit-def: $vgpr1
.LBB273_1218:
	s_mov_b64 s[2:3], 0
.LBB273_1219:
	s_and_b64 vcc, exec, s[2:3]
	s_cbranch_vccz .LBB273_1221
; %bb.1220:
	s_cmp_lg_u32 s15, 11
	s_mov_b64 s[8:9], -1
	s_cselect_b64 s[0:1], -1, 0
.LBB273_1221:
	s_and_b64 vcc, exec, s[0:1]
	s_mov_b64 s[2:3], s[24:25]
	s_cbranch_vccnz .LBB273_1282
; %bb.1222:
	s_andn2_b64 vcc, exec, s[8:9]
	s_cbranch_vccnz .LBB273_1224
.LBB273_1223:
	global_load_ubyte v1, v[14:15], off
	s_mov_b64 s[10:11], -1
	s_waitcnt vmcnt(0)
	v_cmp_ne_u16_e32 vcc, 0, v1
	s_nop 1
	v_cndmask_b32_e64 v1, 0, 1.0, vcc
	v_lshrrev_b32_e32 v1, 16, v1
.LBB273_1224:
	s_branch .LBB273_1155
.LBB273_1225:
	s_and_b32 s8, 0xffff, s14
	s_cmp_lt_i32 s8, 5
	s_cbranch_scc1 .LBB273_1230
; %bb.1226:
	s_cmp_lt_i32 s8, 8
	s_cbranch_scc1 .LBB273_1231
; %bb.1227:
	;; [unrolled: 3-line block ×3, first 2 shown]
	s_cmp_gt_i32 s8, 9
	s_cbranch_scc0 .LBB273_1233
; %bb.1229:
	global_load_dwordx2 v[16:17], v[14:15], off
	s_movk_i32 s0, 0x7fff
	s_waitcnt vmcnt(1)
	v_mov_b32_e32 v1, 0x7fc0
	s_waitcnt vmcnt(0)
	v_cvt_f32_f64_e32 v3, v[16:17]
	v_bfe_u32 v5, v3, 16, 1
	v_cmp_o_f32_e32 vcc, v3, v3
	v_add3_u32 v3, v3, v5, s0
	s_mov_b64 s[0:1], 0
	v_cndmask_b32_sdwa v1, v1, v3, vcc dst_sel:DWORD dst_unused:UNUSED_PAD src0_sel:DWORD src1_sel:WORD_1
	s_branch .LBB273_1234
.LBB273_1230:
                                        ; implicit-def: $vgpr1
	s_branch .LBB273_1251
.LBB273_1231:
                                        ; implicit-def: $vgpr1
	s_branch .LBB273_1240
.LBB273_1232:
	s_mov_b64 s[0:1], -1
                                        ; implicit-def: $vgpr1
	s_branch .LBB273_1237
.LBB273_1233:
	s_mov_b64 s[0:1], -1
                                        ; implicit-def: $vgpr1
.LBB273_1234:
	s_andn2_b64 vcc, exec, s[0:1]
	s_cbranch_vccnz .LBB273_1236
; %bb.1235:
	global_load_dword v1, v[14:15], off
	s_movk_i32 s0, 0x7fff
	v_mov_b32_e32 v3, 0x7fc0
	s_waitcnt vmcnt(0)
	v_bfe_u32 v5, v1, 16, 1
	v_cmp_o_f32_e32 vcc, v1, v1
	v_add3_u32 v1, v1, v5, s0
	s_nop 0
	v_cndmask_b32_sdwa v1, v3, v1, vcc dst_sel:DWORD dst_unused:UNUSED_PAD src0_sel:DWORD src1_sel:WORD_1
.LBB273_1236:
	s_mov_b64 s[0:1], 0
.LBB273_1237:
	s_andn2_b64 vcc, exec, s[0:1]
	s_cbranch_vccnz .LBB273_1239
; %bb.1238:
	global_load_dword v1, v[14:15], off
	s_movk_i32 s0, 0x7fff
	v_mov_b32_e32 v5, 0x7fc0
	s_waitcnt vmcnt(0)
	v_cvt_f32_f16_e32 v3, v1
	v_cmp_o_f16_e32 vcc, v1, v1
	v_bfe_u32 v1, v3, 16, 1
	v_add3_u32 v1, v3, v1, s0
	v_cndmask_b32_sdwa v1, v5, v1, vcc dst_sel:DWORD dst_unused:UNUSED_PAD src0_sel:DWORD src1_sel:WORD_1
.LBB273_1239:
	s_cbranch_execnz .LBB273_1250
.LBB273_1240:
	s_cmp_lt_i32 s8, 6
	s_cbranch_scc1 .LBB273_1243
; %bb.1241:
	s_cmp_gt_i32 s8, 6
	s_cbranch_scc0 .LBB273_1244
; %bb.1242:
	global_load_dwordx2 v[16:17], v[14:15], off
	s_movk_i32 s0, 0x7fff
	s_waitcnt vmcnt(1)
	v_mov_b32_e32 v1, 0x7fc0
	s_waitcnt vmcnt(0)
	v_cvt_f32_f64_e32 v3, v[16:17]
	v_bfe_u32 v5, v3, 16, 1
	v_cmp_o_f32_e32 vcc, v3, v3
	v_add3_u32 v3, v3, v5, s0
	s_mov_b64 s[0:1], 0
	v_cndmask_b32_sdwa v1, v1, v3, vcc dst_sel:DWORD dst_unused:UNUSED_PAD src0_sel:DWORD src1_sel:WORD_1
	s_branch .LBB273_1245
.LBB273_1243:
	s_mov_b64 s[0:1], -1
                                        ; implicit-def: $vgpr1
	s_branch .LBB273_1248
.LBB273_1244:
	s_mov_b64 s[0:1], -1
                                        ; implicit-def: $vgpr1
.LBB273_1245:
	s_andn2_b64 vcc, exec, s[0:1]
	s_cbranch_vccnz .LBB273_1247
; %bb.1246:
	global_load_dword v1, v[14:15], off
	s_movk_i32 s0, 0x7fff
	v_mov_b32_e32 v3, 0x7fc0
	s_waitcnt vmcnt(0)
	v_bfe_u32 v5, v1, 16, 1
	v_cmp_o_f32_e32 vcc, v1, v1
	v_add3_u32 v1, v1, v5, s0
	s_nop 0
	v_cndmask_b32_sdwa v1, v3, v1, vcc dst_sel:DWORD dst_unused:UNUSED_PAD src0_sel:DWORD src1_sel:WORD_1
.LBB273_1247:
	s_mov_b64 s[0:1], 0
.LBB273_1248:
	s_andn2_b64 vcc, exec, s[0:1]
	s_cbranch_vccnz .LBB273_1250
; %bb.1249:
	global_load_ushort v1, v[14:15], off
	s_movk_i32 s0, 0x7fff
	v_mov_b32_e32 v5, 0x7fc0
	s_waitcnt vmcnt(0)
	v_cvt_f32_f16_e32 v3, v1
	v_cmp_o_f16_e32 vcc, v1, v1
	v_bfe_u32 v1, v3, 16, 1
	v_add3_u32 v1, v3, v1, s0
	v_cndmask_b32_sdwa v1, v5, v1, vcc dst_sel:DWORD dst_unused:UNUSED_PAD src0_sel:DWORD src1_sel:WORD_1
.LBB273_1250:
	s_cbranch_execnz .LBB273_1269
.LBB273_1251:
	s_cmp_lt_i32 s8, 2
	s_cbranch_scc1 .LBB273_1255
; %bb.1252:
	s_cmp_lt_i32 s8, 3
	s_cbranch_scc1 .LBB273_1256
; %bb.1253:
	s_cmp_gt_i32 s8, 3
	s_cbranch_scc0 .LBB273_1257
; %bb.1254:
	global_load_dwordx2 v[16:17], v[14:15], off
	s_movk_i32 s0, 0x7fff
	s_waitcnt vmcnt(0)
	v_xor_b32_e32 v3, v16, v17
	v_ffbh_i32_e32 v1, v17
	v_ashrrev_i32_e32 v3, 31, v3
	v_add_u32_e32 v1, -1, v1
	v_add_u32_e32 v3, 32, v3
	v_min_u32_e32 v1, v1, v3
	v_lshlrev_b64 v[16:17], v1, v[16:17]
	v_min_u32_e32 v3, 1, v16
	v_or_b32_e32 v3, v17, v3
	v_cvt_f32_i32_e32 v3, v3
	v_sub_u32_e32 v1, 32, v1
	v_ldexp_f32 v1, v3, v1
	v_bfe_u32 v3, v1, 16, 1
	v_add3_u32 v1, v1, v3, s0
	v_lshrrev_b32_e32 v1, 16, v1
	s_mov_b64 s[0:1], 0
	s_branch .LBB273_1258
.LBB273_1255:
                                        ; implicit-def: $vgpr1
	s_branch .LBB273_1264
.LBB273_1256:
	s_mov_b64 s[0:1], -1
                                        ; implicit-def: $vgpr1
	s_branch .LBB273_1261
.LBB273_1257:
	s_mov_b64 s[0:1], -1
                                        ; implicit-def: $vgpr1
.LBB273_1258:
	s_andn2_b64 vcc, exec, s[0:1]
	s_cbranch_vccnz .LBB273_1260
; %bb.1259:
	global_load_dword v1, v[14:15], off
	s_movk_i32 s0, 0x7fff
	s_waitcnt vmcnt(0)
	v_cvt_f32_i32_e32 v1, v1
	v_bfe_u32 v3, v1, 16, 1
	v_add3_u32 v1, v1, v3, s0
	v_lshrrev_b32_e32 v1, 16, v1
.LBB273_1260:
	s_mov_b64 s[0:1], 0
.LBB273_1261:
	s_andn2_b64 vcc, exec, s[0:1]
	s_cbranch_vccnz .LBB273_1263
; %bb.1262:
	global_load_sshort v1, v[14:15], off
	s_movk_i32 s0, 0x7fff
	s_waitcnt vmcnt(0)
	v_cvt_f32_i32_e32 v1, v1
	v_bfe_u32 v3, v1, 16, 1
	v_add3_u32 v1, v1, v3, s0
	v_lshrrev_b32_e32 v1, 16, v1
.LBB273_1263:
	s_cbranch_execnz .LBB273_1269
.LBB273_1264:
	s_cmp_gt_i32 s8, 0
	s_cbranch_scc0 .LBB273_1266
; %bb.1265:
	global_load_sbyte v1, v[14:15], off
	s_movk_i32 s0, 0x7fff
	s_waitcnt vmcnt(0)
	v_cvt_f32_i32_e32 v1, v1
	v_bfe_u32 v3, v1, 16, 1
	v_add3_u32 v1, v1, v3, s0
	v_lshrrev_b32_e32 v1, 16, v1
	s_mov_b64 s[0:1], 0
	s_branch .LBB273_1267
.LBB273_1266:
	s_mov_b64 s[0:1], -1
                                        ; implicit-def: $vgpr1
.LBB273_1267:
	s_andn2_b64 vcc, exec, s[0:1]
	s_cbranch_vccnz .LBB273_1269
; %bb.1268:
	global_load_ubyte v1, v[14:15], off
	s_movk_i32 s0, 0x7fff
	s_waitcnt vmcnt(0)
	v_cvt_f32_ubyte0_e32 v1, v1
	v_bfe_u32 v3, v1, 16, 1
	v_add3_u32 v1, v1, v3, s0
	v_lshrrev_b32_e32 v1, 16, v1
.LBB273_1269:
.LBB273_1270:
	s_lshr_b32 s0, s16, 16
	v_mov_b32_e32 v13, 0
	s_and_b32 s17, s0, 0xff
	s_cmp_lt_i32 s17, 11
	v_lshl_add_u64 v[12:13], s[6:7], 0, v[12:13]
	s_cbranch_scc1 .LBB273_1277
; %bb.1271:
	s_and_b32 s18, 0xffff, s17
	s_cmp_gt_i32 s18, 25
	s_mov_b64 s[8:9], 0
	s_cbranch_scc0 .LBB273_1279
; %bb.1272:
	s_cmp_gt_i32 s18, 28
	s_cbranch_scc0 .LBB273_1280
; %bb.1273:
	s_cmp_gt_i32 s18, 43
	;; [unrolled: 3-line block ×3, first 2 shown]
	s_cbranch_scc0 .LBB273_1283
; %bb.1275:
	s_cmp_eq_u32 s18, 46
	s_mov_b64 s[12:13], 0
	s_cbranch_scc0 .LBB273_1286
; %bb.1276:
	global_load_dword v3, v[12:13], off
	s_mov_b64 s[0:1], 0
	s_mov_b64 s[10:11], -1
	s_branch .LBB273_1287
.LBB273_1277:
	s_mov_b64 s[10:11], 0
                                        ; implicit-def: $vgpr3
	s_cbranch_execnz .LBB273_1352
.LBB273_1278:
	s_andn2_b64 vcc, exec, s[10:11]
	s_cbranch_vccnz .LBB273_2091
	s_branch .LBB273_1399
.LBB273_1279:
	s_mov_b64 s[10:11], 0
	s_mov_b64 s[0:1], 0
                                        ; implicit-def: $vgpr3
	s_cbranch_execnz .LBB273_1316
	s_branch .LBB273_1348
.LBB273_1280:
	s_mov_b64 s[12:13], -1
	s_mov_b64 s[10:11], 0
	s_mov_b64 s[0:1], 0
                                        ; implicit-def: $vgpr3
	s_branch .LBB273_1297
.LBB273_1281:
	s_mov_b64 s[12:13], -1
	s_mov_b64 s[10:11], 0
	s_mov_b64 s[0:1], 0
                                        ; implicit-def: $vgpr3
	s_branch .LBB273_1292
.LBB273_1282:
	s_or_b64 s[2:3], s[24:25], exec
	s_trap 2
	s_cbranch_execz .LBB273_1223
	s_branch .LBB273_1224
.LBB273_1283:
	s_mov_b64 s[12:13], -1
	s_mov_b64 s[10:11], 0
	s_mov_b64 s[0:1], 0
                                        ; implicit-def: $vgpr3
	s_branch .LBB273_1287
.LBB273_1284:
	s_andn2_saveexec_b64 s[14:15], s[14:15]
	s_cbranch_execz .LBB273_1015
.LBB273_1285:
	s_mov_b32 s18, 0x42800000
	v_add_f32_e64 v1, |v5|, s18
	v_and_b32_e32 v1, 0xff, v1
	v_cmp_ne_u32_e32 vcc, 0, v1
	s_andn2_b64 s[12:13], s[12:13], exec
	s_and_b64 s[18:19], vcc, exec
	s_or_b64 s[12:13], s[12:13], s[18:19]
	s_or_b64 exec, exec, s[14:15]
	v_mov_b32_e32 v6, 0
	s_and_saveexec_b64 s[14:15], s[12:13]
	s_cbranch_execnz .LBB273_1016
	s_branch .LBB273_1017
.LBB273_1286:
	s_mov_b64 s[0:1], -1
                                        ; implicit-def: $vgpr3
	s_mov_b64 s[10:11], 0
.LBB273_1287:
	s_and_b64 vcc, exec, s[12:13]
	s_cbranch_vccz .LBB273_1291
; %bb.1288:
	s_cmp_eq_u32 s18, 44
	s_cbranch_scc0 .LBB273_1290
; %bb.1289:
	global_load_ubyte v3, v[12:13], off
	s_movk_i32 s10, 0xff
	v_mov_b32_e32 v5, 0x7f800001
	v_mov_b32_e32 v7, 0x400000
	v_mov_b32_e32 v9, 0x7fc0
	s_mov_b64 s[0:1], 0
	s_waitcnt vmcnt(0)
	v_lshlrev_b32_e32 v11, 23, v3
	v_cmp_ne_u32_e32 vcc, s10, v3
	s_mov_b64 s[10:11], -1
	s_nop 0
	v_cndmask_b32_e32 v5, v5, v11, vcc
	v_cmp_ne_u32_e32 vcc, 0, v3
	s_nop 1
	v_cndmask_b32_e32 v3, v7, v5, vcc
	v_add_u32_e32 v5, 0x7fff, v3
	v_cmp_o_f32_e32 vcc, v3, v3
	s_nop 1
	v_cndmask_b32_sdwa v3, v9, v5, vcc dst_sel:DWORD dst_unused:UNUSED_PAD src0_sel:DWORD src1_sel:WORD_1
	s_branch .LBB273_1291
.LBB273_1290:
	s_mov_b64 s[0:1], -1
                                        ; implicit-def: $vgpr3
.LBB273_1291:
	s_mov_b64 s[12:13], 0
.LBB273_1292:
	s_and_b64 vcc, exec, s[12:13]
	s_cbranch_vccz .LBB273_1296
; %bb.1293:
	s_cmp_eq_u32 s18, 29
	s_cbranch_scc0 .LBB273_1295
; %bb.1294:
	global_load_dwordx2 v[14:15], v[12:13], off
	s_movk_i32 s10, 0x7fff
	s_mov_b64 s[0:1], 0
	s_mov_b64 s[12:13], 0
	s_waitcnt vmcnt(0)
	v_ffbh_u32_e32 v3, v15
	v_min_u32_e32 v3, 32, v3
	v_lshlrev_b64 v[14:15], v3, v[14:15]
	v_min_u32_e32 v5, 1, v14
	v_or_b32_e32 v5, v15, v5
	v_cvt_f32_u32_e32 v5, v5
	v_sub_u32_e32 v3, 32, v3
	v_ldexp_f32 v3, v5, v3
	v_bfe_u32 v5, v3, 16, 1
	v_add3_u32 v3, v3, v5, s10
	v_lshrrev_b32_e32 v3, 16, v3
	s_mov_b64 s[10:11], -1
	s_branch .LBB273_1297
.LBB273_1295:
	s_mov_b64 s[0:1], -1
                                        ; implicit-def: $vgpr3
.LBB273_1296:
	s_mov_b64 s[12:13], 0
.LBB273_1297:
	s_and_b64 vcc, exec, s[12:13]
	s_cbranch_vccz .LBB273_1315
; %bb.1298:
	s_cmp_lt_i32 s18, 27
	s_cbranch_scc1 .LBB273_1301
; %bb.1299:
	s_cmp_gt_i32 s18, 27
	s_cbranch_scc0 .LBB273_1302
; %bb.1300:
	global_load_dword v3, v[12:13], off
	s_movk_i32 s10, 0x7fff
	s_waitcnt vmcnt(0)
	v_cvt_f32_u32_e32 v3, v3
	v_bfe_u32 v5, v3, 16, 1
	v_add3_u32 v3, v3, v5, s10
	v_lshrrev_b32_e32 v3, 16, v3
	s_mov_b64 s[10:11], 0
	s_branch .LBB273_1303
.LBB273_1301:
	s_mov_b64 s[10:11], -1
                                        ; implicit-def: $vgpr3
	s_branch .LBB273_1306
.LBB273_1302:
	s_mov_b64 s[10:11], -1
                                        ; implicit-def: $vgpr3
.LBB273_1303:
	s_andn2_b64 vcc, exec, s[10:11]
	s_cbranch_vccnz .LBB273_1305
; %bb.1304:
	global_load_ushort v3, v[12:13], off
	s_movk_i32 s10, 0x7fff
	s_waitcnt vmcnt(0)
	v_cvt_f32_u32_e32 v3, v3
	v_bfe_u32 v5, v3, 16, 1
	v_add3_u32 v3, v3, v5, s10
	v_lshrrev_b32_e32 v3, 16, v3
.LBB273_1305:
	s_mov_b64 s[10:11], 0
.LBB273_1306:
	s_andn2_b64 vcc, exec, s[10:11]
	s_cbranch_vccnz .LBB273_1314
; %bb.1307:
	global_load_ubyte v3, v[12:13], off
	s_movk_i32 s10, 0x7f
	s_waitcnt vmcnt(0)
	v_cmp_lt_i16_e32 vcc, s10, v3
	s_mov_b64 s[10:11], 0
	s_and_saveexec_b64 s[12:13], vcc
	s_xor_b64 s[12:13], exec, s[12:13]
	s_cbranch_execz .LBB273_1327
; %bb.1308:
	s_movk_i32 s10, 0x80
	v_cmp_eq_u16_e32 vcc, s10, v3
	s_mov_b64 s[10:11], -1
	s_and_saveexec_b64 s[14:15], vcc
; %bb.1309:
	s_xor_b64 s[10:11], exec, -1
; %bb.1310:
	s_or_b64 exec, exec, s[14:15]
	s_and_b64 s[10:11], s[10:11], exec
	s_or_saveexec_b64 s[12:13], s[12:13]
	v_mov_b32_e32 v5, 0x7f800001
	s_xor_b64 exec, exec, s[12:13]
	s_cbranch_execnz .LBB273_1328
.LBB273_1311:
	s_or_b64 exec, exec, s[12:13]
	s_and_saveexec_b64 s[12:13], s[10:11]
	s_cbranch_execz .LBB273_1313
.LBB273_1312:
	v_lshlrev_b32_e32 v5, 24, v3
	v_and_b32_e32 v3, 0xffff, v3
	v_and_b32_e32 v7, 7, v3
	v_ffbh_u32_e32 v11, v7
	v_min_u32_e32 v11, 32, v11
	v_subrev_u32_e32 v14, 28, v11
	v_bfe_u32 v9, v3, 3, 4
	v_lshlrev_b32_e32 v3, v14, v3
	v_sub_u32_e32 v11, 29, v11
	v_and_b32_e32 v3, 7, v3
	v_cmp_eq_u32_e32 vcc, 0, v9
	v_and_b32_e32 v5, 0x80000000, v5
	s_nop 0
	v_cndmask_b32_e32 v9, v9, v11, vcc
	v_cndmask_b32_e32 v3, v7, v3, vcc
	v_mov_b32_e32 v7, 0x3b800000
	v_lshlrev_b32_e32 v3, 20, v3
	v_lshl_add_u32 v7, v9, 23, v7
	v_or3_b32 v5, v5, v7, v3
.LBB273_1313:
	s_or_b64 exec, exec, s[12:13]
	v_bfe_u32 v3, v5, 16, 1
	s_movk_i32 s10, 0x7fff
	v_add3_u32 v3, v5, v3, s10
	v_cmp_o_f32_e32 vcc, v5, v5
	v_mov_b32_e32 v5, 0x7fc0
	s_nop 0
	v_cndmask_b32_sdwa v3, v5, v3, vcc dst_sel:DWORD dst_unused:UNUSED_PAD src0_sel:DWORD src1_sel:WORD_1
.LBB273_1314:
	s_mov_b64 s[10:11], -1
.LBB273_1315:
	s_branch .LBB273_1348
.LBB273_1316:
	s_cmp_gt_i32 s18, 22
	s_cbranch_scc0 .LBB273_1326
; %bb.1317:
	s_cmp_lt_i32 s18, 24
	s_cbranch_scc1 .LBB273_1329
; %bb.1318:
	s_cmp_gt_i32 s18, 24
	s_cbranch_scc0 .LBB273_1330
; %bb.1319:
	global_load_ubyte v3, v[12:13], off
	s_movk_i32 s8, 0x7f
	s_waitcnt vmcnt(0)
	v_cmp_lt_i16_e32 vcc, s8, v3
	s_mov_b64 s[8:9], 0
	s_and_saveexec_b64 s[10:11], vcc
	s_xor_b64 s[10:11], exec, s[10:11]
	s_cbranch_execz .LBB273_1342
; %bb.1320:
	s_movk_i32 s8, 0x80
	v_cmp_eq_u16_e32 vcc, s8, v3
	s_mov_b64 s[8:9], -1
	s_and_saveexec_b64 s[12:13], vcc
; %bb.1321:
	s_xor_b64 s[8:9], exec, -1
; %bb.1322:
	s_or_b64 exec, exec, s[12:13]
	s_and_b64 s[8:9], s[8:9], exec
	s_or_saveexec_b64 s[10:11], s[10:11]
	v_mov_b32_e32 v5, 0x7f800001
	s_xor_b64 exec, exec, s[10:11]
	s_cbranch_execnz .LBB273_1343
.LBB273_1323:
	s_or_b64 exec, exec, s[10:11]
	s_and_saveexec_b64 s[10:11], s[8:9]
	s_cbranch_execz .LBB273_1325
.LBB273_1324:
	v_lshlrev_b32_e32 v5, 24, v3
	v_and_b32_e32 v3, 0xffff, v3
	v_and_b32_e32 v7, 3, v3
	v_ffbh_u32_e32 v11, v7
	v_min_u32_e32 v11, 32, v11
	v_subrev_u32_e32 v14, 29, v11
	v_bfe_u32 v9, v3, 2, 5
	v_lshlrev_b32_e32 v3, v14, v3
	v_sub_u32_e32 v11, 30, v11
	v_and_b32_e32 v3, 3, v3
	v_cmp_eq_u32_e32 vcc, 0, v9
	v_and_b32_e32 v5, 0x80000000, v5
	s_nop 0
	v_cndmask_b32_e32 v9, v9, v11, vcc
	v_cndmask_b32_e32 v3, v7, v3, vcc
	v_mov_b32_e32 v7, 0x37800000
	v_lshlrev_b32_e32 v3, 21, v3
	v_lshl_add_u32 v7, v9, 23, v7
	v_or3_b32 v5, v5, v7, v3
.LBB273_1325:
	s_or_b64 exec, exec, s[10:11]
	v_bfe_u32 v3, v5, 16, 1
	s_movk_i32 s8, 0x7fff
	v_add3_u32 v3, v5, v3, s8
	v_cmp_o_f32_e32 vcc, v5, v5
	v_mov_b32_e32 v5, 0x7fc0
	s_mov_b64 s[8:9], 0
	v_cndmask_b32_sdwa v3, v5, v3, vcc dst_sel:DWORD dst_unused:UNUSED_PAD src0_sel:DWORD src1_sel:WORD_1
	s_branch .LBB273_1331
.LBB273_1326:
	s_mov_b64 s[8:9], -1
                                        ; implicit-def: $vgpr3
	s_branch .LBB273_1337
.LBB273_1327:
	s_or_saveexec_b64 s[12:13], s[12:13]
	v_mov_b32_e32 v5, 0x7f800001
	s_xor_b64 exec, exec, s[12:13]
	s_cbranch_execz .LBB273_1311
.LBB273_1328:
	v_cmp_ne_u16_e32 vcc, 0, v3
	s_andn2_b64 s[10:11], s[10:11], exec
	s_and_b64 s[14:15], vcc, exec
	v_mov_b32_e32 v5, 0
	s_or_b64 s[10:11], s[10:11], s[14:15]
	s_or_b64 exec, exec, s[12:13]
	s_and_saveexec_b64 s[12:13], s[10:11]
	s_cbranch_execnz .LBB273_1312
	s_branch .LBB273_1313
.LBB273_1329:
	s_mov_b64 s[8:9], -1
                                        ; implicit-def: $vgpr3
	s_branch .LBB273_1334
.LBB273_1330:
	s_mov_b64 s[8:9], -1
                                        ; implicit-def: $vgpr3
.LBB273_1331:
	s_and_b64 vcc, exec, s[8:9]
	s_cbranch_vccz .LBB273_1333
; %bb.1332:
	global_load_ubyte v3, v[12:13], off
	s_mov_b32 s8, 0x7f800000
	s_brev_b32 s9, 1
	s_movk_i32 s10, 0x7fff
	s_waitcnt vmcnt(0)
	v_lshlrev_b32_e32 v3, 24, v3
	v_and_b32_e32 v5, 0x7f000000, v3
	v_ffbh_u32_e32 v7, v5
	v_min_u32_e32 v7, 32, v7
	v_sub_u32_e64 v7, v7, 4 clamp
	v_lshlrev_b32_e32 v11, v7, v5
	v_lshlrev_b32_e32 v7, 23, v7
	v_lshrrev_b32_e32 v11, 4, v11
	v_add_u32_e32 v9, 0x1000000, v5
	v_sub_u32_e32 v7, v11, v7
	v_ashrrev_i32_e32 v9, 8, v9
	v_add_u32_e32 v7, 0x3c000000, v7
	v_and_or_b32 v7, v9, s8, v7
	v_cmp_ne_u32_e32 vcc, 0, v5
	s_nop 1
	v_cndmask_b32_e32 v5, 0, v7, vcc
	v_and_or_b32 v3, v3, s9, v5
	v_bfe_u32 v5, v5, 16, 1
	v_add3_u32 v5, v3, v5, s10
	v_cmp_o_f32_e32 vcc, v3, v3
	v_mov_b32_e32 v3, 0x7fc0
	s_nop 0
	v_cndmask_b32_sdwa v3, v3, v5, vcc dst_sel:DWORD dst_unused:UNUSED_PAD src0_sel:DWORD src1_sel:WORD_1
.LBB273_1333:
	s_mov_b64 s[8:9], 0
.LBB273_1334:
	s_andn2_b64 vcc, exec, s[8:9]
	s_cbranch_vccnz .LBB273_1336
; %bb.1335:
	global_load_ubyte v3, v[12:13], off
	s_movk_i32 s8, 0x7f00
	s_brev_b32 s9, 16
	s_brev_b32 s10, 1
	s_movk_i32 s11, 0x7fff
	s_waitcnt vmcnt(0)
	v_lshlrev_b16_e32 v5, 8, v3
	v_lshlrev_b32_e32 v3, 25, v3
	v_lshrrev_b32_e32 v7, 4, v3
	v_and_or_b32 v9, v5, s8, 0.5
	v_or_b32_e32 v7, 0x70000000, v7
	v_add_f32_e32 v9, -0.5, v9
	v_mul_f32_e32 v7, 0x7800000, v7
	v_cmp_gt_u32_e32 vcc, s9, v3
	v_bfe_i32 v5, v5, 0, 16
	s_nop 0
	v_cndmask_b32_e32 v3, v7, v9, vcc
	v_and_or_b32 v5, v5, s10, v3
	v_bfe_u32 v3, v3, 16, 1
	v_add3_u32 v3, v5, v3, s11
	v_cmp_o_f32_e32 vcc, v5, v5
	v_mov_b32_e32 v5, 0x7fc0
	s_nop 0
	v_cndmask_b32_sdwa v3, v5, v3, vcc dst_sel:DWORD dst_unused:UNUSED_PAD src0_sel:DWORD src1_sel:WORD_1
.LBB273_1336:
	s_mov_b64 s[8:9], 0
	s_mov_b64 s[10:11], -1
.LBB273_1337:
	s_andn2_b64 vcc, exec, s[8:9]
	s_mov_b64 s[8:9], 0
	s_cbranch_vccnz .LBB273_1348
; %bb.1338:
	s_cmp_gt_i32 s18, 14
	s_cbranch_scc0 .LBB273_1341
; %bb.1339:
	s_cmp_eq_u32 s18, 15
	s_cbranch_scc0 .LBB273_1344
; %bb.1340:
	global_load_ushort v3, v[12:13], off
	s_mov_b64 s[0:1], 0
	s_mov_b64 s[10:11], -1
	s_branch .LBB273_1345
.LBB273_1341:
	s_mov_b64 s[12:13], -1
                                        ; implicit-def: $vgpr3
	s_branch .LBB273_1346
.LBB273_1342:
	s_or_saveexec_b64 s[10:11], s[10:11]
	v_mov_b32_e32 v5, 0x7f800001
	s_xor_b64 exec, exec, s[10:11]
	s_cbranch_execz .LBB273_1323
.LBB273_1343:
	v_cmp_ne_u16_e32 vcc, 0, v3
	s_andn2_b64 s[8:9], s[8:9], exec
	s_and_b64 s[12:13], vcc, exec
	v_mov_b32_e32 v5, 0
	s_or_b64 s[8:9], s[8:9], s[12:13]
	s_or_b64 exec, exec, s[10:11]
	s_and_saveexec_b64 s[10:11], s[8:9]
	s_cbranch_execnz .LBB273_1324
	s_branch .LBB273_1325
.LBB273_1344:
	s_mov_b64 s[0:1], -1
                                        ; implicit-def: $vgpr3
.LBB273_1345:
	s_mov_b64 s[12:13], 0
.LBB273_1346:
	s_and_b64 vcc, exec, s[12:13]
	s_cbranch_vccz .LBB273_1348
; %bb.1347:
	s_cmp_lg_u32 s18, 11
	s_mov_b64 s[8:9], -1
	s_cselect_b64 s[0:1], -1, 0
.LBB273_1348:
	s_and_b64 vcc, exec, s[0:1]
	s_cbranch_vccnz .LBB273_1411
; %bb.1349:
	s_andn2_b64 vcc, exec, s[8:9]
	s_cbranch_vccnz .LBB273_1351
.LBB273_1350:
	global_load_ubyte v3, v[12:13], off
	s_mov_b64 s[10:11], -1
	s_waitcnt vmcnt(0)
	v_cmp_ne_u16_e32 vcc, 0, v3
	s_nop 1
	v_cndmask_b32_e64 v3, 0, 1.0, vcc
	v_lshrrev_b32_e32 v3, 16, v3
.LBB273_1351:
	s_branch .LBB273_1278
.LBB273_1352:
	s_and_b32 s8, 0xffff, s17
	s_cmp_lt_i32 s8, 5
	s_cbranch_scc1 .LBB273_1357
; %bb.1353:
	s_cmp_lt_i32 s8, 8
	s_cbranch_scc1 .LBB273_1358
; %bb.1354:
	;; [unrolled: 3-line block ×3, first 2 shown]
	s_cmp_gt_i32 s8, 9
	s_cbranch_scc0 .LBB273_1360
; %bb.1356:
	global_load_dwordx2 v[14:15], v[12:13], off
	s_movk_i32 s0, 0x7fff
	s_waitcnt vmcnt(1)
	v_mov_b32_e32 v3, 0x7fc0
	s_waitcnt vmcnt(0)
	v_cvt_f32_f64_e32 v5, v[14:15]
	v_bfe_u32 v7, v5, 16, 1
	v_cmp_o_f32_e32 vcc, v5, v5
	v_add3_u32 v5, v5, v7, s0
	s_mov_b64 s[0:1], 0
	v_cndmask_b32_sdwa v3, v3, v5, vcc dst_sel:DWORD dst_unused:UNUSED_PAD src0_sel:DWORD src1_sel:WORD_1
	s_branch .LBB273_1361
.LBB273_1357:
                                        ; implicit-def: $vgpr3
	s_branch .LBB273_1379
.LBB273_1358:
	s_mov_b64 s[0:1], -1
                                        ; implicit-def: $vgpr3
	s_branch .LBB273_1367
.LBB273_1359:
	s_mov_b64 s[0:1], -1
                                        ; implicit-def: $vgpr3
	s_branch .LBB273_1364
.LBB273_1360:
	s_mov_b64 s[0:1], -1
                                        ; implicit-def: $vgpr3
.LBB273_1361:
	s_andn2_b64 vcc, exec, s[0:1]
	s_cbranch_vccnz .LBB273_1363
; %bb.1362:
	global_load_dword v3, v[12:13], off
	s_movk_i32 s0, 0x7fff
	v_mov_b32_e32 v5, 0x7fc0
	s_waitcnt vmcnt(0)
	v_bfe_u32 v7, v3, 16, 1
	v_cmp_o_f32_e32 vcc, v3, v3
	v_add3_u32 v3, v3, v7, s0
	s_nop 0
	v_cndmask_b32_sdwa v3, v5, v3, vcc dst_sel:DWORD dst_unused:UNUSED_PAD src0_sel:DWORD src1_sel:WORD_1
.LBB273_1363:
	s_mov_b64 s[0:1], 0
.LBB273_1364:
	s_andn2_b64 vcc, exec, s[0:1]
	s_cbranch_vccnz .LBB273_1366
; %bb.1365:
	global_load_dword v3, v[12:13], off
	s_movk_i32 s0, 0x7fff
	v_mov_b32_e32 v7, 0x7fc0
	s_waitcnt vmcnt(0)
	v_cvt_f32_f16_e32 v5, v3
	v_cmp_o_f16_e32 vcc, v3, v3
	v_bfe_u32 v3, v5, 16, 1
	v_add3_u32 v3, v5, v3, s0
	v_cndmask_b32_sdwa v3, v7, v3, vcc dst_sel:DWORD dst_unused:UNUSED_PAD src0_sel:DWORD src1_sel:WORD_1
.LBB273_1366:
	s_mov_b64 s[0:1], 0
.LBB273_1367:
	s_andn2_b64 vcc, exec, s[0:1]
	s_cbranch_vccnz .LBB273_1378
; %bb.1368:
	s_cmp_lt_i32 s8, 6
	s_cbranch_scc1 .LBB273_1371
; %bb.1369:
	s_cmp_gt_i32 s8, 6
	s_cbranch_scc0 .LBB273_1372
; %bb.1370:
	global_load_dwordx2 v[14:15], v[12:13], off
	s_movk_i32 s0, 0x7fff
	s_waitcnt vmcnt(1)
	v_mov_b32_e32 v3, 0x7fc0
	s_waitcnt vmcnt(0)
	v_cvt_f32_f64_e32 v5, v[14:15]
	v_bfe_u32 v7, v5, 16, 1
	v_cmp_o_f32_e32 vcc, v5, v5
	v_add3_u32 v5, v5, v7, s0
	s_mov_b64 s[0:1], 0
	v_cndmask_b32_sdwa v3, v3, v5, vcc dst_sel:DWORD dst_unused:UNUSED_PAD src0_sel:DWORD src1_sel:WORD_1
	s_branch .LBB273_1373
.LBB273_1371:
	s_mov_b64 s[0:1], -1
                                        ; implicit-def: $vgpr3
	s_branch .LBB273_1376
.LBB273_1372:
	s_mov_b64 s[0:1], -1
                                        ; implicit-def: $vgpr3
.LBB273_1373:
	s_andn2_b64 vcc, exec, s[0:1]
	s_cbranch_vccnz .LBB273_1375
; %bb.1374:
	global_load_dword v3, v[12:13], off
	s_movk_i32 s0, 0x7fff
	v_mov_b32_e32 v5, 0x7fc0
	s_waitcnt vmcnt(0)
	v_bfe_u32 v7, v3, 16, 1
	v_cmp_o_f32_e32 vcc, v3, v3
	v_add3_u32 v3, v3, v7, s0
	s_nop 0
	v_cndmask_b32_sdwa v3, v5, v3, vcc dst_sel:DWORD dst_unused:UNUSED_PAD src0_sel:DWORD src1_sel:WORD_1
.LBB273_1375:
	s_mov_b64 s[0:1], 0
.LBB273_1376:
	s_andn2_b64 vcc, exec, s[0:1]
	s_cbranch_vccnz .LBB273_1378
; %bb.1377:
	global_load_ushort v3, v[12:13], off
	s_movk_i32 s0, 0x7fff
	v_mov_b32_e32 v7, 0x7fc0
	s_waitcnt vmcnt(0)
	v_cvt_f32_f16_e32 v5, v3
	v_cmp_o_f16_e32 vcc, v3, v3
	v_bfe_u32 v3, v5, 16, 1
	v_add3_u32 v3, v5, v3, s0
	v_cndmask_b32_sdwa v3, v7, v3, vcc dst_sel:DWORD dst_unused:UNUSED_PAD src0_sel:DWORD src1_sel:WORD_1
.LBB273_1378:
	s_cbranch_execnz .LBB273_1398
.LBB273_1379:
	s_cmp_lt_i32 s8, 2
	s_cbranch_scc1 .LBB273_1383
; %bb.1380:
	s_cmp_lt_i32 s8, 3
	s_cbranch_scc1 .LBB273_1384
; %bb.1381:
	s_cmp_gt_i32 s8, 3
	s_cbranch_scc0 .LBB273_1385
; %bb.1382:
	global_load_dwordx2 v[14:15], v[12:13], off
	s_movk_i32 s0, 0x7fff
	s_waitcnt vmcnt(0)
	v_xor_b32_e32 v5, v14, v15
	v_ffbh_i32_e32 v3, v15
	v_ashrrev_i32_e32 v5, 31, v5
	v_add_u32_e32 v3, -1, v3
	v_add_u32_e32 v5, 32, v5
	v_min_u32_e32 v3, v3, v5
	v_lshlrev_b64 v[14:15], v3, v[14:15]
	v_min_u32_e32 v5, 1, v14
	v_or_b32_e32 v5, v15, v5
	v_cvt_f32_i32_e32 v5, v5
	v_sub_u32_e32 v3, 32, v3
	v_ldexp_f32 v3, v5, v3
	v_bfe_u32 v5, v3, 16, 1
	v_add3_u32 v3, v3, v5, s0
	v_lshrrev_b32_e32 v3, 16, v3
	s_mov_b64 s[0:1], 0
	s_branch .LBB273_1386
.LBB273_1383:
	s_mov_b64 s[0:1], -1
                                        ; implicit-def: $vgpr3
	s_branch .LBB273_1392
.LBB273_1384:
	s_mov_b64 s[0:1], -1
                                        ; implicit-def: $vgpr3
	s_branch .LBB273_1389
.LBB273_1385:
	s_mov_b64 s[0:1], -1
                                        ; implicit-def: $vgpr3
.LBB273_1386:
	s_andn2_b64 vcc, exec, s[0:1]
	s_cbranch_vccnz .LBB273_1388
; %bb.1387:
	global_load_dword v3, v[12:13], off
	s_movk_i32 s0, 0x7fff
	s_waitcnt vmcnt(0)
	v_cvt_f32_i32_e32 v3, v3
	v_bfe_u32 v5, v3, 16, 1
	v_add3_u32 v3, v3, v5, s0
	v_lshrrev_b32_e32 v3, 16, v3
.LBB273_1388:
	s_mov_b64 s[0:1], 0
.LBB273_1389:
	s_andn2_b64 vcc, exec, s[0:1]
	s_cbranch_vccnz .LBB273_1391
; %bb.1390:
	global_load_sshort v3, v[12:13], off
	s_movk_i32 s0, 0x7fff
	s_waitcnt vmcnt(0)
	v_cvt_f32_i32_e32 v3, v3
	v_bfe_u32 v5, v3, 16, 1
	v_add3_u32 v3, v3, v5, s0
	v_lshrrev_b32_e32 v3, 16, v3
.LBB273_1391:
	s_mov_b64 s[0:1], 0
.LBB273_1392:
	s_andn2_b64 vcc, exec, s[0:1]
	s_cbranch_vccnz .LBB273_1398
; %bb.1393:
	s_cmp_gt_i32 s8, 0
	s_cbranch_scc0 .LBB273_1395
; %bb.1394:
	global_load_sbyte v3, v[12:13], off
	s_movk_i32 s0, 0x7fff
	s_waitcnt vmcnt(0)
	v_cvt_f32_i32_e32 v3, v3
	v_bfe_u32 v5, v3, 16, 1
	v_add3_u32 v3, v3, v5, s0
	v_lshrrev_b32_e32 v3, 16, v3
	s_mov_b64 s[0:1], 0
	s_branch .LBB273_1396
.LBB273_1395:
	s_mov_b64 s[0:1], -1
                                        ; implicit-def: $vgpr3
.LBB273_1396:
	s_andn2_b64 vcc, exec, s[0:1]
	s_cbranch_vccnz .LBB273_1398
; %bb.1397:
	global_load_ubyte v3, v[12:13], off
	s_movk_i32 s0, 0x7fff
	s_waitcnt vmcnt(0)
	v_cvt_f32_ubyte0_e32 v3, v3
	v_bfe_u32 v5, v3, 16, 1
	v_add3_u32 v3, v3, v5, s0
	v_lshrrev_b32_e32 v3, 16, v3
.LBB273_1398:
.LBB273_1399:
	v_mov_b32_e32 v11, 0
	s_cmp_lt_i32 s17, 11
	v_lshl_add_u64 v[10:11], s[6:7], 0, v[10:11]
	s_cbranch_scc1 .LBB273_1406
; %bb.1400:
	s_and_b32 s18, 0xffff, s17
	s_cmp_gt_i32 s18, 25
	s_mov_b64 s[8:9], 0
	s_cbranch_scc0 .LBB273_1408
; %bb.1401:
	s_cmp_gt_i32 s18, 28
	s_cbranch_scc0 .LBB273_1409
; %bb.1402:
	s_cmp_gt_i32 s18, 43
	;; [unrolled: 3-line block ×3, first 2 shown]
	s_cbranch_scc0 .LBB273_1412
; %bb.1404:
	s_cmp_eq_u32 s18, 46
	s_mov_b64 s[12:13], 0
	s_cbranch_scc0 .LBB273_1413
; %bb.1405:
	global_load_dword v12, v[10:11], off
	s_mov_b64 s[0:1], 0
	s_mov_b64 s[10:11], -1
	s_branch .LBB273_1414
.LBB273_1406:
	s_mov_b64 s[10:11], 0
                                        ; implicit-def: $vgpr12
	s_cbranch_execnz .LBB273_1480
.LBB273_1407:
	s_andn2_b64 vcc, exec, s[10:11]
	s_cbranch_vccnz .LBB273_2091
	s_branch .LBB273_1528
.LBB273_1408:
	s_mov_b64 s[12:13], -1
	s_mov_b64 s[10:11], 0
	s_mov_b64 s[0:1], 0
                                        ; implicit-def: $vgpr12
	s_branch .LBB273_1443
.LBB273_1409:
	s_mov_b64 s[12:13], -1
	s_mov_b64 s[10:11], 0
	s_mov_b64 s[0:1], 0
                                        ; implicit-def: $vgpr12
	s_branch .LBB273_1424
.LBB273_1410:
	s_mov_b64 s[12:13], -1
	s_mov_b64 s[10:11], 0
	s_mov_b64 s[0:1], 0
                                        ; implicit-def: $vgpr12
	s_branch .LBB273_1419
.LBB273_1411:
	s_trap 2
	s_or_b64 s[2:3], s[2:3], exec
	s_cbranch_execz .LBB273_1350
	s_branch .LBB273_1351
.LBB273_1412:
	s_mov_b64 s[12:13], -1
	s_mov_b64 s[10:11], 0
	s_mov_b64 s[0:1], 0
                                        ; implicit-def: $vgpr12
	s_branch .LBB273_1414
.LBB273_1413:
	s_mov_b64 s[0:1], -1
                                        ; implicit-def: $vgpr12
	s_mov_b64 s[10:11], 0
.LBB273_1414:
	s_and_b64 vcc, exec, s[12:13]
	s_cbranch_vccz .LBB273_1418
; %bb.1415:
	s_cmp_eq_u32 s18, 44
	s_cbranch_scc0 .LBB273_1417
; %bb.1416:
	global_load_ubyte v5, v[10:11], off
	s_movk_i32 s10, 0xff
	v_mov_b32_e32 v7, 0x7f800001
	v_mov_b32_e32 v9, 0x400000
	s_waitcnt vmcnt(1)
	v_mov_b32_e32 v12, 0x7fc0
	s_mov_b64 s[0:1], 0
	s_waitcnt vmcnt(0)
	v_lshlrev_b32_e32 v13, 23, v5
	v_cmp_ne_u32_e32 vcc, s10, v5
	s_mov_b64 s[10:11], -1
	s_nop 0
	v_cndmask_b32_e32 v7, v7, v13, vcc
	v_cmp_ne_u32_e32 vcc, 0, v5
	s_nop 1
	v_cndmask_b32_e32 v5, v9, v7, vcc
	v_add_u32_e32 v7, 0x7fff, v5
	v_cmp_o_f32_e32 vcc, v5, v5
	s_nop 1
	v_cndmask_b32_sdwa v12, v12, v7, vcc dst_sel:DWORD dst_unused:UNUSED_PAD src0_sel:DWORD src1_sel:WORD_1
	s_branch .LBB273_1418
.LBB273_1417:
	s_mov_b64 s[0:1], -1
                                        ; implicit-def: $vgpr12
.LBB273_1418:
	s_mov_b64 s[12:13], 0
.LBB273_1419:
	s_and_b64 vcc, exec, s[12:13]
	s_cbranch_vccz .LBB273_1423
; %bb.1420:
	s_cmp_eq_u32 s18, 29
	s_cbranch_scc0 .LBB273_1422
; %bb.1421:
	global_load_dwordx2 v[12:13], v[10:11], off
	s_movk_i32 s10, 0x7fff
	s_mov_b64 s[0:1], 0
	s_mov_b64 s[12:13], 0
	s_waitcnt vmcnt(0)
	v_ffbh_u32_e32 v5, v13
	v_min_u32_e32 v5, 32, v5
	v_lshlrev_b64 v[12:13], v5, v[12:13]
	v_min_u32_e32 v7, 1, v12
	v_or_b32_e32 v7, v13, v7
	v_cvt_f32_u32_e32 v7, v7
	v_sub_u32_e32 v5, 32, v5
	v_ldexp_f32 v5, v7, v5
	v_bfe_u32 v7, v5, 16, 1
	v_add3_u32 v5, v5, v7, s10
	v_lshrrev_b32_e32 v12, 16, v5
	s_mov_b64 s[10:11], -1
	s_branch .LBB273_1424
.LBB273_1422:
	s_mov_b64 s[0:1], -1
                                        ; implicit-def: $vgpr12
.LBB273_1423:
	s_mov_b64 s[12:13], 0
.LBB273_1424:
	s_and_b64 vcc, exec, s[12:13]
	s_cbranch_vccz .LBB273_1442
; %bb.1425:
	s_cmp_lt_i32 s18, 27
	s_cbranch_scc1 .LBB273_1428
; %bb.1426:
	s_cmp_gt_i32 s18, 27
	s_cbranch_scc0 .LBB273_1429
; %bb.1427:
	global_load_dword v5, v[10:11], off
	s_movk_i32 s10, 0x7fff
	s_waitcnt vmcnt(0)
	v_cvt_f32_u32_e32 v5, v5
	v_bfe_u32 v7, v5, 16, 1
	v_add3_u32 v5, v5, v7, s10
	v_lshrrev_b32_e32 v12, 16, v5
	s_mov_b64 s[10:11], 0
	s_branch .LBB273_1430
.LBB273_1428:
	s_mov_b64 s[10:11], -1
                                        ; implicit-def: $vgpr12
	s_branch .LBB273_1433
.LBB273_1429:
	s_mov_b64 s[10:11], -1
                                        ; implicit-def: $vgpr12
.LBB273_1430:
	s_andn2_b64 vcc, exec, s[10:11]
	s_cbranch_vccnz .LBB273_1432
; %bb.1431:
	global_load_ushort v5, v[10:11], off
	s_movk_i32 s10, 0x7fff
	s_waitcnt vmcnt(0)
	v_cvt_f32_u32_e32 v5, v5
	v_bfe_u32 v7, v5, 16, 1
	v_add3_u32 v5, v5, v7, s10
	v_lshrrev_b32_e32 v12, 16, v5
.LBB273_1432:
	s_mov_b64 s[10:11], 0
.LBB273_1433:
	s_andn2_b64 vcc, exec, s[10:11]
	s_cbranch_vccnz .LBB273_1441
; %bb.1434:
	global_load_ubyte v5, v[10:11], off
	s_movk_i32 s10, 0x7f
	s_waitcnt vmcnt(0)
	v_cmp_lt_i16_e32 vcc, s10, v5
	s_mov_b64 s[10:11], 0
	s_and_saveexec_b64 s[12:13], vcc
	s_xor_b64 s[12:13], exec, s[12:13]
	s_cbranch_execz .LBB273_1455
; %bb.1435:
	s_movk_i32 s10, 0x80
	v_cmp_eq_u16_e32 vcc, s10, v5
	s_mov_b64 s[10:11], -1
	s_and_saveexec_b64 s[14:15], vcc
; %bb.1436:
	s_xor_b64 s[10:11], exec, -1
; %bb.1437:
	s_or_b64 exec, exec, s[14:15]
	s_and_b64 s[10:11], s[10:11], exec
	s_or_saveexec_b64 s[12:13], s[12:13]
	v_mov_b32_e32 v7, 0x7f800001
	s_xor_b64 exec, exec, s[12:13]
	s_cbranch_execnz .LBB273_1456
.LBB273_1438:
	s_or_b64 exec, exec, s[12:13]
	s_and_saveexec_b64 s[12:13], s[10:11]
	s_cbranch_execz .LBB273_1440
.LBB273_1439:
	v_lshlrev_b32_e32 v7, 24, v5
	v_and_b32_e32 v5, 0xffff, v5
	v_and_b32_e32 v9, 7, v5
	v_ffbh_u32_e32 v13, v9
	v_min_u32_e32 v13, 32, v13
	v_subrev_u32_e32 v14, 28, v13
	v_bfe_u32 v12, v5, 3, 4
	v_lshlrev_b32_e32 v5, v14, v5
	v_sub_u32_e32 v13, 29, v13
	v_and_b32_e32 v5, 7, v5
	v_cmp_eq_u32_e32 vcc, 0, v12
	v_and_b32_e32 v7, 0x80000000, v7
	s_nop 0
	v_cndmask_b32_e32 v12, v12, v13, vcc
	v_cndmask_b32_e32 v5, v9, v5, vcc
	v_mov_b32_e32 v9, 0x3b800000
	v_lshlrev_b32_e32 v5, 20, v5
	v_lshl_add_u32 v9, v12, 23, v9
	v_or3_b32 v7, v7, v9, v5
.LBB273_1440:
	s_or_b64 exec, exec, s[12:13]
	v_bfe_u32 v5, v7, 16, 1
	s_movk_i32 s10, 0x7fff
	v_add3_u32 v5, v7, v5, s10
	v_cmp_o_f32_e32 vcc, v7, v7
	v_mov_b32_e32 v7, 0x7fc0
	s_nop 0
	v_cndmask_b32_sdwa v12, v7, v5, vcc dst_sel:DWORD dst_unused:UNUSED_PAD src0_sel:DWORD src1_sel:WORD_1
.LBB273_1441:
	s_mov_b64 s[10:11], -1
.LBB273_1442:
	s_mov_b64 s[12:13], 0
.LBB273_1443:
	s_and_b64 vcc, exec, s[12:13]
	s_cbranch_vccz .LBB273_1476
; %bb.1444:
	s_cmp_gt_i32 s18, 22
	s_cbranch_scc0 .LBB273_1454
; %bb.1445:
	s_cmp_lt_i32 s18, 24
	s_cbranch_scc1 .LBB273_1457
; %bb.1446:
	s_cmp_gt_i32 s18, 24
	s_cbranch_scc0 .LBB273_1458
; %bb.1447:
	global_load_ubyte v5, v[10:11], off
	s_movk_i32 s8, 0x7f
	s_waitcnt vmcnt(0)
	v_cmp_lt_i16_e32 vcc, s8, v5
	s_mov_b64 s[8:9], 0
	s_and_saveexec_b64 s[10:11], vcc
	s_xor_b64 s[10:11], exec, s[10:11]
	s_cbranch_execz .LBB273_1470
; %bb.1448:
	s_movk_i32 s8, 0x80
	v_cmp_eq_u16_e32 vcc, s8, v5
	s_mov_b64 s[8:9], -1
	s_and_saveexec_b64 s[12:13], vcc
; %bb.1449:
	s_xor_b64 s[8:9], exec, -1
; %bb.1450:
	s_or_b64 exec, exec, s[12:13]
	s_and_b64 s[8:9], s[8:9], exec
	s_or_saveexec_b64 s[10:11], s[10:11]
	v_mov_b32_e32 v7, 0x7f800001
	s_xor_b64 exec, exec, s[10:11]
	s_cbranch_execnz .LBB273_1471
.LBB273_1451:
	s_or_b64 exec, exec, s[10:11]
	s_and_saveexec_b64 s[10:11], s[8:9]
	s_cbranch_execz .LBB273_1453
.LBB273_1452:
	v_lshlrev_b32_e32 v7, 24, v5
	v_and_b32_e32 v5, 0xffff, v5
	v_and_b32_e32 v9, 3, v5
	v_ffbh_u32_e32 v13, v9
	v_min_u32_e32 v13, 32, v13
	v_subrev_u32_e32 v14, 29, v13
	v_bfe_u32 v12, v5, 2, 5
	v_lshlrev_b32_e32 v5, v14, v5
	v_sub_u32_e32 v13, 30, v13
	v_and_b32_e32 v5, 3, v5
	v_cmp_eq_u32_e32 vcc, 0, v12
	v_and_b32_e32 v7, 0x80000000, v7
	s_nop 0
	v_cndmask_b32_e32 v12, v12, v13, vcc
	v_cndmask_b32_e32 v5, v9, v5, vcc
	v_mov_b32_e32 v9, 0x37800000
	v_lshlrev_b32_e32 v5, 21, v5
	v_lshl_add_u32 v9, v12, 23, v9
	v_or3_b32 v7, v7, v9, v5
.LBB273_1453:
	s_or_b64 exec, exec, s[10:11]
	v_bfe_u32 v5, v7, 16, 1
	s_movk_i32 s8, 0x7fff
	v_add3_u32 v5, v7, v5, s8
	v_cmp_o_f32_e32 vcc, v7, v7
	v_mov_b32_e32 v7, 0x7fc0
	s_mov_b64 s[8:9], 0
	v_cndmask_b32_sdwa v12, v7, v5, vcc dst_sel:DWORD dst_unused:UNUSED_PAD src0_sel:DWORD src1_sel:WORD_1
	s_branch .LBB273_1459
.LBB273_1454:
	s_mov_b64 s[8:9], -1
                                        ; implicit-def: $vgpr12
	s_branch .LBB273_1465
.LBB273_1455:
	s_or_saveexec_b64 s[12:13], s[12:13]
	v_mov_b32_e32 v7, 0x7f800001
	s_xor_b64 exec, exec, s[12:13]
	s_cbranch_execz .LBB273_1438
.LBB273_1456:
	v_cmp_ne_u16_e32 vcc, 0, v5
	s_andn2_b64 s[10:11], s[10:11], exec
	s_and_b64 s[14:15], vcc, exec
	v_mov_b32_e32 v7, 0
	s_or_b64 s[10:11], s[10:11], s[14:15]
	s_or_b64 exec, exec, s[12:13]
	s_and_saveexec_b64 s[12:13], s[10:11]
	s_cbranch_execnz .LBB273_1439
	s_branch .LBB273_1440
.LBB273_1457:
	s_mov_b64 s[8:9], -1
                                        ; implicit-def: $vgpr12
	s_branch .LBB273_1462
.LBB273_1458:
	s_mov_b64 s[8:9], -1
                                        ; implicit-def: $vgpr12
.LBB273_1459:
	s_and_b64 vcc, exec, s[8:9]
	s_cbranch_vccz .LBB273_1461
; %bb.1460:
	global_load_ubyte v5, v[10:11], off
	s_mov_b32 s8, 0x7f800000
	s_brev_b32 s9, 1
	s_movk_i32 s10, 0x7fff
	s_waitcnt vmcnt(0)
	v_lshlrev_b32_e32 v5, 24, v5
	v_and_b32_e32 v7, 0x7f000000, v5
	v_ffbh_u32_e32 v9, v7
	v_min_u32_e32 v9, 32, v9
	v_sub_u32_e64 v9, v9, 4 clamp
	v_lshlrev_b32_e32 v13, v9, v7
	v_lshlrev_b32_e32 v9, 23, v9
	v_lshrrev_b32_e32 v13, 4, v13
	v_add_u32_e32 v12, 0x1000000, v7
	v_sub_u32_e32 v9, v13, v9
	v_ashrrev_i32_e32 v12, 8, v12
	v_add_u32_e32 v9, 0x3c000000, v9
	v_and_or_b32 v9, v12, s8, v9
	v_cmp_ne_u32_e32 vcc, 0, v7
	s_nop 1
	v_cndmask_b32_e32 v7, 0, v9, vcc
	v_and_or_b32 v5, v5, s9, v7
	v_bfe_u32 v7, v7, 16, 1
	v_add3_u32 v7, v5, v7, s10
	v_cmp_o_f32_e32 vcc, v5, v5
	v_mov_b32_e32 v5, 0x7fc0
	s_nop 0
	v_cndmask_b32_sdwa v12, v5, v7, vcc dst_sel:DWORD dst_unused:UNUSED_PAD src0_sel:DWORD src1_sel:WORD_1
.LBB273_1461:
	s_mov_b64 s[8:9], 0
.LBB273_1462:
	s_andn2_b64 vcc, exec, s[8:9]
	s_cbranch_vccnz .LBB273_1464
; %bb.1463:
	global_load_ubyte v5, v[10:11], off
	s_movk_i32 s8, 0x7f00
	s_brev_b32 s9, 16
	s_brev_b32 s10, 1
	s_movk_i32 s11, 0x7fff
	s_waitcnt vmcnt(0)
	v_lshlrev_b16_e32 v7, 8, v5
	v_lshlrev_b32_e32 v5, 25, v5
	v_lshrrev_b32_e32 v9, 4, v5
	v_and_or_b32 v12, v7, s8, 0.5
	v_or_b32_e32 v9, 0x70000000, v9
	v_add_f32_e32 v12, -0.5, v12
	v_mul_f32_e32 v9, 0x7800000, v9
	v_cmp_gt_u32_e32 vcc, s9, v5
	v_bfe_i32 v7, v7, 0, 16
	s_nop 0
	v_cndmask_b32_e32 v5, v9, v12, vcc
	v_and_or_b32 v7, v7, s10, v5
	v_bfe_u32 v5, v5, 16, 1
	v_add3_u32 v5, v7, v5, s11
	v_cmp_o_f32_e32 vcc, v7, v7
	v_mov_b32_e32 v7, 0x7fc0
	s_nop 0
	v_cndmask_b32_sdwa v12, v7, v5, vcc dst_sel:DWORD dst_unused:UNUSED_PAD src0_sel:DWORD src1_sel:WORD_1
.LBB273_1464:
	s_mov_b64 s[8:9], 0
	s_mov_b64 s[10:11], -1
.LBB273_1465:
	s_andn2_b64 vcc, exec, s[8:9]
	s_mov_b64 s[8:9], 0
	s_cbranch_vccnz .LBB273_1476
; %bb.1466:
	s_cmp_gt_i32 s18, 14
	s_cbranch_scc0 .LBB273_1469
; %bb.1467:
	s_cmp_eq_u32 s18, 15
	s_cbranch_scc0 .LBB273_1472
; %bb.1468:
	global_load_ushort v12, v[10:11], off
	s_mov_b64 s[0:1], 0
	s_mov_b64 s[10:11], -1
	s_branch .LBB273_1473
.LBB273_1469:
	s_mov_b64 s[12:13], -1
                                        ; implicit-def: $vgpr12
	s_branch .LBB273_1474
.LBB273_1470:
	s_or_saveexec_b64 s[10:11], s[10:11]
	v_mov_b32_e32 v7, 0x7f800001
	s_xor_b64 exec, exec, s[10:11]
	s_cbranch_execz .LBB273_1451
.LBB273_1471:
	v_cmp_ne_u16_e32 vcc, 0, v5
	s_andn2_b64 s[8:9], s[8:9], exec
	s_and_b64 s[12:13], vcc, exec
	v_mov_b32_e32 v7, 0
	s_or_b64 s[8:9], s[8:9], s[12:13]
	s_or_b64 exec, exec, s[10:11]
	s_and_saveexec_b64 s[10:11], s[8:9]
	s_cbranch_execnz .LBB273_1452
	s_branch .LBB273_1453
.LBB273_1472:
	s_mov_b64 s[0:1], -1
                                        ; implicit-def: $vgpr12
.LBB273_1473:
	s_mov_b64 s[12:13], 0
.LBB273_1474:
	s_and_b64 vcc, exec, s[12:13]
	s_cbranch_vccz .LBB273_1476
; %bb.1475:
	s_cmp_lg_u32 s18, 11
	s_mov_b64 s[8:9], -1
	s_cselect_b64 s[0:1], -1, 0
.LBB273_1476:
	s_and_b64 vcc, exec, s[0:1]
	s_cbranch_vccnz .LBB273_1539
; %bb.1477:
	s_andn2_b64 vcc, exec, s[8:9]
	s_cbranch_vccnz .LBB273_1479
.LBB273_1478:
	global_load_ubyte v5, v[10:11], off
	s_mov_b64 s[10:11], -1
	s_waitcnt vmcnt(0)
	v_cmp_ne_u16_e32 vcc, 0, v5
	s_nop 1
	v_cndmask_b32_e64 v5, 0, 1.0, vcc
	v_lshrrev_b32_e32 v12, 16, v5
.LBB273_1479:
	s_branch .LBB273_1407
.LBB273_1480:
	s_and_b32 s8, 0xffff, s17
	s_cmp_lt_i32 s8, 5
	s_cbranch_scc1 .LBB273_1485
; %bb.1481:
	s_cmp_lt_i32 s8, 8
	s_cbranch_scc1 .LBB273_1486
; %bb.1482:
	;; [unrolled: 3-line block ×3, first 2 shown]
	s_cmp_gt_i32 s8, 9
	s_cbranch_scc0 .LBB273_1488
; %bb.1484:
	global_load_dwordx2 v[12:13], v[10:11], off
	s_movk_i32 s0, 0x7fff
	v_mov_b32_e32 v5, 0x7fc0
	s_waitcnt vmcnt(0)
	v_cvt_f32_f64_e32 v7, v[12:13]
	v_bfe_u32 v9, v7, 16, 1
	v_cmp_o_f32_e32 vcc, v7, v7
	v_add3_u32 v7, v7, v9, s0
	s_mov_b64 s[0:1], 0
	v_cndmask_b32_sdwa v12, v5, v7, vcc dst_sel:DWORD dst_unused:UNUSED_PAD src0_sel:DWORD src1_sel:WORD_1
	s_branch .LBB273_1489
.LBB273_1485:
	s_mov_b64 s[0:1], -1
                                        ; implicit-def: $vgpr12
	s_branch .LBB273_1507
.LBB273_1486:
	s_mov_b64 s[0:1], -1
                                        ; implicit-def: $vgpr12
	s_branch .LBB273_1495
.LBB273_1487:
	s_mov_b64 s[0:1], -1
                                        ; implicit-def: $vgpr12
	s_branch .LBB273_1492
.LBB273_1488:
	s_mov_b64 s[0:1], -1
                                        ; implicit-def: $vgpr12
.LBB273_1489:
	s_andn2_b64 vcc, exec, s[0:1]
	s_cbranch_vccnz .LBB273_1491
; %bb.1490:
	global_load_dword v5, v[10:11], off
	s_movk_i32 s0, 0x7fff
	v_mov_b32_e32 v7, 0x7fc0
	s_waitcnt vmcnt(0)
	v_bfe_u32 v9, v5, 16, 1
	v_cmp_o_f32_e32 vcc, v5, v5
	v_add3_u32 v5, v5, v9, s0
	s_nop 0
	v_cndmask_b32_sdwa v12, v7, v5, vcc dst_sel:DWORD dst_unused:UNUSED_PAD src0_sel:DWORD src1_sel:WORD_1
.LBB273_1491:
	s_mov_b64 s[0:1], 0
.LBB273_1492:
	s_andn2_b64 vcc, exec, s[0:1]
	s_cbranch_vccnz .LBB273_1494
; %bb.1493:
	global_load_dword v5, v[10:11], off
	s_movk_i32 s0, 0x7fff
	v_mov_b32_e32 v9, 0x7fc0
	s_waitcnt vmcnt(0)
	v_cvt_f32_f16_e32 v7, v5
	v_cmp_o_f16_e32 vcc, v5, v5
	v_bfe_u32 v5, v7, 16, 1
	v_add3_u32 v5, v7, v5, s0
	v_cndmask_b32_sdwa v12, v9, v5, vcc dst_sel:DWORD dst_unused:UNUSED_PAD src0_sel:DWORD src1_sel:WORD_1
.LBB273_1494:
	s_mov_b64 s[0:1], 0
.LBB273_1495:
	s_andn2_b64 vcc, exec, s[0:1]
	s_cbranch_vccnz .LBB273_1506
; %bb.1496:
	s_cmp_lt_i32 s8, 6
	s_cbranch_scc1 .LBB273_1499
; %bb.1497:
	s_cmp_gt_i32 s8, 6
	s_cbranch_scc0 .LBB273_1500
; %bb.1498:
	global_load_dwordx2 v[12:13], v[10:11], off
	s_movk_i32 s0, 0x7fff
	v_mov_b32_e32 v5, 0x7fc0
	s_waitcnt vmcnt(0)
	v_cvt_f32_f64_e32 v7, v[12:13]
	v_bfe_u32 v9, v7, 16, 1
	v_cmp_o_f32_e32 vcc, v7, v7
	v_add3_u32 v7, v7, v9, s0
	s_mov_b64 s[0:1], 0
	v_cndmask_b32_sdwa v12, v5, v7, vcc dst_sel:DWORD dst_unused:UNUSED_PAD src0_sel:DWORD src1_sel:WORD_1
	s_branch .LBB273_1501
.LBB273_1499:
	s_mov_b64 s[0:1], -1
                                        ; implicit-def: $vgpr12
	s_branch .LBB273_1504
.LBB273_1500:
	s_mov_b64 s[0:1], -1
                                        ; implicit-def: $vgpr12
.LBB273_1501:
	s_andn2_b64 vcc, exec, s[0:1]
	s_cbranch_vccnz .LBB273_1503
; %bb.1502:
	global_load_dword v5, v[10:11], off
	s_movk_i32 s0, 0x7fff
	v_mov_b32_e32 v7, 0x7fc0
	s_waitcnt vmcnt(0)
	v_bfe_u32 v9, v5, 16, 1
	v_cmp_o_f32_e32 vcc, v5, v5
	v_add3_u32 v5, v5, v9, s0
	s_nop 0
	v_cndmask_b32_sdwa v12, v7, v5, vcc dst_sel:DWORD dst_unused:UNUSED_PAD src0_sel:DWORD src1_sel:WORD_1
.LBB273_1503:
	s_mov_b64 s[0:1], 0
.LBB273_1504:
	s_andn2_b64 vcc, exec, s[0:1]
	s_cbranch_vccnz .LBB273_1506
; %bb.1505:
	global_load_ushort v5, v[10:11], off
	s_movk_i32 s0, 0x7fff
	v_mov_b32_e32 v9, 0x7fc0
	s_waitcnt vmcnt(0)
	v_cvt_f32_f16_e32 v7, v5
	v_cmp_o_f16_e32 vcc, v5, v5
	v_bfe_u32 v5, v7, 16, 1
	v_add3_u32 v5, v7, v5, s0
	v_cndmask_b32_sdwa v12, v9, v5, vcc dst_sel:DWORD dst_unused:UNUSED_PAD src0_sel:DWORD src1_sel:WORD_1
.LBB273_1506:
	s_mov_b64 s[0:1], 0
.LBB273_1507:
	s_andn2_b64 vcc, exec, s[0:1]
	s_cbranch_vccnz .LBB273_1527
; %bb.1508:
	s_cmp_lt_i32 s8, 2
	s_cbranch_scc1 .LBB273_1512
; %bb.1509:
	s_cmp_lt_i32 s8, 3
	s_cbranch_scc1 .LBB273_1513
; %bb.1510:
	s_cmp_gt_i32 s8, 3
	s_cbranch_scc0 .LBB273_1514
; %bb.1511:
	global_load_dwordx2 v[12:13], v[10:11], off
	s_movk_i32 s0, 0x7fff
	s_waitcnt vmcnt(0)
	v_xor_b32_e32 v7, v12, v13
	v_ffbh_i32_e32 v5, v13
	v_ashrrev_i32_e32 v7, 31, v7
	v_add_u32_e32 v5, -1, v5
	v_add_u32_e32 v7, 32, v7
	v_min_u32_e32 v5, v5, v7
	v_lshlrev_b64 v[12:13], v5, v[12:13]
	v_min_u32_e32 v7, 1, v12
	v_or_b32_e32 v7, v13, v7
	v_cvt_f32_i32_e32 v7, v7
	v_sub_u32_e32 v5, 32, v5
	v_ldexp_f32 v5, v7, v5
	v_bfe_u32 v7, v5, 16, 1
	v_add3_u32 v5, v5, v7, s0
	v_lshrrev_b32_e32 v12, 16, v5
	s_mov_b64 s[0:1], 0
	s_branch .LBB273_1515
.LBB273_1512:
	s_mov_b64 s[0:1], -1
                                        ; implicit-def: $vgpr12
	s_branch .LBB273_1521
.LBB273_1513:
	s_mov_b64 s[0:1], -1
                                        ; implicit-def: $vgpr12
	s_branch .LBB273_1518
.LBB273_1514:
	s_mov_b64 s[0:1], -1
                                        ; implicit-def: $vgpr12
.LBB273_1515:
	s_andn2_b64 vcc, exec, s[0:1]
	s_cbranch_vccnz .LBB273_1517
; %bb.1516:
	global_load_dword v5, v[10:11], off
	s_movk_i32 s0, 0x7fff
	s_waitcnt vmcnt(0)
	v_cvt_f32_i32_e32 v5, v5
	v_bfe_u32 v7, v5, 16, 1
	v_add3_u32 v5, v5, v7, s0
	v_lshrrev_b32_e32 v12, 16, v5
.LBB273_1517:
	s_mov_b64 s[0:1], 0
.LBB273_1518:
	s_andn2_b64 vcc, exec, s[0:1]
	s_cbranch_vccnz .LBB273_1520
; %bb.1519:
	global_load_sshort v5, v[10:11], off
	s_movk_i32 s0, 0x7fff
	s_waitcnt vmcnt(0)
	v_cvt_f32_i32_e32 v5, v5
	v_bfe_u32 v7, v5, 16, 1
	v_add3_u32 v5, v5, v7, s0
	v_lshrrev_b32_e32 v12, 16, v5
.LBB273_1520:
	s_mov_b64 s[0:1], 0
.LBB273_1521:
	s_andn2_b64 vcc, exec, s[0:1]
	s_cbranch_vccnz .LBB273_1527
; %bb.1522:
	s_cmp_gt_i32 s8, 0
	s_cbranch_scc0 .LBB273_1524
; %bb.1523:
	global_load_sbyte v5, v[10:11], off
	s_movk_i32 s0, 0x7fff
	s_waitcnt vmcnt(0)
	v_cvt_f32_i32_e32 v5, v5
	v_bfe_u32 v7, v5, 16, 1
	v_add3_u32 v5, v5, v7, s0
	v_lshrrev_b32_e32 v12, 16, v5
	s_mov_b64 s[0:1], 0
	s_branch .LBB273_1525
.LBB273_1524:
	s_mov_b64 s[0:1], -1
                                        ; implicit-def: $vgpr12
.LBB273_1525:
	s_andn2_b64 vcc, exec, s[0:1]
	s_cbranch_vccnz .LBB273_1527
; %bb.1526:
	global_load_ubyte v5, v[10:11], off
	s_movk_i32 s0, 0x7fff
	s_waitcnt vmcnt(0)
	v_cvt_f32_ubyte0_e32 v5, v5
	v_bfe_u32 v7, v5, 16, 1
	v_add3_u32 v5, v5, v7, s0
	v_lshrrev_b32_e32 v12, 16, v5
.LBB273_1527:
.LBB273_1528:
	v_mov_b32_e32 v9, 0
	s_cmp_lt_i32 s17, 11
	v_lshl_add_u64 v[8:9], s[6:7], 0, v[8:9]
	s_cbranch_scc1 .LBB273_1535
; %bb.1529:
	s_and_b32 s14, 0xffff, s17
	s_cmp_gt_i32 s14, 25
	s_mov_b64 s[6:7], 0
	s_cbranch_scc0 .LBB273_1536
; %bb.1530:
	s_cmp_gt_i32 s14, 28
	s_cbranch_scc0 .LBB273_1537
; %bb.1531:
	s_cmp_gt_i32 s14, 43
	s_cbranch_scc0 .LBB273_1538
; %bb.1532:
	s_cmp_gt_i32 s14, 45
	s_cbranch_scc0 .LBB273_1540
; %bb.1533:
	s_cmp_eq_u32 s14, 46
	s_mov_b64 s[10:11], 0
	s_cbranch_scc0 .LBB273_1541
; %bb.1534:
	global_load_dword v10, v[8:9], off
	s_mov_b64 s[0:1], 0
	s_mov_b64 s[8:9], -1
	s_branch .LBB273_1542
.LBB273_1535:
	s_mov_b64 s[0:1], -1
	s_mov_b64 s[8:9], 0
                                        ; implicit-def: $vgpr10
	s_branch .LBB273_1608
.LBB273_1536:
	s_mov_b64 s[10:11], -1
	s_mov_b64 s[8:9], 0
	s_mov_b64 s[0:1], 0
                                        ; implicit-def: $vgpr10
	s_branch .LBB273_1571
.LBB273_1537:
	s_mov_b64 s[10:11], -1
	s_mov_b64 s[8:9], 0
	s_mov_b64 s[0:1], 0
                                        ; implicit-def: $vgpr10
	s_branch .LBB273_1552
.LBB273_1538:
	s_mov_b64 s[10:11], -1
	s_mov_b64 s[8:9], 0
	s_mov_b64 s[0:1], 0
                                        ; implicit-def: $vgpr10
	s_branch .LBB273_1547
.LBB273_1539:
	s_trap 2
	s_or_b64 s[2:3], s[2:3], exec
	s_cbranch_execz .LBB273_1478
	s_branch .LBB273_1479
.LBB273_1540:
	s_mov_b64 s[10:11], -1
	s_mov_b64 s[8:9], 0
	s_mov_b64 s[0:1], 0
                                        ; implicit-def: $vgpr10
	s_branch .LBB273_1542
.LBB273_1541:
	s_mov_b64 s[0:1], -1
                                        ; implicit-def: $vgpr10
	s_mov_b64 s[8:9], 0
.LBB273_1542:
	s_and_b64 vcc, exec, s[10:11]
	s_cbranch_vccz .LBB273_1546
; %bb.1543:
	s_cmp_eq_u32 s14, 44
	s_cbranch_scc0 .LBB273_1545
; %bb.1544:
	global_load_ubyte v5, v[8:9], off
	s_movk_i32 s8, 0xff
	v_mov_b32_e32 v7, 0x7f800001
	s_waitcnt vmcnt(1)
	v_mov_b32_e32 v10, 0x400000
	v_mov_b32_e32 v11, 0x7fc0
	s_mov_b64 s[0:1], 0
	s_waitcnt vmcnt(0)
	v_lshlrev_b32_e32 v13, 23, v5
	v_cmp_ne_u32_e32 vcc, s8, v5
	s_mov_b64 s[8:9], -1
	s_nop 0
	v_cndmask_b32_e32 v7, v7, v13, vcc
	v_cmp_ne_u32_e32 vcc, 0, v5
	s_nop 1
	v_cndmask_b32_e32 v5, v10, v7, vcc
	v_add_u32_e32 v7, 0x7fff, v5
	v_cmp_o_f32_e32 vcc, v5, v5
	s_nop 1
	v_cndmask_b32_sdwa v10, v11, v7, vcc dst_sel:DWORD dst_unused:UNUSED_PAD src0_sel:DWORD src1_sel:WORD_1
	s_branch .LBB273_1546
.LBB273_1545:
	s_mov_b64 s[0:1], -1
                                        ; implicit-def: $vgpr10
.LBB273_1546:
	s_mov_b64 s[10:11], 0
.LBB273_1547:
	s_and_b64 vcc, exec, s[10:11]
	s_cbranch_vccz .LBB273_1551
; %bb.1548:
	s_cmp_eq_u32 s14, 29
	s_cbranch_scc0 .LBB273_1550
; %bb.1549:
	global_load_dwordx2 v[10:11], v[8:9], off
	s_movk_i32 s8, 0x7fff
	s_mov_b64 s[0:1], 0
	s_mov_b64 s[10:11], 0
	s_waitcnt vmcnt(0)
	v_ffbh_u32_e32 v5, v11
	v_min_u32_e32 v5, 32, v5
	v_lshlrev_b64 v[10:11], v5, v[10:11]
	v_min_u32_e32 v7, 1, v10
	v_or_b32_e32 v7, v11, v7
	v_cvt_f32_u32_e32 v7, v7
	v_sub_u32_e32 v5, 32, v5
	v_ldexp_f32 v5, v7, v5
	v_bfe_u32 v7, v5, 16, 1
	v_add3_u32 v5, v5, v7, s8
	v_lshrrev_b32_e32 v10, 16, v5
	s_mov_b64 s[8:9], -1
	s_branch .LBB273_1552
.LBB273_1550:
	s_mov_b64 s[0:1], -1
                                        ; implicit-def: $vgpr10
.LBB273_1551:
	s_mov_b64 s[10:11], 0
.LBB273_1552:
	s_and_b64 vcc, exec, s[10:11]
	s_cbranch_vccz .LBB273_1570
; %bb.1553:
	s_cmp_lt_i32 s14, 27
	s_cbranch_scc1 .LBB273_1556
; %bb.1554:
	s_cmp_gt_i32 s14, 27
	s_cbranch_scc0 .LBB273_1557
; %bb.1555:
	global_load_dword v5, v[8:9], off
	s_movk_i32 s8, 0x7fff
	s_waitcnt vmcnt(0)
	v_cvt_f32_u32_e32 v5, v5
	v_bfe_u32 v7, v5, 16, 1
	v_add3_u32 v5, v5, v7, s8
	v_lshrrev_b32_e32 v10, 16, v5
	s_mov_b64 s[8:9], 0
	s_branch .LBB273_1558
.LBB273_1556:
	s_mov_b64 s[8:9], -1
                                        ; implicit-def: $vgpr10
	s_branch .LBB273_1561
.LBB273_1557:
	s_mov_b64 s[8:9], -1
                                        ; implicit-def: $vgpr10
.LBB273_1558:
	s_andn2_b64 vcc, exec, s[8:9]
	s_cbranch_vccnz .LBB273_1560
; %bb.1559:
	global_load_ushort v5, v[8:9], off
	s_movk_i32 s8, 0x7fff
	s_waitcnt vmcnt(0)
	v_cvt_f32_u32_e32 v5, v5
	v_bfe_u32 v7, v5, 16, 1
	v_add3_u32 v5, v5, v7, s8
	v_lshrrev_b32_e32 v10, 16, v5
.LBB273_1560:
	s_mov_b64 s[8:9], 0
.LBB273_1561:
	s_andn2_b64 vcc, exec, s[8:9]
	s_cbranch_vccnz .LBB273_1569
; %bb.1562:
	global_load_ubyte v5, v[8:9], off
	s_movk_i32 s8, 0x7f
	s_waitcnt vmcnt(0)
	v_cmp_lt_i16_e32 vcc, s8, v5
	s_mov_b64 s[8:9], 0
	s_and_saveexec_b64 s[10:11], vcc
	s_xor_b64 s[10:11], exec, s[10:11]
	s_cbranch_execz .LBB273_1583
; %bb.1563:
	s_movk_i32 s8, 0x80
	v_cmp_eq_u16_e32 vcc, s8, v5
	s_mov_b64 s[8:9], -1
	s_and_saveexec_b64 s[12:13], vcc
; %bb.1564:
	s_xor_b64 s[8:9], exec, -1
; %bb.1565:
	s_or_b64 exec, exec, s[12:13]
	s_and_b64 s[8:9], s[8:9], exec
	s_or_saveexec_b64 s[10:11], s[10:11]
	v_mov_b32_e32 v7, 0x7f800001
	s_xor_b64 exec, exec, s[10:11]
	s_cbranch_execnz .LBB273_1584
.LBB273_1566:
	s_or_b64 exec, exec, s[10:11]
	s_and_saveexec_b64 s[10:11], s[8:9]
	s_cbranch_execz .LBB273_1568
.LBB273_1567:
	v_lshlrev_b32_e32 v7, 24, v5
	v_and_b32_e32 v5, 0xffff, v5
	v_and_b32_e32 v10, 7, v5
	v_ffbh_u32_e32 v13, v10
	v_min_u32_e32 v13, 32, v13
	v_subrev_u32_e32 v14, 28, v13
	v_bfe_u32 v11, v5, 3, 4
	v_lshlrev_b32_e32 v5, v14, v5
	v_sub_u32_e32 v13, 29, v13
	v_and_b32_e32 v5, 7, v5
	v_cmp_eq_u32_e32 vcc, 0, v11
	v_and_b32_e32 v7, 0x80000000, v7
	s_nop 0
	v_cndmask_b32_e32 v11, v11, v13, vcc
	v_cndmask_b32_e32 v5, v10, v5, vcc
	v_mov_b32_e32 v10, 0x3b800000
	v_lshlrev_b32_e32 v5, 20, v5
	v_lshl_add_u32 v10, v11, 23, v10
	v_or3_b32 v7, v7, v10, v5
.LBB273_1568:
	s_or_b64 exec, exec, s[10:11]
	v_bfe_u32 v5, v7, 16, 1
	s_movk_i32 s8, 0x7fff
	v_add3_u32 v5, v7, v5, s8
	v_cmp_o_f32_e32 vcc, v7, v7
	v_mov_b32_e32 v7, 0x7fc0
	s_nop 0
	v_cndmask_b32_sdwa v10, v7, v5, vcc dst_sel:DWORD dst_unused:UNUSED_PAD src0_sel:DWORD src1_sel:WORD_1
.LBB273_1569:
	s_mov_b64 s[8:9], -1
.LBB273_1570:
	s_mov_b64 s[10:11], 0
.LBB273_1571:
	s_and_b64 vcc, exec, s[10:11]
	s_cbranch_vccz .LBB273_1604
; %bb.1572:
	s_cmp_gt_i32 s14, 22
	s_cbranch_scc0 .LBB273_1582
; %bb.1573:
	s_cmp_lt_i32 s14, 24
	s_cbranch_scc1 .LBB273_1585
; %bb.1574:
	s_cmp_gt_i32 s14, 24
	s_cbranch_scc0 .LBB273_1586
; %bb.1575:
	global_load_ubyte v5, v[8:9], off
	s_movk_i32 s6, 0x7f
	s_waitcnt vmcnt(0)
	v_cmp_lt_i16_e32 vcc, s6, v5
	s_mov_b64 s[6:7], 0
	s_and_saveexec_b64 s[8:9], vcc
	s_xor_b64 s[8:9], exec, s[8:9]
	s_cbranch_execz .LBB273_1598
; %bb.1576:
	s_movk_i32 s6, 0x80
	v_cmp_eq_u16_e32 vcc, s6, v5
	s_mov_b64 s[6:7], -1
	s_and_saveexec_b64 s[10:11], vcc
; %bb.1577:
	s_xor_b64 s[6:7], exec, -1
; %bb.1578:
	s_or_b64 exec, exec, s[10:11]
	s_and_b64 s[6:7], s[6:7], exec
	s_or_saveexec_b64 s[8:9], s[8:9]
	v_mov_b32_e32 v7, 0x7f800001
	s_xor_b64 exec, exec, s[8:9]
	s_cbranch_execnz .LBB273_1599
.LBB273_1579:
	s_or_b64 exec, exec, s[8:9]
	s_and_saveexec_b64 s[8:9], s[6:7]
	s_cbranch_execz .LBB273_1581
.LBB273_1580:
	v_lshlrev_b32_e32 v7, 24, v5
	v_and_b32_e32 v5, 0xffff, v5
	v_and_b32_e32 v10, 3, v5
	v_ffbh_u32_e32 v13, v10
	v_min_u32_e32 v13, 32, v13
	v_subrev_u32_e32 v14, 29, v13
	v_bfe_u32 v11, v5, 2, 5
	v_lshlrev_b32_e32 v5, v14, v5
	v_sub_u32_e32 v13, 30, v13
	v_and_b32_e32 v5, 3, v5
	v_cmp_eq_u32_e32 vcc, 0, v11
	v_and_b32_e32 v7, 0x80000000, v7
	s_nop 0
	v_cndmask_b32_e32 v11, v11, v13, vcc
	v_cndmask_b32_e32 v5, v10, v5, vcc
	v_mov_b32_e32 v10, 0x37800000
	v_lshlrev_b32_e32 v5, 21, v5
	v_lshl_add_u32 v10, v11, 23, v10
	v_or3_b32 v7, v7, v10, v5
.LBB273_1581:
	s_or_b64 exec, exec, s[8:9]
	v_bfe_u32 v5, v7, 16, 1
	s_movk_i32 s6, 0x7fff
	v_add3_u32 v5, v7, v5, s6
	v_cmp_o_f32_e32 vcc, v7, v7
	v_mov_b32_e32 v7, 0x7fc0
	s_mov_b64 s[6:7], 0
	v_cndmask_b32_sdwa v10, v7, v5, vcc dst_sel:DWORD dst_unused:UNUSED_PAD src0_sel:DWORD src1_sel:WORD_1
	s_branch .LBB273_1587
.LBB273_1582:
	s_mov_b64 s[6:7], -1
                                        ; implicit-def: $vgpr10
	s_branch .LBB273_1593
.LBB273_1583:
	s_or_saveexec_b64 s[10:11], s[10:11]
	v_mov_b32_e32 v7, 0x7f800001
	s_xor_b64 exec, exec, s[10:11]
	s_cbranch_execz .LBB273_1566
.LBB273_1584:
	v_cmp_ne_u16_e32 vcc, 0, v5
	s_andn2_b64 s[8:9], s[8:9], exec
	s_and_b64 s[12:13], vcc, exec
	v_mov_b32_e32 v7, 0
	s_or_b64 s[8:9], s[8:9], s[12:13]
	s_or_b64 exec, exec, s[10:11]
	s_and_saveexec_b64 s[10:11], s[8:9]
	s_cbranch_execnz .LBB273_1567
	s_branch .LBB273_1568
.LBB273_1585:
	s_mov_b64 s[6:7], -1
                                        ; implicit-def: $vgpr10
	s_branch .LBB273_1590
.LBB273_1586:
	s_mov_b64 s[6:7], -1
                                        ; implicit-def: $vgpr10
.LBB273_1587:
	s_and_b64 vcc, exec, s[6:7]
	s_cbranch_vccz .LBB273_1589
; %bb.1588:
	global_load_ubyte v5, v[8:9], off
	s_mov_b32 s6, 0x7f800000
	s_brev_b32 s7, 1
	s_movk_i32 s8, 0x7fff
	s_waitcnt vmcnt(0)
	v_lshlrev_b32_e32 v5, 24, v5
	v_and_b32_e32 v7, 0x7f000000, v5
	v_ffbh_u32_e32 v10, v7
	v_min_u32_e32 v10, 32, v10
	v_sub_u32_e64 v10, v10, 4 clamp
	v_lshlrev_b32_e32 v13, v10, v7
	v_lshlrev_b32_e32 v10, 23, v10
	v_lshrrev_b32_e32 v13, 4, v13
	v_add_u32_e32 v11, 0x1000000, v7
	v_sub_u32_e32 v10, v13, v10
	v_ashrrev_i32_e32 v11, 8, v11
	v_add_u32_e32 v10, 0x3c000000, v10
	v_and_or_b32 v10, v11, s6, v10
	v_cmp_ne_u32_e32 vcc, 0, v7
	s_nop 1
	v_cndmask_b32_e32 v7, 0, v10, vcc
	v_and_or_b32 v5, v5, s7, v7
	v_bfe_u32 v7, v7, 16, 1
	v_add3_u32 v7, v5, v7, s8
	v_cmp_o_f32_e32 vcc, v5, v5
	v_mov_b32_e32 v5, 0x7fc0
	s_nop 0
	v_cndmask_b32_sdwa v10, v5, v7, vcc dst_sel:DWORD dst_unused:UNUSED_PAD src0_sel:DWORD src1_sel:WORD_1
.LBB273_1589:
	s_mov_b64 s[6:7], 0
.LBB273_1590:
	s_andn2_b64 vcc, exec, s[6:7]
	s_cbranch_vccnz .LBB273_1592
; %bb.1591:
	global_load_ubyte v5, v[8:9], off
	s_movk_i32 s6, 0x7f00
	s_brev_b32 s7, 16
	s_brev_b32 s8, 1
	s_movk_i32 s9, 0x7fff
	s_waitcnt vmcnt(0)
	v_lshlrev_b16_e32 v7, 8, v5
	v_lshlrev_b32_e32 v5, 25, v5
	v_lshrrev_b32_e32 v10, 4, v5
	v_and_or_b32 v11, v7, s6, 0.5
	v_or_b32_e32 v10, 0x70000000, v10
	v_add_f32_e32 v11, -0.5, v11
	v_mul_f32_e32 v10, 0x7800000, v10
	v_cmp_gt_u32_e32 vcc, s7, v5
	v_bfe_i32 v7, v7, 0, 16
	s_nop 0
	v_cndmask_b32_e32 v5, v10, v11, vcc
	v_and_or_b32 v7, v7, s8, v5
	v_bfe_u32 v5, v5, 16, 1
	v_add3_u32 v5, v7, v5, s9
	v_cmp_o_f32_e32 vcc, v7, v7
	v_mov_b32_e32 v7, 0x7fc0
	s_nop 0
	v_cndmask_b32_sdwa v10, v7, v5, vcc dst_sel:DWORD dst_unused:UNUSED_PAD src0_sel:DWORD src1_sel:WORD_1
.LBB273_1592:
	s_mov_b64 s[6:7], 0
	s_mov_b64 s[8:9], -1
.LBB273_1593:
	s_andn2_b64 vcc, exec, s[6:7]
	s_mov_b64 s[6:7], 0
	s_cbranch_vccnz .LBB273_1604
; %bb.1594:
	s_cmp_gt_i32 s14, 14
	s_cbranch_scc0 .LBB273_1597
; %bb.1595:
	s_cmp_eq_u32 s14, 15
	s_cbranch_scc0 .LBB273_1600
; %bb.1596:
	global_load_ushort v10, v[8:9], off
	s_mov_b64 s[0:1], 0
	s_mov_b64 s[8:9], -1
	s_branch .LBB273_1601
.LBB273_1597:
	s_mov_b64 s[10:11], -1
                                        ; implicit-def: $vgpr10
	s_branch .LBB273_1602
.LBB273_1598:
	s_or_saveexec_b64 s[8:9], s[8:9]
	v_mov_b32_e32 v7, 0x7f800001
	s_xor_b64 exec, exec, s[8:9]
	s_cbranch_execz .LBB273_1579
.LBB273_1599:
	v_cmp_ne_u16_e32 vcc, 0, v5
	s_andn2_b64 s[6:7], s[6:7], exec
	s_and_b64 s[10:11], vcc, exec
	v_mov_b32_e32 v7, 0
	s_or_b64 s[6:7], s[6:7], s[10:11]
	s_or_b64 exec, exec, s[8:9]
	s_and_saveexec_b64 s[8:9], s[6:7]
	s_cbranch_execnz .LBB273_1580
	s_branch .LBB273_1581
.LBB273_1600:
	s_mov_b64 s[0:1], -1
                                        ; implicit-def: $vgpr10
.LBB273_1601:
	s_mov_b64 s[10:11], 0
.LBB273_1602:
	s_and_b64 vcc, exec, s[10:11]
	s_cbranch_vccz .LBB273_1604
; %bb.1603:
	s_cmp_lg_u32 s14, 11
	s_mov_b64 s[6:7], -1
	s_cselect_b64 s[0:1], -1, 0
.LBB273_1604:
	s_and_b64 vcc, exec, s[0:1]
	s_cbranch_vccnz .LBB273_2137
; %bb.1605:
	s_andn2_b64 vcc, exec, s[6:7]
	s_cbranch_vccnz .LBB273_1607
.LBB273_1606:
	global_load_ubyte v5, v[8:9], off
	s_mov_b64 s[8:9], -1
	s_waitcnt vmcnt(0)
	v_cmp_ne_u16_e32 vcc, 0, v5
	s_nop 1
	v_cndmask_b32_e64 v5, 0, 1.0, vcc
	v_lshrrev_b32_e32 v10, 16, v5
.LBB273_1607:
	s_mov_b64 s[0:1], 0
.LBB273_1608:
	s_and_b64 vcc, exec, s[0:1]
	s_cbranch_vccz .LBB273_1657
; %bb.1609:
	s_and_b32 s6, 0xffff, s17
	s_cmp_lt_i32 s6, 5
	s_cbranch_scc1 .LBB273_1614
; %bb.1610:
	s_cmp_lt_i32 s6, 8
	s_cbranch_scc1 .LBB273_1615
; %bb.1611:
	;; [unrolled: 3-line block ×3, first 2 shown]
	s_cmp_gt_i32 s6, 9
	s_cbranch_scc0 .LBB273_1617
; %bb.1613:
	global_load_dwordx2 v[10:11], v[8:9], off
	s_movk_i32 s0, 0x7fff
	v_mov_b32_e32 v5, 0x7fc0
	s_waitcnt vmcnt(0)
	v_cvt_f32_f64_e32 v7, v[10:11]
	v_bfe_u32 v10, v7, 16, 1
	v_cmp_o_f32_e32 vcc, v7, v7
	v_add3_u32 v7, v7, v10, s0
	s_mov_b64 s[0:1], 0
	v_cndmask_b32_sdwa v10, v5, v7, vcc dst_sel:DWORD dst_unused:UNUSED_PAD src0_sel:DWORD src1_sel:WORD_1
	s_branch .LBB273_1618
.LBB273_1614:
	s_mov_b64 s[0:1], -1
                                        ; implicit-def: $vgpr10
	s_branch .LBB273_1636
.LBB273_1615:
	s_mov_b64 s[0:1], -1
                                        ; implicit-def: $vgpr10
	s_branch .LBB273_1624
.LBB273_1616:
	s_mov_b64 s[0:1], -1
                                        ; implicit-def: $vgpr10
	s_branch .LBB273_1621
.LBB273_1617:
	s_mov_b64 s[0:1], -1
                                        ; implicit-def: $vgpr10
.LBB273_1618:
	s_andn2_b64 vcc, exec, s[0:1]
	s_cbranch_vccnz .LBB273_1620
; %bb.1619:
	global_load_dword v5, v[8:9], off
	s_movk_i32 s0, 0x7fff
	v_mov_b32_e32 v7, 0x7fc0
	s_waitcnt vmcnt(0)
	v_bfe_u32 v10, v5, 16, 1
	v_cmp_o_f32_e32 vcc, v5, v5
	v_add3_u32 v5, v5, v10, s0
	s_nop 0
	v_cndmask_b32_sdwa v10, v7, v5, vcc dst_sel:DWORD dst_unused:UNUSED_PAD src0_sel:DWORD src1_sel:WORD_1
.LBB273_1620:
	s_mov_b64 s[0:1], 0
.LBB273_1621:
	s_andn2_b64 vcc, exec, s[0:1]
	s_cbranch_vccnz .LBB273_1623
; %bb.1622:
	global_load_dword v5, v[8:9], off
	s_movk_i32 s0, 0x7fff
	s_waitcnt vmcnt(1)
	v_mov_b32_e32 v10, 0x7fc0
	s_waitcnt vmcnt(0)
	v_cvt_f32_f16_e32 v7, v5
	v_cmp_o_f16_e32 vcc, v5, v5
	v_bfe_u32 v5, v7, 16, 1
	v_add3_u32 v5, v7, v5, s0
	v_cndmask_b32_sdwa v10, v10, v5, vcc dst_sel:DWORD dst_unused:UNUSED_PAD src0_sel:DWORD src1_sel:WORD_1
.LBB273_1623:
	s_mov_b64 s[0:1], 0
.LBB273_1624:
	s_andn2_b64 vcc, exec, s[0:1]
	s_cbranch_vccnz .LBB273_1635
; %bb.1625:
	s_cmp_lt_i32 s6, 6
	s_cbranch_scc1 .LBB273_1628
; %bb.1626:
	s_cmp_gt_i32 s6, 6
	s_cbranch_scc0 .LBB273_1629
; %bb.1627:
	global_load_dwordx2 v[10:11], v[8:9], off
	s_movk_i32 s0, 0x7fff
	v_mov_b32_e32 v5, 0x7fc0
	s_waitcnt vmcnt(0)
	v_cvt_f32_f64_e32 v7, v[10:11]
	v_bfe_u32 v10, v7, 16, 1
	v_cmp_o_f32_e32 vcc, v7, v7
	v_add3_u32 v7, v7, v10, s0
	s_mov_b64 s[0:1], 0
	v_cndmask_b32_sdwa v10, v5, v7, vcc dst_sel:DWORD dst_unused:UNUSED_PAD src0_sel:DWORD src1_sel:WORD_1
	s_branch .LBB273_1630
.LBB273_1628:
	s_mov_b64 s[0:1], -1
                                        ; implicit-def: $vgpr10
	s_branch .LBB273_1633
.LBB273_1629:
	s_mov_b64 s[0:1], -1
                                        ; implicit-def: $vgpr10
.LBB273_1630:
	s_andn2_b64 vcc, exec, s[0:1]
	s_cbranch_vccnz .LBB273_1632
; %bb.1631:
	global_load_dword v5, v[8:9], off
	s_movk_i32 s0, 0x7fff
	v_mov_b32_e32 v7, 0x7fc0
	s_waitcnt vmcnt(0)
	v_bfe_u32 v10, v5, 16, 1
	v_cmp_o_f32_e32 vcc, v5, v5
	v_add3_u32 v5, v5, v10, s0
	s_nop 0
	v_cndmask_b32_sdwa v10, v7, v5, vcc dst_sel:DWORD dst_unused:UNUSED_PAD src0_sel:DWORD src1_sel:WORD_1
.LBB273_1632:
	s_mov_b64 s[0:1], 0
.LBB273_1633:
	s_andn2_b64 vcc, exec, s[0:1]
	s_cbranch_vccnz .LBB273_1635
; %bb.1634:
	global_load_ushort v5, v[8:9], off
	s_movk_i32 s0, 0x7fff
	s_waitcnt vmcnt(1)
	v_mov_b32_e32 v10, 0x7fc0
	s_waitcnt vmcnt(0)
	v_cvt_f32_f16_e32 v7, v5
	v_cmp_o_f16_e32 vcc, v5, v5
	v_bfe_u32 v5, v7, 16, 1
	v_add3_u32 v5, v7, v5, s0
	v_cndmask_b32_sdwa v10, v10, v5, vcc dst_sel:DWORD dst_unused:UNUSED_PAD src0_sel:DWORD src1_sel:WORD_1
.LBB273_1635:
	s_mov_b64 s[0:1], 0
.LBB273_1636:
	s_andn2_b64 vcc, exec, s[0:1]
	s_cbranch_vccnz .LBB273_1656
; %bb.1637:
	s_cmp_lt_i32 s6, 2
	s_cbranch_scc1 .LBB273_1641
; %bb.1638:
	s_cmp_lt_i32 s6, 3
	s_cbranch_scc1 .LBB273_1642
; %bb.1639:
	s_cmp_gt_i32 s6, 3
	s_cbranch_scc0 .LBB273_1643
; %bb.1640:
	global_load_dwordx2 v[10:11], v[8:9], off
	s_movk_i32 s0, 0x7fff
	s_waitcnt vmcnt(0)
	v_xor_b32_e32 v7, v10, v11
	v_ffbh_i32_e32 v5, v11
	v_ashrrev_i32_e32 v7, 31, v7
	v_add_u32_e32 v5, -1, v5
	v_add_u32_e32 v7, 32, v7
	v_min_u32_e32 v5, v5, v7
	v_lshlrev_b64 v[10:11], v5, v[10:11]
	v_min_u32_e32 v7, 1, v10
	v_or_b32_e32 v7, v11, v7
	v_cvt_f32_i32_e32 v7, v7
	v_sub_u32_e32 v5, 32, v5
	v_ldexp_f32 v5, v7, v5
	v_bfe_u32 v7, v5, 16, 1
	v_add3_u32 v5, v5, v7, s0
	v_lshrrev_b32_e32 v10, 16, v5
	s_mov_b64 s[0:1], 0
	s_branch .LBB273_1644
.LBB273_1641:
	s_mov_b64 s[0:1], -1
                                        ; implicit-def: $vgpr10
	s_branch .LBB273_1650
.LBB273_1642:
	s_mov_b64 s[0:1], -1
                                        ; implicit-def: $vgpr10
	s_branch .LBB273_1647
.LBB273_1643:
	s_mov_b64 s[0:1], -1
                                        ; implicit-def: $vgpr10
.LBB273_1644:
	s_andn2_b64 vcc, exec, s[0:1]
	s_cbranch_vccnz .LBB273_1646
; %bb.1645:
	global_load_dword v5, v[8:9], off
	s_movk_i32 s0, 0x7fff
	s_waitcnt vmcnt(0)
	v_cvt_f32_i32_e32 v5, v5
	v_bfe_u32 v7, v5, 16, 1
	v_add3_u32 v5, v5, v7, s0
	v_lshrrev_b32_e32 v10, 16, v5
.LBB273_1646:
	s_mov_b64 s[0:1], 0
.LBB273_1647:
	s_andn2_b64 vcc, exec, s[0:1]
	s_cbranch_vccnz .LBB273_1649
; %bb.1648:
	global_load_sshort v5, v[8:9], off
	s_movk_i32 s0, 0x7fff
	s_waitcnt vmcnt(0)
	v_cvt_f32_i32_e32 v5, v5
	v_bfe_u32 v7, v5, 16, 1
	v_add3_u32 v5, v5, v7, s0
	v_lshrrev_b32_e32 v10, 16, v5
.LBB273_1649:
	s_mov_b64 s[0:1], 0
.LBB273_1650:
	s_andn2_b64 vcc, exec, s[0:1]
	s_cbranch_vccnz .LBB273_1656
; %bb.1651:
	s_cmp_gt_i32 s6, 0
	s_cbranch_scc0 .LBB273_1653
; %bb.1652:
	global_load_sbyte v5, v[8:9], off
	s_movk_i32 s0, 0x7fff
	s_waitcnt vmcnt(0)
	v_cvt_f32_i32_e32 v5, v5
	v_bfe_u32 v7, v5, 16, 1
	v_add3_u32 v5, v5, v7, s0
	v_lshrrev_b32_e32 v10, 16, v5
	s_mov_b64 s[0:1], 0
	s_branch .LBB273_1654
.LBB273_1653:
	s_mov_b64 s[0:1], -1
                                        ; implicit-def: $vgpr10
.LBB273_1654:
	s_andn2_b64 vcc, exec, s[0:1]
	s_cbranch_vccnz .LBB273_1656
; %bb.1655:
	global_load_ubyte v5, v[8:9], off
	s_movk_i32 s0, 0x7fff
	s_waitcnt vmcnt(0)
	v_cvt_f32_ubyte0_e32 v5, v5
	v_bfe_u32 v7, v5, 16, 1
	v_add3_u32 v5, v5, v7, s0
	v_lshrrev_b32_e32 v10, 16, v5
.LBB273_1656:
	s_mov_b64 s[8:9], -1
.LBB273_1657:
	s_andn2_b64 vcc, exec, s[8:9]
	s_cbranch_vccnz .LBB273_2091
; %bb.1658:
	s_waitcnt vmcnt(0)
	v_lshlrev_b32_e32 v1, 16, v1
	s_mov_b32 s0, 0xf800000
	v_mul_f32_e32 v5, 0x4f800000, v1
	v_cmp_gt_f32_e32 vcc, s0, v1
	s_bfe_u32 s14, s16, 0x80008
	s_cmp_lt_i32 s14, 11
	v_cndmask_b32_e32 v5, v1, v5, vcc
	v_sqrt_f32_e32 v7, v5
	s_nop 0
	v_add_u32_e32 v8, -1, v7
	v_fma_f32 v9, -v8, v7, v5
	v_cmp_ge_f32_e64 s[0:1], 0, v9
	v_add_u32_e32 v9, 1, v7
	s_nop 0
	v_cndmask_b32_e64 v8, v7, v8, s[0:1]
	v_fma_f32 v7, -v9, v7, v5
	v_cmp_lt_f32_e64 s[0:1], 0, v7
	s_nop 1
	v_cndmask_b32_e64 v7, v8, v9, s[0:1]
	v_mul_f32_e32 v8, 0x37800000, v7
	v_cndmask_b32_e32 v7, v7, v8, vcc
	v_mov_b32_e32 v8, 0x260
	v_cmp_class_f32_e32 vcc, v5, v8
	s_movk_i32 s0, 0x7fff
	s_nop 0
	v_cndmask_b32_e32 v5, v7, v5, vcc
	v_bfe_u32 v7, v5, 16, 1
	v_add3_u32 v5, v5, v7, s0
	v_cmp_le_f32_e32 vcc, 0, v1
	v_mov_b32_e32 v1, 0x7fc0
	v_mov_b32_e32 v7, 0
	v_cndmask_b32_sdwa v1, v1, v5, vcc dst_sel:DWORD dst_unused:UNUSED_PAD src0_sel:DWORD src1_sel:WORD_1
	v_lshl_add_u64 v[6:7], s[4:5], 0, v[6:7]
	s_cbranch_scc1 .LBB273_1736
; %bb.1659:
	s_and_b32 s15, 0xffff, s14
	s_mov_b64 s[10:11], -1
	s_mov_b64 s[6:7], 0
	s_cmp_gt_i32 s15, 25
	s_mov_b64 s[8:9], 0
	s_mov_b64 s[0:1], 0
	s_cbranch_scc0 .LBB273_1692
; %bb.1660:
	s_cmp_gt_i32 s15, 28
	s_cbranch_scc0 .LBB273_1675
; %bb.1661:
	s_cmp_gt_i32 s15, 43
	;; [unrolled: 3-line block ×3, first 2 shown]
	s_cbranch_scc0 .LBB273_1665
; %bb.1663:
	s_mov_b64 s[0:1], -1
	s_mov_b64 s[10:11], 0
	s_cmp_eq_u32 s15, 46
	s_cbranch_scc0 .LBB273_1665
; %bb.1664:
	v_and_b32_e32 v5, 0xffff, v1
	global_store_dword v[6:7], v5, off
	s_mov_b64 s[0:1], 0
	s_mov_b64 s[8:9], -1
.LBB273_1665:
	s_and_b64 vcc, exec, s[10:11]
	s_cbranch_vccz .LBB273_1670
; %bb.1666:
	s_cmp_eq_u32 s15, 44
	s_mov_b64 s[0:1], -1
	s_cbranch_scc0 .LBB273_1670
; %bb.1667:
	v_and_b32_e32 v8, 0xffff, v1
	v_bfe_u32 v5, v8, 7, 8
	s_movk_i32 s0, 0xff
	v_cmp_ne_u32_e32 vcc, s0, v5
	v_mov_b32_e32 v9, 0xff
	s_and_saveexec_b64 s[8:9], vcc
	s_cbranch_execz .LBB273_1669
; %bb.1668:
	v_lshlrev_b32_e32 v11, 16, v8
	s_mov_b32 s0, 0x3f0000
	v_lshrrev_b32_e32 v9, 7, v8
	v_and_b32_e32 v8, 64, v8
	v_and_or_b32 v5, v11, s0, v5
	v_cmp_ne_u32_e32 vcc, 0, v8
	v_cmp_ne_u32_e64 s[0:1], 0, v5
	s_and_b64 s[0:1], vcc, s[0:1]
	s_nop 0
	v_cndmask_b32_e64 v5, 0, 1, s[0:1]
	v_add_u32_e32 v9, v9, v5
.LBB273_1669:
	s_or_b64 exec, exec, s[8:9]
	s_mov_b64 s[0:1], 0
	s_mov_b64 s[8:9], -1
	global_store_byte v[6:7], v9, off
.LBB273_1670:
	s_mov_b64 s[10:11], 0
.LBB273_1671:
	s_and_b64 vcc, exec, s[10:11]
	s_cbranch_vccz .LBB273_1674
; %bb.1672:
	s_cmp_eq_u32 s15, 29
	s_mov_b64 s[0:1], -1
	s_cbranch_scc0 .LBB273_1674
; %bb.1673:
	v_lshlrev_b32_e32 v5, 16, v1
	v_trunc_f32_e32 v5, v5
	v_mul_f32_e32 v8, 0x2f800000, v5
	v_floor_f32_e32 v8, v8
	v_fmamk_f32 v5, v8, 0xcf800000, v5
	v_cvt_u32_f32_e32 v9, v8
	v_cvt_u32_f32_e32 v8, v5
	s_mov_b64 s[0:1], 0
	s_mov_b64 s[8:9], -1
	global_store_dwordx2 v[6:7], v[8:9], off
.LBB273_1674:
	s_mov_b64 s[10:11], 0
.LBB273_1675:
	s_and_b64 vcc, exec, s[10:11]
	s_cbranch_vccz .LBB273_1691
; %bb.1676:
	s_cmp_lt_i32 s15, 27
	s_mov_b64 s[8:9], -1
	s_cbranch_scc1 .LBB273_1682
; %bb.1677:
	s_cmp_gt_i32 s15, 27
	s_cbranch_scc0 .LBB273_1679
; %bb.1678:
	v_lshlrev_b32_e32 v5, 16, v1
	v_cvt_u32_f32_e32 v5, v5
	s_mov_b64 s[8:9], 0
	global_store_dword v[6:7], v5, off
.LBB273_1679:
	s_andn2_b64 vcc, exec, s[8:9]
	s_cbranch_vccnz .LBB273_1681
; %bb.1680:
	v_lshlrev_b32_e32 v5, 16, v1
	v_cvt_u32_f32_e32 v5, v5
	global_store_short v[6:7], v5, off
.LBB273_1681:
	s_mov_b64 s[8:9], 0
.LBB273_1682:
	s_andn2_b64 vcc, exec, s[8:9]
	s_cbranch_vccnz .LBB273_1690
; %bb.1683:
	v_lshlrev_b32_e32 v9, 16, v1
	v_and_b32_e32 v8, 0x7fffffff, v9
	s_mov_b32 s8, 0x43800000
	v_cmp_gt_u32_e32 vcc, s8, v8
	v_mov_b32_e32 v11, 0x80
	s_and_saveexec_b64 s[8:9], vcc
	s_cbranch_execz .LBB273_1689
; %bb.1684:
	s_mov_b32 s10, 0x3bffffff
	v_and_b32_e32 v5, 0xffff, v1
	v_cmp_lt_u32_e32 vcc, s10, v8
	s_mov_b64 s[10:11], 0
                                        ; implicit-def: $vgpr8
	s_and_saveexec_b64 s[12:13], vcc
	s_xor_b64 s[12:13], exec, s[12:13]
	s_cbranch_execz .LBB273_2138
; %bb.1685:
	v_bfe_u32 v8, v5, 4, 1
	s_mov_b32 s17, 0x487ffff
	v_add3_u32 v8, v9, v8, s17
	s_mov_b64 s[10:11], exec
	v_lshrrev_b32_e32 v8, 20, v8
                                        ; implicit-def: $vgpr9
	s_andn2_saveexec_b64 s[12:13], s[12:13]
	s_cbranch_execnz .LBB273_2139
.LBB273_1686:
	s_or_b64 exec, exec, s[12:13]
	v_mov_b32_e32 v11, 0
	s_and_saveexec_b64 s[12:13], s[10:11]
.LBB273_1687:
	v_lshrrev_b32_e32 v5, 8, v5
	s_movk_i32 s10, 0x80
	v_and_or_b32 v11, v5, s10, v8
.LBB273_1688:
	s_or_b64 exec, exec, s[12:13]
.LBB273_1689:
	s_or_b64 exec, exec, s[8:9]
	global_store_byte v[6:7], v11, off
.LBB273_1690:
	s_mov_b64 s[8:9], -1
.LBB273_1691:
	s_mov_b64 s[10:11], 0
.LBB273_1692:
	s_and_b64 vcc, exec, s[10:11]
	s_cbranch_vccz .LBB273_1732
; %bb.1693:
	s_cmp_gt_i32 s15, 22
	s_mov_b64 s[6:7], -1
	s_cbranch_scc0 .LBB273_1725
; %bb.1694:
	s_cmp_lt_i32 s15, 24
	s_cbranch_scc1 .LBB273_1714
; %bb.1695:
	s_cmp_gt_i32 s15, 24
	s_cbranch_scc0 .LBB273_1703
; %bb.1696:
	v_lshlrev_b32_e32 v9, 16, v1
	v_and_b32_e32 v8, 0x7fffffff, v9
	s_mov_b32 s6, 0x47800000
	v_cmp_gt_u32_e32 vcc, s6, v8
	v_mov_b32_e32 v11, 0x80
	s_and_saveexec_b64 s[6:7], vcc
	s_cbranch_execz .LBB273_1702
; %bb.1697:
	s_mov_b32 s8, 0x37ffffff
	v_and_b32_e32 v5, 0xffff, v1
	v_cmp_lt_u32_e32 vcc, s8, v8
	s_mov_b64 s[8:9], 0
                                        ; implicit-def: $vgpr8
	s_and_saveexec_b64 s[10:11], vcc
	s_xor_b64 s[10:11], exec, s[10:11]
	s_cbranch_execz .LBB273_2141
; %bb.1698:
	v_bfe_u32 v8, v5, 5, 1
	s_mov_b32 s12, 0x88fffff
	v_add3_u32 v8, v9, v8, s12
	s_mov_b64 s[8:9], exec
	v_lshrrev_b32_e32 v8, 21, v8
                                        ; implicit-def: $vgpr9
	s_andn2_saveexec_b64 s[10:11], s[10:11]
	s_cbranch_execnz .LBB273_2142
.LBB273_1699:
	s_or_b64 exec, exec, s[10:11]
	v_mov_b32_e32 v11, 0
	s_and_saveexec_b64 s[10:11], s[8:9]
.LBB273_1700:
	v_lshrrev_b32_e32 v5, 8, v5
	s_movk_i32 s8, 0x80
	v_and_or_b32 v11, v5, s8, v8
.LBB273_1701:
	s_or_b64 exec, exec, s[10:11]
.LBB273_1702:
	s_or_b64 exec, exec, s[6:7]
	s_mov_b64 s[6:7], 0
	global_store_byte v[6:7], v11, off
.LBB273_1703:
	s_and_b64 vcc, exec, s[6:7]
	s_cbranch_vccz .LBB273_1713
; %bb.1704:
	v_lshlrev_b32_e32 v9, 16, v1
	v_and_b32_e32 v11, 0x7fffffff, v9
	s_mov_b32 s6, 0x43f00000
	v_and_b32_e32 v5, 0xffff, v1
	v_cmp_gt_u32_e32 vcc, s6, v11
                                        ; implicit-def: $vgpr8
	s_and_saveexec_b64 s[6:7], vcc
	s_xor_b64 s[6:7], exec, s[6:7]
	s_cbranch_execz .LBB273_1710
; %bb.1705:
	s_mov_b32 s8, 0x3c7fffff
	v_cmp_lt_u32_e32 vcc, s8, v11
                                        ; implicit-def: $vgpr8
	s_and_saveexec_b64 s[8:9], vcc
	s_xor_b64 s[8:9], exec, s[8:9]
; %bb.1706:
	v_bfe_u32 v8, v5, 4, 1
	s_mov_b32 s10, 0x407ffff
	v_add3_u32 v8, v9, v8, s10
	v_lshrrev_b32_e32 v9, 20, v8
	v_and_b32_e32 v8, 0xff00000, v8
	s_mov_b32 s10, 0x7f00000
	v_mov_b32_e32 v11, 0x7e
	v_cmp_ne_u32_e32 vcc, s10, v8
	s_nop 1
	v_cndmask_b32_e32 v8, v11, v9, vcc
                                        ; implicit-def: $vgpr9
; %bb.1707:
	s_andn2_saveexec_b64 s[8:9], s[8:9]
; %bb.1708:
	s_mov_b32 s10, 0x46800000
	v_add_f32_e64 v8, |v9|, s10
; %bb.1709:
	s_or_b64 exec, exec, s[8:9]
                                        ; implicit-def: $vgpr11
.LBB273_1710:
	s_andn2_saveexec_b64 s[6:7], s[6:7]
; %bb.1711:
	s_mov_b32 s8, 0x7f800000
	v_mov_b32_e32 v8, 0x7e
	v_mov_b32_e32 v9, 0x7f
	v_cmp_lt_u32_e32 vcc, s8, v11
	s_nop 1
	v_cndmask_b32_e32 v8, v8, v9, vcc
; %bb.1712:
	s_or_b64 exec, exec, s[6:7]
	v_lshrrev_b32_e32 v5, 8, v5
	s_movk_i32 s6, 0x80
	v_and_or_b32 v5, v5, s6, v8
	global_store_byte v[6:7], v5, off
.LBB273_1713:
	s_mov_b64 s[6:7], 0
.LBB273_1714:
	s_andn2_b64 vcc, exec, s[6:7]
	s_cbranch_vccnz .LBB273_1724
; %bb.1715:
	v_lshlrev_b32_e32 v9, 16, v1
	v_and_b32_e32 v11, 0x7fffffff, v9
	s_mov_b32 s6, 0x47800000
	v_and_b32_e32 v5, 0xffff, v1
	v_cmp_gt_u32_e32 vcc, s6, v11
                                        ; implicit-def: $vgpr8
	s_and_saveexec_b64 s[6:7], vcc
	s_xor_b64 s[6:7], exec, s[6:7]
	s_cbranch_execz .LBB273_1721
; %bb.1716:
	s_mov_b32 s8, 0x387fffff
	v_cmp_lt_u32_e32 vcc, s8, v11
                                        ; implicit-def: $vgpr8
	s_and_saveexec_b64 s[8:9], vcc
	s_xor_b64 s[8:9], exec, s[8:9]
; %bb.1717:
	v_bfe_u32 v8, v5, 5, 1
	s_mov_b32 s10, 0x80fffff
	v_add3_u32 v8, v9, v8, s10
	v_lshrrev_b32_e32 v8, 21, v8
                                        ; implicit-def: $vgpr9
; %bb.1718:
	s_andn2_saveexec_b64 s[8:9], s[8:9]
; %bb.1719:
	s_mov_b32 s10, 0x43000000
	v_add_f32_e64 v8, |v9|, s10
; %bb.1720:
	s_or_b64 exec, exec, s[8:9]
                                        ; implicit-def: $vgpr11
.LBB273_1721:
	s_andn2_saveexec_b64 s[6:7], s[6:7]
; %bb.1722:
	s_mov_b32 s8, 0x7f800000
	v_mov_b32_e32 v8, 0x7c
	v_mov_b32_e32 v9, 0x7f
	v_cmp_lt_u32_e32 vcc, s8, v11
	s_nop 1
	v_cndmask_b32_e32 v8, v8, v9, vcc
; %bb.1723:
	s_or_b64 exec, exec, s[6:7]
	v_lshrrev_b32_e32 v5, 8, v5
	s_movk_i32 s6, 0x80
	v_and_or_b32 v5, v5, s6, v8
	global_store_byte v[6:7], v5, off
.LBB273_1724:
	s_mov_b64 s[6:7], 0
	s_mov_b64 s[8:9], -1
.LBB273_1725:
	s_andn2_b64 vcc, exec, s[6:7]
	s_mov_b64 s[6:7], 0
	s_cbranch_vccnz .LBB273_1732
; %bb.1726:
	s_cmp_gt_i32 s15, 14
	s_mov_b64 s[10:11], -1
	s_cbranch_scc0 .LBB273_1730
; %bb.1727:
	s_cmp_eq_u32 s15, 15
	s_mov_b64 s[0:1], -1
	s_cbranch_scc0 .LBB273_1729
; %bb.1728:
	global_store_short v[6:7], v1, off
	s_mov_b64 s[0:1], 0
	s_mov_b64 s[8:9], -1
.LBB273_1729:
	s_mov_b64 s[10:11], 0
.LBB273_1730:
	s_and_b64 vcc, exec, s[10:11]
	s_cbranch_vccz .LBB273_1732
; %bb.1731:
	s_cmp_lg_u32 s15, 11
	s_mov_b64 s[6:7], -1
	s_cselect_b64 s[0:1], -1, 0
.LBB273_1732:
	s_and_b64 vcc, exec, s[0:1]
	s_cbranch_vccnz .LBB273_2140
; %bb.1733:
	s_andn2_b64 vcc, exec, s[6:7]
	s_cbranch_vccnz .LBB273_1735
.LBB273_1734:
	v_and_b32_e32 v5, 0x7fff, v1
	v_cmp_ne_u16_e32 vcc, 0, v5
	s_mov_b64 s[8:9], -1
	s_nop 0
	v_cndmask_b32_e64 v5, 0, 1, vcc
	global_store_byte v[6:7], v5, off
.LBB273_1735:
	s_mov_b64 s[0:1], 0
	s_branch .LBB273_1737
.LBB273_1736:
	s_mov_b64 s[0:1], -1
	s_mov_b64 s[8:9], 0
.LBB273_1737:
	s_and_b64 vcc, exec, s[0:1]
	s_cbranch_vccz .LBB273_1776
; %bb.1738:
	s_and_b32 s6, 0xffff, s14
	s_cmp_lt_i32 s6, 5
	s_mov_b64 s[0:1], -1
	s_cbranch_scc1 .LBB273_1759
; %bb.1739:
	s_cmp_lt_i32 s6, 8
	s_cbranch_scc1 .LBB273_1749
; %bb.1740:
	s_cmp_lt_i32 s6, 9
	s_cbranch_scc1 .LBB273_1746
; %bb.1741:
	s_cmp_gt_i32 s6, 9
	s_cbranch_scc0 .LBB273_1743
; %bb.1742:
	v_lshlrev_b32_e32 v5, 16, v1
	v_mov_b32_e32 v16, 0
	v_cvt_f64_f32_e32 v[14:15], v5
	v_mov_b32_e32 v17, v16
	global_store_dwordx4 v[6:7], v[14:17], off
	s_mov_b64 s[0:1], 0
.LBB273_1743:
	s_andn2_b64 vcc, exec, s[0:1]
	s_cbranch_vccnz .LBB273_1745
; %bb.1744:
	v_lshlrev_b32_e32 v8, 16, v1
	v_mov_b32_e32 v9, 0
	global_store_dwordx2 v[6:7], v[8:9], off
.LBB273_1745:
	s_mov_b64 s[0:1], 0
.LBB273_1746:
	s_andn2_b64 vcc, exec, s[0:1]
	s_cbranch_vccnz .LBB273_1748
; %bb.1747:
	v_lshlrev_b32_e32 v5, 16, v1
	v_cvt_f16_f32_e32 v5, v5
	global_store_dword v[6:7], v5, off
.LBB273_1748:
	s_mov_b64 s[0:1], 0
.LBB273_1749:
	s_andn2_b64 vcc, exec, s[0:1]
	s_cbranch_vccnz .LBB273_1758
; %bb.1750:
	s_cmp_lt_i32 s6, 6
	s_mov_b64 s[0:1], -1
	s_cbranch_scc1 .LBB273_1756
; %bb.1751:
	s_cmp_gt_i32 s6, 6
	s_cbranch_scc0 .LBB273_1753
; %bb.1752:
	v_lshlrev_b32_e32 v5, 16, v1
	v_cvt_f64_f32_e32 v[8:9], v5
	global_store_dwordx2 v[6:7], v[8:9], off
	s_mov_b64 s[0:1], 0
.LBB273_1753:
	s_andn2_b64 vcc, exec, s[0:1]
	s_cbranch_vccnz .LBB273_1755
; %bb.1754:
	v_lshlrev_b32_e32 v5, 16, v1
	global_store_dword v[6:7], v5, off
.LBB273_1755:
	s_mov_b64 s[0:1], 0
.LBB273_1756:
	s_andn2_b64 vcc, exec, s[0:1]
	s_cbranch_vccnz .LBB273_1758
; %bb.1757:
	v_lshlrev_b32_e32 v5, 16, v1
	v_cvt_f16_f32_e32 v5, v5
	global_store_short v[6:7], v5, off
.LBB273_1758:
	s_mov_b64 s[0:1], 0
.LBB273_1759:
	s_andn2_b64 vcc, exec, s[0:1]
	s_cbranch_vccnz .LBB273_1775
; %bb.1760:
	s_cmp_lt_i32 s6, 2
	s_mov_b64 s[0:1], -1
	s_cbranch_scc1 .LBB273_1770
; %bb.1761:
	s_cmp_lt_i32 s6, 3
	s_cbranch_scc1 .LBB273_1767
; %bb.1762:
	s_cmp_gt_i32 s6, 3
	s_cbranch_scc0 .LBB273_1764
; %bb.1763:
	v_lshlrev_b32_e32 v5, 16, v1
	v_trunc_f32_e32 v5, v5
	s_mov_b32 s0, 0x2f800000
	v_mul_f32_e64 v8, |v5|, s0
	v_floor_f32_e32 v8, v8
	s_mov_b32 s0, 0xcf800000
	v_cvt_u32_f32_e32 v9, v8
	v_fma_f32 v8, v8, s0, |v5|
	v_cvt_u32_f32_e32 v8, v8
	v_ashrrev_i32_e32 v5, 31, v5
	v_xor_b32_e32 v9, v9, v5
	s_mov_b64 s[0:1], 0
	v_xor_b32_e32 v8, v8, v5
	v_sub_co_u32_e32 v8, vcc, v8, v5
	s_nop 1
	v_subb_co_u32_e32 v9, vcc, v9, v5, vcc
	global_store_dwordx2 v[6:7], v[8:9], off
.LBB273_1764:
	s_andn2_b64 vcc, exec, s[0:1]
	s_cbranch_vccnz .LBB273_1766
; %bb.1765:
	v_lshlrev_b32_e32 v5, 16, v1
	v_cvt_i32_f32_e32 v5, v5
	global_store_dword v[6:7], v5, off
.LBB273_1766:
	s_mov_b64 s[0:1], 0
.LBB273_1767:
	s_andn2_b64 vcc, exec, s[0:1]
	s_cbranch_vccnz .LBB273_1769
; %bb.1768:
	v_lshlrev_b32_e32 v5, 16, v1
	v_cvt_i32_f32_e32 v5, v5
	global_store_short v[6:7], v5, off
.LBB273_1769:
	s_mov_b64 s[0:1], 0
.LBB273_1770:
	s_andn2_b64 vcc, exec, s[0:1]
	s_cbranch_vccnz .LBB273_1775
; %bb.1771:
	s_mov_b64 s[0:1], -1
	s_cmp_gt_i32 s6, 0
	v_lshlrev_b32_e32 v1, 16, v1
	s_cbranch_scc0 .LBB273_1773
; %bb.1772:
	v_cvt_i32_f32_e32 v5, v1
	s_mov_b64 s[0:1], 0
	global_store_byte v[6:7], v5, off
.LBB273_1773:
	s_andn2_b64 vcc, exec, s[0:1]
	s_cbranch_vccnz .LBB273_1775
; %bb.1774:
	v_trunc_f32_e32 v1, v1
	s_mov_b32 s0, 0x2f800000
	v_mul_f32_e64 v5, |v1|, s0
	v_floor_f32_e32 v5, v5
	s_mov_b32 s0, 0xcf800000
	v_fma_f32 v5, v5, s0, |v1|
	v_cvt_u32_f32_e32 v5, v5
	v_ashrrev_i32_e32 v1, 31, v1
	v_xor_b32_e32 v5, v5, v1
	v_sub_u32_e32 v1, v5, v1
	global_store_byte v[6:7], v1, off
.LBB273_1775:
	s_mov_b64 s[8:9], -1
.LBB273_1776:
	s_andn2_b64 vcc, exec, s[8:9]
	s_cbranch_vccnz .LBB273_2091
; %bb.1777:
	v_lshlrev_b32_e32 v1, 16, v3
	s_mov_b32 s0, 0xf800000
	v_mul_f32_e32 v3, 0x4f800000, v1
	v_cmp_gt_f32_e32 vcc, s0, v1
	s_lshr_b32 s0, s16, 8
	s_and_b32 s14, s0, 0xff
	v_cndmask_b32_e32 v3, v1, v3, vcc
	v_sqrt_f32_e32 v5, v3
	s_cmp_lt_i32 s14, 11
	v_add_u32_e32 v6, -1, v5
	v_fma_f32 v7, -v6, v5, v3
	v_cmp_ge_f32_e64 s[0:1], 0, v7
	v_add_u32_e32 v7, 1, v5
	s_nop 0
	v_cndmask_b32_e64 v6, v5, v6, s[0:1]
	v_fma_f32 v5, -v7, v5, v3
	v_cmp_lt_f32_e64 s[0:1], 0, v5
	s_nop 1
	v_cndmask_b32_e64 v5, v6, v7, s[0:1]
	v_mul_f32_e32 v6, 0x37800000, v5
	v_cndmask_b32_e32 v5, v5, v6, vcc
	v_mov_b32_e32 v6, 0x260
	v_cmp_class_f32_e32 vcc, v3, v6
	s_movk_i32 s0, 0x7fff
	s_nop 0
	v_cndmask_b32_e32 v3, v5, v3, vcc
	v_bfe_u32 v5, v3, 16, 1
	v_add3_u32 v3, v3, v5, s0
	v_cmp_le_f32_e32 vcc, 0, v1
	v_mov_b32_e32 v1, 0x7fc0
	v_mov_b32_e32 v5, 0
	v_cndmask_b32_sdwa v1, v1, v3, vcc dst_sel:DWORD dst_unused:UNUSED_PAD src0_sel:DWORD src1_sel:WORD_1
	v_lshl_add_u64 v[4:5], s[4:5], 0, v[4:5]
	s_cbranch_scc1 .LBB273_1855
; %bb.1778:
	s_and_b32 s15, 0xffff, s14
	s_mov_b64 s[10:11], -1
	s_mov_b64 s[6:7], 0
	s_cmp_gt_i32 s15, 25
	s_mov_b64 s[8:9], 0
	s_mov_b64 s[0:1], 0
	s_cbranch_scc0 .LBB273_1811
; %bb.1779:
	s_cmp_gt_i32 s15, 28
	s_cbranch_scc0 .LBB273_1794
; %bb.1780:
	s_cmp_gt_i32 s15, 43
	;; [unrolled: 3-line block ×3, first 2 shown]
	s_cbranch_scc0 .LBB273_1784
; %bb.1782:
	s_mov_b64 s[0:1], -1
	s_mov_b64 s[10:11], 0
	s_cmp_eq_u32 s15, 46
	s_cbranch_scc0 .LBB273_1784
; %bb.1783:
	v_and_b32_e32 v3, 0xffff, v1
	global_store_dword v[4:5], v3, off
	s_mov_b64 s[0:1], 0
	s_mov_b64 s[8:9], -1
.LBB273_1784:
	s_and_b64 vcc, exec, s[10:11]
	s_cbranch_vccz .LBB273_1789
; %bb.1785:
	s_cmp_eq_u32 s15, 44
	s_mov_b64 s[0:1], -1
	s_cbranch_scc0 .LBB273_1789
; %bb.1786:
	v_and_b32_e32 v6, 0xffff, v1
	v_bfe_u32 v3, v6, 7, 8
	s_movk_i32 s0, 0xff
	v_cmp_ne_u32_e32 vcc, s0, v3
	v_mov_b32_e32 v7, 0xff
	s_and_saveexec_b64 s[8:9], vcc
	s_cbranch_execz .LBB273_1788
; %bb.1787:
	v_lshlrev_b32_e32 v8, 16, v6
	s_mov_b32 s0, 0x3f0000
	v_lshrrev_b32_e32 v7, 7, v6
	v_and_b32_e32 v6, 64, v6
	v_and_or_b32 v3, v8, s0, v3
	v_cmp_ne_u32_e32 vcc, 0, v6
	v_cmp_ne_u32_e64 s[0:1], 0, v3
	s_and_b64 s[0:1], vcc, s[0:1]
	s_nop 0
	v_cndmask_b32_e64 v3, 0, 1, s[0:1]
	v_add_u32_e32 v7, v7, v3
.LBB273_1788:
	s_or_b64 exec, exec, s[8:9]
	s_mov_b64 s[0:1], 0
	s_mov_b64 s[8:9], -1
	global_store_byte v[4:5], v7, off
.LBB273_1789:
	s_mov_b64 s[10:11], 0
.LBB273_1790:
	s_and_b64 vcc, exec, s[10:11]
	s_cbranch_vccz .LBB273_1793
; %bb.1791:
	s_cmp_eq_u32 s15, 29
	s_mov_b64 s[0:1], -1
	s_cbranch_scc0 .LBB273_1793
; %bb.1792:
	v_lshlrev_b32_e32 v3, 16, v1
	v_trunc_f32_e32 v3, v3
	v_mul_f32_e32 v6, 0x2f800000, v3
	v_floor_f32_e32 v6, v6
	v_fmamk_f32 v3, v6, 0xcf800000, v3
	v_cvt_u32_f32_e32 v7, v6
	v_cvt_u32_f32_e32 v6, v3
	s_mov_b64 s[0:1], 0
	s_mov_b64 s[8:9], -1
	global_store_dwordx2 v[4:5], v[6:7], off
.LBB273_1793:
	s_mov_b64 s[10:11], 0
.LBB273_1794:
	s_and_b64 vcc, exec, s[10:11]
	s_cbranch_vccz .LBB273_1810
; %bb.1795:
	s_cmp_lt_i32 s15, 27
	s_mov_b64 s[8:9], -1
	s_cbranch_scc1 .LBB273_1801
; %bb.1796:
	s_cmp_gt_i32 s15, 27
	s_cbranch_scc0 .LBB273_1798
; %bb.1797:
	v_lshlrev_b32_e32 v3, 16, v1
	v_cvt_u32_f32_e32 v3, v3
	s_mov_b64 s[8:9], 0
	global_store_dword v[4:5], v3, off
.LBB273_1798:
	s_andn2_b64 vcc, exec, s[8:9]
	s_cbranch_vccnz .LBB273_1800
; %bb.1799:
	v_lshlrev_b32_e32 v3, 16, v1
	v_cvt_u32_f32_e32 v3, v3
	global_store_short v[4:5], v3, off
.LBB273_1800:
	s_mov_b64 s[8:9], 0
.LBB273_1801:
	s_andn2_b64 vcc, exec, s[8:9]
	s_cbranch_vccnz .LBB273_1809
; %bb.1802:
	v_lshlrev_b32_e32 v7, 16, v1
	v_and_b32_e32 v6, 0x7fffffff, v7
	s_mov_b32 s8, 0x43800000
	v_cmp_gt_u32_e32 vcc, s8, v6
	v_mov_b32_e32 v8, 0x80
	s_and_saveexec_b64 s[8:9], vcc
	s_cbranch_execz .LBB273_1808
; %bb.1803:
	s_mov_b32 s10, 0x3bffffff
	v_and_b32_e32 v3, 0xffff, v1
	v_cmp_lt_u32_e32 vcc, s10, v6
	s_mov_b64 s[10:11], 0
                                        ; implicit-def: $vgpr6
	s_and_saveexec_b64 s[12:13], vcc
	s_xor_b64 s[12:13], exec, s[12:13]
	s_cbranch_execz .LBB273_2143
; %bb.1804:
	v_bfe_u32 v6, v3, 4, 1
	s_mov_b32 s16, 0x487ffff
	v_add3_u32 v6, v7, v6, s16
	s_mov_b64 s[10:11], exec
	v_lshrrev_b32_e32 v6, 20, v6
                                        ; implicit-def: $vgpr7
	s_andn2_saveexec_b64 s[12:13], s[12:13]
	s_cbranch_execnz .LBB273_2144
.LBB273_1805:
	s_or_b64 exec, exec, s[12:13]
	v_mov_b32_e32 v8, 0
	s_and_saveexec_b64 s[12:13], s[10:11]
.LBB273_1806:
	v_lshrrev_b32_e32 v3, 8, v3
	s_movk_i32 s10, 0x80
	v_and_or_b32 v8, v3, s10, v6
.LBB273_1807:
	s_or_b64 exec, exec, s[12:13]
.LBB273_1808:
	s_or_b64 exec, exec, s[8:9]
	global_store_byte v[4:5], v8, off
.LBB273_1809:
	s_mov_b64 s[8:9], -1
.LBB273_1810:
	s_mov_b64 s[10:11], 0
.LBB273_1811:
	s_and_b64 vcc, exec, s[10:11]
	s_cbranch_vccz .LBB273_1851
; %bb.1812:
	s_cmp_gt_i32 s15, 22
	s_mov_b64 s[6:7], -1
	s_cbranch_scc0 .LBB273_1844
; %bb.1813:
	s_cmp_lt_i32 s15, 24
	s_cbranch_scc1 .LBB273_1833
; %bb.1814:
	s_cmp_gt_i32 s15, 24
	s_cbranch_scc0 .LBB273_1822
; %bb.1815:
	v_lshlrev_b32_e32 v7, 16, v1
	v_and_b32_e32 v6, 0x7fffffff, v7
	s_mov_b32 s6, 0x47800000
	v_cmp_gt_u32_e32 vcc, s6, v6
	v_mov_b32_e32 v8, 0x80
	s_and_saveexec_b64 s[6:7], vcc
	s_cbranch_execz .LBB273_1821
; %bb.1816:
	s_mov_b32 s8, 0x37ffffff
	v_and_b32_e32 v3, 0xffff, v1
	v_cmp_lt_u32_e32 vcc, s8, v6
	s_mov_b64 s[8:9], 0
                                        ; implicit-def: $vgpr6
	s_and_saveexec_b64 s[10:11], vcc
	s_xor_b64 s[10:11], exec, s[10:11]
	s_cbranch_execz .LBB273_2146
; %bb.1817:
	v_bfe_u32 v6, v3, 5, 1
	s_mov_b32 s12, 0x88fffff
	v_add3_u32 v6, v7, v6, s12
	s_mov_b64 s[8:9], exec
	v_lshrrev_b32_e32 v6, 21, v6
                                        ; implicit-def: $vgpr7
	s_andn2_saveexec_b64 s[10:11], s[10:11]
	s_cbranch_execnz .LBB273_2147
.LBB273_1818:
	s_or_b64 exec, exec, s[10:11]
	v_mov_b32_e32 v8, 0
	s_and_saveexec_b64 s[10:11], s[8:9]
.LBB273_1819:
	v_lshrrev_b32_e32 v3, 8, v3
	s_movk_i32 s8, 0x80
	v_and_or_b32 v8, v3, s8, v6
.LBB273_1820:
	s_or_b64 exec, exec, s[10:11]
.LBB273_1821:
	s_or_b64 exec, exec, s[6:7]
	s_mov_b64 s[6:7], 0
	global_store_byte v[4:5], v8, off
.LBB273_1822:
	s_and_b64 vcc, exec, s[6:7]
	s_cbranch_vccz .LBB273_1832
; %bb.1823:
	v_lshlrev_b32_e32 v7, 16, v1
	v_and_b32_e32 v8, 0x7fffffff, v7
	s_mov_b32 s6, 0x43f00000
	v_and_b32_e32 v3, 0xffff, v1
	v_cmp_gt_u32_e32 vcc, s6, v8
                                        ; implicit-def: $vgpr6
	s_and_saveexec_b64 s[6:7], vcc
	s_xor_b64 s[6:7], exec, s[6:7]
	s_cbranch_execz .LBB273_1829
; %bb.1824:
	s_mov_b32 s8, 0x3c7fffff
	v_cmp_lt_u32_e32 vcc, s8, v8
                                        ; implicit-def: $vgpr6
	s_and_saveexec_b64 s[8:9], vcc
	s_xor_b64 s[8:9], exec, s[8:9]
; %bb.1825:
	v_bfe_u32 v6, v3, 4, 1
	s_mov_b32 s10, 0x407ffff
	v_add3_u32 v6, v7, v6, s10
	v_lshrrev_b32_e32 v7, 20, v6
	v_and_b32_e32 v6, 0xff00000, v6
	s_mov_b32 s10, 0x7f00000
	v_mov_b32_e32 v8, 0x7e
	v_cmp_ne_u32_e32 vcc, s10, v6
	s_nop 1
	v_cndmask_b32_e32 v6, v8, v7, vcc
                                        ; implicit-def: $vgpr7
; %bb.1826:
	s_andn2_saveexec_b64 s[8:9], s[8:9]
; %bb.1827:
	s_mov_b32 s10, 0x46800000
	v_add_f32_e64 v6, |v7|, s10
; %bb.1828:
	s_or_b64 exec, exec, s[8:9]
                                        ; implicit-def: $vgpr8
.LBB273_1829:
	s_andn2_saveexec_b64 s[6:7], s[6:7]
; %bb.1830:
	s_mov_b32 s8, 0x7f800000
	v_mov_b32_e32 v6, 0x7e
	v_mov_b32_e32 v7, 0x7f
	v_cmp_lt_u32_e32 vcc, s8, v8
	s_nop 1
	v_cndmask_b32_e32 v6, v6, v7, vcc
; %bb.1831:
	s_or_b64 exec, exec, s[6:7]
	v_lshrrev_b32_e32 v3, 8, v3
	s_movk_i32 s6, 0x80
	v_and_or_b32 v3, v3, s6, v6
	global_store_byte v[4:5], v3, off
.LBB273_1832:
	s_mov_b64 s[6:7], 0
.LBB273_1833:
	s_andn2_b64 vcc, exec, s[6:7]
	s_cbranch_vccnz .LBB273_1843
; %bb.1834:
	v_lshlrev_b32_e32 v7, 16, v1
	v_and_b32_e32 v8, 0x7fffffff, v7
	s_mov_b32 s6, 0x47800000
	v_and_b32_e32 v3, 0xffff, v1
	v_cmp_gt_u32_e32 vcc, s6, v8
                                        ; implicit-def: $vgpr6
	s_and_saveexec_b64 s[6:7], vcc
	s_xor_b64 s[6:7], exec, s[6:7]
	s_cbranch_execz .LBB273_1840
; %bb.1835:
	s_mov_b32 s8, 0x387fffff
	v_cmp_lt_u32_e32 vcc, s8, v8
                                        ; implicit-def: $vgpr6
	s_and_saveexec_b64 s[8:9], vcc
	s_xor_b64 s[8:9], exec, s[8:9]
; %bb.1836:
	v_bfe_u32 v6, v3, 5, 1
	s_mov_b32 s10, 0x80fffff
	v_add3_u32 v6, v7, v6, s10
	v_lshrrev_b32_e32 v6, 21, v6
                                        ; implicit-def: $vgpr7
; %bb.1837:
	s_andn2_saveexec_b64 s[8:9], s[8:9]
; %bb.1838:
	s_mov_b32 s10, 0x43000000
	v_add_f32_e64 v6, |v7|, s10
; %bb.1839:
	s_or_b64 exec, exec, s[8:9]
                                        ; implicit-def: $vgpr8
.LBB273_1840:
	s_andn2_saveexec_b64 s[6:7], s[6:7]
; %bb.1841:
	s_mov_b32 s8, 0x7f800000
	v_mov_b32_e32 v6, 0x7c
	v_mov_b32_e32 v7, 0x7f
	v_cmp_lt_u32_e32 vcc, s8, v8
	s_nop 1
	v_cndmask_b32_e32 v6, v6, v7, vcc
; %bb.1842:
	s_or_b64 exec, exec, s[6:7]
	v_lshrrev_b32_e32 v3, 8, v3
	s_movk_i32 s6, 0x80
	v_and_or_b32 v3, v3, s6, v6
	global_store_byte v[4:5], v3, off
.LBB273_1843:
	s_mov_b64 s[6:7], 0
	s_mov_b64 s[8:9], -1
.LBB273_1844:
	s_andn2_b64 vcc, exec, s[6:7]
	s_mov_b64 s[6:7], 0
	s_cbranch_vccnz .LBB273_1851
; %bb.1845:
	s_cmp_gt_i32 s15, 14
	s_mov_b64 s[10:11], -1
	s_cbranch_scc0 .LBB273_1849
; %bb.1846:
	s_cmp_eq_u32 s15, 15
	s_mov_b64 s[0:1], -1
	s_cbranch_scc0 .LBB273_1848
; %bb.1847:
	global_store_short v[4:5], v1, off
	s_mov_b64 s[0:1], 0
	s_mov_b64 s[8:9], -1
.LBB273_1848:
	s_mov_b64 s[10:11], 0
.LBB273_1849:
	s_and_b64 vcc, exec, s[10:11]
	s_cbranch_vccz .LBB273_1851
; %bb.1850:
	s_cmp_lg_u32 s15, 11
	s_mov_b64 s[6:7], -1
	s_cselect_b64 s[0:1], -1, 0
.LBB273_1851:
	s_and_b64 vcc, exec, s[0:1]
	s_cbranch_vccnz .LBB273_2145
; %bb.1852:
	s_andn2_b64 vcc, exec, s[6:7]
	s_cbranch_vccnz .LBB273_1854
.LBB273_1853:
	v_and_b32_e32 v3, 0x7fff, v1
	v_cmp_ne_u16_e32 vcc, 0, v3
	s_mov_b64 s[8:9], -1
	s_nop 0
	v_cndmask_b32_e64 v3, 0, 1, vcc
	global_store_byte v[4:5], v3, off
.LBB273_1854:
	s_mov_b64 s[0:1], 0
	s_branch .LBB273_1856
.LBB273_1855:
	s_mov_b64 s[0:1], -1
	s_mov_b64 s[8:9], 0
.LBB273_1856:
	s_and_b64 vcc, exec, s[0:1]
	s_cbranch_vccz .LBB273_1895
; %bb.1857:
	s_and_b32 s6, 0xffff, s14
	s_cmp_lt_i32 s6, 5
	s_mov_b64 s[0:1], -1
	s_cbranch_scc1 .LBB273_1878
; %bb.1858:
	s_cmp_lt_i32 s6, 8
	s_cbranch_scc1 .LBB273_1868
; %bb.1859:
	s_cmp_lt_i32 s6, 9
	s_cbranch_scc1 .LBB273_1865
; %bb.1860:
	s_cmp_gt_i32 s6, 9
	s_cbranch_scc0 .LBB273_1862
; %bb.1861:
	v_lshlrev_b32_e32 v3, 16, v1
	v_mov_b32_e32 v8, 0
	v_cvt_f64_f32_e32 v[6:7], v3
	v_mov_b32_e32 v9, v8
	global_store_dwordx4 v[4:5], v[6:9], off
	s_mov_b64 s[0:1], 0
.LBB273_1862:
	s_andn2_b64 vcc, exec, s[0:1]
	s_cbranch_vccnz .LBB273_1864
; %bb.1863:
	v_lshlrev_b32_e32 v6, 16, v1
	v_mov_b32_e32 v7, 0
	global_store_dwordx2 v[4:5], v[6:7], off
.LBB273_1864:
	s_mov_b64 s[0:1], 0
.LBB273_1865:
	s_andn2_b64 vcc, exec, s[0:1]
	s_cbranch_vccnz .LBB273_1867
; %bb.1866:
	v_lshlrev_b32_e32 v3, 16, v1
	v_cvt_f16_f32_e32 v3, v3
	global_store_dword v[4:5], v3, off
.LBB273_1867:
	s_mov_b64 s[0:1], 0
.LBB273_1868:
	s_andn2_b64 vcc, exec, s[0:1]
	s_cbranch_vccnz .LBB273_1877
; %bb.1869:
	s_cmp_lt_i32 s6, 6
	s_mov_b64 s[0:1], -1
	s_cbranch_scc1 .LBB273_1875
; %bb.1870:
	s_cmp_gt_i32 s6, 6
	s_cbranch_scc0 .LBB273_1872
; %bb.1871:
	v_lshlrev_b32_e32 v3, 16, v1
	v_cvt_f64_f32_e32 v[6:7], v3
	global_store_dwordx2 v[4:5], v[6:7], off
	s_mov_b64 s[0:1], 0
.LBB273_1872:
	s_andn2_b64 vcc, exec, s[0:1]
	s_cbranch_vccnz .LBB273_1874
; %bb.1873:
	v_lshlrev_b32_e32 v3, 16, v1
	global_store_dword v[4:5], v3, off
.LBB273_1874:
	s_mov_b64 s[0:1], 0
.LBB273_1875:
	s_andn2_b64 vcc, exec, s[0:1]
	s_cbranch_vccnz .LBB273_1877
; %bb.1876:
	v_lshlrev_b32_e32 v3, 16, v1
	v_cvt_f16_f32_e32 v3, v3
	global_store_short v[4:5], v3, off
.LBB273_1877:
	s_mov_b64 s[0:1], 0
.LBB273_1878:
	s_andn2_b64 vcc, exec, s[0:1]
	s_cbranch_vccnz .LBB273_1894
; %bb.1879:
	s_cmp_lt_i32 s6, 2
	s_mov_b64 s[0:1], -1
	s_cbranch_scc1 .LBB273_1889
; %bb.1880:
	s_cmp_lt_i32 s6, 3
	s_cbranch_scc1 .LBB273_1886
; %bb.1881:
	s_cmp_gt_i32 s6, 3
	s_cbranch_scc0 .LBB273_1883
; %bb.1882:
	v_lshlrev_b32_e32 v3, 16, v1
	v_trunc_f32_e32 v3, v3
	s_mov_b32 s0, 0x2f800000
	v_mul_f32_e64 v6, |v3|, s0
	v_floor_f32_e32 v6, v6
	s_mov_b32 s0, 0xcf800000
	v_cvt_u32_f32_e32 v7, v6
	v_fma_f32 v6, v6, s0, |v3|
	v_cvt_u32_f32_e32 v6, v6
	v_ashrrev_i32_e32 v3, 31, v3
	v_xor_b32_e32 v7, v7, v3
	s_mov_b64 s[0:1], 0
	v_xor_b32_e32 v6, v6, v3
	v_sub_co_u32_e32 v6, vcc, v6, v3
	s_nop 1
	v_subb_co_u32_e32 v7, vcc, v7, v3, vcc
	global_store_dwordx2 v[4:5], v[6:7], off
.LBB273_1883:
	s_andn2_b64 vcc, exec, s[0:1]
	s_cbranch_vccnz .LBB273_1885
; %bb.1884:
	v_lshlrev_b32_e32 v3, 16, v1
	v_cvt_i32_f32_e32 v3, v3
	global_store_dword v[4:5], v3, off
.LBB273_1885:
	s_mov_b64 s[0:1], 0
.LBB273_1886:
	s_andn2_b64 vcc, exec, s[0:1]
	s_cbranch_vccnz .LBB273_1888
; %bb.1887:
	v_lshlrev_b32_e32 v3, 16, v1
	v_cvt_i32_f32_e32 v3, v3
	global_store_short v[4:5], v3, off
.LBB273_1888:
	s_mov_b64 s[0:1], 0
.LBB273_1889:
	s_andn2_b64 vcc, exec, s[0:1]
	s_cbranch_vccnz .LBB273_1894
; %bb.1890:
	s_mov_b64 s[0:1], -1
	s_cmp_gt_i32 s6, 0
	v_lshlrev_b32_e32 v1, 16, v1
	s_cbranch_scc0 .LBB273_1892
; %bb.1891:
	v_cvt_i32_f32_e32 v3, v1
	s_mov_b64 s[0:1], 0
	global_store_byte v[4:5], v3, off
.LBB273_1892:
	s_andn2_b64 vcc, exec, s[0:1]
	s_cbranch_vccnz .LBB273_1894
; %bb.1893:
	v_trunc_f32_e32 v1, v1
	s_mov_b32 s0, 0x2f800000
	v_mul_f32_e64 v3, |v1|, s0
	v_floor_f32_e32 v3, v3
	s_mov_b32 s0, 0xcf800000
	v_fma_f32 v3, v3, s0, |v1|
	v_cvt_u32_f32_e32 v3, v3
	v_ashrrev_i32_e32 v1, 31, v1
	v_xor_b32_e32 v3, v3, v1
	v_sub_u32_e32 v1, v3, v1
	global_store_byte v[4:5], v1, off
.LBB273_1894:
	s_mov_b64 s[8:9], -1
.LBB273_1895:
	s_andn2_b64 vcc, exec, s[8:9]
	s_cbranch_vccnz .LBB273_2091
; %bb.1896:
	v_lshlrev_b32_e32 v1, 16, v12
	s_mov_b32 s0, 0xf800000
	v_mul_f32_e32 v3, 0x4f800000, v1
	v_cmp_gt_f32_e32 vcc, s0, v1
	s_cmp_lt_i32 s14, 11
	s_nop 0
	v_cndmask_b32_e32 v3, v1, v3, vcc
	v_sqrt_f32_e32 v4, v3
	s_nop 0
	v_add_u32_e32 v5, -1, v4
	v_fma_f32 v6, -v5, v4, v3
	v_cmp_ge_f32_e64 s[0:1], 0, v6
	v_add_u32_e32 v6, 1, v4
	s_nop 0
	v_cndmask_b32_e64 v5, v4, v5, s[0:1]
	v_fma_f32 v4, -v6, v4, v3
	v_cmp_lt_f32_e64 s[0:1], 0, v4
	s_nop 1
	v_cndmask_b32_e64 v4, v5, v6, s[0:1]
	v_mul_f32_e32 v5, 0x37800000, v4
	v_cndmask_b32_e32 v4, v4, v5, vcc
	v_mov_b32_e32 v5, 0x260
	v_cmp_class_f32_e32 vcc, v3, v5
	s_movk_i32 s0, 0x7fff
	s_nop 0
	v_cndmask_b32_e32 v3, v4, v3, vcc
	v_bfe_u32 v4, v3, 16, 1
	v_add3_u32 v3, v3, v4, s0
	v_cmp_le_f32_e32 vcc, 0, v1
	v_mov_b32_e32 v1, 0x7fc0
	s_nop 0
	v_cndmask_b32_sdwa v1, v1, v3, vcc dst_sel:DWORD dst_unused:UNUSED_PAD src0_sel:DWORD src1_sel:WORD_1
	v_mov_b32_e32 v3, 0
	v_lshl_add_u64 v[2:3], s[4:5], 0, v[2:3]
	s_cbranch_scc1 .LBB273_1974
; %bb.1897:
	s_and_b32 s15, 0xffff, s14
	s_mov_b64 s[10:11], -1
	s_mov_b64 s[6:7], 0
	s_cmp_gt_i32 s15, 25
	s_mov_b64 s[8:9], 0
	s_mov_b64 s[0:1], 0
	s_cbranch_scc0 .LBB273_1930
; %bb.1898:
	s_cmp_gt_i32 s15, 28
	s_cbranch_scc0 .LBB273_1913
; %bb.1899:
	s_cmp_gt_i32 s15, 43
	;; [unrolled: 3-line block ×3, first 2 shown]
	s_cbranch_scc0 .LBB273_1903
; %bb.1901:
	s_mov_b64 s[0:1], -1
	s_mov_b64 s[10:11], 0
	s_cmp_eq_u32 s15, 46
	s_cbranch_scc0 .LBB273_1903
; %bb.1902:
	v_and_b32_e32 v4, 0xffff, v1
	global_store_dword v[2:3], v4, off
	s_mov_b64 s[0:1], 0
	s_mov_b64 s[8:9], -1
.LBB273_1903:
	s_and_b64 vcc, exec, s[10:11]
	s_cbranch_vccz .LBB273_1908
; %bb.1904:
	s_cmp_eq_u32 s15, 44
	s_mov_b64 s[0:1], -1
	s_cbranch_scc0 .LBB273_1908
; %bb.1905:
	v_and_b32_e32 v5, 0xffff, v1
	v_bfe_u32 v4, v5, 7, 8
	s_movk_i32 s0, 0xff
	v_cmp_ne_u32_e32 vcc, s0, v4
	v_mov_b32_e32 v6, 0xff
	s_and_saveexec_b64 s[8:9], vcc
	s_cbranch_execz .LBB273_1907
; %bb.1906:
	v_lshlrev_b32_e32 v7, 16, v5
	s_mov_b32 s0, 0x3f0000
	v_lshrrev_b32_e32 v6, 7, v5
	v_and_b32_e32 v5, 64, v5
	v_and_or_b32 v4, v7, s0, v4
	v_cmp_ne_u32_e32 vcc, 0, v5
	v_cmp_ne_u32_e64 s[0:1], 0, v4
	s_and_b64 s[0:1], vcc, s[0:1]
	s_nop 0
	v_cndmask_b32_e64 v4, 0, 1, s[0:1]
	v_add_u32_e32 v6, v6, v4
.LBB273_1907:
	s_or_b64 exec, exec, s[8:9]
	s_mov_b64 s[0:1], 0
	s_mov_b64 s[8:9], -1
	global_store_byte v[2:3], v6, off
.LBB273_1908:
	s_mov_b64 s[10:11], 0
.LBB273_1909:
	s_and_b64 vcc, exec, s[10:11]
	s_cbranch_vccz .LBB273_1912
; %bb.1910:
	s_cmp_eq_u32 s15, 29
	s_mov_b64 s[0:1], -1
	s_cbranch_scc0 .LBB273_1912
; %bb.1911:
	v_lshlrev_b32_e32 v4, 16, v1
	v_trunc_f32_e32 v4, v4
	v_mul_f32_e32 v5, 0x2f800000, v4
	v_floor_f32_e32 v6, v5
	v_fmamk_f32 v4, v6, 0xcf800000, v4
	v_cvt_u32_f32_e32 v5, v6
	v_cvt_u32_f32_e32 v4, v4
	s_mov_b64 s[0:1], 0
	s_mov_b64 s[8:9], -1
	global_store_dwordx2 v[2:3], v[4:5], off
.LBB273_1912:
	s_mov_b64 s[10:11], 0
.LBB273_1913:
	s_and_b64 vcc, exec, s[10:11]
	s_cbranch_vccz .LBB273_1929
; %bb.1914:
	s_cmp_lt_i32 s15, 27
	s_mov_b64 s[8:9], -1
	s_cbranch_scc1 .LBB273_1920
; %bb.1915:
	s_cmp_gt_i32 s15, 27
	s_cbranch_scc0 .LBB273_1917
; %bb.1916:
	v_lshlrev_b32_e32 v4, 16, v1
	v_cvt_u32_f32_e32 v4, v4
	s_mov_b64 s[8:9], 0
	global_store_dword v[2:3], v4, off
.LBB273_1917:
	s_andn2_b64 vcc, exec, s[8:9]
	s_cbranch_vccnz .LBB273_1919
; %bb.1918:
	v_lshlrev_b32_e32 v4, 16, v1
	v_cvt_u32_f32_e32 v4, v4
	global_store_short v[2:3], v4, off
.LBB273_1919:
	s_mov_b64 s[8:9], 0
.LBB273_1920:
	s_andn2_b64 vcc, exec, s[8:9]
	s_cbranch_vccnz .LBB273_1928
; %bb.1921:
	v_lshlrev_b32_e32 v6, 16, v1
	v_and_b32_e32 v5, 0x7fffffff, v6
	s_mov_b32 s8, 0x43800000
	v_cmp_gt_u32_e32 vcc, s8, v5
	v_mov_b32_e32 v7, 0x80
	s_and_saveexec_b64 s[8:9], vcc
	s_cbranch_execz .LBB273_1927
; %bb.1922:
	s_mov_b32 s10, 0x3bffffff
	v_and_b32_e32 v4, 0xffff, v1
	v_cmp_lt_u32_e32 vcc, s10, v5
	s_mov_b64 s[10:11], 0
                                        ; implicit-def: $vgpr5
	s_and_saveexec_b64 s[12:13], vcc
	s_xor_b64 s[12:13], exec, s[12:13]
	s_cbranch_execz .LBB273_2148
; %bb.1923:
	v_bfe_u32 v5, v4, 4, 1
	s_mov_b32 s16, 0x487ffff
	v_add3_u32 v5, v6, v5, s16
	s_mov_b64 s[10:11], exec
	v_lshrrev_b32_e32 v5, 20, v5
                                        ; implicit-def: $vgpr6
	s_andn2_saveexec_b64 s[12:13], s[12:13]
	s_cbranch_execnz .LBB273_2149
.LBB273_1924:
	s_or_b64 exec, exec, s[12:13]
	v_mov_b32_e32 v7, 0
	s_and_saveexec_b64 s[12:13], s[10:11]
.LBB273_1925:
	v_lshrrev_b32_e32 v4, 8, v4
	s_movk_i32 s10, 0x80
	v_and_or_b32 v7, v4, s10, v5
.LBB273_1926:
	s_or_b64 exec, exec, s[12:13]
.LBB273_1927:
	s_or_b64 exec, exec, s[8:9]
	global_store_byte v[2:3], v7, off
.LBB273_1928:
	s_mov_b64 s[8:9], -1
.LBB273_1929:
	s_mov_b64 s[10:11], 0
.LBB273_1930:
	s_and_b64 vcc, exec, s[10:11]
	s_cbranch_vccz .LBB273_1970
; %bb.1931:
	s_cmp_gt_i32 s15, 22
	s_mov_b64 s[6:7], -1
	s_cbranch_scc0 .LBB273_1963
; %bb.1932:
	s_cmp_lt_i32 s15, 24
	s_cbranch_scc1 .LBB273_1952
; %bb.1933:
	s_cmp_gt_i32 s15, 24
	s_cbranch_scc0 .LBB273_1941
; %bb.1934:
	v_lshlrev_b32_e32 v6, 16, v1
	v_and_b32_e32 v5, 0x7fffffff, v6
	s_mov_b32 s6, 0x47800000
	v_cmp_gt_u32_e32 vcc, s6, v5
	v_mov_b32_e32 v7, 0x80
	s_and_saveexec_b64 s[6:7], vcc
	s_cbranch_execz .LBB273_1940
; %bb.1935:
	s_mov_b32 s8, 0x37ffffff
	v_and_b32_e32 v4, 0xffff, v1
	v_cmp_lt_u32_e32 vcc, s8, v5
	s_mov_b64 s[8:9], 0
                                        ; implicit-def: $vgpr5
	s_and_saveexec_b64 s[10:11], vcc
	s_xor_b64 s[10:11], exec, s[10:11]
	s_cbranch_execz .LBB273_2151
; %bb.1936:
	v_bfe_u32 v5, v4, 5, 1
	s_mov_b32 s12, 0x88fffff
	v_add3_u32 v5, v6, v5, s12
	s_mov_b64 s[8:9], exec
	v_lshrrev_b32_e32 v5, 21, v5
                                        ; implicit-def: $vgpr6
	s_andn2_saveexec_b64 s[10:11], s[10:11]
	s_cbranch_execnz .LBB273_2152
.LBB273_1937:
	s_or_b64 exec, exec, s[10:11]
	v_mov_b32_e32 v7, 0
	s_and_saveexec_b64 s[10:11], s[8:9]
.LBB273_1938:
	v_lshrrev_b32_e32 v4, 8, v4
	s_movk_i32 s8, 0x80
	v_and_or_b32 v7, v4, s8, v5
.LBB273_1939:
	s_or_b64 exec, exec, s[10:11]
.LBB273_1940:
	s_or_b64 exec, exec, s[6:7]
	s_mov_b64 s[6:7], 0
	global_store_byte v[2:3], v7, off
.LBB273_1941:
	s_and_b64 vcc, exec, s[6:7]
	s_cbranch_vccz .LBB273_1951
; %bb.1942:
	v_lshlrev_b32_e32 v6, 16, v1
	v_and_b32_e32 v7, 0x7fffffff, v6
	s_mov_b32 s6, 0x43f00000
	v_and_b32_e32 v4, 0xffff, v1
	v_cmp_gt_u32_e32 vcc, s6, v7
                                        ; implicit-def: $vgpr5
	s_and_saveexec_b64 s[6:7], vcc
	s_xor_b64 s[6:7], exec, s[6:7]
	s_cbranch_execz .LBB273_1948
; %bb.1943:
	s_mov_b32 s8, 0x3c7fffff
	v_cmp_lt_u32_e32 vcc, s8, v7
                                        ; implicit-def: $vgpr5
	s_and_saveexec_b64 s[8:9], vcc
	s_xor_b64 s[8:9], exec, s[8:9]
; %bb.1944:
	v_bfe_u32 v5, v4, 4, 1
	s_mov_b32 s10, 0x407ffff
	v_add3_u32 v5, v6, v5, s10
	v_lshrrev_b32_e32 v6, 20, v5
	v_and_b32_e32 v5, 0xff00000, v5
	s_mov_b32 s10, 0x7f00000
	v_mov_b32_e32 v7, 0x7e
	v_cmp_ne_u32_e32 vcc, s10, v5
	s_nop 1
	v_cndmask_b32_e32 v5, v7, v6, vcc
                                        ; implicit-def: $vgpr6
; %bb.1945:
	s_andn2_saveexec_b64 s[8:9], s[8:9]
; %bb.1946:
	s_mov_b32 s10, 0x46800000
	v_add_f32_e64 v5, |v6|, s10
; %bb.1947:
	s_or_b64 exec, exec, s[8:9]
                                        ; implicit-def: $vgpr7
.LBB273_1948:
	s_andn2_saveexec_b64 s[6:7], s[6:7]
; %bb.1949:
	s_mov_b32 s8, 0x7f800000
	v_mov_b32_e32 v5, 0x7e
	v_mov_b32_e32 v6, 0x7f
	v_cmp_lt_u32_e32 vcc, s8, v7
	s_nop 1
	v_cndmask_b32_e32 v5, v5, v6, vcc
; %bb.1950:
	s_or_b64 exec, exec, s[6:7]
	v_lshrrev_b32_e32 v4, 8, v4
	s_movk_i32 s6, 0x80
	v_and_or_b32 v4, v4, s6, v5
	global_store_byte v[2:3], v4, off
.LBB273_1951:
	s_mov_b64 s[6:7], 0
.LBB273_1952:
	s_andn2_b64 vcc, exec, s[6:7]
	s_cbranch_vccnz .LBB273_1962
; %bb.1953:
	v_lshlrev_b32_e32 v6, 16, v1
	v_and_b32_e32 v7, 0x7fffffff, v6
	s_mov_b32 s6, 0x47800000
	v_and_b32_e32 v4, 0xffff, v1
	v_cmp_gt_u32_e32 vcc, s6, v7
                                        ; implicit-def: $vgpr5
	s_and_saveexec_b64 s[6:7], vcc
	s_xor_b64 s[6:7], exec, s[6:7]
	s_cbranch_execz .LBB273_1959
; %bb.1954:
	s_mov_b32 s8, 0x387fffff
	v_cmp_lt_u32_e32 vcc, s8, v7
                                        ; implicit-def: $vgpr5
	s_and_saveexec_b64 s[8:9], vcc
	s_xor_b64 s[8:9], exec, s[8:9]
; %bb.1955:
	v_bfe_u32 v5, v4, 5, 1
	s_mov_b32 s10, 0x80fffff
	v_add3_u32 v5, v6, v5, s10
	v_lshrrev_b32_e32 v5, 21, v5
                                        ; implicit-def: $vgpr6
; %bb.1956:
	s_andn2_saveexec_b64 s[8:9], s[8:9]
; %bb.1957:
	s_mov_b32 s10, 0x43000000
	v_add_f32_e64 v5, |v6|, s10
; %bb.1958:
	s_or_b64 exec, exec, s[8:9]
                                        ; implicit-def: $vgpr7
.LBB273_1959:
	s_andn2_saveexec_b64 s[6:7], s[6:7]
; %bb.1960:
	s_mov_b32 s8, 0x7f800000
	v_mov_b32_e32 v5, 0x7c
	v_mov_b32_e32 v6, 0x7f
	v_cmp_lt_u32_e32 vcc, s8, v7
	s_nop 1
	v_cndmask_b32_e32 v5, v5, v6, vcc
; %bb.1961:
	s_or_b64 exec, exec, s[6:7]
	v_lshrrev_b32_e32 v4, 8, v4
	s_movk_i32 s6, 0x80
	v_and_or_b32 v4, v4, s6, v5
	global_store_byte v[2:3], v4, off
.LBB273_1962:
	s_mov_b64 s[6:7], 0
	s_mov_b64 s[8:9], -1
.LBB273_1963:
	s_andn2_b64 vcc, exec, s[6:7]
	s_mov_b64 s[6:7], 0
	s_cbranch_vccnz .LBB273_1970
; %bb.1964:
	s_cmp_gt_i32 s15, 14
	s_mov_b64 s[10:11], -1
	s_cbranch_scc0 .LBB273_1968
; %bb.1965:
	s_cmp_eq_u32 s15, 15
	s_mov_b64 s[0:1], -1
	s_cbranch_scc0 .LBB273_1967
; %bb.1966:
	global_store_short v[2:3], v1, off
	s_mov_b64 s[0:1], 0
	s_mov_b64 s[8:9], -1
.LBB273_1967:
	s_mov_b64 s[10:11], 0
.LBB273_1968:
	s_and_b64 vcc, exec, s[10:11]
	s_cbranch_vccz .LBB273_1970
; %bb.1969:
	s_cmp_lg_u32 s15, 11
	s_mov_b64 s[6:7], -1
	s_cselect_b64 s[0:1], -1, 0
.LBB273_1970:
	s_and_b64 vcc, exec, s[0:1]
	s_cbranch_vccnz .LBB273_2150
; %bb.1971:
	s_andn2_b64 vcc, exec, s[6:7]
	s_cbranch_vccnz .LBB273_1973
.LBB273_1972:
	v_and_b32_e32 v4, 0x7fff, v1
	v_cmp_ne_u16_e32 vcc, 0, v4
	s_mov_b64 s[8:9], -1
	s_nop 0
	v_cndmask_b32_e64 v4, 0, 1, vcc
	global_store_byte v[2:3], v4, off
.LBB273_1973:
	s_mov_b64 s[0:1], 0
	s_branch .LBB273_1975
.LBB273_1974:
	s_mov_b64 s[0:1], -1
	s_mov_b64 s[8:9], 0
.LBB273_1975:
	s_and_b64 vcc, exec, s[0:1]
	s_cbranch_vccz .LBB273_2014
; %bb.1976:
	s_and_b32 s6, 0xffff, s14
	s_cmp_lt_i32 s6, 5
	s_mov_b64 s[0:1], -1
	s_cbranch_scc1 .LBB273_1997
; %bb.1977:
	s_cmp_lt_i32 s6, 8
	s_cbranch_scc1 .LBB273_1987
; %bb.1978:
	s_cmp_lt_i32 s6, 9
	s_cbranch_scc1 .LBB273_1984
; %bb.1979:
	s_cmp_gt_i32 s6, 9
	s_cbranch_scc0 .LBB273_1981
; %bb.1980:
	v_lshlrev_b32_e32 v4, 16, v1
	v_mov_b32_e32 v6, 0
	v_cvt_f64_f32_e32 v[4:5], v4
	v_mov_b32_e32 v7, v6
	global_store_dwordx4 v[2:3], v[4:7], off
	s_mov_b64 s[0:1], 0
.LBB273_1981:
	s_andn2_b64 vcc, exec, s[0:1]
	s_cbranch_vccnz .LBB273_1983
; %bb.1982:
	v_lshlrev_b32_e32 v4, 16, v1
	v_mov_b32_e32 v5, 0
	global_store_dwordx2 v[2:3], v[4:5], off
.LBB273_1983:
	s_mov_b64 s[0:1], 0
.LBB273_1984:
	s_andn2_b64 vcc, exec, s[0:1]
	s_cbranch_vccnz .LBB273_1986
; %bb.1985:
	v_lshlrev_b32_e32 v4, 16, v1
	v_cvt_f16_f32_e32 v4, v4
	global_store_dword v[2:3], v4, off
.LBB273_1986:
	s_mov_b64 s[0:1], 0
.LBB273_1987:
	s_andn2_b64 vcc, exec, s[0:1]
	s_cbranch_vccnz .LBB273_1996
; %bb.1988:
	s_cmp_lt_i32 s6, 6
	s_mov_b64 s[0:1], -1
	s_cbranch_scc1 .LBB273_1994
; %bb.1989:
	s_cmp_gt_i32 s6, 6
	s_cbranch_scc0 .LBB273_1991
; %bb.1990:
	v_lshlrev_b32_e32 v4, 16, v1
	v_cvt_f64_f32_e32 v[4:5], v4
	global_store_dwordx2 v[2:3], v[4:5], off
	s_mov_b64 s[0:1], 0
.LBB273_1991:
	s_andn2_b64 vcc, exec, s[0:1]
	s_cbranch_vccnz .LBB273_1993
; %bb.1992:
	v_lshlrev_b32_e32 v4, 16, v1
	global_store_dword v[2:3], v4, off
.LBB273_1993:
	s_mov_b64 s[0:1], 0
.LBB273_1994:
	s_andn2_b64 vcc, exec, s[0:1]
	s_cbranch_vccnz .LBB273_1996
; %bb.1995:
	v_lshlrev_b32_e32 v4, 16, v1
	v_cvt_f16_f32_e32 v4, v4
	global_store_short v[2:3], v4, off
.LBB273_1996:
	s_mov_b64 s[0:1], 0
.LBB273_1997:
	s_andn2_b64 vcc, exec, s[0:1]
	s_cbranch_vccnz .LBB273_2013
; %bb.1998:
	s_cmp_lt_i32 s6, 2
	s_mov_b64 s[0:1], -1
	s_cbranch_scc1 .LBB273_2008
; %bb.1999:
	s_cmp_lt_i32 s6, 3
	s_cbranch_scc1 .LBB273_2005
; %bb.2000:
	s_cmp_gt_i32 s6, 3
	s_cbranch_scc0 .LBB273_2002
; %bb.2001:
	v_lshlrev_b32_e32 v4, 16, v1
	v_trunc_f32_e32 v4, v4
	s_mov_b32 s0, 0x2f800000
	v_mul_f32_e64 v5, |v4|, s0
	v_floor_f32_e32 v5, v5
	s_mov_b32 s0, 0xcf800000
	v_cvt_u32_f32_e32 v6, v5
	v_fma_f32 v5, v5, s0, |v4|
	v_cvt_u32_f32_e32 v5, v5
	v_ashrrev_i32_e32 v7, 31, v4
	v_xor_b32_e32 v6, v6, v7
	s_mov_b64 s[0:1], 0
	v_xor_b32_e32 v4, v5, v7
	v_sub_co_u32_e32 v4, vcc, v4, v7
	s_nop 1
	v_subb_co_u32_e32 v5, vcc, v6, v7, vcc
	global_store_dwordx2 v[2:3], v[4:5], off
.LBB273_2002:
	s_andn2_b64 vcc, exec, s[0:1]
	s_cbranch_vccnz .LBB273_2004
; %bb.2003:
	v_lshlrev_b32_e32 v4, 16, v1
	v_cvt_i32_f32_e32 v4, v4
	global_store_dword v[2:3], v4, off
.LBB273_2004:
	s_mov_b64 s[0:1], 0
.LBB273_2005:
	s_andn2_b64 vcc, exec, s[0:1]
	s_cbranch_vccnz .LBB273_2007
; %bb.2006:
	v_lshlrev_b32_e32 v4, 16, v1
	v_cvt_i32_f32_e32 v4, v4
	global_store_short v[2:3], v4, off
.LBB273_2007:
	s_mov_b64 s[0:1], 0
.LBB273_2008:
	s_andn2_b64 vcc, exec, s[0:1]
	s_cbranch_vccnz .LBB273_2013
; %bb.2009:
	s_cmp_gt_i32 s6, 0
	s_mov_b64 s[0:1], -1
	s_cbranch_scc0 .LBB273_2011
; %bb.2010:
	v_lshlrev_b32_e32 v4, 16, v1
	v_cvt_i32_f32_e32 v4, v4
	s_mov_b64 s[0:1], 0
	global_store_byte v[2:3], v4, off
.LBB273_2011:
	s_andn2_b64 vcc, exec, s[0:1]
	s_cbranch_vccnz .LBB273_2013
; %bb.2012:
	v_lshlrev_b32_e32 v1, 16, v1
	v_trunc_f32_e32 v1, v1
	s_mov_b32 s0, 0x2f800000
	v_mul_f32_e64 v4, |v1|, s0
	v_floor_f32_e32 v4, v4
	s_mov_b32 s0, 0xcf800000
	v_fma_f32 v4, v4, s0, |v1|
	v_cvt_u32_f32_e32 v4, v4
	v_ashrrev_i32_e32 v1, 31, v1
	v_xor_b32_e32 v4, v4, v1
	v_sub_u32_e32 v1, v4, v1
	global_store_byte v[2:3], v1, off
.LBB273_2013:
	s_mov_b64 s[8:9], -1
.LBB273_2014:
	s_andn2_b64 vcc, exec, s[8:9]
	s_cbranch_vccnz .LBB273_2091
; %bb.2015:
	v_lshlrev_b32_e32 v1, 16, v10
	s_mov_b32 s0, 0xf800000
	v_mul_f32_e32 v2, 0x4f800000, v1
	v_cmp_gt_f32_e32 vcc, s0, v1
	s_cmp_lt_i32 s14, 11
	s_nop 0
	v_cndmask_b32_e32 v2, v1, v2, vcc
	v_sqrt_f32_e32 v3, v2
	s_nop 0
	v_add_u32_e32 v4, -1, v3
	v_fma_f32 v5, -v4, v3, v2
	v_cmp_ge_f32_e64 s[0:1], 0, v5
	v_add_u32_e32 v5, 1, v3
	s_nop 0
	v_cndmask_b32_e64 v4, v3, v4, s[0:1]
	v_fma_f32 v3, -v5, v3, v2
	v_cmp_lt_f32_e64 s[0:1], 0, v3
	s_nop 1
	v_cndmask_b32_e64 v3, v4, v5, s[0:1]
	v_mul_f32_e32 v4, 0x37800000, v3
	v_cndmask_b32_e32 v3, v3, v4, vcc
	v_mov_b32_e32 v4, 0x260
	v_cmp_class_f32_e32 vcc, v2, v4
	s_movk_i32 s0, 0x7fff
	s_nop 0
	v_cndmask_b32_e32 v2, v3, v2, vcc
	v_bfe_u32 v3, v2, 16, 1
	v_add3_u32 v2, v2, v3, s0
	v_cmp_le_f32_e32 vcc, 0, v1
	v_mov_b32_e32 v1, 0x7fc0
	s_nop 0
	v_cndmask_b32_sdwa v2, v1, v2, vcc dst_sel:DWORD dst_unused:UNUSED_PAD src0_sel:DWORD src1_sel:WORD_1
	v_mov_b32_e32 v1, 0
	v_lshl_add_u64 v[0:1], s[4:5], 0, v[0:1]
	s_cbranch_scc1 .LBB273_2136
; %bb.2016:
	s_and_b32 s12, 0xffff, s14
	s_mov_b64 s[6:7], -1
	s_mov_b64 s[4:5], 0
	s_cmp_gt_i32 s12, 25
	s_mov_b64 s[0:1], 0
	s_cbranch_scc0 .LBB273_2049
; %bb.2017:
	s_cmp_gt_i32 s12, 28
	s_cbranch_scc0 .LBB273_2033
; %bb.2018:
	s_cmp_gt_i32 s12, 43
	;; [unrolled: 3-line block ×3, first 2 shown]
	s_cbranch_scc0 .LBB273_2023
; %bb.2020:
	s_cmp_eq_u32 s12, 46
	s_mov_b64 s[0:1], -1
	s_cbranch_scc0 .LBB273_2022
; %bb.2021:
	v_and_b32_e32 v3, 0xffff, v2
	global_store_dword v[0:1], v3, off
	s_mov_b64 s[0:1], 0
.LBB273_2022:
	s_mov_b64 s[6:7], 0
.LBB273_2023:
	s_and_b64 vcc, exec, s[6:7]
	s_cbranch_vccz .LBB273_2028
; %bb.2024:
	s_cmp_eq_u32 s12, 44
	s_mov_b64 s[0:1], -1
	s_cbranch_scc0 .LBB273_2028
; %bb.2025:
	v_and_b32_e32 v4, 0xffff, v2
	v_bfe_u32 v3, v4, 7, 8
	s_movk_i32 s0, 0xff
	v_cmp_ne_u32_e32 vcc, s0, v3
	v_mov_b32_e32 v5, 0xff
	s_and_saveexec_b64 s[6:7], vcc
	s_cbranch_execz .LBB273_2027
; %bb.2026:
	v_lshlrev_b32_e32 v6, 16, v4
	s_mov_b32 s0, 0x3f0000
	v_lshrrev_b32_e32 v5, 7, v4
	v_and_b32_e32 v4, 64, v4
	v_and_or_b32 v3, v6, s0, v3
	v_cmp_ne_u32_e32 vcc, 0, v4
	v_cmp_ne_u32_e64 s[0:1], 0, v3
	s_and_b64 s[0:1], vcc, s[0:1]
	s_nop 0
	v_cndmask_b32_e64 v3, 0, 1, s[0:1]
	v_add_u32_e32 v5, v5, v3
.LBB273_2027:
	s_or_b64 exec, exec, s[6:7]
	s_mov_b64 s[0:1], 0
	global_store_byte v[0:1], v5, off
.LBB273_2028:
	s_mov_b64 s[6:7], 0
.LBB273_2029:
	s_and_b64 vcc, exec, s[6:7]
	s_cbranch_vccz .LBB273_2032
; %bb.2030:
	s_cmp_eq_u32 s12, 29
	s_mov_b64 s[0:1], -1
	s_cbranch_scc0 .LBB273_2032
; %bb.2031:
	v_lshlrev_b32_e32 v3, 16, v2
	v_trunc_f32_e32 v3, v3
	v_mul_f32_e32 v4, 0x2f800000, v3
	v_floor_f32_e32 v4, v4
	v_fmamk_f32 v3, v4, 0xcf800000, v3
	v_cvt_u32_f32_e32 v5, v4
	v_cvt_u32_f32_e32 v4, v3
	s_mov_b64 s[0:1], 0
	global_store_dwordx2 v[0:1], v[4:5], off
.LBB273_2032:
	s_mov_b64 s[6:7], 0
.LBB273_2033:
	s_and_b64 vcc, exec, s[6:7]
	s_cbranch_vccz .LBB273_2048
; %bb.2034:
	s_cmp_lt_i32 s12, 27
	s_mov_b64 s[6:7], -1
	s_cbranch_scc1 .LBB273_2040
; %bb.2035:
	s_cmp_gt_i32 s12, 27
	s_cbranch_scc0 .LBB273_2037
; %bb.2036:
	v_lshlrev_b32_e32 v3, 16, v2
	v_cvt_u32_f32_e32 v3, v3
	s_mov_b64 s[6:7], 0
	global_store_dword v[0:1], v3, off
.LBB273_2037:
	s_andn2_b64 vcc, exec, s[6:7]
	s_cbranch_vccnz .LBB273_2039
; %bb.2038:
	v_lshlrev_b32_e32 v3, 16, v2
	v_cvt_u32_f32_e32 v3, v3
	global_store_short v[0:1], v3, off
.LBB273_2039:
	s_mov_b64 s[6:7], 0
.LBB273_2040:
	s_andn2_b64 vcc, exec, s[6:7]
	s_cbranch_vccnz .LBB273_2048
; %bb.2041:
	v_lshlrev_b32_e32 v5, 16, v2
	v_and_b32_e32 v4, 0x7fffffff, v5
	s_mov_b32 s6, 0x43800000
	v_cmp_gt_u32_e32 vcc, s6, v4
	v_mov_b32_e32 v6, 0x80
	s_and_saveexec_b64 s[6:7], vcc
	s_cbranch_execz .LBB273_2047
; %bb.2042:
	s_mov_b32 s8, 0x3bffffff
	v_and_b32_e32 v3, 0xffff, v2
	v_cmp_lt_u32_e32 vcc, s8, v4
	s_mov_b64 s[8:9], 0
                                        ; implicit-def: $vgpr4
	s_and_saveexec_b64 s[10:11], vcc
	s_xor_b64 s[10:11], exec, s[10:11]
	s_cbranch_execz .LBB273_2153
; %bb.2043:
	v_bfe_u32 v4, v3, 4, 1
	s_mov_b32 s13, 0x487ffff
	v_add3_u32 v4, v5, v4, s13
	s_mov_b64 s[8:9], exec
	v_lshrrev_b32_e32 v4, 20, v4
                                        ; implicit-def: $vgpr5
	s_andn2_saveexec_b64 s[10:11], s[10:11]
	s_cbranch_execnz .LBB273_2154
.LBB273_2044:
	s_or_b64 exec, exec, s[10:11]
	v_mov_b32_e32 v6, 0
	s_and_saveexec_b64 s[10:11], s[8:9]
.LBB273_2045:
	v_lshrrev_b32_e32 v3, 8, v3
	s_movk_i32 s8, 0x80
	v_and_or_b32 v6, v3, s8, v4
.LBB273_2046:
	s_or_b64 exec, exec, s[10:11]
.LBB273_2047:
	s_or_b64 exec, exec, s[6:7]
	global_store_byte v[0:1], v6, off
.LBB273_2048:
	s_mov_b64 s[6:7], 0
.LBB273_2049:
	s_and_b64 vcc, exec, s[6:7]
	s_cbranch_vccz .LBB273_2089
; %bb.2050:
	s_cmp_gt_i32 s12, 22
	s_mov_b64 s[4:5], -1
	s_cbranch_scc0 .LBB273_2082
; %bb.2051:
	s_cmp_lt_i32 s12, 24
	s_cbranch_scc1 .LBB273_2071
; %bb.2052:
	s_cmp_gt_i32 s12, 24
	s_cbranch_scc0 .LBB273_2060
; %bb.2053:
	v_lshlrev_b32_e32 v5, 16, v2
	v_and_b32_e32 v4, 0x7fffffff, v5
	s_mov_b32 s4, 0x47800000
	v_cmp_gt_u32_e32 vcc, s4, v4
	v_mov_b32_e32 v6, 0x80
	s_and_saveexec_b64 s[4:5], vcc
	s_cbranch_execz .LBB273_2059
; %bb.2054:
	s_mov_b32 s6, 0x37ffffff
	v_and_b32_e32 v3, 0xffff, v2
	v_cmp_lt_u32_e32 vcc, s6, v4
	s_mov_b64 s[6:7], 0
                                        ; implicit-def: $vgpr4
	s_and_saveexec_b64 s[8:9], vcc
	s_xor_b64 s[8:9], exec, s[8:9]
	s_cbranch_execz .LBB273_2156
; %bb.2055:
	v_bfe_u32 v4, v3, 5, 1
	s_mov_b32 s10, 0x88fffff
	v_add3_u32 v4, v5, v4, s10
	s_mov_b64 s[6:7], exec
	v_lshrrev_b32_e32 v4, 21, v4
                                        ; implicit-def: $vgpr5
	s_andn2_saveexec_b64 s[8:9], s[8:9]
	s_cbranch_execnz .LBB273_2157
.LBB273_2056:
	s_or_b64 exec, exec, s[8:9]
	v_mov_b32_e32 v6, 0
	s_and_saveexec_b64 s[8:9], s[6:7]
.LBB273_2057:
	v_lshrrev_b32_e32 v3, 8, v3
	s_movk_i32 s6, 0x80
	v_and_or_b32 v6, v3, s6, v4
.LBB273_2058:
	s_or_b64 exec, exec, s[8:9]
.LBB273_2059:
	s_or_b64 exec, exec, s[4:5]
	s_mov_b64 s[4:5], 0
	global_store_byte v[0:1], v6, off
.LBB273_2060:
	s_and_b64 vcc, exec, s[4:5]
	s_cbranch_vccz .LBB273_2070
; %bb.2061:
	v_lshlrev_b32_e32 v5, 16, v2
	v_and_b32_e32 v6, 0x7fffffff, v5
	s_mov_b32 s4, 0x43f00000
	v_and_b32_e32 v3, 0xffff, v2
	v_cmp_gt_u32_e32 vcc, s4, v6
                                        ; implicit-def: $vgpr4
	s_and_saveexec_b64 s[4:5], vcc
	s_xor_b64 s[4:5], exec, s[4:5]
	s_cbranch_execz .LBB273_2067
; %bb.2062:
	s_mov_b32 s6, 0x3c7fffff
	v_cmp_lt_u32_e32 vcc, s6, v6
                                        ; implicit-def: $vgpr4
	s_and_saveexec_b64 s[6:7], vcc
	s_xor_b64 s[6:7], exec, s[6:7]
; %bb.2063:
	v_bfe_u32 v4, v3, 4, 1
	s_mov_b32 s8, 0x407ffff
	v_add3_u32 v4, v5, v4, s8
	v_lshrrev_b32_e32 v5, 20, v4
	v_and_b32_e32 v4, 0xff00000, v4
	s_mov_b32 s8, 0x7f00000
	v_mov_b32_e32 v6, 0x7e
	v_cmp_ne_u32_e32 vcc, s8, v4
	s_nop 1
	v_cndmask_b32_e32 v4, v6, v5, vcc
                                        ; implicit-def: $vgpr5
; %bb.2064:
	s_andn2_saveexec_b64 s[6:7], s[6:7]
; %bb.2065:
	s_mov_b32 s8, 0x46800000
	v_add_f32_e64 v4, |v5|, s8
; %bb.2066:
	s_or_b64 exec, exec, s[6:7]
                                        ; implicit-def: $vgpr6
.LBB273_2067:
	s_andn2_saveexec_b64 s[4:5], s[4:5]
; %bb.2068:
	s_mov_b32 s6, 0x7f800000
	v_mov_b32_e32 v4, 0x7e
	v_mov_b32_e32 v5, 0x7f
	v_cmp_lt_u32_e32 vcc, s6, v6
	s_nop 1
	v_cndmask_b32_e32 v4, v4, v5, vcc
; %bb.2069:
	s_or_b64 exec, exec, s[4:5]
	v_lshrrev_b32_e32 v3, 8, v3
	s_movk_i32 s4, 0x80
	v_and_or_b32 v3, v3, s4, v4
	global_store_byte v[0:1], v3, off
.LBB273_2070:
	s_mov_b64 s[4:5], 0
.LBB273_2071:
	s_andn2_b64 vcc, exec, s[4:5]
	s_cbranch_vccnz .LBB273_2081
; %bb.2072:
	v_lshlrev_b32_e32 v5, 16, v2
	v_and_b32_e32 v6, 0x7fffffff, v5
	s_mov_b32 s4, 0x47800000
	v_and_b32_e32 v3, 0xffff, v2
	v_cmp_gt_u32_e32 vcc, s4, v6
                                        ; implicit-def: $vgpr4
	s_and_saveexec_b64 s[4:5], vcc
	s_xor_b64 s[4:5], exec, s[4:5]
	s_cbranch_execz .LBB273_2078
; %bb.2073:
	s_mov_b32 s6, 0x387fffff
	v_cmp_lt_u32_e32 vcc, s6, v6
                                        ; implicit-def: $vgpr4
	s_and_saveexec_b64 s[6:7], vcc
	s_xor_b64 s[6:7], exec, s[6:7]
; %bb.2074:
	v_bfe_u32 v4, v3, 5, 1
	s_mov_b32 s8, 0x80fffff
	v_add3_u32 v4, v5, v4, s8
	v_lshrrev_b32_e32 v4, 21, v4
                                        ; implicit-def: $vgpr5
; %bb.2075:
	s_andn2_saveexec_b64 s[6:7], s[6:7]
; %bb.2076:
	s_mov_b32 s8, 0x43000000
	v_add_f32_e64 v4, |v5|, s8
; %bb.2077:
	s_or_b64 exec, exec, s[6:7]
                                        ; implicit-def: $vgpr6
.LBB273_2078:
	s_andn2_saveexec_b64 s[4:5], s[4:5]
; %bb.2079:
	s_mov_b32 s6, 0x7f800000
	v_mov_b32_e32 v4, 0x7c
	v_mov_b32_e32 v5, 0x7f
	v_cmp_lt_u32_e32 vcc, s6, v6
	s_nop 1
	v_cndmask_b32_e32 v4, v4, v5, vcc
; %bb.2080:
	s_or_b64 exec, exec, s[4:5]
	v_lshrrev_b32_e32 v3, 8, v3
	s_movk_i32 s4, 0x80
	v_and_or_b32 v3, v3, s4, v4
	global_store_byte v[0:1], v3, off
.LBB273_2081:
	s_mov_b64 s[4:5], 0
.LBB273_2082:
	s_andn2_b64 vcc, exec, s[4:5]
	s_mov_b64 s[4:5], 0
	s_cbranch_vccnz .LBB273_2089
; %bb.2083:
	s_cmp_gt_i32 s12, 14
	s_mov_b64 s[6:7], -1
	s_cbranch_scc0 .LBB273_2087
; %bb.2084:
	s_cmp_eq_u32 s12, 15
	s_mov_b64 s[0:1], -1
	s_cbranch_scc0 .LBB273_2086
; %bb.2085:
	global_store_short v[0:1], v2, off
	s_mov_b64 s[0:1], 0
.LBB273_2086:
	s_mov_b64 s[6:7], 0
.LBB273_2087:
	s_and_b64 vcc, exec, s[6:7]
	s_cbranch_vccz .LBB273_2089
; %bb.2088:
	s_cmp_lg_u32 s12, 11
	s_mov_b64 s[4:5], -1
	s_cselect_b64 s[0:1], -1, 0
.LBB273_2089:
	s_and_b64 vcc, exec, s[0:1]
	s_cbranch_vccnz .LBB273_2155
.LBB273_2090:
	s_mov_b64 s[0:1], 0
	s_branch .LBB273_2092
.LBB273_2091:
	s_mov_b64 s[0:1], 0
	s_mov_b64 s[4:5], 0
                                        ; implicit-def: $vgpr0_vgpr1
                                        ; implicit-def: $sgpr14
                                        ; implicit-def: $vgpr2
.LBB273_2092:
	s_and_b64 s[6:7], s[0:1], exec
	s_andn2_b64 s[0:1], s[24:25], exec
	s_and_b64 s[2:3], s[2:3], exec
	s_and_b64 s[40:41], s[4:5], exec
	s_or_b64 s[24:25], s[0:1], s[2:3]
.LBB273_2093:
	s_or_b64 exec, exec, s[26:27]
	s_and_saveexec_b64 s[0:1], s[24:25]
	s_cbranch_execz .LBB273_2096
; %bb.2094:
	; divergent unreachable
	s_or_b64 exec, exec, s[0:1]
	s_and_saveexec_b64 s[0:1], s[40:41]
	s_xor_b64 s[0:1], exec, s[0:1]
	s_cbranch_execnz .LBB273_2097
.LBB273_2095:
	s_or_b64 exec, exec, s[0:1]
	s_and_saveexec_b64 s[0:1], s[6:7]
	s_cbranch_execnz .LBB273_2098
	s_branch .LBB273_2135
.LBB273_2096:
	s_or_b64 exec, exec, s[0:1]
	s_and_saveexec_b64 s[0:1], s[40:41]
	s_xor_b64 s[0:1], exec, s[0:1]
	s_cbranch_execz .LBB273_2095
.LBB273_2097:
	s_waitcnt vmcnt(0)
	v_and_b32_e32 v3, 0x7fff, v2
	v_cmp_ne_u16_e32 vcc, 0, v3
	s_nop 1
	v_cndmask_b32_e64 v3, 0, 1, vcc
	global_store_byte v[0:1], v3, off
	s_or_b64 exec, exec, s[0:1]
	s_and_saveexec_b64 s[0:1], s[6:7]
	s_cbranch_execz .LBB273_2135
.LBB273_2098:
	s_sext_i32_i16 s2, s14
	s_cmp_lt_i32 s2, 5
	s_mov_b64 s[0:1], -1
	s_cbranch_scc1 .LBB273_2119
; %bb.2099:
	s_cmp_lt_i32 s2, 8
	s_cbranch_scc1 .LBB273_2109
; %bb.2100:
	s_cmp_lt_i32 s2, 9
	s_cbranch_scc1 .LBB273_2106
; %bb.2101:
	s_cmp_gt_i32 s2, 9
	s_cbranch_scc0 .LBB273_2103
; %bb.2102:
	s_waitcnt vmcnt(0)
	v_lshlrev_b32_e32 v3, 16, v2
	v_mov_b32_e32 v6, 0
	v_cvt_f64_f32_e32 v[4:5], v3
	v_mov_b32_e32 v7, v6
	global_store_dwordx4 v[0:1], v[4:7], off
	s_mov_b64 s[0:1], 0
.LBB273_2103:
	s_andn2_b64 vcc, exec, s[0:1]
	s_cbranch_vccnz .LBB273_2105
; %bb.2104:
	v_lshlrev_b32_e32 v4, 16, v2
	v_mov_b32_e32 v5, 0
	s_waitcnt vmcnt(0)
	global_store_dwordx2 v[0:1], v[4:5], off
.LBB273_2105:
	s_mov_b64 s[0:1], 0
.LBB273_2106:
	s_andn2_b64 vcc, exec, s[0:1]
	s_cbranch_vccnz .LBB273_2108
; %bb.2107:
	s_waitcnt vmcnt(0)
	v_lshlrev_b32_e32 v3, 16, v2
	v_cvt_f16_f32_e32 v3, v3
	global_store_dword v[0:1], v3, off
.LBB273_2108:
	s_mov_b64 s[0:1], 0
.LBB273_2109:
	s_andn2_b64 vcc, exec, s[0:1]
	s_cbranch_vccnz .LBB273_2118
; %bb.2110:
	s_sext_i32_i16 s2, s14
	s_cmp_lt_i32 s2, 6
	s_mov_b64 s[0:1], -1
	s_cbranch_scc1 .LBB273_2116
; %bb.2111:
	s_cmp_gt_i32 s2, 6
	s_cbranch_scc0 .LBB273_2113
; %bb.2112:
	s_waitcnt vmcnt(0)
	v_lshlrev_b32_e32 v3, 16, v2
	v_cvt_f64_f32_e32 v[4:5], v3
	global_store_dwordx2 v[0:1], v[4:5], off
	s_mov_b64 s[0:1], 0
.LBB273_2113:
	s_andn2_b64 vcc, exec, s[0:1]
	s_cbranch_vccnz .LBB273_2115
; %bb.2114:
	s_waitcnt vmcnt(0)
	v_lshlrev_b32_e32 v3, 16, v2
	global_store_dword v[0:1], v3, off
.LBB273_2115:
	s_mov_b64 s[0:1], 0
.LBB273_2116:
	s_andn2_b64 vcc, exec, s[0:1]
	s_cbranch_vccnz .LBB273_2118
; %bb.2117:
	s_waitcnt vmcnt(0)
	v_lshlrev_b32_e32 v3, 16, v2
	v_cvt_f16_f32_e32 v3, v3
	global_store_short v[0:1], v3, off
.LBB273_2118:
	s_mov_b64 s[0:1], 0
.LBB273_2119:
	s_andn2_b64 vcc, exec, s[0:1]
	s_cbranch_vccnz .LBB273_2135
; %bb.2120:
	s_sext_i32_i16 s2, s14
	s_cmp_lt_i32 s2, 2
	s_mov_b64 s[0:1], -1
	s_cbranch_scc1 .LBB273_2130
; %bb.2121:
	s_cmp_lt_i32 s2, 3
	s_cbranch_scc1 .LBB273_2127
; %bb.2122:
	s_cmp_gt_i32 s2, 3
	s_cbranch_scc0 .LBB273_2124
; %bb.2123:
	s_waitcnt vmcnt(0)
	v_lshlrev_b32_e32 v3, 16, v2
	v_trunc_f32_e32 v3, v3
	s_mov_b32 s0, 0x2f800000
	v_mul_f32_e64 v4, |v3|, s0
	v_floor_f32_e32 v4, v4
	s_mov_b32 s0, 0xcf800000
	v_cvt_u32_f32_e32 v5, v4
	v_fma_f32 v4, v4, s0, |v3|
	v_cvt_u32_f32_e32 v4, v4
	v_ashrrev_i32_e32 v3, 31, v3
	v_xor_b32_e32 v5, v5, v3
	s_mov_b64 s[0:1], 0
	v_xor_b32_e32 v4, v4, v3
	v_sub_co_u32_e32 v4, vcc, v4, v3
	s_nop 1
	v_subb_co_u32_e32 v5, vcc, v5, v3, vcc
	global_store_dwordx2 v[0:1], v[4:5], off
.LBB273_2124:
	s_andn2_b64 vcc, exec, s[0:1]
	s_cbranch_vccnz .LBB273_2126
; %bb.2125:
	s_waitcnt vmcnt(0)
	v_lshlrev_b32_e32 v3, 16, v2
	v_cvt_i32_f32_e32 v3, v3
	global_store_dword v[0:1], v3, off
.LBB273_2126:
	s_mov_b64 s[0:1], 0
.LBB273_2127:
	s_andn2_b64 vcc, exec, s[0:1]
	s_cbranch_vccnz .LBB273_2129
; %bb.2128:
	s_waitcnt vmcnt(0)
	v_lshlrev_b32_e32 v3, 16, v2
	v_cvt_i32_f32_e32 v3, v3
	global_store_short v[0:1], v3, off
.LBB273_2129:
	s_mov_b64 s[0:1], 0
.LBB273_2130:
	s_andn2_b64 vcc, exec, s[0:1]
	s_cbranch_vccnz .LBB273_2135
; %bb.2131:
	s_sext_i32_i16 s0, s14
	s_cmp_gt_i32 s0, 0
	s_mov_b64 s[0:1], -1
	s_cbranch_scc0 .LBB273_2133
; %bb.2132:
	s_waitcnt vmcnt(0)
	v_lshlrev_b32_e32 v3, 16, v2
	v_cvt_i32_f32_e32 v3, v3
	s_mov_b64 s[0:1], 0
	global_store_byte v[0:1], v3, off
.LBB273_2133:
	s_andn2_b64 vcc, exec, s[0:1]
	s_cbranch_vccnz .LBB273_2135
; %bb.2134:
	v_lshlrev_b32_e32 v2, 16, v2
	v_trunc_f32_e32 v2, v2
	s_mov_b32 s0, 0x2f800000
	s_waitcnt vmcnt(0)
	v_mul_f32_e64 v3, |v2|, s0
	v_floor_f32_e32 v3, v3
	s_mov_b32 s0, 0xcf800000
	v_fma_f32 v3, v3, s0, |v2|
	v_cvt_u32_f32_e32 v3, v3
	v_ashrrev_i32_e32 v2, 31, v2
	v_xor_b32_e32 v3, v3, v2
	v_sub_u32_e32 v2, v3, v2
	global_store_byte v[0:1], v2, off
	s_endpgm
.LBB273_2135:
	s_endpgm
.LBB273_2136:
	s_mov_b64 s[4:5], 0
	s_mov_b64 s[0:1], -1
	s_branch .LBB273_2092
.LBB273_2137:
	s_trap 2
	s_or_b64 s[2:3], s[2:3], exec
	s_cbranch_execz .LBB273_1606
	s_branch .LBB273_1607
.LBB273_2138:
	s_andn2_saveexec_b64 s[12:13], s[12:13]
	s_cbranch_execz .LBB273_1686
.LBB273_2139:
	s_mov_b32 s17, 0x46000000
	v_add_f32_e64 v8, |v9|, s17
	v_and_b32_e32 v8, 0xff, v8
	v_cmp_ne_u32_e32 vcc, 0, v8
	s_andn2_b64 s[10:11], s[10:11], exec
	s_and_b64 s[18:19], vcc, exec
	s_or_b64 s[10:11], s[10:11], s[18:19]
	s_or_b64 exec, exec, s[12:13]
	v_mov_b32_e32 v11, 0
	s_and_saveexec_b64 s[12:13], s[10:11]
	s_cbranch_execnz .LBB273_1687
	s_branch .LBB273_1688
.LBB273_2140:
	s_trap 2
	s_or_b64 s[2:3], s[2:3], exec
	s_cbranch_execz .LBB273_1734
	s_branch .LBB273_1735
.LBB273_2141:
	s_andn2_saveexec_b64 s[10:11], s[10:11]
	s_cbranch_execz .LBB273_1699
.LBB273_2142:
	s_mov_b32 s12, 0x42800000
	v_add_f32_e64 v8, |v9|, s12
	v_and_b32_e32 v8, 0xff, v8
	v_cmp_ne_u32_e32 vcc, 0, v8
	s_andn2_b64 s[8:9], s[8:9], exec
	s_and_b64 s[12:13], vcc, exec
	s_or_b64 s[8:9], s[8:9], s[12:13]
	s_or_b64 exec, exec, s[10:11]
	v_mov_b32_e32 v11, 0
	s_and_saveexec_b64 s[10:11], s[8:9]
	s_cbranch_execnz .LBB273_1700
	s_branch .LBB273_1701
.LBB273_2143:
	s_andn2_saveexec_b64 s[12:13], s[12:13]
	s_cbranch_execz .LBB273_1805
.LBB273_2144:
	s_mov_b32 s16, 0x46000000
	v_add_f32_e64 v6, |v7|, s16
	v_and_b32_e32 v6, 0xff, v6
	v_cmp_ne_u32_e32 vcc, 0, v6
	s_andn2_b64 s[10:11], s[10:11], exec
	s_and_b64 s[16:17], vcc, exec
	s_or_b64 s[10:11], s[10:11], s[16:17]
	s_or_b64 exec, exec, s[12:13]
	v_mov_b32_e32 v8, 0
	s_and_saveexec_b64 s[12:13], s[10:11]
	s_cbranch_execnz .LBB273_1806
	s_branch .LBB273_1807
.LBB273_2145:
	s_trap 2
	s_or_b64 s[2:3], s[2:3], exec
	s_cbranch_execz .LBB273_1853
	s_branch .LBB273_1854
.LBB273_2146:
	s_andn2_saveexec_b64 s[10:11], s[10:11]
	s_cbranch_execz .LBB273_1818
.LBB273_2147:
	s_mov_b32 s12, 0x42800000
	v_add_f32_e64 v6, |v7|, s12
	v_and_b32_e32 v6, 0xff, v6
	v_cmp_ne_u32_e32 vcc, 0, v6
	s_andn2_b64 s[8:9], s[8:9], exec
	s_and_b64 s[12:13], vcc, exec
	s_or_b64 s[8:9], s[8:9], s[12:13]
	s_or_b64 exec, exec, s[10:11]
	v_mov_b32_e32 v8, 0
	s_and_saveexec_b64 s[10:11], s[8:9]
	s_cbranch_execnz .LBB273_1819
	s_branch .LBB273_1820
.LBB273_2148:
	s_andn2_saveexec_b64 s[12:13], s[12:13]
	s_cbranch_execz .LBB273_1924
.LBB273_2149:
	s_mov_b32 s16, 0x46000000
	v_add_f32_e64 v5, |v6|, s16
	v_and_b32_e32 v5, 0xff, v5
	v_cmp_ne_u32_e32 vcc, 0, v5
	s_andn2_b64 s[10:11], s[10:11], exec
	s_and_b64 s[16:17], vcc, exec
	s_or_b64 s[10:11], s[10:11], s[16:17]
	s_or_b64 exec, exec, s[12:13]
	v_mov_b32_e32 v7, 0
	s_and_saveexec_b64 s[12:13], s[10:11]
	s_cbranch_execnz .LBB273_1925
	s_branch .LBB273_1926
.LBB273_2150:
	s_trap 2
	s_or_b64 s[2:3], s[2:3], exec
	s_cbranch_execz .LBB273_1972
	s_branch .LBB273_1973
.LBB273_2151:
	s_andn2_saveexec_b64 s[10:11], s[10:11]
	s_cbranch_execz .LBB273_1937
.LBB273_2152:
	s_mov_b32 s12, 0x42800000
	v_add_f32_e64 v5, |v6|, s12
	v_and_b32_e32 v5, 0xff, v5
	v_cmp_ne_u32_e32 vcc, 0, v5
	s_andn2_b64 s[8:9], s[8:9], exec
	s_and_b64 s[12:13], vcc, exec
	s_or_b64 s[8:9], s[8:9], s[12:13]
	s_or_b64 exec, exec, s[10:11]
	v_mov_b32_e32 v7, 0
	s_and_saveexec_b64 s[10:11], s[8:9]
	s_cbranch_execnz .LBB273_1938
	s_branch .LBB273_1939
.LBB273_2153:
	s_andn2_saveexec_b64 s[10:11], s[10:11]
	s_cbranch_execz .LBB273_2044
.LBB273_2154:
	s_mov_b32 s13, 0x46000000
	v_add_f32_e64 v4, |v5|, s13
	v_and_b32_e32 v4, 0xff, v4
	v_cmp_ne_u32_e32 vcc, 0, v4
	s_andn2_b64 s[8:9], s[8:9], exec
	s_and_b64 s[16:17], vcc, exec
	s_or_b64 s[8:9], s[8:9], s[16:17]
	s_or_b64 exec, exec, s[10:11]
	v_mov_b32_e32 v6, 0
	s_and_saveexec_b64 s[10:11], s[8:9]
	s_cbranch_execnz .LBB273_2045
	s_branch .LBB273_2046
.LBB273_2155:
	s_mov_b64 s[4:5], 0
	s_or_b64 s[2:3], s[2:3], exec
	s_trap 2
	s_branch .LBB273_2090
.LBB273_2156:
	s_andn2_saveexec_b64 s[8:9], s[8:9]
	s_cbranch_execz .LBB273_2056
.LBB273_2157:
	s_mov_b32 s10, 0x42800000
	v_add_f32_e64 v4, |v5|, s10
	v_and_b32_e32 v4, 0xff, v4
	v_cmp_ne_u32_e32 vcc, 0, v4
	s_andn2_b64 s[6:7], s[6:7], exec
	s_and_b64 s[10:11], vcc, exec
	s_or_b64 s[6:7], s[6:7], s[10:11]
	s_or_b64 exec, exec, s[8:9]
	v_mov_b32_e32 v6, 0
	s_and_saveexec_b64 s[8:9], s[6:7]
	s_cbranch_execnz .LBB273_2057
	s_branch .LBB273_2058
	.section	.rodata,"a",@progbits
	.p2align	6, 0x0
	.amdhsa_kernel _ZN2at6native32elementwise_kernel_manual_unrollILi128ELi4EZNS0_15gpu_kernel_implIZZZNS0_16sqrt_kernel_cudaERNS_18TensorIteratorBaseEENKUlvE0_clEvENKUlvE2_clEvEUlN3c108BFloat16EE_EEvS4_RKT_EUlibE0_EEviT1_
		.amdhsa_group_segment_fixed_size 0
		.amdhsa_private_segment_fixed_size 0
		.amdhsa_kernarg_size 360
		.amdhsa_user_sgpr_count 2
		.amdhsa_user_sgpr_dispatch_ptr 0
		.amdhsa_user_sgpr_queue_ptr 0
		.amdhsa_user_sgpr_kernarg_segment_ptr 1
		.amdhsa_user_sgpr_dispatch_id 0
		.amdhsa_user_sgpr_kernarg_preload_length 0
		.amdhsa_user_sgpr_kernarg_preload_offset 0
		.amdhsa_user_sgpr_private_segment_size 0
		.amdhsa_uses_dynamic_stack 0
		.amdhsa_enable_private_segment 0
		.amdhsa_system_sgpr_workgroup_id_x 1
		.amdhsa_system_sgpr_workgroup_id_y 0
		.amdhsa_system_sgpr_workgroup_id_z 0
		.amdhsa_system_sgpr_workgroup_info 0
		.amdhsa_system_vgpr_workitem_id 0
		.amdhsa_next_free_vgpr 18
		.amdhsa_next_free_sgpr 78
		.amdhsa_accum_offset 20
		.amdhsa_reserve_vcc 1
		.amdhsa_float_round_mode_32 0
		.amdhsa_float_round_mode_16_64 0
		.amdhsa_float_denorm_mode_32 3
		.amdhsa_float_denorm_mode_16_64 3
		.amdhsa_dx10_clamp 1
		.amdhsa_ieee_mode 1
		.amdhsa_fp16_overflow 0
		.amdhsa_tg_split 0
		.amdhsa_exception_fp_ieee_invalid_op 0
		.amdhsa_exception_fp_denorm_src 0
		.amdhsa_exception_fp_ieee_div_zero 0
		.amdhsa_exception_fp_ieee_overflow 0
		.amdhsa_exception_fp_ieee_underflow 0
		.amdhsa_exception_fp_ieee_inexact 0
		.amdhsa_exception_int_div_zero 0
	.end_amdhsa_kernel
	.section	.text._ZN2at6native32elementwise_kernel_manual_unrollILi128ELi4EZNS0_15gpu_kernel_implIZZZNS0_16sqrt_kernel_cudaERNS_18TensorIteratorBaseEENKUlvE0_clEvENKUlvE2_clEvEUlN3c108BFloat16EE_EEvS4_RKT_EUlibE0_EEviT1_,"axG",@progbits,_ZN2at6native32elementwise_kernel_manual_unrollILi128ELi4EZNS0_15gpu_kernel_implIZZZNS0_16sqrt_kernel_cudaERNS_18TensorIteratorBaseEENKUlvE0_clEvENKUlvE2_clEvEUlN3c108BFloat16EE_EEvS4_RKT_EUlibE0_EEviT1_,comdat
.Lfunc_end273:
	.size	_ZN2at6native32elementwise_kernel_manual_unrollILi128ELi4EZNS0_15gpu_kernel_implIZZZNS0_16sqrt_kernel_cudaERNS_18TensorIteratorBaseEENKUlvE0_clEvENKUlvE2_clEvEUlN3c108BFloat16EE_EEvS4_RKT_EUlibE0_EEviT1_, .Lfunc_end273-_ZN2at6native32elementwise_kernel_manual_unrollILi128ELi4EZNS0_15gpu_kernel_implIZZZNS0_16sqrt_kernel_cudaERNS_18TensorIteratorBaseEENKUlvE0_clEvENKUlvE2_clEvEUlN3c108BFloat16EE_EEvS4_RKT_EUlibE0_EEviT1_
                                        ; -- End function
	.set _ZN2at6native32elementwise_kernel_manual_unrollILi128ELi4EZNS0_15gpu_kernel_implIZZZNS0_16sqrt_kernel_cudaERNS_18TensorIteratorBaseEENKUlvE0_clEvENKUlvE2_clEvEUlN3c108BFloat16EE_EEvS4_RKT_EUlibE0_EEviT1_.num_vgpr, 18
	.set _ZN2at6native32elementwise_kernel_manual_unrollILi128ELi4EZNS0_15gpu_kernel_implIZZZNS0_16sqrt_kernel_cudaERNS_18TensorIteratorBaseEENKUlvE0_clEvENKUlvE2_clEvEUlN3c108BFloat16EE_EEvS4_RKT_EUlibE0_EEviT1_.num_agpr, 0
	.set _ZN2at6native32elementwise_kernel_manual_unrollILi128ELi4EZNS0_15gpu_kernel_implIZZZNS0_16sqrt_kernel_cudaERNS_18TensorIteratorBaseEENKUlvE0_clEvENKUlvE2_clEvEUlN3c108BFloat16EE_EEvS4_RKT_EUlibE0_EEviT1_.numbered_sgpr, 78
	.set _ZN2at6native32elementwise_kernel_manual_unrollILi128ELi4EZNS0_15gpu_kernel_implIZZZNS0_16sqrt_kernel_cudaERNS_18TensorIteratorBaseEENKUlvE0_clEvENKUlvE2_clEvEUlN3c108BFloat16EE_EEvS4_RKT_EUlibE0_EEviT1_.num_named_barrier, 0
	.set _ZN2at6native32elementwise_kernel_manual_unrollILi128ELi4EZNS0_15gpu_kernel_implIZZZNS0_16sqrt_kernel_cudaERNS_18TensorIteratorBaseEENKUlvE0_clEvENKUlvE2_clEvEUlN3c108BFloat16EE_EEvS4_RKT_EUlibE0_EEviT1_.private_seg_size, 0
	.set _ZN2at6native32elementwise_kernel_manual_unrollILi128ELi4EZNS0_15gpu_kernel_implIZZZNS0_16sqrt_kernel_cudaERNS_18TensorIteratorBaseEENKUlvE0_clEvENKUlvE2_clEvEUlN3c108BFloat16EE_EEvS4_RKT_EUlibE0_EEviT1_.uses_vcc, 1
	.set _ZN2at6native32elementwise_kernel_manual_unrollILi128ELi4EZNS0_15gpu_kernel_implIZZZNS0_16sqrt_kernel_cudaERNS_18TensorIteratorBaseEENKUlvE0_clEvENKUlvE2_clEvEUlN3c108BFloat16EE_EEvS4_RKT_EUlibE0_EEviT1_.uses_flat_scratch, 0
	.set _ZN2at6native32elementwise_kernel_manual_unrollILi128ELi4EZNS0_15gpu_kernel_implIZZZNS0_16sqrt_kernel_cudaERNS_18TensorIteratorBaseEENKUlvE0_clEvENKUlvE2_clEvEUlN3c108BFloat16EE_EEvS4_RKT_EUlibE0_EEviT1_.has_dyn_sized_stack, 0
	.set _ZN2at6native32elementwise_kernel_manual_unrollILi128ELi4EZNS0_15gpu_kernel_implIZZZNS0_16sqrt_kernel_cudaERNS_18TensorIteratorBaseEENKUlvE0_clEvENKUlvE2_clEvEUlN3c108BFloat16EE_EEvS4_RKT_EUlibE0_EEviT1_.has_recursion, 0
	.set _ZN2at6native32elementwise_kernel_manual_unrollILi128ELi4EZNS0_15gpu_kernel_implIZZZNS0_16sqrt_kernel_cudaERNS_18TensorIteratorBaseEENKUlvE0_clEvENKUlvE2_clEvEUlN3c108BFloat16EE_EEvS4_RKT_EUlibE0_EEviT1_.has_indirect_call, 0
	.section	.AMDGPU.csdata,"",@progbits
; Kernel info:
; codeLenInByte = 45012
; TotalNumSgprs: 84
; NumVgprs: 18
; NumAgprs: 0
; TotalNumVgprs: 18
; ScratchSize: 0
; MemoryBound: 0
; FloatMode: 240
; IeeeMode: 1
; LDSByteSize: 0 bytes/workgroup (compile time only)
; SGPRBlocks: 10
; VGPRBlocks: 2
; NumSGPRsForWavesPerEU: 84
; NumVGPRsForWavesPerEU: 18
; AccumOffset: 20
; Occupancy: 8
; WaveLimiterHint : 1
; COMPUTE_PGM_RSRC2:SCRATCH_EN: 0
; COMPUTE_PGM_RSRC2:USER_SGPR: 2
; COMPUTE_PGM_RSRC2:TRAP_HANDLER: 0
; COMPUTE_PGM_RSRC2:TGID_X_EN: 1
; COMPUTE_PGM_RSRC2:TGID_Y_EN: 0
; COMPUTE_PGM_RSRC2:TGID_Z_EN: 0
; COMPUTE_PGM_RSRC2:TIDIG_COMP_CNT: 0
; COMPUTE_PGM_RSRC3_GFX90A:ACCUM_OFFSET: 4
; COMPUTE_PGM_RSRC3_GFX90A:TG_SPLIT: 0
	.section	.text._ZN2at6native29vectorized_elementwise_kernelILi16EZZZNS0_17clamp_kernel_cudaERNS_18TensorIteratorBaseERKN3c106ScalarES7_ENKUlvE_clEvENKUlvE_clEvEUlhE_St5arrayIPcLm2EEEEviT0_T1_,"axG",@progbits,_ZN2at6native29vectorized_elementwise_kernelILi16EZZZNS0_17clamp_kernel_cudaERNS_18TensorIteratorBaseERKN3c106ScalarES7_ENKUlvE_clEvENKUlvE_clEvEUlhE_St5arrayIPcLm2EEEEviT0_T1_,comdat
	.globl	_ZN2at6native29vectorized_elementwise_kernelILi16EZZZNS0_17clamp_kernel_cudaERNS_18TensorIteratorBaseERKN3c106ScalarES7_ENKUlvE_clEvENKUlvE_clEvEUlhE_St5arrayIPcLm2EEEEviT0_T1_ ; -- Begin function _ZN2at6native29vectorized_elementwise_kernelILi16EZZZNS0_17clamp_kernel_cudaERNS_18TensorIteratorBaseERKN3c106ScalarES7_ENKUlvE_clEvENKUlvE_clEvEUlhE_St5arrayIPcLm2EEEEviT0_T1_
	.p2align	8
	.type	_ZN2at6native29vectorized_elementwise_kernelILi16EZZZNS0_17clamp_kernel_cudaERNS_18TensorIteratorBaseERKN3c106ScalarES7_ENKUlvE_clEvENKUlvE_clEvEUlhE_St5arrayIPcLm2EEEEviT0_T1_,@function
_ZN2at6native29vectorized_elementwise_kernelILi16EZZZNS0_17clamp_kernel_cudaERNS_18TensorIteratorBaseERKN3c106ScalarES7_ENKUlvE_clEvENKUlvE_clEvEUlhE_St5arrayIPcLm2EEEEviT0_T1_: ; @_ZN2at6native29vectorized_elementwise_kernelILi16EZZZNS0_17clamp_kernel_cudaERNS_18TensorIteratorBaseERKN3c106ScalarES7_ENKUlvE_clEvENKUlvE_clEvEUlhE_St5arrayIPcLm2EEEEviT0_T1_
; %bb.0:
	v_mov_b32_e32 v1, 0
	global_load_ushort v1, v1, s[0:1] offset:4
	s_load_dword s3, s[0:1], 0x0
	s_load_dwordx4 s[4:7], s[0:1], 0x8
	s_lshl_b32 s33, s2, 12
	s_mov_b64 s[0:1], -1
	s_waitcnt lgkmcnt(0)
	s_sub_i32 s38, s3, s33
	s_cmpk_gt_i32 s38, 0xfff
	s_waitcnt vmcnt(0)
	v_readfirstlane_b32 s39, v1
	s_cbranch_scc0 .LBB274_2
; %bb.1:
	s_and_b32 s0, 0xffff, s39
	s_lshr_b32 s2, s0, 8
	s_and_b32 s3, s39, 0xff
	s_ashr_i32 s8, s33, 31
	s_add_u32 s0, s6, s33
	s_addc_u32 s1, s7, s8
	v_lshlrev_b32_e32 v1, 4, v0
	global_load_dwordx4 v[2:5], v1, s[0:1]
	s_movk_i32 s9, 0xff
	s_add_u32 s0, s4, s33
	s_addc_u32 s1, s5, s8
	s_waitcnt vmcnt(0)
	v_lshrrev_b32_e32 v6, 8, v2
	v_and_b32_sdwa v7, v2, s9 dst_sel:DWORD dst_unused:UNUSED_PAD src0_sel:WORD_1 src1_sel:DWORD
	v_lshrrev_b32_e32 v8, 8, v3
	v_and_b32_sdwa v9, v3, s9 dst_sel:DWORD dst_unused:UNUSED_PAD src0_sel:WORD_1 src1_sel:DWORD
	;; [unrolled: 2-line block ×4, first 2 shown]
	v_max_u16_sdwa v14, v2, s3 dst_sel:DWORD dst_unused:UNUSED_PAD src0_sel:BYTE_0 src1_sel:DWORD
	v_max_u16_sdwa v2, v2, s3 dst_sel:DWORD dst_unused:UNUSED_PAD src0_sel:BYTE_3 src1_sel:DWORD
	v_max_u16_sdwa v15, v3, s3 dst_sel:DWORD dst_unused:UNUSED_PAD src0_sel:BYTE_0 src1_sel:DWORD
	v_max_u16_sdwa v3, v3, s3 dst_sel:DWORD dst_unused:UNUSED_PAD src0_sel:BYTE_3 src1_sel:DWORD
	;; [unrolled: 2-line block ×4, first 2 shown]
	v_max_u16_sdwa v6, v6, s3 dst_sel:DWORD dst_unused:UNUSED_PAD src0_sel:BYTE_0 src1_sel:DWORD
	v_max_u16_e32 v7, s3, v7
	v_max_u16_sdwa v8, v8, s3 dst_sel:DWORD dst_unused:UNUSED_PAD src0_sel:BYTE_0 src1_sel:DWORD
	v_max_u16_e32 v9, s3, v9
	;; [unrolled: 2-line block ×4, first 2 shown]
	v_min_u16_e32 v14, s2, v14
	v_min_u16_sdwa v2, v2, s2 dst_sel:BYTE_1 dst_unused:UNUSED_PAD src0_sel:DWORD src1_sel:DWORD
	v_min_u16_e32 v15, s2, v15
	v_min_u16_sdwa v3, v3, s2 dst_sel:BYTE_1 dst_unused:UNUSED_PAD src0_sel:DWORD src1_sel:DWORD
	;; [unrolled: 2-line block ×4, first 2 shown]
	v_min_u16_sdwa v6, v6, s2 dst_sel:BYTE_1 dst_unused:UNUSED_PAD src0_sel:DWORD src1_sel:DWORD
	v_min_u16_e32 v7, s2, v7
	v_min_u16_sdwa v8, v8, s2 dst_sel:BYTE_1 dst_unused:UNUSED_PAD src0_sel:DWORD src1_sel:DWORD
	v_min_u16_e32 v9, s2, v9
	;; [unrolled: 2-line block ×4, first 2 shown]
	v_or_b32_e32 v12, v17, v12
	v_or_b32_sdwa v5, v13, v5 dst_sel:WORD_1 dst_unused:UNUSED_PAD src0_sel:DWORD src1_sel:DWORD
	v_or_b32_e32 v10, v16, v10
	v_or_b32_sdwa v4, v11, v4 dst_sel:WORD_1 dst_unused:UNUSED_PAD src0_sel:DWORD src1_sel:DWORD
	;; [unrolled: 2-line block ×4, first 2 shown]
	v_or_b32_sdwa v5, v12, v5 dst_sel:DWORD dst_unused:UNUSED_PAD src0_sel:WORD_0 src1_sel:DWORD
	v_or_b32_sdwa v4, v10, v4 dst_sel:DWORD dst_unused:UNUSED_PAD src0_sel:WORD_0 src1_sel:DWORD
	;; [unrolled: 1-line block ×4, first 2 shown]
	global_store_dwordx4 v1, v[2:5], s[0:1]
	s_mov_b64 s[0:1], 0
.LBB274_2:
	s_andn2_b64 vcc, exec, s[0:1]
	s_cbranch_vccnz .LBB274_52
; %bb.3:
	v_cmp_gt_i32_e32 vcc, s38, v0
	v_or_b32_e32 v1, 0x100, v0
	v_mov_b32_e32 v20, 0
	v_mov_b32_e32 v7, s39
	v_or_b32_e32 v6, s33, v0
	v_mov_b32_e32 v19, 0
	v_mov_b32_e32 v18, 0
	;; [unrolled: 1-line block ×14, first 2 shown]
	s_and_saveexec_b64 s[2:3], vcc
	s_cbranch_execz .LBB274_35
; %bb.4:
	global_load_ubyte v8, v6, s[6:7]
	v_cmp_gt_u32_e64 s[0:1], s38, v1
	v_mov_b32_e32 v9, 0
	v_mov_b32_e32 v7, s39
	v_mov_b32_e32 v3, 0
	v_mov_b32_e32 v4, 0
	v_mov_b32_e32 v11, 0
	v_mov_b32_e32 v10, 0
	v_mov_b32_e32 v12, 0
	v_mov_b32_e32 v13, 0
	v_mov_b32_e32 v14, 0
	v_mov_b32_e32 v15, 0
	v_mov_b32_e32 v16, 0
	v_mov_b32_e32 v17, 0
	v_mov_b32_e32 v18, 0
	v_mov_b32_e32 v19, 0
	v_mov_b32_e32 v20, 0
	s_and_saveexec_b64 s[8:9], s[0:1]
	s_cbranch_execz .LBB274_34
; %bb.5:
	v_add_u32_e32 v2, s33, v0
	global_load_ubyte v9, v2, s[6:7] offset:256
	v_or_b32_e32 v4, 0x200, v0
	v_mov_b32_e32 v3, 0
	v_cmp_gt_u32_e64 s[0:1], s38, v4
	v_mov_b32_e32 v7, s39
	v_mov_b32_e32 v4, 0
	;; [unrolled: 1-line block ×13, first 2 shown]
	s_and_saveexec_b64 s[10:11], s[0:1]
	s_cbranch_execz .LBB274_33
; %bb.6:
	v_lshl_add_u64 v[4:5], s[6:7], 0, v[2:3]
	global_load_ubyte v2, v[4:5], off offset:512
	v_or_b32_e32 v7, 0x300, v0
	v_cmp_gt_u32_e64 s[0:1], s38, v7
	v_mov_b32_e32 v7, s39
	v_mov_b32_e32 v11, 0
	v_mov_b32_e32 v10, 0
	v_mov_b32_e32 v12, 0
	v_mov_b32_e32 v13, 0
	v_mov_b32_e32 v14, 0
	v_mov_b32_e32 v15, 0
	v_mov_b32_e32 v16, 0
	v_mov_b32_e32 v17, 0
	v_mov_b32_e32 v18, 0
	v_mov_b32_e32 v19, 0
	v_mov_b32_e32 v20, 0
	s_and_saveexec_b64 s[6:7], s[0:1]
	s_cbranch_execz .LBB274_32
; %bb.7:
	global_load_ubyte v3, v[4:5], off offset:768
	v_or_b32_e32 v7, 0x400, v0
	v_cmp_gt_u32_e64 s[0:1], s38, v7
	v_mov_b32_e32 v11, 0
	v_mov_b32_e32 v7, s39
	;; [unrolled: 1-line block ×12, first 2 shown]
	s_and_saveexec_b64 s[12:13], s[0:1]
	s_cbranch_execz .LBB274_31
; %bb.8:
	global_load_ubyte v11, v[4:5], off offset:1024
	v_or_b32_e32 v7, 0x500, v0
	v_cmp_gt_u32_e64 s[0:1], s38, v7
	v_mov_b32_e32 v10, 0
	v_mov_b32_e32 v7, s39
	;; [unrolled: 1-line block ×11, first 2 shown]
	s_and_saveexec_b64 s[14:15], s[0:1]
	s_cbranch_execz .LBB274_30
; %bb.9:
	global_load_ubyte v10, v[4:5], off offset:1280
	v_or_b32_e32 v7, 0x600, v0
	v_cmp_gt_u32_e64 s[0:1], s38, v7
	v_mov_b32_e32 v12, 0
	v_mov_b32_e32 v7, s39
	;; [unrolled: 1-line block ×10, first 2 shown]
	s_and_saveexec_b64 s[16:17], s[0:1]
	s_cbranch_execz .LBB274_29
; %bb.10:
	global_load_ubyte v12, v[4:5], off offset:1536
	v_or_b32_e32 v7, 0x700, v0
	v_cmp_gt_u32_e64 s[0:1], s38, v7
	v_mov_b32_e32 v13, 0
	v_mov_b32_e32 v7, s39
	;; [unrolled: 1-line block ×9, first 2 shown]
	s_and_saveexec_b64 s[18:19], s[0:1]
	s_cbranch_execz .LBB274_28
; %bb.11:
	global_load_ubyte v13, v[4:5], off offset:1792
	v_or_b32_e32 v7, 0x800, v0
	v_cmp_gt_u32_e64 s[0:1], s38, v7
	v_mov_b32_e32 v14, 0
	v_mov_b32_e32 v7, s39
	;; [unrolled: 1-line block ×8, first 2 shown]
	s_and_saveexec_b64 s[20:21], s[0:1]
	s_cbranch_execz .LBB274_27
; %bb.12:
	global_load_ubyte v14, v[4:5], off offset:2048
	v_or_b32_e32 v7, 0x900, v0
	v_cmp_gt_u32_e64 s[0:1], s38, v7
	v_mov_b32_e32 v15, 0
	v_mov_b32_e32 v7, s39
	;; [unrolled: 1-line block ×7, first 2 shown]
	s_and_saveexec_b64 s[22:23], s[0:1]
	s_cbranch_execz .LBB274_26
; %bb.13:
	global_load_ubyte v15, v[4:5], off offset:2304
	v_or_b32_e32 v7, 0xa00, v0
	v_cmp_gt_u32_e64 s[0:1], s38, v7
	v_mov_b32_e32 v16, 0
	v_mov_b32_e32 v7, s39
	;; [unrolled: 1-line block ×6, first 2 shown]
	s_and_saveexec_b64 s[24:25], s[0:1]
	s_cbranch_execz .LBB274_25
; %bb.14:
	global_load_ubyte v16, v[4:5], off offset:2560
	v_or_b32_e32 v7, 0xb00, v0
	v_cmp_gt_u32_e64 s[0:1], s38, v7
	v_mov_b32_e32 v17, 0
	v_mov_b32_e32 v7, s39
	v_mov_b32_e32 v18, 0
	v_mov_b32_e32 v19, 0
	v_mov_b32_e32 v20, 0
	s_and_saveexec_b64 s[26:27], s[0:1]
	s_cbranch_execz .LBB274_24
; %bb.15:
	global_load_ubyte v17, v[4:5], off offset:2816
	v_or_b32_e32 v7, 0xc00, v0
	v_cmp_gt_u32_e64 s[0:1], s38, v7
	v_mov_b32_e32 v18, 0
	v_mov_b32_e32 v7, s39
	;; [unrolled: 1-line block ×4, first 2 shown]
	s_and_saveexec_b64 s[28:29], s[0:1]
	s_cbranch_execz .LBB274_23
; %bb.16:
	global_load_ubyte v18, v[4:5], off offset:3072
	v_or_b32_e32 v7, 0xd00, v0
	v_cmp_gt_u32_e64 s[0:1], s38, v7
	v_mov_b32_e32 v19, 0
	v_mov_b32_e32 v7, s39
	;; [unrolled: 1-line block ×3, first 2 shown]
	s_and_saveexec_b64 s[30:31], s[0:1]
	s_cbranch_execz .LBB274_22
; %bb.17:
	global_load_ubyte v19, v[4:5], off offset:3328
	v_or_b32_e32 v7, 0xe00, v0
	v_cmp_gt_u32_e64 s[0:1], s38, v7
	v_mov_b32_e32 v20, 0
	v_mov_b32_e32 v7, s39
	s_and_saveexec_b64 s[34:35], s[0:1]
	s_cbranch_execz .LBB274_21
; %bb.18:
	global_load_ubyte v20, v[4:5], off offset:3584
	v_or_b32_e32 v7, 0xf00, v0
	v_cmp_gt_u32_e64 s[0:1], s38, v7
	v_mov_b32_e32 v7, s39
	s_and_saveexec_b64 s[36:37], s[0:1]
	s_cbranch_execz .LBB274_20
; %bb.19:
	global_load_ubyte v4, v[4:5], off offset:3840
	s_and_b32 s0, s39, 0xff
	s_waitcnt vmcnt(0)
	v_max_u16_e32 v7, s0, v4
.LBB274_20:
	s_or_b64 exec, exec, s[36:37]
.LBB274_21:
	s_or_b64 exec, exec, s[34:35]
.LBB274_22:
	s_or_b64 exec, exec, s[30:31]
.LBB274_23:
	s_or_b64 exec, exec, s[28:29]
.LBB274_24:
	s_or_b64 exec, exec, s[26:27]
.LBB274_25:
	s_or_b64 exec, exec, s[24:25]
.LBB274_26:
	s_or_b64 exec, exec, s[22:23]
.LBB274_27:
	s_or_b64 exec, exec, s[20:21]
.LBB274_28:
	s_or_b64 exec, exec, s[18:19]
.LBB274_29:
	s_or_b64 exec, exec, s[16:17]
.LBB274_30:
	s_or_b64 exec, exec, s[14:15]
.LBB274_31:
	s_or_b64 exec, exec, s[12:13]
.LBB274_32:
	s_or_b64 exec, exec, s[6:7]
	s_waitcnt vmcnt(0)
	v_mov_b32_e32 v4, v3
	v_mov_b32_e32 v3, v2
.LBB274_33:
	s_or_b64 exec, exec, s[10:11]
.LBB274_34:
	s_or_b64 exec, exec, s[8:9]
.LBB274_35:
	s_or_b64 exec, exec, s[2:3]
	s_and_b32 s0, 0xffff, s39
	s_and_b32 s7, s39, 0xff
	s_lshr_b32 s3, s0, 8
	s_waitcnt vmcnt(0)
	v_max_u16_sdwa v2, v8, s7 dst_sel:DWORD dst_unused:UNUSED_PAD src0_sel:BYTE_0 src1_sel:DWORD
	v_min_u16_e32 v2, s3, v2
	v_max_u16_sdwa v5, v9, s7 dst_sel:DWORD dst_unused:UNUSED_PAD src0_sel:BYTE_0 src1_sel:DWORD
	s_movk_i32 s6, 0xff
	v_cndmask_b32_e32 v2, 0, v2, vcc
	v_min_u16_sdwa v5, v5, s3 dst_sel:BYTE_1 dst_unused:UNUSED_PAD src0_sel:DWORD src1_sel:DWORD
	v_cmp_gt_i32_e64 s[0:1], s38, v1
	v_bitop3_b16 v5, v2, v5, s6 bitop3:0xec
	v_and_b32_e32 v5, 0xffff, v5
	v_max_u16_sdwa v3, v3, s7 dst_sel:DWORD dst_unused:UNUSED_PAD src0_sel:BYTE_0 src1_sel:DWORD
	v_cndmask_b32_e64 v2, v2, v5, s[0:1]
	v_or_b32_e32 v5, 0x200, v0
	v_min_u16_sdwa v3, v3, s3 dst_sel:WORD_1 dst_unused:UNUSED_PAD src0_sel:DWORD src1_sel:DWORD
	v_cmp_gt_i32_e64 s[0:1], s38, v5
	v_or_b32_e32 v3, v2, v3
	v_max_u16_sdwa v4, v4, s7 dst_sel:DWORD dst_unused:UNUSED_PAD src0_sel:BYTE_0 src1_sel:DWORD
	v_cndmask_b32_e64 v2, v2, v3, s[0:1]
	v_lshrrev_b32_e32 v3, 16, v2
	v_min_u16_sdwa v4, v4, s3 dst_sel:BYTE_1 dst_unused:UNUSED_PAD src0_sel:DWORD src1_sel:DWORD
	s_mov_b32 s2, 0xffff
	v_bitop3_b16 v3, v3, v4, s6 bitop3:0xec
	v_or_b32_e32 v5, 0x300, v0
	v_lshlrev_b32_e32 v3, 16, v3
	v_and_or_b32 v3, v2, s2, v3
	v_cmp_gt_i32_e64 s[0:1], s38, v5
	s_movk_i32 s8, 0xff00
	v_max_u16_sdwa v4, v10, s7 dst_sel:DWORD dst_unused:UNUSED_PAD src0_sel:BYTE_0 src1_sel:DWORD
	v_cndmask_b32_e64 v5, v2, v3, s[0:1]
	v_max_u16_sdwa v2, v11, s7 dst_sel:DWORD dst_unused:UNUSED_PAD src0_sel:BYTE_0 src1_sel:DWORD
	v_min_u16_e32 v2, s3, v2
	v_bitop3_b16 v2, v2, 0, s8 bitop3:0xf8
	v_or_b32_e32 v3, 0x400, v0
	v_and_b32_e32 v2, 0xffff, v2
	v_cmp_gt_i32_e64 s[0:1], s38, v3
	v_min_u16_sdwa v4, v4, s3 dst_sel:BYTE_1 dst_unused:UNUSED_PAD src0_sel:DWORD src1_sel:DWORD
	v_or_b32_e32 v3, 0x500, v0
	v_cndmask_b32_e64 v2, 0, v2, s[0:1]
	v_bitop3_b16 v4, v2, v4, s6 bitop3:0xec
	v_and_b32_e32 v4, 0xffff, v4
	v_cmp_gt_i32_e64 s[0:1], s38, v3
	v_max_u16_sdwa v8, v13, s7 dst_sel:DWORD dst_unused:UNUSED_PAD src0_sel:BYTE_0 src1_sel:DWORD
	v_min_u16_sdwa v8, v8, s3 dst_sel:BYTE_1 dst_unused:UNUSED_PAD src0_sel:DWORD src1_sel:DWORD
	v_cndmask_b32_e64 v2, v2, v4, s[0:1]
	v_max_u16_sdwa v4, v12, s7 dst_sel:DWORD dst_unused:UNUSED_PAD src0_sel:BYTE_0 src1_sel:DWORD
	v_lshrrev_b32_e32 v3, 16, v2
	v_min_u16_e32 v4, s3, v4
	v_bitop3_b16 v3, v4, v3, s8 bitop3:0xf8
	v_or_b32_e32 v4, 0x600, v0
	v_lshlrev_b32_e32 v3, 16, v3
	v_and_or_b32 v3, v2, s2, v3
	v_cmp_gt_i32_e64 s[0:1], s38, v4
	v_or_b32_e32 v4, 0x700, v0
	v_max_u16_sdwa v9, v17, s7 dst_sel:DWORD dst_unused:UNUSED_PAD src0_sel:BYTE_0 src1_sel:DWORD
	v_cndmask_b32_e64 v2, v2, v3, s[0:1]
	v_lshrrev_b32_e32 v3, 16, v2
	v_bitop3_b16 v3, v3, v8, s6 bitop3:0xec
	v_lshlrev_b32_e32 v3, 16, v3
	v_and_or_b32 v3, v2, s2, v3
	v_cmp_gt_i32_e64 s[0:1], s38, v4
	v_max_u16_sdwa v8, v15, s7 dst_sel:DWORD dst_unused:UNUSED_PAD src0_sel:BYTE_0 src1_sel:DWORD
	v_min_u16_sdwa v8, v8, s3 dst_sel:BYTE_1 dst_unused:UNUSED_PAD src0_sel:DWORD src1_sel:DWORD
	v_cndmask_b32_e64 v4, v2, v3, s[0:1]
	v_or_b32_e32 v2, 0x800, v0
	v_max_u16_sdwa v3, v14, s7 dst_sel:DWORD dst_unused:UNUSED_PAD src0_sel:BYTE_0 src1_sel:DWORD
	v_min_u16_e32 v3, s3, v3
	v_cmp_gt_i32_e64 s[0:1], s38, v2
	v_min_u16_sdwa v9, v9, s3 dst_sel:BYTE_1 dst_unused:UNUSED_PAD src0_sel:DWORD src1_sel:DWORD
	v_min_u16_sdwa v7, v7, s3 dst_sel:BYTE_1 dst_unused:UNUSED_PAD src0_sel:BYTE_0 src1_sel:DWORD
	v_cndmask_b32_e64 v2, 0, v3, s[0:1]
	v_or_b32_e32 v3, 0x900, v0
	v_bitop3_b16 v8, v2, v8, s6 bitop3:0xec
	v_and_b32_e32 v8, 0xffff, v8
	v_cmp_gt_i32_e64 s[0:1], s38, v3
	v_or_b32_e32 v3, 0xa00, v0
	s_nop 0
	v_cndmask_b32_e64 v2, v2, v8, s[0:1]
	v_max_u16_sdwa v8, v16, s7 dst_sel:DWORD dst_unused:UNUSED_PAD src0_sel:BYTE_0 src1_sel:DWORD
	v_min_u16_sdwa v8, v8, s3 dst_sel:WORD_1 dst_unused:UNUSED_PAD src0_sel:DWORD src1_sel:DWORD
	v_cmp_gt_i32_e64 s[0:1], s38, v3
	v_or_b32_e32 v8, v2, v8
	s_nop 0
	v_cndmask_b32_e64 v2, v2, v8, s[0:1]
	v_lshrrev_b32_e32 v3, 16, v2
	v_bitop3_b16 v3, v3, v9, s6 bitop3:0xec
	v_or_b32_e32 v8, 0xb00, v0
	v_lshlrev_b32_e32 v3, 16, v3
	v_and_or_b32 v3, v2, s2, v3
	v_cmp_gt_i32_e64 s[0:1], s38, v8
	v_max_u16_sdwa v8, v18, s7 dst_sel:DWORD dst_unused:UNUSED_PAD src0_sel:BYTE_0 src1_sel:DWORD
	v_min_u16_e32 v8, s3, v8
	v_cndmask_b32_e64 v3, v2, v3, s[0:1]
	v_or_b32_e32 v2, 0xc00, v0
	v_cmp_gt_i32_e64 s[0:1], s38, v2
	v_max_u16_sdwa v9, v19, s7 dst_sel:DWORD dst_unused:UNUSED_PAD src0_sel:BYTE_0 src1_sel:DWORD
	v_min_u16_sdwa v9, v9, s3 dst_sel:BYTE_1 dst_unused:UNUSED_PAD src0_sel:DWORD src1_sel:DWORD
	v_cndmask_b32_e64 v2, 0, v8, s[0:1]
	v_or_b32_e32 v8, 0xd00, v0
	v_bitop3_b16 v9, v2, v9, s6 bitop3:0xec
	v_and_b32_e32 v9, 0xffff, v9
	v_cmp_gt_i32_e64 s[0:1], s38, v8
	s_nop 1
	v_cndmask_b32_e64 v2, v2, v9, s[0:1]
	v_max_u16_sdwa v9, v20, s7 dst_sel:DWORD dst_unused:UNUSED_PAD src0_sel:BYTE_0 src1_sel:DWORD
	v_lshrrev_b32_e32 v8, 16, v2
	v_min_u16_e32 v9, s3, v9
	v_bitop3_b16 v8, v9, v8, s8 bitop3:0xf8
	v_or_b32_e32 v9, 0xe00, v0
	v_lshlrev_b32_e32 v8, 16, v8
	v_and_or_b32 v8, v2, s2, v8
	v_cmp_gt_i32_e64 s[0:1], s38, v9
	v_or_b32_e32 v9, 0xf00, v0
	s_nop 0
	v_cndmask_b32_e64 v2, v2, v8, s[0:1]
	v_lshrrev_b32_e32 v8, 16, v2
	v_bitop3_b16 v7, v8, v7, s6 bitop3:0xec
	v_lshlrev_b32_e32 v7, 16, v7
	v_and_or_b32 v7, v2, s2, v7
	v_cmp_gt_i32_e64 s[0:1], s38, v9
	s_nop 1
	v_cndmask_b32_e64 v2, v2, v7, s[0:1]
	s_and_saveexec_b64 s[0:1], vcc
	s_cbranch_execnz .LBB274_53
; %bb.36:
	s_or_b64 exec, exec, s[0:1]
	v_cmp_gt_i32_e32 vcc, s38, v0
	s_and_saveexec_b64 s[0:1], vcc
	s_cbranch_execnz .LBB274_54
.LBB274_37:
	s_or_b64 exec, exec, s[0:1]
	v_cmp_gt_i32_e32 vcc, s38, v0
	s_and_saveexec_b64 s[0:1], vcc
	s_cbranch_execnz .LBB274_55
.LBB274_38:
	s_or_b64 exec, exec, s[0:1]
	v_cmp_gt_i32_e32 vcc, s38, v0
	s_and_saveexec_b64 s[0:1], vcc
	s_cbranch_execnz .LBB274_56
.LBB274_39:
	s_or_b64 exec, exec, s[0:1]
	v_cmp_gt_i32_e32 vcc, s38, v0
	s_and_saveexec_b64 s[0:1], vcc
	s_cbranch_execnz .LBB274_57
.LBB274_40:
	s_or_b64 exec, exec, s[0:1]
	v_cmp_gt_i32_e32 vcc, s38, v0
	s_and_saveexec_b64 s[0:1], vcc
	s_cbranch_execnz .LBB274_58
.LBB274_41:
	s_or_b64 exec, exec, s[0:1]
	v_cmp_gt_i32_e32 vcc, s38, v0
	s_and_saveexec_b64 s[0:1], vcc
	s_cbranch_execnz .LBB274_59
.LBB274_42:
	s_or_b64 exec, exec, s[0:1]
	v_cmp_gt_i32_e32 vcc, s38, v0
	s_and_saveexec_b64 s[0:1], vcc
	s_cbranch_execnz .LBB274_60
.LBB274_43:
	s_or_b64 exec, exec, s[0:1]
	v_cmp_gt_i32_e32 vcc, s38, v0
	s_and_saveexec_b64 s[0:1], vcc
	s_cbranch_execnz .LBB274_61
.LBB274_44:
	s_or_b64 exec, exec, s[0:1]
	v_cmp_gt_i32_e32 vcc, s38, v0
	s_and_saveexec_b64 s[0:1], vcc
	s_cbranch_execnz .LBB274_62
.LBB274_45:
	s_or_b64 exec, exec, s[0:1]
	v_cmp_gt_i32_e32 vcc, s38, v0
	s_and_saveexec_b64 s[0:1], vcc
	s_cbranch_execnz .LBB274_63
.LBB274_46:
	s_or_b64 exec, exec, s[0:1]
	v_cmp_gt_i32_e32 vcc, s38, v0
	s_and_saveexec_b64 s[0:1], vcc
	s_cbranch_execnz .LBB274_64
.LBB274_47:
	s_or_b64 exec, exec, s[0:1]
	v_cmp_gt_i32_e32 vcc, s38, v0
	s_and_saveexec_b64 s[0:1], vcc
	s_cbranch_execnz .LBB274_65
.LBB274_48:
	s_or_b64 exec, exec, s[0:1]
	v_cmp_gt_i32_e32 vcc, s38, v0
	s_and_saveexec_b64 s[0:1], vcc
	s_cbranch_execnz .LBB274_66
.LBB274_49:
	s_or_b64 exec, exec, s[0:1]
	v_cmp_gt_i32_e32 vcc, s38, v0
	s_and_saveexec_b64 s[0:1], vcc
	s_cbranch_execnz .LBB274_67
.LBB274_50:
	s_or_b64 exec, exec, s[0:1]
	v_cmp_gt_i32_e32 vcc, s38, v0
	s_and_saveexec_b64 s[0:1], vcc
	s_cbranch_execz .LBB274_52
.LBB274_51:
	v_lshrrev_b32_e32 v1, 24, v2
	v_add_u32_e32 v0, s33, v0
	global_store_byte v0, v1, s[4:5]
.LBB274_52:
	s_endpgm
.LBB274_53:
	v_mov_b32_e32 v0, v1
	global_store_byte v6, v5, s[4:5]
	s_or_b64 exec, exec, s[0:1]
	v_cmp_gt_i32_e32 vcc, s38, v0
	s_and_saveexec_b64 s[0:1], vcc
	s_cbranch_execz .LBB274_37
.LBB274_54:
	v_lshrrev_b32_e32 v1, 8, v5
	v_add_u32_e32 v6, s33, v0
	v_add_u32_e32 v0, 0x100, v0
	global_store_byte v6, v1, s[4:5]
	s_or_b64 exec, exec, s[0:1]
	v_cmp_gt_i32_e32 vcc, s38, v0
	s_and_saveexec_b64 s[0:1], vcc
	s_cbranch_execz .LBB274_38
.LBB274_55:
	v_add_u32_e32 v1, s33, v0
	v_add_u32_e32 v0, 0x100, v0
	global_store_byte_d16_hi v1, v5, s[4:5]
	s_or_b64 exec, exec, s[0:1]
	v_cmp_gt_i32_e32 vcc, s38, v0
	s_and_saveexec_b64 s[0:1], vcc
	s_cbranch_execz .LBB274_39
.LBB274_56:
	v_lshrrev_b32_e32 v1, 24, v5
	v_add_u32_e32 v5, s33, v0
	v_add_u32_e32 v0, 0x100, v0
	global_store_byte v5, v1, s[4:5]
	s_or_b64 exec, exec, s[0:1]
	v_cmp_gt_i32_e32 vcc, s38, v0
	s_and_saveexec_b64 s[0:1], vcc
	s_cbranch_execz .LBB274_40
.LBB274_57:
	v_add_u32_e32 v1, s33, v0
	v_add_u32_e32 v0, 0x100, v0
	global_store_byte v1, v4, s[4:5]
	s_or_b64 exec, exec, s[0:1]
	v_cmp_gt_i32_e32 vcc, s38, v0
	s_and_saveexec_b64 s[0:1], vcc
	s_cbranch_execz .LBB274_41
.LBB274_58:
	v_lshrrev_b32_e32 v1, 8, v4
	v_add_u32_e32 v5, s33, v0
	v_add_u32_e32 v0, 0x100, v0
	global_store_byte v5, v1, s[4:5]
	s_or_b64 exec, exec, s[0:1]
	v_cmp_gt_i32_e32 vcc, s38, v0
	s_and_saveexec_b64 s[0:1], vcc
	s_cbranch_execz .LBB274_42
.LBB274_59:
	v_add_u32_e32 v1, s33, v0
	v_add_u32_e32 v0, 0x100, v0
	global_store_byte_d16_hi v1, v4, s[4:5]
	s_or_b64 exec, exec, s[0:1]
	v_cmp_gt_i32_e32 vcc, s38, v0
	s_and_saveexec_b64 s[0:1], vcc
	s_cbranch_execz .LBB274_43
.LBB274_60:
	v_lshrrev_b32_e32 v1, 24, v4
	v_add_u32_e32 v4, s33, v0
	v_add_u32_e32 v0, 0x100, v0
	global_store_byte v4, v1, s[4:5]
	s_or_b64 exec, exec, s[0:1]
	v_cmp_gt_i32_e32 vcc, s38, v0
	s_and_saveexec_b64 s[0:1], vcc
	s_cbranch_execz .LBB274_44
.LBB274_61:
	v_add_u32_e32 v1, s33, v0
	v_add_u32_e32 v0, 0x100, v0
	global_store_byte v1, v3, s[4:5]
	s_or_b64 exec, exec, s[0:1]
	v_cmp_gt_i32_e32 vcc, s38, v0
	s_and_saveexec_b64 s[0:1], vcc
	s_cbranch_execz .LBB274_45
.LBB274_62:
	v_lshrrev_b32_e32 v1, 8, v3
	v_add_u32_e32 v4, s33, v0
	v_add_u32_e32 v0, 0x100, v0
	global_store_byte v4, v1, s[4:5]
	s_or_b64 exec, exec, s[0:1]
	v_cmp_gt_i32_e32 vcc, s38, v0
	s_and_saveexec_b64 s[0:1], vcc
	s_cbranch_execz .LBB274_46
.LBB274_63:
	v_add_u32_e32 v1, s33, v0
	v_add_u32_e32 v0, 0x100, v0
	global_store_byte_d16_hi v1, v3, s[4:5]
	s_or_b64 exec, exec, s[0:1]
	v_cmp_gt_i32_e32 vcc, s38, v0
	s_and_saveexec_b64 s[0:1], vcc
	s_cbranch_execz .LBB274_47
.LBB274_64:
	v_lshrrev_b32_e32 v1, 24, v3
	v_add_u32_e32 v3, s33, v0
	v_add_u32_e32 v0, 0x100, v0
	global_store_byte v3, v1, s[4:5]
	s_or_b64 exec, exec, s[0:1]
	v_cmp_gt_i32_e32 vcc, s38, v0
	s_and_saveexec_b64 s[0:1], vcc
	s_cbranch_execz .LBB274_48
.LBB274_65:
	v_add_u32_e32 v1, s33, v0
	v_add_u32_e32 v0, 0x100, v0
	global_store_byte v1, v2, s[4:5]
	s_or_b64 exec, exec, s[0:1]
	v_cmp_gt_i32_e32 vcc, s38, v0
	s_and_saveexec_b64 s[0:1], vcc
	s_cbranch_execz .LBB274_49
.LBB274_66:
	v_lshrrev_b32_e32 v1, 8, v2
	v_add_u32_e32 v3, s33, v0
	v_add_u32_e32 v0, 0x100, v0
	global_store_byte v3, v1, s[4:5]
	s_or_b64 exec, exec, s[0:1]
	v_cmp_gt_i32_e32 vcc, s38, v0
	s_and_saveexec_b64 s[0:1], vcc
	s_cbranch_execz .LBB274_50
.LBB274_67:
	v_add_u32_e32 v1, s33, v0
	v_add_u32_e32 v0, 0x100, v0
	global_store_byte_d16_hi v1, v2, s[4:5]
	s_or_b64 exec, exec, s[0:1]
	v_cmp_gt_i32_e32 vcc, s38, v0
	s_and_saveexec_b64 s[0:1], vcc
	s_cbranch_execnz .LBB274_51
	s_branch .LBB274_52
	.section	.rodata,"a",@progbits
	.p2align	6, 0x0
	.amdhsa_kernel _ZN2at6native29vectorized_elementwise_kernelILi16EZZZNS0_17clamp_kernel_cudaERNS_18TensorIteratorBaseERKN3c106ScalarES7_ENKUlvE_clEvENKUlvE_clEvEUlhE_St5arrayIPcLm2EEEEviT0_T1_
		.amdhsa_group_segment_fixed_size 0
		.amdhsa_private_segment_fixed_size 0
		.amdhsa_kernarg_size 24
		.amdhsa_user_sgpr_count 2
		.amdhsa_user_sgpr_dispatch_ptr 0
		.amdhsa_user_sgpr_queue_ptr 0
		.amdhsa_user_sgpr_kernarg_segment_ptr 1
		.amdhsa_user_sgpr_dispatch_id 0
		.amdhsa_user_sgpr_kernarg_preload_length 0
		.amdhsa_user_sgpr_kernarg_preload_offset 0
		.amdhsa_user_sgpr_private_segment_size 0
		.amdhsa_uses_dynamic_stack 0
		.amdhsa_enable_private_segment 0
		.amdhsa_system_sgpr_workgroup_id_x 1
		.amdhsa_system_sgpr_workgroup_id_y 0
		.amdhsa_system_sgpr_workgroup_id_z 0
		.amdhsa_system_sgpr_workgroup_info 0
		.amdhsa_system_vgpr_workitem_id 0
		.amdhsa_next_free_vgpr 21
		.amdhsa_next_free_sgpr 40
		.amdhsa_accum_offset 24
		.amdhsa_reserve_vcc 1
		.amdhsa_float_round_mode_32 0
		.amdhsa_float_round_mode_16_64 0
		.amdhsa_float_denorm_mode_32 3
		.amdhsa_float_denorm_mode_16_64 3
		.amdhsa_dx10_clamp 1
		.amdhsa_ieee_mode 1
		.amdhsa_fp16_overflow 0
		.amdhsa_tg_split 0
		.amdhsa_exception_fp_ieee_invalid_op 0
		.amdhsa_exception_fp_denorm_src 0
		.amdhsa_exception_fp_ieee_div_zero 0
		.amdhsa_exception_fp_ieee_overflow 0
		.amdhsa_exception_fp_ieee_underflow 0
		.amdhsa_exception_fp_ieee_inexact 0
		.amdhsa_exception_int_div_zero 0
	.end_amdhsa_kernel
	.section	.text._ZN2at6native29vectorized_elementwise_kernelILi16EZZZNS0_17clamp_kernel_cudaERNS_18TensorIteratorBaseERKN3c106ScalarES7_ENKUlvE_clEvENKUlvE_clEvEUlhE_St5arrayIPcLm2EEEEviT0_T1_,"axG",@progbits,_ZN2at6native29vectorized_elementwise_kernelILi16EZZZNS0_17clamp_kernel_cudaERNS_18TensorIteratorBaseERKN3c106ScalarES7_ENKUlvE_clEvENKUlvE_clEvEUlhE_St5arrayIPcLm2EEEEviT0_T1_,comdat
.Lfunc_end274:
	.size	_ZN2at6native29vectorized_elementwise_kernelILi16EZZZNS0_17clamp_kernel_cudaERNS_18TensorIteratorBaseERKN3c106ScalarES7_ENKUlvE_clEvENKUlvE_clEvEUlhE_St5arrayIPcLm2EEEEviT0_T1_, .Lfunc_end274-_ZN2at6native29vectorized_elementwise_kernelILi16EZZZNS0_17clamp_kernel_cudaERNS_18TensorIteratorBaseERKN3c106ScalarES7_ENKUlvE_clEvENKUlvE_clEvEUlhE_St5arrayIPcLm2EEEEviT0_T1_
                                        ; -- End function
	.set _ZN2at6native29vectorized_elementwise_kernelILi16EZZZNS0_17clamp_kernel_cudaERNS_18TensorIteratorBaseERKN3c106ScalarES7_ENKUlvE_clEvENKUlvE_clEvEUlhE_St5arrayIPcLm2EEEEviT0_T1_.num_vgpr, 21
	.set _ZN2at6native29vectorized_elementwise_kernelILi16EZZZNS0_17clamp_kernel_cudaERNS_18TensorIteratorBaseERKN3c106ScalarES7_ENKUlvE_clEvENKUlvE_clEvEUlhE_St5arrayIPcLm2EEEEviT0_T1_.num_agpr, 0
	.set _ZN2at6native29vectorized_elementwise_kernelILi16EZZZNS0_17clamp_kernel_cudaERNS_18TensorIteratorBaseERKN3c106ScalarES7_ENKUlvE_clEvENKUlvE_clEvEUlhE_St5arrayIPcLm2EEEEviT0_T1_.numbered_sgpr, 40
	.set _ZN2at6native29vectorized_elementwise_kernelILi16EZZZNS0_17clamp_kernel_cudaERNS_18TensorIteratorBaseERKN3c106ScalarES7_ENKUlvE_clEvENKUlvE_clEvEUlhE_St5arrayIPcLm2EEEEviT0_T1_.num_named_barrier, 0
	.set _ZN2at6native29vectorized_elementwise_kernelILi16EZZZNS0_17clamp_kernel_cudaERNS_18TensorIteratorBaseERKN3c106ScalarES7_ENKUlvE_clEvENKUlvE_clEvEUlhE_St5arrayIPcLm2EEEEviT0_T1_.private_seg_size, 0
	.set _ZN2at6native29vectorized_elementwise_kernelILi16EZZZNS0_17clamp_kernel_cudaERNS_18TensorIteratorBaseERKN3c106ScalarES7_ENKUlvE_clEvENKUlvE_clEvEUlhE_St5arrayIPcLm2EEEEviT0_T1_.uses_vcc, 1
	.set _ZN2at6native29vectorized_elementwise_kernelILi16EZZZNS0_17clamp_kernel_cudaERNS_18TensorIteratorBaseERKN3c106ScalarES7_ENKUlvE_clEvENKUlvE_clEvEUlhE_St5arrayIPcLm2EEEEviT0_T1_.uses_flat_scratch, 0
	.set _ZN2at6native29vectorized_elementwise_kernelILi16EZZZNS0_17clamp_kernel_cudaERNS_18TensorIteratorBaseERKN3c106ScalarES7_ENKUlvE_clEvENKUlvE_clEvEUlhE_St5arrayIPcLm2EEEEviT0_T1_.has_dyn_sized_stack, 0
	.set _ZN2at6native29vectorized_elementwise_kernelILi16EZZZNS0_17clamp_kernel_cudaERNS_18TensorIteratorBaseERKN3c106ScalarES7_ENKUlvE_clEvENKUlvE_clEvEUlhE_St5arrayIPcLm2EEEEviT0_T1_.has_recursion, 0
	.set _ZN2at6native29vectorized_elementwise_kernelILi16EZZZNS0_17clamp_kernel_cudaERNS_18TensorIteratorBaseERKN3c106ScalarES7_ENKUlvE_clEvENKUlvE_clEvEUlhE_St5arrayIPcLm2EEEEviT0_T1_.has_indirect_call, 0
	.section	.AMDGPU.csdata,"",@progbits
; Kernel info:
; codeLenInByte = 3328
; TotalNumSgprs: 46
; NumVgprs: 21
; NumAgprs: 0
; TotalNumVgprs: 21
; ScratchSize: 0
; MemoryBound: 0
; FloatMode: 240
; IeeeMode: 1
; LDSByteSize: 0 bytes/workgroup (compile time only)
; SGPRBlocks: 5
; VGPRBlocks: 2
; NumSGPRsForWavesPerEU: 46
; NumVGPRsForWavesPerEU: 21
; AccumOffset: 24
; Occupancy: 8
; WaveLimiterHint : 0
; COMPUTE_PGM_RSRC2:SCRATCH_EN: 0
; COMPUTE_PGM_RSRC2:USER_SGPR: 2
; COMPUTE_PGM_RSRC2:TRAP_HANDLER: 0
; COMPUTE_PGM_RSRC2:TGID_X_EN: 1
; COMPUTE_PGM_RSRC2:TGID_Y_EN: 0
; COMPUTE_PGM_RSRC2:TGID_Z_EN: 0
; COMPUTE_PGM_RSRC2:TIDIG_COMP_CNT: 0
; COMPUTE_PGM_RSRC3_GFX90A:ACCUM_OFFSET: 5
; COMPUTE_PGM_RSRC3_GFX90A:TG_SPLIT: 0
	.section	.text._ZN2at6native29vectorized_elementwise_kernelILi8EZZZNS0_17clamp_kernel_cudaERNS_18TensorIteratorBaseERKN3c106ScalarES7_ENKUlvE_clEvENKUlvE_clEvEUlhE_St5arrayIPcLm2EEEEviT0_T1_,"axG",@progbits,_ZN2at6native29vectorized_elementwise_kernelILi8EZZZNS0_17clamp_kernel_cudaERNS_18TensorIteratorBaseERKN3c106ScalarES7_ENKUlvE_clEvENKUlvE_clEvEUlhE_St5arrayIPcLm2EEEEviT0_T1_,comdat
	.globl	_ZN2at6native29vectorized_elementwise_kernelILi8EZZZNS0_17clamp_kernel_cudaERNS_18TensorIteratorBaseERKN3c106ScalarES7_ENKUlvE_clEvENKUlvE_clEvEUlhE_St5arrayIPcLm2EEEEviT0_T1_ ; -- Begin function _ZN2at6native29vectorized_elementwise_kernelILi8EZZZNS0_17clamp_kernel_cudaERNS_18TensorIteratorBaseERKN3c106ScalarES7_ENKUlvE_clEvENKUlvE_clEvEUlhE_St5arrayIPcLm2EEEEviT0_T1_
	.p2align	8
	.type	_ZN2at6native29vectorized_elementwise_kernelILi8EZZZNS0_17clamp_kernel_cudaERNS_18TensorIteratorBaseERKN3c106ScalarES7_ENKUlvE_clEvENKUlvE_clEvEUlhE_St5arrayIPcLm2EEEEviT0_T1_,@function
_ZN2at6native29vectorized_elementwise_kernelILi8EZZZNS0_17clamp_kernel_cudaERNS_18TensorIteratorBaseERKN3c106ScalarES7_ENKUlvE_clEvENKUlvE_clEvEUlhE_St5arrayIPcLm2EEEEviT0_T1_: ; @_ZN2at6native29vectorized_elementwise_kernelILi8EZZZNS0_17clamp_kernel_cudaERNS_18TensorIteratorBaseERKN3c106ScalarES7_ENKUlvE_clEvENKUlvE_clEvEUlhE_St5arrayIPcLm2EEEEviT0_T1_
; %bb.0:
	v_mov_b32_e32 v1, 0
	global_load_ushort v1, v1, s[0:1] offset:4
	s_load_dword s3, s[0:1], 0x0
	s_load_dwordx4 s[4:7], s[0:1], 0x8
	s_lshl_b32 s33, s2, 12
	s_mov_b64 s[0:1], -1
	s_waitcnt lgkmcnt(0)
	s_sub_i32 s38, s3, s33
	s_cmpk_gt_i32 s38, 0xfff
	s_waitcnt vmcnt(0)
	v_readfirstlane_b32 s39, v1
	s_cbranch_scc0 .LBB275_2
; %bb.1:
	s_and_b32 s0, 0xffff, s39
	s_lshr_b32 s2, s0, 8
	s_and_b32 s3, s39, 0xff
	s_ashr_i32 s8, s33, 31
	s_add_u32 s0, s6, s33
	s_addc_u32 s1, s7, s8
	v_lshlrev_b32_e32 v1, 3, v0
	global_load_dwordx2 v[2:3], v1, s[0:1]
	global_load_dwordx2 v[4:5], v1, s[0:1] offset:2048
	s_movk_i32 s9, 0xff
	s_add_u32 s0, s4, s33
	s_addc_u32 s1, s5, s8
	s_waitcnt vmcnt(1)
	v_lshrrev_b32_e32 v7, 8, v2
	v_and_b32_sdwa v8, v2, s9 dst_sel:DWORD dst_unused:UNUSED_PAD src0_sel:WORD_1 src1_sel:DWORD
	v_lshrrev_b32_e32 v10, 8, v3
	v_and_b32_sdwa v11, v3, s9 dst_sel:DWORD dst_unused:UNUSED_PAD src0_sel:WORD_1 src1_sel:DWORD
	s_waitcnt vmcnt(0)
	v_lshrrev_b32_e32 v13, 8, v4
	v_and_b32_sdwa v14, v4, s9 dst_sel:DWORD dst_unused:UNUSED_PAD src0_sel:WORD_1 src1_sel:DWORD
	v_lshrrev_b32_e32 v16, 8, v5
	v_and_b32_sdwa v17, v5, s9 dst_sel:DWORD dst_unused:UNUSED_PAD src0_sel:WORD_1 src1_sel:DWORD
	v_max_u16_sdwa v6, v2, s3 dst_sel:DWORD dst_unused:UNUSED_PAD src0_sel:BYTE_0 src1_sel:DWORD
	v_max_u16_sdwa v2, v2, s3 dst_sel:DWORD dst_unused:UNUSED_PAD src0_sel:BYTE_3 src1_sel:DWORD
	v_max_u16_sdwa v9, v3, s3 dst_sel:DWORD dst_unused:UNUSED_PAD src0_sel:BYTE_0 src1_sel:DWORD
	v_max_u16_sdwa v3, v3, s3 dst_sel:DWORD dst_unused:UNUSED_PAD src0_sel:BYTE_3 src1_sel:DWORD
	;; [unrolled: 2-line block ×4, first 2 shown]
	v_max_u16_sdwa v7, v7, s3 dst_sel:DWORD dst_unused:UNUSED_PAD src0_sel:BYTE_0 src1_sel:DWORD
	v_max_u16_e32 v8, s3, v8
	v_max_u16_sdwa v10, v10, s3 dst_sel:DWORD dst_unused:UNUSED_PAD src0_sel:BYTE_0 src1_sel:DWORD
	v_max_u16_e32 v11, s3, v11
	v_max_u16_sdwa v13, v13, s3 dst_sel:DWORD dst_unused:UNUSED_PAD src0_sel:BYTE_0 src1_sel:DWORD
	v_max_u16_e32 v14, s3, v14
	v_max_u16_sdwa v16, v16, s3 dst_sel:DWORD dst_unused:UNUSED_PAD src0_sel:BYTE_0 src1_sel:DWORD
	v_max_u16_e32 v17, s3, v17
	v_min_u16_e32 v6, s2, v6
	v_min_u16_sdwa v2, v2, s2 dst_sel:BYTE_1 dst_unused:UNUSED_PAD src0_sel:DWORD src1_sel:DWORD
	v_min_u16_e32 v9, s2, v9
	v_min_u16_sdwa v3, v3, s2 dst_sel:BYTE_1 dst_unused:UNUSED_PAD src0_sel:DWORD src1_sel:DWORD
	;; [unrolled: 2-line block ×4, first 2 shown]
	v_min_u16_sdwa v7, v7, s2 dst_sel:BYTE_1 dst_unused:UNUSED_PAD src0_sel:DWORD src1_sel:DWORD
	v_min_u16_e32 v8, s2, v8
	v_min_u16_sdwa v10, v10, s2 dst_sel:BYTE_1 dst_unused:UNUSED_PAD src0_sel:DWORD src1_sel:DWORD
	v_min_u16_e32 v11, s2, v11
	v_min_u16_sdwa v13, v13, s2 dst_sel:BYTE_1 dst_unused:UNUSED_PAD src0_sel:DWORD src1_sel:DWORD
	v_min_u16_e32 v14, s2, v14
	v_min_u16_sdwa v16, v16, s2 dst_sel:BYTE_1 dst_unused:UNUSED_PAD src0_sel:DWORD src1_sel:DWORD
	v_min_u16_e32 v17, s2, v17
	v_or_b32_e32 v15, v15, v16
	v_or_b32_sdwa v5, v17, v5 dst_sel:WORD_1 dst_unused:UNUSED_PAD src0_sel:DWORD src1_sel:DWORD
	v_or_b32_e32 v12, v12, v13
	v_or_b32_sdwa v4, v14, v4 dst_sel:WORD_1 dst_unused:UNUSED_PAD src0_sel:DWORD src1_sel:DWORD
	v_or_b32_e32 v9, v9, v10
	v_or_b32_sdwa v10, v11, v3 dst_sel:WORD_1 dst_unused:UNUSED_PAD src0_sel:DWORD src1_sel:DWORD
	v_or_b32_e32 v6, v6, v7
	v_or_b32_sdwa v7, v8, v2 dst_sel:WORD_1 dst_unused:UNUSED_PAD src0_sel:DWORD src1_sel:DWORD
	v_or_b32_sdwa v3, v15, v5 dst_sel:DWORD dst_unused:UNUSED_PAD src0_sel:WORD_0 src1_sel:DWORD
	v_or_b32_sdwa v2, v12, v4 dst_sel:DWORD dst_unused:UNUSED_PAD src0_sel:WORD_0 src1_sel:DWORD
	;; [unrolled: 1-line block ×4, first 2 shown]
	global_store_dwordx2 v1, v[4:5], s[0:1]
	global_store_dwordx2 v1, v[2:3], s[0:1] offset:2048
	s_mov_b64 s[0:1], 0
.LBB275_2:
	s_andn2_b64 vcc, exec, s[0:1]
	s_cbranch_vccnz .LBB275_52
; %bb.3:
	v_cmp_gt_i32_e32 vcc, s38, v0
	v_or_b32_e32 v1, 0x100, v0
	v_mov_b32_e32 v20, 0
	v_mov_b32_e32 v7, s39
	v_or_b32_e32 v6, s33, v0
	v_mov_b32_e32 v19, 0
	v_mov_b32_e32 v18, 0
	;; [unrolled: 1-line block ×14, first 2 shown]
	s_and_saveexec_b64 s[2:3], vcc
	s_cbranch_execz .LBB275_35
; %bb.4:
	global_load_ubyte v8, v6, s[6:7]
	v_cmp_gt_u32_e64 s[0:1], s38, v1
	v_mov_b32_e32 v9, 0
	v_mov_b32_e32 v7, s39
	;; [unrolled: 1-line block ×15, first 2 shown]
	s_and_saveexec_b64 s[8:9], s[0:1]
	s_cbranch_execz .LBB275_34
; %bb.5:
	v_add_u32_e32 v2, s33, v0
	global_load_ubyte v9, v2, s[6:7] offset:256
	v_or_b32_e32 v4, 0x200, v0
	v_mov_b32_e32 v3, 0
	v_cmp_gt_u32_e64 s[0:1], s38, v4
	v_mov_b32_e32 v7, s39
	v_mov_b32_e32 v4, 0
	;; [unrolled: 1-line block ×13, first 2 shown]
	s_and_saveexec_b64 s[10:11], s[0:1]
	s_cbranch_execz .LBB275_33
; %bb.6:
	v_lshl_add_u64 v[4:5], s[6:7], 0, v[2:3]
	global_load_ubyte v2, v[4:5], off offset:512
	v_or_b32_e32 v7, 0x300, v0
	v_cmp_gt_u32_e64 s[0:1], s38, v7
	v_mov_b32_e32 v7, s39
	v_mov_b32_e32 v11, 0
	;; [unrolled: 1-line block ×12, first 2 shown]
	s_and_saveexec_b64 s[6:7], s[0:1]
	s_cbranch_execz .LBB275_32
; %bb.7:
	global_load_ubyte v3, v[4:5], off offset:768
	v_or_b32_e32 v7, 0x400, v0
	v_cmp_gt_u32_e64 s[0:1], s38, v7
	v_mov_b32_e32 v11, 0
	v_mov_b32_e32 v7, s39
	;; [unrolled: 1-line block ×12, first 2 shown]
	s_and_saveexec_b64 s[12:13], s[0:1]
	s_cbranch_execz .LBB275_31
; %bb.8:
	global_load_ubyte v11, v[4:5], off offset:1024
	v_or_b32_e32 v7, 0x500, v0
	v_cmp_gt_u32_e64 s[0:1], s38, v7
	v_mov_b32_e32 v10, 0
	v_mov_b32_e32 v7, s39
	;; [unrolled: 1-line block ×11, first 2 shown]
	s_and_saveexec_b64 s[14:15], s[0:1]
	s_cbranch_execz .LBB275_30
; %bb.9:
	global_load_ubyte v10, v[4:5], off offset:1280
	v_or_b32_e32 v7, 0x600, v0
	v_cmp_gt_u32_e64 s[0:1], s38, v7
	v_mov_b32_e32 v12, 0
	v_mov_b32_e32 v7, s39
	;; [unrolled: 1-line block ×10, first 2 shown]
	s_and_saveexec_b64 s[16:17], s[0:1]
	s_cbranch_execz .LBB275_29
; %bb.10:
	global_load_ubyte v12, v[4:5], off offset:1536
	v_or_b32_e32 v7, 0x700, v0
	v_cmp_gt_u32_e64 s[0:1], s38, v7
	v_mov_b32_e32 v13, 0
	v_mov_b32_e32 v7, s39
	;; [unrolled: 1-line block ×9, first 2 shown]
	s_and_saveexec_b64 s[18:19], s[0:1]
	s_cbranch_execz .LBB275_28
; %bb.11:
	global_load_ubyte v13, v[4:5], off offset:1792
	v_or_b32_e32 v7, 0x800, v0
	v_cmp_gt_u32_e64 s[0:1], s38, v7
	v_mov_b32_e32 v14, 0
	v_mov_b32_e32 v7, s39
	;; [unrolled: 1-line block ×8, first 2 shown]
	s_and_saveexec_b64 s[20:21], s[0:1]
	s_cbranch_execz .LBB275_27
; %bb.12:
	global_load_ubyte v14, v[4:5], off offset:2048
	v_or_b32_e32 v7, 0x900, v0
	v_cmp_gt_u32_e64 s[0:1], s38, v7
	v_mov_b32_e32 v15, 0
	v_mov_b32_e32 v7, s39
	;; [unrolled: 1-line block ×7, first 2 shown]
	s_and_saveexec_b64 s[22:23], s[0:1]
	s_cbranch_execz .LBB275_26
; %bb.13:
	global_load_ubyte v15, v[4:5], off offset:2304
	v_or_b32_e32 v7, 0xa00, v0
	v_cmp_gt_u32_e64 s[0:1], s38, v7
	v_mov_b32_e32 v16, 0
	v_mov_b32_e32 v7, s39
	;; [unrolled: 1-line block ×6, first 2 shown]
	s_and_saveexec_b64 s[24:25], s[0:1]
	s_cbranch_execz .LBB275_25
; %bb.14:
	global_load_ubyte v16, v[4:5], off offset:2560
	v_or_b32_e32 v7, 0xb00, v0
	v_cmp_gt_u32_e64 s[0:1], s38, v7
	v_mov_b32_e32 v17, 0
	v_mov_b32_e32 v7, s39
	v_mov_b32_e32 v18, 0
	v_mov_b32_e32 v19, 0
	v_mov_b32_e32 v20, 0
	s_and_saveexec_b64 s[26:27], s[0:1]
	s_cbranch_execz .LBB275_24
; %bb.15:
	global_load_ubyte v17, v[4:5], off offset:2816
	v_or_b32_e32 v7, 0xc00, v0
	v_cmp_gt_u32_e64 s[0:1], s38, v7
	v_mov_b32_e32 v18, 0
	v_mov_b32_e32 v7, s39
	;; [unrolled: 1-line block ×4, first 2 shown]
	s_and_saveexec_b64 s[28:29], s[0:1]
	s_cbranch_execz .LBB275_23
; %bb.16:
	global_load_ubyte v18, v[4:5], off offset:3072
	v_or_b32_e32 v7, 0xd00, v0
	v_cmp_gt_u32_e64 s[0:1], s38, v7
	v_mov_b32_e32 v19, 0
	v_mov_b32_e32 v7, s39
	v_mov_b32_e32 v20, 0
	s_and_saveexec_b64 s[30:31], s[0:1]
	s_cbranch_execz .LBB275_22
; %bb.17:
	global_load_ubyte v19, v[4:5], off offset:3328
	v_or_b32_e32 v7, 0xe00, v0
	v_cmp_gt_u32_e64 s[0:1], s38, v7
	v_mov_b32_e32 v20, 0
	v_mov_b32_e32 v7, s39
	s_and_saveexec_b64 s[34:35], s[0:1]
	s_cbranch_execz .LBB275_21
; %bb.18:
	global_load_ubyte v20, v[4:5], off offset:3584
	v_or_b32_e32 v7, 0xf00, v0
	v_cmp_gt_u32_e64 s[0:1], s38, v7
	v_mov_b32_e32 v7, s39
	s_and_saveexec_b64 s[36:37], s[0:1]
	s_cbranch_execz .LBB275_20
; %bb.19:
	global_load_ubyte v4, v[4:5], off offset:3840
	s_and_b32 s0, s39, 0xff
	s_waitcnt vmcnt(0)
	v_max_u16_e32 v7, s0, v4
.LBB275_20:
	s_or_b64 exec, exec, s[36:37]
.LBB275_21:
	s_or_b64 exec, exec, s[34:35]
.LBB275_22:
	s_or_b64 exec, exec, s[30:31]
.LBB275_23:
	s_or_b64 exec, exec, s[28:29]
.LBB275_24:
	s_or_b64 exec, exec, s[26:27]
.LBB275_25:
	s_or_b64 exec, exec, s[24:25]
.LBB275_26:
	s_or_b64 exec, exec, s[22:23]
.LBB275_27:
	s_or_b64 exec, exec, s[20:21]
.LBB275_28:
	s_or_b64 exec, exec, s[18:19]
.LBB275_29:
	s_or_b64 exec, exec, s[16:17]
.LBB275_30:
	s_or_b64 exec, exec, s[14:15]
.LBB275_31:
	s_or_b64 exec, exec, s[12:13]
.LBB275_32:
	s_or_b64 exec, exec, s[6:7]
	s_waitcnt vmcnt(0)
	v_mov_b32_e32 v4, v3
	v_mov_b32_e32 v3, v2
.LBB275_33:
	s_or_b64 exec, exec, s[10:11]
.LBB275_34:
	s_or_b64 exec, exec, s[8:9]
.LBB275_35:
	s_or_b64 exec, exec, s[2:3]
	s_and_b32 s0, 0xffff, s39
	s_and_b32 s7, s39, 0xff
	s_lshr_b32 s3, s0, 8
	s_waitcnt vmcnt(0)
	v_max_u16_sdwa v2, v8, s7 dst_sel:DWORD dst_unused:UNUSED_PAD src0_sel:BYTE_0 src1_sel:DWORD
	v_min_u16_e32 v2, s3, v2
	v_max_u16_sdwa v5, v9, s7 dst_sel:DWORD dst_unused:UNUSED_PAD src0_sel:BYTE_0 src1_sel:DWORD
	s_movk_i32 s6, 0xff
	v_cndmask_b32_e32 v2, 0, v2, vcc
	v_min_u16_sdwa v5, v5, s3 dst_sel:BYTE_1 dst_unused:UNUSED_PAD src0_sel:DWORD src1_sel:DWORD
	v_cmp_gt_i32_e64 s[0:1], s38, v1
	v_bitop3_b16 v5, v2, v5, s6 bitop3:0xec
	v_and_b32_e32 v5, 0xffff, v5
	v_max_u16_sdwa v3, v3, s7 dst_sel:DWORD dst_unused:UNUSED_PAD src0_sel:BYTE_0 src1_sel:DWORD
	v_cndmask_b32_e64 v2, v2, v5, s[0:1]
	v_or_b32_e32 v5, 0x200, v0
	v_min_u16_sdwa v3, v3, s3 dst_sel:WORD_1 dst_unused:UNUSED_PAD src0_sel:DWORD src1_sel:DWORD
	v_cmp_gt_i32_e64 s[0:1], s38, v5
	v_or_b32_e32 v3, v2, v3
	v_max_u16_sdwa v4, v4, s7 dst_sel:DWORD dst_unused:UNUSED_PAD src0_sel:BYTE_0 src1_sel:DWORD
	v_cndmask_b32_e64 v2, v2, v3, s[0:1]
	v_lshrrev_b32_e32 v3, 16, v2
	v_min_u16_sdwa v4, v4, s3 dst_sel:BYTE_1 dst_unused:UNUSED_PAD src0_sel:DWORD src1_sel:DWORD
	s_mov_b32 s2, 0xffff
	v_bitop3_b16 v3, v3, v4, s6 bitop3:0xec
	v_or_b32_e32 v5, 0x300, v0
	v_lshlrev_b32_e32 v3, 16, v3
	v_and_or_b32 v3, v2, s2, v3
	v_cmp_gt_i32_e64 s[0:1], s38, v5
	s_movk_i32 s8, 0xff00
	v_max_u16_sdwa v4, v10, s7 dst_sel:DWORD dst_unused:UNUSED_PAD src0_sel:BYTE_0 src1_sel:DWORD
	v_cndmask_b32_e64 v5, v2, v3, s[0:1]
	v_max_u16_sdwa v2, v11, s7 dst_sel:DWORD dst_unused:UNUSED_PAD src0_sel:BYTE_0 src1_sel:DWORD
	v_min_u16_e32 v2, s3, v2
	v_bitop3_b16 v2, v2, 0, s8 bitop3:0xf8
	v_or_b32_e32 v3, 0x400, v0
	v_and_b32_e32 v2, 0xffff, v2
	v_cmp_gt_i32_e64 s[0:1], s38, v3
	v_min_u16_sdwa v4, v4, s3 dst_sel:BYTE_1 dst_unused:UNUSED_PAD src0_sel:DWORD src1_sel:DWORD
	v_or_b32_e32 v3, 0x500, v0
	v_cndmask_b32_e64 v2, 0, v2, s[0:1]
	v_bitop3_b16 v4, v2, v4, s6 bitop3:0xec
	v_and_b32_e32 v4, 0xffff, v4
	v_cmp_gt_i32_e64 s[0:1], s38, v3
	v_max_u16_sdwa v8, v13, s7 dst_sel:DWORD dst_unused:UNUSED_PAD src0_sel:BYTE_0 src1_sel:DWORD
	v_min_u16_sdwa v8, v8, s3 dst_sel:BYTE_1 dst_unused:UNUSED_PAD src0_sel:DWORD src1_sel:DWORD
	v_cndmask_b32_e64 v2, v2, v4, s[0:1]
	v_max_u16_sdwa v4, v12, s7 dst_sel:DWORD dst_unused:UNUSED_PAD src0_sel:BYTE_0 src1_sel:DWORD
	v_lshrrev_b32_e32 v3, 16, v2
	v_min_u16_e32 v4, s3, v4
	v_bitop3_b16 v3, v4, v3, s8 bitop3:0xf8
	v_or_b32_e32 v4, 0x600, v0
	v_lshlrev_b32_e32 v3, 16, v3
	v_and_or_b32 v3, v2, s2, v3
	v_cmp_gt_i32_e64 s[0:1], s38, v4
	v_or_b32_e32 v4, 0x700, v0
	v_max_u16_sdwa v9, v17, s7 dst_sel:DWORD dst_unused:UNUSED_PAD src0_sel:BYTE_0 src1_sel:DWORD
	v_cndmask_b32_e64 v2, v2, v3, s[0:1]
	v_lshrrev_b32_e32 v3, 16, v2
	v_bitop3_b16 v3, v3, v8, s6 bitop3:0xec
	v_lshlrev_b32_e32 v3, 16, v3
	v_and_or_b32 v3, v2, s2, v3
	v_cmp_gt_i32_e64 s[0:1], s38, v4
	v_max_u16_sdwa v8, v15, s7 dst_sel:DWORD dst_unused:UNUSED_PAD src0_sel:BYTE_0 src1_sel:DWORD
	v_min_u16_sdwa v8, v8, s3 dst_sel:BYTE_1 dst_unused:UNUSED_PAD src0_sel:DWORD src1_sel:DWORD
	v_cndmask_b32_e64 v4, v2, v3, s[0:1]
	v_or_b32_e32 v2, 0x800, v0
	v_max_u16_sdwa v3, v14, s7 dst_sel:DWORD dst_unused:UNUSED_PAD src0_sel:BYTE_0 src1_sel:DWORD
	v_min_u16_e32 v3, s3, v3
	v_cmp_gt_i32_e64 s[0:1], s38, v2
	v_min_u16_sdwa v9, v9, s3 dst_sel:BYTE_1 dst_unused:UNUSED_PAD src0_sel:DWORD src1_sel:DWORD
	v_min_u16_sdwa v7, v7, s3 dst_sel:BYTE_1 dst_unused:UNUSED_PAD src0_sel:BYTE_0 src1_sel:DWORD
	v_cndmask_b32_e64 v2, 0, v3, s[0:1]
	v_or_b32_e32 v3, 0x900, v0
	v_bitop3_b16 v8, v2, v8, s6 bitop3:0xec
	v_and_b32_e32 v8, 0xffff, v8
	v_cmp_gt_i32_e64 s[0:1], s38, v3
	v_or_b32_e32 v3, 0xa00, v0
	s_nop 0
	v_cndmask_b32_e64 v2, v2, v8, s[0:1]
	v_max_u16_sdwa v8, v16, s7 dst_sel:DWORD dst_unused:UNUSED_PAD src0_sel:BYTE_0 src1_sel:DWORD
	v_min_u16_sdwa v8, v8, s3 dst_sel:WORD_1 dst_unused:UNUSED_PAD src0_sel:DWORD src1_sel:DWORD
	v_cmp_gt_i32_e64 s[0:1], s38, v3
	v_or_b32_e32 v8, v2, v8
	s_nop 0
	v_cndmask_b32_e64 v2, v2, v8, s[0:1]
	v_lshrrev_b32_e32 v3, 16, v2
	v_bitop3_b16 v3, v3, v9, s6 bitop3:0xec
	v_or_b32_e32 v8, 0xb00, v0
	v_lshlrev_b32_e32 v3, 16, v3
	v_and_or_b32 v3, v2, s2, v3
	v_cmp_gt_i32_e64 s[0:1], s38, v8
	v_max_u16_sdwa v8, v18, s7 dst_sel:DWORD dst_unused:UNUSED_PAD src0_sel:BYTE_0 src1_sel:DWORD
	v_min_u16_e32 v8, s3, v8
	v_cndmask_b32_e64 v3, v2, v3, s[0:1]
	v_or_b32_e32 v2, 0xc00, v0
	v_cmp_gt_i32_e64 s[0:1], s38, v2
	v_max_u16_sdwa v9, v19, s7 dst_sel:DWORD dst_unused:UNUSED_PAD src0_sel:BYTE_0 src1_sel:DWORD
	v_min_u16_sdwa v9, v9, s3 dst_sel:BYTE_1 dst_unused:UNUSED_PAD src0_sel:DWORD src1_sel:DWORD
	v_cndmask_b32_e64 v2, 0, v8, s[0:1]
	v_or_b32_e32 v8, 0xd00, v0
	v_bitop3_b16 v9, v2, v9, s6 bitop3:0xec
	v_and_b32_e32 v9, 0xffff, v9
	v_cmp_gt_i32_e64 s[0:1], s38, v8
	s_nop 1
	v_cndmask_b32_e64 v2, v2, v9, s[0:1]
	v_max_u16_sdwa v9, v20, s7 dst_sel:DWORD dst_unused:UNUSED_PAD src0_sel:BYTE_0 src1_sel:DWORD
	v_lshrrev_b32_e32 v8, 16, v2
	v_min_u16_e32 v9, s3, v9
	v_bitop3_b16 v8, v9, v8, s8 bitop3:0xf8
	v_or_b32_e32 v9, 0xe00, v0
	v_lshlrev_b32_e32 v8, 16, v8
	v_and_or_b32 v8, v2, s2, v8
	v_cmp_gt_i32_e64 s[0:1], s38, v9
	v_or_b32_e32 v9, 0xf00, v0
	s_nop 0
	v_cndmask_b32_e64 v2, v2, v8, s[0:1]
	v_lshrrev_b32_e32 v8, 16, v2
	v_bitop3_b16 v7, v8, v7, s6 bitop3:0xec
	v_lshlrev_b32_e32 v7, 16, v7
	v_and_or_b32 v7, v2, s2, v7
	v_cmp_gt_i32_e64 s[0:1], s38, v9
	s_nop 1
	v_cndmask_b32_e64 v2, v2, v7, s[0:1]
	s_and_saveexec_b64 s[0:1], vcc
	s_cbranch_execnz .LBB275_53
; %bb.36:
	s_or_b64 exec, exec, s[0:1]
	v_cmp_gt_i32_e32 vcc, s38, v0
	s_and_saveexec_b64 s[0:1], vcc
	s_cbranch_execnz .LBB275_54
.LBB275_37:
	s_or_b64 exec, exec, s[0:1]
	v_cmp_gt_i32_e32 vcc, s38, v0
	s_and_saveexec_b64 s[0:1], vcc
	s_cbranch_execnz .LBB275_55
.LBB275_38:
	s_or_b64 exec, exec, s[0:1]
	v_cmp_gt_i32_e32 vcc, s38, v0
	s_and_saveexec_b64 s[0:1], vcc
	s_cbranch_execnz .LBB275_56
.LBB275_39:
	s_or_b64 exec, exec, s[0:1]
	v_cmp_gt_i32_e32 vcc, s38, v0
	s_and_saveexec_b64 s[0:1], vcc
	s_cbranch_execnz .LBB275_57
.LBB275_40:
	s_or_b64 exec, exec, s[0:1]
	v_cmp_gt_i32_e32 vcc, s38, v0
	s_and_saveexec_b64 s[0:1], vcc
	s_cbranch_execnz .LBB275_58
.LBB275_41:
	s_or_b64 exec, exec, s[0:1]
	v_cmp_gt_i32_e32 vcc, s38, v0
	s_and_saveexec_b64 s[0:1], vcc
	s_cbranch_execnz .LBB275_59
.LBB275_42:
	s_or_b64 exec, exec, s[0:1]
	v_cmp_gt_i32_e32 vcc, s38, v0
	s_and_saveexec_b64 s[0:1], vcc
	s_cbranch_execnz .LBB275_60
.LBB275_43:
	s_or_b64 exec, exec, s[0:1]
	v_cmp_gt_i32_e32 vcc, s38, v0
	s_and_saveexec_b64 s[0:1], vcc
	s_cbranch_execnz .LBB275_61
.LBB275_44:
	s_or_b64 exec, exec, s[0:1]
	v_cmp_gt_i32_e32 vcc, s38, v0
	s_and_saveexec_b64 s[0:1], vcc
	s_cbranch_execnz .LBB275_62
.LBB275_45:
	s_or_b64 exec, exec, s[0:1]
	v_cmp_gt_i32_e32 vcc, s38, v0
	s_and_saveexec_b64 s[0:1], vcc
	s_cbranch_execnz .LBB275_63
.LBB275_46:
	s_or_b64 exec, exec, s[0:1]
	v_cmp_gt_i32_e32 vcc, s38, v0
	s_and_saveexec_b64 s[0:1], vcc
	s_cbranch_execnz .LBB275_64
.LBB275_47:
	s_or_b64 exec, exec, s[0:1]
	v_cmp_gt_i32_e32 vcc, s38, v0
	s_and_saveexec_b64 s[0:1], vcc
	s_cbranch_execnz .LBB275_65
.LBB275_48:
	s_or_b64 exec, exec, s[0:1]
	v_cmp_gt_i32_e32 vcc, s38, v0
	s_and_saveexec_b64 s[0:1], vcc
	s_cbranch_execnz .LBB275_66
.LBB275_49:
	s_or_b64 exec, exec, s[0:1]
	v_cmp_gt_i32_e32 vcc, s38, v0
	s_and_saveexec_b64 s[0:1], vcc
	s_cbranch_execnz .LBB275_67
.LBB275_50:
	s_or_b64 exec, exec, s[0:1]
	v_cmp_gt_i32_e32 vcc, s38, v0
	s_and_saveexec_b64 s[0:1], vcc
	s_cbranch_execz .LBB275_52
.LBB275_51:
	v_lshrrev_b32_e32 v1, 24, v2
	v_add_u32_e32 v0, s33, v0
	global_store_byte v0, v1, s[4:5]
.LBB275_52:
	s_endpgm
.LBB275_53:
	v_mov_b32_e32 v0, v1
	global_store_byte v6, v5, s[4:5]
	s_or_b64 exec, exec, s[0:1]
	v_cmp_gt_i32_e32 vcc, s38, v0
	s_and_saveexec_b64 s[0:1], vcc
	s_cbranch_execz .LBB275_37
.LBB275_54:
	v_lshrrev_b32_e32 v1, 8, v5
	v_add_u32_e32 v6, s33, v0
	v_add_u32_e32 v0, 0x100, v0
	global_store_byte v6, v1, s[4:5]
	s_or_b64 exec, exec, s[0:1]
	v_cmp_gt_i32_e32 vcc, s38, v0
	s_and_saveexec_b64 s[0:1], vcc
	s_cbranch_execz .LBB275_38
.LBB275_55:
	v_add_u32_e32 v1, s33, v0
	v_add_u32_e32 v0, 0x100, v0
	global_store_byte_d16_hi v1, v5, s[4:5]
	s_or_b64 exec, exec, s[0:1]
	v_cmp_gt_i32_e32 vcc, s38, v0
	s_and_saveexec_b64 s[0:1], vcc
	s_cbranch_execz .LBB275_39
.LBB275_56:
	v_lshrrev_b32_e32 v1, 24, v5
	v_add_u32_e32 v5, s33, v0
	v_add_u32_e32 v0, 0x100, v0
	global_store_byte v5, v1, s[4:5]
	s_or_b64 exec, exec, s[0:1]
	v_cmp_gt_i32_e32 vcc, s38, v0
	s_and_saveexec_b64 s[0:1], vcc
	s_cbranch_execz .LBB275_40
.LBB275_57:
	v_add_u32_e32 v1, s33, v0
	v_add_u32_e32 v0, 0x100, v0
	global_store_byte v1, v4, s[4:5]
	s_or_b64 exec, exec, s[0:1]
	v_cmp_gt_i32_e32 vcc, s38, v0
	s_and_saveexec_b64 s[0:1], vcc
	s_cbranch_execz .LBB275_41
.LBB275_58:
	v_lshrrev_b32_e32 v1, 8, v4
	v_add_u32_e32 v5, s33, v0
	v_add_u32_e32 v0, 0x100, v0
	global_store_byte v5, v1, s[4:5]
	s_or_b64 exec, exec, s[0:1]
	v_cmp_gt_i32_e32 vcc, s38, v0
	s_and_saveexec_b64 s[0:1], vcc
	s_cbranch_execz .LBB275_42
.LBB275_59:
	v_add_u32_e32 v1, s33, v0
	v_add_u32_e32 v0, 0x100, v0
	global_store_byte_d16_hi v1, v4, s[4:5]
	s_or_b64 exec, exec, s[0:1]
	v_cmp_gt_i32_e32 vcc, s38, v0
	s_and_saveexec_b64 s[0:1], vcc
	s_cbranch_execz .LBB275_43
.LBB275_60:
	v_lshrrev_b32_e32 v1, 24, v4
	v_add_u32_e32 v4, s33, v0
	v_add_u32_e32 v0, 0x100, v0
	global_store_byte v4, v1, s[4:5]
	s_or_b64 exec, exec, s[0:1]
	v_cmp_gt_i32_e32 vcc, s38, v0
	s_and_saveexec_b64 s[0:1], vcc
	s_cbranch_execz .LBB275_44
.LBB275_61:
	v_add_u32_e32 v1, s33, v0
	v_add_u32_e32 v0, 0x100, v0
	global_store_byte v1, v3, s[4:5]
	s_or_b64 exec, exec, s[0:1]
	v_cmp_gt_i32_e32 vcc, s38, v0
	s_and_saveexec_b64 s[0:1], vcc
	s_cbranch_execz .LBB275_45
.LBB275_62:
	v_lshrrev_b32_e32 v1, 8, v3
	v_add_u32_e32 v4, s33, v0
	v_add_u32_e32 v0, 0x100, v0
	global_store_byte v4, v1, s[4:5]
	s_or_b64 exec, exec, s[0:1]
	v_cmp_gt_i32_e32 vcc, s38, v0
	s_and_saveexec_b64 s[0:1], vcc
	s_cbranch_execz .LBB275_46
.LBB275_63:
	v_add_u32_e32 v1, s33, v0
	v_add_u32_e32 v0, 0x100, v0
	global_store_byte_d16_hi v1, v3, s[4:5]
	s_or_b64 exec, exec, s[0:1]
	v_cmp_gt_i32_e32 vcc, s38, v0
	s_and_saveexec_b64 s[0:1], vcc
	s_cbranch_execz .LBB275_47
.LBB275_64:
	v_lshrrev_b32_e32 v1, 24, v3
	v_add_u32_e32 v3, s33, v0
	v_add_u32_e32 v0, 0x100, v0
	global_store_byte v3, v1, s[4:5]
	s_or_b64 exec, exec, s[0:1]
	v_cmp_gt_i32_e32 vcc, s38, v0
	s_and_saveexec_b64 s[0:1], vcc
	s_cbranch_execz .LBB275_48
.LBB275_65:
	v_add_u32_e32 v1, s33, v0
	v_add_u32_e32 v0, 0x100, v0
	global_store_byte v1, v2, s[4:5]
	s_or_b64 exec, exec, s[0:1]
	v_cmp_gt_i32_e32 vcc, s38, v0
	s_and_saveexec_b64 s[0:1], vcc
	s_cbranch_execz .LBB275_49
.LBB275_66:
	v_lshrrev_b32_e32 v1, 8, v2
	v_add_u32_e32 v3, s33, v0
	v_add_u32_e32 v0, 0x100, v0
	global_store_byte v3, v1, s[4:5]
	s_or_b64 exec, exec, s[0:1]
	v_cmp_gt_i32_e32 vcc, s38, v0
	s_and_saveexec_b64 s[0:1], vcc
	s_cbranch_execz .LBB275_50
.LBB275_67:
	v_add_u32_e32 v1, s33, v0
	v_add_u32_e32 v0, 0x100, v0
	global_store_byte_d16_hi v1, v2, s[4:5]
	s_or_b64 exec, exec, s[0:1]
	v_cmp_gt_i32_e32 vcc, s38, v0
	s_and_saveexec_b64 s[0:1], vcc
	s_cbranch_execnz .LBB275_51
	s_branch .LBB275_52
	.section	.rodata,"a",@progbits
	.p2align	6, 0x0
	.amdhsa_kernel _ZN2at6native29vectorized_elementwise_kernelILi8EZZZNS0_17clamp_kernel_cudaERNS_18TensorIteratorBaseERKN3c106ScalarES7_ENKUlvE_clEvENKUlvE_clEvEUlhE_St5arrayIPcLm2EEEEviT0_T1_
		.amdhsa_group_segment_fixed_size 0
		.amdhsa_private_segment_fixed_size 0
		.amdhsa_kernarg_size 24
		.amdhsa_user_sgpr_count 2
		.amdhsa_user_sgpr_dispatch_ptr 0
		.amdhsa_user_sgpr_queue_ptr 0
		.amdhsa_user_sgpr_kernarg_segment_ptr 1
		.amdhsa_user_sgpr_dispatch_id 0
		.amdhsa_user_sgpr_kernarg_preload_length 0
		.amdhsa_user_sgpr_kernarg_preload_offset 0
		.amdhsa_user_sgpr_private_segment_size 0
		.amdhsa_uses_dynamic_stack 0
		.amdhsa_enable_private_segment 0
		.amdhsa_system_sgpr_workgroup_id_x 1
		.amdhsa_system_sgpr_workgroup_id_y 0
		.amdhsa_system_sgpr_workgroup_id_z 0
		.amdhsa_system_sgpr_workgroup_info 0
		.amdhsa_system_vgpr_workitem_id 0
		.amdhsa_next_free_vgpr 21
		.amdhsa_next_free_sgpr 40
		.amdhsa_accum_offset 24
		.amdhsa_reserve_vcc 1
		.amdhsa_float_round_mode_32 0
		.amdhsa_float_round_mode_16_64 0
		.amdhsa_float_denorm_mode_32 3
		.amdhsa_float_denorm_mode_16_64 3
		.amdhsa_dx10_clamp 1
		.amdhsa_ieee_mode 1
		.amdhsa_fp16_overflow 0
		.amdhsa_tg_split 0
		.amdhsa_exception_fp_ieee_invalid_op 0
		.amdhsa_exception_fp_denorm_src 0
		.amdhsa_exception_fp_ieee_div_zero 0
		.amdhsa_exception_fp_ieee_overflow 0
		.amdhsa_exception_fp_ieee_underflow 0
		.amdhsa_exception_fp_ieee_inexact 0
		.amdhsa_exception_int_div_zero 0
	.end_amdhsa_kernel
	.section	.text._ZN2at6native29vectorized_elementwise_kernelILi8EZZZNS0_17clamp_kernel_cudaERNS_18TensorIteratorBaseERKN3c106ScalarES7_ENKUlvE_clEvENKUlvE_clEvEUlhE_St5arrayIPcLm2EEEEviT0_T1_,"axG",@progbits,_ZN2at6native29vectorized_elementwise_kernelILi8EZZZNS0_17clamp_kernel_cudaERNS_18TensorIteratorBaseERKN3c106ScalarES7_ENKUlvE_clEvENKUlvE_clEvEUlhE_St5arrayIPcLm2EEEEviT0_T1_,comdat
.Lfunc_end275:
	.size	_ZN2at6native29vectorized_elementwise_kernelILi8EZZZNS0_17clamp_kernel_cudaERNS_18TensorIteratorBaseERKN3c106ScalarES7_ENKUlvE_clEvENKUlvE_clEvEUlhE_St5arrayIPcLm2EEEEviT0_T1_, .Lfunc_end275-_ZN2at6native29vectorized_elementwise_kernelILi8EZZZNS0_17clamp_kernel_cudaERNS_18TensorIteratorBaseERKN3c106ScalarES7_ENKUlvE_clEvENKUlvE_clEvEUlhE_St5arrayIPcLm2EEEEviT0_T1_
                                        ; -- End function
	.set _ZN2at6native29vectorized_elementwise_kernelILi8EZZZNS0_17clamp_kernel_cudaERNS_18TensorIteratorBaseERKN3c106ScalarES7_ENKUlvE_clEvENKUlvE_clEvEUlhE_St5arrayIPcLm2EEEEviT0_T1_.num_vgpr, 21
	.set _ZN2at6native29vectorized_elementwise_kernelILi8EZZZNS0_17clamp_kernel_cudaERNS_18TensorIteratorBaseERKN3c106ScalarES7_ENKUlvE_clEvENKUlvE_clEvEUlhE_St5arrayIPcLm2EEEEviT0_T1_.num_agpr, 0
	.set _ZN2at6native29vectorized_elementwise_kernelILi8EZZZNS0_17clamp_kernel_cudaERNS_18TensorIteratorBaseERKN3c106ScalarES7_ENKUlvE_clEvENKUlvE_clEvEUlhE_St5arrayIPcLm2EEEEviT0_T1_.numbered_sgpr, 40
	.set _ZN2at6native29vectorized_elementwise_kernelILi8EZZZNS0_17clamp_kernel_cudaERNS_18TensorIteratorBaseERKN3c106ScalarES7_ENKUlvE_clEvENKUlvE_clEvEUlhE_St5arrayIPcLm2EEEEviT0_T1_.num_named_barrier, 0
	.set _ZN2at6native29vectorized_elementwise_kernelILi8EZZZNS0_17clamp_kernel_cudaERNS_18TensorIteratorBaseERKN3c106ScalarES7_ENKUlvE_clEvENKUlvE_clEvEUlhE_St5arrayIPcLm2EEEEviT0_T1_.private_seg_size, 0
	.set _ZN2at6native29vectorized_elementwise_kernelILi8EZZZNS0_17clamp_kernel_cudaERNS_18TensorIteratorBaseERKN3c106ScalarES7_ENKUlvE_clEvENKUlvE_clEvEUlhE_St5arrayIPcLm2EEEEviT0_T1_.uses_vcc, 1
	.set _ZN2at6native29vectorized_elementwise_kernelILi8EZZZNS0_17clamp_kernel_cudaERNS_18TensorIteratorBaseERKN3c106ScalarES7_ENKUlvE_clEvENKUlvE_clEvEUlhE_St5arrayIPcLm2EEEEviT0_T1_.uses_flat_scratch, 0
	.set _ZN2at6native29vectorized_elementwise_kernelILi8EZZZNS0_17clamp_kernel_cudaERNS_18TensorIteratorBaseERKN3c106ScalarES7_ENKUlvE_clEvENKUlvE_clEvEUlhE_St5arrayIPcLm2EEEEviT0_T1_.has_dyn_sized_stack, 0
	.set _ZN2at6native29vectorized_elementwise_kernelILi8EZZZNS0_17clamp_kernel_cudaERNS_18TensorIteratorBaseERKN3c106ScalarES7_ENKUlvE_clEvENKUlvE_clEvEUlhE_St5arrayIPcLm2EEEEviT0_T1_.has_recursion, 0
	.set _ZN2at6native29vectorized_elementwise_kernelILi8EZZZNS0_17clamp_kernel_cudaERNS_18TensorIteratorBaseERKN3c106ScalarES7_ENKUlvE_clEvENKUlvE_clEvEUlhE_St5arrayIPcLm2EEEEviT0_T1_.has_indirect_call, 0
	.section	.AMDGPU.csdata,"",@progbits
; Kernel info:
; codeLenInByte = 3348
; TotalNumSgprs: 46
; NumVgprs: 21
; NumAgprs: 0
; TotalNumVgprs: 21
; ScratchSize: 0
; MemoryBound: 0
; FloatMode: 240
; IeeeMode: 1
; LDSByteSize: 0 bytes/workgroup (compile time only)
; SGPRBlocks: 5
; VGPRBlocks: 2
; NumSGPRsForWavesPerEU: 46
; NumVGPRsForWavesPerEU: 21
; AccumOffset: 24
; Occupancy: 8
; WaveLimiterHint : 1
; COMPUTE_PGM_RSRC2:SCRATCH_EN: 0
; COMPUTE_PGM_RSRC2:USER_SGPR: 2
; COMPUTE_PGM_RSRC2:TRAP_HANDLER: 0
; COMPUTE_PGM_RSRC2:TGID_X_EN: 1
; COMPUTE_PGM_RSRC2:TGID_Y_EN: 0
; COMPUTE_PGM_RSRC2:TGID_Z_EN: 0
; COMPUTE_PGM_RSRC2:TIDIG_COMP_CNT: 0
; COMPUTE_PGM_RSRC3_GFX90A:ACCUM_OFFSET: 5
; COMPUTE_PGM_RSRC3_GFX90A:TG_SPLIT: 0
	.section	.text._ZN2at6native29vectorized_elementwise_kernelILi4EZZZNS0_17clamp_kernel_cudaERNS_18TensorIteratorBaseERKN3c106ScalarES7_ENKUlvE_clEvENKUlvE_clEvEUlhE_St5arrayIPcLm2EEEEviT0_T1_,"axG",@progbits,_ZN2at6native29vectorized_elementwise_kernelILi4EZZZNS0_17clamp_kernel_cudaERNS_18TensorIteratorBaseERKN3c106ScalarES7_ENKUlvE_clEvENKUlvE_clEvEUlhE_St5arrayIPcLm2EEEEviT0_T1_,comdat
	.globl	_ZN2at6native29vectorized_elementwise_kernelILi4EZZZNS0_17clamp_kernel_cudaERNS_18TensorIteratorBaseERKN3c106ScalarES7_ENKUlvE_clEvENKUlvE_clEvEUlhE_St5arrayIPcLm2EEEEviT0_T1_ ; -- Begin function _ZN2at6native29vectorized_elementwise_kernelILi4EZZZNS0_17clamp_kernel_cudaERNS_18TensorIteratorBaseERKN3c106ScalarES7_ENKUlvE_clEvENKUlvE_clEvEUlhE_St5arrayIPcLm2EEEEviT0_T1_
	.p2align	8
	.type	_ZN2at6native29vectorized_elementwise_kernelILi4EZZZNS0_17clamp_kernel_cudaERNS_18TensorIteratorBaseERKN3c106ScalarES7_ENKUlvE_clEvENKUlvE_clEvEUlhE_St5arrayIPcLm2EEEEviT0_T1_,@function
_ZN2at6native29vectorized_elementwise_kernelILi4EZZZNS0_17clamp_kernel_cudaERNS_18TensorIteratorBaseERKN3c106ScalarES7_ENKUlvE_clEvENKUlvE_clEvEUlhE_St5arrayIPcLm2EEEEviT0_T1_: ; @_ZN2at6native29vectorized_elementwise_kernelILi4EZZZNS0_17clamp_kernel_cudaERNS_18TensorIteratorBaseERKN3c106ScalarES7_ENKUlvE_clEvENKUlvE_clEvEUlhE_St5arrayIPcLm2EEEEviT0_T1_
; %bb.0:
	v_mov_b32_e32 v1, 0
	global_load_ushort v1, v1, s[0:1] offset:4
	s_load_dword s3, s[0:1], 0x0
	s_load_dwordx4 s[4:7], s[0:1], 0x8
	s_lshl_b32 s33, s2, 12
	s_mov_b64 s[0:1], -1
	s_waitcnt lgkmcnt(0)
	s_sub_i32 s38, s3, s33
	s_cmpk_gt_i32 s38, 0xfff
	s_waitcnt vmcnt(0)
	v_readfirstlane_b32 s39, v1
	s_cbranch_scc0 .LBB276_2
; %bb.1:
	s_and_b32 s0, 0xffff, s39
	s_lshr_b32 s2, s0, 8
	s_and_b32 s3, s39, 0xff
	s_ashr_i32 s8, s33, 31
	s_add_u32 s0, s6, s33
	s_addc_u32 s1, s7, s8
	v_lshlrev_b32_e32 v1, 2, v0
	global_load_dword v2, v1, s[0:1]
	global_load_dword v3, v1, s[0:1] offset:1024
	global_load_dword v4, v1, s[0:1] offset:2048
	;; [unrolled: 1-line block ×3, first 2 shown]
	s_movk_i32 s9, 0xff
	s_add_u32 s0, s4, s33
	s_addc_u32 s1, s5, s8
	s_waitcnt vmcnt(3)
	v_lshrrev_b32_e32 v7, 8, v2
	v_and_b32_sdwa v8, v2, s9 dst_sel:DWORD dst_unused:UNUSED_PAD src0_sel:WORD_1 src1_sel:DWORD
	v_max_u16_sdwa v6, v2, s3 dst_sel:DWORD dst_unused:UNUSED_PAD src0_sel:BYTE_0 src1_sel:DWORD
	v_max_u16_sdwa v2, v2, s3 dst_sel:DWORD dst_unused:UNUSED_PAD src0_sel:BYTE_3 src1_sel:DWORD
	s_waitcnt vmcnt(2)
	v_lshrrev_b32_e32 v10, 8, v3
	v_and_b32_sdwa v11, v3, s9 dst_sel:DWORD dst_unused:UNUSED_PAD src0_sel:WORD_1 src1_sel:DWORD
	s_waitcnt vmcnt(1)
	v_lshrrev_b32_e32 v13, 8, v4
	v_and_b32_sdwa v14, v4, s9 dst_sel:DWORD dst_unused:UNUSED_PAD src0_sel:WORD_1 src1_sel:DWORD
	;; [unrolled: 3-line block ×3, first 2 shown]
	v_max_u16_sdwa v7, v7, s3 dst_sel:DWORD dst_unused:UNUSED_PAD src0_sel:BYTE_0 src1_sel:DWORD
	v_max_u16_e32 v8, s3, v8
	v_max_u16_sdwa v9, v3, s3 dst_sel:DWORD dst_unused:UNUSED_PAD src0_sel:BYTE_0 src1_sel:DWORD
	v_max_u16_sdwa v3, v3, s3 dst_sel:DWORD dst_unused:UNUSED_PAD src0_sel:BYTE_3 src1_sel:DWORD
	v_max_u16_sdwa v12, v4, s3 dst_sel:DWORD dst_unused:UNUSED_PAD src0_sel:BYTE_0 src1_sel:DWORD
	v_max_u16_sdwa v4, v4, s3 dst_sel:DWORD dst_unused:UNUSED_PAD src0_sel:BYTE_3 src1_sel:DWORD
	;; [unrolled: 2-line block ×3, first 2 shown]
	v_min_u16_e32 v6, s2, v6
	v_min_u16_sdwa v2, v2, s2 dst_sel:BYTE_1 dst_unused:UNUSED_PAD src0_sel:DWORD src1_sel:DWORD
	v_max_u16_sdwa v10, v10, s3 dst_sel:DWORD dst_unused:UNUSED_PAD src0_sel:BYTE_0 src1_sel:DWORD
	v_max_u16_e32 v11, s3, v11
	v_max_u16_sdwa v13, v13, s3 dst_sel:DWORD dst_unused:UNUSED_PAD src0_sel:BYTE_0 src1_sel:DWORD
	v_max_u16_e32 v14, s3, v14
	;; [unrolled: 2-line block ×3, first 2 shown]
	v_min_u16_sdwa v7, v7, s2 dst_sel:BYTE_1 dst_unused:UNUSED_PAD src0_sel:DWORD src1_sel:DWORD
	v_min_u16_e32 v8, s2, v8
	v_min_u16_e32 v9, s2, v9
	v_min_u16_sdwa v3, v3, s2 dst_sel:BYTE_1 dst_unused:UNUSED_PAD src0_sel:DWORD src1_sel:DWORD
	v_min_u16_e32 v12, s2, v12
	v_min_u16_sdwa v4, v4, s2 dst_sel:BYTE_1 dst_unused:UNUSED_PAD src0_sel:DWORD src1_sel:DWORD
	;; [unrolled: 2-line block ×3, first 2 shown]
	v_min_u16_sdwa v10, v10, s2 dst_sel:BYTE_1 dst_unused:UNUSED_PAD src0_sel:DWORD src1_sel:DWORD
	v_min_u16_e32 v11, s2, v11
	v_min_u16_sdwa v13, v13, s2 dst_sel:BYTE_1 dst_unused:UNUSED_PAD src0_sel:DWORD src1_sel:DWORD
	v_min_u16_e32 v14, s2, v14
	;; [unrolled: 2-line block ×3, first 2 shown]
	v_or_b32_e32 v6, v6, v7
	v_or_b32_sdwa v2, v8, v2 dst_sel:WORD_1 dst_unused:UNUSED_PAD src0_sel:DWORD src1_sel:DWORD
	v_or_b32_e32 v15, v15, v16
	v_or_b32_sdwa v5, v17, v5 dst_sel:WORD_1 dst_unused:UNUSED_PAD src0_sel:DWORD src1_sel:DWORD
	;; [unrolled: 2-line block ×4, first 2 shown]
	v_or_b32_sdwa v2, v6, v2 dst_sel:DWORD dst_unused:UNUSED_PAD src0_sel:WORD_0 src1_sel:DWORD
	v_or_b32_sdwa v5, v15, v5 dst_sel:DWORD dst_unused:UNUSED_PAD src0_sel:WORD_0 src1_sel:DWORD
	v_or_b32_sdwa v4, v12, v4 dst_sel:DWORD dst_unused:UNUSED_PAD src0_sel:WORD_0 src1_sel:DWORD
	v_or_b32_sdwa v3, v9, v3 dst_sel:DWORD dst_unused:UNUSED_PAD src0_sel:WORD_0 src1_sel:DWORD
	global_store_dword v1, v2, s[0:1]
	global_store_dword v1, v3, s[0:1] offset:1024
	global_store_dword v1, v4, s[0:1] offset:2048
	;; [unrolled: 1-line block ×3, first 2 shown]
	s_mov_b64 s[0:1], 0
.LBB276_2:
	s_andn2_b64 vcc, exec, s[0:1]
	s_cbranch_vccnz .LBB276_52
; %bb.3:
	v_cmp_gt_i32_e32 vcc, s38, v0
	v_or_b32_e32 v1, 0x100, v0
	v_mov_b32_e32 v20, 0
	v_mov_b32_e32 v7, s39
	v_or_b32_e32 v6, s33, v0
	v_mov_b32_e32 v19, 0
	v_mov_b32_e32 v18, 0
	v_mov_b32_e32 v17, 0
	v_mov_b32_e32 v16, 0
	v_mov_b32_e32 v15, 0
	v_mov_b32_e32 v14, 0
	v_mov_b32_e32 v13, 0
	v_mov_b32_e32 v12, 0
	v_mov_b32_e32 v10, 0
	v_mov_b32_e32 v11, 0
	v_mov_b32_e32 v4, 0
	v_mov_b32_e32 v3, 0
	v_mov_b32_e32 v9, 0
	v_mov_b32_e32 v8, 0
	s_and_saveexec_b64 s[2:3], vcc
	s_cbranch_execz .LBB276_35
; %bb.4:
	global_load_ubyte v8, v6, s[6:7]
	v_cmp_gt_u32_e64 s[0:1], s38, v1
	v_mov_b32_e32 v9, 0
	v_mov_b32_e32 v7, s39
	;; [unrolled: 1-line block ×15, first 2 shown]
	s_and_saveexec_b64 s[8:9], s[0:1]
	s_cbranch_execz .LBB276_34
; %bb.5:
	v_add_u32_e32 v2, s33, v0
	global_load_ubyte v9, v2, s[6:7] offset:256
	v_or_b32_e32 v4, 0x200, v0
	v_mov_b32_e32 v3, 0
	v_cmp_gt_u32_e64 s[0:1], s38, v4
	v_mov_b32_e32 v7, s39
	v_mov_b32_e32 v4, 0
	;; [unrolled: 1-line block ×13, first 2 shown]
	s_and_saveexec_b64 s[10:11], s[0:1]
	s_cbranch_execz .LBB276_33
; %bb.6:
	v_lshl_add_u64 v[4:5], s[6:7], 0, v[2:3]
	global_load_ubyte v2, v[4:5], off offset:512
	v_or_b32_e32 v7, 0x300, v0
	v_cmp_gt_u32_e64 s[0:1], s38, v7
	v_mov_b32_e32 v7, s39
	v_mov_b32_e32 v11, 0
	;; [unrolled: 1-line block ×12, first 2 shown]
	s_and_saveexec_b64 s[6:7], s[0:1]
	s_cbranch_execz .LBB276_32
; %bb.7:
	global_load_ubyte v3, v[4:5], off offset:768
	v_or_b32_e32 v7, 0x400, v0
	v_cmp_gt_u32_e64 s[0:1], s38, v7
	v_mov_b32_e32 v11, 0
	v_mov_b32_e32 v7, s39
	;; [unrolled: 1-line block ×12, first 2 shown]
	s_and_saveexec_b64 s[12:13], s[0:1]
	s_cbranch_execz .LBB276_31
; %bb.8:
	global_load_ubyte v11, v[4:5], off offset:1024
	v_or_b32_e32 v7, 0x500, v0
	v_cmp_gt_u32_e64 s[0:1], s38, v7
	v_mov_b32_e32 v10, 0
	v_mov_b32_e32 v7, s39
	v_mov_b32_e32 v12, 0
	v_mov_b32_e32 v13, 0
	v_mov_b32_e32 v14, 0
	v_mov_b32_e32 v15, 0
	v_mov_b32_e32 v16, 0
	v_mov_b32_e32 v17, 0
	v_mov_b32_e32 v18, 0
	v_mov_b32_e32 v19, 0
	v_mov_b32_e32 v20, 0
	s_and_saveexec_b64 s[14:15], s[0:1]
	s_cbranch_execz .LBB276_30
; %bb.9:
	global_load_ubyte v10, v[4:5], off offset:1280
	v_or_b32_e32 v7, 0x600, v0
	v_cmp_gt_u32_e64 s[0:1], s38, v7
	v_mov_b32_e32 v12, 0
	v_mov_b32_e32 v7, s39
	;; [unrolled: 1-line block ×10, first 2 shown]
	s_and_saveexec_b64 s[16:17], s[0:1]
	s_cbranch_execz .LBB276_29
; %bb.10:
	global_load_ubyte v12, v[4:5], off offset:1536
	v_or_b32_e32 v7, 0x700, v0
	v_cmp_gt_u32_e64 s[0:1], s38, v7
	v_mov_b32_e32 v13, 0
	v_mov_b32_e32 v7, s39
	;; [unrolled: 1-line block ×9, first 2 shown]
	s_and_saveexec_b64 s[18:19], s[0:1]
	s_cbranch_execz .LBB276_28
; %bb.11:
	global_load_ubyte v13, v[4:5], off offset:1792
	v_or_b32_e32 v7, 0x800, v0
	v_cmp_gt_u32_e64 s[0:1], s38, v7
	v_mov_b32_e32 v14, 0
	v_mov_b32_e32 v7, s39
	;; [unrolled: 1-line block ×8, first 2 shown]
	s_and_saveexec_b64 s[20:21], s[0:1]
	s_cbranch_execz .LBB276_27
; %bb.12:
	global_load_ubyte v14, v[4:5], off offset:2048
	v_or_b32_e32 v7, 0x900, v0
	v_cmp_gt_u32_e64 s[0:1], s38, v7
	v_mov_b32_e32 v15, 0
	v_mov_b32_e32 v7, s39
	v_mov_b32_e32 v16, 0
	v_mov_b32_e32 v17, 0
	v_mov_b32_e32 v18, 0
	v_mov_b32_e32 v19, 0
	v_mov_b32_e32 v20, 0
	s_and_saveexec_b64 s[22:23], s[0:1]
	s_cbranch_execz .LBB276_26
; %bb.13:
	global_load_ubyte v15, v[4:5], off offset:2304
	v_or_b32_e32 v7, 0xa00, v0
	v_cmp_gt_u32_e64 s[0:1], s38, v7
	v_mov_b32_e32 v16, 0
	v_mov_b32_e32 v7, s39
	v_mov_b32_e32 v17, 0
	v_mov_b32_e32 v18, 0
	v_mov_b32_e32 v19, 0
	v_mov_b32_e32 v20, 0
	s_and_saveexec_b64 s[24:25], s[0:1]
	s_cbranch_execz .LBB276_25
; %bb.14:
	global_load_ubyte v16, v[4:5], off offset:2560
	v_or_b32_e32 v7, 0xb00, v0
	v_cmp_gt_u32_e64 s[0:1], s38, v7
	v_mov_b32_e32 v17, 0
	v_mov_b32_e32 v7, s39
	;; [unrolled: 1-line block ×5, first 2 shown]
	s_and_saveexec_b64 s[26:27], s[0:1]
	s_cbranch_execz .LBB276_24
; %bb.15:
	global_load_ubyte v17, v[4:5], off offset:2816
	v_or_b32_e32 v7, 0xc00, v0
	v_cmp_gt_u32_e64 s[0:1], s38, v7
	v_mov_b32_e32 v18, 0
	v_mov_b32_e32 v7, s39
	;; [unrolled: 1-line block ×4, first 2 shown]
	s_and_saveexec_b64 s[28:29], s[0:1]
	s_cbranch_execz .LBB276_23
; %bb.16:
	global_load_ubyte v18, v[4:5], off offset:3072
	v_or_b32_e32 v7, 0xd00, v0
	v_cmp_gt_u32_e64 s[0:1], s38, v7
	v_mov_b32_e32 v19, 0
	v_mov_b32_e32 v7, s39
	v_mov_b32_e32 v20, 0
	s_and_saveexec_b64 s[30:31], s[0:1]
	s_cbranch_execz .LBB276_22
; %bb.17:
	global_load_ubyte v19, v[4:5], off offset:3328
	v_or_b32_e32 v7, 0xe00, v0
	v_cmp_gt_u32_e64 s[0:1], s38, v7
	v_mov_b32_e32 v20, 0
	v_mov_b32_e32 v7, s39
	s_and_saveexec_b64 s[34:35], s[0:1]
	s_cbranch_execz .LBB276_21
; %bb.18:
	global_load_ubyte v20, v[4:5], off offset:3584
	v_or_b32_e32 v7, 0xf00, v0
	v_cmp_gt_u32_e64 s[0:1], s38, v7
	v_mov_b32_e32 v7, s39
	s_and_saveexec_b64 s[36:37], s[0:1]
	s_cbranch_execz .LBB276_20
; %bb.19:
	global_load_ubyte v4, v[4:5], off offset:3840
	s_and_b32 s0, s39, 0xff
	s_waitcnt vmcnt(0)
	v_max_u16_e32 v7, s0, v4
.LBB276_20:
	s_or_b64 exec, exec, s[36:37]
.LBB276_21:
	s_or_b64 exec, exec, s[34:35]
.LBB276_22:
	s_or_b64 exec, exec, s[30:31]
.LBB276_23:
	s_or_b64 exec, exec, s[28:29]
.LBB276_24:
	s_or_b64 exec, exec, s[26:27]
.LBB276_25:
	s_or_b64 exec, exec, s[24:25]
.LBB276_26:
	s_or_b64 exec, exec, s[22:23]
.LBB276_27:
	s_or_b64 exec, exec, s[20:21]
.LBB276_28:
	s_or_b64 exec, exec, s[18:19]
.LBB276_29:
	s_or_b64 exec, exec, s[16:17]
.LBB276_30:
	s_or_b64 exec, exec, s[14:15]
.LBB276_31:
	s_or_b64 exec, exec, s[12:13]
.LBB276_32:
	s_or_b64 exec, exec, s[6:7]
	s_waitcnt vmcnt(0)
	v_mov_b32_e32 v4, v3
	v_mov_b32_e32 v3, v2
.LBB276_33:
	s_or_b64 exec, exec, s[10:11]
.LBB276_34:
	s_or_b64 exec, exec, s[8:9]
.LBB276_35:
	s_or_b64 exec, exec, s[2:3]
	s_and_b32 s0, 0xffff, s39
	s_and_b32 s7, s39, 0xff
	s_lshr_b32 s3, s0, 8
	s_waitcnt vmcnt(0)
	v_max_u16_sdwa v2, v8, s7 dst_sel:DWORD dst_unused:UNUSED_PAD src0_sel:BYTE_0 src1_sel:DWORD
	v_min_u16_e32 v2, s3, v2
	v_max_u16_sdwa v5, v9, s7 dst_sel:DWORD dst_unused:UNUSED_PAD src0_sel:BYTE_0 src1_sel:DWORD
	s_movk_i32 s6, 0xff
	v_cndmask_b32_e32 v2, 0, v2, vcc
	v_min_u16_sdwa v5, v5, s3 dst_sel:BYTE_1 dst_unused:UNUSED_PAD src0_sel:DWORD src1_sel:DWORD
	v_cmp_gt_i32_e64 s[0:1], s38, v1
	v_bitop3_b16 v5, v2, v5, s6 bitop3:0xec
	v_and_b32_e32 v5, 0xffff, v5
	v_max_u16_sdwa v3, v3, s7 dst_sel:DWORD dst_unused:UNUSED_PAD src0_sel:BYTE_0 src1_sel:DWORD
	v_cndmask_b32_e64 v2, v2, v5, s[0:1]
	v_or_b32_e32 v5, 0x200, v0
	v_min_u16_sdwa v3, v3, s3 dst_sel:WORD_1 dst_unused:UNUSED_PAD src0_sel:DWORD src1_sel:DWORD
	v_cmp_gt_i32_e64 s[0:1], s38, v5
	v_or_b32_e32 v3, v2, v3
	v_max_u16_sdwa v4, v4, s7 dst_sel:DWORD dst_unused:UNUSED_PAD src0_sel:BYTE_0 src1_sel:DWORD
	v_cndmask_b32_e64 v2, v2, v3, s[0:1]
	v_lshrrev_b32_e32 v3, 16, v2
	v_min_u16_sdwa v4, v4, s3 dst_sel:BYTE_1 dst_unused:UNUSED_PAD src0_sel:DWORD src1_sel:DWORD
	s_mov_b32 s2, 0xffff
	v_bitop3_b16 v3, v3, v4, s6 bitop3:0xec
	v_or_b32_e32 v5, 0x300, v0
	v_lshlrev_b32_e32 v3, 16, v3
	v_and_or_b32 v3, v2, s2, v3
	v_cmp_gt_i32_e64 s[0:1], s38, v5
	s_movk_i32 s8, 0xff00
	v_max_u16_sdwa v4, v10, s7 dst_sel:DWORD dst_unused:UNUSED_PAD src0_sel:BYTE_0 src1_sel:DWORD
	v_cndmask_b32_e64 v5, v2, v3, s[0:1]
	v_max_u16_sdwa v2, v11, s7 dst_sel:DWORD dst_unused:UNUSED_PAD src0_sel:BYTE_0 src1_sel:DWORD
	v_min_u16_e32 v2, s3, v2
	v_bitop3_b16 v2, v2, 0, s8 bitop3:0xf8
	v_or_b32_e32 v3, 0x400, v0
	v_and_b32_e32 v2, 0xffff, v2
	v_cmp_gt_i32_e64 s[0:1], s38, v3
	v_min_u16_sdwa v4, v4, s3 dst_sel:BYTE_1 dst_unused:UNUSED_PAD src0_sel:DWORD src1_sel:DWORD
	v_or_b32_e32 v3, 0x500, v0
	v_cndmask_b32_e64 v2, 0, v2, s[0:1]
	v_bitop3_b16 v4, v2, v4, s6 bitop3:0xec
	v_and_b32_e32 v4, 0xffff, v4
	v_cmp_gt_i32_e64 s[0:1], s38, v3
	v_max_u16_sdwa v8, v13, s7 dst_sel:DWORD dst_unused:UNUSED_PAD src0_sel:BYTE_0 src1_sel:DWORD
	v_min_u16_sdwa v8, v8, s3 dst_sel:BYTE_1 dst_unused:UNUSED_PAD src0_sel:DWORD src1_sel:DWORD
	v_cndmask_b32_e64 v2, v2, v4, s[0:1]
	v_max_u16_sdwa v4, v12, s7 dst_sel:DWORD dst_unused:UNUSED_PAD src0_sel:BYTE_0 src1_sel:DWORD
	v_lshrrev_b32_e32 v3, 16, v2
	v_min_u16_e32 v4, s3, v4
	v_bitop3_b16 v3, v4, v3, s8 bitop3:0xf8
	v_or_b32_e32 v4, 0x600, v0
	v_lshlrev_b32_e32 v3, 16, v3
	v_and_or_b32 v3, v2, s2, v3
	v_cmp_gt_i32_e64 s[0:1], s38, v4
	v_or_b32_e32 v4, 0x700, v0
	v_max_u16_sdwa v9, v17, s7 dst_sel:DWORD dst_unused:UNUSED_PAD src0_sel:BYTE_0 src1_sel:DWORD
	v_cndmask_b32_e64 v2, v2, v3, s[0:1]
	v_lshrrev_b32_e32 v3, 16, v2
	v_bitop3_b16 v3, v3, v8, s6 bitop3:0xec
	v_lshlrev_b32_e32 v3, 16, v3
	v_and_or_b32 v3, v2, s2, v3
	v_cmp_gt_i32_e64 s[0:1], s38, v4
	v_max_u16_sdwa v8, v15, s7 dst_sel:DWORD dst_unused:UNUSED_PAD src0_sel:BYTE_0 src1_sel:DWORD
	v_min_u16_sdwa v8, v8, s3 dst_sel:BYTE_1 dst_unused:UNUSED_PAD src0_sel:DWORD src1_sel:DWORD
	v_cndmask_b32_e64 v4, v2, v3, s[0:1]
	v_or_b32_e32 v2, 0x800, v0
	v_max_u16_sdwa v3, v14, s7 dst_sel:DWORD dst_unused:UNUSED_PAD src0_sel:BYTE_0 src1_sel:DWORD
	v_min_u16_e32 v3, s3, v3
	v_cmp_gt_i32_e64 s[0:1], s38, v2
	v_min_u16_sdwa v9, v9, s3 dst_sel:BYTE_1 dst_unused:UNUSED_PAD src0_sel:DWORD src1_sel:DWORD
	v_min_u16_sdwa v7, v7, s3 dst_sel:BYTE_1 dst_unused:UNUSED_PAD src0_sel:BYTE_0 src1_sel:DWORD
	v_cndmask_b32_e64 v2, 0, v3, s[0:1]
	v_or_b32_e32 v3, 0x900, v0
	v_bitop3_b16 v8, v2, v8, s6 bitop3:0xec
	v_and_b32_e32 v8, 0xffff, v8
	v_cmp_gt_i32_e64 s[0:1], s38, v3
	v_or_b32_e32 v3, 0xa00, v0
	s_nop 0
	v_cndmask_b32_e64 v2, v2, v8, s[0:1]
	v_max_u16_sdwa v8, v16, s7 dst_sel:DWORD dst_unused:UNUSED_PAD src0_sel:BYTE_0 src1_sel:DWORD
	v_min_u16_sdwa v8, v8, s3 dst_sel:WORD_1 dst_unused:UNUSED_PAD src0_sel:DWORD src1_sel:DWORD
	v_cmp_gt_i32_e64 s[0:1], s38, v3
	v_or_b32_e32 v8, v2, v8
	s_nop 0
	v_cndmask_b32_e64 v2, v2, v8, s[0:1]
	v_lshrrev_b32_e32 v3, 16, v2
	v_bitop3_b16 v3, v3, v9, s6 bitop3:0xec
	v_or_b32_e32 v8, 0xb00, v0
	v_lshlrev_b32_e32 v3, 16, v3
	v_and_or_b32 v3, v2, s2, v3
	v_cmp_gt_i32_e64 s[0:1], s38, v8
	v_max_u16_sdwa v8, v18, s7 dst_sel:DWORD dst_unused:UNUSED_PAD src0_sel:BYTE_0 src1_sel:DWORD
	v_min_u16_e32 v8, s3, v8
	v_cndmask_b32_e64 v3, v2, v3, s[0:1]
	v_or_b32_e32 v2, 0xc00, v0
	v_cmp_gt_i32_e64 s[0:1], s38, v2
	v_max_u16_sdwa v9, v19, s7 dst_sel:DWORD dst_unused:UNUSED_PAD src0_sel:BYTE_0 src1_sel:DWORD
	v_min_u16_sdwa v9, v9, s3 dst_sel:BYTE_1 dst_unused:UNUSED_PAD src0_sel:DWORD src1_sel:DWORD
	v_cndmask_b32_e64 v2, 0, v8, s[0:1]
	v_or_b32_e32 v8, 0xd00, v0
	v_bitop3_b16 v9, v2, v9, s6 bitop3:0xec
	v_and_b32_e32 v9, 0xffff, v9
	v_cmp_gt_i32_e64 s[0:1], s38, v8
	s_nop 1
	v_cndmask_b32_e64 v2, v2, v9, s[0:1]
	v_max_u16_sdwa v9, v20, s7 dst_sel:DWORD dst_unused:UNUSED_PAD src0_sel:BYTE_0 src1_sel:DWORD
	v_lshrrev_b32_e32 v8, 16, v2
	v_min_u16_e32 v9, s3, v9
	v_bitop3_b16 v8, v9, v8, s8 bitop3:0xf8
	v_or_b32_e32 v9, 0xe00, v0
	v_lshlrev_b32_e32 v8, 16, v8
	v_and_or_b32 v8, v2, s2, v8
	v_cmp_gt_i32_e64 s[0:1], s38, v9
	v_or_b32_e32 v9, 0xf00, v0
	s_nop 0
	v_cndmask_b32_e64 v2, v2, v8, s[0:1]
	v_lshrrev_b32_e32 v8, 16, v2
	v_bitop3_b16 v7, v8, v7, s6 bitop3:0xec
	v_lshlrev_b32_e32 v7, 16, v7
	v_and_or_b32 v7, v2, s2, v7
	v_cmp_gt_i32_e64 s[0:1], s38, v9
	s_nop 1
	v_cndmask_b32_e64 v2, v2, v7, s[0:1]
	s_and_saveexec_b64 s[0:1], vcc
	s_cbranch_execnz .LBB276_53
; %bb.36:
	s_or_b64 exec, exec, s[0:1]
	v_cmp_gt_i32_e32 vcc, s38, v0
	s_and_saveexec_b64 s[0:1], vcc
	s_cbranch_execnz .LBB276_54
.LBB276_37:
	s_or_b64 exec, exec, s[0:1]
	v_cmp_gt_i32_e32 vcc, s38, v0
	s_and_saveexec_b64 s[0:1], vcc
	s_cbranch_execnz .LBB276_55
.LBB276_38:
	s_or_b64 exec, exec, s[0:1]
	v_cmp_gt_i32_e32 vcc, s38, v0
	s_and_saveexec_b64 s[0:1], vcc
	s_cbranch_execnz .LBB276_56
.LBB276_39:
	s_or_b64 exec, exec, s[0:1]
	v_cmp_gt_i32_e32 vcc, s38, v0
	s_and_saveexec_b64 s[0:1], vcc
	s_cbranch_execnz .LBB276_57
.LBB276_40:
	s_or_b64 exec, exec, s[0:1]
	v_cmp_gt_i32_e32 vcc, s38, v0
	s_and_saveexec_b64 s[0:1], vcc
	s_cbranch_execnz .LBB276_58
.LBB276_41:
	s_or_b64 exec, exec, s[0:1]
	v_cmp_gt_i32_e32 vcc, s38, v0
	s_and_saveexec_b64 s[0:1], vcc
	s_cbranch_execnz .LBB276_59
.LBB276_42:
	s_or_b64 exec, exec, s[0:1]
	v_cmp_gt_i32_e32 vcc, s38, v0
	s_and_saveexec_b64 s[0:1], vcc
	s_cbranch_execnz .LBB276_60
.LBB276_43:
	s_or_b64 exec, exec, s[0:1]
	v_cmp_gt_i32_e32 vcc, s38, v0
	s_and_saveexec_b64 s[0:1], vcc
	s_cbranch_execnz .LBB276_61
.LBB276_44:
	s_or_b64 exec, exec, s[0:1]
	v_cmp_gt_i32_e32 vcc, s38, v0
	s_and_saveexec_b64 s[0:1], vcc
	s_cbranch_execnz .LBB276_62
.LBB276_45:
	s_or_b64 exec, exec, s[0:1]
	v_cmp_gt_i32_e32 vcc, s38, v0
	s_and_saveexec_b64 s[0:1], vcc
	s_cbranch_execnz .LBB276_63
.LBB276_46:
	s_or_b64 exec, exec, s[0:1]
	v_cmp_gt_i32_e32 vcc, s38, v0
	s_and_saveexec_b64 s[0:1], vcc
	s_cbranch_execnz .LBB276_64
.LBB276_47:
	s_or_b64 exec, exec, s[0:1]
	v_cmp_gt_i32_e32 vcc, s38, v0
	s_and_saveexec_b64 s[0:1], vcc
	s_cbranch_execnz .LBB276_65
.LBB276_48:
	s_or_b64 exec, exec, s[0:1]
	v_cmp_gt_i32_e32 vcc, s38, v0
	s_and_saveexec_b64 s[0:1], vcc
	s_cbranch_execnz .LBB276_66
.LBB276_49:
	s_or_b64 exec, exec, s[0:1]
	v_cmp_gt_i32_e32 vcc, s38, v0
	s_and_saveexec_b64 s[0:1], vcc
	s_cbranch_execnz .LBB276_67
.LBB276_50:
	s_or_b64 exec, exec, s[0:1]
	v_cmp_gt_i32_e32 vcc, s38, v0
	s_and_saveexec_b64 s[0:1], vcc
	s_cbranch_execz .LBB276_52
.LBB276_51:
	v_lshrrev_b32_e32 v1, 24, v2
	v_add_u32_e32 v0, s33, v0
	global_store_byte v0, v1, s[4:5]
.LBB276_52:
	s_endpgm
.LBB276_53:
	v_mov_b32_e32 v0, v1
	global_store_byte v6, v5, s[4:5]
	s_or_b64 exec, exec, s[0:1]
	v_cmp_gt_i32_e32 vcc, s38, v0
	s_and_saveexec_b64 s[0:1], vcc
	s_cbranch_execz .LBB276_37
.LBB276_54:
	v_lshrrev_b32_e32 v1, 8, v5
	v_add_u32_e32 v6, s33, v0
	v_add_u32_e32 v0, 0x100, v0
	global_store_byte v6, v1, s[4:5]
	s_or_b64 exec, exec, s[0:1]
	v_cmp_gt_i32_e32 vcc, s38, v0
	s_and_saveexec_b64 s[0:1], vcc
	s_cbranch_execz .LBB276_38
.LBB276_55:
	v_add_u32_e32 v1, s33, v0
	v_add_u32_e32 v0, 0x100, v0
	global_store_byte_d16_hi v1, v5, s[4:5]
	s_or_b64 exec, exec, s[0:1]
	v_cmp_gt_i32_e32 vcc, s38, v0
	s_and_saveexec_b64 s[0:1], vcc
	s_cbranch_execz .LBB276_39
.LBB276_56:
	v_lshrrev_b32_e32 v1, 24, v5
	v_add_u32_e32 v5, s33, v0
	v_add_u32_e32 v0, 0x100, v0
	global_store_byte v5, v1, s[4:5]
	s_or_b64 exec, exec, s[0:1]
	v_cmp_gt_i32_e32 vcc, s38, v0
	s_and_saveexec_b64 s[0:1], vcc
	s_cbranch_execz .LBB276_40
.LBB276_57:
	v_add_u32_e32 v1, s33, v0
	v_add_u32_e32 v0, 0x100, v0
	global_store_byte v1, v4, s[4:5]
	s_or_b64 exec, exec, s[0:1]
	v_cmp_gt_i32_e32 vcc, s38, v0
	s_and_saveexec_b64 s[0:1], vcc
	s_cbranch_execz .LBB276_41
.LBB276_58:
	v_lshrrev_b32_e32 v1, 8, v4
	v_add_u32_e32 v5, s33, v0
	v_add_u32_e32 v0, 0x100, v0
	global_store_byte v5, v1, s[4:5]
	s_or_b64 exec, exec, s[0:1]
	v_cmp_gt_i32_e32 vcc, s38, v0
	s_and_saveexec_b64 s[0:1], vcc
	s_cbranch_execz .LBB276_42
.LBB276_59:
	v_add_u32_e32 v1, s33, v0
	v_add_u32_e32 v0, 0x100, v0
	global_store_byte_d16_hi v1, v4, s[4:5]
	s_or_b64 exec, exec, s[0:1]
	v_cmp_gt_i32_e32 vcc, s38, v0
	s_and_saveexec_b64 s[0:1], vcc
	s_cbranch_execz .LBB276_43
.LBB276_60:
	v_lshrrev_b32_e32 v1, 24, v4
	v_add_u32_e32 v4, s33, v0
	v_add_u32_e32 v0, 0x100, v0
	global_store_byte v4, v1, s[4:5]
	s_or_b64 exec, exec, s[0:1]
	v_cmp_gt_i32_e32 vcc, s38, v0
	s_and_saveexec_b64 s[0:1], vcc
	s_cbranch_execz .LBB276_44
.LBB276_61:
	v_add_u32_e32 v1, s33, v0
	v_add_u32_e32 v0, 0x100, v0
	global_store_byte v1, v3, s[4:5]
	s_or_b64 exec, exec, s[0:1]
	v_cmp_gt_i32_e32 vcc, s38, v0
	s_and_saveexec_b64 s[0:1], vcc
	s_cbranch_execz .LBB276_45
.LBB276_62:
	v_lshrrev_b32_e32 v1, 8, v3
	v_add_u32_e32 v4, s33, v0
	v_add_u32_e32 v0, 0x100, v0
	global_store_byte v4, v1, s[4:5]
	s_or_b64 exec, exec, s[0:1]
	v_cmp_gt_i32_e32 vcc, s38, v0
	s_and_saveexec_b64 s[0:1], vcc
	s_cbranch_execz .LBB276_46
.LBB276_63:
	v_add_u32_e32 v1, s33, v0
	v_add_u32_e32 v0, 0x100, v0
	global_store_byte_d16_hi v1, v3, s[4:5]
	s_or_b64 exec, exec, s[0:1]
	v_cmp_gt_i32_e32 vcc, s38, v0
	s_and_saveexec_b64 s[0:1], vcc
	s_cbranch_execz .LBB276_47
.LBB276_64:
	v_lshrrev_b32_e32 v1, 24, v3
	v_add_u32_e32 v3, s33, v0
	v_add_u32_e32 v0, 0x100, v0
	global_store_byte v3, v1, s[4:5]
	s_or_b64 exec, exec, s[0:1]
	v_cmp_gt_i32_e32 vcc, s38, v0
	s_and_saveexec_b64 s[0:1], vcc
	s_cbranch_execz .LBB276_48
.LBB276_65:
	v_add_u32_e32 v1, s33, v0
	v_add_u32_e32 v0, 0x100, v0
	global_store_byte v1, v2, s[4:5]
	s_or_b64 exec, exec, s[0:1]
	v_cmp_gt_i32_e32 vcc, s38, v0
	s_and_saveexec_b64 s[0:1], vcc
	s_cbranch_execz .LBB276_49
.LBB276_66:
	v_lshrrev_b32_e32 v1, 8, v2
	v_add_u32_e32 v3, s33, v0
	v_add_u32_e32 v0, 0x100, v0
	global_store_byte v3, v1, s[4:5]
	s_or_b64 exec, exec, s[0:1]
	v_cmp_gt_i32_e32 vcc, s38, v0
	s_and_saveexec_b64 s[0:1], vcc
	s_cbranch_execz .LBB276_50
.LBB276_67:
	v_add_u32_e32 v1, s33, v0
	v_add_u32_e32 v0, 0x100, v0
	global_store_byte_d16_hi v1, v2, s[4:5]
	s_or_b64 exec, exec, s[0:1]
	v_cmp_gt_i32_e32 vcc, s38, v0
	s_and_saveexec_b64 s[0:1], vcc
	s_cbranch_execnz .LBB276_51
	s_branch .LBB276_52
	.section	.rodata,"a",@progbits
	.p2align	6, 0x0
	.amdhsa_kernel _ZN2at6native29vectorized_elementwise_kernelILi4EZZZNS0_17clamp_kernel_cudaERNS_18TensorIteratorBaseERKN3c106ScalarES7_ENKUlvE_clEvENKUlvE_clEvEUlhE_St5arrayIPcLm2EEEEviT0_T1_
		.amdhsa_group_segment_fixed_size 0
		.amdhsa_private_segment_fixed_size 0
		.amdhsa_kernarg_size 24
		.amdhsa_user_sgpr_count 2
		.amdhsa_user_sgpr_dispatch_ptr 0
		.amdhsa_user_sgpr_queue_ptr 0
		.amdhsa_user_sgpr_kernarg_segment_ptr 1
		.amdhsa_user_sgpr_dispatch_id 0
		.amdhsa_user_sgpr_kernarg_preload_length 0
		.amdhsa_user_sgpr_kernarg_preload_offset 0
		.amdhsa_user_sgpr_private_segment_size 0
		.amdhsa_uses_dynamic_stack 0
		.amdhsa_enable_private_segment 0
		.amdhsa_system_sgpr_workgroup_id_x 1
		.amdhsa_system_sgpr_workgroup_id_y 0
		.amdhsa_system_sgpr_workgroup_id_z 0
		.amdhsa_system_sgpr_workgroup_info 0
		.amdhsa_system_vgpr_workitem_id 0
		.amdhsa_next_free_vgpr 21
		.amdhsa_next_free_sgpr 40
		.amdhsa_accum_offset 24
		.amdhsa_reserve_vcc 1
		.amdhsa_float_round_mode_32 0
		.amdhsa_float_round_mode_16_64 0
		.amdhsa_float_denorm_mode_32 3
		.amdhsa_float_denorm_mode_16_64 3
		.amdhsa_dx10_clamp 1
		.amdhsa_ieee_mode 1
		.amdhsa_fp16_overflow 0
		.amdhsa_tg_split 0
		.amdhsa_exception_fp_ieee_invalid_op 0
		.amdhsa_exception_fp_denorm_src 0
		.amdhsa_exception_fp_ieee_div_zero 0
		.amdhsa_exception_fp_ieee_overflow 0
		.amdhsa_exception_fp_ieee_underflow 0
		.amdhsa_exception_fp_ieee_inexact 0
		.amdhsa_exception_int_div_zero 0
	.end_amdhsa_kernel
	.section	.text._ZN2at6native29vectorized_elementwise_kernelILi4EZZZNS0_17clamp_kernel_cudaERNS_18TensorIteratorBaseERKN3c106ScalarES7_ENKUlvE_clEvENKUlvE_clEvEUlhE_St5arrayIPcLm2EEEEviT0_T1_,"axG",@progbits,_ZN2at6native29vectorized_elementwise_kernelILi4EZZZNS0_17clamp_kernel_cudaERNS_18TensorIteratorBaseERKN3c106ScalarES7_ENKUlvE_clEvENKUlvE_clEvEUlhE_St5arrayIPcLm2EEEEviT0_T1_,comdat
.Lfunc_end276:
	.size	_ZN2at6native29vectorized_elementwise_kernelILi4EZZZNS0_17clamp_kernel_cudaERNS_18TensorIteratorBaseERKN3c106ScalarES7_ENKUlvE_clEvENKUlvE_clEvEUlhE_St5arrayIPcLm2EEEEviT0_T1_, .Lfunc_end276-_ZN2at6native29vectorized_elementwise_kernelILi4EZZZNS0_17clamp_kernel_cudaERNS_18TensorIteratorBaseERKN3c106ScalarES7_ENKUlvE_clEvENKUlvE_clEvEUlhE_St5arrayIPcLm2EEEEviT0_T1_
                                        ; -- End function
	.set _ZN2at6native29vectorized_elementwise_kernelILi4EZZZNS0_17clamp_kernel_cudaERNS_18TensorIteratorBaseERKN3c106ScalarES7_ENKUlvE_clEvENKUlvE_clEvEUlhE_St5arrayIPcLm2EEEEviT0_T1_.num_vgpr, 21
	.set _ZN2at6native29vectorized_elementwise_kernelILi4EZZZNS0_17clamp_kernel_cudaERNS_18TensorIteratorBaseERKN3c106ScalarES7_ENKUlvE_clEvENKUlvE_clEvEUlhE_St5arrayIPcLm2EEEEviT0_T1_.num_agpr, 0
	.set _ZN2at6native29vectorized_elementwise_kernelILi4EZZZNS0_17clamp_kernel_cudaERNS_18TensorIteratorBaseERKN3c106ScalarES7_ENKUlvE_clEvENKUlvE_clEvEUlhE_St5arrayIPcLm2EEEEviT0_T1_.numbered_sgpr, 40
	.set _ZN2at6native29vectorized_elementwise_kernelILi4EZZZNS0_17clamp_kernel_cudaERNS_18TensorIteratorBaseERKN3c106ScalarES7_ENKUlvE_clEvENKUlvE_clEvEUlhE_St5arrayIPcLm2EEEEviT0_T1_.num_named_barrier, 0
	.set _ZN2at6native29vectorized_elementwise_kernelILi4EZZZNS0_17clamp_kernel_cudaERNS_18TensorIteratorBaseERKN3c106ScalarES7_ENKUlvE_clEvENKUlvE_clEvEUlhE_St5arrayIPcLm2EEEEviT0_T1_.private_seg_size, 0
	.set _ZN2at6native29vectorized_elementwise_kernelILi4EZZZNS0_17clamp_kernel_cudaERNS_18TensorIteratorBaseERKN3c106ScalarES7_ENKUlvE_clEvENKUlvE_clEvEUlhE_St5arrayIPcLm2EEEEviT0_T1_.uses_vcc, 1
	.set _ZN2at6native29vectorized_elementwise_kernelILi4EZZZNS0_17clamp_kernel_cudaERNS_18TensorIteratorBaseERKN3c106ScalarES7_ENKUlvE_clEvENKUlvE_clEvEUlhE_St5arrayIPcLm2EEEEviT0_T1_.uses_flat_scratch, 0
	.set _ZN2at6native29vectorized_elementwise_kernelILi4EZZZNS0_17clamp_kernel_cudaERNS_18TensorIteratorBaseERKN3c106ScalarES7_ENKUlvE_clEvENKUlvE_clEvEUlhE_St5arrayIPcLm2EEEEviT0_T1_.has_dyn_sized_stack, 0
	.set _ZN2at6native29vectorized_elementwise_kernelILi4EZZZNS0_17clamp_kernel_cudaERNS_18TensorIteratorBaseERKN3c106ScalarES7_ENKUlvE_clEvENKUlvE_clEvEUlhE_St5arrayIPcLm2EEEEviT0_T1_.has_recursion, 0
	.set _ZN2at6native29vectorized_elementwise_kernelILi4EZZZNS0_17clamp_kernel_cudaERNS_18TensorIteratorBaseERKN3c106ScalarES7_ENKUlvE_clEvENKUlvE_clEvEUlhE_St5arrayIPcLm2EEEEviT0_T1_.has_indirect_call, 0
	.section	.AMDGPU.csdata,"",@progbits
; Kernel info:
; codeLenInByte = 3388
; TotalNumSgprs: 46
; NumVgprs: 21
; NumAgprs: 0
; TotalNumVgprs: 21
; ScratchSize: 0
; MemoryBound: 0
; FloatMode: 240
; IeeeMode: 1
; LDSByteSize: 0 bytes/workgroup (compile time only)
; SGPRBlocks: 5
; VGPRBlocks: 2
; NumSGPRsForWavesPerEU: 46
; NumVGPRsForWavesPerEU: 21
; AccumOffset: 24
; Occupancy: 8
; WaveLimiterHint : 1
; COMPUTE_PGM_RSRC2:SCRATCH_EN: 0
; COMPUTE_PGM_RSRC2:USER_SGPR: 2
; COMPUTE_PGM_RSRC2:TRAP_HANDLER: 0
; COMPUTE_PGM_RSRC2:TGID_X_EN: 1
; COMPUTE_PGM_RSRC2:TGID_Y_EN: 0
; COMPUTE_PGM_RSRC2:TGID_Z_EN: 0
; COMPUTE_PGM_RSRC2:TIDIG_COMP_CNT: 0
; COMPUTE_PGM_RSRC3_GFX90A:ACCUM_OFFSET: 5
; COMPUTE_PGM_RSRC3_GFX90A:TG_SPLIT: 0
	.section	.text._ZN2at6native29vectorized_elementwise_kernelILi2EZZZNS0_17clamp_kernel_cudaERNS_18TensorIteratorBaseERKN3c106ScalarES7_ENKUlvE_clEvENKUlvE_clEvEUlhE_St5arrayIPcLm2EEEEviT0_T1_,"axG",@progbits,_ZN2at6native29vectorized_elementwise_kernelILi2EZZZNS0_17clamp_kernel_cudaERNS_18TensorIteratorBaseERKN3c106ScalarES7_ENKUlvE_clEvENKUlvE_clEvEUlhE_St5arrayIPcLm2EEEEviT0_T1_,comdat
	.globl	_ZN2at6native29vectorized_elementwise_kernelILi2EZZZNS0_17clamp_kernel_cudaERNS_18TensorIteratorBaseERKN3c106ScalarES7_ENKUlvE_clEvENKUlvE_clEvEUlhE_St5arrayIPcLm2EEEEviT0_T1_ ; -- Begin function _ZN2at6native29vectorized_elementwise_kernelILi2EZZZNS0_17clamp_kernel_cudaERNS_18TensorIteratorBaseERKN3c106ScalarES7_ENKUlvE_clEvENKUlvE_clEvEUlhE_St5arrayIPcLm2EEEEviT0_T1_
	.p2align	8
	.type	_ZN2at6native29vectorized_elementwise_kernelILi2EZZZNS0_17clamp_kernel_cudaERNS_18TensorIteratorBaseERKN3c106ScalarES7_ENKUlvE_clEvENKUlvE_clEvEUlhE_St5arrayIPcLm2EEEEviT0_T1_,@function
_ZN2at6native29vectorized_elementwise_kernelILi2EZZZNS0_17clamp_kernel_cudaERNS_18TensorIteratorBaseERKN3c106ScalarES7_ENKUlvE_clEvENKUlvE_clEvEUlhE_St5arrayIPcLm2EEEEviT0_T1_: ; @_ZN2at6native29vectorized_elementwise_kernelILi2EZZZNS0_17clamp_kernel_cudaERNS_18TensorIteratorBaseERKN3c106ScalarES7_ENKUlvE_clEvENKUlvE_clEvEUlhE_St5arrayIPcLm2EEEEviT0_T1_
; %bb.0:
	v_mov_b32_e32 v1, 0
	global_load_ushort v1, v1, s[0:1] offset:4
	s_load_dword s3, s[0:1], 0x0
	s_load_dwordx4 s[4:7], s[0:1], 0x8
	s_lshl_b32 s33, s2, 12
	s_mov_b64 s[0:1], -1
	s_waitcnt lgkmcnt(0)
	s_sub_i32 s38, s3, s33
	s_cmpk_gt_i32 s38, 0xfff
	s_waitcnt vmcnt(0)
	v_readfirstlane_b32 s39, v1
	s_cbranch_scc0 .LBB277_2
; %bb.1:
	s_and_b32 s0, 0xffff, s39
	s_lshr_b32 s2, s0, 8
	s_and_b32 s3, s39, 0xff
	s_ashr_i32 s8, s33, 31
	s_add_u32 s0, s6, s33
	s_addc_u32 s1, s7, s8
	v_lshlrev_b32_e32 v1, 1, v0
	global_load_ushort v2, v1, s[0:1]
	global_load_ushort v3, v1, s[0:1] offset:512
	global_load_ushort v4, v1, s[0:1] offset:1024
	;; [unrolled: 1-line block ×7, first 2 shown]
	s_add_u32 s0, s4, s33
	s_addc_u32 s1, s5, s8
	s_waitcnt vmcnt(7)
	v_max_u16_sdwa v10, v2, s3 dst_sel:DWORD dst_unused:UNUSED_PAD src0_sel:BYTE_0 src1_sel:DWORD
	v_max_u16_sdwa v2, v2, s3 dst_sel:DWORD dst_unused:UNUSED_PAD src0_sel:BYTE_1 src1_sel:DWORD
	s_waitcnt vmcnt(6)
	v_max_u16_sdwa v11, v3, s3 dst_sel:DWORD dst_unused:UNUSED_PAD src0_sel:BYTE_0 src1_sel:DWORD
	v_max_u16_sdwa v3, v3, s3 dst_sel:DWORD dst_unused:UNUSED_PAD src0_sel:BYTE_1 src1_sel:DWORD
	;; [unrolled: 3-line block ×8, first 2 shown]
	v_min_u16_e32 v10, s2, v10
	v_min_u16_sdwa v2, v2, s2 dst_sel:BYTE_1 dst_unused:UNUSED_PAD src0_sel:DWORD src1_sel:DWORD
	v_min_u16_e32 v11, s2, v11
	v_min_u16_sdwa v3, v3, s2 dst_sel:BYTE_1 dst_unused:UNUSED_PAD src0_sel:DWORD src1_sel:DWORD
	;; [unrolled: 2-line block ×8, first 2 shown]
	v_or_b32_e32 v2, v10, v2
	v_or_b32_e32 v9, v17, v9
	;; [unrolled: 1-line block ×8, first 2 shown]
	global_store_short v1, v2, s[0:1]
	global_store_short v1, v3, s[0:1] offset:512
	global_store_short v1, v4, s[0:1] offset:1024
	global_store_short v1, v5, s[0:1] offset:1536
	global_store_short v1, v6, s[0:1] offset:2048
	global_store_short v1, v7, s[0:1] offset:2560
	global_store_short v1, v8, s[0:1] offset:3072
	global_store_short v1, v9, s[0:1] offset:3584
	s_mov_b64 s[0:1], 0
.LBB277_2:
	s_andn2_b64 vcc, exec, s[0:1]
	s_cbranch_vccnz .LBB277_52
; %bb.3:
	v_cmp_gt_i32_e32 vcc, s38, v0
	v_or_b32_e32 v1, 0x100, v0
	v_mov_b32_e32 v20, 0
	v_mov_b32_e32 v7, s39
	v_or_b32_e32 v6, s33, v0
	v_mov_b32_e32 v19, 0
	v_mov_b32_e32 v18, 0
	;; [unrolled: 1-line block ×14, first 2 shown]
	s_and_saveexec_b64 s[2:3], vcc
	s_cbranch_execz .LBB277_35
; %bb.4:
	global_load_ubyte v8, v6, s[6:7]
	v_cmp_gt_u32_e64 s[0:1], s38, v1
	v_mov_b32_e32 v9, 0
	v_mov_b32_e32 v7, s39
	;; [unrolled: 1-line block ×15, first 2 shown]
	s_and_saveexec_b64 s[8:9], s[0:1]
	s_cbranch_execz .LBB277_34
; %bb.5:
	v_add_u32_e32 v2, s33, v0
	global_load_ubyte v9, v2, s[6:7] offset:256
	v_or_b32_e32 v4, 0x200, v0
	v_mov_b32_e32 v3, 0
	v_cmp_gt_u32_e64 s[0:1], s38, v4
	v_mov_b32_e32 v7, s39
	v_mov_b32_e32 v4, 0
	;; [unrolled: 1-line block ×13, first 2 shown]
	s_and_saveexec_b64 s[10:11], s[0:1]
	s_cbranch_execz .LBB277_33
; %bb.6:
	v_lshl_add_u64 v[4:5], s[6:7], 0, v[2:3]
	global_load_ubyte v2, v[4:5], off offset:512
	v_or_b32_e32 v7, 0x300, v0
	v_cmp_gt_u32_e64 s[0:1], s38, v7
	v_mov_b32_e32 v7, s39
	v_mov_b32_e32 v11, 0
	;; [unrolled: 1-line block ×12, first 2 shown]
	s_and_saveexec_b64 s[6:7], s[0:1]
	s_cbranch_execz .LBB277_32
; %bb.7:
	global_load_ubyte v3, v[4:5], off offset:768
	v_or_b32_e32 v7, 0x400, v0
	v_cmp_gt_u32_e64 s[0:1], s38, v7
	v_mov_b32_e32 v11, 0
	v_mov_b32_e32 v7, s39
	;; [unrolled: 1-line block ×12, first 2 shown]
	s_and_saveexec_b64 s[12:13], s[0:1]
	s_cbranch_execz .LBB277_31
; %bb.8:
	global_load_ubyte v11, v[4:5], off offset:1024
	v_or_b32_e32 v7, 0x500, v0
	v_cmp_gt_u32_e64 s[0:1], s38, v7
	v_mov_b32_e32 v10, 0
	v_mov_b32_e32 v7, s39
	v_mov_b32_e32 v12, 0
	v_mov_b32_e32 v13, 0
	v_mov_b32_e32 v14, 0
	v_mov_b32_e32 v15, 0
	v_mov_b32_e32 v16, 0
	v_mov_b32_e32 v17, 0
	v_mov_b32_e32 v18, 0
	v_mov_b32_e32 v19, 0
	v_mov_b32_e32 v20, 0
	s_and_saveexec_b64 s[14:15], s[0:1]
	s_cbranch_execz .LBB277_30
; %bb.9:
	global_load_ubyte v10, v[4:5], off offset:1280
	v_or_b32_e32 v7, 0x600, v0
	v_cmp_gt_u32_e64 s[0:1], s38, v7
	v_mov_b32_e32 v12, 0
	v_mov_b32_e32 v7, s39
	;; [unrolled: 1-line block ×10, first 2 shown]
	s_and_saveexec_b64 s[16:17], s[0:1]
	s_cbranch_execz .LBB277_29
; %bb.10:
	global_load_ubyte v12, v[4:5], off offset:1536
	v_or_b32_e32 v7, 0x700, v0
	v_cmp_gt_u32_e64 s[0:1], s38, v7
	v_mov_b32_e32 v13, 0
	v_mov_b32_e32 v7, s39
	;; [unrolled: 1-line block ×9, first 2 shown]
	s_and_saveexec_b64 s[18:19], s[0:1]
	s_cbranch_execz .LBB277_28
; %bb.11:
	global_load_ubyte v13, v[4:5], off offset:1792
	v_or_b32_e32 v7, 0x800, v0
	v_cmp_gt_u32_e64 s[0:1], s38, v7
	v_mov_b32_e32 v14, 0
	v_mov_b32_e32 v7, s39
	;; [unrolled: 1-line block ×8, first 2 shown]
	s_and_saveexec_b64 s[20:21], s[0:1]
	s_cbranch_execz .LBB277_27
; %bb.12:
	global_load_ubyte v14, v[4:5], off offset:2048
	v_or_b32_e32 v7, 0x900, v0
	v_cmp_gt_u32_e64 s[0:1], s38, v7
	v_mov_b32_e32 v15, 0
	v_mov_b32_e32 v7, s39
	;; [unrolled: 1-line block ×7, first 2 shown]
	s_and_saveexec_b64 s[22:23], s[0:1]
	s_cbranch_execz .LBB277_26
; %bb.13:
	global_load_ubyte v15, v[4:5], off offset:2304
	v_or_b32_e32 v7, 0xa00, v0
	v_cmp_gt_u32_e64 s[0:1], s38, v7
	v_mov_b32_e32 v16, 0
	v_mov_b32_e32 v7, s39
	;; [unrolled: 1-line block ×6, first 2 shown]
	s_and_saveexec_b64 s[24:25], s[0:1]
	s_cbranch_execz .LBB277_25
; %bb.14:
	global_load_ubyte v16, v[4:5], off offset:2560
	v_or_b32_e32 v7, 0xb00, v0
	v_cmp_gt_u32_e64 s[0:1], s38, v7
	v_mov_b32_e32 v17, 0
	v_mov_b32_e32 v7, s39
	v_mov_b32_e32 v18, 0
	v_mov_b32_e32 v19, 0
	v_mov_b32_e32 v20, 0
	s_and_saveexec_b64 s[26:27], s[0:1]
	s_cbranch_execz .LBB277_24
; %bb.15:
	global_load_ubyte v17, v[4:5], off offset:2816
	v_or_b32_e32 v7, 0xc00, v0
	v_cmp_gt_u32_e64 s[0:1], s38, v7
	v_mov_b32_e32 v18, 0
	v_mov_b32_e32 v7, s39
	;; [unrolled: 1-line block ×4, first 2 shown]
	s_and_saveexec_b64 s[28:29], s[0:1]
	s_cbranch_execz .LBB277_23
; %bb.16:
	global_load_ubyte v18, v[4:5], off offset:3072
	v_or_b32_e32 v7, 0xd00, v0
	v_cmp_gt_u32_e64 s[0:1], s38, v7
	v_mov_b32_e32 v19, 0
	v_mov_b32_e32 v7, s39
	;; [unrolled: 1-line block ×3, first 2 shown]
	s_and_saveexec_b64 s[30:31], s[0:1]
	s_cbranch_execz .LBB277_22
; %bb.17:
	global_load_ubyte v19, v[4:5], off offset:3328
	v_or_b32_e32 v7, 0xe00, v0
	v_cmp_gt_u32_e64 s[0:1], s38, v7
	v_mov_b32_e32 v20, 0
	v_mov_b32_e32 v7, s39
	s_and_saveexec_b64 s[34:35], s[0:1]
	s_cbranch_execz .LBB277_21
; %bb.18:
	global_load_ubyte v20, v[4:5], off offset:3584
	v_or_b32_e32 v7, 0xf00, v0
	v_cmp_gt_u32_e64 s[0:1], s38, v7
	v_mov_b32_e32 v7, s39
	s_and_saveexec_b64 s[36:37], s[0:1]
	s_cbranch_execz .LBB277_20
; %bb.19:
	global_load_ubyte v4, v[4:5], off offset:3840
	s_and_b32 s0, s39, 0xff
	s_waitcnt vmcnt(0)
	v_max_u16_e32 v7, s0, v4
.LBB277_20:
	s_or_b64 exec, exec, s[36:37]
.LBB277_21:
	s_or_b64 exec, exec, s[34:35]
.LBB277_22:
	s_or_b64 exec, exec, s[30:31]
.LBB277_23:
	s_or_b64 exec, exec, s[28:29]
.LBB277_24:
	s_or_b64 exec, exec, s[26:27]
.LBB277_25:
	s_or_b64 exec, exec, s[24:25]
.LBB277_26:
	s_or_b64 exec, exec, s[22:23]
.LBB277_27:
	s_or_b64 exec, exec, s[20:21]
.LBB277_28:
	s_or_b64 exec, exec, s[18:19]
.LBB277_29:
	s_or_b64 exec, exec, s[16:17]
.LBB277_30:
	s_or_b64 exec, exec, s[14:15]
.LBB277_31:
	s_or_b64 exec, exec, s[12:13]
.LBB277_32:
	s_or_b64 exec, exec, s[6:7]
	s_waitcnt vmcnt(0)
	v_mov_b32_e32 v4, v3
	v_mov_b32_e32 v3, v2
.LBB277_33:
	s_or_b64 exec, exec, s[10:11]
.LBB277_34:
	s_or_b64 exec, exec, s[8:9]
.LBB277_35:
	s_or_b64 exec, exec, s[2:3]
	s_and_b32 s0, 0xffff, s39
	s_and_b32 s7, s39, 0xff
	s_lshr_b32 s3, s0, 8
	s_waitcnt vmcnt(0)
	v_max_u16_sdwa v2, v8, s7 dst_sel:DWORD dst_unused:UNUSED_PAD src0_sel:BYTE_0 src1_sel:DWORD
	v_min_u16_e32 v2, s3, v2
	v_max_u16_sdwa v5, v9, s7 dst_sel:DWORD dst_unused:UNUSED_PAD src0_sel:BYTE_0 src1_sel:DWORD
	s_movk_i32 s6, 0xff
	v_cndmask_b32_e32 v2, 0, v2, vcc
	v_min_u16_sdwa v5, v5, s3 dst_sel:BYTE_1 dst_unused:UNUSED_PAD src0_sel:DWORD src1_sel:DWORD
	v_cmp_gt_i32_e64 s[0:1], s38, v1
	v_bitop3_b16 v5, v2, v5, s6 bitop3:0xec
	v_and_b32_e32 v5, 0xffff, v5
	v_max_u16_sdwa v3, v3, s7 dst_sel:DWORD dst_unused:UNUSED_PAD src0_sel:BYTE_0 src1_sel:DWORD
	v_cndmask_b32_e64 v2, v2, v5, s[0:1]
	v_or_b32_e32 v5, 0x200, v0
	v_min_u16_sdwa v3, v3, s3 dst_sel:WORD_1 dst_unused:UNUSED_PAD src0_sel:DWORD src1_sel:DWORD
	v_cmp_gt_i32_e64 s[0:1], s38, v5
	v_or_b32_e32 v3, v2, v3
	v_max_u16_sdwa v4, v4, s7 dst_sel:DWORD dst_unused:UNUSED_PAD src0_sel:BYTE_0 src1_sel:DWORD
	v_cndmask_b32_e64 v2, v2, v3, s[0:1]
	v_lshrrev_b32_e32 v3, 16, v2
	v_min_u16_sdwa v4, v4, s3 dst_sel:BYTE_1 dst_unused:UNUSED_PAD src0_sel:DWORD src1_sel:DWORD
	s_mov_b32 s2, 0xffff
	v_bitop3_b16 v3, v3, v4, s6 bitop3:0xec
	v_or_b32_e32 v5, 0x300, v0
	v_lshlrev_b32_e32 v3, 16, v3
	v_and_or_b32 v3, v2, s2, v3
	v_cmp_gt_i32_e64 s[0:1], s38, v5
	s_movk_i32 s8, 0xff00
	v_max_u16_sdwa v4, v10, s7 dst_sel:DWORD dst_unused:UNUSED_PAD src0_sel:BYTE_0 src1_sel:DWORD
	v_cndmask_b32_e64 v5, v2, v3, s[0:1]
	v_max_u16_sdwa v2, v11, s7 dst_sel:DWORD dst_unused:UNUSED_PAD src0_sel:BYTE_0 src1_sel:DWORD
	v_min_u16_e32 v2, s3, v2
	v_bitop3_b16 v2, v2, 0, s8 bitop3:0xf8
	v_or_b32_e32 v3, 0x400, v0
	v_and_b32_e32 v2, 0xffff, v2
	v_cmp_gt_i32_e64 s[0:1], s38, v3
	v_min_u16_sdwa v4, v4, s3 dst_sel:BYTE_1 dst_unused:UNUSED_PAD src0_sel:DWORD src1_sel:DWORD
	v_or_b32_e32 v3, 0x500, v0
	v_cndmask_b32_e64 v2, 0, v2, s[0:1]
	v_bitop3_b16 v4, v2, v4, s6 bitop3:0xec
	v_and_b32_e32 v4, 0xffff, v4
	v_cmp_gt_i32_e64 s[0:1], s38, v3
	v_max_u16_sdwa v8, v13, s7 dst_sel:DWORD dst_unused:UNUSED_PAD src0_sel:BYTE_0 src1_sel:DWORD
	v_min_u16_sdwa v8, v8, s3 dst_sel:BYTE_1 dst_unused:UNUSED_PAD src0_sel:DWORD src1_sel:DWORD
	v_cndmask_b32_e64 v2, v2, v4, s[0:1]
	v_max_u16_sdwa v4, v12, s7 dst_sel:DWORD dst_unused:UNUSED_PAD src0_sel:BYTE_0 src1_sel:DWORD
	v_lshrrev_b32_e32 v3, 16, v2
	v_min_u16_e32 v4, s3, v4
	v_bitop3_b16 v3, v4, v3, s8 bitop3:0xf8
	v_or_b32_e32 v4, 0x600, v0
	v_lshlrev_b32_e32 v3, 16, v3
	v_and_or_b32 v3, v2, s2, v3
	v_cmp_gt_i32_e64 s[0:1], s38, v4
	v_or_b32_e32 v4, 0x700, v0
	v_max_u16_sdwa v9, v17, s7 dst_sel:DWORD dst_unused:UNUSED_PAD src0_sel:BYTE_0 src1_sel:DWORD
	v_cndmask_b32_e64 v2, v2, v3, s[0:1]
	v_lshrrev_b32_e32 v3, 16, v2
	v_bitop3_b16 v3, v3, v8, s6 bitop3:0xec
	v_lshlrev_b32_e32 v3, 16, v3
	v_and_or_b32 v3, v2, s2, v3
	v_cmp_gt_i32_e64 s[0:1], s38, v4
	v_max_u16_sdwa v8, v15, s7 dst_sel:DWORD dst_unused:UNUSED_PAD src0_sel:BYTE_0 src1_sel:DWORD
	v_min_u16_sdwa v8, v8, s3 dst_sel:BYTE_1 dst_unused:UNUSED_PAD src0_sel:DWORD src1_sel:DWORD
	v_cndmask_b32_e64 v4, v2, v3, s[0:1]
	v_or_b32_e32 v2, 0x800, v0
	v_max_u16_sdwa v3, v14, s7 dst_sel:DWORD dst_unused:UNUSED_PAD src0_sel:BYTE_0 src1_sel:DWORD
	v_min_u16_e32 v3, s3, v3
	v_cmp_gt_i32_e64 s[0:1], s38, v2
	v_min_u16_sdwa v9, v9, s3 dst_sel:BYTE_1 dst_unused:UNUSED_PAD src0_sel:DWORD src1_sel:DWORD
	v_min_u16_sdwa v7, v7, s3 dst_sel:BYTE_1 dst_unused:UNUSED_PAD src0_sel:BYTE_0 src1_sel:DWORD
	v_cndmask_b32_e64 v2, 0, v3, s[0:1]
	v_or_b32_e32 v3, 0x900, v0
	v_bitop3_b16 v8, v2, v8, s6 bitop3:0xec
	v_and_b32_e32 v8, 0xffff, v8
	v_cmp_gt_i32_e64 s[0:1], s38, v3
	v_or_b32_e32 v3, 0xa00, v0
	s_nop 0
	v_cndmask_b32_e64 v2, v2, v8, s[0:1]
	v_max_u16_sdwa v8, v16, s7 dst_sel:DWORD dst_unused:UNUSED_PAD src0_sel:BYTE_0 src1_sel:DWORD
	v_min_u16_sdwa v8, v8, s3 dst_sel:WORD_1 dst_unused:UNUSED_PAD src0_sel:DWORD src1_sel:DWORD
	v_cmp_gt_i32_e64 s[0:1], s38, v3
	v_or_b32_e32 v8, v2, v8
	s_nop 0
	v_cndmask_b32_e64 v2, v2, v8, s[0:1]
	v_lshrrev_b32_e32 v3, 16, v2
	v_bitop3_b16 v3, v3, v9, s6 bitop3:0xec
	v_or_b32_e32 v8, 0xb00, v0
	v_lshlrev_b32_e32 v3, 16, v3
	v_and_or_b32 v3, v2, s2, v3
	v_cmp_gt_i32_e64 s[0:1], s38, v8
	v_max_u16_sdwa v8, v18, s7 dst_sel:DWORD dst_unused:UNUSED_PAD src0_sel:BYTE_0 src1_sel:DWORD
	v_min_u16_e32 v8, s3, v8
	v_cndmask_b32_e64 v3, v2, v3, s[0:1]
	v_or_b32_e32 v2, 0xc00, v0
	v_cmp_gt_i32_e64 s[0:1], s38, v2
	v_max_u16_sdwa v9, v19, s7 dst_sel:DWORD dst_unused:UNUSED_PAD src0_sel:BYTE_0 src1_sel:DWORD
	v_min_u16_sdwa v9, v9, s3 dst_sel:BYTE_1 dst_unused:UNUSED_PAD src0_sel:DWORD src1_sel:DWORD
	v_cndmask_b32_e64 v2, 0, v8, s[0:1]
	v_or_b32_e32 v8, 0xd00, v0
	v_bitop3_b16 v9, v2, v9, s6 bitop3:0xec
	v_and_b32_e32 v9, 0xffff, v9
	v_cmp_gt_i32_e64 s[0:1], s38, v8
	s_nop 1
	v_cndmask_b32_e64 v2, v2, v9, s[0:1]
	v_max_u16_sdwa v9, v20, s7 dst_sel:DWORD dst_unused:UNUSED_PAD src0_sel:BYTE_0 src1_sel:DWORD
	v_lshrrev_b32_e32 v8, 16, v2
	v_min_u16_e32 v9, s3, v9
	v_bitop3_b16 v8, v9, v8, s8 bitop3:0xf8
	v_or_b32_e32 v9, 0xe00, v0
	v_lshlrev_b32_e32 v8, 16, v8
	v_and_or_b32 v8, v2, s2, v8
	v_cmp_gt_i32_e64 s[0:1], s38, v9
	v_or_b32_e32 v9, 0xf00, v0
	s_nop 0
	v_cndmask_b32_e64 v2, v2, v8, s[0:1]
	v_lshrrev_b32_e32 v8, 16, v2
	v_bitop3_b16 v7, v8, v7, s6 bitop3:0xec
	v_lshlrev_b32_e32 v7, 16, v7
	v_and_or_b32 v7, v2, s2, v7
	v_cmp_gt_i32_e64 s[0:1], s38, v9
	s_nop 1
	v_cndmask_b32_e64 v2, v2, v7, s[0:1]
	s_and_saveexec_b64 s[0:1], vcc
	s_cbranch_execnz .LBB277_53
; %bb.36:
	s_or_b64 exec, exec, s[0:1]
	v_cmp_gt_i32_e32 vcc, s38, v0
	s_and_saveexec_b64 s[0:1], vcc
	s_cbranch_execnz .LBB277_54
.LBB277_37:
	s_or_b64 exec, exec, s[0:1]
	v_cmp_gt_i32_e32 vcc, s38, v0
	s_and_saveexec_b64 s[0:1], vcc
	s_cbranch_execnz .LBB277_55
.LBB277_38:
	s_or_b64 exec, exec, s[0:1]
	v_cmp_gt_i32_e32 vcc, s38, v0
	s_and_saveexec_b64 s[0:1], vcc
	s_cbranch_execnz .LBB277_56
.LBB277_39:
	s_or_b64 exec, exec, s[0:1]
	v_cmp_gt_i32_e32 vcc, s38, v0
	s_and_saveexec_b64 s[0:1], vcc
	s_cbranch_execnz .LBB277_57
.LBB277_40:
	s_or_b64 exec, exec, s[0:1]
	v_cmp_gt_i32_e32 vcc, s38, v0
	s_and_saveexec_b64 s[0:1], vcc
	s_cbranch_execnz .LBB277_58
.LBB277_41:
	s_or_b64 exec, exec, s[0:1]
	v_cmp_gt_i32_e32 vcc, s38, v0
	s_and_saveexec_b64 s[0:1], vcc
	s_cbranch_execnz .LBB277_59
.LBB277_42:
	s_or_b64 exec, exec, s[0:1]
	v_cmp_gt_i32_e32 vcc, s38, v0
	s_and_saveexec_b64 s[0:1], vcc
	s_cbranch_execnz .LBB277_60
.LBB277_43:
	s_or_b64 exec, exec, s[0:1]
	v_cmp_gt_i32_e32 vcc, s38, v0
	s_and_saveexec_b64 s[0:1], vcc
	s_cbranch_execnz .LBB277_61
.LBB277_44:
	s_or_b64 exec, exec, s[0:1]
	v_cmp_gt_i32_e32 vcc, s38, v0
	s_and_saveexec_b64 s[0:1], vcc
	s_cbranch_execnz .LBB277_62
.LBB277_45:
	s_or_b64 exec, exec, s[0:1]
	v_cmp_gt_i32_e32 vcc, s38, v0
	s_and_saveexec_b64 s[0:1], vcc
	s_cbranch_execnz .LBB277_63
.LBB277_46:
	s_or_b64 exec, exec, s[0:1]
	v_cmp_gt_i32_e32 vcc, s38, v0
	s_and_saveexec_b64 s[0:1], vcc
	s_cbranch_execnz .LBB277_64
.LBB277_47:
	s_or_b64 exec, exec, s[0:1]
	v_cmp_gt_i32_e32 vcc, s38, v0
	s_and_saveexec_b64 s[0:1], vcc
	s_cbranch_execnz .LBB277_65
.LBB277_48:
	s_or_b64 exec, exec, s[0:1]
	v_cmp_gt_i32_e32 vcc, s38, v0
	s_and_saveexec_b64 s[0:1], vcc
	s_cbranch_execnz .LBB277_66
.LBB277_49:
	s_or_b64 exec, exec, s[0:1]
	v_cmp_gt_i32_e32 vcc, s38, v0
	s_and_saveexec_b64 s[0:1], vcc
	s_cbranch_execnz .LBB277_67
.LBB277_50:
	s_or_b64 exec, exec, s[0:1]
	v_cmp_gt_i32_e32 vcc, s38, v0
	s_and_saveexec_b64 s[0:1], vcc
	s_cbranch_execz .LBB277_52
.LBB277_51:
	v_lshrrev_b32_e32 v1, 24, v2
	v_add_u32_e32 v0, s33, v0
	global_store_byte v0, v1, s[4:5]
.LBB277_52:
	s_endpgm
.LBB277_53:
	v_mov_b32_e32 v0, v1
	global_store_byte v6, v5, s[4:5]
	s_or_b64 exec, exec, s[0:1]
	v_cmp_gt_i32_e32 vcc, s38, v0
	s_and_saveexec_b64 s[0:1], vcc
	s_cbranch_execz .LBB277_37
.LBB277_54:
	v_lshrrev_b32_e32 v1, 8, v5
	v_add_u32_e32 v6, s33, v0
	v_add_u32_e32 v0, 0x100, v0
	global_store_byte v6, v1, s[4:5]
	s_or_b64 exec, exec, s[0:1]
	v_cmp_gt_i32_e32 vcc, s38, v0
	s_and_saveexec_b64 s[0:1], vcc
	s_cbranch_execz .LBB277_38
.LBB277_55:
	v_add_u32_e32 v1, s33, v0
	v_add_u32_e32 v0, 0x100, v0
	global_store_byte_d16_hi v1, v5, s[4:5]
	s_or_b64 exec, exec, s[0:1]
	v_cmp_gt_i32_e32 vcc, s38, v0
	s_and_saveexec_b64 s[0:1], vcc
	s_cbranch_execz .LBB277_39
.LBB277_56:
	v_lshrrev_b32_e32 v1, 24, v5
	v_add_u32_e32 v5, s33, v0
	v_add_u32_e32 v0, 0x100, v0
	global_store_byte v5, v1, s[4:5]
	s_or_b64 exec, exec, s[0:1]
	v_cmp_gt_i32_e32 vcc, s38, v0
	s_and_saveexec_b64 s[0:1], vcc
	s_cbranch_execz .LBB277_40
.LBB277_57:
	v_add_u32_e32 v1, s33, v0
	v_add_u32_e32 v0, 0x100, v0
	global_store_byte v1, v4, s[4:5]
	s_or_b64 exec, exec, s[0:1]
	v_cmp_gt_i32_e32 vcc, s38, v0
	s_and_saveexec_b64 s[0:1], vcc
	s_cbranch_execz .LBB277_41
.LBB277_58:
	v_lshrrev_b32_e32 v1, 8, v4
	v_add_u32_e32 v5, s33, v0
	v_add_u32_e32 v0, 0x100, v0
	global_store_byte v5, v1, s[4:5]
	s_or_b64 exec, exec, s[0:1]
	v_cmp_gt_i32_e32 vcc, s38, v0
	s_and_saveexec_b64 s[0:1], vcc
	s_cbranch_execz .LBB277_42
.LBB277_59:
	v_add_u32_e32 v1, s33, v0
	v_add_u32_e32 v0, 0x100, v0
	global_store_byte_d16_hi v1, v4, s[4:5]
	s_or_b64 exec, exec, s[0:1]
	v_cmp_gt_i32_e32 vcc, s38, v0
	s_and_saveexec_b64 s[0:1], vcc
	s_cbranch_execz .LBB277_43
.LBB277_60:
	v_lshrrev_b32_e32 v1, 24, v4
	v_add_u32_e32 v4, s33, v0
	v_add_u32_e32 v0, 0x100, v0
	global_store_byte v4, v1, s[4:5]
	s_or_b64 exec, exec, s[0:1]
	v_cmp_gt_i32_e32 vcc, s38, v0
	s_and_saveexec_b64 s[0:1], vcc
	s_cbranch_execz .LBB277_44
.LBB277_61:
	v_add_u32_e32 v1, s33, v0
	v_add_u32_e32 v0, 0x100, v0
	global_store_byte v1, v3, s[4:5]
	s_or_b64 exec, exec, s[0:1]
	v_cmp_gt_i32_e32 vcc, s38, v0
	s_and_saveexec_b64 s[0:1], vcc
	s_cbranch_execz .LBB277_45
.LBB277_62:
	v_lshrrev_b32_e32 v1, 8, v3
	v_add_u32_e32 v4, s33, v0
	v_add_u32_e32 v0, 0x100, v0
	global_store_byte v4, v1, s[4:5]
	s_or_b64 exec, exec, s[0:1]
	v_cmp_gt_i32_e32 vcc, s38, v0
	s_and_saveexec_b64 s[0:1], vcc
	s_cbranch_execz .LBB277_46
.LBB277_63:
	v_add_u32_e32 v1, s33, v0
	v_add_u32_e32 v0, 0x100, v0
	global_store_byte_d16_hi v1, v3, s[4:5]
	s_or_b64 exec, exec, s[0:1]
	v_cmp_gt_i32_e32 vcc, s38, v0
	s_and_saveexec_b64 s[0:1], vcc
	s_cbranch_execz .LBB277_47
.LBB277_64:
	v_lshrrev_b32_e32 v1, 24, v3
	v_add_u32_e32 v3, s33, v0
	v_add_u32_e32 v0, 0x100, v0
	global_store_byte v3, v1, s[4:5]
	s_or_b64 exec, exec, s[0:1]
	v_cmp_gt_i32_e32 vcc, s38, v0
	s_and_saveexec_b64 s[0:1], vcc
	s_cbranch_execz .LBB277_48
.LBB277_65:
	v_add_u32_e32 v1, s33, v0
	v_add_u32_e32 v0, 0x100, v0
	global_store_byte v1, v2, s[4:5]
	s_or_b64 exec, exec, s[0:1]
	v_cmp_gt_i32_e32 vcc, s38, v0
	s_and_saveexec_b64 s[0:1], vcc
	s_cbranch_execz .LBB277_49
.LBB277_66:
	v_lshrrev_b32_e32 v1, 8, v2
	v_add_u32_e32 v3, s33, v0
	v_add_u32_e32 v0, 0x100, v0
	global_store_byte v3, v1, s[4:5]
	s_or_b64 exec, exec, s[0:1]
	v_cmp_gt_i32_e32 vcc, s38, v0
	s_and_saveexec_b64 s[0:1], vcc
	s_cbranch_execz .LBB277_50
.LBB277_67:
	v_add_u32_e32 v1, s33, v0
	v_add_u32_e32 v0, 0x100, v0
	global_store_byte_d16_hi v1, v2, s[4:5]
	s_or_b64 exec, exec, s[0:1]
	v_cmp_gt_i32_e32 vcc, s38, v0
	s_and_saveexec_b64 s[0:1], vcc
	s_cbranch_execnz .LBB277_51
	s_branch .LBB277_52
	.section	.rodata,"a",@progbits
	.p2align	6, 0x0
	.amdhsa_kernel _ZN2at6native29vectorized_elementwise_kernelILi2EZZZNS0_17clamp_kernel_cudaERNS_18TensorIteratorBaseERKN3c106ScalarES7_ENKUlvE_clEvENKUlvE_clEvEUlhE_St5arrayIPcLm2EEEEviT0_T1_
		.amdhsa_group_segment_fixed_size 0
		.amdhsa_private_segment_fixed_size 0
		.amdhsa_kernarg_size 24
		.amdhsa_user_sgpr_count 2
		.amdhsa_user_sgpr_dispatch_ptr 0
		.amdhsa_user_sgpr_queue_ptr 0
		.amdhsa_user_sgpr_kernarg_segment_ptr 1
		.amdhsa_user_sgpr_dispatch_id 0
		.amdhsa_user_sgpr_kernarg_preload_length 0
		.amdhsa_user_sgpr_kernarg_preload_offset 0
		.amdhsa_user_sgpr_private_segment_size 0
		.amdhsa_uses_dynamic_stack 0
		.amdhsa_enable_private_segment 0
		.amdhsa_system_sgpr_workgroup_id_x 1
		.amdhsa_system_sgpr_workgroup_id_y 0
		.amdhsa_system_sgpr_workgroup_id_z 0
		.amdhsa_system_sgpr_workgroup_info 0
		.amdhsa_system_vgpr_workitem_id 0
		.amdhsa_next_free_vgpr 21
		.amdhsa_next_free_sgpr 40
		.amdhsa_accum_offset 24
		.amdhsa_reserve_vcc 1
		.amdhsa_float_round_mode_32 0
		.amdhsa_float_round_mode_16_64 0
		.amdhsa_float_denorm_mode_32 3
		.amdhsa_float_denorm_mode_16_64 3
		.amdhsa_dx10_clamp 1
		.amdhsa_ieee_mode 1
		.amdhsa_fp16_overflow 0
		.amdhsa_tg_split 0
		.amdhsa_exception_fp_ieee_invalid_op 0
		.amdhsa_exception_fp_denorm_src 0
		.amdhsa_exception_fp_ieee_div_zero 0
		.amdhsa_exception_fp_ieee_overflow 0
		.amdhsa_exception_fp_ieee_underflow 0
		.amdhsa_exception_fp_ieee_inexact 0
		.amdhsa_exception_int_div_zero 0
	.end_amdhsa_kernel
	.section	.text._ZN2at6native29vectorized_elementwise_kernelILi2EZZZNS0_17clamp_kernel_cudaERNS_18TensorIteratorBaseERKN3c106ScalarES7_ENKUlvE_clEvENKUlvE_clEvEUlhE_St5arrayIPcLm2EEEEviT0_T1_,"axG",@progbits,_ZN2at6native29vectorized_elementwise_kernelILi2EZZZNS0_17clamp_kernel_cudaERNS_18TensorIteratorBaseERKN3c106ScalarES7_ENKUlvE_clEvENKUlvE_clEvEUlhE_St5arrayIPcLm2EEEEviT0_T1_,comdat
.Lfunc_end277:
	.size	_ZN2at6native29vectorized_elementwise_kernelILi2EZZZNS0_17clamp_kernel_cudaERNS_18TensorIteratorBaseERKN3c106ScalarES7_ENKUlvE_clEvENKUlvE_clEvEUlhE_St5arrayIPcLm2EEEEviT0_T1_, .Lfunc_end277-_ZN2at6native29vectorized_elementwise_kernelILi2EZZZNS0_17clamp_kernel_cudaERNS_18TensorIteratorBaseERKN3c106ScalarES7_ENKUlvE_clEvENKUlvE_clEvEUlhE_St5arrayIPcLm2EEEEviT0_T1_
                                        ; -- End function
	.set _ZN2at6native29vectorized_elementwise_kernelILi2EZZZNS0_17clamp_kernel_cudaERNS_18TensorIteratorBaseERKN3c106ScalarES7_ENKUlvE_clEvENKUlvE_clEvEUlhE_St5arrayIPcLm2EEEEviT0_T1_.num_vgpr, 21
	.set _ZN2at6native29vectorized_elementwise_kernelILi2EZZZNS0_17clamp_kernel_cudaERNS_18TensorIteratorBaseERKN3c106ScalarES7_ENKUlvE_clEvENKUlvE_clEvEUlhE_St5arrayIPcLm2EEEEviT0_T1_.num_agpr, 0
	.set _ZN2at6native29vectorized_elementwise_kernelILi2EZZZNS0_17clamp_kernel_cudaERNS_18TensorIteratorBaseERKN3c106ScalarES7_ENKUlvE_clEvENKUlvE_clEvEUlhE_St5arrayIPcLm2EEEEviT0_T1_.numbered_sgpr, 40
	.set _ZN2at6native29vectorized_elementwise_kernelILi2EZZZNS0_17clamp_kernel_cudaERNS_18TensorIteratorBaseERKN3c106ScalarES7_ENKUlvE_clEvENKUlvE_clEvEUlhE_St5arrayIPcLm2EEEEviT0_T1_.num_named_barrier, 0
	.set _ZN2at6native29vectorized_elementwise_kernelILi2EZZZNS0_17clamp_kernel_cudaERNS_18TensorIteratorBaseERKN3c106ScalarES7_ENKUlvE_clEvENKUlvE_clEvEUlhE_St5arrayIPcLm2EEEEviT0_T1_.private_seg_size, 0
	.set _ZN2at6native29vectorized_elementwise_kernelILi2EZZZNS0_17clamp_kernel_cudaERNS_18TensorIteratorBaseERKN3c106ScalarES7_ENKUlvE_clEvENKUlvE_clEvEUlhE_St5arrayIPcLm2EEEEviT0_T1_.uses_vcc, 1
	.set _ZN2at6native29vectorized_elementwise_kernelILi2EZZZNS0_17clamp_kernel_cudaERNS_18TensorIteratorBaseERKN3c106ScalarES7_ENKUlvE_clEvENKUlvE_clEvEUlhE_St5arrayIPcLm2EEEEviT0_T1_.uses_flat_scratch, 0
	.set _ZN2at6native29vectorized_elementwise_kernelILi2EZZZNS0_17clamp_kernel_cudaERNS_18TensorIteratorBaseERKN3c106ScalarES7_ENKUlvE_clEvENKUlvE_clEvEUlhE_St5arrayIPcLm2EEEEviT0_T1_.has_dyn_sized_stack, 0
	.set _ZN2at6native29vectorized_elementwise_kernelILi2EZZZNS0_17clamp_kernel_cudaERNS_18TensorIteratorBaseERKN3c106ScalarES7_ENKUlvE_clEvENKUlvE_clEvEUlhE_St5arrayIPcLm2EEEEviT0_T1_.has_recursion, 0
	.set _ZN2at6native29vectorized_elementwise_kernelILi2EZZZNS0_17clamp_kernel_cudaERNS_18TensorIteratorBaseERKN3c106ScalarES7_ENKUlvE_clEvENKUlvE_clEvEUlhE_St5arrayIPcLm2EEEEviT0_T1_.has_indirect_call, 0
	.section	.AMDGPU.csdata,"",@progbits
; Kernel info:
; codeLenInByte = 3384
; TotalNumSgprs: 46
; NumVgprs: 21
; NumAgprs: 0
; TotalNumVgprs: 21
; ScratchSize: 0
; MemoryBound: 0
; FloatMode: 240
; IeeeMode: 1
; LDSByteSize: 0 bytes/workgroup (compile time only)
; SGPRBlocks: 5
; VGPRBlocks: 2
; NumSGPRsForWavesPerEU: 46
; NumVGPRsForWavesPerEU: 21
; AccumOffset: 24
; Occupancy: 8
; WaveLimiterHint : 1
; COMPUTE_PGM_RSRC2:SCRATCH_EN: 0
; COMPUTE_PGM_RSRC2:USER_SGPR: 2
; COMPUTE_PGM_RSRC2:TRAP_HANDLER: 0
; COMPUTE_PGM_RSRC2:TGID_X_EN: 1
; COMPUTE_PGM_RSRC2:TGID_Y_EN: 0
; COMPUTE_PGM_RSRC2:TGID_Z_EN: 0
; COMPUTE_PGM_RSRC2:TIDIG_COMP_CNT: 0
; COMPUTE_PGM_RSRC3_GFX90A:ACCUM_OFFSET: 5
; COMPUTE_PGM_RSRC3_GFX90A:TG_SPLIT: 0
	.section	.text._ZN2at6native27unrolled_elementwise_kernelIZZZNS0_17clamp_kernel_cudaERNS_18TensorIteratorBaseERKN3c106ScalarES7_ENKUlvE_clEvENKUlvE_clEvEUlhE_St5arrayIPcLm2EELi4E23TrivialOffsetCalculatorILi1EjESF_NS0_6memory15LoadWithoutCastENSG_16StoreWithoutCastEEEviT_T0_T2_T3_T4_T5_,"axG",@progbits,_ZN2at6native27unrolled_elementwise_kernelIZZZNS0_17clamp_kernel_cudaERNS_18TensorIteratorBaseERKN3c106ScalarES7_ENKUlvE_clEvENKUlvE_clEvEUlhE_St5arrayIPcLm2EELi4E23TrivialOffsetCalculatorILi1EjESF_NS0_6memory15LoadWithoutCastENSG_16StoreWithoutCastEEEviT_T0_T2_T3_T4_T5_,comdat
	.globl	_ZN2at6native27unrolled_elementwise_kernelIZZZNS0_17clamp_kernel_cudaERNS_18TensorIteratorBaseERKN3c106ScalarES7_ENKUlvE_clEvENKUlvE_clEvEUlhE_St5arrayIPcLm2EELi4E23TrivialOffsetCalculatorILi1EjESF_NS0_6memory15LoadWithoutCastENSG_16StoreWithoutCastEEEviT_T0_T2_T3_T4_T5_ ; -- Begin function _ZN2at6native27unrolled_elementwise_kernelIZZZNS0_17clamp_kernel_cudaERNS_18TensorIteratorBaseERKN3c106ScalarES7_ENKUlvE_clEvENKUlvE_clEvEUlhE_St5arrayIPcLm2EELi4E23TrivialOffsetCalculatorILi1EjESF_NS0_6memory15LoadWithoutCastENSG_16StoreWithoutCastEEEviT_T0_T2_T3_T4_T5_
	.p2align	8
	.type	_ZN2at6native27unrolled_elementwise_kernelIZZZNS0_17clamp_kernel_cudaERNS_18TensorIteratorBaseERKN3c106ScalarES7_ENKUlvE_clEvENKUlvE_clEvEUlhE_St5arrayIPcLm2EELi4E23TrivialOffsetCalculatorILi1EjESF_NS0_6memory15LoadWithoutCastENSG_16StoreWithoutCastEEEviT_T0_T2_T3_T4_T5_,@function
_ZN2at6native27unrolled_elementwise_kernelIZZZNS0_17clamp_kernel_cudaERNS_18TensorIteratorBaseERKN3c106ScalarES7_ENKUlvE_clEvENKUlvE_clEvEUlhE_St5arrayIPcLm2EELi4E23TrivialOffsetCalculatorILi1EjESF_NS0_6memory15LoadWithoutCastENSG_16StoreWithoutCastEEEviT_T0_T2_T3_T4_T5_: ; @_ZN2at6native27unrolled_elementwise_kernelIZZZNS0_17clamp_kernel_cudaERNS_18TensorIteratorBaseERKN3c106ScalarES7_ENKUlvE_clEvENKUlvE_clEvEUlhE_St5arrayIPcLm2EELi4E23TrivialOffsetCalculatorILi1EjESF_NS0_6memory15LoadWithoutCastENSG_16StoreWithoutCastEEEviT_T0_T2_T3_T4_T5_
; %bb.0:
	v_mov_b32_e32 v3, 0
	global_load_ushort v4, v3, s[0:1] offset:4
	s_load_dword s3, s[0:1], 0x0
	s_load_dwordx4 s[4:7], s[0:1], 0x8
	s_lshl_b32 s14, s2, 10
	v_mov_b32_e32 v5, 0
	v_or_b32_e32 v1, 0x100, v0
	s_waitcnt lgkmcnt(0)
	s_sub_i32 s15, s3, s14
	v_or_b32_e32 v2, s14, v0
	v_cmp_gt_i32_e32 vcc, s15, v0
	v_mov_b32_e32 v6, 0
	s_waitcnt vmcnt(0)
	v_readfirstlane_b32 s16, v4
	s_and_saveexec_b64 s[2:3], vcc
	s_cbranch_execz .LBB278_8
; %bb.1:
	global_load_ubyte v6, v2, s[6:7]
	v_cmp_gt_u32_e64 s[0:1], s15, v1
	v_mov_b32_e32 v5, 0
	v_mov_b32_e32 v4, s16
	;; [unrolled: 1-line block ×3, first 2 shown]
	s_and_saveexec_b64 s[8:9], s[0:1]
	s_cbranch_execz .LBB278_7
; %bb.2:
	v_add_u32_e32 v3, s14, v1
	global_load_ubyte v5, v3, s[6:7]
	v_or_b32_e32 v7, 0x200, v0
	v_cmp_gt_u32_e64 s[0:1], s15, v7
	v_mov_b32_e32 v3, 0
	v_mov_b32_e32 v4, s16
	s_and_saveexec_b64 s[10:11], s[0:1]
	s_cbranch_execz .LBB278_6
; %bb.3:
	v_add_u32_e32 v3, s14, v7
	global_load_ubyte v3, v3, s[6:7]
	v_or_b32_e32 v7, 0x300, v0
	v_cmp_gt_u32_e64 s[0:1], s15, v7
	v_mov_b32_e32 v4, s16
	s_and_saveexec_b64 s[12:13], s[0:1]
	s_cbranch_execz .LBB278_5
; %bb.4:
	v_add_u32_e32 v4, s14, v7
	global_load_ubyte v4, v4, s[6:7]
	s_and_b32 s0, s16, 0xff
	s_waitcnt vmcnt(0)
	v_max_u16_e32 v4, s0, v4
.LBB278_5:
	s_or_b64 exec, exec, s[12:13]
.LBB278_6:
	s_or_b64 exec, exec, s[10:11]
.LBB278_7:
	s_or_b64 exec, exec, s[8:9]
.LBB278_8:
	s_or_b64 exec, exec, s[2:3]
	s_and_b32 s0, 0xffff, s16
	s_and_b32 s7, s16, 0xff
	s_lshr_b32 s3, s0, 8
	s_waitcnt vmcnt(0)
	v_max_u16_sdwa v6, v6, s7 dst_sel:DWORD dst_unused:UNUSED_PAD src0_sel:BYTE_0 src1_sel:DWORD
	v_min_u16_e32 v6, s3, v6
	v_max_u16_sdwa v5, v5, s7 dst_sel:DWORD dst_unused:UNUSED_PAD src0_sel:BYTE_0 src1_sel:DWORD
	v_cndmask_b32_e32 v6, 0, v6, vcc
	v_min_u16_sdwa v5, v5, s3 dst_sel:BYTE_1 dst_unused:UNUSED_PAD src0_sel:DWORD src1_sel:DWORD
	v_cmp_gt_i32_e64 s[0:1], s15, v1
	v_or_b32_e32 v5, v6, v5
	v_and_b32_e32 v5, 0xffff, v5
	v_max_u16_sdwa v3, v3, s7 dst_sel:DWORD dst_unused:UNUSED_PAD src0_sel:BYTE_0 src1_sel:DWORD
	v_cndmask_b32_e64 v5, v6, v5, s[0:1]
	v_or_b32_e32 v6, 0x200, v0
	v_min_u16_sdwa v3, v3, s3 dst_sel:WORD_1 dst_unused:UNUSED_PAD src0_sel:DWORD src1_sel:DWORD
	v_cmp_gt_i32_e64 s[0:1], s15, v6
	v_or_b32_e32 v3, v5, v3
	s_movk_i32 s6, 0xff
	v_cndmask_b32_e64 v3, v5, v3, s[0:1]
	v_lshrrev_b32_e32 v5, 16, v3
	v_min_u16_sdwa v4, v4, s3 dst_sel:BYTE_1 dst_unused:UNUSED_PAD src0_sel:BYTE_0 src1_sel:DWORD
	s_mov_b32 s2, 0xffff
	v_bitop3_b16 v4, v5, v4, s6 bitop3:0xec
	v_or_b32_e32 v6, 0x300, v0
	v_lshlrev_b32_e32 v4, 16, v4
	v_and_or_b32 v4, v3, s2, v4
	v_cmp_gt_i32_e64 s[0:1], s15, v6
	s_nop 1
	v_cndmask_b32_e64 v3, v3, v4, s[0:1]
	s_and_saveexec_b64 s[0:1], vcc
	s_cbranch_execnz .LBB278_13
; %bb.9:
	s_or_b64 exec, exec, s[0:1]
	v_cmp_gt_i32_e32 vcc, s15, v0
	s_and_saveexec_b64 s[0:1], vcc
	s_cbranch_execnz .LBB278_14
.LBB278_10:
	s_or_b64 exec, exec, s[0:1]
	v_cmp_gt_i32_e32 vcc, s15, v0
	s_and_saveexec_b64 s[0:1], vcc
	s_cbranch_execnz .LBB278_15
.LBB278_11:
	s_or_b64 exec, exec, s[0:1]
	v_cmp_gt_i32_e32 vcc, s15, v0
	s_and_saveexec_b64 s[0:1], vcc
	s_cbranch_execnz .LBB278_16
.LBB278_12:
	s_endpgm
.LBB278_13:
	v_mov_b32_e32 v0, v1
	global_store_byte v2, v3, s[4:5]
	s_or_b64 exec, exec, s[0:1]
	v_cmp_gt_i32_e32 vcc, s15, v0
	s_and_saveexec_b64 s[0:1], vcc
	s_cbranch_execz .LBB278_10
.LBB278_14:
	v_add_u32_e32 v1, 0x100, v0
	v_add_u32_e32 v0, s14, v0
	v_lshrrev_b32_e32 v2, 8, v3
	global_store_byte v0, v2, s[4:5]
	v_mov_b32_e32 v0, v1
	s_or_b64 exec, exec, s[0:1]
	v_cmp_gt_i32_e32 vcc, s15, v0
	s_and_saveexec_b64 s[0:1], vcc
	s_cbranch_execz .LBB278_11
.LBB278_15:
	v_add_u32_e32 v1, 0x100, v0
	v_add_u32_e32 v0, s14, v0
	global_store_byte_d16_hi v0, v3, s[4:5]
	v_mov_b32_e32 v0, v1
	s_or_b64 exec, exec, s[0:1]
	v_cmp_gt_i32_e32 vcc, s15, v0
	s_and_saveexec_b64 s[0:1], vcc
	s_cbranch_execz .LBB278_12
.LBB278_16:
	v_add_u32_e32 v0, s14, v0
	v_lshrrev_b32_e32 v1, 24, v3
	global_store_byte v0, v1, s[4:5]
	s_endpgm
	.section	.rodata,"a",@progbits
	.p2align	6, 0x0
	.amdhsa_kernel _ZN2at6native27unrolled_elementwise_kernelIZZZNS0_17clamp_kernel_cudaERNS_18TensorIteratorBaseERKN3c106ScalarES7_ENKUlvE_clEvENKUlvE_clEvEUlhE_St5arrayIPcLm2EELi4E23TrivialOffsetCalculatorILi1EjESF_NS0_6memory15LoadWithoutCastENSG_16StoreWithoutCastEEEviT_T0_T2_T3_T4_T5_
		.amdhsa_group_segment_fixed_size 0
		.amdhsa_private_segment_fixed_size 0
		.amdhsa_kernarg_size 28
		.amdhsa_user_sgpr_count 2
		.amdhsa_user_sgpr_dispatch_ptr 0
		.amdhsa_user_sgpr_queue_ptr 0
		.amdhsa_user_sgpr_kernarg_segment_ptr 1
		.amdhsa_user_sgpr_dispatch_id 0
		.amdhsa_user_sgpr_kernarg_preload_length 0
		.amdhsa_user_sgpr_kernarg_preload_offset 0
		.amdhsa_user_sgpr_private_segment_size 0
		.amdhsa_uses_dynamic_stack 0
		.amdhsa_enable_private_segment 0
		.amdhsa_system_sgpr_workgroup_id_x 1
		.amdhsa_system_sgpr_workgroup_id_y 0
		.amdhsa_system_sgpr_workgroup_id_z 0
		.amdhsa_system_sgpr_workgroup_info 0
		.amdhsa_system_vgpr_workitem_id 0
		.amdhsa_next_free_vgpr 8
		.amdhsa_next_free_sgpr 17
		.amdhsa_accum_offset 8
		.amdhsa_reserve_vcc 1
		.amdhsa_float_round_mode_32 0
		.amdhsa_float_round_mode_16_64 0
		.amdhsa_float_denorm_mode_32 3
		.amdhsa_float_denorm_mode_16_64 3
		.amdhsa_dx10_clamp 1
		.amdhsa_ieee_mode 1
		.amdhsa_fp16_overflow 0
		.amdhsa_tg_split 0
		.amdhsa_exception_fp_ieee_invalid_op 0
		.amdhsa_exception_fp_denorm_src 0
		.amdhsa_exception_fp_ieee_div_zero 0
		.amdhsa_exception_fp_ieee_overflow 0
		.amdhsa_exception_fp_ieee_underflow 0
		.amdhsa_exception_fp_ieee_inexact 0
		.amdhsa_exception_int_div_zero 0
	.end_amdhsa_kernel
	.section	.text._ZN2at6native27unrolled_elementwise_kernelIZZZNS0_17clamp_kernel_cudaERNS_18TensorIteratorBaseERKN3c106ScalarES7_ENKUlvE_clEvENKUlvE_clEvEUlhE_St5arrayIPcLm2EELi4E23TrivialOffsetCalculatorILi1EjESF_NS0_6memory15LoadWithoutCastENSG_16StoreWithoutCastEEEviT_T0_T2_T3_T4_T5_,"axG",@progbits,_ZN2at6native27unrolled_elementwise_kernelIZZZNS0_17clamp_kernel_cudaERNS_18TensorIteratorBaseERKN3c106ScalarES7_ENKUlvE_clEvENKUlvE_clEvEUlhE_St5arrayIPcLm2EELi4E23TrivialOffsetCalculatorILi1EjESF_NS0_6memory15LoadWithoutCastENSG_16StoreWithoutCastEEEviT_T0_T2_T3_T4_T5_,comdat
.Lfunc_end278:
	.size	_ZN2at6native27unrolled_elementwise_kernelIZZZNS0_17clamp_kernel_cudaERNS_18TensorIteratorBaseERKN3c106ScalarES7_ENKUlvE_clEvENKUlvE_clEvEUlhE_St5arrayIPcLm2EELi4E23TrivialOffsetCalculatorILi1EjESF_NS0_6memory15LoadWithoutCastENSG_16StoreWithoutCastEEEviT_T0_T2_T3_T4_T5_, .Lfunc_end278-_ZN2at6native27unrolled_elementwise_kernelIZZZNS0_17clamp_kernel_cudaERNS_18TensorIteratorBaseERKN3c106ScalarES7_ENKUlvE_clEvENKUlvE_clEvEUlhE_St5arrayIPcLm2EELi4E23TrivialOffsetCalculatorILi1EjESF_NS0_6memory15LoadWithoutCastENSG_16StoreWithoutCastEEEviT_T0_T2_T3_T4_T5_
                                        ; -- End function
	.set _ZN2at6native27unrolled_elementwise_kernelIZZZNS0_17clamp_kernel_cudaERNS_18TensorIteratorBaseERKN3c106ScalarES7_ENKUlvE_clEvENKUlvE_clEvEUlhE_St5arrayIPcLm2EELi4E23TrivialOffsetCalculatorILi1EjESF_NS0_6memory15LoadWithoutCastENSG_16StoreWithoutCastEEEviT_T0_T2_T3_T4_T5_.num_vgpr, 8
	.set _ZN2at6native27unrolled_elementwise_kernelIZZZNS0_17clamp_kernel_cudaERNS_18TensorIteratorBaseERKN3c106ScalarES7_ENKUlvE_clEvENKUlvE_clEvEUlhE_St5arrayIPcLm2EELi4E23TrivialOffsetCalculatorILi1EjESF_NS0_6memory15LoadWithoutCastENSG_16StoreWithoutCastEEEviT_T0_T2_T3_T4_T5_.num_agpr, 0
	.set _ZN2at6native27unrolled_elementwise_kernelIZZZNS0_17clamp_kernel_cudaERNS_18TensorIteratorBaseERKN3c106ScalarES7_ENKUlvE_clEvENKUlvE_clEvEUlhE_St5arrayIPcLm2EELi4E23TrivialOffsetCalculatorILi1EjESF_NS0_6memory15LoadWithoutCastENSG_16StoreWithoutCastEEEviT_T0_T2_T3_T4_T5_.numbered_sgpr, 17
	.set _ZN2at6native27unrolled_elementwise_kernelIZZZNS0_17clamp_kernel_cudaERNS_18TensorIteratorBaseERKN3c106ScalarES7_ENKUlvE_clEvENKUlvE_clEvEUlhE_St5arrayIPcLm2EELi4E23TrivialOffsetCalculatorILi1EjESF_NS0_6memory15LoadWithoutCastENSG_16StoreWithoutCastEEEviT_T0_T2_T3_T4_T5_.num_named_barrier, 0
	.set _ZN2at6native27unrolled_elementwise_kernelIZZZNS0_17clamp_kernel_cudaERNS_18TensorIteratorBaseERKN3c106ScalarES7_ENKUlvE_clEvENKUlvE_clEvEUlhE_St5arrayIPcLm2EELi4E23TrivialOffsetCalculatorILi1EjESF_NS0_6memory15LoadWithoutCastENSG_16StoreWithoutCastEEEviT_T0_T2_T3_T4_T5_.private_seg_size, 0
	.set _ZN2at6native27unrolled_elementwise_kernelIZZZNS0_17clamp_kernel_cudaERNS_18TensorIteratorBaseERKN3c106ScalarES7_ENKUlvE_clEvENKUlvE_clEvEUlhE_St5arrayIPcLm2EELi4E23TrivialOffsetCalculatorILi1EjESF_NS0_6memory15LoadWithoutCastENSG_16StoreWithoutCastEEEviT_T0_T2_T3_T4_T5_.uses_vcc, 1
	.set _ZN2at6native27unrolled_elementwise_kernelIZZZNS0_17clamp_kernel_cudaERNS_18TensorIteratorBaseERKN3c106ScalarES7_ENKUlvE_clEvENKUlvE_clEvEUlhE_St5arrayIPcLm2EELi4E23TrivialOffsetCalculatorILi1EjESF_NS0_6memory15LoadWithoutCastENSG_16StoreWithoutCastEEEviT_T0_T2_T3_T4_T5_.uses_flat_scratch, 0
	.set _ZN2at6native27unrolled_elementwise_kernelIZZZNS0_17clamp_kernel_cudaERNS_18TensorIteratorBaseERKN3c106ScalarES7_ENKUlvE_clEvENKUlvE_clEvEUlhE_St5arrayIPcLm2EELi4E23TrivialOffsetCalculatorILi1EjESF_NS0_6memory15LoadWithoutCastENSG_16StoreWithoutCastEEEviT_T0_T2_T3_T4_T5_.has_dyn_sized_stack, 0
	.set _ZN2at6native27unrolled_elementwise_kernelIZZZNS0_17clamp_kernel_cudaERNS_18TensorIteratorBaseERKN3c106ScalarES7_ENKUlvE_clEvENKUlvE_clEvEUlhE_St5arrayIPcLm2EELi4E23TrivialOffsetCalculatorILi1EjESF_NS0_6memory15LoadWithoutCastENSG_16StoreWithoutCastEEEviT_T0_T2_T3_T4_T5_.has_recursion, 0
	.set _ZN2at6native27unrolled_elementwise_kernelIZZZNS0_17clamp_kernel_cudaERNS_18TensorIteratorBaseERKN3c106ScalarES7_ENKUlvE_clEvENKUlvE_clEvEUlhE_St5arrayIPcLm2EELi4E23TrivialOffsetCalculatorILi1EjESF_NS0_6memory15LoadWithoutCastENSG_16StoreWithoutCastEEEviT_T0_T2_T3_T4_T5_.has_indirect_call, 0
	.section	.AMDGPU.csdata,"",@progbits
; Kernel info:
; codeLenInByte = 636
; TotalNumSgprs: 23
; NumVgprs: 8
; NumAgprs: 0
; TotalNumVgprs: 8
; ScratchSize: 0
; MemoryBound: 0
; FloatMode: 240
; IeeeMode: 1
; LDSByteSize: 0 bytes/workgroup (compile time only)
; SGPRBlocks: 2
; VGPRBlocks: 0
; NumSGPRsForWavesPerEU: 23
; NumVGPRsForWavesPerEU: 8
; AccumOffset: 8
; Occupancy: 8
; WaveLimiterHint : 0
; COMPUTE_PGM_RSRC2:SCRATCH_EN: 0
; COMPUTE_PGM_RSRC2:USER_SGPR: 2
; COMPUTE_PGM_RSRC2:TRAP_HANDLER: 0
; COMPUTE_PGM_RSRC2:TGID_X_EN: 1
; COMPUTE_PGM_RSRC2:TGID_Y_EN: 0
; COMPUTE_PGM_RSRC2:TGID_Z_EN: 0
; COMPUTE_PGM_RSRC2:TIDIG_COMP_CNT: 0
; COMPUTE_PGM_RSRC3_GFX90A:ACCUM_OFFSET: 1
; COMPUTE_PGM_RSRC3_GFX90A:TG_SPLIT: 0
	.section	.text._ZN2at6native32elementwise_kernel_manual_unrollILi128ELi8EZNS0_22gpu_kernel_impl_nocastIZZZNS0_17clamp_kernel_cudaERNS_18TensorIteratorBaseERKN3c106ScalarES8_ENKUlvE_clEvENKUlvE_clEvEUlhE_EEvS4_RKT_EUlibE_EEviT1_,"axG",@progbits,_ZN2at6native32elementwise_kernel_manual_unrollILi128ELi8EZNS0_22gpu_kernel_impl_nocastIZZZNS0_17clamp_kernel_cudaERNS_18TensorIteratorBaseERKN3c106ScalarES8_ENKUlvE_clEvENKUlvE_clEvEUlhE_EEvS4_RKT_EUlibE_EEviT1_,comdat
	.globl	_ZN2at6native32elementwise_kernel_manual_unrollILi128ELi8EZNS0_22gpu_kernel_impl_nocastIZZZNS0_17clamp_kernel_cudaERNS_18TensorIteratorBaseERKN3c106ScalarES8_ENKUlvE_clEvENKUlvE_clEvEUlhE_EEvS4_RKT_EUlibE_EEviT1_ ; -- Begin function _ZN2at6native32elementwise_kernel_manual_unrollILi128ELi8EZNS0_22gpu_kernel_impl_nocastIZZZNS0_17clamp_kernel_cudaERNS_18TensorIteratorBaseERKN3c106ScalarES8_ENKUlvE_clEvENKUlvE_clEvEUlhE_EEvS4_RKT_EUlibE_EEviT1_
	.p2align	8
	.type	_ZN2at6native32elementwise_kernel_manual_unrollILi128ELi8EZNS0_22gpu_kernel_impl_nocastIZZZNS0_17clamp_kernel_cudaERNS_18TensorIteratorBaseERKN3c106ScalarES8_ENKUlvE_clEvENKUlvE_clEvEUlhE_EEvS4_RKT_EUlibE_EEviT1_,@function
_ZN2at6native32elementwise_kernel_manual_unrollILi128ELi8EZNS0_22gpu_kernel_impl_nocastIZZZNS0_17clamp_kernel_cudaERNS_18TensorIteratorBaseERKN3c106ScalarES8_ENKUlvE_clEvENKUlvE_clEvEUlhE_EEvS4_RKT_EUlibE_EEviT1_: ; @_ZN2at6native32elementwise_kernel_manual_unrollILi128ELi8EZNS0_22gpu_kernel_impl_nocastIZZZNS0_17clamp_kernel_cudaERNS_18TensorIteratorBaseERKN3c106ScalarES8_ENKUlvE_clEvENKUlvE_clEvEUlhE_EEvS4_RKT_EUlibE_EEviT1_
; %bb.0:
	s_load_dword s57, s[0:1], 0x0
	s_load_dword s33, s[0:1], 0x8
	s_add_u32 s34, s0, 8
	s_addc_u32 s35, s1, 0
	v_lshl_or_b32 v24, s2, 10, v0
	v_or_b32_e32 v32, 0x380, v24
	s_waitcnt lgkmcnt(0)
	s_add_i32 s54, s33, -1
	s_cmp_gt_u32 s54, 1
	v_cmp_le_i32_e32 vcc, s57, v32
	s_cselect_b64 s[36:37], -1, 0
	s_and_saveexec_b64 s[0:1], vcc
	s_xor_b64 s[38:39], exec, s[0:1]
	s_cbranch_execz .LBB279_8
; %bb.1:
	s_cmp_lg_u32 s33, 0
	s_cselect_b64 s[46:47], -1, 0
	s_add_u32 s44, s34, 0xc4
	s_load_dwordx4 s[20:23], s[34:35], 0x4
	s_load_dwordx2 s[40:41], s[34:35], 0x14
	s_load_dword s55, s[34:35], 0x158
	s_load_dwordx4 s[24:27], s[34:35], 0xc4
	s_load_dwordx4 s[16:19], s[34:35], 0x148
	s_addc_u32 s45, s35, 0
	s_min_u32 s58, s54, 15
	s_cmp_gt_u32 s33, 1
	s_cselect_b64 s[42:43], -1, 0
	s_waitcnt lgkmcnt(0)
	s_bfe_u32 s56, s55, 0x80008
	v_cmp_gt_i32_e32 vcc, s57, v24
	s_and_saveexec_b64 s[48:49], vcc
	s_cbranch_execz .LBB279_15
; %bb.2:
	s_andn2_b64 vcc, exec, s[36:37]
	s_cbranch_vccnz .LBB279_23
; %bb.3:
	s_andn2_b64 vcc, exec, s[46:47]
	s_cbranch_vccnz .LBB279_131
; %bb.4:
	s_add_i32 s60, s58, 1
	s_cmp_eq_u32 s54, 2
	s_cbranch_scc1 .LBB279_133
; %bb.5:
	s_and_b32 s59, s60, 28
	s_mov_b32 s61, 0
	v_mov_b32_e32 v0, 0
	v_mov_b32_e32 v2, 0
	s_mov_b64 s[50:51], s[34:35]
	s_mov_b64 s[52:53], s[44:45]
	v_mov_b32_e32 v4, v24
.LBB279_6:                              ; =>This Inner Loop Header: Depth=1
	s_load_dwordx8 s[8:15], s[50:51], 0x4
	s_load_dwordx4 s[28:31], s[50:51], 0x24
	s_load_dwordx8 s[0:7], s[52:53], 0x0
	s_add_u32 s50, s50, 48
	s_addc_u32 s51, s51, 0
	s_waitcnt lgkmcnt(0)
	v_mul_hi_u32 v1, s9, v4
	v_add_u32_e32 v1, v4, v1
	v_lshrrev_b32_e32 v1, s10, v1
	v_mul_lo_u32 v3, v1, s8
	v_mul_hi_u32 v5, s12, v1
	v_sub_u32_e32 v3, v4, v3
	v_add_u32_e32 v4, v1, v5
	v_lshrrev_b32_e32 v4, s13, v4
	v_mul_lo_u32 v6, v4, s11
	v_mul_hi_u32 v7, s15, v4
	v_sub_u32_e32 v1, v1, v6
	v_add_u32_e32 v6, v4, v7
	v_mul_lo_u32 v5, v3, s1
	v_mul_lo_u32 v3, v3, s0
	;; [unrolled: 1-line block ×4, first 2 shown]
	v_lshrrev_b32_e32 v6, s28, v6
	v_add3_u32 v0, v3, v0, v1
	v_mul_hi_u32 v3, s30, v6
	v_add3_u32 v1, v5, v2, v7
	v_mul_lo_u32 v2, v6, s14
	v_add_u32_e32 v3, v6, v3
	v_sub_u32_e32 v2, v4, v2
	v_lshrrev_b32_e32 v4, s31, v3
	s_add_i32 s61, s61, 4
	v_mul_lo_u32 v3, v4, s29
	s_add_u32 s52, s52, 32
	v_sub_u32_e32 v3, v6, v3
	s_addc_u32 s53, s53, 0
	v_mul_lo_u32 v5, v2, s4
	v_mul_lo_u32 v2, v2, s5
	;; [unrolled: 1-line block ×4, first 2 shown]
	s_cmp_lg_u32 s59, s61
	v_add3_u32 v2, v2, v1, v3
	v_add3_u32 v0, v5, v0, v6
	s_cbranch_scc1 .LBB279_6
; %bb.7:
	v_mov_b32_e32 v1, v2
	s_branch .LBB279_134
.LBB279_8:
	s_andn2_saveexec_b64 s[0:1], s[38:39]
	s_cbranch_execz .LBB279_228
.LBB279_9:
	v_cndmask_b32_e64 v0, 0, 1, s[36:37]
	v_cmp_ne_u32_e64 s[0:1], 1, v0
	s_andn2_b64 vcc, exec, s[36:37]
	s_cbranch_vccnz .LBB279_22
; %bb.10:
	s_cmp_lg_u32 s33, 0
	s_mov_b32 s26, 0
	s_cbranch_scc0 .LBB279_25
; %bb.11:
	s_min_u32 s27, s54, 15
	s_add_i32 s27, s27, 1
	s_cmp_eq_u32 s54, 2
	s_cbranch_scc1 .LBB279_26
; %bb.12:
	s_and_b32 s26, s27, 28
	s_add_u32 s2, s34, 0xc4
	s_addc_u32 s3, s35, 0
	s_mov_b32 s28, 0
	v_mov_b32_e32 v0, 0
	v_mov_b32_e32 v2, 0
	s_mov_b64 s[24:25], s[34:35]
	v_mov_b32_e32 v4, v24
.LBB279_13:                             ; =>This Inner Loop Header: Depth=1
	s_load_dwordx8 s[12:19], s[24:25], 0x4
	s_load_dwordx4 s[20:23], s[24:25], 0x24
	s_load_dwordx8 s[4:11], s[2:3], 0x0
	s_add_u32 s24, s24, 48
	s_addc_u32 s25, s25, 0
	s_waitcnt lgkmcnt(0)
	v_mul_hi_u32 v1, s13, v4
	v_add_u32_e32 v1, v4, v1
	v_lshrrev_b32_e32 v1, s14, v1
	v_mul_lo_u32 v3, v1, s12
	v_mul_hi_u32 v5, s16, v1
	v_sub_u32_e32 v3, v4, v3
	v_add_u32_e32 v4, v1, v5
	v_lshrrev_b32_e32 v4, s17, v4
	v_mul_lo_u32 v6, v4, s15
	v_mul_hi_u32 v7, s19, v4
	v_sub_u32_e32 v1, v1, v6
	v_add_u32_e32 v6, v4, v7
	v_mul_lo_u32 v5, v3, s5
	v_mul_lo_u32 v3, v3, s4
	;; [unrolled: 1-line block ×4, first 2 shown]
	v_lshrrev_b32_e32 v6, s20, v6
	v_add3_u32 v0, v3, v0, v1
	v_mul_hi_u32 v3, s22, v6
	v_add3_u32 v1, v5, v2, v7
	v_mul_lo_u32 v2, v6, s18
	v_add_u32_e32 v3, v6, v3
	v_sub_u32_e32 v2, v4, v2
	v_lshrrev_b32_e32 v4, s23, v3
	s_add_i32 s28, s28, 4
	v_mul_lo_u32 v3, v4, s21
	s_add_u32 s2, s2, 32
	v_sub_u32_e32 v3, v6, v3
	s_addc_u32 s3, s3, 0
	v_mul_lo_u32 v5, v2, s8
	v_mul_lo_u32 v2, v2, s9
	;; [unrolled: 1-line block ×4, first 2 shown]
	s_cmp_lg_u32 s26, s28
	v_add3_u32 v2, v2, v1, v3
	v_add3_u32 v0, v5, v0, v6
	s_cbranch_scc1 .LBB279_13
; %bb.14:
	v_mov_b32_e32 v1, v2
	s_and_b32 s6, s27, 3
	s_cmp_eq_u32 s6, 0
	s_cbranch_scc0 .LBB279_27
	s_branch .LBB279_29
.LBB279_15:
	s_or_b64 exec, exec, s[48:49]
	v_cmp_gt_i32_e32 vcc, s57, v24
	s_and_saveexec_b64 s[48:49], vcc
	s_cbranch_execz .LBB279_141
.LBB279_16:
	s_andn2_b64 vcc, exec, s[36:37]
	s_cbranch_vccnz .LBB279_24
; %bb.17:
	s_andn2_b64 vcc, exec, s[46:47]
	s_cbranch_vccnz .LBB279_132
; %bb.18:
	s_add_i32 s60, s58, 1
	s_cmp_eq_u32 s54, 2
	s_cbranch_scc1 .LBB279_150
; %bb.19:
	s_and_b32 s59, s60, 28
	s_mov_b32 s61, 0
	v_mov_b32_e32 v0, 0
	v_mov_b32_e32 v2, 0
	s_mov_b64 s[50:51], s[34:35]
	s_mov_b64 s[52:53], s[44:45]
	v_mov_b32_e32 v4, v24
.LBB279_20:                             ; =>This Inner Loop Header: Depth=1
	s_load_dwordx8 s[8:15], s[50:51], 0x4
	s_load_dwordx4 s[28:31], s[50:51], 0x24
	s_load_dwordx8 s[0:7], s[52:53], 0x0
	s_add_u32 s50, s50, 48
	s_addc_u32 s51, s51, 0
	s_waitcnt lgkmcnt(0)
	v_mul_hi_u32 v1, s9, v4
	v_add_u32_e32 v1, v4, v1
	v_lshrrev_b32_e32 v1, s10, v1
	v_mul_lo_u32 v3, v1, s8
	v_mul_hi_u32 v5, s12, v1
	v_sub_u32_e32 v3, v4, v3
	v_add_u32_e32 v4, v1, v5
	v_lshrrev_b32_e32 v4, s13, v4
	v_mul_lo_u32 v6, v4, s11
	v_mul_hi_u32 v7, s15, v4
	v_sub_u32_e32 v1, v1, v6
	v_add_u32_e32 v6, v4, v7
	v_mul_lo_u32 v5, v3, s1
	v_mul_lo_u32 v3, v3, s0
	;; [unrolled: 1-line block ×4, first 2 shown]
	v_lshrrev_b32_e32 v6, s28, v6
	v_add3_u32 v0, v3, v0, v1
	v_mul_hi_u32 v3, s30, v6
	v_add3_u32 v1, v5, v2, v7
	v_mul_lo_u32 v2, v6, s14
	v_add_u32_e32 v3, v6, v3
	v_sub_u32_e32 v2, v4, v2
	v_lshrrev_b32_e32 v4, s31, v3
	s_add_i32 s61, s61, 4
	v_mul_lo_u32 v3, v4, s29
	s_add_u32 s52, s52, 32
	v_sub_u32_e32 v3, v6, v3
	s_addc_u32 s53, s53, 0
	v_mul_lo_u32 v5, v2, s4
	v_mul_lo_u32 v2, v2, s5
	;; [unrolled: 1-line block ×4, first 2 shown]
	s_cmp_eq_u32 s59, s61
	v_add3_u32 v2, v2, v1, v3
	v_add3_u32 v0, v5, v0, v6
	s_cbranch_scc0 .LBB279_20
; %bb.21:
	v_mov_b32_e32 v1, v2
	s_branch .LBB279_151
.LBB279_22:
                                        ; implicit-def: $vgpr2
                                        ; implicit-def: $vgpr0
	s_branch .LBB279_30
.LBB279_23:
                                        ; implicit-def: $vgpr2
                                        ; implicit-def: $vgpr0
	s_branch .LBB279_138
.LBB279_24:
                                        ; implicit-def: $vgpr2
                                        ; implicit-def: $vgpr0
	s_branch .LBB279_155
.LBB279_25:
	v_mov_b32_e32 v2, 0
	v_mov_b32_e32 v0, 0
	s_branch .LBB279_29
.LBB279_26:
	v_mov_b32_e32 v0, 0
                                        ; implicit-def: $vgpr2
	v_mov_b32_e32 v1, v0
	v_mov_b32_e32 v4, v24
	s_and_b32 s6, s27, 3
	s_cmp_eq_u32 s6, 0
	s_cbranch_scc1 .LBB279_29
.LBB279_27:
	s_lshl_b32 s2, s26, 3
	s_add_u32 s2, s34, s2
	s_addc_u32 s3, s35, 0
	s_add_u32 s2, s2, 0xc4
	s_addc_u32 s3, s3, 0
	s_mul_i32 s4, s26, 12
	s_add_u32 s4, s34, s4
	s_addc_u32 s5, s35, 0
.LBB279_28:                             ; =>This Inner Loop Header: Depth=1
	s_load_dwordx2 s[8:9], s[4:5], 0x4
	s_load_dword s7, s[4:5], 0xc
	s_load_dwordx2 s[10:11], s[2:3], 0x0
	v_mov_b32_e32 v2, v1
	s_add_u32 s4, s4, 12
	s_waitcnt lgkmcnt(0)
	v_mul_hi_u32 v1, s9, v4
	v_add_u32_e32 v1, v4, v1
	v_lshrrev_b32_e32 v1, s7, v1
	s_addc_u32 s5, s5, 0
	v_mul_lo_u32 v3, v1, s8
	s_add_u32 s2, s2, 8
	v_sub_u32_e32 v5, v4, v3
	s_addc_u32 s3, s3, 0
	s_add_i32 s6, s6, -1
	v_mov_b32_e32 v4, v1
	v_mad_u64_u32 v[2:3], s[8:9], v5, s11, v[2:3]
	v_mad_u64_u32 v[0:1], s[8:9], v5, s10, v[0:1]
	s_cmp_lg_u32 s6, 0
	v_mov_b32_e32 v1, v2
	s_cbranch_scc1 .LBB279_28
.LBB279_29:
	s_cbranch_execnz .LBB279_32
.LBB279_30:
	s_load_dwordx4 s[4:7], s[34:35], 0x4
	s_load_dwordx2 s[2:3], s[34:35], 0xc4
	s_cmp_lt_u32 s33, 2
	s_waitcnt lgkmcnt(0)
	v_mul_hi_u32 v0, s5, v24
	v_add_u32_e32 v0, v24, v0
	v_lshrrev_b32_e32 v1, s6, v0
	v_mul_lo_u32 v0, v1, s4
	v_sub_u32_e32 v0, v24, v0
	v_mul_lo_u32 v2, v0, s3
	v_mul_lo_u32 v0, v0, s2
	s_cbranch_scc1 .LBB279_32
; %bb.31:
	s_load_dwordx4 s[4:7], s[34:35], 0x10
	s_load_dwordx2 s[2:3], s[34:35], 0xcc
	s_waitcnt lgkmcnt(0)
	v_mul_hi_u32 v3, s5, v1
	v_add_u32_e32 v3, v1, v3
	v_lshrrev_b32_e32 v3, s6, v3
	v_mul_lo_u32 v3, v3, s4
	v_sub_u32_e32 v3, v1, v3
	v_mad_u64_u32 v[0:1], s[4:5], v3, s2, v[0:1]
	v_mad_u64_u32 v[2:3], s[2:3], v3, s3, v[2:3]
.LBB279_32:
	s_and_b64 vcc, exec, s[0:1]
	v_add_u32_e32 v3, 0x80, v24
	s_cbranch_vccnz .LBB279_38
; %bb.33:
	s_cmp_lg_u32 s33, 0
	s_mov_b32 s26, 0
	s_cbranch_scc0 .LBB279_39
; %bb.34:
	s_min_u32 s27, s54, 15
	s_add_i32 s27, s27, 1
	s_cmp_eq_u32 s54, 2
	s_cbranch_scc1 .LBB279_40
; %bb.35:
	s_and_b32 s26, s27, 28
	s_add_u32 s2, s34, 0xc4
	s_addc_u32 s3, s35, 0
	s_mov_b32 s28, 0
	v_mov_b32_e32 v4, 0
	v_mov_b32_e32 v6, 0
	s_mov_b64 s[24:25], s[34:35]
	v_mov_b32_e32 v8, v3
.LBB279_36:                             ; =>This Inner Loop Header: Depth=1
	s_load_dwordx8 s[12:19], s[24:25], 0x4
	s_load_dwordx4 s[20:23], s[24:25], 0x24
	s_load_dwordx8 s[4:11], s[2:3], 0x0
	s_add_u32 s24, s24, 48
	s_addc_u32 s25, s25, 0
	s_waitcnt lgkmcnt(0)
	v_mul_hi_u32 v1, s13, v8
	v_add_u32_e32 v1, v8, v1
	v_lshrrev_b32_e32 v1, s14, v1
	v_mul_hi_u32 v7, s16, v1
	v_add_u32_e32 v7, v1, v7
	v_lshrrev_b32_e32 v7, s17, v7
	v_mul_lo_u32 v5, v1, s12
	v_mul_lo_u32 v9, v7, s15
	v_mul_hi_u32 v10, s19, v7
	v_sub_u32_e32 v5, v8, v5
	v_sub_u32_e32 v1, v1, v9
	v_add_u32_e32 v9, v7, v10
	v_mul_lo_u32 v8, v5, s5
	v_mul_lo_u32 v5, v5, s4
	;; [unrolled: 1-line block ×4, first 2 shown]
	v_lshrrev_b32_e32 v9, s20, v9
	v_add3_u32 v1, v5, v4, v1
	v_add3_u32 v4, v8, v6, v10
	v_mul_hi_u32 v6, s22, v9
	v_add_u32_e32 v6, v9, v6
	v_lshrrev_b32_e32 v8, s23, v6
	s_add_i32 s28, s28, 4
	v_mul_lo_u32 v5, v9, s18
	v_mul_lo_u32 v6, v8, s21
	s_add_u32 s2, s2, 32
	v_sub_u32_e32 v5, v7, v5
	v_sub_u32_e32 v6, v9, v6
	s_addc_u32 s3, s3, 0
	v_mul_lo_u32 v7, v5, s8
	v_mul_lo_u32 v5, v5, s9
	;; [unrolled: 1-line block ×4, first 2 shown]
	s_cmp_lg_u32 s26, s28
	v_add3_u32 v6, v5, v4, v6
	v_add3_u32 v4, v7, v1, v9
	s_cbranch_scc1 .LBB279_36
; %bb.37:
	v_mov_b32_e32 v1, v6
	s_and_b32 s6, s27, 3
	s_cmp_eq_u32 s6, 0
	s_cbranch_scc0 .LBB279_41
	s_branch .LBB279_43
.LBB279_38:
                                        ; implicit-def: $vgpr6
                                        ; implicit-def: $vgpr4
	s_branch .LBB279_44
.LBB279_39:
	v_mov_b32_e32 v6, 0
	v_mov_b32_e32 v4, 0
	s_branch .LBB279_43
.LBB279_40:
	v_mov_b32_e32 v4, 0
                                        ; implicit-def: $vgpr6
	v_mov_b32_e32 v1, v4
	v_mov_b32_e32 v8, v3
	s_and_b32 s6, s27, 3
	s_cmp_eq_u32 s6, 0
	s_cbranch_scc1 .LBB279_43
.LBB279_41:
	s_lshl_b32 s2, s26, 3
	s_add_u32 s2, s34, s2
	s_addc_u32 s3, s35, 0
	s_add_u32 s2, s2, 0xc4
	s_addc_u32 s3, s3, 0
	s_mul_i32 s4, s26, 12
	s_add_u32 s4, s34, s4
	s_addc_u32 s5, s35, 0
.LBB279_42:                             ; =>This Inner Loop Header: Depth=1
	s_load_dwordx2 s[8:9], s[4:5], 0x4
	s_load_dword s7, s[4:5], 0xc
	s_load_dwordx2 s[10:11], s[2:3], 0x0
	v_mov_b32_e32 v6, v1
	s_add_u32 s4, s4, 12
	s_waitcnt lgkmcnt(0)
	v_mul_hi_u32 v1, s9, v8
	v_add_u32_e32 v1, v8, v1
	v_lshrrev_b32_e32 v1, s7, v1
	s_addc_u32 s5, s5, 0
	v_mul_lo_u32 v5, v1, s8
	s_add_u32 s2, s2, 8
	v_sub_u32_e32 v5, v8, v5
	s_addc_u32 s3, s3, 0
	s_add_i32 s6, s6, -1
	v_mad_u64_u32 v[6:7], s[8:9], v5, s11, v[6:7]
	s_cmp_lg_u32 s6, 0
	v_mov_b32_e32 v8, v1
	v_mad_u64_u32 v[4:5], s[8:9], v5, s10, v[4:5]
	v_mov_b32_e32 v1, v6
	s_cbranch_scc1 .LBB279_42
.LBB279_43:
	s_cbranch_execnz .LBB279_46
.LBB279_44:
	s_load_dwordx4 s[4:7], s[34:35], 0x4
	s_load_dwordx2 s[2:3], s[34:35], 0xc4
	s_cmp_lt_u32 s33, 2
	s_waitcnt lgkmcnt(0)
	v_mul_hi_u32 v1, s5, v3
	v_add_u32_e32 v1, v3, v1
	v_lshrrev_b32_e32 v1, s6, v1
	v_mul_lo_u32 v4, v1, s4
	v_sub_u32_e32 v3, v3, v4
	v_mul_lo_u32 v6, v3, s3
	v_mul_lo_u32 v4, v3, s2
	s_cbranch_scc1 .LBB279_46
; %bb.45:
	s_load_dwordx4 s[4:7], s[34:35], 0x10
	s_load_dwordx2 s[2:3], s[34:35], 0xcc
	s_waitcnt lgkmcnt(0)
	v_mul_hi_u32 v3, s5, v1
	v_add_u32_e32 v3, v1, v3
	v_lshrrev_b32_e32 v3, s6, v3
	v_mul_lo_u32 v3, v3, s4
	v_sub_u32_e32 v1, v1, v3
	v_mad_u64_u32 v[4:5], s[4:5], v1, s2, v[4:5]
	v_mad_u64_u32 v[6:7], s[2:3], v1, s3, v[6:7]
.LBB279_46:
	s_and_b64 vcc, exec, s[0:1]
	v_add_u32_e32 v3, 0x100, v24
	s_cbranch_vccnz .LBB279_52
; %bb.47:
	s_cmp_lg_u32 s33, 0
	s_mov_b32 s26, 0
	s_cbranch_scc0 .LBB279_53
; %bb.48:
	s_min_u32 s27, s54, 15
	s_add_i32 s27, s27, 1
	s_cmp_eq_u32 s54, 2
	s_cbranch_scc1 .LBB279_54
; %bb.49:
	s_and_b32 s26, s27, 28
	s_add_u32 s2, s34, 0xc4
	s_addc_u32 s3, s35, 0
	s_mov_b32 s28, 0
	v_mov_b32_e32 v8, 0
	v_mov_b32_e32 v10, 0
	s_mov_b64 s[24:25], s[34:35]
	v_mov_b32_e32 v5, v3
.LBB279_50:                             ; =>This Inner Loop Header: Depth=1
	s_load_dwordx8 s[12:19], s[24:25], 0x4
	s_load_dwordx4 s[20:23], s[24:25], 0x24
	s_load_dwordx8 s[4:11], s[2:3], 0x0
	s_add_u32 s24, s24, 48
	s_addc_u32 s25, s25, 0
	s_waitcnt lgkmcnt(0)
	v_mul_hi_u32 v1, s13, v5
	v_add_u32_e32 v1, v5, v1
	v_lshrrev_b32_e32 v1, s14, v1
	v_mul_lo_u32 v7, v1, s12
	v_mul_hi_u32 v9, s16, v1
	v_sub_u32_e32 v5, v5, v7
	v_add_u32_e32 v7, v1, v9
	v_lshrrev_b32_e32 v7, s17, v7
	v_mul_lo_u32 v11, v7, s15
	v_mul_hi_u32 v12, s19, v7
	v_sub_u32_e32 v1, v1, v11
	v_add_u32_e32 v11, v7, v12
	v_mul_lo_u32 v9, v5, s5
	v_mul_lo_u32 v5, v5, s4
	;; [unrolled: 1-line block ×4, first 2 shown]
	v_lshrrev_b32_e32 v11, s20, v11
	v_add3_u32 v1, v5, v8, v1
	v_add3_u32 v8, v9, v10, v12
	v_mul_lo_u32 v5, v11, s18
	v_mul_hi_u32 v9, s22, v11
	v_sub_u32_e32 v5, v7, v5
	v_add_u32_e32 v7, v11, v9
	v_mul_lo_u32 v9, v5, s8
	v_mul_lo_u32 v10, v5, s9
	v_lshrrev_b32_e32 v5, s23, v7
	s_add_i32 s28, s28, 4
	v_mul_lo_u32 v7, v5, s21
	s_add_u32 s2, s2, 32
	v_sub_u32_e32 v7, v11, v7
	s_addc_u32 s3, s3, 0
	v_mul_lo_u32 v11, v7, s10
	v_mul_lo_u32 v7, v7, s11
	s_cmp_lg_u32 s26, s28
	v_add3_u32 v10, v10, v8, v7
	v_add3_u32 v8, v9, v1, v11
	s_cbranch_scc1 .LBB279_50
; %bb.51:
	v_mov_b32_e32 v1, v10
	s_and_b32 s6, s27, 3
	s_cmp_eq_u32 s6, 0
	s_cbranch_scc0 .LBB279_55
	s_branch .LBB279_57
.LBB279_52:
                                        ; implicit-def: $vgpr10
                                        ; implicit-def: $vgpr8
	s_branch .LBB279_58
.LBB279_53:
	v_mov_b32_e32 v10, 0
	v_mov_b32_e32 v8, 0
	s_branch .LBB279_57
.LBB279_54:
	v_mov_b32_e32 v8, 0
                                        ; implicit-def: $vgpr10
	v_mov_b32_e32 v1, v8
	v_mov_b32_e32 v5, v3
	s_and_b32 s6, s27, 3
	s_cmp_eq_u32 s6, 0
	s_cbranch_scc1 .LBB279_57
.LBB279_55:
	s_lshl_b32 s2, s26, 3
	s_add_u32 s2, s34, s2
	s_addc_u32 s3, s35, 0
	s_add_u32 s2, s2, 0xc4
	s_addc_u32 s3, s3, 0
	s_mul_i32 s4, s26, 12
	s_add_u32 s4, s34, s4
	s_addc_u32 s5, s35, 0
.LBB279_56:                             ; =>This Inner Loop Header: Depth=1
	s_load_dwordx2 s[8:9], s[4:5], 0x4
	s_load_dword s7, s[4:5], 0xc
	s_load_dwordx2 s[10:11], s[2:3], 0x0
	v_mov_b32_e32 v10, v1
	s_add_u32 s4, s4, 12
	s_waitcnt lgkmcnt(0)
	v_mul_hi_u32 v1, s9, v5
	v_add_u32_e32 v1, v5, v1
	v_lshrrev_b32_e32 v1, s7, v1
	s_addc_u32 s5, s5, 0
	v_mul_lo_u32 v7, v1, s8
	s_add_u32 s2, s2, 8
	v_sub_u32_e32 v7, v5, v7
	s_addc_u32 s3, s3, 0
	s_add_i32 s6, s6, -1
	v_mad_u64_u32 v[10:11], s[8:9], v7, s11, v[10:11]
	s_cmp_lg_u32 s6, 0
	v_mov_b32_e32 v5, v1
	v_mad_u64_u32 v[8:9], s[8:9], v7, s10, v[8:9]
	v_mov_b32_e32 v1, v10
	s_cbranch_scc1 .LBB279_56
.LBB279_57:
	s_cbranch_execnz .LBB279_60
.LBB279_58:
	s_load_dwordx4 s[4:7], s[34:35], 0x4
	s_load_dwordx2 s[2:3], s[34:35], 0xc4
	s_cmp_lt_u32 s33, 2
	s_waitcnt lgkmcnt(0)
	v_mul_hi_u32 v1, s5, v3
	v_add_u32_e32 v1, v3, v1
	v_lshrrev_b32_e32 v1, s6, v1
	v_mul_lo_u32 v5, v1, s4
	v_sub_u32_e32 v3, v3, v5
	v_mul_lo_u32 v10, v3, s3
	v_mul_lo_u32 v8, v3, s2
	s_cbranch_scc1 .LBB279_60
; %bb.59:
	s_load_dwordx4 s[4:7], s[34:35], 0x10
	s_load_dwordx2 s[2:3], s[34:35], 0xcc
	s_waitcnt lgkmcnt(0)
	v_mul_hi_u32 v3, s5, v1
	v_add_u32_e32 v3, v1, v3
	v_lshrrev_b32_e32 v3, s6, v3
	v_mul_lo_u32 v3, v3, s4
	v_sub_u32_e32 v1, v1, v3
	v_mad_u64_u32 v[8:9], s[4:5], v1, s2, v[8:9]
	v_mad_u64_u32 v[10:11], s[2:3], v1, s3, v[10:11]
.LBB279_60:
	s_and_b64 vcc, exec, s[0:1]
	v_add_u32_e32 v3, 0x180, v24
	s_cbranch_vccnz .LBB279_66
; %bb.61:
	s_cmp_lg_u32 s33, 0
	s_mov_b32 s26, 0
	s_cbranch_scc0 .LBB279_67
; %bb.62:
	s_min_u32 s27, s54, 15
	s_add_i32 s27, s27, 1
	s_cmp_eq_u32 s54, 2
	s_cbranch_scc1 .LBB279_68
; %bb.63:
	s_and_b32 s26, s27, 28
	s_add_u32 s2, s34, 0xc4
	s_addc_u32 s3, s35, 0
	s_mov_b32 s28, 0
	v_mov_b32_e32 v12, 0
	v_mov_b32_e32 v14, 0
	s_mov_b64 s[24:25], s[34:35]
	v_mov_b32_e32 v5, v3
.LBB279_64:                             ; =>This Inner Loop Header: Depth=1
	s_load_dwordx8 s[12:19], s[24:25], 0x4
	s_load_dwordx4 s[20:23], s[24:25], 0x24
	s_load_dwordx8 s[4:11], s[2:3], 0x0
	s_add_u32 s24, s24, 48
	s_addc_u32 s25, s25, 0
	s_waitcnt lgkmcnt(0)
	v_mul_hi_u32 v1, s13, v5
	v_add_u32_e32 v1, v5, v1
	v_lshrrev_b32_e32 v1, s14, v1
	v_mul_lo_u32 v7, v1, s12
	v_mul_hi_u32 v9, s16, v1
	v_sub_u32_e32 v5, v5, v7
	v_add_u32_e32 v7, v1, v9
	v_lshrrev_b32_e32 v7, s17, v7
	v_mul_lo_u32 v11, v7, s15
	v_mul_hi_u32 v13, s19, v7
	v_sub_u32_e32 v1, v1, v11
	v_add_u32_e32 v11, v7, v13
	v_mul_lo_u32 v9, v5, s5
	v_mul_lo_u32 v5, v5, s4
	;; [unrolled: 1-line block ×4, first 2 shown]
	v_lshrrev_b32_e32 v11, s20, v11
	v_add3_u32 v1, v5, v12, v1
	v_mul_lo_u32 v5, v11, s18
	v_mul_hi_u32 v12, s22, v11
	v_sub_u32_e32 v5, v7, v5
	v_add_u32_e32 v7, v11, v12
	v_add3_u32 v9, v9, v14, v13
	v_mul_lo_u32 v12, v5, s8
	v_mul_lo_u32 v13, v5, s9
	v_lshrrev_b32_e32 v5, s23, v7
	s_add_i32 s28, s28, 4
	v_mul_lo_u32 v7, v5, s21
	s_add_u32 s2, s2, 32
	v_sub_u32_e32 v7, v11, v7
	s_addc_u32 s3, s3, 0
	v_mul_lo_u32 v11, v7, s10
	v_mul_lo_u32 v7, v7, s11
	s_cmp_lg_u32 s26, s28
	v_add3_u32 v14, v13, v9, v7
	v_add3_u32 v12, v12, v1, v11
	s_cbranch_scc1 .LBB279_64
; %bb.65:
	v_mov_b32_e32 v1, v14
	s_and_b32 s6, s27, 3
	s_cmp_eq_u32 s6, 0
	s_cbranch_scc0 .LBB279_69
	s_branch .LBB279_71
.LBB279_66:
                                        ; implicit-def: $vgpr14
                                        ; implicit-def: $vgpr12
	s_branch .LBB279_72
.LBB279_67:
	v_mov_b32_e32 v14, 0
	v_mov_b32_e32 v12, 0
	s_branch .LBB279_71
.LBB279_68:
	v_mov_b32_e32 v12, 0
                                        ; implicit-def: $vgpr14
	v_mov_b32_e32 v1, v12
	v_mov_b32_e32 v5, v3
	s_and_b32 s6, s27, 3
	s_cmp_eq_u32 s6, 0
	s_cbranch_scc1 .LBB279_71
.LBB279_69:
	s_lshl_b32 s2, s26, 3
	s_add_u32 s2, s34, s2
	s_addc_u32 s3, s35, 0
	s_add_u32 s2, s2, 0xc4
	s_addc_u32 s3, s3, 0
	s_mul_i32 s4, s26, 12
	s_add_u32 s4, s34, s4
	s_addc_u32 s5, s35, 0
.LBB279_70:                             ; =>This Inner Loop Header: Depth=1
	s_load_dwordx2 s[8:9], s[4:5], 0x4
	s_load_dword s7, s[4:5], 0xc
	s_load_dwordx2 s[10:11], s[2:3], 0x0
	v_mov_b32_e32 v14, v1
	s_add_u32 s4, s4, 12
	s_waitcnt lgkmcnt(0)
	v_mul_hi_u32 v1, s9, v5
	v_add_u32_e32 v1, v5, v1
	v_lshrrev_b32_e32 v1, s7, v1
	s_addc_u32 s5, s5, 0
	v_mul_lo_u32 v7, v1, s8
	s_add_u32 s2, s2, 8
	v_sub_u32_e32 v7, v5, v7
	s_addc_u32 s3, s3, 0
	s_add_i32 s6, s6, -1
	v_mad_u64_u32 v[14:15], s[8:9], v7, s11, v[14:15]
	s_cmp_lg_u32 s6, 0
	v_mov_b32_e32 v5, v1
	v_mad_u64_u32 v[12:13], s[8:9], v7, s10, v[12:13]
	v_mov_b32_e32 v1, v14
	s_cbranch_scc1 .LBB279_70
.LBB279_71:
	s_cbranch_execnz .LBB279_74
.LBB279_72:
	s_load_dwordx4 s[4:7], s[34:35], 0x4
	s_load_dwordx2 s[2:3], s[34:35], 0xc4
	s_cmp_lt_u32 s33, 2
	s_waitcnt lgkmcnt(0)
	v_mul_hi_u32 v1, s5, v3
	v_add_u32_e32 v1, v3, v1
	v_lshrrev_b32_e32 v1, s6, v1
	v_mul_lo_u32 v5, v1, s4
	v_sub_u32_e32 v3, v3, v5
	v_mul_lo_u32 v14, v3, s3
	v_mul_lo_u32 v12, v3, s2
	s_cbranch_scc1 .LBB279_74
; %bb.73:
	s_load_dwordx4 s[4:7], s[34:35], 0x10
	s_load_dwordx2 s[2:3], s[34:35], 0xcc
	s_waitcnt lgkmcnt(0)
	v_mul_hi_u32 v3, s5, v1
	v_add_u32_e32 v3, v1, v3
	v_lshrrev_b32_e32 v3, s6, v3
	v_mul_lo_u32 v3, v3, s4
	v_sub_u32_e32 v1, v1, v3
	v_mad_u64_u32 v[12:13], s[4:5], v1, s2, v[12:13]
	v_mad_u64_u32 v[14:15], s[2:3], v1, s3, v[14:15]
.LBB279_74:
	s_and_b64 vcc, exec, s[0:1]
	v_add_u32_e32 v3, 0x200, v24
	s_cbranch_vccnz .LBB279_80
; %bb.75:
	s_cmp_lg_u32 s33, 0
	s_mov_b32 s26, 0
	s_cbranch_scc0 .LBB279_81
; %bb.76:
	s_min_u32 s27, s54, 15
	s_add_i32 s27, s27, 1
	s_cmp_eq_u32 s54, 2
	s_cbranch_scc1 .LBB279_82
; %bb.77:
	s_and_b32 s26, s27, 28
	s_add_u32 s2, s34, 0xc4
	s_addc_u32 s3, s35, 0
	s_mov_b32 s28, 0
	v_mov_b32_e32 v16, 0
	v_mov_b32_e32 v18, 0
	s_mov_b64 s[24:25], s[34:35]
	v_mov_b32_e32 v5, v3
.LBB279_78:                             ; =>This Inner Loop Header: Depth=1
	s_load_dwordx8 s[12:19], s[24:25], 0x4
	s_load_dwordx4 s[20:23], s[24:25], 0x24
	s_load_dwordx8 s[4:11], s[2:3], 0x0
	s_add_u32 s24, s24, 48
	s_addc_u32 s25, s25, 0
	s_waitcnt lgkmcnt(0)
	v_mul_hi_u32 v1, s13, v5
	v_add_u32_e32 v1, v5, v1
	v_lshrrev_b32_e32 v1, s14, v1
	v_mul_lo_u32 v7, v1, s12
	v_mul_hi_u32 v9, s16, v1
	v_sub_u32_e32 v5, v5, v7
	v_add_u32_e32 v7, v1, v9
	v_lshrrev_b32_e32 v7, s17, v7
	v_mul_lo_u32 v11, v7, s15
	v_mul_hi_u32 v13, s19, v7
	v_sub_u32_e32 v1, v1, v11
	v_add_u32_e32 v11, v7, v13
	v_mul_lo_u32 v9, v5, s5
	v_mul_lo_u32 v5, v5, s4
	;; [unrolled: 1-line block ×4, first 2 shown]
	v_lshrrev_b32_e32 v11, s20, v11
	v_add3_u32 v1, v5, v16, v1
	v_add3_u32 v9, v9, v18, v13
	v_mul_lo_u32 v5, v11, s18
	v_mul_hi_u32 v13, s22, v11
	v_sub_u32_e32 v5, v7, v5
	v_add_u32_e32 v7, v11, v13
	v_mul_lo_u32 v13, v5, s8
	v_mul_lo_u32 v15, v5, s9
	v_lshrrev_b32_e32 v5, s23, v7
	s_add_i32 s28, s28, 4
	v_mul_lo_u32 v7, v5, s21
	s_add_u32 s2, s2, 32
	v_sub_u32_e32 v7, v11, v7
	s_addc_u32 s3, s3, 0
	v_mul_lo_u32 v11, v7, s10
	v_mul_lo_u32 v7, v7, s11
	s_cmp_lg_u32 s26, s28
	v_add3_u32 v18, v15, v9, v7
	v_add3_u32 v16, v13, v1, v11
	s_cbranch_scc1 .LBB279_78
; %bb.79:
	v_mov_b32_e32 v1, v18
	s_and_b32 s6, s27, 3
	s_cmp_eq_u32 s6, 0
	s_cbranch_scc0 .LBB279_83
	s_branch .LBB279_85
.LBB279_80:
                                        ; implicit-def: $vgpr18
                                        ; implicit-def: $vgpr16
	s_branch .LBB279_86
.LBB279_81:
	v_mov_b32_e32 v18, 0
	v_mov_b32_e32 v16, 0
	s_branch .LBB279_85
.LBB279_82:
	v_mov_b32_e32 v16, 0
                                        ; implicit-def: $vgpr18
	v_mov_b32_e32 v1, v16
	v_mov_b32_e32 v5, v3
	s_and_b32 s6, s27, 3
	s_cmp_eq_u32 s6, 0
	s_cbranch_scc1 .LBB279_85
.LBB279_83:
	s_lshl_b32 s2, s26, 3
	s_add_u32 s2, s34, s2
	s_addc_u32 s3, s35, 0
	s_add_u32 s2, s2, 0xc4
	s_addc_u32 s3, s3, 0
	s_mul_i32 s4, s26, 12
	s_add_u32 s4, s34, s4
	s_addc_u32 s5, s35, 0
.LBB279_84:                             ; =>This Inner Loop Header: Depth=1
	s_load_dwordx2 s[8:9], s[4:5], 0x4
	s_load_dword s7, s[4:5], 0xc
	s_load_dwordx2 s[10:11], s[2:3], 0x0
	v_mov_b32_e32 v18, v1
	s_add_u32 s4, s4, 12
	s_waitcnt lgkmcnt(0)
	v_mul_hi_u32 v1, s9, v5
	v_add_u32_e32 v1, v5, v1
	v_lshrrev_b32_e32 v1, s7, v1
	s_addc_u32 s5, s5, 0
	v_mul_lo_u32 v7, v1, s8
	s_add_u32 s2, s2, 8
	v_sub_u32_e32 v7, v5, v7
	s_addc_u32 s3, s3, 0
	s_add_i32 s6, s6, -1
	v_mad_u64_u32 v[18:19], s[8:9], v7, s11, v[18:19]
	s_cmp_lg_u32 s6, 0
	v_mov_b32_e32 v5, v1
	v_mad_u64_u32 v[16:17], s[8:9], v7, s10, v[16:17]
	v_mov_b32_e32 v1, v18
	s_cbranch_scc1 .LBB279_84
.LBB279_85:
	s_cbranch_execnz .LBB279_88
.LBB279_86:
	s_load_dwordx4 s[4:7], s[34:35], 0x4
	s_load_dwordx2 s[2:3], s[34:35], 0xc4
	s_cmp_lt_u32 s33, 2
	s_waitcnt lgkmcnt(0)
	v_mul_hi_u32 v1, s5, v3
	v_add_u32_e32 v1, v3, v1
	v_lshrrev_b32_e32 v1, s6, v1
	v_mul_lo_u32 v5, v1, s4
	v_sub_u32_e32 v3, v3, v5
	v_mul_lo_u32 v18, v3, s3
	v_mul_lo_u32 v16, v3, s2
	s_cbranch_scc1 .LBB279_88
; %bb.87:
	s_load_dwordx4 s[4:7], s[34:35], 0x10
	s_load_dwordx2 s[2:3], s[34:35], 0xcc
	s_waitcnt lgkmcnt(0)
	v_mul_hi_u32 v3, s5, v1
	v_add_u32_e32 v3, v1, v3
	v_lshrrev_b32_e32 v3, s6, v3
	v_mul_lo_u32 v3, v3, s4
	v_sub_u32_e32 v1, v1, v3
	v_mad_u64_u32 v[16:17], s[4:5], v1, s2, v[16:17]
	v_mad_u64_u32 v[18:19], s[2:3], v1, s3, v[18:19]
.LBB279_88:
	s_and_b64 vcc, exec, s[0:1]
	v_add_u32_e32 v3, 0x280, v24
	s_cbranch_vccnz .LBB279_94
; %bb.89:
	s_cmp_lg_u32 s33, 0
	s_mov_b32 s26, 0
	s_cbranch_scc0 .LBB279_95
; %bb.90:
	s_min_u32 s27, s54, 15
	s_add_i32 s27, s27, 1
	s_cmp_eq_u32 s54, 2
	s_cbranch_scc1 .LBB279_96
; %bb.91:
	s_and_b32 s26, s27, 28
	s_add_u32 s2, s34, 0xc4
	s_addc_u32 s3, s35, 0
	s_mov_b32 s28, 0
	v_mov_b32_e32 v20, 0
	v_mov_b32_e32 v22, 0
	s_mov_b64 s[24:25], s[34:35]
	v_mov_b32_e32 v5, v3
.LBB279_92:                             ; =>This Inner Loop Header: Depth=1
	s_load_dwordx8 s[12:19], s[24:25], 0x4
	s_load_dwordx4 s[20:23], s[24:25], 0x24
	s_load_dwordx8 s[4:11], s[2:3], 0x0
	s_add_u32 s24, s24, 48
	s_addc_u32 s25, s25, 0
	s_waitcnt lgkmcnt(0)
	v_mul_hi_u32 v1, s13, v5
	v_add_u32_e32 v1, v5, v1
	v_lshrrev_b32_e32 v1, s14, v1
	v_mul_lo_u32 v7, v1, s12
	v_mul_hi_u32 v9, s16, v1
	v_sub_u32_e32 v5, v5, v7
	v_add_u32_e32 v7, v1, v9
	v_lshrrev_b32_e32 v7, s17, v7
	v_mul_lo_u32 v11, v7, s15
	v_mul_hi_u32 v13, s19, v7
	v_sub_u32_e32 v1, v1, v11
	v_add_u32_e32 v11, v7, v13
	v_mul_lo_u32 v9, v5, s5
	v_mul_lo_u32 v5, v5, s4
	;; [unrolled: 1-line block ×4, first 2 shown]
	v_lshrrev_b32_e32 v11, s20, v11
	v_add3_u32 v1, v5, v20, v1
	v_add3_u32 v9, v9, v22, v13
	v_mul_lo_u32 v5, v11, s18
	v_mul_hi_u32 v13, s22, v11
	v_sub_u32_e32 v5, v7, v5
	v_add_u32_e32 v7, v11, v13
	v_mul_lo_u32 v13, v5, s8
	v_mul_lo_u32 v15, v5, s9
	v_lshrrev_b32_e32 v5, s23, v7
	s_add_i32 s28, s28, 4
	v_mul_lo_u32 v7, v5, s21
	s_add_u32 s2, s2, 32
	v_sub_u32_e32 v7, v11, v7
	s_addc_u32 s3, s3, 0
	v_mul_lo_u32 v11, v7, s10
	v_mul_lo_u32 v7, v7, s11
	s_cmp_lg_u32 s26, s28
	v_add3_u32 v22, v15, v9, v7
	v_add3_u32 v20, v13, v1, v11
	s_cbranch_scc1 .LBB279_92
; %bb.93:
	v_mov_b32_e32 v1, v22
	s_and_b32 s6, s27, 3
	s_cmp_eq_u32 s6, 0
	s_cbranch_scc0 .LBB279_97
	s_branch .LBB279_99
.LBB279_94:
                                        ; implicit-def: $vgpr22
                                        ; implicit-def: $vgpr20
	s_branch .LBB279_100
.LBB279_95:
	v_mov_b32_e32 v22, 0
	v_mov_b32_e32 v20, 0
	s_branch .LBB279_99
.LBB279_96:
	v_mov_b32_e32 v20, 0
                                        ; implicit-def: $vgpr22
	v_mov_b32_e32 v1, v20
	v_mov_b32_e32 v5, v3
	s_and_b32 s6, s27, 3
	s_cmp_eq_u32 s6, 0
	s_cbranch_scc1 .LBB279_99
.LBB279_97:
	s_lshl_b32 s2, s26, 3
	s_add_u32 s2, s34, s2
	s_addc_u32 s3, s35, 0
	s_add_u32 s2, s2, 0xc4
	s_addc_u32 s3, s3, 0
	s_mul_i32 s4, s26, 12
	s_add_u32 s4, s34, s4
	s_addc_u32 s5, s35, 0
.LBB279_98:                             ; =>This Inner Loop Header: Depth=1
	s_load_dwordx2 s[8:9], s[4:5], 0x4
	s_load_dword s7, s[4:5], 0xc
	s_load_dwordx2 s[10:11], s[2:3], 0x0
	v_mov_b32_e32 v22, v1
	s_add_u32 s4, s4, 12
	s_waitcnt lgkmcnt(0)
	v_mul_hi_u32 v1, s9, v5
	v_add_u32_e32 v1, v5, v1
	v_lshrrev_b32_e32 v1, s7, v1
	s_addc_u32 s5, s5, 0
	v_mul_lo_u32 v7, v1, s8
	s_add_u32 s2, s2, 8
	v_sub_u32_e32 v7, v5, v7
	s_addc_u32 s3, s3, 0
	s_add_i32 s6, s6, -1
	v_mad_u64_u32 v[22:23], s[8:9], v7, s11, v[22:23]
	s_cmp_lg_u32 s6, 0
	v_mov_b32_e32 v5, v1
	v_mad_u64_u32 v[20:21], s[8:9], v7, s10, v[20:21]
	v_mov_b32_e32 v1, v22
	s_cbranch_scc1 .LBB279_98
.LBB279_99:
	s_cbranch_execnz .LBB279_102
.LBB279_100:
	s_load_dwordx4 s[4:7], s[34:35], 0x4
	s_load_dwordx2 s[2:3], s[34:35], 0xc4
	s_cmp_lt_u32 s33, 2
	s_waitcnt lgkmcnt(0)
	v_mul_hi_u32 v1, s5, v3
	v_add_u32_e32 v1, v3, v1
	v_lshrrev_b32_e32 v1, s6, v1
	v_mul_lo_u32 v5, v1, s4
	v_sub_u32_e32 v3, v3, v5
	v_mul_lo_u32 v22, v3, s3
	v_mul_lo_u32 v20, v3, s2
	s_cbranch_scc1 .LBB279_102
; %bb.101:
	s_load_dwordx4 s[4:7], s[34:35], 0x10
	s_load_dwordx2 s[2:3], s[34:35], 0xcc
	s_waitcnt lgkmcnt(0)
	v_mul_hi_u32 v3, s5, v1
	v_add_u32_e32 v3, v1, v3
	v_lshrrev_b32_e32 v3, s6, v3
	v_mul_lo_u32 v3, v3, s4
	v_sub_u32_e32 v1, v1, v3
	v_mad_u64_u32 v[20:21], s[4:5], v1, s2, v[20:21]
	v_mad_u64_u32 v[22:23], s[2:3], v1, s3, v[22:23]
.LBB279_102:
	s_and_b64 vcc, exec, s[0:1]
	v_add_u32_e32 v3, 0x300, v24
	s_cbranch_vccnz .LBB279_108
; %bb.103:
	s_cmp_lg_u32 s33, 0
	s_mov_b32 s26, 0
	s_cbranch_scc0 .LBB279_109
; %bb.104:
	s_min_u32 s27, s54, 15
	s_add_i32 s27, s27, 1
	s_cmp_eq_u32 s54, 2
	s_cbranch_scc1 .LBB279_110
; %bb.105:
	s_and_b32 s26, s27, 28
	s_add_u32 s2, s34, 0xc4
	s_addc_u32 s3, s35, 0
	s_mov_b32 s28, 0
	v_mov_b32_e32 v24, 0
	v_mov_b32_e32 v26, 0
	s_mov_b64 s[24:25], s[34:35]
	v_mov_b32_e32 v5, v3
.LBB279_106:                            ; =>This Inner Loop Header: Depth=1
	s_load_dwordx8 s[12:19], s[24:25], 0x4
	s_load_dwordx4 s[20:23], s[24:25], 0x24
	s_load_dwordx8 s[4:11], s[2:3], 0x0
	s_add_u32 s24, s24, 48
	s_addc_u32 s25, s25, 0
	s_waitcnt lgkmcnt(0)
	v_mul_hi_u32 v1, s13, v5
	v_add_u32_e32 v1, v5, v1
	v_lshrrev_b32_e32 v1, s14, v1
	v_mul_lo_u32 v7, v1, s12
	v_mul_hi_u32 v9, s16, v1
	v_sub_u32_e32 v5, v5, v7
	v_add_u32_e32 v7, v1, v9
	v_lshrrev_b32_e32 v7, s17, v7
	v_mul_lo_u32 v11, v7, s15
	v_mul_hi_u32 v13, s19, v7
	v_sub_u32_e32 v1, v1, v11
	v_add_u32_e32 v11, v7, v13
	v_mul_lo_u32 v9, v5, s5
	v_mul_lo_u32 v5, v5, s4
	;; [unrolled: 1-line block ×4, first 2 shown]
	v_lshrrev_b32_e32 v11, s20, v11
	v_add3_u32 v1, v5, v24, v1
	v_add3_u32 v9, v9, v26, v13
	v_mul_lo_u32 v5, v11, s18
	v_mul_hi_u32 v13, s22, v11
	v_sub_u32_e32 v5, v7, v5
	v_add_u32_e32 v7, v11, v13
	v_mul_lo_u32 v13, v5, s8
	v_mul_lo_u32 v15, v5, s9
	v_lshrrev_b32_e32 v5, s23, v7
	s_add_i32 s28, s28, 4
	v_mul_lo_u32 v7, v5, s21
	s_add_u32 s2, s2, 32
	v_sub_u32_e32 v7, v11, v7
	s_addc_u32 s3, s3, 0
	v_mul_lo_u32 v11, v7, s10
	v_mul_lo_u32 v7, v7, s11
	s_cmp_lg_u32 s26, s28
	v_add3_u32 v26, v15, v9, v7
	v_add3_u32 v24, v13, v1, v11
	s_cbranch_scc1 .LBB279_106
; %bb.107:
	v_mov_b32_e32 v1, v26
	s_and_b32 s6, s27, 3
	s_cmp_eq_u32 s6, 0
	s_cbranch_scc0 .LBB279_111
	s_branch .LBB279_113
.LBB279_108:
                                        ; implicit-def: $vgpr26
                                        ; implicit-def: $vgpr24
	s_branch .LBB279_114
.LBB279_109:
	v_mov_b32_e32 v26, 0
	v_mov_b32_e32 v24, 0
	s_branch .LBB279_113
.LBB279_110:
	v_mov_b32_e32 v24, 0
                                        ; implicit-def: $vgpr26
	v_mov_b32_e32 v1, v24
	v_mov_b32_e32 v5, v3
	s_and_b32 s6, s27, 3
	s_cmp_eq_u32 s6, 0
	s_cbranch_scc1 .LBB279_113
.LBB279_111:
	s_lshl_b32 s2, s26, 3
	s_add_u32 s2, s34, s2
	s_addc_u32 s3, s35, 0
	s_add_u32 s2, s2, 0xc4
	s_addc_u32 s3, s3, 0
	s_mul_i32 s4, s26, 12
	s_add_u32 s4, s34, s4
	s_addc_u32 s5, s35, 0
.LBB279_112:                            ; =>This Inner Loop Header: Depth=1
	s_load_dwordx2 s[8:9], s[4:5], 0x4
	s_load_dword s7, s[4:5], 0xc
	s_load_dwordx2 s[10:11], s[2:3], 0x0
	v_mov_b32_e32 v26, v1
	s_add_u32 s4, s4, 12
	s_waitcnt lgkmcnt(0)
	v_mul_hi_u32 v1, s9, v5
	v_add_u32_e32 v1, v5, v1
	v_lshrrev_b32_e32 v1, s7, v1
	s_addc_u32 s5, s5, 0
	v_mul_lo_u32 v7, v1, s8
	s_add_u32 s2, s2, 8
	v_sub_u32_e32 v7, v5, v7
	s_addc_u32 s3, s3, 0
	s_add_i32 s6, s6, -1
	v_mad_u64_u32 v[26:27], s[8:9], v7, s11, v[26:27]
	s_cmp_lg_u32 s6, 0
	v_mov_b32_e32 v5, v1
	v_mad_u64_u32 v[24:25], s[8:9], v7, s10, v[24:25]
	v_mov_b32_e32 v1, v26
	s_cbranch_scc1 .LBB279_112
.LBB279_113:
	s_cbranch_execnz .LBB279_116
.LBB279_114:
	s_load_dwordx4 s[4:7], s[34:35], 0x4
	s_load_dwordx2 s[2:3], s[34:35], 0xc4
	s_cmp_lt_u32 s33, 2
	s_waitcnt lgkmcnt(0)
	v_mul_hi_u32 v1, s5, v3
	v_add_u32_e32 v1, v3, v1
	v_lshrrev_b32_e32 v1, s6, v1
	v_mul_lo_u32 v5, v1, s4
	v_sub_u32_e32 v3, v3, v5
	v_mul_lo_u32 v26, v3, s3
	v_mul_lo_u32 v24, v3, s2
	s_cbranch_scc1 .LBB279_116
; %bb.115:
	s_load_dwordx4 s[4:7], s[34:35], 0x10
	s_load_dwordx2 s[2:3], s[34:35], 0xcc
	s_waitcnt lgkmcnt(0)
	v_mul_hi_u32 v3, s5, v1
	v_add_u32_e32 v3, v1, v3
	v_lshrrev_b32_e32 v3, s6, v3
	v_mul_lo_u32 v3, v3, s4
	v_sub_u32_e32 v1, v1, v3
	v_mad_u64_u32 v[24:25], s[4:5], v1, s2, v[24:25]
	v_mad_u64_u32 v[26:27], s[2:3], v1, s3, v[26:27]
.LBB279_116:
	s_and_b64 vcc, exec, s[0:1]
	s_cbranch_vccnz .LBB279_122
; %bb.117:
	s_cmp_lg_u32 s33, 0
	s_mov_b32 s24, 0
	s_cbranch_scc0 .LBB279_123
; %bb.118:
	s_min_u32 s25, s54, 15
	s_add_i32 s25, s25, 1
	s_cmp_eq_u32 s54, 2
	s_cbranch_scc1 .LBB279_124
; %bb.119:
	s_and_b32 s24, s25, 28
	s_add_u32 s20, s34, 0xc4
	s_addc_u32 s21, s35, 0
	s_mov_b32 s26, 0
	v_mov_b32_e32 v28, 0
	v_mov_b32_e32 v30, 0
	s_mov_b64 s[22:23], s[34:35]
	v_mov_b32_e32 v3, v32
.LBB279_120:                            ; =>This Inner Loop Header: Depth=1
	s_load_dwordx8 s[8:15], s[22:23], 0x4
	s_load_dwordx4 s[16:19], s[22:23], 0x24
	s_load_dwordx8 s[0:7], s[20:21], 0x0
	s_add_u32 s22, s22, 48
	s_addc_u32 s23, s23, 0
	s_waitcnt lgkmcnt(0)
	v_mul_hi_u32 v1, s9, v3
	v_add_u32_e32 v1, v3, v1
	v_lshrrev_b32_e32 v1, s10, v1
	v_mul_lo_u32 v5, v1, s8
	v_mul_hi_u32 v7, s12, v1
	v_sub_u32_e32 v3, v3, v5
	v_add_u32_e32 v5, v1, v7
	v_lshrrev_b32_e32 v5, s13, v5
	v_mul_lo_u32 v9, v5, s11
	v_mul_hi_u32 v11, s15, v5
	v_sub_u32_e32 v1, v1, v9
	v_add_u32_e32 v9, v5, v11
	v_mul_lo_u32 v7, v3, s1
	v_mul_lo_u32 v3, v3, s0
	;; [unrolled: 1-line block ×4, first 2 shown]
	v_lshrrev_b32_e32 v9, s16, v9
	v_add3_u32 v1, v3, v28, v1
	v_add3_u32 v7, v7, v30, v11
	v_mul_lo_u32 v3, v9, s14
	v_mul_hi_u32 v11, s18, v9
	v_sub_u32_e32 v3, v5, v3
	v_add_u32_e32 v5, v9, v11
	v_mul_lo_u32 v11, v3, s4
	v_mul_lo_u32 v13, v3, s5
	v_lshrrev_b32_e32 v3, s19, v5
	s_add_i32 s26, s26, 4
	v_mul_lo_u32 v5, v3, s17
	s_add_u32 s20, s20, 32
	v_sub_u32_e32 v5, v9, v5
	s_addc_u32 s21, s21, 0
	v_mul_lo_u32 v9, v5, s6
	v_mul_lo_u32 v5, v5, s7
	s_cmp_lg_u32 s24, s26
	v_add3_u32 v30, v13, v7, v5
	v_add3_u32 v28, v11, v1, v9
	s_cbranch_scc1 .LBB279_120
; %bb.121:
	v_mov_b32_e32 v1, v30
	s_and_b32 s4, s25, 3
	s_cmp_eq_u32 s4, 0
	s_cbranch_scc0 .LBB279_125
	s_branch .LBB279_127
.LBB279_122:
                                        ; implicit-def: $vgpr30
                                        ; implicit-def: $vgpr28
	s_branch .LBB279_128
.LBB279_123:
	v_mov_b32_e32 v30, 0
	v_mov_b32_e32 v28, 0
	s_branch .LBB279_127
.LBB279_124:
	v_mov_b32_e32 v28, 0
                                        ; implicit-def: $vgpr30
	v_mov_b32_e32 v1, v28
	v_mov_b32_e32 v3, v32
	s_and_b32 s4, s25, 3
	s_cmp_eq_u32 s4, 0
	s_cbranch_scc1 .LBB279_127
.LBB279_125:
	s_lshl_b32 s0, s24, 3
	s_add_u32 s0, s34, s0
	s_addc_u32 s1, s35, 0
	s_add_u32 s0, s0, 0xc4
	s_addc_u32 s1, s1, 0
	s_mul_i32 s2, s24, 12
	s_add_u32 s2, s34, s2
	s_addc_u32 s3, s35, 0
.LBB279_126:                            ; =>This Inner Loop Header: Depth=1
	s_load_dwordx2 s[6:7], s[2:3], 0x4
	s_load_dword s5, s[2:3], 0xc
	s_load_dwordx2 s[8:9], s[0:1], 0x0
	v_mov_b32_e32 v30, v1
	s_add_u32 s2, s2, 12
	s_waitcnt lgkmcnt(0)
	v_mul_hi_u32 v1, s7, v3
	v_add_u32_e32 v1, v3, v1
	v_lshrrev_b32_e32 v1, s5, v1
	s_addc_u32 s3, s3, 0
	v_mul_lo_u32 v5, v1, s6
	s_add_u32 s0, s0, 8
	v_sub_u32_e32 v5, v3, v5
	s_addc_u32 s1, s1, 0
	s_add_i32 s4, s4, -1
	v_mad_u64_u32 v[30:31], s[6:7], v5, s9, v[30:31]
	s_cmp_lg_u32 s4, 0
	v_mov_b32_e32 v3, v1
	v_mad_u64_u32 v[28:29], s[6:7], v5, s8, v[28:29]
	v_mov_b32_e32 v1, v30
	s_cbranch_scc1 .LBB279_126
.LBB279_127:
	s_cbranch_execnz .LBB279_130
.LBB279_128:
	s_load_dwordx4 s[0:3], s[34:35], 0x4
	s_load_dwordx2 s[4:5], s[34:35], 0xc4
	s_cmp_lt_u32 s33, 2
	s_waitcnt lgkmcnt(0)
	v_mul_hi_u32 v1, s1, v32
	v_add_u32_e32 v1, v32, v1
	v_lshrrev_b32_e32 v1, s2, v1
	v_mul_lo_u32 v3, v1, s0
	v_sub_u32_e32 v3, v32, v3
	v_mul_lo_u32 v30, v3, s5
	v_mul_lo_u32 v28, v3, s4
	s_cbranch_scc1 .LBB279_130
; %bb.129:
	s_load_dwordx4 s[0:3], s[34:35], 0x10
	s_load_dwordx2 s[4:5], s[34:35], 0xcc
	s_waitcnt lgkmcnt(0)
	v_mul_hi_u32 v3, s1, v1
	v_add_u32_e32 v3, v1, v3
	v_lshrrev_b32_e32 v3, s2, v3
	v_mul_lo_u32 v3, v3, s0
	v_sub_u32_e32 v1, v1, v3
	v_mad_u64_u32 v[28:29], s[0:1], v1, s4, v[28:29]
	v_mad_u64_u32 v[30:31], s[0:1], v1, s5, v[30:31]
.LBB279_130:
	s_load_dwordx4 s[0:3], s[34:35], 0x148
	s_load_dword s4, s[34:35], 0x158
	s_waitcnt lgkmcnt(0)
	global_load_ubyte v1, v2, s[2:3]
	global_load_ubyte v3, v6, s[2:3]
	;; [unrolled: 1-line block ×8, first 2 shown]
	s_and_b32 s2, s4, 0xff
	s_bfe_u32 s3, s4, 0x80008
	s_waitcnt vmcnt(7)
	v_max_u16_e32 v1, s2, v1
	s_waitcnt vmcnt(6)
	v_max_u16_e32 v2, s2, v3
	;; [unrolled: 2-line block ×8, first 2 shown]
	v_min_u16_e32 v1, s3, v1
	v_min_u16_e32 v2, s3, v2
	;; [unrolled: 1-line block ×8, first 2 shown]
	global_store_byte v0, v1, s[0:1]
	global_store_byte v4, v2, s[0:1]
	;; [unrolled: 1-line block ×8, first 2 shown]
	s_endpgm
.LBB279_131:
	v_mov_b32_e32 v2, 0
	v_mov_b32_e32 v0, 0
	s_branch .LBB279_137
.LBB279_132:
	v_mov_b32_e32 v2, 0
	v_mov_b32_e32 v0, 0
	s_branch .LBB279_154
.LBB279_133:
	v_mov_b32_e32 v0, 0
	s_mov_b32 s59, 0
	v_mov_b32_e32 v1, v0
                                        ; implicit-def: $vgpr2
	v_mov_b32_e32 v4, v24
.LBB279_134:
	s_and_b32 s4, s60, 3
	s_cmp_eq_u32 s4, 0
	s_cbranch_scc1 .LBB279_137
; %bb.135:
	s_lshl_b32 s0, s59, 3
	s_add_u32 s0, s34, s0
	s_addc_u32 s1, s35, 0
	s_add_u32 s0, s0, 0xc4
	s_addc_u32 s1, s1, 0
	s_mul_i32 s2, s59, 12
	s_add_u32 s2, s34, s2
	s_addc_u32 s3, s35, 0
.LBB279_136:                            ; =>This Inner Loop Header: Depth=1
	s_load_dwordx2 s[6:7], s[2:3], 0x4
	s_load_dword s5, s[2:3], 0xc
	s_load_dwordx2 s[8:9], s[0:1], 0x0
	v_mov_b32_e32 v2, v1
	s_add_u32 s2, s2, 12
	s_waitcnt lgkmcnt(0)
	v_mul_hi_u32 v1, s7, v4
	v_add_u32_e32 v1, v4, v1
	v_lshrrev_b32_e32 v1, s5, v1
	s_addc_u32 s3, s3, 0
	v_mul_lo_u32 v3, v1, s6
	s_add_u32 s0, s0, 8
	v_sub_u32_e32 v5, v4, v3
	s_addc_u32 s1, s1, 0
	s_add_i32 s4, s4, -1
	v_mov_b32_e32 v4, v1
	v_mad_u64_u32 v[2:3], s[6:7], v5, s9, v[2:3]
	v_mad_u64_u32 v[0:1], s[6:7], v5, s8, v[0:1]
	s_cmp_lg_u32 s4, 0
	v_mov_b32_e32 v1, v2
	s_cbranch_scc1 .LBB279_136
.LBB279_137:
	s_cbranch_execnz .LBB279_140
.LBB279_138:
	v_mul_hi_u32 v0, s21, v24
	v_add_u32_e32 v0, v24, v0
	v_lshrrev_b32_e32 v1, s22, v0
	v_mul_lo_u32 v0, v1, s20
	v_sub_u32_e32 v0, v24, v0
	v_mul_lo_u32 v2, v0, s25
	s_andn2_b64 vcc, exec, s[42:43]
	v_mul_lo_u32 v0, v0, s24
	s_cbranch_vccnz .LBB279_140
; %bb.139:
	v_mul_hi_u32 v3, s40, v1
	v_add_u32_e32 v3, v1, v3
	v_lshrrev_b32_e32 v3, s41, v3
	v_mul_lo_u32 v3, v3, s23
	v_sub_u32_e32 v3, v1, v3
	v_mad_u64_u32 v[0:1], s[0:1], v3, s26, v[0:1]
	v_mad_u64_u32 v[2:3], s[0:1], v3, s27, v[2:3]
.LBB279_140:
	global_load_ubyte v1, v2, s[18:19]
	s_and_b32 s0, s55, 0xff
	v_add_u32_e32 v24, 0x80, v24
	s_waitcnt vmcnt(0)
	v_max_u16_e32 v1, s0, v1
	v_min_u16_e32 v1, s56, v1
	global_store_byte v0, v1, s[16:17]
	s_or_b64 exec, exec, s[48:49]
	v_cmp_gt_i32_e32 vcc, s57, v24
	s_and_saveexec_b64 s[48:49], vcc
	s_cbranch_execnz .LBB279_16
.LBB279_141:
	s_or_b64 exec, exec, s[48:49]
	v_cmp_gt_i32_e32 vcc, s57, v24
	s_and_saveexec_b64 s[48:49], vcc
	s_cbranch_execz .LBB279_158
.LBB279_142:
	s_andn2_b64 vcc, exec, s[36:37]
	s_cbranch_vccnz .LBB279_148
; %bb.143:
	s_andn2_b64 vcc, exec, s[46:47]
	s_cbranch_vccnz .LBB279_149
; %bb.144:
	s_add_i32 s60, s58, 1
	s_cmp_eq_u32 s54, 2
	s_cbranch_scc1 .LBB279_167
; %bb.145:
	s_and_b32 s59, s60, 28
	s_mov_b32 s61, 0
	v_mov_b32_e32 v0, 0
	v_mov_b32_e32 v2, 0
	s_mov_b64 s[50:51], s[34:35]
	s_mov_b64 s[52:53], s[44:45]
	v_mov_b32_e32 v4, v24
.LBB279_146:                            ; =>This Inner Loop Header: Depth=1
	s_load_dwordx8 s[8:15], s[50:51], 0x4
	s_load_dwordx4 s[28:31], s[50:51], 0x24
	s_load_dwordx8 s[0:7], s[52:53], 0x0
	s_add_u32 s50, s50, 48
	s_addc_u32 s51, s51, 0
	s_waitcnt lgkmcnt(0)
	v_mul_hi_u32 v1, s9, v4
	v_add_u32_e32 v1, v4, v1
	v_lshrrev_b32_e32 v1, s10, v1
	v_mul_lo_u32 v3, v1, s8
	v_mul_hi_u32 v5, s12, v1
	v_sub_u32_e32 v3, v4, v3
	v_add_u32_e32 v4, v1, v5
	v_lshrrev_b32_e32 v4, s13, v4
	v_mul_lo_u32 v6, v4, s11
	v_mul_hi_u32 v7, s15, v4
	v_sub_u32_e32 v1, v1, v6
	v_add_u32_e32 v6, v4, v7
	v_mul_lo_u32 v5, v3, s1
	v_mul_lo_u32 v3, v3, s0
	;; [unrolled: 1-line block ×4, first 2 shown]
	v_lshrrev_b32_e32 v6, s28, v6
	v_add3_u32 v0, v3, v0, v1
	v_mul_hi_u32 v3, s30, v6
	v_add3_u32 v1, v5, v2, v7
	v_mul_lo_u32 v2, v6, s14
	v_add_u32_e32 v3, v6, v3
	v_sub_u32_e32 v2, v4, v2
	v_lshrrev_b32_e32 v4, s31, v3
	s_add_i32 s61, s61, 4
	v_mul_lo_u32 v3, v4, s29
	s_add_u32 s52, s52, 32
	v_sub_u32_e32 v3, v6, v3
	s_addc_u32 s53, s53, 0
	v_mul_lo_u32 v5, v2, s4
	v_mul_lo_u32 v2, v2, s5
	;; [unrolled: 1-line block ×4, first 2 shown]
	s_cmp_eq_u32 s59, s61
	v_add3_u32 v2, v2, v1, v3
	v_add3_u32 v0, v5, v0, v6
	s_cbranch_scc0 .LBB279_146
; %bb.147:
	v_mov_b32_e32 v1, v2
	s_branch .LBB279_168
.LBB279_148:
                                        ; implicit-def: $vgpr2
                                        ; implicit-def: $vgpr0
	s_branch .LBB279_172
.LBB279_149:
	v_mov_b32_e32 v2, 0
	v_mov_b32_e32 v0, 0
	s_branch .LBB279_171
.LBB279_150:
	v_mov_b32_e32 v0, 0
	s_mov_b32 s59, 0
	v_mov_b32_e32 v1, v0
                                        ; implicit-def: $vgpr2
	v_mov_b32_e32 v4, v24
.LBB279_151:
	s_and_b32 s4, s60, 3
	s_cmp_eq_u32 s4, 0
	s_cbranch_scc1 .LBB279_154
; %bb.152:
	s_lshl_b32 s0, s59, 3
	s_add_u32 s0, s34, s0
	s_addc_u32 s1, s35, 0
	s_add_u32 s0, s0, 0xc4
	s_addc_u32 s1, s1, 0
	s_mul_i32 s2, s59, 12
	s_add_u32 s2, s34, s2
	s_addc_u32 s3, s35, 0
.LBB279_153:                            ; =>This Inner Loop Header: Depth=1
	s_load_dwordx2 s[6:7], s[2:3], 0x4
	s_load_dword s5, s[2:3], 0xc
	s_load_dwordx2 s[8:9], s[0:1], 0x0
	v_mov_b32_e32 v2, v1
	s_add_u32 s2, s2, 12
	s_waitcnt lgkmcnt(0)
	v_mul_hi_u32 v1, s7, v4
	v_add_u32_e32 v1, v4, v1
	v_lshrrev_b32_e32 v1, s5, v1
	s_addc_u32 s3, s3, 0
	v_mul_lo_u32 v3, v1, s6
	s_add_u32 s0, s0, 8
	v_sub_u32_e32 v5, v4, v3
	s_addc_u32 s1, s1, 0
	s_add_i32 s4, s4, -1
	v_mov_b32_e32 v4, v1
	v_mad_u64_u32 v[2:3], s[6:7], v5, s9, v[2:3]
	v_mad_u64_u32 v[0:1], s[6:7], v5, s8, v[0:1]
	s_cmp_lg_u32 s4, 0
	v_mov_b32_e32 v1, v2
	s_cbranch_scc1 .LBB279_153
.LBB279_154:
	s_cbranch_execnz .LBB279_157
.LBB279_155:
	v_mul_hi_u32 v0, s21, v24
	v_add_u32_e32 v0, v24, v0
	v_lshrrev_b32_e32 v1, s22, v0
	v_mul_lo_u32 v0, v1, s20
	v_sub_u32_e32 v0, v24, v0
	v_mul_lo_u32 v2, v0, s25
	s_andn2_b64 vcc, exec, s[42:43]
	v_mul_lo_u32 v0, v0, s24
	s_cbranch_vccnz .LBB279_157
; %bb.156:
	v_mul_hi_u32 v3, s40, v1
	v_add_u32_e32 v3, v1, v3
	v_lshrrev_b32_e32 v3, s41, v3
	v_mul_lo_u32 v3, v3, s23
	v_sub_u32_e32 v3, v1, v3
	v_mad_u64_u32 v[0:1], s[0:1], v3, s26, v[0:1]
	v_mad_u64_u32 v[2:3], s[0:1], v3, s27, v[2:3]
.LBB279_157:
	global_load_ubyte v1, v2, s[18:19]
	s_and_b32 s0, s55, 0xff
	v_add_u32_e32 v24, 0x80, v24
	s_waitcnt vmcnt(0)
	v_max_u16_e32 v1, s0, v1
	v_min_u16_e32 v1, s56, v1
	global_store_byte v0, v1, s[16:17]
	s_or_b64 exec, exec, s[48:49]
	v_cmp_gt_i32_e32 vcc, s57, v24
	s_and_saveexec_b64 s[48:49], vcc
	s_cbranch_execnz .LBB279_142
.LBB279_158:
	s_or_b64 exec, exec, s[48:49]
	v_cmp_gt_i32_e32 vcc, s57, v24
	s_and_saveexec_b64 s[48:49], vcc
	s_cbranch_execz .LBB279_175
.LBB279_159:
	s_andn2_b64 vcc, exec, s[36:37]
	s_cbranch_vccnz .LBB279_165
; %bb.160:
	s_andn2_b64 vcc, exec, s[46:47]
	s_cbranch_vccnz .LBB279_166
; %bb.161:
	s_add_i32 s60, s58, 1
	s_cmp_eq_u32 s54, 2
	s_cbranch_scc1 .LBB279_184
; %bb.162:
	s_and_b32 s59, s60, 28
	s_mov_b32 s61, 0
	v_mov_b32_e32 v0, 0
	v_mov_b32_e32 v2, 0
	s_mov_b64 s[50:51], s[34:35]
	s_mov_b64 s[52:53], s[44:45]
	v_mov_b32_e32 v4, v24
.LBB279_163:                            ; =>This Inner Loop Header: Depth=1
	s_load_dwordx8 s[8:15], s[50:51], 0x4
	s_load_dwordx4 s[28:31], s[50:51], 0x24
	s_load_dwordx8 s[0:7], s[52:53], 0x0
	s_add_u32 s50, s50, 48
	s_addc_u32 s51, s51, 0
	s_waitcnt lgkmcnt(0)
	v_mul_hi_u32 v1, s9, v4
	v_add_u32_e32 v1, v4, v1
	v_lshrrev_b32_e32 v1, s10, v1
	v_mul_lo_u32 v3, v1, s8
	v_mul_hi_u32 v5, s12, v1
	v_sub_u32_e32 v3, v4, v3
	v_add_u32_e32 v4, v1, v5
	v_lshrrev_b32_e32 v4, s13, v4
	v_mul_lo_u32 v6, v4, s11
	v_mul_hi_u32 v7, s15, v4
	v_sub_u32_e32 v1, v1, v6
	v_add_u32_e32 v6, v4, v7
	v_mul_lo_u32 v5, v3, s1
	v_mul_lo_u32 v3, v3, s0
	v_mul_lo_u32 v7, v1, s3
	v_mul_lo_u32 v1, v1, s2
	v_lshrrev_b32_e32 v6, s28, v6
	v_add3_u32 v0, v3, v0, v1
	v_mul_hi_u32 v3, s30, v6
	v_add3_u32 v1, v5, v2, v7
	v_mul_lo_u32 v2, v6, s14
	v_add_u32_e32 v3, v6, v3
	v_sub_u32_e32 v2, v4, v2
	v_lshrrev_b32_e32 v4, s31, v3
	s_add_i32 s61, s61, 4
	v_mul_lo_u32 v3, v4, s29
	s_add_u32 s52, s52, 32
	v_sub_u32_e32 v3, v6, v3
	s_addc_u32 s53, s53, 0
	v_mul_lo_u32 v5, v2, s4
	v_mul_lo_u32 v2, v2, s5
	;; [unrolled: 1-line block ×4, first 2 shown]
	s_cmp_eq_u32 s59, s61
	v_add3_u32 v2, v2, v1, v3
	v_add3_u32 v0, v5, v0, v6
	s_cbranch_scc0 .LBB279_163
; %bb.164:
	v_mov_b32_e32 v1, v2
	s_branch .LBB279_185
.LBB279_165:
                                        ; implicit-def: $vgpr2
                                        ; implicit-def: $vgpr0
	s_branch .LBB279_189
.LBB279_166:
	v_mov_b32_e32 v2, 0
	v_mov_b32_e32 v0, 0
	s_branch .LBB279_188
.LBB279_167:
	v_mov_b32_e32 v0, 0
	s_mov_b32 s59, 0
	v_mov_b32_e32 v1, v0
                                        ; implicit-def: $vgpr2
	v_mov_b32_e32 v4, v24
.LBB279_168:
	s_and_b32 s4, s60, 3
	s_cmp_eq_u32 s4, 0
	s_cbranch_scc1 .LBB279_171
; %bb.169:
	s_lshl_b32 s0, s59, 3
	s_add_u32 s0, s34, s0
	s_addc_u32 s1, s35, 0
	s_add_u32 s0, s0, 0xc4
	s_addc_u32 s1, s1, 0
	s_mul_i32 s2, s59, 12
	s_add_u32 s2, s34, s2
	s_addc_u32 s3, s35, 0
.LBB279_170:                            ; =>This Inner Loop Header: Depth=1
	s_load_dwordx2 s[6:7], s[2:3], 0x4
	s_load_dword s5, s[2:3], 0xc
	s_load_dwordx2 s[8:9], s[0:1], 0x0
	v_mov_b32_e32 v2, v1
	s_add_u32 s2, s2, 12
	s_waitcnt lgkmcnt(0)
	v_mul_hi_u32 v1, s7, v4
	v_add_u32_e32 v1, v4, v1
	v_lshrrev_b32_e32 v1, s5, v1
	s_addc_u32 s3, s3, 0
	v_mul_lo_u32 v3, v1, s6
	s_add_u32 s0, s0, 8
	v_sub_u32_e32 v5, v4, v3
	s_addc_u32 s1, s1, 0
	s_add_i32 s4, s4, -1
	v_mov_b32_e32 v4, v1
	v_mad_u64_u32 v[2:3], s[6:7], v5, s9, v[2:3]
	v_mad_u64_u32 v[0:1], s[6:7], v5, s8, v[0:1]
	s_cmp_lg_u32 s4, 0
	v_mov_b32_e32 v1, v2
	s_cbranch_scc1 .LBB279_170
.LBB279_171:
	s_cbranch_execnz .LBB279_174
.LBB279_172:
	v_mul_hi_u32 v0, s21, v24
	v_add_u32_e32 v0, v24, v0
	v_lshrrev_b32_e32 v1, s22, v0
	v_mul_lo_u32 v0, v1, s20
	v_sub_u32_e32 v0, v24, v0
	v_mul_lo_u32 v2, v0, s25
	s_andn2_b64 vcc, exec, s[42:43]
	v_mul_lo_u32 v0, v0, s24
	s_cbranch_vccnz .LBB279_174
; %bb.173:
	v_mul_hi_u32 v3, s40, v1
	v_add_u32_e32 v3, v1, v3
	v_lshrrev_b32_e32 v3, s41, v3
	v_mul_lo_u32 v3, v3, s23
	v_sub_u32_e32 v3, v1, v3
	v_mad_u64_u32 v[0:1], s[0:1], v3, s26, v[0:1]
	v_mad_u64_u32 v[2:3], s[0:1], v3, s27, v[2:3]
.LBB279_174:
	global_load_ubyte v1, v2, s[18:19]
	s_and_b32 s0, s55, 0xff
	v_add_u32_e32 v24, 0x80, v24
	s_waitcnt vmcnt(0)
	v_max_u16_e32 v1, s0, v1
	v_min_u16_e32 v1, s56, v1
	global_store_byte v0, v1, s[16:17]
	s_or_b64 exec, exec, s[48:49]
	v_cmp_gt_i32_e32 vcc, s57, v24
	s_and_saveexec_b64 s[48:49], vcc
	s_cbranch_execnz .LBB279_159
.LBB279_175:
	s_or_b64 exec, exec, s[48:49]
	v_cmp_gt_i32_e32 vcc, s57, v24
	s_and_saveexec_b64 s[48:49], vcc
	s_cbranch_execz .LBB279_192
.LBB279_176:
	s_andn2_b64 vcc, exec, s[36:37]
	s_cbranch_vccnz .LBB279_182
; %bb.177:
	s_andn2_b64 vcc, exec, s[46:47]
	s_cbranch_vccnz .LBB279_183
; %bb.178:
	s_add_i32 s60, s58, 1
	s_cmp_eq_u32 s54, 2
	s_cbranch_scc1 .LBB279_201
; %bb.179:
	s_and_b32 s59, s60, 28
	s_mov_b32 s61, 0
	v_mov_b32_e32 v0, 0
	v_mov_b32_e32 v2, 0
	s_mov_b64 s[50:51], s[34:35]
	s_mov_b64 s[52:53], s[44:45]
	v_mov_b32_e32 v4, v24
.LBB279_180:                            ; =>This Inner Loop Header: Depth=1
	s_load_dwordx8 s[8:15], s[50:51], 0x4
	s_load_dwordx4 s[28:31], s[50:51], 0x24
	s_load_dwordx8 s[0:7], s[52:53], 0x0
	s_add_u32 s50, s50, 48
	s_addc_u32 s51, s51, 0
	s_waitcnt lgkmcnt(0)
	v_mul_hi_u32 v1, s9, v4
	v_add_u32_e32 v1, v4, v1
	v_lshrrev_b32_e32 v1, s10, v1
	v_mul_lo_u32 v3, v1, s8
	v_mul_hi_u32 v5, s12, v1
	v_sub_u32_e32 v3, v4, v3
	v_add_u32_e32 v4, v1, v5
	v_lshrrev_b32_e32 v4, s13, v4
	v_mul_lo_u32 v6, v4, s11
	v_mul_hi_u32 v7, s15, v4
	v_sub_u32_e32 v1, v1, v6
	v_add_u32_e32 v6, v4, v7
	v_mul_lo_u32 v5, v3, s1
	v_mul_lo_u32 v3, v3, s0
	v_mul_lo_u32 v7, v1, s3
	v_mul_lo_u32 v1, v1, s2
	v_lshrrev_b32_e32 v6, s28, v6
	v_add3_u32 v0, v3, v0, v1
	v_mul_hi_u32 v3, s30, v6
	v_add3_u32 v1, v5, v2, v7
	v_mul_lo_u32 v2, v6, s14
	v_add_u32_e32 v3, v6, v3
	v_sub_u32_e32 v2, v4, v2
	v_lshrrev_b32_e32 v4, s31, v3
	s_add_i32 s61, s61, 4
	v_mul_lo_u32 v3, v4, s29
	s_add_u32 s52, s52, 32
	v_sub_u32_e32 v3, v6, v3
	s_addc_u32 s53, s53, 0
	v_mul_lo_u32 v5, v2, s4
	v_mul_lo_u32 v2, v2, s5
	;; [unrolled: 1-line block ×4, first 2 shown]
	s_cmp_eq_u32 s59, s61
	v_add3_u32 v2, v2, v1, v3
	v_add3_u32 v0, v5, v0, v6
	s_cbranch_scc0 .LBB279_180
; %bb.181:
	v_mov_b32_e32 v1, v2
	s_branch .LBB279_202
.LBB279_182:
                                        ; implicit-def: $vgpr2
                                        ; implicit-def: $vgpr0
	s_branch .LBB279_206
.LBB279_183:
	v_mov_b32_e32 v2, 0
	v_mov_b32_e32 v0, 0
	s_branch .LBB279_205
.LBB279_184:
	v_mov_b32_e32 v0, 0
	s_mov_b32 s59, 0
	v_mov_b32_e32 v1, v0
                                        ; implicit-def: $vgpr2
	v_mov_b32_e32 v4, v24
.LBB279_185:
	s_and_b32 s4, s60, 3
	s_cmp_eq_u32 s4, 0
	s_cbranch_scc1 .LBB279_188
; %bb.186:
	s_lshl_b32 s0, s59, 3
	s_add_u32 s0, s34, s0
	s_addc_u32 s1, s35, 0
	s_add_u32 s0, s0, 0xc4
	s_addc_u32 s1, s1, 0
	s_mul_i32 s2, s59, 12
	s_add_u32 s2, s34, s2
	s_addc_u32 s3, s35, 0
.LBB279_187:                            ; =>This Inner Loop Header: Depth=1
	s_load_dwordx2 s[6:7], s[2:3], 0x4
	s_load_dword s5, s[2:3], 0xc
	s_load_dwordx2 s[8:9], s[0:1], 0x0
	v_mov_b32_e32 v2, v1
	s_add_u32 s2, s2, 12
	s_waitcnt lgkmcnt(0)
	v_mul_hi_u32 v1, s7, v4
	v_add_u32_e32 v1, v4, v1
	v_lshrrev_b32_e32 v1, s5, v1
	s_addc_u32 s3, s3, 0
	v_mul_lo_u32 v3, v1, s6
	s_add_u32 s0, s0, 8
	v_sub_u32_e32 v5, v4, v3
	s_addc_u32 s1, s1, 0
	s_add_i32 s4, s4, -1
	v_mov_b32_e32 v4, v1
	v_mad_u64_u32 v[2:3], s[6:7], v5, s9, v[2:3]
	v_mad_u64_u32 v[0:1], s[6:7], v5, s8, v[0:1]
	s_cmp_lg_u32 s4, 0
	v_mov_b32_e32 v1, v2
	s_cbranch_scc1 .LBB279_187
.LBB279_188:
	s_cbranch_execnz .LBB279_191
.LBB279_189:
	v_mul_hi_u32 v0, s21, v24
	v_add_u32_e32 v0, v24, v0
	v_lshrrev_b32_e32 v1, s22, v0
	v_mul_lo_u32 v0, v1, s20
	v_sub_u32_e32 v0, v24, v0
	v_mul_lo_u32 v2, v0, s25
	s_andn2_b64 vcc, exec, s[42:43]
	v_mul_lo_u32 v0, v0, s24
	s_cbranch_vccnz .LBB279_191
; %bb.190:
	v_mul_hi_u32 v3, s40, v1
	v_add_u32_e32 v3, v1, v3
	v_lshrrev_b32_e32 v3, s41, v3
	v_mul_lo_u32 v3, v3, s23
	v_sub_u32_e32 v3, v1, v3
	v_mad_u64_u32 v[0:1], s[0:1], v3, s26, v[0:1]
	v_mad_u64_u32 v[2:3], s[0:1], v3, s27, v[2:3]
.LBB279_191:
	global_load_ubyte v1, v2, s[18:19]
	s_and_b32 s0, s55, 0xff
	v_add_u32_e32 v24, 0x80, v24
	s_waitcnt vmcnt(0)
	v_max_u16_e32 v1, s0, v1
	v_min_u16_e32 v1, s56, v1
	global_store_byte v0, v1, s[16:17]
	s_or_b64 exec, exec, s[48:49]
	v_cmp_gt_i32_e32 vcc, s57, v24
	s_and_saveexec_b64 s[48:49], vcc
	s_cbranch_execnz .LBB279_176
.LBB279_192:
	s_or_b64 exec, exec, s[48:49]
	v_cmp_gt_i32_e32 vcc, s57, v24
	s_and_saveexec_b64 s[48:49], vcc
	s_cbranch_execz .LBB279_209
.LBB279_193:
	s_andn2_b64 vcc, exec, s[36:37]
	s_cbranch_vccnz .LBB279_199
; %bb.194:
	s_andn2_b64 vcc, exec, s[46:47]
	s_cbranch_vccnz .LBB279_200
; %bb.195:
	s_add_i32 s60, s58, 1
	s_cmp_eq_u32 s54, 2
	s_cbranch_scc1 .LBB279_218
; %bb.196:
	s_and_b32 s59, s60, 28
	s_mov_b32 s61, 0
	v_mov_b32_e32 v0, 0
	v_mov_b32_e32 v2, 0
	s_mov_b64 s[50:51], s[34:35]
	s_mov_b64 s[52:53], s[44:45]
	v_mov_b32_e32 v4, v24
.LBB279_197:                            ; =>This Inner Loop Header: Depth=1
	s_load_dwordx8 s[8:15], s[50:51], 0x4
	s_load_dwordx4 s[28:31], s[50:51], 0x24
	s_load_dwordx8 s[0:7], s[52:53], 0x0
	s_add_u32 s50, s50, 48
	s_addc_u32 s51, s51, 0
	s_waitcnt lgkmcnt(0)
	v_mul_hi_u32 v1, s9, v4
	v_add_u32_e32 v1, v4, v1
	v_lshrrev_b32_e32 v1, s10, v1
	v_mul_lo_u32 v3, v1, s8
	v_mul_hi_u32 v5, s12, v1
	v_sub_u32_e32 v3, v4, v3
	v_add_u32_e32 v4, v1, v5
	v_lshrrev_b32_e32 v4, s13, v4
	v_mul_lo_u32 v6, v4, s11
	v_mul_hi_u32 v7, s15, v4
	v_sub_u32_e32 v1, v1, v6
	v_add_u32_e32 v6, v4, v7
	v_mul_lo_u32 v5, v3, s1
	v_mul_lo_u32 v3, v3, s0
	;; [unrolled: 1-line block ×4, first 2 shown]
	v_lshrrev_b32_e32 v6, s28, v6
	v_add3_u32 v0, v3, v0, v1
	v_mul_hi_u32 v3, s30, v6
	v_add3_u32 v1, v5, v2, v7
	v_mul_lo_u32 v2, v6, s14
	v_add_u32_e32 v3, v6, v3
	v_sub_u32_e32 v2, v4, v2
	v_lshrrev_b32_e32 v4, s31, v3
	s_add_i32 s61, s61, 4
	v_mul_lo_u32 v3, v4, s29
	s_add_u32 s52, s52, 32
	v_sub_u32_e32 v3, v6, v3
	s_addc_u32 s53, s53, 0
	v_mul_lo_u32 v5, v2, s4
	v_mul_lo_u32 v2, v2, s5
	;; [unrolled: 1-line block ×4, first 2 shown]
	s_cmp_eq_u32 s59, s61
	v_add3_u32 v2, v2, v1, v3
	v_add3_u32 v0, v5, v0, v6
	s_cbranch_scc0 .LBB279_197
; %bb.198:
	v_mov_b32_e32 v1, v2
	s_branch .LBB279_219
.LBB279_199:
                                        ; implicit-def: $vgpr2
                                        ; implicit-def: $vgpr0
	s_branch .LBB279_223
.LBB279_200:
	v_mov_b32_e32 v2, 0
	v_mov_b32_e32 v0, 0
	s_branch .LBB279_222
.LBB279_201:
	v_mov_b32_e32 v0, 0
	s_mov_b32 s59, 0
	v_mov_b32_e32 v1, v0
                                        ; implicit-def: $vgpr2
	v_mov_b32_e32 v4, v24
.LBB279_202:
	s_and_b32 s4, s60, 3
	s_cmp_eq_u32 s4, 0
	s_cbranch_scc1 .LBB279_205
; %bb.203:
	s_lshl_b32 s0, s59, 3
	s_add_u32 s0, s34, s0
	s_addc_u32 s1, s35, 0
	s_add_u32 s0, s0, 0xc4
	s_addc_u32 s1, s1, 0
	s_mul_i32 s2, s59, 12
	s_add_u32 s2, s34, s2
	s_addc_u32 s3, s35, 0
.LBB279_204:                            ; =>This Inner Loop Header: Depth=1
	s_load_dwordx2 s[6:7], s[2:3], 0x4
	s_load_dword s5, s[2:3], 0xc
	s_load_dwordx2 s[8:9], s[0:1], 0x0
	v_mov_b32_e32 v2, v1
	s_add_u32 s2, s2, 12
	s_waitcnt lgkmcnt(0)
	v_mul_hi_u32 v1, s7, v4
	v_add_u32_e32 v1, v4, v1
	v_lshrrev_b32_e32 v1, s5, v1
	s_addc_u32 s3, s3, 0
	v_mul_lo_u32 v3, v1, s6
	s_add_u32 s0, s0, 8
	v_sub_u32_e32 v5, v4, v3
	s_addc_u32 s1, s1, 0
	s_add_i32 s4, s4, -1
	v_mov_b32_e32 v4, v1
	v_mad_u64_u32 v[2:3], s[6:7], v5, s9, v[2:3]
	v_mad_u64_u32 v[0:1], s[6:7], v5, s8, v[0:1]
	s_cmp_lg_u32 s4, 0
	v_mov_b32_e32 v1, v2
	s_cbranch_scc1 .LBB279_204
.LBB279_205:
	s_cbranch_execnz .LBB279_208
.LBB279_206:
	v_mul_hi_u32 v0, s21, v24
	v_add_u32_e32 v0, v24, v0
	v_lshrrev_b32_e32 v1, s22, v0
	v_mul_lo_u32 v0, v1, s20
	v_sub_u32_e32 v0, v24, v0
	v_mul_lo_u32 v2, v0, s25
	s_andn2_b64 vcc, exec, s[42:43]
	v_mul_lo_u32 v0, v0, s24
	s_cbranch_vccnz .LBB279_208
; %bb.207:
	v_mul_hi_u32 v3, s40, v1
	v_add_u32_e32 v3, v1, v3
	v_lshrrev_b32_e32 v3, s41, v3
	v_mul_lo_u32 v3, v3, s23
	v_sub_u32_e32 v3, v1, v3
	v_mad_u64_u32 v[0:1], s[0:1], v3, s26, v[0:1]
	v_mad_u64_u32 v[2:3], s[0:1], v3, s27, v[2:3]
.LBB279_208:
	global_load_ubyte v1, v2, s[18:19]
	s_and_b32 s0, s55, 0xff
	v_add_u32_e32 v24, 0x80, v24
	s_waitcnt vmcnt(0)
	v_max_u16_e32 v1, s0, v1
	v_min_u16_e32 v1, s56, v1
	global_store_byte v0, v1, s[16:17]
	s_or_b64 exec, exec, s[48:49]
	v_cmp_gt_i32_e32 vcc, s57, v24
	s_and_saveexec_b64 s[48:49], vcc
	s_cbranch_execnz .LBB279_193
.LBB279_209:
	s_or_b64 exec, exec, s[48:49]
	v_cmp_gt_i32_e32 vcc, s57, v24
	s_and_saveexec_b64 s[48:49], vcc
	s_cbranch_execz .LBB279_226
.LBB279_210:
	s_andn2_b64 vcc, exec, s[36:37]
	s_cbranch_vccnz .LBB279_216
; %bb.211:
	s_andn2_b64 vcc, exec, s[46:47]
	s_cbranch_vccnz .LBB279_217
; %bb.212:
	s_add_i32 s60, s58, 1
	s_cmp_eq_u32 s54, 2
	s_cbranch_scc1 .LBB279_229
; %bb.213:
	s_and_b32 s59, s60, 28
	s_mov_b32 s61, 0
	v_mov_b32_e32 v0, 0
	v_mov_b32_e32 v2, 0
	s_mov_b64 s[50:51], s[34:35]
	s_mov_b64 s[52:53], s[44:45]
	v_mov_b32_e32 v4, v24
.LBB279_214:                            ; =>This Inner Loop Header: Depth=1
	s_load_dwordx8 s[8:15], s[50:51], 0x4
	s_load_dwordx4 s[28:31], s[50:51], 0x24
	s_load_dwordx8 s[0:7], s[52:53], 0x0
	s_add_u32 s50, s50, 48
	s_addc_u32 s51, s51, 0
	s_waitcnt lgkmcnt(0)
	v_mul_hi_u32 v1, s9, v4
	v_add_u32_e32 v1, v4, v1
	v_lshrrev_b32_e32 v1, s10, v1
	v_mul_lo_u32 v3, v1, s8
	v_mul_hi_u32 v5, s12, v1
	v_sub_u32_e32 v3, v4, v3
	v_add_u32_e32 v4, v1, v5
	v_lshrrev_b32_e32 v4, s13, v4
	v_mul_lo_u32 v6, v4, s11
	v_mul_hi_u32 v7, s15, v4
	v_sub_u32_e32 v1, v1, v6
	v_add_u32_e32 v6, v4, v7
	v_mul_lo_u32 v5, v3, s1
	v_mul_lo_u32 v3, v3, s0
	;; [unrolled: 1-line block ×4, first 2 shown]
	v_lshrrev_b32_e32 v6, s28, v6
	v_add3_u32 v0, v3, v0, v1
	v_mul_hi_u32 v3, s30, v6
	v_add3_u32 v1, v5, v2, v7
	v_mul_lo_u32 v2, v6, s14
	v_add_u32_e32 v3, v6, v3
	v_sub_u32_e32 v2, v4, v2
	v_lshrrev_b32_e32 v4, s31, v3
	s_add_i32 s61, s61, 4
	v_mul_lo_u32 v3, v4, s29
	s_add_u32 s52, s52, 32
	v_sub_u32_e32 v3, v6, v3
	s_addc_u32 s53, s53, 0
	v_mul_lo_u32 v5, v2, s4
	v_mul_lo_u32 v2, v2, s5
	;; [unrolled: 1-line block ×4, first 2 shown]
	s_cmp_eq_u32 s59, s61
	v_add3_u32 v2, v2, v1, v3
	v_add3_u32 v0, v5, v0, v6
	s_cbranch_scc0 .LBB279_214
; %bb.215:
	v_mov_b32_e32 v1, v2
	s_branch .LBB279_230
.LBB279_216:
                                        ; implicit-def: $vgpr2
                                        ; implicit-def: $vgpr0
	s_branch .LBB279_234
.LBB279_217:
	v_mov_b32_e32 v2, 0
	v_mov_b32_e32 v0, 0
	s_branch .LBB279_233
.LBB279_218:
	v_mov_b32_e32 v0, 0
	s_mov_b32 s59, 0
	v_mov_b32_e32 v1, v0
                                        ; implicit-def: $vgpr2
	v_mov_b32_e32 v4, v24
.LBB279_219:
	s_and_b32 s4, s60, 3
	s_cmp_eq_u32 s4, 0
	s_cbranch_scc1 .LBB279_222
; %bb.220:
	s_lshl_b32 s0, s59, 3
	s_add_u32 s0, s34, s0
	s_addc_u32 s1, s35, 0
	s_add_u32 s0, s0, 0xc4
	s_addc_u32 s1, s1, 0
	s_mul_i32 s2, s59, 12
	s_add_u32 s2, s34, s2
	s_addc_u32 s3, s35, 0
.LBB279_221:                            ; =>This Inner Loop Header: Depth=1
	s_load_dwordx2 s[6:7], s[2:3], 0x4
	s_load_dword s5, s[2:3], 0xc
	s_load_dwordx2 s[8:9], s[0:1], 0x0
	v_mov_b32_e32 v2, v1
	s_add_u32 s2, s2, 12
	s_waitcnt lgkmcnt(0)
	v_mul_hi_u32 v1, s7, v4
	v_add_u32_e32 v1, v4, v1
	v_lshrrev_b32_e32 v1, s5, v1
	s_addc_u32 s3, s3, 0
	v_mul_lo_u32 v3, v1, s6
	s_add_u32 s0, s0, 8
	v_sub_u32_e32 v5, v4, v3
	s_addc_u32 s1, s1, 0
	s_add_i32 s4, s4, -1
	v_mov_b32_e32 v4, v1
	v_mad_u64_u32 v[2:3], s[6:7], v5, s9, v[2:3]
	v_mad_u64_u32 v[0:1], s[6:7], v5, s8, v[0:1]
	s_cmp_lg_u32 s4, 0
	v_mov_b32_e32 v1, v2
	s_cbranch_scc1 .LBB279_221
.LBB279_222:
	s_cbranch_execnz .LBB279_225
.LBB279_223:
	v_mul_hi_u32 v0, s21, v24
	v_add_u32_e32 v0, v24, v0
	v_lshrrev_b32_e32 v1, s22, v0
	v_mul_lo_u32 v0, v1, s20
	v_sub_u32_e32 v0, v24, v0
	v_mul_lo_u32 v2, v0, s25
	s_andn2_b64 vcc, exec, s[42:43]
	v_mul_lo_u32 v0, v0, s24
	s_cbranch_vccnz .LBB279_225
; %bb.224:
	v_mul_hi_u32 v3, s40, v1
	v_add_u32_e32 v3, v1, v3
	v_lshrrev_b32_e32 v3, s41, v3
	v_mul_lo_u32 v3, v3, s23
	v_sub_u32_e32 v3, v1, v3
	v_mad_u64_u32 v[0:1], s[0:1], v3, s26, v[0:1]
	v_mad_u64_u32 v[2:3], s[0:1], v3, s27, v[2:3]
.LBB279_225:
	global_load_ubyte v1, v2, s[18:19]
	s_and_b32 s0, s55, 0xff
	v_add_u32_e32 v24, 0x80, v24
	s_waitcnt vmcnt(0)
	v_max_u16_e32 v1, s0, v1
	v_min_u16_e32 v1, s56, v1
	global_store_byte v0, v1, s[16:17]
	s_or_b64 exec, exec, s[48:49]
	v_cmp_gt_i32_e32 vcc, s57, v24
	s_and_saveexec_b64 s[48:49], vcc
	s_cbranch_execnz .LBB279_210
.LBB279_226:
	s_or_b64 exec, exec, s[48:49]
	v_cmp_gt_i32_e32 vcc, s57, v24
	s_and_saveexec_b64 s[48:49], vcc
	s_cbranch_execnz .LBB279_237
.LBB279_227:
	s_or_b64 exec, exec, s[48:49]
                                        ; implicit-def: $vgpr32
                                        ; implicit-def: $vgpr24
	s_andn2_saveexec_b64 s[0:1], s[38:39]
	s_cbranch_execnz .LBB279_9
.LBB279_228:
	s_endpgm
.LBB279_229:
	v_mov_b32_e32 v0, 0
	s_mov_b32 s59, 0
	v_mov_b32_e32 v1, v0
                                        ; implicit-def: $vgpr2
	v_mov_b32_e32 v4, v24
.LBB279_230:
	s_and_b32 s4, s60, 3
	s_cmp_eq_u32 s4, 0
	s_cbranch_scc1 .LBB279_233
; %bb.231:
	s_lshl_b32 s0, s59, 3
	s_add_u32 s0, s34, s0
	s_addc_u32 s1, s35, 0
	s_add_u32 s0, s0, 0xc4
	s_addc_u32 s1, s1, 0
	s_mul_i32 s2, s59, 12
	s_add_u32 s2, s34, s2
	s_addc_u32 s3, s35, 0
.LBB279_232:                            ; =>This Inner Loop Header: Depth=1
	s_load_dwordx2 s[6:7], s[2:3], 0x4
	s_load_dword s5, s[2:3], 0xc
	s_load_dwordx2 s[8:9], s[0:1], 0x0
	v_mov_b32_e32 v2, v1
	s_add_u32 s2, s2, 12
	s_waitcnt lgkmcnt(0)
	v_mul_hi_u32 v1, s7, v4
	v_add_u32_e32 v1, v4, v1
	v_lshrrev_b32_e32 v1, s5, v1
	s_addc_u32 s3, s3, 0
	v_mul_lo_u32 v3, v1, s6
	s_add_u32 s0, s0, 8
	v_sub_u32_e32 v5, v4, v3
	s_addc_u32 s1, s1, 0
	s_add_i32 s4, s4, -1
	v_mov_b32_e32 v4, v1
	v_mad_u64_u32 v[2:3], s[6:7], v5, s9, v[2:3]
	v_mad_u64_u32 v[0:1], s[6:7], v5, s8, v[0:1]
	s_cmp_lg_u32 s4, 0
	v_mov_b32_e32 v1, v2
	s_cbranch_scc1 .LBB279_232
.LBB279_233:
	s_cbranch_execnz .LBB279_236
.LBB279_234:
	v_mul_hi_u32 v0, s21, v24
	v_add_u32_e32 v0, v24, v0
	v_lshrrev_b32_e32 v1, s22, v0
	v_mul_lo_u32 v0, v1, s20
	v_sub_u32_e32 v0, v24, v0
	v_mul_lo_u32 v2, v0, s25
	s_andn2_b64 vcc, exec, s[42:43]
	v_mul_lo_u32 v0, v0, s24
	s_cbranch_vccnz .LBB279_236
; %bb.235:
	v_mul_hi_u32 v3, s40, v1
	v_add_u32_e32 v3, v1, v3
	v_lshrrev_b32_e32 v3, s41, v3
	v_mul_lo_u32 v3, v3, s23
	v_sub_u32_e32 v3, v1, v3
	v_mad_u64_u32 v[0:1], s[0:1], v3, s26, v[0:1]
	v_mad_u64_u32 v[2:3], s[0:1], v3, s27, v[2:3]
.LBB279_236:
	global_load_ubyte v1, v2, s[18:19]
	s_and_b32 s0, s55, 0xff
	v_add_u32_e32 v24, 0x80, v24
	s_waitcnt vmcnt(0)
	v_max_u16_e32 v1, s0, v1
	v_min_u16_e32 v1, s56, v1
	global_store_byte v0, v1, s[16:17]
	s_or_b64 exec, exec, s[48:49]
	v_cmp_gt_i32_e32 vcc, s57, v24
	s_and_saveexec_b64 s[48:49], vcc
	s_cbranch_execz .LBB279_227
.LBB279_237:
	s_andn2_b64 vcc, exec, s[36:37]
	s_cbranch_vccnz .LBB279_243
; %bb.238:
	s_andn2_b64 vcc, exec, s[46:47]
	s_cbranch_vccnz .LBB279_244
; %bb.239:
	s_add_i32 s58, s58, 1
	s_cmp_eq_u32 s54, 2
	s_cbranch_scc1 .LBB279_245
; %bb.240:
	s_and_b32 s50, s58, 28
	s_mov_b32 s51, 0
	v_mov_b32_e32 v0, 0
	v_mov_b32_e32 v2, 0
	s_mov_b64 s[46:47], s[34:35]
	v_mov_b32_e32 v4, v24
.LBB279_241:                            ; =>This Inner Loop Header: Depth=1
	s_load_dwordx8 s[8:15], s[46:47], 0x4
	s_load_dwordx4 s[28:31], s[46:47], 0x24
	s_load_dwordx8 s[0:7], s[44:45], 0x0
	s_add_u32 s46, s46, 48
	s_addc_u32 s47, s47, 0
	s_waitcnt lgkmcnt(0)
	v_mul_hi_u32 v1, s9, v4
	v_add_u32_e32 v1, v4, v1
	v_lshrrev_b32_e32 v1, s10, v1
	v_mul_lo_u32 v3, v1, s8
	v_mul_hi_u32 v5, s12, v1
	v_sub_u32_e32 v3, v4, v3
	v_add_u32_e32 v4, v1, v5
	v_lshrrev_b32_e32 v4, s13, v4
	v_mul_lo_u32 v6, v4, s11
	v_mul_hi_u32 v7, s15, v4
	v_sub_u32_e32 v1, v1, v6
	v_add_u32_e32 v6, v4, v7
	v_mul_lo_u32 v5, v3, s1
	v_mul_lo_u32 v3, v3, s0
	;; [unrolled: 1-line block ×4, first 2 shown]
	v_lshrrev_b32_e32 v6, s28, v6
	v_add3_u32 v0, v3, v0, v1
	v_mul_hi_u32 v3, s30, v6
	v_add3_u32 v1, v5, v2, v7
	v_mul_lo_u32 v2, v6, s14
	v_add_u32_e32 v3, v6, v3
	v_sub_u32_e32 v2, v4, v2
	v_lshrrev_b32_e32 v4, s31, v3
	s_add_i32 s51, s51, 4
	v_mul_lo_u32 v3, v4, s29
	s_add_u32 s44, s44, 32
	v_sub_u32_e32 v3, v6, v3
	s_addc_u32 s45, s45, 0
	v_mul_lo_u32 v5, v2, s4
	v_mul_lo_u32 v2, v2, s5
	v_mul_lo_u32 v6, v3, s6
	v_mul_lo_u32 v3, v3, s7
	s_cmp_eq_u32 s50, s51
	v_add3_u32 v2, v2, v1, v3
	v_add3_u32 v0, v5, v0, v6
	s_cbranch_scc0 .LBB279_241
; %bb.242:
	v_mov_b32_e32 v1, v2
	s_branch .LBB279_246
.LBB279_243:
                                        ; implicit-def: $vgpr2
                                        ; implicit-def: $vgpr0
	s_branch .LBB279_250
.LBB279_244:
	v_mov_b32_e32 v2, 0
	v_mov_b32_e32 v0, 0
	s_branch .LBB279_249
.LBB279_245:
	v_mov_b32_e32 v0, 0
	s_mov_b32 s50, 0
	v_mov_b32_e32 v1, v0
                                        ; implicit-def: $vgpr2
	v_mov_b32_e32 v4, v24
.LBB279_246:
	s_and_b32 s4, s58, 3
	s_cmp_eq_u32 s4, 0
	s_cbranch_scc1 .LBB279_249
; %bb.247:
	s_lshl_b32 s0, s50, 3
	s_add_u32 s0, s34, s0
	s_addc_u32 s1, s35, 0
	s_add_u32 s0, s0, 0xc4
	s_addc_u32 s1, s1, 0
	s_mul_i32 s2, s50, 12
	s_add_u32 s2, s34, s2
	s_addc_u32 s3, s35, 0
.LBB279_248:                            ; =>This Inner Loop Header: Depth=1
	s_load_dwordx2 s[6:7], s[2:3], 0x4
	s_load_dword s5, s[2:3], 0xc
	s_load_dwordx2 s[8:9], s[0:1], 0x0
	v_mov_b32_e32 v2, v1
	s_add_u32 s2, s2, 12
	s_waitcnt lgkmcnt(0)
	v_mul_hi_u32 v1, s7, v4
	v_add_u32_e32 v1, v4, v1
	v_lshrrev_b32_e32 v1, s5, v1
	s_addc_u32 s3, s3, 0
	v_mul_lo_u32 v3, v1, s6
	s_add_u32 s0, s0, 8
	v_sub_u32_e32 v5, v4, v3
	s_addc_u32 s1, s1, 0
	s_add_i32 s4, s4, -1
	v_mov_b32_e32 v4, v1
	v_mad_u64_u32 v[2:3], s[6:7], v5, s9, v[2:3]
	v_mad_u64_u32 v[0:1], s[6:7], v5, s8, v[0:1]
	s_cmp_lg_u32 s4, 0
	v_mov_b32_e32 v1, v2
	s_cbranch_scc1 .LBB279_248
.LBB279_249:
	s_cbranch_execnz .LBB279_252
.LBB279_250:
	v_mul_hi_u32 v0, s21, v24
	v_add_u32_e32 v0, v24, v0
	v_lshrrev_b32_e32 v1, s22, v0
	v_mul_lo_u32 v0, v1, s20
	v_sub_u32_e32 v0, v24, v0
	v_mul_lo_u32 v2, v0, s25
	s_andn2_b64 vcc, exec, s[42:43]
	v_mul_lo_u32 v0, v0, s24
	s_cbranch_vccnz .LBB279_252
; %bb.251:
	v_mul_hi_u32 v3, s40, v1
	v_add_u32_e32 v3, v1, v3
	v_lshrrev_b32_e32 v3, s41, v3
	v_mul_lo_u32 v3, v3, s23
	v_sub_u32_e32 v3, v1, v3
	v_mad_u64_u32 v[0:1], s[0:1], v3, s26, v[0:1]
	v_mad_u64_u32 v[2:3], s[0:1], v3, s27, v[2:3]
.LBB279_252:
	global_load_ubyte v1, v2, s[18:19]
	s_and_b32 s0, s55, 0xff
	s_waitcnt vmcnt(0)
	v_max_u16_e32 v1, s0, v1
	v_min_u16_e32 v1, s56, v1
	global_store_byte v0, v1, s[16:17]
	s_or_b64 exec, exec, s[48:49]
                                        ; implicit-def: $vgpr32
                                        ; implicit-def: $vgpr24
	s_andn2_saveexec_b64 s[0:1], s[38:39]
	s_cbranch_execz .LBB279_228
	s_branch .LBB279_9
	.section	.rodata,"a",@progbits
	.p2align	6, 0x0
	.amdhsa_kernel _ZN2at6native32elementwise_kernel_manual_unrollILi128ELi8EZNS0_22gpu_kernel_impl_nocastIZZZNS0_17clamp_kernel_cudaERNS_18TensorIteratorBaseERKN3c106ScalarES8_ENKUlvE_clEvENKUlvE_clEvEUlhE_EEvS4_RKT_EUlibE_EEviT1_
		.amdhsa_group_segment_fixed_size 0
		.amdhsa_private_segment_fixed_size 0
		.amdhsa_kernarg_size 360
		.amdhsa_user_sgpr_count 2
		.amdhsa_user_sgpr_dispatch_ptr 0
		.amdhsa_user_sgpr_queue_ptr 0
		.amdhsa_user_sgpr_kernarg_segment_ptr 1
		.amdhsa_user_sgpr_dispatch_id 0
		.amdhsa_user_sgpr_kernarg_preload_length 0
		.amdhsa_user_sgpr_kernarg_preload_offset 0
		.amdhsa_user_sgpr_private_segment_size 0
		.amdhsa_uses_dynamic_stack 0
		.amdhsa_enable_private_segment 0
		.amdhsa_system_sgpr_workgroup_id_x 1
		.amdhsa_system_sgpr_workgroup_id_y 0
		.amdhsa_system_sgpr_workgroup_id_z 0
		.amdhsa_system_sgpr_workgroup_info 0
		.amdhsa_system_vgpr_workitem_id 0
		.amdhsa_next_free_vgpr 33
		.amdhsa_next_free_sgpr 62
		.amdhsa_accum_offset 36
		.amdhsa_reserve_vcc 1
		.amdhsa_float_round_mode_32 0
		.amdhsa_float_round_mode_16_64 0
		.amdhsa_float_denorm_mode_32 3
		.amdhsa_float_denorm_mode_16_64 3
		.amdhsa_dx10_clamp 1
		.amdhsa_ieee_mode 1
		.amdhsa_fp16_overflow 0
		.amdhsa_tg_split 0
		.amdhsa_exception_fp_ieee_invalid_op 0
		.amdhsa_exception_fp_denorm_src 0
		.amdhsa_exception_fp_ieee_div_zero 0
		.amdhsa_exception_fp_ieee_overflow 0
		.amdhsa_exception_fp_ieee_underflow 0
		.amdhsa_exception_fp_ieee_inexact 0
		.amdhsa_exception_int_div_zero 0
	.end_amdhsa_kernel
	.section	.text._ZN2at6native32elementwise_kernel_manual_unrollILi128ELi8EZNS0_22gpu_kernel_impl_nocastIZZZNS0_17clamp_kernel_cudaERNS_18TensorIteratorBaseERKN3c106ScalarES8_ENKUlvE_clEvENKUlvE_clEvEUlhE_EEvS4_RKT_EUlibE_EEviT1_,"axG",@progbits,_ZN2at6native32elementwise_kernel_manual_unrollILi128ELi8EZNS0_22gpu_kernel_impl_nocastIZZZNS0_17clamp_kernel_cudaERNS_18TensorIteratorBaseERKN3c106ScalarES8_ENKUlvE_clEvENKUlvE_clEvEUlhE_EEvS4_RKT_EUlibE_EEviT1_,comdat
.Lfunc_end279:
	.size	_ZN2at6native32elementwise_kernel_manual_unrollILi128ELi8EZNS0_22gpu_kernel_impl_nocastIZZZNS0_17clamp_kernel_cudaERNS_18TensorIteratorBaseERKN3c106ScalarES8_ENKUlvE_clEvENKUlvE_clEvEUlhE_EEvS4_RKT_EUlibE_EEviT1_, .Lfunc_end279-_ZN2at6native32elementwise_kernel_manual_unrollILi128ELi8EZNS0_22gpu_kernel_impl_nocastIZZZNS0_17clamp_kernel_cudaERNS_18TensorIteratorBaseERKN3c106ScalarES8_ENKUlvE_clEvENKUlvE_clEvEUlhE_EEvS4_RKT_EUlibE_EEviT1_
                                        ; -- End function
	.set _ZN2at6native32elementwise_kernel_manual_unrollILi128ELi8EZNS0_22gpu_kernel_impl_nocastIZZZNS0_17clamp_kernel_cudaERNS_18TensorIteratorBaseERKN3c106ScalarES8_ENKUlvE_clEvENKUlvE_clEvEUlhE_EEvS4_RKT_EUlibE_EEviT1_.num_vgpr, 33
	.set _ZN2at6native32elementwise_kernel_manual_unrollILi128ELi8EZNS0_22gpu_kernel_impl_nocastIZZZNS0_17clamp_kernel_cudaERNS_18TensorIteratorBaseERKN3c106ScalarES8_ENKUlvE_clEvENKUlvE_clEvEUlhE_EEvS4_RKT_EUlibE_EEviT1_.num_agpr, 0
	.set _ZN2at6native32elementwise_kernel_manual_unrollILi128ELi8EZNS0_22gpu_kernel_impl_nocastIZZZNS0_17clamp_kernel_cudaERNS_18TensorIteratorBaseERKN3c106ScalarES8_ENKUlvE_clEvENKUlvE_clEvEUlhE_EEvS4_RKT_EUlibE_EEviT1_.numbered_sgpr, 62
	.set _ZN2at6native32elementwise_kernel_manual_unrollILi128ELi8EZNS0_22gpu_kernel_impl_nocastIZZZNS0_17clamp_kernel_cudaERNS_18TensorIteratorBaseERKN3c106ScalarES8_ENKUlvE_clEvENKUlvE_clEvEUlhE_EEvS4_RKT_EUlibE_EEviT1_.num_named_barrier, 0
	.set _ZN2at6native32elementwise_kernel_manual_unrollILi128ELi8EZNS0_22gpu_kernel_impl_nocastIZZZNS0_17clamp_kernel_cudaERNS_18TensorIteratorBaseERKN3c106ScalarES8_ENKUlvE_clEvENKUlvE_clEvEUlhE_EEvS4_RKT_EUlibE_EEviT1_.private_seg_size, 0
	.set _ZN2at6native32elementwise_kernel_manual_unrollILi128ELi8EZNS0_22gpu_kernel_impl_nocastIZZZNS0_17clamp_kernel_cudaERNS_18TensorIteratorBaseERKN3c106ScalarES8_ENKUlvE_clEvENKUlvE_clEvEUlhE_EEvS4_RKT_EUlibE_EEviT1_.uses_vcc, 1
	.set _ZN2at6native32elementwise_kernel_manual_unrollILi128ELi8EZNS0_22gpu_kernel_impl_nocastIZZZNS0_17clamp_kernel_cudaERNS_18TensorIteratorBaseERKN3c106ScalarES8_ENKUlvE_clEvENKUlvE_clEvEUlhE_EEvS4_RKT_EUlibE_EEviT1_.uses_flat_scratch, 0
	.set _ZN2at6native32elementwise_kernel_manual_unrollILi128ELi8EZNS0_22gpu_kernel_impl_nocastIZZZNS0_17clamp_kernel_cudaERNS_18TensorIteratorBaseERKN3c106ScalarES8_ENKUlvE_clEvENKUlvE_clEvEUlhE_EEvS4_RKT_EUlibE_EEviT1_.has_dyn_sized_stack, 0
	.set _ZN2at6native32elementwise_kernel_manual_unrollILi128ELi8EZNS0_22gpu_kernel_impl_nocastIZZZNS0_17clamp_kernel_cudaERNS_18TensorIteratorBaseERKN3c106ScalarES8_ENKUlvE_clEvENKUlvE_clEvEUlhE_EEvS4_RKT_EUlibE_EEviT1_.has_recursion, 0
	.set _ZN2at6native32elementwise_kernel_manual_unrollILi128ELi8EZNS0_22gpu_kernel_impl_nocastIZZZNS0_17clamp_kernel_cudaERNS_18TensorIteratorBaseERKN3c106ScalarES8_ENKUlvE_clEvENKUlvE_clEvEUlhE_EEvS4_RKT_EUlibE_EEviT1_.has_indirect_call, 0
	.section	.AMDGPU.csdata,"",@progbits
; Kernel info:
; codeLenInByte = 11532
; TotalNumSgprs: 68
; NumVgprs: 33
; NumAgprs: 0
; TotalNumVgprs: 33
; ScratchSize: 0
; MemoryBound: 0
; FloatMode: 240
; IeeeMode: 1
; LDSByteSize: 0 bytes/workgroup (compile time only)
; SGPRBlocks: 8
; VGPRBlocks: 4
; NumSGPRsForWavesPerEU: 68
; NumVGPRsForWavesPerEU: 33
; AccumOffset: 36
; Occupancy: 8
; WaveLimiterHint : 1
; COMPUTE_PGM_RSRC2:SCRATCH_EN: 0
; COMPUTE_PGM_RSRC2:USER_SGPR: 2
; COMPUTE_PGM_RSRC2:TRAP_HANDLER: 0
; COMPUTE_PGM_RSRC2:TGID_X_EN: 1
; COMPUTE_PGM_RSRC2:TGID_Y_EN: 0
; COMPUTE_PGM_RSRC2:TGID_Z_EN: 0
; COMPUTE_PGM_RSRC2:TIDIG_COMP_CNT: 0
; COMPUTE_PGM_RSRC3_GFX90A:ACCUM_OFFSET: 8
; COMPUTE_PGM_RSRC3_GFX90A:TG_SPLIT: 0
	.section	.text._ZN2at6native32elementwise_kernel_manual_unrollILi128ELi4EZNS0_15gpu_kernel_implIZZZNS0_17clamp_kernel_cudaERNS_18TensorIteratorBaseERKN3c106ScalarES8_ENKUlvE_clEvENKUlvE_clEvEUlhE_EEvS4_RKT_EUlibE_EEviT1_,"axG",@progbits,_ZN2at6native32elementwise_kernel_manual_unrollILi128ELi4EZNS0_15gpu_kernel_implIZZZNS0_17clamp_kernel_cudaERNS_18TensorIteratorBaseERKN3c106ScalarES8_ENKUlvE_clEvENKUlvE_clEvEUlhE_EEvS4_RKT_EUlibE_EEviT1_,comdat
	.globl	_ZN2at6native32elementwise_kernel_manual_unrollILi128ELi4EZNS0_15gpu_kernel_implIZZZNS0_17clamp_kernel_cudaERNS_18TensorIteratorBaseERKN3c106ScalarES8_ENKUlvE_clEvENKUlvE_clEvEUlhE_EEvS4_RKT_EUlibE_EEviT1_ ; -- Begin function _ZN2at6native32elementwise_kernel_manual_unrollILi128ELi4EZNS0_15gpu_kernel_implIZZZNS0_17clamp_kernel_cudaERNS_18TensorIteratorBaseERKN3c106ScalarES8_ENKUlvE_clEvENKUlvE_clEvEUlhE_EEvS4_RKT_EUlibE_EEviT1_
	.p2align	8
	.type	_ZN2at6native32elementwise_kernel_manual_unrollILi128ELi4EZNS0_15gpu_kernel_implIZZZNS0_17clamp_kernel_cudaERNS_18TensorIteratorBaseERKN3c106ScalarES8_ENKUlvE_clEvENKUlvE_clEvEUlhE_EEvS4_RKT_EUlibE_EEviT1_,@function
_ZN2at6native32elementwise_kernel_manual_unrollILi128ELi4EZNS0_15gpu_kernel_implIZZZNS0_17clamp_kernel_cudaERNS_18TensorIteratorBaseERKN3c106ScalarES8_ENKUlvE_clEvENKUlvE_clEvEUlhE_EEvS4_RKT_EUlibE_EEviT1_: ; @_ZN2at6native32elementwise_kernel_manual_unrollILi128ELi4EZNS0_15gpu_kernel_implIZZZNS0_17clamp_kernel_cudaERNS_18TensorIteratorBaseERKN3c106ScalarES8_ENKUlvE_clEvENKUlvE_clEvEUlhE_EEvS4_RKT_EUlibE_EEviT1_
; %bb.0:
	s_load_dword s33, s[0:1], 0x20
	s_load_dwordx2 s[8:9], s[0:1], 0x18
	s_load_dword s38, s[0:1], 0x0
	s_load_dwordx4 s[4:7], s[0:1], 0x8
	v_lshl_or_b32 v10, s2, 9, v0
	v_or_b32_e32 v0, 0x180, v10
	s_waitcnt lgkmcnt(0)
	s_lshr_b32 s42, s33, 16
	s_lshr_b32 s43, s33, 8
	;; [unrolled: 1-line block ×3, first 2 shown]
	v_cmp_le_i32_e32 vcc, s38, v0
	s_mov_b64 s[2:3], 0
	s_mov_b64 s[12:13], 0
	s_and_saveexec_b64 s[0:1], vcc
	s_xor_b64 s[10:11], exec, s[0:1]
	s_cbranch_execz .LBB280_1011
; %bb.1:
	v_cmp_gt_i32_e32 vcc, s38, v10
	s_mov_b64 s[18:19], -1
	s_mov_b64 s[20:21], 0
	s_mov_b64 s[14:15], 0
	s_and_saveexec_b64 s[16:17], vcc
	s_cbranch_execz .LBB280_248
; %bb.2:
	v_mul_lo_u32 v0, v10, s9
	v_ashrrev_i32_e32 v1, 31, v0
	s_and_b32 s18, 0xffff, s44
	s_cmp_lt_i32 s18, 11
	v_lshl_add_u64 v[0:1], s[6:7], 0, v[0:1]
	s_cbranch_scc1 .LBB280_9
; %bb.3:
	s_cmp_gt_i32 s18, 25
	s_cbranch_scc0 .LBB280_18
; %bb.4:
	s_cmp_gt_i32 s18, 28
	s_cbranch_scc0 .LBB280_22
; %bb.5:
	s_cmp_gt_i32 s18, 43
	s_cbranch_scc0 .LBB280_24
; %bb.6:
	s_cmp_gt_i32 s18, 45
	s_cbranch_scc0 .LBB280_26
; %bb.7:
	s_cmp_eq_u32 s18, 46
	s_cbranch_scc0 .LBB280_28
; %bb.8:
	global_load_dword v2, v[0:1], off
	s_mov_b32 s0, 0x2f800000
	s_mov_b32 s1, 0xcf800000
	s_waitcnt vmcnt(0)
	v_lshlrev_b32_e32 v2, 16, v2
	v_trunc_f32_e32 v2, v2
	v_mul_f32_e64 v3, |v2|, s0
	v_floor_f32_e32 v3, v3
	v_fma_f32 v3, v3, s1, |v2|
	v_cvt_u32_f32_e32 v3, v3
	v_ashrrev_i32_e32 v2, 31, v2
	s_mov_b64 s[0:1], -1
	v_xor_b32_e32 v3, v3, v2
	v_sub_u32_e32 v2, v3, v2
	s_branch .LBB280_30
.LBB280_9:
                                        ; implicit-def: $vgpr2
	s_mov_b64 s[0:1], 0
	s_cbranch_execnz .LBB280_199
.LBB280_10:
	s_andn2_b64 vcc, exec, s[0:1]
	s_cbranch_vccnz .LBB280_246
.LBB280_11:
	s_and_b32 s0, s33, 0xff
	s_waitcnt vmcnt(0)
	v_max_u16_sdwa v0, v2, s0 dst_sel:DWORD dst_unused:UNUSED_PAD src0_sel:BYTE_0 src1_sel:DWORD
	v_mul_lo_u32 v2, v10, s8
	s_and_b32 s0, s43, 0xff
	v_ashrrev_i32_e32 v3, 31, v2
	s_and_b32 s24, s42, 0xff
	v_min_u16_e32 v0, s0, v0
	s_cmp_lt_i32 s24, 11
	v_lshl_add_u64 v[2:3], s[4:5], 0, v[2:3]
	s_cbranch_scc1 .LBB280_19
; %bb.12:
	s_and_b32 s25, 0xffff, s24
	s_cmp_gt_i32 s25, 25
	s_cbranch_scc0 .LBB280_23
; %bb.13:
	s_cmp_gt_i32 s25, 28
	s_cbranch_scc0 .LBB280_25
; %bb.14:
	;; [unrolled: 3-line block ×4, first 2 shown]
	s_mov_b64 s[18:19], 0
	s_mov_b64 s[0:1], -1
	s_cmp_eq_u32 s25, 46
	s_mov_b64 s[12:13], 0
	s_cbranch_scc0 .LBB280_34
; %bb.17:
	v_cvt_f32_ubyte0_e32 v1, v0
	v_bfe_u32 v4, v1, 16, 1
	s_movk_i32 s0, 0x7fff
	v_add3_u32 v1, v1, v4, s0
	v_lshrrev_b32_e32 v1, 16, v1
	global_store_dword v[2:3], v1, off
	s_mov_b64 s[12:13], -1
	s_mov_b64 s[0:1], 0
	s_branch .LBB280_34
.LBB280_18:
	s_mov_b64 s[0:1], 0
                                        ; implicit-def: $vgpr2
	s_cbranch_execnz .LBB280_166
	s_branch .LBB280_198
.LBB280_19:
	s_mov_b64 s[0:1], 0
	s_mov_b64 s[12:13], 0
	s_cbranch_execnz .LBB280_103
.LBB280_20:
	s_andn2_b64 vcc, exec, s[12:13]
	s_cbranch_vccnz .LBB280_141
.LBB280_21:
	v_add_u32_e32 v10, 0x80, v10
	s_mov_b64 s[18:19], -1
	s_branch .LBB280_247
.LBB280_22:
	s_mov_b64 s[12:13], -1
	s_mov_b64 s[0:1], 0
                                        ; implicit-def: $vgpr2
	s_branch .LBB280_149
.LBB280_23:
	s_mov_b64 s[18:19], -1
	s_mov_b64 s[0:1], 0
	s_mov_b64 s[12:13], 0
	s_branch .LBB280_61
.LBB280_24:
	s_mov_b64 s[12:13], -1
	s_mov_b64 s[0:1], 0
                                        ; implicit-def: $vgpr2
	s_branch .LBB280_144
.LBB280_25:
	s_mov_b64 s[18:19], -1
	s_mov_b64 s[0:1], 0
	s_mov_b64 s[12:13], 0
	s_branch .LBB280_44
.LBB280_26:
	s_mov_b64 s[12:13], -1
	s_branch .LBB280_29
.LBB280_27:
	s_mov_b64 s[18:19], -1
	s_mov_b64 s[0:1], 0
	s_mov_b64 s[12:13], 0
	s_branch .LBB280_40
.LBB280_28:
	s_mov_b64 s[14:15], -1
.LBB280_29:
	s_mov_b64 s[0:1], 0
                                        ; implicit-def: $vgpr2
.LBB280_30:
	s_and_b64 vcc, exec, s[12:13]
	s_cbranch_vccz .LBB280_143
; %bb.31:
	s_cmp_eq_u32 s18, 44
	s_cbranch_scc0 .LBB280_142
; %bb.32:
	global_load_ubyte v2, v[0:1], off
	s_mov_b32 s0, 0x2f800000
	s_mov_b32 s1, 0xcf800000
	s_mov_b64 s[14:15], 0
	s_waitcnt vmcnt(0)
	v_lshlrev_b32_e32 v3, 23, v2
	v_trunc_f32_e32 v3, v3
	v_mul_f32_e64 v4, |v3|, s0
	v_floor_f32_e32 v4, v4
	v_fma_f32 v4, v4, s1, |v3|
	v_cvt_u32_f32_e32 v4, v4
	v_ashrrev_i32_e32 v3, 31, v3
	v_cmp_ne_u32_e32 vcc, 0, v2
	s_mov_b64 s[0:1], -1
	v_xor_b32_e32 v4, v4, v3
	v_sub_u32_e32 v3, v4, v3
	v_cndmask_b32_e32 v2, 0, v3, vcc
	s_branch .LBB280_143
.LBB280_33:
	s_mov_b64 s[18:19], -1
	s_mov_b64 s[0:1], 0
	s_mov_b64 s[12:13], 0
.LBB280_34:
	s_and_b64 vcc, exec, s[18:19]
	s_cbranch_vccz .LBB280_39
; %bb.35:
	s_cmp_eq_u32 s25, 44
	s_mov_b64 s[0:1], -1
	s_cbranch_scc0 .LBB280_39
; %bb.36:
	v_cvt_f32_ubyte0_e32 v4, v0
	v_lshrrev_b32_e32 v1, 23, v4
	s_movk_i32 s0, 0xff
	v_cmp_ne_u32_e32 vcc, s0, v1
	v_mov_b32_e32 v5, 0xff
	s_and_saveexec_b64 s[12:13], vcc
; %bb.37:
	s_mov_b32 s0, 0x3fffff
	v_and_b32_e32 v5, 0x400000, v4
	v_and_or_b32 v4, v4, s0, v1
	v_cmp_ne_u32_e32 vcc, 0, v5
	v_cmp_ne_u32_e64 s[0:1], 0, v4
	s_and_b64 s[0:1], vcc, s[0:1]
	s_nop 0
	v_cndmask_b32_e64 v4, 0, 1, s[0:1]
	v_add_u32_e32 v5, v1, v4
; %bb.38:
	s_or_b64 exec, exec, s[12:13]
	s_mov_b64 s[12:13], -1
	s_mov_b64 s[0:1], 0
	global_store_byte v[2:3], v5, off
.LBB280_39:
	s_mov_b64 s[18:19], 0
.LBB280_40:
	s_and_b64 vcc, exec, s[18:19]
	s_cbranch_vccz .LBB280_43
; %bb.41:
	s_cmp_eq_u32 s25, 29
	s_mov_b64 s[0:1], -1
	s_cbranch_scc0 .LBB280_43
; %bb.42:
	s_mov_b32 s0, 0
	v_mov_b32_e32 v1, s0
	global_store_dwordx2 v[2:3], v[0:1], off
	s_mov_b64 s[12:13], -1
	s_mov_b64 s[0:1], 0
.LBB280_43:
	s_mov_b64 s[18:19], 0
.LBB280_44:
	s_and_b64 vcc, exec, s[18:19]
	s_cbranch_vccz .LBB280_60
; %bb.45:
	s_cmp_lt_i32 s25, 27
	s_mov_b64 s[12:13], -1
	s_cbranch_scc1 .LBB280_51
; %bb.46:
	s_cmp_gt_i32 s25, 27
	s_cbranch_scc0 .LBB280_48
; %bb.47:
	s_mov_b64 s[12:13], 0
	global_store_dword v[2:3], v0, off
.LBB280_48:
	s_andn2_b64 vcc, exec, s[12:13]
	s_cbranch_vccnz .LBB280_50
; %bb.49:
	global_store_short v[2:3], v0, off
.LBB280_50:
	s_mov_b64 s[12:13], 0
.LBB280_51:
	s_andn2_b64 vcc, exec, s[12:13]
	s_cbranch_vccnz .LBB280_59
; %bb.52:
	v_cvt_f32_ubyte0_e32 v4, v0
	s_mov_b32 s12, 0x43800000
	v_cmp_gt_u32_e32 vcc, s12, v4
	v_mov_b32_e32 v5, 0x80
	s_and_saveexec_b64 s[12:13], vcc
	s_cbranch_execz .LBB280_58
; %bb.53:
	s_mov_b32 s18, 0x3bffffff
	v_cmp_lt_u32_e32 vcc, s18, v4
	s_mov_b64 s[18:19], 0
                                        ; implicit-def: $vgpr1
	s_and_saveexec_b64 s[22:23], vcc
	s_xor_b64 s[22:23], exec, s[22:23]
	s_cbranch_execz .LBB280_275
; %bb.54:
	v_bfe_u32 v1, v4, 20, 1
	s_mov_b32 s26, 0x487ffff
	v_add3_u32 v1, v4, v1, s26
	s_mov_b64 s[18:19], exec
	v_lshrrev_b32_e32 v1, 20, v1
                                        ; implicit-def: $vgpr4
	s_andn2_saveexec_b64 s[22:23], s[22:23]
	s_cbranch_execnz .LBB280_276
.LBB280_55:
	s_or_b64 exec, exec, s[22:23]
	v_mov_b32_e32 v5, 0
	s_and_saveexec_b64 s[22:23], s[18:19]
.LBB280_56:
	v_mov_b32_e32 v5, v1
.LBB280_57:
	s_or_b64 exec, exec, s[22:23]
.LBB280_58:
	s_or_b64 exec, exec, s[12:13]
	global_store_byte v[2:3], v5, off
.LBB280_59:
	s_mov_b64 s[12:13], -1
.LBB280_60:
	s_mov_b64 s[18:19], 0
.LBB280_61:
	s_and_b64 vcc, exec, s[18:19]
	s_cbranch_vccz .LBB280_102
; %bb.62:
	s_cmp_gt_i32 s25, 22
	s_mov_b64 s[18:19], -1
	s_cbranch_scc0 .LBB280_94
; %bb.63:
	s_cmp_lt_i32 s25, 24
	s_mov_b64 s[12:13], -1
	s_cbranch_scc1 .LBB280_83
; %bb.64:
	s_cmp_gt_i32 s25, 24
	s_cbranch_scc0 .LBB280_72
; %bb.65:
	v_cvt_f32_ubyte0_e32 v4, v0
	s_mov_b32 s12, 0x47800000
	v_cmp_gt_u32_e32 vcc, s12, v4
	v_mov_b32_e32 v5, 0x80
	s_and_saveexec_b64 s[12:13], vcc
	s_cbranch_execz .LBB280_71
; %bb.66:
	s_mov_b32 s18, 0x37ffffff
	v_cmp_lt_u32_e32 vcc, s18, v4
	s_mov_b64 s[18:19], 0
                                        ; implicit-def: $vgpr1
	s_and_saveexec_b64 s[22:23], vcc
	s_xor_b64 s[22:23], exec, s[22:23]
	s_cbranch_execz .LBB280_279
; %bb.67:
	v_bfe_u32 v1, v4, 21, 1
	s_mov_b32 s26, 0x88fffff
	v_add3_u32 v1, v4, v1, s26
	s_mov_b64 s[18:19], exec
	v_lshrrev_b32_e32 v1, 21, v1
                                        ; implicit-def: $vgpr4
	s_andn2_saveexec_b64 s[22:23], s[22:23]
	s_cbranch_execnz .LBB280_280
.LBB280_68:
	s_or_b64 exec, exec, s[22:23]
	v_mov_b32_e32 v5, 0
	s_and_saveexec_b64 s[22:23], s[18:19]
.LBB280_69:
	v_mov_b32_e32 v5, v1
.LBB280_70:
	s_or_b64 exec, exec, s[22:23]
.LBB280_71:
	s_or_b64 exec, exec, s[12:13]
	s_mov_b64 s[12:13], 0
	global_store_byte v[2:3], v5, off
.LBB280_72:
	s_and_b64 vcc, exec, s[12:13]
	s_cbranch_vccz .LBB280_82
; %bb.73:
	v_cvt_f32_ubyte0_e32 v1, v0
	s_mov_b32 s12, 0x43f00000
	v_cmp_gt_u32_e32 vcc, s12, v1
                                        ; implicit-def: $vgpr4
	s_and_saveexec_b64 s[12:13], vcc
	s_xor_b64 s[12:13], exec, s[12:13]
	s_cbranch_execz .LBB280_79
; %bb.74:
	s_mov_b32 s18, 0x3c7fffff
	v_cmp_lt_u32_e32 vcc, s18, v1
                                        ; implicit-def: $vgpr4
	s_and_saveexec_b64 s[18:19], vcc
	s_xor_b64 s[18:19], exec, s[18:19]
; %bb.75:
	v_bfe_u32 v4, v1, 20, 1
	s_mov_b32 s22, 0x407ffff
	v_add3_u32 v1, v1, v4, s22
	v_lshrrev_b32_e32 v4, 20, v1
	v_and_b32_e32 v1, 0xff00000, v1
	s_mov_b32 s22, 0x7f00000
	v_mov_b32_e32 v5, 0x7e
	v_cmp_ne_u32_e32 vcc, s22, v1
                                        ; implicit-def: $vgpr1
	s_nop 1
	v_cndmask_b32_e32 v4, v5, v4, vcc
; %bb.76:
	s_andn2_saveexec_b64 s[18:19], s[18:19]
; %bb.77:
	v_add_f32_e32 v4, 0x46800000, v1
; %bb.78:
	s_or_b64 exec, exec, s[18:19]
                                        ; implicit-def: $vgpr1
.LBB280_79:
	s_andn2_saveexec_b64 s[12:13], s[12:13]
; %bb.80:
	s_mov_b32 s18, 0x7f800000
	v_mov_b32_e32 v4, 0x7e
	v_mov_b32_e32 v5, 0x7f
	v_cmp_lt_u32_e32 vcc, s18, v1
	s_nop 1
	v_cndmask_b32_e32 v4, v4, v5, vcc
; %bb.81:
	s_or_b64 exec, exec, s[12:13]
	global_store_byte v[2:3], v4, off
.LBB280_82:
	s_mov_b64 s[12:13], 0
.LBB280_83:
	s_andn2_b64 vcc, exec, s[12:13]
	s_cbranch_vccnz .LBB280_93
; %bb.84:
	v_cvt_f32_ubyte0_e32 v1, v0
	s_mov_b32 s12, 0x47800000
	v_cmp_gt_u32_e32 vcc, s12, v1
                                        ; implicit-def: $vgpr4
	s_and_saveexec_b64 s[12:13], vcc
	s_xor_b64 s[12:13], exec, s[12:13]
	s_cbranch_execz .LBB280_90
; %bb.85:
	s_mov_b32 s18, 0x387fffff
	v_cmp_lt_u32_e32 vcc, s18, v1
                                        ; implicit-def: $vgpr4
	s_and_saveexec_b64 s[18:19], vcc
	s_xor_b64 s[18:19], exec, s[18:19]
; %bb.86:
	v_bfe_u32 v4, v1, 21, 1
	s_mov_b32 s22, 0x80fffff
	v_add3_u32 v1, v1, v4, s22
	v_lshrrev_b32_e32 v4, 21, v1
                                        ; implicit-def: $vgpr1
; %bb.87:
	s_andn2_saveexec_b64 s[18:19], s[18:19]
; %bb.88:
	v_add_f32_e32 v4, 0x43000000, v1
; %bb.89:
	s_or_b64 exec, exec, s[18:19]
                                        ; implicit-def: $vgpr1
.LBB280_90:
	s_andn2_saveexec_b64 s[12:13], s[12:13]
; %bb.91:
	s_mov_b32 s18, 0x7f800000
	v_mov_b32_e32 v4, 0x7c
	v_mov_b32_e32 v5, 0x7f
	v_cmp_lt_u32_e32 vcc, s18, v1
	s_nop 1
	v_cndmask_b32_e32 v4, v4, v5, vcc
; %bb.92:
	s_or_b64 exec, exec, s[12:13]
	global_store_byte v[2:3], v4, off
.LBB280_93:
	s_mov_b64 s[18:19], 0
	s_mov_b64 s[12:13], -1
.LBB280_94:
	s_andn2_b64 vcc, exec, s[18:19]
	s_cbranch_vccnz .LBB280_102
; %bb.95:
	s_cmp_gt_i32 s25, 14
	s_mov_b64 s[18:19], -1
	s_cbranch_scc0 .LBB280_99
; %bb.96:
	s_cmp_eq_u32 s25, 15
	s_mov_b64 s[0:1], -1
	s_cbranch_scc0 .LBB280_98
; %bb.97:
	v_cvt_f32_ubyte0_e32 v1, v0
	v_bfe_u32 v4, v1, 16, 1
	s_movk_i32 s0, 0x7fff
	v_add3_u32 v1, v1, v4, s0
	global_store_short_d16_hi v[2:3], v1, off
	s_mov_b64 s[12:13], -1
	s_mov_b64 s[0:1], 0
.LBB280_98:
	s_mov_b64 s[18:19], 0
.LBB280_99:
	s_and_b64 vcc, exec, s[18:19]
	s_cbranch_vccz .LBB280_102
; %bb.100:
	s_cmp_eq_u32 s25, 11
	s_mov_b64 s[0:1], -1
	s_cbranch_scc0 .LBB280_102
; %bb.101:
	v_cmp_ne_u16_e32 vcc, 0, v0
	s_mov_b64 s[12:13], -1
	s_mov_b64 s[0:1], 0
	v_cndmask_b32_e64 v1, 0, 1, vcc
	global_store_byte v[2:3], v1, off
.LBB280_102:
	s_branch .LBB280_20
.LBB280_103:
	s_and_b32 s18, 0xffff, s24
	s_cmp_lt_i32 s18, 5
	s_mov_b64 s[12:13], -1
	s_cbranch_scc1 .LBB280_124
; %bb.104:
	s_cmp_lt_i32 s18, 8
	s_cbranch_scc1 .LBB280_114
; %bb.105:
	s_cmp_lt_i32 s18, 9
	s_cbranch_scc1 .LBB280_111
; %bb.106:
	s_cmp_gt_i32 s18, 9
	s_cbranch_scc0 .LBB280_108
; %bb.107:
	v_mov_b32_e32 v6, 0
	v_cvt_f64_u32_e32 v[4:5], v0
	v_mov_b32_e32 v7, v6
	global_store_dwordx4 v[2:3], v[4:7], off
	s_mov_b64 s[12:13], 0
.LBB280_108:
	s_andn2_b64 vcc, exec, s[12:13]
	s_cbranch_vccnz .LBB280_110
; %bb.109:
	v_cvt_f32_ubyte0_e32 v4, v0
	v_mov_b32_e32 v5, 0
	global_store_dwordx2 v[2:3], v[4:5], off
.LBB280_110:
	s_mov_b64 s[12:13], 0
.LBB280_111:
	s_andn2_b64 vcc, exec, s[12:13]
	s_cbranch_vccnz .LBB280_113
; %bb.112:
	v_cvt_f16_u16_e32 v1, v0
	global_store_dword v[2:3], v1, off
.LBB280_113:
	s_mov_b64 s[12:13], 0
.LBB280_114:
	s_andn2_b64 vcc, exec, s[12:13]
	s_cbranch_vccnz .LBB280_123
; %bb.115:
	s_cmp_lt_i32 s18, 6
	s_mov_b64 s[12:13], -1
	s_cbranch_scc1 .LBB280_121
; %bb.116:
	s_cmp_gt_i32 s18, 6
	s_cbranch_scc0 .LBB280_118
; %bb.117:
	v_cvt_f64_u32_e32 v[4:5], v0
	global_store_dwordx2 v[2:3], v[4:5], off
	s_mov_b64 s[12:13], 0
.LBB280_118:
	s_andn2_b64 vcc, exec, s[12:13]
	s_cbranch_vccnz .LBB280_120
; %bb.119:
	v_cvt_f32_ubyte0_e32 v1, v0
	global_store_dword v[2:3], v1, off
.LBB280_120:
	s_mov_b64 s[12:13], 0
.LBB280_121:
	s_andn2_b64 vcc, exec, s[12:13]
	s_cbranch_vccnz .LBB280_123
; %bb.122:
	v_cvt_f16_u16_e32 v1, v0
	global_store_short v[2:3], v1, off
.LBB280_123:
	s_mov_b64 s[12:13], 0
.LBB280_124:
	s_andn2_b64 vcc, exec, s[12:13]
	s_cbranch_vccnz .LBB280_140
; %bb.125:
	s_cmp_lt_i32 s18, 2
	s_mov_b64 s[12:13], -1
	s_cbranch_scc1 .LBB280_135
; %bb.126:
	s_cmp_lt_i32 s18, 3
	s_cbranch_scc1 .LBB280_132
; %bb.127:
	s_cmp_gt_i32 s18, 3
	s_cbranch_scc0 .LBB280_129
; %bb.128:
	s_mov_b32 s12, 0
	v_mov_b32_e32 v1, s12
	global_store_dwordx2 v[2:3], v[0:1], off
	s_mov_b64 s[12:13], 0
.LBB280_129:
	s_andn2_b64 vcc, exec, s[12:13]
	s_cbranch_vccnz .LBB280_131
; %bb.130:
	global_store_dword v[2:3], v0, off
.LBB280_131:
	s_mov_b64 s[12:13], 0
.LBB280_132:
	s_andn2_b64 vcc, exec, s[12:13]
	s_cbranch_vccnz .LBB280_134
; %bb.133:
	global_store_short v[2:3], v0, off
.LBB280_134:
	s_mov_b64 s[12:13], 0
.LBB280_135:
	s_andn2_b64 vcc, exec, s[12:13]
	s_cbranch_vccnz .LBB280_140
; %bb.136:
	s_cmp_gt_i32 s18, 0
	s_mov_b64 s[12:13], -1
	s_cbranch_scc0 .LBB280_138
; %bb.137:
	global_store_byte v[2:3], v0, off
	s_mov_b64 s[12:13], 0
.LBB280_138:
	s_andn2_b64 vcc, exec, s[12:13]
	s_cbranch_vccnz .LBB280_140
; %bb.139:
	global_store_byte v[2:3], v0, off
.LBB280_140:
	s_branch .LBB280_21
.LBB280_141:
	s_mov_b64 s[18:19], 0
                                        ; implicit-def: $vgpr10
	s_branch .LBB280_247
.LBB280_142:
	s_mov_b64 s[14:15], -1
                                        ; implicit-def: $vgpr2
.LBB280_143:
	s_mov_b64 s[12:13], 0
.LBB280_144:
	s_and_b64 vcc, exec, s[12:13]
	s_cbranch_vccz .LBB280_148
; %bb.145:
	s_cmp_eq_u32 s18, 29
	s_cbranch_scc0 .LBB280_147
; %bb.146:
	global_load_dwordx2 v[2:3], v[0:1], off
	s_mov_b64 s[0:1], -1
	s_mov_b64 s[14:15], 0
	s_branch .LBB280_148
.LBB280_147:
	s_mov_b64 s[14:15], -1
                                        ; implicit-def: $vgpr2
.LBB280_148:
	s_mov_b64 s[12:13], 0
.LBB280_149:
	s_and_b64 vcc, exec, s[12:13]
	s_cbranch_vccz .LBB280_165
; %bb.150:
	s_cmp_lt_i32 s18, 27
	s_cbranch_scc1 .LBB280_153
; %bb.151:
	s_cmp_gt_i32 s18, 27
	s_cbranch_scc0 .LBB280_154
; %bb.152:
	global_load_dword v2, v[0:1], off
	s_mov_b64 s[0:1], 0
	s_branch .LBB280_155
.LBB280_153:
	s_mov_b64 s[0:1], -1
                                        ; implicit-def: $vgpr2
	s_branch .LBB280_158
.LBB280_154:
	s_mov_b64 s[0:1], -1
                                        ; implicit-def: $vgpr2
.LBB280_155:
	s_andn2_b64 vcc, exec, s[0:1]
	s_cbranch_vccnz .LBB280_157
; %bb.156:
	global_load_ushort v2, v[0:1], off
.LBB280_157:
	s_mov_b64 s[0:1], 0
.LBB280_158:
	s_andn2_b64 vcc, exec, s[0:1]
	s_cbranch_vccnz .LBB280_164
; %bb.159:
	global_load_ubyte v3, v[0:1], off
	s_movk_i32 s0, 0x7f
	s_mov_b64 s[12:13], 0
	s_waitcnt vmcnt(0)
	v_cmp_lt_i16_e32 vcc, s0, v3
	s_and_saveexec_b64 s[0:1], vcc
	s_xor_b64 s[0:1], exec, s[0:1]
	s_cbranch_execz .LBB280_175
; %bb.160:
	s_movk_i32 s12, 0x80
	v_cmp_ne_u16_e32 vcc, s12, v3
	s_and_b64 s[12:13], vcc, exec
	s_andn2_saveexec_b64 s[0:1], s[0:1]
	s_cbranch_execnz .LBB280_176
.LBB280_161:
	s_or_b64 exec, exec, s[0:1]
	v_mov_b32_e32 v2, 0
	s_and_saveexec_b64 s[0:1], s[12:13]
	s_cbranch_execz .LBB280_163
.LBB280_162:
	v_lshlrev_b32_e32 v2, 24, v3
	v_and_b32_e32 v3, 0xffff, v3
	v_and_b32_e32 v4, 7, v3
	v_ffbh_u32_e32 v6, v4
	v_min_u32_e32 v6, 32, v6
	v_subrev_u32_e32 v7, 28, v6
	v_bfe_u32 v5, v3, 3, 4
	v_lshlrev_b32_e32 v3, v7, v3
	v_sub_u32_e32 v6, 29, v6
	v_and_b32_e32 v3, 7, v3
	v_cmp_eq_u32_e32 vcc, 0, v5
	v_and_b32_e32 v2, 0x80000000, v2
	s_mov_b32 s12, 0x2f800000
	v_cndmask_b32_e32 v5, v5, v6, vcc
	v_cndmask_b32_e32 v3, v4, v3, vcc
	v_mov_b32_e32 v4, 0x3b800000
	v_lshlrev_b32_e32 v3, 20, v3
	v_lshl_add_u32 v4, v5, 23, v4
	v_or3_b32 v2, v2, v4, v3
	v_trunc_f32_e32 v2, v2
	v_mul_f32_e64 v3, |v2|, s12
	v_floor_f32_e32 v3, v3
	s_mov_b32 s12, 0xcf800000
	v_fma_f32 v3, v3, s12, |v2|
	v_cvt_u32_f32_e32 v3, v3
	v_ashrrev_i32_e32 v2, 31, v2
	v_xor_b32_e32 v3, v3, v2
	v_sub_u32_e32 v2, v3, v2
.LBB280_163:
	s_or_b64 exec, exec, s[0:1]
.LBB280_164:
	s_mov_b64 s[0:1], -1
.LBB280_165:
	s_branch .LBB280_198
.LBB280_166:
	s_cmp_gt_i32 s18, 22
	s_cbranch_scc0 .LBB280_174
; %bb.167:
	s_cmp_lt_i32 s18, 24
	s_cbranch_scc1 .LBB280_177
; %bb.168:
	s_cmp_gt_i32 s18, 24
	s_cbranch_scc0 .LBB280_178
; %bb.169:
	global_load_ubyte v3, v[0:1], off
	s_movk_i32 s0, 0x7f
	s_mov_b64 s[12:13], 0
	s_waitcnt vmcnt(0)
	v_cmp_lt_i16_e32 vcc, s0, v3
	s_and_saveexec_b64 s[0:1], vcc
	s_xor_b64 s[0:1], exec, s[0:1]
	s_cbranch_execz .LBB280_190
; %bb.170:
	s_movk_i32 s12, 0x80
	v_cmp_ne_u16_e32 vcc, s12, v3
	s_and_b64 s[12:13], vcc, exec
	s_andn2_saveexec_b64 s[0:1], s[0:1]
	s_cbranch_execnz .LBB280_191
.LBB280_171:
	s_or_b64 exec, exec, s[0:1]
	v_mov_b32_e32 v2, 0
	s_and_saveexec_b64 s[0:1], s[12:13]
	s_cbranch_execz .LBB280_173
.LBB280_172:
	v_lshlrev_b32_e32 v2, 24, v3
	v_and_b32_e32 v3, 0xffff, v3
	v_and_b32_e32 v4, 3, v3
	v_ffbh_u32_e32 v6, v4
	v_min_u32_e32 v6, 32, v6
	v_subrev_u32_e32 v7, 29, v6
	v_bfe_u32 v5, v3, 2, 5
	v_lshlrev_b32_e32 v3, v7, v3
	v_sub_u32_e32 v6, 30, v6
	v_and_b32_e32 v3, 3, v3
	v_cmp_eq_u32_e32 vcc, 0, v5
	v_and_b32_e32 v2, 0x80000000, v2
	s_mov_b32 s12, 0x2f800000
	v_cndmask_b32_e32 v5, v5, v6, vcc
	v_cndmask_b32_e32 v3, v4, v3, vcc
	v_mov_b32_e32 v4, 0x37800000
	v_lshlrev_b32_e32 v3, 21, v3
	v_lshl_add_u32 v4, v5, 23, v4
	v_or3_b32 v2, v2, v4, v3
	v_trunc_f32_e32 v2, v2
	v_mul_f32_e64 v3, |v2|, s12
	v_floor_f32_e32 v3, v3
	s_mov_b32 s12, 0xcf800000
	v_fma_f32 v3, v3, s12, |v2|
	v_cvt_u32_f32_e32 v3, v3
	v_ashrrev_i32_e32 v2, 31, v2
	v_xor_b32_e32 v3, v3, v2
	v_sub_u32_e32 v2, v3, v2
.LBB280_173:
	s_or_b64 exec, exec, s[0:1]
	s_mov_b64 s[0:1], 0
	s_branch .LBB280_179
.LBB280_174:
	s_mov_b64 s[12:13], -1
                                        ; implicit-def: $vgpr2
	s_branch .LBB280_185
.LBB280_175:
	s_andn2_saveexec_b64 s[0:1], s[0:1]
	s_cbranch_execz .LBB280_161
.LBB280_176:
	v_cmp_ne_u16_e32 vcc, 0, v3
	s_andn2_b64 s[12:13], s[12:13], exec
	s_and_b64 s[22:23], vcc, exec
	s_or_b64 s[12:13], s[12:13], s[22:23]
	s_or_b64 exec, exec, s[0:1]
	v_mov_b32_e32 v2, 0
	s_and_saveexec_b64 s[0:1], s[12:13]
	s_cbranch_execnz .LBB280_162
	s_branch .LBB280_163
.LBB280_177:
	s_mov_b64 s[0:1], -1
                                        ; implicit-def: $vgpr2
	s_branch .LBB280_182
.LBB280_178:
	s_mov_b64 s[0:1], -1
                                        ; implicit-def: $vgpr2
.LBB280_179:
	s_and_b64 vcc, exec, s[0:1]
	s_cbranch_vccz .LBB280_181
; %bb.180:
	global_load_ubyte v2, v[0:1], off
	s_mov_b32 s0, 0x7f800000
	s_brev_b32 s1, 1
	s_mov_b32 s12, 0x2f800000
	s_waitcnt vmcnt(0)
	v_lshlrev_b32_e32 v2, 24, v2
	v_and_b32_e32 v3, 0x7f000000, v2
	v_ffbh_u32_e32 v4, v3
	v_min_u32_e32 v4, 32, v4
	v_sub_u32_e64 v4, v4, 4 clamp
	v_lshlrev_b32_e32 v6, v4, v3
	v_lshlrev_b32_e32 v4, 23, v4
	v_lshrrev_b32_e32 v6, 4, v6
	v_add_u32_e32 v5, 0x1000000, v3
	v_sub_u32_e32 v4, v6, v4
	v_ashrrev_i32_e32 v5, 8, v5
	v_add_u32_e32 v4, 0x3c000000, v4
	v_and_or_b32 v4, v5, s0, v4
	v_cmp_ne_u32_e32 vcc, 0, v3
	s_mov_b32 s0, 0xcf800000
	s_nop 0
	v_cndmask_b32_e32 v3, 0, v4, vcc
	v_and_or_b32 v2, v2, s1, v3
	v_trunc_f32_e32 v2, v2
	v_mul_f32_e64 v3, |v2|, s12
	v_floor_f32_e32 v3, v3
	v_fma_f32 v3, v3, s0, |v2|
	v_cvt_u32_f32_e32 v3, v3
	v_ashrrev_i32_e32 v2, 31, v2
	v_xor_b32_e32 v3, v3, v2
	v_sub_u32_e32 v2, v3, v2
.LBB280_181:
	s_mov_b64 s[0:1], 0
.LBB280_182:
	s_andn2_b64 vcc, exec, s[0:1]
	s_cbranch_vccnz .LBB280_184
; %bb.183:
	global_load_ubyte v2, v[0:1], off
	s_movk_i32 s0, 0x7f00
	s_brev_b32 s1, 16
	s_brev_b32 s12, 1
	s_mov_b32 s13, 0x2f800000
	s_waitcnt vmcnt(0)
	v_lshlrev_b16_e32 v3, 8, v2
	v_lshlrev_b32_e32 v2, 25, v2
	v_lshrrev_b32_e32 v4, 4, v2
	v_and_or_b32 v5, v3, s0, 0.5
	v_or_b32_e32 v4, 0x70000000, v4
	v_add_f32_e32 v5, -0.5, v5
	v_mul_f32_e32 v4, 0x7800000, v4
	v_cmp_gt_u32_e32 vcc, s1, v2
	v_bfe_i32 v3, v3, 0, 16
	s_mov_b32 s0, 0xcf800000
	v_cndmask_b32_e32 v2, v4, v5, vcc
	v_and_or_b32 v2, v3, s12, v2
	v_trunc_f32_e32 v2, v2
	v_mul_f32_e64 v3, |v2|, s13
	v_floor_f32_e32 v3, v3
	v_fma_f32 v3, v3, s0, |v2|
	v_cvt_u32_f32_e32 v3, v3
	v_ashrrev_i32_e32 v2, 31, v2
	v_xor_b32_e32 v3, v3, v2
	v_sub_u32_e32 v2, v3, v2
.LBB280_184:
	s_mov_b64 s[12:13], 0
	s_mov_b64 s[0:1], -1
.LBB280_185:
	s_andn2_b64 vcc, exec, s[12:13]
	s_cbranch_vccnz .LBB280_198
; %bb.186:
	s_cmp_gt_i32 s18, 14
	s_cbranch_scc0 .LBB280_189
; %bb.187:
	s_cmp_eq_u32 s18, 15
	s_cbranch_scc0 .LBB280_192
; %bb.188:
	global_load_ushort v2, v[0:1], off
	s_mov_b32 s0, 0x2f800000
	s_mov_b32 s1, 0xcf800000
	s_mov_b64 s[14:15], 0
	s_waitcnt vmcnt(0)
	v_lshlrev_b32_e32 v2, 16, v2
	v_trunc_f32_e32 v2, v2
	v_mul_f32_e64 v3, |v2|, s0
	v_floor_f32_e32 v3, v3
	v_fma_f32 v3, v3, s1, |v2|
	v_cvt_u32_f32_e32 v3, v3
	v_ashrrev_i32_e32 v2, 31, v2
	s_mov_b64 s[0:1], -1
	v_xor_b32_e32 v3, v3, v2
	v_sub_u32_e32 v2, v3, v2
	s_branch .LBB280_193
.LBB280_189:
	s_mov_b64 s[12:13], -1
                                        ; implicit-def: $vgpr2
	s_branch .LBB280_194
.LBB280_190:
	s_andn2_saveexec_b64 s[0:1], s[0:1]
	s_cbranch_execz .LBB280_171
.LBB280_191:
	v_cmp_ne_u16_e32 vcc, 0, v3
	s_andn2_b64 s[12:13], s[12:13], exec
	s_and_b64 s[22:23], vcc, exec
	s_or_b64 s[12:13], s[12:13], s[22:23]
	s_or_b64 exec, exec, s[0:1]
	v_mov_b32_e32 v2, 0
	s_and_saveexec_b64 s[0:1], s[12:13]
	s_cbranch_execnz .LBB280_172
	s_branch .LBB280_173
.LBB280_192:
	s_mov_b64 s[14:15], -1
                                        ; implicit-def: $vgpr2
.LBB280_193:
	s_mov_b64 s[12:13], 0
.LBB280_194:
	s_and_b64 vcc, exec, s[12:13]
	s_cbranch_vccz .LBB280_198
; %bb.195:
	s_cmp_eq_u32 s18, 11
	s_cbranch_scc0 .LBB280_197
; %bb.196:
	global_load_ubyte v2, v[0:1], off
	s_mov_b64 s[0:1], -1
	s_mov_b64 s[14:15], 0
	s_waitcnt vmcnt(0)
	v_cmp_ne_u16_e32 vcc, 0, v2
	s_nop 1
	v_cndmask_b32_e64 v2, 0, 1, vcc
	s_branch .LBB280_198
.LBB280_197:
	s_mov_b64 s[14:15], -1
                                        ; implicit-def: $vgpr2
.LBB280_198:
	s_branch .LBB280_10
.LBB280_199:
	s_cmp_lt_i32 s18, 5
	s_cbranch_scc1 .LBB280_204
; %bb.200:
	s_cmp_lt_i32 s18, 8
	s_cbranch_scc1 .LBB280_205
; %bb.201:
	;; [unrolled: 3-line block ×3, first 2 shown]
	s_cmp_gt_i32 s18, 9
	s_cbranch_scc0 .LBB280_207
; %bb.203:
	global_load_dwordx2 v[2:3], v[0:1], off
	s_movk_i32 s0, 0xffe0
	s_waitcnt vmcnt(0)
	v_trunc_f64_e32 v[2:3], v[2:3]
	v_ldexp_f64 v[4:5], v[2:3], s0
	v_floor_f64_e32 v[4:5], v[4:5]
	v_fmac_f64_e32 v[2:3], 0xc1f00000, v[4:5]
	v_cvt_u32_f64_e32 v2, v[2:3]
	s_mov_b64 s[0:1], 0
	s_branch .LBB280_208
.LBB280_204:
                                        ; implicit-def: $vgpr2
	s_branch .LBB280_226
.LBB280_205:
	s_mov_b64 s[0:1], -1
                                        ; implicit-def: $vgpr2
	s_branch .LBB280_214
.LBB280_206:
	s_mov_b64 s[0:1], -1
                                        ; implicit-def: $vgpr2
	s_branch .LBB280_211
.LBB280_207:
	s_mov_b64 s[0:1], -1
                                        ; implicit-def: $vgpr2
.LBB280_208:
	s_andn2_b64 vcc, exec, s[0:1]
	s_cbranch_vccnz .LBB280_210
; %bb.209:
	global_load_dword v2, v[0:1], off
	s_mov_b32 s0, 0x2f800000
	s_waitcnt vmcnt(0)
	v_trunc_f32_e32 v2, v2
	v_mul_f32_e64 v3, |v2|, s0
	v_floor_f32_e32 v3, v3
	s_mov_b32 s0, 0xcf800000
	v_fma_f32 v3, v3, s0, |v2|
	v_cvt_u32_f32_e32 v3, v3
	v_ashrrev_i32_e32 v2, 31, v2
	v_xor_b32_e32 v3, v3, v2
	v_sub_u32_e32 v2, v3, v2
.LBB280_210:
	s_mov_b64 s[0:1], 0
.LBB280_211:
	s_andn2_b64 vcc, exec, s[0:1]
	s_cbranch_vccnz .LBB280_213
; %bb.212:
	global_load_dword v2, v[0:1], off
	s_waitcnt vmcnt(0)
	v_cvt_f32_f16_e32 v2, v2
	v_cvt_i32_f32_e32 v2, v2
.LBB280_213:
	s_mov_b64 s[0:1], 0
.LBB280_214:
	s_andn2_b64 vcc, exec, s[0:1]
	s_cbranch_vccnz .LBB280_225
; %bb.215:
	s_cmp_lt_i32 s18, 6
	s_cbranch_scc1 .LBB280_218
; %bb.216:
	s_cmp_gt_i32 s18, 6
	s_cbranch_scc0 .LBB280_219
; %bb.217:
	global_load_dwordx2 v[2:3], v[0:1], off
	s_movk_i32 s0, 0xffe0
	s_waitcnt vmcnt(0)
	v_trunc_f64_e32 v[2:3], v[2:3]
	v_ldexp_f64 v[4:5], v[2:3], s0
	v_floor_f64_e32 v[4:5], v[4:5]
	v_fmac_f64_e32 v[2:3], 0xc1f00000, v[4:5]
	v_cvt_u32_f64_e32 v2, v[2:3]
	s_mov_b64 s[0:1], 0
	s_branch .LBB280_220
.LBB280_218:
	s_mov_b64 s[0:1], -1
                                        ; implicit-def: $vgpr2
	s_branch .LBB280_223
.LBB280_219:
	s_mov_b64 s[0:1], -1
                                        ; implicit-def: $vgpr2
.LBB280_220:
	s_andn2_b64 vcc, exec, s[0:1]
	s_cbranch_vccnz .LBB280_222
; %bb.221:
	global_load_dword v2, v[0:1], off
	s_mov_b32 s0, 0x2f800000
	s_waitcnt vmcnt(0)
	v_trunc_f32_e32 v2, v2
	v_mul_f32_e64 v3, |v2|, s0
	v_floor_f32_e32 v3, v3
	s_mov_b32 s0, 0xcf800000
	v_fma_f32 v3, v3, s0, |v2|
	v_cvt_u32_f32_e32 v3, v3
	v_ashrrev_i32_e32 v2, 31, v2
	v_xor_b32_e32 v3, v3, v2
	v_sub_u32_e32 v2, v3, v2
.LBB280_222:
	s_mov_b64 s[0:1], 0
.LBB280_223:
	s_andn2_b64 vcc, exec, s[0:1]
	s_cbranch_vccnz .LBB280_225
; %bb.224:
	global_load_ushort v2, v[0:1], off
	s_waitcnt vmcnt(0)
	v_cvt_f32_f16_e32 v2, v2
	v_cvt_i32_f32_e32 v2, v2
.LBB280_225:
	s_cbranch_execnz .LBB280_245
.LBB280_226:
	s_cmp_lt_i32 s18, 2
	s_cbranch_scc1 .LBB280_230
; %bb.227:
	s_cmp_lt_i32 s18, 3
	s_cbranch_scc1 .LBB280_231
; %bb.228:
	s_cmp_gt_i32 s18, 3
	s_cbranch_scc0 .LBB280_232
; %bb.229:
	global_load_dwordx2 v[2:3], v[0:1], off
	s_mov_b64 s[0:1], 0
	s_branch .LBB280_233
.LBB280_230:
	s_mov_b64 s[0:1], -1
                                        ; implicit-def: $vgpr2
	s_branch .LBB280_239
.LBB280_231:
	s_mov_b64 s[0:1], -1
                                        ; implicit-def: $vgpr2
	s_branch .LBB280_236
.LBB280_232:
	s_mov_b64 s[0:1], -1
                                        ; implicit-def: $vgpr2
.LBB280_233:
	s_andn2_b64 vcc, exec, s[0:1]
	s_cbranch_vccnz .LBB280_235
; %bb.234:
	global_load_dword v2, v[0:1], off
.LBB280_235:
	s_mov_b64 s[0:1], 0
.LBB280_236:
	s_andn2_b64 vcc, exec, s[0:1]
	s_cbranch_vccnz .LBB280_238
; %bb.237:
	global_load_ushort v2, v[0:1], off
.LBB280_238:
	s_mov_b64 s[0:1], 0
.LBB280_239:
	s_andn2_b64 vcc, exec, s[0:1]
	s_cbranch_vccnz .LBB280_245
; %bb.240:
	s_cmp_gt_i32 s18, 0
	s_cbranch_scc0 .LBB280_242
; %bb.241:
	global_load_ubyte v2, v[0:1], off
	s_mov_b64 s[0:1], 0
	s_branch .LBB280_243
.LBB280_242:
	s_mov_b64 s[0:1], -1
                                        ; implicit-def: $vgpr2
.LBB280_243:
	s_andn2_b64 vcc, exec, s[0:1]
	s_cbranch_vccnz .LBB280_245
; %bb.244:
	global_load_ubyte v2, v[0:1], off
.LBB280_245:
	s_branch .LBB280_11
.LBB280_246:
	s_mov_b64 s[0:1], 0
                                        ; implicit-def: $vgpr10
	s_mov_b64 s[18:19], 0
.LBB280_247:
	s_and_b64 s[12:13], s[0:1], exec
	s_and_b64 s[14:15], s[14:15], exec
	s_orn2_b64 s[18:19], s[18:19], exec
.LBB280_248:
	s_or_b64 exec, exec, s[16:17]
	s_mov_b64 s[22:23], 0
	s_mov_b64 s[0:1], 0
                                        ; implicit-def: $vgpr0_vgpr1
                                        ; implicit-def: $vgpr4
	s_and_saveexec_b64 s[16:17], s[18:19]
	s_cbranch_execz .LBB280_257
; %bb.249:
	v_cmp_gt_i32_e32 vcc, s38, v10
	s_mov_b64 s[0:1], -1
	s_mov_b64 s[18:19], s[14:15]
	s_mov_b64 s[20:21], s[12:13]
	s_and_saveexec_b64 s[22:23], vcc
	s_cbranch_execz .LBB280_505
; %bb.250:
	v_mul_lo_u32 v0, v10, s9
	v_ashrrev_i32_e32 v1, 31, v0
	s_and_b32 s24, 0xffff, s44
	s_cmp_lt_i32 s24, 11
	v_lshl_add_u64 v[0:1], s[6:7], 0, v[0:1]
	s_cbranch_scc1 .LBB280_260
; %bb.251:
	s_cmp_gt_i32 s24, 25
	s_cbranch_scc0 .LBB280_269
; %bb.252:
	s_cmp_gt_i32 s24, 28
	s_cbranch_scc0 .LBB280_271
	;; [unrolled: 3-line block ×4, first 2 shown]
; %bb.255:
	s_cmp_eq_u32 s24, 46
	s_mov_b64 s[20:21], 0
	s_cbranch_scc0 .LBB280_281
; %bb.256:
	global_load_dword v2, v[0:1], off
	s_mov_b32 s0, 0x2f800000
	s_mov_b32 s1, 0xcf800000
	s_mov_b64 s[18:19], 0
	s_waitcnt vmcnt(0)
	v_lshlrev_b32_e32 v2, 16, v2
	v_trunc_f32_e32 v2, v2
	v_mul_f32_e64 v3, |v2|, s0
	v_floor_f32_e32 v3, v3
	v_fma_f32 v3, v3, s1, |v2|
	v_cvt_u32_f32_e32 v3, v3
	v_ashrrev_i32_e32 v2, 31, v2
	s_mov_b64 s[0:1], -1
	v_xor_b32_e32 v3, v3, v2
	v_sub_u32_e32 v2, v3, v2
	s_branch .LBB280_282
.LBB280_257:
	s_or_b64 exec, exec, s[16:17]
	s_mov_b64 s[16:17], 0
	s_and_saveexec_b64 s[18:19], s[14:15]
	s_cbranch_execnz .LBB280_843
.LBB280_258:
	s_or_b64 exec, exec, s[18:19]
	s_and_saveexec_b64 s[14:15], s[20:21]
	s_xor_b64 s[14:15], exec, s[14:15]
	s_cbranch_execz .LBB280_844
.LBB280_259:
	global_load_ubyte v2, v[0:1], off
	s_or_b64 s[0:1], s[0:1], exec
	s_waitcnt vmcnt(0)
	v_cmp_ne_u16_e32 vcc, 0, v2
	s_nop 1
	v_cndmask_b32_e64 v4, 0, 1, vcc
	s_or_b64 exec, exec, s[14:15]
	s_and_saveexec_b64 s[14:15], s[22:23]
	s_cbranch_execz .LBB280_890
	s_branch .LBB280_845
.LBB280_260:
	s_mov_b64 s[0:1], 0
                                        ; implicit-def: $vgpr2
	s_mov_b64 s[18:19], s[14:15]
	s_cbranch_execnz .LBB280_455
.LBB280_261:
	s_andn2_b64 vcc, exec, s[0:1]
	s_cbranch_vccnz .LBB280_503
.LBB280_262:
	s_and_b32 s0, s33, 0xff
	s_waitcnt vmcnt(0)
	v_max_u16_sdwa v0, v2, s0 dst_sel:DWORD dst_unused:UNUSED_PAD src0_sel:BYTE_0 src1_sel:DWORD
	v_mul_lo_u32 v2, v10, s8
	s_and_b32 s0, s43, 0xff
	v_ashrrev_i32_e32 v3, 31, v2
	s_and_b32 s28, s42, 0xff
	v_min_u16_e32 v0, s0, v0
	s_cmp_lt_i32 s28, 11
	v_lshl_add_u64 v[2:3], s[4:5], 0, v[2:3]
	s_cbranch_scc1 .LBB280_270
; %bb.263:
	s_and_b32 s29, 0xffff, s28
	s_cmp_gt_i32 s29, 25
	s_cbranch_scc0 .LBB280_272
; %bb.264:
	s_cmp_gt_i32 s29, 28
	s_cbranch_scc0 .LBB280_274
; %bb.265:
	;; [unrolled: 3-line block ×4, first 2 shown]
	s_mov_b64 s[24:25], 0
	s_mov_b64 s[0:1], -1
	s_cmp_eq_u32 s29, 46
	s_mov_b64 s[20:21], 0
	s_cbranch_scc0 .LBB280_286
; %bb.268:
	v_cvt_f32_ubyte0_e32 v1, v0
	v_bfe_u32 v4, v1, 16, 1
	s_movk_i32 s0, 0x7fff
	v_add3_u32 v1, v1, v4, s0
	v_lshrrev_b32_e32 v1, 16, v1
	global_store_dword v[2:3], v1, off
	s_mov_b64 s[20:21], -1
	s_mov_b64 s[0:1], 0
	s_branch .LBB280_286
.LBB280_269:
	s_mov_b64 s[20:21], -1
	s_mov_b64 s[0:1], 0
	s_mov_b64 s[18:19], s[14:15]
                                        ; implicit-def: $vgpr2
	s_branch .LBB280_421
.LBB280_270:
	s_mov_b64 s[24:25], -1
	s_mov_b64 s[20:21], 0
	s_mov_b64 s[0:1], s[12:13]
	s_branch .LBB280_355
.LBB280_271:
	s_mov_b64 s[20:21], -1
	s_mov_b64 s[0:1], 0
	s_mov_b64 s[18:19], s[14:15]
                                        ; implicit-def: $vgpr2
	s_branch .LBB280_404
.LBB280_272:
	s_mov_b64 s[24:25], -1
	s_mov_b64 s[20:21], 0
	s_mov_b64 s[0:1], s[12:13]
	s_branch .LBB280_313
.LBB280_273:
	s_mov_b64 s[20:21], -1
	s_mov_b64 s[0:1], 0
	s_mov_b64 s[18:19], s[14:15]
                                        ; implicit-def: $vgpr2
	s_branch .LBB280_399
.LBB280_274:
	s_mov_b64 s[24:25], -1
	s_mov_b64 s[20:21], 0
	s_mov_b64 s[0:1], s[12:13]
	s_branch .LBB280_296
.LBB280_275:
	s_andn2_saveexec_b64 s[22:23], s[22:23]
	s_cbranch_execz .LBB280_55
.LBB280_276:
	v_add_f32_e32 v1, 0x46000000, v4
	v_and_b32_e32 v1, 0xff, v1
	v_cmp_ne_u32_e32 vcc, 0, v1
	s_andn2_b64 s[18:19], s[18:19], exec
	s_and_b64 s[26:27], vcc, exec
	s_or_b64 s[18:19], s[18:19], s[26:27]
	s_or_b64 exec, exec, s[22:23]
	v_mov_b32_e32 v5, 0
	s_and_saveexec_b64 s[22:23], s[18:19]
	s_cbranch_execnz .LBB280_56
	s_branch .LBB280_57
.LBB280_277:
	s_mov_b64 s[20:21], -1
	s_mov_b64 s[0:1], 0
	s_mov_b64 s[18:19], s[14:15]
                                        ; implicit-def: $vgpr2
	s_branch .LBB280_282
.LBB280_278:
	s_mov_b64 s[24:25], -1
	s_mov_b64 s[20:21], 0
	s_mov_b64 s[0:1], s[12:13]
	s_branch .LBB280_292
.LBB280_279:
	s_andn2_saveexec_b64 s[22:23], s[22:23]
	s_cbranch_execz .LBB280_68
.LBB280_280:
	v_add_f32_e32 v1, 0x42800000, v4
	v_and_b32_e32 v1, 0xff, v1
	v_cmp_ne_u32_e32 vcc, 0, v1
	s_andn2_b64 s[18:19], s[18:19], exec
	s_and_b64 s[26:27], vcc, exec
	s_or_b64 s[18:19], s[18:19], s[26:27]
	s_or_b64 exec, exec, s[22:23]
	v_mov_b32_e32 v5, 0
	s_and_saveexec_b64 s[22:23], s[18:19]
	s_cbranch_execnz .LBB280_69
	s_branch .LBB280_70
.LBB280_281:
	s_mov_b64 s[18:19], -1
                                        ; implicit-def: $vgpr2
	s_mov_b64 s[0:1], 0
.LBB280_282:
	s_and_b64 vcc, exec, s[20:21]
	s_cbranch_vccz .LBB280_398
; %bb.283:
	s_cmp_eq_u32 s24, 44
	s_cbranch_scc0 .LBB280_397
; %bb.284:
	global_load_ubyte v2, v[0:1], off
	s_mov_b32 s0, 0x2f800000
	s_mov_b32 s1, 0xcf800000
	s_mov_b64 s[18:19], 0
	s_waitcnt vmcnt(0)
	v_lshlrev_b32_e32 v3, 23, v2
	v_trunc_f32_e32 v3, v3
	v_mul_f32_e64 v4, |v3|, s0
	v_floor_f32_e32 v4, v4
	v_fma_f32 v4, v4, s1, |v3|
	v_cvt_u32_f32_e32 v4, v4
	v_ashrrev_i32_e32 v3, 31, v3
	v_cmp_ne_u32_e32 vcc, 0, v2
	s_mov_b64 s[0:1], -1
	v_xor_b32_e32 v4, v4, v3
	v_sub_u32_e32 v3, v4, v3
	v_cndmask_b32_e32 v2, 0, v3, vcc
	s_branch .LBB280_398
.LBB280_285:
	s_mov_b64 s[24:25], -1
	s_mov_b64 s[20:21], 0
	s_mov_b64 s[0:1], s[12:13]
.LBB280_286:
	s_and_b64 vcc, exec, s[24:25]
	s_cbranch_vccz .LBB280_291
; %bb.287:
	s_cmp_eq_u32 s29, 44
	s_mov_b64 s[0:1], -1
	s_cbranch_scc0 .LBB280_291
; %bb.288:
	v_cvt_f32_ubyte0_e32 v4, v0
	v_lshrrev_b32_e32 v1, 23, v4
	s_movk_i32 s0, 0xff
	v_cmp_ne_u32_e32 vcc, s0, v1
	v_mov_b32_e32 v5, 0xff
	s_and_saveexec_b64 s[20:21], vcc
; %bb.289:
	s_mov_b32 s0, 0x3fffff
	v_and_b32_e32 v5, 0x400000, v4
	v_and_or_b32 v4, v4, s0, v1
	v_cmp_ne_u32_e32 vcc, 0, v5
	v_cmp_ne_u32_e64 s[0:1], 0, v4
	s_and_b64 s[0:1], vcc, s[0:1]
	s_nop 0
	v_cndmask_b32_e64 v4, 0, 1, s[0:1]
	v_add_u32_e32 v5, v1, v4
; %bb.290:
	s_or_b64 exec, exec, s[20:21]
	s_mov_b64 s[20:21], -1
	s_mov_b64 s[0:1], 0
	global_store_byte v[2:3], v5, off
.LBB280_291:
	s_mov_b64 s[24:25], 0
.LBB280_292:
	s_and_b64 vcc, exec, s[24:25]
	s_cbranch_vccz .LBB280_295
; %bb.293:
	s_cmp_eq_u32 s29, 29
	s_mov_b64 s[0:1], -1
	s_cbranch_scc0 .LBB280_295
; %bb.294:
	s_mov_b32 s0, 0
	v_mov_b32_e32 v1, s0
	global_store_dwordx2 v[2:3], v[0:1], off
	s_mov_b64 s[20:21], -1
	s_mov_b64 s[0:1], 0
.LBB280_295:
	s_mov_b64 s[24:25], 0
.LBB280_296:
	s_and_b64 vcc, exec, s[24:25]
	s_cbranch_vccz .LBB280_312
; %bb.297:
	s_cmp_lt_i32 s29, 27
	s_mov_b64 s[20:21], -1
	s_cbranch_scc1 .LBB280_303
; %bb.298:
	s_cmp_gt_i32 s29, 27
	s_cbranch_scc0 .LBB280_300
; %bb.299:
	s_mov_b64 s[20:21], 0
	global_store_dword v[2:3], v0, off
.LBB280_300:
	s_andn2_b64 vcc, exec, s[20:21]
	s_cbranch_vccnz .LBB280_302
; %bb.301:
	global_store_short v[2:3], v0, off
.LBB280_302:
	s_mov_b64 s[20:21], 0
.LBB280_303:
	s_andn2_b64 vcc, exec, s[20:21]
	s_cbranch_vccnz .LBB280_311
; %bb.304:
	v_cvt_f32_ubyte0_e32 v4, v0
	s_mov_b32 s20, 0x43800000
	v_cmp_gt_u32_e32 vcc, s20, v4
	v_mov_b32_e32 v5, 0x80
	s_and_saveexec_b64 s[20:21], vcc
	s_cbranch_execz .LBB280_310
; %bb.305:
	s_mov_b32 s24, 0x3bffffff
	v_cmp_lt_u32_e32 vcc, s24, v4
	s_mov_b64 s[24:25], 0
                                        ; implicit-def: $vgpr1
	s_and_saveexec_b64 s[26:27], vcc
	s_xor_b64 s[26:27], exec, s[26:27]
	s_cbranch_execz .LBB280_518
; %bb.306:
	v_bfe_u32 v1, v4, 20, 1
	s_mov_b32 s30, 0x487ffff
	v_add3_u32 v1, v4, v1, s30
	s_mov_b64 s[24:25], exec
	v_lshrrev_b32_e32 v1, 20, v1
                                        ; implicit-def: $vgpr4
	s_andn2_saveexec_b64 s[26:27], s[26:27]
	s_cbranch_execnz .LBB280_519
.LBB280_307:
	s_or_b64 exec, exec, s[26:27]
	v_mov_b32_e32 v5, 0
	s_and_saveexec_b64 s[26:27], s[24:25]
.LBB280_308:
	v_mov_b32_e32 v5, v1
.LBB280_309:
	s_or_b64 exec, exec, s[26:27]
.LBB280_310:
	s_or_b64 exec, exec, s[20:21]
	global_store_byte v[2:3], v5, off
.LBB280_311:
	s_mov_b64 s[20:21], -1
.LBB280_312:
	s_mov_b64 s[24:25], 0
.LBB280_313:
	s_and_b64 vcc, exec, s[24:25]
	s_cbranch_vccz .LBB280_354
; %bb.314:
	s_cmp_gt_i32 s29, 22
	s_mov_b64 s[24:25], -1
	s_cbranch_scc0 .LBB280_346
; %bb.315:
	s_cmp_lt_i32 s29, 24
	s_mov_b64 s[20:21], -1
	s_cbranch_scc1 .LBB280_335
; %bb.316:
	s_cmp_gt_i32 s29, 24
	s_cbranch_scc0 .LBB280_324
; %bb.317:
	v_cvt_f32_ubyte0_e32 v4, v0
	s_mov_b32 s20, 0x47800000
	v_cmp_gt_u32_e32 vcc, s20, v4
	v_mov_b32_e32 v5, 0x80
	s_and_saveexec_b64 s[20:21], vcc
	s_cbranch_execz .LBB280_323
; %bb.318:
	s_mov_b32 s24, 0x37ffffff
	v_cmp_lt_u32_e32 vcc, s24, v4
	s_mov_b64 s[24:25], 0
                                        ; implicit-def: $vgpr1
	s_and_saveexec_b64 s[26:27], vcc
	s_xor_b64 s[26:27], exec, s[26:27]
	s_cbranch_execz .LBB280_521
; %bb.319:
	v_bfe_u32 v1, v4, 21, 1
	s_mov_b32 s30, 0x88fffff
	v_add3_u32 v1, v4, v1, s30
	s_mov_b64 s[24:25], exec
	v_lshrrev_b32_e32 v1, 21, v1
                                        ; implicit-def: $vgpr4
	s_andn2_saveexec_b64 s[26:27], s[26:27]
	s_cbranch_execnz .LBB280_522
.LBB280_320:
	s_or_b64 exec, exec, s[26:27]
	v_mov_b32_e32 v5, 0
	s_and_saveexec_b64 s[26:27], s[24:25]
.LBB280_321:
	v_mov_b32_e32 v5, v1
.LBB280_322:
	s_or_b64 exec, exec, s[26:27]
.LBB280_323:
	s_or_b64 exec, exec, s[20:21]
	s_mov_b64 s[20:21], 0
	global_store_byte v[2:3], v5, off
.LBB280_324:
	s_and_b64 vcc, exec, s[20:21]
	s_cbranch_vccz .LBB280_334
; %bb.325:
	v_cvt_f32_ubyte0_e32 v1, v0
	s_mov_b32 s20, 0x43f00000
	v_cmp_gt_u32_e32 vcc, s20, v1
                                        ; implicit-def: $vgpr4
	s_and_saveexec_b64 s[20:21], vcc
	s_xor_b64 s[20:21], exec, s[20:21]
	s_cbranch_execz .LBB280_331
; %bb.326:
	s_mov_b32 s24, 0x3c7fffff
	v_cmp_lt_u32_e32 vcc, s24, v1
                                        ; implicit-def: $vgpr4
	s_and_saveexec_b64 s[24:25], vcc
	s_xor_b64 s[24:25], exec, s[24:25]
; %bb.327:
	v_bfe_u32 v4, v1, 20, 1
	s_mov_b32 s26, 0x407ffff
	v_add3_u32 v1, v1, v4, s26
	v_lshrrev_b32_e32 v4, 20, v1
	v_and_b32_e32 v1, 0xff00000, v1
	s_mov_b32 s26, 0x7f00000
	v_mov_b32_e32 v5, 0x7e
	v_cmp_ne_u32_e32 vcc, s26, v1
                                        ; implicit-def: $vgpr1
	s_nop 1
	v_cndmask_b32_e32 v4, v5, v4, vcc
; %bb.328:
	s_andn2_saveexec_b64 s[24:25], s[24:25]
; %bb.329:
	v_add_f32_e32 v4, 0x46800000, v1
; %bb.330:
	s_or_b64 exec, exec, s[24:25]
                                        ; implicit-def: $vgpr1
.LBB280_331:
	s_andn2_saveexec_b64 s[20:21], s[20:21]
; %bb.332:
	s_mov_b32 s24, 0x7f800000
	v_mov_b32_e32 v4, 0x7e
	v_mov_b32_e32 v5, 0x7f
	v_cmp_lt_u32_e32 vcc, s24, v1
	s_nop 1
	v_cndmask_b32_e32 v4, v4, v5, vcc
; %bb.333:
	s_or_b64 exec, exec, s[20:21]
	global_store_byte v[2:3], v4, off
.LBB280_334:
	s_mov_b64 s[20:21], 0
.LBB280_335:
	s_andn2_b64 vcc, exec, s[20:21]
	s_cbranch_vccnz .LBB280_345
; %bb.336:
	v_cvt_f32_ubyte0_e32 v1, v0
	s_mov_b32 s20, 0x47800000
	v_cmp_gt_u32_e32 vcc, s20, v1
                                        ; implicit-def: $vgpr4
	s_and_saveexec_b64 s[20:21], vcc
	s_xor_b64 s[20:21], exec, s[20:21]
	s_cbranch_execz .LBB280_342
; %bb.337:
	s_mov_b32 s24, 0x387fffff
	v_cmp_lt_u32_e32 vcc, s24, v1
                                        ; implicit-def: $vgpr4
	s_and_saveexec_b64 s[24:25], vcc
	s_xor_b64 s[24:25], exec, s[24:25]
; %bb.338:
	v_bfe_u32 v4, v1, 21, 1
	s_mov_b32 s26, 0x80fffff
	v_add3_u32 v1, v1, v4, s26
	v_lshrrev_b32_e32 v4, 21, v1
                                        ; implicit-def: $vgpr1
; %bb.339:
	s_andn2_saveexec_b64 s[24:25], s[24:25]
; %bb.340:
	v_add_f32_e32 v4, 0x43000000, v1
; %bb.341:
	s_or_b64 exec, exec, s[24:25]
                                        ; implicit-def: $vgpr1
.LBB280_342:
	s_andn2_saveexec_b64 s[20:21], s[20:21]
; %bb.343:
	s_mov_b32 s24, 0x7f800000
	v_mov_b32_e32 v4, 0x7c
	v_mov_b32_e32 v5, 0x7f
	v_cmp_lt_u32_e32 vcc, s24, v1
	s_nop 1
	v_cndmask_b32_e32 v4, v4, v5, vcc
; %bb.344:
	s_or_b64 exec, exec, s[20:21]
	global_store_byte v[2:3], v4, off
.LBB280_345:
	s_mov_b64 s[24:25], 0
	s_mov_b64 s[20:21], -1
.LBB280_346:
	s_andn2_b64 vcc, exec, s[24:25]
	s_cbranch_vccnz .LBB280_354
; %bb.347:
	s_cmp_gt_i32 s29, 14
	s_mov_b64 s[24:25], -1
	s_cbranch_scc0 .LBB280_351
; %bb.348:
	s_cmp_eq_u32 s29, 15
	s_mov_b64 s[0:1], -1
	s_cbranch_scc0 .LBB280_350
; %bb.349:
	v_cvt_f32_ubyte0_e32 v1, v0
	v_bfe_u32 v4, v1, 16, 1
	s_movk_i32 s0, 0x7fff
	v_add3_u32 v1, v1, v4, s0
	global_store_short_d16_hi v[2:3], v1, off
	s_mov_b64 s[20:21], -1
	s_mov_b64 s[0:1], 0
.LBB280_350:
	s_mov_b64 s[24:25], 0
.LBB280_351:
	s_and_b64 vcc, exec, s[24:25]
	s_cbranch_vccz .LBB280_354
; %bb.352:
	s_cmp_eq_u32 s29, 11
	s_mov_b64 s[0:1], -1
	s_cbranch_scc0 .LBB280_354
; %bb.353:
	v_cmp_ne_u16_e32 vcc, 0, v0
	s_mov_b64 s[20:21], -1
	s_mov_b64 s[0:1], 0
	v_cndmask_b32_e64 v1, 0, 1, vcc
	global_store_byte v[2:3], v1, off
.LBB280_354:
	s_mov_b64 s[24:25], 0
.LBB280_355:
	s_and_b64 vcc, exec, s[24:25]
	s_cbranch_vccz .LBB280_394
; %bb.356:
	s_and_b32 s24, 0xffff, s28
	s_cmp_lt_i32 s24, 5
	s_mov_b64 s[20:21], -1
	s_cbranch_scc1 .LBB280_377
; %bb.357:
	s_cmp_lt_i32 s24, 8
	s_cbranch_scc1 .LBB280_367
; %bb.358:
	s_cmp_lt_i32 s24, 9
	s_cbranch_scc1 .LBB280_364
; %bb.359:
	s_cmp_gt_i32 s24, 9
	s_cbranch_scc0 .LBB280_361
; %bb.360:
	v_mov_b32_e32 v6, 0
	v_cvt_f64_u32_e32 v[4:5], v0
	v_mov_b32_e32 v7, v6
	s_mov_b64 s[20:21], 0
	global_store_dwordx4 v[2:3], v[4:7], off
.LBB280_361:
	s_andn2_b64 vcc, exec, s[20:21]
	s_cbranch_vccnz .LBB280_363
; %bb.362:
	v_cvt_f32_ubyte0_e32 v4, v0
	v_mov_b32_e32 v5, 0
	global_store_dwordx2 v[2:3], v[4:5], off
.LBB280_363:
	s_mov_b64 s[20:21], 0
.LBB280_364:
	s_andn2_b64 vcc, exec, s[20:21]
	s_cbranch_vccnz .LBB280_366
; %bb.365:
	v_cvt_f16_u16_e32 v1, v0
	global_store_dword v[2:3], v1, off
.LBB280_366:
	s_mov_b64 s[20:21], 0
.LBB280_367:
	s_andn2_b64 vcc, exec, s[20:21]
	s_cbranch_vccnz .LBB280_376
; %bb.368:
	s_cmp_lt_i32 s24, 6
	s_mov_b64 s[20:21], -1
	s_cbranch_scc1 .LBB280_374
; %bb.369:
	s_cmp_gt_i32 s24, 6
	s_cbranch_scc0 .LBB280_371
; %bb.370:
	v_cvt_f64_u32_e32 v[4:5], v0
	s_mov_b64 s[20:21], 0
	global_store_dwordx2 v[2:3], v[4:5], off
.LBB280_371:
	s_andn2_b64 vcc, exec, s[20:21]
	s_cbranch_vccnz .LBB280_373
; %bb.372:
	v_cvt_f32_ubyte0_e32 v1, v0
	global_store_dword v[2:3], v1, off
.LBB280_373:
	s_mov_b64 s[20:21], 0
.LBB280_374:
	s_andn2_b64 vcc, exec, s[20:21]
	s_cbranch_vccnz .LBB280_376
; %bb.375:
	v_cvt_f16_u16_e32 v1, v0
	global_store_short v[2:3], v1, off
.LBB280_376:
	s_mov_b64 s[20:21], 0
.LBB280_377:
	s_andn2_b64 vcc, exec, s[20:21]
	s_cbranch_vccnz .LBB280_393
; %bb.378:
	s_cmp_lt_i32 s24, 2
	s_mov_b64 s[20:21], -1
	s_cbranch_scc1 .LBB280_388
; %bb.379:
	s_cmp_lt_i32 s24, 3
	s_cbranch_scc1 .LBB280_385
; %bb.380:
	s_cmp_gt_i32 s24, 3
	s_cbranch_scc0 .LBB280_382
; %bb.381:
	s_mov_b32 s20, 0
	v_mov_b32_e32 v1, s20
	s_mov_b64 s[20:21], 0
	global_store_dwordx2 v[2:3], v[0:1], off
.LBB280_382:
	s_andn2_b64 vcc, exec, s[20:21]
	s_cbranch_vccnz .LBB280_384
; %bb.383:
	global_store_dword v[2:3], v0, off
.LBB280_384:
	s_mov_b64 s[20:21], 0
.LBB280_385:
	s_andn2_b64 vcc, exec, s[20:21]
	s_cbranch_vccnz .LBB280_387
; %bb.386:
	global_store_short v[2:3], v0, off
.LBB280_387:
	s_mov_b64 s[20:21], 0
.LBB280_388:
	s_andn2_b64 vcc, exec, s[20:21]
	s_cbranch_vccnz .LBB280_393
; %bb.389:
	s_cmp_gt_i32 s24, 0
	s_mov_b64 s[20:21], -1
	s_cbranch_scc0 .LBB280_391
; %bb.390:
	s_mov_b64 s[20:21], 0
	global_store_byte v[2:3], v0, off
.LBB280_391:
	s_andn2_b64 vcc, exec, s[20:21]
	s_cbranch_vccnz .LBB280_393
; %bb.392:
	global_store_byte v[2:3], v0, off
.LBB280_393:
	s_mov_b64 s[20:21], -1
.LBB280_394:
	s_andn2_b64 vcc, exec, s[20:21]
	s_cbranch_vccnz .LBB280_396
; %bb.395:
	v_add_u32_e32 v10, 0x80, v10
	s_mov_b64 s[24:25], -1
	s_branch .LBB280_504
.LBB280_396:
	s_mov_b64 s[24:25], 0
                                        ; implicit-def: $vgpr10
	s_branch .LBB280_504
.LBB280_397:
	s_mov_b64 s[18:19], -1
                                        ; implicit-def: $vgpr2
.LBB280_398:
	s_mov_b64 s[20:21], 0
.LBB280_399:
	s_and_b64 vcc, exec, s[20:21]
	s_cbranch_vccz .LBB280_403
; %bb.400:
	s_cmp_eq_u32 s24, 29
	s_cbranch_scc0 .LBB280_402
; %bb.401:
	global_load_dwordx2 v[2:3], v[0:1], off
	s_mov_b64 s[0:1], -1
	s_mov_b64 s[18:19], 0
	s_branch .LBB280_403
.LBB280_402:
	s_mov_b64 s[18:19], -1
                                        ; implicit-def: $vgpr2
.LBB280_403:
	s_mov_b64 s[20:21], 0
.LBB280_404:
	s_and_b64 vcc, exec, s[20:21]
	s_cbranch_vccz .LBB280_420
; %bb.405:
	s_cmp_lt_i32 s24, 27
	s_cbranch_scc1 .LBB280_408
; %bb.406:
	s_cmp_gt_i32 s24, 27
	s_cbranch_scc0 .LBB280_409
; %bb.407:
	global_load_dword v2, v[0:1], off
	s_mov_b64 s[0:1], 0
	s_branch .LBB280_410
.LBB280_408:
	s_mov_b64 s[0:1], -1
                                        ; implicit-def: $vgpr2
	s_branch .LBB280_413
.LBB280_409:
	s_mov_b64 s[0:1], -1
                                        ; implicit-def: $vgpr2
.LBB280_410:
	s_andn2_b64 vcc, exec, s[0:1]
	s_cbranch_vccnz .LBB280_412
; %bb.411:
	global_load_ushort v2, v[0:1], off
.LBB280_412:
	s_mov_b64 s[0:1], 0
.LBB280_413:
	s_andn2_b64 vcc, exec, s[0:1]
	s_cbranch_vccnz .LBB280_419
; %bb.414:
	global_load_ubyte v3, v[0:1], off
	s_movk_i32 s0, 0x7f
	s_mov_b64 s[20:21], 0
	s_waitcnt vmcnt(0)
	v_cmp_lt_i16_e32 vcc, s0, v3
	s_and_saveexec_b64 s[0:1], vcc
	s_xor_b64 s[0:1], exec, s[0:1]
	s_cbranch_execz .LBB280_431
; %bb.415:
	s_movk_i32 s20, 0x80
	v_cmp_ne_u16_e32 vcc, s20, v3
	s_and_b64 s[20:21], vcc, exec
	s_andn2_saveexec_b64 s[0:1], s[0:1]
	s_cbranch_execnz .LBB280_432
.LBB280_416:
	s_or_b64 exec, exec, s[0:1]
	v_mov_b32_e32 v2, 0
	s_and_saveexec_b64 s[0:1], s[20:21]
	s_cbranch_execz .LBB280_418
.LBB280_417:
	v_lshlrev_b32_e32 v2, 24, v3
	v_and_b32_e32 v3, 0xffff, v3
	v_and_b32_e32 v4, 7, v3
	v_ffbh_u32_e32 v6, v4
	v_min_u32_e32 v6, 32, v6
	v_subrev_u32_e32 v7, 28, v6
	v_bfe_u32 v5, v3, 3, 4
	v_lshlrev_b32_e32 v3, v7, v3
	v_sub_u32_e32 v6, 29, v6
	v_and_b32_e32 v3, 7, v3
	v_cmp_eq_u32_e32 vcc, 0, v5
	v_and_b32_e32 v2, 0x80000000, v2
	s_mov_b32 s20, 0x2f800000
	v_cndmask_b32_e32 v5, v5, v6, vcc
	v_cndmask_b32_e32 v3, v4, v3, vcc
	v_mov_b32_e32 v4, 0x3b800000
	v_lshlrev_b32_e32 v3, 20, v3
	v_lshl_add_u32 v4, v5, 23, v4
	v_or3_b32 v2, v2, v4, v3
	v_trunc_f32_e32 v2, v2
	v_mul_f32_e64 v3, |v2|, s20
	v_floor_f32_e32 v3, v3
	s_mov_b32 s20, 0xcf800000
	v_fma_f32 v3, v3, s20, |v2|
	v_cvt_u32_f32_e32 v3, v3
	v_ashrrev_i32_e32 v2, 31, v2
	v_xor_b32_e32 v3, v3, v2
	v_sub_u32_e32 v2, v3, v2
.LBB280_418:
	s_or_b64 exec, exec, s[0:1]
.LBB280_419:
	s_mov_b64 s[0:1], -1
.LBB280_420:
	s_mov_b64 s[20:21], 0
.LBB280_421:
	s_and_b64 vcc, exec, s[20:21]
	s_cbranch_vccz .LBB280_454
; %bb.422:
	s_cmp_gt_i32 s24, 22
	s_cbranch_scc0 .LBB280_430
; %bb.423:
	s_cmp_lt_i32 s24, 24
	s_cbranch_scc1 .LBB280_433
; %bb.424:
	s_cmp_gt_i32 s24, 24
	s_cbranch_scc0 .LBB280_434
; %bb.425:
	global_load_ubyte v3, v[0:1], off
	s_movk_i32 s0, 0x7f
	s_mov_b64 s[20:21], 0
	s_waitcnt vmcnt(0)
	v_cmp_lt_i16_e32 vcc, s0, v3
	s_and_saveexec_b64 s[0:1], vcc
	s_xor_b64 s[0:1], exec, s[0:1]
	s_cbranch_execz .LBB280_446
; %bb.426:
	s_movk_i32 s20, 0x80
	v_cmp_ne_u16_e32 vcc, s20, v3
	s_and_b64 s[20:21], vcc, exec
	s_andn2_saveexec_b64 s[0:1], s[0:1]
	s_cbranch_execnz .LBB280_447
.LBB280_427:
	s_or_b64 exec, exec, s[0:1]
	v_mov_b32_e32 v2, 0
	s_and_saveexec_b64 s[0:1], s[20:21]
	s_cbranch_execz .LBB280_429
.LBB280_428:
	v_lshlrev_b32_e32 v2, 24, v3
	v_and_b32_e32 v3, 0xffff, v3
	v_and_b32_e32 v4, 3, v3
	v_ffbh_u32_e32 v6, v4
	v_min_u32_e32 v6, 32, v6
	v_subrev_u32_e32 v7, 29, v6
	v_bfe_u32 v5, v3, 2, 5
	v_lshlrev_b32_e32 v3, v7, v3
	v_sub_u32_e32 v6, 30, v6
	v_and_b32_e32 v3, 3, v3
	v_cmp_eq_u32_e32 vcc, 0, v5
	v_and_b32_e32 v2, 0x80000000, v2
	s_mov_b32 s20, 0x2f800000
	v_cndmask_b32_e32 v5, v5, v6, vcc
	v_cndmask_b32_e32 v3, v4, v3, vcc
	v_mov_b32_e32 v4, 0x37800000
	v_lshlrev_b32_e32 v3, 21, v3
	v_lshl_add_u32 v4, v5, 23, v4
	v_or3_b32 v2, v2, v4, v3
	v_trunc_f32_e32 v2, v2
	v_mul_f32_e64 v3, |v2|, s20
	v_floor_f32_e32 v3, v3
	s_mov_b32 s20, 0xcf800000
	v_fma_f32 v3, v3, s20, |v2|
	v_cvt_u32_f32_e32 v3, v3
	v_ashrrev_i32_e32 v2, 31, v2
	v_xor_b32_e32 v3, v3, v2
	v_sub_u32_e32 v2, v3, v2
.LBB280_429:
	s_or_b64 exec, exec, s[0:1]
	s_mov_b64 s[0:1], 0
	s_branch .LBB280_435
.LBB280_430:
	s_mov_b64 s[20:21], -1
                                        ; implicit-def: $vgpr2
	s_branch .LBB280_441
.LBB280_431:
	s_andn2_saveexec_b64 s[0:1], s[0:1]
	s_cbranch_execz .LBB280_416
.LBB280_432:
	v_cmp_ne_u16_e32 vcc, 0, v3
	s_andn2_b64 s[20:21], s[20:21], exec
	s_and_b64 s[26:27], vcc, exec
	s_or_b64 s[20:21], s[20:21], s[26:27]
	s_or_b64 exec, exec, s[0:1]
	v_mov_b32_e32 v2, 0
	s_and_saveexec_b64 s[0:1], s[20:21]
	s_cbranch_execnz .LBB280_417
	s_branch .LBB280_418
.LBB280_433:
	s_mov_b64 s[0:1], -1
                                        ; implicit-def: $vgpr2
	s_branch .LBB280_438
.LBB280_434:
	s_mov_b64 s[0:1], -1
                                        ; implicit-def: $vgpr2
.LBB280_435:
	s_and_b64 vcc, exec, s[0:1]
	s_cbranch_vccz .LBB280_437
; %bb.436:
	global_load_ubyte v2, v[0:1], off
	s_mov_b32 s0, 0x7f800000
	s_brev_b32 s1, 1
	s_mov_b32 s20, 0x2f800000
	s_waitcnt vmcnt(0)
	v_lshlrev_b32_e32 v2, 24, v2
	v_and_b32_e32 v3, 0x7f000000, v2
	v_ffbh_u32_e32 v4, v3
	v_min_u32_e32 v4, 32, v4
	v_sub_u32_e64 v4, v4, 4 clamp
	v_lshlrev_b32_e32 v6, v4, v3
	v_lshlrev_b32_e32 v4, 23, v4
	v_lshrrev_b32_e32 v6, 4, v6
	v_add_u32_e32 v5, 0x1000000, v3
	v_sub_u32_e32 v4, v6, v4
	v_ashrrev_i32_e32 v5, 8, v5
	v_add_u32_e32 v4, 0x3c000000, v4
	v_and_or_b32 v4, v5, s0, v4
	v_cmp_ne_u32_e32 vcc, 0, v3
	s_mov_b32 s0, 0xcf800000
	s_nop 0
	v_cndmask_b32_e32 v3, 0, v4, vcc
	v_and_or_b32 v2, v2, s1, v3
	v_trunc_f32_e32 v2, v2
	v_mul_f32_e64 v3, |v2|, s20
	v_floor_f32_e32 v3, v3
	v_fma_f32 v3, v3, s0, |v2|
	v_cvt_u32_f32_e32 v3, v3
	v_ashrrev_i32_e32 v2, 31, v2
	v_xor_b32_e32 v3, v3, v2
	v_sub_u32_e32 v2, v3, v2
.LBB280_437:
	s_mov_b64 s[0:1], 0
.LBB280_438:
	s_andn2_b64 vcc, exec, s[0:1]
	s_cbranch_vccnz .LBB280_440
; %bb.439:
	global_load_ubyte v2, v[0:1], off
	s_movk_i32 s0, 0x7f00
	s_brev_b32 s1, 16
	s_brev_b32 s20, 1
	s_mov_b32 s21, 0x2f800000
	s_waitcnt vmcnt(0)
	v_lshlrev_b16_e32 v3, 8, v2
	v_lshlrev_b32_e32 v2, 25, v2
	v_lshrrev_b32_e32 v4, 4, v2
	v_and_or_b32 v5, v3, s0, 0.5
	v_or_b32_e32 v4, 0x70000000, v4
	v_add_f32_e32 v5, -0.5, v5
	v_mul_f32_e32 v4, 0x7800000, v4
	v_cmp_gt_u32_e32 vcc, s1, v2
	v_bfe_i32 v3, v3, 0, 16
	s_mov_b32 s0, 0xcf800000
	v_cndmask_b32_e32 v2, v4, v5, vcc
	v_and_or_b32 v2, v3, s20, v2
	v_trunc_f32_e32 v2, v2
	v_mul_f32_e64 v3, |v2|, s21
	v_floor_f32_e32 v3, v3
	v_fma_f32 v3, v3, s0, |v2|
	v_cvt_u32_f32_e32 v3, v3
	v_ashrrev_i32_e32 v2, 31, v2
	v_xor_b32_e32 v3, v3, v2
	v_sub_u32_e32 v2, v3, v2
.LBB280_440:
	s_mov_b64 s[20:21], 0
	s_mov_b64 s[0:1], -1
.LBB280_441:
	s_andn2_b64 vcc, exec, s[20:21]
	s_cbranch_vccnz .LBB280_454
; %bb.442:
	s_cmp_gt_i32 s24, 14
	s_cbranch_scc0 .LBB280_445
; %bb.443:
	s_cmp_eq_u32 s24, 15
	s_cbranch_scc0 .LBB280_448
; %bb.444:
	global_load_ushort v2, v[0:1], off
	s_mov_b32 s0, 0x2f800000
	s_mov_b32 s1, 0xcf800000
	s_mov_b64 s[18:19], 0
	s_waitcnt vmcnt(0)
	v_lshlrev_b32_e32 v2, 16, v2
	v_trunc_f32_e32 v2, v2
	v_mul_f32_e64 v3, |v2|, s0
	v_floor_f32_e32 v3, v3
	v_fma_f32 v3, v3, s1, |v2|
	v_cvt_u32_f32_e32 v3, v3
	v_ashrrev_i32_e32 v2, 31, v2
	s_mov_b64 s[0:1], -1
	v_xor_b32_e32 v3, v3, v2
	v_sub_u32_e32 v2, v3, v2
	s_branch .LBB280_449
.LBB280_445:
	s_mov_b64 s[20:21], -1
                                        ; implicit-def: $vgpr2
	s_branch .LBB280_450
.LBB280_446:
	s_andn2_saveexec_b64 s[0:1], s[0:1]
	s_cbranch_execz .LBB280_427
.LBB280_447:
	v_cmp_ne_u16_e32 vcc, 0, v3
	s_andn2_b64 s[20:21], s[20:21], exec
	s_and_b64 s[26:27], vcc, exec
	s_or_b64 s[20:21], s[20:21], s[26:27]
	s_or_b64 exec, exec, s[0:1]
	v_mov_b32_e32 v2, 0
	s_and_saveexec_b64 s[0:1], s[20:21]
	s_cbranch_execnz .LBB280_428
	s_branch .LBB280_429
.LBB280_448:
	s_mov_b64 s[18:19], -1
                                        ; implicit-def: $vgpr2
.LBB280_449:
	s_mov_b64 s[20:21], 0
.LBB280_450:
	s_and_b64 vcc, exec, s[20:21]
	s_cbranch_vccz .LBB280_454
; %bb.451:
	s_cmp_eq_u32 s24, 11
	s_cbranch_scc0 .LBB280_453
; %bb.452:
	global_load_ubyte v2, v[0:1], off
	s_mov_b64 s[0:1], -1
	s_mov_b64 s[18:19], 0
	s_waitcnt vmcnt(0)
	v_cmp_ne_u16_e32 vcc, 0, v2
	s_nop 1
	v_cndmask_b32_e64 v2, 0, 1, vcc
	s_branch .LBB280_454
.LBB280_453:
	s_mov_b64 s[18:19], -1
                                        ; implicit-def: $vgpr2
.LBB280_454:
	s_branch .LBB280_261
.LBB280_455:
	s_cmp_lt_i32 s24, 5
	s_cbranch_scc1 .LBB280_460
; %bb.456:
	s_cmp_lt_i32 s24, 8
	s_cbranch_scc1 .LBB280_461
; %bb.457:
	;; [unrolled: 3-line block ×3, first 2 shown]
	s_cmp_gt_i32 s24, 9
	s_cbranch_scc0 .LBB280_463
; %bb.459:
	global_load_dwordx2 v[2:3], v[0:1], off
	s_movk_i32 s0, 0xffe0
	s_waitcnt vmcnt(0)
	v_trunc_f64_e32 v[2:3], v[2:3]
	v_ldexp_f64 v[4:5], v[2:3], s0
	v_floor_f64_e32 v[4:5], v[4:5]
	v_fmac_f64_e32 v[2:3], 0xc1f00000, v[4:5]
	v_cvt_u32_f64_e32 v2, v[2:3]
	s_mov_b64 s[0:1], 0
	s_branch .LBB280_464
.LBB280_460:
	s_mov_b64 s[0:1], -1
                                        ; implicit-def: $vgpr2
	s_branch .LBB280_482
.LBB280_461:
	s_mov_b64 s[0:1], -1
                                        ; implicit-def: $vgpr2
	s_branch .LBB280_470
.LBB280_462:
	s_mov_b64 s[0:1], -1
                                        ; implicit-def: $vgpr2
	s_branch .LBB280_467
.LBB280_463:
	s_mov_b64 s[0:1], -1
                                        ; implicit-def: $vgpr2
.LBB280_464:
	s_andn2_b64 vcc, exec, s[0:1]
	s_cbranch_vccnz .LBB280_466
; %bb.465:
	global_load_dword v2, v[0:1], off
	s_mov_b32 s0, 0x2f800000
	s_waitcnt vmcnt(0)
	v_trunc_f32_e32 v2, v2
	v_mul_f32_e64 v3, |v2|, s0
	v_floor_f32_e32 v3, v3
	s_mov_b32 s0, 0xcf800000
	v_fma_f32 v3, v3, s0, |v2|
	v_cvt_u32_f32_e32 v3, v3
	v_ashrrev_i32_e32 v2, 31, v2
	v_xor_b32_e32 v3, v3, v2
	v_sub_u32_e32 v2, v3, v2
.LBB280_466:
	s_mov_b64 s[0:1], 0
.LBB280_467:
	s_andn2_b64 vcc, exec, s[0:1]
	s_cbranch_vccnz .LBB280_469
; %bb.468:
	global_load_dword v2, v[0:1], off
	s_waitcnt vmcnt(0)
	v_cvt_f32_f16_e32 v2, v2
	v_cvt_i32_f32_e32 v2, v2
.LBB280_469:
	s_mov_b64 s[0:1], 0
.LBB280_470:
	s_andn2_b64 vcc, exec, s[0:1]
	s_cbranch_vccnz .LBB280_481
; %bb.471:
	s_cmp_lt_i32 s24, 6
	s_cbranch_scc1 .LBB280_474
; %bb.472:
	s_cmp_gt_i32 s24, 6
	s_cbranch_scc0 .LBB280_475
; %bb.473:
	global_load_dwordx2 v[2:3], v[0:1], off
	s_movk_i32 s0, 0xffe0
	s_waitcnt vmcnt(0)
	v_trunc_f64_e32 v[2:3], v[2:3]
	v_ldexp_f64 v[4:5], v[2:3], s0
	v_floor_f64_e32 v[4:5], v[4:5]
	v_fmac_f64_e32 v[2:3], 0xc1f00000, v[4:5]
	v_cvt_u32_f64_e32 v2, v[2:3]
	s_mov_b64 s[0:1], 0
	s_branch .LBB280_476
.LBB280_474:
	s_mov_b64 s[0:1], -1
                                        ; implicit-def: $vgpr2
	s_branch .LBB280_479
.LBB280_475:
	s_mov_b64 s[0:1], -1
                                        ; implicit-def: $vgpr2
.LBB280_476:
	s_andn2_b64 vcc, exec, s[0:1]
	s_cbranch_vccnz .LBB280_478
; %bb.477:
	global_load_dword v2, v[0:1], off
	s_mov_b32 s0, 0x2f800000
	s_waitcnt vmcnt(0)
	v_trunc_f32_e32 v2, v2
	v_mul_f32_e64 v3, |v2|, s0
	v_floor_f32_e32 v3, v3
	s_mov_b32 s0, 0xcf800000
	v_fma_f32 v3, v3, s0, |v2|
	v_cvt_u32_f32_e32 v3, v3
	v_ashrrev_i32_e32 v2, 31, v2
	v_xor_b32_e32 v3, v3, v2
	v_sub_u32_e32 v2, v3, v2
.LBB280_478:
	s_mov_b64 s[0:1], 0
.LBB280_479:
	s_andn2_b64 vcc, exec, s[0:1]
	s_cbranch_vccnz .LBB280_481
; %bb.480:
	global_load_ushort v2, v[0:1], off
	s_waitcnt vmcnt(0)
	v_cvt_f32_f16_e32 v2, v2
	v_cvt_i32_f32_e32 v2, v2
.LBB280_481:
	s_mov_b64 s[0:1], 0
.LBB280_482:
	s_andn2_b64 vcc, exec, s[0:1]
	s_cbranch_vccnz .LBB280_502
; %bb.483:
	s_cmp_lt_i32 s24, 2
	s_cbranch_scc1 .LBB280_487
; %bb.484:
	s_cmp_lt_i32 s24, 3
	s_cbranch_scc1 .LBB280_488
; %bb.485:
	s_cmp_gt_i32 s24, 3
	s_cbranch_scc0 .LBB280_489
; %bb.486:
	global_load_dwordx2 v[2:3], v[0:1], off
	s_mov_b64 s[0:1], 0
	s_branch .LBB280_490
.LBB280_487:
	s_mov_b64 s[0:1], -1
                                        ; implicit-def: $vgpr2
	s_branch .LBB280_496
.LBB280_488:
	s_mov_b64 s[0:1], -1
                                        ; implicit-def: $vgpr2
	s_branch .LBB280_493
.LBB280_489:
	s_mov_b64 s[0:1], -1
                                        ; implicit-def: $vgpr2
.LBB280_490:
	s_andn2_b64 vcc, exec, s[0:1]
	s_cbranch_vccnz .LBB280_492
; %bb.491:
	global_load_dword v2, v[0:1], off
.LBB280_492:
	s_mov_b64 s[0:1], 0
.LBB280_493:
	s_andn2_b64 vcc, exec, s[0:1]
	s_cbranch_vccnz .LBB280_495
; %bb.494:
	global_load_ushort v2, v[0:1], off
.LBB280_495:
	s_mov_b64 s[0:1], 0
.LBB280_496:
	s_andn2_b64 vcc, exec, s[0:1]
	s_cbranch_vccnz .LBB280_502
; %bb.497:
	s_cmp_gt_i32 s24, 0
	s_cbranch_scc0 .LBB280_499
; %bb.498:
	global_load_ubyte v2, v[0:1], off
	s_mov_b64 s[0:1], 0
	s_branch .LBB280_500
.LBB280_499:
	s_mov_b64 s[0:1], -1
                                        ; implicit-def: $vgpr2
.LBB280_500:
	s_andn2_b64 vcc, exec, s[0:1]
	s_cbranch_vccnz .LBB280_502
; %bb.501:
	global_load_ubyte v2, v[0:1], off
.LBB280_502:
	s_branch .LBB280_262
.LBB280_503:
	s_mov_b64 s[24:25], 0
                                        ; implicit-def: $vgpr10
	s_mov_b64 s[0:1], s[12:13]
.LBB280_504:
	s_andn2_b64 s[20:21], s[12:13], exec
	s_and_b64 s[0:1], s[0:1], exec
	s_or_b64 s[20:21], s[20:21], s[0:1]
	s_andn2_b64 s[0:1], s[14:15], exec
	s_and_b64 s[18:19], s[18:19], exec
	s_or_b64 s[18:19], s[0:1], s[18:19]
	s_orn2_b64 s[0:1], s[24:25], exec
.LBB280_505:
	s_or_b64 exec, exec, s[22:23]
	s_mov_b64 s[24:25], 0
	s_mov_b64 s[26:27], 0
	;; [unrolled: 1-line block ×3, first 2 shown]
                                        ; implicit-def: $vgpr0_vgpr1
                                        ; implicit-def: $vgpr4
	s_and_saveexec_b64 s[22:23], s[0:1]
	s_cbranch_execz .LBB280_842
; %bb.506:
	v_cmp_gt_i32_e32 vcc, s38, v10
	s_mov_b64 s[34:35], -1
	s_mov_b64 s[0:1], s[18:19]
	s_mov_b64 s[28:29], s[20:21]
	s_and_saveexec_b64 s[24:25], vcc
	s_cbranch_execz .LBB280_760
; %bb.507:
	v_mul_lo_u32 v0, v10, s9
	v_ashrrev_i32_e32 v1, 31, v0
	s_and_b32 s30, 0xffff, s44
	s_cmp_lt_i32 s30, 11
	v_lshl_add_u64 v[0:1], s[6:7], 0, v[0:1]
	s_cbranch_scc1 .LBB280_514
; %bb.508:
	s_cmp_gt_i32 s30, 25
	s_cbranch_scc0 .LBB280_515
; %bb.509:
	s_cmp_gt_i32 s30, 28
	s_cbranch_scc0 .LBB280_516
; %bb.510:
	s_cmp_gt_i32 s30, 43
	s_cbranch_scc0 .LBB280_517
; %bb.511:
	s_cmp_gt_i32 s30, 45
	s_cbranch_scc0 .LBB280_520
; %bb.512:
	s_cmp_eq_u32 s30, 46
	s_mov_b64 s[28:29], 0
	s_cbranch_scc0 .LBB280_523
; %bb.513:
	global_load_dword v2, v[0:1], off
	s_mov_b32 s0, 0x2f800000
	s_mov_b32 s1, 0xcf800000
	s_waitcnt vmcnt(0)
	v_lshlrev_b32_e32 v2, 16, v2
	v_trunc_f32_e32 v2, v2
	v_mul_f32_e64 v3, |v2|, s0
	v_floor_f32_e32 v3, v3
	v_fma_f32 v3, v3, s1, |v2|
	v_cvt_u32_f32_e32 v3, v3
	v_ashrrev_i32_e32 v2, 31, v2
	s_mov_b64 s[0:1], -1
	v_xor_b32_e32 v3, v3, v2
	v_sub_u32_e32 v2, v3, v2
	s_branch .LBB280_524
.LBB280_514:
	s_mov_b64 s[28:29], -1
	s_mov_b64 s[0:1], 0
                                        ; implicit-def: $vgpr2
	s_mov_b64 s[26:27], s[18:19]
	s_branch .LBB280_585
.LBB280_515:
	s_mov_b64 s[28:29], -1
	s_mov_b64 s[0:1], 0
	s_mov_b64 s[26:27], s[18:19]
                                        ; implicit-def: $vgpr2
	s_branch .LBB280_551
.LBB280_516:
	s_mov_b64 s[28:29], -1
	s_mov_b64 s[0:1], 0
	s_mov_b64 s[26:27], s[18:19]
                                        ; implicit-def: $vgpr2
	s_branch .LBB280_534
.LBB280_517:
	s_mov_b64 s[28:29], -1
	s_mov_b64 s[0:1], 0
	s_mov_b64 s[26:27], s[18:19]
                                        ; implicit-def: $vgpr2
	s_branch .LBB280_529
.LBB280_518:
	s_andn2_saveexec_b64 s[26:27], s[26:27]
	s_cbranch_execz .LBB280_307
.LBB280_519:
	v_add_f32_e32 v1, 0x46000000, v4
	v_and_b32_e32 v1, 0xff, v1
	v_cmp_ne_u32_e32 vcc, 0, v1
	s_andn2_b64 s[24:25], s[24:25], exec
	s_and_b64 s[30:31], vcc, exec
	s_or_b64 s[24:25], s[24:25], s[30:31]
	s_or_b64 exec, exec, s[26:27]
	v_mov_b32_e32 v5, 0
	s_and_saveexec_b64 s[26:27], s[24:25]
	s_cbranch_execnz .LBB280_308
	s_branch .LBB280_309
.LBB280_520:
	s_mov_b64 s[28:29], -1
	s_mov_b64 s[0:1], 0
	s_mov_b64 s[26:27], s[18:19]
                                        ; implicit-def: $vgpr2
	s_branch .LBB280_524
.LBB280_521:
	s_andn2_saveexec_b64 s[26:27], s[26:27]
	s_cbranch_execz .LBB280_320
.LBB280_522:
	v_add_f32_e32 v1, 0x42800000, v4
	v_and_b32_e32 v1, 0xff, v1
	v_cmp_ne_u32_e32 vcc, 0, v1
	s_andn2_b64 s[24:25], s[24:25], exec
	s_and_b64 s[30:31], vcc, exec
	s_or_b64 s[24:25], s[24:25], s[30:31]
	s_or_b64 exec, exec, s[26:27]
	v_mov_b32_e32 v5, 0
	s_and_saveexec_b64 s[26:27], s[24:25]
	s_cbranch_execnz .LBB280_321
	s_branch .LBB280_322
.LBB280_523:
	s_mov_b64 s[26:27], -1
                                        ; implicit-def: $vgpr2
	s_mov_b64 s[0:1], 0
.LBB280_524:
	s_and_b64 vcc, exec, s[28:29]
	s_cbranch_vccz .LBB280_528
; %bb.525:
	s_cmp_eq_u32 s30, 44
	s_cbranch_scc0 .LBB280_527
; %bb.526:
	global_load_ubyte v2, v[0:1], off
	s_mov_b32 s0, 0x2f800000
	s_mov_b32 s1, 0xcf800000
	s_mov_b64 s[26:27], 0
	s_waitcnt vmcnt(0)
	v_lshlrev_b32_e32 v3, 23, v2
	v_trunc_f32_e32 v3, v3
	v_mul_f32_e64 v4, |v3|, s0
	v_floor_f32_e32 v4, v4
	v_fma_f32 v4, v4, s1, |v3|
	v_cvt_u32_f32_e32 v4, v4
	v_ashrrev_i32_e32 v3, 31, v3
	v_cmp_ne_u32_e32 vcc, 0, v2
	s_mov_b64 s[0:1], -1
	v_xor_b32_e32 v4, v4, v3
	v_sub_u32_e32 v3, v4, v3
	v_cndmask_b32_e32 v2, 0, v3, vcc
	s_branch .LBB280_528
.LBB280_527:
	s_mov_b64 s[26:27], -1
                                        ; implicit-def: $vgpr2
.LBB280_528:
	s_mov_b64 s[28:29], 0
.LBB280_529:
	s_and_b64 vcc, exec, s[28:29]
	s_cbranch_vccz .LBB280_533
; %bb.530:
	s_cmp_eq_u32 s30, 29
	s_cbranch_scc0 .LBB280_532
; %bb.531:
	global_load_dwordx2 v[2:3], v[0:1], off
	s_mov_b64 s[0:1], -1
	s_mov_b64 s[26:27], 0
	s_branch .LBB280_533
.LBB280_532:
	s_mov_b64 s[26:27], -1
                                        ; implicit-def: $vgpr2
.LBB280_533:
	s_mov_b64 s[28:29], 0
.LBB280_534:
	s_and_b64 vcc, exec, s[28:29]
	s_cbranch_vccz .LBB280_550
; %bb.535:
	s_cmp_lt_i32 s30, 27
	s_cbranch_scc1 .LBB280_538
; %bb.536:
	s_cmp_gt_i32 s30, 27
	s_cbranch_scc0 .LBB280_539
; %bb.537:
	global_load_dword v2, v[0:1], off
	s_mov_b64 s[0:1], 0
	s_branch .LBB280_540
.LBB280_538:
	s_mov_b64 s[0:1], -1
                                        ; implicit-def: $vgpr2
	s_branch .LBB280_543
.LBB280_539:
	s_mov_b64 s[0:1], -1
                                        ; implicit-def: $vgpr2
.LBB280_540:
	s_andn2_b64 vcc, exec, s[0:1]
	s_cbranch_vccnz .LBB280_542
; %bb.541:
	global_load_ushort v2, v[0:1], off
.LBB280_542:
	s_mov_b64 s[0:1], 0
.LBB280_543:
	s_andn2_b64 vcc, exec, s[0:1]
	s_cbranch_vccnz .LBB280_549
; %bb.544:
	global_load_ubyte v3, v[0:1], off
	s_movk_i32 s0, 0x7f
	s_mov_b64 s[28:29], 0
	s_waitcnt vmcnt(0)
	v_cmp_lt_i16_e32 vcc, s0, v3
	s_and_saveexec_b64 s[0:1], vcc
	s_xor_b64 s[0:1], exec, s[0:1]
	s_cbranch_execz .LBB280_561
; %bb.545:
	s_movk_i32 s28, 0x80
	v_cmp_ne_u16_e32 vcc, s28, v3
	s_and_b64 s[28:29], vcc, exec
	s_andn2_saveexec_b64 s[0:1], s[0:1]
	s_cbranch_execnz .LBB280_562
.LBB280_546:
	s_or_b64 exec, exec, s[0:1]
	v_mov_b32_e32 v2, 0
	s_and_saveexec_b64 s[0:1], s[28:29]
	s_cbranch_execz .LBB280_548
.LBB280_547:
	v_lshlrev_b32_e32 v2, 24, v3
	v_and_b32_e32 v3, 0xffff, v3
	v_and_b32_e32 v4, 7, v3
	v_ffbh_u32_e32 v6, v4
	v_min_u32_e32 v6, 32, v6
	v_subrev_u32_e32 v7, 28, v6
	v_bfe_u32 v5, v3, 3, 4
	v_lshlrev_b32_e32 v3, v7, v3
	v_sub_u32_e32 v6, 29, v6
	v_and_b32_e32 v3, 7, v3
	v_cmp_eq_u32_e32 vcc, 0, v5
	v_and_b32_e32 v2, 0x80000000, v2
	s_mov_b32 s28, 0x2f800000
	v_cndmask_b32_e32 v5, v5, v6, vcc
	v_cndmask_b32_e32 v3, v4, v3, vcc
	v_mov_b32_e32 v4, 0x3b800000
	v_lshlrev_b32_e32 v3, 20, v3
	v_lshl_add_u32 v4, v5, 23, v4
	v_or3_b32 v2, v2, v4, v3
	v_trunc_f32_e32 v2, v2
	v_mul_f32_e64 v3, |v2|, s28
	v_floor_f32_e32 v3, v3
	s_mov_b32 s28, 0xcf800000
	v_fma_f32 v3, v3, s28, |v2|
	v_cvt_u32_f32_e32 v3, v3
	v_ashrrev_i32_e32 v2, 31, v2
	v_xor_b32_e32 v3, v3, v2
	v_sub_u32_e32 v2, v3, v2
.LBB280_548:
	s_or_b64 exec, exec, s[0:1]
.LBB280_549:
	s_mov_b64 s[0:1], -1
.LBB280_550:
	s_mov_b64 s[28:29], 0
.LBB280_551:
	s_and_b64 vcc, exec, s[28:29]
	s_cbranch_vccz .LBB280_584
; %bb.552:
	s_cmp_gt_i32 s30, 22
	s_cbranch_scc0 .LBB280_560
; %bb.553:
	s_cmp_lt_i32 s30, 24
	s_cbranch_scc1 .LBB280_563
; %bb.554:
	s_cmp_gt_i32 s30, 24
	s_cbranch_scc0 .LBB280_564
; %bb.555:
	global_load_ubyte v3, v[0:1], off
	s_movk_i32 s0, 0x7f
	s_mov_b64 s[28:29], 0
	s_waitcnt vmcnt(0)
	v_cmp_lt_i16_e32 vcc, s0, v3
	s_and_saveexec_b64 s[0:1], vcc
	s_xor_b64 s[0:1], exec, s[0:1]
	s_cbranch_execz .LBB280_576
; %bb.556:
	s_movk_i32 s28, 0x80
	v_cmp_ne_u16_e32 vcc, s28, v3
	s_and_b64 s[28:29], vcc, exec
	s_andn2_saveexec_b64 s[0:1], s[0:1]
	s_cbranch_execnz .LBB280_577
.LBB280_557:
	s_or_b64 exec, exec, s[0:1]
	v_mov_b32_e32 v2, 0
	s_and_saveexec_b64 s[0:1], s[28:29]
	s_cbranch_execz .LBB280_559
.LBB280_558:
	v_lshlrev_b32_e32 v2, 24, v3
	v_and_b32_e32 v3, 0xffff, v3
	v_and_b32_e32 v4, 3, v3
	v_ffbh_u32_e32 v6, v4
	v_min_u32_e32 v6, 32, v6
	v_subrev_u32_e32 v7, 29, v6
	v_bfe_u32 v5, v3, 2, 5
	v_lshlrev_b32_e32 v3, v7, v3
	v_sub_u32_e32 v6, 30, v6
	v_and_b32_e32 v3, 3, v3
	v_cmp_eq_u32_e32 vcc, 0, v5
	v_and_b32_e32 v2, 0x80000000, v2
	s_mov_b32 s28, 0x2f800000
	v_cndmask_b32_e32 v5, v5, v6, vcc
	v_cndmask_b32_e32 v3, v4, v3, vcc
	v_mov_b32_e32 v4, 0x37800000
	v_lshlrev_b32_e32 v3, 21, v3
	v_lshl_add_u32 v4, v5, 23, v4
	v_or3_b32 v2, v2, v4, v3
	v_trunc_f32_e32 v2, v2
	v_mul_f32_e64 v3, |v2|, s28
	v_floor_f32_e32 v3, v3
	s_mov_b32 s28, 0xcf800000
	v_fma_f32 v3, v3, s28, |v2|
	v_cvt_u32_f32_e32 v3, v3
	v_ashrrev_i32_e32 v2, 31, v2
	v_xor_b32_e32 v3, v3, v2
	v_sub_u32_e32 v2, v3, v2
.LBB280_559:
	s_or_b64 exec, exec, s[0:1]
	s_mov_b64 s[0:1], 0
	s_branch .LBB280_565
.LBB280_560:
	s_mov_b64 s[28:29], -1
                                        ; implicit-def: $vgpr2
	s_branch .LBB280_571
.LBB280_561:
	s_andn2_saveexec_b64 s[0:1], s[0:1]
	s_cbranch_execz .LBB280_546
.LBB280_562:
	v_cmp_ne_u16_e32 vcc, 0, v3
	s_andn2_b64 s[28:29], s[28:29], exec
	s_and_b64 s[34:35], vcc, exec
	s_or_b64 s[28:29], s[28:29], s[34:35]
	s_or_b64 exec, exec, s[0:1]
	v_mov_b32_e32 v2, 0
	s_and_saveexec_b64 s[0:1], s[28:29]
	s_cbranch_execnz .LBB280_547
	s_branch .LBB280_548
.LBB280_563:
	s_mov_b64 s[0:1], -1
                                        ; implicit-def: $vgpr2
	s_branch .LBB280_568
.LBB280_564:
	s_mov_b64 s[0:1], -1
                                        ; implicit-def: $vgpr2
.LBB280_565:
	s_and_b64 vcc, exec, s[0:1]
	s_cbranch_vccz .LBB280_567
; %bb.566:
	global_load_ubyte v2, v[0:1], off
	s_mov_b32 s0, 0x7f800000
	s_brev_b32 s1, 1
	s_mov_b32 s28, 0x2f800000
	s_waitcnt vmcnt(0)
	v_lshlrev_b32_e32 v2, 24, v2
	v_and_b32_e32 v3, 0x7f000000, v2
	v_ffbh_u32_e32 v4, v3
	v_min_u32_e32 v4, 32, v4
	v_sub_u32_e64 v4, v4, 4 clamp
	v_lshlrev_b32_e32 v6, v4, v3
	v_lshlrev_b32_e32 v4, 23, v4
	v_lshrrev_b32_e32 v6, 4, v6
	v_add_u32_e32 v5, 0x1000000, v3
	v_sub_u32_e32 v4, v6, v4
	v_ashrrev_i32_e32 v5, 8, v5
	v_add_u32_e32 v4, 0x3c000000, v4
	v_and_or_b32 v4, v5, s0, v4
	v_cmp_ne_u32_e32 vcc, 0, v3
	s_mov_b32 s0, 0xcf800000
	s_nop 0
	v_cndmask_b32_e32 v3, 0, v4, vcc
	v_and_or_b32 v2, v2, s1, v3
	v_trunc_f32_e32 v2, v2
	v_mul_f32_e64 v3, |v2|, s28
	v_floor_f32_e32 v3, v3
	v_fma_f32 v3, v3, s0, |v2|
	v_cvt_u32_f32_e32 v3, v3
	v_ashrrev_i32_e32 v2, 31, v2
	v_xor_b32_e32 v3, v3, v2
	v_sub_u32_e32 v2, v3, v2
.LBB280_567:
	s_mov_b64 s[0:1], 0
.LBB280_568:
	s_andn2_b64 vcc, exec, s[0:1]
	s_cbranch_vccnz .LBB280_570
; %bb.569:
	global_load_ubyte v2, v[0:1], off
	s_movk_i32 s0, 0x7f00
	s_brev_b32 s1, 16
	s_brev_b32 s28, 1
	s_mov_b32 s29, 0x2f800000
	s_waitcnt vmcnt(0)
	v_lshlrev_b16_e32 v3, 8, v2
	v_lshlrev_b32_e32 v2, 25, v2
	v_lshrrev_b32_e32 v4, 4, v2
	v_and_or_b32 v5, v3, s0, 0.5
	v_or_b32_e32 v4, 0x70000000, v4
	v_add_f32_e32 v5, -0.5, v5
	v_mul_f32_e32 v4, 0x7800000, v4
	v_cmp_gt_u32_e32 vcc, s1, v2
	v_bfe_i32 v3, v3, 0, 16
	s_mov_b32 s0, 0xcf800000
	v_cndmask_b32_e32 v2, v4, v5, vcc
	v_and_or_b32 v2, v3, s28, v2
	v_trunc_f32_e32 v2, v2
	v_mul_f32_e64 v3, |v2|, s29
	v_floor_f32_e32 v3, v3
	v_fma_f32 v3, v3, s0, |v2|
	v_cvt_u32_f32_e32 v3, v3
	v_ashrrev_i32_e32 v2, 31, v2
	v_xor_b32_e32 v3, v3, v2
	v_sub_u32_e32 v2, v3, v2
.LBB280_570:
	s_mov_b64 s[28:29], 0
	s_mov_b64 s[0:1], -1
.LBB280_571:
	s_andn2_b64 vcc, exec, s[28:29]
	s_cbranch_vccnz .LBB280_584
; %bb.572:
	s_cmp_gt_i32 s30, 14
	s_cbranch_scc0 .LBB280_575
; %bb.573:
	s_cmp_eq_u32 s30, 15
	s_cbranch_scc0 .LBB280_578
; %bb.574:
	global_load_ushort v2, v[0:1], off
	s_mov_b32 s0, 0x2f800000
	s_mov_b32 s1, 0xcf800000
	s_mov_b64 s[26:27], 0
	s_waitcnt vmcnt(0)
	v_lshlrev_b32_e32 v2, 16, v2
	v_trunc_f32_e32 v2, v2
	v_mul_f32_e64 v3, |v2|, s0
	v_floor_f32_e32 v3, v3
	v_fma_f32 v3, v3, s1, |v2|
	v_cvt_u32_f32_e32 v3, v3
	v_ashrrev_i32_e32 v2, 31, v2
	s_mov_b64 s[0:1], -1
	v_xor_b32_e32 v3, v3, v2
	v_sub_u32_e32 v2, v3, v2
	s_branch .LBB280_579
.LBB280_575:
	s_mov_b64 s[28:29], -1
                                        ; implicit-def: $vgpr2
	s_branch .LBB280_580
.LBB280_576:
	s_andn2_saveexec_b64 s[0:1], s[0:1]
	s_cbranch_execz .LBB280_557
.LBB280_577:
	v_cmp_ne_u16_e32 vcc, 0, v3
	s_andn2_b64 s[28:29], s[28:29], exec
	s_and_b64 s[34:35], vcc, exec
	s_or_b64 s[28:29], s[28:29], s[34:35]
	s_or_b64 exec, exec, s[0:1]
	v_mov_b32_e32 v2, 0
	s_and_saveexec_b64 s[0:1], s[28:29]
	s_cbranch_execnz .LBB280_558
	s_branch .LBB280_559
.LBB280_578:
	s_mov_b64 s[26:27], -1
                                        ; implicit-def: $vgpr2
.LBB280_579:
	s_mov_b64 s[28:29], 0
.LBB280_580:
	s_and_b64 vcc, exec, s[28:29]
	s_cbranch_vccz .LBB280_584
; %bb.581:
	s_cmp_eq_u32 s30, 11
	s_cbranch_scc0 .LBB280_583
; %bb.582:
	global_load_ubyte v2, v[0:1], off
	s_mov_b64 s[0:1], -1
	s_mov_b64 s[26:27], 0
	s_waitcnt vmcnt(0)
	v_cmp_ne_u16_e32 vcc, 0, v2
	s_nop 1
	v_cndmask_b32_e64 v2, 0, 1, vcc
	s_branch .LBB280_584
.LBB280_583:
	s_mov_b64 s[26:27], -1
                                        ; implicit-def: $vgpr2
.LBB280_584:
	s_mov_b64 s[28:29], 0
.LBB280_585:
	s_and_b64 vcc, exec, s[28:29]
	s_cbranch_vccz .LBB280_634
; %bb.586:
	s_cmp_lt_i32 s30, 5
	s_cbranch_scc1 .LBB280_591
; %bb.587:
	s_cmp_lt_i32 s30, 8
	s_cbranch_scc1 .LBB280_592
	;; [unrolled: 3-line block ×3, first 2 shown]
; %bb.589:
	s_cmp_gt_i32 s30, 9
	s_cbranch_scc0 .LBB280_594
; %bb.590:
	global_load_dwordx2 v[2:3], v[0:1], off
	s_movk_i32 s0, 0xffe0
	s_waitcnt vmcnt(0)
	v_trunc_f64_e32 v[2:3], v[2:3]
	v_ldexp_f64 v[4:5], v[2:3], s0
	v_floor_f64_e32 v[4:5], v[4:5]
	v_fmac_f64_e32 v[2:3], 0xc1f00000, v[4:5]
	v_cvt_u32_f64_e32 v2, v[2:3]
	s_mov_b64 s[0:1], 0
	s_branch .LBB280_595
.LBB280_591:
	s_mov_b64 s[0:1], -1
                                        ; implicit-def: $vgpr2
	s_branch .LBB280_613
.LBB280_592:
	s_mov_b64 s[0:1], -1
                                        ; implicit-def: $vgpr2
	s_branch .LBB280_601
.LBB280_593:
	s_mov_b64 s[0:1], -1
                                        ; implicit-def: $vgpr2
	s_branch .LBB280_598
.LBB280_594:
	s_mov_b64 s[0:1], -1
                                        ; implicit-def: $vgpr2
.LBB280_595:
	s_andn2_b64 vcc, exec, s[0:1]
	s_cbranch_vccnz .LBB280_597
; %bb.596:
	global_load_dword v2, v[0:1], off
	s_mov_b32 s0, 0x2f800000
	s_waitcnt vmcnt(0)
	v_trunc_f32_e32 v2, v2
	v_mul_f32_e64 v3, |v2|, s0
	v_floor_f32_e32 v3, v3
	s_mov_b32 s0, 0xcf800000
	v_fma_f32 v3, v3, s0, |v2|
	v_cvt_u32_f32_e32 v3, v3
	v_ashrrev_i32_e32 v2, 31, v2
	v_xor_b32_e32 v3, v3, v2
	v_sub_u32_e32 v2, v3, v2
.LBB280_597:
	s_mov_b64 s[0:1], 0
.LBB280_598:
	s_andn2_b64 vcc, exec, s[0:1]
	s_cbranch_vccnz .LBB280_600
; %bb.599:
	global_load_dword v2, v[0:1], off
	s_waitcnt vmcnt(0)
	v_cvt_f32_f16_e32 v2, v2
	v_cvt_i32_f32_e32 v2, v2
.LBB280_600:
	s_mov_b64 s[0:1], 0
.LBB280_601:
	s_andn2_b64 vcc, exec, s[0:1]
	s_cbranch_vccnz .LBB280_612
; %bb.602:
	s_cmp_lt_i32 s30, 6
	s_cbranch_scc1 .LBB280_605
; %bb.603:
	s_cmp_gt_i32 s30, 6
	s_cbranch_scc0 .LBB280_606
; %bb.604:
	global_load_dwordx2 v[2:3], v[0:1], off
	s_movk_i32 s0, 0xffe0
	s_waitcnt vmcnt(0)
	v_trunc_f64_e32 v[2:3], v[2:3]
	v_ldexp_f64 v[4:5], v[2:3], s0
	v_floor_f64_e32 v[4:5], v[4:5]
	v_fmac_f64_e32 v[2:3], 0xc1f00000, v[4:5]
	v_cvt_u32_f64_e32 v2, v[2:3]
	s_mov_b64 s[0:1], 0
	s_branch .LBB280_607
.LBB280_605:
	s_mov_b64 s[0:1], -1
                                        ; implicit-def: $vgpr2
	s_branch .LBB280_610
.LBB280_606:
	s_mov_b64 s[0:1], -1
                                        ; implicit-def: $vgpr2
.LBB280_607:
	s_andn2_b64 vcc, exec, s[0:1]
	s_cbranch_vccnz .LBB280_609
; %bb.608:
	global_load_dword v2, v[0:1], off
	s_mov_b32 s0, 0x2f800000
	s_waitcnt vmcnt(0)
	v_trunc_f32_e32 v2, v2
	v_mul_f32_e64 v3, |v2|, s0
	v_floor_f32_e32 v3, v3
	s_mov_b32 s0, 0xcf800000
	v_fma_f32 v3, v3, s0, |v2|
	v_cvt_u32_f32_e32 v3, v3
	v_ashrrev_i32_e32 v2, 31, v2
	v_xor_b32_e32 v3, v3, v2
	v_sub_u32_e32 v2, v3, v2
.LBB280_609:
	s_mov_b64 s[0:1], 0
.LBB280_610:
	s_andn2_b64 vcc, exec, s[0:1]
	s_cbranch_vccnz .LBB280_612
; %bb.611:
	global_load_ushort v2, v[0:1], off
	s_waitcnt vmcnt(0)
	v_cvt_f32_f16_e32 v2, v2
	v_cvt_i32_f32_e32 v2, v2
.LBB280_612:
	s_mov_b64 s[0:1], 0
.LBB280_613:
	s_andn2_b64 vcc, exec, s[0:1]
	s_cbranch_vccnz .LBB280_633
; %bb.614:
	s_cmp_lt_i32 s30, 2
	s_cbranch_scc1 .LBB280_618
; %bb.615:
	s_cmp_lt_i32 s30, 3
	s_cbranch_scc1 .LBB280_619
; %bb.616:
	s_cmp_gt_i32 s30, 3
	s_cbranch_scc0 .LBB280_620
; %bb.617:
	global_load_dwordx2 v[2:3], v[0:1], off
	s_mov_b64 s[0:1], 0
	s_branch .LBB280_621
.LBB280_618:
	s_mov_b64 s[0:1], -1
                                        ; implicit-def: $vgpr2
	s_branch .LBB280_627
.LBB280_619:
	s_mov_b64 s[0:1], -1
                                        ; implicit-def: $vgpr2
	s_branch .LBB280_624
.LBB280_620:
	s_mov_b64 s[0:1], -1
                                        ; implicit-def: $vgpr2
.LBB280_621:
	s_andn2_b64 vcc, exec, s[0:1]
	s_cbranch_vccnz .LBB280_623
; %bb.622:
	global_load_dword v2, v[0:1], off
.LBB280_623:
	s_mov_b64 s[0:1], 0
.LBB280_624:
	s_andn2_b64 vcc, exec, s[0:1]
	s_cbranch_vccnz .LBB280_626
; %bb.625:
	global_load_ushort v2, v[0:1], off
.LBB280_626:
	s_mov_b64 s[0:1], 0
.LBB280_627:
	s_andn2_b64 vcc, exec, s[0:1]
	s_cbranch_vccnz .LBB280_633
; %bb.628:
	s_cmp_gt_i32 s30, 0
	s_cbranch_scc0 .LBB280_630
; %bb.629:
	global_load_ubyte v2, v[0:1], off
	s_mov_b64 s[0:1], 0
	s_branch .LBB280_631
.LBB280_630:
	s_mov_b64 s[0:1], -1
                                        ; implicit-def: $vgpr2
.LBB280_631:
	s_andn2_b64 vcc, exec, s[0:1]
	s_cbranch_vccnz .LBB280_633
; %bb.632:
	global_load_ubyte v2, v[0:1], off
.LBB280_633:
	s_mov_b64 s[0:1], -1
.LBB280_634:
	s_andn2_b64 vcc, exec, s[0:1]
	s_cbranch_vccnz .LBB280_642
; %bb.635:
	s_and_b32 s0, s33, 0xff
	s_waitcnt vmcnt(0)
	v_max_u16_sdwa v0, v2, s0 dst_sel:DWORD dst_unused:UNUSED_PAD src0_sel:BYTE_0 src1_sel:DWORD
	v_mul_lo_u32 v2, v10, s8
	s_and_b32 s0, s43, 0xff
	v_ashrrev_i32_e32 v3, 31, v2
	s_and_b32 s36, s42, 0xff
	v_min_u16_e32 v0, s0, v0
	s_cmp_lt_i32 s36, 11
	v_lshl_add_u64 v[2:3], s[4:5], 0, v[2:3]
	s_cbranch_scc1 .LBB280_643
; %bb.636:
	s_and_b32 s37, 0xffff, s36
	s_cmp_gt_i32 s37, 25
	s_cbranch_scc0 .LBB280_644
; %bb.637:
	s_cmp_gt_i32 s37, 28
	s_cbranch_scc0 .LBB280_645
; %bb.638:
	;; [unrolled: 3-line block ×4, first 2 shown]
	s_mov_b64 s[30:31], 0
	s_mov_b64 s[0:1], -1
	s_cmp_eq_u32 s37, 46
	s_mov_b64 s[28:29], 0
	s_cbranch_scc0 .LBB280_648
; %bb.641:
	v_cvt_f32_ubyte0_e32 v1, v0
	v_bfe_u32 v4, v1, 16, 1
	s_movk_i32 s0, 0x7fff
	v_add3_u32 v1, v1, v4, s0
	v_lshrrev_b32_e32 v1, 16, v1
	global_store_dword v[2:3], v1, off
	s_mov_b64 s[28:29], -1
	s_mov_b64 s[0:1], 0
	s_branch .LBB280_648
.LBB280_642:
	s_mov_b64 s[30:31], 0
                                        ; implicit-def: $vgpr10
	s_mov_b64 s[0:1], s[20:21]
	s_branch .LBB280_759
.LBB280_643:
	s_mov_b64 s[30:31], -1
	s_mov_b64 s[28:29], 0
	s_mov_b64 s[0:1], s[20:21]
	s_branch .LBB280_717
.LBB280_644:
	s_mov_b64 s[30:31], -1
	s_mov_b64 s[28:29], 0
	s_mov_b64 s[0:1], s[20:21]
	s_branch .LBB280_675
.LBB280_645:
	s_mov_b64 s[30:31], -1
	s_mov_b64 s[28:29], 0
	s_mov_b64 s[0:1], s[20:21]
	s_branch .LBB280_658
.LBB280_646:
	s_mov_b64 s[30:31], -1
	s_mov_b64 s[28:29], 0
	s_mov_b64 s[0:1], s[20:21]
	s_branch .LBB280_654
.LBB280_647:
	s_mov_b64 s[30:31], -1
	s_mov_b64 s[28:29], 0
	s_mov_b64 s[0:1], s[20:21]
.LBB280_648:
	s_and_b64 vcc, exec, s[30:31]
	s_cbranch_vccz .LBB280_653
; %bb.649:
	s_cmp_eq_u32 s37, 44
	s_mov_b64 s[0:1], -1
	s_cbranch_scc0 .LBB280_653
; %bb.650:
	v_cvt_f32_ubyte0_e32 v4, v0
	v_lshrrev_b32_e32 v1, 23, v4
	s_movk_i32 s0, 0xff
	v_cmp_ne_u32_e32 vcc, s0, v1
	v_mov_b32_e32 v5, 0xff
	s_and_saveexec_b64 s[28:29], vcc
; %bb.651:
	s_mov_b32 s0, 0x3fffff
	v_and_b32_e32 v5, 0x400000, v4
	v_and_or_b32 v4, v4, s0, v1
	v_cmp_ne_u32_e32 vcc, 0, v5
	v_cmp_ne_u32_e64 s[0:1], 0, v4
	s_and_b64 s[0:1], vcc, s[0:1]
	s_nop 0
	v_cndmask_b32_e64 v4, 0, 1, s[0:1]
	v_add_u32_e32 v5, v1, v4
; %bb.652:
	s_or_b64 exec, exec, s[28:29]
	s_mov_b64 s[28:29], -1
	s_mov_b64 s[0:1], 0
	global_store_byte v[2:3], v5, off
.LBB280_653:
	s_mov_b64 s[30:31], 0
.LBB280_654:
	s_and_b64 vcc, exec, s[30:31]
	s_cbranch_vccz .LBB280_657
; %bb.655:
	s_cmp_eq_u32 s37, 29
	s_mov_b64 s[0:1], -1
	s_cbranch_scc0 .LBB280_657
; %bb.656:
	s_mov_b32 s0, 0
	v_mov_b32_e32 v1, s0
	global_store_dwordx2 v[2:3], v[0:1], off
	s_mov_b64 s[28:29], -1
	s_mov_b64 s[0:1], 0
.LBB280_657:
	s_mov_b64 s[30:31], 0
.LBB280_658:
	s_and_b64 vcc, exec, s[30:31]
	s_cbranch_vccz .LBB280_674
; %bb.659:
	s_cmp_lt_i32 s37, 27
	s_mov_b64 s[28:29], -1
	s_cbranch_scc1 .LBB280_665
; %bb.660:
	s_cmp_gt_i32 s37, 27
	s_cbranch_scc0 .LBB280_662
; %bb.661:
	s_mov_b64 s[28:29], 0
	global_store_dword v[2:3], v0, off
.LBB280_662:
	s_andn2_b64 vcc, exec, s[28:29]
	s_cbranch_vccnz .LBB280_664
; %bb.663:
	global_store_short v[2:3], v0, off
.LBB280_664:
	s_mov_b64 s[28:29], 0
.LBB280_665:
	s_andn2_b64 vcc, exec, s[28:29]
	s_cbranch_vccnz .LBB280_673
; %bb.666:
	v_cvt_f32_ubyte0_e32 v4, v0
	s_mov_b32 s28, 0x43800000
	v_cmp_gt_u32_e32 vcc, s28, v4
	v_mov_b32_e32 v5, 0x80
	s_and_saveexec_b64 s[28:29], vcc
	s_cbranch_execz .LBB280_672
; %bb.667:
	s_mov_b32 s30, 0x3bffffff
	v_cmp_lt_u32_e32 vcc, s30, v4
	s_mov_b64 s[30:31], 0
                                        ; implicit-def: $vgpr1
	s_and_saveexec_b64 s[34:35], vcc
	s_xor_b64 s[34:35], exec, s[34:35]
	s_cbranch_execz .LBB280_773
; %bb.668:
	v_bfe_u32 v1, v4, 20, 1
	s_mov_b32 s39, 0x487ffff
	v_add3_u32 v1, v4, v1, s39
	s_mov_b64 s[30:31], exec
	v_lshrrev_b32_e32 v1, 20, v1
                                        ; implicit-def: $vgpr4
	s_andn2_saveexec_b64 s[34:35], s[34:35]
	s_cbranch_execnz .LBB280_774
.LBB280_669:
	s_or_b64 exec, exec, s[34:35]
	v_mov_b32_e32 v5, 0
	s_and_saveexec_b64 s[34:35], s[30:31]
.LBB280_670:
	v_mov_b32_e32 v5, v1
.LBB280_671:
	s_or_b64 exec, exec, s[34:35]
.LBB280_672:
	s_or_b64 exec, exec, s[28:29]
	global_store_byte v[2:3], v5, off
.LBB280_673:
	s_mov_b64 s[28:29], -1
.LBB280_674:
	s_mov_b64 s[30:31], 0
.LBB280_675:
	s_and_b64 vcc, exec, s[30:31]
	s_cbranch_vccz .LBB280_716
; %bb.676:
	s_cmp_gt_i32 s37, 22
	s_mov_b64 s[30:31], -1
	s_cbranch_scc0 .LBB280_708
; %bb.677:
	s_cmp_lt_i32 s37, 24
	s_mov_b64 s[28:29], -1
	s_cbranch_scc1 .LBB280_697
; %bb.678:
	s_cmp_gt_i32 s37, 24
	s_cbranch_scc0 .LBB280_686
; %bb.679:
	v_cvt_f32_ubyte0_e32 v4, v0
	s_mov_b32 s28, 0x47800000
	v_cmp_gt_u32_e32 vcc, s28, v4
	v_mov_b32_e32 v5, 0x80
	s_and_saveexec_b64 s[28:29], vcc
	s_cbranch_execz .LBB280_685
; %bb.680:
	s_mov_b32 s30, 0x37ffffff
	v_cmp_lt_u32_e32 vcc, s30, v4
	s_mov_b64 s[30:31], 0
                                        ; implicit-def: $vgpr1
	s_and_saveexec_b64 s[34:35], vcc
	s_xor_b64 s[34:35], exec, s[34:35]
	s_cbranch_execz .LBB280_776
; %bb.681:
	v_bfe_u32 v1, v4, 21, 1
	s_mov_b32 s39, 0x88fffff
	v_add3_u32 v1, v4, v1, s39
	s_mov_b64 s[30:31], exec
	v_lshrrev_b32_e32 v1, 21, v1
                                        ; implicit-def: $vgpr4
	s_andn2_saveexec_b64 s[34:35], s[34:35]
	s_cbranch_execnz .LBB280_777
.LBB280_682:
	s_or_b64 exec, exec, s[34:35]
	v_mov_b32_e32 v5, 0
	s_and_saveexec_b64 s[34:35], s[30:31]
.LBB280_683:
	v_mov_b32_e32 v5, v1
.LBB280_684:
	s_or_b64 exec, exec, s[34:35]
.LBB280_685:
	s_or_b64 exec, exec, s[28:29]
	s_mov_b64 s[28:29], 0
	global_store_byte v[2:3], v5, off
.LBB280_686:
	s_and_b64 vcc, exec, s[28:29]
	s_cbranch_vccz .LBB280_696
; %bb.687:
	v_cvt_f32_ubyte0_e32 v1, v0
	s_mov_b32 s28, 0x43f00000
	v_cmp_gt_u32_e32 vcc, s28, v1
                                        ; implicit-def: $vgpr4
	s_and_saveexec_b64 s[28:29], vcc
	s_xor_b64 s[28:29], exec, s[28:29]
	s_cbranch_execz .LBB280_693
; %bb.688:
	s_mov_b32 s30, 0x3c7fffff
	v_cmp_lt_u32_e32 vcc, s30, v1
                                        ; implicit-def: $vgpr4
	s_and_saveexec_b64 s[30:31], vcc
	s_xor_b64 s[30:31], exec, s[30:31]
; %bb.689:
	v_bfe_u32 v4, v1, 20, 1
	s_mov_b32 s34, 0x407ffff
	v_add3_u32 v1, v1, v4, s34
	v_lshrrev_b32_e32 v4, 20, v1
	v_and_b32_e32 v1, 0xff00000, v1
	s_mov_b32 s34, 0x7f00000
	v_mov_b32_e32 v5, 0x7e
	v_cmp_ne_u32_e32 vcc, s34, v1
                                        ; implicit-def: $vgpr1
	s_nop 1
	v_cndmask_b32_e32 v4, v5, v4, vcc
; %bb.690:
	s_andn2_saveexec_b64 s[30:31], s[30:31]
; %bb.691:
	v_add_f32_e32 v4, 0x46800000, v1
; %bb.692:
	s_or_b64 exec, exec, s[30:31]
                                        ; implicit-def: $vgpr1
.LBB280_693:
	s_andn2_saveexec_b64 s[28:29], s[28:29]
; %bb.694:
	s_mov_b32 s30, 0x7f800000
	v_mov_b32_e32 v4, 0x7e
	v_mov_b32_e32 v5, 0x7f
	v_cmp_lt_u32_e32 vcc, s30, v1
	s_nop 1
	v_cndmask_b32_e32 v4, v4, v5, vcc
; %bb.695:
	s_or_b64 exec, exec, s[28:29]
	global_store_byte v[2:3], v4, off
.LBB280_696:
	s_mov_b64 s[28:29], 0
.LBB280_697:
	s_andn2_b64 vcc, exec, s[28:29]
	s_cbranch_vccnz .LBB280_707
; %bb.698:
	v_cvt_f32_ubyte0_e32 v1, v0
	s_mov_b32 s28, 0x47800000
	v_cmp_gt_u32_e32 vcc, s28, v1
                                        ; implicit-def: $vgpr4
	s_and_saveexec_b64 s[28:29], vcc
	s_xor_b64 s[28:29], exec, s[28:29]
	s_cbranch_execz .LBB280_704
; %bb.699:
	s_mov_b32 s30, 0x387fffff
	v_cmp_lt_u32_e32 vcc, s30, v1
                                        ; implicit-def: $vgpr4
	s_and_saveexec_b64 s[30:31], vcc
	s_xor_b64 s[30:31], exec, s[30:31]
; %bb.700:
	v_bfe_u32 v4, v1, 21, 1
	s_mov_b32 s34, 0x80fffff
	v_add3_u32 v1, v1, v4, s34
	v_lshrrev_b32_e32 v4, 21, v1
                                        ; implicit-def: $vgpr1
; %bb.701:
	s_andn2_saveexec_b64 s[30:31], s[30:31]
; %bb.702:
	v_add_f32_e32 v4, 0x43000000, v1
; %bb.703:
	s_or_b64 exec, exec, s[30:31]
                                        ; implicit-def: $vgpr1
.LBB280_704:
	s_andn2_saveexec_b64 s[28:29], s[28:29]
; %bb.705:
	s_mov_b32 s30, 0x7f800000
	v_mov_b32_e32 v4, 0x7c
	v_mov_b32_e32 v5, 0x7f
	v_cmp_lt_u32_e32 vcc, s30, v1
	s_nop 1
	v_cndmask_b32_e32 v4, v4, v5, vcc
; %bb.706:
	s_or_b64 exec, exec, s[28:29]
	global_store_byte v[2:3], v4, off
.LBB280_707:
	s_mov_b64 s[30:31], 0
	s_mov_b64 s[28:29], -1
.LBB280_708:
	s_andn2_b64 vcc, exec, s[30:31]
	s_cbranch_vccnz .LBB280_716
; %bb.709:
	s_cmp_gt_i32 s37, 14
	s_mov_b64 s[30:31], -1
	s_cbranch_scc0 .LBB280_713
; %bb.710:
	s_cmp_eq_u32 s37, 15
	s_mov_b64 s[0:1], -1
	s_cbranch_scc0 .LBB280_712
; %bb.711:
	v_cvt_f32_ubyte0_e32 v1, v0
	v_bfe_u32 v4, v1, 16, 1
	s_movk_i32 s0, 0x7fff
	v_add3_u32 v1, v1, v4, s0
	global_store_short_d16_hi v[2:3], v1, off
	s_mov_b64 s[28:29], -1
	s_mov_b64 s[0:1], 0
.LBB280_712:
	s_mov_b64 s[30:31], 0
.LBB280_713:
	s_and_b64 vcc, exec, s[30:31]
	s_cbranch_vccz .LBB280_716
; %bb.714:
	s_cmp_eq_u32 s37, 11
	s_mov_b64 s[0:1], -1
	s_cbranch_scc0 .LBB280_716
; %bb.715:
	v_cmp_ne_u16_e32 vcc, 0, v0
	s_mov_b64 s[28:29], -1
	s_mov_b64 s[0:1], 0
	v_cndmask_b32_e64 v1, 0, 1, vcc
	global_store_byte v[2:3], v1, off
.LBB280_716:
	s_mov_b64 s[30:31], 0
.LBB280_717:
	s_and_b64 vcc, exec, s[30:31]
	s_cbranch_vccz .LBB280_756
; %bb.718:
	s_and_b32 s30, 0xffff, s36
	s_cmp_lt_i32 s30, 5
	s_mov_b64 s[28:29], -1
	s_cbranch_scc1 .LBB280_739
; %bb.719:
	s_cmp_lt_i32 s30, 8
	s_cbranch_scc1 .LBB280_729
; %bb.720:
	s_cmp_lt_i32 s30, 9
	s_cbranch_scc1 .LBB280_726
; %bb.721:
	s_cmp_gt_i32 s30, 9
	s_cbranch_scc0 .LBB280_723
; %bb.722:
	v_mov_b32_e32 v6, 0
	v_cvt_f64_u32_e32 v[4:5], v0
	v_mov_b32_e32 v7, v6
	s_mov_b64 s[28:29], 0
	global_store_dwordx4 v[2:3], v[4:7], off
.LBB280_723:
	s_andn2_b64 vcc, exec, s[28:29]
	s_cbranch_vccnz .LBB280_725
; %bb.724:
	v_cvt_f32_ubyte0_e32 v4, v0
	v_mov_b32_e32 v5, 0
	global_store_dwordx2 v[2:3], v[4:5], off
.LBB280_725:
	s_mov_b64 s[28:29], 0
.LBB280_726:
	s_andn2_b64 vcc, exec, s[28:29]
	s_cbranch_vccnz .LBB280_728
; %bb.727:
	v_cvt_f16_u16_e32 v1, v0
	global_store_dword v[2:3], v1, off
.LBB280_728:
	s_mov_b64 s[28:29], 0
.LBB280_729:
	s_andn2_b64 vcc, exec, s[28:29]
	s_cbranch_vccnz .LBB280_738
; %bb.730:
	s_cmp_lt_i32 s30, 6
	s_mov_b64 s[28:29], -1
	s_cbranch_scc1 .LBB280_736
; %bb.731:
	s_cmp_gt_i32 s30, 6
	s_cbranch_scc0 .LBB280_733
; %bb.732:
	v_cvt_f64_u32_e32 v[4:5], v0
	s_mov_b64 s[28:29], 0
	global_store_dwordx2 v[2:3], v[4:5], off
.LBB280_733:
	s_andn2_b64 vcc, exec, s[28:29]
	s_cbranch_vccnz .LBB280_735
; %bb.734:
	v_cvt_f32_ubyte0_e32 v1, v0
	global_store_dword v[2:3], v1, off
.LBB280_735:
	s_mov_b64 s[28:29], 0
.LBB280_736:
	s_andn2_b64 vcc, exec, s[28:29]
	s_cbranch_vccnz .LBB280_738
; %bb.737:
	v_cvt_f16_u16_e32 v1, v0
	global_store_short v[2:3], v1, off
.LBB280_738:
	s_mov_b64 s[28:29], 0
.LBB280_739:
	s_andn2_b64 vcc, exec, s[28:29]
	s_cbranch_vccnz .LBB280_755
; %bb.740:
	s_cmp_lt_i32 s30, 2
	s_mov_b64 s[28:29], -1
	s_cbranch_scc1 .LBB280_750
; %bb.741:
	s_cmp_lt_i32 s30, 3
	s_cbranch_scc1 .LBB280_747
; %bb.742:
	s_cmp_gt_i32 s30, 3
	s_cbranch_scc0 .LBB280_744
; %bb.743:
	s_mov_b32 s28, 0
	v_mov_b32_e32 v1, s28
	s_mov_b64 s[28:29], 0
	global_store_dwordx2 v[2:3], v[0:1], off
.LBB280_744:
	s_andn2_b64 vcc, exec, s[28:29]
	s_cbranch_vccnz .LBB280_746
; %bb.745:
	global_store_dword v[2:3], v0, off
.LBB280_746:
	s_mov_b64 s[28:29], 0
.LBB280_747:
	s_andn2_b64 vcc, exec, s[28:29]
	s_cbranch_vccnz .LBB280_749
; %bb.748:
	global_store_short v[2:3], v0, off
.LBB280_749:
	s_mov_b64 s[28:29], 0
.LBB280_750:
	s_andn2_b64 vcc, exec, s[28:29]
	s_cbranch_vccnz .LBB280_755
; %bb.751:
	s_cmp_gt_i32 s30, 0
	s_mov_b64 s[28:29], -1
	s_cbranch_scc0 .LBB280_753
; %bb.752:
	s_mov_b64 s[28:29], 0
	global_store_byte v[2:3], v0, off
.LBB280_753:
	s_andn2_b64 vcc, exec, s[28:29]
	s_cbranch_vccnz .LBB280_755
; %bb.754:
	global_store_byte v[2:3], v0, off
.LBB280_755:
	s_mov_b64 s[28:29], -1
.LBB280_756:
	s_andn2_b64 vcc, exec, s[28:29]
	s_cbranch_vccnz .LBB280_758
; %bb.757:
	v_add_u32_e32 v10, 0x80, v10
	s_mov_b64 s[30:31], -1
	s_branch .LBB280_759
.LBB280_758:
	s_mov_b64 s[30:31], 0
                                        ; implicit-def: $vgpr10
.LBB280_759:
	s_andn2_b64 s[28:29], s[20:21], exec
	s_and_b64 s[0:1], s[0:1], exec
	s_or_b64 s[28:29], s[28:29], s[0:1]
	s_andn2_b64 s[0:1], s[18:19], exec
	s_and_b64 s[26:27], s[26:27], exec
	s_or_b64 s[0:1], s[0:1], s[26:27]
	s_orn2_b64 s[34:35], s[30:31], exec
.LBB280_760:
	s_or_b64 exec, exec, s[24:25]
	s_mov_b64 s[30:31], 0
	s_mov_b64 s[26:27], 0
	;; [unrolled: 1-line block ×3, first 2 shown]
                                        ; implicit-def: $vgpr0_vgpr1
                                        ; implicit-def: $vgpr4
	s_and_saveexec_b64 s[24:25], s[34:35]
	s_cbranch_execz .LBB280_841
; %bb.761:
	v_cmp_gt_i32_e32 vcc, s38, v10
	s_mov_b64 s[34:35], 0
	s_mov_b64 s[38:39], s[0:1]
	;; [unrolled: 1-line block ×3, first 2 shown]
                                        ; implicit-def: $vgpr0_vgpr1
                                        ; implicit-def: $vgpr4
	s_and_saveexec_b64 s[26:27], vcc
	s_cbranch_execz .LBB280_840
; %bb.762:
	v_mul_lo_u32 v0, v10, s9
	v_ashrrev_i32_e32 v1, 31, v0
	s_and_b32 s40, 0xffff, s44
	s_cmp_lt_i32 s40, 11
	v_lshl_add_u64 v[0:1], s[6:7], 0, v[0:1]
	s_cbranch_scc1 .LBB280_769
; %bb.763:
	s_cmp_gt_i32 s40, 25
	s_cbranch_scc0 .LBB280_770
; %bb.764:
	s_cmp_gt_i32 s40, 28
	s_cbranch_scc0 .LBB280_771
	;; [unrolled: 3-line block ×4, first 2 shown]
; %bb.767:
	s_cmp_eq_u32 s40, 46
	s_mov_b64 s[38:39], 0
	s_cbranch_scc0 .LBB280_778
; %bb.768:
	global_load_dword v2, v[0:1], off
	s_mov_b32 s30, 0x2f800000
	s_mov_b32 s31, 0xcf800000
	s_mov_b64 s[36:37], -1
	s_waitcnt vmcnt(0)
	v_lshlrev_b32_e32 v2, 16, v2
	v_trunc_f32_e32 v2, v2
	v_mul_f32_e64 v3, |v2|, s30
	v_floor_f32_e32 v3, v3
	v_fma_f32 v3, v3, s31, |v2|
	v_cvt_u32_f32_e32 v3, v3
	v_ashrrev_i32_e32 v2, 31, v2
	s_mov_b64 s[30:31], 0
	v_xor_b32_e32 v3, v3, v2
	v_sub_u32_e32 v4, v3, v2
	s_branch .LBB280_780
.LBB280_769:
	s_mov_b64 s[38:39], -1
                                        ; implicit-def: $vgpr4
	s_mov_b64 s[30:31], s[0:1]
	s_branch .LBB280_839
.LBB280_770:
	s_mov_b64 s[38:39], -1
	s_mov_b64 s[30:31], s[0:1]
                                        ; implicit-def: $vgpr4
	s_branch .LBB280_807
.LBB280_771:
	s_mov_b64 s[38:39], -1
	s_mov_b64 s[30:31], s[0:1]
                                        ; implicit-def: $vgpr4
	s_branch .LBB280_790
.LBB280_772:
	s_mov_b64 s[38:39], -1
	s_mov_b64 s[30:31], s[0:1]
                                        ; implicit-def: $vgpr4
	s_branch .LBB280_785
.LBB280_773:
	s_andn2_saveexec_b64 s[34:35], s[34:35]
	s_cbranch_execz .LBB280_669
.LBB280_774:
	v_add_f32_e32 v1, 0x46000000, v4
	v_and_b32_e32 v1, 0xff, v1
	v_cmp_ne_u32_e32 vcc, 0, v1
	s_andn2_b64 s[30:31], s[30:31], exec
	s_and_b64 s[40:41], vcc, exec
	s_or_b64 s[30:31], s[30:31], s[40:41]
	s_or_b64 exec, exec, s[34:35]
	v_mov_b32_e32 v5, 0
	s_and_saveexec_b64 s[34:35], s[30:31]
	s_cbranch_execnz .LBB280_670
	s_branch .LBB280_671
.LBB280_775:
	s_mov_b64 s[38:39], -1
	s_mov_b64 s[30:31], s[0:1]
	s_branch .LBB280_779
.LBB280_776:
	s_andn2_saveexec_b64 s[34:35], s[34:35]
	s_cbranch_execz .LBB280_682
.LBB280_777:
	v_add_f32_e32 v1, 0x42800000, v4
	v_and_b32_e32 v1, 0xff, v1
	v_cmp_ne_u32_e32 vcc, 0, v1
	s_andn2_b64 s[30:31], s[30:31], exec
	s_and_b64 s[40:41], vcc, exec
	s_or_b64 s[30:31], s[30:31], s[40:41]
	s_or_b64 exec, exec, s[34:35]
	v_mov_b32_e32 v5, 0
	s_and_saveexec_b64 s[34:35], s[30:31]
	s_cbranch_execnz .LBB280_683
	s_branch .LBB280_684
.LBB280_778:
	s_mov_b64 s[30:31], -1
.LBB280_779:
                                        ; implicit-def: $vgpr4
.LBB280_780:
	s_and_b64 vcc, exec, s[38:39]
	s_cbranch_vccz .LBB280_784
; %bb.781:
	s_cmp_eq_u32 s40, 44
	s_cbranch_scc0 .LBB280_783
; %bb.782:
	global_load_ubyte v2, v[0:1], off
	s_mov_b32 s30, 0x2f800000
	s_mov_b32 s31, 0xcf800000
	s_mov_b64 s[36:37], -1
	s_waitcnt vmcnt(0)
	v_lshlrev_b32_e32 v3, 23, v2
	v_trunc_f32_e32 v3, v3
	v_mul_f32_e64 v4, |v3|, s30
	v_floor_f32_e32 v4, v4
	v_fma_f32 v4, v4, s31, |v3|
	v_cvt_u32_f32_e32 v4, v4
	v_ashrrev_i32_e32 v3, 31, v3
	v_cmp_ne_u32_e32 vcc, 0, v2
	s_mov_b64 s[30:31], 0
	v_xor_b32_e32 v4, v4, v3
	v_sub_u32_e32 v3, v4, v3
	v_cndmask_b32_e32 v4, 0, v3, vcc
	s_branch .LBB280_784
.LBB280_783:
	s_mov_b64 s[30:31], -1
                                        ; implicit-def: $vgpr4
.LBB280_784:
	s_mov_b64 s[38:39], 0
.LBB280_785:
	s_and_b64 vcc, exec, s[38:39]
	s_cbranch_vccz .LBB280_789
; %bb.786:
	s_cmp_eq_u32 s40, 29
	s_cbranch_scc0 .LBB280_788
; %bb.787:
	global_load_dwordx2 v[4:5], v[0:1], off
	s_mov_b64 s[30:31], 0
	s_mov_b64 s[36:37], -1
	s_branch .LBB280_789
.LBB280_788:
	s_mov_b64 s[30:31], -1
                                        ; implicit-def: $vgpr4
.LBB280_789:
	s_mov_b64 s[38:39], 0
.LBB280_790:
	s_and_b64 vcc, exec, s[38:39]
	s_cbranch_vccz .LBB280_806
; %bb.791:
	s_cmp_lt_i32 s40, 27
	s_cbranch_scc1 .LBB280_794
; %bb.792:
	s_cmp_gt_i32 s40, 27
	s_cbranch_scc0 .LBB280_795
; %bb.793:
	global_load_dword v4, v[0:1], off
	s_mov_b64 s[36:37], 0
	s_branch .LBB280_796
.LBB280_794:
	s_mov_b64 s[36:37], -1
                                        ; implicit-def: $vgpr4
	s_branch .LBB280_799
.LBB280_795:
	s_mov_b64 s[36:37], -1
                                        ; implicit-def: $vgpr4
.LBB280_796:
	s_andn2_b64 vcc, exec, s[36:37]
	s_cbranch_vccnz .LBB280_798
; %bb.797:
	global_load_ushort v4, v[0:1], off
.LBB280_798:
	s_mov_b64 s[36:37], 0
.LBB280_799:
	s_andn2_b64 vcc, exec, s[36:37]
	s_cbranch_vccnz .LBB280_805
; %bb.800:
	global_load_ubyte v2, v[0:1], off
	s_movk_i32 s36, 0x7f
	s_mov_b64 s[38:39], 0
	s_waitcnt vmcnt(0)
	v_cmp_lt_i16_e32 vcc, s36, v2
	s_and_saveexec_b64 s[36:37], vcc
	s_xor_b64 s[36:37], exec, s[36:37]
	s_cbranch_execz .LBB280_817
; %bb.801:
	s_movk_i32 s38, 0x80
	v_cmp_ne_u16_e32 vcc, s38, v2
	s_and_b64 s[38:39], vcc, exec
	s_andn2_saveexec_b64 s[36:37], s[36:37]
	s_cbranch_execnz .LBB280_818
.LBB280_802:
	s_or_b64 exec, exec, s[36:37]
	v_mov_b32_e32 v4, 0
	s_and_saveexec_b64 s[36:37], s[38:39]
	s_cbranch_execz .LBB280_804
.LBB280_803:
	v_lshlrev_b32_e32 v3, 24, v2
	v_and_b32_e32 v2, 0xffff, v2
	v_and_b32_e32 v4, 7, v2
	v_ffbh_u32_e32 v6, v4
	v_min_u32_e32 v6, 32, v6
	v_subrev_u32_e32 v7, 28, v6
	v_bfe_u32 v5, v2, 3, 4
	v_lshlrev_b32_e32 v2, v7, v2
	v_sub_u32_e32 v6, 29, v6
	v_and_b32_e32 v2, 7, v2
	v_cmp_eq_u32_e32 vcc, 0, v5
	v_and_b32_e32 v3, 0x80000000, v3
	s_mov_b32 s38, 0x2f800000
	v_cndmask_b32_e32 v5, v5, v6, vcc
	v_cndmask_b32_e32 v2, v4, v2, vcc
	v_mov_b32_e32 v4, 0x3b800000
	v_lshlrev_b32_e32 v2, 20, v2
	v_lshl_add_u32 v4, v5, 23, v4
	v_or3_b32 v2, v3, v4, v2
	v_trunc_f32_e32 v2, v2
	v_mul_f32_e64 v3, |v2|, s38
	v_floor_f32_e32 v3, v3
	s_mov_b32 s38, 0xcf800000
	v_fma_f32 v3, v3, s38, |v2|
	v_cvt_u32_f32_e32 v3, v3
	v_ashrrev_i32_e32 v2, 31, v2
	v_xor_b32_e32 v3, v3, v2
	v_sub_u32_e32 v4, v3, v2
.LBB280_804:
	s_or_b64 exec, exec, s[36:37]
.LBB280_805:
	s_mov_b64 s[36:37], -1
.LBB280_806:
	s_mov_b64 s[38:39], 0
.LBB280_807:
	s_and_b64 vcc, exec, s[38:39]
	s_cbranch_vccz .LBB280_838
; %bb.808:
	s_cmp_gt_i32 s40, 22
	s_cbranch_scc0 .LBB280_816
; %bb.809:
	s_cmp_lt_i32 s40, 24
	s_cbranch_scc1 .LBB280_819
; %bb.810:
	s_cmp_gt_i32 s40, 24
	s_cbranch_scc0 .LBB280_820
; %bb.811:
	global_load_ubyte v2, v[0:1], off
	s_movk_i32 s34, 0x7f
	s_mov_b64 s[36:37], 0
	s_waitcnt vmcnt(0)
	v_cmp_lt_i16_e32 vcc, s34, v2
	s_and_saveexec_b64 s[34:35], vcc
	s_xor_b64 s[34:35], exec, s[34:35]
	s_cbranch_execz .LBB280_832
; %bb.812:
	s_movk_i32 s36, 0x80
	v_cmp_ne_u16_e32 vcc, s36, v2
	s_and_b64 s[36:37], vcc, exec
	s_andn2_saveexec_b64 s[34:35], s[34:35]
	s_cbranch_execnz .LBB280_833
.LBB280_813:
	s_or_b64 exec, exec, s[34:35]
	v_mov_b32_e32 v4, 0
	s_and_saveexec_b64 s[34:35], s[36:37]
	s_cbranch_execz .LBB280_815
.LBB280_814:
	v_lshlrev_b32_e32 v3, 24, v2
	v_and_b32_e32 v2, 0xffff, v2
	v_and_b32_e32 v4, 3, v2
	v_ffbh_u32_e32 v6, v4
	v_min_u32_e32 v6, 32, v6
	v_subrev_u32_e32 v7, 29, v6
	v_bfe_u32 v5, v2, 2, 5
	v_lshlrev_b32_e32 v2, v7, v2
	v_sub_u32_e32 v6, 30, v6
	v_and_b32_e32 v2, 3, v2
	v_cmp_eq_u32_e32 vcc, 0, v5
	v_and_b32_e32 v3, 0x80000000, v3
	s_mov_b32 s36, 0x2f800000
	v_cndmask_b32_e32 v5, v5, v6, vcc
	v_cndmask_b32_e32 v2, v4, v2, vcc
	v_mov_b32_e32 v4, 0x37800000
	v_lshlrev_b32_e32 v2, 21, v2
	v_lshl_add_u32 v4, v5, 23, v4
	v_or3_b32 v2, v3, v4, v2
	v_trunc_f32_e32 v2, v2
	v_mul_f32_e64 v3, |v2|, s36
	v_floor_f32_e32 v3, v3
	s_mov_b32 s36, 0xcf800000
	v_fma_f32 v3, v3, s36, |v2|
	v_cvt_u32_f32_e32 v3, v3
	v_ashrrev_i32_e32 v2, 31, v2
	v_xor_b32_e32 v3, v3, v2
	v_sub_u32_e32 v4, v3, v2
.LBB280_815:
	s_or_b64 exec, exec, s[34:35]
	s_mov_b64 s[34:35], 0
	s_branch .LBB280_821
.LBB280_816:
	s_mov_b64 s[34:35], -1
                                        ; implicit-def: $vgpr4
	s_branch .LBB280_827
.LBB280_817:
	s_andn2_saveexec_b64 s[36:37], s[36:37]
	s_cbranch_execz .LBB280_802
.LBB280_818:
	v_cmp_ne_u16_e32 vcc, 0, v2
	s_andn2_b64 s[38:39], s[38:39], exec
	s_and_b64 s[46:47], vcc, exec
	s_or_b64 s[38:39], s[38:39], s[46:47]
	s_or_b64 exec, exec, s[36:37]
	v_mov_b32_e32 v4, 0
	s_and_saveexec_b64 s[36:37], s[38:39]
	s_cbranch_execnz .LBB280_803
	s_branch .LBB280_804
.LBB280_819:
	s_mov_b64 s[34:35], -1
                                        ; implicit-def: $vgpr4
	s_branch .LBB280_824
.LBB280_820:
	s_mov_b64 s[34:35], -1
                                        ; implicit-def: $vgpr4
.LBB280_821:
	s_and_b64 vcc, exec, s[34:35]
	s_cbranch_vccz .LBB280_823
; %bb.822:
	global_load_ubyte v2, v[0:1], off
	s_mov_b32 s34, 0x7f800000
	s_brev_b32 s35, 1
	s_mov_b32 s36, 0x2f800000
	s_waitcnt vmcnt(0)
	v_lshlrev_b32_e32 v2, 24, v2
	v_and_b32_e32 v3, 0x7f000000, v2
	v_ffbh_u32_e32 v4, v3
	v_min_u32_e32 v4, 32, v4
	v_sub_u32_e64 v4, v4, 4 clamp
	v_lshlrev_b32_e32 v6, v4, v3
	v_lshlrev_b32_e32 v4, 23, v4
	v_lshrrev_b32_e32 v6, 4, v6
	v_add_u32_e32 v5, 0x1000000, v3
	v_sub_u32_e32 v4, v6, v4
	v_ashrrev_i32_e32 v5, 8, v5
	v_add_u32_e32 v4, 0x3c000000, v4
	v_and_or_b32 v4, v5, s34, v4
	v_cmp_ne_u32_e32 vcc, 0, v3
	s_mov_b32 s34, 0xcf800000
	s_nop 0
	v_cndmask_b32_e32 v3, 0, v4, vcc
	v_and_or_b32 v2, v2, s35, v3
	v_trunc_f32_e32 v2, v2
	v_mul_f32_e64 v3, |v2|, s36
	v_floor_f32_e32 v3, v3
	v_fma_f32 v3, v3, s34, |v2|
	v_cvt_u32_f32_e32 v3, v3
	v_ashrrev_i32_e32 v2, 31, v2
	v_xor_b32_e32 v3, v3, v2
	v_sub_u32_e32 v4, v3, v2
.LBB280_823:
	s_mov_b64 s[34:35], 0
.LBB280_824:
	s_andn2_b64 vcc, exec, s[34:35]
	s_cbranch_vccnz .LBB280_826
; %bb.825:
	global_load_ubyte v2, v[0:1], off
	s_movk_i32 s34, 0x7f00
	s_brev_b32 s35, 16
	s_brev_b32 s36, 1
	s_mov_b32 s37, 0x2f800000
	s_waitcnt vmcnt(0)
	v_lshlrev_b16_e32 v3, 8, v2
	v_lshlrev_b32_e32 v2, 25, v2
	v_lshrrev_b32_e32 v4, 4, v2
	v_and_or_b32 v5, v3, s34, 0.5
	v_or_b32_e32 v4, 0x70000000, v4
	v_add_f32_e32 v5, -0.5, v5
	v_mul_f32_e32 v4, 0x7800000, v4
	v_cmp_gt_u32_e32 vcc, s35, v2
	v_bfe_i32 v3, v3, 0, 16
	s_mov_b32 s34, 0xcf800000
	v_cndmask_b32_e32 v2, v4, v5, vcc
	v_and_or_b32 v2, v3, s36, v2
	v_trunc_f32_e32 v2, v2
	v_mul_f32_e64 v3, |v2|, s37
	v_floor_f32_e32 v3, v3
	v_fma_f32 v3, v3, s34, |v2|
	v_cvt_u32_f32_e32 v3, v3
	v_ashrrev_i32_e32 v2, 31, v2
	v_xor_b32_e32 v3, v3, v2
	v_sub_u32_e32 v4, v3, v2
.LBB280_826:
	s_mov_b64 s[34:35], 0
	s_mov_b64 s[36:37], -1
.LBB280_827:
	s_andn2_b64 vcc, exec, s[34:35]
	s_mov_b64 s[34:35], 0
	s_cbranch_vccnz .LBB280_838
; %bb.828:
	s_cmp_gt_i32 s40, 14
	s_cbranch_scc0 .LBB280_831
; %bb.829:
	s_cmp_eq_u32 s40, 15
	s_cbranch_scc0 .LBB280_834
; %bb.830:
	global_load_ushort v2, v[0:1], off
	s_mov_b32 s30, 0x2f800000
	s_mov_b32 s31, 0xcf800000
	s_mov_b64 s[36:37], -1
	s_waitcnt vmcnt(0)
	v_lshlrev_b32_e32 v2, 16, v2
	v_trunc_f32_e32 v2, v2
	v_mul_f32_e64 v3, |v2|, s30
	v_floor_f32_e32 v3, v3
	v_fma_f32 v3, v3, s31, |v2|
	v_cvt_u32_f32_e32 v3, v3
	v_ashrrev_i32_e32 v2, 31, v2
	s_mov_b64 s[30:31], 0
	v_xor_b32_e32 v3, v3, v2
	v_sub_u32_e32 v4, v3, v2
	s_branch .LBB280_835
.LBB280_831:
	s_mov_b64 s[38:39], -1
                                        ; implicit-def: $vgpr4
	s_branch .LBB280_836
.LBB280_832:
	s_andn2_saveexec_b64 s[34:35], s[34:35]
	s_cbranch_execz .LBB280_813
.LBB280_833:
	v_cmp_ne_u16_e32 vcc, 0, v2
	s_andn2_b64 s[36:37], s[36:37], exec
	s_and_b64 s[38:39], vcc, exec
	s_or_b64 s[36:37], s[36:37], s[38:39]
	s_or_b64 exec, exec, s[34:35]
	v_mov_b32_e32 v4, 0
	s_and_saveexec_b64 s[34:35], s[36:37]
	s_cbranch_execnz .LBB280_814
	s_branch .LBB280_815
.LBB280_834:
	s_mov_b64 s[30:31], -1
                                        ; implicit-def: $vgpr4
.LBB280_835:
	s_mov_b64 s[38:39], 0
.LBB280_836:
	s_and_b64 vcc, exec, s[38:39]
	s_cbranch_vccz .LBB280_838
; %bb.837:
	s_cmp_lg_u32 s40, 11
	s_cselect_b64 s[38:39], -1, 0
	s_andn2_b64 s[30:31], s[30:31], exec
	s_and_b64 s[38:39], s[38:39], exec
	s_mov_b64 s[34:35], -1
	s_or_b64 s[30:31], s[30:31], s[38:39]
.LBB280_838:
	s_mov_b64 s[38:39], 0
.LBB280_839:
	s_and_b64 s[40:41], s[38:39], exec
	s_andn2_b64 s[38:39], s[0:1], exec
	s_and_b64 s[30:31], s[30:31], exec
	s_and_b64 s[36:37], s[36:37], exec
	;; [unrolled: 1-line block ×3, first 2 shown]
	s_or_b64 s[38:39], s[38:39], s[30:31]
.LBB280_840:
	s_or_b64 exec, exec, s[26:27]
	s_and_b64 s[30:31], s[34:35], exec
	s_andn2_b64 s[0:1], s[0:1], exec
	s_and_b64 s[34:35], s[38:39], exec
	s_and_b64 s[36:37], s[36:37], exec
	s_and_b64 s[26:27], s[40:41], exec
	s_or_b64 s[0:1], s[0:1], s[34:35]
.LBB280_841:
	s_or_b64 exec, exec, s[24:25]
	s_andn2_b64 s[20:21], s[20:21], exec
	s_and_b64 s[24:25], s[28:29], exec
	s_andn2_b64 s[18:19], s[18:19], exec
	s_and_b64 s[0:1], s[0:1], exec
	s_or_b64 s[20:21], s[20:21], s[24:25]
	s_and_b64 s[28:29], s[36:37], exec
	s_and_b64 s[26:27], s[26:27], exec
	;; [unrolled: 1-line block ×3, first 2 shown]
	s_or_b64 s[18:19], s[18:19], s[0:1]
.LBB280_842:
	s_or_b64 exec, exec, s[22:23]
	s_andn2_b64 s[0:1], s[12:13], exec
	s_and_b64 s[12:13], s[20:21], exec
	s_andn2_b64 s[14:15], s[14:15], exec
	s_and_b64 s[18:19], s[18:19], exec
	s_or_b64 s[12:13], s[0:1], s[12:13]
	s_and_b64 s[0:1], s[28:29], exec
	s_and_b64 s[22:23], s[26:27], exec
	;; [unrolled: 1-line block ×3, first 2 shown]
	s_or_b64 s[14:15], s[14:15], s[18:19]
	s_or_b64 exec, exec, s[16:17]
	s_mov_b64 s[16:17], 0
	s_and_saveexec_b64 s[18:19], s[14:15]
	s_cbranch_execz .LBB280_258
.LBB280_843:
	s_mov_b64 s[16:17], exec
	s_andn2_b64 s[20:21], s[20:21], exec
	s_trap 2
	s_or_b64 exec, exec, s[18:19]
	s_and_saveexec_b64 s[14:15], s[20:21]
	s_xor_b64 s[14:15], exec, s[14:15]
	s_cbranch_execnz .LBB280_259
.LBB280_844:
	s_or_b64 exec, exec, s[14:15]
	s_and_saveexec_b64 s[14:15], s[22:23]
	s_cbranch_execz .LBB280_890
.LBB280_845:
	s_sext_i32_i16 s18, s44
	s_cmp_lt_i32 s18, 5
	s_cbranch_scc1 .LBB280_850
; %bb.846:
	s_cmp_lt_i32 s18, 8
	s_cbranch_scc1 .LBB280_851
; %bb.847:
	;; [unrolled: 3-line block ×3, first 2 shown]
	s_cmp_gt_i32 s18, 9
	s_cbranch_scc0 .LBB280_853
; %bb.849:
	global_load_dwordx2 v[2:3], v[0:1], off
	s_movk_i32 s18, 0xffe0
	s_waitcnt vmcnt(0)
	v_trunc_f64_e32 v[2:3], v[2:3]
	v_ldexp_f64 v[4:5], v[2:3], s18
	v_floor_f64_e32 v[4:5], v[4:5]
	v_fmac_f64_e32 v[2:3], 0xc1f00000, v[4:5]
	v_cvt_u32_f64_e32 v4, v[2:3]
	s_mov_b64 s[18:19], 0
	s_branch .LBB280_854
.LBB280_850:
                                        ; implicit-def: $vgpr4
	s_branch .LBB280_871
.LBB280_851:
                                        ; implicit-def: $vgpr4
	s_branch .LBB280_860
.LBB280_852:
	s_mov_b64 s[18:19], -1
                                        ; implicit-def: $vgpr4
	s_branch .LBB280_857
.LBB280_853:
	s_mov_b64 s[18:19], -1
                                        ; implicit-def: $vgpr4
.LBB280_854:
	s_andn2_b64 vcc, exec, s[18:19]
	s_cbranch_vccnz .LBB280_856
; %bb.855:
	global_load_dword v2, v[0:1], off
	s_mov_b32 s18, 0x2f800000
	s_waitcnt vmcnt(0)
	v_trunc_f32_e32 v2, v2
	v_mul_f32_e64 v3, |v2|, s18
	v_floor_f32_e32 v3, v3
	s_mov_b32 s18, 0xcf800000
	v_fma_f32 v3, v3, s18, |v2|
	v_cvt_u32_f32_e32 v3, v3
	v_ashrrev_i32_e32 v2, 31, v2
	v_xor_b32_e32 v3, v3, v2
	v_sub_u32_e32 v4, v3, v2
.LBB280_856:
	s_mov_b64 s[18:19], 0
.LBB280_857:
	s_andn2_b64 vcc, exec, s[18:19]
	s_cbranch_vccnz .LBB280_859
; %bb.858:
	global_load_dword v2, v[0:1], off
	s_waitcnt vmcnt(0)
	v_cvt_f32_f16_e32 v2, v2
	v_cvt_i32_f32_e32 v4, v2
.LBB280_859:
	s_cbranch_execnz .LBB280_870
.LBB280_860:
	s_sext_i32_i16 s18, s44
	s_cmp_lt_i32 s18, 6
	s_cbranch_scc1 .LBB280_863
; %bb.861:
	s_cmp_gt_i32 s18, 6
	s_cbranch_scc0 .LBB280_864
; %bb.862:
	global_load_dwordx2 v[2:3], v[0:1], off
	s_movk_i32 s18, 0xffe0
	s_waitcnt vmcnt(0)
	v_trunc_f64_e32 v[2:3], v[2:3]
	v_ldexp_f64 v[4:5], v[2:3], s18
	v_floor_f64_e32 v[4:5], v[4:5]
	v_fmac_f64_e32 v[2:3], 0xc1f00000, v[4:5]
	v_cvt_u32_f64_e32 v4, v[2:3]
	s_mov_b64 s[18:19], 0
	s_branch .LBB280_865
.LBB280_863:
	s_mov_b64 s[18:19], -1
                                        ; implicit-def: $vgpr4
	s_branch .LBB280_868
.LBB280_864:
	s_mov_b64 s[18:19], -1
                                        ; implicit-def: $vgpr4
.LBB280_865:
	s_andn2_b64 vcc, exec, s[18:19]
	s_cbranch_vccnz .LBB280_867
; %bb.866:
	global_load_dword v2, v[0:1], off
	s_mov_b32 s18, 0x2f800000
	s_waitcnt vmcnt(0)
	v_trunc_f32_e32 v2, v2
	v_mul_f32_e64 v3, |v2|, s18
	v_floor_f32_e32 v3, v3
	s_mov_b32 s18, 0xcf800000
	v_fma_f32 v3, v3, s18, |v2|
	v_cvt_u32_f32_e32 v3, v3
	v_ashrrev_i32_e32 v2, 31, v2
	v_xor_b32_e32 v3, v3, v2
	v_sub_u32_e32 v4, v3, v2
.LBB280_867:
	s_mov_b64 s[18:19], 0
.LBB280_868:
	s_andn2_b64 vcc, exec, s[18:19]
	s_cbranch_vccnz .LBB280_870
; %bb.869:
	global_load_ushort v2, v[0:1], off
	s_waitcnt vmcnt(0)
	v_cvt_f32_f16_e32 v2, v2
	v_cvt_i32_f32_e32 v4, v2
.LBB280_870:
	s_cbranch_execnz .LBB280_889
.LBB280_871:
	s_sext_i32_i16 s18, s44
	s_cmp_lt_i32 s18, 2
	s_cbranch_scc1 .LBB280_875
; %bb.872:
	s_cmp_lt_i32 s18, 3
	s_cbranch_scc1 .LBB280_876
; %bb.873:
	s_cmp_gt_i32 s18, 3
	s_cbranch_scc0 .LBB280_877
; %bb.874:
	global_load_dwordx2 v[4:5], v[0:1], off
	s_mov_b64 s[18:19], 0
	s_branch .LBB280_878
.LBB280_875:
                                        ; implicit-def: $vgpr4
	s_branch .LBB280_884
.LBB280_876:
	s_mov_b64 s[18:19], -1
                                        ; implicit-def: $vgpr4
	s_branch .LBB280_881
.LBB280_877:
	s_mov_b64 s[18:19], -1
                                        ; implicit-def: $vgpr4
.LBB280_878:
	s_andn2_b64 vcc, exec, s[18:19]
	s_cbranch_vccnz .LBB280_880
; %bb.879:
	global_load_dword v4, v[0:1], off
.LBB280_880:
	s_mov_b64 s[18:19], 0
.LBB280_881:
	s_andn2_b64 vcc, exec, s[18:19]
	s_cbranch_vccnz .LBB280_883
; %bb.882:
	global_load_ushort v4, v[0:1], off
.LBB280_883:
	s_cbranch_execnz .LBB280_889
.LBB280_884:
	s_sext_i32_i16 s18, s44
	s_cmp_gt_i32 s18, 0
	s_cbranch_scc0 .LBB280_886
; %bb.885:
	global_load_ubyte v4, v[0:1], off
	s_mov_b64 s[18:19], 0
	s_branch .LBB280_887
.LBB280_886:
	s_mov_b64 s[18:19], -1
                                        ; implicit-def: $vgpr4
.LBB280_887:
	s_andn2_b64 vcc, exec, s[18:19]
	s_cbranch_vccnz .LBB280_889
; %bb.888:
	global_load_ubyte v4, v[0:1], off
.LBB280_889:
	s_or_b64 s[0:1], s[0:1], exec
.LBB280_890:
	s_or_b64 exec, exec, s[14:15]
	s_mov_b64 s[20:21], 0
	s_mov_b64 s[18:19], 0
                                        ; implicit-def: $sgpr26
                                        ; implicit-def: $vgpr2_vgpr3
                                        ; implicit-def: $vgpr0
	s_and_saveexec_b64 s[14:15], s[0:1]
	s_cbranch_execz .LBB280_965
; %bb.891:
	s_and_b32 s0, s33, 0xff
	s_waitcnt vmcnt(0)
	v_mul_lo_u32 v2, v10, s8
	v_max_u16_sdwa v0, v4, s0 dst_sel:DWORD dst_unused:UNUSED_PAD src0_sel:BYTE_0 src1_sel:DWORD
	s_and_b32 s0, s43, 0xff
	v_ashrrev_i32_e32 v3, 31, v2
	s_and_b32 s26, s42, 0xff
	v_min_u16_e32 v0, s0, v0
	s_cmp_lt_i32 s26, 11
	v_lshl_add_u64 v[2:3], s[4:5], 0, v[2:3]
	s_cbranch_scc1 .LBB280_968
; %bb.892:
	s_and_b32 s27, 0xffff, s26
	s_mov_b64 s[20:21], -1
	s_cmp_gt_i32 s27, 25
	s_mov_b64 s[0:1], s[12:13]
	s_cbranch_scc0 .LBB280_925
; %bb.893:
	s_mov_b64 s[18:19], -1
	s_cmp_gt_i32 s27, 28
	s_mov_b64 s[0:1], s[12:13]
	s_cbranch_scc0 .LBB280_909
; %bb.894:
	s_cmp_gt_i32 s27, 43
	s_mov_b64 s[0:1], s[12:13]
	s_cbranch_scc0 .LBB280_905
; %bb.895:
	;; [unrolled: 4-line block ×3, first 2 shown]
	s_cmp_eq_u32 s27, 46
	s_mov_b64 s[0:1], -1
	s_cbranch_scc0 .LBB280_898
; %bb.897:
	v_cvt_f32_ubyte0_e32 v1, v0
	v_bfe_u32 v4, v1, 16, 1
	s_movk_i32 s0, 0x7fff
	v_add3_u32 v1, v1, v4, s0
	v_lshrrev_b32_e32 v1, 16, v1
	global_store_dword v[2:3], v1, off
	s_mov_b64 s[0:1], 0
.LBB280_898:
	s_mov_b64 s[18:19], 0
.LBB280_899:
	s_and_b64 vcc, exec, s[18:19]
	s_cbranch_vccz .LBB280_904
; %bb.900:
	s_cmp_eq_u32 s27, 44
	s_mov_b64 s[0:1], -1
	s_cbranch_scc0 .LBB280_904
; %bb.901:
	v_cvt_f32_ubyte0_e32 v4, v0
	v_lshrrev_b32_e32 v1, 23, v4
	s_movk_i32 s0, 0xff
	v_cmp_ne_u32_e32 vcc, s0, v1
	v_mov_b32_e32 v5, 0xff
	s_and_saveexec_b64 s[18:19], vcc
; %bb.902:
	s_mov_b32 s0, 0x3fffff
	v_and_b32_e32 v5, 0x400000, v4
	v_and_or_b32 v4, v4, s0, v1
	v_cmp_ne_u32_e32 vcc, 0, v5
	v_cmp_ne_u32_e64 s[0:1], 0, v4
	s_and_b64 s[0:1], vcc, s[0:1]
	s_nop 0
	v_cndmask_b32_e64 v4, 0, 1, s[0:1]
	v_add_u32_e32 v5, v1, v4
; %bb.903:
	s_or_b64 exec, exec, s[18:19]
	s_mov_b64 s[0:1], 0
	global_store_byte v[2:3], v5, off
.LBB280_904:
	s_mov_b64 s[18:19], 0
.LBB280_905:
	s_and_b64 vcc, exec, s[18:19]
	s_cbranch_vccz .LBB280_908
; %bb.906:
	s_cmp_eq_u32 s27, 29
	s_mov_b64 s[0:1], -1
	s_cbranch_scc0 .LBB280_908
; %bb.907:
	s_mov_b32 s0, 0
	v_mov_b32_e32 v1, s0
	global_store_dwordx2 v[2:3], v[0:1], off
	s_mov_b64 s[0:1], 0
.LBB280_908:
	s_mov_b64 s[18:19], 0
.LBB280_909:
	s_and_b64 vcc, exec, s[18:19]
	s_cbranch_vccz .LBB280_924
; %bb.910:
	s_cmp_lt_i32 s27, 27
	s_mov_b64 s[18:19], -1
	s_cbranch_scc1 .LBB280_916
; %bb.911:
	s_cmp_gt_i32 s27, 27
	s_cbranch_scc0 .LBB280_913
; %bb.912:
	s_mov_b64 s[18:19], 0
	global_store_dword v[2:3], v0, off
.LBB280_913:
	s_andn2_b64 vcc, exec, s[18:19]
	s_cbranch_vccnz .LBB280_915
; %bb.914:
	global_store_short v[2:3], v0, off
.LBB280_915:
	s_mov_b64 s[18:19], 0
.LBB280_916:
	s_andn2_b64 vcc, exec, s[18:19]
	s_cbranch_vccnz .LBB280_924
; %bb.917:
	v_cvt_f32_ubyte0_e32 v4, v0
	s_mov_b32 s18, 0x43800000
	v_cmp_gt_u32_e32 vcc, s18, v4
	v_mov_b32_e32 v5, 0x80
	s_and_saveexec_b64 s[18:19], vcc
	s_cbranch_execz .LBB280_923
; %bb.918:
	s_mov_b32 s20, 0x3bffffff
	v_cmp_lt_u32_e32 vcc, s20, v4
	s_mov_b64 s[20:21], 0
                                        ; implicit-def: $vgpr1
	s_and_saveexec_b64 s[22:23], vcc
	s_xor_b64 s[22:23], exec, s[22:23]
	s_cbranch_execz .LBB280_1025
; %bb.919:
	v_bfe_u32 v1, v4, 20, 1
	s_mov_b32 s24, 0x487ffff
	v_add3_u32 v1, v4, v1, s24
	s_mov_b64 s[20:21], exec
	v_lshrrev_b32_e32 v1, 20, v1
                                        ; implicit-def: $vgpr4
	s_andn2_saveexec_b64 s[22:23], s[22:23]
	s_cbranch_execnz .LBB280_1026
.LBB280_920:
	s_or_b64 exec, exec, s[22:23]
	v_mov_b32_e32 v5, 0
	s_and_saveexec_b64 s[22:23], s[20:21]
.LBB280_921:
	v_mov_b32_e32 v5, v1
.LBB280_922:
	s_or_b64 exec, exec, s[22:23]
.LBB280_923:
	s_or_b64 exec, exec, s[18:19]
	global_store_byte v[2:3], v5, off
.LBB280_924:
	s_mov_b64 s[20:21], 0
.LBB280_925:
	s_mov_b64 s[18:19], 0
	s_and_b64 vcc, exec, s[20:21]
	s_cbranch_vccz .LBB280_969
; %bb.926:
	s_cmp_gt_i32 s27, 22
	s_mov_b64 s[20:21], -1
	s_cbranch_scc0 .LBB280_958
; %bb.927:
	s_cmp_lt_i32 s27, 24
	s_cbranch_scc1 .LBB280_947
; %bb.928:
	s_cmp_gt_i32 s27, 24
	s_cbranch_scc0 .LBB280_936
; %bb.929:
	v_cvt_f32_ubyte0_e32 v4, v0
	s_mov_b32 s20, 0x47800000
	v_cmp_gt_u32_e32 vcc, s20, v4
	v_mov_b32_e32 v5, 0x80
	s_and_saveexec_b64 s[20:21], vcc
	s_cbranch_execz .LBB280_935
; %bb.930:
	s_mov_b32 s22, 0x37ffffff
	v_cmp_lt_u32_e32 vcc, s22, v4
	s_mov_b64 s[22:23], 0
                                        ; implicit-def: $vgpr1
	s_and_saveexec_b64 s[24:25], vcc
	s_xor_b64 s[24:25], exec, s[24:25]
	s_cbranch_execz .LBB280_1145
; %bb.931:
	v_bfe_u32 v1, v4, 21, 1
	s_mov_b32 s28, 0x88fffff
	v_add3_u32 v1, v4, v1, s28
	s_mov_b64 s[22:23], exec
	v_lshrrev_b32_e32 v1, 21, v1
                                        ; implicit-def: $vgpr4
	s_andn2_saveexec_b64 s[24:25], s[24:25]
	s_cbranch_execnz .LBB280_1146
.LBB280_932:
	s_or_b64 exec, exec, s[24:25]
	v_mov_b32_e32 v5, 0
	s_and_saveexec_b64 s[24:25], s[22:23]
.LBB280_933:
	v_mov_b32_e32 v5, v1
.LBB280_934:
	s_or_b64 exec, exec, s[24:25]
.LBB280_935:
	s_or_b64 exec, exec, s[20:21]
	s_mov_b64 s[20:21], 0
	global_store_byte v[2:3], v5, off
.LBB280_936:
	s_and_b64 vcc, exec, s[20:21]
	s_cbranch_vccz .LBB280_946
; %bb.937:
	v_cvt_f32_ubyte0_e32 v1, v0
	s_mov_b32 s20, 0x43f00000
	v_cmp_gt_u32_e32 vcc, s20, v1
                                        ; implicit-def: $vgpr4
	s_and_saveexec_b64 s[20:21], vcc
	s_xor_b64 s[20:21], exec, s[20:21]
	s_cbranch_execz .LBB280_943
; %bb.938:
	s_mov_b32 s22, 0x3c7fffff
	v_cmp_lt_u32_e32 vcc, s22, v1
                                        ; implicit-def: $vgpr4
	s_and_saveexec_b64 s[22:23], vcc
	s_xor_b64 s[22:23], exec, s[22:23]
; %bb.939:
	v_bfe_u32 v4, v1, 20, 1
	s_mov_b32 s24, 0x407ffff
	v_add3_u32 v1, v1, v4, s24
	v_lshrrev_b32_e32 v4, 20, v1
	v_and_b32_e32 v1, 0xff00000, v1
	s_mov_b32 s24, 0x7f00000
	v_mov_b32_e32 v5, 0x7e
	v_cmp_ne_u32_e32 vcc, s24, v1
                                        ; implicit-def: $vgpr1
	s_nop 1
	v_cndmask_b32_e32 v4, v5, v4, vcc
; %bb.940:
	s_andn2_saveexec_b64 s[22:23], s[22:23]
; %bb.941:
	v_add_f32_e32 v4, 0x46800000, v1
; %bb.942:
	s_or_b64 exec, exec, s[22:23]
                                        ; implicit-def: $vgpr1
.LBB280_943:
	s_andn2_saveexec_b64 s[20:21], s[20:21]
; %bb.944:
	s_mov_b32 s22, 0x7f800000
	v_mov_b32_e32 v4, 0x7e
	v_mov_b32_e32 v5, 0x7f
	v_cmp_lt_u32_e32 vcc, s22, v1
	s_nop 1
	v_cndmask_b32_e32 v4, v4, v5, vcc
; %bb.945:
	s_or_b64 exec, exec, s[20:21]
	global_store_byte v[2:3], v4, off
.LBB280_946:
	s_mov_b64 s[20:21], 0
.LBB280_947:
	s_andn2_b64 vcc, exec, s[20:21]
	s_cbranch_vccnz .LBB280_957
; %bb.948:
	v_cvt_f32_ubyte0_e32 v1, v0
	s_mov_b32 s20, 0x47800000
	v_cmp_gt_u32_e32 vcc, s20, v1
                                        ; implicit-def: $vgpr4
	s_and_saveexec_b64 s[20:21], vcc
	s_xor_b64 s[20:21], exec, s[20:21]
	s_cbranch_execz .LBB280_954
; %bb.949:
	s_mov_b32 s22, 0x387fffff
	v_cmp_lt_u32_e32 vcc, s22, v1
                                        ; implicit-def: $vgpr4
	s_and_saveexec_b64 s[22:23], vcc
	s_xor_b64 s[22:23], exec, s[22:23]
; %bb.950:
	v_bfe_u32 v4, v1, 21, 1
	s_mov_b32 s24, 0x80fffff
	v_add3_u32 v1, v1, v4, s24
	v_lshrrev_b32_e32 v4, 21, v1
                                        ; implicit-def: $vgpr1
; %bb.951:
	s_andn2_saveexec_b64 s[22:23], s[22:23]
; %bb.952:
	v_add_f32_e32 v4, 0x43000000, v1
; %bb.953:
	s_or_b64 exec, exec, s[22:23]
                                        ; implicit-def: $vgpr1
.LBB280_954:
	s_andn2_saveexec_b64 s[20:21], s[20:21]
; %bb.955:
	s_mov_b32 s22, 0x7f800000
	v_mov_b32_e32 v4, 0x7c
	v_mov_b32_e32 v5, 0x7f
	v_cmp_lt_u32_e32 vcc, s22, v1
	s_nop 1
	v_cndmask_b32_e32 v4, v4, v5, vcc
; %bb.956:
	s_or_b64 exec, exec, s[20:21]
	global_store_byte v[2:3], v4, off
.LBB280_957:
	s_mov_b64 s[20:21], 0
.LBB280_958:
	s_andn2_b64 vcc, exec, s[20:21]
	s_mov_b64 s[20:21], 0
	s_cbranch_vccnz .LBB280_970
; %bb.959:
	s_cmp_gt_i32 s27, 14
	s_mov_b64 s[22:23], -1
	s_cbranch_scc0 .LBB280_963
; %bb.960:
	s_cmp_eq_u32 s27, 15
	s_mov_b64 s[0:1], -1
	s_cbranch_scc0 .LBB280_962
; %bb.961:
	v_cvt_f32_ubyte0_e32 v1, v0
	v_bfe_u32 v4, v1, 16, 1
	s_movk_i32 s0, 0x7fff
	v_add3_u32 v1, v1, v4, s0
	global_store_short_d16_hi v[2:3], v1, off
	s_mov_b64 s[0:1], 0
.LBB280_962:
	s_mov_b64 s[22:23], 0
.LBB280_963:
	s_and_b64 vcc, exec, s[22:23]
	s_cbranch_vccz .LBB280_970
; %bb.964:
	s_cmp_lg_u32 s27, 11
	s_cselect_b64 s[22:23], -1, 0
	s_andn2_b64 s[0:1], s[0:1], exec
	s_and_b64 s[22:23], s[22:23], exec
	s_mov_b64 s[20:21], -1
	s_or_b64 s[0:1], s[0:1], s[22:23]
	s_branch .LBB280_970
.LBB280_965:
	s_or_b64 exec, exec, s[14:15]
	s_and_saveexec_b64 s[0:1], s[12:13]
	s_cbranch_execnz .LBB280_971
.LBB280_966:
	s_or_b64 exec, exec, s[0:1]
	s_and_saveexec_b64 s[0:1], s[20:21]
	s_xor_b64 s[0:1], exec, s[0:1]
	s_cbranch_execz .LBB280_972
.LBB280_967:
	v_mov_b32_e32 v1, 0
	v_cmp_ne_u16_sdwa s[12:13], v0, v1 src0_sel:BYTE_0 src1_sel:DWORD
	s_nop 1
	v_cndmask_b32_e64 v1, 0, 1, s[12:13]
	s_waitcnt vmcnt(0)
	global_store_byte v[2:3], v1, off
	s_or_b64 exec, exec, s[0:1]
	s_and_saveexec_b64 s[0:1], s[18:19]
	s_xor_b64 s[0:1], exec, s[0:1]
	s_cbranch_execz .LBB280_1010
	s_branch .LBB280_973
.LBB280_968:
	s_mov_b64 s[18:19], -1
	s_mov_b64 s[0:1], s[12:13]
	s_branch .LBB280_970
.LBB280_969:
	s_mov_b64 s[20:21], 0
.LBB280_970:
	s_andn2_b64 s[12:13], s[12:13], exec
	s_and_b64 s[0:1], s[0:1], exec
	s_and_b64 s[18:19], s[18:19], exec
	s_and_b64 s[20:21], s[20:21], exec
	s_or_b64 s[12:13], s[12:13], s[0:1]
	s_or_b64 exec, exec, s[14:15]
	s_and_saveexec_b64 s[0:1], s[12:13]
	s_cbranch_execz .LBB280_966
.LBB280_971:
	s_or_b64 s[16:17], s[16:17], exec
	s_andn2_b64 s[20:21], s[20:21], exec
	s_trap 2
	s_or_b64 exec, exec, s[0:1]
	s_and_saveexec_b64 s[0:1], s[20:21]
	s_xor_b64 s[0:1], exec, s[0:1]
	s_cbranch_execnz .LBB280_967
.LBB280_972:
	s_or_b64 exec, exec, s[0:1]
	s_and_saveexec_b64 s[0:1], s[18:19]
	s_xor_b64 s[0:1], exec, s[0:1]
	s_cbranch_execz .LBB280_1010
.LBB280_973:
	s_sext_i32_i16 s14, s26
	s_cmp_lt_i32 s14, 5
	s_mov_b64 s[12:13], -1
	s_cbranch_scc1 .LBB280_994
; %bb.974:
	s_cmp_lt_i32 s14, 8
	s_cbranch_scc1 .LBB280_984
; %bb.975:
	s_cmp_lt_i32 s14, 9
	s_cbranch_scc1 .LBB280_981
; %bb.976:
	s_cmp_gt_i32 s14, 9
	s_cbranch_scc0 .LBB280_978
; %bb.977:
	s_mov_b32 s12, 0xffff
	v_and_b32_sdwa v1, s12, v0 dst_sel:DWORD dst_unused:UNUSED_PAD src0_sel:DWORD src1_sel:BYTE_0
	v_mov_b32_e32 v6, 0
	s_waitcnt vmcnt(0)
	v_cvt_f64_u32_e32 v[4:5], v1
	v_mov_b32_e32 v7, v6
	s_mov_b64 s[12:13], 0
	global_store_dwordx4 v[2:3], v[4:7], off
.LBB280_978:
	s_andn2_b64 vcc, exec, s[12:13]
	s_cbranch_vccnz .LBB280_980
; %bb.979:
	s_waitcnt vmcnt(0)
	v_cvt_f32_ubyte0_e32 v4, v0
	v_mov_b32_e32 v5, 0
	global_store_dwordx2 v[2:3], v[4:5], off
.LBB280_980:
	s_mov_b64 s[12:13], 0
.LBB280_981:
	s_andn2_b64 vcc, exec, s[12:13]
	s_cbranch_vccnz .LBB280_983
; %bb.982:
	v_cvt_f16_u16_sdwa v1, v0 dst_sel:DWORD dst_unused:UNUSED_PAD src0_sel:BYTE_0
	s_waitcnt vmcnt(0)
	global_store_dword v[2:3], v1, off
.LBB280_983:
	s_mov_b64 s[12:13], 0
.LBB280_984:
	s_andn2_b64 vcc, exec, s[12:13]
	s_cbranch_vccnz .LBB280_993
; %bb.985:
	s_sext_i32_i16 s14, s26
	s_cmp_lt_i32 s14, 6
	s_mov_b64 s[12:13], -1
	s_cbranch_scc1 .LBB280_991
; %bb.986:
	s_cmp_gt_i32 s14, 6
	s_cbranch_scc0 .LBB280_988
; %bb.987:
	s_mov_b32 s12, 0xffff
	v_and_b32_sdwa v1, s12, v0 dst_sel:DWORD dst_unused:UNUSED_PAD src0_sel:DWORD src1_sel:BYTE_0
	s_waitcnt vmcnt(0)
	v_cvt_f64_u32_e32 v[4:5], v1
	s_mov_b64 s[12:13], 0
	global_store_dwordx2 v[2:3], v[4:5], off
.LBB280_988:
	s_andn2_b64 vcc, exec, s[12:13]
	s_cbranch_vccnz .LBB280_990
; %bb.989:
	v_cvt_f32_ubyte0_e32 v1, v0
	s_waitcnt vmcnt(0)
	global_store_dword v[2:3], v1, off
.LBB280_990:
	s_mov_b64 s[12:13], 0
.LBB280_991:
	s_andn2_b64 vcc, exec, s[12:13]
	s_cbranch_vccnz .LBB280_993
; %bb.992:
	v_cvt_f16_u16_sdwa v1, v0 dst_sel:DWORD dst_unused:UNUSED_PAD src0_sel:BYTE_0
	s_waitcnt vmcnt(0)
	global_store_short v[2:3], v1, off
.LBB280_993:
	s_mov_b64 s[12:13], 0
.LBB280_994:
	s_andn2_b64 vcc, exec, s[12:13]
	s_cbranch_vccnz .LBB280_1010
; %bb.995:
	s_sext_i32_i16 s14, s26
	s_cmp_lt_i32 s14, 2
	s_mov_b64 s[12:13], -1
	s_cbranch_scc1 .LBB280_1005
; %bb.996:
	s_cmp_lt_i32 s14, 3
	s_cbranch_scc1 .LBB280_1002
; %bb.997:
	s_cmp_gt_i32 s14, 3
	s_cbranch_scc0 .LBB280_999
; %bb.998:
	s_waitcnt vmcnt(0)
	v_and_b32_e32 v4, 0xff, v0
	v_mov_b32_e32 v5, 0
	s_mov_b64 s[12:13], 0
	global_store_dwordx2 v[2:3], v[4:5], off
.LBB280_999:
	s_andn2_b64 vcc, exec, s[12:13]
	s_cbranch_vccnz .LBB280_1001
; %bb.1000:
	v_and_b32_e32 v1, 0xff, v0
	s_waitcnt vmcnt(0)
	global_store_dword v[2:3], v1, off
.LBB280_1001:
	s_mov_b64 s[12:13], 0
.LBB280_1002:
	s_andn2_b64 vcc, exec, s[12:13]
	s_cbranch_vccnz .LBB280_1004
; %bb.1003:
	v_and_b32_e32 v1, 0xff, v0
	s_waitcnt vmcnt(0)
	global_store_short v[2:3], v1, off
.LBB280_1004:
	s_mov_b64 s[12:13], 0
.LBB280_1005:
	s_andn2_b64 vcc, exec, s[12:13]
	s_cbranch_vccnz .LBB280_1010
; %bb.1006:
	s_sext_i32_i16 s12, s26
	s_cmp_gt_i32 s12, 0
	s_mov_b64 s[12:13], -1
	s_cbranch_scc0 .LBB280_1008
; %bb.1007:
	s_mov_b64 s[12:13], 0
	s_waitcnt vmcnt(0)
	global_store_byte v[2:3], v0, off
.LBB280_1008:
	s_andn2_b64 vcc, exec, s[12:13]
	s_cbranch_vccnz .LBB280_1010
; %bb.1009:
	s_waitcnt vmcnt(0)
	global_store_byte v[2:3], v0, off
.LBB280_1010:
	s_or_b64 exec, exec, s[0:1]
	s_and_b64 s[12:13], s[16:17], exec
                                        ; implicit-def: $vgpr10
.LBB280_1011:
	s_or_saveexec_b64 s[10:11], s[10:11]
	s_mov_b64 s[0:1], 0
                                        ; implicit-def: $sgpr20
                                        ; implicit-def: $vgpr0_vgpr1
                                        ; implicit-def: $vgpr2
	s_xor_b64 exec, exec, s[10:11]
	s_cbranch_execz .LBB280_1942
; %bb.1012:
	s_waitcnt vmcnt(0)
	v_mul_lo_u32 v2, s9, v10
	v_ashrrev_i32_e32 v3, 31, v2
	s_and_b32 s20, 0xffff, s44
	s_cmp_lt_i32 s20, 11
	v_lshl_add_u64 v[4:5], s[6:7], 0, v[2:3]
	s_cbranch_scc1 .LBB280_1019
; %bb.1013:
	s_cmp_gt_i32 s20, 25
	s_cbranch_scc0 .LBB280_1021
; %bb.1014:
	s_cmp_gt_i32 s20, 28
	s_cbranch_scc0 .LBB280_1022
	;; [unrolled: 3-line block ×4, first 2 shown]
; %bb.1017:
	s_cmp_eq_u32 s20, 46
	s_mov_b64 s[14:15], 0
	s_cbranch_scc0 .LBB280_1027
; %bb.1018:
	global_load_dword v0, v[4:5], off
	s_mov_b32 s0, 0x2f800000
	s_mov_b32 s1, 0xcf800000
	s_mov_b64 s[16:17], -1
	s_waitcnt vmcnt(0)
	v_lshlrev_b32_e32 v0, 16, v0
	v_trunc_f32_e32 v0, v0
	v_mul_f32_e64 v1, |v0|, s0
	v_floor_f32_e32 v1, v1
	v_fma_f32 v1, v1, s1, |v0|
	v_cvt_u32_f32_e32 v1, v1
	v_ashrrev_i32_e32 v0, 31, v0
	s_mov_b64 s[0:1], 0
	v_xor_b32_e32 v1, v1, v0
	v_sub_u32_e32 v0, v1, v0
	s_branch .LBB280_1028
.LBB280_1019:
	s_mov_b64 s[16:17], 0
                                        ; implicit-def: $vgpr0
	s_mov_b64 s[14:15], s[12:13]
	s_cbranch_execnz .LBB280_1086
.LBB280_1020:
	s_andn2_b64 vcc, exec, s[16:17]
	s_cbranch_vccz .LBB280_1131
	s_branch .LBB280_1940
.LBB280_1021:
	s_mov_b64 s[16:17], 0
                                        ; implicit-def: $vgpr0
	s_cbranch_execnz .LBB280_1053
	s_branch .LBB280_1082
.LBB280_1022:
	s_mov_b64 s[16:17], 0
                                        ; implicit-def: $vgpr0
	s_cbranch_execz .LBB280_1052
	s_branch .LBB280_1037
.LBB280_1023:
	s_mov_b64 s[16:17], 0
                                        ; implicit-def: $vgpr0
	s_cbranch_execnz .LBB280_1033
	s_branch .LBB280_1036
.LBB280_1024:
	s_mov_b64 s[14:15], -1
	s_mov_b64 s[16:17], 0
                                        ; implicit-def: $vgpr0
	s_branch .LBB280_1028
.LBB280_1025:
	s_andn2_saveexec_b64 s[22:23], s[22:23]
	s_cbranch_execz .LBB280_920
.LBB280_1026:
	v_add_f32_e32 v1, 0x46000000, v4
	v_and_b32_e32 v1, 0xff, v1
	v_cmp_ne_u32_e32 vcc, 0, v1
	s_andn2_b64 s[20:21], s[20:21], exec
	s_and_b64 s[24:25], vcc, exec
	s_or_b64 s[20:21], s[20:21], s[24:25]
	s_or_b64 exec, exec, s[22:23]
	v_mov_b32_e32 v5, 0
	s_and_saveexec_b64 s[22:23], s[20:21]
	s_cbranch_execnz .LBB280_921
	s_branch .LBB280_922
.LBB280_1027:
	s_mov_b64 s[0:1], -1
                                        ; implicit-def: $vgpr0
	s_mov_b64 s[16:17], 0
.LBB280_1028:
	s_and_b64 vcc, exec, s[14:15]
	s_cbranch_vccz .LBB280_1031
; %bb.1029:
	s_cmp_eq_u32 s20, 44
	s_cbranch_scc0 .LBB280_1032
; %bb.1030:
	global_load_ubyte v0, v[4:5], off
	s_mov_b32 s0, 0x2f800000
	s_mov_b32 s1, 0xcf800000
	s_mov_b64 s[16:17], -1
	s_waitcnt vmcnt(0)
	v_lshlrev_b32_e32 v1, 23, v0
	v_trunc_f32_e32 v1, v1
	v_mul_f32_e64 v3, |v1|, s0
	v_floor_f32_e32 v3, v3
	v_fma_f32 v3, v3, s1, |v1|
	v_cvt_u32_f32_e32 v3, v3
	v_ashrrev_i32_e32 v1, 31, v1
	v_cmp_ne_u32_e32 vcc, 0, v0
	s_mov_b64 s[0:1], 0
	v_xor_b32_e32 v3, v3, v1
	v_sub_u32_e32 v1, v3, v1
	v_cndmask_b32_e32 v0, 0, v1, vcc
.LBB280_1031:
	s_branch .LBB280_1036
.LBB280_1032:
	s_mov_b64 s[0:1], -1
                                        ; implicit-def: $vgpr0
	s_branch .LBB280_1036
.LBB280_1033:
	s_cmp_eq_u32 s20, 29
	s_cbranch_scc0 .LBB280_1035
; %bb.1034:
	global_load_dwordx2 v[0:1], v[4:5], off
	s_mov_b64 s[0:1], 0
	s_mov_b64 s[16:17], -1
	s_branch .LBB280_1036
.LBB280_1035:
	s_mov_b64 s[0:1], -1
                                        ; implicit-def: $vgpr0
.LBB280_1036:
	s_branch .LBB280_1052
.LBB280_1037:
	s_cmp_lt_i32 s20, 27
	s_cbranch_scc1 .LBB280_1040
; %bb.1038:
	s_cmp_gt_i32 s20, 27
	s_cbranch_scc0 .LBB280_1041
; %bb.1039:
	global_load_dword v0, v[4:5], off
	s_mov_b64 s[14:15], 0
	s_branch .LBB280_1042
.LBB280_1040:
	s_mov_b64 s[14:15], -1
                                        ; implicit-def: $vgpr0
	s_branch .LBB280_1045
.LBB280_1041:
	s_mov_b64 s[14:15], -1
                                        ; implicit-def: $vgpr0
.LBB280_1042:
	s_andn2_b64 vcc, exec, s[14:15]
	s_cbranch_vccnz .LBB280_1044
; %bb.1043:
	global_load_ushort v0, v[4:5], off
.LBB280_1044:
	s_mov_b64 s[14:15], 0
.LBB280_1045:
	s_andn2_b64 vcc, exec, s[14:15]
	s_cbranch_vccnz .LBB280_1051
; %bb.1046:
	global_load_ubyte v1, v[4:5], off
	s_movk_i32 s14, 0x7f
	s_mov_b64 s[16:17], 0
	s_waitcnt vmcnt(0)
	v_cmp_lt_i16_e32 vcc, s14, v1
	s_and_saveexec_b64 s[14:15], vcc
	s_xor_b64 s[14:15], exec, s[14:15]
	s_cbranch_execz .LBB280_1062
; %bb.1047:
	s_movk_i32 s16, 0x80
	v_cmp_ne_u16_e32 vcc, s16, v1
	s_and_b64 s[16:17], vcc, exec
	s_andn2_saveexec_b64 s[14:15], s[14:15]
	s_cbranch_execnz .LBB280_1063
.LBB280_1048:
	s_or_b64 exec, exec, s[14:15]
	v_mov_b32_e32 v0, 0
	s_and_saveexec_b64 s[14:15], s[16:17]
	s_cbranch_execz .LBB280_1050
.LBB280_1049:
	v_lshlrev_b32_e32 v0, 24, v1
	v_and_b32_e32 v1, 0xffff, v1
	v_and_b32_e32 v3, 7, v1
	v_ffbh_u32_e32 v7, v3
	v_min_u32_e32 v7, 32, v7
	v_subrev_u32_e32 v8, 28, v7
	v_bfe_u32 v6, v1, 3, 4
	v_lshlrev_b32_e32 v1, v8, v1
	v_sub_u32_e32 v7, 29, v7
	v_and_b32_e32 v1, 7, v1
	v_cmp_eq_u32_e32 vcc, 0, v6
	v_and_b32_e32 v0, 0x80000000, v0
	s_mov_b32 s16, 0x2f800000
	v_cndmask_b32_e32 v6, v6, v7, vcc
	v_cndmask_b32_e32 v1, v3, v1, vcc
	v_mov_b32_e32 v3, 0x3b800000
	v_lshlrev_b32_e32 v1, 20, v1
	v_lshl_add_u32 v3, v6, 23, v3
	v_or3_b32 v0, v0, v3, v1
	v_trunc_f32_e32 v0, v0
	v_mul_f32_e64 v1, |v0|, s16
	v_floor_f32_e32 v1, v1
	s_mov_b32 s16, 0xcf800000
	v_fma_f32 v1, v1, s16, |v0|
	v_cvt_u32_f32_e32 v1, v1
	v_ashrrev_i32_e32 v0, 31, v0
	v_xor_b32_e32 v1, v1, v0
	v_sub_u32_e32 v0, v1, v0
.LBB280_1050:
	s_or_b64 exec, exec, s[14:15]
.LBB280_1051:
	s_mov_b64 s[16:17], -1
.LBB280_1052:
	s_branch .LBB280_1082
.LBB280_1053:
	s_cmp_gt_i32 s20, 22
	s_cbranch_scc0 .LBB280_1061
; %bb.1054:
	s_cmp_lt_i32 s20, 24
	s_cbranch_scc1 .LBB280_1064
; %bb.1055:
	s_cmp_gt_i32 s20, 24
	s_cbranch_scc0 .LBB280_1065
; %bb.1056:
	global_load_ubyte v1, v[4:5], off
	s_movk_i32 s2, 0x7f
	s_mov_b64 s[14:15], 0
	s_waitcnt vmcnt(0)
	v_cmp_lt_i16_e32 vcc, s2, v1
	s_and_saveexec_b64 s[2:3], vcc
	s_xor_b64 s[2:3], exec, s[2:3]
	s_cbranch_execz .LBB280_1076
; %bb.1057:
	s_movk_i32 s14, 0x80
	v_cmp_ne_u16_e32 vcc, s14, v1
	s_and_b64 s[14:15], vcc, exec
	s_andn2_saveexec_b64 s[2:3], s[2:3]
	s_cbranch_execnz .LBB280_1077
.LBB280_1058:
	s_or_b64 exec, exec, s[2:3]
	v_mov_b32_e32 v0, 0
	s_and_saveexec_b64 s[2:3], s[14:15]
	s_cbranch_execz .LBB280_1060
.LBB280_1059:
	v_lshlrev_b32_e32 v0, 24, v1
	v_and_b32_e32 v1, 0xffff, v1
	v_and_b32_e32 v3, 3, v1
	v_ffbh_u32_e32 v7, v3
	v_min_u32_e32 v7, 32, v7
	v_subrev_u32_e32 v8, 29, v7
	v_bfe_u32 v6, v1, 2, 5
	v_lshlrev_b32_e32 v1, v8, v1
	v_sub_u32_e32 v7, 30, v7
	v_and_b32_e32 v1, 3, v1
	v_cmp_eq_u32_e32 vcc, 0, v6
	v_and_b32_e32 v0, 0x80000000, v0
	s_mov_b32 s14, 0x2f800000
	v_cndmask_b32_e32 v6, v6, v7, vcc
	v_cndmask_b32_e32 v1, v3, v1, vcc
	v_mov_b32_e32 v3, 0x37800000
	v_lshlrev_b32_e32 v1, 21, v1
	v_lshl_add_u32 v3, v6, 23, v3
	v_or3_b32 v0, v0, v3, v1
	v_trunc_f32_e32 v0, v0
	v_mul_f32_e64 v1, |v0|, s14
	v_floor_f32_e32 v1, v1
	s_mov_b32 s14, 0xcf800000
	v_fma_f32 v1, v1, s14, |v0|
	v_cvt_u32_f32_e32 v1, v1
	v_ashrrev_i32_e32 v0, 31, v0
	v_xor_b32_e32 v1, v1, v0
	v_sub_u32_e32 v0, v1, v0
.LBB280_1060:
	s_or_b64 exec, exec, s[2:3]
	s_mov_b64 s[2:3], 0
	s_branch .LBB280_1066
.LBB280_1061:
                                        ; implicit-def: $vgpr0
	s_mov_b64 s[2:3], 0
	s_branch .LBB280_1072
.LBB280_1062:
	s_andn2_saveexec_b64 s[14:15], s[14:15]
	s_cbranch_execz .LBB280_1048
.LBB280_1063:
	v_cmp_ne_u16_e32 vcc, 0, v1
	s_andn2_b64 s[16:17], s[16:17], exec
	s_and_b64 s[18:19], vcc, exec
	s_or_b64 s[16:17], s[16:17], s[18:19]
	s_or_b64 exec, exec, s[14:15]
	v_mov_b32_e32 v0, 0
	s_and_saveexec_b64 s[14:15], s[16:17]
	s_cbranch_execnz .LBB280_1049
	s_branch .LBB280_1050
.LBB280_1064:
	s_mov_b64 s[2:3], -1
                                        ; implicit-def: $vgpr0
	s_branch .LBB280_1069
.LBB280_1065:
	s_mov_b64 s[2:3], -1
                                        ; implicit-def: $vgpr0
.LBB280_1066:
	s_and_b64 vcc, exec, s[2:3]
	s_cbranch_vccz .LBB280_1068
; %bb.1067:
	global_load_ubyte v0, v[4:5], off
	s_mov_b32 s2, 0x7f800000
	s_brev_b32 s3, 1
	s_mov_b32 s14, 0x2f800000
	s_waitcnt vmcnt(0)
	v_lshlrev_b32_e32 v0, 24, v0
	v_and_b32_e32 v1, 0x7f000000, v0
	v_ffbh_u32_e32 v3, v1
	v_min_u32_e32 v3, 32, v3
	v_sub_u32_e64 v3, v3, 4 clamp
	v_lshlrev_b32_e32 v7, v3, v1
	v_lshlrev_b32_e32 v3, 23, v3
	v_lshrrev_b32_e32 v7, 4, v7
	v_add_u32_e32 v6, 0x1000000, v1
	v_sub_u32_e32 v3, v7, v3
	v_ashrrev_i32_e32 v6, 8, v6
	v_add_u32_e32 v3, 0x3c000000, v3
	v_and_or_b32 v3, v6, s2, v3
	v_cmp_ne_u32_e32 vcc, 0, v1
	s_mov_b32 s2, 0xcf800000
	s_nop 0
	v_cndmask_b32_e32 v1, 0, v3, vcc
	v_and_or_b32 v0, v0, s3, v1
	v_trunc_f32_e32 v0, v0
	v_mul_f32_e64 v1, |v0|, s14
	v_floor_f32_e32 v1, v1
	v_fma_f32 v1, v1, s2, |v0|
	v_cvt_u32_f32_e32 v1, v1
	v_ashrrev_i32_e32 v0, 31, v0
	v_xor_b32_e32 v1, v1, v0
	v_sub_u32_e32 v0, v1, v0
.LBB280_1068:
	s_mov_b64 s[2:3], 0
.LBB280_1069:
	s_andn2_b64 vcc, exec, s[2:3]
	s_cbranch_vccnz .LBB280_1071
; %bb.1070:
	global_load_ubyte v0, v[4:5], off
	s_movk_i32 s2, 0x7f00
	s_brev_b32 s3, 16
	s_brev_b32 s14, 1
	s_mov_b32 s15, 0x2f800000
	s_waitcnt vmcnt(0)
	v_lshlrev_b16_e32 v1, 8, v0
	v_lshlrev_b32_e32 v0, 25, v0
	v_lshrrev_b32_e32 v3, 4, v0
	v_and_or_b32 v6, v1, s2, 0.5
	v_or_b32_e32 v3, 0x70000000, v3
	v_add_f32_e32 v6, -0.5, v6
	v_mul_f32_e32 v3, 0x7800000, v3
	v_cmp_gt_u32_e32 vcc, s3, v0
	v_bfe_i32 v1, v1, 0, 16
	s_mov_b32 s2, 0xcf800000
	v_cndmask_b32_e32 v0, v3, v6, vcc
	v_and_or_b32 v0, v1, s14, v0
	v_trunc_f32_e32 v0, v0
	v_mul_f32_e64 v1, |v0|, s15
	v_floor_f32_e32 v1, v1
	v_fma_f32 v1, v1, s2, |v0|
	v_cvt_u32_f32_e32 v1, v1
	v_ashrrev_i32_e32 v0, 31, v0
	v_xor_b32_e32 v1, v1, v0
	v_sub_u32_e32 v0, v1, v0
.LBB280_1071:
	s_mov_b64 s[16:17], -1
	s_mov_b64 s[2:3], 0
	s_cbranch_execnz .LBB280_1082
.LBB280_1072:
	s_cmp_gt_i32 s20, 14
	s_cbranch_scc0 .LBB280_1075
; %bb.1073:
	s_cmp_eq_u32 s20, 15
	s_cbranch_scc0 .LBB280_1078
; %bb.1074:
	global_load_ushort v0, v[4:5], off
	s_mov_b32 s0, 0x2f800000
	s_mov_b32 s1, 0xcf800000
	s_mov_b64 s[16:17], -1
	s_waitcnt vmcnt(0)
	v_lshlrev_b32_e32 v0, 16, v0
	v_trunc_f32_e32 v0, v0
	v_mul_f32_e64 v1, |v0|, s0
	v_floor_f32_e32 v1, v1
	v_fma_f32 v1, v1, s1, |v0|
	v_cvt_u32_f32_e32 v1, v1
	v_ashrrev_i32_e32 v0, 31, v0
	s_mov_b64 s[0:1], 0
	v_xor_b32_e32 v1, v1, v0
	v_sub_u32_e32 v0, v1, v0
	s_branch .LBB280_1079
.LBB280_1075:
	s_mov_b64 s[14:15], -1
                                        ; implicit-def: $vgpr0
	s_branch .LBB280_1080
.LBB280_1076:
	s_andn2_saveexec_b64 s[2:3], s[2:3]
	s_cbranch_execz .LBB280_1058
.LBB280_1077:
	v_cmp_ne_u16_e32 vcc, 0, v1
	s_andn2_b64 s[14:15], s[14:15], exec
	s_and_b64 s[16:17], vcc, exec
	s_or_b64 s[14:15], s[14:15], s[16:17]
	s_or_b64 exec, exec, s[2:3]
	v_mov_b32_e32 v0, 0
	s_and_saveexec_b64 s[2:3], s[14:15]
	s_cbranch_execnz .LBB280_1059
	s_branch .LBB280_1060
.LBB280_1078:
	s_mov_b64 s[0:1], -1
                                        ; implicit-def: $vgpr0
.LBB280_1079:
	s_mov_b64 s[14:15], 0
.LBB280_1080:
	s_and_b64 vcc, exec, s[14:15]
	s_cbranch_vccz .LBB280_1082
; %bb.1081:
	s_cmp_lg_u32 s20, 11
	s_mov_b64 s[2:3], -1
	s_cselect_b64 s[0:1], -1, 0
.LBB280_1082:
	s_and_b64 vcc, exec, s[0:1]
	s_mov_b64 s[14:15], s[12:13]
	s_cbranch_vccnz .LBB280_1143
; %bb.1083:
	s_andn2_b64 vcc, exec, s[2:3]
	s_cbranch_vccnz .LBB280_1085
.LBB280_1084:
	global_load_ubyte v0, v[4:5], off
	s_mov_b64 s[16:17], -1
	s_waitcnt vmcnt(0)
	v_cmp_ne_u16_e32 vcc, 0, v0
	s_nop 1
	v_cndmask_b32_e64 v0, 0, 1, vcc
.LBB280_1085:
	s_branch .LBB280_1020
.LBB280_1086:
	s_cmp_lt_i32 s20, 5
	s_cbranch_scc1 .LBB280_1091
; %bb.1087:
	s_cmp_lt_i32 s20, 8
	s_cbranch_scc1 .LBB280_1092
; %bb.1088:
	;; [unrolled: 3-line block ×3, first 2 shown]
	s_cmp_gt_i32 s20, 9
	s_cbranch_scc0 .LBB280_1094
; %bb.1090:
	global_load_dwordx2 v[0:1], v[4:5], off
	s_movk_i32 s0, 0xffe0
	s_waitcnt vmcnt(0)
	v_trunc_f64_e32 v[0:1], v[0:1]
	v_ldexp_f64 v[6:7], v[0:1], s0
	v_floor_f64_e32 v[6:7], v[6:7]
	v_fmac_f64_e32 v[0:1], 0xc1f00000, v[6:7]
	v_cvt_u32_f64_e32 v0, v[0:1]
	s_mov_b64 s[0:1], 0
	s_branch .LBB280_1095
.LBB280_1091:
                                        ; implicit-def: $vgpr0
	s_branch .LBB280_1112
.LBB280_1092:
                                        ; implicit-def: $vgpr0
	s_branch .LBB280_1101
.LBB280_1093:
	s_mov_b64 s[0:1], -1
                                        ; implicit-def: $vgpr0
	s_branch .LBB280_1098
.LBB280_1094:
	s_mov_b64 s[0:1], -1
                                        ; implicit-def: $vgpr0
.LBB280_1095:
	s_andn2_b64 vcc, exec, s[0:1]
	s_cbranch_vccnz .LBB280_1097
; %bb.1096:
	global_load_dword v0, v[4:5], off
	s_mov_b32 s0, 0x2f800000
	s_waitcnt vmcnt(0)
	v_trunc_f32_e32 v0, v0
	v_mul_f32_e64 v1, |v0|, s0
	v_floor_f32_e32 v1, v1
	s_mov_b32 s0, 0xcf800000
	v_fma_f32 v1, v1, s0, |v0|
	v_cvt_u32_f32_e32 v1, v1
	v_ashrrev_i32_e32 v0, 31, v0
	v_xor_b32_e32 v1, v1, v0
	v_sub_u32_e32 v0, v1, v0
.LBB280_1097:
	s_mov_b64 s[0:1], 0
.LBB280_1098:
	s_andn2_b64 vcc, exec, s[0:1]
	s_cbranch_vccnz .LBB280_1100
; %bb.1099:
	global_load_dword v0, v[4:5], off
	s_waitcnt vmcnt(0)
	v_cvt_f32_f16_e32 v0, v0
	v_cvt_i32_f32_e32 v0, v0
.LBB280_1100:
	s_cbranch_execnz .LBB280_1111
.LBB280_1101:
	s_cmp_lt_i32 s20, 6
	s_cbranch_scc1 .LBB280_1104
; %bb.1102:
	s_cmp_gt_i32 s20, 6
	s_cbranch_scc0 .LBB280_1105
; %bb.1103:
	global_load_dwordx2 v[0:1], v[4:5], off
	s_movk_i32 s0, 0xffe0
	s_waitcnt vmcnt(0)
	v_trunc_f64_e32 v[0:1], v[0:1]
	v_ldexp_f64 v[6:7], v[0:1], s0
	v_floor_f64_e32 v[6:7], v[6:7]
	v_fmac_f64_e32 v[0:1], 0xc1f00000, v[6:7]
	v_cvt_u32_f64_e32 v0, v[0:1]
	s_mov_b64 s[0:1], 0
	s_branch .LBB280_1106
.LBB280_1104:
	s_mov_b64 s[0:1], -1
                                        ; implicit-def: $vgpr0
	s_branch .LBB280_1109
.LBB280_1105:
	s_mov_b64 s[0:1], -1
                                        ; implicit-def: $vgpr0
.LBB280_1106:
	s_andn2_b64 vcc, exec, s[0:1]
	s_cbranch_vccnz .LBB280_1108
; %bb.1107:
	global_load_dword v0, v[4:5], off
	s_mov_b32 s0, 0x2f800000
	s_waitcnt vmcnt(0)
	v_trunc_f32_e32 v0, v0
	v_mul_f32_e64 v1, |v0|, s0
	v_floor_f32_e32 v1, v1
	s_mov_b32 s0, 0xcf800000
	v_fma_f32 v1, v1, s0, |v0|
	v_cvt_u32_f32_e32 v1, v1
	v_ashrrev_i32_e32 v0, 31, v0
	v_xor_b32_e32 v1, v1, v0
	v_sub_u32_e32 v0, v1, v0
.LBB280_1108:
	s_mov_b64 s[0:1], 0
.LBB280_1109:
	s_andn2_b64 vcc, exec, s[0:1]
	s_cbranch_vccnz .LBB280_1111
; %bb.1110:
	global_load_ushort v0, v[4:5], off
	s_waitcnt vmcnt(0)
	v_cvt_f32_f16_e32 v0, v0
	v_cvt_i32_f32_e32 v0, v0
.LBB280_1111:
	s_cbranch_execnz .LBB280_1130
.LBB280_1112:
	s_cmp_lt_i32 s20, 2
	s_cbranch_scc1 .LBB280_1116
; %bb.1113:
	s_cmp_lt_i32 s20, 3
	s_cbranch_scc1 .LBB280_1117
; %bb.1114:
	s_cmp_gt_i32 s20, 3
	s_cbranch_scc0 .LBB280_1118
; %bb.1115:
	global_load_dwordx2 v[0:1], v[4:5], off
	s_mov_b64 s[0:1], 0
	s_branch .LBB280_1119
.LBB280_1116:
                                        ; implicit-def: $vgpr0
	s_branch .LBB280_1125
.LBB280_1117:
	s_mov_b64 s[0:1], -1
                                        ; implicit-def: $vgpr0
	s_branch .LBB280_1122
.LBB280_1118:
	s_mov_b64 s[0:1], -1
                                        ; implicit-def: $vgpr0
.LBB280_1119:
	s_andn2_b64 vcc, exec, s[0:1]
	s_cbranch_vccnz .LBB280_1121
; %bb.1120:
	global_load_dword v0, v[4:5], off
.LBB280_1121:
	s_mov_b64 s[0:1], 0
.LBB280_1122:
	s_andn2_b64 vcc, exec, s[0:1]
	s_cbranch_vccnz .LBB280_1124
; %bb.1123:
	global_load_ushort v0, v[4:5], off
.LBB280_1124:
	s_cbranch_execnz .LBB280_1130
.LBB280_1125:
	s_cmp_gt_i32 s20, 0
	s_cbranch_scc0 .LBB280_1127
; %bb.1126:
	global_load_ubyte v0, v[4:5], off
	s_mov_b64 s[0:1], 0
	s_branch .LBB280_1128
.LBB280_1127:
	s_mov_b64 s[0:1], -1
                                        ; implicit-def: $vgpr0
.LBB280_1128:
	s_andn2_b64 vcc, exec, s[0:1]
	s_cbranch_vccnz .LBB280_1130
; %bb.1129:
	global_load_ubyte v0, v[4:5], off
.LBB280_1130:
.LBB280_1131:
	s_lshl_b32 s9, s9, 7
	v_add_u32_e32 v4, s9, v2
	v_ashrrev_i32_e32 v5, 31, v4
	s_cmp_lt_i32 s20, 11
	v_lshl_add_u64 v[6:7], s[6:7], 0, v[4:5]
	s_cbranch_scc1 .LBB280_1138
; %bb.1132:
	s_cmp_gt_i32 s20, 25
	s_mov_b64 s[2:3], 0
	s_cbranch_scc0 .LBB280_1140
; %bb.1133:
	s_cmp_gt_i32 s20, 28
	s_cbranch_scc0 .LBB280_1141
; %bb.1134:
	s_cmp_gt_i32 s20, 43
	;; [unrolled: 3-line block ×3, first 2 shown]
	s_cbranch_scc0 .LBB280_1144
; %bb.1136:
	s_cmp_eq_u32 s20, 46
	s_mov_b64 s[18:19], 0
	s_cbranch_scc0 .LBB280_1147
; %bb.1137:
	global_load_dword v1, v[6:7], off
	s_mov_b32 s0, 0x2f800000
	s_mov_b32 s1, 0xcf800000
	s_mov_b64 s[16:17], -1
	s_waitcnt vmcnt(0)
	v_lshlrev_b32_e32 v1, 16, v1
	v_trunc_f32_e32 v1, v1
	v_mul_f32_e64 v2, |v1|, s0
	v_floor_f32_e32 v2, v2
	v_fma_f32 v2, v2, s1, |v1|
	v_cvt_u32_f32_e32 v2, v2
	v_ashrrev_i32_e32 v1, 31, v1
	s_mov_b64 s[0:1], 0
	v_xor_b32_e32 v2, v2, v1
	v_sub_u32_e32 v2, v2, v1
	s_branch .LBB280_1148
.LBB280_1138:
	s_mov_b64 s[16:17], 0
                                        ; implicit-def: $vgpr2
	s_cbranch_execnz .LBB280_1209
.LBB280_1139:
	s_andn2_b64 vcc, exec, s[16:17]
	s_cbranch_vccnz .LBB280_1940
	s_branch .LBB280_1256
.LBB280_1140:
	s_mov_b64 s[16:17], 0
	s_mov_b64 s[0:1], 0
                                        ; implicit-def: $vgpr2
	s_cbranch_execnz .LBB280_1175
	s_branch .LBB280_1205
.LBB280_1141:
	s_mov_b64 s[18:19], -1
	s_mov_b64 s[16:17], 0
	s_mov_b64 s[0:1], 0
                                        ; implicit-def: $vgpr2
	s_branch .LBB280_1158
.LBB280_1142:
	s_mov_b64 s[18:19], -1
	s_mov_b64 s[16:17], 0
	s_mov_b64 s[0:1], 0
                                        ; implicit-def: $vgpr2
	s_branch .LBB280_1153
.LBB280_1143:
	s_or_b64 s[14:15], s[12:13], exec
	s_trap 2
	s_cbranch_execz .LBB280_1084
	s_branch .LBB280_1085
.LBB280_1144:
	s_mov_b64 s[18:19], -1
	s_mov_b64 s[16:17], 0
	s_mov_b64 s[0:1], 0
                                        ; implicit-def: $vgpr2
	s_branch .LBB280_1148
.LBB280_1145:
	s_andn2_saveexec_b64 s[24:25], s[24:25]
	s_cbranch_execz .LBB280_932
.LBB280_1146:
	v_add_f32_e32 v1, 0x42800000, v4
	v_and_b32_e32 v1, 0xff, v1
	v_cmp_ne_u32_e32 vcc, 0, v1
	s_andn2_b64 s[22:23], s[22:23], exec
	s_and_b64 s[28:29], vcc, exec
	s_or_b64 s[22:23], s[22:23], s[28:29]
	s_or_b64 exec, exec, s[24:25]
	v_mov_b32_e32 v5, 0
	s_and_saveexec_b64 s[24:25], s[22:23]
	s_cbranch_execnz .LBB280_933
	s_branch .LBB280_934
.LBB280_1147:
	s_mov_b64 s[0:1], -1
                                        ; implicit-def: $vgpr2
	s_mov_b64 s[16:17], 0
.LBB280_1148:
	s_and_b64 vcc, exec, s[18:19]
	s_cbranch_vccz .LBB280_1152
; %bb.1149:
	s_cmp_eq_u32 s20, 44
	s_cbranch_scc0 .LBB280_1151
; %bb.1150:
	global_load_ubyte v1, v[6:7], off
	s_mov_b32 s0, 0x2f800000
	s_mov_b32 s1, 0xcf800000
	s_mov_b64 s[16:17], -1
	s_waitcnt vmcnt(0)
	v_lshlrev_b32_e32 v2, 23, v1
	v_trunc_f32_e32 v2, v2
	v_mul_f32_e64 v3, |v2|, s0
	v_floor_f32_e32 v3, v3
	v_fma_f32 v3, v3, s1, |v2|
	v_cvt_u32_f32_e32 v3, v3
	v_ashrrev_i32_e32 v2, 31, v2
	v_cmp_ne_u32_e32 vcc, 0, v1
	s_mov_b64 s[0:1], 0
	v_xor_b32_e32 v3, v3, v2
	v_sub_u32_e32 v2, v3, v2
	v_cndmask_b32_e32 v2, 0, v2, vcc
	s_branch .LBB280_1152
.LBB280_1151:
	s_mov_b64 s[0:1], -1
                                        ; implicit-def: $vgpr2
.LBB280_1152:
	s_mov_b64 s[18:19], 0
.LBB280_1153:
	s_and_b64 vcc, exec, s[18:19]
	s_cbranch_vccz .LBB280_1157
; %bb.1154:
	s_cmp_eq_u32 s20, 29
	s_cbranch_scc0 .LBB280_1156
; %bb.1155:
	global_load_dwordx2 v[2:3], v[6:7], off
	s_mov_b64 s[0:1], 0
	s_mov_b64 s[16:17], -1
	s_branch .LBB280_1157
.LBB280_1156:
	s_mov_b64 s[0:1], -1
                                        ; implicit-def: $vgpr2
.LBB280_1157:
	s_mov_b64 s[18:19], 0
.LBB280_1158:
	s_and_b64 vcc, exec, s[18:19]
	s_cbranch_vccz .LBB280_1174
; %bb.1159:
	s_cmp_lt_i32 s20, 27
	s_cbranch_scc1 .LBB280_1162
; %bb.1160:
	s_cmp_gt_i32 s20, 27
	s_cbranch_scc0 .LBB280_1163
; %bb.1161:
	global_load_dword v2, v[6:7], off
	s_mov_b64 s[16:17], 0
	s_branch .LBB280_1164
.LBB280_1162:
	s_mov_b64 s[16:17], -1
                                        ; implicit-def: $vgpr2
	s_branch .LBB280_1167
.LBB280_1163:
	s_mov_b64 s[16:17], -1
                                        ; implicit-def: $vgpr2
.LBB280_1164:
	s_andn2_b64 vcc, exec, s[16:17]
	s_cbranch_vccnz .LBB280_1166
; %bb.1165:
	global_load_ushort v2, v[6:7], off
.LBB280_1166:
	s_mov_b64 s[16:17], 0
.LBB280_1167:
	s_andn2_b64 vcc, exec, s[16:17]
	s_cbranch_vccnz .LBB280_1173
; %bb.1168:
	global_load_ubyte v1, v[6:7], off
	s_movk_i32 s16, 0x7f
	s_mov_b64 s[18:19], 0
	s_waitcnt vmcnt(0)
	v_cmp_lt_i16_e32 vcc, s16, v1
	s_and_saveexec_b64 s[16:17], vcc
	s_xor_b64 s[16:17], exec, s[16:17]
	s_cbranch_execz .LBB280_1184
; %bb.1169:
	s_movk_i32 s18, 0x80
	v_cmp_ne_u16_e32 vcc, s18, v1
	s_and_b64 s[18:19], vcc, exec
	s_andn2_saveexec_b64 s[16:17], s[16:17]
	s_cbranch_execnz .LBB280_1185
.LBB280_1170:
	s_or_b64 exec, exec, s[16:17]
	v_mov_b32_e32 v2, 0
	s_and_saveexec_b64 s[16:17], s[18:19]
	s_cbranch_execz .LBB280_1172
.LBB280_1171:
	v_lshlrev_b32_e32 v2, 24, v1
	v_and_b32_e32 v1, 0xffff, v1
	v_and_b32_e32 v3, 7, v1
	v_ffbh_u32_e32 v8, v3
	v_min_u32_e32 v8, 32, v8
	v_subrev_u32_e32 v9, 28, v8
	v_bfe_u32 v5, v1, 3, 4
	v_lshlrev_b32_e32 v1, v9, v1
	v_sub_u32_e32 v8, 29, v8
	v_and_b32_e32 v1, 7, v1
	v_cmp_eq_u32_e32 vcc, 0, v5
	v_and_b32_e32 v2, 0x80000000, v2
	s_mov_b32 s18, 0x2f800000
	v_cndmask_b32_e32 v5, v5, v8, vcc
	v_cndmask_b32_e32 v1, v3, v1, vcc
	v_mov_b32_e32 v3, 0x3b800000
	v_lshlrev_b32_e32 v1, 20, v1
	v_lshl_add_u32 v3, v5, 23, v3
	v_or3_b32 v1, v2, v3, v1
	v_trunc_f32_e32 v1, v1
	v_mul_f32_e64 v2, |v1|, s18
	v_floor_f32_e32 v2, v2
	s_mov_b32 s18, 0xcf800000
	v_fma_f32 v2, v2, s18, |v1|
	v_cvt_u32_f32_e32 v2, v2
	v_ashrrev_i32_e32 v1, 31, v1
	v_xor_b32_e32 v2, v2, v1
	v_sub_u32_e32 v2, v2, v1
.LBB280_1172:
	s_or_b64 exec, exec, s[16:17]
.LBB280_1173:
	s_mov_b64 s[16:17], -1
.LBB280_1174:
	s_branch .LBB280_1205
.LBB280_1175:
	s_cmp_gt_i32 s20, 22
	s_cbranch_scc0 .LBB280_1183
; %bb.1176:
	s_cmp_lt_i32 s20, 24
	s_cbranch_scc1 .LBB280_1186
; %bb.1177:
	s_cmp_gt_i32 s20, 24
	s_cbranch_scc0 .LBB280_1187
; %bb.1178:
	global_load_ubyte v1, v[6:7], off
	s_movk_i32 s2, 0x7f
	s_mov_b64 s[16:17], 0
	s_waitcnt vmcnt(0)
	v_cmp_lt_i16_e32 vcc, s2, v1
	s_and_saveexec_b64 s[2:3], vcc
	s_xor_b64 s[2:3], exec, s[2:3]
	s_cbranch_execz .LBB280_1199
; %bb.1179:
	s_movk_i32 s16, 0x80
	v_cmp_ne_u16_e32 vcc, s16, v1
	s_and_b64 s[16:17], vcc, exec
	s_andn2_saveexec_b64 s[2:3], s[2:3]
	s_cbranch_execnz .LBB280_1200
.LBB280_1180:
	s_or_b64 exec, exec, s[2:3]
	v_mov_b32_e32 v2, 0
	s_and_saveexec_b64 s[2:3], s[16:17]
	s_cbranch_execz .LBB280_1182
.LBB280_1181:
	v_lshlrev_b32_e32 v2, 24, v1
	v_and_b32_e32 v1, 0xffff, v1
	v_and_b32_e32 v3, 3, v1
	v_ffbh_u32_e32 v8, v3
	v_min_u32_e32 v8, 32, v8
	v_subrev_u32_e32 v9, 29, v8
	v_bfe_u32 v5, v1, 2, 5
	v_lshlrev_b32_e32 v1, v9, v1
	v_sub_u32_e32 v8, 30, v8
	v_and_b32_e32 v1, 3, v1
	v_cmp_eq_u32_e32 vcc, 0, v5
	v_and_b32_e32 v2, 0x80000000, v2
	s_mov_b32 s16, 0x2f800000
	v_cndmask_b32_e32 v5, v5, v8, vcc
	v_cndmask_b32_e32 v1, v3, v1, vcc
	v_mov_b32_e32 v3, 0x37800000
	v_lshlrev_b32_e32 v1, 21, v1
	v_lshl_add_u32 v3, v5, 23, v3
	v_or3_b32 v1, v2, v3, v1
	v_trunc_f32_e32 v1, v1
	v_mul_f32_e64 v2, |v1|, s16
	v_floor_f32_e32 v2, v2
	s_mov_b32 s16, 0xcf800000
	v_fma_f32 v2, v2, s16, |v1|
	v_cvt_u32_f32_e32 v2, v2
	v_ashrrev_i32_e32 v1, 31, v1
	v_xor_b32_e32 v2, v2, v1
	v_sub_u32_e32 v2, v2, v1
.LBB280_1182:
	s_or_b64 exec, exec, s[2:3]
	s_mov_b64 s[2:3], 0
	s_branch .LBB280_1188
.LBB280_1183:
	s_mov_b64 s[2:3], -1
                                        ; implicit-def: $vgpr2
	s_branch .LBB280_1194
.LBB280_1184:
	s_andn2_saveexec_b64 s[16:17], s[16:17]
	s_cbranch_execz .LBB280_1170
.LBB280_1185:
	v_cmp_ne_u16_e32 vcc, 0, v1
	s_andn2_b64 s[18:19], s[18:19], exec
	s_and_b64 s[22:23], vcc, exec
	s_or_b64 s[18:19], s[18:19], s[22:23]
	s_or_b64 exec, exec, s[16:17]
	v_mov_b32_e32 v2, 0
	s_and_saveexec_b64 s[16:17], s[18:19]
	s_cbranch_execnz .LBB280_1171
	s_branch .LBB280_1172
.LBB280_1186:
	s_mov_b64 s[2:3], -1
                                        ; implicit-def: $vgpr2
	s_branch .LBB280_1191
.LBB280_1187:
	s_mov_b64 s[2:3], -1
                                        ; implicit-def: $vgpr2
.LBB280_1188:
	s_and_b64 vcc, exec, s[2:3]
	s_cbranch_vccz .LBB280_1190
; %bb.1189:
	global_load_ubyte v1, v[6:7], off
	s_mov_b32 s2, 0x7f800000
	s_brev_b32 s3, 1
	s_mov_b32 s16, 0x2f800000
	s_waitcnt vmcnt(0)
	v_lshlrev_b32_e32 v1, 24, v1
	v_and_b32_e32 v2, 0x7f000000, v1
	v_ffbh_u32_e32 v3, v2
	v_min_u32_e32 v3, 32, v3
	v_sub_u32_e64 v3, v3, 4 clamp
	v_lshlrev_b32_e32 v8, v3, v2
	v_lshlrev_b32_e32 v3, 23, v3
	v_lshrrev_b32_e32 v8, 4, v8
	v_add_u32_e32 v5, 0x1000000, v2
	v_sub_u32_e32 v3, v8, v3
	v_ashrrev_i32_e32 v5, 8, v5
	v_add_u32_e32 v3, 0x3c000000, v3
	v_and_or_b32 v3, v5, s2, v3
	v_cmp_ne_u32_e32 vcc, 0, v2
	s_mov_b32 s2, 0xcf800000
	s_nop 0
	v_cndmask_b32_e32 v2, 0, v3, vcc
	v_and_or_b32 v1, v1, s3, v2
	v_trunc_f32_e32 v1, v1
	v_mul_f32_e64 v2, |v1|, s16
	v_floor_f32_e32 v2, v2
	v_fma_f32 v2, v2, s2, |v1|
	v_cvt_u32_f32_e32 v2, v2
	v_ashrrev_i32_e32 v1, 31, v1
	v_xor_b32_e32 v2, v2, v1
	v_sub_u32_e32 v2, v2, v1
.LBB280_1190:
	s_mov_b64 s[2:3], 0
.LBB280_1191:
	s_andn2_b64 vcc, exec, s[2:3]
	s_cbranch_vccnz .LBB280_1193
; %bb.1192:
	global_load_ubyte v1, v[6:7], off
	s_movk_i32 s2, 0x7f00
	s_brev_b32 s3, 16
	s_brev_b32 s16, 1
	s_mov_b32 s17, 0x2f800000
	s_waitcnt vmcnt(0)
	v_lshlrev_b16_e32 v2, 8, v1
	v_lshlrev_b32_e32 v1, 25, v1
	v_lshrrev_b32_e32 v3, 4, v1
	v_and_or_b32 v5, v2, s2, 0.5
	v_or_b32_e32 v3, 0x70000000, v3
	v_add_f32_e32 v5, -0.5, v5
	v_mul_f32_e32 v3, 0x7800000, v3
	v_cmp_gt_u32_e32 vcc, s3, v1
	v_bfe_i32 v2, v2, 0, 16
	s_mov_b32 s2, 0xcf800000
	v_cndmask_b32_e32 v1, v3, v5, vcc
	v_and_or_b32 v1, v2, s16, v1
	v_trunc_f32_e32 v1, v1
	v_mul_f32_e64 v2, |v1|, s17
	v_floor_f32_e32 v2, v2
	v_fma_f32 v2, v2, s2, |v1|
	v_cvt_u32_f32_e32 v2, v2
	v_ashrrev_i32_e32 v1, 31, v1
	v_xor_b32_e32 v2, v2, v1
	v_sub_u32_e32 v2, v2, v1
.LBB280_1193:
	s_mov_b64 s[2:3], 0
	s_mov_b64 s[16:17], -1
.LBB280_1194:
	s_andn2_b64 vcc, exec, s[2:3]
	s_mov_b64 s[2:3], 0
	s_cbranch_vccnz .LBB280_1205
; %bb.1195:
	s_cmp_gt_i32 s20, 14
	s_cbranch_scc0 .LBB280_1198
; %bb.1196:
	s_cmp_eq_u32 s20, 15
	s_cbranch_scc0 .LBB280_1201
; %bb.1197:
	global_load_ushort v1, v[6:7], off
	s_mov_b32 s0, 0x2f800000
	s_mov_b32 s1, 0xcf800000
	s_mov_b64 s[16:17], -1
	s_waitcnt vmcnt(0)
	v_lshlrev_b32_e32 v1, 16, v1
	v_trunc_f32_e32 v1, v1
	v_mul_f32_e64 v2, |v1|, s0
	v_floor_f32_e32 v2, v2
	v_fma_f32 v2, v2, s1, |v1|
	v_cvt_u32_f32_e32 v2, v2
	v_ashrrev_i32_e32 v1, 31, v1
	s_mov_b64 s[0:1], 0
	v_xor_b32_e32 v2, v2, v1
	v_sub_u32_e32 v2, v2, v1
	s_branch .LBB280_1202
.LBB280_1198:
	s_mov_b64 s[18:19], -1
                                        ; implicit-def: $vgpr2
	s_branch .LBB280_1203
.LBB280_1199:
	s_andn2_saveexec_b64 s[2:3], s[2:3]
	s_cbranch_execz .LBB280_1180
.LBB280_1200:
	v_cmp_ne_u16_e32 vcc, 0, v1
	s_andn2_b64 s[16:17], s[16:17], exec
	s_and_b64 s[18:19], vcc, exec
	s_or_b64 s[16:17], s[16:17], s[18:19]
	s_or_b64 exec, exec, s[2:3]
	v_mov_b32_e32 v2, 0
	s_and_saveexec_b64 s[2:3], s[16:17]
	s_cbranch_execnz .LBB280_1181
	s_branch .LBB280_1182
.LBB280_1201:
	s_mov_b64 s[0:1], -1
                                        ; implicit-def: $vgpr2
.LBB280_1202:
	s_mov_b64 s[18:19], 0
.LBB280_1203:
	s_and_b64 vcc, exec, s[18:19]
	s_cbranch_vccz .LBB280_1205
; %bb.1204:
	s_cmp_lg_u32 s20, 11
	s_mov_b64 s[2:3], -1
	s_cselect_b64 s[0:1], -1, 0
.LBB280_1205:
	s_and_b64 vcc, exec, s[0:1]
	s_cbranch_vccnz .LBB280_1268
; %bb.1206:
	s_andn2_b64 vcc, exec, s[2:3]
	s_cbranch_vccnz .LBB280_1208
.LBB280_1207:
	global_load_ubyte v1, v[6:7], off
	s_mov_b64 s[16:17], -1
	s_waitcnt vmcnt(0)
	v_cmp_ne_u16_e32 vcc, 0, v1
	s_nop 1
	v_cndmask_b32_e64 v2, 0, 1, vcc
.LBB280_1208:
	s_branch .LBB280_1139
.LBB280_1209:
	s_cmp_lt_i32 s20, 5
	s_cbranch_scc1 .LBB280_1214
; %bb.1210:
	s_cmp_lt_i32 s20, 8
	s_cbranch_scc1 .LBB280_1215
; %bb.1211:
	;; [unrolled: 3-line block ×3, first 2 shown]
	s_cmp_gt_i32 s20, 9
	s_cbranch_scc0 .LBB280_1217
; %bb.1213:
	global_load_dwordx2 v[2:3], v[6:7], off
	s_movk_i32 s0, 0xffe0
	s_waitcnt vmcnt(0)
	v_trunc_f64_e32 v[2:3], v[2:3]
	v_ldexp_f64 v[8:9], v[2:3], s0
	v_floor_f64_e32 v[8:9], v[8:9]
	v_fmac_f64_e32 v[2:3], 0xc1f00000, v[8:9]
	v_cvt_u32_f64_e32 v2, v[2:3]
	s_mov_b64 s[0:1], 0
	s_branch .LBB280_1218
.LBB280_1214:
                                        ; implicit-def: $vgpr2
	s_branch .LBB280_1236
.LBB280_1215:
	s_mov_b64 s[0:1], -1
                                        ; implicit-def: $vgpr2
	s_branch .LBB280_1224
.LBB280_1216:
	s_mov_b64 s[0:1], -1
                                        ; implicit-def: $vgpr2
	s_branch .LBB280_1221
.LBB280_1217:
	s_mov_b64 s[0:1], -1
                                        ; implicit-def: $vgpr2
.LBB280_1218:
	s_andn2_b64 vcc, exec, s[0:1]
	s_cbranch_vccnz .LBB280_1220
; %bb.1219:
	global_load_dword v1, v[6:7], off
	s_mov_b32 s0, 0x2f800000
	s_waitcnt vmcnt(0)
	v_trunc_f32_e32 v1, v1
	v_mul_f32_e64 v2, |v1|, s0
	v_floor_f32_e32 v2, v2
	s_mov_b32 s0, 0xcf800000
	v_fma_f32 v2, v2, s0, |v1|
	v_cvt_u32_f32_e32 v2, v2
	v_ashrrev_i32_e32 v1, 31, v1
	v_xor_b32_e32 v2, v2, v1
	v_sub_u32_e32 v2, v2, v1
.LBB280_1220:
	s_mov_b64 s[0:1], 0
.LBB280_1221:
	s_andn2_b64 vcc, exec, s[0:1]
	s_cbranch_vccnz .LBB280_1223
; %bb.1222:
	global_load_dword v1, v[6:7], off
	s_waitcnt vmcnt(0)
	v_cvt_f32_f16_e32 v1, v1
	v_cvt_i32_f32_e32 v2, v1
.LBB280_1223:
	s_mov_b64 s[0:1], 0
.LBB280_1224:
	s_andn2_b64 vcc, exec, s[0:1]
	s_cbranch_vccnz .LBB280_1235
; %bb.1225:
	s_cmp_lt_i32 s20, 6
	s_cbranch_scc1 .LBB280_1228
; %bb.1226:
	s_cmp_gt_i32 s20, 6
	s_cbranch_scc0 .LBB280_1229
; %bb.1227:
	global_load_dwordx2 v[2:3], v[6:7], off
	s_movk_i32 s0, 0xffe0
	s_waitcnt vmcnt(0)
	v_trunc_f64_e32 v[2:3], v[2:3]
	v_ldexp_f64 v[8:9], v[2:3], s0
	v_floor_f64_e32 v[8:9], v[8:9]
	v_fmac_f64_e32 v[2:3], 0xc1f00000, v[8:9]
	v_cvt_u32_f64_e32 v2, v[2:3]
	s_mov_b64 s[0:1], 0
	s_branch .LBB280_1230
.LBB280_1228:
	s_mov_b64 s[0:1], -1
                                        ; implicit-def: $vgpr2
	s_branch .LBB280_1233
.LBB280_1229:
	s_mov_b64 s[0:1], -1
                                        ; implicit-def: $vgpr2
.LBB280_1230:
	s_andn2_b64 vcc, exec, s[0:1]
	s_cbranch_vccnz .LBB280_1232
; %bb.1231:
	global_load_dword v1, v[6:7], off
	s_mov_b32 s0, 0x2f800000
	s_waitcnt vmcnt(0)
	v_trunc_f32_e32 v1, v1
	v_mul_f32_e64 v2, |v1|, s0
	v_floor_f32_e32 v2, v2
	s_mov_b32 s0, 0xcf800000
	v_fma_f32 v2, v2, s0, |v1|
	v_cvt_u32_f32_e32 v2, v2
	v_ashrrev_i32_e32 v1, 31, v1
	v_xor_b32_e32 v2, v2, v1
	v_sub_u32_e32 v2, v2, v1
.LBB280_1232:
	s_mov_b64 s[0:1], 0
.LBB280_1233:
	s_andn2_b64 vcc, exec, s[0:1]
	s_cbranch_vccnz .LBB280_1235
; %bb.1234:
	global_load_ushort v1, v[6:7], off
	s_waitcnt vmcnt(0)
	v_cvt_f32_f16_e32 v1, v1
	v_cvt_i32_f32_e32 v2, v1
.LBB280_1235:
	s_cbranch_execnz .LBB280_1255
.LBB280_1236:
	s_cmp_lt_i32 s20, 2
	s_cbranch_scc1 .LBB280_1240
; %bb.1237:
	s_cmp_lt_i32 s20, 3
	s_cbranch_scc1 .LBB280_1241
; %bb.1238:
	s_cmp_gt_i32 s20, 3
	s_cbranch_scc0 .LBB280_1242
; %bb.1239:
	global_load_dwordx2 v[2:3], v[6:7], off
	s_mov_b64 s[0:1], 0
	s_branch .LBB280_1243
.LBB280_1240:
	s_mov_b64 s[0:1], -1
                                        ; implicit-def: $vgpr2
	s_branch .LBB280_1249
.LBB280_1241:
	s_mov_b64 s[0:1], -1
                                        ; implicit-def: $vgpr2
	s_branch .LBB280_1246
.LBB280_1242:
	s_mov_b64 s[0:1], -1
                                        ; implicit-def: $vgpr2
.LBB280_1243:
	s_andn2_b64 vcc, exec, s[0:1]
	s_cbranch_vccnz .LBB280_1245
; %bb.1244:
	global_load_dword v2, v[6:7], off
.LBB280_1245:
	s_mov_b64 s[0:1], 0
.LBB280_1246:
	s_andn2_b64 vcc, exec, s[0:1]
	s_cbranch_vccnz .LBB280_1248
; %bb.1247:
	global_load_ushort v2, v[6:7], off
.LBB280_1248:
	s_mov_b64 s[0:1], 0
.LBB280_1249:
	s_andn2_b64 vcc, exec, s[0:1]
	s_cbranch_vccnz .LBB280_1255
; %bb.1250:
	s_cmp_gt_i32 s20, 0
	s_cbranch_scc0 .LBB280_1252
; %bb.1251:
	global_load_ubyte v2, v[6:7], off
	s_mov_b64 s[0:1], 0
	s_branch .LBB280_1253
.LBB280_1252:
	s_mov_b64 s[0:1], -1
                                        ; implicit-def: $vgpr2
.LBB280_1253:
	s_andn2_b64 vcc, exec, s[0:1]
	s_cbranch_vccnz .LBB280_1255
; %bb.1254:
	global_load_ubyte v2, v[6:7], off
.LBB280_1255:
.LBB280_1256:
	v_add_u32_e32 v6, s9, v4
	v_ashrrev_i32_e32 v7, 31, v6
	s_cmp_lt_i32 s20, 11
	v_lshl_add_u64 v[8:9], s[6:7], 0, v[6:7]
	s_cbranch_scc1 .LBB280_1263
; %bb.1257:
	s_cmp_gt_i32 s20, 25
	s_mov_b64 s[2:3], 0
	s_cbranch_scc0 .LBB280_1265
; %bb.1258:
	s_cmp_gt_i32 s20, 28
	s_cbranch_scc0 .LBB280_1266
; %bb.1259:
	s_cmp_gt_i32 s20, 43
	;; [unrolled: 3-line block ×3, first 2 shown]
	s_cbranch_scc0 .LBB280_1269
; %bb.1261:
	s_cmp_eq_u32 s20, 46
	s_mov_b64 s[18:19], 0
	s_cbranch_scc0 .LBB280_1270
; %bb.1262:
	global_load_dword v1, v[8:9], off
	s_mov_b32 s0, 0x2f800000
	s_mov_b32 s1, 0xcf800000
	s_mov_b64 s[16:17], -1
	s_waitcnt vmcnt(0)
	v_lshlrev_b32_e32 v1, 16, v1
	v_trunc_f32_e32 v1, v1
	v_mul_f32_e64 v3, |v1|, s0
	v_floor_f32_e32 v3, v3
	v_fma_f32 v3, v3, s1, |v1|
	v_cvt_u32_f32_e32 v3, v3
	v_ashrrev_i32_e32 v1, 31, v1
	s_mov_b64 s[0:1], 0
	v_xor_b32_e32 v3, v3, v1
	v_sub_u32_e32 v4, v3, v1
	s_branch .LBB280_1271
.LBB280_1263:
	s_mov_b64 s[16:17], 0
                                        ; implicit-def: $vgpr4
	s_cbranch_execnz .LBB280_1333
.LBB280_1264:
	s_andn2_b64 vcc, exec, s[16:17]
	s_cbranch_vccnz .LBB280_1940
	s_branch .LBB280_1381
.LBB280_1265:
	s_mov_b64 s[18:19], -1
	s_mov_b64 s[16:17], 0
	s_mov_b64 s[0:1], 0
                                        ; implicit-def: $vgpr4
	s_branch .LBB280_1298
.LBB280_1266:
	s_mov_b64 s[18:19], -1
	s_mov_b64 s[16:17], 0
	s_mov_b64 s[0:1], 0
                                        ; implicit-def: $vgpr4
	s_branch .LBB280_1281
.LBB280_1267:
	s_mov_b64 s[18:19], -1
	s_mov_b64 s[16:17], 0
	s_mov_b64 s[0:1], 0
                                        ; implicit-def: $vgpr4
	s_branch .LBB280_1276
.LBB280_1268:
	s_trap 2
	s_or_b64 s[14:15], s[14:15], exec
	s_cbranch_execz .LBB280_1207
	s_branch .LBB280_1208
.LBB280_1269:
	s_mov_b64 s[18:19], -1
	s_mov_b64 s[16:17], 0
	s_mov_b64 s[0:1], 0
                                        ; implicit-def: $vgpr4
	s_branch .LBB280_1271
.LBB280_1270:
	s_mov_b64 s[0:1], -1
                                        ; implicit-def: $vgpr4
	s_mov_b64 s[16:17], 0
.LBB280_1271:
	s_and_b64 vcc, exec, s[18:19]
	s_cbranch_vccz .LBB280_1275
; %bb.1272:
	s_cmp_eq_u32 s20, 44
	s_cbranch_scc0 .LBB280_1274
; %bb.1273:
	global_load_ubyte v1, v[8:9], off
	s_mov_b32 s0, 0x2f800000
	s_mov_b32 s1, 0xcf800000
	s_mov_b64 s[16:17], -1
	s_waitcnt vmcnt(0)
	v_lshlrev_b32_e32 v3, 23, v1
	v_trunc_f32_e32 v3, v3
	v_mul_f32_e64 v4, |v3|, s0
	v_floor_f32_e32 v4, v4
	v_fma_f32 v4, v4, s1, |v3|
	v_cvt_u32_f32_e32 v4, v4
	v_ashrrev_i32_e32 v3, 31, v3
	v_cmp_ne_u32_e32 vcc, 0, v1
	s_mov_b64 s[0:1], 0
	v_xor_b32_e32 v4, v4, v3
	v_sub_u32_e32 v3, v4, v3
	v_cndmask_b32_e32 v4, 0, v3, vcc
	s_branch .LBB280_1275
.LBB280_1274:
	s_mov_b64 s[0:1], -1
                                        ; implicit-def: $vgpr4
.LBB280_1275:
	s_mov_b64 s[18:19], 0
.LBB280_1276:
	s_and_b64 vcc, exec, s[18:19]
	s_cbranch_vccz .LBB280_1280
; %bb.1277:
	s_cmp_eq_u32 s20, 29
	s_cbranch_scc0 .LBB280_1279
; %bb.1278:
	global_load_dwordx2 v[4:5], v[8:9], off
	s_mov_b64 s[0:1], 0
	s_mov_b64 s[16:17], -1
	s_branch .LBB280_1280
.LBB280_1279:
	s_mov_b64 s[0:1], -1
                                        ; implicit-def: $vgpr4
.LBB280_1280:
	s_mov_b64 s[18:19], 0
.LBB280_1281:
	s_and_b64 vcc, exec, s[18:19]
	s_cbranch_vccz .LBB280_1297
; %bb.1282:
	s_cmp_lt_i32 s20, 27
	s_cbranch_scc1 .LBB280_1285
; %bb.1283:
	s_cmp_gt_i32 s20, 27
	s_cbranch_scc0 .LBB280_1286
; %bb.1284:
	global_load_dword v4, v[8:9], off
	s_mov_b64 s[16:17], 0
	s_branch .LBB280_1287
.LBB280_1285:
	s_mov_b64 s[16:17], -1
                                        ; implicit-def: $vgpr4
	s_branch .LBB280_1290
.LBB280_1286:
	s_mov_b64 s[16:17], -1
                                        ; implicit-def: $vgpr4
.LBB280_1287:
	s_andn2_b64 vcc, exec, s[16:17]
	s_cbranch_vccnz .LBB280_1289
; %bb.1288:
	global_load_ushort v4, v[8:9], off
.LBB280_1289:
	s_mov_b64 s[16:17], 0
.LBB280_1290:
	s_andn2_b64 vcc, exec, s[16:17]
	s_cbranch_vccnz .LBB280_1296
; %bb.1291:
	global_load_ubyte v1, v[8:9], off
	s_movk_i32 s16, 0x7f
	s_mov_b64 s[18:19], 0
	s_waitcnt vmcnt(0)
	v_cmp_lt_i16_e32 vcc, s16, v1
	s_and_saveexec_b64 s[16:17], vcc
	s_xor_b64 s[16:17], exec, s[16:17]
	s_cbranch_execz .LBB280_1308
; %bb.1292:
	s_movk_i32 s18, 0x80
	v_cmp_ne_u16_e32 vcc, s18, v1
	s_and_b64 s[18:19], vcc, exec
	s_andn2_saveexec_b64 s[16:17], s[16:17]
	s_cbranch_execnz .LBB280_1309
.LBB280_1293:
	s_or_b64 exec, exec, s[16:17]
	v_mov_b32_e32 v4, 0
	s_and_saveexec_b64 s[16:17], s[18:19]
	s_cbranch_execz .LBB280_1295
.LBB280_1294:
	v_lshlrev_b32_e32 v3, 24, v1
	v_and_b32_e32 v1, 0xffff, v1
	v_and_b32_e32 v4, 7, v1
	v_ffbh_u32_e32 v7, v4
	v_min_u32_e32 v7, 32, v7
	v_subrev_u32_e32 v11, 28, v7
	v_bfe_u32 v5, v1, 3, 4
	v_lshlrev_b32_e32 v1, v11, v1
	v_sub_u32_e32 v7, 29, v7
	v_and_b32_e32 v1, 7, v1
	v_cmp_eq_u32_e32 vcc, 0, v5
	v_and_b32_e32 v3, 0x80000000, v3
	s_mov_b32 s18, 0x2f800000
	v_cndmask_b32_e32 v5, v5, v7, vcc
	v_cndmask_b32_e32 v1, v4, v1, vcc
	v_mov_b32_e32 v4, 0x3b800000
	v_lshlrev_b32_e32 v1, 20, v1
	v_lshl_add_u32 v4, v5, 23, v4
	v_or3_b32 v1, v3, v4, v1
	v_trunc_f32_e32 v1, v1
	v_mul_f32_e64 v3, |v1|, s18
	v_floor_f32_e32 v3, v3
	s_mov_b32 s18, 0xcf800000
	v_fma_f32 v3, v3, s18, |v1|
	v_cvt_u32_f32_e32 v3, v3
	v_ashrrev_i32_e32 v1, 31, v1
	v_xor_b32_e32 v3, v3, v1
	v_sub_u32_e32 v4, v3, v1
.LBB280_1295:
	s_or_b64 exec, exec, s[16:17]
.LBB280_1296:
	s_mov_b64 s[16:17], -1
.LBB280_1297:
	s_mov_b64 s[18:19], 0
.LBB280_1298:
	s_and_b64 vcc, exec, s[18:19]
	s_cbranch_vccz .LBB280_1329
; %bb.1299:
	s_cmp_gt_i32 s20, 22
	s_cbranch_scc0 .LBB280_1307
; %bb.1300:
	s_cmp_lt_i32 s20, 24
	s_cbranch_scc1 .LBB280_1310
; %bb.1301:
	s_cmp_gt_i32 s20, 24
	s_cbranch_scc0 .LBB280_1311
; %bb.1302:
	global_load_ubyte v1, v[8:9], off
	s_movk_i32 s2, 0x7f
	s_mov_b64 s[16:17], 0
	s_waitcnt vmcnt(0)
	v_cmp_lt_i16_e32 vcc, s2, v1
	s_and_saveexec_b64 s[2:3], vcc
	s_xor_b64 s[2:3], exec, s[2:3]
	s_cbranch_execz .LBB280_1323
; %bb.1303:
	s_movk_i32 s16, 0x80
	v_cmp_ne_u16_e32 vcc, s16, v1
	s_and_b64 s[16:17], vcc, exec
	s_andn2_saveexec_b64 s[2:3], s[2:3]
	s_cbranch_execnz .LBB280_1324
.LBB280_1304:
	s_or_b64 exec, exec, s[2:3]
	v_mov_b32_e32 v4, 0
	s_and_saveexec_b64 s[2:3], s[16:17]
	s_cbranch_execz .LBB280_1306
.LBB280_1305:
	v_lshlrev_b32_e32 v3, 24, v1
	v_and_b32_e32 v1, 0xffff, v1
	v_and_b32_e32 v4, 3, v1
	v_ffbh_u32_e32 v7, v4
	v_min_u32_e32 v7, 32, v7
	v_subrev_u32_e32 v11, 29, v7
	v_bfe_u32 v5, v1, 2, 5
	v_lshlrev_b32_e32 v1, v11, v1
	v_sub_u32_e32 v7, 30, v7
	v_and_b32_e32 v1, 3, v1
	v_cmp_eq_u32_e32 vcc, 0, v5
	v_and_b32_e32 v3, 0x80000000, v3
	s_mov_b32 s16, 0x2f800000
	v_cndmask_b32_e32 v5, v5, v7, vcc
	v_cndmask_b32_e32 v1, v4, v1, vcc
	v_mov_b32_e32 v4, 0x37800000
	v_lshlrev_b32_e32 v1, 21, v1
	v_lshl_add_u32 v4, v5, 23, v4
	v_or3_b32 v1, v3, v4, v1
	v_trunc_f32_e32 v1, v1
	v_mul_f32_e64 v3, |v1|, s16
	v_floor_f32_e32 v3, v3
	s_mov_b32 s16, 0xcf800000
	v_fma_f32 v3, v3, s16, |v1|
	v_cvt_u32_f32_e32 v3, v3
	v_ashrrev_i32_e32 v1, 31, v1
	v_xor_b32_e32 v3, v3, v1
	v_sub_u32_e32 v4, v3, v1
.LBB280_1306:
	s_or_b64 exec, exec, s[2:3]
	s_mov_b64 s[2:3], 0
	s_branch .LBB280_1312
.LBB280_1307:
	s_mov_b64 s[2:3], -1
                                        ; implicit-def: $vgpr4
	s_branch .LBB280_1318
.LBB280_1308:
	s_andn2_saveexec_b64 s[16:17], s[16:17]
	s_cbranch_execz .LBB280_1293
.LBB280_1309:
	v_cmp_ne_u16_e32 vcc, 0, v1
	s_andn2_b64 s[18:19], s[18:19], exec
	s_and_b64 s[22:23], vcc, exec
	s_or_b64 s[18:19], s[18:19], s[22:23]
	s_or_b64 exec, exec, s[16:17]
	v_mov_b32_e32 v4, 0
	s_and_saveexec_b64 s[16:17], s[18:19]
	s_cbranch_execnz .LBB280_1294
	s_branch .LBB280_1295
.LBB280_1310:
	s_mov_b64 s[2:3], -1
                                        ; implicit-def: $vgpr4
	s_branch .LBB280_1315
.LBB280_1311:
	s_mov_b64 s[2:3], -1
                                        ; implicit-def: $vgpr4
.LBB280_1312:
	s_and_b64 vcc, exec, s[2:3]
	s_cbranch_vccz .LBB280_1314
; %bb.1313:
	global_load_ubyte v1, v[8:9], off
	s_mov_b32 s2, 0x7f800000
	s_brev_b32 s3, 1
	s_mov_b32 s16, 0x2f800000
	s_waitcnt vmcnt(0)
	v_lshlrev_b32_e32 v1, 24, v1
	v_and_b32_e32 v3, 0x7f000000, v1
	v_ffbh_u32_e32 v4, v3
	v_min_u32_e32 v4, 32, v4
	v_sub_u32_e64 v4, v4, 4 clamp
	v_lshlrev_b32_e32 v7, v4, v3
	v_lshlrev_b32_e32 v4, 23, v4
	v_lshrrev_b32_e32 v7, 4, v7
	v_add_u32_e32 v5, 0x1000000, v3
	v_sub_u32_e32 v4, v7, v4
	v_ashrrev_i32_e32 v5, 8, v5
	v_add_u32_e32 v4, 0x3c000000, v4
	v_and_or_b32 v4, v5, s2, v4
	v_cmp_ne_u32_e32 vcc, 0, v3
	s_mov_b32 s2, 0xcf800000
	s_nop 0
	v_cndmask_b32_e32 v3, 0, v4, vcc
	v_and_or_b32 v1, v1, s3, v3
	v_trunc_f32_e32 v1, v1
	v_mul_f32_e64 v3, |v1|, s16
	v_floor_f32_e32 v3, v3
	v_fma_f32 v3, v3, s2, |v1|
	v_cvt_u32_f32_e32 v3, v3
	v_ashrrev_i32_e32 v1, 31, v1
	v_xor_b32_e32 v3, v3, v1
	v_sub_u32_e32 v4, v3, v1
.LBB280_1314:
	s_mov_b64 s[2:3], 0
.LBB280_1315:
	s_andn2_b64 vcc, exec, s[2:3]
	s_cbranch_vccnz .LBB280_1317
; %bb.1316:
	global_load_ubyte v1, v[8:9], off
	s_movk_i32 s2, 0x7f00
	s_brev_b32 s3, 16
	s_brev_b32 s16, 1
	s_mov_b32 s17, 0x2f800000
	s_waitcnt vmcnt(0)
	v_lshlrev_b16_e32 v3, 8, v1
	v_lshlrev_b32_e32 v1, 25, v1
	v_lshrrev_b32_e32 v4, 4, v1
	v_and_or_b32 v5, v3, s2, 0.5
	v_or_b32_e32 v4, 0x70000000, v4
	v_add_f32_e32 v5, -0.5, v5
	v_mul_f32_e32 v4, 0x7800000, v4
	v_cmp_gt_u32_e32 vcc, s3, v1
	v_bfe_i32 v3, v3, 0, 16
	s_mov_b32 s2, 0xcf800000
	v_cndmask_b32_e32 v1, v4, v5, vcc
	v_and_or_b32 v1, v3, s16, v1
	v_trunc_f32_e32 v1, v1
	v_mul_f32_e64 v3, |v1|, s17
	v_floor_f32_e32 v3, v3
	v_fma_f32 v3, v3, s2, |v1|
	v_cvt_u32_f32_e32 v3, v3
	v_ashrrev_i32_e32 v1, 31, v1
	v_xor_b32_e32 v3, v3, v1
	v_sub_u32_e32 v4, v3, v1
.LBB280_1317:
	s_mov_b64 s[2:3], 0
	s_mov_b64 s[16:17], -1
.LBB280_1318:
	s_andn2_b64 vcc, exec, s[2:3]
	s_mov_b64 s[2:3], 0
	s_cbranch_vccnz .LBB280_1329
; %bb.1319:
	s_cmp_gt_i32 s20, 14
	s_cbranch_scc0 .LBB280_1322
; %bb.1320:
	s_cmp_eq_u32 s20, 15
	s_cbranch_scc0 .LBB280_1325
; %bb.1321:
	global_load_ushort v1, v[8:9], off
	s_mov_b32 s0, 0x2f800000
	s_mov_b32 s1, 0xcf800000
	s_mov_b64 s[16:17], -1
	s_waitcnt vmcnt(0)
	v_lshlrev_b32_e32 v1, 16, v1
	v_trunc_f32_e32 v1, v1
	v_mul_f32_e64 v3, |v1|, s0
	v_floor_f32_e32 v3, v3
	v_fma_f32 v3, v3, s1, |v1|
	v_cvt_u32_f32_e32 v3, v3
	v_ashrrev_i32_e32 v1, 31, v1
	s_mov_b64 s[0:1], 0
	v_xor_b32_e32 v3, v3, v1
	v_sub_u32_e32 v4, v3, v1
	s_branch .LBB280_1326
.LBB280_1322:
	s_mov_b64 s[18:19], -1
                                        ; implicit-def: $vgpr4
	s_branch .LBB280_1327
.LBB280_1323:
	s_andn2_saveexec_b64 s[2:3], s[2:3]
	s_cbranch_execz .LBB280_1304
.LBB280_1324:
	v_cmp_ne_u16_e32 vcc, 0, v1
	s_andn2_b64 s[16:17], s[16:17], exec
	s_and_b64 s[18:19], vcc, exec
	s_or_b64 s[16:17], s[16:17], s[18:19]
	s_or_b64 exec, exec, s[2:3]
	v_mov_b32_e32 v4, 0
	s_and_saveexec_b64 s[2:3], s[16:17]
	s_cbranch_execnz .LBB280_1305
	s_branch .LBB280_1306
.LBB280_1325:
	s_mov_b64 s[0:1], -1
                                        ; implicit-def: $vgpr4
.LBB280_1326:
	s_mov_b64 s[18:19], 0
.LBB280_1327:
	s_and_b64 vcc, exec, s[18:19]
	s_cbranch_vccz .LBB280_1329
; %bb.1328:
	s_cmp_lg_u32 s20, 11
	s_mov_b64 s[2:3], -1
	s_cselect_b64 s[0:1], -1, 0
.LBB280_1329:
	s_and_b64 vcc, exec, s[0:1]
	s_cbranch_vccnz .LBB280_1392
; %bb.1330:
	s_andn2_b64 vcc, exec, s[2:3]
	s_cbranch_vccnz .LBB280_1332
.LBB280_1331:
	global_load_ubyte v1, v[8:9], off
	s_mov_b64 s[16:17], -1
	s_waitcnt vmcnt(0)
	v_cmp_ne_u16_e32 vcc, 0, v1
	s_nop 1
	v_cndmask_b32_e64 v4, 0, 1, vcc
.LBB280_1332:
	s_branch .LBB280_1264
.LBB280_1333:
	s_cmp_lt_i32 s20, 5
	s_cbranch_scc1 .LBB280_1338
; %bb.1334:
	s_cmp_lt_i32 s20, 8
	s_cbranch_scc1 .LBB280_1339
; %bb.1335:
	;; [unrolled: 3-line block ×3, first 2 shown]
	s_cmp_gt_i32 s20, 9
	s_cbranch_scc0 .LBB280_1341
; %bb.1337:
	global_load_dwordx2 v[4:5], v[8:9], off
	s_movk_i32 s0, 0xffe0
	s_waitcnt vmcnt(0)
	v_trunc_f64_e32 v[4:5], v[4:5]
	v_ldexp_f64 v[12:13], v[4:5], s0
	v_floor_f64_e32 v[12:13], v[12:13]
	v_fmac_f64_e32 v[4:5], 0xc1f00000, v[12:13]
	v_cvt_u32_f64_e32 v4, v[4:5]
	s_mov_b64 s[0:1], 0
	s_branch .LBB280_1342
.LBB280_1338:
	s_mov_b64 s[0:1], -1
                                        ; implicit-def: $vgpr4
	s_branch .LBB280_1360
.LBB280_1339:
	s_mov_b64 s[0:1], -1
                                        ; implicit-def: $vgpr4
	s_branch .LBB280_1348
.LBB280_1340:
	s_mov_b64 s[0:1], -1
                                        ; implicit-def: $vgpr4
	s_branch .LBB280_1345
.LBB280_1341:
	s_mov_b64 s[0:1], -1
                                        ; implicit-def: $vgpr4
.LBB280_1342:
	s_andn2_b64 vcc, exec, s[0:1]
	s_cbranch_vccnz .LBB280_1344
; %bb.1343:
	global_load_dword v1, v[8:9], off
	s_mov_b32 s0, 0x2f800000
	s_waitcnt vmcnt(0)
	v_trunc_f32_e32 v1, v1
	v_mul_f32_e64 v3, |v1|, s0
	v_floor_f32_e32 v3, v3
	s_mov_b32 s0, 0xcf800000
	v_fma_f32 v3, v3, s0, |v1|
	v_cvt_u32_f32_e32 v3, v3
	v_ashrrev_i32_e32 v1, 31, v1
	v_xor_b32_e32 v3, v3, v1
	v_sub_u32_e32 v4, v3, v1
.LBB280_1344:
	s_mov_b64 s[0:1], 0
.LBB280_1345:
	s_andn2_b64 vcc, exec, s[0:1]
	s_cbranch_vccnz .LBB280_1347
; %bb.1346:
	global_load_dword v1, v[8:9], off
	s_waitcnt vmcnt(0)
	v_cvt_f32_f16_e32 v1, v1
	v_cvt_i32_f32_e32 v4, v1
.LBB280_1347:
	s_mov_b64 s[0:1], 0
.LBB280_1348:
	s_andn2_b64 vcc, exec, s[0:1]
	s_cbranch_vccnz .LBB280_1359
; %bb.1349:
	s_cmp_lt_i32 s20, 6
	s_cbranch_scc1 .LBB280_1352
; %bb.1350:
	s_cmp_gt_i32 s20, 6
	s_cbranch_scc0 .LBB280_1353
; %bb.1351:
	global_load_dwordx2 v[4:5], v[8:9], off
	s_movk_i32 s0, 0xffe0
	s_waitcnt vmcnt(0)
	v_trunc_f64_e32 v[4:5], v[4:5]
	v_ldexp_f64 v[12:13], v[4:5], s0
	v_floor_f64_e32 v[12:13], v[12:13]
	v_fmac_f64_e32 v[4:5], 0xc1f00000, v[12:13]
	v_cvt_u32_f64_e32 v4, v[4:5]
	s_mov_b64 s[0:1], 0
	s_branch .LBB280_1354
.LBB280_1352:
	s_mov_b64 s[0:1], -1
                                        ; implicit-def: $vgpr4
	s_branch .LBB280_1357
.LBB280_1353:
	s_mov_b64 s[0:1], -1
                                        ; implicit-def: $vgpr4
.LBB280_1354:
	s_andn2_b64 vcc, exec, s[0:1]
	s_cbranch_vccnz .LBB280_1356
; %bb.1355:
	global_load_dword v1, v[8:9], off
	s_mov_b32 s0, 0x2f800000
	s_waitcnt vmcnt(0)
	v_trunc_f32_e32 v1, v1
	v_mul_f32_e64 v3, |v1|, s0
	v_floor_f32_e32 v3, v3
	s_mov_b32 s0, 0xcf800000
	v_fma_f32 v3, v3, s0, |v1|
	v_cvt_u32_f32_e32 v3, v3
	v_ashrrev_i32_e32 v1, 31, v1
	v_xor_b32_e32 v3, v3, v1
	v_sub_u32_e32 v4, v3, v1
.LBB280_1356:
	s_mov_b64 s[0:1], 0
.LBB280_1357:
	s_andn2_b64 vcc, exec, s[0:1]
	s_cbranch_vccnz .LBB280_1359
; %bb.1358:
	global_load_ushort v1, v[8:9], off
	s_waitcnt vmcnt(0)
	v_cvt_f32_f16_e32 v1, v1
	v_cvt_i32_f32_e32 v4, v1
.LBB280_1359:
	s_mov_b64 s[0:1], 0
.LBB280_1360:
	s_andn2_b64 vcc, exec, s[0:1]
	s_cbranch_vccnz .LBB280_1380
; %bb.1361:
	s_cmp_lt_i32 s20, 2
	s_cbranch_scc1 .LBB280_1365
; %bb.1362:
	s_cmp_lt_i32 s20, 3
	s_cbranch_scc1 .LBB280_1366
; %bb.1363:
	s_cmp_gt_i32 s20, 3
	s_cbranch_scc0 .LBB280_1367
; %bb.1364:
	global_load_dwordx2 v[4:5], v[8:9], off
	s_mov_b64 s[0:1], 0
	s_branch .LBB280_1368
.LBB280_1365:
	s_mov_b64 s[0:1], -1
                                        ; implicit-def: $vgpr4
	s_branch .LBB280_1374
.LBB280_1366:
	s_mov_b64 s[0:1], -1
                                        ; implicit-def: $vgpr4
	s_branch .LBB280_1371
.LBB280_1367:
	s_mov_b64 s[0:1], -1
                                        ; implicit-def: $vgpr4
.LBB280_1368:
	s_andn2_b64 vcc, exec, s[0:1]
	s_cbranch_vccnz .LBB280_1370
; %bb.1369:
	global_load_dword v4, v[8:9], off
.LBB280_1370:
	s_mov_b64 s[0:1], 0
.LBB280_1371:
	s_andn2_b64 vcc, exec, s[0:1]
	s_cbranch_vccnz .LBB280_1373
; %bb.1372:
	global_load_ushort v4, v[8:9], off
.LBB280_1373:
	s_mov_b64 s[0:1], 0
.LBB280_1374:
	s_andn2_b64 vcc, exec, s[0:1]
	s_cbranch_vccnz .LBB280_1380
; %bb.1375:
	s_cmp_gt_i32 s20, 0
	s_cbranch_scc0 .LBB280_1377
; %bb.1376:
	global_load_ubyte v4, v[8:9], off
	s_mov_b64 s[0:1], 0
	s_branch .LBB280_1378
.LBB280_1377:
	s_mov_b64 s[0:1], -1
                                        ; implicit-def: $vgpr4
.LBB280_1378:
	s_andn2_b64 vcc, exec, s[0:1]
	s_cbranch_vccnz .LBB280_1380
; %bb.1379:
	global_load_ubyte v4, v[8:9], off
.LBB280_1380:
.LBB280_1381:
	v_add_u32_e32 v6, s9, v6
	v_ashrrev_i32_e32 v7, 31, v6
	s_cmp_lt_i32 s20, 11
	v_lshl_add_u64 v[8:9], s[6:7], 0, v[6:7]
	s_cbranch_scc1 .LBB280_1388
; %bb.1382:
	s_cmp_gt_i32 s20, 25
	s_mov_b64 s[2:3], 0
	s_cbranch_scc0 .LBB280_1389
; %bb.1383:
	s_cmp_gt_i32 s20, 28
	s_cbranch_scc0 .LBB280_1390
; %bb.1384:
	s_cmp_gt_i32 s20, 43
	s_cbranch_scc0 .LBB280_1391
; %bb.1385:
	s_cmp_gt_i32 s20, 45
	s_cbranch_scc0 .LBB280_1393
; %bb.1386:
	s_cmp_eq_u32 s20, 46
	s_mov_b64 s[16:17], 0
	s_cbranch_scc0 .LBB280_1394
; %bb.1387:
	global_load_dword v1, v[8:9], off
	s_mov_b32 s0, 0x2f800000
	s_mov_b32 s1, 0xcf800000
	s_mov_b64 s[6:7], -1
	s_waitcnt vmcnt(0)
	v_lshlrev_b32_e32 v1, 16, v1
	v_trunc_f32_e32 v1, v1
	v_mul_f32_e64 v3, |v1|, s0
	v_floor_f32_e32 v3, v3
	v_fma_f32 v3, v3, s1, |v1|
	v_cvt_u32_f32_e32 v3, v3
	v_ashrrev_i32_e32 v1, 31, v1
	s_mov_b64 s[0:1], 0
	v_xor_b32_e32 v3, v3, v1
	v_sub_u32_e32 v6, v3, v1
	s_branch .LBB280_1395
.LBB280_1388:
	s_mov_b64 s[0:1], -1
	s_mov_b64 s[6:7], 0
                                        ; implicit-def: $vgpr6
	s_branch .LBB280_1457
.LBB280_1389:
	s_mov_b64 s[16:17], -1
	s_mov_b64 s[6:7], 0
	s_mov_b64 s[0:1], 0
                                        ; implicit-def: $vgpr6
	s_branch .LBB280_1422
.LBB280_1390:
	s_mov_b64 s[16:17], -1
	s_mov_b64 s[6:7], 0
	s_mov_b64 s[0:1], 0
                                        ; implicit-def: $vgpr6
	s_branch .LBB280_1405
.LBB280_1391:
	s_mov_b64 s[16:17], -1
	s_mov_b64 s[6:7], 0
	s_mov_b64 s[0:1], 0
                                        ; implicit-def: $vgpr6
	s_branch .LBB280_1400
.LBB280_1392:
	s_trap 2
	s_or_b64 s[14:15], s[14:15], exec
	s_cbranch_execz .LBB280_1331
	s_branch .LBB280_1332
.LBB280_1393:
	s_mov_b64 s[16:17], -1
	s_mov_b64 s[6:7], 0
	s_mov_b64 s[0:1], 0
                                        ; implicit-def: $vgpr6
	s_branch .LBB280_1395
.LBB280_1394:
	s_mov_b64 s[0:1], -1
                                        ; implicit-def: $vgpr6
	s_mov_b64 s[6:7], 0
.LBB280_1395:
	s_and_b64 vcc, exec, s[16:17]
	s_cbranch_vccz .LBB280_1399
; %bb.1396:
	s_cmp_eq_u32 s20, 44
	s_cbranch_scc0 .LBB280_1398
; %bb.1397:
	global_load_ubyte v1, v[8:9], off
	s_mov_b32 s0, 0x2f800000
	s_mov_b32 s1, 0xcf800000
	s_mov_b64 s[6:7], -1
	s_waitcnt vmcnt(0)
	v_lshlrev_b32_e32 v3, 23, v1
	v_trunc_f32_e32 v3, v3
	v_mul_f32_e64 v5, |v3|, s0
	v_floor_f32_e32 v5, v5
	v_fma_f32 v5, v5, s1, |v3|
	v_cvt_u32_f32_e32 v5, v5
	v_ashrrev_i32_e32 v3, 31, v3
	v_cmp_ne_u32_e32 vcc, 0, v1
	s_mov_b64 s[0:1], 0
	v_xor_b32_e32 v5, v5, v3
	v_sub_u32_e32 v3, v5, v3
	v_cndmask_b32_e32 v6, 0, v3, vcc
	s_branch .LBB280_1399
.LBB280_1398:
	s_mov_b64 s[0:1], -1
                                        ; implicit-def: $vgpr6
.LBB280_1399:
	s_mov_b64 s[16:17], 0
.LBB280_1400:
	s_and_b64 vcc, exec, s[16:17]
	s_cbranch_vccz .LBB280_1404
; %bb.1401:
	s_cmp_eq_u32 s20, 29
	s_cbranch_scc0 .LBB280_1403
; %bb.1402:
	global_load_dwordx2 v[6:7], v[8:9], off
	s_mov_b64 s[0:1], 0
	s_mov_b64 s[6:7], -1
	s_branch .LBB280_1404
.LBB280_1403:
	s_mov_b64 s[0:1], -1
                                        ; implicit-def: $vgpr6
.LBB280_1404:
	s_mov_b64 s[16:17], 0
.LBB280_1405:
	s_and_b64 vcc, exec, s[16:17]
	s_cbranch_vccz .LBB280_1421
; %bb.1406:
	s_cmp_lt_i32 s20, 27
	s_cbranch_scc1 .LBB280_1409
; %bb.1407:
	s_cmp_gt_i32 s20, 27
	s_cbranch_scc0 .LBB280_1410
; %bb.1408:
	global_load_dword v6, v[8:9], off
	s_mov_b64 s[6:7], 0
	s_branch .LBB280_1411
.LBB280_1409:
	s_mov_b64 s[6:7], -1
                                        ; implicit-def: $vgpr6
	s_branch .LBB280_1414
.LBB280_1410:
	s_mov_b64 s[6:7], -1
                                        ; implicit-def: $vgpr6
.LBB280_1411:
	s_andn2_b64 vcc, exec, s[6:7]
	s_cbranch_vccnz .LBB280_1413
; %bb.1412:
	global_load_ushort v6, v[8:9], off
.LBB280_1413:
	s_mov_b64 s[6:7], 0
.LBB280_1414:
	s_andn2_b64 vcc, exec, s[6:7]
	s_cbranch_vccnz .LBB280_1420
; %bb.1415:
	global_load_ubyte v1, v[8:9], off
	s_movk_i32 s6, 0x7f
	s_mov_b64 s[16:17], 0
	s_waitcnt vmcnt(0)
	v_cmp_lt_i16_e32 vcc, s6, v1
	s_and_saveexec_b64 s[6:7], vcc
	s_xor_b64 s[6:7], exec, s[6:7]
	s_cbranch_execz .LBB280_1432
; %bb.1416:
	s_movk_i32 s9, 0x80
	v_cmp_ne_u16_e32 vcc, s9, v1
	s_and_b64 s[16:17], vcc, exec
	s_andn2_saveexec_b64 s[6:7], s[6:7]
	s_cbranch_execnz .LBB280_1433
.LBB280_1417:
	s_or_b64 exec, exec, s[6:7]
	v_mov_b32_e32 v6, 0
	s_and_saveexec_b64 s[6:7], s[16:17]
	s_cbranch_execz .LBB280_1419
.LBB280_1418:
	v_lshlrev_b32_e32 v3, 24, v1
	v_and_b32_e32 v1, 0xffff, v1
	v_and_b32_e32 v5, 7, v1
	v_ffbh_u32_e32 v7, v5
	v_min_u32_e32 v7, 32, v7
	v_subrev_u32_e32 v11, 28, v7
	v_bfe_u32 v6, v1, 3, 4
	v_lshlrev_b32_e32 v1, v11, v1
	v_sub_u32_e32 v7, 29, v7
	v_and_b32_e32 v1, 7, v1
	v_cmp_eq_u32_e32 vcc, 0, v6
	v_and_b32_e32 v3, 0x80000000, v3
	s_mov_b32 s9, 0x2f800000
	v_cndmask_b32_e32 v6, v6, v7, vcc
	v_cndmask_b32_e32 v1, v5, v1, vcc
	v_mov_b32_e32 v5, 0x3b800000
	v_lshlrev_b32_e32 v1, 20, v1
	v_lshl_add_u32 v5, v6, 23, v5
	v_or3_b32 v1, v3, v5, v1
	v_trunc_f32_e32 v1, v1
	v_mul_f32_e64 v3, |v1|, s9
	v_floor_f32_e32 v3, v3
	s_mov_b32 s9, 0xcf800000
	v_fma_f32 v3, v3, s9, |v1|
	v_cvt_u32_f32_e32 v3, v3
	v_ashrrev_i32_e32 v1, 31, v1
	v_xor_b32_e32 v3, v3, v1
	v_sub_u32_e32 v6, v3, v1
.LBB280_1419:
	s_or_b64 exec, exec, s[6:7]
.LBB280_1420:
	s_mov_b64 s[6:7], -1
.LBB280_1421:
	s_mov_b64 s[16:17], 0
.LBB280_1422:
	s_and_b64 vcc, exec, s[16:17]
	s_cbranch_vccz .LBB280_1453
; %bb.1423:
	s_cmp_gt_i32 s20, 22
	s_cbranch_scc0 .LBB280_1431
; %bb.1424:
	s_cmp_lt_i32 s20, 24
	s_cbranch_scc1 .LBB280_1434
; %bb.1425:
	s_cmp_gt_i32 s20, 24
	s_cbranch_scc0 .LBB280_1435
; %bb.1426:
	global_load_ubyte v1, v[8:9], off
	s_movk_i32 s2, 0x7f
	s_mov_b64 s[6:7], 0
	s_waitcnt vmcnt(0)
	v_cmp_lt_i16_e32 vcc, s2, v1
	s_and_saveexec_b64 s[2:3], vcc
	s_xor_b64 s[2:3], exec, s[2:3]
	s_cbranch_execz .LBB280_1447
; %bb.1427:
	s_movk_i32 s6, 0x80
	v_cmp_ne_u16_e32 vcc, s6, v1
	s_and_b64 s[6:7], vcc, exec
	s_andn2_saveexec_b64 s[2:3], s[2:3]
	s_cbranch_execnz .LBB280_1448
.LBB280_1428:
	s_or_b64 exec, exec, s[2:3]
	v_mov_b32_e32 v6, 0
	s_and_saveexec_b64 s[2:3], s[6:7]
	s_cbranch_execz .LBB280_1430
.LBB280_1429:
	v_lshlrev_b32_e32 v3, 24, v1
	v_and_b32_e32 v1, 0xffff, v1
	v_and_b32_e32 v5, 3, v1
	v_ffbh_u32_e32 v7, v5
	v_min_u32_e32 v7, 32, v7
	v_subrev_u32_e32 v11, 29, v7
	v_bfe_u32 v6, v1, 2, 5
	v_lshlrev_b32_e32 v1, v11, v1
	v_sub_u32_e32 v7, 30, v7
	v_and_b32_e32 v1, 3, v1
	v_cmp_eq_u32_e32 vcc, 0, v6
	v_and_b32_e32 v3, 0x80000000, v3
	s_mov_b32 s6, 0x2f800000
	v_cndmask_b32_e32 v6, v6, v7, vcc
	v_cndmask_b32_e32 v1, v5, v1, vcc
	v_mov_b32_e32 v5, 0x37800000
	v_lshlrev_b32_e32 v1, 21, v1
	v_lshl_add_u32 v5, v6, 23, v5
	v_or3_b32 v1, v3, v5, v1
	v_trunc_f32_e32 v1, v1
	v_mul_f32_e64 v3, |v1|, s6
	v_floor_f32_e32 v3, v3
	s_mov_b32 s6, 0xcf800000
	v_fma_f32 v3, v3, s6, |v1|
	v_cvt_u32_f32_e32 v3, v3
	v_ashrrev_i32_e32 v1, 31, v1
	v_xor_b32_e32 v3, v3, v1
	v_sub_u32_e32 v6, v3, v1
.LBB280_1430:
	s_or_b64 exec, exec, s[2:3]
	s_mov_b64 s[2:3], 0
	s_branch .LBB280_1436
.LBB280_1431:
	s_mov_b64 s[2:3], -1
                                        ; implicit-def: $vgpr6
	s_branch .LBB280_1442
.LBB280_1432:
	s_andn2_saveexec_b64 s[6:7], s[6:7]
	s_cbranch_execz .LBB280_1417
.LBB280_1433:
	v_cmp_ne_u16_e32 vcc, 0, v1
	s_andn2_b64 s[16:17], s[16:17], exec
	s_and_b64 s[18:19], vcc, exec
	s_or_b64 s[16:17], s[16:17], s[18:19]
	s_or_b64 exec, exec, s[6:7]
	v_mov_b32_e32 v6, 0
	s_and_saveexec_b64 s[6:7], s[16:17]
	s_cbranch_execnz .LBB280_1418
	s_branch .LBB280_1419
.LBB280_1434:
	s_mov_b64 s[2:3], -1
                                        ; implicit-def: $vgpr6
	s_branch .LBB280_1439
.LBB280_1435:
	s_mov_b64 s[2:3], -1
                                        ; implicit-def: $vgpr6
.LBB280_1436:
	s_and_b64 vcc, exec, s[2:3]
	s_cbranch_vccz .LBB280_1438
; %bb.1437:
	global_load_ubyte v1, v[8:9], off
	s_mov_b32 s2, 0x7f800000
	s_brev_b32 s3, 1
	s_mov_b32 s6, 0x2f800000
	s_waitcnt vmcnt(0)
	v_lshlrev_b32_e32 v1, 24, v1
	v_and_b32_e32 v3, 0x7f000000, v1
	v_ffbh_u32_e32 v5, v3
	v_min_u32_e32 v5, 32, v5
	v_sub_u32_e64 v5, v5, 4 clamp
	v_lshlrev_b32_e32 v7, v5, v3
	v_lshlrev_b32_e32 v5, 23, v5
	v_lshrrev_b32_e32 v7, 4, v7
	v_add_u32_e32 v6, 0x1000000, v3
	v_sub_u32_e32 v5, v7, v5
	v_ashrrev_i32_e32 v6, 8, v6
	v_add_u32_e32 v5, 0x3c000000, v5
	v_and_or_b32 v5, v6, s2, v5
	v_cmp_ne_u32_e32 vcc, 0, v3
	s_mov_b32 s2, 0xcf800000
	s_nop 0
	v_cndmask_b32_e32 v3, 0, v5, vcc
	v_and_or_b32 v1, v1, s3, v3
	v_trunc_f32_e32 v1, v1
	v_mul_f32_e64 v3, |v1|, s6
	v_floor_f32_e32 v3, v3
	v_fma_f32 v3, v3, s2, |v1|
	v_cvt_u32_f32_e32 v3, v3
	v_ashrrev_i32_e32 v1, 31, v1
	v_xor_b32_e32 v3, v3, v1
	v_sub_u32_e32 v6, v3, v1
.LBB280_1438:
	s_mov_b64 s[2:3], 0
.LBB280_1439:
	s_andn2_b64 vcc, exec, s[2:3]
	s_cbranch_vccnz .LBB280_1441
; %bb.1440:
	global_load_ubyte v1, v[8:9], off
	s_movk_i32 s2, 0x7f00
	s_brev_b32 s3, 16
	s_brev_b32 s6, 1
	s_mov_b32 s7, 0x2f800000
	s_waitcnt vmcnt(0)
	v_lshlrev_b16_e32 v3, 8, v1
	v_lshlrev_b32_e32 v1, 25, v1
	v_lshrrev_b32_e32 v5, 4, v1
	v_and_or_b32 v6, v3, s2, 0.5
	v_or_b32_e32 v5, 0x70000000, v5
	v_add_f32_e32 v6, -0.5, v6
	v_mul_f32_e32 v5, 0x7800000, v5
	v_cmp_gt_u32_e32 vcc, s3, v1
	v_bfe_i32 v3, v3, 0, 16
	s_mov_b32 s2, 0xcf800000
	v_cndmask_b32_e32 v1, v5, v6, vcc
	v_and_or_b32 v1, v3, s6, v1
	v_trunc_f32_e32 v1, v1
	v_mul_f32_e64 v3, |v1|, s7
	v_floor_f32_e32 v3, v3
	v_fma_f32 v3, v3, s2, |v1|
	v_cvt_u32_f32_e32 v3, v3
	v_ashrrev_i32_e32 v1, 31, v1
	v_xor_b32_e32 v3, v3, v1
	v_sub_u32_e32 v6, v3, v1
.LBB280_1441:
	s_mov_b64 s[2:3], 0
	s_mov_b64 s[6:7], -1
.LBB280_1442:
	s_andn2_b64 vcc, exec, s[2:3]
	s_mov_b64 s[2:3], 0
	s_cbranch_vccnz .LBB280_1453
; %bb.1443:
	s_cmp_gt_i32 s20, 14
	s_cbranch_scc0 .LBB280_1446
; %bb.1444:
	s_cmp_eq_u32 s20, 15
	s_cbranch_scc0 .LBB280_1449
; %bb.1445:
	global_load_ushort v1, v[8:9], off
	s_mov_b32 s0, 0x2f800000
	s_mov_b32 s1, 0xcf800000
	s_mov_b64 s[6:7], -1
	s_waitcnt vmcnt(0)
	v_lshlrev_b32_e32 v1, 16, v1
	v_trunc_f32_e32 v1, v1
	v_mul_f32_e64 v3, |v1|, s0
	v_floor_f32_e32 v3, v3
	v_fma_f32 v3, v3, s1, |v1|
	v_cvt_u32_f32_e32 v3, v3
	v_ashrrev_i32_e32 v1, 31, v1
	s_mov_b64 s[0:1], 0
	v_xor_b32_e32 v3, v3, v1
	v_sub_u32_e32 v6, v3, v1
	s_branch .LBB280_1450
.LBB280_1446:
	s_mov_b64 s[16:17], -1
                                        ; implicit-def: $vgpr6
	s_branch .LBB280_1451
.LBB280_1447:
	s_andn2_saveexec_b64 s[2:3], s[2:3]
	s_cbranch_execz .LBB280_1428
.LBB280_1448:
	v_cmp_ne_u16_e32 vcc, 0, v1
	s_andn2_b64 s[6:7], s[6:7], exec
	s_and_b64 s[16:17], vcc, exec
	s_or_b64 s[6:7], s[6:7], s[16:17]
	s_or_b64 exec, exec, s[2:3]
	v_mov_b32_e32 v6, 0
	s_and_saveexec_b64 s[2:3], s[6:7]
	s_cbranch_execnz .LBB280_1429
	s_branch .LBB280_1430
.LBB280_1449:
	s_mov_b64 s[0:1], -1
                                        ; implicit-def: $vgpr6
.LBB280_1450:
	s_mov_b64 s[16:17], 0
.LBB280_1451:
	s_and_b64 vcc, exec, s[16:17]
	s_cbranch_vccz .LBB280_1453
; %bb.1452:
	s_cmp_lg_u32 s20, 11
	s_mov_b64 s[2:3], -1
	s_cselect_b64 s[0:1], -1, 0
.LBB280_1453:
	s_and_b64 vcc, exec, s[0:1]
	s_cbranch_vccnz .LBB280_1986
; %bb.1454:
	s_andn2_b64 vcc, exec, s[2:3]
	s_cbranch_vccnz .LBB280_1456
.LBB280_1455:
	global_load_ubyte v1, v[8:9], off
	s_mov_b64 s[6:7], -1
	s_waitcnt vmcnt(0)
	v_cmp_ne_u16_e32 vcc, 0, v1
	s_nop 1
	v_cndmask_b32_e64 v6, 0, 1, vcc
.LBB280_1456:
	s_mov_b64 s[0:1], 0
.LBB280_1457:
	s_and_b64 vcc, exec, s[0:1]
	s_cbranch_vccz .LBB280_1506
; %bb.1458:
	s_cmp_lt_i32 s20, 5
	s_cbranch_scc1 .LBB280_1463
; %bb.1459:
	s_cmp_lt_i32 s20, 8
	s_cbranch_scc1 .LBB280_1464
	;; [unrolled: 3-line block ×3, first 2 shown]
; %bb.1461:
	s_cmp_gt_i32 s20, 9
	s_cbranch_scc0 .LBB280_1466
; %bb.1462:
	global_load_dwordx2 v[6:7], v[8:9], off
	s_movk_i32 s0, 0xffe0
	s_waitcnt vmcnt(0)
	v_trunc_f64_e32 v[6:7], v[6:7]
	v_ldexp_f64 v[12:13], v[6:7], s0
	v_floor_f64_e32 v[12:13], v[12:13]
	v_fmac_f64_e32 v[6:7], 0xc1f00000, v[12:13]
	v_cvt_u32_f64_e32 v6, v[6:7]
	s_mov_b64 s[0:1], 0
	s_branch .LBB280_1467
.LBB280_1463:
	s_mov_b64 s[0:1], -1
                                        ; implicit-def: $vgpr6
	s_branch .LBB280_1485
.LBB280_1464:
	s_mov_b64 s[0:1], -1
                                        ; implicit-def: $vgpr6
	s_branch .LBB280_1473
.LBB280_1465:
	s_mov_b64 s[0:1], -1
                                        ; implicit-def: $vgpr6
	s_branch .LBB280_1470
.LBB280_1466:
	s_mov_b64 s[0:1], -1
                                        ; implicit-def: $vgpr6
.LBB280_1467:
	s_andn2_b64 vcc, exec, s[0:1]
	s_cbranch_vccnz .LBB280_1469
; %bb.1468:
	global_load_dword v1, v[8:9], off
	s_mov_b32 s0, 0x2f800000
	s_waitcnt vmcnt(0)
	v_trunc_f32_e32 v1, v1
	v_mul_f32_e64 v3, |v1|, s0
	v_floor_f32_e32 v3, v3
	s_mov_b32 s0, 0xcf800000
	v_fma_f32 v3, v3, s0, |v1|
	v_cvt_u32_f32_e32 v3, v3
	v_ashrrev_i32_e32 v1, 31, v1
	v_xor_b32_e32 v3, v3, v1
	v_sub_u32_e32 v6, v3, v1
.LBB280_1469:
	s_mov_b64 s[0:1], 0
.LBB280_1470:
	s_andn2_b64 vcc, exec, s[0:1]
	s_cbranch_vccnz .LBB280_1472
; %bb.1471:
	global_load_dword v1, v[8:9], off
	s_waitcnt vmcnt(0)
	v_cvt_f32_f16_e32 v1, v1
	v_cvt_i32_f32_e32 v6, v1
.LBB280_1472:
	s_mov_b64 s[0:1], 0
.LBB280_1473:
	s_andn2_b64 vcc, exec, s[0:1]
	s_cbranch_vccnz .LBB280_1484
; %bb.1474:
	s_cmp_lt_i32 s20, 6
	s_cbranch_scc1 .LBB280_1477
; %bb.1475:
	s_cmp_gt_i32 s20, 6
	s_cbranch_scc0 .LBB280_1478
; %bb.1476:
	global_load_dwordx2 v[6:7], v[8:9], off
	s_movk_i32 s0, 0xffe0
	s_waitcnt vmcnt(0)
	v_trunc_f64_e32 v[6:7], v[6:7]
	v_ldexp_f64 v[12:13], v[6:7], s0
	v_floor_f64_e32 v[12:13], v[12:13]
	v_fmac_f64_e32 v[6:7], 0xc1f00000, v[12:13]
	v_cvt_u32_f64_e32 v6, v[6:7]
	s_mov_b64 s[0:1], 0
	s_branch .LBB280_1479
.LBB280_1477:
	s_mov_b64 s[0:1], -1
                                        ; implicit-def: $vgpr6
	s_branch .LBB280_1482
.LBB280_1478:
	s_mov_b64 s[0:1], -1
                                        ; implicit-def: $vgpr6
.LBB280_1479:
	s_andn2_b64 vcc, exec, s[0:1]
	s_cbranch_vccnz .LBB280_1481
; %bb.1480:
	global_load_dword v1, v[8:9], off
	s_mov_b32 s0, 0x2f800000
	s_waitcnt vmcnt(0)
	v_trunc_f32_e32 v1, v1
	v_mul_f32_e64 v3, |v1|, s0
	v_floor_f32_e32 v3, v3
	s_mov_b32 s0, 0xcf800000
	v_fma_f32 v3, v3, s0, |v1|
	v_cvt_u32_f32_e32 v3, v3
	v_ashrrev_i32_e32 v1, 31, v1
	v_xor_b32_e32 v3, v3, v1
	v_sub_u32_e32 v6, v3, v1
.LBB280_1481:
	s_mov_b64 s[0:1], 0
.LBB280_1482:
	s_andn2_b64 vcc, exec, s[0:1]
	s_cbranch_vccnz .LBB280_1484
; %bb.1483:
	global_load_ushort v1, v[8:9], off
	s_waitcnt vmcnt(0)
	v_cvt_f32_f16_e32 v1, v1
	v_cvt_i32_f32_e32 v6, v1
.LBB280_1484:
	s_mov_b64 s[0:1], 0
.LBB280_1485:
	s_andn2_b64 vcc, exec, s[0:1]
	s_cbranch_vccnz .LBB280_1505
; %bb.1486:
	s_cmp_lt_i32 s20, 2
	s_cbranch_scc1 .LBB280_1490
; %bb.1487:
	s_cmp_lt_i32 s20, 3
	s_cbranch_scc1 .LBB280_1491
; %bb.1488:
	s_cmp_gt_i32 s20, 3
	s_cbranch_scc0 .LBB280_1492
; %bb.1489:
	global_load_dwordx2 v[6:7], v[8:9], off
	s_mov_b64 s[0:1], 0
	s_branch .LBB280_1493
.LBB280_1490:
	s_mov_b64 s[0:1], -1
                                        ; implicit-def: $vgpr6
	s_branch .LBB280_1499
.LBB280_1491:
	s_mov_b64 s[0:1], -1
                                        ; implicit-def: $vgpr6
	s_branch .LBB280_1496
.LBB280_1492:
	s_mov_b64 s[0:1], -1
                                        ; implicit-def: $vgpr6
.LBB280_1493:
	s_andn2_b64 vcc, exec, s[0:1]
	s_cbranch_vccnz .LBB280_1495
; %bb.1494:
	global_load_dword v6, v[8:9], off
.LBB280_1495:
	s_mov_b64 s[0:1], 0
.LBB280_1496:
	s_andn2_b64 vcc, exec, s[0:1]
	s_cbranch_vccnz .LBB280_1498
; %bb.1497:
	global_load_ushort v6, v[8:9], off
.LBB280_1498:
	s_mov_b64 s[0:1], 0
.LBB280_1499:
	s_andn2_b64 vcc, exec, s[0:1]
	s_cbranch_vccnz .LBB280_1505
; %bb.1500:
	s_cmp_gt_i32 s20, 0
	s_cbranch_scc0 .LBB280_1502
; %bb.1501:
	global_load_ubyte v6, v[8:9], off
	s_mov_b64 s[0:1], 0
	s_branch .LBB280_1503
.LBB280_1502:
	s_mov_b64 s[0:1], -1
                                        ; implicit-def: $vgpr6
.LBB280_1503:
	s_andn2_b64 vcc, exec, s[0:1]
	s_cbranch_vccnz .LBB280_1505
; %bb.1504:
	global_load_ubyte v6, v[8:9], off
.LBB280_1505:
	s_mov_b64 s[6:7], -1
.LBB280_1506:
	s_andn2_b64 vcc, exec, s[6:7]
	s_cbranch_vccnz .LBB280_1940
; %bb.1507:
	s_and_b32 s21, s33, 0xff
	s_waitcnt vmcnt(0)
	v_max_u16_sdwa v0, v0, s21 dst_sel:DWORD dst_unused:UNUSED_PAD src0_sel:BYTE_0 src1_sel:DWORD
	s_and_b32 s22, s43, 0xff
	v_min_u16_e32 v8, s22, v0
	v_mul_lo_u32 v0, s8, v10
	v_ashrrev_i32_e32 v1, 31, v0
	s_and_b32 s20, s42, 0xff
	s_cmp_lt_i32 s20, 11
	v_lshl_add_u64 v[10:11], s[4:5], 0, v[0:1]
	s_cbranch_scc1 .LBB280_1585
; %bb.1508:
	s_and_b32 s9, 0xffff, s20
	s_mov_b64 s[16:17], -1
	s_mov_b64 s[2:3], 0
	s_cmp_gt_i32 s9, 25
	s_mov_b64 s[6:7], 0
	s_mov_b64 s[0:1], 0
	s_cbranch_scc0 .LBB280_1541
; %bb.1509:
	s_cmp_gt_i32 s9, 28
	s_cbranch_scc0 .LBB280_1524
; %bb.1510:
	s_cmp_gt_i32 s9, 43
	;; [unrolled: 3-line block ×3, first 2 shown]
	s_cbranch_scc0 .LBB280_1514
; %bb.1512:
	s_mov_b64 s[0:1], -1
	s_mov_b64 s[16:17], 0
	s_cmp_eq_u32 s9, 46
	s_cbranch_scc0 .LBB280_1514
; %bb.1513:
	v_cvt_f32_ubyte0_e32 v1, v8
	v_bfe_u32 v3, v1, 16, 1
	s_movk_i32 s0, 0x7fff
	v_add3_u32 v1, v1, v3, s0
	v_lshrrev_b32_e32 v1, 16, v1
	global_store_dword v[10:11], v1, off
	s_mov_b64 s[0:1], 0
	s_mov_b64 s[6:7], -1
.LBB280_1514:
	s_and_b64 vcc, exec, s[16:17]
	s_cbranch_vccz .LBB280_1519
; %bb.1515:
	s_cmp_eq_u32 s9, 44
	s_mov_b64 s[0:1], -1
	s_cbranch_scc0 .LBB280_1519
; %bb.1516:
	v_cvt_f32_ubyte0_e32 v3, v8
	v_lshrrev_b32_e32 v1, 23, v3
	s_movk_i32 s0, 0xff
	v_cmp_ne_u32_e32 vcc, s0, v1
	v_mov_b32_e32 v5, 0xff
	s_and_saveexec_b64 s[6:7], vcc
; %bb.1517:
	s_mov_b32 s0, 0x3fffff
	v_and_b32_e32 v5, 0x400000, v3
	v_and_or_b32 v3, v3, s0, v1
	v_cmp_ne_u32_e32 vcc, 0, v5
	v_cmp_ne_u32_e64 s[0:1], 0, v3
	s_and_b64 s[0:1], vcc, s[0:1]
	s_nop 0
	v_cndmask_b32_e64 v3, 0, 1, s[0:1]
	v_add_u32_e32 v5, v1, v3
; %bb.1518:
	s_or_b64 exec, exec, s[6:7]
	s_mov_b64 s[0:1], 0
	s_mov_b64 s[6:7], -1
	global_store_byte v[10:11], v5, off
.LBB280_1519:
	s_mov_b64 s[16:17], 0
.LBB280_1520:
	s_and_b64 vcc, exec, s[16:17]
	s_cbranch_vccz .LBB280_1523
; %bb.1521:
	s_cmp_eq_u32 s9, 29
	s_mov_b64 s[0:1], -1
	s_cbranch_scc0 .LBB280_1523
; %bb.1522:
	s_mov_b32 s0, 0
	v_mov_b32_e32 v9, s0
	global_store_dwordx2 v[10:11], v[8:9], off
	s_mov_b64 s[0:1], 0
	s_mov_b64 s[6:7], -1
.LBB280_1523:
	s_mov_b64 s[16:17], 0
.LBB280_1524:
	s_and_b64 vcc, exec, s[16:17]
	s_cbranch_vccz .LBB280_1540
; %bb.1525:
	s_cmp_lt_i32 s9, 27
	s_mov_b64 s[6:7], -1
	s_cbranch_scc1 .LBB280_1531
; %bb.1526:
	s_cmp_gt_i32 s9, 27
	s_cbranch_scc0 .LBB280_1528
; %bb.1527:
	s_mov_b64 s[6:7], 0
	global_store_dword v[10:11], v8, off
.LBB280_1528:
	s_andn2_b64 vcc, exec, s[6:7]
	s_cbranch_vccnz .LBB280_1530
; %bb.1529:
	global_store_short v[10:11], v8, off
.LBB280_1530:
	s_mov_b64 s[6:7], 0
.LBB280_1531:
	s_andn2_b64 vcc, exec, s[6:7]
	s_cbranch_vccnz .LBB280_1539
; %bb.1532:
	v_cvt_f32_ubyte0_e32 v3, v8
	s_mov_b32 s6, 0x43800000
	v_cmp_gt_u32_e32 vcc, s6, v3
	v_mov_b32_e32 v5, 0x80
	s_and_saveexec_b64 s[6:7], vcc
	s_cbranch_execz .LBB280_1538
; %bb.1533:
	s_mov_b32 s16, 0x3bffffff
	v_cmp_lt_u32_e32 vcc, s16, v3
	s_mov_b64 s[16:17], 0
                                        ; implicit-def: $vgpr1
	s_and_saveexec_b64 s[18:19], vcc
	s_xor_b64 s[18:19], exec, s[18:19]
	s_cbranch_execz .LBB280_1987
; %bb.1534:
	v_bfe_u32 v1, v3, 20, 1
	s_mov_b32 s23, 0x487ffff
	v_add3_u32 v1, v3, v1, s23
	s_mov_b64 s[16:17], exec
	v_lshrrev_b32_e32 v1, 20, v1
                                        ; implicit-def: $vgpr3
	s_andn2_saveexec_b64 s[18:19], s[18:19]
	s_cbranch_execnz .LBB280_1988
.LBB280_1535:
	s_or_b64 exec, exec, s[18:19]
	v_mov_b32_e32 v5, 0
	s_and_saveexec_b64 s[18:19], s[16:17]
.LBB280_1536:
	v_mov_b32_e32 v5, v1
.LBB280_1537:
	s_or_b64 exec, exec, s[18:19]
.LBB280_1538:
	s_or_b64 exec, exec, s[6:7]
	global_store_byte v[10:11], v5, off
.LBB280_1539:
	s_mov_b64 s[6:7], -1
.LBB280_1540:
	s_mov_b64 s[16:17], 0
.LBB280_1541:
	s_and_b64 vcc, exec, s[16:17]
	s_cbranch_vccz .LBB280_1581
; %bb.1542:
	s_cmp_gt_i32 s9, 22
	s_mov_b64 s[2:3], -1
	s_cbranch_scc0 .LBB280_1574
; %bb.1543:
	s_cmp_lt_i32 s9, 24
	s_cbranch_scc1 .LBB280_1563
; %bb.1544:
	s_cmp_gt_i32 s9, 24
	s_cbranch_scc0 .LBB280_1552
; %bb.1545:
	v_cvt_f32_ubyte0_e32 v3, v8
	s_mov_b32 s2, 0x47800000
	v_cmp_gt_u32_e32 vcc, s2, v3
	v_mov_b32_e32 v5, 0x80
	s_and_saveexec_b64 s[2:3], vcc
	s_cbranch_execz .LBB280_1551
; %bb.1546:
	s_mov_b32 s6, 0x37ffffff
	v_cmp_lt_u32_e32 vcc, s6, v3
	s_mov_b64 s[6:7], 0
                                        ; implicit-def: $vgpr1
	s_and_saveexec_b64 s[16:17], vcc
	s_xor_b64 s[16:17], exec, s[16:17]
	s_cbranch_execz .LBB280_1990
; %bb.1547:
	v_bfe_u32 v1, v3, 21, 1
	s_mov_b32 s18, 0x88fffff
	v_add3_u32 v1, v3, v1, s18
	s_mov_b64 s[6:7], exec
	v_lshrrev_b32_e32 v1, 21, v1
                                        ; implicit-def: $vgpr3
	s_andn2_saveexec_b64 s[16:17], s[16:17]
	s_cbranch_execnz .LBB280_1991
.LBB280_1548:
	s_or_b64 exec, exec, s[16:17]
	v_mov_b32_e32 v5, 0
	s_and_saveexec_b64 s[16:17], s[6:7]
.LBB280_1549:
	v_mov_b32_e32 v5, v1
.LBB280_1550:
	s_or_b64 exec, exec, s[16:17]
.LBB280_1551:
	s_or_b64 exec, exec, s[2:3]
	s_mov_b64 s[2:3], 0
	global_store_byte v[10:11], v5, off
.LBB280_1552:
	s_and_b64 vcc, exec, s[2:3]
	s_cbranch_vccz .LBB280_1562
; %bb.1553:
	v_cvt_f32_ubyte0_e32 v1, v8
	s_mov_b32 s2, 0x43f00000
	v_cmp_gt_u32_e32 vcc, s2, v1
                                        ; implicit-def: $vgpr3
	s_and_saveexec_b64 s[2:3], vcc
	s_xor_b64 s[2:3], exec, s[2:3]
	s_cbranch_execz .LBB280_1559
; %bb.1554:
	s_mov_b32 s6, 0x3c7fffff
	v_cmp_lt_u32_e32 vcc, s6, v1
                                        ; implicit-def: $vgpr3
	s_and_saveexec_b64 s[6:7], vcc
	s_xor_b64 s[6:7], exec, s[6:7]
; %bb.1555:
	v_bfe_u32 v3, v1, 20, 1
	s_mov_b32 s16, 0x407ffff
	v_add3_u32 v1, v1, v3, s16
	v_lshrrev_b32_e32 v3, 20, v1
	v_and_b32_e32 v1, 0xff00000, v1
	s_mov_b32 s16, 0x7f00000
	v_mov_b32_e32 v5, 0x7e
	v_cmp_ne_u32_e32 vcc, s16, v1
                                        ; implicit-def: $vgpr1
	s_nop 1
	v_cndmask_b32_e32 v3, v5, v3, vcc
; %bb.1556:
	s_andn2_saveexec_b64 s[6:7], s[6:7]
; %bb.1557:
	v_add_f32_e32 v3, 0x46800000, v1
; %bb.1558:
	s_or_b64 exec, exec, s[6:7]
                                        ; implicit-def: $vgpr1
.LBB280_1559:
	s_andn2_saveexec_b64 s[2:3], s[2:3]
; %bb.1560:
	s_mov_b32 s6, 0x7f800000
	v_mov_b32_e32 v3, 0x7e
	v_mov_b32_e32 v5, 0x7f
	v_cmp_lt_u32_e32 vcc, s6, v1
	s_nop 1
	v_cndmask_b32_e32 v3, v3, v5, vcc
; %bb.1561:
	s_or_b64 exec, exec, s[2:3]
	global_store_byte v[10:11], v3, off
.LBB280_1562:
	s_mov_b64 s[2:3], 0
.LBB280_1563:
	s_andn2_b64 vcc, exec, s[2:3]
	s_cbranch_vccnz .LBB280_1573
; %bb.1564:
	v_cvt_f32_ubyte0_e32 v1, v8
	s_mov_b32 s2, 0x47800000
	v_cmp_gt_u32_e32 vcc, s2, v1
                                        ; implicit-def: $vgpr3
	s_and_saveexec_b64 s[2:3], vcc
	s_xor_b64 s[2:3], exec, s[2:3]
	s_cbranch_execz .LBB280_1570
; %bb.1565:
	s_mov_b32 s6, 0x387fffff
	v_cmp_lt_u32_e32 vcc, s6, v1
                                        ; implicit-def: $vgpr3
	s_and_saveexec_b64 s[6:7], vcc
	s_xor_b64 s[6:7], exec, s[6:7]
; %bb.1566:
	v_bfe_u32 v3, v1, 21, 1
	s_mov_b32 s16, 0x80fffff
	v_add3_u32 v1, v1, v3, s16
	v_lshrrev_b32_e32 v3, 21, v1
                                        ; implicit-def: $vgpr1
; %bb.1567:
	s_andn2_saveexec_b64 s[6:7], s[6:7]
; %bb.1568:
	v_add_f32_e32 v3, 0x43000000, v1
; %bb.1569:
	s_or_b64 exec, exec, s[6:7]
                                        ; implicit-def: $vgpr1
.LBB280_1570:
	s_andn2_saveexec_b64 s[2:3], s[2:3]
; %bb.1571:
	s_mov_b32 s6, 0x7f800000
	v_mov_b32_e32 v3, 0x7c
	v_mov_b32_e32 v5, 0x7f
	v_cmp_lt_u32_e32 vcc, s6, v1
	s_nop 1
	v_cndmask_b32_e32 v3, v3, v5, vcc
; %bb.1572:
	s_or_b64 exec, exec, s[2:3]
	global_store_byte v[10:11], v3, off
.LBB280_1573:
	s_mov_b64 s[2:3], 0
	s_mov_b64 s[6:7], -1
.LBB280_1574:
	s_andn2_b64 vcc, exec, s[2:3]
	s_mov_b64 s[2:3], 0
	s_cbranch_vccnz .LBB280_1581
; %bb.1575:
	s_cmp_gt_i32 s9, 14
	s_mov_b64 s[16:17], -1
	s_cbranch_scc0 .LBB280_1579
; %bb.1576:
	s_cmp_eq_u32 s9, 15
	s_mov_b64 s[0:1], -1
	s_cbranch_scc0 .LBB280_1578
; %bb.1577:
	v_cvt_f32_ubyte0_e32 v1, v8
	v_bfe_u32 v3, v1, 16, 1
	s_movk_i32 s0, 0x7fff
	v_add3_u32 v1, v1, v3, s0
	global_store_short_d16_hi v[10:11], v1, off
	s_mov_b64 s[0:1], 0
	s_mov_b64 s[6:7], -1
.LBB280_1578:
	s_mov_b64 s[16:17], 0
.LBB280_1579:
	s_and_b64 vcc, exec, s[16:17]
	s_cbranch_vccz .LBB280_1581
; %bb.1580:
	s_cmp_lg_u32 s9, 11
	s_mov_b64 s[2:3], -1
	s_cselect_b64 s[0:1], -1, 0
.LBB280_1581:
	s_and_b64 vcc, exec, s[0:1]
	s_cbranch_vccnz .LBB280_1989
; %bb.1582:
	s_andn2_b64 vcc, exec, s[2:3]
	s_cbranch_vccnz .LBB280_1584
.LBB280_1583:
	v_cmp_ne_u16_e32 vcc, 0, v8
	s_mov_b64 s[6:7], -1
	s_nop 0
	v_cndmask_b32_e64 v1, 0, 1, vcc
	global_store_byte v[10:11], v1, off
.LBB280_1584:
	s_mov_b64 s[0:1], 0
	s_branch .LBB280_1586
.LBB280_1585:
	s_mov_b64 s[0:1], -1
	s_mov_b64 s[6:7], 0
.LBB280_1586:
	s_and_b64 vcc, exec, s[0:1]
	s_cbranch_vccz .LBB280_1625
; %bb.1587:
	s_and_b32 s2, 0xffff, s20
	s_cmp_lt_i32 s2, 5
	s_mov_b64 s[0:1], -1
	s_cbranch_scc1 .LBB280_1608
; %bb.1588:
	s_cmp_lt_i32 s2, 8
	s_cbranch_scc1 .LBB280_1598
; %bb.1589:
	s_cmp_lt_i32 s2, 9
	s_cbranch_scc1 .LBB280_1595
; %bb.1590:
	s_cmp_gt_i32 s2, 9
	s_cbranch_scc0 .LBB280_1592
; %bb.1591:
	v_mov_b32_e32 v14, 0
	v_cvt_f64_u32_e32 v[12:13], v8
	v_mov_b32_e32 v15, v14
	global_store_dwordx4 v[10:11], v[12:15], off
	s_mov_b64 s[0:1], 0
.LBB280_1592:
	s_andn2_b64 vcc, exec, s[0:1]
	s_cbranch_vccnz .LBB280_1594
; %bb.1593:
	v_cvt_f32_ubyte0_e32 v12, v8
	v_mov_b32_e32 v13, 0
	global_store_dwordx2 v[10:11], v[12:13], off
.LBB280_1594:
	s_mov_b64 s[0:1], 0
.LBB280_1595:
	s_andn2_b64 vcc, exec, s[0:1]
	s_cbranch_vccnz .LBB280_1597
; %bb.1596:
	v_cvt_f16_u16_e32 v1, v8
	global_store_dword v[10:11], v1, off
.LBB280_1597:
	s_mov_b64 s[0:1], 0
.LBB280_1598:
	s_andn2_b64 vcc, exec, s[0:1]
	s_cbranch_vccnz .LBB280_1607
; %bb.1599:
	s_cmp_lt_i32 s2, 6
	s_mov_b64 s[0:1], -1
	s_cbranch_scc1 .LBB280_1605
; %bb.1600:
	s_cmp_gt_i32 s2, 6
	s_cbranch_scc0 .LBB280_1602
; %bb.1601:
	v_cvt_f64_u32_e32 v[12:13], v8
	global_store_dwordx2 v[10:11], v[12:13], off
	s_mov_b64 s[0:1], 0
.LBB280_1602:
	s_andn2_b64 vcc, exec, s[0:1]
	s_cbranch_vccnz .LBB280_1604
; %bb.1603:
	v_cvt_f32_ubyte0_e32 v1, v8
	global_store_dword v[10:11], v1, off
.LBB280_1604:
	s_mov_b64 s[0:1], 0
.LBB280_1605:
	s_andn2_b64 vcc, exec, s[0:1]
	s_cbranch_vccnz .LBB280_1607
; %bb.1606:
	v_cvt_f16_u16_e32 v1, v8
	global_store_short v[10:11], v1, off
.LBB280_1607:
	s_mov_b64 s[0:1], 0
.LBB280_1608:
	s_andn2_b64 vcc, exec, s[0:1]
	s_cbranch_vccnz .LBB280_1624
; %bb.1609:
	s_cmp_lt_i32 s2, 2
	s_mov_b64 s[0:1], -1
	s_cbranch_scc1 .LBB280_1619
; %bb.1610:
	s_cmp_lt_i32 s2, 3
	s_cbranch_scc1 .LBB280_1616
; %bb.1611:
	s_cmp_gt_i32 s2, 3
	s_cbranch_scc0 .LBB280_1613
; %bb.1612:
	s_mov_b32 s0, 0
	v_mov_b32_e32 v9, s0
	global_store_dwordx2 v[10:11], v[8:9], off
	s_mov_b64 s[0:1], 0
.LBB280_1613:
	s_andn2_b64 vcc, exec, s[0:1]
	s_cbranch_vccnz .LBB280_1615
; %bb.1614:
	global_store_dword v[10:11], v8, off
.LBB280_1615:
	s_mov_b64 s[0:1], 0
.LBB280_1616:
	s_andn2_b64 vcc, exec, s[0:1]
	s_cbranch_vccnz .LBB280_1618
; %bb.1617:
	global_store_short v[10:11], v8, off
.LBB280_1618:
	s_mov_b64 s[0:1], 0
.LBB280_1619:
	s_andn2_b64 vcc, exec, s[0:1]
	s_cbranch_vccnz .LBB280_1624
; %bb.1620:
	s_cmp_gt_i32 s2, 0
	s_mov_b64 s[0:1], -1
	s_cbranch_scc0 .LBB280_1622
; %bb.1621:
	global_store_byte v[10:11], v8, off
	s_mov_b64 s[0:1], 0
.LBB280_1622:
	s_andn2_b64 vcc, exec, s[0:1]
	s_cbranch_vccnz .LBB280_1624
; %bb.1623:
	global_store_byte v[10:11], v8, off
.LBB280_1624:
	s_mov_b64 s[6:7], -1
.LBB280_1625:
	s_andn2_b64 vcc, exec, s[6:7]
	s_cbranch_vccnz .LBB280_1940
; %bb.1626:
	s_lshl_b32 s18, s8, 7
	v_max_u16_sdwa v1, v2, s21 dst_sel:DWORD dst_unused:UNUSED_PAD src0_sel:BYTE_0 src1_sel:DWORD
	v_add_u32_e32 v0, s18, v0
	v_min_u16_e32 v2, s22, v1
	v_ashrrev_i32_e32 v1, 31, v0
	s_cmp_lt_i32 s20, 11
	v_lshl_add_u64 v[8:9], s[4:5], 0, v[0:1]
	s_cbranch_scc1 .LBB280_1704
; %bb.1627:
	s_and_b32 s19, 0xffff, s20
	s_mov_b64 s[8:9], -1
	s_mov_b64 s[2:3], 0
	s_cmp_gt_i32 s19, 25
	s_mov_b64 s[6:7], 0
	s_mov_b64 s[0:1], 0
	s_cbranch_scc0 .LBB280_1660
; %bb.1628:
	s_cmp_gt_i32 s19, 28
	s_cbranch_scc0 .LBB280_1643
; %bb.1629:
	s_cmp_gt_i32 s19, 43
	;; [unrolled: 3-line block ×3, first 2 shown]
	s_cbranch_scc0 .LBB280_1633
; %bb.1631:
	s_mov_b64 s[0:1], -1
	s_mov_b64 s[8:9], 0
	s_cmp_eq_u32 s19, 46
	s_cbranch_scc0 .LBB280_1633
; %bb.1632:
	v_cvt_f32_ubyte0_e32 v1, v2
	v_bfe_u32 v3, v1, 16, 1
	s_movk_i32 s0, 0x7fff
	v_add3_u32 v1, v1, v3, s0
	v_lshrrev_b32_e32 v1, 16, v1
	global_store_dword v[8:9], v1, off
	s_mov_b64 s[0:1], 0
	s_mov_b64 s[6:7], -1
.LBB280_1633:
	s_and_b64 vcc, exec, s[8:9]
	s_cbranch_vccz .LBB280_1638
; %bb.1634:
	s_cmp_eq_u32 s19, 44
	s_mov_b64 s[0:1], -1
	s_cbranch_scc0 .LBB280_1638
; %bb.1635:
	v_cvt_f32_ubyte0_e32 v3, v2
	v_lshrrev_b32_e32 v1, 23, v3
	s_movk_i32 s0, 0xff
	v_cmp_ne_u32_e32 vcc, s0, v1
	v_mov_b32_e32 v5, 0xff
	s_and_saveexec_b64 s[6:7], vcc
; %bb.1636:
	s_mov_b32 s0, 0x3fffff
	v_and_b32_e32 v5, 0x400000, v3
	v_and_or_b32 v3, v3, s0, v1
	v_cmp_ne_u32_e32 vcc, 0, v5
	v_cmp_ne_u32_e64 s[0:1], 0, v3
	s_and_b64 s[0:1], vcc, s[0:1]
	s_nop 0
	v_cndmask_b32_e64 v3, 0, 1, s[0:1]
	v_add_u32_e32 v5, v1, v3
; %bb.1637:
	s_or_b64 exec, exec, s[6:7]
	s_mov_b64 s[0:1], 0
	s_mov_b64 s[6:7], -1
	global_store_byte v[8:9], v5, off
.LBB280_1638:
	s_mov_b64 s[8:9], 0
.LBB280_1639:
	s_and_b64 vcc, exec, s[8:9]
	s_cbranch_vccz .LBB280_1642
; %bb.1640:
	s_cmp_eq_u32 s19, 29
	s_mov_b64 s[0:1], -1
	s_cbranch_scc0 .LBB280_1642
; %bb.1641:
	s_mov_b32 s0, 0
	v_mov_b32_e32 v3, s0
	global_store_dwordx2 v[8:9], v[2:3], off
	s_mov_b64 s[0:1], 0
	s_mov_b64 s[6:7], -1
.LBB280_1642:
	s_mov_b64 s[8:9], 0
.LBB280_1643:
	s_and_b64 vcc, exec, s[8:9]
	s_cbranch_vccz .LBB280_1659
; %bb.1644:
	s_cmp_lt_i32 s19, 27
	s_mov_b64 s[6:7], -1
	s_cbranch_scc1 .LBB280_1650
; %bb.1645:
	s_cmp_gt_i32 s19, 27
	s_cbranch_scc0 .LBB280_1647
; %bb.1646:
	s_mov_b64 s[6:7], 0
	global_store_dword v[8:9], v2, off
.LBB280_1647:
	s_andn2_b64 vcc, exec, s[6:7]
	s_cbranch_vccnz .LBB280_1649
; %bb.1648:
	global_store_short v[8:9], v2, off
.LBB280_1649:
	s_mov_b64 s[6:7], 0
.LBB280_1650:
	s_andn2_b64 vcc, exec, s[6:7]
	s_cbranch_vccnz .LBB280_1658
; %bb.1651:
	v_cvt_f32_ubyte0_e32 v3, v2
	s_mov_b32 s6, 0x43800000
	v_cmp_gt_u32_e32 vcc, s6, v3
	v_mov_b32_e32 v5, 0x80
	s_and_saveexec_b64 s[6:7], vcc
	s_cbranch_execz .LBB280_1657
; %bb.1652:
	s_mov_b32 s8, 0x3bffffff
	v_cmp_lt_u32_e32 vcc, s8, v3
	s_mov_b64 s[8:9], 0
                                        ; implicit-def: $vgpr1
	s_and_saveexec_b64 s[16:17], vcc
	s_xor_b64 s[16:17], exec, s[16:17]
	s_cbranch_execz .LBB280_1992
; %bb.1653:
	v_bfe_u32 v1, v3, 20, 1
	s_mov_b32 s23, 0x487ffff
	v_add3_u32 v1, v3, v1, s23
	s_mov_b64 s[8:9], exec
	v_lshrrev_b32_e32 v1, 20, v1
                                        ; implicit-def: $vgpr3
	s_andn2_saveexec_b64 s[16:17], s[16:17]
	s_cbranch_execnz .LBB280_1993
.LBB280_1654:
	s_or_b64 exec, exec, s[16:17]
	v_mov_b32_e32 v5, 0
	s_and_saveexec_b64 s[16:17], s[8:9]
.LBB280_1655:
	v_mov_b32_e32 v5, v1
.LBB280_1656:
	s_or_b64 exec, exec, s[16:17]
.LBB280_1657:
	s_or_b64 exec, exec, s[6:7]
	global_store_byte v[8:9], v5, off
.LBB280_1658:
	s_mov_b64 s[6:7], -1
.LBB280_1659:
	s_mov_b64 s[8:9], 0
.LBB280_1660:
	s_and_b64 vcc, exec, s[8:9]
	s_cbranch_vccz .LBB280_1700
; %bb.1661:
	s_cmp_gt_i32 s19, 22
	s_mov_b64 s[2:3], -1
	s_cbranch_scc0 .LBB280_1693
; %bb.1662:
	s_cmp_lt_i32 s19, 24
	s_cbranch_scc1 .LBB280_1682
; %bb.1663:
	s_cmp_gt_i32 s19, 24
	s_cbranch_scc0 .LBB280_1671
; %bb.1664:
	v_cvt_f32_ubyte0_e32 v3, v2
	s_mov_b32 s2, 0x47800000
	v_cmp_gt_u32_e32 vcc, s2, v3
	v_mov_b32_e32 v5, 0x80
	s_and_saveexec_b64 s[2:3], vcc
	s_cbranch_execz .LBB280_1670
; %bb.1665:
	s_mov_b32 s6, 0x37ffffff
	v_cmp_lt_u32_e32 vcc, s6, v3
	s_mov_b64 s[6:7], 0
                                        ; implicit-def: $vgpr1
	s_and_saveexec_b64 s[8:9], vcc
	s_xor_b64 s[8:9], exec, s[8:9]
	s_cbranch_execz .LBB280_1995
; %bb.1666:
	v_bfe_u32 v1, v3, 21, 1
	s_mov_b32 s16, 0x88fffff
	v_add3_u32 v1, v3, v1, s16
	s_mov_b64 s[6:7], exec
	v_lshrrev_b32_e32 v1, 21, v1
                                        ; implicit-def: $vgpr3
	s_andn2_saveexec_b64 s[8:9], s[8:9]
	s_cbranch_execnz .LBB280_1996
.LBB280_1667:
	s_or_b64 exec, exec, s[8:9]
	v_mov_b32_e32 v5, 0
	s_and_saveexec_b64 s[8:9], s[6:7]
.LBB280_1668:
	v_mov_b32_e32 v5, v1
.LBB280_1669:
	s_or_b64 exec, exec, s[8:9]
.LBB280_1670:
	s_or_b64 exec, exec, s[2:3]
	s_mov_b64 s[2:3], 0
	global_store_byte v[8:9], v5, off
.LBB280_1671:
	s_and_b64 vcc, exec, s[2:3]
	s_cbranch_vccz .LBB280_1681
; %bb.1672:
	v_cvt_f32_ubyte0_e32 v1, v2
	s_mov_b32 s2, 0x43f00000
	v_cmp_gt_u32_e32 vcc, s2, v1
                                        ; implicit-def: $vgpr3
	s_and_saveexec_b64 s[2:3], vcc
	s_xor_b64 s[2:3], exec, s[2:3]
	s_cbranch_execz .LBB280_1678
; %bb.1673:
	s_mov_b32 s6, 0x3c7fffff
	v_cmp_lt_u32_e32 vcc, s6, v1
                                        ; implicit-def: $vgpr3
	s_and_saveexec_b64 s[6:7], vcc
	s_xor_b64 s[6:7], exec, s[6:7]
; %bb.1674:
	v_bfe_u32 v3, v1, 20, 1
	s_mov_b32 s8, 0x407ffff
	v_add3_u32 v1, v1, v3, s8
	v_lshrrev_b32_e32 v3, 20, v1
	v_and_b32_e32 v1, 0xff00000, v1
	s_mov_b32 s8, 0x7f00000
	v_mov_b32_e32 v5, 0x7e
	v_cmp_ne_u32_e32 vcc, s8, v1
                                        ; implicit-def: $vgpr1
	s_nop 1
	v_cndmask_b32_e32 v3, v5, v3, vcc
; %bb.1675:
	s_andn2_saveexec_b64 s[6:7], s[6:7]
; %bb.1676:
	v_add_f32_e32 v3, 0x46800000, v1
; %bb.1677:
	s_or_b64 exec, exec, s[6:7]
                                        ; implicit-def: $vgpr1
.LBB280_1678:
	s_andn2_saveexec_b64 s[2:3], s[2:3]
; %bb.1679:
	s_mov_b32 s6, 0x7f800000
	v_mov_b32_e32 v3, 0x7e
	v_mov_b32_e32 v5, 0x7f
	v_cmp_lt_u32_e32 vcc, s6, v1
	s_nop 1
	v_cndmask_b32_e32 v3, v3, v5, vcc
; %bb.1680:
	s_or_b64 exec, exec, s[2:3]
	global_store_byte v[8:9], v3, off
.LBB280_1681:
	s_mov_b64 s[2:3], 0
.LBB280_1682:
	s_andn2_b64 vcc, exec, s[2:3]
	s_cbranch_vccnz .LBB280_1692
; %bb.1683:
	v_cvt_f32_ubyte0_e32 v1, v2
	s_mov_b32 s2, 0x47800000
	v_cmp_gt_u32_e32 vcc, s2, v1
                                        ; implicit-def: $vgpr3
	s_and_saveexec_b64 s[2:3], vcc
	s_xor_b64 s[2:3], exec, s[2:3]
	s_cbranch_execz .LBB280_1689
; %bb.1684:
	s_mov_b32 s6, 0x387fffff
	v_cmp_lt_u32_e32 vcc, s6, v1
                                        ; implicit-def: $vgpr3
	s_and_saveexec_b64 s[6:7], vcc
	s_xor_b64 s[6:7], exec, s[6:7]
; %bb.1685:
	v_bfe_u32 v3, v1, 21, 1
	s_mov_b32 s8, 0x80fffff
	v_add3_u32 v1, v1, v3, s8
	v_lshrrev_b32_e32 v3, 21, v1
                                        ; implicit-def: $vgpr1
; %bb.1686:
	s_andn2_saveexec_b64 s[6:7], s[6:7]
; %bb.1687:
	v_add_f32_e32 v3, 0x43000000, v1
; %bb.1688:
	s_or_b64 exec, exec, s[6:7]
                                        ; implicit-def: $vgpr1
.LBB280_1689:
	s_andn2_saveexec_b64 s[2:3], s[2:3]
; %bb.1690:
	s_mov_b32 s6, 0x7f800000
	v_mov_b32_e32 v3, 0x7c
	v_mov_b32_e32 v5, 0x7f
	v_cmp_lt_u32_e32 vcc, s6, v1
	s_nop 1
	v_cndmask_b32_e32 v3, v3, v5, vcc
; %bb.1691:
	s_or_b64 exec, exec, s[2:3]
	global_store_byte v[8:9], v3, off
.LBB280_1692:
	s_mov_b64 s[2:3], 0
	s_mov_b64 s[6:7], -1
.LBB280_1693:
	s_andn2_b64 vcc, exec, s[2:3]
	s_mov_b64 s[2:3], 0
	s_cbranch_vccnz .LBB280_1700
; %bb.1694:
	s_cmp_gt_i32 s19, 14
	s_mov_b64 s[8:9], -1
	s_cbranch_scc0 .LBB280_1698
; %bb.1695:
	s_cmp_eq_u32 s19, 15
	s_mov_b64 s[0:1], -1
	s_cbranch_scc0 .LBB280_1697
; %bb.1696:
	v_cvt_f32_ubyte0_e32 v1, v2
	v_bfe_u32 v3, v1, 16, 1
	s_movk_i32 s0, 0x7fff
	v_add3_u32 v1, v1, v3, s0
	global_store_short_d16_hi v[8:9], v1, off
	s_mov_b64 s[0:1], 0
	s_mov_b64 s[6:7], -1
.LBB280_1697:
	s_mov_b64 s[8:9], 0
.LBB280_1698:
	s_and_b64 vcc, exec, s[8:9]
	s_cbranch_vccz .LBB280_1700
; %bb.1699:
	s_cmp_lg_u32 s19, 11
	s_mov_b64 s[2:3], -1
	s_cselect_b64 s[0:1], -1, 0
.LBB280_1700:
	s_and_b64 vcc, exec, s[0:1]
	s_cbranch_vccnz .LBB280_1994
; %bb.1701:
	s_andn2_b64 vcc, exec, s[2:3]
	s_cbranch_vccnz .LBB280_1703
.LBB280_1702:
	v_cmp_ne_u16_e32 vcc, 0, v2
	s_mov_b64 s[6:7], -1
	s_nop 0
	v_cndmask_b32_e64 v1, 0, 1, vcc
	global_store_byte v[8:9], v1, off
.LBB280_1703:
	s_mov_b64 s[0:1], 0
	s_branch .LBB280_1705
.LBB280_1704:
	s_mov_b64 s[0:1], -1
	s_mov_b64 s[6:7], 0
.LBB280_1705:
	s_and_b64 vcc, exec, s[0:1]
	s_cbranch_vccz .LBB280_1744
; %bb.1706:
	s_and_b32 s2, 0xffff, s20
	s_cmp_lt_i32 s2, 5
	s_mov_b64 s[0:1], -1
	s_cbranch_scc1 .LBB280_1727
; %bb.1707:
	s_cmp_lt_i32 s2, 8
	s_cbranch_scc1 .LBB280_1717
; %bb.1708:
	s_cmp_lt_i32 s2, 9
	s_cbranch_scc1 .LBB280_1714
; %bb.1709:
	s_cmp_gt_i32 s2, 9
	s_cbranch_scc0 .LBB280_1711
; %bb.1710:
	v_mov_b32_e32 v12, 0
	v_cvt_f64_u32_e32 v[10:11], v2
	v_mov_b32_e32 v13, v12
	global_store_dwordx4 v[8:9], v[10:13], off
	s_mov_b64 s[0:1], 0
.LBB280_1711:
	s_andn2_b64 vcc, exec, s[0:1]
	s_cbranch_vccnz .LBB280_1713
; %bb.1712:
	v_cvt_f32_ubyte0_e32 v10, v2
	v_mov_b32_e32 v11, 0
	global_store_dwordx2 v[8:9], v[10:11], off
.LBB280_1713:
	s_mov_b64 s[0:1], 0
.LBB280_1714:
	s_andn2_b64 vcc, exec, s[0:1]
	s_cbranch_vccnz .LBB280_1716
; %bb.1715:
	v_cvt_f16_u16_e32 v1, v2
	global_store_dword v[8:9], v1, off
.LBB280_1716:
	s_mov_b64 s[0:1], 0
.LBB280_1717:
	s_andn2_b64 vcc, exec, s[0:1]
	s_cbranch_vccnz .LBB280_1726
; %bb.1718:
	s_cmp_lt_i32 s2, 6
	s_mov_b64 s[0:1], -1
	s_cbranch_scc1 .LBB280_1724
; %bb.1719:
	s_cmp_gt_i32 s2, 6
	s_cbranch_scc0 .LBB280_1721
; %bb.1720:
	v_cvt_f64_u32_e32 v[10:11], v2
	global_store_dwordx2 v[8:9], v[10:11], off
	s_mov_b64 s[0:1], 0
.LBB280_1721:
	s_andn2_b64 vcc, exec, s[0:1]
	s_cbranch_vccnz .LBB280_1723
; %bb.1722:
	v_cvt_f32_ubyte0_e32 v1, v2
	global_store_dword v[8:9], v1, off
.LBB280_1723:
	s_mov_b64 s[0:1], 0
.LBB280_1724:
	s_andn2_b64 vcc, exec, s[0:1]
	s_cbranch_vccnz .LBB280_1726
; %bb.1725:
	v_cvt_f16_u16_e32 v1, v2
	global_store_short v[8:9], v1, off
.LBB280_1726:
	s_mov_b64 s[0:1], 0
.LBB280_1727:
	s_andn2_b64 vcc, exec, s[0:1]
	s_cbranch_vccnz .LBB280_1743
; %bb.1728:
	s_cmp_lt_i32 s2, 2
	s_mov_b64 s[0:1], -1
	s_cbranch_scc1 .LBB280_1738
; %bb.1729:
	s_cmp_lt_i32 s2, 3
	s_cbranch_scc1 .LBB280_1735
; %bb.1730:
	s_cmp_gt_i32 s2, 3
	s_cbranch_scc0 .LBB280_1732
; %bb.1731:
	s_mov_b32 s0, 0
	v_mov_b32_e32 v3, s0
	global_store_dwordx2 v[8:9], v[2:3], off
	s_mov_b64 s[0:1], 0
.LBB280_1732:
	s_andn2_b64 vcc, exec, s[0:1]
	s_cbranch_vccnz .LBB280_1734
; %bb.1733:
	global_store_dword v[8:9], v2, off
.LBB280_1734:
	s_mov_b64 s[0:1], 0
.LBB280_1735:
	s_andn2_b64 vcc, exec, s[0:1]
	s_cbranch_vccnz .LBB280_1737
; %bb.1736:
	global_store_short v[8:9], v2, off
.LBB280_1737:
	s_mov_b64 s[0:1], 0
.LBB280_1738:
	s_andn2_b64 vcc, exec, s[0:1]
	s_cbranch_vccnz .LBB280_1743
; %bb.1739:
	s_cmp_gt_i32 s2, 0
	s_mov_b64 s[0:1], -1
	s_cbranch_scc0 .LBB280_1741
; %bb.1740:
	global_store_byte v[8:9], v2, off
	s_mov_b64 s[0:1], 0
.LBB280_1741:
	s_andn2_b64 vcc, exec, s[0:1]
	s_cbranch_vccnz .LBB280_1743
; %bb.1742:
	global_store_byte v[8:9], v2, off
.LBB280_1743:
	s_mov_b64 s[6:7], -1
.LBB280_1744:
	s_andn2_b64 vcc, exec, s[6:7]
	s_cbranch_vccnz .LBB280_1940
; %bb.1745:
	v_max_u16_sdwa v1, v4, s21 dst_sel:DWORD dst_unused:UNUSED_PAD src0_sel:BYTE_0 src1_sel:DWORD
	v_add_u32_e32 v0, s18, v0
	v_min_u16_e32 v2, s22, v1
	v_ashrrev_i32_e32 v1, 31, v0
	s_cmp_lt_i32 s20, 11
	v_lshl_add_u64 v[4:5], s[4:5], 0, v[0:1]
	s_cbranch_scc1 .LBB280_1823
; %bb.1746:
	s_and_b32 s19, 0xffff, s20
	s_mov_b64 s[8:9], -1
	s_mov_b64 s[2:3], 0
	s_cmp_gt_i32 s19, 25
	s_mov_b64 s[6:7], 0
	s_mov_b64 s[0:1], 0
	s_cbranch_scc0 .LBB280_1779
; %bb.1747:
	s_cmp_gt_i32 s19, 28
	s_cbranch_scc0 .LBB280_1762
; %bb.1748:
	s_cmp_gt_i32 s19, 43
	s_cbranch_scc0 .LBB280_1758
; %bb.1749:
	s_cmp_gt_i32 s19, 45
	s_cbranch_scc0 .LBB280_1752
; %bb.1750:
	s_mov_b64 s[0:1], -1
	s_mov_b64 s[8:9], 0
	s_cmp_eq_u32 s19, 46
	s_cbranch_scc0 .LBB280_1752
; %bb.1751:
	v_cvt_f32_ubyte0_e32 v1, v2
	v_bfe_u32 v3, v1, 16, 1
	s_movk_i32 s0, 0x7fff
	v_add3_u32 v1, v1, v3, s0
	v_lshrrev_b32_e32 v1, 16, v1
	global_store_dword v[4:5], v1, off
	s_mov_b64 s[0:1], 0
	s_mov_b64 s[6:7], -1
.LBB280_1752:
	s_and_b64 vcc, exec, s[8:9]
	s_cbranch_vccz .LBB280_1757
; %bb.1753:
	s_cmp_eq_u32 s19, 44
	s_mov_b64 s[0:1], -1
	s_cbranch_scc0 .LBB280_1757
; %bb.1754:
	v_cvt_f32_ubyte0_e32 v3, v2
	v_lshrrev_b32_e32 v1, 23, v3
	s_movk_i32 s0, 0xff
	v_cmp_ne_u32_e32 vcc, s0, v1
	v_mov_b32_e32 v7, 0xff
	s_and_saveexec_b64 s[6:7], vcc
; %bb.1755:
	s_mov_b32 s0, 0x3fffff
	v_and_b32_e32 v7, 0x400000, v3
	v_and_or_b32 v3, v3, s0, v1
	v_cmp_ne_u32_e32 vcc, 0, v7
	v_cmp_ne_u32_e64 s[0:1], 0, v3
	s_and_b64 s[0:1], vcc, s[0:1]
	s_nop 0
	v_cndmask_b32_e64 v3, 0, 1, s[0:1]
	v_add_u32_e32 v7, v1, v3
; %bb.1756:
	s_or_b64 exec, exec, s[6:7]
	s_mov_b64 s[0:1], 0
	s_mov_b64 s[6:7], -1
	global_store_byte v[4:5], v7, off
.LBB280_1757:
	s_mov_b64 s[8:9], 0
.LBB280_1758:
	s_and_b64 vcc, exec, s[8:9]
	s_cbranch_vccz .LBB280_1761
; %bb.1759:
	s_cmp_eq_u32 s19, 29
	s_mov_b64 s[0:1], -1
	s_cbranch_scc0 .LBB280_1761
; %bb.1760:
	s_mov_b32 s0, 0
	v_mov_b32_e32 v3, s0
	global_store_dwordx2 v[4:5], v[2:3], off
	s_mov_b64 s[0:1], 0
	s_mov_b64 s[6:7], -1
.LBB280_1761:
	s_mov_b64 s[8:9], 0
.LBB280_1762:
	s_and_b64 vcc, exec, s[8:9]
	s_cbranch_vccz .LBB280_1778
; %bb.1763:
	s_cmp_lt_i32 s19, 27
	s_mov_b64 s[6:7], -1
	s_cbranch_scc1 .LBB280_1769
; %bb.1764:
	s_cmp_gt_i32 s19, 27
	s_cbranch_scc0 .LBB280_1766
; %bb.1765:
	s_mov_b64 s[6:7], 0
	global_store_dword v[4:5], v2, off
.LBB280_1766:
	s_andn2_b64 vcc, exec, s[6:7]
	s_cbranch_vccnz .LBB280_1768
; %bb.1767:
	global_store_short v[4:5], v2, off
.LBB280_1768:
	s_mov_b64 s[6:7], 0
.LBB280_1769:
	s_andn2_b64 vcc, exec, s[6:7]
	s_cbranch_vccnz .LBB280_1777
; %bb.1770:
	v_cvt_f32_ubyte0_e32 v3, v2
	s_mov_b32 s6, 0x43800000
	v_cmp_gt_u32_e32 vcc, s6, v3
	v_mov_b32_e32 v7, 0x80
	s_and_saveexec_b64 s[6:7], vcc
	s_cbranch_execz .LBB280_1776
; %bb.1771:
	s_mov_b32 s8, 0x3bffffff
	v_cmp_lt_u32_e32 vcc, s8, v3
	s_mov_b64 s[8:9], 0
                                        ; implicit-def: $vgpr1
	s_and_saveexec_b64 s[16:17], vcc
	s_xor_b64 s[16:17], exec, s[16:17]
	s_cbranch_execz .LBB280_1997
; %bb.1772:
	v_bfe_u32 v1, v3, 20, 1
	s_mov_b32 s23, 0x487ffff
	v_add3_u32 v1, v3, v1, s23
	s_mov_b64 s[8:9], exec
	v_lshrrev_b32_e32 v1, 20, v1
                                        ; implicit-def: $vgpr3
	s_andn2_saveexec_b64 s[16:17], s[16:17]
	s_cbranch_execnz .LBB280_1998
.LBB280_1773:
	s_or_b64 exec, exec, s[16:17]
	v_mov_b32_e32 v7, 0
	s_and_saveexec_b64 s[16:17], s[8:9]
.LBB280_1774:
	v_mov_b32_e32 v7, v1
.LBB280_1775:
	s_or_b64 exec, exec, s[16:17]
.LBB280_1776:
	s_or_b64 exec, exec, s[6:7]
	global_store_byte v[4:5], v7, off
.LBB280_1777:
	s_mov_b64 s[6:7], -1
.LBB280_1778:
	s_mov_b64 s[8:9], 0
.LBB280_1779:
	s_and_b64 vcc, exec, s[8:9]
	s_cbranch_vccz .LBB280_1819
; %bb.1780:
	s_cmp_gt_i32 s19, 22
	s_mov_b64 s[2:3], -1
	s_cbranch_scc0 .LBB280_1812
; %bb.1781:
	s_cmp_lt_i32 s19, 24
	s_cbranch_scc1 .LBB280_1801
; %bb.1782:
	s_cmp_gt_i32 s19, 24
	s_cbranch_scc0 .LBB280_1790
; %bb.1783:
	v_cvt_f32_ubyte0_e32 v3, v2
	s_mov_b32 s2, 0x47800000
	v_cmp_gt_u32_e32 vcc, s2, v3
	v_mov_b32_e32 v7, 0x80
	s_and_saveexec_b64 s[2:3], vcc
	s_cbranch_execz .LBB280_1789
; %bb.1784:
	s_mov_b32 s6, 0x37ffffff
	v_cmp_lt_u32_e32 vcc, s6, v3
	s_mov_b64 s[6:7], 0
                                        ; implicit-def: $vgpr1
	s_and_saveexec_b64 s[8:9], vcc
	s_xor_b64 s[8:9], exec, s[8:9]
	s_cbranch_execz .LBB280_2000
; %bb.1785:
	v_bfe_u32 v1, v3, 21, 1
	s_mov_b32 s16, 0x88fffff
	v_add3_u32 v1, v3, v1, s16
	s_mov_b64 s[6:7], exec
	v_lshrrev_b32_e32 v1, 21, v1
                                        ; implicit-def: $vgpr3
	s_andn2_saveexec_b64 s[8:9], s[8:9]
	s_cbranch_execnz .LBB280_2001
.LBB280_1786:
	s_or_b64 exec, exec, s[8:9]
	v_mov_b32_e32 v7, 0
	s_and_saveexec_b64 s[8:9], s[6:7]
.LBB280_1787:
	v_mov_b32_e32 v7, v1
.LBB280_1788:
	s_or_b64 exec, exec, s[8:9]
.LBB280_1789:
	s_or_b64 exec, exec, s[2:3]
	s_mov_b64 s[2:3], 0
	global_store_byte v[4:5], v7, off
.LBB280_1790:
	s_and_b64 vcc, exec, s[2:3]
	s_cbranch_vccz .LBB280_1800
; %bb.1791:
	v_cvt_f32_ubyte0_e32 v1, v2
	s_mov_b32 s2, 0x43f00000
	v_cmp_gt_u32_e32 vcc, s2, v1
                                        ; implicit-def: $vgpr3
	s_and_saveexec_b64 s[2:3], vcc
	s_xor_b64 s[2:3], exec, s[2:3]
	s_cbranch_execz .LBB280_1797
; %bb.1792:
	s_mov_b32 s6, 0x3c7fffff
	v_cmp_lt_u32_e32 vcc, s6, v1
                                        ; implicit-def: $vgpr3
	s_and_saveexec_b64 s[6:7], vcc
	s_xor_b64 s[6:7], exec, s[6:7]
; %bb.1793:
	v_bfe_u32 v3, v1, 20, 1
	s_mov_b32 s8, 0x407ffff
	v_add3_u32 v1, v1, v3, s8
	v_lshrrev_b32_e32 v3, 20, v1
	v_and_b32_e32 v1, 0xff00000, v1
	s_mov_b32 s8, 0x7f00000
	v_mov_b32_e32 v7, 0x7e
	v_cmp_ne_u32_e32 vcc, s8, v1
                                        ; implicit-def: $vgpr1
	s_nop 1
	v_cndmask_b32_e32 v3, v7, v3, vcc
; %bb.1794:
	s_andn2_saveexec_b64 s[6:7], s[6:7]
; %bb.1795:
	v_add_f32_e32 v3, 0x46800000, v1
; %bb.1796:
	s_or_b64 exec, exec, s[6:7]
                                        ; implicit-def: $vgpr1
.LBB280_1797:
	s_andn2_saveexec_b64 s[2:3], s[2:3]
; %bb.1798:
	s_mov_b32 s6, 0x7f800000
	v_mov_b32_e32 v3, 0x7e
	v_mov_b32_e32 v7, 0x7f
	v_cmp_lt_u32_e32 vcc, s6, v1
	s_nop 1
	v_cndmask_b32_e32 v3, v3, v7, vcc
; %bb.1799:
	s_or_b64 exec, exec, s[2:3]
	global_store_byte v[4:5], v3, off
.LBB280_1800:
	s_mov_b64 s[2:3], 0
.LBB280_1801:
	s_andn2_b64 vcc, exec, s[2:3]
	s_cbranch_vccnz .LBB280_1811
; %bb.1802:
	v_cvt_f32_ubyte0_e32 v1, v2
	s_mov_b32 s2, 0x47800000
	v_cmp_gt_u32_e32 vcc, s2, v1
                                        ; implicit-def: $vgpr3
	s_and_saveexec_b64 s[2:3], vcc
	s_xor_b64 s[2:3], exec, s[2:3]
	s_cbranch_execz .LBB280_1808
; %bb.1803:
	s_mov_b32 s6, 0x387fffff
	v_cmp_lt_u32_e32 vcc, s6, v1
                                        ; implicit-def: $vgpr3
	s_and_saveexec_b64 s[6:7], vcc
	s_xor_b64 s[6:7], exec, s[6:7]
; %bb.1804:
	v_bfe_u32 v3, v1, 21, 1
	s_mov_b32 s8, 0x80fffff
	v_add3_u32 v1, v1, v3, s8
	v_lshrrev_b32_e32 v3, 21, v1
                                        ; implicit-def: $vgpr1
; %bb.1805:
	s_andn2_saveexec_b64 s[6:7], s[6:7]
; %bb.1806:
	v_add_f32_e32 v3, 0x43000000, v1
; %bb.1807:
	s_or_b64 exec, exec, s[6:7]
                                        ; implicit-def: $vgpr1
.LBB280_1808:
	s_andn2_saveexec_b64 s[2:3], s[2:3]
; %bb.1809:
	s_mov_b32 s6, 0x7f800000
	v_mov_b32_e32 v3, 0x7c
	v_mov_b32_e32 v7, 0x7f
	v_cmp_lt_u32_e32 vcc, s6, v1
	s_nop 1
	v_cndmask_b32_e32 v3, v3, v7, vcc
; %bb.1810:
	s_or_b64 exec, exec, s[2:3]
	global_store_byte v[4:5], v3, off
.LBB280_1811:
	s_mov_b64 s[2:3], 0
	s_mov_b64 s[6:7], -1
.LBB280_1812:
	s_andn2_b64 vcc, exec, s[2:3]
	s_mov_b64 s[2:3], 0
	s_cbranch_vccnz .LBB280_1819
; %bb.1813:
	s_cmp_gt_i32 s19, 14
	s_mov_b64 s[8:9], -1
	s_cbranch_scc0 .LBB280_1817
; %bb.1814:
	s_cmp_eq_u32 s19, 15
	s_mov_b64 s[0:1], -1
	s_cbranch_scc0 .LBB280_1816
; %bb.1815:
	v_cvt_f32_ubyte0_e32 v1, v2
	v_bfe_u32 v3, v1, 16, 1
	s_movk_i32 s0, 0x7fff
	v_add3_u32 v1, v1, v3, s0
	global_store_short_d16_hi v[4:5], v1, off
	s_mov_b64 s[0:1], 0
	s_mov_b64 s[6:7], -1
.LBB280_1816:
	s_mov_b64 s[8:9], 0
.LBB280_1817:
	s_and_b64 vcc, exec, s[8:9]
	s_cbranch_vccz .LBB280_1819
; %bb.1818:
	s_cmp_lg_u32 s19, 11
	s_mov_b64 s[2:3], -1
	s_cselect_b64 s[0:1], -1, 0
.LBB280_1819:
	s_and_b64 vcc, exec, s[0:1]
	s_cbranch_vccnz .LBB280_1999
; %bb.1820:
	s_andn2_b64 vcc, exec, s[2:3]
	s_cbranch_vccnz .LBB280_1822
.LBB280_1821:
	v_cmp_ne_u16_e32 vcc, 0, v2
	s_mov_b64 s[6:7], -1
	s_nop 0
	v_cndmask_b32_e64 v1, 0, 1, vcc
	global_store_byte v[4:5], v1, off
.LBB280_1822:
	s_mov_b64 s[0:1], 0
	s_branch .LBB280_1824
.LBB280_1823:
	s_mov_b64 s[0:1], -1
	s_mov_b64 s[6:7], 0
.LBB280_1824:
	s_and_b64 vcc, exec, s[0:1]
	s_cbranch_vccz .LBB280_1863
; %bb.1825:
	s_and_b32 s2, 0xffff, s20
	s_cmp_lt_i32 s2, 5
	s_mov_b64 s[0:1], -1
	s_cbranch_scc1 .LBB280_1846
; %bb.1826:
	s_cmp_lt_i32 s2, 8
	s_cbranch_scc1 .LBB280_1836
; %bb.1827:
	s_cmp_lt_i32 s2, 9
	s_cbranch_scc1 .LBB280_1833
; %bb.1828:
	s_cmp_gt_i32 s2, 9
	s_cbranch_scc0 .LBB280_1830
; %bb.1829:
	v_mov_b32_e32 v10, 0
	v_cvt_f64_u32_e32 v[8:9], v2
	v_mov_b32_e32 v11, v10
	global_store_dwordx4 v[4:5], v[8:11], off
	s_mov_b64 s[0:1], 0
.LBB280_1830:
	s_andn2_b64 vcc, exec, s[0:1]
	s_cbranch_vccnz .LBB280_1832
; %bb.1831:
	v_cvt_f32_ubyte0_e32 v8, v2
	v_mov_b32_e32 v9, 0
	global_store_dwordx2 v[4:5], v[8:9], off
.LBB280_1832:
	s_mov_b64 s[0:1], 0
.LBB280_1833:
	s_andn2_b64 vcc, exec, s[0:1]
	s_cbranch_vccnz .LBB280_1835
; %bb.1834:
	v_cvt_f16_u16_e32 v1, v2
	global_store_dword v[4:5], v1, off
.LBB280_1835:
	s_mov_b64 s[0:1], 0
.LBB280_1836:
	s_andn2_b64 vcc, exec, s[0:1]
	s_cbranch_vccnz .LBB280_1845
; %bb.1837:
	s_cmp_lt_i32 s2, 6
	s_mov_b64 s[0:1], -1
	s_cbranch_scc1 .LBB280_1843
; %bb.1838:
	s_cmp_gt_i32 s2, 6
	s_cbranch_scc0 .LBB280_1840
; %bb.1839:
	v_cvt_f64_u32_e32 v[8:9], v2
	global_store_dwordx2 v[4:5], v[8:9], off
	s_mov_b64 s[0:1], 0
.LBB280_1840:
	s_andn2_b64 vcc, exec, s[0:1]
	s_cbranch_vccnz .LBB280_1842
; %bb.1841:
	v_cvt_f32_ubyte0_e32 v1, v2
	global_store_dword v[4:5], v1, off
.LBB280_1842:
	s_mov_b64 s[0:1], 0
.LBB280_1843:
	s_andn2_b64 vcc, exec, s[0:1]
	s_cbranch_vccnz .LBB280_1845
; %bb.1844:
	v_cvt_f16_u16_e32 v1, v2
	global_store_short v[4:5], v1, off
.LBB280_1845:
	s_mov_b64 s[0:1], 0
.LBB280_1846:
	s_andn2_b64 vcc, exec, s[0:1]
	s_cbranch_vccnz .LBB280_1862
; %bb.1847:
	s_cmp_lt_i32 s2, 2
	s_mov_b64 s[0:1], -1
	s_cbranch_scc1 .LBB280_1857
; %bb.1848:
	s_cmp_lt_i32 s2, 3
	s_cbranch_scc1 .LBB280_1854
; %bb.1849:
	s_cmp_gt_i32 s2, 3
	s_cbranch_scc0 .LBB280_1851
; %bb.1850:
	s_mov_b32 s0, 0
	v_mov_b32_e32 v3, s0
	global_store_dwordx2 v[4:5], v[2:3], off
	s_mov_b64 s[0:1], 0
.LBB280_1851:
	s_andn2_b64 vcc, exec, s[0:1]
	s_cbranch_vccnz .LBB280_1853
; %bb.1852:
	global_store_dword v[4:5], v2, off
.LBB280_1853:
	s_mov_b64 s[0:1], 0
.LBB280_1854:
	s_andn2_b64 vcc, exec, s[0:1]
	s_cbranch_vccnz .LBB280_1856
; %bb.1855:
	global_store_short v[4:5], v2, off
.LBB280_1856:
	s_mov_b64 s[0:1], 0
.LBB280_1857:
	s_andn2_b64 vcc, exec, s[0:1]
	s_cbranch_vccnz .LBB280_1862
; %bb.1858:
	s_cmp_gt_i32 s2, 0
	s_mov_b64 s[0:1], -1
	s_cbranch_scc0 .LBB280_1860
; %bb.1859:
	global_store_byte v[4:5], v2, off
	s_mov_b64 s[0:1], 0
.LBB280_1860:
	s_andn2_b64 vcc, exec, s[0:1]
	s_cbranch_vccnz .LBB280_1862
; %bb.1861:
	global_store_byte v[4:5], v2, off
.LBB280_1862:
	s_mov_b64 s[6:7], -1
.LBB280_1863:
	s_andn2_b64 vcc, exec, s[6:7]
	s_cbranch_vccnz .LBB280_1940
; %bb.1864:
	v_max_u16_sdwa v1, v6, s21 dst_sel:DWORD dst_unused:UNUSED_PAD src0_sel:BYTE_0 src1_sel:DWORD
	v_add_u32_e32 v0, s18, v0
	v_min_u16_e32 v2, s22, v1
	v_ashrrev_i32_e32 v1, 31, v0
	s_cmp_lt_i32 s20, 11
	v_lshl_add_u64 v[0:1], s[4:5], 0, v[0:1]
	s_cbranch_scc1 .LBB280_1985
; %bb.1865:
	s_and_b32 s16, 0xffff, s20
	s_mov_b64 s[4:5], -1
	s_mov_b64 s[2:3], 0
	s_cmp_gt_i32 s16, 25
	s_mov_b64 s[0:1], 0
	s_cbranch_scc0 .LBB280_1898
; %bb.1866:
	s_cmp_gt_i32 s16, 28
	s_cbranch_scc0 .LBB280_1882
; %bb.1867:
	s_cmp_gt_i32 s16, 43
	;; [unrolled: 3-line block ×3, first 2 shown]
	s_cbranch_scc0 .LBB280_1872
; %bb.1869:
	s_cmp_eq_u32 s16, 46
	s_mov_b64 s[0:1], -1
	s_cbranch_scc0 .LBB280_1871
; %bb.1870:
	v_cvt_f32_ubyte0_e32 v3, v2
	v_bfe_u32 v4, v3, 16, 1
	s_movk_i32 s0, 0x7fff
	v_add3_u32 v3, v3, v4, s0
	v_lshrrev_b32_e32 v3, 16, v3
	global_store_dword v[0:1], v3, off
	s_mov_b64 s[0:1], 0
.LBB280_1871:
	s_mov_b64 s[4:5], 0
.LBB280_1872:
	s_and_b64 vcc, exec, s[4:5]
	s_cbranch_vccz .LBB280_1877
; %bb.1873:
	s_cmp_eq_u32 s16, 44
	s_mov_b64 s[0:1], -1
	s_cbranch_scc0 .LBB280_1877
; %bb.1874:
	v_cvt_f32_ubyte0_e32 v4, v2
	v_lshrrev_b32_e32 v3, 23, v4
	s_movk_i32 s0, 0xff
	v_cmp_ne_u32_e32 vcc, s0, v3
	v_mov_b32_e32 v5, 0xff
	s_and_saveexec_b64 s[4:5], vcc
; %bb.1875:
	s_mov_b32 s0, 0x3fffff
	v_and_b32_e32 v5, 0x400000, v4
	v_and_or_b32 v4, v4, s0, v3
	v_cmp_ne_u32_e32 vcc, 0, v5
	v_cmp_ne_u32_e64 s[0:1], 0, v4
	s_and_b64 s[0:1], vcc, s[0:1]
	s_nop 0
	v_cndmask_b32_e64 v4, 0, 1, s[0:1]
	v_add_u32_e32 v5, v3, v4
; %bb.1876:
	s_or_b64 exec, exec, s[4:5]
	s_mov_b64 s[0:1], 0
	global_store_byte v[0:1], v5, off
.LBB280_1877:
	s_mov_b64 s[4:5], 0
.LBB280_1878:
	s_and_b64 vcc, exec, s[4:5]
	s_cbranch_vccz .LBB280_1881
; %bb.1879:
	s_cmp_eq_u32 s16, 29
	s_mov_b64 s[0:1], -1
	s_cbranch_scc0 .LBB280_1881
; %bb.1880:
	s_mov_b32 s0, 0
	v_mov_b32_e32 v3, s0
	global_store_dwordx2 v[0:1], v[2:3], off
	s_mov_b64 s[0:1], 0
.LBB280_1881:
	s_mov_b64 s[4:5], 0
.LBB280_1882:
	s_and_b64 vcc, exec, s[4:5]
	s_cbranch_vccz .LBB280_1897
; %bb.1883:
	s_cmp_lt_i32 s16, 27
	s_mov_b64 s[4:5], -1
	s_cbranch_scc1 .LBB280_1889
; %bb.1884:
	s_cmp_gt_i32 s16, 27
	s_cbranch_scc0 .LBB280_1886
; %bb.1885:
	global_store_dword v[0:1], v2, off
	s_mov_b64 s[4:5], 0
.LBB280_1886:
	s_andn2_b64 vcc, exec, s[4:5]
	s_cbranch_vccnz .LBB280_1888
; %bb.1887:
	global_store_short v[0:1], v2, off
.LBB280_1888:
	s_mov_b64 s[4:5], 0
.LBB280_1889:
	s_andn2_b64 vcc, exec, s[4:5]
	s_cbranch_vccnz .LBB280_1897
; %bb.1890:
	v_cvt_f32_ubyte0_e32 v4, v2
	s_mov_b32 s4, 0x43800000
	v_cmp_gt_u32_e32 vcc, s4, v4
	v_mov_b32_e32 v5, 0x80
	s_and_saveexec_b64 s[4:5], vcc
	s_cbranch_execz .LBB280_1896
; %bb.1891:
	s_mov_b32 s6, 0x3bffffff
	v_cmp_lt_u32_e32 vcc, s6, v4
	s_mov_b64 s[6:7], 0
                                        ; implicit-def: $vgpr3
	s_and_saveexec_b64 s[8:9], vcc
	s_xor_b64 s[8:9], exec, s[8:9]
	s_cbranch_execz .LBB280_2002
; %bb.1892:
	v_bfe_u32 v3, v4, 20, 1
	s_mov_b32 s17, 0x487ffff
	v_add3_u32 v3, v4, v3, s17
	s_mov_b64 s[6:7], exec
	v_lshrrev_b32_e32 v3, 20, v3
                                        ; implicit-def: $vgpr4
	s_andn2_saveexec_b64 s[8:9], s[8:9]
	s_cbranch_execnz .LBB280_2003
.LBB280_1893:
	s_or_b64 exec, exec, s[8:9]
	v_mov_b32_e32 v5, 0
	s_and_saveexec_b64 s[8:9], s[6:7]
.LBB280_1894:
	v_mov_b32_e32 v5, v3
.LBB280_1895:
	s_or_b64 exec, exec, s[8:9]
.LBB280_1896:
	s_or_b64 exec, exec, s[4:5]
	global_store_byte v[0:1], v5, off
.LBB280_1897:
	s_mov_b64 s[4:5], 0
.LBB280_1898:
	s_and_b64 vcc, exec, s[4:5]
	s_cbranch_vccz .LBB280_1938
; %bb.1899:
	s_cmp_gt_i32 s16, 22
	s_mov_b64 s[2:3], -1
	s_cbranch_scc0 .LBB280_1931
; %bb.1900:
	s_cmp_lt_i32 s16, 24
	s_cbranch_scc1 .LBB280_1920
; %bb.1901:
	s_cmp_gt_i32 s16, 24
	s_cbranch_scc0 .LBB280_1909
; %bb.1902:
	v_cvt_f32_ubyte0_e32 v4, v2
	s_mov_b32 s2, 0x47800000
	v_cmp_gt_u32_e32 vcc, s2, v4
	v_mov_b32_e32 v5, 0x80
	s_and_saveexec_b64 s[2:3], vcc
	s_cbranch_execz .LBB280_1908
; %bb.1903:
	s_mov_b32 s4, 0x37ffffff
	v_cmp_lt_u32_e32 vcc, s4, v4
	s_mov_b64 s[4:5], 0
                                        ; implicit-def: $vgpr3
	s_and_saveexec_b64 s[6:7], vcc
	s_xor_b64 s[6:7], exec, s[6:7]
	s_cbranch_execz .LBB280_2005
; %bb.1904:
	v_bfe_u32 v3, v4, 21, 1
	s_mov_b32 s8, 0x88fffff
	v_add3_u32 v3, v4, v3, s8
	s_mov_b64 s[4:5], exec
	v_lshrrev_b32_e32 v3, 21, v3
                                        ; implicit-def: $vgpr4
	s_andn2_saveexec_b64 s[6:7], s[6:7]
	s_cbranch_execnz .LBB280_2006
.LBB280_1905:
	s_or_b64 exec, exec, s[6:7]
	v_mov_b32_e32 v5, 0
	s_and_saveexec_b64 s[6:7], s[4:5]
.LBB280_1906:
	v_mov_b32_e32 v5, v3
.LBB280_1907:
	s_or_b64 exec, exec, s[6:7]
.LBB280_1908:
	s_or_b64 exec, exec, s[2:3]
	s_mov_b64 s[2:3], 0
	global_store_byte v[0:1], v5, off
.LBB280_1909:
	s_and_b64 vcc, exec, s[2:3]
	s_cbranch_vccz .LBB280_1919
; %bb.1910:
	v_cvt_f32_ubyte0_e32 v3, v2
	s_mov_b32 s2, 0x43f00000
	v_cmp_gt_u32_e32 vcc, s2, v3
                                        ; implicit-def: $vgpr4
	s_and_saveexec_b64 s[2:3], vcc
	s_xor_b64 s[2:3], exec, s[2:3]
	s_cbranch_execz .LBB280_1916
; %bb.1911:
	s_mov_b32 s4, 0x3c7fffff
	v_cmp_lt_u32_e32 vcc, s4, v3
                                        ; implicit-def: $vgpr4
	s_and_saveexec_b64 s[4:5], vcc
	s_xor_b64 s[4:5], exec, s[4:5]
; %bb.1912:
	v_bfe_u32 v4, v3, 20, 1
	s_mov_b32 s6, 0x407ffff
	v_add3_u32 v3, v3, v4, s6
	v_lshrrev_b32_e32 v4, 20, v3
	v_and_b32_e32 v3, 0xff00000, v3
	s_mov_b32 s6, 0x7f00000
	v_mov_b32_e32 v5, 0x7e
	v_cmp_ne_u32_e32 vcc, s6, v3
                                        ; implicit-def: $vgpr3
	s_nop 1
	v_cndmask_b32_e32 v4, v5, v4, vcc
; %bb.1913:
	s_andn2_saveexec_b64 s[4:5], s[4:5]
; %bb.1914:
	v_add_f32_e32 v4, 0x46800000, v3
; %bb.1915:
	s_or_b64 exec, exec, s[4:5]
                                        ; implicit-def: $vgpr3
.LBB280_1916:
	s_andn2_saveexec_b64 s[2:3], s[2:3]
; %bb.1917:
	s_mov_b32 s4, 0x7f800000
	v_mov_b32_e32 v4, 0x7e
	v_mov_b32_e32 v5, 0x7f
	v_cmp_lt_u32_e32 vcc, s4, v3
	s_nop 1
	v_cndmask_b32_e32 v4, v4, v5, vcc
; %bb.1918:
	s_or_b64 exec, exec, s[2:3]
	global_store_byte v[0:1], v4, off
.LBB280_1919:
	s_mov_b64 s[2:3], 0
.LBB280_1920:
	s_andn2_b64 vcc, exec, s[2:3]
	s_cbranch_vccnz .LBB280_1930
; %bb.1921:
	v_cvt_f32_ubyte0_e32 v3, v2
	s_mov_b32 s2, 0x47800000
	v_cmp_gt_u32_e32 vcc, s2, v3
                                        ; implicit-def: $vgpr4
	s_and_saveexec_b64 s[2:3], vcc
	s_xor_b64 s[2:3], exec, s[2:3]
	s_cbranch_execz .LBB280_1927
; %bb.1922:
	s_mov_b32 s4, 0x387fffff
	v_cmp_lt_u32_e32 vcc, s4, v3
                                        ; implicit-def: $vgpr4
	s_and_saveexec_b64 s[4:5], vcc
	s_xor_b64 s[4:5], exec, s[4:5]
; %bb.1923:
	v_bfe_u32 v4, v3, 21, 1
	s_mov_b32 s6, 0x80fffff
	v_add3_u32 v3, v3, v4, s6
	v_lshrrev_b32_e32 v4, 21, v3
                                        ; implicit-def: $vgpr3
; %bb.1924:
	s_andn2_saveexec_b64 s[4:5], s[4:5]
; %bb.1925:
	v_add_f32_e32 v4, 0x43000000, v3
; %bb.1926:
	s_or_b64 exec, exec, s[4:5]
                                        ; implicit-def: $vgpr3
.LBB280_1927:
	s_andn2_saveexec_b64 s[2:3], s[2:3]
; %bb.1928:
	s_mov_b32 s4, 0x7f800000
	v_mov_b32_e32 v4, 0x7c
	v_mov_b32_e32 v5, 0x7f
	v_cmp_lt_u32_e32 vcc, s4, v3
	s_nop 1
	v_cndmask_b32_e32 v4, v4, v5, vcc
; %bb.1929:
	s_or_b64 exec, exec, s[2:3]
	global_store_byte v[0:1], v4, off
.LBB280_1930:
	s_mov_b64 s[2:3], 0
.LBB280_1931:
	s_andn2_b64 vcc, exec, s[2:3]
	s_mov_b64 s[2:3], 0
	s_cbranch_vccnz .LBB280_1938
; %bb.1932:
	s_cmp_gt_i32 s16, 14
	s_mov_b64 s[4:5], -1
	s_cbranch_scc0 .LBB280_1936
; %bb.1933:
	s_cmp_eq_u32 s16, 15
	s_mov_b64 s[0:1], -1
	s_cbranch_scc0 .LBB280_1935
; %bb.1934:
	v_cvt_f32_ubyte0_e32 v3, v2
	v_bfe_u32 v4, v3, 16, 1
	s_movk_i32 s0, 0x7fff
	v_add3_u32 v3, v3, v4, s0
	global_store_short_d16_hi v[0:1], v3, off
	s_mov_b64 s[0:1], 0
.LBB280_1935:
	s_mov_b64 s[4:5], 0
.LBB280_1936:
	s_and_b64 vcc, exec, s[4:5]
	s_cbranch_vccz .LBB280_1938
; %bb.1937:
	s_cmp_lg_u32 s16, 11
	s_mov_b64 s[2:3], -1
	s_cselect_b64 s[0:1], -1, 0
.LBB280_1938:
	s_and_b64 vcc, exec, s[0:1]
	s_cbranch_vccnz .LBB280_2004
.LBB280_1939:
	s_mov_b64 s[0:1], 0
	s_branch .LBB280_1941
.LBB280_1940:
	s_mov_b64 s[0:1], 0
	s_mov_b64 s[2:3], 0
                                        ; implicit-def: $sgpr20
                                        ; implicit-def: $vgpr0_vgpr1
                                        ; implicit-def: $vgpr2
.LBB280_1941:
	s_andn2_b64 s[4:5], s[12:13], exec
	s_and_b64 s[6:7], s[14:15], exec
	s_and_b64 s[0:1], s[0:1], exec
	s_and_b64 s[2:3], s[2:3], exec
	s_or_b64 s[12:13], s[4:5], s[6:7]
.LBB280_1942:
	s_or_b64 exec, exec, s[10:11]
	s_and_saveexec_b64 s[4:5], s[12:13]
	s_cbranch_execz .LBB280_1945
; %bb.1943:
	; divergent unreachable
	s_or_b64 exec, exec, s[4:5]
	s_and_saveexec_b64 s[4:5], s[2:3]
	s_xor_b64 s[2:3], exec, s[4:5]
	s_cbranch_execnz .LBB280_1946
.LBB280_1944:
	s_or_b64 exec, exec, s[2:3]
	s_and_saveexec_b64 s[2:3], s[0:1]
	s_cbranch_execnz .LBB280_1947
	s_branch .LBB280_1984
.LBB280_1945:
	s_or_b64 exec, exec, s[4:5]
	s_and_saveexec_b64 s[4:5], s[2:3]
	s_xor_b64 s[2:3], exec, s[4:5]
	s_cbranch_execz .LBB280_1944
.LBB280_1946:
	s_waitcnt vmcnt(0)
	v_mov_b32_e32 v3, 0
	v_cmp_ne_u16_sdwa s[4:5], v2, v3 src0_sel:BYTE_0 src1_sel:DWORD
	s_nop 1
	v_cndmask_b32_e64 v3, 0, 1, s[4:5]
	global_store_byte v[0:1], v3, off
	s_or_b64 exec, exec, s[2:3]
	s_and_saveexec_b64 s[2:3], s[0:1]
	s_cbranch_execz .LBB280_1984
.LBB280_1947:
	s_sext_i32_i16 s2, s20
	s_cmp_lt_i32 s2, 5
	s_mov_b64 s[0:1], -1
	s_cbranch_scc1 .LBB280_1968
; %bb.1948:
	s_cmp_lt_i32 s2, 8
	s_cbranch_scc1 .LBB280_1958
; %bb.1949:
	s_cmp_lt_i32 s2, 9
	s_cbranch_scc1 .LBB280_1955
; %bb.1950:
	s_cmp_gt_i32 s2, 9
	s_cbranch_scc0 .LBB280_1952
; %bb.1951:
	s_mov_b32 s0, 0xffff
	s_waitcnt vmcnt(0)
	v_and_b32_sdwa v3, s0, v2 dst_sel:DWORD dst_unused:UNUSED_PAD src0_sel:DWORD src1_sel:BYTE_0
	v_mov_b32_e32 v6, 0
	v_cvt_f64_u32_e32 v[4:5], v3
	v_mov_b32_e32 v7, v6
	global_store_dwordx4 v[0:1], v[4:7], off
	s_mov_b64 s[0:1], 0
.LBB280_1952:
	s_andn2_b64 vcc, exec, s[0:1]
	s_cbranch_vccnz .LBB280_1954
; %bb.1953:
	s_waitcnt vmcnt(0)
	v_cvt_f32_ubyte0_e32 v4, v2
	v_mov_b32_e32 v5, 0
	global_store_dwordx2 v[0:1], v[4:5], off
.LBB280_1954:
	s_mov_b64 s[0:1], 0
.LBB280_1955:
	s_andn2_b64 vcc, exec, s[0:1]
	s_cbranch_vccnz .LBB280_1957
; %bb.1956:
	s_waitcnt vmcnt(0)
	v_cvt_f16_u16_sdwa v3, v2 dst_sel:DWORD dst_unused:UNUSED_PAD src0_sel:BYTE_0
	global_store_dword v[0:1], v3, off
.LBB280_1957:
	s_mov_b64 s[0:1], 0
.LBB280_1958:
	s_andn2_b64 vcc, exec, s[0:1]
	s_cbranch_vccnz .LBB280_1967
; %bb.1959:
	s_sext_i32_i16 s2, s20
	s_cmp_lt_i32 s2, 6
	s_mov_b64 s[0:1], -1
	s_cbranch_scc1 .LBB280_1965
; %bb.1960:
	s_cmp_gt_i32 s2, 6
	s_cbranch_scc0 .LBB280_1962
; %bb.1961:
	s_mov_b32 s0, 0xffff
	s_waitcnt vmcnt(0)
	v_and_b32_sdwa v3, s0, v2 dst_sel:DWORD dst_unused:UNUSED_PAD src0_sel:DWORD src1_sel:BYTE_0
	v_cvt_f64_u32_e32 v[4:5], v3
	global_store_dwordx2 v[0:1], v[4:5], off
	s_mov_b64 s[0:1], 0
.LBB280_1962:
	s_andn2_b64 vcc, exec, s[0:1]
	s_cbranch_vccnz .LBB280_1964
; %bb.1963:
	s_waitcnt vmcnt(0)
	v_cvt_f32_ubyte0_e32 v3, v2
	global_store_dword v[0:1], v3, off
.LBB280_1964:
	s_mov_b64 s[0:1], 0
.LBB280_1965:
	s_andn2_b64 vcc, exec, s[0:1]
	s_cbranch_vccnz .LBB280_1967
; %bb.1966:
	s_waitcnt vmcnt(0)
	v_cvt_f16_u16_sdwa v3, v2 dst_sel:DWORD dst_unused:UNUSED_PAD src0_sel:BYTE_0
	global_store_short v[0:1], v3, off
.LBB280_1967:
	s_mov_b64 s[0:1], 0
.LBB280_1968:
	s_andn2_b64 vcc, exec, s[0:1]
	s_cbranch_vccnz .LBB280_1984
; %bb.1969:
	s_sext_i32_i16 s2, s20
	s_cmp_lt_i32 s2, 2
	s_mov_b64 s[0:1], -1
	s_cbranch_scc1 .LBB280_1979
; %bb.1970:
	s_cmp_lt_i32 s2, 3
	s_cbranch_scc1 .LBB280_1976
; %bb.1971:
	s_cmp_gt_i32 s2, 3
	s_cbranch_scc0 .LBB280_1973
; %bb.1972:
	s_waitcnt vmcnt(0)
	v_and_b32_e32 v4, 0xff, v2
	v_mov_b32_e32 v5, 0
	global_store_dwordx2 v[0:1], v[4:5], off
	s_mov_b64 s[0:1], 0
.LBB280_1973:
	s_andn2_b64 vcc, exec, s[0:1]
	s_cbranch_vccnz .LBB280_1975
; %bb.1974:
	s_waitcnt vmcnt(0)
	v_and_b32_e32 v3, 0xff, v2
	global_store_dword v[0:1], v3, off
.LBB280_1975:
	s_mov_b64 s[0:1], 0
.LBB280_1976:
	s_andn2_b64 vcc, exec, s[0:1]
	s_cbranch_vccnz .LBB280_1978
; %bb.1977:
	s_waitcnt vmcnt(0)
	v_and_b32_e32 v3, 0xff, v2
	global_store_short v[0:1], v3, off
.LBB280_1978:
	s_mov_b64 s[0:1], 0
.LBB280_1979:
	s_andn2_b64 vcc, exec, s[0:1]
	s_cbranch_vccnz .LBB280_1984
; %bb.1980:
	s_sext_i32_i16 s0, s20
	s_cmp_gt_i32 s0, 0
	s_mov_b64 s[0:1], -1
	s_cbranch_scc0 .LBB280_1982
; %bb.1981:
	s_waitcnt vmcnt(0)
	global_store_byte v[0:1], v2, off
	s_mov_b64 s[0:1], 0
.LBB280_1982:
	s_andn2_b64 vcc, exec, s[0:1]
	s_cbranch_vccnz .LBB280_1984
; %bb.1983:
	s_waitcnt vmcnt(0)
	global_store_byte v[0:1], v2, off
	s_endpgm
.LBB280_1984:
	s_endpgm
.LBB280_1985:
	s_mov_b64 s[2:3], 0
	s_mov_b64 s[0:1], -1
	s_branch .LBB280_1941
.LBB280_1986:
	s_trap 2
	s_or_b64 s[14:15], s[14:15], exec
	s_cbranch_execz .LBB280_1455
	s_branch .LBB280_1456
.LBB280_1987:
	s_andn2_saveexec_b64 s[18:19], s[18:19]
	s_cbranch_execz .LBB280_1535
.LBB280_1988:
	v_add_f32_e32 v1, 0x46000000, v3
	v_and_b32_e32 v1, 0xff, v1
	v_cmp_ne_u32_e32 vcc, 0, v1
	s_andn2_b64 s[16:17], s[16:17], exec
	s_and_b64 s[24:25], vcc, exec
	s_or_b64 s[16:17], s[16:17], s[24:25]
	s_or_b64 exec, exec, s[18:19]
	v_mov_b32_e32 v5, 0
	s_and_saveexec_b64 s[18:19], s[16:17]
	s_cbranch_execnz .LBB280_1536
	s_branch .LBB280_1537
.LBB280_1989:
	s_trap 2
	s_or_b64 s[14:15], s[14:15], exec
	s_cbranch_execz .LBB280_1583
	s_branch .LBB280_1584
.LBB280_1990:
	s_andn2_saveexec_b64 s[16:17], s[16:17]
	s_cbranch_execz .LBB280_1548
.LBB280_1991:
	v_add_f32_e32 v1, 0x42800000, v3
	v_and_b32_e32 v1, 0xff, v1
	v_cmp_ne_u32_e32 vcc, 0, v1
	s_andn2_b64 s[6:7], s[6:7], exec
	s_and_b64 s[18:19], vcc, exec
	s_or_b64 s[6:7], s[6:7], s[18:19]
	s_or_b64 exec, exec, s[16:17]
	v_mov_b32_e32 v5, 0
	s_and_saveexec_b64 s[16:17], s[6:7]
	s_cbranch_execnz .LBB280_1549
	s_branch .LBB280_1550
.LBB280_1992:
	s_andn2_saveexec_b64 s[16:17], s[16:17]
	s_cbranch_execz .LBB280_1654
.LBB280_1993:
	v_add_f32_e32 v1, 0x46000000, v3
	v_and_b32_e32 v1, 0xff, v1
	v_cmp_ne_u32_e32 vcc, 0, v1
	s_andn2_b64 s[8:9], s[8:9], exec
	s_and_b64 s[24:25], vcc, exec
	s_or_b64 s[8:9], s[8:9], s[24:25]
	s_or_b64 exec, exec, s[16:17]
	v_mov_b32_e32 v5, 0
	s_and_saveexec_b64 s[16:17], s[8:9]
	s_cbranch_execnz .LBB280_1655
	s_branch .LBB280_1656
.LBB280_1994:
	s_trap 2
	s_or_b64 s[14:15], s[14:15], exec
	s_cbranch_execz .LBB280_1702
	s_branch .LBB280_1703
.LBB280_1995:
	s_andn2_saveexec_b64 s[8:9], s[8:9]
	s_cbranch_execz .LBB280_1667
.LBB280_1996:
	v_add_f32_e32 v1, 0x42800000, v3
	v_and_b32_e32 v1, 0xff, v1
	v_cmp_ne_u32_e32 vcc, 0, v1
	s_andn2_b64 s[6:7], s[6:7], exec
	s_and_b64 s[16:17], vcc, exec
	s_or_b64 s[6:7], s[6:7], s[16:17]
	s_or_b64 exec, exec, s[8:9]
	v_mov_b32_e32 v5, 0
	s_and_saveexec_b64 s[8:9], s[6:7]
	s_cbranch_execnz .LBB280_1668
	s_branch .LBB280_1669
.LBB280_1997:
	s_andn2_saveexec_b64 s[16:17], s[16:17]
	s_cbranch_execz .LBB280_1773
.LBB280_1998:
	v_add_f32_e32 v1, 0x46000000, v3
	v_and_b32_e32 v1, 0xff, v1
	v_cmp_ne_u32_e32 vcc, 0, v1
	s_andn2_b64 s[8:9], s[8:9], exec
	s_and_b64 s[24:25], vcc, exec
	s_or_b64 s[8:9], s[8:9], s[24:25]
	s_or_b64 exec, exec, s[16:17]
	v_mov_b32_e32 v7, 0
	s_and_saveexec_b64 s[16:17], s[8:9]
	s_cbranch_execnz .LBB280_1774
	s_branch .LBB280_1775
.LBB280_1999:
	s_trap 2
	s_or_b64 s[14:15], s[14:15], exec
	s_cbranch_execz .LBB280_1821
	s_branch .LBB280_1822
.LBB280_2000:
	s_andn2_saveexec_b64 s[8:9], s[8:9]
	s_cbranch_execz .LBB280_1786
.LBB280_2001:
	v_add_f32_e32 v1, 0x42800000, v3
	v_and_b32_e32 v1, 0xff, v1
	v_cmp_ne_u32_e32 vcc, 0, v1
	s_andn2_b64 s[6:7], s[6:7], exec
	s_and_b64 s[16:17], vcc, exec
	s_or_b64 s[6:7], s[6:7], s[16:17]
	s_or_b64 exec, exec, s[8:9]
	v_mov_b32_e32 v7, 0
	s_and_saveexec_b64 s[8:9], s[6:7]
	s_cbranch_execnz .LBB280_1787
	s_branch .LBB280_1788
.LBB280_2002:
	s_andn2_saveexec_b64 s[8:9], s[8:9]
	s_cbranch_execz .LBB280_1893
.LBB280_2003:
	v_add_f32_e32 v3, 0x46000000, v4
	v_and_b32_e32 v3, 0xff, v3
	v_cmp_ne_u32_e32 vcc, 0, v3
	s_andn2_b64 s[6:7], s[6:7], exec
	s_and_b64 s[18:19], vcc, exec
	s_or_b64 s[6:7], s[6:7], s[18:19]
	s_or_b64 exec, exec, s[8:9]
	v_mov_b32_e32 v5, 0
	s_and_saveexec_b64 s[8:9], s[6:7]
	s_cbranch_execnz .LBB280_1894
	s_branch .LBB280_1895
.LBB280_2004:
	s_mov_b64 s[2:3], 0
	s_or_b64 s[14:15], s[14:15], exec
	s_trap 2
	s_branch .LBB280_1939
.LBB280_2005:
	s_andn2_saveexec_b64 s[6:7], s[6:7]
	s_cbranch_execz .LBB280_1905
.LBB280_2006:
	v_add_f32_e32 v3, 0x42800000, v4
	v_and_b32_e32 v3, 0xff, v3
	v_cmp_ne_u32_e32 vcc, 0, v3
	s_andn2_b64 s[4:5], s[4:5], exec
	s_and_b64 s[8:9], vcc, exec
	s_or_b64 s[4:5], s[4:5], s[8:9]
	s_or_b64 exec, exec, s[6:7]
	v_mov_b32_e32 v5, 0
	s_and_saveexec_b64 s[6:7], s[4:5]
	s_cbranch_execnz .LBB280_1906
	s_branch .LBB280_1907
	.section	.rodata,"a",@progbits
	.p2align	6, 0x0
	.amdhsa_kernel _ZN2at6native32elementwise_kernel_manual_unrollILi128ELi4EZNS0_15gpu_kernel_implIZZZNS0_17clamp_kernel_cudaERNS_18TensorIteratorBaseERKN3c106ScalarES8_ENKUlvE_clEvENKUlvE_clEvEUlhE_EEvS4_RKT_EUlibE_EEviT1_
		.amdhsa_group_segment_fixed_size 0
		.amdhsa_private_segment_fixed_size 0
		.amdhsa_kernarg_size 40
		.amdhsa_user_sgpr_count 2
		.amdhsa_user_sgpr_dispatch_ptr 0
		.amdhsa_user_sgpr_queue_ptr 0
		.amdhsa_user_sgpr_kernarg_segment_ptr 1
		.amdhsa_user_sgpr_dispatch_id 0
		.amdhsa_user_sgpr_kernarg_preload_length 0
		.amdhsa_user_sgpr_kernarg_preload_offset 0
		.amdhsa_user_sgpr_private_segment_size 0
		.amdhsa_uses_dynamic_stack 0
		.amdhsa_enable_private_segment 0
		.amdhsa_system_sgpr_workgroup_id_x 1
		.amdhsa_system_sgpr_workgroup_id_y 0
		.amdhsa_system_sgpr_workgroup_id_z 0
		.amdhsa_system_sgpr_workgroup_info 0
		.amdhsa_system_vgpr_workitem_id 0
		.amdhsa_next_free_vgpr 16
		.amdhsa_next_free_sgpr 48
		.amdhsa_accum_offset 16
		.amdhsa_reserve_vcc 1
		.amdhsa_float_round_mode_32 0
		.amdhsa_float_round_mode_16_64 0
		.amdhsa_float_denorm_mode_32 3
		.amdhsa_float_denorm_mode_16_64 3
		.amdhsa_dx10_clamp 1
		.amdhsa_ieee_mode 1
		.amdhsa_fp16_overflow 0
		.amdhsa_tg_split 0
		.amdhsa_exception_fp_ieee_invalid_op 0
		.amdhsa_exception_fp_denorm_src 0
		.amdhsa_exception_fp_ieee_div_zero 0
		.amdhsa_exception_fp_ieee_overflow 0
		.amdhsa_exception_fp_ieee_underflow 0
		.amdhsa_exception_fp_ieee_inexact 0
		.amdhsa_exception_int_div_zero 0
	.end_amdhsa_kernel
	.section	.text._ZN2at6native32elementwise_kernel_manual_unrollILi128ELi4EZNS0_15gpu_kernel_implIZZZNS0_17clamp_kernel_cudaERNS_18TensorIteratorBaseERKN3c106ScalarES8_ENKUlvE_clEvENKUlvE_clEvEUlhE_EEvS4_RKT_EUlibE_EEviT1_,"axG",@progbits,_ZN2at6native32elementwise_kernel_manual_unrollILi128ELi4EZNS0_15gpu_kernel_implIZZZNS0_17clamp_kernel_cudaERNS_18TensorIteratorBaseERKN3c106ScalarES8_ENKUlvE_clEvENKUlvE_clEvEUlhE_EEvS4_RKT_EUlibE_EEviT1_,comdat
.Lfunc_end280:
	.size	_ZN2at6native32elementwise_kernel_manual_unrollILi128ELi4EZNS0_15gpu_kernel_implIZZZNS0_17clamp_kernel_cudaERNS_18TensorIteratorBaseERKN3c106ScalarES8_ENKUlvE_clEvENKUlvE_clEvEUlhE_EEvS4_RKT_EUlibE_EEviT1_, .Lfunc_end280-_ZN2at6native32elementwise_kernel_manual_unrollILi128ELi4EZNS0_15gpu_kernel_implIZZZNS0_17clamp_kernel_cudaERNS_18TensorIteratorBaseERKN3c106ScalarES8_ENKUlvE_clEvENKUlvE_clEvEUlhE_EEvS4_RKT_EUlibE_EEviT1_
                                        ; -- End function
	.set _ZN2at6native32elementwise_kernel_manual_unrollILi128ELi4EZNS0_15gpu_kernel_implIZZZNS0_17clamp_kernel_cudaERNS_18TensorIteratorBaseERKN3c106ScalarES8_ENKUlvE_clEvENKUlvE_clEvEUlhE_EEvS4_RKT_EUlibE_EEviT1_.num_vgpr, 16
	.set _ZN2at6native32elementwise_kernel_manual_unrollILi128ELi4EZNS0_15gpu_kernel_implIZZZNS0_17clamp_kernel_cudaERNS_18TensorIteratorBaseERKN3c106ScalarES8_ENKUlvE_clEvENKUlvE_clEvEUlhE_EEvS4_RKT_EUlibE_EEviT1_.num_agpr, 0
	.set _ZN2at6native32elementwise_kernel_manual_unrollILi128ELi4EZNS0_15gpu_kernel_implIZZZNS0_17clamp_kernel_cudaERNS_18TensorIteratorBaseERKN3c106ScalarES8_ENKUlvE_clEvENKUlvE_clEvEUlhE_EEvS4_RKT_EUlibE_EEviT1_.numbered_sgpr, 48
	.set _ZN2at6native32elementwise_kernel_manual_unrollILi128ELi4EZNS0_15gpu_kernel_implIZZZNS0_17clamp_kernel_cudaERNS_18TensorIteratorBaseERKN3c106ScalarES8_ENKUlvE_clEvENKUlvE_clEvEUlhE_EEvS4_RKT_EUlibE_EEviT1_.num_named_barrier, 0
	.set _ZN2at6native32elementwise_kernel_manual_unrollILi128ELi4EZNS0_15gpu_kernel_implIZZZNS0_17clamp_kernel_cudaERNS_18TensorIteratorBaseERKN3c106ScalarES8_ENKUlvE_clEvENKUlvE_clEvEUlhE_EEvS4_RKT_EUlibE_EEviT1_.private_seg_size, 0
	.set _ZN2at6native32elementwise_kernel_manual_unrollILi128ELi4EZNS0_15gpu_kernel_implIZZZNS0_17clamp_kernel_cudaERNS_18TensorIteratorBaseERKN3c106ScalarES8_ENKUlvE_clEvENKUlvE_clEvEUlhE_EEvS4_RKT_EUlibE_EEviT1_.uses_vcc, 1
	.set _ZN2at6native32elementwise_kernel_manual_unrollILi128ELi4EZNS0_15gpu_kernel_implIZZZNS0_17clamp_kernel_cudaERNS_18TensorIteratorBaseERKN3c106ScalarES8_ENKUlvE_clEvENKUlvE_clEvEUlhE_EEvS4_RKT_EUlibE_EEviT1_.uses_flat_scratch, 0
	.set _ZN2at6native32elementwise_kernel_manual_unrollILi128ELi4EZNS0_15gpu_kernel_implIZZZNS0_17clamp_kernel_cudaERNS_18TensorIteratorBaseERKN3c106ScalarES8_ENKUlvE_clEvENKUlvE_clEvEUlhE_EEvS4_RKT_EUlibE_EEviT1_.has_dyn_sized_stack, 0
	.set _ZN2at6native32elementwise_kernel_manual_unrollILi128ELi4EZNS0_15gpu_kernel_implIZZZNS0_17clamp_kernel_cudaERNS_18TensorIteratorBaseERKN3c106ScalarES8_ENKUlvE_clEvENKUlvE_clEvEUlhE_EEvS4_RKT_EUlibE_EEviT1_.has_recursion, 0
	.set _ZN2at6native32elementwise_kernel_manual_unrollILi128ELi4EZNS0_15gpu_kernel_implIZZZNS0_17clamp_kernel_cudaERNS_18TensorIteratorBaseERKN3c106ScalarES8_ENKUlvE_clEvENKUlvE_clEvEUlhE_EEvS4_RKT_EUlibE_EEviT1_.has_indirect_call, 0
	.section	.AMDGPU.csdata,"",@progbits
; Kernel info:
; codeLenInByte = 32884
; TotalNumSgprs: 54
; NumVgprs: 16
; NumAgprs: 0
; TotalNumVgprs: 16
; ScratchSize: 0
; MemoryBound: 1
; FloatMode: 240
; IeeeMode: 1
; LDSByteSize: 0 bytes/workgroup (compile time only)
; SGPRBlocks: 6
; VGPRBlocks: 1
; NumSGPRsForWavesPerEU: 54
; NumVGPRsForWavesPerEU: 16
; AccumOffset: 16
; Occupancy: 8
; WaveLimiterHint : 0
; COMPUTE_PGM_RSRC2:SCRATCH_EN: 0
; COMPUTE_PGM_RSRC2:USER_SGPR: 2
; COMPUTE_PGM_RSRC2:TRAP_HANDLER: 0
; COMPUTE_PGM_RSRC2:TGID_X_EN: 1
; COMPUTE_PGM_RSRC2:TGID_Y_EN: 0
; COMPUTE_PGM_RSRC2:TGID_Z_EN: 0
; COMPUTE_PGM_RSRC2:TIDIG_COMP_CNT: 0
; COMPUTE_PGM_RSRC3_GFX90A:ACCUM_OFFSET: 3
; COMPUTE_PGM_RSRC3_GFX90A:TG_SPLIT: 0
	.section	.text._ZN2at6native32elementwise_kernel_manual_unrollILi128ELi4EZNS0_15gpu_kernel_implIZZZNS0_17clamp_kernel_cudaERNS_18TensorIteratorBaseERKN3c106ScalarES8_ENKUlvE_clEvENKUlvE_clEvEUlhE_EEvS4_RKT_EUlibE0_EEviT1_,"axG",@progbits,_ZN2at6native32elementwise_kernel_manual_unrollILi128ELi4EZNS0_15gpu_kernel_implIZZZNS0_17clamp_kernel_cudaERNS_18TensorIteratorBaseERKN3c106ScalarES8_ENKUlvE_clEvENKUlvE_clEvEUlhE_EEvS4_RKT_EUlibE0_EEviT1_,comdat
	.globl	_ZN2at6native32elementwise_kernel_manual_unrollILi128ELi4EZNS0_15gpu_kernel_implIZZZNS0_17clamp_kernel_cudaERNS_18TensorIteratorBaseERKN3c106ScalarES8_ENKUlvE_clEvENKUlvE_clEvEUlhE_EEvS4_RKT_EUlibE0_EEviT1_ ; -- Begin function _ZN2at6native32elementwise_kernel_manual_unrollILi128ELi4EZNS0_15gpu_kernel_implIZZZNS0_17clamp_kernel_cudaERNS_18TensorIteratorBaseERKN3c106ScalarES8_ENKUlvE_clEvENKUlvE_clEvEUlhE_EEvS4_RKT_EUlibE0_EEviT1_
	.p2align	8
	.type	_ZN2at6native32elementwise_kernel_manual_unrollILi128ELi4EZNS0_15gpu_kernel_implIZZZNS0_17clamp_kernel_cudaERNS_18TensorIteratorBaseERKN3c106ScalarES8_ENKUlvE_clEvENKUlvE_clEvEUlhE_EEvS4_RKT_EUlibE0_EEviT1_,@function
_ZN2at6native32elementwise_kernel_manual_unrollILi128ELi4EZNS0_15gpu_kernel_implIZZZNS0_17clamp_kernel_cudaERNS_18TensorIteratorBaseERKN3c106ScalarES8_ENKUlvE_clEvENKUlvE_clEvEUlhE_EEvS4_RKT_EUlibE0_EEviT1_: ; @_ZN2at6native32elementwise_kernel_manual_unrollILi128ELi4EZNS0_15gpu_kernel_implIZZZNS0_17clamp_kernel_cudaERNS_18TensorIteratorBaseERKN3c106ScalarES8_ENKUlvE_clEvENKUlvE_clEvEUlhE_EEvS4_RKT_EUlibE0_EEviT1_
; %bb.0:
	s_load_dword s70, s[0:1], 0x0
	s_load_dword s33, s[0:1], 0x8
	s_add_u32 s34, s0, 8
	s_addc_u32 s35, s1, 0
	v_lshl_or_b32 v12, s2, 9, v0
	v_or_b32_e32 v16, 0x180, v12
	s_waitcnt lgkmcnt(0)
	s_add_i32 s72, s33, -1
	s_cmp_gt_u32 s72, 1
	v_cmp_le_i32_e32 vcc, s70, v16
	s_cselect_b64 s[42:43], -1, 0
	s_mov_b64 s[40:41], 0
	s_mov_b64 s[24:25], 0
	s_and_saveexec_b64 s[2:3], vcc
	s_xor_b64 s[44:45], exec, s[2:3]
	s_cbranch_execz .LBB281_1074
; %bb.1:
	s_load_dwordx4 s[24:27], s[34:35], 0x4
	s_load_dwordx2 s[46:47], s[34:35], 0x14
	s_load_dword s74, s[34:35], 0x158
	s_cmp_lg_u32 s33, 0
	s_load_dwordx4 s[28:31], s[34:35], 0xc4
	s_load_dwordx4 s[20:23], s[34:35], 0x148
	s_cselect_b64 s[52:53], -1, 0
	s_add_u32 s50, s34, 0xc4
	s_addc_u32 s51, s35, 0
	s_min_u32 s77, s72, 15
	s_cmp_gt_u32 s33, 1
	s_cselect_b64 s[48:49], -1, 0
	s_waitcnt lgkmcnt(0)
	s_lshr_b32 s73, s74, 16
	s_lshr_b32 s75, s74, 8
	;; [unrolled: 1-line block ×3, first 2 shown]
	v_cmp_gt_i32_e32 vcc, s70, v12
	s_mov_b64 s[4:5], -1
	s_mov_b64 s[62:63], 0
	s_mov_b64 s[56:57], 0
	;; [unrolled: 1-line block ×3, first 2 shown]
	s_and_saveexec_b64 s[58:59], vcc
	s_cbranch_execz .LBB281_263
; %bb.2:
	s_andn2_b64 vcc, exec, s[42:43]
	s_cbranch_vccnz .LBB281_8
; %bb.3:
	s_andn2_b64 vcc, exec, s[52:53]
	s_cbranch_vccnz .LBB281_9
; %bb.4:
	s_add_i32 s57, s77, 1
	s_cmp_eq_u32 s72, 2
	s_cbranch_scc1 .LBB281_10
; %bb.5:
	s_and_b32 s56, s57, 28
	s_mov_b32 s60, 0
	v_mov_b32_e32 v0, 0
	v_mov_b32_e32 v2, 0
	s_mov_b64 s[2:3], s[34:35]
	s_mov_b64 s[54:55], s[50:51]
	v_mov_b32_e32 v4, v12
.LBB281_6:                              ; =>This Inner Loop Header: Depth=1
	s_load_dwordx8 s[12:19], s[2:3], 0x4
	s_load_dwordx4 s[36:39], s[2:3], 0x24
	s_load_dwordx8 s[4:11], s[54:55], 0x0
	s_add_u32 s2, s2, 48
	s_addc_u32 s3, s3, 0
	s_waitcnt lgkmcnt(0)
	v_mul_hi_u32 v1, s13, v4
	v_add_u32_e32 v1, v4, v1
	v_lshrrev_b32_e32 v1, s14, v1
	v_mul_lo_u32 v3, v1, s12
	v_mul_hi_u32 v5, s16, v1
	v_sub_u32_e32 v3, v4, v3
	v_add_u32_e32 v4, v1, v5
	v_lshrrev_b32_e32 v4, s17, v4
	v_mul_lo_u32 v6, v4, s15
	v_mul_hi_u32 v7, s19, v4
	v_sub_u32_e32 v1, v1, v6
	v_add_u32_e32 v6, v4, v7
	v_mul_lo_u32 v5, v3, s5
	v_mul_lo_u32 v3, v3, s4
	;; [unrolled: 1-line block ×4, first 2 shown]
	v_lshrrev_b32_e32 v6, s36, v6
	v_add3_u32 v0, v3, v0, v1
	v_mul_hi_u32 v3, s38, v6
	v_add3_u32 v1, v5, v2, v7
	v_mul_lo_u32 v2, v6, s18
	v_add_u32_e32 v3, v6, v3
	v_sub_u32_e32 v2, v4, v2
	v_lshrrev_b32_e32 v4, s39, v3
	s_add_i32 s60, s60, 4
	v_mul_lo_u32 v3, v4, s37
	s_add_u32 s54, s54, 32
	v_sub_u32_e32 v3, v6, v3
	s_addc_u32 s55, s55, 0
	v_mul_lo_u32 v5, v2, s8
	v_mul_lo_u32 v2, v2, s9
	v_mul_lo_u32 v6, v3, s10
	v_mul_lo_u32 v3, v3, s11
	s_cmp_lg_u32 s56, s60
	v_add3_u32 v2, v2, v1, v3
	v_add3_u32 v0, v5, v0, v6
	s_cbranch_scc1 .LBB281_6
; %bb.7:
	v_mov_b32_e32 v1, v2
	s_branch .LBB281_11
.LBB281_8:
                                        ; implicit-def: $vgpr2
                                        ; implicit-def: $vgpr0
	s_branch .LBB281_15
.LBB281_9:
	v_mov_b32_e32 v2, 0
	v_mov_b32_e32 v0, 0
	s_branch .LBB281_14
.LBB281_10:
	v_mov_b32_e32 v0, 0
	s_mov_b32 s56, 0
	v_mov_b32_e32 v1, v0
                                        ; implicit-def: $vgpr2
	v_mov_b32_e32 v4, v12
.LBB281_11:
	s_and_b32 s6, s57, 3
	s_cmp_eq_u32 s6, 0
	s_cbranch_scc1 .LBB281_14
; %bb.12:
	s_lshl_b32 s2, s56, 3
	s_add_u32 s2, s34, s2
	s_addc_u32 s3, s35, 0
	s_add_u32 s2, s2, 0xc4
	s_addc_u32 s3, s3, 0
	s_mul_i32 s4, s56, 12
	s_add_u32 s4, s34, s4
	s_addc_u32 s5, s35, 0
.LBB281_13:                             ; =>This Inner Loop Header: Depth=1
	s_load_dwordx2 s[8:9], s[4:5], 0x4
	s_load_dword s7, s[4:5], 0xc
	s_load_dwordx2 s[10:11], s[2:3], 0x0
	v_mov_b32_e32 v2, v1
	s_add_u32 s4, s4, 12
	s_waitcnt lgkmcnt(0)
	v_mul_hi_u32 v1, s9, v4
	v_add_u32_e32 v1, v4, v1
	v_lshrrev_b32_e32 v1, s7, v1
	s_addc_u32 s5, s5, 0
	v_mul_lo_u32 v3, v1, s8
	s_add_u32 s2, s2, 8
	v_sub_u32_e32 v5, v4, v3
	s_addc_u32 s3, s3, 0
	s_add_i32 s6, s6, -1
	v_mov_b32_e32 v4, v1
	v_mad_u64_u32 v[2:3], s[8:9], v5, s11, v[2:3]
	v_mad_u64_u32 v[0:1], s[8:9], v5, s10, v[0:1]
	s_cmp_lg_u32 s6, 0
	v_mov_b32_e32 v1, v2
	s_cbranch_scc1 .LBB281_13
.LBB281_14:
	s_cbranch_execnz .LBB281_17
.LBB281_15:
	v_mul_hi_u32 v0, s25, v12
	v_add_u32_e32 v0, v12, v0
	v_lshrrev_b32_e32 v1, s26, v0
	v_mul_lo_u32 v0, v1, s24
	v_sub_u32_e32 v0, v12, v0
	v_mul_lo_u32 v2, v0, s29
	s_andn2_b64 vcc, exec, s[48:49]
	v_mul_lo_u32 v0, v0, s28
	s_cbranch_vccnz .LBB281_17
; %bb.16:
	v_mul_hi_u32 v3, s46, v1
	v_add_u32_e32 v3, v1, v3
	v_lshrrev_b32_e32 v3, s47, v3
	v_mul_lo_u32 v3, v3, s27
	v_sub_u32_e32 v3, v1, v3
	v_mad_u64_u32 v[0:1], s[2:3], v3, s30, v[0:1]
	v_mad_u64_u32 v[2:3], s[2:3], v3, s31, v[2:3]
.LBB281_17:
	v_mov_b32_e32 v3, 0
	s_and_b32 s8, 0xffff, s76
	s_cmp_lt_i32 s8, 11
	v_lshl_add_u64 v[2:3], s[22:23], 0, v[2:3]
	s_cbranch_scc1 .LBB281_24
; %bb.18:
	s_cmp_gt_i32 s8, 25
	s_cbranch_scc0 .LBB281_33
; %bb.19:
	s_cmp_gt_i32 s8, 28
	s_cbranch_scc0 .LBB281_36
	;; [unrolled: 3-line block ×4, first 2 shown]
; %bb.22:
	s_cmp_eq_u32 s8, 46
	s_mov_b64 s[6:7], 0
	s_cbranch_scc0 .LBB281_42
; %bb.23:
	global_load_dword v1, v[2:3], off
	s_mov_b32 s2, 0x2f800000
	s_mov_b32 s3, 0xcf800000
	s_mov_b64 s[4:5], 0
	s_waitcnt vmcnt(0)
	v_lshlrev_b32_e32 v1, 16, v1
	v_trunc_f32_e32 v1, v1
	v_mul_f32_e64 v4, |v1|, s2
	v_floor_f32_e32 v4, v4
	v_fma_f32 v4, v4, s3, |v1|
	v_cvt_u32_f32_e32 v4, v4
	v_ashrrev_i32_e32 v1, 31, v1
	s_mov_b64 s[2:3], -1
	v_xor_b32_e32 v4, v4, v1
	v_sub_u32_e32 v4, v4, v1
	s_branch .LBB281_44
.LBB281_24:
	s_mov_b64 s[4:5], 0
                                        ; implicit-def: $vgpr4
	s_mov_b64 s[2:3], 0
	s_cbranch_execnz .LBB281_213
.LBB281_25:
	s_andn2_b64 vcc, exec, s[2:3]
	s_cbranch_vccnz .LBB281_260
.LBB281_26:
	s_and_b32 s2, s74, 0xff
	s_waitcnt vmcnt(0)
	v_max_u16_sdwa v1, v4, s2 dst_sel:DWORD dst_unused:UNUSED_PAD src0_sel:BYTE_0 src1_sel:DWORD
	s_and_b32 s2, s75, 0xff
	v_min_u16_e32 v2, s2, v1
	v_mov_b32_e32 v1, 0
	s_and_b32 s12, s73, 0xff
	s_cmp_lt_i32 s12, 11
	v_lshl_add_u64 v[0:1], s[20:21], 0, v[0:1]
	s_cbranch_scc1 .LBB281_34
; %bb.27:
	s_and_b32 s13, 0xffff, s12
	s_cmp_gt_i32 s13, 25
	s_cbranch_scc0 .LBB281_37
; %bb.28:
	s_cmp_gt_i32 s13, 28
	s_cbranch_scc0 .LBB281_39
; %bb.29:
	;; [unrolled: 3-line block ×4, first 2 shown]
	s_mov_b64 s[8:9], 0
	s_mov_b64 s[2:3], -1
	s_cmp_eq_u32 s13, 46
	s_mov_b64 s[6:7], 0
	s_cbranch_scc0 .LBB281_48
; %bb.32:
	v_cvt_f32_ubyte0_e32 v3, v2
	v_bfe_u32 v4, v3, 16, 1
	s_movk_i32 s2, 0x7fff
	v_add3_u32 v3, v3, v4, s2
	v_lshrrev_b32_e32 v3, 16, v3
	global_store_dword v[0:1], v3, off
	s_mov_b64 s[6:7], -1
	s_mov_b64 s[2:3], 0
	s_branch .LBB281_48
.LBB281_33:
	s_mov_b64 s[4:5], 0
	s_mov_b64 s[2:3], 0
                                        ; implicit-def: $vgpr4
	s_cbranch_execnz .LBB281_180
	s_branch .LBB281_212
.LBB281_34:
	s_mov_b64 s[2:3], 0
	s_mov_b64 s[6:7], 0
	s_cbranch_execnz .LBB281_117
.LBB281_35:
	s_andn2_b64 vcc, exec, s[6:7]
	s_cbranch_vccnz .LBB281_261
	s_branch .LBB281_155
.LBB281_36:
	s_mov_b64 s[6:7], -1
	s_mov_b64 s[4:5], 0
	s_mov_b64 s[2:3], 0
                                        ; implicit-def: $vgpr4
	s_branch .LBB281_163
.LBB281_37:
	s_mov_b64 s[8:9], -1
	s_mov_b64 s[2:3], 0
	s_mov_b64 s[6:7], 0
	s_branch .LBB281_75
.LBB281_38:
	s_mov_b64 s[6:7], -1
	s_mov_b64 s[4:5], 0
	s_mov_b64 s[2:3], 0
                                        ; implicit-def: $vgpr4
	s_branch .LBB281_158
.LBB281_39:
	s_mov_b64 s[8:9], -1
	s_mov_b64 s[2:3], 0
	s_mov_b64 s[6:7], 0
	s_branch .LBB281_58
.LBB281_40:
	s_mov_b64 s[6:7], -1
	s_mov_b64 s[4:5], 0
	s_branch .LBB281_43
.LBB281_41:
	s_mov_b64 s[8:9], -1
	s_mov_b64 s[2:3], 0
	s_mov_b64 s[6:7], 0
	s_branch .LBB281_54
.LBB281_42:
	s_mov_b64 s[4:5], -1
.LBB281_43:
	s_mov_b64 s[2:3], 0
                                        ; implicit-def: $vgpr4
.LBB281_44:
	s_and_b64 vcc, exec, s[6:7]
	s_cbranch_vccz .LBB281_157
; %bb.45:
	s_cmp_eq_u32 s8, 44
	s_cbranch_scc0 .LBB281_156
; %bb.46:
	global_load_ubyte v1, v[2:3], off
	s_mov_b32 s2, 0x2f800000
	s_mov_b32 s3, 0xcf800000
	s_mov_b64 s[4:5], 0
	s_waitcnt vmcnt(0)
	v_lshlrev_b32_e32 v4, 23, v1
	v_trunc_f32_e32 v4, v4
	v_mul_f32_e64 v5, |v4|, s2
	v_floor_f32_e32 v5, v5
	v_fma_f32 v5, v5, s3, |v4|
	v_cvt_u32_f32_e32 v5, v5
	v_ashrrev_i32_e32 v4, 31, v4
	v_cmp_ne_u32_e32 vcc, 0, v1
	s_mov_b64 s[2:3], -1
	v_xor_b32_e32 v5, v5, v4
	v_sub_u32_e32 v4, v5, v4
	v_cndmask_b32_e32 v4, 0, v4, vcc
	s_branch .LBB281_157
.LBB281_47:
	s_mov_b64 s[8:9], -1
	s_mov_b64 s[2:3], 0
	s_mov_b64 s[6:7], 0
.LBB281_48:
	s_and_b64 vcc, exec, s[8:9]
	s_cbranch_vccz .LBB281_53
; %bb.49:
	s_cmp_eq_u32 s13, 44
	s_mov_b64 s[2:3], -1
	s_cbranch_scc0 .LBB281_53
; %bb.50:
	v_cvt_f32_ubyte0_e32 v4, v2
	v_lshrrev_b32_e32 v3, 23, v4
	s_movk_i32 s2, 0xff
	v_cmp_ne_u32_e32 vcc, s2, v3
	v_mov_b32_e32 v5, 0xff
	s_and_saveexec_b64 s[6:7], vcc
; %bb.51:
	s_mov_b32 s2, 0x3fffff
	v_and_b32_e32 v5, 0x400000, v4
	v_and_or_b32 v4, v4, s2, v3
	v_cmp_ne_u32_e32 vcc, 0, v5
	v_cmp_ne_u32_e64 s[2:3], 0, v4
	s_and_b64 s[2:3], vcc, s[2:3]
	s_nop 0
	v_cndmask_b32_e64 v4, 0, 1, s[2:3]
	v_add_u32_e32 v5, v3, v4
; %bb.52:
	s_or_b64 exec, exec, s[6:7]
	s_mov_b64 s[6:7], -1
	s_mov_b64 s[2:3], 0
	global_store_byte v[0:1], v5, off
.LBB281_53:
	s_mov_b64 s[8:9], 0
.LBB281_54:
	s_and_b64 vcc, exec, s[8:9]
	s_cbranch_vccz .LBB281_57
; %bb.55:
	s_cmp_eq_u32 s13, 29
	s_mov_b64 s[2:3], -1
	s_cbranch_scc0 .LBB281_57
; %bb.56:
	s_mov_b32 s2, 0
	v_mov_b32_e32 v3, s2
	global_store_dwordx2 v[0:1], v[2:3], off
	s_mov_b64 s[6:7], -1
	s_mov_b64 s[2:3], 0
.LBB281_57:
	s_mov_b64 s[8:9], 0
.LBB281_58:
	s_and_b64 vcc, exec, s[8:9]
	s_cbranch_vccz .LBB281_74
; %bb.59:
	s_cmp_lt_i32 s13, 27
	s_mov_b64 s[6:7], -1
	s_cbranch_scc1 .LBB281_65
; %bb.60:
	s_cmp_gt_i32 s13, 27
	s_cbranch_scc0 .LBB281_62
; %bb.61:
	s_mov_b64 s[6:7], 0
	global_store_dword v[0:1], v2, off
.LBB281_62:
	s_andn2_b64 vcc, exec, s[6:7]
	s_cbranch_vccnz .LBB281_64
; %bb.63:
	global_store_short v[0:1], v2, off
.LBB281_64:
	s_mov_b64 s[6:7], 0
.LBB281_65:
	s_andn2_b64 vcc, exec, s[6:7]
	s_cbranch_vccnz .LBB281_73
; %bb.66:
	v_cvt_f32_ubyte0_e32 v4, v2
	s_mov_b32 s6, 0x43800000
	v_cmp_gt_u32_e32 vcc, s6, v4
	v_mov_b32_e32 v5, 0x80
	s_and_saveexec_b64 s[6:7], vcc
	s_cbranch_execz .LBB281_72
; %bb.67:
	s_mov_b32 s8, 0x3bffffff
	v_cmp_lt_u32_e32 vcc, s8, v4
	s_mov_b64 s[8:9], 0
                                        ; implicit-def: $vgpr3
	s_and_saveexec_b64 s[10:11], vcc
	s_xor_b64 s[10:11], exec, s[10:11]
	s_cbranch_execz .LBB281_305
; %bb.68:
	v_bfe_u32 v3, v4, 20, 1
	s_mov_b32 s14, 0x487ffff
	v_add3_u32 v3, v4, v3, s14
	s_mov_b64 s[8:9], exec
	v_lshrrev_b32_e32 v3, 20, v3
                                        ; implicit-def: $vgpr4
	s_andn2_saveexec_b64 s[10:11], s[10:11]
	s_cbranch_execnz .LBB281_306
.LBB281_69:
	s_or_b64 exec, exec, s[10:11]
	v_mov_b32_e32 v5, 0
	s_and_saveexec_b64 s[10:11], s[8:9]
.LBB281_70:
	v_mov_b32_e32 v5, v3
.LBB281_71:
	s_or_b64 exec, exec, s[10:11]
.LBB281_72:
	s_or_b64 exec, exec, s[6:7]
	global_store_byte v[0:1], v5, off
.LBB281_73:
	s_mov_b64 s[6:7], -1
.LBB281_74:
	s_mov_b64 s[8:9], 0
.LBB281_75:
	s_and_b64 vcc, exec, s[8:9]
	s_cbranch_vccz .LBB281_116
; %bb.76:
	s_cmp_gt_i32 s13, 22
	s_mov_b64 s[8:9], -1
	s_cbranch_scc0 .LBB281_108
; %bb.77:
	s_cmp_lt_i32 s13, 24
	s_mov_b64 s[6:7], -1
	s_cbranch_scc1 .LBB281_97
; %bb.78:
	s_cmp_gt_i32 s13, 24
	s_cbranch_scc0 .LBB281_86
; %bb.79:
	v_cvt_f32_ubyte0_e32 v4, v2
	s_mov_b32 s6, 0x47800000
	v_cmp_gt_u32_e32 vcc, s6, v4
	v_mov_b32_e32 v5, 0x80
	s_and_saveexec_b64 s[6:7], vcc
	s_cbranch_execz .LBB281_85
; %bb.80:
	s_mov_b32 s8, 0x37ffffff
	v_cmp_lt_u32_e32 vcc, s8, v4
	s_mov_b64 s[8:9], 0
                                        ; implicit-def: $vgpr3
	s_and_saveexec_b64 s[10:11], vcc
	s_xor_b64 s[10:11], exec, s[10:11]
	s_cbranch_execz .LBB281_309
; %bb.81:
	v_bfe_u32 v3, v4, 21, 1
	s_mov_b32 s14, 0x88fffff
	v_add3_u32 v3, v4, v3, s14
	s_mov_b64 s[8:9], exec
	v_lshrrev_b32_e32 v3, 21, v3
                                        ; implicit-def: $vgpr4
	s_andn2_saveexec_b64 s[10:11], s[10:11]
	s_cbranch_execnz .LBB281_310
.LBB281_82:
	s_or_b64 exec, exec, s[10:11]
	v_mov_b32_e32 v5, 0
	s_and_saveexec_b64 s[10:11], s[8:9]
.LBB281_83:
	v_mov_b32_e32 v5, v3
.LBB281_84:
	s_or_b64 exec, exec, s[10:11]
.LBB281_85:
	s_or_b64 exec, exec, s[6:7]
	s_mov_b64 s[6:7], 0
	global_store_byte v[0:1], v5, off
.LBB281_86:
	s_and_b64 vcc, exec, s[6:7]
	s_cbranch_vccz .LBB281_96
; %bb.87:
	v_cvt_f32_ubyte0_e32 v3, v2
	s_mov_b32 s6, 0x43f00000
	v_cmp_gt_u32_e32 vcc, s6, v3
                                        ; implicit-def: $vgpr4
	s_and_saveexec_b64 s[6:7], vcc
	s_xor_b64 s[6:7], exec, s[6:7]
	s_cbranch_execz .LBB281_93
; %bb.88:
	s_mov_b32 s8, 0x3c7fffff
	v_cmp_lt_u32_e32 vcc, s8, v3
                                        ; implicit-def: $vgpr4
	s_and_saveexec_b64 s[8:9], vcc
	s_xor_b64 s[8:9], exec, s[8:9]
; %bb.89:
	v_bfe_u32 v4, v3, 20, 1
	s_mov_b32 s10, 0x407ffff
	v_add3_u32 v3, v3, v4, s10
	v_lshrrev_b32_e32 v4, 20, v3
	v_and_b32_e32 v3, 0xff00000, v3
	s_mov_b32 s10, 0x7f00000
	v_mov_b32_e32 v5, 0x7e
	v_cmp_ne_u32_e32 vcc, s10, v3
                                        ; implicit-def: $vgpr3
	s_nop 1
	v_cndmask_b32_e32 v4, v5, v4, vcc
; %bb.90:
	s_andn2_saveexec_b64 s[8:9], s[8:9]
; %bb.91:
	v_add_f32_e32 v4, 0x46800000, v3
; %bb.92:
	s_or_b64 exec, exec, s[8:9]
                                        ; implicit-def: $vgpr3
.LBB281_93:
	s_andn2_saveexec_b64 s[6:7], s[6:7]
; %bb.94:
	s_mov_b32 s8, 0x7f800000
	v_mov_b32_e32 v4, 0x7e
	v_mov_b32_e32 v5, 0x7f
	v_cmp_lt_u32_e32 vcc, s8, v3
	s_nop 1
	v_cndmask_b32_e32 v4, v4, v5, vcc
; %bb.95:
	s_or_b64 exec, exec, s[6:7]
	global_store_byte v[0:1], v4, off
.LBB281_96:
	s_mov_b64 s[6:7], 0
.LBB281_97:
	s_andn2_b64 vcc, exec, s[6:7]
	s_cbranch_vccnz .LBB281_107
; %bb.98:
	v_cvt_f32_ubyte0_e32 v3, v2
	s_mov_b32 s6, 0x47800000
	v_cmp_gt_u32_e32 vcc, s6, v3
                                        ; implicit-def: $vgpr4
	s_and_saveexec_b64 s[6:7], vcc
	s_xor_b64 s[6:7], exec, s[6:7]
	s_cbranch_execz .LBB281_104
; %bb.99:
	s_mov_b32 s8, 0x387fffff
	v_cmp_lt_u32_e32 vcc, s8, v3
                                        ; implicit-def: $vgpr4
	s_and_saveexec_b64 s[8:9], vcc
	s_xor_b64 s[8:9], exec, s[8:9]
; %bb.100:
	v_bfe_u32 v4, v3, 21, 1
	s_mov_b32 s10, 0x80fffff
	v_add3_u32 v3, v3, v4, s10
	v_lshrrev_b32_e32 v4, 21, v3
                                        ; implicit-def: $vgpr3
; %bb.101:
	s_andn2_saveexec_b64 s[8:9], s[8:9]
; %bb.102:
	v_add_f32_e32 v4, 0x43000000, v3
; %bb.103:
	s_or_b64 exec, exec, s[8:9]
                                        ; implicit-def: $vgpr3
.LBB281_104:
	s_andn2_saveexec_b64 s[6:7], s[6:7]
; %bb.105:
	s_mov_b32 s8, 0x7f800000
	v_mov_b32_e32 v4, 0x7c
	v_mov_b32_e32 v5, 0x7f
	v_cmp_lt_u32_e32 vcc, s8, v3
	s_nop 1
	v_cndmask_b32_e32 v4, v4, v5, vcc
; %bb.106:
	s_or_b64 exec, exec, s[6:7]
	global_store_byte v[0:1], v4, off
.LBB281_107:
	s_mov_b64 s[8:9], 0
	s_mov_b64 s[6:7], -1
.LBB281_108:
	s_andn2_b64 vcc, exec, s[8:9]
	s_cbranch_vccnz .LBB281_116
; %bb.109:
	s_cmp_gt_i32 s13, 14
	s_mov_b64 s[8:9], -1
	s_cbranch_scc0 .LBB281_113
; %bb.110:
	s_cmp_eq_u32 s13, 15
	s_mov_b64 s[2:3], -1
	s_cbranch_scc0 .LBB281_112
; %bb.111:
	v_cvt_f32_ubyte0_e32 v3, v2
	v_bfe_u32 v4, v3, 16, 1
	s_movk_i32 s2, 0x7fff
	v_add3_u32 v3, v3, v4, s2
	global_store_short_d16_hi v[0:1], v3, off
	s_mov_b64 s[6:7], -1
	s_mov_b64 s[2:3], 0
.LBB281_112:
	s_mov_b64 s[8:9], 0
.LBB281_113:
	s_and_b64 vcc, exec, s[8:9]
	s_cbranch_vccz .LBB281_116
; %bb.114:
	s_cmp_eq_u32 s13, 11
	s_mov_b64 s[2:3], -1
	s_cbranch_scc0 .LBB281_116
; %bb.115:
	v_cmp_ne_u16_e32 vcc, 0, v2
	s_mov_b64 s[6:7], -1
	s_mov_b64 s[2:3], 0
	v_cndmask_b32_e64 v3, 0, 1, vcc
	global_store_byte v[0:1], v3, off
.LBB281_116:
	s_branch .LBB281_35
.LBB281_117:
	s_and_b32 s8, 0xffff, s12
	s_cmp_lt_i32 s8, 5
	s_mov_b64 s[6:7], -1
	s_cbranch_scc1 .LBB281_138
; %bb.118:
	s_cmp_lt_i32 s8, 8
	s_cbranch_scc1 .LBB281_128
; %bb.119:
	s_cmp_lt_i32 s8, 9
	s_cbranch_scc1 .LBB281_125
; %bb.120:
	s_cmp_gt_i32 s8, 9
	s_cbranch_scc0 .LBB281_122
; %bb.121:
	v_mov_b32_e32 v6, 0
	v_cvt_f64_u32_e32 v[4:5], v2
	v_mov_b32_e32 v7, v6
	global_store_dwordx4 v[0:1], v[4:7], off
	s_mov_b64 s[6:7], 0
.LBB281_122:
	s_andn2_b64 vcc, exec, s[6:7]
	s_cbranch_vccnz .LBB281_124
; %bb.123:
	v_cvt_f32_ubyte0_e32 v4, v2
	v_mov_b32_e32 v5, 0
	global_store_dwordx2 v[0:1], v[4:5], off
.LBB281_124:
	s_mov_b64 s[6:7], 0
.LBB281_125:
	s_andn2_b64 vcc, exec, s[6:7]
	s_cbranch_vccnz .LBB281_127
; %bb.126:
	v_cvt_f16_u16_e32 v3, v2
	global_store_dword v[0:1], v3, off
.LBB281_127:
	s_mov_b64 s[6:7], 0
.LBB281_128:
	s_andn2_b64 vcc, exec, s[6:7]
	s_cbranch_vccnz .LBB281_137
; %bb.129:
	s_cmp_lt_i32 s8, 6
	s_mov_b64 s[6:7], -1
	s_cbranch_scc1 .LBB281_135
; %bb.130:
	s_cmp_gt_i32 s8, 6
	s_cbranch_scc0 .LBB281_132
; %bb.131:
	v_cvt_f64_u32_e32 v[4:5], v2
	global_store_dwordx2 v[0:1], v[4:5], off
	s_mov_b64 s[6:7], 0
.LBB281_132:
	s_andn2_b64 vcc, exec, s[6:7]
	s_cbranch_vccnz .LBB281_134
; %bb.133:
	v_cvt_f32_ubyte0_e32 v3, v2
	global_store_dword v[0:1], v3, off
.LBB281_134:
	s_mov_b64 s[6:7], 0
.LBB281_135:
	s_andn2_b64 vcc, exec, s[6:7]
	s_cbranch_vccnz .LBB281_137
; %bb.136:
	v_cvt_f16_u16_e32 v3, v2
	global_store_short v[0:1], v3, off
.LBB281_137:
	s_mov_b64 s[6:7], 0
.LBB281_138:
	s_andn2_b64 vcc, exec, s[6:7]
	s_cbranch_vccnz .LBB281_154
; %bb.139:
	s_cmp_lt_i32 s8, 2
	s_mov_b64 s[6:7], -1
	s_cbranch_scc1 .LBB281_149
; %bb.140:
	s_cmp_lt_i32 s8, 3
	s_cbranch_scc1 .LBB281_146
; %bb.141:
	s_cmp_gt_i32 s8, 3
	s_cbranch_scc0 .LBB281_143
; %bb.142:
	s_mov_b32 s6, 0
	v_mov_b32_e32 v3, s6
	global_store_dwordx2 v[0:1], v[2:3], off
	s_mov_b64 s[6:7], 0
.LBB281_143:
	s_andn2_b64 vcc, exec, s[6:7]
	s_cbranch_vccnz .LBB281_145
; %bb.144:
	global_store_dword v[0:1], v2, off
.LBB281_145:
	s_mov_b64 s[6:7], 0
.LBB281_146:
	s_andn2_b64 vcc, exec, s[6:7]
	s_cbranch_vccnz .LBB281_148
; %bb.147:
	global_store_short v[0:1], v2, off
.LBB281_148:
	s_mov_b64 s[6:7], 0
.LBB281_149:
	s_andn2_b64 vcc, exec, s[6:7]
	s_cbranch_vccnz .LBB281_154
; %bb.150:
	s_cmp_gt_i32 s8, 0
	s_mov_b64 s[6:7], -1
	s_cbranch_scc0 .LBB281_152
; %bb.151:
	global_store_byte v[0:1], v2, off
	s_mov_b64 s[6:7], 0
.LBB281_152:
	s_andn2_b64 vcc, exec, s[6:7]
	s_cbranch_vccnz .LBB281_154
; %bb.153:
	global_store_byte v[0:1], v2, off
.LBB281_154:
.LBB281_155:
	v_add_u32_e32 v12, 0x80, v12
	s_mov_b64 s[6:7], -1
	s_branch .LBB281_262
.LBB281_156:
	s_mov_b64 s[4:5], -1
                                        ; implicit-def: $vgpr4
.LBB281_157:
	s_mov_b64 s[6:7], 0
.LBB281_158:
	s_and_b64 vcc, exec, s[6:7]
	s_cbranch_vccz .LBB281_162
; %bb.159:
	s_cmp_eq_u32 s8, 29
	s_cbranch_scc0 .LBB281_161
; %bb.160:
	global_load_dwordx2 v[4:5], v[2:3], off
	s_mov_b64 s[2:3], -1
	s_mov_b64 s[4:5], 0
	s_branch .LBB281_162
.LBB281_161:
	s_mov_b64 s[4:5], -1
                                        ; implicit-def: $vgpr4
.LBB281_162:
	s_mov_b64 s[6:7], 0
.LBB281_163:
	s_and_b64 vcc, exec, s[6:7]
	s_cbranch_vccz .LBB281_179
; %bb.164:
	s_cmp_lt_i32 s8, 27
	s_cbranch_scc1 .LBB281_167
; %bb.165:
	s_cmp_gt_i32 s8, 27
	s_cbranch_scc0 .LBB281_168
; %bb.166:
	global_load_dword v4, v[2:3], off
	s_mov_b64 s[2:3], 0
	s_branch .LBB281_169
.LBB281_167:
	s_mov_b64 s[2:3], -1
                                        ; implicit-def: $vgpr4
	s_branch .LBB281_172
.LBB281_168:
	s_mov_b64 s[2:3], -1
                                        ; implicit-def: $vgpr4
.LBB281_169:
	s_andn2_b64 vcc, exec, s[2:3]
	s_cbranch_vccnz .LBB281_171
; %bb.170:
	global_load_ushort v4, v[2:3], off
.LBB281_171:
	s_mov_b64 s[2:3], 0
.LBB281_172:
	s_andn2_b64 vcc, exec, s[2:3]
	s_cbranch_vccnz .LBB281_178
; %bb.173:
	global_load_ubyte v1, v[2:3], off
	s_movk_i32 s2, 0x7f
	s_mov_b64 s[6:7], 0
	s_waitcnt vmcnt(0)
	v_cmp_lt_i16_e32 vcc, s2, v1
	s_and_saveexec_b64 s[2:3], vcc
	s_xor_b64 s[2:3], exec, s[2:3]
	s_cbranch_execz .LBB281_189
; %bb.174:
	s_movk_i32 s6, 0x80
	v_cmp_ne_u16_e32 vcc, s6, v1
	s_and_b64 s[6:7], vcc, exec
	s_andn2_saveexec_b64 s[2:3], s[2:3]
	s_cbranch_execnz .LBB281_190
.LBB281_175:
	s_or_b64 exec, exec, s[2:3]
	v_mov_b32_e32 v4, 0
	s_and_saveexec_b64 s[2:3], s[6:7]
	s_cbranch_execz .LBB281_177
.LBB281_176:
	v_lshlrev_b32_e32 v4, 24, v1
	v_and_b32_e32 v1, 0xffff, v1
	v_and_b32_e32 v5, 7, v1
	v_ffbh_u32_e32 v7, v5
	v_min_u32_e32 v7, 32, v7
	v_subrev_u32_e32 v8, 28, v7
	v_bfe_u32 v6, v1, 3, 4
	v_lshlrev_b32_e32 v1, v8, v1
	v_sub_u32_e32 v7, 29, v7
	v_and_b32_e32 v1, 7, v1
	v_cmp_eq_u32_e32 vcc, 0, v6
	v_and_b32_e32 v4, 0x80000000, v4
	s_mov_b32 s6, 0x2f800000
	v_cndmask_b32_e32 v6, v6, v7, vcc
	v_cndmask_b32_e32 v1, v5, v1, vcc
	v_mov_b32_e32 v5, 0x3b800000
	v_lshlrev_b32_e32 v1, 20, v1
	v_lshl_add_u32 v5, v6, 23, v5
	v_or3_b32 v1, v4, v5, v1
	v_trunc_f32_e32 v1, v1
	v_mul_f32_e64 v4, |v1|, s6
	v_floor_f32_e32 v4, v4
	s_mov_b32 s6, 0xcf800000
	v_fma_f32 v4, v4, s6, |v1|
	v_cvt_u32_f32_e32 v4, v4
	v_ashrrev_i32_e32 v1, 31, v1
	v_xor_b32_e32 v4, v4, v1
	v_sub_u32_e32 v4, v4, v1
.LBB281_177:
	s_or_b64 exec, exec, s[2:3]
.LBB281_178:
	s_mov_b64 s[2:3], -1
.LBB281_179:
	s_branch .LBB281_212
.LBB281_180:
	s_cmp_gt_i32 s8, 22
	s_cbranch_scc0 .LBB281_188
; %bb.181:
	s_cmp_lt_i32 s8, 24
	s_cbranch_scc1 .LBB281_191
; %bb.182:
	s_cmp_gt_i32 s8, 24
	s_cbranch_scc0 .LBB281_192
; %bb.183:
	global_load_ubyte v1, v[2:3], off
	s_movk_i32 s2, 0x7f
	s_mov_b64 s[6:7], 0
	s_waitcnt vmcnt(0)
	v_cmp_lt_i16_e32 vcc, s2, v1
	s_and_saveexec_b64 s[2:3], vcc
	s_xor_b64 s[2:3], exec, s[2:3]
	s_cbranch_execz .LBB281_204
; %bb.184:
	s_movk_i32 s6, 0x80
	v_cmp_ne_u16_e32 vcc, s6, v1
	s_and_b64 s[6:7], vcc, exec
	s_andn2_saveexec_b64 s[2:3], s[2:3]
	s_cbranch_execnz .LBB281_205
.LBB281_185:
	s_or_b64 exec, exec, s[2:3]
	v_mov_b32_e32 v4, 0
	s_and_saveexec_b64 s[2:3], s[6:7]
	s_cbranch_execz .LBB281_187
.LBB281_186:
	v_lshlrev_b32_e32 v4, 24, v1
	v_and_b32_e32 v1, 0xffff, v1
	v_and_b32_e32 v5, 3, v1
	v_ffbh_u32_e32 v7, v5
	v_min_u32_e32 v7, 32, v7
	v_subrev_u32_e32 v8, 29, v7
	v_bfe_u32 v6, v1, 2, 5
	v_lshlrev_b32_e32 v1, v8, v1
	v_sub_u32_e32 v7, 30, v7
	v_and_b32_e32 v1, 3, v1
	v_cmp_eq_u32_e32 vcc, 0, v6
	v_and_b32_e32 v4, 0x80000000, v4
	s_mov_b32 s6, 0x2f800000
	v_cndmask_b32_e32 v6, v6, v7, vcc
	v_cndmask_b32_e32 v1, v5, v1, vcc
	v_mov_b32_e32 v5, 0x37800000
	v_lshlrev_b32_e32 v1, 21, v1
	v_lshl_add_u32 v5, v6, 23, v5
	v_or3_b32 v1, v4, v5, v1
	v_trunc_f32_e32 v1, v1
	v_mul_f32_e64 v4, |v1|, s6
	v_floor_f32_e32 v4, v4
	s_mov_b32 s6, 0xcf800000
	v_fma_f32 v4, v4, s6, |v1|
	v_cvt_u32_f32_e32 v4, v4
	v_ashrrev_i32_e32 v1, 31, v1
	v_xor_b32_e32 v4, v4, v1
	v_sub_u32_e32 v4, v4, v1
.LBB281_187:
	s_or_b64 exec, exec, s[2:3]
	s_mov_b64 s[2:3], 0
	s_branch .LBB281_193
.LBB281_188:
	s_mov_b64 s[6:7], -1
                                        ; implicit-def: $vgpr4
	s_branch .LBB281_199
.LBB281_189:
	s_andn2_saveexec_b64 s[2:3], s[2:3]
	s_cbranch_execz .LBB281_175
.LBB281_190:
	v_cmp_ne_u16_e32 vcc, 0, v1
	s_andn2_b64 s[6:7], s[6:7], exec
	s_and_b64 s[10:11], vcc, exec
	s_or_b64 s[6:7], s[6:7], s[10:11]
	s_or_b64 exec, exec, s[2:3]
	v_mov_b32_e32 v4, 0
	s_and_saveexec_b64 s[2:3], s[6:7]
	s_cbranch_execnz .LBB281_176
	s_branch .LBB281_177
.LBB281_191:
	s_mov_b64 s[2:3], -1
                                        ; implicit-def: $vgpr4
	s_branch .LBB281_196
.LBB281_192:
	s_mov_b64 s[2:3], -1
                                        ; implicit-def: $vgpr4
.LBB281_193:
	s_and_b64 vcc, exec, s[2:3]
	s_cbranch_vccz .LBB281_195
; %bb.194:
	global_load_ubyte v1, v[2:3], off
	s_mov_b32 s2, 0x7f800000
	s_brev_b32 s3, 1
	s_mov_b32 s6, 0x2f800000
	s_waitcnt vmcnt(0)
	v_lshlrev_b32_e32 v1, 24, v1
	v_and_b32_e32 v4, 0x7f000000, v1
	v_ffbh_u32_e32 v5, v4
	v_min_u32_e32 v5, 32, v5
	v_sub_u32_e64 v5, v5, 4 clamp
	v_lshlrev_b32_e32 v7, v5, v4
	v_lshlrev_b32_e32 v5, 23, v5
	v_lshrrev_b32_e32 v7, 4, v7
	v_add_u32_e32 v6, 0x1000000, v4
	v_sub_u32_e32 v5, v7, v5
	v_ashrrev_i32_e32 v6, 8, v6
	v_add_u32_e32 v5, 0x3c000000, v5
	v_and_or_b32 v5, v6, s2, v5
	v_cmp_ne_u32_e32 vcc, 0, v4
	s_mov_b32 s2, 0xcf800000
	s_nop 0
	v_cndmask_b32_e32 v4, 0, v5, vcc
	v_and_or_b32 v1, v1, s3, v4
	v_trunc_f32_e32 v1, v1
	v_mul_f32_e64 v4, |v1|, s6
	v_floor_f32_e32 v4, v4
	v_fma_f32 v4, v4, s2, |v1|
	v_cvt_u32_f32_e32 v4, v4
	v_ashrrev_i32_e32 v1, 31, v1
	v_xor_b32_e32 v4, v4, v1
	v_sub_u32_e32 v4, v4, v1
.LBB281_195:
	s_mov_b64 s[2:3], 0
.LBB281_196:
	s_andn2_b64 vcc, exec, s[2:3]
	s_cbranch_vccnz .LBB281_198
; %bb.197:
	global_load_ubyte v1, v[2:3], off
	s_movk_i32 s2, 0x7f00
	s_brev_b32 s3, 16
	s_brev_b32 s6, 1
	s_mov_b32 s7, 0x2f800000
	s_waitcnt vmcnt(0)
	v_lshlrev_b16_e32 v4, 8, v1
	v_lshlrev_b32_e32 v1, 25, v1
	v_lshrrev_b32_e32 v5, 4, v1
	v_and_or_b32 v6, v4, s2, 0.5
	v_or_b32_e32 v5, 0x70000000, v5
	v_add_f32_e32 v6, -0.5, v6
	v_mul_f32_e32 v5, 0x7800000, v5
	v_cmp_gt_u32_e32 vcc, s3, v1
	v_bfe_i32 v4, v4, 0, 16
	s_mov_b32 s2, 0xcf800000
	v_cndmask_b32_e32 v1, v5, v6, vcc
	v_and_or_b32 v1, v4, s6, v1
	v_trunc_f32_e32 v1, v1
	v_mul_f32_e64 v4, |v1|, s7
	v_floor_f32_e32 v4, v4
	v_fma_f32 v4, v4, s2, |v1|
	v_cvt_u32_f32_e32 v4, v4
	v_ashrrev_i32_e32 v1, 31, v1
	v_xor_b32_e32 v4, v4, v1
	v_sub_u32_e32 v4, v4, v1
.LBB281_198:
	s_mov_b64 s[6:7], 0
	s_mov_b64 s[2:3], -1
.LBB281_199:
	s_andn2_b64 vcc, exec, s[6:7]
	s_cbranch_vccnz .LBB281_212
; %bb.200:
	s_cmp_gt_i32 s8, 14
	s_cbranch_scc0 .LBB281_203
; %bb.201:
	s_cmp_eq_u32 s8, 15
	s_cbranch_scc0 .LBB281_206
; %bb.202:
	global_load_ushort v1, v[2:3], off
	s_mov_b32 s2, 0x2f800000
	s_mov_b32 s3, 0xcf800000
	s_mov_b64 s[4:5], 0
	s_waitcnt vmcnt(0)
	v_lshlrev_b32_e32 v1, 16, v1
	v_trunc_f32_e32 v1, v1
	v_mul_f32_e64 v4, |v1|, s2
	v_floor_f32_e32 v4, v4
	v_fma_f32 v4, v4, s3, |v1|
	v_cvt_u32_f32_e32 v4, v4
	v_ashrrev_i32_e32 v1, 31, v1
	s_mov_b64 s[2:3], -1
	v_xor_b32_e32 v4, v4, v1
	v_sub_u32_e32 v4, v4, v1
	s_branch .LBB281_207
.LBB281_203:
	s_mov_b64 s[6:7], -1
                                        ; implicit-def: $vgpr4
	s_branch .LBB281_208
.LBB281_204:
	s_andn2_saveexec_b64 s[2:3], s[2:3]
	s_cbranch_execz .LBB281_185
.LBB281_205:
	v_cmp_ne_u16_e32 vcc, 0, v1
	s_andn2_b64 s[6:7], s[6:7], exec
	s_and_b64 s[10:11], vcc, exec
	s_or_b64 s[6:7], s[6:7], s[10:11]
	s_or_b64 exec, exec, s[2:3]
	v_mov_b32_e32 v4, 0
	s_and_saveexec_b64 s[2:3], s[6:7]
	s_cbranch_execnz .LBB281_186
	s_branch .LBB281_187
.LBB281_206:
	s_mov_b64 s[4:5], -1
                                        ; implicit-def: $vgpr4
.LBB281_207:
	s_mov_b64 s[6:7], 0
.LBB281_208:
	s_and_b64 vcc, exec, s[6:7]
	s_cbranch_vccz .LBB281_212
; %bb.209:
	s_cmp_eq_u32 s8, 11
	s_cbranch_scc0 .LBB281_211
; %bb.210:
	global_load_ubyte v1, v[2:3], off
	s_mov_b64 s[2:3], -1
	s_mov_b64 s[4:5], 0
	s_waitcnt vmcnt(0)
	v_cmp_ne_u16_e32 vcc, 0, v1
	s_nop 1
	v_cndmask_b32_e64 v4, 0, 1, vcc
	s_branch .LBB281_212
.LBB281_211:
	s_mov_b64 s[4:5], -1
                                        ; implicit-def: $vgpr4
.LBB281_212:
	s_branch .LBB281_25
.LBB281_213:
	s_cmp_lt_i32 s8, 5
	s_cbranch_scc1 .LBB281_218
; %bb.214:
	s_cmp_lt_i32 s8, 8
	s_cbranch_scc1 .LBB281_219
; %bb.215:
	s_cmp_lt_i32 s8, 9
	s_cbranch_scc1 .LBB281_220
; %bb.216:
	s_cmp_gt_i32 s8, 9
	s_cbranch_scc0 .LBB281_221
; %bb.217:
	global_load_dwordx2 v[4:5], v[2:3], off
	s_movk_i32 s2, 0xffe0
	s_waitcnt vmcnt(0)
	v_trunc_f64_e32 v[4:5], v[4:5]
	v_ldexp_f64 v[6:7], v[4:5], s2
	v_floor_f64_e32 v[6:7], v[6:7]
	v_fmac_f64_e32 v[4:5], 0xc1f00000, v[6:7]
	v_cvt_u32_f64_e32 v4, v[4:5]
	s_mov_b64 s[2:3], 0
	s_branch .LBB281_222
.LBB281_218:
                                        ; implicit-def: $vgpr4
	s_branch .LBB281_240
.LBB281_219:
	s_mov_b64 s[2:3], -1
                                        ; implicit-def: $vgpr4
	s_branch .LBB281_228
.LBB281_220:
	s_mov_b64 s[2:3], -1
                                        ; implicit-def: $vgpr4
	s_branch .LBB281_225
.LBB281_221:
	s_mov_b64 s[2:3], -1
                                        ; implicit-def: $vgpr4
.LBB281_222:
	s_andn2_b64 vcc, exec, s[2:3]
	s_cbranch_vccnz .LBB281_224
; %bb.223:
	global_load_dword v1, v[2:3], off
	s_mov_b32 s2, 0x2f800000
	s_waitcnt vmcnt(0)
	v_trunc_f32_e32 v1, v1
	v_mul_f32_e64 v4, |v1|, s2
	v_floor_f32_e32 v4, v4
	s_mov_b32 s2, 0xcf800000
	v_fma_f32 v4, v4, s2, |v1|
	v_cvt_u32_f32_e32 v4, v4
	v_ashrrev_i32_e32 v1, 31, v1
	v_xor_b32_e32 v4, v4, v1
	v_sub_u32_e32 v4, v4, v1
.LBB281_224:
	s_mov_b64 s[2:3], 0
.LBB281_225:
	s_andn2_b64 vcc, exec, s[2:3]
	s_cbranch_vccnz .LBB281_227
; %bb.226:
	global_load_dword v1, v[2:3], off
	s_waitcnt vmcnt(0)
	v_cvt_f32_f16_e32 v1, v1
	v_cvt_i32_f32_e32 v4, v1
.LBB281_227:
	s_mov_b64 s[2:3], 0
.LBB281_228:
	s_andn2_b64 vcc, exec, s[2:3]
	s_cbranch_vccnz .LBB281_239
; %bb.229:
	s_cmp_lt_i32 s8, 6
	s_cbranch_scc1 .LBB281_232
; %bb.230:
	s_cmp_gt_i32 s8, 6
	s_cbranch_scc0 .LBB281_233
; %bb.231:
	global_load_dwordx2 v[4:5], v[2:3], off
	s_movk_i32 s2, 0xffe0
	s_waitcnt vmcnt(0)
	v_trunc_f64_e32 v[4:5], v[4:5]
	v_ldexp_f64 v[6:7], v[4:5], s2
	v_floor_f64_e32 v[6:7], v[6:7]
	v_fmac_f64_e32 v[4:5], 0xc1f00000, v[6:7]
	v_cvt_u32_f64_e32 v4, v[4:5]
	s_mov_b64 s[2:3], 0
	s_branch .LBB281_234
.LBB281_232:
	s_mov_b64 s[2:3], -1
                                        ; implicit-def: $vgpr4
	s_branch .LBB281_237
.LBB281_233:
	s_mov_b64 s[2:3], -1
                                        ; implicit-def: $vgpr4
.LBB281_234:
	s_andn2_b64 vcc, exec, s[2:3]
	s_cbranch_vccnz .LBB281_236
; %bb.235:
	global_load_dword v1, v[2:3], off
	s_mov_b32 s2, 0x2f800000
	s_waitcnt vmcnt(0)
	v_trunc_f32_e32 v1, v1
	v_mul_f32_e64 v4, |v1|, s2
	v_floor_f32_e32 v4, v4
	s_mov_b32 s2, 0xcf800000
	v_fma_f32 v4, v4, s2, |v1|
	v_cvt_u32_f32_e32 v4, v4
	v_ashrrev_i32_e32 v1, 31, v1
	v_xor_b32_e32 v4, v4, v1
	v_sub_u32_e32 v4, v4, v1
.LBB281_236:
	s_mov_b64 s[2:3], 0
.LBB281_237:
	s_andn2_b64 vcc, exec, s[2:3]
	s_cbranch_vccnz .LBB281_239
; %bb.238:
	global_load_ushort v1, v[2:3], off
	s_waitcnt vmcnt(0)
	v_cvt_f32_f16_e32 v1, v1
	v_cvt_i32_f32_e32 v4, v1
.LBB281_239:
	s_cbranch_execnz .LBB281_259
.LBB281_240:
	s_cmp_lt_i32 s8, 2
	s_cbranch_scc1 .LBB281_244
; %bb.241:
	s_cmp_lt_i32 s8, 3
	s_cbranch_scc1 .LBB281_245
; %bb.242:
	s_cmp_gt_i32 s8, 3
	s_cbranch_scc0 .LBB281_246
; %bb.243:
	global_load_dwordx2 v[4:5], v[2:3], off
	s_mov_b64 s[2:3], 0
	s_branch .LBB281_247
.LBB281_244:
	s_mov_b64 s[2:3], -1
                                        ; implicit-def: $vgpr4
	s_branch .LBB281_253
.LBB281_245:
	s_mov_b64 s[2:3], -1
                                        ; implicit-def: $vgpr4
	s_branch .LBB281_250
.LBB281_246:
	s_mov_b64 s[2:3], -1
                                        ; implicit-def: $vgpr4
.LBB281_247:
	s_andn2_b64 vcc, exec, s[2:3]
	s_cbranch_vccnz .LBB281_249
; %bb.248:
	global_load_dword v4, v[2:3], off
.LBB281_249:
	s_mov_b64 s[2:3], 0
.LBB281_250:
	s_andn2_b64 vcc, exec, s[2:3]
	s_cbranch_vccnz .LBB281_252
; %bb.251:
	global_load_ushort v4, v[2:3], off
.LBB281_252:
	s_mov_b64 s[2:3], 0
.LBB281_253:
	s_andn2_b64 vcc, exec, s[2:3]
	s_cbranch_vccnz .LBB281_259
; %bb.254:
	s_cmp_gt_i32 s8, 0
	s_cbranch_scc0 .LBB281_256
; %bb.255:
	global_load_ubyte v4, v[2:3], off
	s_mov_b64 s[2:3], 0
	s_branch .LBB281_257
.LBB281_256:
	s_mov_b64 s[2:3], -1
                                        ; implicit-def: $vgpr4
.LBB281_257:
	s_andn2_b64 vcc, exec, s[2:3]
	s_cbranch_vccnz .LBB281_259
; %bb.258:
	global_load_ubyte v4, v[2:3], off
.LBB281_259:
	s_branch .LBB281_26
.LBB281_260:
	s_mov_b64 s[2:3], 0
.LBB281_261:
	s_mov_b64 s[6:7], 0
                                        ; implicit-def: $vgpr12
.LBB281_262:
	s_and_b64 s[54:55], s[2:3], exec
	s_and_b64 s[56:57], s[4:5], exec
	s_orn2_b64 s[4:5], s[6:7], exec
.LBB281_263:
	s_or_b64 exec, exec, s[58:59]
	s_mov_b64 s[8:9], 0
	s_mov_b64 s[2:3], 0
                                        ; implicit-def: $vgpr2_vgpr3
                                        ; implicit-def: $vgpr0
                                        ; implicit-def: $vgpr6
	s_and_saveexec_b64 s[58:59], s[4:5]
	s_cbranch_execz .LBB281_271
; %bb.264:
	v_cmp_gt_i32_e32 vcc, s70, v12
	s_mov_b64 s[2:3], -1
	s_mov_b64 s[60:61], s[56:57]
	s_mov_b64 s[62:63], s[54:55]
	s_and_saveexec_b64 s[64:65], vcc
	s_cbranch_execz .LBB281_536
; %bb.265:
	s_andn2_b64 vcc, exec, s[42:43]
	s_cbranch_vccnz .LBB281_274
; %bb.266:
	s_andn2_b64 vcc, exec, s[52:53]
	s_cbranch_vccnz .LBB281_275
; %bb.267:
	s_add_i32 s63, s77, 1
	s_cmp_eq_u32 s72, 2
	s_cbranch_scc1 .LBB281_276
; %bb.268:
	s_and_b32 s62, s63, 28
	s_mov_b32 s66, 0
	v_mov_b32_e32 v0, 0
	v_mov_b32_e32 v2, 0
	s_mov_b64 s[2:3], s[34:35]
	s_mov_b64 s[60:61], s[50:51]
	s_waitcnt vmcnt(0)
	v_mov_b32_e32 v4, v12
.LBB281_269:                            ; =>This Inner Loop Header: Depth=1
	s_load_dwordx8 s[12:19], s[2:3], 0x4
	s_load_dwordx4 s[36:39], s[2:3], 0x24
	s_load_dwordx8 s[4:11], s[60:61], 0x0
	s_add_u32 s2, s2, 48
	s_addc_u32 s3, s3, 0
	s_waitcnt lgkmcnt(0)
	v_mul_hi_u32 v1, s13, v4
	v_add_u32_e32 v1, v4, v1
	v_lshrrev_b32_e32 v1, s14, v1
	v_mul_lo_u32 v3, v1, s12
	v_mul_hi_u32 v5, s16, v1
	v_sub_u32_e32 v3, v4, v3
	v_add_u32_e32 v4, v1, v5
	v_lshrrev_b32_e32 v4, s17, v4
	v_mul_lo_u32 v6, v4, s15
	v_mul_hi_u32 v7, s19, v4
	v_sub_u32_e32 v1, v1, v6
	v_add_u32_e32 v6, v4, v7
	v_mul_lo_u32 v5, v3, s5
	v_mul_lo_u32 v3, v3, s4
	;; [unrolled: 1-line block ×4, first 2 shown]
	v_lshrrev_b32_e32 v6, s36, v6
	v_add3_u32 v0, v3, v0, v1
	v_mul_hi_u32 v3, s38, v6
	v_add3_u32 v1, v5, v2, v7
	v_mul_lo_u32 v2, v6, s18
	v_add_u32_e32 v3, v6, v3
	v_sub_u32_e32 v2, v4, v2
	v_lshrrev_b32_e32 v4, s39, v3
	s_add_i32 s66, s66, 4
	v_mul_lo_u32 v3, v4, s37
	s_add_u32 s60, s60, 32
	v_sub_u32_e32 v3, v6, v3
	s_addc_u32 s61, s61, 0
	v_mul_lo_u32 v5, v2, s8
	v_mul_lo_u32 v2, v2, s9
	;; [unrolled: 1-line block ×4, first 2 shown]
	s_cmp_eq_u32 s62, s66
	v_add3_u32 v2, v2, v1, v3
	v_add3_u32 v0, v5, v0, v6
	s_cbranch_scc0 .LBB281_269
; %bb.270:
	v_mov_b32_e32 v1, v2
	s_branch .LBB281_277
.LBB281_271:
	s_or_b64 exec, exec, s[58:59]
	s_mov_b64 s[4:5], 0
	s_and_saveexec_b64 s[6:7], s[56:57]
	s_cbranch_execnz .LBB281_906
.LBB281_272:
	s_or_b64 exec, exec, s[6:7]
	s_and_saveexec_b64 s[6:7], s[62:63]
	s_xor_b64 s[6:7], exec, s[6:7]
	s_cbranch_execz .LBB281_907
.LBB281_273:
	global_load_ubyte v1, v[2:3], off
	s_or_b64 s[2:3], s[2:3], exec
	s_waitcnt vmcnt(0)
	v_cmp_ne_u16_e32 vcc, 0, v1
	s_nop 1
	v_cndmask_b32_e64 v6, 0, 1, vcc
	s_or_b64 exec, exec, s[6:7]
	s_and_saveexec_b64 s[6:7], s[8:9]
	s_cbranch_execz .LBB281_953
	s_branch .LBB281_908
.LBB281_274:
                                        ; implicit-def: $vgpr2
                                        ; implicit-def: $vgpr0
	s_andn2_b64 vcc, exec, s[2:3]
	s_cbranch_vccz .LBB281_281
	s_branch .LBB281_283
.LBB281_275:
	v_mov_b32_e32 v2, 0
	v_mov_b32_e32 v0, 0
	s_branch .LBB281_280
.LBB281_276:
	v_mov_b32_e32 v0, 0
	s_mov_b32 s62, 0
	v_mov_b32_e32 v1, v0
                                        ; implicit-def: $vgpr2
	s_waitcnt vmcnt(0)
	v_mov_b32_e32 v4, v12
.LBB281_277:
	s_and_b32 s6, s63, 3
	s_cmp_eq_u32 s6, 0
	s_cbranch_scc1 .LBB281_280
; %bb.278:
	s_lshl_b32 s2, s62, 3
	s_add_u32 s2, s34, s2
	s_addc_u32 s3, s35, 0
	s_add_u32 s2, s2, 0xc4
	s_addc_u32 s3, s3, 0
	s_mul_i32 s4, s62, 12
	s_add_u32 s4, s34, s4
	s_addc_u32 s5, s35, 0
.LBB281_279:                            ; =>This Inner Loop Header: Depth=1
	s_load_dwordx2 s[8:9], s[4:5], 0x4
	s_load_dword s7, s[4:5], 0xc
	s_load_dwordx2 s[10:11], s[2:3], 0x0
	v_mov_b32_e32 v2, v1
	s_add_u32 s4, s4, 12
	s_waitcnt lgkmcnt(0)
	v_mul_hi_u32 v1, s9, v4
	v_add_u32_e32 v1, v4, v1
	v_lshrrev_b32_e32 v1, s7, v1
	s_addc_u32 s5, s5, 0
	v_mul_lo_u32 v3, v1, s8
	s_add_u32 s2, s2, 8
	v_sub_u32_e32 v5, v4, v3
	s_addc_u32 s3, s3, 0
	s_add_i32 s6, s6, -1
	v_mov_b32_e32 v4, v1
	v_mad_u64_u32 v[2:3], s[8:9], v5, s11, v[2:3]
	v_mad_u64_u32 v[0:1], s[8:9], v5, s10, v[0:1]
	s_cmp_lg_u32 s6, 0
	v_mov_b32_e32 v1, v2
	s_cbranch_scc1 .LBB281_279
.LBB281_280:
	s_cbranch_execnz .LBB281_283
.LBB281_281:
	v_mul_hi_u32 v0, s25, v12
	v_add_u32_e32 v0, v12, v0
	v_lshrrev_b32_e32 v1, s26, v0
	v_mul_lo_u32 v0, v1, s24
	v_sub_u32_e32 v0, v12, v0
	v_mul_lo_u32 v2, v0, s29
	s_andn2_b64 vcc, exec, s[48:49]
	v_mul_lo_u32 v0, v0, s28
	s_cbranch_vccnz .LBB281_283
; %bb.282:
	v_mul_hi_u32 v3, s46, v1
	v_add_u32_e32 v3, v1, v3
	v_lshrrev_b32_e32 v3, s47, v3
	v_mul_lo_u32 v3, v3, s27
	v_sub_u32_e32 v3, v1, v3
	v_mad_u64_u32 v[0:1], s[2:3], v3, s30, v[0:1]
	v_mad_u64_u32 v[2:3], s[2:3], v3, s31, v[2:3]
.LBB281_283:
	v_mov_b32_e32 v3, 0
	s_and_b32 s8, 0xffff, s76
	s_cmp_lt_i32 s8, 11
	v_lshl_add_u64 v[2:3], s[22:23], 0, v[2:3]
	s_cbranch_scc1 .LBB281_290
; %bb.284:
	s_cmp_gt_i32 s8, 25
	s_cbranch_scc0 .LBB281_299
; %bb.285:
	s_cmp_gt_i32 s8, 28
	s_cbranch_scc0 .LBB281_301
	;; [unrolled: 3-line block ×4, first 2 shown]
; %bb.288:
	s_cmp_eq_u32 s8, 46
	s_mov_b64 s[6:7], 0
	s_cbranch_scc0 .LBB281_311
; %bb.289:
	global_load_dword v1, v[2:3], off
	s_mov_b32 s2, 0x2f800000
	s_mov_b32 s3, 0xcf800000
	s_mov_b64 s[4:5], 0
	s_waitcnt vmcnt(0)
	v_lshlrev_b32_e32 v1, 16, v1
	v_trunc_f32_e32 v1, v1
	v_mul_f32_e64 v4, |v1|, s2
	v_floor_f32_e32 v4, v4
	v_fma_f32 v4, v4, s3, |v1|
	v_cvt_u32_f32_e32 v4, v4
	v_ashrrev_i32_e32 v1, 31, v1
	s_mov_b64 s[2:3], -1
	v_xor_b32_e32 v4, v4, v1
	v_sub_u32_e32 v4, v4, v1
	s_branch .LBB281_312
.LBB281_290:
	s_mov_b64 s[2:3], 0
                                        ; implicit-def: $vgpr4
	s_mov_b64 s[4:5], s[56:57]
	s_cbranch_execnz .LBB281_485
.LBB281_291:
	s_andn2_b64 vcc, exec, s[2:3]
	s_cbranch_vccnz .LBB281_533
.LBB281_292:
	s_and_b32 s2, s74, 0xff
	s_waitcnt vmcnt(0)
	v_max_u16_sdwa v1, v4, s2 dst_sel:DWORD dst_unused:UNUSED_PAD src0_sel:BYTE_0 src1_sel:DWORD
	s_and_b32 s2, s75, 0xff
	v_min_u16_e32 v2, s2, v1
	v_mov_b32_e32 v1, 0
	s_and_b32 s12, s73, 0xff
	s_cmp_lt_i32 s12, 11
	v_lshl_add_u64 v[0:1], s[20:21], 0, v[0:1]
	s_cbranch_scc1 .LBB281_300
; %bb.293:
	s_and_b32 s13, 0xffff, s12
	s_cmp_gt_i32 s13, 25
	s_cbranch_scc0 .LBB281_302
; %bb.294:
	s_cmp_gt_i32 s13, 28
	s_cbranch_scc0 .LBB281_304
; %bb.295:
	;; [unrolled: 3-line block ×4, first 2 shown]
	s_mov_b64 s[8:9], 0
	s_mov_b64 s[2:3], -1
	s_cmp_eq_u32 s13, 46
	s_mov_b64 s[6:7], 0
	s_cbranch_scc0 .LBB281_316
; %bb.298:
	v_cvt_f32_ubyte0_e32 v3, v2
	v_bfe_u32 v4, v3, 16, 1
	s_movk_i32 s2, 0x7fff
	v_add3_u32 v3, v3, v4, s2
	v_lshrrev_b32_e32 v3, 16, v3
	global_store_dword v[0:1], v3, off
	s_mov_b64 s[6:7], -1
	s_mov_b64 s[2:3], 0
	s_branch .LBB281_316
.LBB281_299:
	s_mov_b64 s[6:7], -1
	s_mov_b64 s[2:3], 0
	s_mov_b64 s[4:5], s[56:57]
                                        ; implicit-def: $vgpr4
	s_branch .LBB281_451
.LBB281_300:
	s_mov_b64 s[8:9], -1
	s_mov_b64 s[6:7], 0
	s_mov_b64 s[2:3], s[54:55]
	s_branch .LBB281_385
.LBB281_301:
	s_mov_b64 s[6:7], -1
	s_mov_b64 s[2:3], 0
	s_mov_b64 s[4:5], s[56:57]
                                        ; implicit-def: $vgpr4
	s_branch .LBB281_434
.LBB281_302:
	s_mov_b64 s[8:9], -1
	s_mov_b64 s[6:7], 0
	s_mov_b64 s[2:3], s[54:55]
	s_branch .LBB281_343
.LBB281_303:
	s_mov_b64 s[6:7], -1
	s_mov_b64 s[2:3], 0
	s_mov_b64 s[4:5], s[56:57]
                                        ; implicit-def: $vgpr4
	s_branch .LBB281_429
.LBB281_304:
	s_mov_b64 s[8:9], -1
	s_mov_b64 s[6:7], 0
	s_mov_b64 s[2:3], s[54:55]
	s_branch .LBB281_326
.LBB281_305:
	s_andn2_saveexec_b64 s[10:11], s[10:11]
	s_cbranch_execz .LBB281_69
.LBB281_306:
	v_add_f32_e32 v3, 0x46000000, v4
	v_and_b32_e32 v3, 0xff, v3
	v_cmp_ne_u32_e32 vcc, 0, v3
	s_andn2_b64 s[8:9], s[8:9], exec
	s_and_b64 s[14:15], vcc, exec
	s_or_b64 s[8:9], s[8:9], s[14:15]
	s_or_b64 exec, exec, s[10:11]
	v_mov_b32_e32 v5, 0
	s_and_saveexec_b64 s[10:11], s[8:9]
	s_cbranch_execnz .LBB281_70
	s_branch .LBB281_71
.LBB281_307:
	s_mov_b64 s[6:7], -1
	s_mov_b64 s[2:3], 0
	s_mov_b64 s[4:5], s[56:57]
                                        ; implicit-def: $vgpr4
	s_branch .LBB281_312
.LBB281_308:
	s_mov_b64 s[8:9], -1
	s_mov_b64 s[6:7], 0
	s_mov_b64 s[2:3], s[54:55]
	s_branch .LBB281_322
.LBB281_309:
	s_andn2_saveexec_b64 s[10:11], s[10:11]
	s_cbranch_execz .LBB281_82
.LBB281_310:
	v_add_f32_e32 v3, 0x42800000, v4
	v_and_b32_e32 v3, 0xff, v3
	v_cmp_ne_u32_e32 vcc, 0, v3
	s_andn2_b64 s[8:9], s[8:9], exec
	s_and_b64 s[14:15], vcc, exec
	s_or_b64 s[8:9], s[8:9], s[14:15]
	s_or_b64 exec, exec, s[10:11]
	v_mov_b32_e32 v5, 0
	s_and_saveexec_b64 s[10:11], s[8:9]
	s_cbranch_execnz .LBB281_83
	s_branch .LBB281_84
.LBB281_311:
	s_mov_b64 s[4:5], -1
                                        ; implicit-def: $vgpr4
	s_mov_b64 s[2:3], 0
.LBB281_312:
	s_and_b64 vcc, exec, s[6:7]
	s_cbranch_vccz .LBB281_428
; %bb.313:
	s_cmp_eq_u32 s8, 44
	s_cbranch_scc0 .LBB281_427
; %bb.314:
	global_load_ubyte v1, v[2:3], off
	s_mov_b32 s2, 0x2f800000
	s_mov_b32 s3, 0xcf800000
	s_mov_b64 s[4:5], 0
	s_waitcnt vmcnt(0)
	v_lshlrev_b32_e32 v4, 23, v1
	v_trunc_f32_e32 v4, v4
	v_mul_f32_e64 v5, |v4|, s2
	v_floor_f32_e32 v5, v5
	v_fma_f32 v5, v5, s3, |v4|
	v_cvt_u32_f32_e32 v5, v5
	v_ashrrev_i32_e32 v4, 31, v4
	v_cmp_ne_u32_e32 vcc, 0, v1
	s_mov_b64 s[2:3], -1
	v_xor_b32_e32 v5, v5, v4
	v_sub_u32_e32 v4, v5, v4
	v_cndmask_b32_e32 v4, 0, v4, vcc
	s_branch .LBB281_428
.LBB281_315:
	s_mov_b64 s[8:9], -1
	s_mov_b64 s[6:7], 0
	s_mov_b64 s[2:3], s[54:55]
.LBB281_316:
	s_and_b64 vcc, exec, s[8:9]
	s_cbranch_vccz .LBB281_321
; %bb.317:
	s_cmp_eq_u32 s13, 44
	s_mov_b64 s[2:3], -1
	s_cbranch_scc0 .LBB281_321
; %bb.318:
	v_cvt_f32_ubyte0_e32 v4, v2
	v_lshrrev_b32_e32 v3, 23, v4
	s_movk_i32 s2, 0xff
	v_cmp_ne_u32_e32 vcc, s2, v3
	v_mov_b32_e32 v5, 0xff
	s_and_saveexec_b64 s[6:7], vcc
; %bb.319:
	s_mov_b32 s2, 0x3fffff
	v_and_b32_e32 v5, 0x400000, v4
	v_and_or_b32 v4, v4, s2, v3
	v_cmp_ne_u32_e32 vcc, 0, v5
	v_cmp_ne_u32_e64 s[2:3], 0, v4
	s_and_b64 s[2:3], vcc, s[2:3]
	s_nop 0
	v_cndmask_b32_e64 v4, 0, 1, s[2:3]
	v_add_u32_e32 v5, v3, v4
; %bb.320:
	s_or_b64 exec, exec, s[6:7]
	s_mov_b64 s[6:7], -1
	s_mov_b64 s[2:3], 0
	global_store_byte v[0:1], v5, off
.LBB281_321:
	s_mov_b64 s[8:9], 0
.LBB281_322:
	s_and_b64 vcc, exec, s[8:9]
	s_cbranch_vccz .LBB281_325
; %bb.323:
	s_cmp_eq_u32 s13, 29
	s_mov_b64 s[2:3], -1
	s_cbranch_scc0 .LBB281_325
; %bb.324:
	s_mov_b32 s2, 0
	v_mov_b32_e32 v3, s2
	global_store_dwordx2 v[0:1], v[2:3], off
	s_mov_b64 s[6:7], -1
	s_mov_b64 s[2:3], 0
.LBB281_325:
	s_mov_b64 s[8:9], 0
.LBB281_326:
	s_and_b64 vcc, exec, s[8:9]
	s_cbranch_vccz .LBB281_342
; %bb.327:
	s_cmp_lt_i32 s13, 27
	s_mov_b64 s[6:7], -1
	s_cbranch_scc1 .LBB281_333
; %bb.328:
	s_cmp_gt_i32 s13, 27
	s_cbranch_scc0 .LBB281_330
; %bb.329:
	s_mov_b64 s[6:7], 0
	global_store_dword v[0:1], v2, off
.LBB281_330:
	s_andn2_b64 vcc, exec, s[6:7]
	s_cbranch_vccnz .LBB281_332
; %bb.331:
	global_store_short v[0:1], v2, off
.LBB281_332:
	s_mov_b64 s[6:7], 0
.LBB281_333:
	s_andn2_b64 vcc, exec, s[6:7]
	s_cbranch_vccnz .LBB281_341
; %bb.334:
	v_cvt_f32_ubyte0_e32 v4, v2
	s_mov_b32 s6, 0x43800000
	v_cmp_gt_u32_e32 vcc, s6, v4
	v_mov_b32_e32 v5, 0x80
	s_and_saveexec_b64 s[6:7], vcc
	s_cbranch_execz .LBB281_340
; %bb.335:
	s_mov_b32 s8, 0x3bffffff
	v_cmp_lt_u32_e32 vcc, s8, v4
	s_mov_b64 s[8:9], 0
                                        ; implicit-def: $vgpr3
	s_and_saveexec_b64 s[10:11], vcc
	s_xor_b64 s[10:11], exec, s[10:11]
	s_cbranch_execz .LBB281_565
; %bb.336:
	v_bfe_u32 v3, v4, 20, 1
	s_mov_b32 s14, 0x487ffff
	v_add3_u32 v3, v4, v3, s14
	s_mov_b64 s[8:9], exec
	v_lshrrev_b32_e32 v3, 20, v3
                                        ; implicit-def: $vgpr4
	s_andn2_saveexec_b64 s[10:11], s[10:11]
	s_cbranch_execnz .LBB281_566
.LBB281_337:
	s_or_b64 exec, exec, s[10:11]
	v_mov_b32_e32 v5, 0
	s_and_saveexec_b64 s[10:11], s[8:9]
.LBB281_338:
	v_mov_b32_e32 v5, v3
.LBB281_339:
	s_or_b64 exec, exec, s[10:11]
.LBB281_340:
	s_or_b64 exec, exec, s[6:7]
	global_store_byte v[0:1], v5, off
.LBB281_341:
	s_mov_b64 s[6:7], -1
.LBB281_342:
	s_mov_b64 s[8:9], 0
.LBB281_343:
	s_and_b64 vcc, exec, s[8:9]
	s_cbranch_vccz .LBB281_384
; %bb.344:
	s_cmp_gt_i32 s13, 22
	s_mov_b64 s[8:9], -1
	s_cbranch_scc0 .LBB281_376
; %bb.345:
	s_cmp_lt_i32 s13, 24
	s_mov_b64 s[6:7], -1
	s_cbranch_scc1 .LBB281_365
; %bb.346:
	s_cmp_gt_i32 s13, 24
	s_cbranch_scc0 .LBB281_354
; %bb.347:
	v_cvt_f32_ubyte0_e32 v4, v2
	s_mov_b32 s6, 0x47800000
	v_cmp_gt_u32_e32 vcc, s6, v4
	v_mov_b32_e32 v5, 0x80
	s_and_saveexec_b64 s[6:7], vcc
	s_cbranch_execz .LBB281_353
; %bb.348:
	s_mov_b32 s8, 0x37ffffff
	v_cmp_lt_u32_e32 vcc, s8, v4
	s_mov_b64 s[8:9], 0
                                        ; implicit-def: $vgpr3
	s_and_saveexec_b64 s[10:11], vcc
	s_xor_b64 s[10:11], exec, s[10:11]
	s_cbranch_execz .LBB281_568
; %bb.349:
	v_bfe_u32 v3, v4, 21, 1
	s_mov_b32 s14, 0x88fffff
	v_add3_u32 v3, v4, v3, s14
	s_mov_b64 s[8:9], exec
	v_lshrrev_b32_e32 v3, 21, v3
                                        ; implicit-def: $vgpr4
	s_andn2_saveexec_b64 s[10:11], s[10:11]
	s_cbranch_execnz .LBB281_569
.LBB281_350:
	s_or_b64 exec, exec, s[10:11]
	v_mov_b32_e32 v5, 0
	s_and_saveexec_b64 s[10:11], s[8:9]
.LBB281_351:
	v_mov_b32_e32 v5, v3
.LBB281_352:
	s_or_b64 exec, exec, s[10:11]
.LBB281_353:
	s_or_b64 exec, exec, s[6:7]
	s_mov_b64 s[6:7], 0
	global_store_byte v[0:1], v5, off
.LBB281_354:
	s_and_b64 vcc, exec, s[6:7]
	s_cbranch_vccz .LBB281_364
; %bb.355:
	v_cvt_f32_ubyte0_e32 v3, v2
	s_mov_b32 s6, 0x43f00000
	v_cmp_gt_u32_e32 vcc, s6, v3
                                        ; implicit-def: $vgpr4
	s_and_saveexec_b64 s[6:7], vcc
	s_xor_b64 s[6:7], exec, s[6:7]
	s_cbranch_execz .LBB281_361
; %bb.356:
	s_mov_b32 s8, 0x3c7fffff
	v_cmp_lt_u32_e32 vcc, s8, v3
                                        ; implicit-def: $vgpr4
	s_and_saveexec_b64 s[8:9], vcc
	s_xor_b64 s[8:9], exec, s[8:9]
; %bb.357:
	v_bfe_u32 v4, v3, 20, 1
	s_mov_b32 s10, 0x407ffff
	v_add3_u32 v3, v3, v4, s10
	v_lshrrev_b32_e32 v4, 20, v3
	v_and_b32_e32 v3, 0xff00000, v3
	s_mov_b32 s10, 0x7f00000
	v_mov_b32_e32 v5, 0x7e
	v_cmp_ne_u32_e32 vcc, s10, v3
                                        ; implicit-def: $vgpr3
	s_nop 1
	v_cndmask_b32_e32 v4, v5, v4, vcc
; %bb.358:
	s_andn2_saveexec_b64 s[8:9], s[8:9]
; %bb.359:
	v_add_f32_e32 v4, 0x46800000, v3
; %bb.360:
	s_or_b64 exec, exec, s[8:9]
                                        ; implicit-def: $vgpr3
.LBB281_361:
	s_andn2_saveexec_b64 s[6:7], s[6:7]
; %bb.362:
	s_mov_b32 s8, 0x7f800000
	v_mov_b32_e32 v4, 0x7e
	v_mov_b32_e32 v5, 0x7f
	v_cmp_lt_u32_e32 vcc, s8, v3
	s_nop 1
	v_cndmask_b32_e32 v4, v4, v5, vcc
; %bb.363:
	s_or_b64 exec, exec, s[6:7]
	global_store_byte v[0:1], v4, off
.LBB281_364:
	s_mov_b64 s[6:7], 0
.LBB281_365:
	s_andn2_b64 vcc, exec, s[6:7]
	s_cbranch_vccnz .LBB281_375
; %bb.366:
	v_cvt_f32_ubyte0_e32 v3, v2
	s_mov_b32 s6, 0x47800000
	v_cmp_gt_u32_e32 vcc, s6, v3
                                        ; implicit-def: $vgpr4
	s_and_saveexec_b64 s[6:7], vcc
	s_xor_b64 s[6:7], exec, s[6:7]
	s_cbranch_execz .LBB281_372
; %bb.367:
	s_mov_b32 s8, 0x387fffff
	v_cmp_lt_u32_e32 vcc, s8, v3
                                        ; implicit-def: $vgpr4
	s_and_saveexec_b64 s[8:9], vcc
	s_xor_b64 s[8:9], exec, s[8:9]
; %bb.368:
	v_bfe_u32 v4, v3, 21, 1
	s_mov_b32 s10, 0x80fffff
	v_add3_u32 v3, v3, v4, s10
	v_lshrrev_b32_e32 v4, 21, v3
                                        ; implicit-def: $vgpr3
; %bb.369:
	s_andn2_saveexec_b64 s[8:9], s[8:9]
; %bb.370:
	v_add_f32_e32 v4, 0x43000000, v3
; %bb.371:
	s_or_b64 exec, exec, s[8:9]
                                        ; implicit-def: $vgpr3
.LBB281_372:
	s_andn2_saveexec_b64 s[6:7], s[6:7]
; %bb.373:
	s_mov_b32 s8, 0x7f800000
	v_mov_b32_e32 v4, 0x7c
	v_mov_b32_e32 v5, 0x7f
	v_cmp_lt_u32_e32 vcc, s8, v3
	s_nop 1
	v_cndmask_b32_e32 v4, v4, v5, vcc
; %bb.374:
	s_or_b64 exec, exec, s[6:7]
	global_store_byte v[0:1], v4, off
.LBB281_375:
	s_mov_b64 s[8:9], 0
	s_mov_b64 s[6:7], -1
.LBB281_376:
	s_andn2_b64 vcc, exec, s[8:9]
	s_cbranch_vccnz .LBB281_384
; %bb.377:
	s_cmp_gt_i32 s13, 14
	s_mov_b64 s[8:9], -1
	s_cbranch_scc0 .LBB281_381
; %bb.378:
	s_cmp_eq_u32 s13, 15
	s_mov_b64 s[2:3], -1
	s_cbranch_scc0 .LBB281_380
; %bb.379:
	v_cvt_f32_ubyte0_e32 v3, v2
	v_bfe_u32 v4, v3, 16, 1
	s_movk_i32 s2, 0x7fff
	v_add3_u32 v3, v3, v4, s2
	global_store_short_d16_hi v[0:1], v3, off
	s_mov_b64 s[6:7], -1
	s_mov_b64 s[2:3], 0
.LBB281_380:
	s_mov_b64 s[8:9], 0
.LBB281_381:
	s_and_b64 vcc, exec, s[8:9]
	s_cbranch_vccz .LBB281_384
; %bb.382:
	s_cmp_eq_u32 s13, 11
	s_mov_b64 s[2:3], -1
	s_cbranch_scc0 .LBB281_384
; %bb.383:
	v_cmp_ne_u16_e32 vcc, 0, v2
	s_mov_b64 s[6:7], -1
	s_mov_b64 s[2:3], 0
	v_cndmask_b32_e64 v3, 0, 1, vcc
	global_store_byte v[0:1], v3, off
.LBB281_384:
	s_mov_b64 s[8:9], 0
.LBB281_385:
	s_and_b64 vcc, exec, s[8:9]
	s_cbranch_vccz .LBB281_424
; %bb.386:
	s_and_b32 s8, 0xffff, s12
	s_cmp_lt_i32 s8, 5
	s_mov_b64 s[6:7], -1
	s_cbranch_scc1 .LBB281_407
; %bb.387:
	s_cmp_lt_i32 s8, 8
	s_cbranch_scc1 .LBB281_397
; %bb.388:
	s_cmp_lt_i32 s8, 9
	s_cbranch_scc1 .LBB281_394
; %bb.389:
	s_cmp_gt_i32 s8, 9
	s_cbranch_scc0 .LBB281_391
; %bb.390:
	v_mov_b32_e32 v6, 0
	v_cvt_f64_u32_e32 v[4:5], v2
	v_mov_b32_e32 v7, v6
	s_mov_b64 s[6:7], 0
	global_store_dwordx4 v[0:1], v[4:7], off
.LBB281_391:
	s_andn2_b64 vcc, exec, s[6:7]
	s_cbranch_vccnz .LBB281_393
; %bb.392:
	v_cvt_f32_ubyte0_e32 v4, v2
	v_mov_b32_e32 v5, 0
	global_store_dwordx2 v[0:1], v[4:5], off
.LBB281_393:
	s_mov_b64 s[6:7], 0
.LBB281_394:
	s_andn2_b64 vcc, exec, s[6:7]
	s_cbranch_vccnz .LBB281_396
; %bb.395:
	v_cvt_f16_u16_e32 v3, v2
	global_store_dword v[0:1], v3, off
.LBB281_396:
	s_mov_b64 s[6:7], 0
.LBB281_397:
	s_andn2_b64 vcc, exec, s[6:7]
	s_cbranch_vccnz .LBB281_406
; %bb.398:
	s_cmp_lt_i32 s8, 6
	s_mov_b64 s[6:7], -1
	s_cbranch_scc1 .LBB281_404
; %bb.399:
	s_cmp_gt_i32 s8, 6
	s_cbranch_scc0 .LBB281_401
; %bb.400:
	v_cvt_f64_u32_e32 v[4:5], v2
	s_mov_b64 s[6:7], 0
	global_store_dwordx2 v[0:1], v[4:5], off
.LBB281_401:
	s_andn2_b64 vcc, exec, s[6:7]
	s_cbranch_vccnz .LBB281_403
; %bb.402:
	v_cvt_f32_ubyte0_e32 v3, v2
	global_store_dword v[0:1], v3, off
.LBB281_403:
	s_mov_b64 s[6:7], 0
.LBB281_404:
	s_andn2_b64 vcc, exec, s[6:7]
	s_cbranch_vccnz .LBB281_406
; %bb.405:
	v_cvt_f16_u16_e32 v3, v2
	global_store_short v[0:1], v3, off
.LBB281_406:
	s_mov_b64 s[6:7], 0
.LBB281_407:
	s_andn2_b64 vcc, exec, s[6:7]
	s_cbranch_vccnz .LBB281_423
; %bb.408:
	s_cmp_lt_i32 s8, 2
	s_mov_b64 s[6:7], -1
	s_cbranch_scc1 .LBB281_418
; %bb.409:
	s_cmp_lt_i32 s8, 3
	s_cbranch_scc1 .LBB281_415
; %bb.410:
	s_cmp_gt_i32 s8, 3
	s_cbranch_scc0 .LBB281_412
; %bb.411:
	s_mov_b32 s6, 0
	v_mov_b32_e32 v3, s6
	s_mov_b64 s[6:7], 0
	global_store_dwordx2 v[0:1], v[2:3], off
.LBB281_412:
	s_andn2_b64 vcc, exec, s[6:7]
	s_cbranch_vccnz .LBB281_414
; %bb.413:
	global_store_dword v[0:1], v2, off
.LBB281_414:
	s_mov_b64 s[6:7], 0
.LBB281_415:
	s_andn2_b64 vcc, exec, s[6:7]
	s_cbranch_vccnz .LBB281_417
; %bb.416:
	global_store_short v[0:1], v2, off
.LBB281_417:
	s_mov_b64 s[6:7], 0
.LBB281_418:
	s_andn2_b64 vcc, exec, s[6:7]
	s_cbranch_vccnz .LBB281_423
; %bb.419:
	s_cmp_gt_i32 s8, 0
	s_mov_b64 s[6:7], -1
	s_cbranch_scc0 .LBB281_421
; %bb.420:
	s_mov_b64 s[6:7], 0
	global_store_byte v[0:1], v2, off
.LBB281_421:
	s_andn2_b64 vcc, exec, s[6:7]
	s_cbranch_vccnz .LBB281_423
; %bb.422:
	global_store_byte v[0:1], v2, off
.LBB281_423:
	s_mov_b64 s[6:7], -1
.LBB281_424:
	s_andn2_b64 vcc, exec, s[6:7]
	s_cbranch_vccnz .LBB281_426
; %bb.425:
	v_add_u32_e32 v12, 0x80, v12
	s_mov_b64 s[6:7], -1
	s_branch .LBB281_535
.LBB281_426:
	s_mov_b64 s[6:7], 0
	s_branch .LBB281_534
.LBB281_427:
	s_mov_b64 s[4:5], -1
                                        ; implicit-def: $vgpr4
.LBB281_428:
	s_mov_b64 s[6:7], 0
.LBB281_429:
	s_and_b64 vcc, exec, s[6:7]
	s_cbranch_vccz .LBB281_433
; %bb.430:
	s_cmp_eq_u32 s8, 29
	s_cbranch_scc0 .LBB281_432
; %bb.431:
	global_load_dwordx2 v[4:5], v[2:3], off
	s_mov_b64 s[2:3], -1
	s_mov_b64 s[4:5], 0
	s_branch .LBB281_433
.LBB281_432:
	s_mov_b64 s[4:5], -1
                                        ; implicit-def: $vgpr4
.LBB281_433:
	s_mov_b64 s[6:7], 0
.LBB281_434:
	s_and_b64 vcc, exec, s[6:7]
	s_cbranch_vccz .LBB281_450
; %bb.435:
	s_cmp_lt_i32 s8, 27
	s_cbranch_scc1 .LBB281_438
; %bb.436:
	s_cmp_gt_i32 s8, 27
	s_cbranch_scc0 .LBB281_439
; %bb.437:
	global_load_dword v4, v[2:3], off
	s_mov_b64 s[2:3], 0
	s_branch .LBB281_440
.LBB281_438:
	s_mov_b64 s[2:3], -1
                                        ; implicit-def: $vgpr4
	s_branch .LBB281_443
.LBB281_439:
	s_mov_b64 s[2:3], -1
                                        ; implicit-def: $vgpr4
.LBB281_440:
	s_andn2_b64 vcc, exec, s[2:3]
	s_cbranch_vccnz .LBB281_442
; %bb.441:
	global_load_ushort v4, v[2:3], off
.LBB281_442:
	s_mov_b64 s[2:3], 0
.LBB281_443:
	s_andn2_b64 vcc, exec, s[2:3]
	s_cbranch_vccnz .LBB281_449
; %bb.444:
	global_load_ubyte v1, v[2:3], off
	s_movk_i32 s2, 0x7f
	s_mov_b64 s[6:7], 0
	s_waitcnt vmcnt(0)
	v_cmp_lt_i16_e32 vcc, s2, v1
	s_and_saveexec_b64 s[2:3], vcc
	s_xor_b64 s[2:3], exec, s[2:3]
	s_cbranch_execz .LBB281_461
; %bb.445:
	s_movk_i32 s6, 0x80
	v_cmp_ne_u16_e32 vcc, s6, v1
	s_and_b64 s[6:7], vcc, exec
	s_andn2_saveexec_b64 s[2:3], s[2:3]
	s_cbranch_execnz .LBB281_462
.LBB281_446:
	s_or_b64 exec, exec, s[2:3]
	v_mov_b32_e32 v4, 0
	s_and_saveexec_b64 s[2:3], s[6:7]
	s_cbranch_execz .LBB281_448
.LBB281_447:
	v_lshlrev_b32_e32 v4, 24, v1
	v_and_b32_e32 v1, 0xffff, v1
	v_and_b32_e32 v5, 7, v1
	v_ffbh_u32_e32 v7, v5
	v_min_u32_e32 v7, 32, v7
	v_subrev_u32_e32 v8, 28, v7
	v_bfe_u32 v6, v1, 3, 4
	v_lshlrev_b32_e32 v1, v8, v1
	v_sub_u32_e32 v7, 29, v7
	v_and_b32_e32 v1, 7, v1
	v_cmp_eq_u32_e32 vcc, 0, v6
	v_and_b32_e32 v4, 0x80000000, v4
	s_mov_b32 s6, 0x2f800000
	v_cndmask_b32_e32 v6, v6, v7, vcc
	v_cndmask_b32_e32 v1, v5, v1, vcc
	v_mov_b32_e32 v5, 0x3b800000
	v_lshlrev_b32_e32 v1, 20, v1
	v_lshl_add_u32 v5, v6, 23, v5
	v_or3_b32 v1, v4, v5, v1
	v_trunc_f32_e32 v1, v1
	v_mul_f32_e64 v4, |v1|, s6
	v_floor_f32_e32 v4, v4
	s_mov_b32 s6, 0xcf800000
	v_fma_f32 v4, v4, s6, |v1|
	v_cvt_u32_f32_e32 v4, v4
	v_ashrrev_i32_e32 v1, 31, v1
	v_xor_b32_e32 v4, v4, v1
	v_sub_u32_e32 v4, v4, v1
.LBB281_448:
	s_or_b64 exec, exec, s[2:3]
.LBB281_449:
	s_mov_b64 s[2:3], -1
.LBB281_450:
	s_mov_b64 s[6:7], 0
.LBB281_451:
	s_and_b64 vcc, exec, s[6:7]
	s_cbranch_vccz .LBB281_484
; %bb.452:
	s_cmp_gt_i32 s8, 22
	s_cbranch_scc0 .LBB281_460
; %bb.453:
	s_cmp_lt_i32 s8, 24
	s_cbranch_scc1 .LBB281_463
; %bb.454:
	s_cmp_gt_i32 s8, 24
	s_cbranch_scc0 .LBB281_464
; %bb.455:
	global_load_ubyte v1, v[2:3], off
	s_movk_i32 s2, 0x7f
	s_mov_b64 s[6:7], 0
	s_waitcnt vmcnt(0)
	v_cmp_lt_i16_e32 vcc, s2, v1
	s_and_saveexec_b64 s[2:3], vcc
	s_xor_b64 s[2:3], exec, s[2:3]
	s_cbranch_execz .LBB281_476
; %bb.456:
	s_movk_i32 s6, 0x80
	v_cmp_ne_u16_e32 vcc, s6, v1
	s_and_b64 s[6:7], vcc, exec
	s_andn2_saveexec_b64 s[2:3], s[2:3]
	s_cbranch_execnz .LBB281_477
.LBB281_457:
	s_or_b64 exec, exec, s[2:3]
	v_mov_b32_e32 v4, 0
	s_and_saveexec_b64 s[2:3], s[6:7]
	s_cbranch_execz .LBB281_459
.LBB281_458:
	v_lshlrev_b32_e32 v4, 24, v1
	v_and_b32_e32 v1, 0xffff, v1
	v_and_b32_e32 v5, 3, v1
	v_ffbh_u32_e32 v7, v5
	v_min_u32_e32 v7, 32, v7
	v_subrev_u32_e32 v8, 29, v7
	v_bfe_u32 v6, v1, 2, 5
	v_lshlrev_b32_e32 v1, v8, v1
	v_sub_u32_e32 v7, 30, v7
	v_and_b32_e32 v1, 3, v1
	v_cmp_eq_u32_e32 vcc, 0, v6
	v_and_b32_e32 v4, 0x80000000, v4
	s_mov_b32 s6, 0x2f800000
	v_cndmask_b32_e32 v6, v6, v7, vcc
	v_cndmask_b32_e32 v1, v5, v1, vcc
	v_mov_b32_e32 v5, 0x37800000
	v_lshlrev_b32_e32 v1, 21, v1
	v_lshl_add_u32 v5, v6, 23, v5
	v_or3_b32 v1, v4, v5, v1
	v_trunc_f32_e32 v1, v1
	v_mul_f32_e64 v4, |v1|, s6
	v_floor_f32_e32 v4, v4
	s_mov_b32 s6, 0xcf800000
	v_fma_f32 v4, v4, s6, |v1|
	v_cvt_u32_f32_e32 v4, v4
	v_ashrrev_i32_e32 v1, 31, v1
	v_xor_b32_e32 v4, v4, v1
	v_sub_u32_e32 v4, v4, v1
.LBB281_459:
	s_or_b64 exec, exec, s[2:3]
	s_mov_b64 s[2:3], 0
	s_branch .LBB281_465
.LBB281_460:
	s_mov_b64 s[6:7], -1
                                        ; implicit-def: $vgpr4
	s_branch .LBB281_471
.LBB281_461:
	s_andn2_saveexec_b64 s[2:3], s[2:3]
	s_cbranch_execz .LBB281_446
.LBB281_462:
	v_cmp_ne_u16_e32 vcc, 0, v1
	s_andn2_b64 s[6:7], s[6:7], exec
	s_and_b64 s[10:11], vcc, exec
	s_or_b64 s[6:7], s[6:7], s[10:11]
	s_or_b64 exec, exec, s[2:3]
	v_mov_b32_e32 v4, 0
	s_and_saveexec_b64 s[2:3], s[6:7]
	s_cbranch_execnz .LBB281_447
	s_branch .LBB281_448
.LBB281_463:
	s_mov_b64 s[2:3], -1
                                        ; implicit-def: $vgpr4
	s_branch .LBB281_468
.LBB281_464:
	s_mov_b64 s[2:3], -1
                                        ; implicit-def: $vgpr4
.LBB281_465:
	s_and_b64 vcc, exec, s[2:3]
	s_cbranch_vccz .LBB281_467
; %bb.466:
	global_load_ubyte v1, v[2:3], off
	s_mov_b32 s2, 0x7f800000
	s_brev_b32 s3, 1
	s_mov_b32 s6, 0x2f800000
	s_waitcnt vmcnt(0)
	v_lshlrev_b32_e32 v1, 24, v1
	v_and_b32_e32 v4, 0x7f000000, v1
	v_ffbh_u32_e32 v5, v4
	v_min_u32_e32 v5, 32, v5
	v_sub_u32_e64 v5, v5, 4 clamp
	v_lshlrev_b32_e32 v7, v5, v4
	v_lshlrev_b32_e32 v5, 23, v5
	v_lshrrev_b32_e32 v7, 4, v7
	v_add_u32_e32 v6, 0x1000000, v4
	v_sub_u32_e32 v5, v7, v5
	v_ashrrev_i32_e32 v6, 8, v6
	v_add_u32_e32 v5, 0x3c000000, v5
	v_and_or_b32 v5, v6, s2, v5
	v_cmp_ne_u32_e32 vcc, 0, v4
	s_mov_b32 s2, 0xcf800000
	s_nop 0
	v_cndmask_b32_e32 v4, 0, v5, vcc
	v_and_or_b32 v1, v1, s3, v4
	v_trunc_f32_e32 v1, v1
	v_mul_f32_e64 v4, |v1|, s6
	v_floor_f32_e32 v4, v4
	v_fma_f32 v4, v4, s2, |v1|
	v_cvt_u32_f32_e32 v4, v4
	v_ashrrev_i32_e32 v1, 31, v1
	v_xor_b32_e32 v4, v4, v1
	v_sub_u32_e32 v4, v4, v1
.LBB281_467:
	s_mov_b64 s[2:3], 0
.LBB281_468:
	s_andn2_b64 vcc, exec, s[2:3]
	s_cbranch_vccnz .LBB281_470
; %bb.469:
	global_load_ubyte v1, v[2:3], off
	s_movk_i32 s2, 0x7f00
	s_brev_b32 s3, 16
	s_brev_b32 s6, 1
	s_mov_b32 s7, 0x2f800000
	s_waitcnt vmcnt(0)
	v_lshlrev_b16_e32 v4, 8, v1
	v_lshlrev_b32_e32 v1, 25, v1
	v_lshrrev_b32_e32 v5, 4, v1
	v_and_or_b32 v6, v4, s2, 0.5
	v_or_b32_e32 v5, 0x70000000, v5
	v_add_f32_e32 v6, -0.5, v6
	v_mul_f32_e32 v5, 0x7800000, v5
	v_cmp_gt_u32_e32 vcc, s3, v1
	v_bfe_i32 v4, v4, 0, 16
	s_mov_b32 s2, 0xcf800000
	v_cndmask_b32_e32 v1, v5, v6, vcc
	v_and_or_b32 v1, v4, s6, v1
	v_trunc_f32_e32 v1, v1
	v_mul_f32_e64 v4, |v1|, s7
	v_floor_f32_e32 v4, v4
	v_fma_f32 v4, v4, s2, |v1|
	v_cvt_u32_f32_e32 v4, v4
	v_ashrrev_i32_e32 v1, 31, v1
	v_xor_b32_e32 v4, v4, v1
	v_sub_u32_e32 v4, v4, v1
.LBB281_470:
	s_mov_b64 s[6:7], 0
	s_mov_b64 s[2:3], -1
.LBB281_471:
	s_andn2_b64 vcc, exec, s[6:7]
	s_cbranch_vccnz .LBB281_484
; %bb.472:
	s_cmp_gt_i32 s8, 14
	s_cbranch_scc0 .LBB281_475
; %bb.473:
	s_cmp_eq_u32 s8, 15
	s_cbranch_scc0 .LBB281_478
; %bb.474:
	global_load_ushort v1, v[2:3], off
	s_mov_b32 s2, 0x2f800000
	s_mov_b32 s3, 0xcf800000
	s_mov_b64 s[4:5], 0
	s_waitcnt vmcnt(0)
	v_lshlrev_b32_e32 v1, 16, v1
	v_trunc_f32_e32 v1, v1
	v_mul_f32_e64 v4, |v1|, s2
	v_floor_f32_e32 v4, v4
	v_fma_f32 v4, v4, s3, |v1|
	v_cvt_u32_f32_e32 v4, v4
	v_ashrrev_i32_e32 v1, 31, v1
	s_mov_b64 s[2:3], -1
	v_xor_b32_e32 v4, v4, v1
	v_sub_u32_e32 v4, v4, v1
	s_branch .LBB281_479
.LBB281_475:
	s_mov_b64 s[6:7], -1
                                        ; implicit-def: $vgpr4
	s_branch .LBB281_480
.LBB281_476:
	s_andn2_saveexec_b64 s[2:3], s[2:3]
	s_cbranch_execz .LBB281_457
.LBB281_477:
	v_cmp_ne_u16_e32 vcc, 0, v1
	s_andn2_b64 s[6:7], s[6:7], exec
	s_and_b64 s[10:11], vcc, exec
	s_or_b64 s[6:7], s[6:7], s[10:11]
	s_or_b64 exec, exec, s[2:3]
	v_mov_b32_e32 v4, 0
	s_and_saveexec_b64 s[2:3], s[6:7]
	s_cbranch_execnz .LBB281_458
	s_branch .LBB281_459
.LBB281_478:
	s_mov_b64 s[4:5], -1
                                        ; implicit-def: $vgpr4
.LBB281_479:
	s_mov_b64 s[6:7], 0
.LBB281_480:
	s_and_b64 vcc, exec, s[6:7]
	s_cbranch_vccz .LBB281_484
; %bb.481:
	s_cmp_eq_u32 s8, 11
	s_cbranch_scc0 .LBB281_483
; %bb.482:
	global_load_ubyte v1, v[2:3], off
	s_mov_b64 s[2:3], -1
	s_mov_b64 s[4:5], 0
	s_waitcnt vmcnt(0)
	v_cmp_ne_u16_e32 vcc, 0, v1
	s_nop 1
	v_cndmask_b32_e64 v4, 0, 1, vcc
	s_branch .LBB281_484
.LBB281_483:
	s_mov_b64 s[4:5], -1
                                        ; implicit-def: $vgpr4
.LBB281_484:
	s_branch .LBB281_291
.LBB281_485:
	s_cmp_lt_i32 s8, 5
	s_cbranch_scc1 .LBB281_490
; %bb.486:
	s_cmp_lt_i32 s8, 8
	s_cbranch_scc1 .LBB281_491
; %bb.487:
	;; [unrolled: 3-line block ×3, first 2 shown]
	s_cmp_gt_i32 s8, 9
	s_cbranch_scc0 .LBB281_493
; %bb.489:
	global_load_dwordx2 v[4:5], v[2:3], off
	s_movk_i32 s2, 0xffe0
	s_waitcnt vmcnt(0)
	v_trunc_f64_e32 v[4:5], v[4:5]
	v_ldexp_f64 v[6:7], v[4:5], s2
	v_floor_f64_e32 v[6:7], v[6:7]
	v_fmac_f64_e32 v[4:5], 0xc1f00000, v[6:7]
	v_cvt_u32_f64_e32 v4, v[4:5]
	s_mov_b64 s[2:3], 0
	s_branch .LBB281_494
.LBB281_490:
	s_mov_b64 s[2:3], -1
                                        ; implicit-def: $vgpr4
	s_branch .LBB281_512
.LBB281_491:
	s_mov_b64 s[2:3], -1
                                        ; implicit-def: $vgpr4
	s_branch .LBB281_500
.LBB281_492:
	s_mov_b64 s[2:3], -1
                                        ; implicit-def: $vgpr4
	s_branch .LBB281_497
.LBB281_493:
	s_mov_b64 s[2:3], -1
                                        ; implicit-def: $vgpr4
.LBB281_494:
	s_andn2_b64 vcc, exec, s[2:3]
	s_cbranch_vccnz .LBB281_496
; %bb.495:
	global_load_dword v1, v[2:3], off
	s_mov_b32 s2, 0x2f800000
	s_waitcnt vmcnt(0)
	v_trunc_f32_e32 v1, v1
	v_mul_f32_e64 v4, |v1|, s2
	v_floor_f32_e32 v4, v4
	s_mov_b32 s2, 0xcf800000
	v_fma_f32 v4, v4, s2, |v1|
	v_cvt_u32_f32_e32 v4, v4
	v_ashrrev_i32_e32 v1, 31, v1
	v_xor_b32_e32 v4, v4, v1
	v_sub_u32_e32 v4, v4, v1
.LBB281_496:
	s_mov_b64 s[2:3], 0
.LBB281_497:
	s_andn2_b64 vcc, exec, s[2:3]
	s_cbranch_vccnz .LBB281_499
; %bb.498:
	global_load_dword v1, v[2:3], off
	s_waitcnt vmcnt(0)
	v_cvt_f32_f16_e32 v1, v1
	v_cvt_i32_f32_e32 v4, v1
.LBB281_499:
	s_mov_b64 s[2:3], 0
.LBB281_500:
	s_andn2_b64 vcc, exec, s[2:3]
	s_cbranch_vccnz .LBB281_511
; %bb.501:
	s_cmp_lt_i32 s8, 6
	s_cbranch_scc1 .LBB281_504
; %bb.502:
	s_cmp_gt_i32 s8, 6
	s_cbranch_scc0 .LBB281_505
; %bb.503:
	global_load_dwordx2 v[4:5], v[2:3], off
	s_movk_i32 s2, 0xffe0
	s_waitcnt vmcnt(0)
	v_trunc_f64_e32 v[4:5], v[4:5]
	v_ldexp_f64 v[6:7], v[4:5], s2
	v_floor_f64_e32 v[6:7], v[6:7]
	v_fmac_f64_e32 v[4:5], 0xc1f00000, v[6:7]
	v_cvt_u32_f64_e32 v4, v[4:5]
	s_mov_b64 s[2:3], 0
	s_branch .LBB281_506
.LBB281_504:
	s_mov_b64 s[2:3], -1
                                        ; implicit-def: $vgpr4
	s_branch .LBB281_509
.LBB281_505:
	s_mov_b64 s[2:3], -1
                                        ; implicit-def: $vgpr4
.LBB281_506:
	s_andn2_b64 vcc, exec, s[2:3]
	s_cbranch_vccnz .LBB281_508
; %bb.507:
	global_load_dword v1, v[2:3], off
	s_mov_b32 s2, 0x2f800000
	s_waitcnt vmcnt(0)
	v_trunc_f32_e32 v1, v1
	v_mul_f32_e64 v4, |v1|, s2
	v_floor_f32_e32 v4, v4
	s_mov_b32 s2, 0xcf800000
	v_fma_f32 v4, v4, s2, |v1|
	v_cvt_u32_f32_e32 v4, v4
	v_ashrrev_i32_e32 v1, 31, v1
	v_xor_b32_e32 v4, v4, v1
	v_sub_u32_e32 v4, v4, v1
.LBB281_508:
	s_mov_b64 s[2:3], 0
.LBB281_509:
	s_andn2_b64 vcc, exec, s[2:3]
	s_cbranch_vccnz .LBB281_511
; %bb.510:
	global_load_ushort v1, v[2:3], off
	s_waitcnt vmcnt(0)
	v_cvt_f32_f16_e32 v1, v1
	v_cvt_i32_f32_e32 v4, v1
.LBB281_511:
	s_mov_b64 s[2:3], 0
.LBB281_512:
	s_andn2_b64 vcc, exec, s[2:3]
	s_cbranch_vccnz .LBB281_532
; %bb.513:
	s_cmp_lt_i32 s8, 2
	s_cbranch_scc1 .LBB281_517
; %bb.514:
	s_cmp_lt_i32 s8, 3
	s_cbranch_scc1 .LBB281_518
; %bb.515:
	s_cmp_gt_i32 s8, 3
	s_cbranch_scc0 .LBB281_519
; %bb.516:
	global_load_dwordx2 v[4:5], v[2:3], off
	s_mov_b64 s[2:3], 0
	s_branch .LBB281_520
.LBB281_517:
	s_mov_b64 s[2:3], -1
                                        ; implicit-def: $vgpr4
	s_branch .LBB281_526
.LBB281_518:
	s_mov_b64 s[2:3], -1
                                        ; implicit-def: $vgpr4
	s_branch .LBB281_523
.LBB281_519:
	s_mov_b64 s[2:3], -1
                                        ; implicit-def: $vgpr4
.LBB281_520:
	s_andn2_b64 vcc, exec, s[2:3]
	s_cbranch_vccnz .LBB281_522
; %bb.521:
	global_load_dword v4, v[2:3], off
.LBB281_522:
	s_mov_b64 s[2:3], 0
.LBB281_523:
	s_andn2_b64 vcc, exec, s[2:3]
	s_cbranch_vccnz .LBB281_525
; %bb.524:
	global_load_ushort v4, v[2:3], off
.LBB281_525:
	s_mov_b64 s[2:3], 0
.LBB281_526:
	s_andn2_b64 vcc, exec, s[2:3]
	s_cbranch_vccnz .LBB281_532
; %bb.527:
	s_cmp_gt_i32 s8, 0
	s_cbranch_scc0 .LBB281_529
; %bb.528:
	global_load_ubyte v4, v[2:3], off
	s_mov_b64 s[2:3], 0
	s_branch .LBB281_530
.LBB281_529:
	s_mov_b64 s[2:3], -1
                                        ; implicit-def: $vgpr4
.LBB281_530:
	s_andn2_b64 vcc, exec, s[2:3]
	s_cbranch_vccnz .LBB281_532
; %bb.531:
	global_load_ubyte v4, v[2:3], off
.LBB281_532:
	s_branch .LBB281_292
.LBB281_533:
	s_mov_b64 s[6:7], 0
	s_mov_b64 s[2:3], s[54:55]
.LBB281_534:
                                        ; implicit-def: $vgpr12
.LBB281_535:
	s_andn2_b64 s[8:9], s[54:55], exec
	s_and_b64 s[2:3], s[2:3], exec
	s_or_b64 s[62:63], s[8:9], s[2:3]
	s_andn2_b64 s[2:3], s[56:57], exec
	s_and_b64 s[4:5], s[4:5], exec
	s_or_b64 s[60:61], s[2:3], s[4:5]
	s_orn2_b64 s[2:3], s[6:7], exec
.LBB281_536:
	s_or_b64 exec, exec, s[64:65]
	s_mov_b64 s[4:5], 0
	s_mov_b64 s[6:7], 0
	;; [unrolled: 1-line block ×3, first 2 shown]
                                        ; implicit-def: $vgpr2_vgpr3
                                        ; implicit-def: $vgpr0
                                        ; implicit-def: $vgpr6
	s_and_saveexec_b64 s[64:65], s[2:3]
	s_cbranch_execz .LBB281_905
; %bb.537:
	v_cmp_gt_i32_e32 vcc, s70, v12
	s_mov_b64 s[6:7], -1
	s_mov_b64 s[2:3], s[60:61]
	s_mov_b64 s[68:69], s[62:63]
	s_and_saveexec_b64 s[66:67], vcc
	s_cbranch_execz .LBB281_808
; %bb.538:
	s_andn2_b64 vcc, exec, s[42:43]
	s_cbranch_vccnz .LBB281_544
; %bb.539:
	s_andn2_b64 vcc, exec, s[52:53]
	s_cbranch_vccnz .LBB281_545
; %bb.540:
	s_add_i32 s78, s77, 1
	s_cmp_eq_u32 s72, 2
	s_cbranch_scc1 .LBB281_546
; %bb.541:
	s_and_b32 s71, s78, 28
	s_mov_b32 s79, 0
	v_mov_b32_e32 v0, 0
	v_mov_b32_e32 v2, 0
	s_mov_b64 s[2:3], s[34:35]
	s_mov_b64 s[68:69], s[50:51]
	s_waitcnt vmcnt(0)
	v_mov_b32_e32 v4, v12
.LBB281_542:                            ; =>This Inner Loop Header: Depth=1
	s_load_dwordx8 s[12:19], s[2:3], 0x4
	s_load_dwordx4 s[36:39], s[2:3], 0x24
	s_load_dwordx8 s[4:11], s[68:69], 0x0
	s_add_u32 s2, s2, 48
	s_addc_u32 s3, s3, 0
	s_waitcnt lgkmcnt(0)
	v_mul_hi_u32 v1, s13, v4
	v_add_u32_e32 v1, v4, v1
	v_lshrrev_b32_e32 v1, s14, v1
	v_mul_lo_u32 v3, v1, s12
	v_mul_hi_u32 v5, s16, v1
	v_sub_u32_e32 v3, v4, v3
	v_add_u32_e32 v4, v1, v5
	v_lshrrev_b32_e32 v4, s17, v4
	v_mul_lo_u32 v6, v4, s15
	v_mul_hi_u32 v7, s19, v4
	v_sub_u32_e32 v1, v1, v6
	v_add_u32_e32 v6, v4, v7
	v_mul_lo_u32 v5, v3, s5
	v_mul_lo_u32 v3, v3, s4
	v_mul_lo_u32 v7, v1, s7
	v_mul_lo_u32 v1, v1, s6
	v_lshrrev_b32_e32 v6, s36, v6
	v_add3_u32 v0, v3, v0, v1
	v_mul_hi_u32 v3, s38, v6
	v_add3_u32 v1, v5, v2, v7
	v_mul_lo_u32 v2, v6, s18
	v_add_u32_e32 v3, v6, v3
	v_sub_u32_e32 v2, v4, v2
	v_lshrrev_b32_e32 v4, s39, v3
	s_add_i32 s79, s79, 4
	v_mul_lo_u32 v3, v4, s37
	s_add_u32 s68, s68, 32
	v_sub_u32_e32 v3, v6, v3
	s_addc_u32 s69, s69, 0
	v_mul_lo_u32 v5, v2, s8
	v_mul_lo_u32 v2, v2, s9
	;; [unrolled: 1-line block ×4, first 2 shown]
	s_cmp_eq_u32 s71, s79
	v_add3_u32 v2, v2, v1, v3
	v_add3_u32 v0, v5, v0, v6
	s_cbranch_scc0 .LBB281_542
; %bb.543:
	v_mov_b32_e32 v1, v2
	s_branch .LBB281_547
.LBB281_544:
	s_mov_b64 s[2:3], -1
                                        ; implicit-def: $vgpr2
                                        ; implicit-def: $vgpr0
	s_branch .LBB281_551
.LBB281_545:
	v_mov_b32_e32 v2, 0
	v_mov_b32_e32 v0, 0
	s_branch .LBB281_550
.LBB281_546:
	v_mov_b32_e32 v0, 0
	s_mov_b32 s71, 0
	v_mov_b32_e32 v1, v0
                                        ; implicit-def: $vgpr2
	s_waitcnt vmcnt(0)
	v_mov_b32_e32 v4, v12
.LBB281_547:
	s_and_b32 s6, s78, 3
	s_cmp_eq_u32 s6, 0
	s_cbranch_scc1 .LBB281_550
; %bb.548:
	s_lshl_b32 s2, s71, 3
	s_add_u32 s2, s34, s2
	s_addc_u32 s3, s35, 0
	s_add_u32 s2, s2, 0xc4
	s_addc_u32 s3, s3, 0
	s_mul_i32 s4, s71, 12
	s_add_u32 s4, s34, s4
	s_addc_u32 s5, s35, 0
.LBB281_549:                            ; =>This Inner Loop Header: Depth=1
	s_load_dwordx2 s[8:9], s[4:5], 0x4
	s_load_dword s7, s[4:5], 0xc
	s_load_dwordx2 s[10:11], s[2:3], 0x0
	v_mov_b32_e32 v2, v1
	s_add_u32 s4, s4, 12
	s_waitcnt lgkmcnt(0)
	v_mul_hi_u32 v1, s9, v4
	v_add_u32_e32 v1, v4, v1
	v_lshrrev_b32_e32 v1, s7, v1
	s_addc_u32 s5, s5, 0
	v_mul_lo_u32 v3, v1, s8
	s_add_u32 s2, s2, 8
	v_sub_u32_e32 v5, v4, v3
	s_addc_u32 s3, s3, 0
	s_add_i32 s6, s6, -1
	v_mov_b32_e32 v4, v1
	v_mad_u64_u32 v[2:3], s[8:9], v5, s11, v[2:3]
	v_mad_u64_u32 v[0:1], s[8:9], v5, s10, v[0:1]
	s_cmp_lg_u32 s6, 0
	v_mov_b32_e32 v1, v2
	s_cbranch_scc1 .LBB281_549
.LBB281_550:
	s_mov_b64 s[2:3], 0
.LBB281_551:
	s_andn2_b64 vcc, exec, s[2:3]
	s_cbranch_vccnz .LBB281_554
; %bb.552:
	v_mul_hi_u32 v0, s25, v12
	v_add_u32_e32 v0, v12, v0
	v_lshrrev_b32_e32 v1, s26, v0
	v_mul_lo_u32 v0, v1, s24
	v_sub_u32_e32 v0, v12, v0
	v_mul_lo_u32 v2, v0, s29
	s_andn2_b64 vcc, exec, s[48:49]
	v_mul_lo_u32 v0, v0, s28
	s_cbranch_vccnz .LBB281_554
; %bb.553:
	v_mul_hi_u32 v3, s46, v1
	v_add_u32_e32 v3, v1, v3
	v_lshrrev_b32_e32 v3, s47, v3
	v_mul_lo_u32 v3, v3, s27
	v_sub_u32_e32 v3, v1, v3
	v_mad_u64_u32 v[0:1], s[2:3], v3, s30, v[0:1]
	v_mad_u64_u32 v[2:3], s[2:3], v3, s31, v[2:3]
.LBB281_554:
	v_mov_b32_e32 v3, 0
	s_and_b32 s8, 0xffff, s76
	s_cmp_lt_i32 s8, 11
	v_lshl_add_u64 v[2:3], s[22:23], 0, v[2:3]
	s_cbranch_scc1 .LBB281_561
; %bb.555:
	s_cmp_gt_i32 s8, 25
	s_cbranch_scc0 .LBB281_562
; %bb.556:
	s_cmp_gt_i32 s8, 28
	s_cbranch_scc0 .LBB281_563
	;; [unrolled: 3-line block ×4, first 2 shown]
; %bb.559:
	s_cmp_eq_u32 s8, 46
	s_mov_b64 s[6:7], 0
	s_cbranch_scc0 .LBB281_570
; %bb.560:
	global_load_dword v1, v[2:3], off
	s_mov_b32 s2, 0x2f800000
	s_mov_b32 s3, 0xcf800000
	s_mov_b64 s[4:5], 0
	s_waitcnt vmcnt(0)
	v_lshlrev_b32_e32 v1, 16, v1
	v_trunc_f32_e32 v1, v1
	v_mul_f32_e64 v4, |v1|, s2
	v_floor_f32_e32 v4, v4
	v_fma_f32 v4, v4, s3, |v1|
	v_cvt_u32_f32_e32 v4, v4
	v_ashrrev_i32_e32 v1, 31, v1
	s_mov_b64 s[2:3], -1
	v_xor_b32_e32 v4, v4, v1
	v_sub_u32_e32 v4, v4, v1
	s_branch .LBB281_571
.LBB281_561:
	s_mov_b64 s[6:7], -1
	s_mov_b64 s[2:3], 0
                                        ; implicit-def: $vgpr4
	s_mov_b64 s[4:5], s[60:61]
	s_branch .LBB281_632
.LBB281_562:
	s_mov_b64 s[6:7], -1
	s_mov_b64 s[2:3], 0
	s_mov_b64 s[4:5], s[60:61]
                                        ; implicit-def: $vgpr4
	s_branch .LBB281_598
.LBB281_563:
	s_mov_b64 s[6:7], -1
	s_mov_b64 s[2:3], 0
	s_mov_b64 s[4:5], s[60:61]
                                        ; implicit-def: $vgpr4
	s_branch .LBB281_581
.LBB281_564:
	s_mov_b64 s[6:7], -1
	s_mov_b64 s[2:3], 0
	s_mov_b64 s[4:5], s[60:61]
                                        ; implicit-def: $vgpr4
	s_branch .LBB281_576
.LBB281_565:
	s_andn2_saveexec_b64 s[10:11], s[10:11]
	s_cbranch_execz .LBB281_337
.LBB281_566:
	v_add_f32_e32 v3, 0x46000000, v4
	v_and_b32_e32 v3, 0xff, v3
	v_cmp_ne_u32_e32 vcc, 0, v3
	s_andn2_b64 s[8:9], s[8:9], exec
	s_and_b64 s[14:15], vcc, exec
	s_or_b64 s[8:9], s[8:9], s[14:15]
	s_or_b64 exec, exec, s[10:11]
	v_mov_b32_e32 v5, 0
	s_and_saveexec_b64 s[10:11], s[8:9]
	s_cbranch_execnz .LBB281_338
	s_branch .LBB281_339
.LBB281_567:
	s_mov_b64 s[6:7], -1
	s_mov_b64 s[2:3], 0
	s_mov_b64 s[4:5], s[60:61]
                                        ; implicit-def: $vgpr4
	s_branch .LBB281_571
.LBB281_568:
	s_andn2_saveexec_b64 s[10:11], s[10:11]
	s_cbranch_execz .LBB281_350
.LBB281_569:
	v_add_f32_e32 v3, 0x42800000, v4
	v_and_b32_e32 v3, 0xff, v3
	v_cmp_ne_u32_e32 vcc, 0, v3
	s_andn2_b64 s[8:9], s[8:9], exec
	s_and_b64 s[14:15], vcc, exec
	s_or_b64 s[8:9], s[8:9], s[14:15]
	s_or_b64 exec, exec, s[10:11]
	v_mov_b32_e32 v5, 0
	s_and_saveexec_b64 s[10:11], s[8:9]
	s_cbranch_execnz .LBB281_351
	s_branch .LBB281_352
.LBB281_570:
	s_mov_b64 s[4:5], -1
                                        ; implicit-def: $vgpr4
	s_mov_b64 s[2:3], 0
.LBB281_571:
	s_and_b64 vcc, exec, s[6:7]
	s_cbranch_vccz .LBB281_575
; %bb.572:
	s_cmp_eq_u32 s8, 44
	s_cbranch_scc0 .LBB281_574
; %bb.573:
	global_load_ubyte v1, v[2:3], off
	s_mov_b32 s2, 0x2f800000
	s_mov_b32 s3, 0xcf800000
	s_mov_b64 s[4:5], 0
	s_waitcnt vmcnt(0)
	v_lshlrev_b32_e32 v4, 23, v1
	v_trunc_f32_e32 v4, v4
	v_mul_f32_e64 v5, |v4|, s2
	v_floor_f32_e32 v5, v5
	v_fma_f32 v5, v5, s3, |v4|
	v_cvt_u32_f32_e32 v5, v5
	v_ashrrev_i32_e32 v4, 31, v4
	v_cmp_ne_u32_e32 vcc, 0, v1
	s_mov_b64 s[2:3], -1
	v_xor_b32_e32 v5, v5, v4
	v_sub_u32_e32 v4, v5, v4
	v_cndmask_b32_e32 v4, 0, v4, vcc
	s_branch .LBB281_575
.LBB281_574:
	s_mov_b64 s[4:5], -1
                                        ; implicit-def: $vgpr4
.LBB281_575:
	s_mov_b64 s[6:7], 0
.LBB281_576:
	s_and_b64 vcc, exec, s[6:7]
	s_cbranch_vccz .LBB281_580
; %bb.577:
	s_cmp_eq_u32 s8, 29
	s_cbranch_scc0 .LBB281_579
; %bb.578:
	global_load_dwordx2 v[4:5], v[2:3], off
	s_mov_b64 s[2:3], -1
	s_mov_b64 s[4:5], 0
	s_branch .LBB281_580
.LBB281_579:
	s_mov_b64 s[4:5], -1
                                        ; implicit-def: $vgpr4
.LBB281_580:
	s_mov_b64 s[6:7], 0
.LBB281_581:
	s_and_b64 vcc, exec, s[6:7]
	s_cbranch_vccz .LBB281_597
; %bb.582:
	s_cmp_lt_i32 s8, 27
	s_cbranch_scc1 .LBB281_585
; %bb.583:
	s_cmp_gt_i32 s8, 27
	s_cbranch_scc0 .LBB281_586
; %bb.584:
	global_load_dword v4, v[2:3], off
	s_mov_b64 s[2:3], 0
	s_branch .LBB281_587
.LBB281_585:
	s_mov_b64 s[2:3], -1
                                        ; implicit-def: $vgpr4
	s_branch .LBB281_590
.LBB281_586:
	s_mov_b64 s[2:3], -1
                                        ; implicit-def: $vgpr4
.LBB281_587:
	s_andn2_b64 vcc, exec, s[2:3]
	s_cbranch_vccnz .LBB281_589
; %bb.588:
	global_load_ushort v4, v[2:3], off
.LBB281_589:
	s_mov_b64 s[2:3], 0
.LBB281_590:
	s_andn2_b64 vcc, exec, s[2:3]
	s_cbranch_vccnz .LBB281_596
; %bb.591:
	global_load_ubyte v1, v[2:3], off
	s_movk_i32 s2, 0x7f
	s_mov_b64 s[6:7], 0
	s_waitcnt vmcnt(0)
	v_cmp_lt_i16_e32 vcc, s2, v1
	s_and_saveexec_b64 s[2:3], vcc
	s_xor_b64 s[2:3], exec, s[2:3]
	s_cbranch_execz .LBB281_608
; %bb.592:
	s_movk_i32 s6, 0x80
	v_cmp_ne_u16_e32 vcc, s6, v1
	s_and_b64 s[6:7], vcc, exec
	s_andn2_saveexec_b64 s[2:3], s[2:3]
	s_cbranch_execnz .LBB281_609
.LBB281_593:
	s_or_b64 exec, exec, s[2:3]
	v_mov_b32_e32 v4, 0
	s_and_saveexec_b64 s[2:3], s[6:7]
	s_cbranch_execz .LBB281_595
.LBB281_594:
	v_lshlrev_b32_e32 v4, 24, v1
	v_and_b32_e32 v1, 0xffff, v1
	v_and_b32_e32 v5, 7, v1
	v_ffbh_u32_e32 v7, v5
	v_min_u32_e32 v7, 32, v7
	v_subrev_u32_e32 v8, 28, v7
	v_bfe_u32 v6, v1, 3, 4
	v_lshlrev_b32_e32 v1, v8, v1
	v_sub_u32_e32 v7, 29, v7
	v_and_b32_e32 v1, 7, v1
	v_cmp_eq_u32_e32 vcc, 0, v6
	v_and_b32_e32 v4, 0x80000000, v4
	s_mov_b32 s6, 0x2f800000
	v_cndmask_b32_e32 v6, v6, v7, vcc
	v_cndmask_b32_e32 v1, v5, v1, vcc
	v_mov_b32_e32 v5, 0x3b800000
	v_lshlrev_b32_e32 v1, 20, v1
	v_lshl_add_u32 v5, v6, 23, v5
	v_or3_b32 v1, v4, v5, v1
	v_trunc_f32_e32 v1, v1
	v_mul_f32_e64 v4, |v1|, s6
	v_floor_f32_e32 v4, v4
	s_mov_b32 s6, 0xcf800000
	v_fma_f32 v4, v4, s6, |v1|
	v_cvt_u32_f32_e32 v4, v4
	v_ashrrev_i32_e32 v1, 31, v1
	v_xor_b32_e32 v4, v4, v1
	v_sub_u32_e32 v4, v4, v1
.LBB281_595:
	s_or_b64 exec, exec, s[2:3]
.LBB281_596:
	s_mov_b64 s[2:3], -1
.LBB281_597:
	s_mov_b64 s[6:7], 0
.LBB281_598:
	s_and_b64 vcc, exec, s[6:7]
	s_cbranch_vccz .LBB281_631
; %bb.599:
	s_cmp_gt_i32 s8, 22
	s_cbranch_scc0 .LBB281_607
; %bb.600:
	s_cmp_lt_i32 s8, 24
	s_cbranch_scc1 .LBB281_610
; %bb.601:
	s_cmp_gt_i32 s8, 24
	s_cbranch_scc0 .LBB281_611
; %bb.602:
	global_load_ubyte v1, v[2:3], off
	s_movk_i32 s2, 0x7f
	s_mov_b64 s[6:7], 0
	s_waitcnt vmcnt(0)
	v_cmp_lt_i16_e32 vcc, s2, v1
	s_and_saveexec_b64 s[2:3], vcc
	s_xor_b64 s[2:3], exec, s[2:3]
	s_cbranch_execz .LBB281_623
; %bb.603:
	s_movk_i32 s6, 0x80
	v_cmp_ne_u16_e32 vcc, s6, v1
	s_and_b64 s[6:7], vcc, exec
	s_andn2_saveexec_b64 s[2:3], s[2:3]
	s_cbranch_execnz .LBB281_624
.LBB281_604:
	s_or_b64 exec, exec, s[2:3]
	v_mov_b32_e32 v4, 0
	s_and_saveexec_b64 s[2:3], s[6:7]
	s_cbranch_execz .LBB281_606
.LBB281_605:
	v_lshlrev_b32_e32 v4, 24, v1
	v_and_b32_e32 v1, 0xffff, v1
	v_and_b32_e32 v5, 3, v1
	v_ffbh_u32_e32 v7, v5
	v_min_u32_e32 v7, 32, v7
	v_subrev_u32_e32 v8, 29, v7
	v_bfe_u32 v6, v1, 2, 5
	v_lshlrev_b32_e32 v1, v8, v1
	v_sub_u32_e32 v7, 30, v7
	v_and_b32_e32 v1, 3, v1
	v_cmp_eq_u32_e32 vcc, 0, v6
	v_and_b32_e32 v4, 0x80000000, v4
	s_mov_b32 s6, 0x2f800000
	v_cndmask_b32_e32 v6, v6, v7, vcc
	v_cndmask_b32_e32 v1, v5, v1, vcc
	v_mov_b32_e32 v5, 0x37800000
	v_lshlrev_b32_e32 v1, 21, v1
	v_lshl_add_u32 v5, v6, 23, v5
	v_or3_b32 v1, v4, v5, v1
	v_trunc_f32_e32 v1, v1
	v_mul_f32_e64 v4, |v1|, s6
	v_floor_f32_e32 v4, v4
	s_mov_b32 s6, 0xcf800000
	v_fma_f32 v4, v4, s6, |v1|
	v_cvt_u32_f32_e32 v4, v4
	v_ashrrev_i32_e32 v1, 31, v1
	v_xor_b32_e32 v4, v4, v1
	v_sub_u32_e32 v4, v4, v1
.LBB281_606:
	s_or_b64 exec, exec, s[2:3]
	s_mov_b64 s[2:3], 0
	s_branch .LBB281_612
.LBB281_607:
	s_mov_b64 s[6:7], -1
                                        ; implicit-def: $vgpr4
	s_branch .LBB281_618
.LBB281_608:
	s_andn2_saveexec_b64 s[2:3], s[2:3]
	s_cbranch_execz .LBB281_593
.LBB281_609:
	v_cmp_ne_u16_e32 vcc, 0, v1
	s_andn2_b64 s[6:7], s[6:7], exec
	s_and_b64 s[10:11], vcc, exec
	s_or_b64 s[6:7], s[6:7], s[10:11]
	s_or_b64 exec, exec, s[2:3]
	v_mov_b32_e32 v4, 0
	s_and_saveexec_b64 s[2:3], s[6:7]
	s_cbranch_execnz .LBB281_594
	s_branch .LBB281_595
.LBB281_610:
	s_mov_b64 s[2:3], -1
                                        ; implicit-def: $vgpr4
	s_branch .LBB281_615
.LBB281_611:
	s_mov_b64 s[2:3], -1
                                        ; implicit-def: $vgpr4
.LBB281_612:
	s_and_b64 vcc, exec, s[2:3]
	s_cbranch_vccz .LBB281_614
; %bb.613:
	global_load_ubyte v1, v[2:3], off
	s_mov_b32 s2, 0x7f800000
	s_brev_b32 s3, 1
	s_mov_b32 s6, 0x2f800000
	s_waitcnt vmcnt(0)
	v_lshlrev_b32_e32 v1, 24, v1
	v_and_b32_e32 v4, 0x7f000000, v1
	v_ffbh_u32_e32 v5, v4
	v_min_u32_e32 v5, 32, v5
	v_sub_u32_e64 v5, v5, 4 clamp
	v_lshlrev_b32_e32 v7, v5, v4
	v_lshlrev_b32_e32 v5, 23, v5
	v_lshrrev_b32_e32 v7, 4, v7
	v_add_u32_e32 v6, 0x1000000, v4
	v_sub_u32_e32 v5, v7, v5
	v_ashrrev_i32_e32 v6, 8, v6
	v_add_u32_e32 v5, 0x3c000000, v5
	v_and_or_b32 v5, v6, s2, v5
	v_cmp_ne_u32_e32 vcc, 0, v4
	s_mov_b32 s2, 0xcf800000
	s_nop 0
	v_cndmask_b32_e32 v4, 0, v5, vcc
	v_and_or_b32 v1, v1, s3, v4
	v_trunc_f32_e32 v1, v1
	v_mul_f32_e64 v4, |v1|, s6
	v_floor_f32_e32 v4, v4
	v_fma_f32 v4, v4, s2, |v1|
	v_cvt_u32_f32_e32 v4, v4
	v_ashrrev_i32_e32 v1, 31, v1
	v_xor_b32_e32 v4, v4, v1
	v_sub_u32_e32 v4, v4, v1
.LBB281_614:
	s_mov_b64 s[2:3], 0
.LBB281_615:
	s_andn2_b64 vcc, exec, s[2:3]
	s_cbranch_vccnz .LBB281_617
; %bb.616:
	global_load_ubyte v1, v[2:3], off
	s_movk_i32 s2, 0x7f00
	s_brev_b32 s3, 16
	s_brev_b32 s6, 1
	s_mov_b32 s7, 0x2f800000
	s_waitcnt vmcnt(0)
	v_lshlrev_b16_e32 v4, 8, v1
	v_lshlrev_b32_e32 v1, 25, v1
	v_lshrrev_b32_e32 v5, 4, v1
	v_and_or_b32 v6, v4, s2, 0.5
	v_or_b32_e32 v5, 0x70000000, v5
	v_add_f32_e32 v6, -0.5, v6
	v_mul_f32_e32 v5, 0x7800000, v5
	v_cmp_gt_u32_e32 vcc, s3, v1
	v_bfe_i32 v4, v4, 0, 16
	s_mov_b32 s2, 0xcf800000
	v_cndmask_b32_e32 v1, v5, v6, vcc
	v_and_or_b32 v1, v4, s6, v1
	v_trunc_f32_e32 v1, v1
	v_mul_f32_e64 v4, |v1|, s7
	v_floor_f32_e32 v4, v4
	v_fma_f32 v4, v4, s2, |v1|
	v_cvt_u32_f32_e32 v4, v4
	v_ashrrev_i32_e32 v1, 31, v1
	v_xor_b32_e32 v4, v4, v1
	v_sub_u32_e32 v4, v4, v1
.LBB281_617:
	s_mov_b64 s[6:7], 0
	s_mov_b64 s[2:3], -1
.LBB281_618:
	s_andn2_b64 vcc, exec, s[6:7]
	s_cbranch_vccnz .LBB281_631
; %bb.619:
	s_cmp_gt_i32 s8, 14
	s_cbranch_scc0 .LBB281_622
; %bb.620:
	s_cmp_eq_u32 s8, 15
	s_cbranch_scc0 .LBB281_625
; %bb.621:
	global_load_ushort v1, v[2:3], off
	s_mov_b32 s2, 0x2f800000
	s_mov_b32 s3, 0xcf800000
	s_mov_b64 s[4:5], 0
	s_waitcnt vmcnt(0)
	v_lshlrev_b32_e32 v1, 16, v1
	v_trunc_f32_e32 v1, v1
	v_mul_f32_e64 v4, |v1|, s2
	v_floor_f32_e32 v4, v4
	v_fma_f32 v4, v4, s3, |v1|
	v_cvt_u32_f32_e32 v4, v4
	v_ashrrev_i32_e32 v1, 31, v1
	s_mov_b64 s[2:3], -1
	v_xor_b32_e32 v4, v4, v1
	v_sub_u32_e32 v4, v4, v1
	s_branch .LBB281_626
.LBB281_622:
	s_mov_b64 s[6:7], -1
                                        ; implicit-def: $vgpr4
	s_branch .LBB281_627
.LBB281_623:
	s_andn2_saveexec_b64 s[2:3], s[2:3]
	s_cbranch_execz .LBB281_604
.LBB281_624:
	v_cmp_ne_u16_e32 vcc, 0, v1
	s_andn2_b64 s[6:7], s[6:7], exec
	s_and_b64 s[10:11], vcc, exec
	s_or_b64 s[6:7], s[6:7], s[10:11]
	s_or_b64 exec, exec, s[2:3]
	v_mov_b32_e32 v4, 0
	s_and_saveexec_b64 s[2:3], s[6:7]
	s_cbranch_execnz .LBB281_605
	s_branch .LBB281_606
.LBB281_625:
	s_mov_b64 s[4:5], -1
                                        ; implicit-def: $vgpr4
.LBB281_626:
	s_mov_b64 s[6:7], 0
.LBB281_627:
	s_and_b64 vcc, exec, s[6:7]
	s_cbranch_vccz .LBB281_631
; %bb.628:
	s_cmp_eq_u32 s8, 11
	s_cbranch_scc0 .LBB281_630
; %bb.629:
	global_load_ubyte v1, v[2:3], off
	s_mov_b64 s[2:3], -1
	s_mov_b64 s[4:5], 0
	s_waitcnt vmcnt(0)
	v_cmp_ne_u16_e32 vcc, 0, v1
	s_nop 1
	v_cndmask_b32_e64 v4, 0, 1, vcc
	s_branch .LBB281_631
.LBB281_630:
	s_mov_b64 s[4:5], -1
                                        ; implicit-def: $vgpr4
.LBB281_631:
	s_mov_b64 s[6:7], 0
.LBB281_632:
	s_and_b64 vcc, exec, s[6:7]
	s_cbranch_vccz .LBB281_681
; %bb.633:
	s_cmp_lt_i32 s8, 5
	s_cbranch_scc1 .LBB281_638
; %bb.634:
	s_cmp_lt_i32 s8, 8
	s_cbranch_scc1 .LBB281_639
	;; [unrolled: 3-line block ×3, first 2 shown]
; %bb.636:
	s_cmp_gt_i32 s8, 9
	s_cbranch_scc0 .LBB281_641
; %bb.637:
	global_load_dwordx2 v[4:5], v[2:3], off
	s_movk_i32 s2, 0xffe0
	s_waitcnt vmcnt(0)
	v_trunc_f64_e32 v[4:5], v[4:5]
	v_ldexp_f64 v[6:7], v[4:5], s2
	v_floor_f64_e32 v[6:7], v[6:7]
	v_fmac_f64_e32 v[4:5], 0xc1f00000, v[6:7]
	v_cvt_u32_f64_e32 v4, v[4:5]
	s_mov_b64 s[2:3], 0
	s_branch .LBB281_642
.LBB281_638:
	s_mov_b64 s[2:3], -1
                                        ; implicit-def: $vgpr4
	s_branch .LBB281_660
.LBB281_639:
	s_mov_b64 s[2:3], -1
                                        ; implicit-def: $vgpr4
	s_branch .LBB281_648
.LBB281_640:
	s_mov_b64 s[2:3], -1
                                        ; implicit-def: $vgpr4
	s_branch .LBB281_645
.LBB281_641:
	s_mov_b64 s[2:3], -1
                                        ; implicit-def: $vgpr4
.LBB281_642:
	s_andn2_b64 vcc, exec, s[2:3]
	s_cbranch_vccnz .LBB281_644
; %bb.643:
	global_load_dword v1, v[2:3], off
	s_mov_b32 s2, 0x2f800000
	s_waitcnt vmcnt(0)
	v_trunc_f32_e32 v1, v1
	v_mul_f32_e64 v4, |v1|, s2
	v_floor_f32_e32 v4, v4
	s_mov_b32 s2, 0xcf800000
	v_fma_f32 v4, v4, s2, |v1|
	v_cvt_u32_f32_e32 v4, v4
	v_ashrrev_i32_e32 v1, 31, v1
	v_xor_b32_e32 v4, v4, v1
	v_sub_u32_e32 v4, v4, v1
.LBB281_644:
	s_mov_b64 s[2:3], 0
.LBB281_645:
	s_andn2_b64 vcc, exec, s[2:3]
	s_cbranch_vccnz .LBB281_647
; %bb.646:
	global_load_dword v1, v[2:3], off
	s_waitcnt vmcnt(0)
	v_cvt_f32_f16_e32 v1, v1
	v_cvt_i32_f32_e32 v4, v1
.LBB281_647:
	s_mov_b64 s[2:3], 0
.LBB281_648:
	s_andn2_b64 vcc, exec, s[2:3]
	s_cbranch_vccnz .LBB281_659
; %bb.649:
	s_cmp_lt_i32 s8, 6
	s_cbranch_scc1 .LBB281_652
; %bb.650:
	s_cmp_gt_i32 s8, 6
	s_cbranch_scc0 .LBB281_653
; %bb.651:
	global_load_dwordx2 v[4:5], v[2:3], off
	s_movk_i32 s2, 0xffe0
	s_waitcnt vmcnt(0)
	v_trunc_f64_e32 v[4:5], v[4:5]
	v_ldexp_f64 v[6:7], v[4:5], s2
	v_floor_f64_e32 v[6:7], v[6:7]
	v_fmac_f64_e32 v[4:5], 0xc1f00000, v[6:7]
	v_cvt_u32_f64_e32 v4, v[4:5]
	s_mov_b64 s[2:3], 0
	s_branch .LBB281_654
.LBB281_652:
	s_mov_b64 s[2:3], -1
                                        ; implicit-def: $vgpr4
	s_branch .LBB281_657
.LBB281_653:
	s_mov_b64 s[2:3], -1
                                        ; implicit-def: $vgpr4
.LBB281_654:
	s_andn2_b64 vcc, exec, s[2:3]
	s_cbranch_vccnz .LBB281_656
; %bb.655:
	global_load_dword v1, v[2:3], off
	s_mov_b32 s2, 0x2f800000
	s_waitcnt vmcnt(0)
	v_trunc_f32_e32 v1, v1
	v_mul_f32_e64 v4, |v1|, s2
	v_floor_f32_e32 v4, v4
	s_mov_b32 s2, 0xcf800000
	v_fma_f32 v4, v4, s2, |v1|
	v_cvt_u32_f32_e32 v4, v4
	v_ashrrev_i32_e32 v1, 31, v1
	v_xor_b32_e32 v4, v4, v1
	v_sub_u32_e32 v4, v4, v1
.LBB281_656:
	s_mov_b64 s[2:3], 0
.LBB281_657:
	s_andn2_b64 vcc, exec, s[2:3]
	s_cbranch_vccnz .LBB281_659
; %bb.658:
	global_load_ushort v1, v[2:3], off
	s_waitcnt vmcnt(0)
	v_cvt_f32_f16_e32 v1, v1
	v_cvt_i32_f32_e32 v4, v1
.LBB281_659:
	s_mov_b64 s[2:3], 0
.LBB281_660:
	s_andn2_b64 vcc, exec, s[2:3]
	s_cbranch_vccnz .LBB281_680
; %bb.661:
	s_cmp_lt_i32 s8, 2
	s_cbranch_scc1 .LBB281_665
; %bb.662:
	s_cmp_lt_i32 s8, 3
	s_cbranch_scc1 .LBB281_666
; %bb.663:
	s_cmp_gt_i32 s8, 3
	s_cbranch_scc0 .LBB281_667
; %bb.664:
	global_load_dwordx2 v[4:5], v[2:3], off
	s_mov_b64 s[2:3], 0
	s_branch .LBB281_668
.LBB281_665:
	s_mov_b64 s[2:3], -1
                                        ; implicit-def: $vgpr4
	s_branch .LBB281_674
.LBB281_666:
	s_mov_b64 s[2:3], -1
                                        ; implicit-def: $vgpr4
	s_branch .LBB281_671
.LBB281_667:
	s_mov_b64 s[2:3], -1
                                        ; implicit-def: $vgpr4
.LBB281_668:
	s_andn2_b64 vcc, exec, s[2:3]
	s_cbranch_vccnz .LBB281_670
; %bb.669:
	global_load_dword v4, v[2:3], off
.LBB281_670:
	s_mov_b64 s[2:3], 0
.LBB281_671:
	s_andn2_b64 vcc, exec, s[2:3]
	s_cbranch_vccnz .LBB281_673
; %bb.672:
	global_load_ushort v4, v[2:3], off
.LBB281_673:
	s_mov_b64 s[2:3], 0
.LBB281_674:
	s_andn2_b64 vcc, exec, s[2:3]
	s_cbranch_vccnz .LBB281_680
; %bb.675:
	s_cmp_gt_i32 s8, 0
	s_cbranch_scc0 .LBB281_677
; %bb.676:
	global_load_ubyte v4, v[2:3], off
	s_mov_b64 s[2:3], 0
	s_branch .LBB281_678
.LBB281_677:
	s_mov_b64 s[2:3], -1
                                        ; implicit-def: $vgpr4
.LBB281_678:
	s_andn2_b64 vcc, exec, s[2:3]
	s_cbranch_vccnz .LBB281_680
; %bb.679:
	global_load_ubyte v4, v[2:3], off
.LBB281_680:
	s_mov_b64 s[2:3], -1
.LBB281_681:
	s_andn2_b64 vcc, exec, s[2:3]
	s_cbranch_vccnz .LBB281_689
; %bb.682:
	s_and_b32 s2, s74, 0xff
	s_waitcnt vmcnt(0)
	v_max_u16_sdwa v1, v4, s2 dst_sel:DWORD dst_unused:UNUSED_PAD src0_sel:BYTE_0 src1_sel:DWORD
	s_and_b32 s2, s75, 0xff
	v_min_u16_e32 v2, s2, v1
	v_mov_b32_e32 v1, 0
	s_and_b32 s12, s73, 0xff
	s_cmp_lt_i32 s12, 11
	v_lshl_add_u64 v[0:1], s[20:21], 0, v[0:1]
	s_cbranch_scc1 .LBB281_690
; %bb.683:
	s_and_b32 s13, 0xffff, s12
	s_cmp_gt_i32 s13, 25
	s_cbranch_scc0 .LBB281_691
; %bb.684:
	s_cmp_gt_i32 s13, 28
	s_cbranch_scc0 .LBB281_692
; %bb.685:
	;; [unrolled: 3-line block ×4, first 2 shown]
	s_mov_b64 s[8:9], 0
	s_mov_b64 s[2:3], -1
	s_cmp_eq_u32 s13, 46
	s_mov_b64 s[6:7], 0
	s_cbranch_scc0 .LBB281_695
; %bb.688:
	v_cvt_f32_ubyte0_e32 v3, v2
	v_bfe_u32 v4, v3, 16, 1
	s_movk_i32 s2, 0x7fff
	v_add3_u32 v3, v3, v4, s2
	v_lshrrev_b32_e32 v3, 16, v3
	global_store_dword v[0:1], v3, off
	s_mov_b64 s[6:7], -1
	s_mov_b64 s[2:3], 0
	s_branch .LBB281_695
.LBB281_689:
	s_mov_b64 s[6:7], 0
	s_mov_b64 s[2:3], s[62:63]
	s_branch .LBB281_806
.LBB281_690:
	s_mov_b64 s[8:9], -1
	s_mov_b64 s[6:7], 0
	s_mov_b64 s[2:3], s[62:63]
	s_branch .LBB281_764
.LBB281_691:
	s_mov_b64 s[8:9], -1
	s_mov_b64 s[6:7], 0
	s_mov_b64 s[2:3], s[62:63]
	s_branch .LBB281_722
.LBB281_692:
	s_mov_b64 s[8:9], -1
	s_mov_b64 s[6:7], 0
	s_mov_b64 s[2:3], s[62:63]
	s_branch .LBB281_705
.LBB281_693:
	s_mov_b64 s[8:9], -1
	s_mov_b64 s[6:7], 0
	s_mov_b64 s[2:3], s[62:63]
	s_branch .LBB281_701
.LBB281_694:
	s_mov_b64 s[8:9], -1
	s_mov_b64 s[6:7], 0
	s_mov_b64 s[2:3], s[62:63]
.LBB281_695:
	s_and_b64 vcc, exec, s[8:9]
	s_cbranch_vccz .LBB281_700
; %bb.696:
	s_cmp_eq_u32 s13, 44
	s_mov_b64 s[2:3], -1
	s_cbranch_scc0 .LBB281_700
; %bb.697:
	v_cvt_f32_ubyte0_e32 v4, v2
	v_lshrrev_b32_e32 v3, 23, v4
	s_movk_i32 s2, 0xff
	v_cmp_ne_u32_e32 vcc, s2, v3
	v_mov_b32_e32 v5, 0xff
	s_and_saveexec_b64 s[6:7], vcc
; %bb.698:
	s_mov_b32 s2, 0x3fffff
	v_and_b32_e32 v5, 0x400000, v4
	v_and_or_b32 v4, v4, s2, v3
	v_cmp_ne_u32_e32 vcc, 0, v5
	v_cmp_ne_u32_e64 s[2:3], 0, v4
	s_and_b64 s[2:3], vcc, s[2:3]
	s_nop 0
	v_cndmask_b32_e64 v4, 0, 1, s[2:3]
	v_add_u32_e32 v5, v3, v4
; %bb.699:
	s_or_b64 exec, exec, s[6:7]
	s_mov_b64 s[6:7], -1
	s_mov_b64 s[2:3], 0
	global_store_byte v[0:1], v5, off
.LBB281_700:
	s_mov_b64 s[8:9], 0
.LBB281_701:
	s_and_b64 vcc, exec, s[8:9]
	s_cbranch_vccz .LBB281_704
; %bb.702:
	s_cmp_eq_u32 s13, 29
	s_mov_b64 s[2:3], -1
	s_cbranch_scc0 .LBB281_704
; %bb.703:
	s_mov_b32 s2, 0
	v_mov_b32_e32 v3, s2
	global_store_dwordx2 v[0:1], v[2:3], off
	s_mov_b64 s[6:7], -1
	s_mov_b64 s[2:3], 0
.LBB281_704:
	s_mov_b64 s[8:9], 0
.LBB281_705:
	s_and_b64 vcc, exec, s[8:9]
	s_cbranch_vccz .LBB281_721
; %bb.706:
	s_cmp_lt_i32 s13, 27
	s_mov_b64 s[6:7], -1
	s_cbranch_scc1 .LBB281_712
; %bb.707:
	s_cmp_gt_i32 s13, 27
	s_cbranch_scc0 .LBB281_709
; %bb.708:
	s_mov_b64 s[6:7], 0
	global_store_dword v[0:1], v2, off
.LBB281_709:
	s_andn2_b64 vcc, exec, s[6:7]
	s_cbranch_vccnz .LBB281_711
; %bb.710:
	global_store_short v[0:1], v2, off
.LBB281_711:
	s_mov_b64 s[6:7], 0
.LBB281_712:
	s_andn2_b64 vcc, exec, s[6:7]
	s_cbranch_vccnz .LBB281_720
; %bb.713:
	v_cvt_f32_ubyte0_e32 v4, v2
	s_mov_b32 s6, 0x43800000
	v_cmp_gt_u32_e32 vcc, s6, v4
	v_mov_b32_e32 v5, 0x80
	s_and_saveexec_b64 s[6:7], vcc
	s_cbranch_execz .LBB281_719
; %bb.714:
	s_mov_b32 s8, 0x3bffffff
	v_cmp_lt_u32_e32 vcc, s8, v4
	s_mov_b64 s[8:9], 0
                                        ; implicit-def: $vgpr3
	s_and_saveexec_b64 s[10:11], vcc
	s_xor_b64 s[10:11], exec, s[10:11]
	s_cbranch_execz .LBB281_837
; %bb.715:
	v_bfe_u32 v3, v4, 20, 1
	s_mov_b32 s14, 0x487ffff
	v_add3_u32 v3, v4, v3, s14
	s_mov_b64 s[8:9], exec
	v_lshrrev_b32_e32 v3, 20, v3
                                        ; implicit-def: $vgpr4
	s_andn2_saveexec_b64 s[10:11], s[10:11]
	s_cbranch_execnz .LBB281_838
.LBB281_716:
	s_or_b64 exec, exec, s[10:11]
	v_mov_b32_e32 v5, 0
	s_and_saveexec_b64 s[10:11], s[8:9]
.LBB281_717:
	v_mov_b32_e32 v5, v3
.LBB281_718:
	s_or_b64 exec, exec, s[10:11]
.LBB281_719:
	s_or_b64 exec, exec, s[6:7]
	global_store_byte v[0:1], v5, off
.LBB281_720:
	s_mov_b64 s[6:7], -1
.LBB281_721:
	s_mov_b64 s[8:9], 0
.LBB281_722:
	s_and_b64 vcc, exec, s[8:9]
	s_cbranch_vccz .LBB281_763
; %bb.723:
	s_cmp_gt_i32 s13, 22
	s_mov_b64 s[8:9], -1
	s_cbranch_scc0 .LBB281_755
; %bb.724:
	s_cmp_lt_i32 s13, 24
	s_mov_b64 s[6:7], -1
	s_cbranch_scc1 .LBB281_744
; %bb.725:
	s_cmp_gt_i32 s13, 24
	s_cbranch_scc0 .LBB281_733
; %bb.726:
	v_cvt_f32_ubyte0_e32 v4, v2
	s_mov_b32 s6, 0x47800000
	v_cmp_gt_u32_e32 vcc, s6, v4
	v_mov_b32_e32 v5, 0x80
	s_and_saveexec_b64 s[6:7], vcc
	s_cbranch_execz .LBB281_732
; %bb.727:
	s_mov_b32 s8, 0x37ffffff
	v_cmp_lt_u32_e32 vcc, s8, v4
	s_mov_b64 s[8:9], 0
                                        ; implicit-def: $vgpr3
	s_and_saveexec_b64 s[10:11], vcc
	s_xor_b64 s[10:11], exec, s[10:11]
	s_cbranch_execz .LBB281_840
; %bb.728:
	v_bfe_u32 v3, v4, 21, 1
	s_mov_b32 s14, 0x88fffff
	v_add3_u32 v3, v4, v3, s14
	s_mov_b64 s[8:9], exec
	v_lshrrev_b32_e32 v3, 21, v3
                                        ; implicit-def: $vgpr4
	s_andn2_saveexec_b64 s[10:11], s[10:11]
	s_cbranch_execnz .LBB281_841
.LBB281_729:
	s_or_b64 exec, exec, s[10:11]
	v_mov_b32_e32 v5, 0
	s_and_saveexec_b64 s[10:11], s[8:9]
.LBB281_730:
	v_mov_b32_e32 v5, v3
.LBB281_731:
	s_or_b64 exec, exec, s[10:11]
.LBB281_732:
	s_or_b64 exec, exec, s[6:7]
	s_mov_b64 s[6:7], 0
	global_store_byte v[0:1], v5, off
.LBB281_733:
	s_and_b64 vcc, exec, s[6:7]
	s_cbranch_vccz .LBB281_743
; %bb.734:
	v_cvt_f32_ubyte0_e32 v3, v2
	s_mov_b32 s6, 0x43f00000
	v_cmp_gt_u32_e32 vcc, s6, v3
                                        ; implicit-def: $vgpr4
	s_and_saveexec_b64 s[6:7], vcc
	s_xor_b64 s[6:7], exec, s[6:7]
	s_cbranch_execz .LBB281_740
; %bb.735:
	s_mov_b32 s8, 0x3c7fffff
	v_cmp_lt_u32_e32 vcc, s8, v3
                                        ; implicit-def: $vgpr4
	s_and_saveexec_b64 s[8:9], vcc
	s_xor_b64 s[8:9], exec, s[8:9]
; %bb.736:
	v_bfe_u32 v4, v3, 20, 1
	s_mov_b32 s10, 0x407ffff
	v_add3_u32 v3, v3, v4, s10
	v_lshrrev_b32_e32 v4, 20, v3
	v_and_b32_e32 v3, 0xff00000, v3
	s_mov_b32 s10, 0x7f00000
	v_mov_b32_e32 v5, 0x7e
	v_cmp_ne_u32_e32 vcc, s10, v3
                                        ; implicit-def: $vgpr3
	s_nop 1
	v_cndmask_b32_e32 v4, v5, v4, vcc
; %bb.737:
	s_andn2_saveexec_b64 s[8:9], s[8:9]
; %bb.738:
	v_add_f32_e32 v4, 0x46800000, v3
; %bb.739:
	s_or_b64 exec, exec, s[8:9]
                                        ; implicit-def: $vgpr3
.LBB281_740:
	s_andn2_saveexec_b64 s[6:7], s[6:7]
; %bb.741:
	s_mov_b32 s8, 0x7f800000
	v_mov_b32_e32 v4, 0x7e
	v_mov_b32_e32 v5, 0x7f
	v_cmp_lt_u32_e32 vcc, s8, v3
	s_nop 1
	v_cndmask_b32_e32 v4, v4, v5, vcc
; %bb.742:
	s_or_b64 exec, exec, s[6:7]
	global_store_byte v[0:1], v4, off
.LBB281_743:
	s_mov_b64 s[6:7], 0
.LBB281_744:
	s_andn2_b64 vcc, exec, s[6:7]
	s_cbranch_vccnz .LBB281_754
; %bb.745:
	v_cvt_f32_ubyte0_e32 v3, v2
	s_mov_b32 s6, 0x47800000
	v_cmp_gt_u32_e32 vcc, s6, v3
                                        ; implicit-def: $vgpr4
	s_and_saveexec_b64 s[6:7], vcc
	s_xor_b64 s[6:7], exec, s[6:7]
	s_cbranch_execz .LBB281_751
; %bb.746:
	s_mov_b32 s8, 0x387fffff
	v_cmp_lt_u32_e32 vcc, s8, v3
                                        ; implicit-def: $vgpr4
	s_and_saveexec_b64 s[8:9], vcc
	s_xor_b64 s[8:9], exec, s[8:9]
; %bb.747:
	v_bfe_u32 v4, v3, 21, 1
	s_mov_b32 s10, 0x80fffff
	v_add3_u32 v3, v3, v4, s10
	v_lshrrev_b32_e32 v4, 21, v3
                                        ; implicit-def: $vgpr3
; %bb.748:
	s_andn2_saveexec_b64 s[8:9], s[8:9]
; %bb.749:
	v_add_f32_e32 v4, 0x43000000, v3
; %bb.750:
	s_or_b64 exec, exec, s[8:9]
                                        ; implicit-def: $vgpr3
.LBB281_751:
	s_andn2_saveexec_b64 s[6:7], s[6:7]
; %bb.752:
	s_mov_b32 s8, 0x7f800000
	v_mov_b32_e32 v4, 0x7c
	v_mov_b32_e32 v5, 0x7f
	v_cmp_lt_u32_e32 vcc, s8, v3
	s_nop 1
	v_cndmask_b32_e32 v4, v4, v5, vcc
; %bb.753:
	s_or_b64 exec, exec, s[6:7]
	global_store_byte v[0:1], v4, off
.LBB281_754:
	s_mov_b64 s[8:9], 0
	s_mov_b64 s[6:7], -1
.LBB281_755:
	s_andn2_b64 vcc, exec, s[8:9]
	s_cbranch_vccnz .LBB281_763
; %bb.756:
	s_cmp_gt_i32 s13, 14
	s_mov_b64 s[8:9], -1
	s_cbranch_scc0 .LBB281_760
; %bb.757:
	s_cmp_eq_u32 s13, 15
	s_mov_b64 s[2:3], -1
	s_cbranch_scc0 .LBB281_759
; %bb.758:
	v_cvt_f32_ubyte0_e32 v3, v2
	v_bfe_u32 v4, v3, 16, 1
	s_movk_i32 s2, 0x7fff
	v_add3_u32 v3, v3, v4, s2
	global_store_short_d16_hi v[0:1], v3, off
	s_mov_b64 s[6:7], -1
	s_mov_b64 s[2:3], 0
.LBB281_759:
	s_mov_b64 s[8:9], 0
.LBB281_760:
	s_and_b64 vcc, exec, s[8:9]
	s_cbranch_vccz .LBB281_763
; %bb.761:
	s_cmp_eq_u32 s13, 11
	s_mov_b64 s[2:3], -1
	s_cbranch_scc0 .LBB281_763
; %bb.762:
	v_cmp_ne_u16_e32 vcc, 0, v2
	s_mov_b64 s[6:7], -1
	s_mov_b64 s[2:3], 0
	v_cndmask_b32_e64 v3, 0, 1, vcc
	global_store_byte v[0:1], v3, off
.LBB281_763:
	s_mov_b64 s[8:9], 0
.LBB281_764:
	s_and_b64 vcc, exec, s[8:9]
	s_cbranch_vccz .LBB281_803
; %bb.765:
	s_and_b32 s8, 0xffff, s12
	s_cmp_lt_i32 s8, 5
	s_mov_b64 s[6:7], -1
	s_cbranch_scc1 .LBB281_786
; %bb.766:
	s_cmp_lt_i32 s8, 8
	s_cbranch_scc1 .LBB281_776
; %bb.767:
	s_cmp_lt_i32 s8, 9
	s_cbranch_scc1 .LBB281_773
; %bb.768:
	s_cmp_gt_i32 s8, 9
	s_cbranch_scc0 .LBB281_770
; %bb.769:
	v_mov_b32_e32 v6, 0
	v_cvt_f64_u32_e32 v[4:5], v2
	v_mov_b32_e32 v7, v6
	s_mov_b64 s[6:7], 0
	global_store_dwordx4 v[0:1], v[4:7], off
.LBB281_770:
	s_andn2_b64 vcc, exec, s[6:7]
	s_cbranch_vccnz .LBB281_772
; %bb.771:
	v_cvt_f32_ubyte0_e32 v4, v2
	v_mov_b32_e32 v5, 0
	global_store_dwordx2 v[0:1], v[4:5], off
.LBB281_772:
	s_mov_b64 s[6:7], 0
.LBB281_773:
	s_andn2_b64 vcc, exec, s[6:7]
	s_cbranch_vccnz .LBB281_775
; %bb.774:
	v_cvt_f16_u16_e32 v3, v2
	global_store_dword v[0:1], v3, off
.LBB281_775:
	s_mov_b64 s[6:7], 0
.LBB281_776:
	s_andn2_b64 vcc, exec, s[6:7]
	s_cbranch_vccnz .LBB281_785
; %bb.777:
	s_cmp_lt_i32 s8, 6
	s_mov_b64 s[6:7], -1
	s_cbranch_scc1 .LBB281_783
; %bb.778:
	s_cmp_gt_i32 s8, 6
	s_cbranch_scc0 .LBB281_780
; %bb.779:
	v_cvt_f64_u32_e32 v[4:5], v2
	s_mov_b64 s[6:7], 0
	global_store_dwordx2 v[0:1], v[4:5], off
.LBB281_780:
	s_andn2_b64 vcc, exec, s[6:7]
	s_cbranch_vccnz .LBB281_782
; %bb.781:
	v_cvt_f32_ubyte0_e32 v3, v2
	global_store_dword v[0:1], v3, off
.LBB281_782:
	s_mov_b64 s[6:7], 0
.LBB281_783:
	s_andn2_b64 vcc, exec, s[6:7]
	s_cbranch_vccnz .LBB281_785
; %bb.784:
	v_cvt_f16_u16_e32 v3, v2
	global_store_short v[0:1], v3, off
.LBB281_785:
	s_mov_b64 s[6:7], 0
.LBB281_786:
	s_andn2_b64 vcc, exec, s[6:7]
	s_cbranch_vccnz .LBB281_802
; %bb.787:
	s_cmp_lt_i32 s8, 2
	s_mov_b64 s[6:7], -1
	s_cbranch_scc1 .LBB281_797
; %bb.788:
	s_cmp_lt_i32 s8, 3
	s_cbranch_scc1 .LBB281_794
; %bb.789:
	s_cmp_gt_i32 s8, 3
	s_cbranch_scc0 .LBB281_791
; %bb.790:
	s_mov_b32 s6, 0
	v_mov_b32_e32 v3, s6
	s_mov_b64 s[6:7], 0
	global_store_dwordx2 v[0:1], v[2:3], off
.LBB281_791:
	s_andn2_b64 vcc, exec, s[6:7]
	s_cbranch_vccnz .LBB281_793
; %bb.792:
	global_store_dword v[0:1], v2, off
.LBB281_793:
	s_mov_b64 s[6:7], 0
.LBB281_794:
	s_andn2_b64 vcc, exec, s[6:7]
	s_cbranch_vccnz .LBB281_796
; %bb.795:
	global_store_short v[0:1], v2, off
.LBB281_796:
	s_mov_b64 s[6:7], 0
.LBB281_797:
	s_andn2_b64 vcc, exec, s[6:7]
	s_cbranch_vccnz .LBB281_802
; %bb.798:
	s_cmp_gt_i32 s8, 0
	s_mov_b64 s[6:7], -1
	s_cbranch_scc0 .LBB281_800
; %bb.799:
	s_mov_b64 s[6:7], 0
	global_store_byte v[0:1], v2, off
.LBB281_800:
	s_andn2_b64 vcc, exec, s[6:7]
	s_cbranch_vccnz .LBB281_802
; %bb.801:
	global_store_byte v[0:1], v2, off
.LBB281_802:
	s_mov_b64 s[6:7], -1
.LBB281_803:
	s_andn2_b64 vcc, exec, s[6:7]
	s_cbranch_vccnz .LBB281_805
; %bb.804:
	v_add_u32_e32 v12, 0x80, v12
	s_mov_b64 s[6:7], -1
	s_branch .LBB281_807
.LBB281_805:
	s_mov_b64 s[6:7], 0
.LBB281_806:
                                        ; implicit-def: $vgpr12
.LBB281_807:
	s_andn2_b64 s[8:9], s[62:63], exec
	s_and_b64 s[2:3], s[2:3], exec
	s_or_b64 s[68:69], s[8:9], s[2:3]
	s_andn2_b64 s[2:3], s[60:61], exec
	s_and_b64 s[4:5], s[4:5], exec
	s_or_b64 s[2:3], s[2:3], s[4:5]
	s_orn2_b64 s[6:7], s[6:7], exec
.LBB281_808:
	s_or_b64 exec, exec, s[66:67]
	s_mov_b64 s[4:5], 0
	s_mov_b64 s[10:11], 0
	;; [unrolled: 1-line block ×3, first 2 shown]
                                        ; implicit-def: $vgpr2_vgpr3
                                        ; implicit-def: $vgpr0
                                        ; implicit-def: $vgpr6
	s_and_saveexec_b64 s[66:67], s[6:7]
	s_cbranch_execz .LBB281_904
; %bb.809:
	v_cmp_gt_i32_e32 vcc, s70, v12
	s_mov_b64 s[6:7], 0
	s_mov_b64 s[12:13], s[2:3]
                                        ; implicit-def: $vgpr2_vgpr3
                                        ; implicit-def: $vgpr0
                                        ; implicit-def: $vgpr6
	s_and_saveexec_b64 s[70:71], vcc
	s_cbranch_execz .LBB281_903
; %bb.810:
	s_andn2_b64 vcc, exec, s[42:43]
	s_cbranch_vccnz .LBB281_816
; %bb.811:
	s_andn2_b64 vcc, exec, s[52:53]
	s_cbranch_vccnz .LBB281_817
; %bb.812:
	s_add_i32 s78, s77, 1
	s_cmp_eq_u32 s72, 2
	s_cbranch_scc1 .LBB281_818
; %bb.813:
	s_and_b32 s77, s78, 28
	s_mov_b32 s79, 0
	v_mov_b32_e32 v0, 0
	v_mov_b32_e32 v2, 0
	s_mov_b64 s[52:53], s[34:35]
	s_waitcnt vmcnt(0)
	v_mov_b32_e32 v4, v12
.LBB281_814:                            ; =>This Inner Loop Header: Depth=1
	s_load_dwordx8 s[12:19], s[52:53], 0x4
	s_load_dwordx4 s[36:39], s[52:53], 0x24
	s_load_dwordx8 s[4:11], s[50:51], 0x0
	s_add_u32 s52, s52, 48
	s_addc_u32 s53, s53, 0
	s_waitcnt lgkmcnt(0)
	v_mul_hi_u32 v1, s13, v4
	v_add_u32_e32 v1, v4, v1
	v_lshrrev_b32_e32 v1, s14, v1
	v_mul_lo_u32 v3, v1, s12
	v_mul_hi_u32 v5, s16, v1
	v_sub_u32_e32 v3, v4, v3
	v_add_u32_e32 v4, v1, v5
	v_lshrrev_b32_e32 v4, s17, v4
	v_mul_lo_u32 v6, v4, s15
	v_mul_hi_u32 v7, s19, v4
	v_sub_u32_e32 v1, v1, v6
	v_add_u32_e32 v6, v4, v7
	v_mul_lo_u32 v5, v3, s5
	v_mul_lo_u32 v3, v3, s4
	;; [unrolled: 1-line block ×4, first 2 shown]
	v_lshrrev_b32_e32 v6, s36, v6
	v_add3_u32 v0, v3, v0, v1
	v_mul_hi_u32 v3, s38, v6
	v_add3_u32 v1, v5, v2, v7
	v_mul_lo_u32 v2, v6, s18
	v_add_u32_e32 v3, v6, v3
	v_sub_u32_e32 v2, v4, v2
	v_lshrrev_b32_e32 v4, s39, v3
	s_add_i32 s79, s79, 4
	v_mul_lo_u32 v3, v4, s37
	s_add_u32 s50, s50, 32
	v_sub_u32_e32 v3, v6, v3
	s_addc_u32 s51, s51, 0
	v_mul_lo_u32 v5, v2, s8
	v_mul_lo_u32 v2, v2, s9
	;; [unrolled: 1-line block ×4, first 2 shown]
	s_cmp_eq_u32 s77, s79
	v_add3_u32 v2, v2, v1, v3
	v_add3_u32 v0, v5, v0, v6
	s_cbranch_scc0 .LBB281_814
; %bb.815:
	v_mov_b32_e32 v1, v2
	s_branch .LBB281_819
.LBB281_816:
	s_mov_b64 s[4:5], -1
                                        ; implicit-def: $vgpr2
                                        ; implicit-def: $vgpr0
	s_branch .LBB281_823
.LBB281_817:
	v_mov_b32_e32 v2, 0
	v_mov_b32_e32 v0, 0
	s_branch .LBB281_822
.LBB281_818:
	v_mov_b32_e32 v0, 0
	s_mov_b32 s77, 0
	v_mov_b32_e32 v1, v0
                                        ; implicit-def: $vgpr2
	s_waitcnt vmcnt(0)
	v_mov_b32_e32 v4, v12
.LBB281_819:
	s_and_b32 s8, s78, 3
	s_cmp_eq_u32 s8, 0
	s_cbranch_scc1 .LBB281_822
; %bb.820:
	s_lshl_b32 s4, s77, 3
	s_add_u32 s4, s34, s4
	s_addc_u32 s5, s35, 0
	s_add_u32 s4, s4, 0xc4
	s_addc_u32 s5, s5, 0
	s_mul_i32 s6, s77, 12
	s_add_u32 s6, s34, s6
	s_addc_u32 s7, s35, 0
.LBB281_821:                            ; =>This Inner Loop Header: Depth=1
	s_load_dwordx2 s[10:11], s[6:7], 0x4
	s_load_dword s9, s[6:7], 0xc
	s_load_dwordx2 s[12:13], s[4:5], 0x0
	v_mov_b32_e32 v2, v1
	s_add_u32 s6, s6, 12
	s_waitcnt lgkmcnt(0)
	v_mul_hi_u32 v1, s11, v4
	v_add_u32_e32 v1, v4, v1
	v_lshrrev_b32_e32 v1, s9, v1
	s_addc_u32 s7, s7, 0
	v_mul_lo_u32 v3, v1, s10
	s_add_u32 s4, s4, 8
	v_sub_u32_e32 v5, v4, v3
	s_addc_u32 s5, s5, 0
	s_add_i32 s8, s8, -1
	v_mov_b32_e32 v4, v1
	v_mad_u64_u32 v[2:3], s[10:11], v5, s13, v[2:3]
	v_mad_u64_u32 v[0:1], s[10:11], v5, s12, v[0:1]
	s_cmp_lg_u32 s8, 0
	v_mov_b32_e32 v1, v2
	s_cbranch_scc1 .LBB281_821
.LBB281_822:
	s_mov_b64 s[4:5], 0
.LBB281_823:
	s_andn2_b64 vcc, exec, s[4:5]
	s_cbranch_vccnz .LBB281_826
; %bb.824:
	v_mul_hi_u32 v0, s25, v12
	v_add_u32_e32 v0, v12, v0
	v_lshrrev_b32_e32 v1, s26, v0
	v_mul_lo_u32 v0, v1, s24
	v_sub_u32_e32 v0, v12, v0
	v_mul_lo_u32 v2, v0, s29
	s_andn2_b64 vcc, exec, s[48:49]
	v_mul_lo_u32 v0, v0, s28
	s_cbranch_vccnz .LBB281_826
; %bb.825:
	v_mul_hi_u32 v3, s46, v1
	v_add_u32_e32 v3, v1, v3
	v_lshrrev_b32_e32 v3, s47, v3
	v_mul_lo_u32 v3, v3, s27
	v_sub_u32_e32 v3, v1, v3
	v_mad_u64_u32 v[0:1], s[4:5], v3, s30, v[0:1]
	v_mad_u64_u32 v[2:3], s[4:5], v3, s31, v[2:3]
.LBB281_826:
	v_mov_b32_e32 v3, 0
	s_and_b32 s12, 0xffff, s76
	s_cmp_lt_i32 s12, 11
	v_lshl_add_u64 v[2:3], s[22:23], 0, v[2:3]
	s_cbranch_scc1 .LBB281_833
; %bb.827:
	s_cmp_gt_i32 s12, 25
	s_mov_b64 s[6:7], 0
	s_cbranch_scc0 .LBB281_834
; %bb.828:
	s_cmp_gt_i32 s12, 28
	s_cbranch_scc0 .LBB281_835
; %bb.829:
	s_cmp_gt_i32 s12, 43
	;; [unrolled: 3-line block ×3, first 2 shown]
	s_cbranch_scc0 .LBB281_839
; %bb.831:
	s_cmp_eq_u32 s12, 46
	s_mov_b64 s[10:11], 0
	s_cbranch_scc0 .LBB281_842
; %bb.832:
	global_load_dword v1, v[2:3], off
	s_mov_b32 s4, 0x2f800000
	s_mov_b32 s5, 0xcf800000
	s_mov_b64 s[8:9], -1
	s_waitcnt vmcnt(0)
	v_lshlrev_b32_e32 v1, 16, v1
	v_trunc_f32_e32 v1, v1
	v_mul_f32_e64 v4, |v1|, s4
	v_floor_f32_e32 v4, v4
	v_fma_f32 v4, v4, s5, |v1|
	v_cvt_u32_f32_e32 v4, v4
	v_ashrrev_i32_e32 v1, 31, v1
	s_mov_b64 s[4:5], 0
	v_xor_b32_e32 v4, v4, v1
	v_sub_u32_e32 v6, v4, v1
	s_branch .LBB281_843
.LBB281_833:
	s_mov_b64 s[10:11], -1
	s_mov_b64 s[8:9], 0
	s_mov_b64 s[6:7], 0
	;; [unrolled: 1-line block ×3, first 2 shown]
                                        ; implicit-def: $vgpr6
	s_branch .LBB281_902
.LBB281_834:
	s_mov_b64 s[10:11], -1
	s_mov_b64 s[8:9], 0
	s_mov_b64 s[4:5], s[2:3]
                                        ; implicit-def: $vgpr6
	s_branch .LBB281_870
.LBB281_835:
	s_mov_b64 s[10:11], -1
	s_mov_b64 s[8:9], 0
	s_mov_b64 s[4:5], s[2:3]
                                        ; implicit-def: $vgpr6
	s_branch .LBB281_853
.LBB281_836:
	s_mov_b64 s[10:11], -1
	s_mov_b64 s[8:9], 0
	s_mov_b64 s[4:5], s[2:3]
                                        ; implicit-def: $vgpr6
	s_branch .LBB281_848
.LBB281_837:
	s_andn2_saveexec_b64 s[10:11], s[10:11]
	s_cbranch_execz .LBB281_716
.LBB281_838:
	v_add_f32_e32 v3, 0x46000000, v4
	v_and_b32_e32 v3, 0xff, v3
	v_cmp_ne_u32_e32 vcc, 0, v3
	s_andn2_b64 s[8:9], s[8:9], exec
	s_and_b64 s[14:15], vcc, exec
	s_or_b64 s[8:9], s[8:9], s[14:15]
	s_or_b64 exec, exec, s[10:11]
	v_mov_b32_e32 v5, 0
	s_and_saveexec_b64 s[10:11], s[8:9]
	s_cbranch_execnz .LBB281_717
	s_branch .LBB281_718
.LBB281_839:
	s_mov_b64 s[10:11], -1
	s_mov_b64 s[8:9], 0
	s_mov_b64 s[4:5], s[2:3]
                                        ; implicit-def: $vgpr6
	s_branch .LBB281_843
.LBB281_840:
	s_andn2_saveexec_b64 s[10:11], s[10:11]
	s_cbranch_execz .LBB281_729
.LBB281_841:
	v_add_f32_e32 v3, 0x42800000, v4
	v_and_b32_e32 v3, 0xff, v3
	v_cmp_ne_u32_e32 vcc, 0, v3
	s_andn2_b64 s[8:9], s[8:9], exec
	s_and_b64 s[14:15], vcc, exec
	s_or_b64 s[8:9], s[8:9], s[14:15]
	s_or_b64 exec, exec, s[10:11]
	v_mov_b32_e32 v5, 0
	s_and_saveexec_b64 s[10:11], s[8:9]
	s_cbranch_execnz .LBB281_730
	s_branch .LBB281_731
.LBB281_842:
	s_mov_b64 s[4:5], -1
                                        ; implicit-def: $vgpr6
	s_mov_b64 s[8:9], 0
.LBB281_843:
	s_and_b64 vcc, exec, s[10:11]
	s_cbranch_vccz .LBB281_847
; %bb.844:
	s_cmp_eq_u32 s12, 44
	s_cbranch_scc0 .LBB281_846
; %bb.845:
	global_load_ubyte v1, v[2:3], off
	s_mov_b32 s4, 0x2f800000
	s_mov_b32 s5, 0xcf800000
	s_mov_b64 s[8:9], -1
	s_waitcnt vmcnt(0)
	v_lshlrev_b32_e32 v4, 23, v1
	v_trunc_f32_e32 v4, v4
	v_mul_f32_e64 v5, |v4|, s4
	v_floor_f32_e32 v5, v5
	v_fma_f32 v5, v5, s5, |v4|
	v_cvt_u32_f32_e32 v5, v5
	v_ashrrev_i32_e32 v4, 31, v4
	v_cmp_ne_u32_e32 vcc, 0, v1
	s_mov_b64 s[4:5], 0
	v_xor_b32_e32 v5, v5, v4
	v_sub_u32_e32 v4, v5, v4
	v_cndmask_b32_e32 v6, 0, v4, vcc
	s_branch .LBB281_847
.LBB281_846:
	s_mov_b64 s[4:5], -1
                                        ; implicit-def: $vgpr6
.LBB281_847:
	s_mov_b64 s[10:11], 0
.LBB281_848:
	s_and_b64 vcc, exec, s[10:11]
	s_cbranch_vccz .LBB281_852
; %bb.849:
	s_cmp_eq_u32 s12, 29
	s_cbranch_scc0 .LBB281_851
; %bb.850:
	global_load_dwordx2 v[6:7], v[2:3], off
	s_mov_b64 s[4:5], 0
	s_mov_b64 s[8:9], -1
	s_branch .LBB281_852
.LBB281_851:
	s_mov_b64 s[4:5], -1
                                        ; implicit-def: $vgpr6
.LBB281_852:
	s_mov_b64 s[10:11], 0
.LBB281_853:
	s_and_b64 vcc, exec, s[10:11]
	s_cbranch_vccz .LBB281_869
; %bb.854:
	s_cmp_lt_i32 s12, 27
	s_cbranch_scc1 .LBB281_857
; %bb.855:
	s_cmp_gt_i32 s12, 27
	s_cbranch_scc0 .LBB281_858
; %bb.856:
	global_load_dword v6, v[2:3], off
	s_mov_b64 s[8:9], 0
	s_branch .LBB281_859
.LBB281_857:
	s_mov_b64 s[8:9], -1
                                        ; implicit-def: $vgpr6
	s_branch .LBB281_862
.LBB281_858:
	s_mov_b64 s[8:9], -1
                                        ; implicit-def: $vgpr6
.LBB281_859:
	s_andn2_b64 vcc, exec, s[8:9]
	s_cbranch_vccnz .LBB281_861
; %bb.860:
	global_load_ushort v6, v[2:3], off
.LBB281_861:
	s_mov_b64 s[8:9], 0
.LBB281_862:
	s_andn2_b64 vcc, exec, s[8:9]
	s_cbranch_vccnz .LBB281_868
; %bb.863:
	global_load_ubyte v1, v[2:3], off
	s_movk_i32 s8, 0x7f
	s_mov_b64 s[10:11], 0
	s_waitcnt vmcnt(0)
	v_cmp_lt_i16_e32 vcc, s8, v1
	s_and_saveexec_b64 s[8:9], vcc
	s_xor_b64 s[8:9], exec, s[8:9]
	s_cbranch_execz .LBB281_880
; %bb.864:
	s_movk_i32 s10, 0x80
	v_cmp_ne_u16_e32 vcc, s10, v1
	s_and_b64 s[10:11], vcc, exec
	s_andn2_saveexec_b64 s[8:9], s[8:9]
	s_cbranch_execnz .LBB281_881
.LBB281_865:
	s_or_b64 exec, exec, s[8:9]
	v_mov_b32_e32 v6, 0
	s_and_saveexec_b64 s[8:9], s[10:11]
	s_cbranch_execz .LBB281_867
.LBB281_866:
	v_lshlrev_b32_e32 v4, 24, v1
	v_and_b32_e32 v1, 0xffff, v1
	v_and_b32_e32 v5, 7, v1
	v_ffbh_u32_e32 v7, v5
	v_min_u32_e32 v7, 32, v7
	v_subrev_u32_e32 v8, 28, v7
	v_bfe_u32 v6, v1, 3, 4
	v_lshlrev_b32_e32 v1, v8, v1
	v_sub_u32_e32 v7, 29, v7
	v_and_b32_e32 v1, 7, v1
	v_cmp_eq_u32_e32 vcc, 0, v6
	v_and_b32_e32 v4, 0x80000000, v4
	s_mov_b32 s10, 0x2f800000
	v_cndmask_b32_e32 v6, v6, v7, vcc
	v_cndmask_b32_e32 v1, v5, v1, vcc
	v_mov_b32_e32 v5, 0x3b800000
	v_lshlrev_b32_e32 v1, 20, v1
	v_lshl_add_u32 v5, v6, 23, v5
	v_or3_b32 v1, v4, v5, v1
	v_trunc_f32_e32 v1, v1
	v_mul_f32_e64 v4, |v1|, s10
	v_floor_f32_e32 v4, v4
	s_mov_b32 s10, 0xcf800000
	v_fma_f32 v4, v4, s10, |v1|
	v_cvt_u32_f32_e32 v4, v4
	v_ashrrev_i32_e32 v1, 31, v1
	v_xor_b32_e32 v4, v4, v1
	v_sub_u32_e32 v6, v4, v1
.LBB281_867:
	s_or_b64 exec, exec, s[8:9]
.LBB281_868:
	s_mov_b64 s[8:9], -1
.LBB281_869:
	s_mov_b64 s[10:11], 0
.LBB281_870:
	s_and_b64 vcc, exec, s[10:11]
	s_cbranch_vccz .LBB281_901
; %bb.871:
	s_cmp_gt_i32 s12, 22
	s_cbranch_scc0 .LBB281_879
; %bb.872:
	s_cmp_lt_i32 s12, 24
	s_cbranch_scc1 .LBB281_882
; %bb.873:
	s_cmp_gt_i32 s12, 24
	s_cbranch_scc0 .LBB281_883
; %bb.874:
	global_load_ubyte v1, v[2:3], off
	s_movk_i32 s6, 0x7f
	s_mov_b64 s[8:9], 0
	s_waitcnt vmcnt(0)
	v_cmp_lt_i16_e32 vcc, s6, v1
	s_and_saveexec_b64 s[6:7], vcc
	s_xor_b64 s[6:7], exec, s[6:7]
	s_cbranch_execz .LBB281_895
; %bb.875:
	s_movk_i32 s8, 0x80
	v_cmp_ne_u16_e32 vcc, s8, v1
	s_and_b64 s[8:9], vcc, exec
	s_andn2_saveexec_b64 s[6:7], s[6:7]
	s_cbranch_execnz .LBB281_896
.LBB281_876:
	s_or_b64 exec, exec, s[6:7]
	v_mov_b32_e32 v6, 0
	s_and_saveexec_b64 s[6:7], s[8:9]
	s_cbranch_execz .LBB281_878
.LBB281_877:
	v_lshlrev_b32_e32 v4, 24, v1
	v_and_b32_e32 v1, 0xffff, v1
	v_and_b32_e32 v5, 3, v1
	v_ffbh_u32_e32 v7, v5
	v_min_u32_e32 v7, 32, v7
	v_subrev_u32_e32 v8, 29, v7
	v_bfe_u32 v6, v1, 2, 5
	v_lshlrev_b32_e32 v1, v8, v1
	v_sub_u32_e32 v7, 30, v7
	v_and_b32_e32 v1, 3, v1
	v_cmp_eq_u32_e32 vcc, 0, v6
	v_and_b32_e32 v4, 0x80000000, v4
	s_mov_b32 s8, 0x2f800000
	v_cndmask_b32_e32 v6, v6, v7, vcc
	v_cndmask_b32_e32 v1, v5, v1, vcc
	v_mov_b32_e32 v5, 0x37800000
	v_lshlrev_b32_e32 v1, 21, v1
	v_lshl_add_u32 v5, v6, 23, v5
	v_or3_b32 v1, v4, v5, v1
	v_trunc_f32_e32 v1, v1
	v_mul_f32_e64 v4, |v1|, s8
	v_floor_f32_e32 v4, v4
	s_mov_b32 s8, 0xcf800000
	v_fma_f32 v4, v4, s8, |v1|
	v_cvt_u32_f32_e32 v4, v4
	v_ashrrev_i32_e32 v1, 31, v1
	v_xor_b32_e32 v4, v4, v1
	v_sub_u32_e32 v6, v4, v1
.LBB281_878:
	s_or_b64 exec, exec, s[6:7]
	s_mov_b64 s[6:7], 0
	s_branch .LBB281_884
.LBB281_879:
	s_mov_b64 s[6:7], -1
                                        ; implicit-def: $vgpr6
	s_branch .LBB281_890
.LBB281_880:
	s_andn2_saveexec_b64 s[8:9], s[8:9]
	s_cbranch_execz .LBB281_865
.LBB281_881:
	v_cmp_ne_u16_e32 vcc, 0, v1
	s_andn2_b64 s[10:11], s[10:11], exec
	s_and_b64 s[14:15], vcc, exec
	s_or_b64 s[10:11], s[10:11], s[14:15]
	s_or_b64 exec, exec, s[8:9]
	v_mov_b32_e32 v6, 0
	s_and_saveexec_b64 s[8:9], s[10:11]
	s_cbranch_execnz .LBB281_866
	s_branch .LBB281_867
.LBB281_882:
	s_mov_b64 s[6:7], -1
                                        ; implicit-def: $vgpr6
	s_branch .LBB281_887
.LBB281_883:
	s_mov_b64 s[6:7], -1
                                        ; implicit-def: $vgpr6
.LBB281_884:
	s_and_b64 vcc, exec, s[6:7]
	s_cbranch_vccz .LBB281_886
; %bb.885:
	global_load_ubyte v1, v[2:3], off
	s_mov_b32 s6, 0x7f800000
	s_brev_b32 s7, 1
	s_mov_b32 s8, 0x2f800000
	s_waitcnt vmcnt(0)
	v_lshlrev_b32_e32 v1, 24, v1
	v_and_b32_e32 v4, 0x7f000000, v1
	v_ffbh_u32_e32 v5, v4
	v_min_u32_e32 v5, 32, v5
	v_sub_u32_e64 v5, v5, 4 clamp
	v_lshlrev_b32_e32 v7, v5, v4
	v_lshlrev_b32_e32 v5, 23, v5
	v_lshrrev_b32_e32 v7, 4, v7
	v_add_u32_e32 v6, 0x1000000, v4
	v_sub_u32_e32 v5, v7, v5
	v_ashrrev_i32_e32 v6, 8, v6
	v_add_u32_e32 v5, 0x3c000000, v5
	v_and_or_b32 v5, v6, s6, v5
	v_cmp_ne_u32_e32 vcc, 0, v4
	s_mov_b32 s6, 0xcf800000
	s_nop 0
	v_cndmask_b32_e32 v4, 0, v5, vcc
	v_and_or_b32 v1, v1, s7, v4
	v_trunc_f32_e32 v1, v1
	v_mul_f32_e64 v4, |v1|, s8
	v_floor_f32_e32 v4, v4
	v_fma_f32 v4, v4, s6, |v1|
	v_cvt_u32_f32_e32 v4, v4
	v_ashrrev_i32_e32 v1, 31, v1
	v_xor_b32_e32 v4, v4, v1
	v_sub_u32_e32 v6, v4, v1
.LBB281_886:
	s_mov_b64 s[6:7], 0
.LBB281_887:
	s_andn2_b64 vcc, exec, s[6:7]
	s_cbranch_vccnz .LBB281_889
; %bb.888:
	global_load_ubyte v1, v[2:3], off
	s_movk_i32 s6, 0x7f00
	s_brev_b32 s7, 16
	s_brev_b32 s8, 1
	s_mov_b32 s9, 0x2f800000
	s_waitcnt vmcnt(0)
	v_lshlrev_b16_e32 v4, 8, v1
	v_lshlrev_b32_e32 v1, 25, v1
	v_lshrrev_b32_e32 v5, 4, v1
	v_and_or_b32 v6, v4, s6, 0.5
	v_or_b32_e32 v5, 0x70000000, v5
	v_add_f32_e32 v6, -0.5, v6
	v_mul_f32_e32 v5, 0x7800000, v5
	v_cmp_gt_u32_e32 vcc, s7, v1
	v_bfe_i32 v4, v4, 0, 16
	s_mov_b32 s6, 0xcf800000
	v_cndmask_b32_e32 v1, v5, v6, vcc
	v_and_or_b32 v1, v4, s8, v1
	v_trunc_f32_e32 v1, v1
	v_mul_f32_e64 v4, |v1|, s9
	v_floor_f32_e32 v4, v4
	v_fma_f32 v4, v4, s6, |v1|
	v_cvt_u32_f32_e32 v4, v4
	v_ashrrev_i32_e32 v1, 31, v1
	v_xor_b32_e32 v4, v4, v1
	v_sub_u32_e32 v6, v4, v1
.LBB281_889:
	s_mov_b64 s[6:7], 0
	s_mov_b64 s[8:9], -1
.LBB281_890:
	s_andn2_b64 vcc, exec, s[6:7]
	s_mov_b64 s[6:7], 0
	s_cbranch_vccnz .LBB281_901
; %bb.891:
	s_cmp_gt_i32 s12, 14
	s_cbranch_scc0 .LBB281_894
; %bb.892:
	s_cmp_eq_u32 s12, 15
	s_cbranch_scc0 .LBB281_897
; %bb.893:
	global_load_ushort v1, v[2:3], off
	s_mov_b32 s4, 0x2f800000
	s_mov_b32 s5, 0xcf800000
	s_mov_b64 s[8:9], -1
	s_waitcnt vmcnt(0)
	v_lshlrev_b32_e32 v1, 16, v1
	v_trunc_f32_e32 v1, v1
	v_mul_f32_e64 v4, |v1|, s4
	v_floor_f32_e32 v4, v4
	v_fma_f32 v4, v4, s5, |v1|
	v_cvt_u32_f32_e32 v4, v4
	v_ashrrev_i32_e32 v1, 31, v1
	s_mov_b64 s[4:5], 0
	v_xor_b32_e32 v4, v4, v1
	v_sub_u32_e32 v6, v4, v1
	s_branch .LBB281_898
.LBB281_894:
	s_mov_b64 s[10:11], -1
                                        ; implicit-def: $vgpr6
	s_branch .LBB281_899
.LBB281_895:
	s_andn2_saveexec_b64 s[6:7], s[6:7]
	s_cbranch_execz .LBB281_876
.LBB281_896:
	v_cmp_ne_u16_e32 vcc, 0, v1
	s_andn2_b64 s[8:9], s[8:9], exec
	s_and_b64 s[10:11], vcc, exec
	s_or_b64 s[8:9], s[8:9], s[10:11]
	s_or_b64 exec, exec, s[6:7]
	v_mov_b32_e32 v6, 0
	s_and_saveexec_b64 s[6:7], s[8:9]
	s_cbranch_execnz .LBB281_877
	s_branch .LBB281_878
.LBB281_897:
	s_mov_b64 s[4:5], -1
                                        ; implicit-def: $vgpr6
.LBB281_898:
	s_mov_b64 s[10:11], 0
.LBB281_899:
	s_and_b64 vcc, exec, s[10:11]
	s_cbranch_vccz .LBB281_901
; %bb.900:
	s_cmp_lg_u32 s12, 11
	s_cselect_b64 s[10:11], -1, 0
	s_andn2_b64 s[4:5], s[4:5], exec
	s_and_b64 s[10:11], s[10:11], exec
	s_mov_b64 s[6:7], -1
	s_or_b64 s[4:5], s[4:5], s[10:11]
.LBB281_901:
	s_mov_b64 s[10:11], 0
.LBB281_902:
	s_andn2_b64 s[12:13], s[2:3], exec
	s_and_b64 s[4:5], s[4:5], exec
	s_and_b64 s[8:9], s[8:9], exec
	;; [unrolled: 1-line block ×4, first 2 shown]
	s_or_b64 s[12:13], s[12:13], s[4:5]
.LBB281_903:
	s_or_b64 exec, exec, s[70:71]
	s_and_b64 s[4:5], s[6:7], exec
	s_andn2_b64 s[2:3], s[2:3], exec
	s_and_b64 s[6:7], s[12:13], exec
	s_and_b64 s[8:9], s[8:9], exec
	;; [unrolled: 1-line block ×3, first 2 shown]
	s_or_b64 s[2:3], s[2:3], s[6:7]
.LBB281_904:
	s_or_b64 exec, exec, s[66:67]
	s_andn2_b64 s[6:7], s[62:63], exec
	s_and_b64 s[12:13], s[68:69], exec
	s_or_b64 s[62:63], s[6:7], s[12:13]
	s_and_b64 s[6:7], s[10:11], exec
	s_andn2_b64 s[10:11], s[60:61], exec
	s_and_b64 s[2:3], s[2:3], exec
	s_and_b64 s[8:9], s[8:9], exec
	;; [unrolled: 1-line block ×3, first 2 shown]
	s_or_b64 s[60:61], s[10:11], s[2:3]
.LBB281_905:
	s_or_b64 exec, exec, s[64:65]
	s_andn2_b64 s[2:3], s[54:55], exec
	s_and_b64 s[10:11], s[62:63], exec
	s_or_b64 s[54:55], s[2:3], s[10:11]
	s_and_b64 s[2:3], s[8:9], exec
	s_and_b64 s[8:9], s[6:7], exec
	;; [unrolled: 1-line block ×3, first 2 shown]
	s_andn2_b64 s[4:5], s[56:57], exec
	s_and_b64 s[6:7], s[60:61], exec
	s_or_b64 s[56:57], s[4:5], s[6:7]
	s_or_b64 exec, exec, s[58:59]
	s_mov_b64 s[4:5], 0
	s_and_saveexec_b64 s[6:7], s[56:57]
	s_cbranch_execz .LBB281_272
.LBB281_906:
	s_mov_b64 s[4:5], exec
	s_andn2_b64 s[62:63], s[62:63], exec
	s_trap 2
	s_or_b64 exec, exec, s[6:7]
	s_and_saveexec_b64 s[6:7], s[62:63]
	s_xor_b64 s[6:7], exec, s[6:7]
	s_cbranch_execnz .LBB281_273
.LBB281_907:
	s_or_b64 exec, exec, s[6:7]
	s_and_saveexec_b64 s[6:7], s[8:9]
	s_cbranch_execz .LBB281_953
.LBB281_908:
	s_sext_i32_i16 s8, s76
	s_cmp_lt_i32 s8, 5
	s_cbranch_scc1 .LBB281_913
; %bb.909:
	s_cmp_lt_i32 s8, 8
	s_cbranch_scc1 .LBB281_914
; %bb.910:
	;; [unrolled: 3-line block ×3, first 2 shown]
	s_cmp_gt_i32 s8, 9
	s_cbranch_scc0 .LBB281_916
; %bb.912:
	global_load_dwordx2 v[4:5], v[2:3], off
	s_movk_i32 s8, 0xffe0
	s_waitcnt vmcnt(0)
	v_trunc_f64_e32 v[4:5], v[4:5]
	v_ldexp_f64 v[6:7], v[4:5], s8
	v_floor_f64_e32 v[6:7], v[6:7]
	v_fmac_f64_e32 v[4:5], 0xc1f00000, v[6:7]
	v_cvt_u32_f64_e32 v6, v[4:5]
	s_mov_b64 s[8:9], 0
	s_branch .LBB281_917
.LBB281_913:
                                        ; implicit-def: $vgpr6
	s_branch .LBB281_934
.LBB281_914:
                                        ; implicit-def: $vgpr6
	s_branch .LBB281_923
.LBB281_915:
	s_mov_b64 s[8:9], -1
                                        ; implicit-def: $vgpr6
	s_branch .LBB281_920
.LBB281_916:
	s_mov_b64 s[8:9], -1
                                        ; implicit-def: $vgpr6
.LBB281_917:
	s_andn2_b64 vcc, exec, s[8:9]
	s_cbranch_vccnz .LBB281_919
; %bb.918:
	global_load_dword v1, v[2:3], off
	s_mov_b32 s8, 0x2f800000
	s_waitcnt vmcnt(0)
	v_trunc_f32_e32 v1, v1
	v_mul_f32_e64 v4, |v1|, s8
	v_floor_f32_e32 v4, v4
	s_mov_b32 s8, 0xcf800000
	v_fma_f32 v4, v4, s8, |v1|
	v_cvt_u32_f32_e32 v4, v4
	v_ashrrev_i32_e32 v1, 31, v1
	v_xor_b32_e32 v4, v4, v1
	v_sub_u32_e32 v6, v4, v1
.LBB281_919:
	s_mov_b64 s[8:9], 0
.LBB281_920:
	s_andn2_b64 vcc, exec, s[8:9]
	s_cbranch_vccnz .LBB281_922
; %bb.921:
	global_load_dword v1, v[2:3], off
	s_waitcnt vmcnt(0)
	v_cvt_f32_f16_e32 v1, v1
	v_cvt_i32_f32_e32 v6, v1
.LBB281_922:
	s_cbranch_execnz .LBB281_933
.LBB281_923:
	s_sext_i32_i16 s8, s76
	s_cmp_lt_i32 s8, 6
	s_cbranch_scc1 .LBB281_926
; %bb.924:
	s_cmp_gt_i32 s8, 6
	s_cbranch_scc0 .LBB281_927
; %bb.925:
	global_load_dwordx2 v[4:5], v[2:3], off
	s_movk_i32 s8, 0xffe0
	s_waitcnt vmcnt(0)
	v_trunc_f64_e32 v[4:5], v[4:5]
	v_ldexp_f64 v[6:7], v[4:5], s8
	v_floor_f64_e32 v[6:7], v[6:7]
	v_fmac_f64_e32 v[4:5], 0xc1f00000, v[6:7]
	v_cvt_u32_f64_e32 v6, v[4:5]
	s_mov_b64 s[8:9], 0
	s_branch .LBB281_928
.LBB281_926:
	s_mov_b64 s[8:9], -1
                                        ; implicit-def: $vgpr6
	s_branch .LBB281_931
.LBB281_927:
	s_mov_b64 s[8:9], -1
                                        ; implicit-def: $vgpr6
.LBB281_928:
	s_andn2_b64 vcc, exec, s[8:9]
	s_cbranch_vccnz .LBB281_930
; %bb.929:
	global_load_dword v1, v[2:3], off
	s_mov_b32 s8, 0x2f800000
	s_waitcnt vmcnt(0)
	v_trunc_f32_e32 v1, v1
	v_mul_f32_e64 v4, |v1|, s8
	v_floor_f32_e32 v4, v4
	s_mov_b32 s8, 0xcf800000
	v_fma_f32 v4, v4, s8, |v1|
	v_cvt_u32_f32_e32 v4, v4
	v_ashrrev_i32_e32 v1, 31, v1
	v_xor_b32_e32 v4, v4, v1
	v_sub_u32_e32 v6, v4, v1
.LBB281_930:
	s_mov_b64 s[8:9], 0
.LBB281_931:
	s_andn2_b64 vcc, exec, s[8:9]
	s_cbranch_vccnz .LBB281_933
; %bb.932:
	global_load_ushort v1, v[2:3], off
	s_waitcnt vmcnt(0)
	v_cvt_f32_f16_e32 v1, v1
	v_cvt_i32_f32_e32 v6, v1
.LBB281_933:
	s_cbranch_execnz .LBB281_952
.LBB281_934:
	s_sext_i32_i16 s8, s76
	s_cmp_lt_i32 s8, 2
	s_cbranch_scc1 .LBB281_938
; %bb.935:
	s_cmp_lt_i32 s8, 3
	s_cbranch_scc1 .LBB281_939
; %bb.936:
	s_cmp_gt_i32 s8, 3
	s_cbranch_scc0 .LBB281_940
; %bb.937:
	global_load_dwordx2 v[6:7], v[2:3], off
	s_mov_b64 s[8:9], 0
	s_branch .LBB281_941
.LBB281_938:
                                        ; implicit-def: $vgpr6
	s_branch .LBB281_947
.LBB281_939:
	s_mov_b64 s[8:9], -1
                                        ; implicit-def: $vgpr6
	s_branch .LBB281_944
.LBB281_940:
	s_mov_b64 s[8:9], -1
                                        ; implicit-def: $vgpr6
.LBB281_941:
	s_andn2_b64 vcc, exec, s[8:9]
	s_cbranch_vccnz .LBB281_943
; %bb.942:
	global_load_dword v6, v[2:3], off
.LBB281_943:
	s_mov_b64 s[8:9], 0
.LBB281_944:
	s_andn2_b64 vcc, exec, s[8:9]
	s_cbranch_vccnz .LBB281_946
; %bb.945:
	global_load_ushort v6, v[2:3], off
.LBB281_946:
	s_cbranch_execnz .LBB281_952
.LBB281_947:
	s_sext_i32_i16 s8, s76
	s_cmp_gt_i32 s8, 0
	s_cbranch_scc0 .LBB281_949
; %bb.948:
	global_load_ubyte v6, v[2:3], off
	s_mov_b64 s[8:9], 0
	s_branch .LBB281_950
.LBB281_949:
	s_mov_b64 s[8:9], -1
                                        ; implicit-def: $vgpr6
.LBB281_950:
	s_andn2_b64 vcc, exec, s[8:9]
	s_cbranch_vccnz .LBB281_952
; %bb.951:
	global_load_ubyte v6, v[2:3], off
.LBB281_952:
	s_or_b64 s[2:3], s[2:3], exec
.LBB281_953:
	s_or_b64 exec, exec, s[6:7]
	s_mov_b64 s[10:11], 0
	s_mov_b64 s[8:9], 0
                                        ; implicit-def: $sgpr16
                                        ; implicit-def: $vgpr4_vgpr5
                                        ; implicit-def: $vgpr2
	s_and_saveexec_b64 s[6:7], s[2:3]
	s_cbranch_execz .LBB281_1028
; %bb.954:
	s_and_b32 s2, s74, 0xff
	s_waitcnt vmcnt(0)
	v_max_u16_sdwa v1, v6, s2 dst_sel:DWORD dst_unused:UNUSED_PAD src0_sel:BYTE_0 src1_sel:DWORD
	s_and_b32 s2, s75, 0xff
	v_min_u16_e32 v2, s2, v1
	v_mov_b32_e32 v1, 0
	s_and_b32 s16, s73, 0xff
	s_cmp_lt_i32 s16, 11
	v_lshl_add_u64 v[4:5], s[20:21], 0, v[0:1]
	s_cbranch_scc1 .LBB281_1031
; %bb.955:
	s_and_b32 s17, 0xffff, s16
	s_mov_b64 s[10:11], -1
	s_cmp_gt_i32 s17, 25
	s_mov_b64 s[2:3], s[54:55]
	s_cbranch_scc0 .LBB281_988
; %bb.956:
	s_mov_b64 s[8:9], -1
	s_cmp_gt_i32 s17, 28
	s_mov_b64 s[2:3], s[54:55]
	s_cbranch_scc0 .LBB281_972
; %bb.957:
	s_cmp_gt_i32 s17, 43
	s_mov_b64 s[2:3], s[54:55]
	s_cbranch_scc0 .LBB281_968
; %bb.958:
	;; [unrolled: 4-line block ×3, first 2 shown]
	s_cmp_eq_u32 s17, 46
	s_mov_b64 s[2:3], -1
	s_cbranch_scc0 .LBB281_961
; %bb.960:
	v_cvt_f32_ubyte0_e32 v0, v2
	v_bfe_u32 v1, v0, 16, 1
	s_movk_i32 s2, 0x7fff
	v_add3_u32 v0, v0, v1, s2
	v_lshrrev_b32_e32 v0, 16, v0
	global_store_dword v[4:5], v0, off
	s_mov_b64 s[2:3], 0
.LBB281_961:
	s_mov_b64 s[8:9], 0
.LBB281_962:
	s_and_b64 vcc, exec, s[8:9]
	s_cbranch_vccz .LBB281_967
; %bb.963:
	s_cmp_eq_u32 s17, 44
	s_mov_b64 s[2:3], -1
	s_cbranch_scc0 .LBB281_967
; %bb.964:
	v_cvt_f32_ubyte0_e32 v1, v2
	v_lshrrev_b32_e32 v0, 23, v1
	s_movk_i32 s2, 0xff
	v_cmp_ne_u32_e32 vcc, s2, v0
	v_mov_b32_e32 v3, 0xff
	s_and_saveexec_b64 s[8:9], vcc
; %bb.965:
	s_mov_b32 s2, 0x3fffff
	v_and_b32_e32 v3, 0x400000, v1
	v_and_or_b32 v1, v1, s2, v0
	v_cmp_ne_u32_e32 vcc, 0, v3
	v_cmp_ne_u32_e64 s[2:3], 0, v1
	s_and_b64 s[2:3], vcc, s[2:3]
	s_nop 0
	v_cndmask_b32_e64 v1, 0, 1, s[2:3]
	v_add_u32_e32 v3, v0, v1
; %bb.966:
	s_or_b64 exec, exec, s[8:9]
	s_mov_b64 s[2:3], 0
	global_store_byte v[4:5], v3, off
.LBB281_967:
	s_mov_b64 s[8:9], 0
.LBB281_968:
	s_and_b64 vcc, exec, s[8:9]
	s_cbranch_vccz .LBB281_971
; %bb.969:
	s_cmp_eq_u32 s17, 29
	s_mov_b64 s[2:3], -1
	s_cbranch_scc0 .LBB281_971
; %bb.970:
	s_mov_b32 s2, 0
	v_mov_b32_e32 v3, s2
	global_store_dwordx2 v[4:5], v[2:3], off
	s_mov_b64 s[2:3], 0
.LBB281_971:
	s_mov_b64 s[8:9], 0
.LBB281_972:
	s_and_b64 vcc, exec, s[8:9]
	s_cbranch_vccz .LBB281_987
; %bb.973:
	s_cmp_lt_i32 s17, 27
	s_mov_b64 s[8:9], -1
	s_cbranch_scc1 .LBB281_979
; %bb.974:
	s_cmp_gt_i32 s17, 27
	s_cbranch_scc0 .LBB281_976
; %bb.975:
	s_mov_b64 s[8:9], 0
	global_store_dword v[4:5], v2, off
.LBB281_976:
	s_andn2_b64 vcc, exec, s[8:9]
	s_cbranch_vccnz .LBB281_978
; %bb.977:
	global_store_short v[4:5], v2, off
.LBB281_978:
	s_mov_b64 s[8:9], 0
.LBB281_979:
	s_andn2_b64 vcc, exec, s[8:9]
	s_cbranch_vccnz .LBB281_987
; %bb.980:
	v_cvt_f32_ubyte0_e32 v1, v2
	s_mov_b32 s8, 0x43800000
	v_cmp_gt_u32_e32 vcc, s8, v1
	v_mov_b32_e32 v3, 0x80
	s_and_saveexec_b64 s[8:9], vcc
	s_cbranch_execz .LBB281_986
; %bb.981:
	s_mov_b32 s10, 0x3bffffff
	v_cmp_lt_u32_e32 vcc, s10, v1
	s_mov_b64 s[10:11], 0
                                        ; implicit-def: $vgpr0
	s_and_saveexec_b64 s[12:13], vcc
	s_xor_b64 s[12:13], exec, s[12:13]
	s_cbranch_execz .LBB281_1144
; %bb.982:
	v_bfe_u32 v0, v1, 20, 1
	s_mov_b32 s14, 0x487ffff
	v_add3_u32 v0, v1, v0, s14
	s_mov_b64 s[10:11], exec
	v_lshrrev_b32_e32 v0, 20, v0
                                        ; implicit-def: $vgpr1
	s_andn2_saveexec_b64 s[12:13], s[12:13]
	s_cbranch_execnz .LBB281_1145
.LBB281_983:
	s_or_b64 exec, exec, s[12:13]
	v_mov_b32_e32 v3, 0
	s_and_saveexec_b64 s[12:13], s[10:11]
.LBB281_984:
	v_mov_b32_e32 v3, v0
.LBB281_985:
	s_or_b64 exec, exec, s[12:13]
.LBB281_986:
	s_or_b64 exec, exec, s[8:9]
	global_store_byte v[4:5], v3, off
.LBB281_987:
	s_mov_b64 s[10:11], 0
.LBB281_988:
	s_mov_b64 s[8:9], 0
	s_and_b64 vcc, exec, s[10:11]
	s_cbranch_vccz .LBB281_1032
; %bb.989:
	s_cmp_gt_i32 s17, 22
	s_mov_b64 s[10:11], -1
	s_cbranch_scc0 .LBB281_1021
; %bb.990:
	s_cmp_lt_i32 s17, 24
	s_cbranch_scc1 .LBB281_1010
; %bb.991:
	s_cmp_gt_i32 s17, 24
	s_cbranch_scc0 .LBB281_999
; %bb.992:
	v_cvt_f32_ubyte0_e32 v1, v2
	s_mov_b32 s10, 0x47800000
	v_cmp_gt_u32_e32 vcc, s10, v1
	v_mov_b32_e32 v3, 0x80
	s_and_saveexec_b64 s[10:11], vcc
	s_cbranch_execz .LBB281_998
; %bb.993:
	s_mov_b32 s12, 0x37ffffff
	v_cmp_lt_u32_e32 vcc, s12, v1
	s_mov_b64 s[12:13], 0
                                        ; implicit-def: $vgpr0
	s_and_saveexec_b64 s[14:15], vcc
	s_xor_b64 s[14:15], exec, s[14:15]
	s_cbranch_execz .LBB281_1264
; %bb.994:
	v_bfe_u32 v0, v1, 21, 1
	s_mov_b32 s18, 0x88fffff
	v_add3_u32 v0, v1, v0, s18
	s_mov_b64 s[12:13], exec
	v_lshrrev_b32_e32 v0, 21, v0
                                        ; implicit-def: $vgpr1
	s_andn2_saveexec_b64 s[14:15], s[14:15]
	s_cbranch_execnz .LBB281_1265
.LBB281_995:
	s_or_b64 exec, exec, s[14:15]
	v_mov_b32_e32 v3, 0
	s_and_saveexec_b64 s[14:15], s[12:13]
.LBB281_996:
	v_mov_b32_e32 v3, v0
.LBB281_997:
	s_or_b64 exec, exec, s[14:15]
.LBB281_998:
	s_or_b64 exec, exec, s[10:11]
	s_mov_b64 s[10:11], 0
	global_store_byte v[4:5], v3, off
.LBB281_999:
	s_and_b64 vcc, exec, s[10:11]
	s_cbranch_vccz .LBB281_1009
; %bb.1000:
	v_cvt_f32_ubyte0_e32 v0, v2
	s_mov_b32 s10, 0x43f00000
	v_cmp_gt_u32_e32 vcc, s10, v0
                                        ; implicit-def: $vgpr1
	s_and_saveexec_b64 s[10:11], vcc
	s_xor_b64 s[10:11], exec, s[10:11]
	s_cbranch_execz .LBB281_1006
; %bb.1001:
	s_mov_b32 s12, 0x3c7fffff
	v_cmp_lt_u32_e32 vcc, s12, v0
                                        ; implicit-def: $vgpr1
	s_and_saveexec_b64 s[12:13], vcc
	s_xor_b64 s[12:13], exec, s[12:13]
; %bb.1002:
	v_bfe_u32 v1, v0, 20, 1
	s_mov_b32 s14, 0x407ffff
	v_add3_u32 v0, v0, v1, s14
	v_lshrrev_b32_e32 v1, 20, v0
	v_and_b32_e32 v0, 0xff00000, v0
	s_mov_b32 s14, 0x7f00000
	v_mov_b32_e32 v3, 0x7e
	v_cmp_ne_u32_e32 vcc, s14, v0
                                        ; implicit-def: $vgpr0
	s_nop 1
	v_cndmask_b32_e32 v1, v3, v1, vcc
; %bb.1003:
	s_andn2_saveexec_b64 s[12:13], s[12:13]
; %bb.1004:
	v_add_f32_e32 v1, 0x46800000, v0
; %bb.1005:
	s_or_b64 exec, exec, s[12:13]
                                        ; implicit-def: $vgpr0
.LBB281_1006:
	s_andn2_saveexec_b64 s[10:11], s[10:11]
; %bb.1007:
	s_mov_b32 s12, 0x7f800000
	v_mov_b32_e32 v1, 0x7e
	v_mov_b32_e32 v3, 0x7f
	v_cmp_lt_u32_e32 vcc, s12, v0
	s_nop 1
	v_cndmask_b32_e32 v1, v1, v3, vcc
; %bb.1008:
	s_or_b64 exec, exec, s[10:11]
	global_store_byte v[4:5], v1, off
.LBB281_1009:
	s_mov_b64 s[10:11], 0
.LBB281_1010:
	s_andn2_b64 vcc, exec, s[10:11]
	s_cbranch_vccnz .LBB281_1020
; %bb.1011:
	v_cvt_f32_ubyte0_e32 v0, v2
	s_mov_b32 s10, 0x47800000
	v_cmp_gt_u32_e32 vcc, s10, v0
                                        ; implicit-def: $vgpr1
	s_and_saveexec_b64 s[10:11], vcc
	s_xor_b64 s[10:11], exec, s[10:11]
	s_cbranch_execz .LBB281_1017
; %bb.1012:
	s_mov_b32 s12, 0x387fffff
	v_cmp_lt_u32_e32 vcc, s12, v0
                                        ; implicit-def: $vgpr1
	s_and_saveexec_b64 s[12:13], vcc
	s_xor_b64 s[12:13], exec, s[12:13]
; %bb.1013:
	v_bfe_u32 v1, v0, 21, 1
	s_mov_b32 s14, 0x80fffff
	v_add3_u32 v0, v0, v1, s14
	v_lshrrev_b32_e32 v1, 21, v0
                                        ; implicit-def: $vgpr0
; %bb.1014:
	s_andn2_saveexec_b64 s[12:13], s[12:13]
; %bb.1015:
	v_add_f32_e32 v1, 0x43000000, v0
; %bb.1016:
	s_or_b64 exec, exec, s[12:13]
                                        ; implicit-def: $vgpr0
.LBB281_1017:
	s_andn2_saveexec_b64 s[10:11], s[10:11]
; %bb.1018:
	s_mov_b32 s12, 0x7f800000
	v_mov_b32_e32 v1, 0x7c
	v_mov_b32_e32 v3, 0x7f
	v_cmp_lt_u32_e32 vcc, s12, v0
	s_nop 1
	v_cndmask_b32_e32 v1, v1, v3, vcc
; %bb.1019:
	s_or_b64 exec, exec, s[10:11]
	global_store_byte v[4:5], v1, off
.LBB281_1020:
	s_mov_b64 s[10:11], 0
.LBB281_1021:
	s_andn2_b64 vcc, exec, s[10:11]
	s_mov_b64 s[10:11], 0
	s_cbranch_vccnz .LBB281_1033
; %bb.1022:
	s_cmp_gt_i32 s17, 14
	s_mov_b64 s[12:13], -1
	s_cbranch_scc0 .LBB281_1026
; %bb.1023:
	s_cmp_eq_u32 s17, 15
	s_mov_b64 s[2:3], -1
	s_cbranch_scc0 .LBB281_1025
; %bb.1024:
	v_cvt_f32_ubyte0_e32 v0, v2
	v_bfe_u32 v1, v0, 16, 1
	s_movk_i32 s2, 0x7fff
	v_add3_u32 v0, v0, v1, s2
	global_store_short_d16_hi v[4:5], v0, off
	s_mov_b64 s[2:3], 0
.LBB281_1025:
	s_mov_b64 s[12:13], 0
.LBB281_1026:
	s_and_b64 vcc, exec, s[12:13]
	s_cbranch_vccz .LBB281_1033
; %bb.1027:
	s_cmp_lg_u32 s17, 11
	s_cselect_b64 s[12:13], -1, 0
	s_andn2_b64 s[2:3], s[2:3], exec
	s_and_b64 s[12:13], s[12:13], exec
	s_mov_b64 s[10:11], -1
	s_or_b64 s[2:3], s[2:3], s[12:13]
	s_branch .LBB281_1033
.LBB281_1028:
	s_or_b64 exec, exec, s[6:7]
	s_and_saveexec_b64 s[2:3], s[54:55]
	s_cbranch_execnz .LBB281_1034
.LBB281_1029:
	s_or_b64 exec, exec, s[2:3]
	s_and_saveexec_b64 s[2:3], s[10:11]
	s_xor_b64 s[2:3], exec, s[2:3]
	s_cbranch_execz .LBB281_1035
.LBB281_1030:
	v_mov_b32_e32 v0, 0
	v_cmp_ne_u16_sdwa s[6:7], v2, v0 src0_sel:BYTE_0 src1_sel:DWORD
	s_nop 1
	v_cndmask_b32_e64 v0, 0, 1, s[6:7]
	s_waitcnt vmcnt(0)
	global_store_byte v[4:5], v0, off
	s_or_b64 exec, exec, s[2:3]
	s_and_saveexec_b64 s[2:3], s[8:9]
	s_xor_b64 s[2:3], exec, s[2:3]
	s_cbranch_execz .LBB281_1073
	s_branch .LBB281_1036
.LBB281_1031:
	s_mov_b64 s[8:9], -1
	s_mov_b64 s[2:3], s[54:55]
	s_branch .LBB281_1033
.LBB281_1032:
	s_mov_b64 s[10:11], 0
.LBB281_1033:
	s_andn2_b64 s[12:13], s[54:55], exec
	s_and_b64 s[2:3], s[2:3], exec
	s_and_b64 s[8:9], s[8:9], exec
	;; [unrolled: 1-line block ×3, first 2 shown]
	s_or_b64 s[54:55], s[12:13], s[2:3]
	s_or_b64 exec, exec, s[6:7]
	s_and_saveexec_b64 s[2:3], s[54:55]
	s_cbranch_execz .LBB281_1029
.LBB281_1034:
	s_or_b64 s[4:5], s[4:5], exec
	s_andn2_b64 s[10:11], s[10:11], exec
	s_trap 2
	s_or_b64 exec, exec, s[2:3]
	s_and_saveexec_b64 s[2:3], s[10:11]
	s_xor_b64 s[2:3], exec, s[2:3]
	s_cbranch_execnz .LBB281_1030
.LBB281_1035:
	s_or_b64 exec, exec, s[2:3]
	s_and_saveexec_b64 s[2:3], s[8:9]
	s_xor_b64 s[2:3], exec, s[2:3]
	s_cbranch_execz .LBB281_1073
.LBB281_1036:
	s_sext_i32_i16 s8, s16
	s_cmp_lt_i32 s8, 5
	s_mov_b64 s[6:7], -1
	s_cbranch_scc1 .LBB281_1057
; %bb.1037:
	s_cmp_lt_i32 s8, 8
	s_cbranch_scc1 .LBB281_1047
; %bb.1038:
	s_cmp_lt_i32 s8, 9
	s_cbranch_scc1 .LBB281_1044
; %bb.1039:
	s_cmp_gt_i32 s8, 9
	s_cbranch_scc0 .LBB281_1041
; %bb.1040:
	s_mov_b32 s6, 0xffff
	v_and_b32_sdwa v0, s6, v2 dst_sel:DWORD dst_unused:UNUSED_PAD src0_sel:DWORD src1_sel:BYTE_0
	v_mov_b32_e32 v8, 0
	s_waitcnt vmcnt(0)
	v_cvt_f64_u32_e32 v[6:7], v0
	v_mov_b32_e32 v9, v8
	s_mov_b64 s[6:7], 0
	global_store_dwordx4 v[4:5], v[6:9], off
.LBB281_1041:
	s_andn2_b64 vcc, exec, s[6:7]
	s_cbranch_vccnz .LBB281_1043
; %bb.1042:
	v_cvt_f32_ubyte0_e32 v0, v2
	v_mov_b32_e32 v1, 0
	s_waitcnt vmcnt(0)
	global_store_dwordx2 v[4:5], v[0:1], off
.LBB281_1043:
	s_mov_b64 s[6:7], 0
.LBB281_1044:
	s_andn2_b64 vcc, exec, s[6:7]
	s_cbranch_vccnz .LBB281_1046
; %bb.1045:
	v_cvt_f16_u16_sdwa v0, v2 dst_sel:DWORD dst_unused:UNUSED_PAD src0_sel:BYTE_0
	s_waitcnt vmcnt(0)
	global_store_dword v[4:5], v0, off
.LBB281_1046:
	s_mov_b64 s[6:7], 0
.LBB281_1047:
	s_andn2_b64 vcc, exec, s[6:7]
	s_cbranch_vccnz .LBB281_1056
; %bb.1048:
	s_sext_i32_i16 s8, s16
	s_cmp_lt_i32 s8, 6
	s_mov_b64 s[6:7], -1
	s_cbranch_scc1 .LBB281_1054
; %bb.1049:
	s_cmp_gt_i32 s8, 6
	s_cbranch_scc0 .LBB281_1051
; %bb.1050:
	s_mov_b32 s6, 0xffff
	v_and_b32_sdwa v0, s6, v2 dst_sel:DWORD dst_unused:UNUSED_PAD src0_sel:DWORD src1_sel:BYTE_0
	v_cvt_f64_u32_e32 v[0:1], v0
	s_mov_b64 s[6:7], 0
	s_waitcnt vmcnt(0)
	global_store_dwordx2 v[4:5], v[0:1], off
.LBB281_1051:
	s_andn2_b64 vcc, exec, s[6:7]
	s_cbranch_vccnz .LBB281_1053
; %bb.1052:
	v_cvt_f32_ubyte0_e32 v0, v2
	s_waitcnt vmcnt(0)
	global_store_dword v[4:5], v0, off
.LBB281_1053:
	s_mov_b64 s[6:7], 0
.LBB281_1054:
	s_andn2_b64 vcc, exec, s[6:7]
	s_cbranch_vccnz .LBB281_1056
; %bb.1055:
	v_cvt_f16_u16_sdwa v0, v2 dst_sel:DWORD dst_unused:UNUSED_PAD src0_sel:BYTE_0
	s_waitcnt vmcnt(0)
	global_store_short v[4:5], v0, off
.LBB281_1056:
	s_mov_b64 s[6:7], 0
.LBB281_1057:
	s_andn2_b64 vcc, exec, s[6:7]
	s_cbranch_vccnz .LBB281_1073
; %bb.1058:
	s_sext_i32_i16 s8, s16
	s_cmp_lt_i32 s8, 2
	s_mov_b64 s[6:7], -1
	s_cbranch_scc1 .LBB281_1068
; %bb.1059:
	s_cmp_lt_i32 s8, 3
	s_cbranch_scc1 .LBB281_1065
; %bb.1060:
	s_cmp_gt_i32 s8, 3
	s_cbranch_scc0 .LBB281_1062
; %bb.1061:
	v_and_b32_e32 v0, 0xff, v2
	v_mov_b32_e32 v1, 0
	s_mov_b64 s[6:7], 0
	s_waitcnt vmcnt(0)
	global_store_dwordx2 v[4:5], v[0:1], off
.LBB281_1062:
	s_andn2_b64 vcc, exec, s[6:7]
	s_cbranch_vccnz .LBB281_1064
; %bb.1063:
	v_and_b32_e32 v0, 0xff, v2
	s_waitcnt vmcnt(0)
	global_store_dword v[4:5], v0, off
.LBB281_1064:
	s_mov_b64 s[6:7], 0
.LBB281_1065:
	s_andn2_b64 vcc, exec, s[6:7]
	s_cbranch_vccnz .LBB281_1067
; %bb.1066:
	v_and_b32_e32 v0, 0xff, v2
	s_waitcnt vmcnt(0)
	global_store_short v[4:5], v0, off
.LBB281_1067:
	s_mov_b64 s[6:7], 0
.LBB281_1068:
	s_andn2_b64 vcc, exec, s[6:7]
	s_cbranch_vccnz .LBB281_1073
; %bb.1069:
	s_sext_i32_i16 s6, s16
	s_cmp_gt_i32 s6, 0
	s_mov_b64 s[6:7], -1
	s_cbranch_scc0 .LBB281_1071
; %bb.1070:
	s_mov_b64 s[6:7], 0
	s_waitcnt vmcnt(0)
	global_store_byte v[4:5], v2, off
.LBB281_1071:
	s_andn2_b64 vcc, exec, s[6:7]
	s_cbranch_vccnz .LBB281_1073
; %bb.1072:
	s_waitcnt vmcnt(0)
	global_store_byte v[4:5], v2, off
.LBB281_1073:
	s_or_b64 exec, exec, s[2:3]
	s_and_b64 s[24:25], s[4:5], exec
                                        ; implicit-def: $vgpr16
                                        ; implicit-def: $vgpr12
.LBB281_1074:
	s_or_saveexec_b64 s[26:27], s[44:45]
	s_mov_b64 s[6:7], 0
                                        ; implicit-def: $vgpr0_vgpr1
                                        ; implicit-def: $sgpr14
                                        ; implicit-def: $vgpr2
	s_xor_b64 exec, exec, s[26:27]
	s_cbranch_execz .LBB281_2061
; %bb.1075:
	v_cndmask_b32_e64 v0, 0, 1, s[42:43]
	v_cmp_ne_u32_e64 s[2:3], 1, v0
	s_andn2_b64 vcc, exec, s[42:43]
	s_cbranch_vccnz .LBB281_1081
; %bb.1076:
	s_cmp_lg_u32 s33, 0
	s_mov_b32 s36, 0
	s_cbranch_scc0 .LBB281_1082
; %bb.1077:
	s_min_u32 s37, s72, 15
	s_add_i32 s37, s37, 1
	s_cmp_eq_u32 s72, 2
	s_cbranch_scc1 .LBB281_1083
; %bb.1078:
	s_and_b32 s36, s37, 28
	s_add_u32 s28, s34, 0xc4
	s_addc_u32 s29, s35, 0
	s_mov_b32 s38, 0
	s_waitcnt vmcnt(0)
	v_mov_b32_e32 v6, 0
	v_mov_b32_e32 v8, 0
	s_mov_b64 s[30:31], s[34:35]
	v_mov_b32_e32 v0, v12
.LBB281_1079:                           ; =>This Inner Loop Header: Depth=1
	s_load_dwordx8 s[12:19], s[30:31], 0x4
	s_load_dwordx4 s[20:23], s[30:31], 0x24
	s_load_dwordx8 s[4:11], s[28:29], 0x0
	s_add_u32 s30, s30, 48
	s_addc_u32 s31, s31, 0
	s_waitcnt lgkmcnt(0)
	v_mul_hi_u32 v1, s13, v0
	v_add_u32_e32 v1, v0, v1
	v_lshrrev_b32_e32 v1, s14, v1
	v_mul_lo_u32 v2, v1, s12
	v_mul_hi_u32 v3, s16, v1
	v_sub_u32_e32 v0, v0, v2
	v_add_u32_e32 v2, v1, v3
	v_lshrrev_b32_e32 v2, s17, v2
	v_mul_lo_u32 v4, v2, s15
	v_mul_hi_u32 v5, s19, v2
	v_sub_u32_e32 v1, v1, v4
	v_add_u32_e32 v4, v2, v5
	v_mul_lo_u32 v3, v0, s5
	v_mul_lo_u32 v0, v0, s4
	;; [unrolled: 1-line block ×4, first 2 shown]
	v_lshrrev_b32_e32 v4, s20, v4
	v_add3_u32 v1, v0, v6, v1
	v_add3_u32 v3, v3, v8, v5
	v_mul_lo_u32 v0, v4, s18
	v_mul_hi_u32 v5, s22, v4
	v_sub_u32_e32 v0, v2, v0
	v_add_u32_e32 v2, v4, v5
	v_mul_lo_u32 v5, v0, s8
	v_mul_lo_u32 v6, v0, s9
	v_lshrrev_b32_e32 v0, s23, v2
	s_add_i32 s38, s38, 4
	v_mul_lo_u32 v2, v0, s21
	s_add_u32 s28, s28, 32
	v_sub_u32_e32 v2, v4, v2
	s_addc_u32 s29, s29, 0
	v_mul_lo_u32 v4, v2, s10
	v_mul_lo_u32 v2, v2, s11
	s_cmp_lg_u32 s36, s38
	v_add3_u32 v8, v6, v3, v2
	v_add3_u32 v6, v5, v1, v4
	s_cbranch_scc1 .LBB281_1079
; %bb.1080:
	v_mov_b32_e32 v1, v8
	s_and_b32 s8, s37, 3
	s_cmp_eq_u32 s8, 0
	s_cbranch_scc0 .LBB281_1084
	s_branch .LBB281_1086
.LBB281_1081:
                                        ; implicit-def: $vgpr8
                                        ; implicit-def: $vgpr6
	s_branch .LBB281_1087
.LBB281_1082:
	v_mov_b32_e32 v8, 0
	s_waitcnt vmcnt(0)
	v_mov_b32_e32 v6, 0
	s_branch .LBB281_1086
.LBB281_1083:
	s_waitcnt vmcnt(0)
	v_mov_b32_e32 v6, 0
                                        ; implicit-def: $vgpr8
	v_mov_b32_e32 v1, v6
	v_mov_b32_e32 v0, v12
	s_and_b32 s8, s37, 3
	s_cmp_eq_u32 s8, 0
	s_cbranch_scc1 .LBB281_1086
.LBB281_1084:
	s_lshl_b32 s4, s36, 3
	s_add_u32 s4, s34, s4
	s_addc_u32 s5, s35, 0
	s_add_u32 s4, s4, 0xc4
	s_addc_u32 s5, s5, 0
	s_mul_i32 s6, s36, 12
	s_add_u32 s6, s34, s6
	s_addc_u32 s7, s35, 0
.LBB281_1085:                           ; =>This Inner Loop Header: Depth=1
	s_load_dwordx2 s[10:11], s[6:7], 0x4
	s_load_dword s9, s[6:7], 0xc
	s_load_dwordx2 s[12:13], s[4:5], 0x0
	v_mov_b32_e32 v2, v1
	s_add_u32 s6, s6, 12
	s_waitcnt lgkmcnt(0)
	v_mul_hi_u32 v1, s11, v0
	v_add_u32_e32 v1, v0, v1
	v_lshrrev_b32_e32 v1, s9, v1
	s_addc_u32 s7, s7, 0
	v_mul_lo_u32 v3, v1, s10
	s_add_u32 s4, s4, 8
	v_sub_u32_e32 v3, v0, v3
	s_addc_u32 s5, s5, 0
	s_add_i32 s8, s8, -1
	v_mad_u64_u32 v[8:9], s[10:11], v3, s13, v[2:3]
	s_cmp_lg_u32 s8, 0
	v_mov_b32_e32 v0, v1
	v_mad_u64_u32 v[6:7], s[10:11], v3, s12, v[6:7]
	v_mov_b32_e32 v1, v8
	s_cbranch_scc1 .LBB281_1085
.LBB281_1086:
	s_cbranch_execnz .LBB281_1089
.LBB281_1087:
	s_load_dwordx4 s[4:7], s[34:35], 0x4
	s_load_dwordx2 s[8:9], s[34:35], 0xc4
	s_cmp_lt_u32 s33, 2
	s_waitcnt lgkmcnt(0)
	v_mul_hi_u32 v0, s5, v12
	v_add_u32_e32 v0, v12, v0
	v_lshrrev_b32_e32 v0, s6, v0
	v_mul_lo_u32 v1, v0, s4
	v_sub_u32_e32 v1, v12, v1
	v_mul_lo_u32 v8, v1, s9
	s_waitcnt vmcnt(0)
	v_mul_lo_u32 v6, v1, s8
	s_cbranch_scc1 .LBB281_1089
; %bb.1088:
	s_load_dwordx4 s[4:7], s[34:35], 0x10
	s_load_dwordx2 s[8:9], s[34:35], 0xcc
	s_waitcnt lgkmcnt(0)
	v_mul_hi_u32 v1, s5, v0
	v_add_u32_e32 v1, v0, v1
	v_lshrrev_b32_e32 v1, s6, v1
	v_mul_lo_u32 v1, v1, s4
	v_sub_u32_e32 v0, v0, v1
	v_mad_u64_u32 v[6:7], s[4:5], v0, s8, v[6:7]
	v_mad_u64_u32 v[8:9], s[4:5], v0, s9, v[8:9]
.LBB281_1089:
	s_and_b64 vcc, exec, s[2:3]
	v_add_u32_e32 v0, 0x80, v12
	s_cbranch_vccnz .LBB281_1095
; %bb.1090:
	s_cmp_lg_u32 s33, 0
	s_mov_b32 s36, 0
	s_cbranch_scc0 .LBB281_1096
; %bb.1091:
	s_min_u32 s37, s72, 15
	s_add_i32 s37, s37, 1
	s_cmp_eq_u32 s72, 2
	s_cbranch_scc1 .LBB281_1097
; %bb.1092:
	s_and_b32 s36, s37, 28
	s_add_u32 s28, s34, 0xc4
	s_addc_u32 s29, s35, 0
	s_mov_b32 s38, 0
	s_waitcnt vmcnt(0)
	v_mov_b32_e32 v4, 0
	v_mov_b32_e32 v10, 0
	s_mov_b64 s[30:31], s[34:35]
	v_mov_b32_e32 v2, v0
.LBB281_1093:                           ; =>This Inner Loop Header: Depth=1
	s_load_dwordx8 s[12:19], s[30:31], 0x4
	s_load_dwordx4 s[20:23], s[30:31], 0x24
	s_load_dwordx8 s[4:11], s[28:29], 0x0
	s_add_u32 s30, s30, 48
	s_addc_u32 s31, s31, 0
	s_waitcnt lgkmcnt(0)
	v_mul_hi_u32 v1, s13, v2
	v_add_u32_e32 v1, v2, v1
	v_lshrrev_b32_e32 v1, s14, v1
	v_mul_lo_u32 v3, v1, s12
	v_mul_hi_u32 v5, s16, v1
	v_sub_u32_e32 v2, v2, v3
	v_add_u32_e32 v3, v1, v5
	v_lshrrev_b32_e32 v3, s17, v3
	v_mul_lo_u32 v7, v3, s15
	v_mul_hi_u32 v9, s19, v3
	v_sub_u32_e32 v1, v1, v7
	v_add_u32_e32 v7, v3, v9
	v_mul_lo_u32 v5, v2, s5
	v_mul_lo_u32 v2, v2, s4
	;; [unrolled: 1-line block ×4, first 2 shown]
	v_lshrrev_b32_e32 v7, s20, v7
	v_add3_u32 v1, v2, v4, v1
	v_add3_u32 v4, v5, v10, v9
	v_mul_lo_u32 v2, v7, s18
	v_mul_hi_u32 v5, s22, v7
	v_sub_u32_e32 v2, v3, v2
	v_add_u32_e32 v3, v7, v5
	v_mul_lo_u32 v5, v2, s8
	v_mul_lo_u32 v9, v2, s9
	v_lshrrev_b32_e32 v2, s23, v3
	s_add_i32 s38, s38, 4
	v_mul_lo_u32 v3, v2, s21
	s_add_u32 s28, s28, 32
	v_sub_u32_e32 v3, v7, v3
	s_addc_u32 s29, s29, 0
	v_mul_lo_u32 v7, v3, s10
	v_mul_lo_u32 v3, v3, s11
	s_cmp_lg_u32 s36, s38
	v_add3_u32 v10, v9, v4, v3
	v_add3_u32 v4, v5, v1, v7
	s_cbranch_scc1 .LBB281_1093
; %bb.1094:
	v_mov_b32_e32 v1, v10
	s_and_b32 s8, s37, 3
	s_cmp_eq_u32 s8, 0
	s_cbranch_scc0 .LBB281_1098
	s_branch .LBB281_1100
.LBB281_1095:
                                        ; implicit-def: $vgpr10
                                        ; implicit-def: $vgpr4
	s_branch .LBB281_1101
.LBB281_1096:
	v_mov_b32_e32 v10, 0
	s_waitcnt vmcnt(0)
	v_mov_b32_e32 v4, 0
	s_branch .LBB281_1100
.LBB281_1097:
	s_waitcnt vmcnt(0)
	v_mov_b32_e32 v4, 0
                                        ; implicit-def: $vgpr10
	v_mov_b32_e32 v1, v4
	v_mov_b32_e32 v2, v0
	s_and_b32 s8, s37, 3
	s_cmp_eq_u32 s8, 0
	s_cbranch_scc1 .LBB281_1100
.LBB281_1098:
	s_lshl_b32 s4, s36, 3
	s_add_u32 s4, s34, s4
	s_addc_u32 s5, s35, 0
	s_add_u32 s4, s4, 0xc4
	s_addc_u32 s5, s5, 0
	s_mul_i32 s6, s36, 12
	s_add_u32 s6, s34, s6
	s_addc_u32 s7, s35, 0
.LBB281_1099:                           ; =>This Inner Loop Header: Depth=1
	s_load_dwordx2 s[10:11], s[6:7], 0x4
	s_load_dword s9, s[6:7], 0xc
	s_load_dwordx2 s[12:13], s[4:5], 0x0
	v_mov_b32_e32 v10, v1
	s_add_u32 s6, s6, 12
	s_waitcnt lgkmcnt(0)
	v_mul_hi_u32 v1, s11, v2
	v_add_u32_e32 v1, v2, v1
	v_lshrrev_b32_e32 v1, s9, v1
	s_addc_u32 s7, s7, 0
	v_mul_lo_u32 v3, v1, s10
	s_add_u32 s4, s4, 8
	v_sub_u32_e32 v3, v2, v3
	s_addc_u32 s5, s5, 0
	s_add_i32 s8, s8, -1
	v_mad_u64_u32 v[10:11], s[10:11], v3, s13, v[10:11]
	s_cmp_lg_u32 s8, 0
	v_mov_b32_e32 v2, v1
	v_mad_u64_u32 v[4:5], s[10:11], v3, s12, v[4:5]
	v_mov_b32_e32 v1, v10
	s_cbranch_scc1 .LBB281_1099
.LBB281_1100:
	s_cbranch_execnz .LBB281_1103
.LBB281_1101:
	s_load_dwordx4 s[4:7], s[34:35], 0x4
	s_load_dwordx2 s[8:9], s[34:35], 0xc4
	s_cmp_lt_u32 s33, 2
	s_waitcnt lgkmcnt(0)
	v_mul_hi_u32 v1, s5, v0
	v_add_u32_e32 v1, v0, v1
	v_lshrrev_b32_e32 v1, s6, v1
	v_mul_lo_u32 v2, v1, s4
	v_sub_u32_e32 v0, v0, v2
	v_mul_lo_u32 v10, v0, s9
	s_waitcnt vmcnt(0)
	v_mul_lo_u32 v4, v0, s8
	s_cbranch_scc1 .LBB281_1103
; %bb.1102:
	s_load_dwordx4 s[4:7], s[34:35], 0x10
	s_load_dwordx2 s[8:9], s[34:35], 0xcc
	s_waitcnt lgkmcnt(0)
	v_mul_hi_u32 v0, s5, v1
	v_add_u32_e32 v0, v1, v0
	v_lshrrev_b32_e32 v0, s6, v0
	v_mul_lo_u32 v0, v0, s4
	v_sub_u32_e32 v0, v1, v0
	v_mad_u64_u32 v[4:5], s[4:5], v0, s8, v[4:5]
	v_mad_u64_u32 v[10:11], s[4:5], v0, s9, v[10:11]
.LBB281_1103:
	s_and_b64 vcc, exec, s[2:3]
	v_add_u32_e32 v0, 0x100, v12
	s_cbranch_vccnz .LBB281_1109
; %bb.1104:
	s_cmp_lg_u32 s33, 0
	s_mov_b32 s36, 0
	s_cbranch_scc0 .LBB281_1110
; %bb.1105:
	s_min_u32 s37, s72, 15
	s_add_i32 s37, s37, 1
	s_cmp_eq_u32 s72, 2
	s_cbranch_scc1 .LBB281_1111
; %bb.1106:
	s_and_b32 s36, s37, 28
	s_add_u32 s28, s34, 0xc4
	s_addc_u32 s29, s35, 0
	s_mov_b32 s38, 0
	v_mov_b32_e32 v2, 0
	v_mov_b32_e32 v12, 0
	s_mov_b64 s[30:31], s[34:35]
	s_waitcnt vmcnt(0)
	v_mov_b32_e32 v5, v0
.LBB281_1107:                           ; =>This Inner Loop Header: Depth=1
	s_load_dwordx8 s[12:19], s[30:31], 0x4
	s_load_dwordx4 s[20:23], s[30:31], 0x24
	s_load_dwordx8 s[4:11], s[28:29], 0x0
	s_add_u32 s30, s30, 48
	s_addc_u32 s31, s31, 0
	s_waitcnt lgkmcnt(0)
	v_mul_hi_u32 v1, s13, v5
	v_add_u32_e32 v1, v5, v1
	v_lshrrev_b32_e32 v1, s14, v1
	v_mul_lo_u32 v3, v1, s12
	v_mul_hi_u32 v7, s16, v1
	v_sub_u32_e32 v3, v5, v3
	v_add_u32_e32 v5, v1, v7
	v_lshrrev_b32_e32 v5, s17, v5
	v_mul_lo_u32 v9, v5, s15
	v_mul_hi_u32 v11, s19, v5
	v_sub_u32_e32 v1, v1, v9
	v_add_u32_e32 v9, v5, v11
	v_mul_lo_u32 v7, v3, s5
	v_mul_lo_u32 v3, v3, s4
	;; [unrolled: 1-line block ×4, first 2 shown]
	v_lshrrev_b32_e32 v9, s20, v9
	v_add3_u32 v1, v3, v2, v1
	v_add3_u32 v2, v7, v12, v11
	v_mul_lo_u32 v3, v9, s18
	v_mul_hi_u32 v7, s22, v9
	v_sub_u32_e32 v3, v5, v3
	v_add_u32_e32 v5, v9, v7
	v_lshrrev_b32_e32 v5, s23, v5
	s_add_i32 s38, s38, 4
	v_mul_lo_u32 v11, v5, s21
	s_add_u32 s28, s28, 32
	v_sub_u32_e32 v9, v9, v11
	s_addc_u32 s29, s29, 0
	v_mul_lo_u32 v7, v3, s8
	v_mul_lo_u32 v3, v3, s9
	v_mul_lo_u32 v11, v9, s10
	v_mul_lo_u32 v9, v9, s11
	s_cmp_lg_u32 s36, s38
	v_add3_u32 v12, v3, v2, v9
	v_add3_u32 v2, v7, v1, v11
	s_cbranch_scc1 .LBB281_1107
; %bb.1108:
	v_mov_b32_e32 v1, v12
	s_and_b32 s8, s37, 3
	s_cmp_eq_u32 s8, 0
	s_cbranch_scc0 .LBB281_1112
	s_branch .LBB281_1114
.LBB281_1109:
                                        ; implicit-def: $vgpr12
                                        ; implicit-def: $vgpr2
	s_branch .LBB281_1115
.LBB281_1110:
	v_mov_b32_e32 v12, 0
	v_mov_b32_e32 v2, 0
	s_branch .LBB281_1114
.LBB281_1111:
	v_mov_b32_e32 v2, 0
                                        ; implicit-def: $vgpr12
	v_mov_b32_e32 v1, v2
	s_waitcnt vmcnt(0)
	v_mov_b32_e32 v5, v0
	s_and_b32 s8, s37, 3
	s_cmp_eq_u32 s8, 0
	s_cbranch_scc1 .LBB281_1114
.LBB281_1112:
	s_lshl_b32 s4, s36, 3
	s_add_u32 s4, s34, s4
	s_addc_u32 s5, s35, 0
	s_add_u32 s4, s4, 0xc4
	s_addc_u32 s5, s5, 0
	s_mul_i32 s6, s36, 12
	s_add_u32 s6, s34, s6
	s_addc_u32 s7, s35, 0
.LBB281_1113:                           ; =>This Inner Loop Header: Depth=1
	s_load_dwordx2 s[10:11], s[6:7], 0x4
	s_load_dword s9, s[6:7], 0xc
	s_load_dwordx2 s[12:13], s[4:5], 0x0
	v_mov_b32_e32 v12, v1
	s_add_u32 s6, s6, 12
	s_waitcnt lgkmcnt(0)
	v_mul_hi_u32 v1, s11, v5
	v_add_u32_e32 v1, v5, v1
	v_lshrrev_b32_e32 v1, s9, v1
	s_addc_u32 s7, s7, 0
	v_mul_lo_u32 v3, v1, s10
	s_add_u32 s4, s4, 8
	v_sub_u32_e32 v3, v5, v3
	s_addc_u32 s5, s5, 0
	s_add_i32 s8, s8, -1
	v_mad_u64_u32 v[12:13], s[10:11], v3, s13, v[12:13]
	s_cmp_lg_u32 s8, 0
	v_mov_b32_e32 v5, v1
	v_mad_u64_u32 v[2:3], s[10:11], v3, s12, v[2:3]
	v_mov_b32_e32 v1, v12
	s_cbranch_scc1 .LBB281_1113
.LBB281_1114:
	s_cbranch_execnz .LBB281_1117
.LBB281_1115:
	s_load_dwordx4 s[4:7], s[34:35], 0x4
	s_load_dwordx2 s[8:9], s[34:35], 0xc4
	s_cmp_lt_u32 s33, 2
	s_waitcnt lgkmcnt(0)
	v_mul_hi_u32 v1, s5, v0
	v_add_u32_e32 v1, v0, v1
	v_lshrrev_b32_e32 v1, s6, v1
	v_mul_lo_u32 v2, v1, s4
	v_sub_u32_e32 v0, v0, v2
	v_mul_lo_u32 v12, v0, s9
	v_mul_lo_u32 v2, v0, s8
	s_cbranch_scc1 .LBB281_1117
; %bb.1116:
	s_load_dwordx4 s[4:7], s[34:35], 0x10
	s_load_dwordx2 s[8:9], s[34:35], 0xcc
	s_waitcnt lgkmcnt(0)
	v_mul_hi_u32 v0, s5, v1
	v_add_u32_e32 v0, v1, v0
	v_lshrrev_b32_e32 v0, s6, v0
	v_mul_lo_u32 v0, v0, s4
	v_sub_u32_e32 v0, v1, v0
	v_mad_u64_u32 v[2:3], s[4:5], v0, s8, v[2:3]
	v_mad_u64_u32 v[12:13], s[4:5], v0, s9, v[12:13]
.LBB281_1117:
	s_and_b64 vcc, exec, s[2:3]
	s_cbranch_vccnz .LBB281_1123
; %bb.1118:
	s_cmp_lg_u32 s33, 0
	s_mov_b32 s30, 0
	s_cbranch_scc0 .LBB281_1124
; %bb.1119:
	s_min_u32 s31, s72, 15
	s_add_i32 s31, s31, 1
	s_cmp_eq_u32 s72, 2
	s_cbranch_scc1 .LBB281_1125
; %bb.1120:
	s_and_b32 s30, s31, 28
	s_add_u32 s2, s34, 0xc4
	s_addc_u32 s3, s35, 0
	s_mov_b32 s36, 0
	v_mov_b32_e32 v0, 0
	v_mov_b32_e32 v14, 0
	s_mov_b64 s[28:29], s[34:35]
	v_mov_b32_e32 v3, v16
.LBB281_1121:                           ; =>This Inner Loop Header: Depth=1
	s_load_dwordx8 s[12:19], s[28:29], 0x4
	s_load_dwordx4 s[20:23], s[28:29], 0x24
	s_load_dwordx8 s[4:11], s[2:3], 0x0
	s_add_u32 s28, s28, 48
	s_addc_u32 s29, s29, 0
	s_waitcnt lgkmcnt(0)
	v_mul_hi_u32 v1, s13, v3
	v_add_u32_e32 v1, v3, v1
	v_lshrrev_b32_e32 v1, s14, v1
	s_waitcnt vmcnt(0)
	v_mul_lo_u32 v5, v1, s12
	v_mul_hi_u32 v7, s16, v1
	v_sub_u32_e32 v3, v3, v5
	v_add_u32_e32 v5, v1, v7
	v_lshrrev_b32_e32 v5, s17, v5
	v_mul_lo_u32 v9, v5, s15
	v_mul_hi_u32 v11, s19, v5
	v_sub_u32_e32 v1, v1, v9
	v_add_u32_e32 v9, v5, v11
	v_mul_lo_u32 v7, v3, s5
	v_mul_lo_u32 v3, v3, s4
	;; [unrolled: 1-line block ×4, first 2 shown]
	v_lshrrev_b32_e32 v9, s20, v9
	v_add3_u32 v0, v3, v0, v1
	v_add3_u32 v1, v7, v14, v11
	v_mul_lo_u32 v3, v9, s18
	v_mul_hi_u32 v7, s22, v9
	v_sub_u32_e32 v3, v5, v3
	v_add_u32_e32 v5, v9, v7
	v_mul_lo_u32 v7, v3, s8
	v_mul_lo_u32 v11, v3, s9
	v_lshrrev_b32_e32 v3, s23, v5
	s_add_i32 s36, s36, 4
	v_mul_lo_u32 v5, v3, s21
	s_add_u32 s2, s2, 32
	v_sub_u32_e32 v5, v9, v5
	s_addc_u32 s3, s3, 0
	v_mul_lo_u32 v9, v5, s10
	v_mul_lo_u32 v5, v5, s11
	s_cmp_lg_u32 s30, s36
	v_add3_u32 v14, v11, v1, v5
	v_add3_u32 v0, v7, v0, v9
	s_cbranch_scc1 .LBB281_1121
; %bb.1122:
	v_mov_b32_e32 v1, v14
	s_and_b32 s6, s31, 3
	s_cmp_eq_u32 s6, 0
	s_cbranch_scc0 .LBB281_1126
	s_branch .LBB281_1128
.LBB281_1123:
                                        ; implicit-def: $vgpr14
                                        ; implicit-def: $vgpr0
	s_branch .LBB281_1129
.LBB281_1124:
	v_mov_b32_e32 v14, 0
	v_mov_b32_e32 v0, 0
	s_branch .LBB281_1128
.LBB281_1125:
	v_mov_b32_e32 v0, 0
                                        ; implicit-def: $vgpr14
	v_mov_b32_e32 v1, v0
	v_mov_b32_e32 v3, v16
	s_and_b32 s6, s31, 3
	s_cmp_eq_u32 s6, 0
	s_cbranch_scc1 .LBB281_1128
.LBB281_1126:
	s_lshl_b32 s2, s30, 3
	s_add_u32 s2, s34, s2
	s_addc_u32 s3, s35, 0
	s_add_u32 s2, s2, 0xc4
	s_addc_u32 s3, s3, 0
	s_mul_i32 s4, s30, 12
	s_add_u32 s4, s34, s4
	s_addc_u32 s5, s35, 0
.LBB281_1127:                           ; =>This Inner Loop Header: Depth=1
	s_load_dwordx2 s[8:9], s[4:5], 0x4
	s_load_dword s7, s[4:5], 0xc
	s_load_dwordx2 s[10:11], s[2:3], 0x0
	v_mov_b32_e32 v14, v1
	s_add_u32 s4, s4, 12
	s_waitcnt lgkmcnt(0)
	v_mul_hi_u32 v1, s9, v3
	v_add_u32_e32 v1, v3, v1
	v_lshrrev_b32_e32 v1, s7, v1
	s_addc_u32 s5, s5, 0
	s_waitcnt vmcnt(0)
	v_mul_lo_u32 v5, v1, s8
	s_add_u32 s2, s2, 8
	v_sub_u32_e32 v5, v3, v5
	s_addc_u32 s3, s3, 0
	s_add_i32 s6, s6, -1
	v_mov_b32_e32 v3, v1
	v_mad_u64_u32 v[14:15], s[8:9], v5, s11, v[14:15]
	v_mad_u64_u32 v[0:1], s[8:9], v5, s10, v[0:1]
	s_cmp_lg_u32 s6, 0
	v_mov_b32_e32 v1, v14
	s_cbranch_scc1 .LBB281_1127
.LBB281_1128:
	s_cbranch_execnz .LBB281_1131
.LBB281_1129:
	s_load_dwordx4 s[4:7], s[34:35], 0x4
	s_load_dwordx2 s[2:3], s[34:35], 0xc4
	s_cmp_lt_u32 s33, 2
	s_waitcnt lgkmcnt(0)
	v_mul_hi_u32 v0, s5, v16
	v_add_u32_e32 v0, v16, v0
	v_lshrrev_b32_e32 v1, s6, v0
	v_mul_lo_u32 v0, v1, s4
	v_sub_u32_e32 v0, v16, v0
	v_mul_lo_u32 v14, v0, s3
	v_mul_lo_u32 v0, v0, s2
	s_cbranch_scc1 .LBB281_1131
; %bb.1130:
	s_load_dwordx4 s[4:7], s[34:35], 0x10
	s_load_dwordx2 s[2:3], s[34:35], 0xcc
	s_waitcnt lgkmcnt(0)
	v_mul_hi_u32 v3, s5, v1
	v_add_u32_e32 v3, v1, v3
	v_lshrrev_b32_e32 v3, s6, v3
	v_mul_lo_u32 v3, v3, s4
	v_sub_u32_e32 v3, v1, v3
	v_mad_u64_u32 v[0:1], s[4:5], v3, s2, v[0:1]
	v_mad_u64_u32 v[14:15], s[2:3], v3, s3, v[14:15]
.LBB281_1131:
	s_load_dword s14, s[0:1], 0x160
	s_load_dwordx4 s[4:7], s[34:35], 0x148
	v_mov_b32_e32 v9, 0
	s_waitcnt lgkmcnt(0)
	s_lshr_b32 s12, s14, 24
	s_cmp_lt_i32 s12, 11
	v_lshl_add_u64 v[16:17], s[6:7], 0, v[8:9]
	s_cbranch_scc1 .LBB281_1138
; %bb.1132:
	s_and_b32 s13, 0xffff, s12
	s_cmp_gt_i32 s13, 25
	s_mov_b64 s[8:9], 0
	s_cbranch_scc0 .LBB281_1140
; %bb.1133:
	s_cmp_gt_i32 s13, 28
	s_cbranch_scc0 .LBB281_1141
; %bb.1134:
	s_cmp_gt_i32 s13, 43
	;; [unrolled: 3-line block ×3, first 2 shown]
	s_cbranch_scc0 .LBB281_1143
; %bb.1136:
	s_cmp_eq_u32 s13, 46
	s_mov_b64 s[2:3], 0
	s_cbranch_scc0 .LBB281_1146
; %bb.1137:
	global_load_dword v1, v[16:17], off
	s_mov_b32 s0, 0x2f800000
	s_mov_b32 s1, 0xcf800000
	s_mov_b64 s[10:11], -1
	s_waitcnt vmcnt(0)
	v_lshlrev_b32_e32 v1, 16, v1
	v_trunc_f32_e32 v1, v1
	v_mul_f32_e64 v3, |v1|, s0
	v_floor_f32_e32 v3, v3
	v_fma_f32 v3, v3, s1, |v1|
	v_cvt_u32_f32_e32 v3, v3
	v_ashrrev_i32_e32 v1, 31, v1
	s_mov_b64 s[0:1], 0
	v_xor_b32_e32 v3, v3, v1
	v_sub_u32_e32 v8, v3, v1
	s_branch .LBB281_1147
.LBB281_1138:
	s_mov_b64 s[10:11], 0
                                        ; implicit-def: $vgpr8
	s_mov_b64 s[2:3], s[24:25]
	s_cbranch_execnz .LBB281_1205
.LBB281_1139:
	s_andn2_b64 vcc, exec, s[10:11]
	s_cbranch_vccz .LBB281_1250
	s_branch .LBB281_2059
.LBB281_1140:
	s_mov_b64 s[10:11], 0
	s_mov_b64 s[0:1], 0
                                        ; implicit-def: $vgpr8
	s_cbranch_execnz .LBB281_1172
	s_branch .LBB281_1201
.LBB281_1141:
	s_mov_b64 s[10:11], 0
	s_mov_b64 s[0:1], 0
                                        ; implicit-def: $vgpr8
	s_cbranch_execz .LBB281_1171
	s_branch .LBB281_1156
.LBB281_1142:
	s_mov_b64 s[10:11], 0
	s_mov_b64 s[0:1], 0
                                        ; implicit-def: $vgpr8
	s_cbranch_execnz .LBB281_1152
	s_branch .LBB281_1155
.LBB281_1143:
	s_mov_b64 s[2:3], -1
	s_mov_b64 s[10:11], 0
	s_mov_b64 s[0:1], 0
                                        ; implicit-def: $vgpr8
	s_branch .LBB281_1147
.LBB281_1144:
	s_andn2_saveexec_b64 s[12:13], s[12:13]
	s_cbranch_execz .LBB281_983
.LBB281_1145:
	v_add_f32_e32 v0, 0x46000000, v1
	v_and_b32_e32 v0, 0xff, v0
	v_cmp_ne_u32_e32 vcc, 0, v0
	s_andn2_b64 s[10:11], s[10:11], exec
	s_and_b64 s[14:15], vcc, exec
	s_or_b64 s[10:11], s[10:11], s[14:15]
	s_or_b64 exec, exec, s[12:13]
	v_mov_b32_e32 v3, 0
	s_and_saveexec_b64 s[12:13], s[10:11]
	s_cbranch_execnz .LBB281_984
	s_branch .LBB281_985
.LBB281_1146:
	s_mov_b64 s[0:1], -1
                                        ; implicit-def: $vgpr8
	s_mov_b64 s[10:11], 0
.LBB281_1147:
	s_and_b64 vcc, exec, s[2:3]
	s_cbranch_vccz .LBB281_1150
; %bb.1148:
	s_cmp_eq_u32 s13, 44
	s_cbranch_scc0 .LBB281_1151
; %bb.1149:
	global_load_ubyte v1, v[16:17], off
	s_mov_b32 s0, 0x2f800000
	s_mov_b32 s1, 0xcf800000
	s_mov_b64 s[10:11], -1
	s_waitcnt vmcnt(0)
	v_lshlrev_b32_e32 v3, 23, v1
	v_trunc_f32_e32 v3, v3
	v_mul_f32_e64 v5, |v3|, s0
	v_floor_f32_e32 v5, v5
	v_fma_f32 v5, v5, s1, |v3|
	v_cvt_u32_f32_e32 v5, v5
	v_ashrrev_i32_e32 v3, 31, v3
	v_cmp_ne_u32_e32 vcc, 0, v1
	s_mov_b64 s[0:1], 0
	v_xor_b32_e32 v5, v5, v3
	v_sub_u32_e32 v3, v5, v3
	v_cndmask_b32_e32 v8, 0, v3, vcc
.LBB281_1150:
	s_branch .LBB281_1155
.LBB281_1151:
	s_mov_b64 s[0:1], -1
                                        ; implicit-def: $vgpr8
	s_branch .LBB281_1155
.LBB281_1152:
	s_cmp_eq_u32 s13, 29
	s_cbranch_scc0 .LBB281_1154
; %bb.1153:
	global_load_dwordx2 v[8:9], v[16:17], off
	s_mov_b64 s[0:1], 0
	s_mov_b64 s[10:11], -1
	s_branch .LBB281_1155
.LBB281_1154:
	s_mov_b64 s[0:1], -1
                                        ; implicit-def: $vgpr8
.LBB281_1155:
	s_branch .LBB281_1171
.LBB281_1156:
	s_cmp_lt_i32 s13, 27
	s_cbranch_scc1 .LBB281_1159
; %bb.1157:
	s_cmp_gt_i32 s13, 27
	s_cbranch_scc0 .LBB281_1160
; %bb.1158:
	global_load_dword v8, v[16:17], off
	s_mov_b64 s[2:3], 0
	s_branch .LBB281_1161
.LBB281_1159:
	s_mov_b64 s[2:3], -1
                                        ; implicit-def: $vgpr8
	s_branch .LBB281_1164
.LBB281_1160:
	s_mov_b64 s[2:3], -1
                                        ; implicit-def: $vgpr8
.LBB281_1161:
	s_andn2_b64 vcc, exec, s[2:3]
	s_cbranch_vccnz .LBB281_1163
; %bb.1162:
	global_load_ushort v8, v[16:17], off
.LBB281_1163:
	s_mov_b64 s[2:3], 0
.LBB281_1164:
	s_andn2_b64 vcc, exec, s[2:3]
	s_cbranch_vccnz .LBB281_1170
; %bb.1165:
	global_load_ubyte v1, v[16:17], off
	s_movk_i32 s2, 0x7f
	s_mov_b64 s[10:11], 0
	s_waitcnt vmcnt(0)
	v_cmp_lt_i16_e32 vcc, s2, v1
	s_and_saveexec_b64 s[2:3], vcc
	s_xor_b64 s[2:3], exec, s[2:3]
	s_cbranch_execz .LBB281_1181
; %bb.1166:
	s_movk_i32 s10, 0x80
	v_cmp_ne_u16_e32 vcc, s10, v1
	s_and_b64 s[10:11], vcc, exec
	s_andn2_saveexec_b64 s[2:3], s[2:3]
	s_cbranch_execnz .LBB281_1182
.LBB281_1167:
	s_or_b64 exec, exec, s[2:3]
	v_mov_b32_e32 v8, 0
	s_and_saveexec_b64 s[2:3], s[10:11]
	s_cbranch_execz .LBB281_1169
.LBB281_1168:
	v_lshlrev_b32_e32 v3, 24, v1
	v_and_b32_e32 v1, 0xffff, v1
	v_and_b32_e32 v5, 7, v1
	v_ffbh_u32_e32 v8, v5
	v_min_u32_e32 v8, 32, v8
	v_subrev_u32_e32 v9, 28, v8
	v_bfe_u32 v7, v1, 3, 4
	v_lshlrev_b32_e32 v1, v9, v1
	v_sub_u32_e32 v8, 29, v8
	v_and_b32_e32 v1, 7, v1
	v_cmp_eq_u32_e32 vcc, 0, v7
	v_and_b32_e32 v3, 0x80000000, v3
	s_mov_b32 s10, 0x2f800000
	v_cndmask_b32_e32 v7, v7, v8, vcc
	v_cndmask_b32_e32 v1, v5, v1, vcc
	v_mov_b32_e32 v5, 0x3b800000
	v_lshlrev_b32_e32 v1, 20, v1
	v_lshl_add_u32 v5, v7, 23, v5
	v_or3_b32 v1, v3, v5, v1
	v_trunc_f32_e32 v1, v1
	v_mul_f32_e64 v3, |v1|, s10
	v_floor_f32_e32 v3, v3
	s_mov_b32 s10, 0xcf800000
	v_fma_f32 v3, v3, s10, |v1|
	v_cvt_u32_f32_e32 v3, v3
	v_ashrrev_i32_e32 v1, 31, v1
	v_xor_b32_e32 v3, v3, v1
	v_sub_u32_e32 v8, v3, v1
.LBB281_1169:
	s_or_b64 exec, exec, s[2:3]
.LBB281_1170:
	s_mov_b64 s[10:11], -1
.LBB281_1171:
	s_branch .LBB281_1201
.LBB281_1172:
	s_cmp_gt_i32 s13, 22
	s_cbranch_scc0 .LBB281_1180
; %bb.1173:
	s_cmp_lt_i32 s13, 24
	s_cbranch_scc1 .LBB281_1183
; %bb.1174:
	s_cmp_gt_i32 s13, 24
	s_cbranch_scc0 .LBB281_1184
; %bb.1175:
	global_load_ubyte v1, v[16:17], off
	s_movk_i32 s2, 0x7f
	s_waitcnt vmcnt(0)
	v_cmp_lt_i16_e32 vcc, s2, v1
	s_and_saveexec_b64 s[2:3], vcc
	s_xor_b64 s[2:3], exec, s[2:3]
	s_cbranch_execz .LBB281_1195
; %bb.1176:
	s_movk_i32 s8, 0x80
	v_cmp_ne_u16_e32 vcc, s8, v1
	s_and_b64 s[8:9], vcc, exec
	s_andn2_saveexec_b64 s[2:3], s[2:3]
	s_cbranch_execnz .LBB281_1196
.LBB281_1177:
	s_or_b64 exec, exec, s[2:3]
	v_mov_b32_e32 v8, 0
	s_and_saveexec_b64 s[2:3], s[8:9]
	s_cbranch_execz .LBB281_1179
.LBB281_1178:
	v_lshlrev_b32_e32 v3, 24, v1
	v_and_b32_e32 v1, 0xffff, v1
	v_and_b32_e32 v5, 3, v1
	v_ffbh_u32_e32 v8, v5
	v_min_u32_e32 v8, 32, v8
	v_subrev_u32_e32 v9, 29, v8
	v_bfe_u32 v7, v1, 2, 5
	v_lshlrev_b32_e32 v1, v9, v1
	v_sub_u32_e32 v8, 30, v8
	v_and_b32_e32 v1, 3, v1
	v_cmp_eq_u32_e32 vcc, 0, v7
	v_and_b32_e32 v3, 0x80000000, v3
	s_mov_b32 s8, 0x2f800000
	v_cndmask_b32_e32 v7, v7, v8, vcc
	v_cndmask_b32_e32 v1, v5, v1, vcc
	v_mov_b32_e32 v5, 0x37800000
	v_lshlrev_b32_e32 v1, 21, v1
	v_lshl_add_u32 v5, v7, 23, v5
	v_or3_b32 v1, v3, v5, v1
	v_trunc_f32_e32 v1, v1
	v_mul_f32_e64 v3, |v1|, s8
	v_floor_f32_e32 v3, v3
	s_mov_b32 s8, 0xcf800000
	v_fma_f32 v3, v3, s8, |v1|
	v_cvt_u32_f32_e32 v3, v3
	v_ashrrev_i32_e32 v1, 31, v1
	v_xor_b32_e32 v3, v3, v1
	v_sub_u32_e32 v8, v3, v1
.LBB281_1179:
	s_or_b64 exec, exec, s[2:3]
	s_mov_b64 s[2:3], 0
	s_branch .LBB281_1185
.LBB281_1180:
                                        ; implicit-def: $vgpr8
	s_mov_b64 s[8:9], 0
	s_branch .LBB281_1191
.LBB281_1181:
	s_andn2_saveexec_b64 s[2:3], s[2:3]
	s_cbranch_execz .LBB281_1167
.LBB281_1182:
	v_cmp_ne_u16_e32 vcc, 0, v1
	s_andn2_b64 s[10:11], s[10:11], exec
	s_and_b64 s[16:17], vcc, exec
	s_or_b64 s[10:11], s[10:11], s[16:17]
	s_or_b64 exec, exec, s[2:3]
	v_mov_b32_e32 v8, 0
	s_and_saveexec_b64 s[2:3], s[10:11]
	s_cbranch_execnz .LBB281_1168
	s_branch .LBB281_1169
.LBB281_1183:
	s_mov_b64 s[2:3], -1
                                        ; implicit-def: $vgpr8
	s_branch .LBB281_1188
.LBB281_1184:
	s_mov_b64 s[2:3], -1
                                        ; implicit-def: $vgpr8
.LBB281_1185:
	s_and_b64 vcc, exec, s[2:3]
	s_cbranch_vccz .LBB281_1187
; %bb.1186:
	global_load_ubyte v1, v[16:17], off
	s_mov_b32 s2, 0x7f800000
	s_brev_b32 s3, 1
	s_mov_b32 s8, 0x2f800000
	s_waitcnt vmcnt(0)
	v_lshlrev_b32_e32 v1, 24, v1
	v_and_b32_e32 v3, 0x7f000000, v1
	v_ffbh_u32_e32 v5, v3
	v_min_u32_e32 v5, 32, v5
	v_sub_u32_e64 v5, v5, 4 clamp
	v_lshlrev_b32_e32 v8, v5, v3
	v_lshlrev_b32_e32 v5, 23, v5
	v_lshrrev_b32_e32 v8, 4, v8
	v_add_u32_e32 v7, 0x1000000, v3
	v_sub_u32_e32 v5, v8, v5
	v_ashrrev_i32_e32 v7, 8, v7
	v_add_u32_e32 v5, 0x3c000000, v5
	v_and_or_b32 v5, v7, s2, v5
	v_cmp_ne_u32_e32 vcc, 0, v3
	s_mov_b32 s2, 0xcf800000
	s_nop 0
	v_cndmask_b32_e32 v3, 0, v5, vcc
	v_and_or_b32 v1, v1, s3, v3
	v_trunc_f32_e32 v1, v1
	v_mul_f32_e64 v3, |v1|, s8
	v_floor_f32_e32 v3, v3
	v_fma_f32 v3, v3, s2, |v1|
	v_cvt_u32_f32_e32 v3, v3
	v_ashrrev_i32_e32 v1, 31, v1
	v_xor_b32_e32 v3, v3, v1
	v_sub_u32_e32 v8, v3, v1
.LBB281_1187:
	s_mov_b64 s[2:3], 0
.LBB281_1188:
	s_andn2_b64 vcc, exec, s[2:3]
	s_cbranch_vccnz .LBB281_1190
; %bb.1189:
	global_load_ubyte v1, v[16:17], off
	s_movk_i32 s2, 0x7f00
	s_brev_b32 s3, 16
	s_brev_b32 s8, 1
	s_mov_b32 s9, 0x2f800000
	s_waitcnt vmcnt(0)
	v_lshlrev_b16_e32 v3, 8, v1
	v_lshlrev_b32_e32 v1, 25, v1
	v_lshrrev_b32_e32 v5, 4, v1
	v_and_or_b32 v7, v3, s2, 0.5
	v_or_b32_e32 v5, 0x70000000, v5
	v_add_f32_e32 v7, -0.5, v7
	v_mul_f32_e32 v5, 0x7800000, v5
	v_cmp_gt_u32_e32 vcc, s3, v1
	v_bfe_i32 v3, v3, 0, 16
	s_mov_b32 s2, 0xcf800000
	v_cndmask_b32_e32 v1, v5, v7, vcc
	v_and_or_b32 v1, v3, s8, v1
	v_trunc_f32_e32 v1, v1
	v_mul_f32_e64 v3, |v1|, s9
	v_floor_f32_e32 v3, v3
	v_fma_f32 v3, v3, s2, |v1|
	v_cvt_u32_f32_e32 v3, v3
	v_ashrrev_i32_e32 v1, 31, v1
	v_xor_b32_e32 v3, v3, v1
	v_sub_u32_e32 v8, v3, v1
.LBB281_1190:
	s_mov_b64 s[10:11], -1
	s_mov_b64 s[8:9], 0
	s_cbranch_execnz .LBB281_1201
.LBB281_1191:
	s_cmp_gt_i32 s13, 14
	s_cbranch_scc0 .LBB281_1194
; %bb.1192:
	s_cmp_eq_u32 s13, 15
	s_cbranch_scc0 .LBB281_1197
; %bb.1193:
	global_load_ushort v1, v[16:17], off
	s_mov_b32 s0, 0x2f800000
	s_mov_b32 s1, 0xcf800000
	s_mov_b64 s[10:11], -1
	s_waitcnt vmcnt(0)
	v_lshlrev_b32_e32 v1, 16, v1
	v_trunc_f32_e32 v1, v1
	v_mul_f32_e64 v3, |v1|, s0
	v_floor_f32_e32 v3, v3
	v_fma_f32 v3, v3, s1, |v1|
	v_cvt_u32_f32_e32 v3, v3
	v_ashrrev_i32_e32 v1, 31, v1
	s_mov_b64 s[0:1], 0
	v_xor_b32_e32 v3, v3, v1
	v_sub_u32_e32 v8, v3, v1
	s_branch .LBB281_1198
.LBB281_1194:
	s_mov_b64 s[2:3], -1
                                        ; implicit-def: $vgpr8
	s_branch .LBB281_1199
.LBB281_1195:
	s_andn2_saveexec_b64 s[2:3], s[2:3]
	s_cbranch_execz .LBB281_1177
.LBB281_1196:
	v_cmp_ne_u16_e32 vcc, 0, v1
	s_andn2_b64 s[8:9], s[8:9], exec
	s_and_b64 s[10:11], vcc, exec
	s_or_b64 s[8:9], s[8:9], s[10:11]
	s_or_b64 exec, exec, s[2:3]
	v_mov_b32_e32 v8, 0
	s_and_saveexec_b64 s[2:3], s[8:9]
	s_cbranch_execnz .LBB281_1178
	s_branch .LBB281_1179
.LBB281_1197:
	s_mov_b64 s[0:1], -1
                                        ; implicit-def: $vgpr8
.LBB281_1198:
	s_mov_b64 s[2:3], 0
.LBB281_1199:
	s_and_b64 vcc, exec, s[2:3]
	s_cbranch_vccz .LBB281_1201
; %bb.1200:
	s_cmp_lg_u32 s13, 11
	s_mov_b64 s[8:9], -1
	s_cselect_b64 s[0:1], -1, 0
.LBB281_1201:
	s_and_b64 vcc, exec, s[0:1]
	s_mov_b64 s[2:3], s[24:25]
	s_cbranch_vccnz .LBB281_1262
; %bb.1202:
	s_andn2_b64 vcc, exec, s[8:9]
	s_cbranch_vccnz .LBB281_1204
.LBB281_1203:
	global_load_ubyte v1, v[16:17], off
	s_mov_b64 s[10:11], -1
	s_waitcnt vmcnt(0)
	v_cmp_ne_u16_e32 vcc, 0, v1
	s_nop 1
	v_cndmask_b32_e64 v8, 0, 1, vcc
.LBB281_1204:
	s_branch .LBB281_1139
.LBB281_1205:
	s_and_b32 s8, 0xffff, s12
	s_cmp_lt_i32 s8, 5
	s_cbranch_scc1 .LBB281_1210
; %bb.1206:
	s_cmp_lt_i32 s8, 8
	s_cbranch_scc1 .LBB281_1211
; %bb.1207:
	;; [unrolled: 3-line block ×3, first 2 shown]
	s_cmp_gt_i32 s8, 9
	s_cbranch_scc0 .LBB281_1213
; %bb.1209:
	global_load_dwordx2 v[8:9], v[16:17], off
	s_movk_i32 s0, 0xffe0
	s_waitcnt vmcnt(0)
	v_trunc_f64_e32 v[8:9], v[8:9]
	v_ldexp_f64 v[18:19], v[8:9], s0
	v_floor_f64_e32 v[18:19], v[18:19]
	v_fmac_f64_e32 v[8:9], 0xc1f00000, v[18:19]
	v_cvt_u32_f64_e32 v8, v[8:9]
	s_mov_b64 s[0:1], 0
	s_branch .LBB281_1214
.LBB281_1210:
                                        ; implicit-def: $vgpr8
	s_branch .LBB281_1231
.LBB281_1211:
                                        ; implicit-def: $vgpr8
	s_branch .LBB281_1220
.LBB281_1212:
	s_mov_b64 s[0:1], -1
                                        ; implicit-def: $vgpr8
	s_branch .LBB281_1217
.LBB281_1213:
	s_mov_b64 s[0:1], -1
                                        ; implicit-def: $vgpr8
.LBB281_1214:
	s_andn2_b64 vcc, exec, s[0:1]
	s_cbranch_vccnz .LBB281_1216
; %bb.1215:
	global_load_dword v1, v[16:17], off
	s_mov_b32 s0, 0x2f800000
	s_waitcnt vmcnt(0)
	v_trunc_f32_e32 v1, v1
	v_mul_f32_e64 v3, |v1|, s0
	v_floor_f32_e32 v3, v3
	s_mov_b32 s0, 0xcf800000
	v_fma_f32 v3, v3, s0, |v1|
	v_cvt_u32_f32_e32 v3, v3
	v_ashrrev_i32_e32 v1, 31, v1
	v_xor_b32_e32 v3, v3, v1
	v_sub_u32_e32 v8, v3, v1
.LBB281_1216:
	s_mov_b64 s[0:1], 0
.LBB281_1217:
	s_andn2_b64 vcc, exec, s[0:1]
	s_cbranch_vccnz .LBB281_1219
; %bb.1218:
	global_load_dword v1, v[16:17], off
	s_waitcnt vmcnt(0)
	v_cvt_f32_f16_e32 v1, v1
	v_cvt_i32_f32_e32 v8, v1
.LBB281_1219:
	s_cbranch_execnz .LBB281_1230
.LBB281_1220:
	s_cmp_lt_i32 s8, 6
	s_cbranch_scc1 .LBB281_1223
; %bb.1221:
	s_cmp_gt_i32 s8, 6
	s_cbranch_scc0 .LBB281_1224
; %bb.1222:
	global_load_dwordx2 v[8:9], v[16:17], off
	s_movk_i32 s0, 0xffe0
	s_waitcnt vmcnt(0)
	v_trunc_f64_e32 v[8:9], v[8:9]
	v_ldexp_f64 v[18:19], v[8:9], s0
	v_floor_f64_e32 v[18:19], v[18:19]
	v_fmac_f64_e32 v[8:9], 0xc1f00000, v[18:19]
	v_cvt_u32_f64_e32 v8, v[8:9]
	s_mov_b64 s[0:1], 0
	s_branch .LBB281_1225
.LBB281_1223:
	s_mov_b64 s[0:1], -1
                                        ; implicit-def: $vgpr8
	s_branch .LBB281_1228
.LBB281_1224:
	s_mov_b64 s[0:1], -1
                                        ; implicit-def: $vgpr8
.LBB281_1225:
	s_andn2_b64 vcc, exec, s[0:1]
	s_cbranch_vccnz .LBB281_1227
; %bb.1226:
	global_load_dword v1, v[16:17], off
	s_mov_b32 s0, 0x2f800000
	s_waitcnt vmcnt(0)
	v_trunc_f32_e32 v1, v1
	v_mul_f32_e64 v3, |v1|, s0
	v_floor_f32_e32 v3, v3
	s_mov_b32 s0, 0xcf800000
	v_fma_f32 v3, v3, s0, |v1|
	v_cvt_u32_f32_e32 v3, v3
	v_ashrrev_i32_e32 v1, 31, v1
	v_xor_b32_e32 v3, v3, v1
	v_sub_u32_e32 v8, v3, v1
.LBB281_1227:
	s_mov_b64 s[0:1], 0
.LBB281_1228:
	s_andn2_b64 vcc, exec, s[0:1]
	s_cbranch_vccnz .LBB281_1230
; %bb.1229:
	global_load_ushort v1, v[16:17], off
	s_waitcnt vmcnt(0)
	v_cvt_f32_f16_e32 v1, v1
	v_cvt_i32_f32_e32 v8, v1
.LBB281_1230:
	s_cbranch_execnz .LBB281_1249
.LBB281_1231:
	s_cmp_lt_i32 s8, 2
	s_cbranch_scc1 .LBB281_1235
; %bb.1232:
	s_cmp_lt_i32 s8, 3
	s_cbranch_scc1 .LBB281_1236
; %bb.1233:
	s_cmp_gt_i32 s8, 3
	s_cbranch_scc0 .LBB281_1237
; %bb.1234:
	global_load_dwordx2 v[8:9], v[16:17], off
	s_mov_b64 s[0:1], 0
	s_branch .LBB281_1238
.LBB281_1235:
                                        ; implicit-def: $vgpr8
	s_branch .LBB281_1244
.LBB281_1236:
	s_mov_b64 s[0:1], -1
                                        ; implicit-def: $vgpr8
	s_branch .LBB281_1241
.LBB281_1237:
	s_mov_b64 s[0:1], -1
                                        ; implicit-def: $vgpr8
.LBB281_1238:
	s_andn2_b64 vcc, exec, s[0:1]
	s_cbranch_vccnz .LBB281_1240
; %bb.1239:
	global_load_dword v8, v[16:17], off
.LBB281_1240:
	s_mov_b64 s[0:1], 0
.LBB281_1241:
	s_andn2_b64 vcc, exec, s[0:1]
	s_cbranch_vccnz .LBB281_1243
; %bb.1242:
	global_load_ushort v8, v[16:17], off
.LBB281_1243:
	s_cbranch_execnz .LBB281_1249
.LBB281_1244:
	s_cmp_gt_i32 s8, 0
	s_cbranch_scc0 .LBB281_1246
; %bb.1245:
	global_load_ubyte v8, v[16:17], off
	s_mov_b64 s[0:1], 0
	s_branch .LBB281_1247
.LBB281_1246:
	s_mov_b64 s[0:1], -1
                                        ; implicit-def: $vgpr8
.LBB281_1247:
	s_andn2_b64 vcc, exec, s[0:1]
	s_cbranch_vccnz .LBB281_1249
; %bb.1248:
	global_load_ubyte v8, v[16:17], off
.LBB281_1249:
.LBB281_1250:
	v_mov_b32_e32 v11, 0
	s_and_b32 s15, 0xffff, s12
	s_cmp_lt_i32 s15, 11
	v_lshl_add_u64 v[16:17], s[6:7], 0, v[10:11]
	s_cbranch_scc1 .LBB281_1257
; %bb.1251:
	s_cmp_gt_i32 s15, 25
	s_mov_b64 s[8:9], 0
	s_cbranch_scc0 .LBB281_1259
; %bb.1252:
	s_cmp_gt_i32 s15, 28
	s_cbranch_scc0 .LBB281_1260
; %bb.1253:
	s_cmp_gt_i32 s15, 43
	;; [unrolled: 3-line block ×3, first 2 shown]
	s_cbranch_scc0 .LBB281_1263
; %bb.1255:
	s_cmp_eq_u32 s15, 46
	s_mov_b64 s[12:13], 0
	s_cbranch_scc0 .LBB281_1266
; %bb.1256:
	global_load_dword v1, v[16:17], off
	s_mov_b32 s0, 0x2f800000
	s_mov_b32 s1, 0xcf800000
	s_mov_b64 s[10:11], -1
	s_waitcnt vmcnt(0)
	v_lshlrev_b32_e32 v1, 16, v1
	v_trunc_f32_e32 v1, v1
	v_mul_f32_e64 v3, |v1|, s0
	v_floor_f32_e32 v3, v3
	v_fma_f32 v3, v3, s1, |v1|
	v_cvt_u32_f32_e32 v3, v3
	v_ashrrev_i32_e32 v1, 31, v1
	s_mov_b64 s[0:1], 0
	v_xor_b32_e32 v3, v3, v1
	v_sub_u32_e32 v10, v3, v1
	s_branch .LBB281_1267
.LBB281_1257:
	s_mov_b64 s[10:11], 0
                                        ; implicit-def: $vgpr10
	s_cbranch_execnz .LBB281_1328
.LBB281_1258:
	s_andn2_b64 vcc, exec, s[10:11]
	s_cbranch_vccnz .LBB281_2059
	s_branch .LBB281_1375
.LBB281_1259:
	s_mov_b64 s[10:11], 0
	s_mov_b64 s[0:1], 0
                                        ; implicit-def: $vgpr10
	s_cbranch_execnz .LBB281_1294
	s_branch .LBB281_1324
.LBB281_1260:
	s_mov_b64 s[12:13], -1
	s_mov_b64 s[10:11], 0
	s_mov_b64 s[0:1], 0
                                        ; implicit-def: $vgpr10
	s_branch .LBB281_1277
.LBB281_1261:
	s_mov_b64 s[12:13], -1
	s_mov_b64 s[10:11], 0
	s_mov_b64 s[0:1], 0
                                        ; implicit-def: $vgpr10
	s_branch .LBB281_1272
.LBB281_1262:
	s_or_b64 s[2:3], s[24:25], exec
	s_trap 2
	s_cbranch_execz .LBB281_1203
	s_branch .LBB281_1204
.LBB281_1263:
	s_mov_b64 s[12:13], -1
	s_mov_b64 s[10:11], 0
	s_mov_b64 s[0:1], 0
                                        ; implicit-def: $vgpr10
	s_branch .LBB281_1267
.LBB281_1264:
	s_andn2_saveexec_b64 s[14:15], s[14:15]
	s_cbranch_execz .LBB281_995
.LBB281_1265:
	v_add_f32_e32 v0, 0x42800000, v1
	v_and_b32_e32 v0, 0xff, v0
	v_cmp_ne_u32_e32 vcc, 0, v0
	s_andn2_b64 s[12:13], s[12:13], exec
	s_and_b64 s[18:19], vcc, exec
	s_or_b64 s[12:13], s[12:13], s[18:19]
	s_or_b64 exec, exec, s[14:15]
	v_mov_b32_e32 v3, 0
	s_and_saveexec_b64 s[14:15], s[12:13]
	s_cbranch_execnz .LBB281_996
	s_branch .LBB281_997
.LBB281_1266:
	s_mov_b64 s[0:1], -1
                                        ; implicit-def: $vgpr10
	s_mov_b64 s[10:11], 0
.LBB281_1267:
	s_and_b64 vcc, exec, s[12:13]
	s_cbranch_vccz .LBB281_1271
; %bb.1268:
	s_cmp_eq_u32 s15, 44
	s_cbranch_scc0 .LBB281_1270
; %bb.1269:
	global_load_ubyte v1, v[16:17], off
	s_mov_b32 s0, 0x2f800000
	s_mov_b32 s1, 0xcf800000
	s_mov_b64 s[10:11], -1
	s_waitcnt vmcnt(0)
	v_lshlrev_b32_e32 v3, 23, v1
	v_trunc_f32_e32 v3, v3
	v_mul_f32_e64 v5, |v3|, s0
	v_floor_f32_e32 v5, v5
	v_fma_f32 v5, v5, s1, |v3|
	v_cvt_u32_f32_e32 v5, v5
	v_ashrrev_i32_e32 v3, 31, v3
	v_cmp_ne_u32_e32 vcc, 0, v1
	s_mov_b64 s[0:1], 0
	v_xor_b32_e32 v5, v5, v3
	v_sub_u32_e32 v3, v5, v3
	v_cndmask_b32_e32 v10, 0, v3, vcc
	s_branch .LBB281_1271
.LBB281_1270:
	s_mov_b64 s[0:1], -1
                                        ; implicit-def: $vgpr10
.LBB281_1271:
	s_mov_b64 s[12:13], 0
.LBB281_1272:
	s_and_b64 vcc, exec, s[12:13]
	s_cbranch_vccz .LBB281_1276
; %bb.1273:
	s_cmp_eq_u32 s15, 29
	s_cbranch_scc0 .LBB281_1275
; %bb.1274:
	global_load_dwordx2 v[10:11], v[16:17], off
	s_mov_b64 s[0:1], 0
	s_mov_b64 s[10:11], -1
	s_branch .LBB281_1276
.LBB281_1275:
	s_mov_b64 s[0:1], -1
                                        ; implicit-def: $vgpr10
.LBB281_1276:
	s_mov_b64 s[12:13], 0
.LBB281_1277:
	s_and_b64 vcc, exec, s[12:13]
	s_cbranch_vccz .LBB281_1293
; %bb.1278:
	s_cmp_lt_i32 s15, 27
	s_cbranch_scc1 .LBB281_1281
; %bb.1279:
	s_cmp_gt_i32 s15, 27
	s_cbranch_scc0 .LBB281_1282
; %bb.1280:
	global_load_dword v10, v[16:17], off
	s_mov_b64 s[10:11], 0
	s_branch .LBB281_1283
.LBB281_1281:
	s_mov_b64 s[10:11], -1
                                        ; implicit-def: $vgpr10
	s_branch .LBB281_1286
.LBB281_1282:
	s_mov_b64 s[10:11], -1
                                        ; implicit-def: $vgpr10
.LBB281_1283:
	s_andn2_b64 vcc, exec, s[10:11]
	s_cbranch_vccnz .LBB281_1285
; %bb.1284:
	global_load_ushort v10, v[16:17], off
.LBB281_1285:
	s_mov_b64 s[10:11], 0
.LBB281_1286:
	s_andn2_b64 vcc, exec, s[10:11]
	s_cbranch_vccnz .LBB281_1292
; %bb.1287:
	global_load_ubyte v1, v[16:17], off
	s_movk_i32 s10, 0x7f
	s_mov_b64 s[12:13], 0
	s_waitcnt vmcnt(0)
	v_cmp_lt_i16_e32 vcc, s10, v1
	s_and_saveexec_b64 s[10:11], vcc
	s_xor_b64 s[10:11], exec, s[10:11]
	s_cbranch_execz .LBB281_1303
; %bb.1288:
	s_movk_i32 s12, 0x80
	v_cmp_ne_u16_e32 vcc, s12, v1
	s_and_b64 s[12:13], vcc, exec
	s_andn2_saveexec_b64 s[10:11], s[10:11]
	s_cbranch_execnz .LBB281_1304
.LBB281_1289:
	s_or_b64 exec, exec, s[10:11]
	v_mov_b32_e32 v10, 0
	s_and_saveexec_b64 s[10:11], s[12:13]
	s_cbranch_execz .LBB281_1291
.LBB281_1290:
	v_lshlrev_b32_e32 v3, 24, v1
	v_and_b32_e32 v1, 0xffff, v1
	v_and_b32_e32 v5, 7, v1
	v_ffbh_u32_e32 v9, v5
	v_min_u32_e32 v9, 32, v9
	v_subrev_u32_e32 v10, 28, v9
	v_bfe_u32 v7, v1, 3, 4
	v_lshlrev_b32_e32 v1, v10, v1
	v_sub_u32_e32 v9, 29, v9
	v_and_b32_e32 v1, 7, v1
	v_cmp_eq_u32_e32 vcc, 0, v7
	v_and_b32_e32 v3, 0x80000000, v3
	s_mov_b32 s12, 0x2f800000
	v_cndmask_b32_e32 v7, v7, v9, vcc
	v_cndmask_b32_e32 v1, v5, v1, vcc
	v_mov_b32_e32 v5, 0x3b800000
	v_lshlrev_b32_e32 v1, 20, v1
	v_lshl_add_u32 v5, v7, 23, v5
	v_or3_b32 v1, v3, v5, v1
	v_trunc_f32_e32 v1, v1
	v_mul_f32_e64 v3, |v1|, s12
	v_floor_f32_e32 v3, v3
	s_mov_b32 s12, 0xcf800000
	v_fma_f32 v3, v3, s12, |v1|
	v_cvt_u32_f32_e32 v3, v3
	v_ashrrev_i32_e32 v1, 31, v1
	v_xor_b32_e32 v3, v3, v1
	v_sub_u32_e32 v10, v3, v1
.LBB281_1291:
	s_or_b64 exec, exec, s[10:11]
.LBB281_1292:
	s_mov_b64 s[10:11], -1
.LBB281_1293:
	s_branch .LBB281_1324
.LBB281_1294:
	s_cmp_gt_i32 s15, 22
	s_cbranch_scc0 .LBB281_1302
; %bb.1295:
	s_cmp_lt_i32 s15, 24
	s_cbranch_scc1 .LBB281_1305
; %bb.1296:
	s_cmp_gt_i32 s15, 24
	s_cbranch_scc0 .LBB281_1306
; %bb.1297:
	global_load_ubyte v1, v[16:17], off
	s_movk_i32 s8, 0x7f
	s_mov_b64 s[10:11], 0
	s_waitcnt vmcnt(0)
	v_cmp_lt_i16_e32 vcc, s8, v1
	s_and_saveexec_b64 s[8:9], vcc
	s_xor_b64 s[8:9], exec, s[8:9]
	s_cbranch_execz .LBB281_1318
; %bb.1298:
	s_movk_i32 s10, 0x80
	v_cmp_ne_u16_e32 vcc, s10, v1
	s_and_b64 s[10:11], vcc, exec
	s_andn2_saveexec_b64 s[8:9], s[8:9]
	s_cbranch_execnz .LBB281_1319
.LBB281_1299:
	s_or_b64 exec, exec, s[8:9]
	v_mov_b32_e32 v10, 0
	s_and_saveexec_b64 s[8:9], s[10:11]
	s_cbranch_execz .LBB281_1301
.LBB281_1300:
	v_lshlrev_b32_e32 v3, 24, v1
	v_and_b32_e32 v1, 0xffff, v1
	v_and_b32_e32 v5, 3, v1
	v_ffbh_u32_e32 v9, v5
	v_min_u32_e32 v9, 32, v9
	v_subrev_u32_e32 v10, 29, v9
	v_bfe_u32 v7, v1, 2, 5
	v_lshlrev_b32_e32 v1, v10, v1
	v_sub_u32_e32 v9, 30, v9
	v_and_b32_e32 v1, 3, v1
	v_cmp_eq_u32_e32 vcc, 0, v7
	v_and_b32_e32 v3, 0x80000000, v3
	s_mov_b32 s10, 0x2f800000
	v_cndmask_b32_e32 v7, v7, v9, vcc
	v_cndmask_b32_e32 v1, v5, v1, vcc
	v_mov_b32_e32 v5, 0x37800000
	v_lshlrev_b32_e32 v1, 21, v1
	v_lshl_add_u32 v5, v7, 23, v5
	v_or3_b32 v1, v3, v5, v1
	v_trunc_f32_e32 v1, v1
	v_mul_f32_e64 v3, |v1|, s10
	v_floor_f32_e32 v3, v3
	s_mov_b32 s10, 0xcf800000
	v_fma_f32 v3, v3, s10, |v1|
	v_cvt_u32_f32_e32 v3, v3
	v_ashrrev_i32_e32 v1, 31, v1
	v_xor_b32_e32 v3, v3, v1
	v_sub_u32_e32 v10, v3, v1
.LBB281_1301:
	s_or_b64 exec, exec, s[8:9]
	s_mov_b64 s[8:9], 0
	s_branch .LBB281_1307
.LBB281_1302:
	s_mov_b64 s[8:9], -1
                                        ; implicit-def: $vgpr10
	s_branch .LBB281_1313
.LBB281_1303:
	s_andn2_saveexec_b64 s[10:11], s[10:11]
	s_cbranch_execz .LBB281_1289
.LBB281_1304:
	v_cmp_ne_u16_e32 vcc, 0, v1
	s_andn2_b64 s[12:13], s[12:13], exec
	s_and_b64 s[16:17], vcc, exec
	s_or_b64 s[12:13], s[12:13], s[16:17]
	s_or_b64 exec, exec, s[10:11]
	v_mov_b32_e32 v10, 0
	s_and_saveexec_b64 s[10:11], s[12:13]
	s_cbranch_execnz .LBB281_1290
	s_branch .LBB281_1291
.LBB281_1305:
	s_mov_b64 s[8:9], -1
                                        ; implicit-def: $vgpr10
	s_branch .LBB281_1310
.LBB281_1306:
	s_mov_b64 s[8:9], -1
                                        ; implicit-def: $vgpr10
.LBB281_1307:
	s_and_b64 vcc, exec, s[8:9]
	s_cbranch_vccz .LBB281_1309
; %bb.1308:
	global_load_ubyte v1, v[16:17], off
	s_mov_b32 s8, 0x7f800000
	s_brev_b32 s9, 1
	s_mov_b32 s10, 0x2f800000
	s_waitcnt vmcnt(0)
	v_lshlrev_b32_e32 v1, 24, v1
	v_and_b32_e32 v3, 0x7f000000, v1
	v_ffbh_u32_e32 v5, v3
	v_min_u32_e32 v5, 32, v5
	v_sub_u32_e64 v5, v5, 4 clamp
	v_lshlrev_b32_e32 v9, v5, v3
	v_lshlrev_b32_e32 v5, 23, v5
	v_lshrrev_b32_e32 v9, 4, v9
	v_add_u32_e32 v7, 0x1000000, v3
	v_sub_u32_e32 v5, v9, v5
	v_ashrrev_i32_e32 v7, 8, v7
	v_add_u32_e32 v5, 0x3c000000, v5
	v_and_or_b32 v5, v7, s8, v5
	v_cmp_ne_u32_e32 vcc, 0, v3
	s_mov_b32 s8, 0xcf800000
	s_nop 0
	v_cndmask_b32_e32 v3, 0, v5, vcc
	v_and_or_b32 v1, v1, s9, v3
	v_trunc_f32_e32 v1, v1
	v_mul_f32_e64 v3, |v1|, s10
	v_floor_f32_e32 v3, v3
	v_fma_f32 v3, v3, s8, |v1|
	v_cvt_u32_f32_e32 v3, v3
	v_ashrrev_i32_e32 v1, 31, v1
	v_xor_b32_e32 v3, v3, v1
	v_sub_u32_e32 v10, v3, v1
.LBB281_1309:
	s_mov_b64 s[8:9], 0
.LBB281_1310:
	s_andn2_b64 vcc, exec, s[8:9]
	s_cbranch_vccnz .LBB281_1312
; %bb.1311:
	global_load_ubyte v1, v[16:17], off
	s_movk_i32 s8, 0x7f00
	s_brev_b32 s9, 16
	s_brev_b32 s10, 1
	s_mov_b32 s11, 0x2f800000
	s_waitcnt vmcnt(0)
	v_lshlrev_b16_e32 v3, 8, v1
	v_lshlrev_b32_e32 v1, 25, v1
	v_lshrrev_b32_e32 v5, 4, v1
	v_and_or_b32 v7, v3, s8, 0.5
	v_or_b32_e32 v5, 0x70000000, v5
	v_add_f32_e32 v7, -0.5, v7
	v_mul_f32_e32 v5, 0x7800000, v5
	v_cmp_gt_u32_e32 vcc, s9, v1
	v_bfe_i32 v3, v3, 0, 16
	s_mov_b32 s8, 0xcf800000
	v_cndmask_b32_e32 v1, v5, v7, vcc
	v_and_or_b32 v1, v3, s10, v1
	v_trunc_f32_e32 v1, v1
	v_mul_f32_e64 v3, |v1|, s11
	v_floor_f32_e32 v3, v3
	v_fma_f32 v3, v3, s8, |v1|
	v_cvt_u32_f32_e32 v3, v3
	v_ashrrev_i32_e32 v1, 31, v1
	v_xor_b32_e32 v3, v3, v1
	v_sub_u32_e32 v10, v3, v1
.LBB281_1312:
	s_mov_b64 s[8:9], 0
	s_mov_b64 s[10:11], -1
.LBB281_1313:
	s_andn2_b64 vcc, exec, s[8:9]
	s_mov_b64 s[8:9], 0
	s_cbranch_vccnz .LBB281_1324
; %bb.1314:
	s_cmp_gt_i32 s15, 14
	s_cbranch_scc0 .LBB281_1317
; %bb.1315:
	s_cmp_eq_u32 s15, 15
	s_cbranch_scc0 .LBB281_1320
; %bb.1316:
	global_load_ushort v1, v[16:17], off
	s_mov_b32 s0, 0x2f800000
	s_mov_b32 s1, 0xcf800000
	s_mov_b64 s[10:11], -1
	s_waitcnt vmcnt(0)
	v_lshlrev_b32_e32 v1, 16, v1
	v_trunc_f32_e32 v1, v1
	v_mul_f32_e64 v3, |v1|, s0
	v_floor_f32_e32 v3, v3
	v_fma_f32 v3, v3, s1, |v1|
	v_cvt_u32_f32_e32 v3, v3
	v_ashrrev_i32_e32 v1, 31, v1
	s_mov_b64 s[0:1], 0
	v_xor_b32_e32 v3, v3, v1
	v_sub_u32_e32 v10, v3, v1
	s_branch .LBB281_1321
.LBB281_1317:
	s_mov_b64 s[12:13], -1
                                        ; implicit-def: $vgpr10
	s_branch .LBB281_1322
.LBB281_1318:
	s_andn2_saveexec_b64 s[8:9], s[8:9]
	s_cbranch_execz .LBB281_1299
.LBB281_1319:
	v_cmp_ne_u16_e32 vcc, 0, v1
	s_andn2_b64 s[10:11], s[10:11], exec
	s_and_b64 s[12:13], vcc, exec
	s_or_b64 s[10:11], s[10:11], s[12:13]
	s_or_b64 exec, exec, s[8:9]
	v_mov_b32_e32 v10, 0
	s_and_saveexec_b64 s[8:9], s[10:11]
	s_cbranch_execnz .LBB281_1300
	s_branch .LBB281_1301
.LBB281_1320:
	s_mov_b64 s[0:1], -1
                                        ; implicit-def: $vgpr10
.LBB281_1321:
	s_mov_b64 s[12:13], 0
.LBB281_1322:
	s_and_b64 vcc, exec, s[12:13]
	s_cbranch_vccz .LBB281_1324
; %bb.1323:
	s_cmp_lg_u32 s15, 11
	s_mov_b64 s[8:9], -1
	s_cselect_b64 s[0:1], -1, 0
.LBB281_1324:
	s_and_b64 vcc, exec, s[0:1]
	s_cbranch_vccnz .LBB281_1387
; %bb.1325:
	s_andn2_b64 vcc, exec, s[8:9]
	s_cbranch_vccnz .LBB281_1327
.LBB281_1326:
	global_load_ubyte v1, v[16:17], off
	s_mov_b64 s[10:11], -1
	s_waitcnt vmcnt(0)
	v_cmp_ne_u16_e32 vcc, 0, v1
	s_nop 1
	v_cndmask_b32_e64 v10, 0, 1, vcc
.LBB281_1327:
	s_branch .LBB281_1258
.LBB281_1328:
	s_cmp_lt_i32 s15, 5
	s_cbranch_scc1 .LBB281_1333
; %bb.1329:
	s_cmp_lt_i32 s15, 8
	s_cbranch_scc1 .LBB281_1334
; %bb.1330:
	;; [unrolled: 3-line block ×3, first 2 shown]
	s_cmp_gt_i32 s15, 9
	s_cbranch_scc0 .LBB281_1336
; %bb.1332:
	global_load_dwordx2 v[10:11], v[16:17], off
	s_movk_i32 s0, 0xffe0
	s_waitcnt vmcnt(0)
	v_trunc_f64_e32 v[10:11], v[10:11]
	v_ldexp_f64 v[18:19], v[10:11], s0
	v_floor_f64_e32 v[18:19], v[18:19]
	v_fmac_f64_e32 v[10:11], 0xc1f00000, v[18:19]
	v_cvt_u32_f64_e32 v10, v[10:11]
	s_mov_b64 s[0:1], 0
	s_branch .LBB281_1337
.LBB281_1333:
                                        ; implicit-def: $vgpr10
	s_branch .LBB281_1355
.LBB281_1334:
	s_mov_b64 s[0:1], -1
                                        ; implicit-def: $vgpr10
	s_branch .LBB281_1343
.LBB281_1335:
	s_mov_b64 s[0:1], -1
                                        ; implicit-def: $vgpr10
	s_branch .LBB281_1340
.LBB281_1336:
	s_mov_b64 s[0:1], -1
                                        ; implicit-def: $vgpr10
.LBB281_1337:
	s_andn2_b64 vcc, exec, s[0:1]
	s_cbranch_vccnz .LBB281_1339
; %bb.1338:
	global_load_dword v1, v[16:17], off
	s_mov_b32 s0, 0x2f800000
	s_waitcnt vmcnt(0)
	v_trunc_f32_e32 v1, v1
	v_mul_f32_e64 v3, |v1|, s0
	v_floor_f32_e32 v3, v3
	s_mov_b32 s0, 0xcf800000
	v_fma_f32 v3, v3, s0, |v1|
	v_cvt_u32_f32_e32 v3, v3
	v_ashrrev_i32_e32 v1, 31, v1
	v_xor_b32_e32 v3, v3, v1
	v_sub_u32_e32 v10, v3, v1
.LBB281_1339:
	s_mov_b64 s[0:1], 0
.LBB281_1340:
	s_andn2_b64 vcc, exec, s[0:1]
	s_cbranch_vccnz .LBB281_1342
; %bb.1341:
	global_load_dword v1, v[16:17], off
	s_waitcnt vmcnt(0)
	v_cvt_f32_f16_e32 v1, v1
	v_cvt_i32_f32_e32 v10, v1
.LBB281_1342:
	s_mov_b64 s[0:1], 0
.LBB281_1343:
	s_andn2_b64 vcc, exec, s[0:1]
	s_cbranch_vccnz .LBB281_1354
; %bb.1344:
	s_cmp_lt_i32 s15, 6
	s_cbranch_scc1 .LBB281_1347
; %bb.1345:
	s_cmp_gt_i32 s15, 6
	s_cbranch_scc0 .LBB281_1348
; %bb.1346:
	global_load_dwordx2 v[10:11], v[16:17], off
	s_movk_i32 s0, 0xffe0
	s_waitcnt vmcnt(0)
	v_trunc_f64_e32 v[10:11], v[10:11]
	v_ldexp_f64 v[18:19], v[10:11], s0
	v_floor_f64_e32 v[18:19], v[18:19]
	v_fmac_f64_e32 v[10:11], 0xc1f00000, v[18:19]
	v_cvt_u32_f64_e32 v10, v[10:11]
	s_mov_b64 s[0:1], 0
	s_branch .LBB281_1349
.LBB281_1347:
	s_mov_b64 s[0:1], -1
                                        ; implicit-def: $vgpr10
	s_branch .LBB281_1352
.LBB281_1348:
	s_mov_b64 s[0:1], -1
                                        ; implicit-def: $vgpr10
.LBB281_1349:
	s_andn2_b64 vcc, exec, s[0:1]
	s_cbranch_vccnz .LBB281_1351
; %bb.1350:
	global_load_dword v1, v[16:17], off
	s_mov_b32 s0, 0x2f800000
	s_waitcnt vmcnt(0)
	v_trunc_f32_e32 v1, v1
	v_mul_f32_e64 v3, |v1|, s0
	v_floor_f32_e32 v3, v3
	s_mov_b32 s0, 0xcf800000
	v_fma_f32 v3, v3, s0, |v1|
	v_cvt_u32_f32_e32 v3, v3
	v_ashrrev_i32_e32 v1, 31, v1
	v_xor_b32_e32 v3, v3, v1
	v_sub_u32_e32 v10, v3, v1
.LBB281_1351:
	s_mov_b64 s[0:1], 0
.LBB281_1352:
	s_andn2_b64 vcc, exec, s[0:1]
	s_cbranch_vccnz .LBB281_1354
; %bb.1353:
	global_load_ushort v1, v[16:17], off
	s_waitcnt vmcnt(0)
	v_cvt_f32_f16_e32 v1, v1
	v_cvt_i32_f32_e32 v10, v1
.LBB281_1354:
	s_cbranch_execnz .LBB281_1374
.LBB281_1355:
	s_cmp_lt_i32 s15, 2
	s_cbranch_scc1 .LBB281_1359
; %bb.1356:
	s_cmp_lt_i32 s15, 3
	s_cbranch_scc1 .LBB281_1360
; %bb.1357:
	s_cmp_gt_i32 s15, 3
	s_cbranch_scc0 .LBB281_1361
; %bb.1358:
	global_load_dwordx2 v[10:11], v[16:17], off
	s_mov_b64 s[0:1], 0
	s_branch .LBB281_1362
.LBB281_1359:
	s_mov_b64 s[0:1], -1
                                        ; implicit-def: $vgpr10
	s_branch .LBB281_1368
.LBB281_1360:
	s_mov_b64 s[0:1], -1
                                        ; implicit-def: $vgpr10
	s_branch .LBB281_1365
.LBB281_1361:
	s_mov_b64 s[0:1], -1
                                        ; implicit-def: $vgpr10
.LBB281_1362:
	s_andn2_b64 vcc, exec, s[0:1]
	s_cbranch_vccnz .LBB281_1364
; %bb.1363:
	global_load_dword v10, v[16:17], off
.LBB281_1364:
	s_mov_b64 s[0:1], 0
.LBB281_1365:
	s_andn2_b64 vcc, exec, s[0:1]
	s_cbranch_vccnz .LBB281_1367
; %bb.1366:
	global_load_ushort v10, v[16:17], off
.LBB281_1367:
	s_mov_b64 s[0:1], 0
.LBB281_1368:
	s_andn2_b64 vcc, exec, s[0:1]
	s_cbranch_vccnz .LBB281_1374
; %bb.1369:
	s_cmp_gt_i32 s15, 0
	s_cbranch_scc0 .LBB281_1371
; %bb.1370:
	global_load_ubyte v10, v[16:17], off
	s_mov_b64 s[0:1], 0
	s_branch .LBB281_1372
.LBB281_1371:
	s_mov_b64 s[0:1], -1
                                        ; implicit-def: $vgpr10
.LBB281_1372:
	s_andn2_b64 vcc, exec, s[0:1]
	s_cbranch_vccnz .LBB281_1374
; %bb.1373:
	global_load_ubyte v10, v[16:17], off
.LBB281_1374:
.LBB281_1375:
	v_mov_b32_e32 v13, 0
	s_cmp_lt_i32 s15, 11
	v_lshl_add_u64 v[16:17], s[6:7], 0, v[12:13]
	s_cbranch_scc1 .LBB281_1382
; %bb.1376:
	s_cmp_gt_i32 s15, 25
	s_mov_b64 s[8:9], 0
	s_cbranch_scc0 .LBB281_1384
; %bb.1377:
	s_cmp_gt_i32 s15, 28
	s_cbranch_scc0 .LBB281_1385
; %bb.1378:
	s_cmp_gt_i32 s15, 43
	;; [unrolled: 3-line block ×3, first 2 shown]
	s_cbranch_scc0 .LBB281_1388
; %bb.1380:
	s_cmp_eq_u32 s15, 46
	s_mov_b64 s[12:13], 0
	s_cbranch_scc0 .LBB281_1389
; %bb.1381:
	global_load_dword v1, v[16:17], off
	s_mov_b32 s0, 0x2f800000
	s_mov_b32 s1, 0xcf800000
	s_mov_b64 s[10:11], -1
	s_waitcnt vmcnt(0)
	v_lshlrev_b32_e32 v1, 16, v1
	v_trunc_f32_e32 v1, v1
	v_mul_f32_e64 v3, |v1|, s0
	v_floor_f32_e32 v3, v3
	v_fma_f32 v3, v3, s1, |v1|
	v_cvt_u32_f32_e32 v3, v3
	v_ashrrev_i32_e32 v1, 31, v1
	s_mov_b64 s[0:1], 0
	v_xor_b32_e32 v3, v3, v1
	v_sub_u32_e32 v12, v3, v1
	s_branch .LBB281_1390
.LBB281_1382:
	s_mov_b64 s[10:11], 0
                                        ; implicit-def: $vgpr12
	s_cbranch_execnz .LBB281_1452
.LBB281_1383:
	s_andn2_b64 vcc, exec, s[10:11]
	s_cbranch_vccnz .LBB281_2059
	s_branch .LBB281_1500
.LBB281_1384:
	s_mov_b64 s[12:13], -1
	s_mov_b64 s[10:11], 0
	s_mov_b64 s[0:1], 0
                                        ; implicit-def: $vgpr12
	s_branch .LBB281_1417
.LBB281_1385:
	s_mov_b64 s[12:13], -1
	s_mov_b64 s[10:11], 0
	s_mov_b64 s[0:1], 0
                                        ; implicit-def: $vgpr12
	s_branch .LBB281_1400
.LBB281_1386:
	s_mov_b64 s[12:13], -1
	s_mov_b64 s[10:11], 0
	s_mov_b64 s[0:1], 0
                                        ; implicit-def: $vgpr12
	s_branch .LBB281_1395
.LBB281_1387:
	s_trap 2
	s_or_b64 s[2:3], s[2:3], exec
	s_cbranch_execz .LBB281_1326
	s_branch .LBB281_1327
.LBB281_1388:
	s_mov_b64 s[12:13], -1
	s_mov_b64 s[10:11], 0
	s_mov_b64 s[0:1], 0
                                        ; implicit-def: $vgpr12
	s_branch .LBB281_1390
.LBB281_1389:
	s_mov_b64 s[0:1], -1
                                        ; implicit-def: $vgpr12
	s_mov_b64 s[10:11], 0
.LBB281_1390:
	s_and_b64 vcc, exec, s[12:13]
	s_cbranch_vccz .LBB281_1394
; %bb.1391:
	s_cmp_eq_u32 s15, 44
	s_cbranch_scc0 .LBB281_1393
; %bb.1392:
	global_load_ubyte v1, v[16:17], off
	s_mov_b32 s0, 0x2f800000
	s_mov_b32 s1, 0xcf800000
	s_mov_b64 s[10:11], -1
	s_waitcnt vmcnt(0)
	v_lshlrev_b32_e32 v3, 23, v1
	v_trunc_f32_e32 v3, v3
	v_mul_f32_e64 v5, |v3|, s0
	v_floor_f32_e32 v5, v5
	v_fma_f32 v5, v5, s1, |v3|
	v_cvt_u32_f32_e32 v5, v5
	v_ashrrev_i32_e32 v3, 31, v3
	v_cmp_ne_u32_e32 vcc, 0, v1
	s_mov_b64 s[0:1], 0
	v_xor_b32_e32 v5, v5, v3
	v_sub_u32_e32 v3, v5, v3
	v_cndmask_b32_e32 v12, 0, v3, vcc
	s_branch .LBB281_1394
.LBB281_1393:
	s_mov_b64 s[0:1], -1
                                        ; implicit-def: $vgpr12
.LBB281_1394:
	s_mov_b64 s[12:13], 0
.LBB281_1395:
	s_and_b64 vcc, exec, s[12:13]
	s_cbranch_vccz .LBB281_1399
; %bb.1396:
	s_cmp_eq_u32 s15, 29
	s_cbranch_scc0 .LBB281_1398
; %bb.1397:
	global_load_dwordx2 v[12:13], v[16:17], off
	s_mov_b64 s[0:1], 0
	s_mov_b64 s[10:11], -1
	s_branch .LBB281_1399
.LBB281_1398:
	s_mov_b64 s[0:1], -1
                                        ; implicit-def: $vgpr12
.LBB281_1399:
	s_mov_b64 s[12:13], 0
.LBB281_1400:
	s_and_b64 vcc, exec, s[12:13]
	s_cbranch_vccz .LBB281_1416
; %bb.1401:
	s_cmp_lt_i32 s15, 27
	s_cbranch_scc1 .LBB281_1404
; %bb.1402:
	s_cmp_gt_i32 s15, 27
	s_cbranch_scc0 .LBB281_1405
; %bb.1403:
	global_load_dword v12, v[16:17], off
	s_mov_b64 s[10:11], 0
	s_branch .LBB281_1406
.LBB281_1404:
	s_mov_b64 s[10:11], -1
                                        ; implicit-def: $vgpr12
	s_branch .LBB281_1409
.LBB281_1405:
	s_mov_b64 s[10:11], -1
                                        ; implicit-def: $vgpr12
.LBB281_1406:
	s_andn2_b64 vcc, exec, s[10:11]
	s_cbranch_vccnz .LBB281_1408
; %bb.1407:
	global_load_ushort v12, v[16:17], off
.LBB281_1408:
	s_mov_b64 s[10:11], 0
.LBB281_1409:
	s_andn2_b64 vcc, exec, s[10:11]
	s_cbranch_vccnz .LBB281_1415
; %bb.1410:
	global_load_ubyte v1, v[16:17], off
	s_movk_i32 s10, 0x7f
	s_mov_b64 s[12:13], 0
	s_waitcnt vmcnt(0)
	v_cmp_lt_i16_e32 vcc, s10, v1
	s_and_saveexec_b64 s[10:11], vcc
	s_xor_b64 s[10:11], exec, s[10:11]
	s_cbranch_execz .LBB281_1427
; %bb.1411:
	s_movk_i32 s12, 0x80
	v_cmp_ne_u16_e32 vcc, s12, v1
	s_and_b64 s[12:13], vcc, exec
	s_andn2_saveexec_b64 s[10:11], s[10:11]
	s_cbranch_execnz .LBB281_1428
.LBB281_1412:
	s_or_b64 exec, exec, s[10:11]
	v_mov_b32_e32 v12, 0
	s_and_saveexec_b64 s[10:11], s[12:13]
	s_cbranch_execz .LBB281_1414
.LBB281_1413:
	v_lshlrev_b32_e32 v3, 24, v1
	v_and_b32_e32 v1, 0xffff, v1
	v_and_b32_e32 v5, 7, v1
	v_ffbh_u32_e32 v9, v5
	v_min_u32_e32 v9, 32, v9
	v_subrev_u32_e32 v11, 28, v9
	v_bfe_u32 v7, v1, 3, 4
	v_lshlrev_b32_e32 v1, v11, v1
	v_sub_u32_e32 v9, 29, v9
	v_and_b32_e32 v1, 7, v1
	v_cmp_eq_u32_e32 vcc, 0, v7
	v_and_b32_e32 v3, 0x80000000, v3
	s_mov_b32 s12, 0x2f800000
	v_cndmask_b32_e32 v7, v7, v9, vcc
	v_cndmask_b32_e32 v1, v5, v1, vcc
	v_mov_b32_e32 v5, 0x3b800000
	v_lshlrev_b32_e32 v1, 20, v1
	v_lshl_add_u32 v5, v7, 23, v5
	v_or3_b32 v1, v3, v5, v1
	v_trunc_f32_e32 v1, v1
	v_mul_f32_e64 v3, |v1|, s12
	v_floor_f32_e32 v3, v3
	s_mov_b32 s12, 0xcf800000
	v_fma_f32 v3, v3, s12, |v1|
	v_cvt_u32_f32_e32 v3, v3
	v_ashrrev_i32_e32 v1, 31, v1
	v_xor_b32_e32 v3, v3, v1
	v_sub_u32_e32 v12, v3, v1
.LBB281_1414:
	s_or_b64 exec, exec, s[10:11]
.LBB281_1415:
	s_mov_b64 s[10:11], -1
.LBB281_1416:
	s_mov_b64 s[12:13], 0
.LBB281_1417:
	s_and_b64 vcc, exec, s[12:13]
	s_cbranch_vccz .LBB281_1448
; %bb.1418:
	s_cmp_gt_i32 s15, 22
	s_cbranch_scc0 .LBB281_1426
; %bb.1419:
	s_cmp_lt_i32 s15, 24
	s_cbranch_scc1 .LBB281_1429
; %bb.1420:
	s_cmp_gt_i32 s15, 24
	s_cbranch_scc0 .LBB281_1430
; %bb.1421:
	global_load_ubyte v1, v[16:17], off
	s_movk_i32 s8, 0x7f
	s_mov_b64 s[10:11], 0
	s_waitcnt vmcnt(0)
	v_cmp_lt_i16_e32 vcc, s8, v1
	s_and_saveexec_b64 s[8:9], vcc
	s_xor_b64 s[8:9], exec, s[8:9]
	s_cbranch_execz .LBB281_1442
; %bb.1422:
	s_movk_i32 s10, 0x80
	v_cmp_ne_u16_e32 vcc, s10, v1
	s_and_b64 s[10:11], vcc, exec
	s_andn2_saveexec_b64 s[8:9], s[8:9]
	s_cbranch_execnz .LBB281_1443
.LBB281_1423:
	s_or_b64 exec, exec, s[8:9]
	v_mov_b32_e32 v12, 0
	s_and_saveexec_b64 s[8:9], s[10:11]
	s_cbranch_execz .LBB281_1425
.LBB281_1424:
	v_lshlrev_b32_e32 v3, 24, v1
	v_and_b32_e32 v1, 0xffff, v1
	v_and_b32_e32 v5, 3, v1
	v_ffbh_u32_e32 v9, v5
	v_min_u32_e32 v9, 32, v9
	v_subrev_u32_e32 v11, 29, v9
	v_bfe_u32 v7, v1, 2, 5
	v_lshlrev_b32_e32 v1, v11, v1
	v_sub_u32_e32 v9, 30, v9
	v_and_b32_e32 v1, 3, v1
	v_cmp_eq_u32_e32 vcc, 0, v7
	v_and_b32_e32 v3, 0x80000000, v3
	s_mov_b32 s10, 0x2f800000
	v_cndmask_b32_e32 v7, v7, v9, vcc
	v_cndmask_b32_e32 v1, v5, v1, vcc
	v_mov_b32_e32 v5, 0x37800000
	v_lshlrev_b32_e32 v1, 21, v1
	v_lshl_add_u32 v5, v7, 23, v5
	v_or3_b32 v1, v3, v5, v1
	v_trunc_f32_e32 v1, v1
	v_mul_f32_e64 v3, |v1|, s10
	v_floor_f32_e32 v3, v3
	s_mov_b32 s10, 0xcf800000
	v_fma_f32 v3, v3, s10, |v1|
	v_cvt_u32_f32_e32 v3, v3
	v_ashrrev_i32_e32 v1, 31, v1
	v_xor_b32_e32 v3, v3, v1
	v_sub_u32_e32 v12, v3, v1
.LBB281_1425:
	s_or_b64 exec, exec, s[8:9]
	s_mov_b64 s[8:9], 0
	s_branch .LBB281_1431
.LBB281_1426:
	s_mov_b64 s[8:9], -1
                                        ; implicit-def: $vgpr12
	s_branch .LBB281_1437
.LBB281_1427:
	s_andn2_saveexec_b64 s[10:11], s[10:11]
	s_cbranch_execz .LBB281_1412
.LBB281_1428:
	v_cmp_ne_u16_e32 vcc, 0, v1
	s_andn2_b64 s[12:13], s[12:13], exec
	s_and_b64 s[16:17], vcc, exec
	s_or_b64 s[12:13], s[12:13], s[16:17]
	s_or_b64 exec, exec, s[10:11]
	v_mov_b32_e32 v12, 0
	s_and_saveexec_b64 s[10:11], s[12:13]
	s_cbranch_execnz .LBB281_1413
	s_branch .LBB281_1414
.LBB281_1429:
	s_mov_b64 s[8:9], -1
                                        ; implicit-def: $vgpr12
	s_branch .LBB281_1434
.LBB281_1430:
	s_mov_b64 s[8:9], -1
                                        ; implicit-def: $vgpr12
.LBB281_1431:
	s_and_b64 vcc, exec, s[8:9]
	s_cbranch_vccz .LBB281_1433
; %bb.1432:
	global_load_ubyte v1, v[16:17], off
	s_mov_b32 s8, 0x7f800000
	s_brev_b32 s9, 1
	s_mov_b32 s10, 0x2f800000
	s_waitcnt vmcnt(0)
	v_lshlrev_b32_e32 v1, 24, v1
	v_and_b32_e32 v3, 0x7f000000, v1
	v_ffbh_u32_e32 v5, v3
	v_min_u32_e32 v5, 32, v5
	v_sub_u32_e64 v5, v5, 4 clamp
	v_lshlrev_b32_e32 v9, v5, v3
	v_lshlrev_b32_e32 v5, 23, v5
	v_lshrrev_b32_e32 v9, 4, v9
	v_add_u32_e32 v7, 0x1000000, v3
	v_sub_u32_e32 v5, v9, v5
	v_ashrrev_i32_e32 v7, 8, v7
	v_add_u32_e32 v5, 0x3c000000, v5
	v_and_or_b32 v5, v7, s8, v5
	v_cmp_ne_u32_e32 vcc, 0, v3
	s_mov_b32 s8, 0xcf800000
	s_nop 0
	v_cndmask_b32_e32 v3, 0, v5, vcc
	v_and_or_b32 v1, v1, s9, v3
	v_trunc_f32_e32 v1, v1
	v_mul_f32_e64 v3, |v1|, s10
	v_floor_f32_e32 v3, v3
	v_fma_f32 v3, v3, s8, |v1|
	v_cvt_u32_f32_e32 v3, v3
	v_ashrrev_i32_e32 v1, 31, v1
	v_xor_b32_e32 v3, v3, v1
	v_sub_u32_e32 v12, v3, v1
.LBB281_1433:
	s_mov_b64 s[8:9], 0
.LBB281_1434:
	s_andn2_b64 vcc, exec, s[8:9]
	s_cbranch_vccnz .LBB281_1436
; %bb.1435:
	global_load_ubyte v1, v[16:17], off
	s_movk_i32 s8, 0x7f00
	s_brev_b32 s9, 16
	s_brev_b32 s10, 1
	s_mov_b32 s11, 0x2f800000
	s_waitcnt vmcnt(0)
	v_lshlrev_b16_e32 v3, 8, v1
	v_lshlrev_b32_e32 v1, 25, v1
	v_lshrrev_b32_e32 v5, 4, v1
	v_and_or_b32 v7, v3, s8, 0.5
	v_or_b32_e32 v5, 0x70000000, v5
	v_add_f32_e32 v7, -0.5, v7
	v_mul_f32_e32 v5, 0x7800000, v5
	v_cmp_gt_u32_e32 vcc, s9, v1
	v_bfe_i32 v3, v3, 0, 16
	s_mov_b32 s8, 0xcf800000
	v_cndmask_b32_e32 v1, v5, v7, vcc
	v_and_or_b32 v1, v3, s10, v1
	v_trunc_f32_e32 v1, v1
	v_mul_f32_e64 v3, |v1|, s11
	v_floor_f32_e32 v3, v3
	v_fma_f32 v3, v3, s8, |v1|
	v_cvt_u32_f32_e32 v3, v3
	v_ashrrev_i32_e32 v1, 31, v1
	v_xor_b32_e32 v3, v3, v1
	v_sub_u32_e32 v12, v3, v1
.LBB281_1436:
	s_mov_b64 s[8:9], 0
	s_mov_b64 s[10:11], -1
.LBB281_1437:
	s_andn2_b64 vcc, exec, s[8:9]
	s_mov_b64 s[8:9], 0
	s_cbranch_vccnz .LBB281_1448
; %bb.1438:
	s_cmp_gt_i32 s15, 14
	s_cbranch_scc0 .LBB281_1441
; %bb.1439:
	s_cmp_eq_u32 s15, 15
	s_cbranch_scc0 .LBB281_1444
; %bb.1440:
	global_load_ushort v1, v[16:17], off
	s_mov_b32 s0, 0x2f800000
	s_mov_b32 s1, 0xcf800000
	s_mov_b64 s[10:11], -1
	s_waitcnt vmcnt(0)
	v_lshlrev_b32_e32 v1, 16, v1
	v_trunc_f32_e32 v1, v1
	v_mul_f32_e64 v3, |v1|, s0
	v_floor_f32_e32 v3, v3
	v_fma_f32 v3, v3, s1, |v1|
	v_cvt_u32_f32_e32 v3, v3
	v_ashrrev_i32_e32 v1, 31, v1
	s_mov_b64 s[0:1], 0
	v_xor_b32_e32 v3, v3, v1
	v_sub_u32_e32 v12, v3, v1
	s_branch .LBB281_1445
.LBB281_1441:
	s_mov_b64 s[12:13], -1
                                        ; implicit-def: $vgpr12
	s_branch .LBB281_1446
.LBB281_1442:
	s_andn2_saveexec_b64 s[8:9], s[8:9]
	s_cbranch_execz .LBB281_1423
.LBB281_1443:
	v_cmp_ne_u16_e32 vcc, 0, v1
	s_andn2_b64 s[10:11], s[10:11], exec
	s_and_b64 s[12:13], vcc, exec
	s_or_b64 s[10:11], s[10:11], s[12:13]
	s_or_b64 exec, exec, s[8:9]
	v_mov_b32_e32 v12, 0
	s_and_saveexec_b64 s[8:9], s[10:11]
	s_cbranch_execnz .LBB281_1424
	s_branch .LBB281_1425
.LBB281_1444:
	s_mov_b64 s[0:1], -1
                                        ; implicit-def: $vgpr12
.LBB281_1445:
	s_mov_b64 s[12:13], 0
.LBB281_1446:
	s_and_b64 vcc, exec, s[12:13]
	s_cbranch_vccz .LBB281_1448
; %bb.1447:
	s_cmp_lg_u32 s15, 11
	s_mov_b64 s[8:9], -1
	s_cselect_b64 s[0:1], -1, 0
.LBB281_1448:
	s_and_b64 vcc, exec, s[0:1]
	s_cbranch_vccnz .LBB281_1511
; %bb.1449:
	s_andn2_b64 vcc, exec, s[8:9]
	s_cbranch_vccnz .LBB281_1451
.LBB281_1450:
	global_load_ubyte v1, v[16:17], off
	s_mov_b64 s[10:11], -1
	s_waitcnt vmcnt(0)
	v_cmp_ne_u16_e32 vcc, 0, v1
	s_nop 1
	v_cndmask_b32_e64 v12, 0, 1, vcc
.LBB281_1451:
	s_branch .LBB281_1383
.LBB281_1452:
	s_cmp_lt_i32 s15, 5
	s_cbranch_scc1 .LBB281_1457
; %bb.1453:
	s_cmp_lt_i32 s15, 8
	s_cbranch_scc1 .LBB281_1458
; %bb.1454:
	s_cmp_lt_i32 s15, 9
	s_cbranch_scc1 .LBB281_1459
; %bb.1455:
	s_cmp_gt_i32 s15, 9
	s_cbranch_scc0 .LBB281_1460
; %bb.1456:
	global_load_dwordx2 v[12:13], v[16:17], off
	s_movk_i32 s0, 0xffe0
	s_waitcnt vmcnt(0)
	v_trunc_f64_e32 v[12:13], v[12:13]
	v_ldexp_f64 v[18:19], v[12:13], s0
	v_floor_f64_e32 v[18:19], v[18:19]
	v_fmac_f64_e32 v[12:13], 0xc1f00000, v[18:19]
	v_cvt_u32_f64_e32 v12, v[12:13]
	s_mov_b64 s[0:1], 0
	s_branch .LBB281_1461
.LBB281_1457:
	s_mov_b64 s[0:1], -1
                                        ; implicit-def: $vgpr12
	s_branch .LBB281_1479
.LBB281_1458:
	s_mov_b64 s[0:1], -1
                                        ; implicit-def: $vgpr12
	s_branch .LBB281_1467
.LBB281_1459:
	s_mov_b64 s[0:1], -1
                                        ; implicit-def: $vgpr12
	s_branch .LBB281_1464
.LBB281_1460:
	s_mov_b64 s[0:1], -1
                                        ; implicit-def: $vgpr12
.LBB281_1461:
	s_andn2_b64 vcc, exec, s[0:1]
	s_cbranch_vccnz .LBB281_1463
; %bb.1462:
	global_load_dword v1, v[16:17], off
	s_mov_b32 s0, 0x2f800000
	s_waitcnt vmcnt(0)
	v_trunc_f32_e32 v1, v1
	v_mul_f32_e64 v3, |v1|, s0
	v_floor_f32_e32 v3, v3
	s_mov_b32 s0, 0xcf800000
	v_fma_f32 v3, v3, s0, |v1|
	v_cvt_u32_f32_e32 v3, v3
	v_ashrrev_i32_e32 v1, 31, v1
	v_xor_b32_e32 v3, v3, v1
	v_sub_u32_e32 v12, v3, v1
.LBB281_1463:
	s_mov_b64 s[0:1], 0
.LBB281_1464:
	s_andn2_b64 vcc, exec, s[0:1]
	s_cbranch_vccnz .LBB281_1466
; %bb.1465:
	global_load_dword v1, v[16:17], off
	s_waitcnt vmcnt(0)
	v_cvt_f32_f16_e32 v1, v1
	v_cvt_i32_f32_e32 v12, v1
.LBB281_1466:
	s_mov_b64 s[0:1], 0
.LBB281_1467:
	s_andn2_b64 vcc, exec, s[0:1]
	s_cbranch_vccnz .LBB281_1478
; %bb.1468:
	s_cmp_lt_i32 s15, 6
	s_cbranch_scc1 .LBB281_1471
; %bb.1469:
	s_cmp_gt_i32 s15, 6
	s_cbranch_scc0 .LBB281_1472
; %bb.1470:
	global_load_dwordx2 v[12:13], v[16:17], off
	s_movk_i32 s0, 0xffe0
	s_waitcnt vmcnt(0)
	v_trunc_f64_e32 v[12:13], v[12:13]
	v_ldexp_f64 v[18:19], v[12:13], s0
	v_floor_f64_e32 v[18:19], v[18:19]
	v_fmac_f64_e32 v[12:13], 0xc1f00000, v[18:19]
	v_cvt_u32_f64_e32 v12, v[12:13]
	s_mov_b64 s[0:1], 0
	s_branch .LBB281_1473
.LBB281_1471:
	s_mov_b64 s[0:1], -1
                                        ; implicit-def: $vgpr12
	s_branch .LBB281_1476
.LBB281_1472:
	s_mov_b64 s[0:1], -1
                                        ; implicit-def: $vgpr12
.LBB281_1473:
	s_andn2_b64 vcc, exec, s[0:1]
	s_cbranch_vccnz .LBB281_1475
; %bb.1474:
	global_load_dword v1, v[16:17], off
	s_mov_b32 s0, 0x2f800000
	s_waitcnt vmcnt(0)
	v_trunc_f32_e32 v1, v1
	v_mul_f32_e64 v3, |v1|, s0
	v_floor_f32_e32 v3, v3
	s_mov_b32 s0, 0xcf800000
	v_fma_f32 v3, v3, s0, |v1|
	v_cvt_u32_f32_e32 v3, v3
	v_ashrrev_i32_e32 v1, 31, v1
	v_xor_b32_e32 v3, v3, v1
	v_sub_u32_e32 v12, v3, v1
.LBB281_1475:
	s_mov_b64 s[0:1], 0
.LBB281_1476:
	s_andn2_b64 vcc, exec, s[0:1]
	s_cbranch_vccnz .LBB281_1478
; %bb.1477:
	global_load_ushort v1, v[16:17], off
	s_waitcnt vmcnt(0)
	v_cvt_f32_f16_e32 v1, v1
	v_cvt_i32_f32_e32 v12, v1
.LBB281_1478:
	s_mov_b64 s[0:1], 0
.LBB281_1479:
	s_andn2_b64 vcc, exec, s[0:1]
	s_cbranch_vccnz .LBB281_1499
; %bb.1480:
	s_cmp_lt_i32 s15, 2
	s_cbranch_scc1 .LBB281_1484
; %bb.1481:
	s_cmp_lt_i32 s15, 3
	s_cbranch_scc1 .LBB281_1485
; %bb.1482:
	s_cmp_gt_i32 s15, 3
	s_cbranch_scc0 .LBB281_1486
; %bb.1483:
	global_load_dwordx2 v[12:13], v[16:17], off
	s_mov_b64 s[0:1], 0
	s_branch .LBB281_1487
.LBB281_1484:
	s_mov_b64 s[0:1], -1
                                        ; implicit-def: $vgpr12
	s_branch .LBB281_1493
.LBB281_1485:
	s_mov_b64 s[0:1], -1
                                        ; implicit-def: $vgpr12
	s_branch .LBB281_1490
.LBB281_1486:
	s_mov_b64 s[0:1], -1
                                        ; implicit-def: $vgpr12
.LBB281_1487:
	s_andn2_b64 vcc, exec, s[0:1]
	s_cbranch_vccnz .LBB281_1489
; %bb.1488:
	global_load_dword v12, v[16:17], off
.LBB281_1489:
	s_mov_b64 s[0:1], 0
.LBB281_1490:
	s_andn2_b64 vcc, exec, s[0:1]
	s_cbranch_vccnz .LBB281_1492
; %bb.1491:
	global_load_ushort v12, v[16:17], off
.LBB281_1492:
	s_mov_b64 s[0:1], 0
.LBB281_1493:
	s_andn2_b64 vcc, exec, s[0:1]
	s_cbranch_vccnz .LBB281_1499
; %bb.1494:
	s_cmp_gt_i32 s15, 0
	s_cbranch_scc0 .LBB281_1496
; %bb.1495:
	global_load_ubyte v12, v[16:17], off
	s_mov_b64 s[0:1], 0
	s_branch .LBB281_1497
.LBB281_1496:
	s_mov_b64 s[0:1], -1
                                        ; implicit-def: $vgpr12
.LBB281_1497:
	s_andn2_b64 vcc, exec, s[0:1]
	s_cbranch_vccnz .LBB281_1499
; %bb.1498:
	global_load_ubyte v12, v[16:17], off
.LBB281_1499:
.LBB281_1500:
	v_mov_b32_e32 v15, 0
	s_cmp_lt_i32 s15, 11
	v_lshl_add_u64 v[16:17], s[6:7], 0, v[14:15]
	s_cbranch_scc1 .LBB281_1507
; %bb.1501:
	s_cmp_gt_i32 s15, 25
	s_mov_b64 s[6:7], 0
	s_cbranch_scc0 .LBB281_1508
; %bb.1502:
	s_cmp_gt_i32 s15, 28
	s_cbranch_scc0 .LBB281_1509
; %bb.1503:
	s_cmp_gt_i32 s15, 43
	;; [unrolled: 3-line block ×3, first 2 shown]
	s_cbranch_scc0 .LBB281_1512
; %bb.1505:
	s_cmp_eq_u32 s15, 46
	s_mov_b64 s[10:11], 0
	s_cbranch_scc0 .LBB281_1513
; %bb.1506:
	global_load_dword v1, v[16:17], off
	s_mov_b32 s0, 0x2f800000
	s_mov_b32 s1, 0xcf800000
	s_mov_b64 s[8:9], -1
	s_waitcnt vmcnt(0)
	v_lshlrev_b32_e32 v1, 16, v1
	v_trunc_f32_e32 v1, v1
	v_mul_f32_e64 v3, |v1|, s0
	v_floor_f32_e32 v3, v3
	v_fma_f32 v3, v3, s1, |v1|
	v_cvt_u32_f32_e32 v3, v3
	v_ashrrev_i32_e32 v1, 31, v1
	s_mov_b64 s[0:1], 0
	v_xor_b32_e32 v3, v3, v1
	v_sub_u32_e32 v14, v3, v1
	s_branch .LBB281_1514
.LBB281_1507:
	s_mov_b64 s[0:1], -1
	s_mov_b64 s[8:9], 0
                                        ; implicit-def: $vgpr14
	s_branch .LBB281_1576
.LBB281_1508:
	s_mov_b64 s[10:11], -1
	s_mov_b64 s[8:9], 0
	s_mov_b64 s[0:1], 0
                                        ; implicit-def: $vgpr14
	s_branch .LBB281_1541
.LBB281_1509:
	s_mov_b64 s[10:11], -1
	s_mov_b64 s[8:9], 0
	s_mov_b64 s[0:1], 0
                                        ; implicit-def: $vgpr14
	s_branch .LBB281_1524
.LBB281_1510:
	s_mov_b64 s[10:11], -1
	s_mov_b64 s[8:9], 0
	s_mov_b64 s[0:1], 0
                                        ; implicit-def: $vgpr14
	s_branch .LBB281_1519
.LBB281_1511:
	s_trap 2
	s_or_b64 s[2:3], s[2:3], exec
	s_cbranch_execz .LBB281_1450
	s_branch .LBB281_1451
.LBB281_1512:
	s_mov_b64 s[10:11], -1
	s_mov_b64 s[8:9], 0
	s_mov_b64 s[0:1], 0
                                        ; implicit-def: $vgpr14
	s_branch .LBB281_1514
.LBB281_1513:
	s_mov_b64 s[0:1], -1
                                        ; implicit-def: $vgpr14
	s_mov_b64 s[8:9], 0
.LBB281_1514:
	s_and_b64 vcc, exec, s[10:11]
	s_cbranch_vccz .LBB281_1518
; %bb.1515:
	s_cmp_eq_u32 s15, 44
	s_cbranch_scc0 .LBB281_1517
; %bb.1516:
	global_load_ubyte v1, v[16:17], off
	s_mov_b32 s0, 0x2f800000
	s_mov_b32 s1, 0xcf800000
	s_mov_b64 s[8:9], -1
	s_waitcnt vmcnt(0)
	v_lshlrev_b32_e32 v3, 23, v1
	v_trunc_f32_e32 v3, v3
	v_mul_f32_e64 v5, |v3|, s0
	v_floor_f32_e32 v5, v5
	v_fma_f32 v5, v5, s1, |v3|
	v_cvt_u32_f32_e32 v5, v5
	v_ashrrev_i32_e32 v3, 31, v3
	v_cmp_ne_u32_e32 vcc, 0, v1
	s_mov_b64 s[0:1], 0
	v_xor_b32_e32 v5, v5, v3
	v_sub_u32_e32 v3, v5, v3
	v_cndmask_b32_e32 v14, 0, v3, vcc
	s_branch .LBB281_1518
.LBB281_1517:
	s_mov_b64 s[0:1], -1
                                        ; implicit-def: $vgpr14
.LBB281_1518:
	s_mov_b64 s[10:11], 0
.LBB281_1519:
	s_and_b64 vcc, exec, s[10:11]
	s_cbranch_vccz .LBB281_1523
; %bb.1520:
	s_cmp_eq_u32 s15, 29
	s_cbranch_scc0 .LBB281_1522
; %bb.1521:
	global_load_dwordx2 v[14:15], v[16:17], off
	s_mov_b64 s[0:1], 0
	s_mov_b64 s[8:9], -1
	s_branch .LBB281_1523
.LBB281_1522:
	s_mov_b64 s[0:1], -1
                                        ; implicit-def: $vgpr14
.LBB281_1523:
	s_mov_b64 s[10:11], 0
.LBB281_1524:
	s_and_b64 vcc, exec, s[10:11]
	s_cbranch_vccz .LBB281_1540
; %bb.1525:
	s_cmp_lt_i32 s15, 27
	s_cbranch_scc1 .LBB281_1528
; %bb.1526:
	s_cmp_gt_i32 s15, 27
	s_cbranch_scc0 .LBB281_1529
; %bb.1527:
	global_load_dword v14, v[16:17], off
	s_mov_b64 s[8:9], 0
	s_branch .LBB281_1530
.LBB281_1528:
	s_mov_b64 s[8:9], -1
                                        ; implicit-def: $vgpr14
	s_branch .LBB281_1533
.LBB281_1529:
	s_mov_b64 s[8:9], -1
                                        ; implicit-def: $vgpr14
.LBB281_1530:
	s_andn2_b64 vcc, exec, s[8:9]
	s_cbranch_vccnz .LBB281_1532
; %bb.1531:
	global_load_ushort v14, v[16:17], off
.LBB281_1532:
	s_mov_b64 s[8:9], 0
.LBB281_1533:
	s_andn2_b64 vcc, exec, s[8:9]
	s_cbranch_vccnz .LBB281_1539
; %bb.1534:
	global_load_ubyte v1, v[16:17], off
	s_movk_i32 s8, 0x7f
	s_mov_b64 s[10:11], 0
	s_waitcnt vmcnt(0)
	v_cmp_lt_i16_e32 vcc, s8, v1
	s_and_saveexec_b64 s[8:9], vcc
	s_xor_b64 s[8:9], exec, s[8:9]
	s_cbranch_execz .LBB281_1551
; %bb.1535:
	s_movk_i32 s10, 0x80
	v_cmp_ne_u16_e32 vcc, s10, v1
	s_and_b64 s[10:11], vcc, exec
	s_andn2_saveexec_b64 s[8:9], s[8:9]
	s_cbranch_execnz .LBB281_1552
.LBB281_1536:
	s_or_b64 exec, exec, s[8:9]
	v_mov_b32_e32 v14, 0
	s_and_saveexec_b64 s[8:9], s[10:11]
	s_cbranch_execz .LBB281_1538
.LBB281_1537:
	v_lshlrev_b32_e32 v3, 24, v1
	v_and_b32_e32 v1, 0xffff, v1
	v_and_b32_e32 v5, 7, v1
	v_ffbh_u32_e32 v9, v5
	v_min_u32_e32 v9, 32, v9
	v_subrev_u32_e32 v11, 28, v9
	v_bfe_u32 v7, v1, 3, 4
	v_lshlrev_b32_e32 v1, v11, v1
	v_sub_u32_e32 v9, 29, v9
	v_and_b32_e32 v1, 7, v1
	v_cmp_eq_u32_e32 vcc, 0, v7
	v_and_b32_e32 v3, 0x80000000, v3
	s_mov_b32 s10, 0x2f800000
	v_cndmask_b32_e32 v7, v7, v9, vcc
	v_cndmask_b32_e32 v1, v5, v1, vcc
	v_mov_b32_e32 v5, 0x3b800000
	v_lshlrev_b32_e32 v1, 20, v1
	v_lshl_add_u32 v5, v7, 23, v5
	v_or3_b32 v1, v3, v5, v1
	v_trunc_f32_e32 v1, v1
	v_mul_f32_e64 v3, |v1|, s10
	v_floor_f32_e32 v3, v3
	s_mov_b32 s10, 0xcf800000
	v_fma_f32 v3, v3, s10, |v1|
	v_cvt_u32_f32_e32 v3, v3
	v_ashrrev_i32_e32 v1, 31, v1
	v_xor_b32_e32 v3, v3, v1
	v_sub_u32_e32 v14, v3, v1
.LBB281_1538:
	s_or_b64 exec, exec, s[8:9]
.LBB281_1539:
	s_mov_b64 s[8:9], -1
.LBB281_1540:
	s_mov_b64 s[10:11], 0
.LBB281_1541:
	s_and_b64 vcc, exec, s[10:11]
	s_cbranch_vccz .LBB281_1572
; %bb.1542:
	s_cmp_gt_i32 s15, 22
	s_cbranch_scc0 .LBB281_1550
; %bb.1543:
	s_cmp_lt_i32 s15, 24
	s_cbranch_scc1 .LBB281_1553
; %bb.1544:
	s_cmp_gt_i32 s15, 24
	s_cbranch_scc0 .LBB281_1554
; %bb.1545:
	global_load_ubyte v1, v[16:17], off
	s_movk_i32 s6, 0x7f
	s_mov_b64 s[8:9], 0
	s_waitcnt vmcnt(0)
	v_cmp_lt_i16_e32 vcc, s6, v1
	s_and_saveexec_b64 s[6:7], vcc
	s_xor_b64 s[6:7], exec, s[6:7]
	s_cbranch_execz .LBB281_1566
; %bb.1546:
	s_movk_i32 s8, 0x80
	v_cmp_ne_u16_e32 vcc, s8, v1
	s_and_b64 s[8:9], vcc, exec
	s_andn2_saveexec_b64 s[6:7], s[6:7]
	s_cbranch_execnz .LBB281_1567
.LBB281_1547:
	s_or_b64 exec, exec, s[6:7]
	v_mov_b32_e32 v14, 0
	s_and_saveexec_b64 s[6:7], s[8:9]
	s_cbranch_execz .LBB281_1549
.LBB281_1548:
	v_lshlrev_b32_e32 v3, 24, v1
	v_and_b32_e32 v1, 0xffff, v1
	v_and_b32_e32 v5, 3, v1
	v_ffbh_u32_e32 v9, v5
	v_min_u32_e32 v9, 32, v9
	v_subrev_u32_e32 v11, 29, v9
	v_bfe_u32 v7, v1, 2, 5
	v_lshlrev_b32_e32 v1, v11, v1
	v_sub_u32_e32 v9, 30, v9
	v_and_b32_e32 v1, 3, v1
	v_cmp_eq_u32_e32 vcc, 0, v7
	v_and_b32_e32 v3, 0x80000000, v3
	s_mov_b32 s8, 0x2f800000
	v_cndmask_b32_e32 v7, v7, v9, vcc
	v_cndmask_b32_e32 v1, v5, v1, vcc
	v_mov_b32_e32 v5, 0x37800000
	v_lshlrev_b32_e32 v1, 21, v1
	v_lshl_add_u32 v5, v7, 23, v5
	v_or3_b32 v1, v3, v5, v1
	v_trunc_f32_e32 v1, v1
	v_mul_f32_e64 v3, |v1|, s8
	v_floor_f32_e32 v3, v3
	s_mov_b32 s8, 0xcf800000
	v_fma_f32 v3, v3, s8, |v1|
	v_cvt_u32_f32_e32 v3, v3
	v_ashrrev_i32_e32 v1, 31, v1
	v_xor_b32_e32 v3, v3, v1
	v_sub_u32_e32 v14, v3, v1
.LBB281_1549:
	s_or_b64 exec, exec, s[6:7]
	s_mov_b64 s[6:7], 0
	s_branch .LBB281_1555
.LBB281_1550:
	s_mov_b64 s[6:7], -1
                                        ; implicit-def: $vgpr14
	s_branch .LBB281_1561
.LBB281_1551:
	s_andn2_saveexec_b64 s[8:9], s[8:9]
	s_cbranch_execz .LBB281_1536
.LBB281_1552:
	v_cmp_ne_u16_e32 vcc, 0, v1
	s_andn2_b64 s[10:11], s[10:11], exec
	s_and_b64 s[12:13], vcc, exec
	s_or_b64 s[10:11], s[10:11], s[12:13]
	s_or_b64 exec, exec, s[8:9]
	v_mov_b32_e32 v14, 0
	s_and_saveexec_b64 s[8:9], s[10:11]
	s_cbranch_execnz .LBB281_1537
	s_branch .LBB281_1538
.LBB281_1553:
	s_mov_b64 s[6:7], -1
                                        ; implicit-def: $vgpr14
	s_branch .LBB281_1558
.LBB281_1554:
	s_mov_b64 s[6:7], -1
                                        ; implicit-def: $vgpr14
.LBB281_1555:
	s_and_b64 vcc, exec, s[6:7]
	s_cbranch_vccz .LBB281_1557
; %bb.1556:
	global_load_ubyte v1, v[16:17], off
	s_mov_b32 s6, 0x7f800000
	s_brev_b32 s7, 1
	s_mov_b32 s8, 0x2f800000
	s_waitcnt vmcnt(0)
	v_lshlrev_b32_e32 v1, 24, v1
	v_and_b32_e32 v3, 0x7f000000, v1
	v_ffbh_u32_e32 v5, v3
	v_min_u32_e32 v5, 32, v5
	v_sub_u32_e64 v5, v5, 4 clamp
	v_lshlrev_b32_e32 v9, v5, v3
	v_lshlrev_b32_e32 v5, 23, v5
	v_lshrrev_b32_e32 v9, 4, v9
	v_add_u32_e32 v7, 0x1000000, v3
	v_sub_u32_e32 v5, v9, v5
	v_ashrrev_i32_e32 v7, 8, v7
	v_add_u32_e32 v5, 0x3c000000, v5
	v_and_or_b32 v5, v7, s6, v5
	v_cmp_ne_u32_e32 vcc, 0, v3
	s_mov_b32 s6, 0xcf800000
	s_nop 0
	v_cndmask_b32_e32 v3, 0, v5, vcc
	v_and_or_b32 v1, v1, s7, v3
	v_trunc_f32_e32 v1, v1
	v_mul_f32_e64 v3, |v1|, s8
	v_floor_f32_e32 v3, v3
	v_fma_f32 v3, v3, s6, |v1|
	v_cvt_u32_f32_e32 v3, v3
	v_ashrrev_i32_e32 v1, 31, v1
	v_xor_b32_e32 v3, v3, v1
	v_sub_u32_e32 v14, v3, v1
.LBB281_1557:
	s_mov_b64 s[6:7], 0
.LBB281_1558:
	s_andn2_b64 vcc, exec, s[6:7]
	s_cbranch_vccnz .LBB281_1560
; %bb.1559:
	global_load_ubyte v1, v[16:17], off
	s_movk_i32 s6, 0x7f00
	s_brev_b32 s7, 16
	s_brev_b32 s8, 1
	s_mov_b32 s9, 0x2f800000
	s_waitcnt vmcnt(0)
	v_lshlrev_b16_e32 v3, 8, v1
	v_lshlrev_b32_e32 v1, 25, v1
	v_lshrrev_b32_e32 v5, 4, v1
	v_and_or_b32 v7, v3, s6, 0.5
	v_or_b32_e32 v5, 0x70000000, v5
	v_add_f32_e32 v7, -0.5, v7
	v_mul_f32_e32 v5, 0x7800000, v5
	v_cmp_gt_u32_e32 vcc, s7, v1
	v_bfe_i32 v3, v3, 0, 16
	s_mov_b32 s6, 0xcf800000
	v_cndmask_b32_e32 v1, v5, v7, vcc
	v_and_or_b32 v1, v3, s8, v1
	v_trunc_f32_e32 v1, v1
	v_mul_f32_e64 v3, |v1|, s9
	v_floor_f32_e32 v3, v3
	v_fma_f32 v3, v3, s6, |v1|
	v_cvt_u32_f32_e32 v3, v3
	v_ashrrev_i32_e32 v1, 31, v1
	v_xor_b32_e32 v3, v3, v1
	v_sub_u32_e32 v14, v3, v1
.LBB281_1560:
	s_mov_b64 s[6:7], 0
	s_mov_b64 s[8:9], -1
.LBB281_1561:
	s_andn2_b64 vcc, exec, s[6:7]
	s_mov_b64 s[6:7], 0
	s_cbranch_vccnz .LBB281_1572
; %bb.1562:
	s_cmp_gt_i32 s15, 14
	s_cbranch_scc0 .LBB281_1565
; %bb.1563:
	s_cmp_eq_u32 s15, 15
	s_cbranch_scc0 .LBB281_1568
; %bb.1564:
	global_load_ushort v1, v[16:17], off
	s_mov_b32 s0, 0x2f800000
	s_mov_b32 s1, 0xcf800000
	s_mov_b64 s[8:9], -1
	s_waitcnt vmcnt(0)
	v_lshlrev_b32_e32 v1, 16, v1
	v_trunc_f32_e32 v1, v1
	v_mul_f32_e64 v3, |v1|, s0
	v_floor_f32_e32 v3, v3
	v_fma_f32 v3, v3, s1, |v1|
	v_cvt_u32_f32_e32 v3, v3
	v_ashrrev_i32_e32 v1, 31, v1
	s_mov_b64 s[0:1], 0
	v_xor_b32_e32 v3, v3, v1
	v_sub_u32_e32 v14, v3, v1
	s_branch .LBB281_1569
.LBB281_1565:
	s_mov_b64 s[10:11], -1
                                        ; implicit-def: $vgpr14
	s_branch .LBB281_1570
.LBB281_1566:
	s_andn2_saveexec_b64 s[6:7], s[6:7]
	s_cbranch_execz .LBB281_1547
.LBB281_1567:
	v_cmp_ne_u16_e32 vcc, 0, v1
	s_andn2_b64 s[8:9], s[8:9], exec
	s_and_b64 s[10:11], vcc, exec
	s_or_b64 s[8:9], s[8:9], s[10:11]
	s_or_b64 exec, exec, s[6:7]
	v_mov_b32_e32 v14, 0
	s_and_saveexec_b64 s[6:7], s[8:9]
	s_cbranch_execnz .LBB281_1548
	s_branch .LBB281_1549
.LBB281_1568:
	s_mov_b64 s[0:1], -1
                                        ; implicit-def: $vgpr14
.LBB281_1569:
	s_mov_b64 s[10:11], 0
.LBB281_1570:
	s_and_b64 vcc, exec, s[10:11]
	s_cbranch_vccz .LBB281_1572
; %bb.1571:
	s_cmp_lg_u32 s15, 11
	s_mov_b64 s[6:7], -1
	s_cselect_b64 s[0:1], -1, 0
.LBB281_1572:
	s_and_b64 vcc, exec, s[0:1]
	s_cbranch_vccnz .LBB281_2105
; %bb.1573:
	s_andn2_b64 vcc, exec, s[6:7]
	s_cbranch_vccnz .LBB281_1575
.LBB281_1574:
	global_load_ubyte v1, v[16:17], off
	s_mov_b64 s[8:9], -1
	s_waitcnt vmcnt(0)
	v_cmp_ne_u16_e32 vcc, 0, v1
	s_nop 1
	v_cndmask_b32_e64 v14, 0, 1, vcc
.LBB281_1575:
	s_mov_b64 s[0:1], 0
.LBB281_1576:
	s_and_b64 vcc, exec, s[0:1]
	s_cbranch_vccz .LBB281_1625
; %bb.1577:
	s_cmp_lt_i32 s15, 5
	s_cbranch_scc1 .LBB281_1582
; %bb.1578:
	s_cmp_lt_i32 s15, 8
	s_cbranch_scc1 .LBB281_1583
	;; [unrolled: 3-line block ×3, first 2 shown]
; %bb.1580:
	s_cmp_gt_i32 s15, 9
	s_cbranch_scc0 .LBB281_1585
; %bb.1581:
	global_load_dwordx2 v[14:15], v[16:17], off
	s_movk_i32 s0, 0xffe0
	s_waitcnt vmcnt(0)
	v_trunc_f64_e32 v[14:15], v[14:15]
	v_ldexp_f64 v[18:19], v[14:15], s0
	v_floor_f64_e32 v[18:19], v[18:19]
	v_fmac_f64_e32 v[14:15], 0xc1f00000, v[18:19]
	v_cvt_u32_f64_e32 v14, v[14:15]
	s_mov_b64 s[0:1], 0
	s_branch .LBB281_1586
.LBB281_1582:
	s_mov_b64 s[0:1], -1
                                        ; implicit-def: $vgpr14
	s_branch .LBB281_1604
.LBB281_1583:
	s_mov_b64 s[0:1], -1
                                        ; implicit-def: $vgpr14
	s_branch .LBB281_1592
.LBB281_1584:
	s_mov_b64 s[0:1], -1
                                        ; implicit-def: $vgpr14
	s_branch .LBB281_1589
.LBB281_1585:
	s_mov_b64 s[0:1], -1
                                        ; implicit-def: $vgpr14
.LBB281_1586:
	s_andn2_b64 vcc, exec, s[0:1]
	s_cbranch_vccnz .LBB281_1588
; %bb.1587:
	global_load_dword v1, v[16:17], off
	s_mov_b32 s0, 0x2f800000
	s_waitcnt vmcnt(0)
	v_trunc_f32_e32 v1, v1
	v_mul_f32_e64 v3, |v1|, s0
	v_floor_f32_e32 v3, v3
	s_mov_b32 s0, 0xcf800000
	v_fma_f32 v3, v3, s0, |v1|
	v_cvt_u32_f32_e32 v3, v3
	v_ashrrev_i32_e32 v1, 31, v1
	v_xor_b32_e32 v3, v3, v1
	v_sub_u32_e32 v14, v3, v1
.LBB281_1588:
	s_mov_b64 s[0:1], 0
.LBB281_1589:
	s_andn2_b64 vcc, exec, s[0:1]
	s_cbranch_vccnz .LBB281_1591
; %bb.1590:
	global_load_dword v1, v[16:17], off
	s_waitcnt vmcnt(0)
	v_cvt_f32_f16_e32 v1, v1
	v_cvt_i32_f32_e32 v14, v1
.LBB281_1591:
	s_mov_b64 s[0:1], 0
.LBB281_1592:
	s_andn2_b64 vcc, exec, s[0:1]
	s_cbranch_vccnz .LBB281_1603
; %bb.1593:
	s_cmp_lt_i32 s15, 6
	s_cbranch_scc1 .LBB281_1596
; %bb.1594:
	s_cmp_gt_i32 s15, 6
	s_cbranch_scc0 .LBB281_1597
; %bb.1595:
	global_load_dwordx2 v[14:15], v[16:17], off
	s_movk_i32 s0, 0xffe0
	s_waitcnt vmcnt(0)
	v_trunc_f64_e32 v[14:15], v[14:15]
	v_ldexp_f64 v[18:19], v[14:15], s0
	v_floor_f64_e32 v[18:19], v[18:19]
	v_fmac_f64_e32 v[14:15], 0xc1f00000, v[18:19]
	v_cvt_u32_f64_e32 v14, v[14:15]
	s_mov_b64 s[0:1], 0
	s_branch .LBB281_1598
.LBB281_1596:
	s_mov_b64 s[0:1], -1
                                        ; implicit-def: $vgpr14
	s_branch .LBB281_1601
.LBB281_1597:
	s_mov_b64 s[0:1], -1
                                        ; implicit-def: $vgpr14
.LBB281_1598:
	s_andn2_b64 vcc, exec, s[0:1]
	s_cbranch_vccnz .LBB281_1600
; %bb.1599:
	global_load_dword v1, v[16:17], off
	s_mov_b32 s0, 0x2f800000
	s_waitcnt vmcnt(0)
	v_trunc_f32_e32 v1, v1
	v_mul_f32_e64 v3, |v1|, s0
	v_floor_f32_e32 v3, v3
	s_mov_b32 s0, 0xcf800000
	v_fma_f32 v3, v3, s0, |v1|
	v_cvt_u32_f32_e32 v3, v3
	v_ashrrev_i32_e32 v1, 31, v1
	v_xor_b32_e32 v3, v3, v1
	v_sub_u32_e32 v14, v3, v1
.LBB281_1600:
	s_mov_b64 s[0:1], 0
.LBB281_1601:
	s_andn2_b64 vcc, exec, s[0:1]
	s_cbranch_vccnz .LBB281_1603
; %bb.1602:
	global_load_ushort v1, v[16:17], off
	s_waitcnt vmcnt(0)
	v_cvt_f32_f16_e32 v1, v1
	v_cvt_i32_f32_e32 v14, v1
.LBB281_1603:
	s_mov_b64 s[0:1], 0
.LBB281_1604:
	s_andn2_b64 vcc, exec, s[0:1]
	s_cbranch_vccnz .LBB281_1624
; %bb.1605:
	s_cmp_lt_i32 s15, 2
	s_cbranch_scc1 .LBB281_1609
; %bb.1606:
	s_cmp_lt_i32 s15, 3
	s_cbranch_scc1 .LBB281_1610
; %bb.1607:
	s_cmp_gt_i32 s15, 3
	s_cbranch_scc0 .LBB281_1611
; %bb.1608:
	global_load_dwordx2 v[14:15], v[16:17], off
	s_mov_b64 s[0:1], 0
	s_branch .LBB281_1612
.LBB281_1609:
	s_mov_b64 s[0:1], -1
                                        ; implicit-def: $vgpr14
	s_branch .LBB281_1618
.LBB281_1610:
	s_mov_b64 s[0:1], -1
                                        ; implicit-def: $vgpr14
	s_branch .LBB281_1615
.LBB281_1611:
	s_mov_b64 s[0:1], -1
                                        ; implicit-def: $vgpr14
.LBB281_1612:
	s_andn2_b64 vcc, exec, s[0:1]
	s_cbranch_vccnz .LBB281_1614
; %bb.1613:
	global_load_dword v14, v[16:17], off
.LBB281_1614:
	s_mov_b64 s[0:1], 0
.LBB281_1615:
	s_andn2_b64 vcc, exec, s[0:1]
	s_cbranch_vccnz .LBB281_1617
; %bb.1616:
	global_load_ushort v14, v[16:17], off
.LBB281_1617:
	s_mov_b64 s[0:1], 0
.LBB281_1618:
	s_andn2_b64 vcc, exec, s[0:1]
	s_cbranch_vccnz .LBB281_1624
; %bb.1619:
	s_cmp_gt_i32 s15, 0
	s_cbranch_scc0 .LBB281_1621
; %bb.1620:
	global_load_ubyte v14, v[16:17], off
	s_mov_b64 s[0:1], 0
	s_branch .LBB281_1622
.LBB281_1621:
	s_mov_b64 s[0:1], -1
                                        ; implicit-def: $vgpr14
.LBB281_1622:
	s_andn2_b64 vcc, exec, s[0:1]
	s_cbranch_vccnz .LBB281_1624
; %bb.1623:
	global_load_ubyte v14, v[16:17], off
.LBB281_1624:
	s_mov_b64 s[8:9], -1
.LBB281_1625:
	s_andn2_b64 vcc, exec, s[8:9]
	s_cbranch_vccnz .LBB281_2059
; %bb.1626:
	s_load_dword s0, s[34:35], 0x158
	s_bfe_u32 s17, s14, 0x80010
	s_waitcnt vmcnt(0)
	v_mov_b32_e32 v7, 0
	v_lshl_add_u64 v[6:7], s[4:5], 0, v[6:7]
	s_waitcnt lgkmcnt(0)
	s_and_b32 s15, s0, 0xff
	s_bfe_u32 s16, s0, 0x80008
	v_max_u16_sdwa v1, v8, s15 dst_sel:DWORD dst_unused:UNUSED_PAD src0_sel:BYTE_0 src1_sel:DWORD
	s_cmp_lt_i32 s17, 11
	v_min_u16_e32 v8, s16, v1
	s_cbranch_scc1 .LBB281_1704
; %bb.1627:
	s_and_b32 s18, 0xffff, s17
	s_mov_b64 s[10:11], -1
	s_mov_b64 s[6:7], 0
	s_cmp_gt_i32 s18, 25
	s_mov_b64 s[8:9], 0
	s_mov_b64 s[0:1], 0
	s_cbranch_scc0 .LBB281_1660
; %bb.1628:
	s_cmp_gt_i32 s18, 28
	s_cbranch_scc0 .LBB281_1643
; %bb.1629:
	s_cmp_gt_i32 s18, 43
	;; [unrolled: 3-line block ×3, first 2 shown]
	s_cbranch_scc0 .LBB281_1633
; %bb.1631:
	s_mov_b64 s[0:1], -1
	s_mov_b64 s[10:11], 0
	s_cmp_eq_u32 s18, 46
	s_cbranch_scc0 .LBB281_1633
; %bb.1632:
	v_cvt_f32_ubyte0_e32 v1, v8
	v_bfe_u32 v3, v1, 16, 1
	s_movk_i32 s0, 0x7fff
	v_add3_u32 v1, v1, v3, s0
	v_lshrrev_b32_e32 v1, 16, v1
	global_store_dword v[6:7], v1, off
	s_mov_b64 s[0:1], 0
	s_mov_b64 s[8:9], -1
.LBB281_1633:
	s_and_b64 vcc, exec, s[10:11]
	s_cbranch_vccz .LBB281_1638
; %bb.1634:
	s_cmp_eq_u32 s18, 44
	s_mov_b64 s[0:1], -1
	s_cbranch_scc0 .LBB281_1638
; %bb.1635:
	v_cvt_f32_ubyte0_e32 v3, v8
	v_lshrrev_b32_e32 v1, 23, v3
	s_movk_i32 s0, 0xff
	v_cmp_ne_u32_e32 vcc, s0, v1
	v_mov_b32_e32 v5, 0xff
	s_and_saveexec_b64 s[8:9], vcc
; %bb.1636:
	s_mov_b32 s0, 0x3fffff
	v_and_b32_e32 v5, 0x400000, v3
	v_and_or_b32 v3, v3, s0, v1
	v_cmp_ne_u32_e32 vcc, 0, v5
	v_cmp_ne_u32_e64 s[0:1], 0, v3
	s_and_b64 s[0:1], vcc, s[0:1]
	s_nop 0
	v_cndmask_b32_e64 v3, 0, 1, s[0:1]
	v_add_u32_e32 v5, v1, v3
; %bb.1637:
	s_or_b64 exec, exec, s[8:9]
	s_mov_b64 s[0:1], 0
	s_mov_b64 s[8:9], -1
	global_store_byte v[6:7], v5, off
.LBB281_1638:
	s_mov_b64 s[10:11], 0
.LBB281_1639:
	s_and_b64 vcc, exec, s[10:11]
	s_cbranch_vccz .LBB281_1642
; %bb.1640:
	s_cmp_eq_u32 s18, 29
	s_mov_b64 s[0:1], -1
	s_cbranch_scc0 .LBB281_1642
; %bb.1641:
	s_mov_b32 s0, 0
	v_mov_b32_e32 v9, s0
	global_store_dwordx2 v[6:7], v[8:9], off
	s_mov_b64 s[0:1], 0
	s_mov_b64 s[8:9], -1
.LBB281_1642:
	s_mov_b64 s[10:11], 0
.LBB281_1643:
	s_and_b64 vcc, exec, s[10:11]
	s_cbranch_vccz .LBB281_1659
; %bb.1644:
	s_cmp_lt_i32 s18, 27
	s_mov_b64 s[8:9], -1
	s_cbranch_scc1 .LBB281_1650
; %bb.1645:
	s_cmp_gt_i32 s18, 27
	s_cbranch_scc0 .LBB281_1647
; %bb.1646:
	s_mov_b64 s[8:9], 0
	global_store_dword v[6:7], v8, off
.LBB281_1647:
	s_andn2_b64 vcc, exec, s[8:9]
	s_cbranch_vccnz .LBB281_1649
; %bb.1648:
	global_store_short v[6:7], v8, off
.LBB281_1649:
	s_mov_b64 s[8:9], 0
.LBB281_1650:
	s_andn2_b64 vcc, exec, s[8:9]
	s_cbranch_vccnz .LBB281_1658
; %bb.1651:
	v_cvt_f32_ubyte0_e32 v3, v8
	s_mov_b32 s8, 0x43800000
	v_cmp_gt_u32_e32 vcc, s8, v3
	v_mov_b32_e32 v5, 0x80
	s_and_saveexec_b64 s[8:9], vcc
	s_cbranch_execz .LBB281_1657
; %bb.1652:
	s_mov_b32 s10, 0x3bffffff
	v_cmp_lt_u32_e32 vcc, s10, v3
	s_mov_b64 s[10:11], 0
                                        ; implicit-def: $vgpr1
	s_and_saveexec_b64 s[12:13], vcc
	s_xor_b64 s[12:13], exec, s[12:13]
	s_cbranch_execz .LBB281_2106
; %bb.1653:
	v_bfe_u32 v1, v3, 20, 1
	s_mov_b32 s19, 0x487ffff
	v_add3_u32 v1, v3, v1, s19
	s_mov_b64 s[10:11], exec
	v_lshrrev_b32_e32 v1, 20, v1
                                        ; implicit-def: $vgpr3
	s_andn2_saveexec_b64 s[12:13], s[12:13]
	s_cbranch_execnz .LBB281_2107
.LBB281_1654:
	s_or_b64 exec, exec, s[12:13]
	v_mov_b32_e32 v5, 0
	s_and_saveexec_b64 s[12:13], s[10:11]
.LBB281_1655:
	v_mov_b32_e32 v5, v1
.LBB281_1656:
	s_or_b64 exec, exec, s[12:13]
.LBB281_1657:
	s_or_b64 exec, exec, s[8:9]
	global_store_byte v[6:7], v5, off
.LBB281_1658:
	s_mov_b64 s[8:9], -1
.LBB281_1659:
	s_mov_b64 s[10:11], 0
.LBB281_1660:
	s_and_b64 vcc, exec, s[10:11]
	s_cbranch_vccz .LBB281_1700
; %bb.1661:
	s_cmp_gt_i32 s18, 22
	s_mov_b64 s[6:7], -1
	s_cbranch_scc0 .LBB281_1693
; %bb.1662:
	s_cmp_lt_i32 s18, 24
	s_cbranch_scc1 .LBB281_1682
; %bb.1663:
	s_cmp_gt_i32 s18, 24
	s_cbranch_scc0 .LBB281_1671
; %bb.1664:
	v_cvt_f32_ubyte0_e32 v3, v8
	s_mov_b32 s6, 0x47800000
	v_cmp_gt_u32_e32 vcc, s6, v3
	v_mov_b32_e32 v5, 0x80
	s_and_saveexec_b64 s[6:7], vcc
	s_cbranch_execz .LBB281_1670
; %bb.1665:
	s_mov_b32 s8, 0x37ffffff
	v_cmp_lt_u32_e32 vcc, s8, v3
	s_mov_b64 s[8:9], 0
                                        ; implicit-def: $vgpr1
	s_and_saveexec_b64 s[10:11], vcc
	s_xor_b64 s[10:11], exec, s[10:11]
	s_cbranch_execz .LBB281_2109
; %bb.1666:
	v_bfe_u32 v1, v3, 21, 1
	s_mov_b32 s12, 0x88fffff
	v_add3_u32 v1, v3, v1, s12
	s_mov_b64 s[8:9], exec
	v_lshrrev_b32_e32 v1, 21, v1
                                        ; implicit-def: $vgpr3
	s_andn2_saveexec_b64 s[10:11], s[10:11]
	s_cbranch_execnz .LBB281_2110
.LBB281_1667:
	s_or_b64 exec, exec, s[10:11]
	v_mov_b32_e32 v5, 0
	s_and_saveexec_b64 s[10:11], s[8:9]
.LBB281_1668:
	v_mov_b32_e32 v5, v1
.LBB281_1669:
	s_or_b64 exec, exec, s[10:11]
.LBB281_1670:
	s_or_b64 exec, exec, s[6:7]
	s_mov_b64 s[6:7], 0
	global_store_byte v[6:7], v5, off
.LBB281_1671:
	s_and_b64 vcc, exec, s[6:7]
	s_cbranch_vccz .LBB281_1681
; %bb.1672:
	v_cvt_f32_ubyte0_e32 v1, v8
	s_mov_b32 s6, 0x43f00000
	v_cmp_gt_u32_e32 vcc, s6, v1
                                        ; implicit-def: $vgpr3
	s_and_saveexec_b64 s[6:7], vcc
	s_xor_b64 s[6:7], exec, s[6:7]
	s_cbranch_execz .LBB281_1678
; %bb.1673:
	s_mov_b32 s8, 0x3c7fffff
	v_cmp_lt_u32_e32 vcc, s8, v1
                                        ; implicit-def: $vgpr3
	s_and_saveexec_b64 s[8:9], vcc
	s_xor_b64 s[8:9], exec, s[8:9]
; %bb.1674:
	v_bfe_u32 v3, v1, 20, 1
	s_mov_b32 s10, 0x407ffff
	v_add3_u32 v1, v1, v3, s10
	v_lshrrev_b32_e32 v3, 20, v1
	v_and_b32_e32 v1, 0xff00000, v1
	s_mov_b32 s10, 0x7f00000
	v_mov_b32_e32 v5, 0x7e
	v_cmp_ne_u32_e32 vcc, s10, v1
                                        ; implicit-def: $vgpr1
	s_nop 1
	v_cndmask_b32_e32 v3, v5, v3, vcc
; %bb.1675:
	s_andn2_saveexec_b64 s[8:9], s[8:9]
; %bb.1676:
	v_add_f32_e32 v3, 0x46800000, v1
; %bb.1677:
	s_or_b64 exec, exec, s[8:9]
                                        ; implicit-def: $vgpr1
.LBB281_1678:
	s_andn2_saveexec_b64 s[6:7], s[6:7]
; %bb.1679:
	s_mov_b32 s8, 0x7f800000
	v_mov_b32_e32 v3, 0x7e
	v_mov_b32_e32 v5, 0x7f
	v_cmp_lt_u32_e32 vcc, s8, v1
	s_nop 1
	v_cndmask_b32_e32 v3, v3, v5, vcc
; %bb.1680:
	s_or_b64 exec, exec, s[6:7]
	global_store_byte v[6:7], v3, off
.LBB281_1681:
	s_mov_b64 s[6:7], 0
.LBB281_1682:
	s_andn2_b64 vcc, exec, s[6:7]
	s_cbranch_vccnz .LBB281_1692
; %bb.1683:
	v_cvt_f32_ubyte0_e32 v1, v8
	s_mov_b32 s6, 0x47800000
	v_cmp_gt_u32_e32 vcc, s6, v1
                                        ; implicit-def: $vgpr3
	s_and_saveexec_b64 s[6:7], vcc
	s_xor_b64 s[6:7], exec, s[6:7]
	s_cbranch_execz .LBB281_1689
; %bb.1684:
	s_mov_b32 s8, 0x387fffff
	v_cmp_lt_u32_e32 vcc, s8, v1
                                        ; implicit-def: $vgpr3
	s_and_saveexec_b64 s[8:9], vcc
	s_xor_b64 s[8:9], exec, s[8:9]
; %bb.1685:
	v_bfe_u32 v3, v1, 21, 1
	s_mov_b32 s10, 0x80fffff
	v_add3_u32 v1, v1, v3, s10
	v_lshrrev_b32_e32 v3, 21, v1
                                        ; implicit-def: $vgpr1
; %bb.1686:
	s_andn2_saveexec_b64 s[8:9], s[8:9]
; %bb.1687:
	v_add_f32_e32 v3, 0x43000000, v1
; %bb.1688:
	s_or_b64 exec, exec, s[8:9]
                                        ; implicit-def: $vgpr1
.LBB281_1689:
	s_andn2_saveexec_b64 s[6:7], s[6:7]
; %bb.1690:
	s_mov_b32 s8, 0x7f800000
	v_mov_b32_e32 v3, 0x7c
	v_mov_b32_e32 v5, 0x7f
	v_cmp_lt_u32_e32 vcc, s8, v1
	s_nop 1
	v_cndmask_b32_e32 v3, v3, v5, vcc
; %bb.1691:
	s_or_b64 exec, exec, s[6:7]
	global_store_byte v[6:7], v3, off
.LBB281_1692:
	s_mov_b64 s[6:7], 0
	s_mov_b64 s[8:9], -1
.LBB281_1693:
	s_andn2_b64 vcc, exec, s[6:7]
	s_mov_b64 s[6:7], 0
	s_cbranch_vccnz .LBB281_1700
; %bb.1694:
	s_cmp_gt_i32 s18, 14
	s_mov_b64 s[10:11], -1
	s_cbranch_scc0 .LBB281_1698
; %bb.1695:
	s_cmp_eq_u32 s18, 15
	s_mov_b64 s[0:1], -1
	s_cbranch_scc0 .LBB281_1697
; %bb.1696:
	v_cvt_f32_ubyte0_e32 v1, v8
	v_bfe_u32 v3, v1, 16, 1
	s_movk_i32 s0, 0x7fff
	v_add3_u32 v1, v1, v3, s0
	global_store_short_d16_hi v[6:7], v1, off
	s_mov_b64 s[0:1], 0
	s_mov_b64 s[8:9], -1
.LBB281_1697:
	s_mov_b64 s[10:11], 0
.LBB281_1698:
	s_and_b64 vcc, exec, s[10:11]
	s_cbranch_vccz .LBB281_1700
; %bb.1699:
	s_cmp_lg_u32 s18, 11
	s_mov_b64 s[6:7], -1
	s_cselect_b64 s[0:1], -1, 0
.LBB281_1700:
	s_and_b64 vcc, exec, s[0:1]
	s_cbranch_vccnz .LBB281_2108
; %bb.1701:
	s_andn2_b64 vcc, exec, s[6:7]
	s_cbranch_vccnz .LBB281_1703
.LBB281_1702:
	v_cmp_ne_u16_e32 vcc, 0, v8
	s_mov_b64 s[8:9], -1
	s_nop 0
	v_cndmask_b32_e64 v1, 0, 1, vcc
	global_store_byte v[6:7], v1, off
.LBB281_1703:
	s_mov_b64 s[0:1], 0
	s_branch .LBB281_1705
.LBB281_1704:
	s_mov_b64 s[0:1], -1
	s_mov_b64 s[8:9], 0
.LBB281_1705:
	s_and_b64 vcc, exec, s[0:1]
	s_cbranch_vccz .LBB281_1744
; %bb.1706:
	s_and_b32 s6, 0xffff, s17
	s_cmp_lt_i32 s6, 5
	s_mov_b64 s[0:1], -1
	s_cbranch_scc1 .LBB281_1727
; %bb.1707:
	s_cmp_lt_i32 s6, 8
	s_cbranch_scc1 .LBB281_1717
; %bb.1708:
	s_cmp_lt_i32 s6, 9
	s_cbranch_scc1 .LBB281_1714
; %bb.1709:
	s_cmp_gt_i32 s6, 9
	s_cbranch_scc0 .LBB281_1711
; %bb.1710:
	v_mov_b32_e32 v18, 0
	v_cvt_f64_u32_e32 v[16:17], v8
	v_mov_b32_e32 v19, v18
	global_store_dwordx4 v[6:7], v[16:19], off
	s_mov_b64 s[0:1], 0
.LBB281_1711:
	s_andn2_b64 vcc, exec, s[0:1]
	s_cbranch_vccnz .LBB281_1713
; %bb.1712:
	v_cvt_f32_ubyte0_e32 v16, v8
	v_mov_b32_e32 v17, 0
	global_store_dwordx2 v[6:7], v[16:17], off
.LBB281_1713:
	s_mov_b64 s[0:1], 0
.LBB281_1714:
	s_andn2_b64 vcc, exec, s[0:1]
	s_cbranch_vccnz .LBB281_1716
; %bb.1715:
	v_cvt_f16_u16_e32 v1, v8
	global_store_dword v[6:7], v1, off
.LBB281_1716:
	s_mov_b64 s[0:1], 0
.LBB281_1717:
	s_andn2_b64 vcc, exec, s[0:1]
	s_cbranch_vccnz .LBB281_1726
; %bb.1718:
	s_cmp_lt_i32 s6, 6
	s_mov_b64 s[0:1], -1
	s_cbranch_scc1 .LBB281_1724
; %bb.1719:
	s_cmp_gt_i32 s6, 6
	s_cbranch_scc0 .LBB281_1721
; %bb.1720:
	v_cvt_f64_u32_e32 v[16:17], v8
	global_store_dwordx2 v[6:7], v[16:17], off
	s_mov_b64 s[0:1], 0
.LBB281_1721:
	s_andn2_b64 vcc, exec, s[0:1]
	s_cbranch_vccnz .LBB281_1723
; %bb.1722:
	v_cvt_f32_ubyte0_e32 v1, v8
	global_store_dword v[6:7], v1, off
.LBB281_1723:
	s_mov_b64 s[0:1], 0
.LBB281_1724:
	s_andn2_b64 vcc, exec, s[0:1]
	s_cbranch_vccnz .LBB281_1726
; %bb.1725:
	v_cvt_f16_u16_e32 v1, v8
	global_store_short v[6:7], v1, off
.LBB281_1726:
	s_mov_b64 s[0:1], 0
.LBB281_1727:
	s_andn2_b64 vcc, exec, s[0:1]
	s_cbranch_vccnz .LBB281_1743
; %bb.1728:
	s_cmp_lt_i32 s6, 2
	s_mov_b64 s[0:1], -1
	s_cbranch_scc1 .LBB281_1738
; %bb.1729:
	s_cmp_lt_i32 s6, 3
	s_cbranch_scc1 .LBB281_1735
; %bb.1730:
	s_cmp_gt_i32 s6, 3
	s_cbranch_scc0 .LBB281_1732
; %bb.1731:
	s_mov_b32 s0, 0
	v_mov_b32_e32 v9, s0
	global_store_dwordx2 v[6:7], v[8:9], off
	s_mov_b64 s[0:1], 0
.LBB281_1732:
	s_andn2_b64 vcc, exec, s[0:1]
	s_cbranch_vccnz .LBB281_1734
; %bb.1733:
	global_store_dword v[6:7], v8, off
.LBB281_1734:
	s_mov_b64 s[0:1], 0
.LBB281_1735:
	s_andn2_b64 vcc, exec, s[0:1]
	s_cbranch_vccnz .LBB281_1737
; %bb.1736:
	global_store_short v[6:7], v8, off
.LBB281_1737:
	s_mov_b64 s[0:1], 0
.LBB281_1738:
	s_andn2_b64 vcc, exec, s[0:1]
	s_cbranch_vccnz .LBB281_1743
; %bb.1739:
	s_cmp_gt_i32 s6, 0
	s_mov_b64 s[0:1], -1
	s_cbranch_scc0 .LBB281_1741
; %bb.1740:
	global_store_byte v[6:7], v8, off
	s_mov_b64 s[0:1], 0
.LBB281_1741:
	s_andn2_b64 vcc, exec, s[0:1]
	s_cbranch_vccnz .LBB281_1743
; %bb.1742:
	global_store_byte v[6:7], v8, off
.LBB281_1743:
	s_mov_b64 s[8:9], -1
.LBB281_1744:
	s_andn2_b64 vcc, exec, s[8:9]
	s_cbranch_vccnz .LBB281_2059
; %bb.1745:
	s_lshr_b32 s0, s14, 16
	s_and_b32 s14, s0, 0xff
	v_max_u16_sdwa v1, v10, s15 dst_sel:DWORD dst_unused:UNUSED_PAD src0_sel:BYTE_0 src1_sel:DWORD
	v_mov_b32_e32 v5, 0
	v_min_u16_e32 v6, s16, v1
	s_cmp_lt_i32 s14, 11
	v_lshl_add_u64 v[4:5], s[4:5], 0, v[4:5]
	s_cbranch_scc1 .LBB281_1823
; %bb.1746:
	s_and_b32 s17, 0xffff, s14
	s_mov_b64 s[10:11], -1
	s_mov_b64 s[6:7], 0
	s_cmp_gt_i32 s17, 25
	s_mov_b64 s[8:9], 0
	s_mov_b64 s[0:1], 0
	s_cbranch_scc0 .LBB281_1779
; %bb.1747:
	s_cmp_gt_i32 s17, 28
	s_cbranch_scc0 .LBB281_1762
; %bb.1748:
	s_cmp_gt_i32 s17, 43
	;; [unrolled: 3-line block ×3, first 2 shown]
	s_cbranch_scc0 .LBB281_1752
; %bb.1750:
	s_mov_b64 s[0:1], -1
	s_mov_b64 s[10:11], 0
	s_cmp_eq_u32 s17, 46
	s_cbranch_scc0 .LBB281_1752
; %bb.1751:
	v_cvt_f32_ubyte0_e32 v1, v6
	v_bfe_u32 v3, v1, 16, 1
	s_movk_i32 s0, 0x7fff
	v_add3_u32 v1, v1, v3, s0
	v_lshrrev_b32_e32 v1, 16, v1
	global_store_dword v[4:5], v1, off
	s_mov_b64 s[0:1], 0
	s_mov_b64 s[8:9], -1
.LBB281_1752:
	s_and_b64 vcc, exec, s[10:11]
	s_cbranch_vccz .LBB281_1757
; %bb.1753:
	s_cmp_eq_u32 s17, 44
	s_mov_b64 s[0:1], -1
	s_cbranch_scc0 .LBB281_1757
; %bb.1754:
	v_cvt_f32_ubyte0_e32 v3, v6
	v_lshrrev_b32_e32 v1, 23, v3
	s_movk_i32 s0, 0xff
	v_cmp_ne_u32_e32 vcc, s0, v1
	v_mov_b32_e32 v7, 0xff
	s_and_saveexec_b64 s[8:9], vcc
; %bb.1755:
	s_mov_b32 s0, 0x3fffff
	v_and_b32_e32 v7, 0x400000, v3
	v_and_or_b32 v3, v3, s0, v1
	v_cmp_ne_u32_e32 vcc, 0, v7
	v_cmp_ne_u32_e64 s[0:1], 0, v3
	s_and_b64 s[0:1], vcc, s[0:1]
	s_nop 0
	v_cndmask_b32_e64 v3, 0, 1, s[0:1]
	v_add_u32_e32 v7, v1, v3
; %bb.1756:
	s_or_b64 exec, exec, s[8:9]
	s_mov_b64 s[0:1], 0
	s_mov_b64 s[8:9], -1
	global_store_byte v[4:5], v7, off
.LBB281_1757:
	s_mov_b64 s[10:11], 0
.LBB281_1758:
	s_and_b64 vcc, exec, s[10:11]
	s_cbranch_vccz .LBB281_1761
; %bb.1759:
	s_cmp_eq_u32 s17, 29
	s_mov_b64 s[0:1], -1
	s_cbranch_scc0 .LBB281_1761
; %bb.1760:
	s_mov_b32 s0, 0
	v_mov_b32_e32 v7, s0
	global_store_dwordx2 v[4:5], v[6:7], off
	s_mov_b64 s[0:1], 0
	s_mov_b64 s[8:9], -1
.LBB281_1761:
	s_mov_b64 s[10:11], 0
.LBB281_1762:
	s_and_b64 vcc, exec, s[10:11]
	s_cbranch_vccz .LBB281_1778
; %bb.1763:
	s_cmp_lt_i32 s17, 27
	s_mov_b64 s[8:9], -1
	s_cbranch_scc1 .LBB281_1769
; %bb.1764:
	s_cmp_gt_i32 s17, 27
	s_cbranch_scc0 .LBB281_1766
; %bb.1765:
	s_mov_b64 s[8:9], 0
	global_store_dword v[4:5], v6, off
.LBB281_1766:
	s_andn2_b64 vcc, exec, s[8:9]
	s_cbranch_vccnz .LBB281_1768
; %bb.1767:
	global_store_short v[4:5], v6, off
.LBB281_1768:
	s_mov_b64 s[8:9], 0
.LBB281_1769:
	s_andn2_b64 vcc, exec, s[8:9]
	s_cbranch_vccnz .LBB281_1777
; %bb.1770:
	v_cvt_f32_ubyte0_e32 v3, v6
	s_mov_b32 s8, 0x43800000
	v_cmp_gt_u32_e32 vcc, s8, v3
	v_mov_b32_e32 v7, 0x80
	s_and_saveexec_b64 s[8:9], vcc
	s_cbranch_execz .LBB281_1776
; %bb.1771:
	s_mov_b32 s10, 0x3bffffff
	v_cmp_lt_u32_e32 vcc, s10, v3
	s_mov_b64 s[10:11], 0
                                        ; implicit-def: $vgpr1
	s_and_saveexec_b64 s[12:13], vcc
	s_xor_b64 s[12:13], exec, s[12:13]
	s_cbranch_execz .LBB281_2111
; %bb.1772:
	v_bfe_u32 v1, v3, 20, 1
	s_mov_b32 s18, 0x487ffff
	v_add3_u32 v1, v3, v1, s18
	s_mov_b64 s[10:11], exec
	v_lshrrev_b32_e32 v1, 20, v1
                                        ; implicit-def: $vgpr3
	s_andn2_saveexec_b64 s[12:13], s[12:13]
	s_cbranch_execnz .LBB281_2112
.LBB281_1773:
	s_or_b64 exec, exec, s[12:13]
	v_mov_b32_e32 v7, 0
	s_and_saveexec_b64 s[12:13], s[10:11]
.LBB281_1774:
	v_mov_b32_e32 v7, v1
.LBB281_1775:
	s_or_b64 exec, exec, s[12:13]
.LBB281_1776:
	s_or_b64 exec, exec, s[8:9]
	global_store_byte v[4:5], v7, off
.LBB281_1777:
	s_mov_b64 s[8:9], -1
.LBB281_1778:
	s_mov_b64 s[10:11], 0
.LBB281_1779:
	s_and_b64 vcc, exec, s[10:11]
	s_cbranch_vccz .LBB281_1819
; %bb.1780:
	s_cmp_gt_i32 s17, 22
	s_mov_b64 s[6:7], -1
	s_cbranch_scc0 .LBB281_1812
; %bb.1781:
	s_cmp_lt_i32 s17, 24
	s_cbranch_scc1 .LBB281_1801
; %bb.1782:
	s_cmp_gt_i32 s17, 24
	s_cbranch_scc0 .LBB281_1790
; %bb.1783:
	v_cvt_f32_ubyte0_e32 v3, v6
	s_mov_b32 s6, 0x47800000
	v_cmp_gt_u32_e32 vcc, s6, v3
	v_mov_b32_e32 v7, 0x80
	s_and_saveexec_b64 s[6:7], vcc
	s_cbranch_execz .LBB281_1789
; %bb.1784:
	s_mov_b32 s8, 0x37ffffff
	v_cmp_lt_u32_e32 vcc, s8, v3
	s_mov_b64 s[8:9], 0
                                        ; implicit-def: $vgpr1
	s_and_saveexec_b64 s[10:11], vcc
	s_xor_b64 s[10:11], exec, s[10:11]
	s_cbranch_execz .LBB281_2114
; %bb.1785:
	v_bfe_u32 v1, v3, 21, 1
	s_mov_b32 s12, 0x88fffff
	v_add3_u32 v1, v3, v1, s12
	s_mov_b64 s[8:9], exec
	v_lshrrev_b32_e32 v1, 21, v1
                                        ; implicit-def: $vgpr3
	s_andn2_saveexec_b64 s[10:11], s[10:11]
	s_cbranch_execnz .LBB281_2115
.LBB281_1786:
	s_or_b64 exec, exec, s[10:11]
	v_mov_b32_e32 v7, 0
	s_and_saveexec_b64 s[10:11], s[8:9]
.LBB281_1787:
	v_mov_b32_e32 v7, v1
.LBB281_1788:
	s_or_b64 exec, exec, s[10:11]
.LBB281_1789:
	s_or_b64 exec, exec, s[6:7]
	s_mov_b64 s[6:7], 0
	global_store_byte v[4:5], v7, off
.LBB281_1790:
	s_and_b64 vcc, exec, s[6:7]
	s_cbranch_vccz .LBB281_1800
; %bb.1791:
	v_cvt_f32_ubyte0_e32 v1, v6
	s_mov_b32 s6, 0x43f00000
	v_cmp_gt_u32_e32 vcc, s6, v1
                                        ; implicit-def: $vgpr3
	s_and_saveexec_b64 s[6:7], vcc
	s_xor_b64 s[6:7], exec, s[6:7]
	s_cbranch_execz .LBB281_1797
; %bb.1792:
	s_mov_b32 s8, 0x3c7fffff
	v_cmp_lt_u32_e32 vcc, s8, v1
                                        ; implicit-def: $vgpr3
	s_and_saveexec_b64 s[8:9], vcc
	s_xor_b64 s[8:9], exec, s[8:9]
; %bb.1793:
	v_bfe_u32 v3, v1, 20, 1
	s_mov_b32 s10, 0x407ffff
	v_add3_u32 v1, v1, v3, s10
	v_lshrrev_b32_e32 v3, 20, v1
	v_and_b32_e32 v1, 0xff00000, v1
	s_mov_b32 s10, 0x7f00000
	v_mov_b32_e32 v7, 0x7e
	v_cmp_ne_u32_e32 vcc, s10, v1
                                        ; implicit-def: $vgpr1
	s_nop 1
	v_cndmask_b32_e32 v3, v7, v3, vcc
; %bb.1794:
	s_andn2_saveexec_b64 s[8:9], s[8:9]
; %bb.1795:
	v_add_f32_e32 v3, 0x46800000, v1
; %bb.1796:
	s_or_b64 exec, exec, s[8:9]
                                        ; implicit-def: $vgpr1
.LBB281_1797:
	s_andn2_saveexec_b64 s[6:7], s[6:7]
; %bb.1798:
	s_mov_b32 s8, 0x7f800000
	v_mov_b32_e32 v3, 0x7e
	v_mov_b32_e32 v7, 0x7f
	v_cmp_lt_u32_e32 vcc, s8, v1
	s_nop 1
	v_cndmask_b32_e32 v3, v3, v7, vcc
; %bb.1799:
	s_or_b64 exec, exec, s[6:7]
	global_store_byte v[4:5], v3, off
.LBB281_1800:
	s_mov_b64 s[6:7], 0
.LBB281_1801:
	s_andn2_b64 vcc, exec, s[6:7]
	s_cbranch_vccnz .LBB281_1811
; %bb.1802:
	v_cvt_f32_ubyte0_e32 v1, v6
	s_mov_b32 s6, 0x47800000
	v_cmp_gt_u32_e32 vcc, s6, v1
                                        ; implicit-def: $vgpr3
	s_and_saveexec_b64 s[6:7], vcc
	s_xor_b64 s[6:7], exec, s[6:7]
	s_cbranch_execz .LBB281_1808
; %bb.1803:
	s_mov_b32 s8, 0x387fffff
	v_cmp_lt_u32_e32 vcc, s8, v1
                                        ; implicit-def: $vgpr3
	s_and_saveexec_b64 s[8:9], vcc
	s_xor_b64 s[8:9], exec, s[8:9]
; %bb.1804:
	v_bfe_u32 v3, v1, 21, 1
	s_mov_b32 s10, 0x80fffff
	v_add3_u32 v1, v1, v3, s10
	v_lshrrev_b32_e32 v3, 21, v1
                                        ; implicit-def: $vgpr1
; %bb.1805:
	s_andn2_saveexec_b64 s[8:9], s[8:9]
; %bb.1806:
	v_add_f32_e32 v3, 0x43000000, v1
; %bb.1807:
	s_or_b64 exec, exec, s[8:9]
                                        ; implicit-def: $vgpr1
.LBB281_1808:
	s_andn2_saveexec_b64 s[6:7], s[6:7]
; %bb.1809:
	s_mov_b32 s8, 0x7f800000
	v_mov_b32_e32 v3, 0x7c
	v_mov_b32_e32 v7, 0x7f
	v_cmp_lt_u32_e32 vcc, s8, v1
	s_nop 1
	v_cndmask_b32_e32 v3, v3, v7, vcc
; %bb.1810:
	s_or_b64 exec, exec, s[6:7]
	global_store_byte v[4:5], v3, off
.LBB281_1811:
	s_mov_b64 s[6:7], 0
	s_mov_b64 s[8:9], -1
.LBB281_1812:
	s_andn2_b64 vcc, exec, s[6:7]
	s_mov_b64 s[6:7], 0
	s_cbranch_vccnz .LBB281_1819
; %bb.1813:
	s_cmp_gt_i32 s17, 14
	s_mov_b64 s[10:11], -1
	s_cbranch_scc0 .LBB281_1817
; %bb.1814:
	s_cmp_eq_u32 s17, 15
	s_mov_b64 s[0:1], -1
	s_cbranch_scc0 .LBB281_1816
; %bb.1815:
	v_cvt_f32_ubyte0_e32 v1, v6
	v_bfe_u32 v3, v1, 16, 1
	s_movk_i32 s0, 0x7fff
	v_add3_u32 v1, v1, v3, s0
	global_store_short_d16_hi v[4:5], v1, off
	s_mov_b64 s[0:1], 0
	s_mov_b64 s[8:9], -1
.LBB281_1816:
	s_mov_b64 s[10:11], 0
.LBB281_1817:
	s_and_b64 vcc, exec, s[10:11]
	s_cbranch_vccz .LBB281_1819
; %bb.1818:
	s_cmp_lg_u32 s17, 11
	s_mov_b64 s[6:7], -1
	s_cselect_b64 s[0:1], -1, 0
.LBB281_1819:
	s_and_b64 vcc, exec, s[0:1]
	s_cbranch_vccnz .LBB281_2113
; %bb.1820:
	s_andn2_b64 vcc, exec, s[6:7]
	s_cbranch_vccnz .LBB281_1822
.LBB281_1821:
	v_cmp_ne_u16_e32 vcc, 0, v6
	s_mov_b64 s[8:9], -1
	s_nop 0
	v_cndmask_b32_e64 v1, 0, 1, vcc
	global_store_byte v[4:5], v1, off
.LBB281_1822:
	s_mov_b64 s[0:1], 0
	s_branch .LBB281_1824
.LBB281_1823:
	s_mov_b64 s[0:1], -1
	s_mov_b64 s[8:9], 0
.LBB281_1824:
	s_and_b64 vcc, exec, s[0:1]
	s_cbranch_vccz .LBB281_1863
; %bb.1825:
	s_and_b32 s6, 0xffff, s14
	s_cmp_lt_i32 s6, 5
	s_mov_b64 s[0:1], -1
	s_cbranch_scc1 .LBB281_1846
; %bb.1826:
	s_cmp_lt_i32 s6, 8
	s_cbranch_scc1 .LBB281_1836
; %bb.1827:
	s_cmp_lt_i32 s6, 9
	s_cbranch_scc1 .LBB281_1833
; %bb.1828:
	s_cmp_gt_i32 s6, 9
	s_cbranch_scc0 .LBB281_1830
; %bb.1829:
	v_mov_b32_e32 v10, 0
	v_cvt_f64_u32_e32 v[8:9], v6
	v_mov_b32_e32 v11, v10
	global_store_dwordx4 v[4:5], v[8:11], off
	s_mov_b64 s[0:1], 0
.LBB281_1830:
	s_andn2_b64 vcc, exec, s[0:1]
	s_cbranch_vccnz .LBB281_1832
; %bb.1831:
	v_cvt_f32_ubyte0_e32 v8, v6
	v_mov_b32_e32 v9, 0
	global_store_dwordx2 v[4:5], v[8:9], off
.LBB281_1832:
	s_mov_b64 s[0:1], 0
.LBB281_1833:
	s_andn2_b64 vcc, exec, s[0:1]
	s_cbranch_vccnz .LBB281_1835
; %bb.1834:
	v_cvt_f16_u16_e32 v1, v6
	global_store_dword v[4:5], v1, off
.LBB281_1835:
	s_mov_b64 s[0:1], 0
.LBB281_1836:
	s_andn2_b64 vcc, exec, s[0:1]
	s_cbranch_vccnz .LBB281_1845
; %bb.1837:
	s_cmp_lt_i32 s6, 6
	s_mov_b64 s[0:1], -1
	s_cbranch_scc1 .LBB281_1843
; %bb.1838:
	s_cmp_gt_i32 s6, 6
	s_cbranch_scc0 .LBB281_1840
; %bb.1839:
	v_cvt_f64_u32_e32 v[8:9], v6
	global_store_dwordx2 v[4:5], v[8:9], off
	s_mov_b64 s[0:1], 0
.LBB281_1840:
	s_andn2_b64 vcc, exec, s[0:1]
	s_cbranch_vccnz .LBB281_1842
; %bb.1841:
	v_cvt_f32_ubyte0_e32 v1, v6
	global_store_dword v[4:5], v1, off
.LBB281_1842:
	s_mov_b64 s[0:1], 0
.LBB281_1843:
	s_andn2_b64 vcc, exec, s[0:1]
	s_cbranch_vccnz .LBB281_1845
; %bb.1844:
	v_cvt_f16_u16_e32 v1, v6
	global_store_short v[4:5], v1, off
.LBB281_1845:
	s_mov_b64 s[0:1], 0
.LBB281_1846:
	s_andn2_b64 vcc, exec, s[0:1]
	s_cbranch_vccnz .LBB281_1862
; %bb.1847:
	s_cmp_lt_i32 s6, 2
	s_mov_b64 s[0:1], -1
	s_cbranch_scc1 .LBB281_1857
; %bb.1848:
	s_cmp_lt_i32 s6, 3
	s_cbranch_scc1 .LBB281_1854
; %bb.1849:
	s_cmp_gt_i32 s6, 3
	s_cbranch_scc0 .LBB281_1851
; %bb.1850:
	s_mov_b32 s0, 0
	v_mov_b32_e32 v7, s0
	global_store_dwordx2 v[4:5], v[6:7], off
	s_mov_b64 s[0:1], 0
.LBB281_1851:
	s_andn2_b64 vcc, exec, s[0:1]
	s_cbranch_vccnz .LBB281_1853
; %bb.1852:
	global_store_dword v[4:5], v6, off
.LBB281_1853:
	s_mov_b64 s[0:1], 0
.LBB281_1854:
	s_andn2_b64 vcc, exec, s[0:1]
	s_cbranch_vccnz .LBB281_1856
; %bb.1855:
	global_store_short v[4:5], v6, off
.LBB281_1856:
	s_mov_b64 s[0:1], 0
.LBB281_1857:
	s_andn2_b64 vcc, exec, s[0:1]
	s_cbranch_vccnz .LBB281_1862
; %bb.1858:
	s_cmp_gt_i32 s6, 0
	s_mov_b64 s[0:1], -1
	s_cbranch_scc0 .LBB281_1860
; %bb.1859:
	global_store_byte v[4:5], v6, off
	s_mov_b64 s[0:1], 0
.LBB281_1860:
	s_andn2_b64 vcc, exec, s[0:1]
	s_cbranch_vccnz .LBB281_1862
; %bb.1861:
	global_store_byte v[4:5], v6, off
.LBB281_1862:
	s_mov_b64 s[8:9], -1
.LBB281_1863:
	s_andn2_b64 vcc, exec, s[8:9]
	s_cbranch_vccnz .LBB281_2059
; %bb.1864:
	v_max_u16_sdwa v1, v12, s15 dst_sel:DWORD dst_unused:UNUSED_PAD src0_sel:BYTE_0 src1_sel:DWORD
	v_mov_b32_e32 v3, 0
	v_min_u16_e32 v4, s16, v1
	s_cmp_lt_i32 s14, 11
	v_lshl_add_u64 v[2:3], s[4:5], 0, v[2:3]
	s_cbranch_scc1 .LBB281_1942
; %bb.1865:
	s_and_b32 s17, 0xffff, s14
	s_mov_b64 s[10:11], -1
	s_mov_b64 s[6:7], 0
	s_cmp_gt_i32 s17, 25
	s_mov_b64 s[8:9], 0
	s_mov_b64 s[0:1], 0
	s_cbranch_scc0 .LBB281_1898
; %bb.1866:
	s_cmp_gt_i32 s17, 28
	s_cbranch_scc0 .LBB281_1881
; %bb.1867:
	s_cmp_gt_i32 s17, 43
	s_cbranch_scc0 .LBB281_1877
; %bb.1868:
	s_cmp_gt_i32 s17, 45
	s_cbranch_scc0 .LBB281_1871
; %bb.1869:
	s_mov_b64 s[0:1], -1
	s_mov_b64 s[10:11], 0
	s_cmp_eq_u32 s17, 46
	s_cbranch_scc0 .LBB281_1871
; %bb.1870:
	v_cvt_f32_ubyte0_e32 v1, v4
	v_bfe_u32 v5, v1, 16, 1
	s_movk_i32 s0, 0x7fff
	v_add3_u32 v1, v1, v5, s0
	v_lshrrev_b32_e32 v1, 16, v1
	global_store_dword v[2:3], v1, off
	s_mov_b64 s[0:1], 0
	s_mov_b64 s[8:9], -1
.LBB281_1871:
	s_and_b64 vcc, exec, s[10:11]
	s_cbranch_vccz .LBB281_1876
; %bb.1872:
	s_cmp_eq_u32 s17, 44
	s_mov_b64 s[0:1], -1
	s_cbranch_scc0 .LBB281_1876
; %bb.1873:
	v_cvt_f32_ubyte0_e32 v5, v4
	v_lshrrev_b32_e32 v1, 23, v5
	s_movk_i32 s0, 0xff
	v_cmp_ne_u32_e32 vcc, s0, v1
	v_mov_b32_e32 v6, 0xff
	s_and_saveexec_b64 s[8:9], vcc
; %bb.1874:
	s_mov_b32 s0, 0x3fffff
	v_and_b32_e32 v6, 0x400000, v5
	v_and_or_b32 v5, v5, s0, v1
	v_cmp_ne_u32_e32 vcc, 0, v6
	v_cmp_ne_u32_e64 s[0:1], 0, v5
	s_and_b64 s[0:1], vcc, s[0:1]
	s_nop 0
	v_cndmask_b32_e64 v5, 0, 1, s[0:1]
	v_add_u32_e32 v6, v1, v5
; %bb.1875:
	s_or_b64 exec, exec, s[8:9]
	s_mov_b64 s[0:1], 0
	s_mov_b64 s[8:9], -1
	global_store_byte v[2:3], v6, off
.LBB281_1876:
	s_mov_b64 s[10:11], 0
.LBB281_1877:
	s_and_b64 vcc, exec, s[10:11]
	s_cbranch_vccz .LBB281_1880
; %bb.1878:
	s_cmp_eq_u32 s17, 29
	s_mov_b64 s[0:1], -1
	s_cbranch_scc0 .LBB281_1880
; %bb.1879:
	s_mov_b32 s0, 0
	v_mov_b32_e32 v5, s0
	global_store_dwordx2 v[2:3], v[4:5], off
	s_mov_b64 s[0:1], 0
	s_mov_b64 s[8:9], -1
.LBB281_1880:
	s_mov_b64 s[10:11], 0
.LBB281_1881:
	s_and_b64 vcc, exec, s[10:11]
	s_cbranch_vccz .LBB281_1897
; %bb.1882:
	s_cmp_lt_i32 s17, 27
	s_mov_b64 s[8:9], -1
	s_cbranch_scc1 .LBB281_1888
; %bb.1883:
	s_cmp_gt_i32 s17, 27
	s_cbranch_scc0 .LBB281_1885
; %bb.1884:
	s_mov_b64 s[8:9], 0
	global_store_dword v[2:3], v4, off
.LBB281_1885:
	s_andn2_b64 vcc, exec, s[8:9]
	s_cbranch_vccnz .LBB281_1887
; %bb.1886:
	global_store_short v[2:3], v4, off
.LBB281_1887:
	s_mov_b64 s[8:9], 0
.LBB281_1888:
	s_andn2_b64 vcc, exec, s[8:9]
	s_cbranch_vccnz .LBB281_1896
; %bb.1889:
	v_cvt_f32_ubyte0_e32 v5, v4
	s_mov_b32 s8, 0x43800000
	v_cmp_gt_u32_e32 vcc, s8, v5
	v_mov_b32_e32 v6, 0x80
	s_and_saveexec_b64 s[8:9], vcc
	s_cbranch_execz .LBB281_1895
; %bb.1890:
	s_mov_b32 s10, 0x3bffffff
	v_cmp_lt_u32_e32 vcc, s10, v5
	s_mov_b64 s[10:11], 0
                                        ; implicit-def: $vgpr1
	s_and_saveexec_b64 s[12:13], vcc
	s_xor_b64 s[12:13], exec, s[12:13]
	s_cbranch_execz .LBB281_2116
; %bb.1891:
	v_bfe_u32 v1, v5, 20, 1
	s_mov_b32 s18, 0x487ffff
	v_add3_u32 v1, v5, v1, s18
	s_mov_b64 s[10:11], exec
	v_lshrrev_b32_e32 v1, 20, v1
                                        ; implicit-def: $vgpr5
	s_andn2_saveexec_b64 s[12:13], s[12:13]
	s_cbranch_execnz .LBB281_2117
.LBB281_1892:
	s_or_b64 exec, exec, s[12:13]
	v_mov_b32_e32 v6, 0
	s_and_saveexec_b64 s[12:13], s[10:11]
.LBB281_1893:
	v_mov_b32_e32 v6, v1
.LBB281_1894:
	s_or_b64 exec, exec, s[12:13]
.LBB281_1895:
	s_or_b64 exec, exec, s[8:9]
	global_store_byte v[2:3], v6, off
.LBB281_1896:
	s_mov_b64 s[8:9], -1
.LBB281_1897:
	s_mov_b64 s[10:11], 0
.LBB281_1898:
	s_and_b64 vcc, exec, s[10:11]
	s_cbranch_vccz .LBB281_1938
; %bb.1899:
	s_cmp_gt_i32 s17, 22
	s_mov_b64 s[6:7], -1
	s_cbranch_scc0 .LBB281_1931
; %bb.1900:
	s_cmp_lt_i32 s17, 24
	s_cbranch_scc1 .LBB281_1920
; %bb.1901:
	s_cmp_gt_i32 s17, 24
	s_cbranch_scc0 .LBB281_1909
; %bb.1902:
	v_cvt_f32_ubyte0_e32 v5, v4
	s_mov_b32 s6, 0x47800000
	v_cmp_gt_u32_e32 vcc, s6, v5
	v_mov_b32_e32 v6, 0x80
	s_and_saveexec_b64 s[6:7], vcc
	s_cbranch_execz .LBB281_1908
; %bb.1903:
	s_mov_b32 s8, 0x37ffffff
	v_cmp_lt_u32_e32 vcc, s8, v5
	s_mov_b64 s[8:9], 0
                                        ; implicit-def: $vgpr1
	s_and_saveexec_b64 s[10:11], vcc
	s_xor_b64 s[10:11], exec, s[10:11]
	s_cbranch_execz .LBB281_2119
; %bb.1904:
	v_bfe_u32 v1, v5, 21, 1
	s_mov_b32 s12, 0x88fffff
	v_add3_u32 v1, v5, v1, s12
	s_mov_b64 s[8:9], exec
	v_lshrrev_b32_e32 v1, 21, v1
                                        ; implicit-def: $vgpr5
	s_andn2_saveexec_b64 s[10:11], s[10:11]
	s_cbranch_execnz .LBB281_2120
.LBB281_1905:
	s_or_b64 exec, exec, s[10:11]
	v_mov_b32_e32 v6, 0
	s_and_saveexec_b64 s[10:11], s[8:9]
.LBB281_1906:
	v_mov_b32_e32 v6, v1
.LBB281_1907:
	s_or_b64 exec, exec, s[10:11]
.LBB281_1908:
	s_or_b64 exec, exec, s[6:7]
	s_mov_b64 s[6:7], 0
	global_store_byte v[2:3], v6, off
.LBB281_1909:
	s_and_b64 vcc, exec, s[6:7]
	s_cbranch_vccz .LBB281_1919
; %bb.1910:
	v_cvt_f32_ubyte0_e32 v1, v4
	s_mov_b32 s6, 0x43f00000
	v_cmp_gt_u32_e32 vcc, s6, v1
                                        ; implicit-def: $vgpr5
	s_and_saveexec_b64 s[6:7], vcc
	s_xor_b64 s[6:7], exec, s[6:7]
	s_cbranch_execz .LBB281_1916
; %bb.1911:
	s_mov_b32 s8, 0x3c7fffff
	v_cmp_lt_u32_e32 vcc, s8, v1
                                        ; implicit-def: $vgpr5
	s_and_saveexec_b64 s[8:9], vcc
	s_xor_b64 s[8:9], exec, s[8:9]
; %bb.1912:
	v_bfe_u32 v5, v1, 20, 1
	s_mov_b32 s10, 0x407ffff
	v_add3_u32 v1, v1, v5, s10
	v_lshrrev_b32_e32 v5, 20, v1
	v_and_b32_e32 v1, 0xff00000, v1
	s_mov_b32 s10, 0x7f00000
	v_mov_b32_e32 v6, 0x7e
	v_cmp_ne_u32_e32 vcc, s10, v1
                                        ; implicit-def: $vgpr1
	s_nop 1
	v_cndmask_b32_e32 v5, v6, v5, vcc
; %bb.1913:
	s_andn2_saveexec_b64 s[8:9], s[8:9]
; %bb.1914:
	v_add_f32_e32 v5, 0x46800000, v1
; %bb.1915:
	s_or_b64 exec, exec, s[8:9]
                                        ; implicit-def: $vgpr1
.LBB281_1916:
	s_andn2_saveexec_b64 s[6:7], s[6:7]
; %bb.1917:
	s_mov_b32 s8, 0x7f800000
	v_mov_b32_e32 v5, 0x7e
	v_mov_b32_e32 v6, 0x7f
	v_cmp_lt_u32_e32 vcc, s8, v1
	s_nop 1
	v_cndmask_b32_e32 v5, v5, v6, vcc
; %bb.1918:
	s_or_b64 exec, exec, s[6:7]
	global_store_byte v[2:3], v5, off
.LBB281_1919:
	s_mov_b64 s[6:7], 0
.LBB281_1920:
	s_andn2_b64 vcc, exec, s[6:7]
	s_cbranch_vccnz .LBB281_1930
; %bb.1921:
	v_cvt_f32_ubyte0_e32 v1, v4
	s_mov_b32 s6, 0x47800000
	v_cmp_gt_u32_e32 vcc, s6, v1
                                        ; implicit-def: $vgpr5
	s_and_saveexec_b64 s[6:7], vcc
	s_xor_b64 s[6:7], exec, s[6:7]
	s_cbranch_execz .LBB281_1927
; %bb.1922:
	s_mov_b32 s8, 0x387fffff
	v_cmp_lt_u32_e32 vcc, s8, v1
                                        ; implicit-def: $vgpr5
	s_and_saveexec_b64 s[8:9], vcc
	s_xor_b64 s[8:9], exec, s[8:9]
; %bb.1923:
	v_bfe_u32 v5, v1, 21, 1
	s_mov_b32 s10, 0x80fffff
	v_add3_u32 v1, v1, v5, s10
	v_lshrrev_b32_e32 v5, 21, v1
                                        ; implicit-def: $vgpr1
; %bb.1924:
	s_andn2_saveexec_b64 s[8:9], s[8:9]
; %bb.1925:
	v_add_f32_e32 v5, 0x43000000, v1
; %bb.1926:
	s_or_b64 exec, exec, s[8:9]
                                        ; implicit-def: $vgpr1
.LBB281_1927:
	s_andn2_saveexec_b64 s[6:7], s[6:7]
; %bb.1928:
	s_mov_b32 s8, 0x7f800000
	v_mov_b32_e32 v5, 0x7c
	v_mov_b32_e32 v6, 0x7f
	v_cmp_lt_u32_e32 vcc, s8, v1
	s_nop 1
	v_cndmask_b32_e32 v5, v5, v6, vcc
; %bb.1929:
	s_or_b64 exec, exec, s[6:7]
	global_store_byte v[2:3], v5, off
.LBB281_1930:
	s_mov_b64 s[6:7], 0
	s_mov_b64 s[8:9], -1
.LBB281_1931:
	s_andn2_b64 vcc, exec, s[6:7]
	s_mov_b64 s[6:7], 0
	s_cbranch_vccnz .LBB281_1938
; %bb.1932:
	s_cmp_gt_i32 s17, 14
	s_mov_b64 s[10:11], -1
	s_cbranch_scc0 .LBB281_1936
; %bb.1933:
	s_cmp_eq_u32 s17, 15
	s_mov_b64 s[0:1], -1
	s_cbranch_scc0 .LBB281_1935
; %bb.1934:
	v_cvt_f32_ubyte0_e32 v1, v4
	v_bfe_u32 v5, v1, 16, 1
	s_movk_i32 s0, 0x7fff
	v_add3_u32 v1, v1, v5, s0
	global_store_short_d16_hi v[2:3], v1, off
	s_mov_b64 s[0:1], 0
	s_mov_b64 s[8:9], -1
.LBB281_1935:
	s_mov_b64 s[10:11], 0
.LBB281_1936:
	s_and_b64 vcc, exec, s[10:11]
	s_cbranch_vccz .LBB281_1938
; %bb.1937:
	s_cmp_lg_u32 s17, 11
	s_mov_b64 s[6:7], -1
	s_cselect_b64 s[0:1], -1, 0
.LBB281_1938:
	s_and_b64 vcc, exec, s[0:1]
	s_cbranch_vccnz .LBB281_2118
; %bb.1939:
	s_andn2_b64 vcc, exec, s[6:7]
	s_cbranch_vccnz .LBB281_1941
.LBB281_1940:
	v_cmp_ne_u16_e32 vcc, 0, v4
	s_mov_b64 s[8:9], -1
	s_nop 0
	v_cndmask_b32_e64 v1, 0, 1, vcc
	global_store_byte v[2:3], v1, off
.LBB281_1941:
	s_mov_b64 s[0:1], 0
	s_branch .LBB281_1943
.LBB281_1942:
	s_mov_b64 s[0:1], -1
	s_mov_b64 s[8:9], 0
.LBB281_1943:
	s_and_b64 vcc, exec, s[0:1]
	s_cbranch_vccz .LBB281_1982
; %bb.1944:
	s_and_b32 s6, 0xffff, s14
	s_cmp_lt_i32 s6, 5
	s_mov_b64 s[0:1], -1
	s_cbranch_scc1 .LBB281_1965
; %bb.1945:
	s_cmp_lt_i32 s6, 8
	s_cbranch_scc1 .LBB281_1955
; %bb.1946:
	s_cmp_lt_i32 s6, 9
	s_cbranch_scc1 .LBB281_1952
; %bb.1947:
	s_cmp_gt_i32 s6, 9
	s_cbranch_scc0 .LBB281_1949
; %bb.1948:
	v_mov_b32_e32 v8, 0
	v_cvt_f64_u32_e32 v[6:7], v4
	v_mov_b32_e32 v9, v8
	global_store_dwordx4 v[2:3], v[6:9], off
	s_mov_b64 s[0:1], 0
.LBB281_1949:
	s_andn2_b64 vcc, exec, s[0:1]
	s_cbranch_vccnz .LBB281_1951
; %bb.1950:
	v_cvt_f32_ubyte0_e32 v6, v4
	v_mov_b32_e32 v7, 0
	global_store_dwordx2 v[2:3], v[6:7], off
.LBB281_1951:
	s_mov_b64 s[0:1], 0
.LBB281_1952:
	s_andn2_b64 vcc, exec, s[0:1]
	s_cbranch_vccnz .LBB281_1954
; %bb.1953:
	v_cvt_f16_u16_e32 v1, v4
	global_store_dword v[2:3], v1, off
.LBB281_1954:
	s_mov_b64 s[0:1], 0
.LBB281_1955:
	s_andn2_b64 vcc, exec, s[0:1]
	s_cbranch_vccnz .LBB281_1964
; %bb.1956:
	s_cmp_lt_i32 s6, 6
	s_mov_b64 s[0:1], -1
	s_cbranch_scc1 .LBB281_1962
; %bb.1957:
	s_cmp_gt_i32 s6, 6
	s_cbranch_scc0 .LBB281_1959
; %bb.1958:
	v_cvt_f64_u32_e32 v[6:7], v4
	global_store_dwordx2 v[2:3], v[6:7], off
	s_mov_b64 s[0:1], 0
.LBB281_1959:
	s_andn2_b64 vcc, exec, s[0:1]
	s_cbranch_vccnz .LBB281_1961
; %bb.1960:
	v_cvt_f32_ubyte0_e32 v1, v4
	global_store_dword v[2:3], v1, off
.LBB281_1961:
	s_mov_b64 s[0:1], 0
.LBB281_1962:
	s_andn2_b64 vcc, exec, s[0:1]
	s_cbranch_vccnz .LBB281_1964
; %bb.1963:
	v_cvt_f16_u16_e32 v1, v4
	global_store_short v[2:3], v1, off
.LBB281_1964:
	s_mov_b64 s[0:1], 0
.LBB281_1965:
	s_andn2_b64 vcc, exec, s[0:1]
	s_cbranch_vccnz .LBB281_1981
; %bb.1966:
	s_cmp_lt_i32 s6, 2
	s_mov_b64 s[0:1], -1
	s_cbranch_scc1 .LBB281_1976
; %bb.1967:
	s_cmp_lt_i32 s6, 3
	s_cbranch_scc1 .LBB281_1973
; %bb.1968:
	s_cmp_gt_i32 s6, 3
	s_cbranch_scc0 .LBB281_1970
; %bb.1969:
	s_mov_b32 s0, 0
	v_mov_b32_e32 v5, s0
	global_store_dwordx2 v[2:3], v[4:5], off
	s_mov_b64 s[0:1], 0
.LBB281_1970:
	s_andn2_b64 vcc, exec, s[0:1]
	s_cbranch_vccnz .LBB281_1972
; %bb.1971:
	global_store_dword v[2:3], v4, off
.LBB281_1972:
	s_mov_b64 s[0:1], 0
.LBB281_1973:
	s_andn2_b64 vcc, exec, s[0:1]
	s_cbranch_vccnz .LBB281_1975
; %bb.1974:
	global_store_short v[2:3], v4, off
.LBB281_1975:
	s_mov_b64 s[0:1], 0
.LBB281_1976:
	s_andn2_b64 vcc, exec, s[0:1]
	s_cbranch_vccnz .LBB281_1981
; %bb.1977:
	s_cmp_gt_i32 s6, 0
	s_mov_b64 s[0:1], -1
	s_cbranch_scc0 .LBB281_1979
; %bb.1978:
	global_store_byte v[2:3], v4, off
	s_mov_b64 s[0:1], 0
.LBB281_1979:
	s_andn2_b64 vcc, exec, s[0:1]
	s_cbranch_vccnz .LBB281_1981
; %bb.1980:
	global_store_byte v[2:3], v4, off
.LBB281_1981:
	s_mov_b64 s[8:9], -1
.LBB281_1982:
	s_andn2_b64 vcc, exec, s[8:9]
	s_cbranch_vccnz .LBB281_2059
; %bb.1983:
	v_max_u16_sdwa v1, v14, s15 dst_sel:DWORD dst_unused:UNUSED_PAD src0_sel:BYTE_0 src1_sel:DWORD
	v_min_u16_e32 v2, s16, v1
	v_mov_b32_e32 v1, 0
	s_cmp_lt_i32 s14, 11
	v_lshl_add_u64 v[0:1], s[4:5], 0, v[0:1]
	s_cbranch_scc1 .LBB281_2104
; %bb.1984:
	s_and_b32 s12, 0xffff, s14
	s_mov_b64 s[6:7], -1
	s_mov_b64 s[4:5], 0
	s_cmp_gt_i32 s12, 25
	s_mov_b64 s[0:1], 0
	s_cbranch_scc0 .LBB281_2017
; %bb.1985:
	s_cmp_gt_i32 s12, 28
	s_cbranch_scc0 .LBB281_2001
; %bb.1986:
	s_cmp_gt_i32 s12, 43
	;; [unrolled: 3-line block ×3, first 2 shown]
	s_cbranch_scc0 .LBB281_1991
; %bb.1988:
	s_cmp_eq_u32 s12, 46
	s_mov_b64 s[0:1], -1
	s_cbranch_scc0 .LBB281_1990
; %bb.1989:
	v_cvt_f32_ubyte0_e32 v3, v2
	v_bfe_u32 v4, v3, 16, 1
	s_movk_i32 s0, 0x7fff
	v_add3_u32 v3, v3, v4, s0
	v_lshrrev_b32_e32 v3, 16, v3
	global_store_dword v[0:1], v3, off
	s_mov_b64 s[0:1], 0
.LBB281_1990:
	s_mov_b64 s[6:7], 0
.LBB281_1991:
	s_and_b64 vcc, exec, s[6:7]
	s_cbranch_vccz .LBB281_1996
; %bb.1992:
	s_cmp_eq_u32 s12, 44
	s_mov_b64 s[0:1], -1
	s_cbranch_scc0 .LBB281_1996
; %bb.1993:
	v_cvt_f32_ubyte0_e32 v4, v2
	v_lshrrev_b32_e32 v3, 23, v4
	s_movk_i32 s0, 0xff
	v_cmp_ne_u32_e32 vcc, s0, v3
	v_mov_b32_e32 v5, 0xff
	s_and_saveexec_b64 s[6:7], vcc
; %bb.1994:
	s_mov_b32 s0, 0x3fffff
	v_and_b32_e32 v5, 0x400000, v4
	v_and_or_b32 v4, v4, s0, v3
	v_cmp_ne_u32_e32 vcc, 0, v5
	v_cmp_ne_u32_e64 s[0:1], 0, v4
	s_and_b64 s[0:1], vcc, s[0:1]
	s_nop 0
	v_cndmask_b32_e64 v4, 0, 1, s[0:1]
	v_add_u32_e32 v5, v3, v4
; %bb.1995:
	s_or_b64 exec, exec, s[6:7]
	s_mov_b64 s[0:1], 0
	global_store_byte v[0:1], v5, off
.LBB281_1996:
	s_mov_b64 s[6:7], 0
.LBB281_1997:
	s_and_b64 vcc, exec, s[6:7]
	s_cbranch_vccz .LBB281_2000
; %bb.1998:
	s_cmp_eq_u32 s12, 29
	s_mov_b64 s[0:1], -1
	s_cbranch_scc0 .LBB281_2000
; %bb.1999:
	s_mov_b32 s0, 0
	v_mov_b32_e32 v3, s0
	global_store_dwordx2 v[0:1], v[2:3], off
	s_mov_b64 s[0:1], 0
.LBB281_2000:
	s_mov_b64 s[6:7], 0
.LBB281_2001:
	s_and_b64 vcc, exec, s[6:7]
	s_cbranch_vccz .LBB281_2016
; %bb.2002:
	s_cmp_lt_i32 s12, 27
	s_mov_b64 s[6:7], -1
	s_cbranch_scc1 .LBB281_2008
; %bb.2003:
	s_cmp_gt_i32 s12, 27
	s_cbranch_scc0 .LBB281_2005
; %bb.2004:
	global_store_dword v[0:1], v2, off
	s_mov_b64 s[6:7], 0
.LBB281_2005:
	s_andn2_b64 vcc, exec, s[6:7]
	s_cbranch_vccnz .LBB281_2007
; %bb.2006:
	global_store_short v[0:1], v2, off
.LBB281_2007:
	s_mov_b64 s[6:7], 0
.LBB281_2008:
	s_andn2_b64 vcc, exec, s[6:7]
	s_cbranch_vccnz .LBB281_2016
; %bb.2009:
	v_cvt_f32_ubyte0_e32 v4, v2
	s_mov_b32 s6, 0x43800000
	v_cmp_gt_u32_e32 vcc, s6, v4
	v_mov_b32_e32 v5, 0x80
	s_and_saveexec_b64 s[6:7], vcc
	s_cbranch_execz .LBB281_2015
; %bb.2010:
	s_mov_b32 s8, 0x3bffffff
	v_cmp_lt_u32_e32 vcc, s8, v4
	s_mov_b64 s[8:9], 0
                                        ; implicit-def: $vgpr3
	s_and_saveexec_b64 s[10:11], vcc
	s_xor_b64 s[10:11], exec, s[10:11]
	s_cbranch_execz .LBB281_2121
; %bb.2011:
	v_bfe_u32 v3, v4, 20, 1
	s_mov_b32 s13, 0x487ffff
	v_add3_u32 v3, v4, v3, s13
	s_mov_b64 s[8:9], exec
	v_lshrrev_b32_e32 v3, 20, v3
                                        ; implicit-def: $vgpr4
	s_andn2_saveexec_b64 s[10:11], s[10:11]
	s_cbranch_execnz .LBB281_2122
.LBB281_2012:
	s_or_b64 exec, exec, s[10:11]
	v_mov_b32_e32 v5, 0
	s_and_saveexec_b64 s[10:11], s[8:9]
.LBB281_2013:
	v_mov_b32_e32 v5, v3
.LBB281_2014:
	s_or_b64 exec, exec, s[10:11]
.LBB281_2015:
	s_or_b64 exec, exec, s[6:7]
	global_store_byte v[0:1], v5, off
.LBB281_2016:
	s_mov_b64 s[6:7], 0
.LBB281_2017:
	s_and_b64 vcc, exec, s[6:7]
	s_cbranch_vccz .LBB281_2057
; %bb.2018:
	s_cmp_gt_i32 s12, 22
	s_mov_b64 s[4:5], -1
	s_cbranch_scc0 .LBB281_2050
; %bb.2019:
	s_cmp_lt_i32 s12, 24
	s_cbranch_scc1 .LBB281_2039
; %bb.2020:
	s_cmp_gt_i32 s12, 24
	s_cbranch_scc0 .LBB281_2028
; %bb.2021:
	v_cvt_f32_ubyte0_e32 v4, v2
	s_mov_b32 s4, 0x47800000
	v_cmp_gt_u32_e32 vcc, s4, v4
	v_mov_b32_e32 v5, 0x80
	s_and_saveexec_b64 s[4:5], vcc
	s_cbranch_execz .LBB281_2027
; %bb.2022:
	s_mov_b32 s6, 0x37ffffff
	v_cmp_lt_u32_e32 vcc, s6, v4
	s_mov_b64 s[6:7], 0
                                        ; implicit-def: $vgpr3
	s_and_saveexec_b64 s[8:9], vcc
	s_xor_b64 s[8:9], exec, s[8:9]
	s_cbranch_execz .LBB281_2124
; %bb.2023:
	v_bfe_u32 v3, v4, 21, 1
	s_mov_b32 s10, 0x88fffff
	v_add3_u32 v3, v4, v3, s10
	s_mov_b64 s[6:7], exec
	v_lshrrev_b32_e32 v3, 21, v3
                                        ; implicit-def: $vgpr4
	s_andn2_saveexec_b64 s[8:9], s[8:9]
	s_cbranch_execnz .LBB281_2125
.LBB281_2024:
	s_or_b64 exec, exec, s[8:9]
	v_mov_b32_e32 v5, 0
	s_and_saveexec_b64 s[8:9], s[6:7]
.LBB281_2025:
	v_mov_b32_e32 v5, v3
.LBB281_2026:
	s_or_b64 exec, exec, s[8:9]
.LBB281_2027:
	s_or_b64 exec, exec, s[4:5]
	s_mov_b64 s[4:5], 0
	global_store_byte v[0:1], v5, off
.LBB281_2028:
	s_and_b64 vcc, exec, s[4:5]
	s_cbranch_vccz .LBB281_2038
; %bb.2029:
	v_cvt_f32_ubyte0_e32 v3, v2
	s_mov_b32 s4, 0x43f00000
	v_cmp_gt_u32_e32 vcc, s4, v3
                                        ; implicit-def: $vgpr4
	s_and_saveexec_b64 s[4:5], vcc
	s_xor_b64 s[4:5], exec, s[4:5]
	s_cbranch_execz .LBB281_2035
; %bb.2030:
	s_mov_b32 s6, 0x3c7fffff
	v_cmp_lt_u32_e32 vcc, s6, v3
                                        ; implicit-def: $vgpr4
	s_and_saveexec_b64 s[6:7], vcc
	s_xor_b64 s[6:7], exec, s[6:7]
; %bb.2031:
	v_bfe_u32 v4, v3, 20, 1
	s_mov_b32 s8, 0x407ffff
	v_add3_u32 v3, v3, v4, s8
	v_lshrrev_b32_e32 v4, 20, v3
	v_and_b32_e32 v3, 0xff00000, v3
	s_mov_b32 s8, 0x7f00000
	v_mov_b32_e32 v5, 0x7e
	v_cmp_ne_u32_e32 vcc, s8, v3
                                        ; implicit-def: $vgpr3
	s_nop 1
	v_cndmask_b32_e32 v4, v5, v4, vcc
; %bb.2032:
	s_andn2_saveexec_b64 s[6:7], s[6:7]
; %bb.2033:
	v_add_f32_e32 v4, 0x46800000, v3
; %bb.2034:
	s_or_b64 exec, exec, s[6:7]
                                        ; implicit-def: $vgpr3
.LBB281_2035:
	s_andn2_saveexec_b64 s[4:5], s[4:5]
; %bb.2036:
	s_mov_b32 s6, 0x7f800000
	v_mov_b32_e32 v4, 0x7e
	v_mov_b32_e32 v5, 0x7f
	v_cmp_lt_u32_e32 vcc, s6, v3
	s_nop 1
	v_cndmask_b32_e32 v4, v4, v5, vcc
; %bb.2037:
	s_or_b64 exec, exec, s[4:5]
	global_store_byte v[0:1], v4, off
.LBB281_2038:
	s_mov_b64 s[4:5], 0
.LBB281_2039:
	s_andn2_b64 vcc, exec, s[4:5]
	s_cbranch_vccnz .LBB281_2049
; %bb.2040:
	v_cvt_f32_ubyte0_e32 v3, v2
	s_mov_b32 s4, 0x47800000
	v_cmp_gt_u32_e32 vcc, s4, v3
                                        ; implicit-def: $vgpr4
	s_and_saveexec_b64 s[4:5], vcc
	s_xor_b64 s[4:5], exec, s[4:5]
	s_cbranch_execz .LBB281_2046
; %bb.2041:
	s_mov_b32 s6, 0x387fffff
	v_cmp_lt_u32_e32 vcc, s6, v3
                                        ; implicit-def: $vgpr4
	s_and_saveexec_b64 s[6:7], vcc
	s_xor_b64 s[6:7], exec, s[6:7]
; %bb.2042:
	v_bfe_u32 v4, v3, 21, 1
	s_mov_b32 s8, 0x80fffff
	v_add3_u32 v3, v3, v4, s8
	v_lshrrev_b32_e32 v4, 21, v3
                                        ; implicit-def: $vgpr3
; %bb.2043:
	s_andn2_saveexec_b64 s[6:7], s[6:7]
; %bb.2044:
	v_add_f32_e32 v4, 0x43000000, v3
; %bb.2045:
	s_or_b64 exec, exec, s[6:7]
                                        ; implicit-def: $vgpr3
.LBB281_2046:
	s_andn2_saveexec_b64 s[4:5], s[4:5]
; %bb.2047:
	s_mov_b32 s6, 0x7f800000
	v_mov_b32_e32 v4, 0x7c
	v_mov_b32_e32 v5, 0x7f
	v_cmp_lt_u32_e32 vcc, s6, v3
	s_nop 1
	v_cndmask_b32_e32 v4, v4, v5, vcc
; %bb.2048:
	s_or_b64 exec, exec, s[4:5]
	global_store_byte v[0:1], v4, off
.LBB281_2049:
	s_mov_b64 s[4:5], 0
.LBB281_2050:
	s_andn2_b64 vcc, exec, s[4:5]
	s_mov_b64 s[4:5], 0
	s_cbranch_vccnz .LBB281_2057
; %bb.2051:
	s_cmp_gt_i32 s12, 14
	s_mov_b64 s[6:7], -1
	s_cbranch_scc0 .LBB281_2055
; %bb.2052:
	s_cmp_eq_u32 s12, 15
	s_mov_b64 s[0:1], -1
	s_cbranch_scc0 .LBB281_2054
; %bb.2053:
	v_cvt_f32_ubyte0_e32 v3, v2
	v_bfe_u32 v4, v3, 16, 1
	s_movk_i32 s0, 0x7fff
	v_add3_u32 v3, v3, v4, s0
	global_store_short_d16_hi v[0:1], v3, off
	s_mov_b64 s[0:1], 0
.LBB281_2054:
	s_mov_b64 s[6:7], 0
.LBB281_2055:
	s_and_b64 vcc, exec, s[6:7]
	s_cbranch_vccz .LBB281_2057
; %bb.2056:
	s_cmp_lg_u32 s12, 11
	s_mov_b64 s[4:5], -1
	s_cselect_b64 s[0:1], -1, 0
.LBB281_2057:
	s_and_b64 vcc, exec, s[0:1]
	s_cbranch_vccnz .LBB281_2123
.LBB281_2058:
	s_mov_b64 s[0:1], 0
	s_branch .LBB281_2060
.LBB281_2059:
	s_mov_b64 s[0:1], 0
	s_mov_b64 s[4:5], 0
                                        ; implicit-def: $vgpr0_vgpr1
                                        ; implicit-def: $sgpr14
                                        ; implicit-def: $vgpr2
.LBB281_2060:
	s_and_b64 s[6:7], s[0:1], exec
	s_andn2_b64 s[0:1], s[24:25], exec
	s_and_b64 s[2:3], s[2:3], exec
	s_and_b64 s[40:41], s[4:5], exec
	s_or_b64 s[24:25], s[0:1], s[2:3]
.LBB281_2061:
	s_or_b64 exec, exec, s[26:27]
	s_and_saveexec_b64 s[0:1], s[24:25]
	s_cbranch_execz .LBB281_2064
; %bb.2062:
	; divergent unreachable
	s_or_b64 exec, exec, s[0:1]
	s_and_saveexec_b64 s[0:1], s[40:41]
	s_xor_b64 s[0:1], exec, s[0:1]
	s_cbranch_execnz .LBB281_2065
.LBB281_2063:
	s_or_b64 exec, exec, s[0:1]
	s_and_saveexec_b64 s[0:1], s[6:7]
	s_cbranch_execnz .LBB281_2066
	s_branch .LBB281_2103
.LBB281_2064:
	s_or_b64 exec, exec, s[0:1]
	s_and_saveexec_b64 s[0:1], s[40:41]
	s_xor_b64 s[0:1], exec, s[0:1]
	s_cbranch_execz .LBB281_2063
.LBB281_2065:
	v_mov_b32_e32 v3, 0
	v_cmp_ne_u16_sdwa s[2:3], v2, v3 src0_sel:BYTE_0 src1_sel:DWORD
	s_nop 1
	v_cndmask_b32_e64 v3, 0, 1, s[2:3]
	global_store_byte v[0:1], v3, off
	s_or_b64 exec, exec, s[0:1]
	s_and_saveexec_b64 s[0:1], s[6:7]
	s_cbranch_execz .LBB281_2103
.LBB281_2066:
	s_sext_i32_i16 s2, s14
	s_cmp_lt_i32 s2, 5
	s_mov_b64 s[0:1], -1
	s_cbranch_scc1 .LBB281_2087
; %bb.2067:
	s_cmp_lt_i32 s2, 8
	s_cbranch_scc1 .LBB281_2077
; %bb.2068:
	s_cmp_lt_i32 s2, 9
	s_cbranch_scc1 .LBB281_2074
; %bb.2069:
	s_cmp_gt_i32 s2, 9
	s_cbranch_scc0 .LBB281_2071
; %bb.2070:
	s_mov_b32 s0, 0xffff
	v_and_b32_sdwa v3, s0, v2 dst_sel:DWORD dst_unused:UNUSED_PAD src0_sel:DWORD src1_sel:BYTE_0
	s_waitcnt vmcnt(0)
	v_mov_b32_e32 v6, 0
	v_cvt_f64_u32_e32 v[4:5], v3
	v_mov_b32_e32 v7, v6
	global_store_dwordx4 v[0:1], v[4:7], off
	s_mov_b64 s[0:1], 0
.LBB281_2071:
	s_andn2_b64 vcc, exec, s[0:1]
	s_cbranch_vccnz .LBB281_2073
; %bb.2072:
	s_waitcnt vmcnt(0)
	v_cvt_f32_ubyte0_e32 v4, v2
	v_mov_b32_e32 v5, 0
	global_store_dwordx2 v[0:1], v[4:5], off
.LBB281_2073:
	s_mov_b64 s[0:1], 0
.LBB281_2074:
	s_andn2_b64 vcc, exec, s[0:1]
	s_cbranch_vccnz .LBB281_2076
; %bb.2075:
	v_cvt_f16_u16_sdwa v3, v2 dst_sel:DWORD dst_unused:UNUSED_PAD src0_sel:BYTE_0
	global_store_dword v[0:1], v3, off
.LBB281_2076:
	s_mov_b64 s[0:1], 0
.LBB281_2077:
	s_andn2_b64 vcc, exec, s[0:1]
	s_cbranch_vccnz .LBB281_2086
; %bb.2078:
	s_sext_i32_i16 s2, s14
	s_cmp_lt_i32 s2, 6
	s_mov_b64 s[0:1], -1
	s_cbranch_scc1 .LBB281_2084
; %bb.2079:
	s_cmp_gt_i32 s2, 6
	s_cbranch_scc0 .LBB281_2081
; %bb.2080:
	s_mov_b32 s0, 0xffff
	v_and_b32_sdwa v3, s0, v2 dst_sel:DWORD dst_unused:UNUSED_PAD src0_sel:DWORD src1_sel:BYTE_0
	s_waitcnt vmcnt(0)
	v_cvt_f64_u32_e32 v[4:5], v3
	global_store_dwordx2 v[0:1], v[4:5], off
	s_mov_b64 s[0:1], 0
.LBB281_2081:
	s_andn2_b64 vcc, exec, s[0:1]
	s_cbranch_vccnz .LBB281_2083
; %bb.2082:
	v_cvt_f32_ubyte0_e32 v3, v2
	global_store_dword v[0:1], v3, off
.LBB281_2083:
	s_mov_b64 s[0:1], 0
.LBB281_2084:
	s_andn2_b64 vcc, exec, s[0:1]
	s_cbranch_vccnz .LBB281_2086
; %bb.2085:
	v_cvt_f16_u16_sdwa v3, v2 dst_sel:DWORD dst_unused:UNUSED_PAD src0_sel:BYTE_0
	global_store_short v[0:1], v3, off
.LBB281_2086:
	s_mov_b64 s[0:1], 0
.LBB281_2087:
	s_andn2_b64 vcc, exec, s[0:1]
	s_cbranch_vccnz .LBB281_2103
; %bb.2088:
	s_sext_i32_i16 s2, s14
	s_cmp_lt_i32 s2, 2
	s_mov_b64 s[0:1], -1
	s_cbranch_scc1 .LBB281_2098
; %bb.2089:
	s_cmp_lt_i32 s2, 3
	s_cbranch_scc1 .LBB281_2095
; %bb.2090:
	s_cmp_gt_i32 s2, 3
	s_cbranch_scc0 .LBB281_2092
; %bb.2091:
	s_waitcnt vmcnt(0)
	v_and_b32_e32 v4, 0xff, v2
	v_mov_b32_e32 v5, 0
	global_store_dwordx2 v[0:1], v[4:5], off
	s_mov_b64 s[0:1], 0
.LBB281_2092:
	s_andn2_b64 vcc, exec, s[0:1]
	s_cbranch_vccnz .LBB281_2094
; %bb.2093:
	v_and_b32_e32 v3, 0xff, v2
	global_store_dword v[0:1], v3, off
.LBB281_2094:
	s_mov_b64 s[0:1], 0
.LBB281_2095:
	s_andn2_b64 vcc, exec, s[0:1]
	s_cbranch_vccnz .LBB281_2097
; %bb.2096:
	v_and_b32_e32 v3, 0xff, v2
	global_store_short v[0:1], v3, off
.LBB281_2097:
	s_mov_b64 s[0:1], 0
.LBB281_2098:
	s_andn2_b64 vcc, exec, s[0:1]
	s_cbranch_vccnz .LBB281_2103
; %bb.2099:
	s_sext_i32_i16 s0, s14
	s_cmp_gt_i32 s0, 0
	s_mov_b64 s[0:1], -1
	s_cbranch_scc0 .LBB281_2101
; %bb.2100:
	global_store_byte v[0:1], v2, off
	s_mov_b64 s[0:1], 0
.LBB281_2101:
	s_andn2_b64 vcc, exec, s[0:1]
	s_cbranch_vccnz .LBB281_2103
; %bb.2102:
	global_store_byte v[0:1], v2, off
	s_endpgm
.LBB281_2103:
	s_endpgm
.LBB281_2104:
	s_mov_b64 s[4:5], 0
	s_mov_b64 s[0:1], -1
	s_branch .LBB281_2060
.LBB281_2105:
	s_trap 2
	s_or_b64 s[2:3], s[2:3], exec
	s_cbranch_execz .LBB281_1574
	s_branch .LBB281_1575
.LBB281_2106:
	s_andn2_saveexec_b64 s[12:13], s[12:13]
	s_cbranch_execz .LBB281_1654
.LBB281_2107:
	v_add_f32_e32 v1, 0x46000000, v3
	v_and_b32_e32 v1, 0xff, v1
	v_cmp_ne_u32_e32 vcc, 0, v1
	s_andn2_b64 s[10:11], s[10:11], exec
	s_and_b64 s[20:21], vcc, exec
	s_or_b64 s[10:11], s[10:11], s[20:21]
	s_or_b64 exec, exec, s[12:13]
	v_mov_b32_e32 v5, 0
	s_and_saveexec_b64 s[12:13], s[10:11]
	s_cbranch_execnz .LBB281_1655
	s_branch .LBB281_1656
.LBB281_2108:
	s_trap 2
	s_or_b64 s[2:3], s[2:3], exec
	s_cbranch_execz .LBB281_1702
	s_branch .LBB281_1703
.LBB281_2109:
	s_andn2_saveexec_b64 s[10:11], s[10:11]
	s_cbranch_execz .LBB281_1667
.LBB281_2110:
	v_add_f32_e32 v1, 0x42800000, v3
	v_and_b32_e32 v1, 0xff, v1
	v_cmp_ne_u32_e32 vcc, 0, v1
	s_andn2_b64 s[8:9], s[8:9], exec
	s_and_b64 s[12:13], vcc, exec
	s_or_b64 s[8:9], s[8:9], s[12:13]
	s_or_b64 exec, exec, s[10:11]
	v_mov_b32_e32 v5, 0
	s_and_saveexec_b64 s[10:11], s[8:9]
	s_cbranch_execnz .LBB281_1668
	s_branch .LBB281_1669
.LBB281_2111:
	s_andn2_saveexec_b64 s[12:13], s[12:13]
	s_cbranch_execz .LBB281_1773
.LBB281_2112:
	v_add_f32_e32 v1, 0x46000000, v3
	v_and_b32_e32 v1, 0xff, v1
	v_cmp_ne_u32_e32 vcc, 0, v1
	s_andn2_b64 s[10:11], s[10:11], exec
	s_and_b64 s[18:19], vcc, exec
	s_or_b64 s[10:11], s[10:11], s[18:19]
	s_or_b64 exec, exec, s[12:13]
	v_mov_b32_e32 v7, 0
	s_and_saveexec_b64 s[12:13], s[10:11]
	s_cbranch_execnz .LBB281_1774
	s_branch .LBB281_1775
.LBB281_2113:
	s_trap 2
	s_or_b64 s[2:3], s[2:3], exec
	s_cbranch_execz .LBB281_1821
	s_branch .LBB281_1822
.LBB281_2114:
	s_andn2_saveexec_b64 s[10:11], s[10:11]
	s_cbranch_execz .LBB281_1786
.LBB281_2115:
	v_add_f32_e32 v1, 0x42800000, v3
	v_and_b32_e32 v1, 0xff, v1
	v_cmp_ne_u32_e32 vcc, 0, v1
	s_andn2_b64 s[8:9], s[8:9], exec
	s_and_b64 s[12:13], vcc, exec
	s_or_b64 s[8:9], s[8:9], s[12:13]
	s_or_b64 exec, exec, s[10:11]
	v_mov_b32_e32 v7, 0
	s_and_saveexec_b64 s[10:11], s[8:9]
	s_cbranch_execnz .LBB281_1787
	s_branch .LBB281_1788
.LBB281_2116:
	s_andn2_saveexec_b64 s[12:13], s[12:13]
	s_cbranch_execz .LBB281_1892
.LBB281_2117:
	v_add_f32_e32 v1, 0x46000000, v5
	v_and_b32_e32 v1, 0xff, v1
	v_cmp_ne_u32_e32 vcc, 0, v1
	s_andn2_b64 s[10:11], s[10:11], exec
	s_and_b64 s[18:19], vcc, exec
	s_or_b64 s[10:11], s[10:11], s[18:19]
	s_or_b64 exec, exec, s[12:13]
	v_mov_b32_e32 v6, 0
	s_and_saveexec_b64 s[12:13], s[10:11]
	s_cbranch_execnz .LBB281_1893
	s_branch .LBB281_1894
.LBB281_2118:
	s_trap 2
	s_or_b64 s[2:3], s[2:3], exec
	s_cbranch_execz .LBB281_1940
	s_branch .LBB281_1941
.LBB281_2119:
	s_andn2_saveexec_b64 s[10:11], s[10:11]
	s_cbranch_execz .LBB281_1905
.LBB281_2120:
	v_add_f32_e32 v1, 0x42800000, v5
	v_and_b32_e32 v1, 0xff, v1
	v_cmp_ne_u32_e32 vcc, 0, v1
	s_andn2_b64 s[8:9], s[8:9], exec
	s_and_b64 s[12:13], vcc, exec
	s_or_b64 s[8:9], s[8:9], s[12:13]
	s_or_b64 exec, exec, s[10:11]
	v_mov_b32_e32 v6, 0
	s_and_saveexec_b64 s[10:11], s[8:9]
	s_cbranch_execnz .LBB281_1906
	s_branch .LBB281_1907
.LBB281_2121:
	s_andn2_saveexec_b64 s[10:11], s[10:11]
	s_cbranch_execz .LBB281_2012
.LBB281_2122:
	v_add_f32_e32 v3, 0x46000000, v4
	v_and_b32_e32 v3, 0xff, v3
	v_cmp_ne_u32_e32 vcc, 0, v3
	s_andn2_b64 s[8:9], s[8:9], exec
	s_and_b64 s[16:17], vcc, exec
	s_or_b64 s[8:9], s[8:9], s[16:17]
	s_or_b64 exec, exec, s[10:11]
	v_mov_b32_e32 v5, 0
	s_and_saveexec_b64 s[10:11], s[8:9]
	s_cbranch_execnz .LBB281_2013
	s_branch .LBB281_2014
.LBB281_2123:
	s_mov_b64 s[4:5], 0
	s_or_b64 s[2:3], s[2:3], exec
	s_trap 2
	s_branch .LBB281_2058
.LBB281_2124:
	s_andn2_saveexec_b64 s[8:9], s[8:9]
	s_cbranch_execz .LBB281_2024
.LBB281_2125:
	v_add_f32_e32 v3, 0x42800000, v4
	v_and_b32_e32 v3, 0xff, v3
	v_cmp_ne_u32_e32 vcc, 0, v3
	s_andn2_b64 s[6:7], s[6:7], exec
	s_and_b64 s[10:11], vcc, exec
	s_or_b64 s[6:7], s[6:7], s[10:11]
	s_or_b64 exec, exec, s[8:9]
	v_mov_b32_e32 v5, 0
	s_and_saveexec_b64 s[8:9], s[6:7]
	s_cbranch_execnz .LBB281_2025
	s_branch .LBB281_2026
	.section	.rodata,"a",@progbits
	.p2align	6, 0x0
	.amdhsa_kernel _ZN2at6native32elementwise_kernel_manual_unrollILi128ELi4EZNS0_15gpu_kernel_implIZZZNS0_17clamp_kernel_cudaERNS_18TensorIteratorBaseERKN3c106ScalarES8_ENKUlvE_clEvENKUlvE_clEvEUlhE_EEvS4_RKT_EUlibE0_EEviT1_
		.amdhsa_group_segment_fixed_size 0
		.amdhsa_private_segment_fixed_size 0
		.amdhsa_kernarg_size 360
		.amdhsa_user_sgpr_count 2
		.amdhsa_user_sgpr_dispatch_ptr 0
		.amdhsa_user_sgpr_queue_ptr 0
		.amdhsa_user_sgpr_kernarg_segment_ptr 1
		.amdhsa_user_sgpr_dispatch_id 0
		.amdhsa_user_sgpr_kernarg_preload_length 0
		.amdhsa_user_sgpr_kernarg_preload_offset 0
		.amdhsa_user_sgpr_private_segment_size 0
		.amdhsa_uses_dynamic_stack 0
		.amdhsa_enable_private_segment 0
		.amdhsa_system_sgpr_workgroup_id_x 1
		.amdhsa_system_sgpr_workgroup_id_y 0
		.amdhsa_system_sgpr_workgroup_id_z 0
		.amdhsa_system_sgpr_workgroup_info 0
		.amdhsa_system_vgpr_workitem_id 0
		.amdhsa_next_free_vgpr 20
		.amdhsa_next_free_sgpr 80
		.amdhsa_accum_offset 20
		.amdhsa_reserve_vcc 1
		.amdhsa_float_round_mode_32 0
		.amdhsa_float_round_mode_16_64 0
		.amdhsa_float_denorm_mode_32 3
		.amdhsa_float_denorm_mode_16_64 3
		.amdhsa_dx10_clamp 1
		.amdhsa_ieee_mode 1
		.amdhsa_fp16_overflow 0
		.amdhsa_tg_split 0
		.amdhsa_exception_fp_ieee_invalid_op 0
		.amdhsa_exception_fp_denorm_src 0
		.amdhsa_exception_fp_ieee_div_zero 0
		.amdhsa_exception_fp_ieee_overflow 0
		.amdhsa_exception_fp_ieee_underflow 0
		.amdhsa_exception_fp_ieee_inexact 0
		.amdhsa_exception_int_div_zero 0
	.end_amdhsa_kernel
	.section	.text._ZN2at6native32elementwise_kernel_manual_unrollILi128ELi4EZNS0_15gpu_kernel_implIZZZNS0_17clamp_kernel_cudaERNS_18TensorIteratorBaseERKN3c106ScalarES8_ENKUlvE_clEvENKUlvE_clEvEUlhE_EEvS4_RKT_EUlibE0_EEviT1_,"axG",@progbits,_ZN2at6native32elementwise_kernel_manual_unrollILi128ELi4EZNS0_15gpu_kernel_implIZZZNS0_17clamp_kernel_cudaERNS_18TensorIteratorBaseERKN3c106ScalarES8_ENKUlvE_clEvENKUlvE_clEvEUlhE_EEvS4_RKT_EUlibE0_EEviT1_,comdat
.Lfunc_end281:
	.size	_ZN2at6native32elementwise_kernel_manual_unrollILi128ELi4EZNS0_15gpu_kernel_implIZZZNS0_17clamp_kernel_cudaERNS_18TensorIteratorBaseERKN3c106ScalarES8_ENKUlvE_clEvENKUlvE_clEvEUlhE_EEvS4_RKT_EUlibE0_EEviT1_, .Lfunc_end281-_ZN2at6native32elementwise_kernel_manual_unrollILi128ELi4EZNS0_15gpu_kernel_implIZZZNS0_17clamp_kernel_cudaERNS_18TensorIteratorBaseERKN3c106ScalarES8_ENKUlvE_clEvENKUlvE_clEvEUlhE_EEvS4_RKT_EUlibE0_EEviT1_
                                        ; -- End function
	.set _ZN2at6native32elementwise_kernel_manual_unrollILi128ELi4EZNS0_15gpu_kernel_implIZZZNS0_17clamp_kernel_cudaERNS_18TensorIteratorBaseERKN3c106ScalarES8_ENKUlvE_clEvENKUlvE_clEvEUlhE_EEvS4_RKT_EUlibE0_EEviT1_.num_vgpr, 20
	.set _ZN2at6native32elementwise_kernel_manual_unrollILi128ELi4EZNS0_15gpu_kernel_implIZZZNS0_17clamp_kernel_cudaERNS_18TensorIteratorBaseERKN3c106ScalarES8_ENKUlvE_clEvENKUlvE_clEvEUlhE_EEvS4_RKT_EUlibE0_EEviT1_.num_agpr, 0
	.set _ZN2at6native32elementwise_kernel_manual_unrollILi128ELi4EZNS0_15gpu_kernel_implIZZZNS0_17clamp_kernel_cudaERNS_18TensorIteratorBaseERKN3c106ScalarES8_ENKUlvE_clEvENKUlvE_clEvEUlhE_EEvS4_RKT_EUlibE0_EEviT1_.numbered_sgpr, 80
	.set _ZN2at6native32elementwise_kernel_manual_unrollILi128ELi4EZNS0_15gpu_kernel_implIZZZNS0_17clamp_kernel_cudaERNS_18TensorIteratorBaseERKN3c106ScalarES8_ENKUlvE_clEvENKUlvE_clEvEUlhE_EEvS4_RKT_EUlibE0_EEviT1_.num_named_barrier, 0
	.set _ZN2at6native32elementwise_kernel_manual_unrollILi128ELi4EZNS0_15gpu_kernel_implIZZZNS0_17clamp_kernel_cudaERNS_18TensorIteratorBaseERKN3c106ScalarES8_ENKUlvE_clEvENKUlvE_clEvEUlhE_EEvS4_RKT_EUlibE0_EEviT1_.private_seg_size, 0
	.set _ZN2at6native32elementwise_kernel_manual_unrollILi128ELi4EZNS0_15gpu_kernel_implIZZZNS0_17clamp_kernel_cudaERNS_18TensorIteratorBaseERKN3c106ScalarES8_ENKUlvE_clEvENKUlvE_clEvEUlhE_EEvS4_RKT_EUlibE0_EEviT1_.uses_vcc, 1
	.set _ZN2at6native32elementwise_kernel_manual_unrollILi128ELi4EZNS0_15gpu_kernel_implIZZZNS0_17clamp_kernel_cudaERNS_18TensorIteratorBaseERKN3c106ScalarES8_ENKUlvE_clEvENKUlvE_clEvEUlhE_EEvS4_RKT_EUlibE0_EEviT1_.uses_flat_scratch, 0
	.set _ZN2at6native32elementwise_kernel_manual_unrollILi128ELi4EZNS0_15gpu_kernel_implIZZZNS0_17clamp_kernel_cudaERNS_18TensorIteratorBaseERKN3c106ScalarES8_ENKUlvE_clEvENKUlvE_clEvEUlhE_EEvS4_RKT_EUlibE0_EEviT1_.has_dyn_sized_stack, 0
	.set _ZN2at6native32elementwise_kernel_manual_unrollILi128ELi4EZNS0_15gpu_kernel_implIZZZNS0_17clamp_kernel_cudaERNS_18TensorIteratorBaseERKN3c106ScalarES8_ENKUlvE_clEvENKUlvE_clEvEUlhE_EEvS4_RKT_EUlibE0_EEviT1_.has_recursion, 0
	.set _ZN2at6native32elementwise_kernel_manual_unrollILi128ELi4EZNS0_15gpu_kernel_implIZZZNS0_17clamp_kernel_cudaERNS_18TensorIteratorBaseERKN3c106ScalarES8_ENKUlvE_clEvENKUlvE_clEvEUlhE_EEvS4_RKT_EUlibE0_EEviT1_.has_indirect_call, 0
	.section	.AMDGPU.csdata,"",@progbits
; Kernel info:
; codeLenInByte = 38300
; TotalNumSgprs: 86
; NumVgprs: 20
; NumAgprs: 0
; TotalNumVgprs: 20
; ScratchSize: 0
; MemoryBound: 1
; FloatMode: 240
; IeeeMode: 1
; LDSByteSize: 0 bytes/workgroup (compile time only)
; SGPRBlocks: 10
; VGPRBlocks: 2
; NumSGPRsForWavesPerEU: 86
; NumVGPRsForWavesPerEU: 20
; AccumOffset: 20
; Occupancy: 8
; WaveLimiterHint : 1
; COMPUTE_PGM_RSRC2:SCRATCH_EN: 0
; COMPUTE_PGM_RSRC2:USER_SGPR: 2
; COMPUTE_PGM_RSRC2:TRAP_HANDLER: 0
; COMPUTE_PGM_RSRC2:TGID_X_EN: 1
; COMPUTE_PGM_RSRC2:TGID_Y_EN: 0
; COMPUTE_PGM_RSRC2:TGID_Z_EN: 0
; COMPUTE_PGM_RSRC2:TIDIG_COMP_CNT: 0
; COMPUTE_PGM_RSRC3_GFX90A:ACCUM_OFFSET: 4
; COMPUTE_PGM_RSRC3_GFX90A:TG_SPLIT: 0
	.section	.text._ZN2at6native29vectorized_elementwise_kernelILi16EZZZNS0_17clamp_kernel_cudaERNS_18TensorIteratorBaseERKN3c106ScalarES7_ENKUlvE_clEvENKUlvE0_clEvEUlaE_St5arrayIPcLm2EEEEviT0_T1_,"axG",@progbits,_ZN2at6native29vectorized_elementwise_kernelILi16EZZZNS0_17clamp_kernel_cudaERNS_18TensorIteratorBaseERKN3c106ScalarES7_ENKUlvE_clEvENKUlvE0_clEvEUlaE_St5arrayIPcLm2EEEEviT0_T1_,comdat
	.globl	_ZN2at6native29vectorized_elementwise_kernelILi16EZZZNS0_17clamp_kernel_cudaERNS_18TensorIteratorBaseERKN3c106ScalarES7_ENKUlvE_clEvENKUlvE0_clEvEUlaE_St5arrayIPcLm2EEEEviT0_T1_ ; -- Begin function _ZN2at6native29vectorized_elementwise_kernelILi16EZZZNS0_17clamp_kernel_cudaERNS_18TensorIteratorBaseERKN3c106ScalarES7_ENKUlvE_clEvENKUlvE0_clEvEUlaE_St5arrayIPcLm2EEEEviT0_T1_
	.p2align	8
	.type	_ZN2at6native29vectorized_elementwise_kernelILi16EZZZNS0_17clamp_kernel_cudaERNS_18TensorIteratorBaseERKN3c106ScalarES7_ENKUlvE_clEvENKUlvE0_clEvEUlaE_St5arrayIPcLm2EEEEviT0_T1_,@function
_ZN2at6native29vectorized_elementwise_kernelILi16EZZZNS0_17clamp_kernel_cudaERNS_18TensorIteratorBaseERKN3c106ScalarES7_ENKUlvE_clEvENKUlvE0_clEvEUlaE_St5arrayIPcLm2EEEEviT0_T1_: ; @_ZN2at6native29vectorized_elementwise_kernelILi16EZZZNS0_17clamp_kernel_cudaERNS_18TensorIteratorBaseERKN3c106ScalarES7_ENKUlvE_clEvENKUlvE0_clEvEUlaE_St5arrayIPcLm2EEEEviT0_T1_
; %bb.0:
	v_mov_b32_e32 v1, 0
	global_load_ushort v1, v1, s[0:1] offset:4
	s_load_dword s3, s[0:1], 0x0
	s_load_dwordx4 s[4:7], s[0:1], 0x8
	s_lshl_b32 s33, s2, 12
	s_mov_b64 s[8:9], -1
	s_waitcnt lgkmcnt(0)
	s_sub_i32 s38, s3, s33
	s_cmpk_gt_i32 s38, 0xfff
	s_waitcnt vmcnt(0)
	v_readfirstlane_b32 s39, v1
	s_sext_i32_i16 s40, s39
	s_cbranch_scc0 .LBB282_2
; %bb.1:
	s_bfe_i32 s2, s39, 0x80000
	s_lshr_b32 s3, s40, 8
	s_ashr_i32 s8, s33, 31
	s_add_u32 s0, s6, s33
	s_addc_u32 s1, s7, s8
	v_lshlrev_b32_e32 v1, 4, v0
	global_load_dwordx4 v[2:5], v1, s[0:1]
	s_movk_i32 s9, 0xff
	s_add_u32 s0, s4, s33
	s_addc_u32 s1, s5, s8
	s_waitcnt vmcnt(0)
	v_lshrrev_b32_e32 v6, 8, v2
	v_lshrrev_b32_e32 v7, 16, v2
	;; [unrolled: 1-line block ×12, first 2 shown]
	v_max_i16_sdwa v2, sext(v2), s2 dst_sel:DWORD dst_unused:UNUSED_PAD src0_sel:BYTE_0 src1_sel:DWORD
	v_max_i16_sdwa v3, sext(v3), s2 dst_sel:DWORD dst_unused:UNUSED_PAD src0_sel:BYTE_0 src1_sel:DWORD
	;; [unrolled: 1-line block ×16, first 2 shown]
	v_min_i16_e32 v2, s3, v2
	v_min_i16_e32 v3, s3, v3
	;; [unrolled: 1-line block ×4, first 2 shown]
	v_min_i16_sdwa v6, v6, s3 dst_sel:BYTE_1 dst_unused:UNUSED_PAD src0_sel:DWORD src1_sel:DWORD
	v_min_i16_e32 v7, s3, v7
	v_min_i16_sdwa v8, v8, s3 dst_sel:BYTE_1 dst_unused:UNUSED_PAD src0_sel:DWORD src1_sel:DWORD
	v_min_i16_sdwa v9, v9, s3 dst_sel:BYTE_1 dst_unused:UNUSED_PAD src0_sel:DWORD src1_sel:DWORD
	v_min_i16_e32 v10, s3, v10
	v_min_i16_sdwa v11, v11, s3 dst_sel:BYTE_1 dst_unused:UNUSED_PAD src0_sel:DWORD src1_sel:DWORD
	;; [unrolled: 3-line block ×4, first 2 shown]
	v_bitop3_b16 v5, v5, v15, s9 bitop3:0xec
	v_bitop3_b16 v15, v16, v17, s9 bitop3:0xec
	;; [unrolled: 1-line block ×8, first 2 shown]
	v_lshlrev_b32_e32 v7, 16, v15
	v_lshlrev_b32_e32 v8, 16, v12
	;; [unrolled: 1-line block ×4, first 2 shown]
	v_or_b32_sdwa v5, v5, v7 dst_sel:DWORD dst_unused:UNUSED_PAD src0_sel:WORD_0 src1_sel:DWORD
	v_or_b32_sdwa v4, v4, v8 dst_sel:DWORD dst_unused:UNUSED_PAD src0_sel:WORD_0 src1_sel:DWORD
	;; [unrolled: 1-line block ×4, first 2 shown]
	global_store_dwordx4 v1, v[2:5], s[0:1]
	s_mov_b64 s[8:9], 0
.LBB282_2:
	s_andn2_b64 vcc, exec, s[8:9]
	s_cbranch_vccnz .LBB282_52
; %bb.3:
	v_cmp_gt_i32_e32 vcc, s38, v0
	v_or_b32_e32 v1, 0x100, v0
	v_mov_b32_e32 v20, 0
	v_or_b32_e32 v6, s33, v0
	v_mov_b32_e32 v19, 0
	v_mov_b32_e32 v18, 0
	;; [unrolled: 1-line block ×15, first 2 shown]
	s_and_saveexec_b64 s[2:3], vcc
	s_cbranch_execz .LBB282_35
; %bb.4:
	global_load_ubyte v12, v6, s[6:7]
	v_cmp_gt_u32_e64 s[0:1], s38, v1
	v_mov_b32_e32 v9, 0
	v_mov_b32_e32 v3, 0
	;; [unrolled: 1-line block ×15, first 2 shown]
	s_and_saveexec_b64 s[8:9], s[0:1]
	s_cbranch_execz .LBB282_34
; %bb.5:
	v_add_u32_e32 v2, s33, v0
	global_load_ubyte v9, v2, s[6:7] offset:256
	v_or_b32_e32 v4, 0x200, v0
	v_mov_b32_e32 v3, 0
	v_cmp_gt_u32_e64 s[0:1], s38, v4
	v_mov_b32_e32 v4, 0
	v_mov_b32_e32 v7, 0
	;; [unrolled: 1-line block ×13, first 2 shown]
	s_and_saveexec_b64 s[10:11], s[0:1]
	s_cbranch_execz .LBB282_33
; %bb.6:
	v_lshl_add_u64 v[4:5], s[6:7], 0, v[2:3]
	global_load_ubyte v2, v[4:5], off offset:512
	v_or_b32_e32 v7, 0x300, v0
	v_cmp_gt_u32_e64 s[0:1], s38, v7
	v_mov_b32_e32 v7, 0
	v_mov_b32_e32 v10, 0
	;; [unrolled: 1-line block ×12, first 2 shown]
	s_and_saveexec_b64 s[6:7], s[0:1]
	s_cbranch_execz .LBB282_32
; %bb.7:
	global_load_ubyte v3, v[4:5], off offset:768
	v_or_b32_e32 v7, 0x400, v0
	v_cmp_gt_u32_e64 s[0:1], s38, v7
	v_mov_b32_e32 v7, 0
	v_mov_b32_e32 v10, 0
	;; [unrolled: 1-line block ×12, first 2 shown]
	s_and_saveexec_b64 s[12:13], s[0:1]
	s_cbranch_execz .LBB282_31
; %bb.8:
	global_load_ubyte v7, v[4:5], off offset:1024
	v_or_b32_e32 v8, 0x500, v0
	v_cmp_gt_u32_e64 s[0:1], s38, v8
	v_mov_b32_e32 v10, 0
	v_mov_b32_e32 v8, 0
	;; [unrolled: 1-line block ×11, first 2 shown]
	s_and_saveexec_b64 s[14:15], s[0:1]
	s_cbranch_execz .LBB282_30
; %bb.9:
	global_load_ubyte v10, v[4:5], off offset:1280
	v_or_b32_e32 v8, 0x600, v0
	v_cmp_gt_u32_e64 s[0:1], s38, v8
	v_mov_b32_e32 v8, 0
	v_mov_b32_e32 v11, 0
	;; [unrolled: 1-line block ×10, first 2 shown]
	s_and_saveexec_b64 s[16:17], s[0:1]
	s_cbranch_execz .LBB282_29
; %bb.10:
	global_load_ubyte v8, v[4:5], off offset:1536
	v_or_b32_e32 v11, 0x700, v0
	v_cmp_gt_u32_e64 s[0:1], s38, v11
	v_mov_b32_e32 v11, 0
	v_mov_b32_e32 v13, 0
	;; [unrolled: 1-line block ×9, first 2 shown]
	s_and_saveexec_b64 s[18:19], s[0:1]
	s_cbranch_execz .LBB282_28
; %bb.11:
	global_load_ubyte v11, v[4:5], off offset:1792
	v_or_b32_e32 v13, 0x800, v0
	v_cmp_gt_u32_e64 s[0:1], s38, v13
	v_mov_b32_e32 v13, 0
	v_mov_b32_e32 v14, 0
	;; [unrolled: 1-line block ×8, first 2 shown]
	s_and_saveexec_b64 s[20:21], s[0:1]
	s_cbranch_execz .LBB282_27
; %bb.12:
	global_load_ubyte v13, v[4:5], off offset:2048
	v_or_b32_e32 v14, 0x900, v0
	v_cmp_gt_u32_e64 s[0:1], s38, v14
	v_mov_b32_e32 v14, 0
	v_mov_b32_e32 v15, 0
	;; [unrolled: 1-line block ×7, first 2 shown]
	s_and_saveexec_b64 s[22:23], s[0:1]
	s_cbranch_execz .LBB282_26
; %bb.13:
	global_load_ubyte v14, v[4:5], off offset:2304
	v_or_b32_e32 v15, 0xa00, v0
	v_cmp_gt_u32_e64 s[0:1], s38, v15
	v_mov_b32_e32 v15, 0
	v_mov_b32_e32 v16, 0
	;; [unrolled: 1-line block ×6, first 2 shown]
	s_and_saveexec_b64 s[24:25], s[0:1]
	s_cbranch_execz .LBB282_25
; %bb.14:
	global_load_ubyte v15, v[4:5], off offset:2560
	v_or_b32_e32 v16, 0xb00, v0
	v_cmp_gt_u32_e64 s[0:1], s38, v16
	v_mov_b32_e32 v16, 0
	v_mov_b32_e32 v17, 0
	v_mov_b32_e32 v18, 0
	v_mov_b32_e32 v19, 0
	v_mov_b32_e32 v20, 0
	s_and_saveexec_b64 s[26:27], s[0:1]
	s_cbranch_execz .LBB282_24
; %bb.15:
	global_load_ubyte v16, v[4:5], off offset:2816
	v_or_b32_e32 v17, 0xc00, v0
	v_cmp_gt_u32_e64 s[0:1], s38, v17
	v_mov_b32_e32 v17, 0
	v_mov_b32_e32 v18, 0
	;; [unrolled: 1-line block ×4, first 2 shown]
	s_and_saveexec_b64 s[28:29], s[0:1]
	s_cbranch_execz .LBB282_23
; %bb.16:
	global_load_ubyte v17, v[4:5], off offset:3072
	v_or_b32_e32 v18, 0xd00, v0
	v_cmp_gt_u32_e64 s[0:1], s38, v18
	v_mov_b32_e32 v18, 0
	v_mov_b32_e32 v19, 0
	;; [unrolled: 1-line block ×3, first 2 shown]
	s_and_saveexec_b64 s[30:31], s[0:1]
	s_cbranch_execz .LBB282_22
; %bb.17:
	global_load_ubyte v18, v[4:5], off offset:3328
	v_or_b32_e32 v19, 0xe00, v0
	v_cmp_gt_u32_e64 s[0:1], s38, v19
	v_mov_b32_e32 v19, 0
	v_mov_b32_e32 v20, 0
	s_and_saveexec_b64 s[34:35], s[0:1]
	s_cbranch_execz .LBB282_21
; %bb.18:
	global_load_ubyte v19, v[4:5], off offset:3584
	v_or_b32_e32 v20, 0xf00, v0
	v_cmp_gt_u32_e64 s[0:1], s38, v20
	v_mov_b32_e32 v20, 0
	s_and_saveexec_b64 s[36:37], s[0:1]
	s_cbranch_execz .LBB282_20
; %bb.19:
	global_load_ubyte v20, v[4:5], off offset:3840
.LBB282_20:
	s_or_b64 exec, exec, s[36:37]
.LBB282_21:
	s_or_b64 exec, exec, s[34:35]
.LBB282_22:
	s_or_b64 exec, exec, s[30:31]
.LBB282_23:
	s_or_b64 exec, exec, s[28:29]
.LBB282_24:
	s_or_b64 exec, exec, s[26:27]
.LBB282_25:
	s_or_b64 exec, exec, s[24:25]
.LBB282_26:
	s_or_b64 exec, exec, s[22:23]
.LBB282_27:
	s_or_b64 exec, exec, s[20:21]
.LBB282_28:
	s_or_b64 exec, exec, s[18:19]
.LBB282_29:
	s_or_b64 exec, exec, s[16:17]
.LBB282_30:
	s_or_b64 exec, exec, s[14:15]
.LBB282_31:
	s_or_b64 exec, exec, s[12:13]
.LBB282_32:
	s_or_b64 exec, exec, s[6:7]
	s_waitcnt vmcnt(0)
	v_mov_b32_e32 v4, v3
	v_mov_b32_e32 v3, v2
.LBB282_33:
	s_or_b64 exec, exec, s[10:11]
.LBB282_34:
	s_or_b64 exec, exec, s[8:9]
.LBB282_35:
	s_or_b64 exec, exec, s[2:3]
	s_bfe_i32 s2, s39, 0x80000
	s_lshr_b32 s3, s40, 8
	s_waitcnt vmcnt(0)
	v_max_i16_sdwa v2, sext(v12), s2 dst_sel:DWORD dst_unused:UNUSED_PAD src0_sel:BYTE_0 src1_sel:DWORD
	v_min_i16_e32 v2, s3, v2
	s_mov_b32 s7, 0xffff
	v_and_b32_sdwa v2, s7, v2 dst_sel:DWORD dst_unused:UNUSED_PAD src0_sel:DWORD src1_sel:BYTE_0
	v_max_i16_sdwa v5, sext(v9), s2 dst_sel:DWORD dst_unused:UNUSED_PAD src0_sel:BYTE_0 src1_sel:DWORD
	v_cndmask_b32_e32 v2, 0, v2, vcc
	v_min_i16_sdwa v5, v5, s3 dst_sel:BYTE_1 dst_unused:UNUSED_PAD src0_sel:DWORD src1_sel:DWORD
	v_cmp_gt_i32_e64 s[0:1], s38, v1
	v_or_b32_e32 v5, v2, v5
	v_and_b32_e32 v5, 0xffff, v5
	v_max_i16_sdwa v3, sext(v3), s2 dst_sel:DWORD dst_unused:UNUSED_PAD src0_sel:BYTE_0 src1_sel:DWORD
	v_cndmask_b32_e64 v2, v2, v5, s[0:1]
	v_min_i16_e32 v3, s3, v3
	s_mov_b32 s8, 0xc0c0304
	v_or_b32_e32 v5, 0x200, v0
	v_perm_b32 v3, v3, v2, s8
	v_lshl_or_b32 v3, v3, 16, v2
	v_cmp_gt_i32_e64 s[0:1], s38, v5
	v_max_i16_sdwa v4, sext(v4), s2 dst_sel:DWORD dst_unused:UNUSED_PAD src0_sel:BYTE_0 src1_sel:DWORD
	s_movk_i32 s6, 0xff
	v_cndmask_b32_e64 v2, v2, v3, s[0:1]
	v_lshrrev_b32_e32 v3, 16, v2
	v_min_i16_sdwa v4, v4, s3 dst_sel:BYTE_1 dst_unused:UNUSED_PAD src0_sel:DWORD src1_sel:DWORD
	v_or_b32_e32 v5, 0x300, v0
	v_bitop3_b16 v3, v3, v4, s6 bitop3:0xec
	v_lshlrev_b32_e32 v3, 16, v3
	v_and_or_b32 v3, v2, s7, v3
	v_cmp_gt_i32_e64 s[0:1], s38, v5
	s_mov_b32 s9, 0x3020104
	s_mov_b32 s10, 0xffff0000
	v_cndmask_b32_e64 v5, v2, v3, s[0:1]
	v_max_i16_sdwa v2, sext(v7), s2 dst_sel:DWORD dst_unused:UNUSED_PAD src0_sel:BYTE_0 src1_sel:DWORD
	v_min_i16_e32 v2, s3, v2
	v_or_b32_e32 v3, 0x400, v0
	v_perm_b32 v2, v2, 0, s9
	v_cmp_gt_i32_e64 s[0:1], s38, v3
	v_max_i16_sdwa v3, sext(v10), s2 dst_sel:DWORD dst_unused:UNUSED_PAD src0_sel:BYTE_0 src1_sel:DWORD
	v_min_i16_sdwa v3, v3, s3 dst_sel:BYTE_1 dst_unused:UNUSED_PAD src0_sel:DWORD src1_sel:DWORD
	v_cndmask_b32_e64 v2, 0, v2, s[0:1]
	v_bitop3_b16 v3, v2, v3, s6 bitop3:0xec
	v_and_b32_e32 v3, 0xffff, v3
	v_or_b32_e32 v4, 0x500, v0
	v_and_or_b32 v3, v2, s10, v3
	v_cmp_gt_i32_e64 s[0:1], s38, v4
	v_max_i16_sdwa v4, sext(v8), s2 dst_sel:DWORD dst_unused:UNUSED_PAD src0_sel:BYTE_0 src1_sel:DWORD
	v_min_i16_e32 v4, s3, v4
	v_cndmask_b32_e64 v2, v2, v3, s[0:1]
	v_or_b32_e32 v3, 0x600, v0
	s_mov_b32 s11, 0x7000504
	v_perm_b32 v4, v2, v4, s11
	v_cmp_gt_i32_e64 s[0:1], s38, v3
	v_max_i16_sdwa v7, sext(v11), s2 dst_sel:DWORD dst_unused:UNUSED_PAD src0_sel:BYTE_0 src1_sel:DWORD
	v_min_i16_sdwa v7, v7, s3 dst_sel:BYTE_1 dst_unused:UNUSED_PAD src0_sel:DWORD src1_sel:DWORD
	v_cndmask_b32_e64 v2, v2, v4, s[0:1]
	v_lshrrev_b32_e32 v3, 16, v2
	v_bitop3_b16 v3, v3, v7, s6 bitop3:0xec
	v_or_b32_e32 v4, 0x700, v0
	v_lshlrev_b32_e32 v3, 16, v3
	v_and_or_b32 v3, v2, s7, v3
	v_cmp_gt_i32_e64 s[0:1], s38, v4
	v_max_i16_sdwa v7, sext(v14), s2 dst_sel:DWORD dst_unused:UNUSED_PAD src0_sel:BYTE_0 src1_sel:DWORD
	v_min_i16_sdwa v7, v7, s3 dst_sel:BYTE_1 dst_unused:UNUSED_PAD src0_sel:DWORD src1_sel:DWORD
	v_cndmask_b32_e64 v4, v2, v3, s[0:1]
	v_max_i16_sdwa v3, sext(v13), s2 dst_sel:DWORD dst_unused:UNUSED_PAD src0_sel:BYTE_0 src1_sel:DWORD
	v_or_b32_e32 v2, 0x800, v0
	v_min_i16_e32 v3, s3, v3
	v_and_b32_sdwa v3, s7, v3 dst_sel:DWORD dst_unused:UNUSED_PAD src0_sel:DWORD src1_sel:BYTE_0
	v_cmp_gt_i32_e64 s[0:1], s38, v2
	v_max_i16_sdwa v8, sext(v16), s2 dst_sel:DWORD dst_unused:UNUSED_PAD src0_sel:BYTE_0 src1_sel:DWORD
	v_min_i16_sdwa v8, v8, s3 dst_sel:BYTE_1 dst_unused:UNUSED_PAD src0_sel:DWORD src1_sel:DWORD
	v_cndmask_b32_e64 v2, 0, v3, s[0:1]
	v_or_b32_e32 v3, 0x900, v0
	v_or_b32_e32 v7, v2, v7
	v_and_b32_e32 v7, 0xffff, v7
	v_cmp_gt_i32_e64 s[0:1], s38, v3
	v_or_b32_e32 v3, 0xa00, v0
	v_max_i16_sdwa v9, sext(v20), s2 dst_sel:DWORD dst_unused:UNUSED_PAD src0_sel:BYTE_0 src1_sel:DWORD
	v_cndmask_b32_e64 v2, v2, v7, s[0:1]
	v_max_i16_sdwa v7, sext(v15), s2 dst_sel:DWORD dst_unused:UNUSED_PAD src0_sel:BYTE_0 src1_sel:DWORD
	v_min_i16_e32 v7, s3, v7
	v_perm_b32 v7, v7, v2, s8
	v_lshl_or_b32 v7, v7, 16, v2
	v_cmp_gt_i32_e64 s[0:1], s38, v3
	v_min_i16_sdwa v9, v9, s3 dst_sel:BYTE_1 dst_unused:UNUSED_PAD src0_sel:DWORD src1_sel:DWORD
	s_nop 0
	v_cndmask_b32_e64 v2, v2, v7, s[0:1]
	v_lshrrev_b32_e32 v3, 16, v2
	v_bitop3_b16 v3, v3, v8, s6 bitop3:0xec
	v_or_b32_e32 v7, 0xb00, v0
	v_lshlrev_b32_e32 v3, 16, v3
	v_and_or_b32 v3, v2, s7, v3
	v_cmp_gt_i32_e64 s[0:1], s38, v7
	v_or_b32_e32 v7, 0xc00, v0
	v_or_b32_e32 v8, 0xd00, v0
	v_cndmask_b32_e64 v3, v2, v3, s[0:1]
	v_max_i16_sdwa v2, sext(v17), s2 dst_sel:DWORD dst_unused:UNUSED_PAD src0_sel:BYTE_0 src1_sel:DWORD
	v_min_i16_e32 v2, s3, v2
	v_perm_b32 v2, v2, 0, s9
	v_cmp_gt_i32_e64 s[0:1], s38, v7
	v_max_i16_sdwa v7, sext(v18), s2 dst_sel:DWORD dst_unused:UNUSED_PAD src0_sel:BYTE_0 src1_sel:DWORD
	v_min_i16_sdwa v7, v7, s3 dst_sel:BYTE_1 dst_unused:UNUSED_PAD src0_sel:DWORD src1_sel:DWORD
	v_cndmask_b32_e64 v2, 0, v2, s[0:1]
	v_bitop3_b16 v7, v2, v7, s6 bitop3:0xec
	v_and_b32_e32 v7, 0xffff, v7
	v_and_or_b32 v7, v2, s10, v7
	v_cmp_gt_i32_e64 s[0:1], s38, v8
	v_max_i16_sdwa v8, sext(v19), s2 dst_sel:DWORD dst_unused:UNUSED_PAD src0_sel:BYTE_0 src1_sel:DWORD
	v_min_i16_e32 v8, s3, v8
	v_cndmask_b32_e64 v2, v2, v7, s[0:1]
	v_or_b32_e32 v7, 0xe00, v0
	v_perm_b32 v8, v2, v8, s11
	v_cmp_gt_i32_e64 s[0:1], s38, v7
	s_nop 1
	v_cndmask_b32_e64 v2, v2, v8, s[0:1]
	v_lshrrev_b32_e32 v7, 16, v2
	v_bitop3_b16 v7, v7, v9, s6 bitop3:0xec
	v_or_b32_e32 v8, 0xf00, v0
	v_lshlrev_b32_e32 v7, 16, v7
	v_and_or_b32 v7, v2, s7, v7
	v_cmp_gt_i32_e64 s[0:1], s38, v8
	s_nop 1
	v_cndmask_b32_e64 v2, v2, v7, s[0:1]
	s_and_saveexec_b64 s[0:1], vcc
	s_cbranch_execnz .LBB282_53
; %bb.36:
	s_or_b64 exec, exec, s[0:1]
	v_cmp_gt_i32_e32 vcc, s38, v0
	s_and_saveexec_b64 s[0:1], vcc
	s_cbranch_execnz .LBB282_54
.LBB282_37:
	s_or_b64 exec, exec, s[0:1]
	v_cmp_gt_i32_e32 vcc, s38, v0
	s_and_saveexec_b64 s[0:1], vcc
	s_cbranch_execnz .LBB282_55
.LBB282_38:
	s_or_b64 exec, exec, s[0:1]
	v_cmp_gt_i32_e32 vcc, s38, v0
	s_and_saveexec_b64 s[0:1], vcc
	s_cbranch_execnz .LBB282_56
.LBB282_39:
	s_or_b64 exec, exec, s[0:1]
	v_cmp_gt_i32_e32 vcc, s38, v0
	s_and_saveexec_b64 s[0:1], vcc
	s_cbranch_execnz .LBB282_57
.LBB282_40:
	s_or_b64 exec, exec, s[0:1]
	v_cmp_gt_i32_e32 vcc, s38, v0
	s_and_saveexec_b64 s[0:1], vcc
	s_cbranch_execnz .LBB282_58
.LBB282_41:
	s_or_b64 exec, exec, s[0:1]
	v_cmp_gt_i32_e32 vcc, s38, v0
	s_and_saveexec_b64 s[0:1], vcc
	s_cbranch_execnz .LBB282_59
.LBB282_42:
	s_or_b64 exec, exec, s[0:1]
	v_cmp_gt_i32_e32 vcc, s38, v0
	s_and_saveexec_b64 s[0:1], vcc
	s_cbranch_execnz .LBB282_60
.LBB282_43:
	s_or_b64 exec, exec, s[0:1]
	v_cmp_gt_i32_e32 vcc, s38, v0
	s_and_saveexec_b64 s[0:1], vcc
	s_cbranch_execnz .LBB282_61
.LBB282_44:
	s_or_b64 exec, exec, s[0:1]
	v_cmp_gt_i32_e32 vcc, s38, v0
	s_and_saveexec_b64 s[0:1], vcc
	s_cbranch_execnz .LBB282_62
.LBB282_45:
	s_or_b64 exec, exec, s[0:1]
	v_cmp_gt_i32_e32 vcc, s38, v0
	s_and_saveexec_b64 s[0:1], vcc
	s_cbranch_execnz .LBB282_63
.LBB282_46:
	s_or_b64 exec, exec, s[0:1]
	v_cmp_gt_i32_e32 vcc, s38, v0
	s_and_saveexec_b64 s[0:1], vcc
	s_cbranch_execnz .LBB282_64
.LBB282_47:
	s_or_b64 exec, exec, s[0:1]
	v_cmp_gt_i32_e32 vcc, s38, v0
	s_and_saveexec_b64 s[0:1], vcc
	s_cbranch_execnz .LBB282_65
.LBB282_48:
	s_or_b64 exec, exec, s[0:1]
	v_cmp_gt_i32_e32 vcc, s38, v0
	s_and_saveexec_b64 s[0:1], vcc
	s_cbranch_execnz .LBB282_66
.LBB282_49:
	s_or_b64 exec, exec, s[0:1]
	v_cmp_gt_i32_e32 vcc, s38, v0
	s_and_saveexec_b64 s[0:1], vcc
	s_cbranch_execnz .LBB282_67
.LBB282_50:
	s_or_b64 exec, exec, s[0:1]
	v_cmp_gt_i32_e32 vcc, s38, v0
	s_and_saveexec_b64 s[0:1], vcc
	s_cbranch_execz .LBB282_52
.LBB282_51:
	v_lshrrev_b32_e32 v1, 24, v2
	v_add_u32_e32 v0, s33, v0
	global_store_byte v0, v1, s[4:5]
.LBB282_52:
	s_endpgm
.LBB282_53:
	v_mov_b32_e32 v0, v1
	global_store_byte v6, v5, s[4:5]
	s_or_b64 exec, exec, s[0:1]
	v_cmp_gt_i32_e32 vcc, s38, v0
	s_and_saveexec_b64 s[0:1], vcc
	s_cbranch_execz .LBB282_37
.LBB282_54:
	v_lshrrev_b32_e32 v1, 8, v5
	v_add_u32_e32 v6, s33, v0
	v_add_u32_e32 v0, 0x100, v0
	global_store_byte v6, v1, s[4:5]
	s_or_b64 exec, exec, s[0:1]
	v_cmp_gt_i32_e32 vcc, s38, v0
	s_and_saveexec_b64 s[0:1], vcc
	s_cbranch_execz .LBB282_38
.LBB282_55:
	v_add_u32_e32 v1, s33, v0
	v_add_u32_e32 v0, 0x100, v0
	global_store_byte_d16_hi v1, v5, s[4:5]
	s_or_b64 exec, exec, s[0:1]
	v_cmp_gt_i32_e32 vcc, s38, v0
	s_and_saveexec_b64 s[0:1], vcc
	s_cbranch_execz .LBB282_39
.LBB282_56:
	v_lshrrev_b32_e32 v1, 24, v5
	v_add_u32_e32 v5, s33, v0
	v_add_u32_e32 v0, 0x100, v0
	global_store_byte v5, v1, s[4:5]
	s_or_b64 exec, exec, s[0:1]
	v_cmp_gt_i32_e32 vcc, s38, v0
	s_and_saveexec_b64 s[0:1], vcc
	s_cbranch_execz .LBB282_40
.LBB282_57:
	v_add_u32_e32 v1, s33, v0
	v_add_u32_e32 v0, 0x100, v0
	global_store_byte v1, v4, s[4:5]
	s_or_b64 exec, exec, s[0:1]
	v_cmp_gt_i32_e32 vcc, s38, v0
	s_and_saveexec_b64 s[0:1], vcc
	s_cbranch_execz .LBB282_41
.LBB282_58:
	v_lshrrev_b32_e32 v1, 8, v4
	v_add_u32_e32 v5, s33, v0
	v_add_u32_e32 v0, 0x100, v0
	global_store_byte v5, v1, s[4:5]
	s_or_b64 exec, exec, s[0:1]
	v_cmp_gt_i32_e32 vcc, s38, v0
	s_and_saveexec_b64 s[0:1], vcc
	s_cbranch_execz .LBB282_42
.LBB282_59:
	v_add_u32_e32 v1, s33, v0
	v_add_u32_e32 v0, 0x100, v0
	global_store_byte_d16_hi v1, v4, s[4:5]
	s_or_b64 exec, exec, s[0:1]
	v_cmp_gt_i32_e32 vcc, s38, v0
	s_and_saveexec_b64 s[0:1], vcc
	s_cbranch_execz .LBB282_43
.LBB282_60:
	v_lshrrev_b32_e32 v1, 24, v4
	v_add_u32_e32 v4, s33, v0
	v_add_u32_e32 v0, 0x100, v0
	global_store_byte v4, v1, s[4:5]
	s_or_b64 exec, exec, s[0:1]
	v_cmp_gt_i32_e32 vcc, s38, v0
	s_and_saveexec_b64 s[0:1], vcc
	s_cbranch_execz .LBB282_44
.LBB282_61:
	v_add_u32_e32 v1, s33, v0
	v_add_u32_e32 v0, 0x100, v0
	global_store_byte v1, v3, s[4:5]
	s_or_b64 exec, exec, s[0:1]
	v_cmp_gt_i32_e32 vcc, s38, v0
	s_and_saveexec_b64 s[0:1], vcc
	s_cbranch_execz .LBB282_45
.LBB282_62:
	v_lshrrev_b32_e32 v1, 8, v3
	v_add_u32_e32 v4, s33, v0
	v_add_u32_e32 v0, 0x100, v0
	global_store_byte v4, v1, s[4:5]
	s_or_b64 exec, exec, s[0:1]
	v_cmp_gt_i32_e32 vcc, s38, v0
	s_and_saveexec_b64 s[0:1], vcc
	s_cbranch_execz .LBB282_46
.LBB282_63:
	v_add_u32_e32 v1, s33, v0
	v_add_u32_e32 v0, 0x100, v0
	global_store_byte_d16_hi v1, v3, s[4:5]
	s_or_b64 exec, exec, s[0:1]
	v_cmp_gt_i32_e32 vcc, s38, v0
	s_and_saveexec_b64 s[0:1], vcc
	s_cbranch_execz .LBB282_47
.LBB282_64:
	v_lshrrev_b32_e32 v1, 24, v3
	v_add_u32_e32 v3, s33, v0
	v_add_u32_e32 v0, 0x100, v0
	global_store_byte v3, v1, s[4:5]
	s_or_b64 exec, exec, s[0:1]
	v_cmp_gt_i32_e32 vcc, s38, v0
	s_and_saveexec_b64 s[0:1], vcc
	s_cbranch_execz .LBB282_48
.LBB282_65:
	v_add_u32_e32 v1, s33, v0
	v_add_u32_e32 v0, 0x100, v0
	global_store_byte v1, v2, s[4:5]
	s_or_b64 exec, exec, s[0:1]
	v_cmp_gt_i32_e32 vcc, s38, v0
	s_and_saveexec_b64 s[0:1], vcc
	s_cbranch_execz .LBB282_49
.LBB282_66:
	v_lshrrev_b32_e32 v1, 8, v2
	v_add_u32_e32 v3, s33, v0
	v_add_u32_e32 v0, 0x100, v0
	global_store_byte v3, v1, s[4:5]
	s_or_b64 exec, exec, s[0:1]
	v_cmp_gt_i32_e32 vcc, s38, v0
	s_and_saveexec_b64 s[0:1], vcc
	s_cbranch_execz .LBB282_50
.LBB282_67:
	v_add_u32_e32 v1, s33, v0
	v_add_u32_e32 v0, 0x100, v0
	global_store_byte_d16_hi v1, v2, s[4:5]
	s_or_b64 exec, exec, s[0:1]
	v_cmp_gt_i32_e32 vcc, s38, v0
	s_and_saveexec_b64 s[0:1], vcc
	s_cbranch_execnz .LBB282_51
	s_branch .LBB282_52
	.section	.rodata,"a",@progbits
	.p2align	6, 0x0
	.amdhsa_kernel _ZN2at6native29vectorized_elementwise_kernelILi16EZZZNS0_17clamp_kernel_cudaERNS_18TensorIteratorBaseERKN3c106ScalarES7_ENKUlvE_clEvENKUlvE0_clEvEUlaE_St5arrayIPcLm2EEEEviT0_T1_
		.amdhsa_group_segment_fixed_size 0
		.amdhsa_private_segment_fixed_size 0
		.amdhsa_kernarg_size 24
		.amdhsa_user_sgpr_count 2
		.amdhsa_user_sgpr_dispatch_ptr 0
		.amdhsa_user_sgpr_queue_ptr 0
		.amdhsa_user_sgpr_kernarg_segment_ptr 1
		.amdhsa_user_sgpr_dispatch_id 0
		.amdhsa_user_sgpr_kernarg_preload_length 0
		.amdhsa_user_sgpr_kernarg_preload_offset 0
		.amdhsa_user_sgpr_private_segment_size 0
		.amdhsa_uses_dynamic_stack 0
		.amdhsa_enable_private_segment 0
		.amdhsa_system_sgpr_workgroup_id_x 1
		.amdhsa_system_sgpr_workgroup_id_y 0
		.amdhsa_system_sgpr_workgroup_id_z 0
		.amdhsa_system_sgpr_workgroup_info 0
		.amdhsa_system_vgpr_workitem_id 0
		.amdhsa_next_free_vgpr 21
		.amdhsa_next_free_sgpr 41
		.amdhsa_accum_offset 24
		.amdhsa_reserve_vcc 1
		.amdhsa_float_round_mode_32 0
		.amdhsa_float_round_mode_16_64 0
		.amdhsa_float_denorm_mode_32 3
		.amdhsa_float_denorm_mode_16_64 3
		.amdhsa_dx10_clamp 1
		.amdhsa_ieee_mode 1
		.amdhsa_fp16_overflow 0
		.amdhsa_tg_split 0
		.amdhsa_exception_fp_ieee_invalid_op 0
		.amdhsa_exception_fp_denorm_src 0
		.amdhsa_exception_fp_ieee_div_zero 0
		.amdhsa_exception_fp_ieee_overflow 0
		.amdhsa_exception_fp_ieee_underflow 0
		.amdhsa_exception_fp_ieee_inexact 0
		.amdhsa_exception_int_div_zero 0
	.end_amdhsa_kernel
	.section	.text._ZN2at6native29vectorized_elementwise_kernelILi16EZZZNS0_17clamp_kernel_cudaERNS_18TensorIteratorBaseERKN3c106ScalarES7_ENKUlvE_clEvENKUlvE0_clEvEUlaE_St5arrayIPcLm2EEEEviT0_T1_,"axG",@progbits,_ZN2at6native29vectorized_elementwise_kernelILi16EZZZNS0_17clamp_kernel_cudaERNS_18TensorIteratorBaseERKN3c106ScalarES7_ENKUlvE_clEvENKUlvE0_clEvEUlaE_St5arrayIPcLm2EEEEviT0_T1_,comdat
.Lfunc_end282:
	.size	_ZN2at6native29vectorized_elementwise_kernelILi16EZZZNS0_17clamp_kernel_cudaERNS_18TensorIteratorBaseERKN3c106ScalarES7_ENKUlvE_clEvENKUlvE0_clEvEUlaE_St5arrayIPcLm2EEEEviT0_T1_, .Lfunc_end282-_ZN2at6native29vectorized_elementwise_kernelILi16EZZZNS0_17clamp_kernel_cudaERNS_18TensorIteratorBaseERKN3c106ScalarES7_ENKUlvE_clEvENKUlvE0_clEvEUlaE_St5arrayIPcLm2EEEEviT0_T1_
                                        ; -- End function
	.set _ZN2at6native29vectorized_elementwise_kernelILi16EZZZNS0_17clamp_kernel_cudaERNS_18TensorIteratorBaseERKN3c106ScalarES7_ENKUlvE_clEvENKUlvE0_clEvEUlaE_St5arrayIPcLm2EEEEviT0_T1_.num_vgpr, 21
	.set _ZN2at6native29vectorized_elementwise_kernelILi16EZZZNS0_17clamp_kernel_cudaERNS_18TensorIteratorBaseERKN3c106ScalarES7_ENKUlvE_clEvENKUlvE0_clEvEUlaE_St5arrayIPcLm2EEEEviT0_T1_.num_agpr, 0
	.set _ZN2at6native29vectorized_elementwise_kernelILi16EZZZNS0_17clamp_kernel_cudaERNS_18TensorIteratorBaseERKN3c106ScalarES7_ENKUlvE_clEvENKUlvE0_clEvEUlaE_St5arrayIPcLm2EEEEviT0_T1_.numbered_sgpr, 41
	.set _ZN2at6native29vectorized_elementwise_kernelILi16EZZZNS0_17clamp_kernel_cudaERNS_18TensorIteratorBaseERKN3c106ScalarES7_ENKUlvE_clEvENKUlvE0_clEvEUlaE_St5arrayIPcLm2EEEEviT0_T1_.num_named_barrier, 0
	.set _ZN2at6native29vectorized_elementwise_kernelILi16EZZZNS0_17clamp_kernel_cudaERNS_18TensorIteratorBaseERKN3c106ScalarES7_ENKUlvE_clEvENKUlvE0_clEvEUlaE_St5arrayIPcLm2EEEEviT0_T1_.private_seg_size, 0
	.set _ZN2at6native29vectorized_elementwise_kernelILi16EZZZNS0_17clamp_kernel_cudaERNS_18TensorIteratorBaseERKN3c106ScalarES7_ENKUlvE_clEvENKUlvE0_clEvEUlaE_St5arrayIPcLm2EEEEviT0_T1_.uses_vcc, 1
	.set _ZN2at6native29vectorized_elementwise_kernelILi16EZZZNS0_17clamp_kernel_cudaERNS_18TensorIteratorBaseERKN3c106ScalarES7_ENKUlvE_clEvENKUlvE0_clEvEUlaE_St5arrayIPcLm2EEEEviT0_T1_.uses_flat_scratch, 0
	.set _ZN2at6native29vectorized_elementwise_kernelILi16EZZZNS0_17clamp_kernel_cudaERNS_18TensorIteratorBaseERKN3c106ScalarES7_ENKUlvE_clEvENKUlvE0_clEvEUlaE_St5arrayIPcLm2EEEEviT0_T1_.has_dyn_sized_stack, 0
	.set _ZN2at6native29vectorized_elementwise_kernelILi16EZZZNS0_17clamp_kernel_cudaERNS_18TensorIteratorBaseERKN3c106ScalarES7_ENKUlvE_clEvENKUlvE0_clEvEUlaE_St5arrayIPcLm2EEEEviT0_T1_.has_recursion, 0
	.set _ZN2at6native29vectorized_elementwise_kernelILi16EZZZNS0_17clamp_kernel_cudaERNS_18TensorIteratorBaseERKN3c106ScalarES7_ENKUlvE_clEvENKUlvE0_clEvEUlaE_St5arrayIPcLm2EEEEviT0_T1_.has_indirect_call, 0
	.section	.AMDGPU.csdata,"",@progbits
; Kernel info:
; codeLenInByte = 3384
; TotalNumSgprs: 47
; NumVgprs: 21
; NumAgprs: 0
; TotalNumVgprs: 21
; ScratchSize: 0
; MemoryBound: 0
; FloatMode: 240
; IeeeMode: 1
; LDSByteSize: 0 bytes/workgroup (compile time only)
; SGPRBlocks: 5
; VGPRBlocks: 2
; NumSGPRsForWavesPerEU: 47
; NumVGPRsForWavesPerEU: 21
; AccumOffset: 24
; Occupancy: 8
; WaveLimiterHint : 0
; COMPUTE_PGM_RSRC2:SCRATCH_EN: 0
; COMPUTE_PGM_RSRC2:USER_SGPR: 2
; COMPUTE_PGM_RSRC2:TRAP_HANDLER: 0
; COMPUTE_PGM_RSRC2:TGID_X_EN: 1
; COMPUTE_PGM_RSRC2:TGID_Y_EN: 0
; COMPUTE_PGM_RSRC2:TGID_Z_EN: 0
; COMPUTE_PGM_RSRC2:TIDIG_COMP_CNT: 0
; COMPUTE_PGM_RSRC3_GFX90A:ACCUM_OFFSET: 5
; COMPUTE_PGM_RSRC3_GFX90A:TG_SPLIT: 0
	.section	.text._ZN2at6native29vectorized_elementwise_kernelILi8EZZZNS0_17clamp_kernel_cudaERNS_18TensorIteratorBaseERKN3c106ScalarES7_ENKUlvE_clEvENKUlvE0_clEvEUlaE_St5arrayIPcLm2EEEEviT0_T1_,"axG",@progbits,_ZN2at6native29vectorized_elementwise_kernelILi8EZZZNS0_17clamp_kernel_cudaERNS_18TensorIteratorBaseERKN3c106ScalarES7_ENKUlvE_clEvENKUlvE0_clEvEUlaE_St5arrayIPcLm2EEEEviT0_T1_,comdat
	.globl	_ZN2at6native29vectorized_elementwise_kernelILi8EZZZNS0_17clamp_kernel_cudaERNS_18TensorIteratorBaseERKN3c106ScalarES7_ENKUlvE_clEvENKUlvE0_clEvEUlaE_St5arrayIPcLm2EEEEviT0_T1_ ; -- Begin function _ZN2at6native29vectorized_elementwise_kernelILi8EZZZNS0_17clamp_kernel_cudaERNS_18TensorIteratorBaseERKN3c106ScalarES7_ENKUlvE_clEvENKUlvE0_clEvEUlaE_St5arrayIPcLm2EEEEviT0_T1_
	.p2align	8
	.type	_ZN2at6native29vectorized_elementwise_kernelILi8EZZZNS0_17clamp_kernel_cudaERNS_18TensorIteratorBaseERKN3c106ScalarES7_ENKUlvE_clEvENKUlvE0_clEvEUlaE_St5arrayIPcLm2EEEEviT0_T1_,@function
_ZN2at6native29vectorized_elementwise_kernelILi8EZZZNS0_17clamp_kernel_cudaERNS_18TensorIteratorBaseERKN3c106ScalarES7_ENKUlvE_clEvENKUlvE0_clEvEUlaE_St5arrayIPcLm2EEEEviT0_T1_: ; @_ZN2at6native29vectorized_elementwise_kernelILi8EZZZNS0_17clamp_kernel_cudaERNS_18TensorIteratorBaseERKN3c106ScalarES7_ENKUlvE_clEvENKUlvE0_clEvEUlaE_St5arrayIPcLm2EEEEviT0_T1_
; %bb.0:
	v_mov_b32_e32 v1, 0
	global_load_ushort v1, v1, s[0:1] offset:4
	s_load_dword s3, s[0:1], 0x0
	s_load_dwordx4 s[4:7], s[0:1], 0x8
	s_lshl_b32 s33, s2, 12
	s_mov_b64 s[8:9], -1
	s_waitcnt lgkmcnt(0)
	s_sub_i32 s38, s3, s33
	s_cmpk_gt_i32 s38, 0xfff
	s_waitcnt vmcnt(0)
	v_readfirstlane_b32 s39, v1
	s_sext_i32_i16 s40, s39
	s_cbranch_scc0 .LBB283_2
; %bb.1:
	s_bfe_i32 s2, s39, 0x80000
	s_lshr_b32 s3, s40, 8
	s_ashr_i32 s8, s33, 31
	s_add_u32 s0, s6, s33
	s_addc_u32 s1, s7, s8
	v_lshlrev_b32_e32 v1, 3, v0
	global_load_dwordx2 v[2:3], v1, s[0:1]
	global_load_dwordx2 v[4:5], v1, s[0:1] offset:2048
	s_movk_i32 s9, 0xff
	s_add_u32 s0, s4, s33
	s_addc_u32 s1, s5, s8
	s_waitcnt vmcnt(1)
	v_max_i16_sdwa v6, sext(v2), s2 dst_sel:DWORD dst_unused:UNUSED_PAD src0_sel:BYTE_0 src1_sel:DWORD
	v_lshrrev_b32_e32 v7, 8, v2
	v_lshrrev_b32_e32 v8, 16, v2
	;; [unrolled: 1-line block ×3, first 2 shown]
	v_max_i16_sdwa v9, sext(v3), s2 dst_sel:DWORD dst_unused:UNUSED_PAD src0_sel:BYTE_0 src1_sel:DWORD
	v_lshrrev_b32_e32 v10, 8, v3
	v_lshrrev_b32_e32 v11, 16, v3
	;; [unrolled: 1-line block ×3, first 2 shown]
	s_waitcnt vmcnt(0)
	v_max_i16_sdwa v12, sext(v4), s2 dst_sel:DWORD dst_unused:UNUSED_PAD src0_sel:BYTE_0 src1_sel:DWORD
	v_lshrrev_b32_e32 v13, 8, v4
	v_lshrrev_b32_e32 v14, 16, v4
	;; [unrolled: 1-line block ×3, first 2 shown]
	v_max_i16_sdwa v15, sext(v5), s2 dst_sel:DWORD dst_unused:UNUSED_PAD src0_sel:BYTE_0 src1_sel:DWORD
	v_lshrrev_b32_e32 v16, 8, v5
	v_lshrrev_b32_e32 v17, 16, v5
	;; [unrolled: 1-line block ×3, first 2 shown]
	v_max_i16_sdwa v8, sext(v8), s2 dst_sel:DWORD dst_unused:UNUSED_PAD src0_sel:BYTE_0 src1_sel:DWORD
	v_max_i16_sdwa v2, sext(v2), s2 dst_sel:DWORD dst_unused:UNUSED_PAD src0_sel:BYTE_0 src1_sel:DWORD
	;; [unrolled: 1-line block ×12, first 2 shown]
	v_min_i16_e32 v8, s3, v8
	v_min_i16_sdwa v2, v2, s3 dst_sel:BYTE_1 dst_unused:UNUSED_PAD src0_sel:DWORD src1_sel:DWORD
	v_min_i16_e32 v11, s3, v11
	v_min_i16_sdwa v3, v3, s3 dst_sel:BYTE_1 dst_unused:UNUSED_PAD src0_sel:DWORD src1_sel:DWORD
	;; [unrolled: 2-line block ×4, first 2 shown]
	v_min_i16_e32 v6, s3, v6
	v_min_i16_e32 v9, s3, v9
	;; [unrolled: 1-line block ×4, first 2 shown]
	v_min_i16_sdwa v7, v7, s3 dst_sel:BYTE_1 dst_unused:UNUSED_PAD src0_sel:DWORD src1_sel:DWORD
	v_min_i16_sdwa v10, v10, s3 dst_sel:BYTE_1 dst_unused:UNUSED_PAD src0_sel:DWORD src1_sel:DWORD
	;; [unrolled: 1-line block ×4, first 2 shown]
	v_bitop3_b16 v5, v17, v5, s9 bitop3:0xec
	v_bitop3_b16 v4, v14, v4, s9 bitop3:0xec
	;; [unrolled: 1-line block ×8, first 2 shown]
	v_lshlrev_b32_e32 v5, 16, v5
	v_lshlrev_b32_e32 v4, 16, v4
	v_lshlrev_b32_e32 v7, 16, v3
	v_lshlrev_b32_e32 v8, 16, v2
	v_or_b32_sdwa v3, v15, v5 dst_sel:DWORD dst_unused:UNUSED_PAD src0_sel:WORD_0 src1_sel:DWORD
	v_or_b32_sdwa v2, v12, v4 dst_sel:DWORD dst_unused:UNUSED_PAD src0_sel:WORD_0 src1_sel:DWORD
	;; [unrolled: 1-line block ×4, first 2 shown]
	global_store_dwordx2 v1, v[4:5], s[0:1]
	global_store_dwordx2 v1, v[2:3], s[0:1] offset:2048
	s_mov_b64 s[8:9], 0
.LBB283_2:
	s_andn2_b64 vcc, exec, s[8:9]
	s_cbranch_vccnz .LBB283_52
; %bb.3:
	v_cmp_gt_i32_e32 vcc, s38, v0
	v_or_b32_e32 v1, 0x100, v0
	v_mov_b32_e32 v20, 0
	v_or_b32_e32 v6, s33, v0
	v_mov_b32_e32 v19, 0
	v_mov_b32_e32 v18, 0
	;; [unrolled: 1-line block ×15, first 2 shown]
	s_and_saveexec_b64 s[2:3], vcc
	s_cbranch_execz .LBB283_35
; %bb.4:
	global_load_ubyte v12, v6, s[6:7]
	v_cmp_gt_u32_e64 s[0:1], s38, v1
	v_mov_b32_e32 v9, 0
	v_mov_b32_e32 v3, 0
	v_mov_b32_e32 v4, 0
	v_mov_b32_e32 v7, 0
	v_mov_b32_e32 v10, 0
	v_mov_b32_e32 v8, 0
	v_mov_b32_e32 v11, 0
	v_mov_b32_e32 v13, 0
	v_mov_b32_e32 v14, 0
	v_mov_b32_e32 v15, 0
	v_mov_b32_e32 v16, 0
	v_mov_b32_e32 v17, 0
	v_mov_b32_e32 v18, 0
	v_mov_b32_e32 v19, 0
	v_mov_b32_e32 v20, 0
	s_and_saveexec_b64 s[8:9], s[0:1]
	s_cbranch_execz .LBB283_34
; %bb.5:
	v_add_u32_e32 v2, s33, v0
	global_load_ubyte v9, v2, s[6:7] offset:256
	v_or_b32_e32 v4, 0x200, v0
	v_mov_b32_e32 v3, 0
	v_cmp_gt_u32_e64 s[0:1], s38, v4
	v_mov_b32_e32 v4, 0
	v_mov_b32_e32 v7, 0
	;; [unrolled: 1-line block ×13, first 2 shown]
	s_and_saveexec_b64 s[10:11], s[0:1]
	s_cbranch_execz .LBB283_33
; %bb.6:
	v_lshl_add_u64 v[4:5], s[6:7], 0, v[2:3]
	global_load_ubyte v2, v[4:5], off offset:512
	v_or_b32_e32 v7, 0x300, v0
	v_cmp_gt_u32_e64 s[0:1], s38, v7
	v_mov_b32_e32 v7, 0
	v_mov_b32_e32 v10, 0
	v_mov_b32_e32 v8, 0
	v_mov_b32_e32 v11, 0
	v_mov_b32_e32 v13, 0
	v_mov_b32_e32 v14, 0
	v_mov_b32_e32 v15, 0
	v_mov_b32_e32 v16, 0
	v_mov_b32_e32 v17, 0
	v_mov_b32_e32 v18, 0
	v_mov_b32_e32 v19, 0
	v_mov_b32_e32 v20, 0
	s_and_saveexec_b64 s[6:7], s[0:1]
	s_cbranch_execz .LBB283_32
; %bb.7:
	global_load_ubyte v3, v[4:5], off offset:768
	v_or_b32_e32 v7, 0x400, v0
	v_cmp_gt_u32_e64 s[0:1], s38, v7
	v_mov_b32_e32 v7, 0
	v_mov_b32_e32 v10, 0
	;; [unrolled: 1-line block ×12, first 2 shown]
	s_and_saveexec_b64 s[12:13], s[0:1]
	s_cbranch_execz .LBB283_31
; %bb.8:
	global_load_ubyte v7, v[4:5], off offset:1024
	v_or_b32_e32 v8, 0x500, v0
	v_cmp_gt_u32_e64 s[0:1], s38, v8
	v_mov_b32_e32 v10, 0
	v_mov_b32_e32 v8, 0
	v_mov_b32_e32 v11, 0
	v_mov_b32_e32 v13, 0
	v_mov_b32_e32 v14, 0
	v_mov_b32_e32 v15, 0
	v_mov_b32_e32 v16, 0
	v_mov_b32_e32 v17, 0
	v_mov_b32_e32 v18, 0
	v_mov_b32_e32 v19, 0
	v_mov_b32_e32 v20, 0
	s_and_saveexec_b64 s[14:15], s[0:1]
	s_cbranch_execz .LBB283_30
; %bb.9:
	global_load_ubyte v10, v[4:5], off offset:1280
	v_or_b32_e32 v8, 0x600, v0
	v_cmp_gt_u32_e64 s[0:1], s38, v8
	v_mov_b32_e32 v8, 0
	v_mov_b32_e32 v11, 0
	v_mov_b32_e32 v13, 0
	v_mov_b32_e32 v14, 0
	v_mov_b32_e32 v15, 0
	v_mov_b32_e32 v16, 0
	v_mov_b32_e32 v17, 0
	v_mov_b32_e32 v18, 0
	v_mov_b32_e32 v19, 0
	v_mov_b32_e32 v20, 0
	s_and_saveexec_b64 s[16:17], s[0:1]
	s_cbranch_execz .LBB283_29
; %bb.10:
	global_load_ubyte v8, v[4:5], off offset:1536
	v_or_b32_e32 v11, 0x700, v0
	v_cmp_gt_u32_e64 s[0:1], s38, v11
	v_mov_b32_e32 v11, 0
	v_mov_b32_e32 v13, 0
	;; [unrolled: 1-line block ×9, first 2 shown]
	s_and_saveexec_b64 s[18:19], s[0:1]
	s_cbranch_execz .LBB283_28
; %bb.11:
	global_load_ubyte v11, v[4:5], off offset:1792
	v_or_b32_e32 v13, 0x800, v0
	v_cmp_gt_u32_e64 s[0:1], s38, v13
	v_mov_b32_e32 v13, 0
	v_mov_b32_e32 v14, 0
	;; [unrolled: 1-line block ×8, first 2 shown]
	s_and_saveexec_b64 s[20:21], s[0:1]
	s_cbranch_execz .LBB283_27
; %bb.12:
	global_load_ubyte v13, v[4:5], off offset:2048
	v_or_b32_e32 v14, 0x900, v0
	v_cmp_gt_u32_e64 s[0:1], s38, v14
	v_mov_b32_e32 v14, 0
	v_mov_b32_e32 v15, 0
	v_mov_b32_e32 v16, 0
	v_mov_b32_e32 v17, 0
	v_mov_b32_e32 v18, 0
	v_mov_b32_e32 v19, 0
	v_mov_b32_e32 v20, 0
	s_and_saveexec_b64 s[22:23], s[0:1]
	s_cbranch_execz .LBB283_26
; %bb.13:
	global_load_ubyte v14, v[4:5], off offset:2304
	v_or_b32_e32 v15, 0xa00, v0
	v_cmp_gt_u32_e64 s[0:1], s38, v15
	v_mov_b32_e32 v15, 0
	v_mov_b32_e32 v16, 0
	v_mov_b32_e32 v17, 0
	v_mov_b32_e32 v18, 0
	v_mov_b32_e32 v19, 0
	v_mov_b32_e32 v20, 0
	s_and_saveexec_b64 s[24:25], s[0:1]
	s_cbranch_execz .LBB283_25
; %bb.14:
	global_load_ubyte v15, v[4:5], off offset:2560
	v_or_b32_e32 v16, 0xb00, v0
	v_cmp_gt_u32_e64 s[0:1], s38, v16
	v_mov_b32_e32 v16, 0
	v_mov_b32_e32 v17, 0
	;; [unrolled: 1-line block ×5, first 2 shown]
	s_and_saveexec_b64 s[26:27], s[0:1]
	s_cbranch_execz .LBB283_24
; %bb.15:
	global_load_ubyte v16, v[4:5], off offset:2816
	v_or_b32_e32 v17, 0xc00, v0
	v_cmp_gt_u32_e64 s[0:1], s38, v17
	v_mov_b32_e32 v17, 0
	v_mov_b32_e32 v18, 0
	;; [unrolled: 1-line block ×4, first 2 shown]
	s_and_saveexec_b64 s[28:29], s[0:1]
	s_cbranch_execz .LBB283_23
; %bb.16:
	global_load_ubyte v17, v[4:5], off offset:3072
	v_or_b32_e32 v18, 0xd00, v0
	v_cmp_gt_u32_e64 s[0:1], s38, v18
	v_mov_b32_e32 v18, 0
	v_mov_b32_e32 v19, 0
	;; [unrolled: 1-line block ×3, first 2 shown]
	s_and_saveexec_b64 s[30:31], s[0:1]
	s_cbranch_execz .LBB283_22
; %bb.17:
	global_load_ubyte v18, v[4:5], off offset:3328
	v_or_b32_e32 v19, 0xe00, v0
	v_cmp_gt_u32_e64 s[0:1], s38, v19
	v_mov_b32_e32 v19, 0
	v_mov_b32_e32 v20, 0
	s_and_saveexec_b64 s[34:35], s[0:1]
	s_cbranch_execz .LBB283_21
; %bb.18:
	global_load_ubyte v19, v[4:5], off offset:3584
	v_or_b32_e32 v20, 0xf00, v0
	v_cmp_gt_u32_e64 s[0:1], s38, v20
	v_mov_b32_e32 v20, 0
	s_and_saveexec_b64 s[36:37], s[0:1]
	s_cbranch_execz .LBB283_20
; %bb.19:
	global_load_ubyte v20, v[4:5], off offset:3840
.LBB283_20:
	s_or_b64 exec, exec, s[36:37]
.LBB283_21:
	s_or_b64 exec, exec, s[34:35]
.LBB283_22:
	s_or_b64 exec, exec, s[30:31]
.LBB283_23:
	s_or_b64 exec, exec, s[28:29]
.LBB283_24:
	s_or_b64 exec, exec, s[26:27]
.LBB283_25:
	s_or_b64 exec, exec, s[24:25]
.LBB283_26:
	s_or_b64 exec, exec, s[22:23]
.LBB283_27:
	s_or_b64 exec, exec, s[20:21]
.LBB283_28:
	s_or_b64 exec, exec, s[18:19]
.LBB283_29:
	s_or_b64 exec, exec, s[16:17]
.LBB283_30:
	s_or_b64 exec, exec, s[14:15]
.LBB283_31:
	s_or_b64 exec, exec, s[12:13]
.LBB283_32:
	s_or_b64 exec, exec, s[6:7]
	s_waitcnt vmcnt(0)
	v_mov_b32_e32 v4, v3
	v_mov_b32_e32 v3, v2
.LBB283_33:
	s_or_b64 exec, exec, s[10:11]
.LBB283_34:
	s_or_b64 exec, exec, s[8:9]
.LBB283_35:
	s_or_b64 exec, exec, s[2:3]
	s_bfe_i32 s2, s39, 0x80000
	s_lshr_b32 s3, s40, 8
	s_waitcnt vmcnt(0)
	v_max_i16_sdwa v2, sext(v12), s2 dst_sel:DWORD dst_unused:UNUSED_PAD src0_sel:BYTE_0 src1_sel:DWORD
	v_min_i16_e32 v2, s3, v2
	s_mov_b32 s7, 0xffff
	v_and_b32_sdwa v2, s7, v2 dst_sel:DWORD dst_unused:UNUSED_PAD src0_sel:DWORD src1_sel:BYTE_0
	v_max_i16_sdwa v5, sext(v9), s2 dst_sel:DWORD dst_unused:UNUSED_PAD src0_sel:BYTE_0 src1_sel:DWORD
	v_cndmask_b32_e32 v2, 0, v2, vcc
	v_min_i16_sdwa v5, v5, s3 dst_sel:BYTE_1 dst_unused:UNUSED_PAD src0_sel:DWORD src1_sel:DWORD
	v_cmp_gt_i32_e64 s[0:1], s38, v1
	v_or_b32_e32 v5, v2, v5
	v_and_b32_e32 v5, 0xffff, v5
	v_max_i16_sdwa v3, sext(v3), s2 dst_sel:DWORD dst_unused:UNUSED_PAD src0_sel:BYTE_0 src1_sel:DWORD
	v_cndmask_b32_e64 v2, v2, v5, s[0:1]
	v_min_i16_e32 v3, s3, v3
	s_mov_b32 s8, 0xc0c0304
	v_or_b32_e32 v5, 0x200, v0
	v_perm_b32 v3, v3, v2, s8
	v_lshl_or_b32 v3, v3, 16, v2
	v_cmp_gt_i32_e64 s[0:1], s38, v5
	v_max_i16_sdwa v4, sext(v4), s2 dst_sel:DWORD dst_unused:UNUSED_PAD src0_sel:BYTE_0 src1_sel:DWORD
	s_movk_i32 s6, 0xff
	v_cndmask_b32_e64 v2, v2, v3, s[0:1]
	v_lshrrev_b32_e32 v3, 16, v2
	v_min_i16_sdwa v4, v4, s3 dst_sel:BYTE_1 dst_unused:UNUSED_PAD src0_sel:DWORD src1_sel:DWORD
	v_or_b32_e32 v5, 0x300, v0
	v_bitop3_b16 v3, v3, v4, s6 bitop3:0xec
	v_lshlrev_b32_e32 v3, 16, v3
	v_and_or_b32 v3, v2, s7, v3
	v_cmp_gt_i32_e64 s[0:1], s38, v5
	s_mov_b32 s9, 0x3020104
	s_mov_b32 s10, 0xffff0000
	v_cndmask_b32_e64 v5, v2, v3, s[0:1]
	v_max_i16_sdwa v2, sext(v7), s2 dst_sel:DWORD dst_unused:UNUSED_PAD src0_sel:BYTE_0 src1_sel:DWORD
	v_min_i16_e32 v2, s3, v2
	v_or_b32_e32 v3, 0x400, v0
	v_perm_b32 v2, v2, 0, s9
	v_cmp_gt_i32_e64 s[0:1], s38, v3
	v_max_i16_sdwa v3, sext(v10), s2 dst_sel:DWORD dst_unused:UNUSED_PAD src0_sel:BYTE_0 src1_sel:DWORD
	v_min_i16_sdwa v3, v3, s3 dst_sel:BYTE_1 dst_unused:UNUSED_PAD src0_sel:DWORD src1_sel:DWORD
	v_cndmask_b32_e64 v2, 0, v2, s[0:1]
	v_bitop3_b16 v3, v2, v3, s6 bitop3:0xec
	v_and_b32_e32 v3, 0xffff, v3
	v_or_b32_e32 v4, 0x500, v0
	v_and_or_b32 v3, v2, s10, v3
	v_cmp_gt_i32_e64 s[0:1], s38, v4
	v_max_i16_sdwa v4, sext(v8), s2 dst_sel:DWORD dst_unused:UNUSED_PAD src0_sel:BYTE_0 src1_sel:DWORD
	v_min_i16_e32 v4, s3, v4
	v_cndmask_b32_e64 v2, v2, v3, s[0:1]
	v_or_b32_e32 v3, 0x600, v0
	s_mov_b32 s11, 0x7000504
	v_perm_b32 v4, v2, v4, s11
	v_cmp_gt_i32_e64 s[0:1], s38, v3
	v_max_i16_sdwa v7, sext(v11), s2 dst_sel:DWORD dst_unused:UNUSED_PAD src0_sel:BYTE_0 src1_sel:DWORD
	v_min_i16_sdwa v7, v7, s3 dst_sel:BYTE_1 dst_unused:UNUSED_PAD src0_sel:DWORD src1_sel:DWORD
	v_cndmask_b32_e64 v2, v2, v4, s[0:1]
	v_lshrrev_b32_e32 v3, 16, v2
	v_bitop3_b16 v3, v3, v7, s6 bitop3:0xec
	v_or_b32_e32 v4, 0x700, v0
	v_lshlrev_b32_e32 v3, 16, v3
	v_and_or_b32 v3, v2, s7, v3
	v_cmp_gt_i32_e64 s[0:1], s38, v4
	v_max_i16_sdwa v7, sext(v14), s2 dst_sel:DWORD dst_unused:UNUSED_PAD src0_sel:BYTE_0 src1_sel:DWORD
	v_min_i16_sdwa v7, v7, s3 dst_sel:BYTE_1 dst_unused:UNUSED_PAD src0_sel:DWORD src1_sel:DWORD
	v_cndmask_b32_e64 v4, v2, v3, s[0:1]
	v_max_i16_sdwa v3, sext(v13), s2 dst_sel:DWORD dst_unused:UNUSED_PAD src0_sel:BYTE_0 src1_sel:DWORD
	v_or_b32_e32 v2, 0x800, v0
	v_min_i16_e32 v3, s3, v3
	v_and_b32_sdwa v3, s7, v3 dst_sel:DWORD dst_unused:UNUSED_PAD src0_sel:DWORD src1_sel:BYTE_0
	v_cmp_gt_i32_e64 s[0:1], s38, v2
	v_max_i16_sdwa v8, sext(v16), s2 dst_sel:DWORD dst_unused:UNUSED_PAD src0_sel:BYTE_0 src1_sel:DWORD
	v_min_i16_sdwa v8, v8, s3 dst_sel:BYTE_1 dst_unused:UNUSED_PAD src0_sel:DWORD src1_sel:DWORD
	v_cndmask_b32_e64 v2, 0, v3, s[0:1]
	v_or_b32_e32 v3, 0x900, v0
	v_or_b32_e32 v7, v2, v7
	v_and_b32_e32 v7, 0xffff, v7
	v_cmp_gt_i32_e64 s[0:1], s38, v3
	v_or_b32_e32 v3, 0xa00, v0
	v_max_i16_sdwa v9, sext(v20), s2 dst_sel:DWORD dst_unused:UNUSED_PAD src0_sel:BYTE_0 src1_sel:DWORD
	v_cndmask_b32_e64 v2, v2, v7, s[0:1]
	v_max_i16_sdwa v7, sext(v15), s2 dst_sel:DWORD dst_unused:UNUSED_PAD src0_sel:BYTE_0 src1_sel:DWORD
	v_min_i16_e32 v7, s3, v7
	v_perm_b32 v7, v7, v2, s8
	v_lshl_or_b32 v7, v7, 16, v2
	v_cmp_gt_i32_e64 s[0:1], s38, v3
	v_min_i16_sdwa v9, v9, s3 dst_sel:BYTE_1 dst_unused:UNUSED_PAD src0_sel:DWORD src1_sel:DWORD
	s_nop 0
	v_cndmask_b32_e64 v2, v2, v7, s[0:1]
	v_lshrrev_b32_e32 v3, 16, v2
	v_bitop3_b16 v3, v3, v8, s6 bitop3:0xec
	v_or_b32_e32 v7, 0xb00, v0
	v_lshlrev_b32_e32 v3, 16, v3
	v_and_or_b32 v3, v2, s7, v3
	v_cmp_gt_i32_e64 s[0:1], s38, v7
	v_or_b32_e32 v7, 0xc00, v0
	v_or_b32_e32 v8, 0xd00, v0
	v_cndmask_b32_e64 v3, v2, v3, s[0:1]
	v_max_i16_sdwa v2, sext(v17), s2 dst_sel:DWORD dst_unused:UNUSED_PAD src0_sel:BYTE_0 src1_sel:DWORD
	v_min_i16_e32 v2, s3, v2
	v_perm_b32 v2, v2, 0, s9
	v_cmp_gt_i32_e64 s[0:1], s38, v7
	v_max_i16_sdwa v7, sext(v18), s2 dst_sel:DWORD dst_unused:UNUSED_PAD src0_sel:BYTE_0 src1_sel:DWORD
	v_min_i16_sdwa v7, v7, s3 dst_sel:BYTE_1 dst_unused:UNUSED_PAD src0_sel:DWORD src1_sel:DWORD
	v_cndmask_b32_e64 v2, 0, v2, s[0:1]
	v_bitop3_b16 v7, v2, v7, s6 bitop3:0xec
	v_and_b32_e32 v7, 0xffff, v7
	v_and_or_b32 v7, v2, s10, v7
	v_cmp_gt_i32_e64 s[0:1], s38, v8
	v_max_i16_sdwa v8, sext(v19), s2 dst_sel:DWORD dst_unused:UNUSED_PAD src0_sel:BYTE_0 src1_sel:DWORD
	v_min_i16_e32 v8, s3, v8
	v_cndmask_b32_e64 v2, v2, v7, s[0:1]
	v_or_b32_e32 v7, 0xe00, v0
	v_perm_b32 v8, v2, v8, s11
	v_cmp_gt_i32_e64 s[0:1], s38, v7
	s_nop 1
	v_cndmask_b32_e64 v2, v2, v8, s[0:1]
	v_lshrrev_b32_e32 v7, 16, v2
	v_bitop3_b16 v7, v7, v9, s6 bitop3:0xec
	v_or_b32_e32 v8, 0xf00, v0
	v_lshlrev_b32_e32 v7, 16, v7
	v_and_or_b32 v7, v2, s7, v7
	v_cmp_gt_i32_e64 s[0:1], s38, v8
	s_nop 1
	v_cndmask_b32_e64 v2, v2, v7, s[0:1]
	s_and_saveexec_b64 s[0:1], vcc
	s_cbranch_execnz .LBB283_53
; %bb.36:
	s_or_b64 exec, exec, s[0:1]
	v_cmp_gt_i32_e32 vcc, s38, v0
	s_and_saveexec_b64 s[0:1], vcc
	s_cbranch_execnz .LBB283_54
.LBB283_37:
	s_or_b64 exec, exec, s[0:1]
	v_cmp_gt_i32_e32 vcc, s38, v0
	s_and_saveexec_b64 s[0:1], vcc
	s_cbranch_execnz .LBB283_55
.LBB283_38:
	s_or_b64 exec, exec, s[0:1]
	v_cmp_gt_i32_e32 vcc, s38, v0
	s_and_saveexec_b64 s[0:1], vcc
	s_cbranch_execnz .LBB283_56
.LBB283_39:
	s_or_b64 exec, exec, s[0:1]
	v_cmp_gt_i32_e32 vcc, s38, v0
	s_and_saveexec_b64 s[0:1], vcc
	s_cbranch_execnz .LBB283_57
.LBB283_40:
	s_or_b64 exec, exec, s[0:1]
	v_cmp_gt_i32_e32 vcc, s38, v0
	s_and_saveexec_b64 s[0:1], vcc
	s_cbranch_execnz .LBB283_58
.LBB283_41:
	s_or_b64 exec, exec, s[0:1]
	v_cmp_gt_i32_e32 vcc, s38, v0
	s_and_saveexec_b64 s[0:1], vcc
	s_cbranch_execnz .LBB283_59
.LBB283_42:
	s_or_b64 exec, exec, s[0:1]
	v_cmp_gt_i32_e32 vcc, s38, v0
	s_and_saveexec_b64 s[0:1], vcc
	s_cbranch_execnz .LBB283_60
.LBB283_43:
	s_or_b64 exec, exec, s[0:1]
	v_cmp_gt_i32_e32 vcc, s38, v0
	s_and_saveexec_b64 s[0:1], vcc
	s_cbranch_execnz .LBB283_61
.LBB283_44:
	s_or_b64 exec, exec, s[0:1]
	v_cmp_gt_i32_e32 vcc, s38, v0
	s_and_saveexec_b64 s[0:1], vcc
	s_cbranch_execnz .LBB283_62
.LBB283_45:
	s_or_b64 exec, exec, s[0:1]
	v_cmp_gt_i32_e32 vcc, s38, v0
	s_and_saveexec_b64 s[0:1], vcc
	s_cbranch_execnz .LBB283_63
.LBB283_46:
	s_or_b64 exec, exec, s[0:1]
	v_cmp_gt_i32_e32 vcc, s38, v0
	s_and_saveexec_b64 s[0:1], vcc
	s_cbranch_execnz .LBB283_64
.LBB283_47:
	s_or_b64 exec, exec, s[0:1]
	v_cmp_gt_i32_e32 vcc, s38, v0
	s_and_saveexec_b64 s[0:1], vcc
	s_cbranch_execnz .LBB283_65
.LBB283_48:
	s_or_b64 exec, exec, s[0:1]
	v_cmp_gt_i32_e32 vcc, s38, v0
	s_and_saveexec_b64 s[0:1], vcc
	s_cbranch_execnz .LBB283_66
.LBB283_49:
	s_or_b64 exec, exec, s[0:1]
	v_cmp_gt_i32_e32 vcc, s38, v0
	s_and_saveexec_b64 s[0:1], vcc
	s_cbranch_execnz .LBB283_67
.LBB283_50:
	s_or_b64 exec, exec, s[0:1]
	v_cmp_gt_i32_e32 vcc, s38, v0
	s_and_saveexec_b64 s[0:1], vcc
	s_cbranch_execz .LBB283_52
.LBB283_51:
	v_lshrrev_b32_e32 v1, 24, v2
	v_add_u32_e32 v0, s33, v0
	global_store_byte v0, v1, s[4:5]
.LBB283_52:
	s_endpgm
.LBB283_53:
	v_mov_b32_e32 v0, v1
	global_store_byte v6, v5, s[4:5]
	s_or_b64 exec, exec, s[0:1]
	v_cmp_gt_i32_e32 vcc, s38, v0
	s_and_saveexec_b64 s[0:1], vcc
	s_cbranch_execz .LBB283_37
.LBB283_54:
	v_lshrrev_b32_e32 v1, 8, v5
	v_add_u32_e32 v6, s33, v0
	v_add_u32_e32 v0, 0x100, v0
	global_store_byte v6, v1, s[4:5]
	s_or_b64 exec, exec, s[0:1]
	v_cmp_gt_i32_e32 vcc, s38, v0
	s_and_saveexec_b64 s[0:1], vcc
	s_cbranch_execz .LBB283_38
.LBB283_55:
	v_add_u32_e32 v1, s33, v0
	v_add_u32_e32 v0, 0x100, v0
	global_store_byte_d16_hi v1, v5, s[4:5]
	s_or_b64 exec, exec, s[0:1]
	v_cmp_gt_i32_e32 vcc, s38, v0
	s_and_saveexec_b64 s[0:1], vcc
	s_cbranch_execz .LBB283_39
.LBB283_56:
	v_lshrrev_b32_e32 v1, 24, v5
	v_add_u32_e32 v5, s33, v0
	v_add_u32_e32 v0, 0x100, v0
	global_store_byte v5, v1, s[4:5]
	s_or_b64 exec, exec, s[0:1]
	v_cmp_gt_i32_e32 vcc, s38, v0
	s_and_saveexec_b64 s[0:1], vcc
	s_cbranch_execz .LBB283_40
.LBB283_57:
	v_add_u32_e32 v1, s33, v0
	v_add_u32_e32 v0, 0x100, v0
	global_store_byte v1, v4, s[4:5]
	s_or_b64 exec, exec, s[0:1]
	v_cmp_gt_i32_e32 vcc, s38, v0
	s_and_saveexec_b64 s[0:1], vcc
	s_cbranch_execz .LBB283_41
.LBB283_58:
	v_lshrrev_b32_e32 v1, 8, v4
	v_add_u32_e32 v5, s33, v0
	v_add_u32_e32 v0, 0x100, v0
	global_store_byte v5, v1, s[4:5]
	s_or_b64 exec, exec, s[0:1]
	v_cmp_gt_i32_e32 vcc, s38, v0
	s_and_saveexec_b64 s[0:1], vcc
	s_cbranch_execz .LBB283_42
.LBB283_59:
	v_add_u32_e32 v1, s33, v0
	v_add_u32_e32 v0, 0x100, v0
	global_store_byte_d16_hi v1, v4, s[4:5]
	s_or_b64 exec, exec, s[0:1]
	v_cmp_gt_i32_e32 vcc, s38, v0
	s_and_saveexec_b64 s[0:1], vcc
	s_cbranch_execz .LBB283_43
.LBB283_60:
	v_lshrrev_b32_e32 v1, 24, v4
	v_add_u32_e32 v4, s33, v0
	v_add_u32_e32 v0, 0x100, v0
	global_store_byte v4, v1, s[4:5]
	s_or_b64 exec, exec, s[0:1]
	v_cmp_gt_i32_e32 vcc, s38, v0
	s_and_saveexec_b64 s[0:1], vcc
	s_cbranch_execz .LBB283_44
.LBB283_61:
	v_add_u32_e32 v1, s33, v0
	v_add_u32_e32 v0, 0x100, v0
	global_store_byte v1, v3, s[4:5]
	s_or_b64 exec, exec, s[0:1]
	v_cmp_gt_i32_e32 vcc, s38, v0
	s_and_saveexec_b64 s[0:1], vcc
	s_cbranch_execz .LBB283_45
.LBB283_62:
	v_lshrrev_b32_e32 v1, 8, v3
	v_add_u32_e32 v4, s33, v0
	v_add_u32_e32 v0, 0x100, v0
	global_store_byte v4, v1, s[4:5]
	s_or_b64 exec, exec, s[0:1]
	v_cmp_gt_i32_e32 vcc, s38, v0
	s_and_saveexec_b64 s[0:1], vcc
	s_cbranch_execz .LBB283_46
.LBB283_63:
	v_add_u32_e32 v1, s33, v0
	v_add_u32_e32 v0, 0x100, v0
	global_store_byte_d16_hi v1, v3, s[4:5]
	s_or_b64 exec, exec, s[0:1]
	v_cmp_gt_i32_e32 vcc, s38, v0
	s_and_saveexec_b64 s[0:1], vcc
	s_cbranch_execz .LBB283_47
.LBB283_64:
	v_lshrrev_b32_e32 v1, 24, v3
	v_add_u32_e32 v3, s33, v0
	v_add_u32_e32 v0, 0x100, v0
	global_store_byte v3, v1, s[4:5]
	s_or_b64 exec, exec, s[0:1]
	v_cmp_gt_i32_e32 vcc, s38, v0
	s_and_saveexec_b64 s[0:1], vcc
	s_cbranch_execz .LBB283_48
.LBB283_65:
	v_add_u32_e32 v1, s33, v0
	v_add_u32_e32 v0, 0x100, v0
	global_store_byte v1, v2, s[4:5]
	s_or_b64 exec, exec, s[0:1]
	v_cmp_gt_i32_e32 vcc, s38, v0
	s_and_saveexec_b64 s[0:1], vcc
	s_cbranch_execz .LBB283_49
.LBB283_66:
	v_lshrrev_b32_e32 v1, 8, v2
	v_add_u32_e32 v3, s33, v0
	v_add_u32_e32 v0, 0x100, v0
	global_store_byte v3, v1, s[4:5]
	s_or_b64 exec, exec, s[0:1]
	v_cmp_gt_i32_e32 vcc, s38, v0
	s_and_saveexec_b64 s[0:1], vcc
	s_cbranch_execz .LBB283_50
.LBB283_67:
	v_add_u32_e32 v1, s33, v0
	v_add_u32_e32 v0, 0x100, v0
	global_store_byte_d16_hi v1, v2, s[4:5]
	s_or_b64 exec, exec, s[0:1]
	v_cmp_gt_i32_e32 vcc, s38, v0
	s_and_saveexec_b64 s[0:1], vcc
	s_cbranch_execnz .LBB283_51
	s_branch .LBB283_52
	.section	.rodata,"a",@progbits
	.p2align	6, 0x0
	.amdhsa_kernel _ZN2at6native29vectorized_elementwise_kernelILi8EZZZNS0_17clamp_kernel_cudaERNS_18TensorIteratorBaseERKN3c106ScalarES7_ENKUlvE_clEvENKUlvE0_clEvEUlaE_St5arrayIPcLm2EEEEviT0_T1_
		.amdhsa_group_segment_fixed_size 0
		.amdhsa_private_segment_fixed_size 0
		.amdhsa_kernarg_size 24
		.amdhsa_user_sgpr_count 2
		.amdhsa_user_sgpr_dispatch_ptr 0
		.amdhsa_user_sgpr_queue_ptr 0
		.amdhsa_user_sgpr_kernarg_segment_ptr 1
		.amdhsa_user_sgpr_dispatch_id 0
		.amdhsa_user_sgpr_kernarg_preload_length 0
		.amdhsa_user_sgpr_kernarg_preload_offset 0
		.amdhsa_user_sgpr_private_segment_size 0
		.amdhsa_uses_dynamic_stack 0
		.amdhsa_enable_private_segment 0
		.amdhsa_system_sgpr_workgroup_id_x 1
		.amdhsa_system_sgpr_workgroup_id_y 0
		.amdhsa_system_sgpr_workgroup_id_z 0
		.amdhsa_system_sgpr_workgroup_info 0
		.amdhsa_system_vgpr_workitem_id 0
		.amdhsa_next_free_vgpr 21
		.amdhsa_next_free_sgpr 41
		.amdhsa_accum_offset 24
		.amdhsa_reserve_vcc 1
		.amdhsa_float_round_mode_32 0
		.amdhsa_float_round_mode_16_64 0
		.amdhsa_float_denorm_mode_32 3
		.amdhsa_float_denorm_mode_16_64 3
		.amdhsa_dx10_clamp 1
		.amdhsa_ieee_mode 1
		.amdhsa_fp16_overflow 0
		.amdhsa_tg_split 0
		.amdhsa_exception_fp_ieee_invalid_op 0
		.amdhsa_exception_fp_denorm_src 0
		.amdhsa_exception_fp_ieee_div_zero 0
		.amdhsa_exception_fp_ieee_overflow 0
		.amdhsa_exception_fp_ieee_underflow 0
		.amdhsa_exception_fp_ieee_inexact 0
		.amdhsa_exception_int_div_zero 0
	.end_amdhsa_kernel
	.section	.text._ZN2at6native29vectorized_elementwise_kernelILi8EZZZNS0_17clamp_kernel_cudaERNS_18TensorIteratorBaseERKN3c106ScalarES7_ENKUlvE_clEvENKUlvE0_clEvEUlaE_St5arrayIPcLm2EEEEviT0_T1_,"axG",@progbits,_ZN2at6native29vectorized_elementwise_kernelILi8EZZZNS0_17clamp_kernel_cudaERNS_18TensorIteratorBaseERKN3c106ScalarES7_ENKUlvE_clEvENKUlvE0_clEvEUlaE_St5arrayIPcLm2EEEEviT0_T1_,comdat
.Lfunc_end283:
	.size	_ZN2at6native29vectorized_elementwise_kernelILi8EZZZNS0_17clamp_kernel_cudaERNS_18TensorIteratorBaseERKN3c106ScalarES7_ENKUlvE_clEvENKUlvE0_clEvEUlaE_St5arrayIPcLm2EEEEviT0_T1_, .Lfunc_end283-_ZN2at6native29vectorized_elementwise_kernelILi8EZZZNS0_17clamp_kernel_cudaERNS_18TensorIteratorBaseERKN3c106ScalarES7_ENKUlvE_clEvENKUlvE0_clEvEUlaE_St5arrayIPcLm2EEEEviT0_T1_
                                        ; -- End function
	.set _ZN2at6native29vectorized_elementwise_kernelILi8EZZZNS0_17clamp_kernel_cudaERNS_18TensorIteratorBaseERKN3c106ScalarES7_ENKUlvE_clEvENKUlvE0_clEvEUlaE_St5arrayIPcLm2EEEEviT0_T1_.num_vgpr, 21
	.set _ZN2at6native29vectorized_elementwise_kernelILi8EZZZNS0_17clamp_kernel_cudaERNS_18TensorIteratorBaseERKN3c106ScalarES7_ENKUlvE_clEvENKUlvE0_clEvEUlaE_St5arrayIPcLm2EEEEviT0_T1_.num_agpr, 0
	.set _ZN2at6native29vectorized_elementwise_kernelILi8EZZZNS0_17clamp_kernel_cudaERNS_18TensorIteratorBaseERKN3c106ScalarES7_ENKUlvE_clEvENKUlvE0_clEvEUlaE_St5arrayIPcLm2EEEEviT0_T1_.numbered_sgpr, 41
	.set _ZN2at6native29vectorized_elementwise_kernelILi8EZZZNS0_17clamp_kernel_cudaERNS_18TensorIteratorBaseERKN3c106ScalarES7_ENKUlvE_clEvENKUlvE0_clEvEUlaE_St5arrayIPcLm2EEEEviT0_T1_.num_named_barrier, 0
	.set _ZN2at6native29vectorized_elementwise_kernelILi8EZZZNS0_17clamp_kernel_cudaERNS_18TensorIteratorBaseERKN3c106ScalarES7_ENKUlvE_clEvENKUlvE0_clEvEUlaE_St5arrayIPcLm2EEEEviT0_T1_.private_seg_size, 0
	.set _ZN2at6native29vectorized_elementwise_kernelILi8EZZZNS0_17clamp_kernel_cudaERNS_18TensorIteratorBaseERKN3c106ScalarES7_ENKUlvE_clEvENKUlvE0_clEvEUlaE_St5arrayIPcLm2EEEEviT0_T1_.uses_vcc, 1
	.set _ZN2at6native29vectorized_elementwise_kernelILi8EZZZNS0_17clamp_kernel_cudaERNS_18TensorIteratorBaseERKN3c106ScalarES7_ENKUlvE_clEvENKUlvE0_clEvEUlaE_St5arrayIPcLm2EEEEviT0_T1_.uses_flat_scratch, 0
	.set _ZN2at6native29vectorized_elementwise_kernelILi8EZZZNS0_17clamp_kernel_cudaERNS_18TensorIteratorBaseERKN3c106ScalarES7_ENKUlvE_clEvENKUlvE0_clEvEUlaE_St5arrayIPcLm2EEEEviT0_T1_.has_dyn_sized_stack, 0
	.set _ZN2at6native29vectorized_elementwise_kernelILi8EZZZNS0_17clamp_kernel_cudaERNS_18TensorIteratorBaseERKN3c106ScalarES7_ENKUlvE_clEvENKUlvE0_clEvEUlaE_St5arrayIPcLm2EEEEviT0_T1_.has_recursion, 0
	.set _ZN2at6native29vectorized_elementwise_kernelILi8EZZZNS0_17clamp_kernel_cudaERNS_18TensorIteratorBaseERKN3c106ScalarES7_ENKUlvE_clEvENKUlvE0_clEvEUlaE_St5arrayIPcLm2EEEEviT0_T1_.has_indirect_call, 0
	.section	.AMDGPU.csdata,"",@progbits
; Kernel info:
; codeLenInByte = 3404
; TotalNumSgprs: 47
; NumVgprs: 21
; NumAgprs: 0
; TotalNumVgprs: 21
; ScratchSize: 0
; MemoryBound: 0
; FloatMode: 240
; IeeeMode: 1
; LDSByteSize: 0 bytes/workgroup (compile time only)
; SGPRBlocks: 5
; VGPRBlocks: 2
; NumSGPRsForWavesPerEU: 47
; NumVGPRsForWavesPerEU: 21
; AccumOffset: 24
; Occupancy: 8
; WaveLimiterHint : 1
; COMPUTE_PGM_RSRC2:SCRATCH_EN: 0
; COMPUTE_PGM_RSRC2:USER_SGPR: 2
; COMPUTE_PGM_RSRC2:TRAP_HANDLER: 0
; COMPUTE_PGM_RSRC2:TGID_X_EN: 1
; COMPUTE_PGM_RSRC2:TGID_Y_EN: 0
; COMPUTE_PGM_RSRC2:TGID_Z_EN: 0
; COMPUTE_PGM_RSRC2:TIDIG_COMP_CNT: 0
; COMPUTE_PGM_RSRC3_GFX90A:ACCUM_OFFSET: 5
; COMPUTE_PGM_RSRC3_GFX90A:TG_SPLIT: 0
	.section	.text._ZN2at6native29vectorized_elementwise_kernelILi4EZZZNS0_17clamp_kernel_cudaERNS_18TensorIteratorBaseERKN3c106ScalarES7_ENKUlvE_clEvENKUlvE0_clEvEUlaE_St5arrayIPcLm2EEEEviT0_T1_,"axG",@progbits,_ZN2at6native29vectorized_elementwise_kernelILi4EZZZNS0_17clamp_kernel_cudaERNS_18TensorIteratorBaseERKN3c106ScalarES7_ENKUlvE_clEvENKUlvE0_clEvEUlaE_St5arrayIPcLm2EEEEviT0_T1_,comdat
	.globl	_ZN2at6native29vectorized_elementwise_kernelILi4EZZZNS0_17clamp_kernel_cudaERNS_18TensorIteratorBaseERKN3c106ScalarES7_ENKUlvE_clEvENKUlvE0_clEvEUlaE_St5arrayIPcLm2EEEEviT0_T1_ ; -- Begin function _ZN2at6native29vectorized_elementwise_kernelILi4EZZZNS0_17clamp_kernel_cudaERNS_18TensorIteratorBaseERKN3c106ScalarES7_ENKUlvE_clEvENKUlvE0_clEvEUlaE_St5arrayIPcLm2EEEEviT0_T1_
	.p2align	8
	.type	_ZN2at6native29vectorized_elementwise_kernelILi4EZZZNS0_17clamp_kernel_cudaERNS_18TensorIteratorBaseERKN3c106ScalarES7_ENKUlvE_clEvENKUlvE0_clEvEUlaE_St5arrayIPcLm2EEEEviT0_T1_,@function
_ZN2at6native29vectorized_elementwise_kernelILi4EZZZNS0_17clamp_kernel_cudaERNS_18TensorIteratorBaseERKN3c106ScalarES7_ENKUlvE_clEvENKUlvE0_clEvEUlaE_St5arrayIPcLm2EEEEviT0_T1_: ; @_ZN2at6native29vectorized_elementwise_kernelILi4EZZZNS0_17clamp_kernel_cudaERNS_18TensorIteratorBaseERKN3c106ScalarES7_ENKUlvE_clEvENKUlvE0_clEvEUlaE_St5arrayIPcLm2EEEEviT0_T1_
; %bb.0:
	v_mov_b32_e32 v1, 0
	global_load_ushort v1, v1, s[0:1] offset:4
	s_load_dword s3, s[0:1], 0x0
	s_load_dwordx4 s[4:7], s[0:1], 0x8
	s_lshl_b32 s33, s2, 12
	s_mov_b64 s[8:9], -1
	s_waitcnt lgkmcnt(0)
	s_sub_i32 s38, s3, s33
	s_cmpk_gt_i32 s38, 0xfff
	s_waitcnt vmcnt(0)
	v_readfirstlane_b32 s39, v1
	s_sext_i32_i16 s40, s39
	s_cbranch_scc0 .LBB284_2
; %bb.1:
	s_bfe_i32 s2, s39, 0x80000
	s_lshr_b32 s3, s40, 8
	s_ashr_i32 s8, s33, 31
	s_add_u32 s0, s6, s33
	s_addc_u32 s1, s7, s8
	v_lshlrev_b32_e32 v1, 2, v0
	global_load_dword v2, v1, s[0:1]
	global_load_dword v3, v1, s[0:1] offset:1024
	global_load_dword v4, v1, s[0:1] offset:2048
	;; [unrolled: 1-line block ×3, first 2 shown]
	s_movk_i32 s9, 0xff
	s_add_u32 s0, s4, s33
	s_addc_u32 s1, s5, s8
	s_waitcnt vmcnt(3)
	v_max_i16_sdwa v6, sext(v2), s2 dst_sel:DWORD dst_unused:UNUSED_PAD src0_sel:BYTE_0 src1_sel:DWORD
	v_lshrrev_b32_e32 v7, 8, v2
	v_lshrrev_b32_e32 v8, 16, v2
	v_lshrrev_b32_e32 v2, 24, v2
	s_waitcnt vmcnt(2)
	v_max_i16_sdwa v9, sext(v3), s2 dst_sel:DWORD dst_unused:UNUSED_PAD src0_sel:BYTE_0 src1_sel:DWORD
	v_lshrrev_b32_e32 v10, 8, v3
	v_lshrrev_b32_e32 v11, 16, v3
	v_lshrrev_b32_e32 v3, 24, v3
	;; [unrolled: 5-line block ×4, first 2 shown]
	v_max_i16_sdwa v8, sext(v8), s2 dst_sel:DWORD dst_unused:UNUSED_PAD src0_sel:BYTE_0 src1_sel:DWORD
	v_max_i16_sdwa v2, sext(v2), s2 dst_sel:DWORD dst_unused:UNUSED_PAD src0_sel:BYTE_0 src1_sel:DWORD
	;; [unrolled: 1-line block ×9, first 2 shown]
	v_min_i16_e32 v8, s3, v8
	v_min_i16_sdwa v2, v2, s3 dst_sel:BYTE_1 dst_unused:UNUSED_PAD src0_sel:DWORD src1_sel:DWORD
	v_min_i16_e32 v6, s3, v6
	v_max_i16_sdwa v10, sext(v10), s2 dst_sel:DWORD dst_unused:UNUSED_PAD src0_sel:BYTE_0 src1_sel:DWORD
	v_max_i16_sdwa v13, sext(v13), s2 dst_sel:DWORD dst_unused:UNUSED_PAD src0_sel:BYTE_0 src1_sel:DWORD
	v_max_i16_sdwa v16, sext(v16), s2 dst_sel:DWORD dst_unused:UNUSED_PAD src0_sel:BYTE_0 src1_sel:DWORD
	v_min_i16_sdwa v7, v7, s3 dst_sel:BYTE_1 dst_unused:UNUSED_PAD src0_sel:DWORD src1_sel:DWORD
	v_min_i16_e32 v11, s3, v11
	v_min_i16_sdwa v3, v3, s3 dst_sel:BYTE_1 dst_unused:UNUSED_PAD src0_sel:DWORD src1_sel:DWORD
	v_min_i16_e32 v14, s3, v14
	;; [unrolled: 2-line block ×3, first 2 shown]
	v_min_i16_sdwa v5, v5, s3 dst_sel:BYTE_1 dst_unused:UNUSED_PAD src0_sel:DWORD src1_sel:DWORD
	v_bitop3_b16 v2, v8, v2, s9 bitop3:0xec
	v_min_i16_e32 v9, s3, v9
	v_min_i16_e32 v12, s3, v12
	v_min_i16_e32 v15, s3, v15
	v_min_i16_sdwa v10, v10, s3 dst_sel:BYTE_1 dst_unused:UNUSED_PAD src0_sel:DWORD src1_sel:DWORD
	v_min_i16_sdwa v13, v13, s3 dst_sel:BYTE_1 dst_unused:UNUSED_PAD src0_sel:DWORD src1_sel:DWORD
	;; [unrolled: 1-line block ×3, first 2 shown]
	v_bitop3_b16 v5, v17, v5, s9 bitop3:0xec
	v_bitop3_b16 v4, v14, v4, s9 bitop3:0xec
	;; [unrolled: 1-line block ×4, first 2 shown]
	v_lshlrev_b32_e32 v2, 16, v2
	v_bitop3_b16 v15, v15, v16, s9 bitop3:0xec
	v_bitop3_b16 v12, v12, v13, s9 bitop3:0xec
	;; [unrolled: 1-line block ×3, first 2 shown]
	v_lshlrev_b32_e32 v5, 16, v5
	v_lshlrev_b32_e32 v4, 16, v4
	;; [unrolled: 1-line block ×3, first 2 shown]
	v_or_b32_sdwa v2, v6, v2 dst_sel:DWORD dst_unused:UNUSED_PAD src0_sel:WORD_0 src1_sel:DWORD
	v_or_b32_sdwa v5, v15, v5 dst_sel:DWORD dst_unused:UNUSED_PAD src0_sel:WORD_0 src1_sel:DWORD
	;; [unrolled: 1-line block ×4, first 2 shown]
	global_store_dword v1, v2, s[0:1]
	global_store_dword v1, v3, s[0:1] offset:1024
	global_store_dword v1, v4, s[0:1] offset:2048
	;; [unrolled: 1-line block ×3, first 2 shown]
	s_mov_b64 s[8:9], 0
.LBB284_2:
	s_andn2_b64 vcc, exec, s[8:9]
	s_cbranch_vccnz .LBB284_52
; %bb.3:
	v_cmp_gt_i32_e32 vcc, s38, v0
	v_or_b32_e32 v1, 0x100, v0
	v_mov_b32_e32 v20, 0
	v_or_b32_e32 v6, s33, v0
	v_mov_b32_e32 v19, 0
	v_mov_b32_e32 v18, 0
	;; [unrolled: 1-line block ×15, first 2 shown]
	s_and_saveexec_b64 s[2:3], vcc
	s_cbranch_execz .LBB284_35
; %bb.4:
	global_load_ubyte v12, v6, s[6:7]
	v_cmp_gt_u32_e64 s[0:1], s38, v1
	v_mov_b32_e32 v9, 0
	v_mov_b32_e32 v3, 0
	;; [unrolled: 1-line block ×15, first 2 shown]
	s_and_saveexec_b64 s[8:9], s[0:1]
	s_cbranch_execz .LBB284_34
; %bb.5:
	v_add_u32_e32 v2, s33, v0
	global_load_ubyte v9, v2, s[6:7] offset:256
	v_or_b32_e32 v4, 0x200, v0
	v_mov_b32_e32 v3, 0
	v_cmp_gt_u32_e64 s[0:1], s38, v4
	v_mov_b32_e32 v4, 0
	v_mov_b32_e32 v7, 0
	;; [unrolled: 1-line block ×13, first 2 shown]
	s_and_saveexec_b64 s[10:11], s[0:1]
	s_cbranch_execz .LBB284_33
; %bb.6:
	v_lshl_add_u64 v[4:5], s[6:7], 0, v[2:3]
	global_load_ubyte v2, v[4:5], off offset:512
	v_or_b32_e32 v7, 0x300, v0
	v_cmp_gt_u32_e64 s[0:1], s38, v7
	v_mov_b32_e32 v7, 0
	v_mov_b32_e32 v10, 0
	;; [unrolled: 1-line block ×12, first 2 shown]
	s_and_saveexec_b64 s[6:7], s[0:1]
	s_cbranch_execz .LBB284_32
; %bb.7:
	global_load_ubyte v3, v[4:5], off offset:768
	v_or_b32_e32 v7, 0x400, v0
	v_cmp_gt_u32_e64 s[0:1], s38, v7
	v_mov_b32_e32 v7, 0
	v_mov_b32_e32 v10, 0
	v_mov_b32_e32 v8, 0
	v_mov_b32_e32 v11, 0
	v_mov_b32_e32 v13, 0
	v_mov_b32_e32 v14, 0
	v_mov_b32_e32 v15, 0
	v_mov_b32_e32 v16, 0
	v_mov_b32_e32 v17, 0
	v_mov_b32_e32 v18, 0
	v_mov_b32_e32 v19, 0
	v_mov_b32_e32 v20, 0
	s_and_saveexec_b64 s[12:13], s[0:1]
	s_cbranch_execz .LBB284_31
; %bb.8:
	global_load_ubyte v7, v[4:5], off offset:1024
	v_or_b32_e32 v8, 0x500, v0
	v_cmp_gt_u32_e64 s[0:1], s38, v8
	v_mov_b32_e32 v10, 0
	v_mov_b32_e32 v8, 0
	;; [unrolled: 1-line block ×11, first 2 shown]
	s_and_saveexec_b64 s[14:15], s[0:1]
	s_cbranch_execz .LBB284_30
; %bb.9:
	global_load_ubyte v10, v[4:5], off offset:1280
	v_or_b32_e32 v8, 0x600, v0
	v_cmp_gt_u32_e64 s[0:1], s38, v8
	v_mov_b32_e32 v8, 0
	v_mov_b32_e32 v11, 0
	;; [unrolled: 1-line block ×10, first 2 shown]
	s_and_saveexec_b64 s[16:17], s[0:1]
	s_cbranch_execz .LBB284_29
; %bb.10:
	global_load_ubyte v8, v[4:5], off offset:1536
	v_or_b32_e32 v11, 0x700, v0
	v_cmp_gt_u32_e64 s[0:1], s38, v11
	v_mov_b32_e32 v11, 0
	v_mov_b32_e32 v13, 0
	v_mov_b32_e32 v14, 0
	v_mov_b32_e32 v15, 0
	v_mov_b32_e32 v16, 0
	v_mov_b32_e32 v17, 0
	v_mov_b32_e32 v18, 0
	v_mov_b32_e32 v19, 0
	v_mov_b32_e32 v20, 0
	s_and_saveexec_b64 s[18:19], s[0:1]
	s_cbranch_execz .LBB284_28
; %bb.11:
	global_load_ubyte v11, v[4:5], off offset:1792
	v_or_b32_e32 v13, 0x800, v0
	v_cmp_gt_u32_e64 s[0:1], s38, v13
	v_mov_b32_e32 v13, 0
	v_mov_b32_e32 v14, 0
	;; [unrolled: 1-line block ×8, first 2 shown]
	s_and_saveexec_b64 s[20:21], s[0:1]
	s_cbranch_execz .LBB284_27
; %bb.12:
	global_load_ubyte v13, v[4:5], off offset:2048
	v_or_b32_e32 v14, 0x900, v0
	v_cmp_gt_u32_e64 s[0:1], s38, v14
	v_mov_b32_e32 v14, 0
	v_mov_b32_e32 v15, 0
	;; [unrolled: 1-line block ×7, first 2 shown]
	s_and_saveexec_b64 s[22:23], s[0:1]
	s_cbranch_execz .LBB284_26
; %bb.13:
	global_load_ubyte v14, v[4:5], off offset:2304
	v_or_b32_e32 v15, 0xa00, v0
	v_cmp_gt_u32_e64 s[0:1], s38, v15
	v_mov_b32_e32 v15, 0
	v_mov_b32_e32 v16, 0
	;; [unrolled: 1-line block ×6, first 2 shown]
	s_and_saveexec_b64 s[24:25], s[0:1]
	s_cbranch_execz .LBB284_25
; %bb.14:
	global_load_ubyte v15, v[4:5], off offset:2560
	v_or_b32_e32 v16, 0xb00, v0
	v_cmp_gt_u32_e64 s[0:1], s38, v16
	v_mov_b32_e32 v16, 0
	v_mov_b32_e32 v17, 0
	;; [unrolled: 1-line block ×5, first 2 shown]
	s_and_saveexec_b64 s[26:27], s[0:1]
	s_cbranch_execz .LBB284_24
; %bb.15:
	global_load_ubyte v16, v[4:5], off offset:2816
	v_or_b32_e32 v17, 0xc00, v0
	v_cmp_gt_u32_e64 s[0:1], s38, v17
	v_mov_b32_e32 v17, 0
	v_mov_b32_e32 v18, 0
	;; [unrolled: 1-line block ×4, first 2 shown]
	s_and_saveexec_b64 s[28:29], s[0:1]
	s_cbranch_execz .LBB284_23
; %bb.16:
	global_load_ubyte v17, v[4:5], off offset:3072
	v_or_b32_e32 v18, 0xd00, v0
	v_cmp_gt_u32_e64 s[0:1], s38, v18
	v_mov_b32_e32 v18, 0
	v_mov_b32_e32 v19, 0
	;; [unrolled: 1-line block ×3, first 2 shown]
	s_and_saveexec_b64 s[30:31], s[0:1]
	s_cbranch_execz .LBB284_22
; %bb.17:
	global_load_ubyte v18, v[4:5], off offset:3328
	v_or_b32_e32 v19, 0xe00, v0
	v_cmp_gt_u32_e64 s[0:1], s38, v19
	v_mov_b32_e32 v19, 0
	v_mov_b32_e32 v20, 0
	s_and_saveexec_b64 s[34:35], s[0:1]
	s_cbranch_execz .LBB284_21
; %bb.18:
	global_load_ubyte v19, v[4:5], off offset:3584
	v_or_b32_e32 v20, 0xf00, v0
	v_cmp_gt_u32_e64 s[0:1], s38, v20
	v_mov_b32_e32 v20, 0
	s_and_saveexec_b64 s[36:37], s[0:1]
	s_cbranch_execz .LBB284_20
; %bb.19:
	global_load_ubyte v20, v[4:5], off offset:3840
.LBB284_20:
	s_or_b64 exec, exec, s[36:37]
.LBB284_21:
	s_or_b64 exec, exec, s[34:35]
.LBB284_22:
	s_or_b64 exec, exec, s[30:31]
.LBB284_23:
	s_or_b64 exec, exec, s[28:29]
.LBB284_24:
	s_or_b64 exec, exec, s[26:27]
.LBB284_25:
	s_or_b64 exec, exec, s[24:25]
.LBB284_26:
	s_or_b64 exec, exec, s[22:23]
.LBB284_27:
	s_or_b64 exec, exec, s[20:21]
.LBB284_28:
	s_or_b64 exec, exec, s[18:19]
.LBB284_29:
	s_or_b64 exec, exec, s[16:17]
.LBB284_30:
	s_or_b64 exec, exec, s[14:15]
.LBB284_31:
	s_or_b64 exec, exec, s[12:13]
.LBB284_32:
	s_or_b64 exec, exec, s[6:7]
	s_waitcnt vmcnt(0)
	v_mov_b32_e32 v4, v3
	v_mov_b32_e32 v3, v2
.LBB284_33:
	s_or_b64 exec, exec, s[10:11]
.LBB284_34:
	s_or_b64 exec, exec, s[8:9]
.LBB284_35:
	s_or_b64 exec, exec, s[2:3]
	s_bfe_i32 s2, s39, 0x80000
	s_lshr_b32 s3, s40, 8
	s_waitcnt vmcnt(0)
	v_max_i16_sdwa v2, sext(v12), s2 dst_sel:DWORD dst_unused:UNUSED_PAD src0_sel:BYTE_0 src1_sel:DWORD
	v_min_i16_e32 v2, s3, v2
	s_mov_b32 s7, 0xffff
	v_and_b32_sdwa v2, s7, v2 dst_sel:DWORD dst_unused:UNUSED_PAD src0_sel:DWORD src1_sel:BYTE_0
	v_max_i16_sdwa v5, sext(v9), s2 dst_sel:DWORD dst_unused:UNUSED_PAD src0_sel:BYTE_0 src1_sel:DWORD
	v_cndmask_b32_e32 v2, 0, v2, vcc
	v_min_i16_sdwa v5, v5, s3 dst_sel:BYTE_1 dst_unused:UNUSED_PAD src0_sel:DWORD src1_sel:DWORD
	v_cmp_gt_i32_e64 s[0:1], s38, v1
	v_or_b32_e32 v5, v2, v5
	v_and_b32_e32 v5, 0xffff, v5
	v_max_i16_sdwa v3, sext(v3), s2 dst_sel:DWORD dst_unused:UNUSED_PAD src0_sel:BYTE_0 src1_sel:DWORD
	v_cndmask_b32_e64 v2, v2, v5, s[0:1]
	v_min_i16_e32 v3, s3, v3
	s_mov_b32 s8, 0xc0c0304
	v_or_b32_e32 v5, 0x200, v0
	v_perm_b32 v3, v3, v2, s8
	v_lshl_or_b32 v3, v3, 16, v2
	v_cmp_gt_i32_e64 s[0:1], s38, v5
	v_max_i16_sdwa v4, sext(v4), s2 dst_sel:DWORD dst_unused:UNUSED_PAD src0_sel:BYTE_0 src1_sel:DWORD
	s_movk_i32 s6, 0xff
	v_cndmask_b32_e64 v2, v2, v3, s[0:1]
	v_lshrrev_b32_e32 v3, 16, v2
	v_min_i16_sdwa v4, v4, s3 dst_sel:BYTE_1 dst_unused:UNUSED_PAD src0_sel:DWORD src1_sel:DWORD
	v_or_b32_e32 v5, 0x300, v0
	v_bitop3_b16 v3, v3, v4, s6 bitop3:0xec
	v_lshlrev_b32_e32 v3, 16, v3
	v_and_or_b32 v3, v2, s7, v3
	v_cmp_gt_i32_e64 s[0:1], s38, v5
	s_mov_b32 s9, 0x3020104
	s_mov_b32 s10, 0xffff0000
	v_cndmask_b32_e64 v5, v2, v3, s[0:1]
	v_max_i16_sdwa v2, sext(v7), s2 dst_sel:DWORD dst_unused:UNUSED_PAD src0_sel:BYTE_0 src1_sel:DWORD
	v_min_i16_e32 v2, s3, v2
	v_or_b32_e32 v3, 0x400, v0
	v_perm_b32 v2, v2, 0, s9
	v_cmp_gt_i32_e64 s[0:1], s38, v3
	v_max_i16_sdwa v3, sext(v10), s2 dst_sel:DWORD dst_unused:UNUSED_PAD src0_sel:BYTE_0 src1_sel:DWORD
	v_min_i16_sdwa v3, v3, s3 dst_sel:BYTE_1 dst_unused:UNUSED_PAD src0_sel:DWORD src1_sel:DWORD
	v_cndmask_b32_e64 v2, 0, v2, s[0:1]
	v_bitop3_b16 v3, v2, v3, s6 bitop3:0xec
	v_and_b32_e32 v3, 0xffff, v3
	v_or_b32_e32 v4, 0x500, v0
	v_and_or_b32 v3, v2, s10, v3
	v_cmp_gt_i32_e64 s[0:1], s38, v4
	v_max_i16_sdwa v4, sext(v8), s2 dst_sel:DWORD dst_unused:UNUSED_PAD src0_sel:BYTE_0 src1_sel:DWORD
	v_min_i16_e32 v4, s3, v4
	v_cndmask_b32_e64 v2, v2, v3, s[0:1]
	v_or_b32_e32 v3, 0x600, v0
	s_mov_b32 s11, 0x7000504
	v_perm_b32 v4, v2, v4, s11
	v_cmp_gt_i32_e64 s[0:1], s38, v3
	v_max_i16_sdwa v7, sext(v11), s2 dst_sel:DWORD dst_unused:UNUSED_PAD src0_sel:BYTE_0 src1_sel:DWORD
	v_min_i16_sdwa v7, v7, s3 dst_sel:BYTE_1 dst_unused:UNUSED_PAD src0_sel:DWORD src1_sel:DWORD
	v_cndmask_b32_e64 v2, v2, v4, s[0:1]
	v_lshrrev_b32_e32 v3, 16, v2
	v_bitop3_b16 v3, v3, v7, s6 bitop3:0xec
	v_or_b32_e32 v4, 0x700, v0
	v_lshlrev_b32_e32 v3, 16, v3
	v_and_or_b32 v3, v2, s7, v3
	v_cmp_gt_i32_e64 s[0:1], s38, v4
	v_max_i16_sdwa v7, sext(v14), s2 dst_sel:DWORD dst_unused:UNUSED_PAD src0_sel:BYTE_0 src1_sel:DWORD
	v_min_i16_sdwa v7, v7, s3 dst_sel:BYTE_1 dst_unused:UNUSED_PAD src0_sel:DWORD src1_sel:DWORD
	v_cndmask_b32_e64 v4, v2, v3, s[0:1]
	v_max_i16_sdwa v3, sext(v13), s2 dst_sel:DWORD dst_unused:UNUSED_PAD src0_sel:BYTE_0 src1_sel:DWORD
	v_or_b32_e32 v2, 0x800, v0
	v_min_i16_e32 v3, s3, v3
	v_and_b32_sdwa v3, s7, v3 dst_sel:DWORD dst_unused:UNUSED_PAD src0_sel:DWORD src1_sel:BYTE_0
	v_cmp_gt_i32_e64 s[0:1], s38, v2
	v_max_i16_sdwa v8, sext(v16), s2 dst_sel:DWORD dst_unused:UNUSED_PAD src0_sel:BYTE_0 src1_sel:DWORD
	v_min_i16_sdwa v8, v8, s3 dst_sel:BYTE_1 dst_unused:UNUSED_PAD src0_sel:DWORD src1_sel:DWORD
	v_cndmask_b32_e64 v2, 0, v3, s[0:1]
	v_or_b32_e32 v3, 0x900, v0
	v_or_b32_e32 v7, v2, v7
	v_and_b32_e32 v7, 0xffff, v7
	v_cmp_gt_i32_e64 s[0:1], s38, v3
	v_or_b32_e32 v3, 0xa00, v0
	v_max_i16_sdwa v9, sext(v20), s2 dst_sel:DWORD dst_unused:UNUSED_PAD src0_sel:BYTE_0 src1_sel:DWORD
	v_cndmask_b32_e64 v2, v2, v7, s[0:1]
	v_max_i16_sdwa v7, sext(v15), s2 dst_sel:DWORD dst_unused:UNUSED_PAD src0_sel:BYTE_0 src1_sel:DWORD
	v_min_i16_e32 v7, s3, v7
	v_perm_b32 v7, v7, v2, s8
	v_lshl_or_b32 v7, v7, 16, v2
	v_cmp_gt_i32_e64 s[0:1], s38, v3
	v_min_i16_sdwa v9, v9, s3 dst_sel:BYTE_1 dst_unused:UNUSED_PAD src0_sel:DWORD src1_sel:DWORD
	s_nop 0
	v_cndmask_b32_e64 v2, v2, v7, s[0:1]
	v_lshrrev_b32_e32 v3, 16, v2
	v_bitop3_b16 v3, v3, v8, s6 bitop3:0xec
	v_or_b32_e32 v7, 0xb00, v0
	v_lshlrev_b32_e32 v3, 16, v3
	v_and_or_b32 v3, v2, s7, v3
	v_cmp_gt_i32_e64 s[0:1], s38, v7
	v_or_b32_e32 v7, 0xc00, v0
	v_or_b32_e32 v8, 0xd00, v0
	v_cndmask_b32_e64 v3, v2, v3, s[0:1]
	v_max_i16_sdwa v2, sext(v17), s2 dst_sel:DWORD dst_unused:UNUSED_PAD src0_sel:BYTE_0 src1_sel:DWORD
	v_min_i16_e32 v2, s3, v2
	v_perm_b32 v2, v2, 0, s9
	v_cmp_gt_i32_e64 s[0:1], s38, v7
	v_max_i16_sdwa v7, sext(v18), s2 dst_sel:DWORD dst_unused:UNUSED_PAD src0_sel:BYTE_0 src1_sel:DWORD
	v_min_i16_sdwa v7, v7, s3 dst_sel:BYTE_1 dst_unused:UNUSED_PAD src0_sel:DWORD src1_sel:DWORD
	v_cndmask_b32_e64 v2, 0, v2, s[0:1]
	v_bitop3_b16 v7, v2, v7, s6 bitop3:0xec
	v_and_b32_e32 v7, 0xffff, v7
	v_and_or_b32 v7, v2, s10, v7
	v_cmp_gt_i32_e64 s[0:1], s38, v8
	v_max_i16_sdwa v8, sext(v19), s2 dst_sel:DWORD dst_unused:UNUSED_PAD src0_sel:BYTE_0 src1_sel:DWORD
	v_min_i16_e32 v8, s3, v8
	v_cndmask_b32_e64 v2, v2, v7, s[0:1]
	v_or_b32_e32 v7, 0xe00, v0
	v_perm_b32 v8, v2, v8, s11
	v_cmp_gt_i32_e64 s[0:1], s38, v7
	s_nop 1
	v_cndmask_b32_e64 v2, v2, v8, s[0:1]
	v_lshrrev_b32_e32 v7, 16, v2
	v_bitop3_b16 v7, v7, v9, s6 bitop3:0xec
	v_or_b32_e32 v8, 0xf00, v0
	v_lshlrev_b32_e32 v7, 16, v7
	v_and_or_b32 v7, v2, s7, v7
	v_cmp_gt_i32_e64 s[0:1], s38, v8
	s_nop 1
	v_cndmask_b32_e64 v2, v2, v7, s[0:1]
	s_and_saveexec_b64 s[0:1], vcc
	s_cbranch_execnz .LBB284_53
; %bb.36:
	s_or_b64 exec, exec, s[0:1]
	v_cmp_gt_i32_e32 vcc, s38, v0
	s_and_saveexec_b64 s[0:1], vcc
	s_cbranch_execnz .LBB284_54
.LBB284_37:
	s_or_b64 exec, exec, s[0:1]
	v_cmp_gt_i32_e32 vcc, s38, v0
	s_and_saveexec_b64 s[0:1], vcc
	s_cbranch_execnz .LBB284_55
.LBB284_38:
	s_or_b64 exec, exec, s[0:1]
	v_cmp_gt_i32_e32 vcc, s38, v0
	s_and_saveexec_b64 s[0:1], vcc
	s_cbranch_execnz .LBB284_56
.LBB284_39:
	s_or_b64 exec, exec, s[0:1]
	v_cmp_gt_i32_e32 vcc, s38, v0
	s_and_saveexec_b64 s[0:1], vcc
	s_cbranch_execnz .LBB284_57
.LBB284_40:
	s_or_b64 exec, exec, s[0:1]
	v_cmp_gt_i32_e32 vcc, s38, v0
	s_and_saveexec_b64 s[0:1], vcc
	s_cbranch_execnz .LBB284_58
.LBB284_41:
	s_or_b64 exec, exec, s[0:1]
	v_cmp_gt_i32_e32 vcc, s38, v0
	s_and_saveexec_b64 s[0:1], vcc
	s_cbranch_execnz .LBB284_59
.LBB284_42:
	s_or_b64 exec, exec, s[0:1]
	v_cmp_gt_i32_e32 vcc, s38, v0
	s_and_saveexec_b64 s[0:1], vcc
	s_cbranch_execnz .LBB284_60
.LBB284_43:
	s_or_b64 exec, exec, s[0:1]
	v_cmp_gt_i32_e32 vcc, s38, v0
	s_and_saveexec_b64 s[0:1], vcc
	s_cbranch_execnz .LBB284_61
.LBB284_44:
	s_or_b64 exec, exec, s[0:1]
	v_cmp_gt_i32_e32 vcc, s38, v0
	s_and_saveexec_b64 s[0:1], vcc
	s_cbranch_execnz .LBB284_62
.LBB284_45:
	s_or_b64 exec, exec, s[0:1]
	v_cmp_gt_i32_e32 vcc, s38, v0
	s_and_saveexec_b64 s[0:1], vcc
	s_cbranch_execnz .LBB284_63
.LBB284_46:
	s_or_b64 exec, exec, s[0:1]
	v_cmp_gt_i32_e32 vcc, s38, v0
	s_and_saveexec_b64 s[0:1], vcc
	s_cbranch_execnz .LBB284_64
.LBB284_47:
	s_or_b64 exec, exec, s[0:1]
	v_cmp_gt_i32_e32 vcc, s38, v0
	s_and_saveexec_b64 s[0:1], vcc
	s_cbranch_execnz .LBB284_65
.LBB284_48:
	s_or_b64 exec, exec, s[0:1]
	v_cmp_gt_i32_e32 vcc, s38, v0
	s_and_saveexec_b64 s[0:1], vcc
	s_cbranch_execnz .LBB284_66
.LBB284_49:
	s_or_b64 exec, exec, s[0:1]
	v_cmp_gt_i32_e32 vcc, s38, v0
	s_and_saveexec_b64 s[0:1], vcc
	s_cbranch_execnz .LBB284_67
.LBB284_50:
	s_or_b64 exec, exec, s[0:1]
	v_cmp_gt_i32_e32 vcc, s38, v0
	s_and_saveexec_b64 s[0:1], vcc
	s_cbranch_execz .LBB284_52
.LBB284_51:
	v_lshrrev_b32_e32 v1, 24, v2
	v_add_u32_e32 v0, s33, v0
	global_store_byte v0, v1, s[4:5]
.LBB284_52:
	s_endpgm
.LBB284_53:
	v_mov_b32_e32 v0, v1
	global_store_byte v6, v5, s[4:5]
	s_or_b64 exec, exec, s[0:1]
	v_cmp_gt_i32_e32 vcc, s38, v0
	s_and_saveexec_b64 s[0:1], vcc
	s_cbranch_execz .LBB284_37
.LBB284_54:
	v_lshrrev_b32_e32 v1, 8, v5
	v_add_u32_e32 v6, s33, v0
	v_add_u32_e32 v0, 0x100, v0
	global_store_byte v6, v1, s[4:5]
	s_or_b64 exec, exec, s[0:1]
	v_cmp_gt_i32_e32 vcc, s38, v0
	s_and_saveexec_b64 s[0:1], vcc
	s_cbranch_execz .LBB284_38
.LBB284_55:
	v_add_u32_e32 v1, s33, v0
	v_add_u32_e32 v0, 0x100, v0
	global_store_byte_d16_hi v1, v5, s[4:5]
	s_or_b64 exec, exec, s[0:1]
	v_cmp_gt_i32_e32 vcc, s38, v0
	s_and_saveexec_b64 s[0:1], vcc
	s_cbranch_execz .LBB284_39
.LBB284_56:
	v_lshrrev_b32_e32 v1, 24, v5
	v_add_u32_e32 v5, s33, v0
	v_add_u32_e32 v0, 0x100, v0
	global_store_byte v5, v1, s[4:5]
	s_or_b64 exec, exec, s[0:1]
	v_cmp_gt_i32_e32 vcc, s38, v0
	s_and_saveexec_b64 s[0:1], vcc
	s_cbranch_execz .LBB284_40
.LBB284_57:
	v_add_u32_e32 v1, s33, v0
	v_add_u32_e32 v0, 0x100, v0
	global_store_byte v1, v4, s[4:5]
	s_or_b64 exec, exec, s[0:1]
	v_cmp_gt_i32_e32 vcc, s38, v0
	s_and_saveexec_b64 s[0:1], vcc
	s_cbranch_execz .LBB284_41
.LBB284_58:
	v_lshrrev_b32_e32 v1, 8, v4
	v_add_u32_e32 v5, s33, v0
	v_add_u32_e32 v0, 0x100, v0
	global_store_byte v5, v1, s[4:5]
	s_or_b64 exec, exec, s[0:1]
	v_cmp_gt_i32_e32 vcc, s38, v0
	s_and_saveexec_b64 s[0:1], vcc
	s_cbranch_execz .LBB284_42
.LBB284_59:
	v_add_u32_e32 v1, s33, v0
	v_add_u32_e32 v0, 0x100, v0
	global_store_byte_d16_hi v1, v4, s[4:5]
	s_or_b64 exec, exec, s[0:1]
	v_cmp_gt_i32_e32 vcc, s38, v0
	s_and_saveexec_b64 s[0:1], vcc
	s_cbranch_execz .LBB284_43
.LBB284_60:
	v_lshrrev_b32_e32 v1, 24, v4
	v_add_u32_e32 v4, s33, v0
	v_add_u32_e32 v0, 0x100, v0
	global_store_byte v4, v1, s[4:5]
	s_or_b64 exec, exec, s[0:1]
	v_cmp_gt_i32_e32 vcc, s38, v0
	s_and_saveexec_b64 s[0:1], vcc
	s_cbranch_execz .LBB284_44
.LBB284_61:
	v_add_u32_e32 v1, s33, v0
	v_add_u32_e32 v0, 0x100, v0
	global_store_byte v1, v3, s[4:5]
	s_or_b64 exec, exec, s[0:1]
	v_cmp_gt_i32_e32 vcc, s38, v0
	s_and_saveexec_b64 s[0:1], vcc
	s_cbranch_execz .LBB284_45
.LBB284_62:
	v_lshrrev_b32_e32 v1, 8, v3
	v_add_u32_e32 v4, s33, v0
	v_add_u32_e32 v0, 0x100, v0
	global_store_byte v4, v1, s[4:5]
	s_or_b64 exec, exec, s[0:1]
	v_cmp_gt_i32_e32 vcc, s38, v0
	s_and_saveexec_b64 s[0:1], vcc
	s_cbranch_execz .LBB284_46
.LBB284_63:
	v_add_u32_e32 v1, s33, v0
	v_add_u32_e32 v0, 0x100, v0
	global_store_byte_d16_hi v1, v3, s[4:5]
	s_or_b64 exec, exec, s[0:1]
	v_cmp_gt_i32_e32 vcc, s38, v0
	s_and_saveexec_b64 s[0:1], vcc
	s_cbranch_execz .LBB284_47
.LBB284_64:
	v_lshrrev_b32_e32 v1, 24, v3
	v_add_u32_e32 v3, s33, v0
	v_add_u32_e32 v0, 0x100, v0
	global_store_byte v3, v1, s[4:5]
	s_or_b64 exec, exec, s[0:1]
	v_cmp_gt_i32_e32 vcc, s38, v0
	s_and_saveexec_b64 s[0:1], vcc
	s_cbranch_execz .LBB284_48
.LBB284_65:
	v_add_u32_e32 v1, s33, v0
	v_add_u32_e32 v0, 0x100, v0
	global_store_byte v1, v2, s[4:5]
	s_or_b64 exec, exec, s[0:1]
	v_cmp_gt_i32_e32 vcc, s38, v0
	s_and_saveexec_b64 s[0:1], vcc
	s_cbranch_execz .LBB284_49
.LBB284_66:
	v_lshrrev_b32_e32 v1, 8, v2
	v_add_u32_e32 v3, s33, v0
	v_add_u32_e32 v0, 0x100, v0
	global_store_byte v3, v1, s[4:5]
	s_or_b64 exec, exec, s[0:1]
	v_cmp_gt_i32_e32 vcc, s38, v0
	s_and_saveexec_b64 s[0:1], vcc
	s_cbranch_execz .LBB284_50
.LBB284_67:
	v_add_u32_e32 v1, s33, v0
	v_add_u32_e32 v0, 0x100, v0
	global_store_byte_d16_hi v1, v2, s[4:5]
	s_or_b64 exec, exec, s[0:1]
	v_cmp_gt_i32_e32 vcc, s38, v0
	s_and_saveexec_b64 s[0:1], vcc
	s_cbranch_execnz .LBB284_51
	s_branch .LBB284_52
	.section	.rodata,"a",@progbits
	.p2align	6, 0x0
	.amdhsa_kernel _ZN2at6native29vectorized_elementwise_kernelILi4EZZZNS0_17clamp_kernel_cudaERNS_18TensorIteratorBaseERKN3c106ScalarES7_ENKUlvE_clEvENKUlvE0_clEvEUlaE_St5arrayIPcLm2EEEEviT0_T1_
		.amdhsa_group_segment_fixed_size 0
		.amdhsa_private_segment_fixed_size 0
		.amdhsa_kernarg_size 24
		.amdhsa_user_sgpr_count 2
		.amdhsa_user_sgpr_dispatch_ptr 0
		.amdhsa_user_sgpr_queue_ptr 0
		.amdhsa_user_sgpr_kernarg_segment_ptr 1
		.amdhsa_user_sgpr_dispatch_id 0
		.amdhsa_user_sgpr_kernarg_preload_length 0
		.amdhsa_user_sgpr_kernarg_preload_offset 0
		.amdhsa_user_sgpr_private_segment_size 0
		.amdhsa_uses_dynamic_stack 0
		.amdhsa_enable_private_segment 0
		.amdhsa_system_sgpr_workgroup_id_x 1
		.amdhsa_system_sgpr_workgroup_id_y 0
		.amdhsa_system_sgpr_workgroup_id_z 0
		.amdhsa_system_sgpr_workgroup_info 0
		.amdhsa_system_vgpr_workitem_id 0
		.amdhsa_next_free_vgpr 21
		.amdhsa_next_free_sgpr 41
		.amdhsa_accum_offset 24
		.amdhsa_reserve_vcc 1
		.amdhsa_float_round_mode_32 0
		.amdhsa_float_round_mode_16_64 0
		.amdhsa_float_denorm_mode_32 3
		.amdhsa_float_denorm_mode_16_64 3
		.amdhsa_dx10_clamp 1
		.amdhsa_ieee_mode 1
		.amdhsa_fp16_overflow 0
		.amdhsa_tg_split 0
		.amdhsa_exception_fp_ieee_invalid_op 0
		.amdhsa_exception_fp_denorm_src 0
		.amdhsa_exception_fp_ieee_div_zero 0
		.amdhsa_exception_fp_ieee_overflow 0
		.amdhsa_exception_fp_ieee_underflow 0
		.amdhsa_exception_fp_ieee_inexact 0
		.amdhsa_exception_int_div_zero 0
	.end_amdhsa_kernel
	.section	.text._ZN2at6native29vectorized_elementwise_kernelILi4EZZZNS0_17clamp_kernel_cudaERNS_18TensorIteratorBaseERKN3c106ScalarES7_ENKUlvE_clEvENKUlvE0_clEvEUlaE_St5arrayIPcLm2EEEEviT0_T1_,"axG",@progbits,_ZN2at6native29vectorized_elementwise_kernelILi4EZZZNS0_17clamp_kernel_cudaERNS_18TensorIteratorBaseERKN3c106ScalarES7_ENKUlvE_clEvENKUlvE0_clEvEUlaE_St5arrayIPcLm2EEEEviT0_T1_,comdat
.Lfunc_end284:
	.size	_ZN2at6native29vectorized_elementwise_kernelILi4EZZZNS0_17clamp_kernel_cudaERNS_18TensorIteratorBaseERKN3c106ScalarES7_ENKUlvE_clEvENKUlvE0_clEvEUlaE_St5arrayIPcLm2EEEEviT0_T1_, .Lfunc_end284-_ZN2at6native29vectorized_elementwise_kernelILi4EZZZNS0_17clamp_kernel_cudaERNS_18TensorIteratorBaseERKN3c106ScalarES7_ENKUlvE_clEvENKUlvE0_clEvEUlaE_St5arrayIPcLm2EEEEviT0_T1_
                                        ; -- End function
	.set _ZN2at6native29vectorized_elementwise_kernelILi4EZZZNS0_17clamp_kernel_cudaERNS_18TensorIteratorBaseERKN3c106ScalarES7_ENKUlvE_clEvENKUlvE0_clEvEUlaE_St5arrayIPcLm2EEEEviT0_T1_.num_vgpr, 21
	.set _ZN2at6native29vectorized_elementwise_kernelILi4EZZZNS0_17clamp_kernel_cudaERNS_18TensorIteratorBaseERKN3c106ScalarES7_ENKUlvE_clEvENKUlvE0_clEvEUlaE_St5arrayIPcLm2EEEEviT0_T1_.num_agpr, 0
	.set _ZN2at6native29vectorized_elementwise_kernelILi4EZZZNS0_17clamp_kernel_cudaERNS_18TensorIteratorBaseERKN3c106ScalarES7_ENKUlvE_clEvENKUlvE0_clEvEUlaE_St5arrayIPcLm2EEEEviT0_T1_.numbered_sgpr, 41
	.set _ZN2at6native29vectorized_elementwise_kernelILi4EZZZNS0_17clamp_kernel_cudaERNS_18TensorIteratorBaseERKN3c106ScalarES7_ENKUlvE_clEvENKUlvE0_clEvEUlaE_St5arrayIPcLm2EEEEviT0_T1_.num_named_barrier, 0
	.set _ZN2at6native29vectorized_elementwise_kernelILi4EZZZNS0_17clamp_kernel_cudaERNS_18TensorIteratorBaseERKN3c106ScalarES7_ENKUlvE_clEvENKUlvE0_clEvEUlaE_St5arrayIPcLm2EEEEviT0_T1_.private_seg_size, 0
	.set _ZN2at6native29vectorized_elementwise_kernelILi4EZZZNS0_17clamp_kernel_cudaERNS_18TensorIteratorBaseERKN3c106ScalarES7_ENKUlvE_clEvENKUlvE0_clEvEUlaE_St5arrayIPcLm2EEEEviT0_T1_.uses_vcc, 1
	.set _ZN2at6native29vectorized_elementwise_kernelILi4EZZZNS0_17clamp_kernel_cudaERNS_18TensorIteratorBaseERKN3c106ScalarES7_ENKUlvE_clEvENKUlvE0_clEvEUlaE_St5arrayIPcLm2EEEEviT0_T1_.uses_flat_scratch, 0
	.set _ZN2at6native29vectorized_elementwise_kernelILi4EZZZNS0_17clamp_kernel_cudaERNS_18TensorIteratorBaseERKN3c106ScalarES7_ENKUlvE_clEvENKUlvE0_clEvEUlaE_St5arrayIPcLm2EEEEviT0_T1_.has_dyn_sized_stack, 0
	.set _ZN2at6native29vectorized_elementwise_kernelILi4EZZZNS0_17clamp_kernel_cudaERNS_18TensorIteratorBaseERKN3c106ScalarES7_ENKUlvE_clEvENKUlvE0_clEvEUlaE_St5arrayIPcLm2EEEEviT0_T1_.has_recursion, 0
	.set _ZN2at6native29vectorized_elementwise_kernelILi4EZZZNS0_17clamp_kernel_cudaERNS_18TensorIteratorBaseERKN3c106ScalarES7_ENKUlvE_clEvENKUlvE0_clEvEUlaE_St5arrayIPcLm2EEEEviT0_T1_.has_indirect_call, 0
	.section	.AMDGPU.csdata,"",@progbits
; Kernel info:
; codeLenInByte = 3444
; TotalNumSgprs: 47
; NumVgprs: 21
; NumAgprs: 0
; TotalNumVgprs: 21
; ScratchSize: 0
; MemoryBound: 0
; FloatMode: 240
; IeeeMode: 1
; LDSByteSize: 0 bytes/workgroup (compile time only)
; SGPRBlocks: 5
; VGPRBlocks: 2
; NumSGPRsForWavesPerEU: 47
; NumVGPRsForWavesPerEU: 21
; AccumOffset: 24
; Occupancy: 8
; WaveLimiterHint : 1
; COMPUTE_PGM_RSRC2:SCRATCH_EN: 0
; COMPUTE_PGM_RSRC2:USER_SGPR: 2
; COMPUTE_PGM_RSRC2:TRAP_HANDLER: 0
; COMPUTE_PGM_RSRC2:TGID_X_EN: 1
; COMPUTE_PGM_RSRC2:TGID_Y_EN: 0
; COMPUTE_PGM_RSRC2:TGID_Z_EN: 0
; COMPUTE_PGM_RSRC2:TIDIG_COMP_CNT: 0
; COMPUTE_PGM_RSRC3_GFX90A:ACCUM_OFFSET: 5
; COMPUTE_PGM_RSRC3_GFX90A:TG_SPLIT: 0
	.section	.text._ZN2at6native29vectorized_elementwise_kernelILi2EZZZNS0_17clamp_kernel_cudaERNS_18TensorIteratorBaseERKN3c106ScalarES7_ENKUlvE_clEvENKUlvE0_clEvEUlaE_St5arrayIPcLm2EEEEviT0_T1_,"axG",@progbits,_ZN2at6native29vectorized_elementwise_kernelILi2EZZZNS0_17clamp_kernel_cudaERNS_18TensorIteratorBaseERKN3c106ScalarES7_ENKUlvE_clEvENKUlvE0_clEvEUlaE_St5arrayIPcLm2EEEEviT0_T1_,comdat
	.globl	_ZN2at6native29vectorized_elementwise_kernelILi2EZZZNS0_17clamp_kernel_cudaERNS_18TensorIteratorBaseERKN3c106ScalarES7_ENKUlvE_clEvENKUlvE0_clEvEUlaE_St5arrayIPcLm2EEEEviT0_T1_ ; -- Begin function _ZN2at6native29vectorized_elementwise_kernelILi2EZZZNS0_17clamp_kernel_cudaERNS_18TensorIteratorBaseERKN3c106ScalarES7_ENKUlvE_clEvENKUlvE0_clEvEUlaE_St5arrayIPcLm2EEEEviT0_T1_
	.p2align	8
	.type	_ZN2at6native29vectorized_elementwise_kernelILi2EZZZNS0_17clamp_kernel_cudaERNS_18TensorIteratorBaseERKN3c106ScalarES7_ENKUlvE_clEvENKUlvE0_clEvEUlaE_St5arrayIPcLm2EEEEviT0_T1_,@function
_ZN2at6native29vectorized_elementwise_kernelILi2EZZZNS0_17clamp_kernel_cudaERNS_18TensorIteratorBaseERKN3c106ScalarES7_ENKUlvE_clEvENKUlvE0_clEvEUlaE_St5arrayIPcLm2EEEEviT0_T1_: ; @_ZN2at6native29vectorized_elementwise_kernelILi2EZZZNS0_17clamp_kernel_cudaERNS_18TensorIteratorBaseERKN3c106ScalarES7_ENKUlvE_clEvENKUlvE0_clEvEUlaE_St5arrayIPcLm2EEEEviT0_T1_
; %bb.0:
	v_mov_b32_e32 v1, 0
	global_load_ushort v1, v1, s[0:1] offset:4
	s_load_dword s3, s[0:1], 0x0
	s_load_dwordx4 s[4:7], s[0:1], 0x8
	s_lshl_b32 s33, s2, 12
	s_mov_b64 s[8:9], -1
	s_waitcnt lgkmcnt(0)
	s_sub_i32 s38, s3, s33
	s_cmpk_gt_i32 s38, 0xfff
	s_waitcnt vmcnt(0)
	v_readfirstlane_b32 s39, v1
	s_sext_i32_i16 s40, s39
	s_cbranch_scc0 .LBB285_2
; %bb.1:
	s_bfe_i32 s2, s39, 0x80000
	s_lshr_b32 s3, s40, 8
	s_ashr_i32 s8, s33, 31
	s_add_u32 s0, s6, s33
	s_addc_u32 s1, s7, s8
	v_lshlrev_b32_e32 v1, 1, v0
	global_load_ushort v2, v1, s[0:1]
	global_load_ushort v3, v1, s[0:1] offset:512
	global_load_ushort v4, v1, s[0:1] offset:1024
	;; [unrolled: 1-line block ×7, first 2 shown]
	s_movk_i32 s9, 0xff
	s_add_u32 s0, s4, s33
	s_addc_u32 s1, s5, s8
	s_waitcnt vmcnt(7)
	v_max_i16_sdwa v10, sext(v2), s2 dst_sel:DWORD dst_unused:UNUSED_PAD src0_sel:BYTE_0 src1_sel:DWORD
	v_max_i16_sdwa v2, sext(v2), s2 dst_sel:DWORD dst_unused:UNUSED_PAD src0_sel:BYTE_1 src1_sel:DWORD
	s_waitcnt vmcnt(6)
	v_max_i16_sdwa v11, sext(v3), s2 dst_sel:DWORD dst_unused:UNUSED_PAD src0_sel:BYTE_0 src1_sel:DWORD
	v_max_i16_sdwa v3, sext(v3), s2 dst_sel:DWORD dst_unused:UNUSED_PAD src0_sel:BYTE_1 src1_sel:DWORD
	;; [unrolled: 3-line block ×8, first 2 shown]
	v_min_i16_e32 v10, s3, v10
	v_min_i16_sdwa v2, v2, s3 dst_sel:BYTE_1 dst_unused:UNUSED_PAD src0_sel:DWORD src1_sel:DWORD
	v_min_i16_e32 v11, s3, v11
	v_min_i16_sdwa v3, v3, s3 dst_sel:BYTE_1 dst_unused:UNUSED_PAD src0_sel:DWORD src1_sel:DWORD
	;; [unrolled: 2-line block ×8, first 2 shown]
	v_bitop3_b16 v2, v10, v2, s9 bitop3:0xec
	v_bitop3_b16 v9, v17, v9, s9 bitop3:0xec
	;; [unrolled: 1-line block ×8, first 2 shown]
	global_store_short v1, v2, s[0:1]
	global_store_short v1, v3, s[0:1] offset:512
	global_store_short v1, v4, s[0:1] offset:1024
	global_store_short v1, v5, s[0:1] offset:1536
	global_store_short v1, v6, s[0:1] offset:2048
	global_store_short v1, v7, s[0:1] offset:2560
	global_store_short v1, v8, s[0:1] offset:3072
	global_store_short v1, v9, s[0:1] offset:3584
	s_mov_b64 s[8:9], 0
.LBB285_2:
	s_andn2_b64 vcc, exec, s[8:9]
	s_cbranch_vccnz .LBB285_52
; %bb.3:
	v_cmp_gt_i32_e32 vcc, s38, v0
	v_or_b32_e32 v1, 0x100, v0
	v_mov_b32_e32 v20, 0
	v_or_b32_e32 v6, s33, v0
	v_mov_b32_e32 v19, 0
	v_mov_b32_e32 v18, 0
	;; [unrolled: 1-line block ×15, first 2 shown]
	s_and_saveexec_b64 s[2:3], vcc
	s_cbranch_execz .LBB285_35
; %bb.4:
	global_load_ubyte v12, v6, s[6:7]
	v_cmp_gt_u32_e64 s[0:1], s38, v1
	v_mov_b32_e32 v9, 0
	v_mov_b32_e32 v3, 0
	;; [unrolled: 1-line block ×15, first 2 shown]
	s_and_saveexec_b64 s[8:9], s[0:1]
	s_cbranch_execz .LBB285_34
; %bb.5:
	v_add_u32_e32 v2, s33, v0
	global_load_ubyte v9, v2, s[6:7] offset:256
	v_or_b32_e32 v4, 0x200, v0
	v_mov_b32_e32 v3, 0
	v_cmp_gt_u32_e64 s[0:1], s38, v4
	v_mov_b32_e32 v4, 0
	v_mov_b32_e32 v7, 0
	;; [unrolled: 1-line block ×13, first 2 shown]
	s_and_saveexec_b64 s[10:11], s[0:1]
	s_cbranch_execz .LBB285_33
; %bb.6:
	v_lshl_add_u64 v[4:5], s[6:7], 0, v[2:3]
	global_load_ubyte v2, v[4:5], off offset:512
	v_or_b32_e32 v7, 0x300, v0
	v_cmp_gt_u32_e64 s[0:1], s38, v7
	v_mov_b32_e32 v7, 0
	v_mov_b32_e32 v10, 0
	;; [unrolled: 1-line block ×12, first 2 shown]
	s_and_saveexec_b64 s[6:7], s[0:1]
	s_cbranch_execz .LBB285_32
; %bb.7:
	global_load_ubyte v3, v[4:5], off offset:768
	v_or_b32_e32 v7, 0x400, v0
	v_cmp_gt_u32_e64 s[0:1], s38, v7
	v_mov_b32_e32 v7, 0
	v_mov_b32_e32 v10, 0
	;; [unrolled: 1-line block ×12, first 2 shown]
	s_and_saveexec_b64 s[12:13], s[0:1]
	s_cbranch_execz .LBB285_31
; %bb.8:
	global_load_ubyte v7, v[4:5], off offset:1024
	v_or_b32_e32 v8, 0x500, v0
	v_cmp_gt_u32_e64 s[0:1], s38, v8
	v_mov_b32_e32 v10, 0
	v_mov_b32_e32 v8, 0
	;; [unrolled: 1-line block ×11, first 2 shown]
	s_and_saveexec_b64 s[14:15], s[0:1]
	s_cbranch_execz .LBB285_30
; %bb.9:
	global_load_ubyte v10, v[4:5], off offset:1280
	v_or_b32_e32 v8, 0x600, v0
	v_cmp_gt_u32_e64 s[0:1], s38, v8
	v_mov_b32_e32 v8, 0
	v_mov_b32_e32 v11, 0
	;; [unrolled: 1-line block ×10, first 2 shown]
	s_and_saveexec_b64 s[16:17], s[0:1]
	s_cbranch_execz .LBB285_29
; %bb.10:
	global_load_ubyte v8, v[4:5], off offset:1536
	v_or_b32_e32 v11, 0x700, v0
	v_cmp_gt_u32_e64 s[0:1], s38, v11
	v_mov_b32_e32 v11, 0
	v_mov_b32_e32 v13, 0
	;; [unrolled: 1-line block ×9, first 2 shown]
	s_and_saveexec_b64 s[18:19], s[0:1]
	s_cbranch_execz .LBB285_28
; %bb.11:
	global_load_ubyte v11, v[4:5], off offset:1792
	v_or_b32_e32 v13, 0x800, v0
	v_cmp_gt_u32_e64 s[0:1], s38, v13
	v_mov_b32_e32 v13, 0
	v_mov_b32_e32 v14, 0
	;; [unrolled: 1-line block ×8, first 2 shown]
	s_and_saveexec_b64 s[20:21], s[0:1]
	s_cbranch_execz .LBB285_27
; %bb.12:
	global_load_ubyte v13, v[4:5], off offset:2048
	v_or_b32_e32 v14, 0x900, v0
	v_cmp_gt_u32_e64 s[0:1], s38, v14
	v_mov_b32_e32 v14, 0
	v_mov_b32_e32 v15, 0
	;; [unrolled: 1-line block ×7, first 2 shown]
	s_and_saveexec_b64 s[22:23], s[0:1]
	s_cbranch_execz .LBB285_26
; %bb.13:
	global_load_ubyte v14, v[4:5], off offset:2304
	v_or_b32_e32 v15, 0xa00, v0
	v_cmp_gt_u32_e64 s[0:1], s38, v15
	v_mov_b32_e32 v15, 0
	v_mov_b32_e32 v16, 0
	;; [unrolled: 1-line block ×6, first 2 shown]
	s_and_saveexec_b64 s[24:25], s[0:1]
	s_cbranch_execz .LBB285_25
; %bb.14:
	global_load_ubyte v15, v[4:5], off offset:2560
	v_or_b32_e32 v16, 0xb00, v0
	v_cmp_gt_u32_e64 s[0:1], s38, v16
	v_mov_b32_e32 v16, 0
	v_mov_b32_e32 v17, 0
	;; [unrolled: 1-line block ×5, first 2 shown]
	s_and_saveexec_b64 s[26:27], s[0:1]
	s_cbranch_execz .LBB285_24
; %bb.15:
	global_load_ubyte v16, v[4:5], off offset:2816
	v_or_b32_e32 v17, 0xc00, v0
	v_cmp_gt_u32_e64 s[0:1], s38, v17
	v_mov_b32_e32 v17, 0
	v_mov_b32_e32 v18, 0
	;; [unrolled: 1-line block ×4, first 2 shown]
	s_and_saveexec_b64 s[28:29], s[0:1]
	s_cbranch_execz .LBB285_23
; %bb.16:
	global_load_ubyte v17, v[4:5], off offset:3072
	v_or_b32_e32 v18, 0xd00, v0
	v_cmp_gt_u32_e64 s[0:1], s38, v18
	v_mov_b32_e32 v18, 0
	v_mov_b32_e32 v19, 0
	;; [unrolled: 1-line block ×3, first 2 shown]
	s_and_saveexec_b64 s[30:31], s[0:1]
	s_cbranch_execz .LBB285_22
; %bb.17:
	global_load_ubyte v18, v[4:5], off offset:3328
	v_or_b32_e32 v19, 0xe00, v0
	v_cmp_gt_u32_e64 s[0:1], s38, v19
	v_mov_b32_e32 v19, 0
	v_mov_b32_e32 v20, 0
	s_and_saveexec_b64 s[34:35], s[0:1]
	s_cbranch_execz .LBB285_21
; %bb.18:
	global_load_ubyte v19, v[4:5], off offset:3584
	v_or_b32_e32 v20, 0xf00, v0
	v_cmp_gt_u32_e64 s[0:1], s38, v20
	v_mov_b32_e32 v20, 0
	s_and_saveexec_b64 s[36:37], s[0:1]
	s_cbranch_execz .LBB285_20
; %bb.19:
	global_load_ubyte v20, v[4:5], off offset:3840
.LBB285_20:
	s_or_b64 exec, exec, s[36:37]
.LBB285_21:
	s_or_b64 exec, exec, s[34:35]
.LBB285_22:
	s_or_b64 exec, exec, s[30:31]
.LBB285_23:
	s_or_b64 exec, exec, s[28:29]
.LBB285_24:
	s_or_b64 exec, exec, s[26:27]
.LBB285_25:
	s_or_b64 exec, exec, s[24:25]
.LBB285_26:
	s_or_b64 exec, exec, s[22:23]
.LBB285_27:
	s_or_b64 exec, exec, s[20:21]
.LBB285_28:
	s_or_b64 exec, exec, s[18:19]
.LBB285_29:
	s_or_b64 exec, exec, s[16:17]
.LBB285_30:
	s_or_b64 exec, exec, s[14:15]
.LBB285_31:
	s_or_b64 exec, exec, s[12:13]
.LBB285_32:
	s_or_b64 exec, exec, s[6:7]
	s_waitcnt vmcnt(0)
	v_mov_b32_e32 v4, v3
	v_mov_b32_e32 v3, v2
.LBB285_33:
	s_or_b64 exec, exec, s[10:11]
.LBB285_34:
	s_or_b64 exec, exec, s[8:9]
.LBB285_35:
	s_or_b64 exec, exec, s[2:3]
	s_bfe_i32 s2, s39, 0x80000
	s_lshr_b32 s3, s40, 8
	s_waitcnt vmcnt(0)
	v_max_i16_sdwa v2, sext(v12), s2 dst_sel:DWORD dst_unused:UNUSED_PAD src0_sel:BYTE_0 src1_sel:DWORD
	v_min_i16_e32 v2, s3, v2
	s_mov_b32 s7, 0xffff
	v_and_b32_sdwa v2, s7, v2 dst_sel:DWORD dst_unused:UNUSED_PAD src0_sel:DWORD src1_sel:BYTE_0
	v_max_i16_sdwa v5, sext(v9), s2 dst_sel:DWORD dst_unused:UNUSED_PAD src0_sel:BYTE_0 src1_sel:DWORD
	v_cndmask_b32_e32 v2, 0, v2, vcc
	v_min_i16_sdwa v5, v5, s3 dst_sel:BYTE_1 dst_unused:UNUSED_PAD src0_sel:DWORD src1_sel:DWORD
	v_cmp_gt_i32_e64 s[0:1], s38, v1
	v_or_b32_e32 v5, v2, v5
	v_and_b32_e32 v5, 0xffff, v5
	v_max_i16_sdwa v3, sext(v3), s2 dst_sel:DWORD dst_unused:UNUSED_PAD src0_sel:BYTE_0 src1_sel:DWORD
	v_cndmask_b32_e64 v2, v2, v5, s[0:1]
	v_min_i16_e32 v3, s3, v3
	s_mov_b32 s8, 0xc0c0304
	v_or_b32_e32 v5, 0x200, v0
	v_perm_b32 v3, v3, v2, s8
	v_lshl_or_b32 v3, v3, 16, v2
	v_cmp_gt_i32_e64 s[0:1], s38, v5
	v_max_i16_sdwa v4, sext(v4), s2 dst_sel:DWORD dst_unused:UNUSED_PAD src0_sel:BYTE_0 src1_sel:DWORD
	s_movk_i32 s6, 0xff
	v_cndmask_b32_e64 v2, v2, v3, s[0:1]
	v_lshrrev_b32_e32 v3, 16, v2
	v_min_i16_sdwa v4, v4, s3 dst_sel:BYTE_1 dst_unused:UNUSED_PAD src0_sel:DWORD src1_sel:DWORD
	v_or_b32_e32 v5, 0x300, v0
	v_bitop3_b16 v3, v3, v4, s6 bitop3:0xec
	v_lshlrev_b32_e32 v3, 16, v3
	v_and_or_b32 v3, v2, s7, v3
	v_cmp_gt_i32_e64 s[0:1], s38, v5
	s_mov_b32 s9, 0x3020104
	s_mov_b32 s10, 0xffff0000
	v_cndmask_b32_e64 v5, v2, v3, s[0:1]
	v_max_i16_sdwa v2, sext(v7), s2 dst_sel:DWORD dst_unused:UNUSED_PAD src0_sel:BYTE_0 src1_sel:DWORD
	v_min_i16_e32 v2, s3, v2
	v_or_b32_e32 v3, 0x400, v0
	v_perm_b32 v2, v2, 0, s9
	v_cmp_gt_i32_e64 s[0:1], s38, v3
	v_max_i16_sdwa v3, sext(v10), s2 dst_sel:DWORD dst_unused:UNUSED_PAD src0_sel:BYTE_0 src1_sel:DWORD
	v_min_i16_sdwa v3, v3, s3 dst_sel:BYTE_1 dst_unused:UNUSED_PAD src0_sel:DWORD src1_sel:DWORD
	v_cndmask_b32_e64 v2, 0, v2, s[0:1]
	v_bitop3_b16 v3, v2, v3, s6 bitop3:0xec
	v_and_b32_e32 v3, 0xffff, v3
	v_or_b32_e32 v4, 0x500, v0
	v_and_or_b32 v3, v2, s10, v3
	v_cmp_gt_i32_e64 s[0:1], s38, v4
	v_max_i16_sdwa v4, sext(v8), s2 dst_sel:DWORD dst_unused:UNUSED_PAD src0_sel:BYTE_0 src1_sel:DWORD
	v_min_i16_e32 v4, s3, v4
	v_cndmask_b32_e64 v2, v2, v3, s[0:1]
	v_or_b32_e32 v3, 0x600, v0
	s_mov_b32 s11, 0x7000504
	v_perm_b32 v4, v2, v4, s11
	v_cmp_gt_i32_e64 s[0:1], s38, v3
	v_max_i16_sdwa v7, sext(v11), s2 dst_sel:DWORD dst_unused:UNUSED_PAD src0_sel:BYTE_0 src1_sel:DWORD
	v_min_i16_sdwa v7, v7, s3 dst_sel:BYTE_1 dst_unused:UNUSED_PAD src0_sel:DWORD src1_sel:DWORD
	v_cndmask_b32_e64 v2, v2, v4, s[0:1]
	v_lshrrev_b32_e32 v3, 16, v2
	v_bitop3_b16 v3, v3, v7, s6 bitop3:0xec
	v_or_b32_e32 v4, 0x700, v0
	v_lshlrev_b32_e32 v3, 16, v3
	v_and_or_b32 v3, v2, s7, v3
	v_cmp_gt_i32_e64 s[0:1], s38, v4
	v_max_i16_sdwa v7, sext(v14), s2 dst_sel:DWORD dst_unused:UNUSED_PAD src0_sel:BYTE_0 src1_sel:DWORD
	v_min_i16_sdwa v7, v7, s3 dst_sel:BYTE_1 dst_unused:UNUSED_PAD src0_sel:DWORD src1_sel:DWORD
	v_cndmask_b32_e64 v4, v2, v3, s[0:1]
	v_max_i16_sdwa v3, sext(v13), s2 dst_sel:DWORD dst_unused:UNUSED_PAD src0_sel:BYTE_0 src1_sel:DWORD
	v_or_b32_e32 v2, 0x800, v0
	v_min_i16_e32 v3, s3, v3
	v_and_b32_sdwa v3, s7, v3 dst_sel:DWORD dst_unused:UNUSED_PAD src0_sel:DWORD src1_sel:BYTE_0
	v_cmp_gt_i32_e64 s[0:1], s38, v2
	v_max_i16_sdwa v8, sext(v16), s2 dst_sel:DWORD dst_unused:UNUSED_PAD src0_sel:BYTE_0 src1_sel:DWORD
	v_min_i16_sdwa v8, v8, s3 dst_sel:BYTE_1 dst_unused:UNUSED_PAD src0_sel:DWORD src1_sel:DWORD
	v_cndmask_b32_e64 v2, 0, v3, s[0:1]
	v_or_b32_e32 v3, 0x900, v0
	v_or_b32_e32 v7, v2, v7
	v_and_b32_e32 v7, 0xffff, v7
	v_cmp_gt_i32_e64 s[0:1], s38, v3
	v_or_b32_e32 v3, 0xa00, v0
	v_max_i16_sdwa v9, sext(v20), s2 dst_sel:DWORD dst_unused:UNUSED_PAD src0_sel:BYTE_0 src1_sel:DWORD
	v_cndmask_b32_e64 v2, v2, v7, s[0:1]
	v_max_i16_sdwa v7, sext(v15), s2 dst_sel:DWORD dst_unused:UNUSED_PAD src0_sel:BYTE_0 src1_sel:DWORD
	v_min_i16_e32 v7, s3, v7
	v_perm_b32 v7, v7, v2, s8
	v_lshl_or_b32 v7, v7, 16, v2
	v_cmp_gt_i32_e64 s[0:1], s38, v3
	v_min_i16_sdwa v9, v9, s3 dst_sel:BYTE_1 dst_unused:UNUSED_PAD src0_sel:DWORD src1_sel:DWORD
	s_nop 0
	v_cndmask_b32_e64 v2, v2, v7, s[0:1]
	v_lshrrev_b32_e32 v3, 16, v2
	v_bitop3_b16 v3, v3, v8, s6 bitop3:0xec
	v_or_b32_e32 v7, 0xb00, v0
	v_lshlrev_b32_e32 v3, 16, v3
	v_and_or_b32 v3, v2, s7, v3
	v_cmp_gt_i32_e64 s[0:1], s38, v7
	v_or_b32_e32 v7, 0xc00, v0
	v_or_b32_e32 v8, 0xd00, v0
	v_cndmask_b32_e64 v3, v2, v3, s[0:1]
	v_max_i16_sdwa v2, sext(v17), s2 dst_sel:DWORD dst_unused:UNUSED_PAD src0_sel:BYTE_0 src1_sel:DWORD
	v_min_i16_e32 v2, s3, v2
	v_perm_b32 v2, v2, 0, s9
	v_cmp_gt_i32_e64 s[0:1], s38, v7
	v_max_i16_sdwa v7, sext(v18), s2 dst_sel:DWORD dst_unused:UNUSED_PAD src0_sel:BYTE_0 src1_sel:DWORD
	v_min_i16_sdwa v7, v7, s3 dst_sel:BYTE_1 dst_unused:UNUSED_PAD src0_sel:DWORD src1_sel:DWORD
	v_cndmask_b32_e64 v2, 0, v2, s[0:1]
	v_bitop3_b16 v7, v2, v7, s6 bitop3:0xec
	v_and_b32_e32 v7, 0xffff, v7
	v_and_or_b32 v7, v2, s10, v7
	v_cmp_gt_i32_e64 s[0:1], s38, v8
	v_max_i16_sdwa v8, sext(v19), s2 dst_sel:DWORD dst_unused:UNUSED_PAD src0_sel:BYTE_0 src1_sel:DWORD
	v_min_i16_e32 v8, s3, v8
	v_cndmask_b32_e64 v2, v2, v7, s[0:1]
	v_or_b32_e32 v7, 0xe00, v0
	v_perm_b32 v8, v2, v8, s11
	v_cmp_gt_i32_e64 s[0:1], s38, v7
	s_nop 1
	v_cndmask_b32_e64 v2, v2, v8, s[0:1]
	v_lshrrev_b32_e32 v7, 16, v2
	v_bitop3_b16 v7, v7, v9, s6 bitop3:0xec
	v_or_b32_e32 v8, 0xf00, v0
	v_lshlrev_b32_e32 v7, 16, v7
	v_and_or_b32 v7, v2, s7, v7
	v_cmp_gt_i32_e64 s[0:1], s38, v8
	s_nop 1
	v_cndmask_b32_e64 v2, v2, v7, s[0:1]
	s_and_saveexec_b64 s[0:1], vcc
	s_cbranch_execnz .LBB285_53
; %bb.36:
	s_or_b64 exec, exec, s[0:1]
	v_cmp_gt_i32_e32 vcc, s38, v0
	s_and_saveexec_b64 s[0:1], vcc
	s_cbranch_execnz .LBB285_54
.LBB285_37:
	s_or_b64 exec, exec, s[0:1]
	v_cmp_gt_i32_e32 vcc, s38, v0
	s_and_saveexec_b64 s[0:1], vcc
	s_cbranch_execnz .LBB285_55
.LBB285_38:
	s_or_b64 exec, exec, s[0:1]
	v_cmp_gt_i32_e32 vcc, s38, v0
	s_and_saveexec_b64 s[0:1], vcc
	s_cbranch_execnz .LBB285_56
.LBB285_39:
	s_or_b64 exec, exec, s[0:1]
	v_cmp_gt_i32_e32 vcc, s38, v0
	s_and_saveexec_b64 s[0:1], vcc
	s_cbranch_execnz .LBB285_57
.LBB285_40:
	s_or_b64 exec, exec, s[0:1]
	v_cmp_gt_i32_e32 vcc, s38, v0
	s_and_saveexec_b64 s[0:1], vcc
	s_cbranch_execnz .LBB285_58
.LBB285_41:
	s_or_b64 exec, exec, s[0:1]
	v_cmp_gt_i32_e32 vcc, s38, v0
	s_and_saveexec_b64 s[0:1], vcc
	s_cbranch_execnz .LBB285_59
.LBB285_42:
	s_or_b64 exec, exec, s[0:1]
	v_cmp_gt_i32_e32 vcc, s38, v0
	s_and_saveexec_b64 s[0:1], vcc
	s_cbranch_execnz .LBB285_60
.LBB285_43:
	s_or_b64 exec, exec, s[0:1]
	v_cmp_gt_i32_e32 vcc, s38, v0
	s_and_saveexec_b64 s[0:1], vcc
	s_cbranch_execnz .LBB285_61
.LBB285_44:
	s_or_b64 exec, exec, s[0:1]
	v_cmp_gt_i32_e32 vcc, s38, v0
	s_and_saveexec_b64 s[0:1], vcc
	s_cbranch_execnz .LBB285_62
.LBB285_45:
	s_or_b64 exec, exec, s[0:1]
	v_cmp_gt_i32_e32 vcc, s38, v0
	s_and_saveexec_b64 s[0:1], vcc
	s_cbranch_execnz .LBB285_63
.LBB285_46:
	s_or_b64 exec, exec, s[0:1]
	v_cmp_gt_i32_e32 vcc, s38, v0
	s_and_saveexec_b64 s[0:1], vcc
	s_cbranch_execnz .LBB285_64
.LBB285_47:
	s_or_b64 exec, exec, s[0:1]
	v_cmp_gt_i32_e32 vcc, s38, v0
	s_and_saveexec_b64 s[0:1], vcc
	s_cbranch_execnz .LBB285_65
.LBB285_48:
	s_or_b64 exec, exec, s[0:1]
	v_cmp_gt_i32_e32 vcc, s38, v0
	s_and_saveexec_b64 s[0:1], vcc
	s_cbranch_execnz .LBB285_66
.LBB285_49:
	s_or_b64 exec, exec, s[0:1]
	v_cmp_gt_i32_e32 vcc, s38, v0
	s_and_saveexec_b64 s[0:1], vcc
	s_cbranch_execnz .LBB285_67
.LBB285_50:
	s_or_b64 exec, exec, s[0:1]
	v_cmp_gt_i32_e32 vcc, s38, v0
	s_and_saveexec_b64 s[0:1], vcc
	s_cbranch_execz .LBB285_52
.LBB285_51:
	v_lshrrev_b32_e32 v1, 24, v2
	v_add_u32_e32 v0, s33, v0
	global_store_byte v0, v1, s[4:5]
.LBB285_52:
	s_endpgm
.LBB285_53:
	v_mov_b32_e32 v0, v1
	global_store_byte v6, v5, s[4:5]
	s_or_b64 exec, exec, s[0:1]
	v_cmp_gt_i32_e32 vcc, s38, v0
	s_and_saveexec_b64 s[0:1], vcc
	s_cbranch_execz .LBB285_37
.LBB285_54:
	v_lshrrev_b32_e32 v1, 8, v5
	v_add_u32_e32 v6, s33, v0
	v_add_u32_e32 v0, 0x100, v0
	global_store_byte v6, v1, s[4:5]
	s_or_b64 exec, exec, s[0:1]
	v_cmp_gt_i32_e32 vcc, s38, v0
	s_and_saveexec_b64 s[0:1], vcc
	s_cbranch_execz .LBB285_38
.LBB285_55:
	v_add_u32_e32 v1, s33, v0
	v_add_u32_e32 v0, 0x100, v0
	global_store_byte_d16_hi v1, v5, s[4:5]
	s_or_b64 exec, exec, s[0:1]
	v_cmp_gt_i32_e32 vcc, s38, v0
	s_and_saveexec_b64 s[0:1], vcc
	s_cbranch_execz .LBB285_39
.LBB285_56:
	v_lshrrev_b32_e32 v1, 24, v5
	v_add_u32_e32 v5, s33, v0
	v_add_u32_e32 v0, 0x100, v0
	global_store_byte v5, v1, s[4:5]
	s_or_b64 exec, exec, s[0:1]
	v_cmp_gt_i32_e32 vcc, s38, v0
	s_and_saveexec_b64 s[0:1], vcc
	s_cbranch_execz .LBB285_40
.LBB285_57:
	v_add_u32_e32 v1, s33, v0
	v_add_u32_e32 v0, 0x100, v0
	global_store_byte v1, v4, s[4:5]
	s_or_b64 exec, exec, s[0:1]
	v_cmp_gt_i32_e32 vcc, s38, v0
	s_and_saveexec_b64 s[0:1], vcc
	s_cbranch_execz .LBB285_41
.LBB285_58:
	v_lshrrev_b32_e32 v1, 8, v4
	v_add_u32_e32 v5, s33, v0
	v_add_u32_e32 v0, 0x100, v0
	global_store_byte v5, v1, s[4:5]
	s_or_b64 exec, exec, s[0:1]
	v_cmp_gt_i32_e32 vcc, s38, v0
	s_and_saveexec_b64 s[0:1], vcc
	s_cbranch_execz .LBB285_42
.LBB285_59:
	v_add_u32_e32 v1, s33, v0
	v_add_u32_e32 v0, 0x100, v0
	global_store_byte_d16_hi v1, v4, s[4:5]
	s_or_b64 exec, exec, s[0:1]
	v_cmp_gt_i32_e32 vcc, s38, v0
	s_and_saveexec_b64 s[0:1], vcc
	s_cbranch_execz .LBB285_43
.LBB285_60:
	v_lshrrev_b32_e32 v1, 24, v4
	v_add_u32_e32 v4, s33, v0
	v_add_u32_e32 v0, 0x100, v0
	global_store_byte v4, v1, s[4:5]
	s_or_b64 exec, exec, s[0:1]
	v_cmp_gt_i32_e32 vcc, s38, v0
	s_and_saveexec_b64 s[0:1], vcc
	s_cbranch_execz .LBB285_44
.LBB285_61:
	v_add_u32_e32 v1, s33, v0
	v_add_u32_e32 v0, 0x100, v0
	global_store_byte v1, v3, s[4:5]
	s_or_b64 exec, exec, s[0:1]
	v_cmp_gt_i32_e32 vcc, s38, v0
	s_and_saveexec_b64 s[0:1], vcc
	s_cbranch_execz .LBB285_45
.LBB285_62:
	v_lshrrev_b32_e32 v1, 8, v3
	v_add_u32_e32 v4, s33, v0
	v_add_u32_e32 v0, 0x100, v0
	global_store_byte v4, v1, s[4:5]
	s_or_b64 exec, exec, s[0:1]
	v_cmp_gt_i32_e32 vcc, s38, v0
	s_and_saveexec_b64 s[0:1], vcc
	s_cbranch_execz .LBB285_46
.LBB285_63:
	v_add_u32_e32 v1, s33, v0
	v_add_u32_e32 v0, 0x100, v0
	global_store_byte_d16_hi v1, v3, s[4:5]
	s_or_b64 exec, exec, s[0:1]
	v_cmp_gt_i32_e32 vcc, s38, v0
	s_and_saveexec_b64 s[0:1], vcc
	s_cbranch_execz .LBB285_47
.LBB285_64:
	v_lshrrev_b32_e32 v1, 24, v3
	v_add_u32_e32 v3, s33, v0
	v_add_u32_e32 v0, 0x100, v0
	global_store_byte v3, v1, s[4:5]
	s_or_b64 exec, exec, s[0:1]
	v_cmp_gt_i32_e32 vcc, s38, v0
	s_and_saveexec_b64 s[0:1], vcc
	s_cbranch_execz .LBB285_48
.LBB285_65:
	v_add_u32_e32 v1, s33, v0
	v_add_u32_e32 v0, 0x100, v0
	global_store_byte v1, v2, s[4:5]
	s_or_b64 exec, exec, s[0:1]
	v_cmp_gt_i32_e32 vcc, s38, v0
	s_and_saveexec_b64 s[0:1], vcc
	s_cbranch_execz .LBB285_49
.LBB285_66:
	v_lshrrev_b32_e32 v1, 8, v2
	v_add_u32_e32 v3, s33, v0
	v_add_u32_e32 v0, 0x100, v0
	global_store_byte v3, v1, s[4:5]
	s_or_b64 exec, exec, s[0:1]
	v_cmp_gt_i32_e32 vcc, s38, v0
	s_and_saveexec_b64 s[0:1], vcc
	s_cbranch_execz .LBB285_50
.LBB285_67:
	v_add_u32_e32 v1, s33, v0
	v_add_u32_e32 v0, 0x100, v0
	global_store_byte_d16_hi v1, v2, s[4:5]
	s_or_b64 exec, exec, s[0:1]
	v_cmp_gt_i32_e32 vcc, s38, v0
	s_and_saveexec_b64 s[0:1], vcc
	s_cbranch_execnz .LBB285_51
	s_branch .LBB285_52
	.section	.rodata,"a",@progbits
	.p2align	6, 0x0
	.amdhsa_kernel _ZN2at6native29vectorized_elementwise_kernelILi2EZZZNS0_17clamp_kernel_cudaERNS_18TensorIteratorBaseERKN3c106ScalarES7_ENKUlvE_clEvENKUlvE0_clEvEUlaE_St5arrayIPcLm2EEEEviT0_T1_
		.amdhsa_group_segment_fixed_size 0
		.amdhsa_private_segment_fixed_size 0
		.amdhsa_kernarg_size 24
		.amdhsa_user_sgpr_count 2
		.amdhsa_user_sgpr_dispatch_ptr 0
		.amdhsa_user_sgpr_queue_ptr 0
		.amdhsa_user_sgpr_kernarg_segment_ptr 1
		.amdhsa_user_sgpr_dispatch_id 0
		.amdhsa_user_sgpr_kernarg_preload_length 0
		.amdhsa_user_sgpr_kernarg_preload_offset 0
		.amdhsa_user_sgpr_private_segment_size 0
		.amdhsa_uses_dynamic_stack 0
		.amdhsa_enable_private_segment 0
		.amdhsa_system_sgpr_workgroup_id_x 1
		.amdhsa_system_sgpr_workgroup_id_y 0
		.amdhsa_system_sgpr_workgroup_id_z 0
		.amdhsa_system_sgpr_workgroup_info 0
		.amdhsa_system_vgpr_workitem_id 0
		.amdhsa_next_free_vgpr 21
		.amdhsa_next_free_sgpr 41
		.amdhsa_accum_offset 24
		.amdhsa_reserve_vcc 1
		.amdhsa_float_round_mode_32 0
		.amdhsa_float_round_mode_16_64 0
		.amdhsa_float_denorm_mode_32 3
		.amdhsa_float_denorm_mode_16_64 3
		.amdhsa_dx10_clamp 1
		.amdhsa_ieee_mode 1
		.amdhsa_fp16_overflow 0
		.amdhsa_tg_split 0
		.amdhsa_exception_fp_ieee_invalid_op 0
		.amdhsa_exception_fp_denorm_src 0
		.amdhsa_exception_fp_ieee_div_zero 0
		.amdhsa_exception_fp_ieee_overflow 0
		.amdhsa_exception_fp_ieee_underflow 0
		.amdhsa_exception_fp_ieee_inexact 0
		.amdhsa_exception_int_div_zero 0
	.end_amdhsa_kernel
	.section	.text._ZN2at6native29vectorized_elementwise_kernelILi2EZZZNS0_17clamp_kernel_cudaERNS_18TensorIteratorBaseERKN3c106ScalarES7_ENKUlvE_clEvENKUlvE0_clEvEUlaE_St5arrayIPcLm2EEEEviT0_T1_,"axG",@progbits,_ZN2at6native29vectorized_elementwise_kernelILi2EZZZNS0_17clamp_kernel_cudaERNS_18TensorIteratorBaseERKN3c106ScalarES7_ENKUlvE_clEvENKUlvE0_clEvEUlaE_St5arrayIPcLm2EEEEviT0_T1_,comdat
.Lfunc_end285:
	.size	_ZN2at6native29vectorized_elementwise_kernelILi2EZZZNS0_17clamp_kernel_cudaERNS_18TensorIteratorBaseERKN3c106ScalarES7_ENKUlvE_clEvENKUlvE0_clEvEUlaE_St5arrayIPcLm2EEEEviT0_T1_, .Lfunc_end285-_ZN2at6native29vectorized_elementwise_kernelILi2EZZZNS0_17clamp_kernel_cudaERNS_18TensorIteratorBaseERKN3c106ScalarES7_ENKUlvE_clEvENKUlvE0_clEvEUlaE_St5arrayIPcLm2EEEEviT0_T1_
                                        ; -- End function
	.set _ZN2at6native29vectorized_elementwise_kernelILi2EZZZNS0_17clamp_kernel_cudaERNS_18TensorIteratorBaseERKN3c106ScalarES7_ENKUlvE_clEvENKUlvE0_clEvEUlaE_St5arrayIPcLm2EEEEviT0_T1_.num_vgpr, 21
	.set _ZN2at6native29vectorized_elementwise_kernelILi2EZZZNS0_17clamp_kernel_cudaERNS_18TensorIteratorBaseERKN3c106ScalarES7_ENKUlvE_clEvENKUlvE0_clEvEUlaE_St5arrayIPcLm2EEEEviT0_T1_.num_agpr, 0
	.set _ZN2at6native29vectorized_elementwise_kernelILi2EZZZNS0_17clamp_kernel_cudaERNS_18TensorIteratorBaseERKN3c106ScalarES7_ENKUlvE_clEvENKUlvE0_clEvEUlaE_St5arrayIPcLm2EEEEviT0_T1_.numbered_sgpr, 41
	.set _ZN2at6native29vectorized_elementwise_kernelILi2EZZZNS0_17clamp_kernel_cudaERNS_18TensorIteratorBaseERKN3c106ScalarES7_ENKUlvE_clEvENKUlvE0_clEvEUlaE_St5arrayIPcLm2EEEEviT0_T1_.num_named_barrier, 0
	.set _ZN2at6native29vectorized_elementwise_kernelILi2EZZZNS0_17clamp_kernel_cudaERNS_18TensorIteratorBaseERKN3c106ScalarES7_ENKUlvE_clEvENKUlvE0_clEvEUlaE_St5arrayIPcLm2EEEEviT0_T1_.private_seg_size, 0
	.set _ZN2at6native29vectorized_elementwise_kernelILi2EZZZNS0_17clamp_kernel_cudaERNS_18TensorIteratorBaseERKN3c106ScalarES7_ENKUlvE_clEvENKUlvE0_clEvEUlaE_St5arrayIPcLm2EEEEviT0_T1_.uses_vcc, 1
	.set _ZN2at6native29vectorized_elementwise_kernelILi2EZZZNS0_17clamp_kernel_cudaERNS_18TensorIteratorBaseERKN3c106ScalarES7_ENKUlvE_clEvENKUlvE0_clEvEUlaE_St5arrayIPcLm2EEEEviT0_T1_.uses_flat_scratch, 0
	.set _ZN2at6native29vectorized_elementwise_kernelILi2EZZZNS0_17clamp_kernel_cudaERNS_18TensorIteratorBaseERKN3c106ScalarES7_ENKUlvE_clEvENKUlvE0_clEvEUlaE_St5arrayIPcLm2EEEEviT0_T1_.has_dyn_sized_stack, 0
	.set _ZN2at6native29vectorized_elementwise_kernelILi2EZZZNS0_17clamp_kernel_cudaERNS_18TensorIteratorBaseERKN3c106ScalarES7_ENKUlvE_clEvENKUlvE0_clEvEUlaE_St5arrayIPcLm2EEEEviT0_T1_.has_recursion, 0
	.set _ZN2at6native29vectorized_elementwise_kernelILi2EZZZNS0_17clamp_kernel_cudaERNS_18TensorIteratorBaseERKN3c106ScalarES7_ENKUlvE_clEvENKUlvE0_clEvEUlaE_St5arrayIPcLm2EEEEviT0_T1_.has_indirect_call, 0
	.section	.AMDGPU.csdata,"",@progbits
; Kernel info:
; codeLenInByte = 3428
; TotalNumSgprs: 47
; NumVgprs: 21
; NumAgprs: 0
; TotalNumVgprs: 21
; ScratchSize: 0
; MemoryBound: 0
; FloatMode: 240
; IeeeMode: 1
; LDSByteSize: 0 bytes/workgroup (compile time only)
; SGPRBlocks: 5
; VGPRBlocks: 2
; NumSGPRsForWavesPerEU: 47
; NumVGPRsForWavesPerEU: 21
; AccumOffset: 24
; Occupancy: 8
; WaveLimiterHint : 1
; COMPUTE_PGM_RSRC2:SCRATCH_EN: 0
; COMPUTE_PGM_RSRC2:USER_SGPR: 2
; COMPUTE_PGM_RSRC2:TRAP_HANDLER: 0
; COMPUTE_PGM_RSRC2:TGID_X_EN: 1
; COMPUTE_PGM_RSRC2:TGID_Y_EN: 0
; COMPUTE_PGM_RSRC2:TGID_Z_EN: 0
; COMPUTE_PGM_RSRC2:TIDIG_COMP_CNT: 0
; COMPUTE_PGM_RSRC3_GFX90A:ACCUM_OFFSET: 5
; COMPUTE_PGM_RSRC3_GFX90A:TG_SPLIT: 0
	.section	.text._ZN2at6native27unrolled_elementwise_kernelIZZZNS0_17clamp_kernel_cudaERNS_18TensorIteratorBaseERKN3c106ScalarES7_ENKUlvE_clEvENKUlvE0_clEvEUlaE_St5arrayIPcLm2EELi4E23TrivialOffsetCalculatorILi1EjESF_NS0_6memory15LoadWithoutCastENSG_16StoreWithoutCastEEEviT_T0_T2_T3_T4_T5_,"axG",@progbits,_ZN2at6native27unrolled_elementwise_kernelIZZZNS0_17clamp_kernel_cudaERNS_18TensorIteratorBaseERKN3c106ScalarES7_ENKUlvE_clEvENKUlvE0_clEvEUlaE_St5arrayIPcLm2EELi4E23TrivialOffsetCalculatorILi1EjESF_NS0_6memory15LoadWithoutCastENSG_16StoreWithoutCastEEEviT_T0_T2_T3_T4_T5_,comdat
	.globl	_ZN2at6native27unrolled_elementwise_kernelIZZZNS0_17clamp_kernel_cudaERNS_18TensorIteratorBaseERKN3c106ScalarES7_ENKUlvE_clEvENKUlvE0_clEvEUlaE_St5arrayIPcLm2EELi4E23TrivialOffsetCalculatorILi1EjESF_NS0_6memory15LoadWithoutCastENSG_16StoreWithoutCastEEEviT_T0_T2_T3_T4_T5_ ; -- Begin function _ZN2at6native27unrolled_elementwise_kernelIZZZNS0_17clamp_kernel_cudaERNS_18TensorIteratorBaseERKN3c106ScalarES7_ENKUlvE_clEvENKUlvE0_clEvEUlaE_St5arrayIPcLm2EELi4E23TrivialOffsetCalculatorILi1EjESF_NS0_6memory15LoadWithoutCastENSG_16StoreWithoutCastEEEviT_T0_T2_T3_T4_T5_
	.p2align	8
	.type	_ZN2at6native27unrolled_elementwise_kernelIZZZNS0_17clamp_kernel_cudaERNS_18TensorIteratorBaseERKN3c106ScalarES7_ENKUlvE_clEvENKUlvE0_clEvEUlaE_St5arrayIPcLm2EELi4E23TrivialOffsetCalculatorILi1EjESF_NS0_6memory15LoadWithoutCastENSG_16StoreWithoutCastEEEviT_T0_T2_T3_T4_T5_,@function
_ZN2at6native27unrolled_elementwise_kernelIZZZNS0_17clamp_kernel_cudaERNS_18TensorIteratorBaseERKN3c106ScalarES7_ENKUlvE_clEvENKUlvE0_clEvEUlaE_St5arrayIPcLm2EELi4E23TrivialOffsetCalculatorILi1EjESF_NS0_6memory15LoadWithoutCastENSG_16StoreWithoutCastEEEviT_T0_T2_T3_T4_T5_: ; @_ZN2at6native27unrolled_elementwise_kernelIZZZNS0_17clamp_kernel_cudaERNS_18TensorIteratorBaseERKN3c106ScalarES7_ENKUlvE_clEvENKUlvE0_clEvEUlaE_St5arrayIPcLm2EELi4E23TrivialOffsetCalculatorILi1EjESF_NS0_6memory15LoadWithoutCastENSG_16StoreWithoutCastEEEviT_T0_T2_T3_T4_T5_
; %bb.0:
	v_mov_b32_e32 v4, 0
	global_load_ushort v3, v4, s[0:1] offset:4
	s_load_dword s3, s[0:1], 0x0
	s_load_dwordx4 s[4:7], s[0:1], 0x8
	s_lshl_b32 s14, s2, 10
	v_or_b32_e32 v1, 0x100, v0
	v_or_b32_e32 v2, s14, v0
	s_waitcnt lgkmcnt(0)
	s_sub_i32 s15, s3, s14
	v_cmp_gt_i32_e32 vcc, s15, v0
	v_mov_b32_e32 v5, 0
	v_mov_b32_e32 v6, 0
	;; [unrolled: 1-line block ×3, first 2 shown]
	s_and_saveexec_b64 s[2:3], vcc
	s_cbranch_execz .LBB286_8
; %bb.1:
	global_load_ubyte v7, v2, s[6:7]
	v_cmp_gt_u32_e64 s[0:1], s15, v1
	v_mov_b32_e32 v6, 0
	v_mov_b32_e32 v5, 0
	;; [unrolled: 1-line block ×3, first 2 shown]
	s_and_saveexec_b64 s[8:9], s[0:1]
	s_cbranch_execz .LBB286_7
; %bb.2:
	v_add_u32_e32 v4, s14, v1
	global_load_ubyte v6, v4, s[6:7]
	v_or_b32_e32 v8, 0x200, v0
	v_cmp_gt_u32_e64 s[0:1], s15, v8
	v_mov_b32_e32 v5, 0
	v_mov_b32_e32 v4, 0
	s_and_saveexec_b64 s[10:11], s[0:1]
	s_cbranch_execz .LBB286_6
; %bb.3:
	v_add_u32_e32 v4, s14, v8
	global_load_ubyte v5, v4, s[6:7]
	v_or_b32_e32 v8, 0x300, v0
	v_cmp_gt_u32_e64 s[0:1], s15, v8
	v_mov_b32_e32 v4, 0
	s_and_saveexec_b64 s[12:13], s[0:1]
	s_cbranch_execz .LBB286_5
; %bb.4:
	v_add_u32_e32 v4, s14, v8
	global_load_ubyte v4, v4, s[6:7]
.LBB286_5:
	s_or_b64 exec, exec, s[12:13]
.LBB286_6:
	s_or_b64 exec, exec, s[10:11]
.LBB286_7:
	s_or_b64 exec, exec, s[8:9]
.LBB286_8:
	s_or_b64 exec, exec, s[2:3]
	v_mov_b32_e32 v8, 8
	s_waitcnt vmcnt(0)
	v_lshrrev_b32_sdwa v8, v8, sext(v3) dst_sel:DWORD dst_unused:UNUSED_PAD src0_sel:DWORD src1_sel:WORD_0
	v_max_i16_sdwa v7, sext(v7), sext(v3) dst_sel:DWORD dst_unused:UNUSED_PAD src0_sel:BYTE_0 src1_sel:BYTE_0
	v_min_i16_e32 v7, v7, v8
	s_mov_b32 s3, 0xffff
	v_and_b32_sdwa v7, s3, v7 dst_sel:DWORD dst_unused:UNUSED_PAD src0_sel:DWORD src1_sel:BYTE_0
	v_max_i16_sdwa v6, sext(v6), sext(v3) dst_sel:DWORD dst_unused:UNUSED_PAD src0_sel:BYTE_0 src1_sel:BYTE_0
	v_cndmask_b32_e32 v7, 0, v7, vcc
	v_min_i16_sdwa v6, v6, v8 dst_sel:BYTE_1 dst_unused:UNUSED_PAD src0_sel:DWORD src1_sel:DWORD
	v_cmp_gt_i32_e64 s[0:1], s15, v1
	v_or_b32_e32 v6, v7, v6
	v_and_b32_e32 v6, 0xffff, v6
	v_max_i16_sdwa v5, sext(v5), sext(v3) dst_sel:DWORD dst_unused:UNUSED_PAD src0_sel:BYTE_0 src1_sel:BYTE_0
	v_cndmask_b32_e64 v6, v7, v6, s[0:1]
	v_min_i16_e32 v5, v5, v8
	s_mov_b32 s0, 0xc0c0304
	v_or_b32_e32 v7, 0x200, v0
	v_perm_b32 v5, v5, v6, s0
	v_lshl_or_b32 v5, v5, 16, v6
	v_cmp_gt_i32_e64 s[0:1], s15, v7
	v_max_i16_sdwa v3, sext(v4), sext(v3) dst_sel:DWORD dst_unused:UNUSED_PAD src0_sel:BYTE_0 src1_sel:BYTE_0
	s_movk_i32 s2, 0xff
	v_cndmask_b32_e64 v5, v6, v5, s[0:1]
	v_lshrrev_b32_e32 v6, 16, v5
	v_min_i16_sdwa v3, v3, v8 dst_sel:BYTE_1 dst_unused:UNUSED_PAD src0_sel:DWORD src1_sel:DWORD
	v_or_b32_e32 v7, 0x300, v0
	v_bitop3_b16 v3, v6, v3, s2 bitop3:0xec
	v_lshlrev_b32_e32 v3, 16, v3
	v_and_or_b32 v3, v5, s3, v3
	v_cmp_gt_i32_e64 s[0:1], s15, v7
	s_nop 1
	v_cndmask_b32_e64 v3, v5, v3, s[0:1]
	s_and_saveexec_b64 s[0:1], vcc
	s_cbranch_execnz .LBB286_13
; %bb.9:
	s_or_b64 exec, exec, s[0:1]
	v_cmp_gt_i32_e32 vcc, s15, v0
	s_and_saveexec_b64 s[0:1], vcc
	s_cbranch_execnz .LBB286_14
.LBB286_10:
	s_or_b64 exec, exec, s[0:1]
	v_cmp_gt_i32_e32 vcc, s15, v0
	s_and_saveexec_b64 s[0:1], vcc
	s_cbranch_execnz .LBB286_15
.LBB286_11:
	s_or_b64 exec, exec, s[0:1]
	v_cmp_gt_i32_e32 vcc, s15, v0
	s_and_saveexec_b64 s[0:1], vcc
	s_cbranch_execnz .LBB286_16
.LBB286_12:
	s_endpgm
.LBB286_13:
	v_mov_b32_e32 v0, v1
	global_store_byte v2, v3, s[4:5]
	s_or_b64 exec, exec, s[0:1]
	v_cmp_gt_i32_e32 vcc, s15, v0
	s_and_saveexec_b64 s[0:1], vcc
	s_cbranch_execz .LBB286_10
.LBB286_14:
	v_add_u32_e32 v1, 0x100, v0
	v_add_u32_e32 v0, s14, v0
	v_lshrrev_b32_e32 v2, 8, v3
	global_store_byte v0, v2, s[4:5]
	v_mov_b32_e32 v0, v1
	s_or_b64 exec, exec, s[0:1]
	v_cmp_gt_i32_e32 vcc, s15, v0
	s_and_saveexec_b64 s[0:1], vcc
	s_cbranch_execz .LBB286_11
.LBB286_15:
	v_add_u32_e32 v1, 0x100, v0
	v_add_u32_e32 v0, s14, v0
	global_store_byte_d16_hi v0, v3, s[4:5]
	v_mov_b32_e32 v0, v1
	s_or_b64 exec, exec, s[0:1]
	v_cmp_gt_i32_e32 vcc, s15, v0
	s_and_saveexec_b64 s[0:1], vcc
	s_cbranch_execz .LBB286_12
.LBB286_16:
	v_add_u32_e32 v0, s14, v0
	v_lshrrev_b32_e32 v1, 24, v3
	global_store_byte v0, v1, s[4:5]
	s_endpgm
	.section	.rodata,"a",@progbits
	.p2align	6, 0x0
	.amdhsa_kernel _ZN2at6native27unrolled_elementwise_kernelIZZZNS0_17clamp_kernel_cudaERNS_18TensorIteratorBaseERKN3c106ScalarES7_ENKUlvE_clEvENKUlvE0_clEvEUlaE_St5arrayIPcLm2EELi4E23TrivialOffsetCalculatorILi1EjESF_NS0_6memory15LoadWithoutCastENSG_16StoreWithoutCastEEEviT_T0_T2_T3_T4_T5_
		.amdhsa_group_segment_fixed_size 0
		.amdhsa_private_segment_fixed_size 0
		.amdhsa_kernarg_size 28
		.amdhsa_user_sgpr_count 2
		.amdhsa_user_sgpr_dispatch_ptr 0
		.amdhsa_user_sgpr_queue_ptr 0
		.amdhsa_user_sgpr_kernarg_segment_ptr 1
		.amdhsa_user_sgpr_dispatch_id 0
		.amdhsa_user_sgpr_kernarg_preload_length 0
		.amdhsa_user_sgpr_kernarg_preload_offset 0
		.amdhsa_user_sgpr_private_segment_size 0
		.amdhsa_uses_dynamic_stack 0
		.amdhsa_enable_private_segment 0
		.amdhsa_system_sgpr_workgroup_id_x 1
		.amdhsa_system_sgpr_workgroup_id_y 0
		.amdhsa_system_sgpr_workgroup_id_z 0
		.amdhsa_system_sgpr_workgroup_info 0
		.amdhsa_system_vgpr_workitem_id 0
		.amdhsa_next_free_vgpr 9
		.amdhsa_next_free_sgpr 16
		.amdhsa_accum_offset 12
		.amdhsa_reserve_vcc 1
		.amdhsa_float_round_mode_32 0
		.amdhsa_float_round_mode_16_64 0
		.amdhsa_float_denorm_mode_32 3
		.amdhsa_float_denorm_mode_16_64 3
		.amdhsa_dx10_clamp 1
		.amdhsa_ieee_mode 1
		.amdhsa_fp16_overflow 0
		.amdhsa_tg_split 0
		.amdhsa_exception_fp_ieee_invalid_op 0
		.amdhsa_exception_fp_denorm_src 0
		.amdhsa_exception_fp_ieee_div_zero 0
		.amdhsa_exception_fp_ieee_overflow 0
		.amdhsa_exception_fp_ieee_underflow 0
		.amdhsa_exception_fp_ieee_inexact 0
		.amdhsa_exception_int_div_zero 0
	.end_amdhsa_kernel
	.section	.text._ZN2at6native27unrolled_elementwise_kernelIZZZNS0_17clamp_kernel_cudaERNS_18TensorIteratorBaseERKN3c106ScalarES7_ENKUlvE_clEvENKUlvE0_clEvEUlaE_St5arrayIPcLm2EELi4E23TrivialOffsetCalculatorILi1EjESF_NS0_6memory15LoadWithoutCastENSG_16StoreWithoutCastEEEviT_T0_T2_T3_T4_T5_,"axG",@progbits,_ZN2at6native27unrolled_elementwise_kernelIZZZNS0_17clamp_kernel_cudaERNS_18TensorIteratorBaseERKN3c106ScalarES7_ENKUlvE_clEvENKUlvE0_clEvEUlaE_St5arrayIPcLm2EELi4E23TrivialOffsetCalculatorILi1EjESF_NS0_6memory15LoadWithoutCastENSG_16StoreWithoutCastEEEviT_T0_T2_T3_T4_T5_,comdat
.Lfunc_end286:
	.size	_ZN2at6native27unrolled_elementwise_kernelIZZZNS0_17clamp_kernel_cudaERNS_18TensorIteratorBaseERKN3c106ScalarES7_ENKUlvE_clEvENKUlvE0_clEvEUlaE_St5arrayIPcLm2EELi4E23TrivialOffsetCalculatorILi1EjESF_NS0_6memory15LoadWithoutCastENSG_16StoreWithoutCastEEEviT_T0_T2_T3_T4_T5_, .Lfunc_end286-_ZN2at6native27unrolled_elementwise_kernelIZZZNS0_17clamp_kernel_cudaERNS_18TensorIteratorBaseERKN3c106ScalarES7_ENKUlvE_clEvENKUlvE0_clEvEUlaE_St5arrayIPcLm2EELi4E23TrivialOffsetCalculatorILi1EjESF_NS0_6memory15LoadWithoutCastENSG_16StoreWithoutCastEEEviT_T0_T2_T3_T4_T5_
                                        ; -- End function
	.set _ZN2at6native27unrolled_elementwise_kernelIZZZNS0_17clamp_kernel_cudaERNS_18TensorIteratorBaseERKN3c106ScalarES7_ENKUlvE_clEvENKUlvE0_clEvEUlaE_St5arrayIPcLm2EELi4E23TrivialOffsetCalculatorILi1EjESF_NS0_6memory15LoadWithoutCastENSG_16StoreWithoutCastEEEviT_T0_T2_T3_T4_T5_.num_vgpr, 9
	.set _ZN2at6native27unrolled_elementwise_kernelIZZZNS0_17clamp_kernel_cudaERNS_18TensorIteratorBaseERKN3c106ScalarES7_ENKUlvE_clEvENKUlvE0_clEvEUlaE_St5arrayIPcLm2EELi4E23TrivialOffsetCalculatorILi1EjESF_NS0_6memory15LoadWithoutCastENSG_16StoreWithoutCastEEEviT_T0_T2_T3_T4_T5_.num_agpr, 0
	.set _ZN2at6native27unrolled_elementwise_kernelIZZZNS0_17clamp_kernel_cudaERNS_18TensorIteratorBaseERKN3c106ScalarES7_ENKUlvE_clEvENKUlvE0_clEvEUlaE_St5arrayIPcLm2EELi4E23TrivialOffsetCalculatorILi1EjESF_NS0_6memory15LoadWithoutCastENSG_16StoreWithoutCastEEEviT_T0_T2_T3_T4_T5_.numbered_sgpr, 16
	.set _ZN2at6native27unrolled_elementwise_kernelIZZZNS0_17clamp_kernel_cudaERNS_18TensorIteratorBaseERKN3c106ScalarES7_ENKUlvE_clEvENKUlvE0_clEvEUlaE_St5arrayIPcLm2EELi4E23TrivialOffsetCalculatorILi1EjESF_NS0_6memory15LoadWithoutCastENSG_16StoreWithoutCastEEEviT_T0_T2_T3_T4_T5_.num_named_barrier, 0
	.set _ZN2at6native27unrolled_elementwise_kernelIZZZNS0_17clamp_kernel_cudaERNS_18TensorIteratorBaseERKN3c106ScalarES7_ENKUlvE_clEvENKUlvE0_clEvEUlaE_St5arrayIPcLm2EELi4E23TrivialOffsetCalculatorILi1EjESF_NS0_6memory15LoadWithoutCastENSG_16StoreWithoutCastEEEviT_T0_T2_T3_T4_T5_.private_seg_size, 0
	.set _ZN2at6native27unrolled_elementwise_kernelIZZZNS0_17clamp_kernel_cudaERNS_18TensorIteratorBaseERKN3c106ScalarES7_ENKUlvE_clEvENKUlvE0_clEvEUlaE_St5arrayIPcLm2EELi4E23TrivialOffsetCalculatorILi1EjESF_NS0_6memory15LoadWithoutCastENSG_16StoreWithoutCastEEEviT_T0_T2_T3_T4_T5_.uses_vcc, 1
	.set _ZN2at6native27unrolled_elementwise_kernelIZZZNS0_17clamp_kernel_cudaERNS_18TensorIteratorBaseERKN3c106ScalarES7_ENKUlvE_clEvENKUlvE0_clEvEUlaE_St5arrayIPcLm2EELi4E23TrivialOffsetCalculatorILi1EjESF_NS0_6memory15LoadWithoutCastENSG_16StoreWithoutCastEEEviT_T0_T2_T3_T4_T5_.uses_flat_scratch, 0
	.set _ZN2at6native27unrolled_elementwise_kernelIZZZNS0_17clamp_kernel_cudaERNS_18TensorIteratorBaseERKN3c106ScalarES7_ENKUlvE_clEvENKUlvE0_clEvEUlaE_St5arrayIPcLm2EELi4E23TrivialOffsetCalculatorILi1EjESF_NS0_6memory15LoadWithoutCastENSG_16StoreWithoutCastEEEviT_T0_T2_T3_T4_T5_.has_dyn_sized_stack, 0
	.set _ZN2at6native27unrolled_elementwise_kernelIZZZNS0_17clamp_kernel_cudaERNS_18TensorIteratorBaseERKN3c106ScalarES7_ENKUlvE_clEvENKUlvE0_clEvEUlaE_St5arrayIPcLm2EELi4E23TrivialOffsetCalculatorILi1EjESF_NS0_6memory15LoadWithoutCastENSG_16StoreWithoutCastEEEviT_T0_T2_T3_T4_T5_.has_recursion, 0
	.set _ZN2at6native27unrolled_elementwise_kernelIZZZNS0_17clamp_kernel_cudaERNS_18TensorIteratorBaseERKN3c106ScalarES7_ENKUlvE_clEvENKUlvE0_clEvEUlaE_St5arrayIPcLm2EELi4E23TrivialOffsetCalculatorILi1EjESF_NS0_6memory15LoadWithoutCastENSG_16StoreWithoutCastEEEviT_T0_T2_T3_T4_T5_.has_indirect_call, 0
	.section	.AMDGPU.csdata,"",@progbits
; Kernel info:
; codeLenInByte = 640
; TotalNumSgprs: 22
; NumVgprs: 9
; NumAgprs: 0
; TotalNumVgprs: 9
; ScratchSize: 0
; MemoryBound: 0
; FloatMode: 240
; IeeeMode: 1
; LDSByteSize: 0 bytes/workgroup (compile time only)
; SGPRBlocks: 2
; VGPRBlocks: 1
; NumSGPRsForWavesPerEU: 22
; NumVGPRsForWavesPerEU: 9
; AccumOffset: 12
; Occupancy: 8
; WaveLimiterHint : 0
; COMPUTE_PGM_RSRC2:SCRATCH_EN: 0
; COMPUTE_PGM_RSRC2:USER_SGPR: 2
; COMPUTE_PGM_RSRC2:TRAP_HANDLER: 0
; COMPUTE_PGM_RSRC2:TGID_X_EN: 1
; COMPUTE_PGM_RSRC2:TGID_Y_EN: 0
; COMPUTE_PGM_RSRC2:TGID_Z_EN: 0
; COMPUTE_PGM_RSRC2:TIDIG_COMP_CNT: 0
; COMPUTE_PGM_RSRC3_GFX90A:ACCUM_OFFSET: 2
; COMPUTE_PGM_RSRC3_GFX90A:TG_SPLIT: 0
	.section	.text._ZN2at6native32elementwise_kernel_manual_unrollILi128ELi8EZNS0_22gpu_kernel_impl_nocastIZZZNS0_17clamp_kernel_cudaERNS_18TensorIteratorBaseERKN3c106ScalarES8_ENKUlvE_clEvENKUlvE0_clEvEUlaE_EEvS4_RKT_EUlibE_EEviT1_,"axG",@progbits,_ZN2at6native32elementwise_kernel_manual_unrollILi128ELi8EZNS0_22gpu_kernel_impl_nocastIZZZNS0_17clamp_kernel_cudaERNS_18TensorIteratorBaseERKN3c106ScalarES8_ENKUlvE_clEvENKUlvE0_clEvEUlaE_EEvS4_RKT_EUlibE_EEviT1_,comdat
	.globl	_ZN2at6native32elementwise_kernel_manual_unrollILi128ELi8EZNS0_22gpu_kernel_impl_nocastIZZZNS0_17clamp_kernel_cudaERNS_18TensorIteratorBaseERKN3c106ScalarES8_ENKUlvE_clEvENKUlvE0_clEvEUlaE_EEvS4_RKT_EUlibE_EEviT1_ ; -- Begin function _ZN2at6native32elementwise_kernel_manual_unrollILi128ELi8EZNS0_22gpu_kernel_impl_nocastIZZZNS0_17clamp_kernel_cudaERNS_18TensorIteratorBaseERKN3c106ScalarES8_ENKUlvE_clEvENKUlvE0_clEvEUlaE_EEvS4_RKT_EUlibE_EEviT1_
	.p2align	8
	.type	_ZN2at6native32elementwise_kernel_manual_unrollILi128ELi8EZNS0_22gpu_kernel_impl_nocastIZZZNS0_17clamp_kernel_cudaERNS_18TensorIteratorBaseERKN3c106ScalarES8_ENKUlvE_clEvENKUlvE0_clEvEUlaE_EEvS4_RKT_EUlibE_EEviT1_,@function
_ZN2at6native32elementwise_kernel_manual_unrollILi128ELi8EZNS0_22gpu_kernel_impl_nocastIZZZNS0_17clamp_kernel_cudaERNS_18TensorIteratorBaseERKN3c106ScalarES8_ENKUlvE_clEvENKUlvE0_clEvEUlaE_EEvS4_RKT_EUlibE_EEviT1_: ; @_ZN2at6native32elementwise_kernel_manual_unrollILi128ELi8EZNS0_22gpu_kernel_impl_nocastIZZZNS0_17clamp_kernel_cudaERNS_18TensorIteratorBaseERKN3c106ScalarES8_ENKUlvE_clEvENKUlvE0_clEvEUlaE_EEvS4_RKT_EUlibE_EEviT1_
; %bb.0:
	s_load_dword s57, s[0:1], 0x0
	s_load_dword s33, s[0:1], 0x8
	s_add_u32 s34, s0, 8
	s_addc_u32 s35, s1, 0
	v_lshl_or_b32 v24, s2, 10, v0
	v_or_b32_e32 v32, 0x380, v24
	s_waitcnt lgkmcnt(0)
	s_add_i32 s54, s33, -1
	s_cmp_gt_u32 s54, 1
	v_cmp_le_i32_e32 vcc, s57, v32
	s_cselect_b64 s[36:37], -1, 0
	s_and_saveexec_b64 s[0:1], vcc
	s_xor_b64 s[38:39], exec, s[0:1]
	s_cbranch_execz .LBB287_8
; %bb.1:
	s_cmp_lg_u32 s33, 0
	s_cselect_b64 s[46:47], -1, 0
	s_add_u32 s44, s34, 0xc4
	s_load_dwordx4 s[20:23], s[34:35], 0x4
	s_load_dwordx2 s[40:41], s[34:35], 0x14
	s_load_dword s55, s[34:35], 0x158
	s_load_dwordx4 s[24:27], s[34:35], 0xc4
	s_load_dwordx4 s[16:19], s[34:35], 0x148
	s_addc_u32 s45, s35, 0
	s_min_u32 s58, s54, 15
	s_cmp_gt_u32 s33, 1
	s_cselect_b64 s[42:43], -1, 0
	s_waitcnt lgkmcnt(0)
	s_bfe_u32 s56, s55, 0x80008
	v_cmp_gt_i32_e32 vcc, s57, v24
	s_and_saveexec_b64 s[48:49], vcc
	s_cbranch_execz .LBB287_15
; %bb.2:
	s_andn2_b64 vcc, exec, s[36:37]
	s_cbranch_vccnz .LBB287_23
; %bb.3:
	s_andn2_b64 vcc, exec, s[46:47]
	s_cbranch_vccnz .LBB287_131
; %bb.4:
	s_add_i32 s60, s58, 1
	s_cmp_eq_u32 s54, 2
	s_cbranch_scc1 .LBB287_133
; %bb.5:
	s_and_b32 s59, s60, 28
	s_mov_b32 s61, 0
	v_mov_b32_e32 v0, 0
	v_mov_b32_e32 v2, 0
	s_mov_b64 s[50:51], s[34:35]
	s_mov_b64 s[52:53], s[44:45]
	v_mov_b32_e32 v4, v24
.LBB287_6:                              ; =>This Inner Loop Header: Depth=1
	s_load_dwordx8 s[8:15], s[50:51], 0x4
	s_load_dwordx4 s[28:31], s[50:51], 0x24
	s_load_dwordx8 s[0:7], s[52:53], 0x0
	s_add_u32 s50, s50, 48
	s_addc_u32 s51, s51, 0
	s_waitcnt lgkmcnt(0)
	v_mul_hi_u32 v1, s9, v4
	v_add_u32_e32 v1, v4, v1
	v_lshrrev_b32_e32 v1, s10, v1
	v_mul_lo_u32 v3, v1, s8
	v_mul_hi_u32 v5, s12, v1
	v_sub_u32_e32 v3, v4, v3
	v_add_u32_e32 v4, v1, v5
	v_lshrrev_b32_e32 v4, s13, v4
	v_mul_lo_u32 v6, v4, s11
	v_mul_hi_u32 v7, s15, v4
	v_sub_u32_e32 v1, v1, v6
	v_add_u32_e32 v6, v4, v7
	v_mul_lo_u32 v5, v3, s1
	v_mul_lo_u32 v3, v3, s0
	;; [unrolled: 1-line block ×4, first 2 shown]
	v_lshrrev_b32_e32 v6, s28, v6
	v_add3_u32 v0, v3, v0, v1
	v_mul_hi_u32 v3, s30, v6
	v_add3_u32 v1, v5, v2, v7
	v_mul_lo_u32 v2, v6, s14
	v_add_u32_e32 v3, v6, v3
	v_sub_u32_e32 v2, v4, v2
	v_lshrrev_b32_e32 v4, s31, v3
	s_add_i32 s61, s61, 4
	v_mul_lo_u32 v3, v4, s29
	s_add_u32 s52, s52, 32
	v_sub_u32_e32 v3, v6, v3
	s_addc_u32 s53, s53, 0
	v_mul_lo_u32 v5, v2, s4
	v_mul_lo_u32 v2, v2, s5
	;; [unrolled: 1-line block ×4, first 2 shown]
	s_cmp_lg_u32 s59, s61
	v_add3_u32 v2, v2, v1, v3
	v_add3_u32 v0, v5, v0, v6
	s_cbranch_scc1 .LBB287_6
; %bb.7:
	v_mov_b32_e32 v1, v2
	s_branch .LBB287_134
.LBB287_8:
	s_andn2_saveexec_b64 s[0:1], s[38:39]
	s_cbranch_execz .LBB287_228
.LBB287_9:
	v_cndmask_b32_e64 v0, 0, 1, s[36:37]
	v_cmp_ne_u32_e64 s[0:1], 1, v0
	s_andn2_b64 vcc, exec, s[36:37]
	s_cbranch_vccnz .LBB287_22
; %bb.10:
	s_cmp_lg_u32 s33, 0
	s_mov_b32 s26, 0
	s_cbranch_scc0 .LBB287_25
; %bb.11:
	s_min_u32 s27, s54, 15
	s_add_i32 s27, s27, 1
	s_cmp_eq_u32 s54, 2
	s_cbranch_scc1 .LBB287_26
; %bb.12:
	s_and_b32 s26, s27, 28
	s_add_u32 s2, s34, 0xc4
	s_addc_u32 s3, s35, 0
	s_mov_b32 s28, 0
	v_mov_b32_e32 v0, 0
	v_mov_b32_e32 v2, 0
	s_mov_b64 s[24:25], s[34:35]
	v_mov_b32_e32 v4, v24
.LBB287_13:                             ; =>This Inner Loop Header: Depth=1
	s_load_dwordx8 s[12:19], s[24:25], 0x4
	s_load_dwordx4 s[20:23], s[24:25], 0x24
	s_load_dwordx8 s[4:11], s[2:3], 0x0
	s_add_u32 s24, s24, 48
	s_addc_u32 s25, s25, 0
	s_waitcnt lgkmcnt(0)
	v_mul_hi_u32 v1, s13, v4
	v_add_u32_e32 v1, v4, v1
	v_lshrrev_b32_e32 v1, s14, v1
	v_mul_lo_u32 v3, v1, s12
	v_mul_hi_u32 v5, s16, v1
	v_sub_u32_e32 v3, v4, v3
	v_add_u32_e32 v4, v1, v5
	v_lshrrev_b32_e32 v4, s17, v4
	v_mul_lo_u32 v6, v4, s15
	v_mul_hi_u32 v7, s19, v4
	v_sub_u32_e32 v1, v1, v6
	v_add_u32_e32 v6, v4, v7
	v_mul_lo_u32 v5, v3, s5
	v_mul_lo_u32 v3, v3, s4
	;; [unrolled: 1-line block ×4, first 2 shown]
	v_lshrrev_b32_e32 v6, s20, v6
	v_add3_u32 v0, v3, v0, v1
	v_mul_hi_u32 v3, s22, v6
	v_add3_u32 v1, v5, v2, v7
	v_mul_lo_u32 v2, v6, s18
	v_add_u32_e32 v3, v6, v3
	v_sub_u32_e32 v2, v4, v2
	v_lshrrev_b32_e32 v4, s23, v3
	s_add_i32 s28, s28, 4
	v_mul_lo_u32 v3, v4, s21
	s_add_u32 s2, s2, 32
	v_sub_u32_e32 v3, v6, v3
	s_addc_u32 s3, s3, 0
	v_mul_lo_u32 v5, v2, s8
	v_mul_lo_u32 v2, v2, s9
	v_mul_lo_u32 v6, v3, s10
	v_mul_lo_u32 v3, v3, s11
	s_cmp_lg_u32 s26, s28
	v_add3_u32 v2, v2, v1, v3
	v_add3_u32 v0, v5, v0, v6
	s_cbranch_scc1 .LBB287_13
; %bb.14:
	v_mov_b32_e32 v1, v2
	s_and_b32 s6, s27, 3
	s_cmp_eq_u32 s6, 0
	s_cbranch_scc0 .LBB287_27
	s_branch .LBB287_29
.LBB287_15:
	s_or_b64 exec, exec, s[48:49]
	v_cmp_gt_i32_e32 vcc, s57, v24
	s_and_saveexec_b64 s[48:49], vcc
	s_cbranch_execz .LBB287_141
.LBB287_16:
	s_andn2_b64 vcc, exec, s[36:37]
	s_cbranch_vccnz .LBB287_24
; %bb.17:
	s_andn2_b64 vcc, exec, s[46:47]
	s_cbranch_vccnz .LBB287_132
; %bb.18:
	s_add_i32 s60, s58, 1
	s_cmp_eq_u32 s54, 2
	s_cbranch_scc1 .LBB287_150
; %bb.19:
	s_and_b32 s59, s60, 28
	s_mov_b32 s61, 0
	v_mov_b32_e32 v0, 0
	v_mov_b32_e32 v2, 0
	s_mov_b64 s[50:51], s[34:35]
	s_mov_b64 s[52:53], s[44:45]
	v_mov_b32_e32 v4, v24
.LBB287_20:                             ; =>This Inner Loop Header: Depth=1
	s_load_dwordx8 s[8:15], s[50:51], 0x4
	s_load_dwordx4 s[28:31], s[50:51], 0x24
	s_load_dwordx8 s[0:7], s[52:53], 0x0
	s_add_u32 s50, s50, 48
	s_addc_u32 s51, s51, 0
	s_waitcnt lgkmcnt(0)
	v_mul_hi_u32 v1, s9, v4
	v_add_u32_e32 v1, v4, v1
	v_lshrrev_b32_e32 v1, s10, v1
	v_mul_lo_u32 v3, v1, s8
	v_mul_hi_u32 v5, s12, v1
	v_sub_u32_e32 v3, v4, v3
	v_add_u32_e32 v4, v1, v5
	v_lshrrev_b32_e32 v4, s13, v4
	v_mul_lo_u32 v6, v4, s11
	v_mul_hi_u32 v7, s15, v4
	v_sub_u32_e32 v1, v1, v6
	v_add_u32_e32 v6, v4, v7
	v_mul_lo_u32 v5, v3, s1
	v_mul_lo_u32 v3, v3, s0
	;; [unrolled: 1-line block ×4, first 2 shown]
	v_lshrrev_b32_e32 v6, s28, v6
	v_add3_u32 v0, v3, v0, v1
	v_mul_hi_u32 v3, s30, v6
	v_add3_u32 v1, v5, v2, v7
	v_mul_lo_u32 v2, v6, s14
	v_add_u32_e32 v3, v6, v3
	v_sub_u32_e32 v2, v4, v2
	v_lshrrev_b32_e32 v4, s31, v3
	s_add_i32 s61, s61, 4
	v_mul_lo_u32 v3, v4, s29
	s_add_u32 s52, s52, 32
	v_sub_u32_e32 v3, v6, v3
	s_addc_u32 s53, s53, 0
	v_mul_lo_u32 v5, v2, s4
	v_mul_lo_u32 v2, v2, s5
	;; [unrolled: 1-line block ×4, first 2 shown]
	s_cmp_eq_u32 s59, s61
	v_add3_u32 v2, v2, v1, v3
	v_add3_u32 v0, v5, v0, v6
	s_cbranch_scc0 .LBB287_20
; %bb.21:
	v_mov_b32_e32 v1, v2
	s_branch .LBB287_151
.LBB287_22:
                                        ; implicit-def: $vgpr2
                                        ; implicit-def: $vgpr0
	s_branch .LBB287_30
.LBB287_23:
                                        ; implicit-def: $vgpr2
                                        ; implicit-def: $vgpr0
	s_branch .LBB287_138
.LBB287_24:
                                        ; implicit-def: $vgpr2
                                        ; implicit-def: $vgpr0
	s_branch .LBB287_155
.LBB287_25:
	v_mov_b32_e32 v2, 0
	v_mov_b32_e32 v0, 0
	s_branch .LBB287_29
.LBB287_26:
	v_mov_b32_e32 v0, 0
                                        ; implicit-def: $vgpr2
	v_mov_b32_e32 v1, v0
	v_mov_b32_e32 v4, v24
	s_and_b32 s6, s27, 3
	s_cmp_eq_u32 s6, 0
	s_cbranch_scc1 .LBB287_29
.LBB287_27:
	s_lshl_b32 s2, s26, 3
	s_add_u32 s2, s34, s2
	s_addc_u32 s3, s35, 0
	s_add_u32 s2, s2, 0xc4
	s_addc_u32 s3, s3, 0
	s_mul_i32 s4, s26, 12
	s_add_u32 s4, s34, s4
	s_addc_u32 s5, s35, 0
.LBB287_28:                             ; =>This Inner Loop Header: Depth=1
	s_load_dwordx2 s[8:9], s[4:5], 0x4
	s_load_dword s7, s[4:5], 0xc
	s_load_dwordx2 s[10:11], s[2:3], 0x0
	v_mov_b32_e32 v2, v1
	s_add_u32 s4, s4, 12
	s_waitcnt lgkmcnt(0)
	v_mul_hi_u32 v1, s9, v4
	v_add_u32_e32 v1, v4, v1
	v_lshrrev_b32_e32 v1, s7, v1
	s_addc_u32 s5, s5, 0
	v_mul_lo_u32 v3, v1, s8
	s_add_u32 s2, s2, 8
	v_sub_u32_e32 v5, v4, v3
	s_addc_u32 s3, s3, 0
	s_add_i32 s6, s6, -1
	v_mov_b32_e32 v4, v1
	v_mad_u64_u32 v[2:3], s[8:9], v5, s11, v[2:3]
	v_mad_u64_u32 v[0:1], s[8:9], v5, s10, v[0:1]
	s_cmp_lg_u32 s6, 0
	v_mov_b32_e32 v1, v2
	s_cbranch_scc1 .LBB287_28
.LBB287_29:
	s_cbranch_execnz .LBB287_32
.LBB287_30:
	s_load_dwordx4 s[4:7], s[34:35], 0x4
	s_load_dwordx2 s[2:3], s[34:35], 0xc4
	s_cmp_lt_u32 s33, 2
	s_waitcnt lgkmcnt(0)
	v_mul_hi_u32 v0, s5, v24
	v_add_u32_e32 v0, v24, v0
	v_lshrrev_b32_e32 v1, s6, v0
	v_mul_lo_u32 v0, v1, s4
	v_sub_u32_e32 v0, v24, v0
	v_mul_lo_u32 v2, v0, s3
	v_mul_lo_u32 v0, v0, s2
	s_cbranch_scc1 .LBB287_32
; %bb.31:
	s_load_dwordx4 s[4:7], s[34:35], 0x10
	s_load_dwordx2 s[2:3], s[34:35], 0xcc
	s_waitcnt lgkmcnt(0)
	v_mul_hi_u32 v3, s5, v1
	v_add_u32_e32 v3, v1, v3
	v_lshrrev_b32_e32 v3, s6, v3
	v_mul_lo_u32 v3, v3, s4
	v_sub_u32_e32 v3, v1, v3
	v_mad_u64_u32 v[0:1], s[4:5], v3, s2, v[0:1]
	v_mad_u64_u32 v[2:3], s[2:3], v3, s3, v[2:3]
.LBB287_32:
	s_and_b64 vcc, exec, s[0:1]
	v_add_u32_e32 v3, 0x80, v24
	s_cbranch_vccnz .LBB287_38
; %bb.33:
	s_cmp_lg_u32 s33, 0
	s_mov_b32 s26, 0
	s_cbranch_scc0 .LBB287_39
; %bb.34:
	s_min_u32 s27, s54, 15
	s_add_i32 s27, s27, 1
	s_cmp_eq_u32 s54, 2
	s_cbranch_scc1 .LBB287_40
; %bb.35:
	s_and_b32 s26, s27, 28
	s_add_u32 s2, s34, 0xc4
	s_addc_u32 s3, s35, 0
	s_mov_b32 s28, 0
	v_mov_b32_e32 v4, 0
	v_mov_b32_e32 v6, 0
	s_mov_b64 s[24:25], s[34:35]
	v_mov_b32_e32 v8, v3
.LBB287_36:                             ; =>This Inner Loop Header: Depth=1
	s_load_dwordx8 s[12:19], s[24:25], 0x4
	s_load_dwordx4 s[20:23], s[24:25], 0x24
	s_load_dwordx8 s[4:11], s[2:3], 0x0
	s_add_u32 s24, s24, 48
	s_addc_u32 s25, s25, 0
	s_waitcnt lgkmcnt(0)
	v_mul_hi_u32 v1, s13, v8
	v_add_u32_e32 v1, v8, v1
	v_lshrrev_b32_e32 v1, s14, v1
	v_mul_hi_u32 v7, s16, v1
	v_add_u32_e32 v7, v1, v7
	v_lshrrev_b32_e32 v7, s17, v7
	v_mul_lo_u32 v5, v1, s12
	v_mul_lo_u32 v9, v7, s15
	v_mul_hi_u32 v10, s19, v7
	v_sub_u32_e32 v5, v8, v5
	v_sub_u32_e32 v1, v1, v9
	v_add_u32_e32 v9, v7, v10
	v_mul_lo_u32 v8, v5, s5
	v_mul_lo_u32 v5, v5, s4
	;; [unrolled: 1-line block ×4, first 2 shown]
	v_lshrrev_b32_e32 v9, s20, v9
	v_add3_u32 v1, v5, v4, v1
	v_add3_u32 v4, v8, v6, v10
	v_mul_hi_u32 v6, s22, v9
	v_add_u32_e32 v6, v9, v6
	v_lshrrev_b32_e32 v8, s23, v6
	s_add_i32 s28, s28, 4
	v_mul_lo_u32 v5, v9, s18
	v_mul_lo_u32 v6, v8, s21
	s_add_u32 s2, s2, 32
	v_sub_u32_e32 v5, v7, v5
	v_sub_u32_e32 v6, v9, v6
	s_addc_u32 s3, s3, 0
	v_mul_lo_u32 v7, v5, s8
	v_mul_lo_u32 v5, v5, s9
	;; [unrolled: 1-line block ×4, first 2 shown]
	s_cmp_lg_u32 s26, s28
	v_add3_u32 v6, v5, v4, v6
	v_add3_u32 v4, v7, v1, v9
	s_cbranch_scc1 .LBB287_36
; %bb.37:
	v_mov_b32_e32 v1, v6
	s_and_b32 s6, s27, 3
	s_cmp_eq_u32 s6, 0
	s_cbranch_scc0 .LBB287_41
	s_branch .LBB287_43
.LBB287_38:
                                        ; implicit-def: $vgpr6
                                        ; implicit-def: $vgpr4
	s_branch .LBB287_44
.LBB287_39:
	v_mov_b32_e32 v6, 0
	v_mov_b32_e32 v4, 0
	s_branch .LBB287_43
.LBB287_40:
	v_mov_b32_e32 v4, 0
                                        ; implicit-def: $vgpr6
	v_mov_b32_e32 v1, v4
	v_mov_b32_e32 v8, v3
	s_and_b32 s6, s27, 3
	s_cmp_eq_u32 s6, 0
	s_cbranch_scc1 .LBB287_43
.LBB287_41:
	s_lshl_b32 s2, s26, 3
	s_add_u32 s2, s34, s2
	s_addc_u32 s3, s35, 0
	s_add_u32 s2, s2, 0xc4
	s_addc_u32 s3, s3, 0
	s_mul_i32 s4, s26, 12
	s_add_u32 s4, s34, s4
	s_addc_u32 s5, s35, 0
.LBB287_42:                             ; =>This Inner Loop Header: Depth=1
	s_load_dwordx2 s[8:9], s[4:5], 0x4
	s_load_dword s7, s[4:5], 0xc
	s_load_dwordx2 s[10:11], s[2:3], 0x0
	v_mov_b32_e32 v6, v1
	s_add_u32 s4, s4, 12
	s_waitcnt lgkmcnt(0)
	v_mul_hi_u32 v1, s9, v8
	v_add_u32_e32 v1, v8, v1
	v_lshrrev_b32_e32 v1, s7, v1
	s_addc_u32 s5, s5, 0
	v_mul_lo_u32 v5, v1, s8
	s_add_u32 s2, s2, 8
	v_sub_u32_e32 v5, v8, v5
	s_addc_u32 s3, s3, 0
	s_add_i32 s6, s6, -1
	v_mad_u64_u32 v[6:7], s[8:9], v5, s11, v[6:7]
	s_cmp_lg_u32 s6, 0
	v_mov_b32_e32 v8, v1
	v_mad_u64_u32 v[4:5], s[8:9], v5, s10, v[4:5]
	v_mov_b32_e32 v1, v6
	s_cbranch_scc1 .LBB287_42
.LBB287_43:
	s_cbranch_execnz .LBB287_46
.LBB287_44:
	s_load_dwordx4 s[4:7], s[34:35], 0x4
	s_load_dwordx2 s[2:3], s[34:35], 0xc4
	s_cmp_lt_u32 s33, 2
	s_waitcnt lgkmcnt(0)
	v_mul_hi_u32 v1, s5, v3
	v_add_u32_e32 v1, v3, v1
	v_lshrrev_b32_e32 v1, s6, v1
	v_mul_lo_u32 v4, v1, s4
	v_sub_u32_e32 v3, v3, v4
	v_mul_lo_u32 v6, v3, s3
	v_mul_lo_u32 v4, v3, s2
	s_cbranch_scc1 .LBB287_46
; %bb.45:
	s_load_dwordx4 s[4:7], s[34:35], 0x10
	s_load_dwordx2 s[2:3], s[34:35], 0xcc
	s_waitcnt lgkmcnt(0)
	v_mul_hi_u32 v3, s5, v1
	v_add_u32_e32 v3, v1, v3
	v_lshrrev_b32_e32 v3, s6, v3
	v_mul_lo_u32 v3, v3, s4
	v_sub_u32_e32 v1, v1, v3
	v_mad_u64_u32 v[4:5], s[4:5], v1, s2, v[4:5]
	v_mad_u64_u32 v[6:7], s[2:3], v1, s3, v[6:7]
.LBB287_46:
	s_and_b64 vcc, exec, s[0:1]
	v_add_u32_e32 v3, 0x100, v24
	s_cbranch_vccnz .LBB287_52
; %bb.47:
	s_cmp_lg_u32 s33, 0
	s_mov_b32 s26, 0
	s_cbranch_scc0 .LBB287_53
; %bb.48:
	s_min_u32 s27, s54, 15
	s_add_i32 s27, s27, 1
	s_cmp_eq_u32 s54, 2
	s_cbranch_scc1 .LBB287_54
; %bb.49:
	s_and_b32 s26, s27, 28
	s_add_u32 s2, s34, 0xc4
	s_addc_u32 s3, s35, 0
	s_mov_b32 s28, 0
	v_mov_b32_e32 v8, 0
	v_mov_b32_e32 v10, 0
	s_mov_b64 s[24:25], s[34:35]
	v_mov_b32_e32 v5, v3
.LBB287_50:                             ; =>This Inner Loop Header: Depth=1
	s_load_dwordx8 s[12:19], s[24:25], 0x4
	s_load_dwordx4 s[20:23], s[24:25], 0x24
	s_load_dwordx8 s[4:11], s[2:3], 0x0
	s_add_u32 s24, s24, 48
	s_addc_u32 s25, s25, 0
	s_waitcnt lgkmcnt(0)
	v_mul_hi_u32 v1, s13, v5
	v_add_u32_e32 v1, v5, v1
	v_lshrrev_b32_e32 v1, s14, v1
	v_mul_lo_u32 v7, v1, s12
	v_mul_hi_u32 v9, s16, v1
	v_sub_u32_e32 v5, v5, v7
	v_add_u32_e32 v7, v1, v9
	v_lshrrev_b32_e32 v7, s17, v7
	v_mul_lo_u32 v11, v7, s15
	v_mul_hi_u32 v12, s19, v7
	v_sub_u32_e32 v1, v1, v11
	v_add_u32_e32 v11, v7, v12
	v_mul_lo_u32 v9, v5, s5
	v_mul_lo_u32 v5, v5, s4
	;; [unrolled: 1-line block ×4, first 2 shown]
	v_lshrrev_b32_e32 v11, s20, v11
	v_add3_u32 v1, v5, v8, v1
	v_add3_u32 v8, v9, v10, v12
	v_mul_lo_u32 v5, v11, s18
	v_mul_hi_u32 v9, s22, v11
	v_sub_u32_e32 v5, v7, v5
	v_add_u32_e32 v7, v11, v9
	v_mul_lo_u32 v9, v5, s8
	v_mul_lo_u32 v10, v5, s9
	v_lshrrev_b32_e32 v5, s23, v7
	s_add_i32 s28, s28, 4
	v_mul_lo_u32 v7, v5, s21
	s_add_u32 s2, s2, 32
	v_sub_u32_e32 v7, v11, v7
	s_addc_u32 s3, s3, 0
	v_mul_lo_u32 v11, v7, s10
	v_mul_lo_u32 v7, v7, s11
	s_cmp_lg_u32 s26, s28
	v_add3_u32 v10, v10, v8, v7
	v_add3_u32 v8, v9, v1, v11
	s_cbranch_scc1 .LBB287_50
; %bb.51:
	v_mov_b32_e32 v1, v10
	s_and_b32 s6, s27, 3
	s_cmp_eq_u32 s6, 0
	s_cbranch_scc0 .LBB287_55
	s_branch .LBB287_57
.LBB287_52:
                                        ; implicit-def: $vgpr10
                                        ; implicit-def: $vgpr8
	s_branch .LBB287_58
.LBB287_53:
	v_mov_b32_e32 v10, 0
	v_mov_b32_e32 v8, 0
	s_branch .LBB287_57
.LBB287_54:
	v_mov_b32_e32 v8, 0
                                        ; implicit-def: $vgpr10
	v_mov_b32_e32 v1, v8
	v_mov_b32_e32 v5, v3
	s_and_b32 s6, s27, 3
	s_cmp_eq_u32 s6, 0
	s_cbranch_scc1 .LBB287_57
.LBB287_55:
	s_lshl_b32 s2, s26, 3
	s_add_u32 s2, s34, s2
	s_addc_u32 s3, s35, 0
	s_add_u32 s2, s2, 0xc4
	s_addc_u32 s3, s3, 0
	s_mul_i32 s4, s26, 12
	s_add_u32 s4, s34, s4
	s_addc_u32 s5, s35, 0
.LBB287_56:                             ; =>This Inner Loop Header: Depth=1
	s_load_dwordx2 s[8:9], s[4:5], 0x4
	s_load_dword s7, s[4:5], 0xc
	s_load_dwordx2 s[10:11], s[2:3], 0x0
	v_mov_b32_e32 v10, v1
	s_add_u32 s4, s4, 12
	s_waitcnt lgkmcnt(0)
	v_mul_hi_u32 v1, s9, v5
	v_add_u32_e32 v1, v5, v1
	v_lshrrev_b32_e32 v1, s7, v1
	s_addc_u32 s5, s5, 0
	v_mul_lo_u32 v7, v1, s8
	s_add_u32 s2, s2, 8
	v_sub_u32_e32 v7, v5, v7
	s_addc_u32 s3, s3, 0
	s_add_i32 s6, s6, -1
	v_mad_u64_u32 v[10:11], s[8:9], v7, s11, v[10:11]
	s_cmp_lg_u32 s6, 0
	v_mov_b32_e32 v5, v1
	v_mad_u64_u32 v[8:9], s[8:9], v7, s10, v[8:9]
	v_mov_b32_e32 v1, v10
	s_cbranch_scc1 .LBB287_56
.LBB287_57:
	s_cbranch_execnz .LBB287_60
.LBB287_58:
	s_load_dwordx4 s[4:7], s[34:35], 0x4
	s_load_dwordx2 s[2:3], s[34:35], 0xc4
	s_cmp_lt_u32 s33, 2
	s_waitcnt lgkmcnt(0)
	v_mul_hi_u32 v1, s5, v3
	v_add_u32_e32 v1, v3, v1
	v_lshrrev_b32_e32 v1, s6, v1
	v_mul_lo_u32 v5, v1, s4
	v_sub_u32_e32 v3, v3, v5
	v_mul_lo_u32 v10, v3, s3
	v_mul_lo_u32 v8, v3, s2
	s_cbranch_scc1 .LBB287_60
; %bb.59:
	s_load_dwordx4 s[4:7], s[34:35], 0x10
	s_load_dwordx2 s[2:3], s[34:35], 0xcc
	s_waitcnt lgkmcnt(0)
	v_mul_hi_u32 v3, s5, v1
	v_add_u32_e32 v3, v1, v3
	v_lshrrev_b32_e32 v3, s6, v3
	v_mul_lo_u32 v3, v3, s4
	v_sub_u32_e32 v1, v1, v3
	v_mad_u64_u32 v[8:9], s[4:5], v1, s2, v[8:9]
	v_mad_u64_u32 v[10:11], s[2:3], v1, s3, v[10:11]
.LBB287_60:
	s_and_b64 vcc, exec, s[0:1]
	v_add_u32_e32 v3, 0x180, v24
	s_cbranch_vccnz .LBB287_66
; %bb.61:
	s_cmp_lg_u32 s33, 0
	s_mov_b32 s26, 0
	s_cbranch_scc0 .LBB287_67
; %bb.62:
	s_min_u32 s27, s54, 15
	s_add_i32 s27, s27, 1
	s_cmp_eq_u32 s54, 2
	s_cbranch_scc1 .LBB287_68
; %bb.63:
	s_and_b32 s26, s27, 28
	s_add_u32 s2, s34, 0xc4
	s_addc_u32 s3, s35, 0
	s_mov_b32 s28, 0
	v_mov_b32_e32 v12, 0
	v_mov_b32_e32 v14, 0
	s_mov_b64 s[24:25], s[34:35]
	v_mov_b32_e32 v5, v3
.LBB287_64:                             ; =>This Inner Loop Header: Depth=1
	s_load_dwordx8 s[12:19], s[24:25], 0x4
	s_load_dwordx4 s[20:23], s[24:25], 0x24
	s_load_dwordx8 s[4:11], s[2:3], 0x0
	s_add_u32 s24, s24, 48
	s_addc_u32 s25, s25, 0
	s_waitcnt lgkmcnt(0)
	v_mul_hi_u32 v1, s13, v5
	v_add_u32_e32 v1, v5, v1
	v_lshrrev_b32_e32 v1, s14, v1
	v_mul_lo_u32 v7, v1, s12
	v_mul_hi_u32 v9, s16, v1
	v_sub_u32_e32 v5, v5, v7
	v_add_u32_e32 v7, v1, v9
	v_lshrrev_b32_e32 v7, s17, v7
	v_mul_lo_u32 v11, v7, s15
	v_mul_hi_u32 v13, s19, v7
	v_sub_u32_e32 v1, v1, v11
	v_add_u32_e32 v11, v7, v13
	v_mul_lo_u32 v9, v5, s5
	v_mul_lo_u32 v5, v5, s4
	;; [unrolled: 1-line block ×4, first 2 shown]
	v_lshrrev_b32_e32 v11, s20, v11
	v_add3_u32 v1, v5, v12, v1
	v_mul_lo_u32 v5, v11, s18
	v_mul_hi_u32 v12, s22, v11
	v_sub_u32_e32 v5, v7, v5
	v_add_u32_e32 v7, v11, v12
	v_add3_u32 v9, v9, v14, v13
	v_mul_lo_u32 v12, v5, s8
	v_mul_lo_u32 v13, v5, s9
	v_lshrrev_b32_e32 v5, s23, v7
	s_add_i32 s28, s28, 4
	v_mul_lo_u32 v7, v5, s21
	s_add_u32 s2, s2, 32
	v_sub_u32_e32 v7, v11, v7
	s_addc_u32 s3, s3, 0
	v_mul_lo_u32 v11, v7, s10
	v_mul_lo_u32 v7, v7, s11
	s_cmp_lg_u32 s26, s28
	v_add3_u32 v14, v13, v9, v7
	v_add3_u32 v12, v12, v1, v11
	s_cbranch_scc1 .LBB287_64
; %bb.65:
	v_mov_b32_e32 v1, v14
	s_and_b32 s6, s27, 3
	s_cmp_eq_u32 s6, 0
	s_cbranch_scc0 .LBB287_69
	s_branch .LBB287_71
.LBB287_66:
                                        ; implicit-def: $vgpr14
                                        ; implicit-def: $vgpr12
	s_branch .LBB287_72
.LBB287_67:
	v_mov_b32_e32 v14, 0
	v_mov_b32_e32 v12, 0
	s_branch .LBB287_71
.LBB287_68:
	v_mov_b32_e32 v12, 0
                                        ; implicit-def: $vgpr14
	v_mov_b32_e32 v1, v12
	v_mov_b32_e32 v5, v3
	s_and_b32 s6, s27, 3
	s_cmp_eq_u32 s6, 0
	s_cbranch_scc1 .LBB287_71
.LBB287_69:
	s_lshl_b32 s2, s26, 3
	s_add_u32 s2, s34, s2
	s_addc_u32 s3, s35, 0
	s_add_u32 s2, s2, 0xc4
	s_addc_u32 s3, s3, 0
	s_mul_i32 s4, s26, 12
	s_add_u32 s4, s34, s4
	s_addc_u32 s5, s35, 0
.LBB287_70:                             ; =>This Inner Loop Header: Depth=1
	s_load_dwordx2 s[8:9], s[4:5], 0x4
	s_load_dword s7, s[4:5], 0xc
	s_load_dwordx2 s[10:11], s[2:3], 0x0
	v_mov_b32_e32 v14, v1
	s_add_u32 s4, s4, 12
	s_waitcnt lgkmcnt(0)
	v_mul_hi_u32 v1, s9, v5
	v_add_u32_e32 v1, v5, v1
	v_lshrrev_b32_e32 v1, s7, v1
	s_addc_u32 s5, s5, 0
	v_mul_lo_u32 v7, v1, s8
	s_add_u32 s2, s2, 8
	v_sub_u32_e32 v7, v5, v7
	s_addc_u32 s3, s3, 0
	s_add_i32 s6, s6, -1
	v_mad_u64_u32 v[14:15], s[8:9], v7, s11, v[14:15]
	s_cmp_lg_u32 s6, 0
	v_mov_b32_e32 v5, v1
	v_mad_u64_u32 v[12:13], s[8:9], v7, s10, v[12:13]
	v_mov_b32_e32 v1, v14
	s_cbranch_scc1 .LBB287_70
.LBB287_71:
	s_cbranch_execnz .LBB287_74
.LBB287_72:
	s_load_dwordx4 s[4:7], s[34:35], 0x4
	s_load_dwordx2 s[2:3], s[34:35], 0xc4
	s_cmp_lt_u32 s33, 2
	s_waitcnt lgkmcnt(0)
	v_mul_hi_u32 v1, s5, v3
	v_add_u32_e32 v1, v3, v1
	v_lshrrev_b32_e32 v1, s6, v1
	v_mul_lo_u32 v5, v1, s4
	v_sub_u32_e32 v3, v3, v5
	v_mul_lo_u32 v14, v3, s3
	v_mul_lo_u32 v12, v3, s2
	s_cbranch_scc1 .LBB287_74
; %bb.73:
	s_load_dwordx4 s[4:7], s[34:35], 0x10
	s_load_dwordx2 s[2:3], s[34:35], 0xcc
	s_waitcnt lgkmcnt(0)
	v_mul_hi_u32 v3, s5, v1
	v_add_u32_e32 v3, v1, v3
	v_lshrrev_b32_e32 v3, s6, v3
	v_mul_lo_u32 v3, v3, s4
	v_sub_u32_e32 v1, v1, v3
	v_mad_u64_u32 v[12:13], s[4:5], v1, s2, v[12:13]
	v_mad_u64_u32 v[14:15], s[2:3], v1, s3, v[14:15]
.LBB287_74:
	s_and_b64 vcc, exec, s[0:1]
	v_add_u32_e32 v3, 0x200, v24
	s_cbranch_vccnz .LBB287_80
; %bb.75:
	s_cmp_lg_u32 s33, 0
	s_mov_b32 s26, 0
	s_cbranch_scc0 .LBB287_81
; %bb.76:
	s_min_u32 s27, s54, 15
	s_add_i32 s27, s27, 1
	s_cmp_eq_u32 s54, 2
	s_cbranch_scc1 .LBB287_82
; %bb.77:
	s_and_b32 s26, s27, 28
	s_add_u32 s2, s34, 0xc4
	s_addc_u32 s3, s35, 0
	s_mov_b32 s28, 0
	v_mov_b32_e32 v16, 0
	v_mov_b32_e32 v18, 0
	s_mov_b64 s[24:25], s[34:35]
	v_mov_b32_e32 v5, v3
.LBB287_78:                             ; =>This Inner Loop Header: Depth=1
	s_load_dwordx8 s[12:19], s[24:25], 0x4
	s_load_dwordx4 s[20:23], s[24:25], 0x24
	s_load_dwordx8 s[4:11], s[2:3], 0x0
	s_add_u32 s24, s24, 48
	s_addc_u32 s25, s25, 0
	s_waitcnt lgkmcnt(0)
	v_mul_hi_u32 v1, s13, v5
	v_add_u32_e32 v1, v5, v1
	v_lshrrev_b32_e32 v1, s14, v1
	v_mul_lo_u32 v7, v1, s12
	v_mul_hi_u32 v9, s16, v1
	v_sub_u32_e32 v5, v5, v7
	v_add_u32_e32 v7, v1, v9
	v_lshrrev_b32_e32 v7, s17, v7
	v_mul_lo_u32 v11, v7, s15
	v_mul_hi_u32 v13, s19, v7
	v_sub_u32_e32 v1, v1, v11
	v_add_u32_e32 v11, v7, v13
	v_mul_lo_u32 v9, v5, s5
	v_mul_lo_u32 v5, v5, s4
	;; [unrolled: 1-line block ×4, first 2 shown]
	v_lshrrev_b32_e32 v11, s20, v11
	v_add3_u32 v1, v5, v16, v1
	v_add3_u32 v9, v9, v18, v13
	v_mul_lo_u32 v5, v11, s18
	v_mul_hi_u32 v13, s22, v11
	v_sub_u32_e32 v5, v7, v5
	v_add_u32_e32 v7, v11, v13
	v_mul_lo_u32 v13, v5, s8
	v_mul_lo_u32 v15, v5, s9
	v_lshrrev_b32_e32 v5, s23, v7
	s_add_i32 s28, s28, 4
	v_mul_lo_u32 v7, v5, s21
	s_add_u32 s2, s2, 32
	v_sub_u32_e32 v7, v11, v7
	s_addc_u32 s3, s3, 0
	v_mul_lo_u32 v11, v7, s10
	v_mul_lo_u32 v7, v7, s11
	s_cmp_lg_u32 s26, s28
	v_add3_u32 v18, v15, v9, v7
	v_add3_u32 v16, v13, v1, v11
	s_cbranch_scc1 .LBB287_78
; %bb.79:
	v_mov_b32_e32 v1, v18
	s_and_b32 s6, s27, 3
	s_cmp_eq_u32 s6, 0
	s_cbranch_scc0 .LBB287_83
	s_branch .LBB287_85
.LBB287_80:
                                        ; implicit-def: $vgpr18
                                        ; implicit-def: $vgpr16
	s_branch .LBB287_86
.LBB287_81:
	v_mov_b32_e32 v18, 0
	v_mov_b32_e32 v16, 0
	s_branch .LBB287_85
.LBB287_82:
	v_mov_b32_e32 v16, 0
                                        ; implicit-def: $vgpr18
	v_mov_b32_e32 v1, v16
	v_mov_b32_e32 v5, v3
	s_and_b32 s6, s27, 3
	s_cmp_eq_u32 s6, 0
	s_cbranch_scc1 .LBB287_85
.LBB287_83:
	s_lshl_b32 s2, s26, 3
	s_add_u32 s2, s34, s2
	s_addc_u32 s3, s35, 0
	s_add_u32 s2, s2, 0xc4
	s_addc_u32 s3, s3, 0
	s_mul_i32 s4, s26, 12
	s_add_u32 s4, s34, s4
	s_addc_u32 s5, s35, 0
.LBB287_84:                             ; =>This Inner Loop Header: Depth=1
	s_load_dwordx2 s[8:9], s[4:5], 0x4
	s_load_dword s7, s[4:5], 0xc
	s_load_dwordx2 s[10:11], s[2:3], 0x0
	v_mov_b32_e32 v18, v1
	s_add_u32 s4, s4, 12
	s_waitcnt lgkmcnt(0)
	v_mul_hi_u32 v1, s9, v5
	v_add_u32_e32 v1, v5, v1
	v_lshrrev_b32_e32 v1, s7, v1
	s_addc_u32 s5, s5, 0
	v_mul_lo_u32 v7, v1, s8
	s_add_u32 s2, s2, 8
	v_sub_u32_e32 v7, v5, v7
	s_addc_u32 s3, s3, 0
	s_add_i32 s6, s6, -1
	v_mad_u64_u32 v[18:19], s[8:9], v7, s11, v[18:19]
	s_cmp_lg_u32 s6, 0
	v_mov_b32_e32 v5, v1
	v_mad_u64_u32 v[16:17], s[8:9], v7, s10, v[16:17]
	v_mov_b32_e32 v1, v18
	s_cbranch_scc1 .LBB287_84
.LBB287_85:
	s_cbranch_execnz .LBB287_88
.LBB287_86:
	s_load_dwordx4 s[4:7], s[34:35], 0x4
	s_load_dwordx2 s[2:3], s[34:35], 0xc4
	s_cmp_lt_u32 s33, 2
	s_waitcnt lgkmcnt(0)
	v_mul_hi_u32 v1, s5, v3
	v_add_u32_e32 v1, v3, v1
	v_lshrrev_b32_e32 v1, s6, v1
	v_mul_lo_u32 v5, v1, s4
	v_sub_u32_e32 v3, v3, v5
	v_mul_lo_u32 v18, v3, s3
	v_mul_lo_u32 v16, v3, s2
	s_cbranch_scc1 .LBB287_88
; %bb.87:
	s_load_dwordx4 s[4:7], s[34:35], 0x10
	s_load_dwordx2 s[2:3], s[34:35], 0xcc
	s_waitcnt lgkmcnt(0)
	v_mul_hi_u32 v3, s5, v1
	v_add_u32_e32 v3, v1, v3
	v_lshrrev_b32_e32 v3, s6, v3
	v_mul_lo_u32 v3, v3, s4
	v_sub_u32_e32 v1, v1, v3
	v_mad_u64_u32 v[16:17], s[4:5], v1, s2, v[16:17]
	v_mad_u64_u32 v[18:19], s[2:3], v1, s3, v[18:19]
.LBB287_88:
	s_and_b64 vcc, exec, s[0:1]
	v_add_u32_e32 v3, 0x280, v24
	s_cbranch_vccnz .LBB287_94
; %bb.89:
	s_cmp_lg_u32 s33, 0
	s_mov_b32 s26, 0
	s_cbranch_scc0 .LBB287_95
; %bb.90:
	s_min_u32 s27, s54, 15
	s_add_i32 s27, s27, 1
	s_cmp_eq_u32 s54, 2
	s_cbranch_scc1 .LBB287_96
; %bb.91:
	s_and_b32 s26, s27, 28
	s_add_u32 s2, s34, 0xc4
	s_addc_u32 s3, s35, 0
	s_mov_b32 s28, 0
	v_mov_b32_e32 v20, 0
	v_mov_b32_e32 v22, 0
	s_mov_b64 s[24:25], s[34:35]
	v_mov_b32_e32 v5, v3
.LBB287_92:                             ; =>This Inner Loop Header: Depth=1
	s_load_dwordx8 s[12:19], s[24:25], 0x4
	s_load_dwordx4 s[20:23], s[24:25], 0x24
	s_load_dwordx8 s[4:11], s[2:3], 0x0
	s_add_u32 s24, s24, 48
	s_addc_u32 s25, s25, 0
	s_waitcnt lgkmcnt(0)
	v_mul_hi_u32 v1, s13, v5
	v_add_u32_e32 v1, v5, v1
	v_lshrrev_b32_e32 v1, s14, v1
	v_mul_lo_u32 v7, v1, s12
	v_mul_hi_u32 v9, s16, v1
	v_sub_u32_e32 v5, v5, v7
	v_add_u32_e32 v7, v1, v9
	v_lshrrev_b32_e32 v7, s17, v7
	v_mul_lo_u32 v11, v7, s15
	v_mul_hi_u32 v13, s19, v7
	v_sub_u32_e32 v1, v1, v11
	v_add_u32_e32 v11, v7, v13
	v_mul_lo_u32 v9, v5, s5
	v_mul_lo_u32 v5, v5, s4
	;; [unrolled: 1-line block ×4, first 2 shown]
	v_lshrrev_b32_e32 v11, s20, v11
	v_add3_u32 v1, v5, v20, v1
	v_add3_u32 v9, v9, v22, v13
	v_mul_lo_u32 v5, v11, s18
	v_mul_hi_u32 v13, s22, v11
	v_sub_u32_e32 v5, v7, v5
	v_add_u32_e32 v7, v11, v13
	v_mul_lo_u32 v13, v5, s8
	v_mul_lo_u32 v15, v5, s9
	v_lshrrev_b32_e32 v5, s23, v7
	s_add_i32 s28, s28, 4
	v_mul_lo_u32 v7, v5, s21
	s_add_u32 s2, s2, 32
	v_sub_u32_e32 v7, v11, v7
	s_addc_u32 s3, s3, 0
	v_mul_lo_u32 v11, v7, s10
	v_mul_lo_u32 v7, v7, s11
	s_cmp_lg_u32 s26, s28
	v_add3_u32 v22, v15, v9, v7
	v_add3_u32 v20, v13, v1, v11
	s_cbranch_scc1 .LBB287_92
; %bb.93:
	v_mov_b32_e32 v1, v22
	s_and_b32 s6, s27, 3
	s_cmp_eq_u32 s6, 0
	s_cbranch_scc0 .LBB287_97
	s_branch .LBB287_99
.LBB287_94:
                                        ; implicit-def: $vgpr22
                                        ; implicit-def: $vgpr20
	s_branch .LBB287_100
.LBB287_95:
	v_mov_b32_e32 v22, 0
	v_mov_b32_e32 v20, 0
	s_branch .LBB287_99
.LBB287_96:
	v_mov_b32_e32 v20, 0
                                        ; implicit-def: $vgpr22
	v_mov_b32_e32 v1, v20
	v_mov_b32_e32 v5, v3
	s_and_b32 s6, s27, 3
	s_cmp_eq_u32 s6, 0
	s_cbranch_scc1 .LBB287_99
.LBB287_97:
	s_lshl_b32 s2, s26, 3
	s_add_u32 s2, s34, s2
	s_addc_u32 s3, s35, 0
	s_add_u32 s2, s2, 0xc4
	s_addc_u32 s3, s3, 0
	s_mul_i32 s4, s26, 12
	s_add_u32 s4, s34, s4
	s_addc_u32 s5, s35, 0
.LBB287_98:                             ; =>This Inner Loop Header: Depth=1
	s_load_dwordx2 s[8:9], s[4:5], 0x4
	s_load_dword s7, s[4:5], 0xc
	s_load_dwordx2 s[10:11], s[2:3], 0x0
	v_mov_b32_e32 v22, v1
	s_add_u32 s4, s4, 12
	s_waitcnt lgkmcnt(0)
	v_mul_hi_u32 v1, s9, v5
	v_add_u32_e32 v1, v5, v1
	v_lshrrev_b32_e32 v1, s7, v1
	s_addc_u32 s5, s5, 0
	v_mul_lo_u32 v7, v1, s8
	s_add_u32 s2, s2, 8
	v_sub_u32_e32 v7, v5, v7
	s_addc_u32 s3, s3, 0
	s_add_i32 s6, s6, -1
	v_mad_u64_u32 v[22:23], s[8:9], v7, s11, v[22:23]
	s_cmp_lg_u32 s6, 0
	v_mov_b32_e32 v5, v1
	v_mad_u64_u32 v[20:21], s[8:9], v7, s10, v[20:21]
	v_mov_b32_e32 v1, v22
	s_cbranch_scc1 .LBB287_98
.LBB287_99:
	s_cbranch_execnz .LBB287_102
.LBB287_100:
	s_load_dwordx4 s[4:7], s[34:35], 0x4
	s_load_dwordx2 s[2:3], s[34:35], 0xc4
	s_cmp_lt_u32 s33, 2
	s_waitcnt lgkmcnt(0)
	v_mul_hi_u32 v1, s5, v3
	v_add_u32_e32 v1, v3, v1
	v_lshrrev_b32_e32 v1, s6, v1
	v_mul_lo_u32 v5, v1, s4
	v_sub_u32_e32 v3, v3, v5
	v_mul_lo_u32 v22, v3, s3
	v_mul_lo_u32 v20, v3, s2
	s_cbranch_scc1 .LBB287_102
; %bb.101:
	s_load_dwordx4 s[4:7], s[34:35], 0x10
	s_load_dwordx2 s[2:3], s[34:35], 0xcc
	s_waitcnt lgkmcnt(0)
	v_mul_hi_u32 v3, s5, v1
	v_add_u32_e32 v3, v1, v3
	v_lshrrev_b32_e32 v3, s6, v3
	v_mul_lo_u32 v3, v3, s4
	v_sub_u32_e32 v1, v1, v3
	v_mad_u64_u32 v[20:21], s[4:5], v1, s2, v[20:21]
	v_mad_u64_u32 v[22:23], s[2:3], v1, s3, v[22:23]
.LBB287_102:
	s_and_b64 vcc, exec, s[0:1]
	v_add_u32_e32 v3, 0x300, v24
	s_cbranch_vccnz .LBB287_108
; %bb.103:
	s_cmp_lg_u32 s33, 0
	s_mov_b32 s26, 0
	s_cbranch_scc0 .LBB287_109
; %bb.104:
	s_min_u32 s27, s54, 15
	s_add_i32 s27, s27, 1
	s_cmp_eq_u32 s54, 2
	s_cbranch_scc1 .LBB287_110
; %bb.105:
	s_and_b32 s26, s27, 28
	s_add_u32 s2, s34, 0xc4
	s_addc_u32 s3, s35, 0
	s_mov_b32 s28, 0
	v_mov_b32_e32 v24, 0
	v_mov_b32_e32 v26, 0
	s_mov_b64 s[24:25], s[34:35]
	v_mov_b32_e32 v5, v3
.LBB287_106:                            ; =>This Inner Loop Header: Depth=1
	s_load_dwordx8 s[12:19], s[24:25], 0x4
	s_load_dwordx4 s[20:23], s[24:25], 0x24
	s_load_dwordx8 s[4:11], s[2:3], 0x0
	s_add_u32 s24, s24, 48
	s_addc_u32 s25, s25, 0
	s_waitcnt lgkmcnt(0)
	v_mul_hi_u32 v1, s13, v5
	v_add_u32_e32 v1, v5, v1
	v_lshrrev_b32_e32 v1, s14, v1
	v_mul_lo_u32 v7, v1, s12
	v_mul_hi_u32 v9, s16, v1
	v_sub_u32_e32 v5, v5, v7
	v_add_u32_e32 v7, v1, v9
	v_lshrrev_b32_e32 v7, s17, v7
	v_mul_lo_u32 v11, v7, s15
	v_mul_hi_u32 v13, s19, v7
	v_sub_u32_e32 v1, v1, v11
	v_add_u32_e32 v11, v7, v13
	v_mul_lo_u32 v9, v5, s5
	v_mul_lo_u32 v5, v5, s4
	v_mul_lo_u32 v13, v1, s7
	v_mul_lo_u32 v1, v1, s6
	v_lshrrev_b32_e32 v11, s20, v11
	v_add3_u32 v1, v5, v24, v1
	v_add3_u32 v9, v9, v26, v13
	v_mul_lo_u32 v5, v11, s18
	v_mul_hi_u32 v13, s22, v11
	v_sub_u32_e32 v5, v7, v5
	v_add_u32_e32 v7, v11, v13
	v_mul_lo_u32 v13, v5, s8
	v_mul_lo_u32 v15, v5, s9
	v_lshrrev_b32_e32 v5, s23, v7
	s_add_i32 s28, s28, 4
	v_mul_lo_u32 v7, v5, s21
	s_add_u32 s2, s2, 32
	v_sub_u32_e32 v7, v11, v7
	s_addc_u32 s3, s3, 0
	v_mul_lo_u32 v11, v7, s10
	v_mul_lo_u32 v7, v7, s11
	s_cmp_lg_u32 s26, s28
	v_add3_u32 v26, v15, v9, v7
	v_add3_u32 v24, v13, v1, v11
	s_cbranch_scc1 .LBB287_106
; %bb.107:
	v_mov_b32_e32 v1, v26
	s_and_b32 s6, s27, 3
	s_cmp_eq_u32 s6, 0
	s_cbranch_scc0 .LBB287_111
	s_branch .LBB287_113
.LBB287_108:
                                        ; implicit-def: $vgpr26
                                        ; implicit-def: $vgpr24
	s_branch .LBB287_114
.LBB287_109:
	v_mov_b32_e32 v26, 0
	v_mov_b32_e32 v24, 0
	s_branch .LBB287_113
.LBB287_110:
	v_mov_b32_e32 v24, 0
                                        ; implicit-def: $vgpr26
	v_mov_b32_e32 v1, v24
	v_mov_b32_e32 v5, v3
	s_and_b32 s6, s27, 3
	s_cmp_eq_u32 s6, 0
	s_cbranch_scc1 .LBB287_113
.LBB287_111:
	s_lshl_b32 s2, s26, 3
	s_add_u32 s2, s34, s2
	s_addc_u32 s3, s35, 0
	s_add_u32 s2, s2, 0xc4
	s_addc_u32 s3, s3, 0
	s_mul_i32 s4, s26, 12
	s_add_u32 s4, s34, s4
	s_addc_u32 s5, s35, 0
.LBB287_112:                            ; =>This Inner Loop Header: Depth=1
	s_load_dwordx2 s[8:9], s[4:5], 0x4
	s_load_dword s7, s[4:5], 0xc
	s_load_dwordx2 s[10:11], s[2:3], 0x0
	v_mov_b32_e32 v26, v1
	s_add_u32 s4, s4, 12
	s_waitcnt lgkmcnt(0)
	v_mul_hi_u32 v1, s9, v5
	v_add_u32_e32 v1, v5, v1
	v_lshrrev_b32_e32 v1, s7, v1
	s_addc_u32 s5, s5, 0
	v_mul_lo_u32 v7, v1, s8
	s_add_u32 s2, s2, 8
	v_sub_u32_e32 v7, v5, v7
	s_addc_u32 s3, s3, 0
	s_add_i32 s6, s6, -1
	v_mad_u64_u32 v[26:27], s[8:9], v7, s11, v[26:27]
	s_cmp_lg_u32 s6, 0
	v_mov_b32_e32 v5, v1
	v_mad_u64_u32 v[24:25], s[8:9], v7, s10, v[24:25]
	v_mov_b32_e32 v1, v26
	s_cbranch_scc1 .LBB287_112
.LBB287_113:
	s_cbranch_execnz .LBB287_116
.LBB287_114:
	s_load_dwordx4 s[4:7], s[34:35], 0x4
	s_load_dwordx2 s[2:3], s[34:35], 0xc4
	s_cmp_lt_u32 s33, 2
	s_waitcnt lgkmcnt(0)
	v_mul_hi_u32 v1, s5, v3
	v_add_u32_e32 v1, v3, v1
	v_lshrrev_b32_e32 v1, s6, v1
	v_mul_lo_u32 v5, v1, s4
	v_sub_u32_e32 v3, v3, v5
	v_mul_lo_u32 v26, v3, s3
	v_mul_lo_u32 v24, v3, s2
	s_cbranch_scc1 .LBB287_116
; %bb.115:
	s_load_dwordx4 s[4:7], s[34:35], 0x10
	s_load_dwordx2 s[2:3], s[34:35], 0xcc
	s_waitcnt lgkmcnt(0)
	v_mul_hi_u32 v3, s5, v1
	v_add_u32_e32 v3, v1, v3
	v_lshrrev_b32_e32 v3, s6, v3
	v_mul_lo_u32 v3, v3, s4
	v_sub_u32_e32 v1, v1, v3
	v_mad_u64_u32 v[24:25], s[4:5], v1, s2, v[24:25]
	v_mad_u64_u32 v[26:27], s[2:3], v1, s3, v[26:27]
.LBB287_116:
	s_and_b64 vcc, exec, s[0:1]
	s_cbranch_vccnz .LBB287_122
; %bb.117:
	s_cmp_lg_u32 s33, 0
	s_mov_b32 s24, 0
	s_cbranch_scc0 .LBB287_123
; %bb.118:
	s_min_u32 s25, s54, 15
	s_add_i32 s25, s25, 1
	s_cmp_eq_u32 s54, 2
	s_cbranch_scc1 .LBB287_124
; %bb.119:
	s_and_b32 s24, s25, 28
	s_add_u32 s20, s34, 0xc4
	s_addc_u32 s21, s35, 0
	s_mov_b32 s26, 0
	v_mov_b32_e32 v28, 0
	v_mov_b32_e32 v30, 0
	s_mov_b64 s[22:23], s[34:35]
	v_mov_b32_e32 v3, v32
.LBB287_120:                            ; =>This Inner Loop Header: Depth=1
	s_load_dwordx8 s[8:15], s[22:23], 0x4
	s_load_dwordx4 s[16:19], s[22:23], 0x24
	s_load_dwordx8 s[0:7], s[20:21], 0x0
	s_add_u32 s22, s22, 48
	s_addc_u32 s23, s23, 0
	s_waitcnt lgkmcnt(0)
	v_mul_hi_u32 v1, s9, v3
	v_add_u32_e32 v1, v3, v1
	v_lshrrev_b32_e32 v1, s10, v1
	v_mul_lo_u32 v5, v1, s8
	v_mul_hi_u32 v7, s12, v1
	v_sub_u32_e32 v3, v3, v5
	v_add_u32_e32 v5, v1, v7
	v_lshrrev_b32_e32 v5, s13, v5
	v_mul_lo_u32 v9, v5, s11
	v_mul_hi_u32 v11, s15, v5
	v_sub_u32_e32 v1, v1, v9
	v_add_u32_e32 v9, v5, v11
	v_mul_lo_u32 v7, v3, s1
	v_mul_lo_u32 v3, v3, s0
	;; [unrolled: 1-line block ×4, first 2 shown]
	v_lshrrev_b32_e32 v9, s16, v9
	v_add3_u32 v1, v3, v28, v1
	v_add3_u32 v7, v7, v30, v11
	v_mul_lo_u32 v3, v9, s14
	v_mul_hi_u32 v11, s18, v9
	v_sub_u32_e32 v3, v5, v3
	v_add_u32_e32 v5, v9, v11
	v_mul_lo_u32 v11, v3, s4
	v_mul_lo_u32 v13, v3, s5
	v_lshrrev_b32_e32 v3, s19, v5
	s_add_i32 s26, s26, 4
	v_mul_lo_u32 v5, v3, s17
	s_add_u32 s20, s20, 32
	v_sub_u32_e32 v5, v9, v5
	s_addc_u32 s21, s21, 0
	v_mul_lo_u32 v9, v5, s6
	v_mul_lo_u32 v5, v5, s7
	s_cmp_lg_u32 s24, s26
	v_add3_u32 v30, v13, v7, v5
	v_add3_u32 v28, v11, v1, v9
	s_cbranch_scc1 .LBB287_120
; %bb.121:
	v_mov_b32_e32 v1, v30
	s_and_b32 s4, s25, 3
	s_cmp_eq_u32 s4, 0
	s_cbranch_scc0 .LBB287_125
	s_branch .LBB287_127
.LBB287_122:
                                        ; implicit-def: $vgpr30
                                        ; implicit-def: $vgpr28
	s_branch .LBB287_128
.LBB287_123:
	v_mov_b32_e32 v30, 0
	v_mov_b32_e32 v28, 0
	s_branch .LBB287_127
.LBB287_124:
	v_mov_b32_e32 v28, 0
                                        ; implicit-def: $vgpr30
	v_mov_b32_e32 v1, v28
	v_mov_b32_e32 v3, v32
	s_and_b32 s4, s25, 3
	s_cmp_eq_u32 s4, 0
	s_cbranch_scc1 .LBB287_127
.LBB287_125:
	s_lshl_b32 s0, s24, 3
	s_add_u32 s0, s34, s0
	s_addc_u32 s1, s35, 0
	s_add_u32 s0, s0, 0xc4
	s_addc_u32 s1, s1, 0
	s_mul_i32 s2, s24, 12
	s_add_u32 s2, s34, s2
	s_addc_u32 s3, s35, 0
.LBB287_126:                            ; =>This Inner Loop Header: Depth=1
	s_load_dwordx2 s[6:7], s[2:3], 0x4
	s_load_dword s5, s[2:3], 0xc
	s_load_dwordx2 s[8:9], s[0:1], 0x0
	v_mov_b32_e32 v30, v1
	s_add_u32 s2, s2, 12
	s_waitcnt lgkmcnt(0)
	v_mul_hi_u32 v1, s7, v3
	v_add_u32_e32 v1, v3, v1
	v_lshrrev_b32_e32 v1, s5, v1
	s_addc_u32 s3, s3, 0
	v_mul_lo_u32 v5, v1, s6
	s_add_u32 s0, s0, 8
	v_sub_u32_e32 v5, v3, v5
	s_addc_u32 s1, s1, 0
	s_add_i32 s4, s4, -1
	v_mad_u64_u32 v[30:31], s[6:7], v5, s9, v[30:31]
	s_cmp_lg_u32 s4, 0
	v_mov_b32_e32 v3, v1
	v_mad_u64_u32 v[28:29], s[6:7], v5, s8, v[28:29]
	v_mov_b32_e32 v1, v30
	s_cbranch_scc1 .LBB287_126
.LBB287_127:
	s_cbranch_execnz .LBB287_130
.LBB287_128:
	s_load_dwordx4 s[0:3], s[34:35], 0x4
	s_load_dwordx2 s[4:5], s[34:35], 0xc4
	s_cmp_lt_u32 s33, 2
	s_waitcnt lgkmcnt(0)
	v_mul_hi_u32 v1, s1, v32
	v_add_u32_e32 v1, v32, v1
	v_lshrrev_b32_e32 v1, s2, v1
	v_mul_lo_u32 v3, v1, s0
	v_sub_u32_e32 v3, v32, v3
	v_mul_lo_u32 v30, v3, s5
	v_mul_lo_u32 v28, v3, s4
	s_cbranch_scc1 .LBB287_130
; %bb.129:
	s_load_dwordx4 s[0:3], s[34:35], 0x10
	s_load_dwordx2 s[4:5], s[34:35], 0xcc
	s_waitcnt lgkmcnt(0)
	v_mul_hi_u32 v3, s1, v1
	v_add_u32_e32 v3, v1, v3
	v_lshrrev_b32_e32 v3, s2, v3
	v_mul_lo_u32 v3, v3, s0
	v_sub_u32_e32 v1, v1, v3
	v_mad_u64_u32 v[28:29], s[0:1], v1, s4, v[28:29]
	v_mad_u64_u32 v[30:31], s[0:1], v1, s5, v[30:31]
.LBB287_130:
	s_load_dwordx4 s[0:3], s[34:35], 0x148
	s_load_dword s4, s[34:35], 0x158
	s_waitcnt lgkmcnt(0)
	global_load_sbyte v1, v2, s[2:3]
	global_load_sbyte v3, v6, s[2:3]
	;; [unrolled: 1-line block ×8, first 2 shown]
	s_and_b32 s2, s4, 0xffff
	s_bfe_i32 s3, s4, 0x80000
	s_sext_i32_i16 s2, s2
	s_lshr_b32 s2, s2, 8
	s_waitcnt vmcnt(7)
	v_max_i16_e32 v1, s3, v1
	s_waitcnt vmcnt(6)
	v_max_i16_e32 v2, s3, v3
	;; [unrolled: 2-line block ×8, first 2 shown]
	v_min_i16_e32 v1, s2, v1
	v_min_i16_e32 v2, s2, v2
	;; [unrolled: 1-line block ×8, first 2 shown]
	global_store_byte v0, v1, s[0:1]
	global_store_byte v4, v2, s[0:1]
	;; [unrolled: 1-line block ×8, first 2 shown]
	s_endpgm
.LBB287_131:
	v_mov_b32_e32 v2, 0
	v_mov_b32_e32 v0, 0
	s_branch .LBB287_137
.LBB287_132:
	v_mov_b32_e32 v2, 0
	v_mov_b32_e32 v0, 0
	s_branch .LBB287_154
.LBB287_133:
	v_mov_b32_e32 v0, 0
	s_mov_b32 s59, 0
	v_mov_b32_e32 v1, v0
                                        ; implicit-def: $vgpr2
	v_mov_b32_e32 v4, v24
.LBB287_134:
	s_and_b32 s4, s60, 3
	s_cmp_eq_u32 s4, 0
	s_cbranch_scc1 .LBB287_137
; %bb.135:
	s_lshl_b32 s0, s59, 3
	s_add_u32 s0, s34, s0
	s_addc_u32 s1, s35, 0
	s_add_u32 s0, s0, 0xc4
	s_addc_u32 s1, s1, 0
	s_mul_i32 s2, s59, 12
	s_add_u32 s2, s34, s2
	s_addc_u32 s3, s35, 0
.LBB287_136:                            ; =>This Inner Loop Header: Depth=1
	s_load_dwordx2 s[6:7], s[2:3], 0x4
	s_load_dword s5, s[2:3], 0xc
	s_load_dwordx2 s[8:9], s[0:1], 0x0
	v_mov_b32_e32 v2, v1
	s_add_u32 s2, s2, 12
	s_waitcnt lgkmcnt(0)
	v_mul_hi_u32 v1, s7, v4
	v_add_u32_e32 v1, v4, v1
	v_lshrrev_b32_e32 v1, s5, v1
	s_addc_u32 s3, s3, 0
	v_mul_lo_u32 v3, v1, s6
	s_add_u32 s0, s0, 8
	v_sub_u32_e32 v5, v4, v3
	s_addc_u32 s1, s1, 0
	s_add_i32 s4, s4, -1
	v_mov_b32_e32 v4, v1
	v_mad_u64_u32 v[2:3], s[6:7], v5, s9, v[2:3]
	v_mad_u64_u32 v[0:1], s[6:7], v5, s8, v[0:1]
	s_cmp_lg_u32 s4, 0
	v_mov_b32_e32 v1, v2
	s_cbranch_scc1 .LBB287_136
.LBB287_137:
	s_cbranch_execnz .LBB287_140
.LBB287_138:
	v_mul_hi_u32 v0, s21, v24
	v_add_u32_e32 v0, v24, v0
	v_lshrrev_b32_e32 v1, s22, v0
	v_mul_lo_u32 v0, v1, s20
	v_sub_u32_e32 v0, v24, v0
	v_mul_lo_u32 v2, v0, s25
	s_andn2_b64 vcc, exec, s[42:43]
	v_mul_lo_u32 v0, v0, s24
	s_cbranch_vccnz .LBB287_140
; %bb.139:
	v_mul_hi_u32 v3, s40, v1
	v_add_u32_e32 v3, v1, v3
	v_lshrrev_b32_e32 v3, s41, v3
	v_mul_lo_u32 v3, v3, s23
	v_sub_u32_e32 v3, v1, v3
	v_mad_u64_u32 v[0:1], s[0:1], v3, s26, v[0:1]
	v_mad_u64_u32 v[2:3], s[0:1], v3, s27, v[2:3]
.LBB287_140:
	global_load_sbyte v1, v2, s[18:19]
	s_bfe_i32 s0, s55, 0x80000
	s_bfe_i32 s1, s56, 0x80000
	v_add_u32_e32 v24, 0x80, v24
	s_waitcnt vmcnt(0)
	v_max_i16_e32 v1, s0, v1
	v_min_i16_e32 v1, s1, v1
	global_store_byte v0, v1, s[16:17]
	s_or_b64 exec, exec, s[48:49]
	v_cmp_gt_i32_e32 vcc, s57, v24
	s_and_saveexec_b64 s[48:49], vcc
	s_cbranch_execnz .LBB287_16
.LBB287_141:
	s_or_b64 exec, exec, s[48:49]
	v_cmp_gt_i32_e32 vcc, s57, v24
	s_and_saveexec_b64 s[48:49], vcc
	s_cbranch_execz .LBB287_158
.LBB287_142:
	s_andn2_b64 vcc, exec, s[36:37]
	s_cbranch_vccnz .LBB287_148
; %bb.143:
	s_andn2_b64 vcc, exec, s[46:47]
	s_cbranch_vccnz .LBB287_149
; %bb.144:
	s_add_i32 s60, s58, 1
	s_cmp_eq_u32 s54, 2
	s_cbranch_scc1 .LBB287_167
; %bb.145:
	s_and_b32 s59, s60, 28
	s_mov_b32 s61, 0
	v_mov_b32_e32 v0, 0
	v_mov_b32_e32 v2, 0
	s_mov_b64 s[50:51], s[34:35]
	s_mov_b64 s[52:53], s[44:45]
	v_mov_b32_e32 v4, v24
.LBB287_146:                            ; =>This Inner Loop Header: Depth=1
	s_load_dwordx8 s[8:15], s[50:51], 0x4
	s_load_dwordx4 s[28:31], s[50:51], 0x24
	s_load_dwordx8 s[0:7], s[52:53], 0x0
	s_add_u32 s50, s50, 48
	s_addc_u32 s51, s51, 0
	s_waitcnt lgkmcnt(0)
	v_mul_hi_u32 v1, s9, v4
	v_add_u32_e32 v1, v4, v1
	v_lshrrev_b32_e32 v1, s10, v1
	v_mul_lo_u32 v3, v1, s8
	v_mul_hi_u32 v5, s12, v1
	v_sub_u32_e32 v3, v4, v3
	v_add_u32_e32 v4, v1, v5
	v_lshrrev_b32_e32 v4, s13, v4
	v_mul_lo_u32 v6, v4, s11
	v_mul_hi_u32 v7, s15, v4
	v_sub_u32_e32 v1, v1, v6
	v_add_u32_e32 v6, v4, v7
	v_mul_lo_u32 v5, v3, s1
	v_mul_lo_u32 v3, v3, s0
	;; [unrolled: 1-line block ×4, first 2 shown]
	v_lshrrev_b32_e32 v6, s28, v6
	v_add3_u32 v0, v3, v0, v1
	v_mul_hi_u32 v3, s30, v6
	v_add3_u32 v1, v5, v2, v7
	v_mul_lo_u32 v2, v6, s14
	v_add_u32_e32 v3, v6, v3
	v_sub_u32_e32 v2, v4, v2
	v_lshrrev_b32_e32 v4, s31, v3
	s_add_i32 s61, s61, 4
	v_mul_lo_u32 v3, v4, s29
	s_add_u32 s52, s52, 32
	v_sub_u32_e32 v3, v6, v3
	s_addc_u32 s53, s53, 0
	v_mul_lo_u32 v5, v2, s4
	v_mul_lo_u32 v2, v2, s5
	;; [unrolled: 1-line block ×4, first 2 shown]
	s_cmp_eq_u32 s59, s61
	v_add3_u32 v2, v2, v1, v3
	v_add3_u32 v0, v5, v0, v6
	s_cbranch_scc0 .LBB287_146
; %bb.147:
	v_mov_b32_e32 v1, v2
	s_branch .LBB287_168
.LBB287_148:
                                        ; implicit-def: $vgpr2
                                        ; implicit-def: $vgpr0
	s_branch .LBB287_172
.LBB287_149:
	v_mov_b32_e32 v2, 0
	v_mov_b32_e32 v0, 0
	s_branch .LBB287_171
.LBB287_150:
	v_mov_b32_e32 v0, 0
	s_mov_b32 s59, 0
	v_mov_b32_e32 v1, v0
                                        ; implicit-def: $vgpr2
	v_mov_b32_e32 v4, v24
.LBB287_151:
	s_and_b32 s4, s60, 3
	s_cmp_eq_u32 s4, 0
	s_cbranch_scc1 .LBB287_154
; %bb.152:
	s_lshl_b32 s0, s59, 3
	s_add_u32 s0, s34, s0
	s_addc_u32 s1, s35, 0
	s_add_u32 s0, s0, 0xc4
	s_addc_u32 s1, s1, 0
	s_mul_i32 s2, s59, 12
	s_add_u32 s2, s34, s2
	s_addc_u32 s3, s35, 0
.LBB287_153:                            ; =>This Inner Loop Header: Depth=1
	s_load_dwordx2 s[6:7], s[2:3], 0x4
	s_load_dword s5, s[2:3], 0xc
	s_load_dwordx2 s[8:9], s[0:1], 0x0
	v_mov_b32_e32 v2, v1
	s_add_u32 s2, s2, 12
	s_waitcnt lgkmcnt(0)
	v_mul_hi_u32 v1, s7, v4
	v_add_u32_e32 v1, v4, v1
	v_lshrrev_b32_e32 v1, s5, v1
	s_addc_u32 s3, s3, 0
	v_mul_lo_u32 v3, v1, s6
	s_add_u32 s0, s0, 8
	v_sub_u32_e32 v5, v4, v3
	s_addc_u32 s1, s1, 0
	s_add_i32 s4, s4, -1
	v_mov_b32_e32 v4, v1
	v_mad_u64_u32 v[2:3], s[6:7], v5, s9, v[2:3]
	v_mad_u64_u32 v[0:1], s[6:7], v5, s8, v[0:1]
	s_cmp_lg_u32 s4, 0
	v_mov_b32_e32 v1, v2
	s_cbranch_scc1 .LBB287_153
.LBB287_154:
	s_cbranch_execnz .LBB287_157
.LBB287_155:
	v_mul_hi_u32 v0, s21, v24
	v_add_u32_e32 v0, v24, v0
	v_lshrrev_b32_e32 v1, s22, v0
	v_mul_lo_u32 v0, v1, s20
	v_sub_u32_e32 v0, v24, v0
	v_mul_lo_u32 v2, v0, s25
	s_andn2_b64 vcc, exec, s[42:43]
	v_mul_lo_u32 v0, v0, s24
	s_cbranch_vccnz .LBB287_157
; %bb.156:
	v_mul_hi_u32 v3, s40, v1
	v_add_u32_e32 v3, v1, v3
	v_lshrrev_b32_e32 v3, s41, v3
	v_mul_lo_u32 v3, v3, s23
	v_sub_u32_e32 v3, v1, v3
	v_mad_u64_u32 v[0:1], s[0:1], v3, s26, v[0:1]
	v_mad_u64_u32 v[2:3], s[0:1], v3, s27, v[2:3]
.LBB287_157:
	global_load_sbyte v1, v2, s[18:19]
	s_bfe_i32 s0, s55, 0x80000
	s_bfe_i32 s1, s56, 0x80000
	v_add_u32_e32 v24, 0x80, v24
	s_waitcnt vmcnt(0)
	v_max_i16_e32 v1, s0, v1
	v_min_i16_e32 v1, s1, v1
	global_store_byte v0, v1, s[16:17]
	s_or_b64 exec, exec, s[48:49]
	v_cmp_gt_i32_e32 vcc, s57, v24
	s_and_saveexec_b64 s[48:49], vcc
	s_cbranch_execnz .LBB287_142
.LBB287_158:
	s_or_b64 exec, exec, s[48:49]
	v_cmp_gt_i32_e32 vcc, s57, v24
	s_and_saveexec_b64 s[48:49], vcc
	s_cbranch_execz .LBB287_175
.LBB287_159:
	s_andn2_b64 vcc, exec, s[36:37]
	s_cbranch_vccnz .LBB287_165
; %bb.160:
	s_andn2_b64 vcc, exec, s[46:47]
	s_cbranch_vccnz .LBB287_166
; %bb.161:
	s_add_i32 s60, s58, 1
	s_cmp_eq_u32 s54, 2
	s_cbranch_scc1 .LBB287_184
; %bb.162:
	s_and_b32 s59, s60, 28
	s_mov_b32 s61, 0
	v_mov_b32_e32 v0, 0
	v_mov_b32_e32 v2, 0
	s_mov_b64 s[50:51], s[34:35]
	s_mov_b64 s[52:53], s[44:45]
	v_mov_b32_e32 v4, v24
.LBB287_163:                            ; =>This Inner Loop Header: Depth=1
	s_load_dwordx8 s[8:15], s[50:51], 0x4
	s_load_dwordx4 s[28:31], s[50:51], 0x24
	s_load_dwordx8 s[0:7], s[52:53], 0x0
	s_add_u32 s50, s50, 48
	s_addc_u32 s51, s51, 0
	s_waitcnt lgkmcnt(0)
	v_mul_hi_u32 v1, s9, v4
	v_add_u32_e32 v1, v4, v1
	v_lshrrev_b32_e32 v1, s10, v1
	v_mul_lo_u32 v3, v1, s8
	v_mul_hi_u32 v5, s12, v1
	v_sub_u32_e32 v3, v4, v3
	v_add_u32_e32 v4, v1, v5
	v_lshrrev_b32_e32 v4, s13, v4
	v_mul_lo_u32 v6, v4, s11
	v_mul_hi_u32 v7, s15, v4
	v_sub_u32_e32 v1, v1, v6
	v_add_u32_e32 v6, v4, v7
	v_mul_lo_u32 v5, v3, s1
	v_mul_lo_u32 v3, v3, s0
	;; [unrolled: 1-line block ×4, first 2 shown]
	v_lshrrev_b32_e32 v6, s28, v6
	v_add3_u32 v0, v3, v0, v1
	v_mul_hi_u32 v3, s30, v6
	v_add3_u32 v1, v5, v2, v7
	v_mul_lo_u32 v2, v6, s14
	v_add_u32_e32 v3, v6, v3
	v_sub_u32_e32 v2, v4, v2
	v_lshrrev_b32_e32 v4, s31, v3
	s_add_i32 s61, s61, 4
	v_mul_lo_u32 v3, v4, s29
	s_add_u32 s52, s52, 32
	v_sub_u32_e32 v3, v6, v3
	s_addc_u32 s53, s53, 0
	v_mul_lo_u32 v5, v2, s4
	v_mul_lo_u32 v2, v2, s5
	;; [unrolled: 1-line block ×4, first 2 shown]
	s_cmp_eq_u32 s59, s61
	v_add3_u32 v2, v2, v1, v3
	v_add3_u32 v0, v5, v0, v6
	s_cbranch_scc0 .LBB287_163
; %bb.164:
	v_mov_b32_e32 v1, v2
	s_branch .LBB287_185
.LBB287_165:
                                        ; implicit-def: $vgpr2
                                        ; implicit-def: $vgpr0
	s_branch .LBB287_189
.LBB287_166:
	v_mov_b32_e32 v2, 0
	v_mov_b32_e32 v0, 0
	s_branch .LBB287_188
.LBB287_167:
	v_mov_b32_e32 v0, 0
	s_mov_b32 s59, 0
	v_mov_b32_e32 v1, v0
                                        ; implicit-def: $vgpr2
	v_mov_b32_e32 v4, v24
.LBB287_168:
	s_and_b32 s4, s60, 3
	s_cmp_eq_u32 s4, 0
	s_cbranch_scc1 .LBB287_171
; %bb.169:
	s_lshl_b32 s0, s59, 3
	s_add_u32 s0, s34, s0
	s_addc_u32 s1, s35, 0
	s_add_u32 s0, s0, 0xc4
	s_addc_u32 s1, s1, 0
	s_mul_i32 s2, s59, 12
	s_add_u32 s2, s34, s2
	s_addc_u32 s3, s35, 0
.LBB287_170:                            ; =>This Inner Loop Header: Depth=1
	s_load_dwordx2 s[6:7], s[2:3], 0x4
	s_load_dword s5, s[2:3], 0xc
	s_load_dwordx2 s[8:9], s[0:1], 0x0
	v_mov_b32_e32 v2, v1
	s_add_u32 s2, s2, 12
	s_waitcnt lgkmcnt(0)
	v_mul_hi_u32 v1, s7, v4
	v_add_u32_e32 v1, v4, v1
	v_lshrrev_b32_e32 v1, s5, v1
	s_addc_u32 s3, s3, 0
	v_mul_lo_u32 v3, v1, s6
	s_add_u32 s0, s0, 8
	v_sub_u32_e32 v5, v4, v3
	s_addc_u32 s1, s1, 0
	s_add_i32 s4, s4, -1
	v_mov_b32_e32 v4, v1
	v_mad_u64_u32 v[2:3], s[6:7], v5, s9, v[2:3]
	v_mad_u64_u32 v[0:1], s[6:7], v5, s8, v[0:1]
	s_cmp_lg_u32 s4, 0
	v_mov_b32_e32 v1, v2
	s_cbranch_scc1 .LBB287_170
.LBB287_171:
	s_cbranch_execnz .LBB287_174
.LBB287_172:
	v_mul_hi_u32 v0, s21, v24
	v_add_u32_e32 v0, v24, v0
	v_lshrrev_b32_e32 v1, s22, v0
	v_mul_lo_u32 v0, v1, s20
	v_sub_u32_e32 v0, v24, v0
	v_mul_lo_u32 v2, v0, s25
	s_andn2_b64 vcc, exec, s[42:43]
	v_mul_lo_u32 v0, v0, s24
	s_cbranch_vccnz .LBB287_174
; %bb.173:
	v_mul_hi_u32 v3, s40, v1
	v_add_u32_e32 v3, v1, v3
	v_lshrrev_b32_e32 v3, s41, v3
	v_mul_lo_u32 v3, v3, s23
	v_sub_u32_e32 v3, v1, v3
	v_mad_u64_u32 v[0:1], s[0:1], v3, s26, v[0:1]
	v_mad_u64_u32 v[2:3], s[0:1], v3, s27, v[2:3]
.LBB287_174:
	global_load_sbyte v1, v2, s[18:19]
	s_bfe_i32 s0, s55, 0x80000
	s_bfe_i32 s1, s56, 0x80000
	v_add_u32_e32 v24, 0x80, v24
	s_waitcnt vmcnt(0)
	v_max_i16_e32 v1, s0, v1
	v_min_i16_e32 v1, s1, v1
	global_store_byte v0, v1, s[16:17]
	s_or_b64 exec, exec, s[48:49]
	v_cmp_gt_i32_e32 vcc, s57, v24
	s_and_saveexec_b64 s[48:49], vcc
	s_cbranch_execnz .LBB287_159
.LBB287_175:
	s_or_b64 exec, exec, s[48:49]
	v_cmp_gt_i32_e32 vcc, s57, v24
	s_and_saveexec_b64 s[48:49], vcc
	s_cbranch_execz .LBB287_192
.LBB287_176:
	s_andn2_b64 vcc, exec, s[36:37]
	s_cbranch_vccnz .LBB287_182
; %bb.177:
	s_andn2_b64 vcc, exec, s[46:47]
	s_cbranch_vccnz .LBB287_183
; %bb.178:
	s_add_i32 s60, s58, 1
	s_cmp_eq_u32 s54, 2
	s_cbranch_scc1 .LBB287_201
; %bb.179:
	s_and_b32 s59, s60, 28
	s_mov_b32 s61, 0
	v_mov_b32_e32 v0, 0
	v_mov_b32_e32 v2, 0
	s_mov_b64 s[50:51], s[34:35]
	s_mov_b64 s[52:53], s[44:45]
	v_mov_b32_e32 v4, v24
.LBB287_180:                            ; =>This Inner Loop Header: Depth=1
	s_load_dwordx8 s[8:15], s[50:51], 0x4
	s_load_dwordx4 s[28:31], s[50:51], 0x24
	s_load_dwordx8 s[0:7], s[52:53], 0x0
	s_add_u32 s50, s50, 48
	s_addc_u32 s51, s51, 0
	s_waitcnt lgkmcnt(0)
	v_mul_hi_u32 v1, s9, v4
	v_add_u32_e32 v1, v4, v1
	v_lshrrev_b32_e32 v1, s10, v1
	v_mul_lo_u32 v3, v1, s8
	v_mul_hi_u32 v5, s12, v1
	v_sub_u32_e32 v3, v4, v3
	v_add_u32_e32 v4, v1, v5
	v_lshrrev_b32_e32 v4, s13, v4
	v_mul_lo_u32 v6, v4, s11
	v_mul_hi_u32 v7, s15, v4
	v_sub_u32_e32 v1, v1, v6
	v_add_u32_e32 v6, v4, v7
	v_mul_lo_u32 v5, v3, s1
	v_mul_lo_u32 v3, v3, s0
	v_mul_lo_u32 v7, v1, s3
	v_mul_lo_u32 v1, v1, s2
	v_lshrrev_b32_e32 v6, s28, v6
	v_add3_u32 v0, v3, v0, v1
	v_mul_hi_u32 v3, s30, v6
	v_add3_u32 v1, v5, v2, v7
	v_mul_lo_u32 v2, v6, s14
	v_add_u32_e32 v3, v6, v3
	v_sub_u32_e32 v2, v4, v2
	v_lshrrev_b32_e32 v4, s31, v3
	s_add_i32 s61, s61, 4
	v_mul_lo_u32 v3, v4, s29
	s_add_u32 s52, s52, 32
	v_sub_u32_e32 v3, v6, v3
	s_addc_u32 s53, s53, 0
	v_mul_lo_u32 v5, v2, s4
	v_mul_lo_u32 v2, v2, s5
	v_mul_lo_u32 v6, v3, s6
	v_mul_lo_u32 v3, v3, s7
	s_cmp_eq_u32 s59, s61
	v_add3_u32 v2, v2, v1, v3
	v_add3_u32 v0, v5, v0, v6
	s_cbranch_scc0 .LBB287_180
; %bb.181:
	v_mov_b32_e32 v1, v2
	s_branch .LBB287_202
.LBB287_182:
                                        ; implicit-def: $vgpr2
                                        ; implicit-def: $vgpr0
	s_branch .LBB287_206
.LBB287_183:
	v_mov_b32_e32 v2, 0
	v_mov_b32_e32 v0, 0
	s_branch .LBB287_205
.LBB287_184:
	v_mov_b32_e32 v0, 0
	s_mov_b32 s59, 0
	v_mov_b32_e32 v1, v0
                                        ; implicit-def: $vgpr2
	v_mov_b32_e32 v4, v24
.LBB287_185:
	s_and_b32 s4, s60, 3
	s_cmp_eq_u32 s4, 0
	s_cbranch_scc1 .LBB287_188
; %bb.186:
	s_lshl_b32 s0, s59, 3
	s_add_u32 s0, s34, s0
	s_addc_u32 s1, s35, 0
	s_add_u32 s0, s0, 0xc4
	s_addc_u32 s1, s1, 0
	s_mul_i32 s2, s59, 12
	s_add_u32 s2, s34, s2
	s_addc_u32 s3, s35, 0
.LBB287_187:                            ; =>This Inner Loop Header: Depth=1
	s_load_dwordx2 s[6:7], s[2:3], 0x4
	s_load_dword s5, s[2:3], 0xc
	s_load_dwordx2 s[8:9], s[0:1], 0x0
	v_mov_b32_e32 v2, v1
	s_add_u32 s2, s2, 12
	s_waitcnt lgkmcnt(0)
	v_mul_hi_u32 v1, s7, v4
	v_add_u32_e32 v1, v4, v1
	v_lshrrev_b32_e32 v1, s5, v1
	s_addc_u32 s3, s3, 0
	v_mul_lo_u32 v3, v1, s6
	s_add_u32 s0, s0, 8
	v_sub_u32_e32 v5, v4, v3
	s_addc_u32 s1, s1, 0
	s_add_i32 s4, s4, -1
	v_mov_b32_e32 v4, v1
	v_mad_u64_u32 v[2:3], s[6:7], v5, s9, v[2:3]
	v_mad_u64_u32 v[0:1], s[6:7], v5, s8, v[0:1]
	s_cmp_lg_u32 s4, 0
	v_mov_b32_e32 v1, v2
	s_cbranch_scc1 .LBB287_187
.LBB287_188:
	s_cbranch_execnz .LBB287_191
.LBB287_189:
	v_mul_hi_u32 v0, s21, v24
	v_add_u32_e32 v0, v24, v0
	v_lshrrev_b32_e32 v1, s22, v0
	v_mul_lo_u32 v0, v1, s20
	v_sub_u32_e32 v0, v24, v0
	v_mul_lo_u32 v2, v0, s25
	s_andn2_b64 vcc, exec, s[42:43]
	v_mul_lo_u32 v0, v0, s24
	s_cbranch_vccnz .LBB287_191
; %bb.190:
	v_mul_hi_u32 v3, s40, v1
	v_add_u32_e32 v3, v1, v3
	v_lshrrev_b32_e32 v3, s41, v3
	v_mul_lo_u32 v3, v3, s23
	v_sub_u32_e32 v3, v1, v3
	v_mad_u64_u32 v[0:1], s[0:1], v3, s26, v[0:1]
	v_mad_u64_u32 v[2:3], s[0:1], v3, s27, v[2:3]
.LBB287_191:
	global_load_sbyte v1, v2, s[18:19]
	s_bfe_i32 s0, s55, 0x80000
	s_bfe_i32 s1, s56, 0x80000
	v_add_u32_e32 v24, 0x80, v24
	s_waitcnt vmcnt(0)
	v_max_i16_e32 v1, s0, v1
	v_min_i16_e32 v1, s1, v1
	global_store_byte v0, v1, s[16:17]
	s_or_b64 exec, exec, s[48:49]
	v_cmp_gt_i32_e32 vcc, s57, v24
	s_and_saveexec_b64 s[48:49], vcc
	s_cbranch_execnz .LBB287_176
.LBB287_192:
	s_or_b64 exec, exec, s[48:49]
	v_cmp_gt_i32_e32 vcc, s57, v24
	s_and_saveexec_b64 s[48:49], vcc
	s_cbranch_execz .LBB287_209
.LBB287_193:
	s_andn2_b64 vcc, exec, s[36:37]
	s_cbranch_vccnz .LBB287_199
; %bb.194:
	s_andn2_b64 vcc, exec, s[46:47]
	s_cbranch_vccnz .LBB287_200
; %bb.195:
	s_add_i32 s60, s58, 1
	s_cmp_eq_u32 s54, 2
	s_cbranch_scc1 .LBB287_218
; %bb.196:
	s_and_b32 s59, s60, 28
	s_mov_b32 s61, 0
	v_mov_b32_e32 v0, 0
	v_mov_b32_e32 v2, 0
	s_mov_b64 s[50:51], s[34:35]
	s_mov_b64 s[52:53], s[44:45]
	v_mov_b32_e32 v4, v24
.LBB287_197:                            ; =>This Inner Loop Header: Depth=1
	s_load_dwordx8 s[8:15], s[50:51], 0x4
	s_load_dwordx4 s[28:31], s[50:51], 0x24
	s_load_dwordx8 s[0:7], s[52:53], 0x0
	s_add_u32 s50, s50, 48
	s_addc_u32 s51, s51, 0
	s_waitcnt lgkmcnt(0)
	v_mul_hi_u32 v1, s9, v4
	v_add_u32_e32 v1, v4, v1
	v_lshrrev_b32_e32 v1, s10, v1
	v_mul_lo_u32 v3, v1, s8
	v_mul_hi_u32 v5, s12, v1
	v_sub_u32_e32 v3, v4, v3
	v_add_u32_e32 v4, v1, v5
	v_lshrrev_b32_e32 v4, s13, v4
	v_mul_lo_u32 v6, v4, s11
	v_mul_hi_u32 v7, s15, v4
	v_sub_u32_e32 v1, v1, v6
	v_add_u32_e32 v6, v4, v7
	v_mul_lo_u32 v5, v3, s1
	v_mul_lo_u32 v3, v3, s0
	;; [unrolled: 1-line block ×4, first 2 shown]
	v_lshrrev_b32_e32 v6, s28, v6
	v_add3_u32 v0, v3, v0, v1
	v_mul_hi_u32 v3, s30, v6
	v_add3_u32 v1, v5, v2, v7
	v_mul_lo_u32 v2, v6, s14
	v_add_u32_e32 v3, v6, v3
	v_sub_u32_e32 v2, v4, v2
	v_lshrrev_b32_e32 v4, s31, v3
	s_add_i32 s61, s61, 4
	v_mul_lo_u32 v3, v4, s29
	s_add_u32 s52, s52, 32
	v_sub_u32_e32 v3, v6, v3
	s_addc_u32 s53, s53, 0
	v_mul_lo_u32 v5, v2, s4
	v_mul_lo_u32 v2, v2, s5
	v_mul_lo_u32 v6, v3, s6
	v_mul_lo_u32 v3, v3, s7
	s_cmp_eq_u32 s59, s61
	v_add3_u32 v2, v2, v1, v3
	v_add3_u32 v0, v5, v0, v6
	s_cbranch_scc0 .LBB287_197
; %bb.198:
	v_mov_b32_e32 v1, v2
	s_branch .LBB287_219
.LBB287_199:
                                        ; implicit-def: $vgpr2
                                        ; implicit-def: $vgpr0
	s_branch .LBB287_223
.LBB287_200:
	v_mov_b32_e32 v2, 0
	v_mov_b32_e32 v0, 0
	s_branch .LBB287_222
.LBB287_201:
	v_mov_b32_e32 v0, 0
	s_mov_b32 s59, 0
	v_mov_b32_e32 v1, v0
                                        ; implicit-def: $vgpr2
	v_mov_b32_e32 v4, v24
.LBB287_202:
	s_and_b32 s4, s60, 3
	s_cmp_eq_u32 s4, 0
	s_cbranch_scc1 .LBB287_205
; %bb.203:
	s_lshl_b32 s0, s59, 3
	s_add_u32 s0, s34, s0
	s_addc_u32 s1, s35, 0
	s_add_u32 s0, s0, 0xc4
	s_addc_u32 s1, s1, 0
	s_mul_i32 s2, s59, 12
	s_add_u32 s2, s34, s2
	s_addc_u32 s3, s35, 0
.LBB287_204:                            ; =>This Inner Loop Header: Depth=1
	s_load_dwordx2 s[6:7], s[2:3], 0x4
	s_load_dword s5, s[2:3], 0xc
	s_load_dwordx2 s[8:9], s[0:1], 0x0
	v_mov_b32_e32 v2, v1
	s_add_u32 s2, s2, 12
	s_waitcnt lgkmcnt(0)
	v_mul_hi_u32 v1, s7, v4
	v_add_u32_e32 v1, v4, v1
	v_lshrrev_b32_e32 v1, s5, v1
	s_addc_u32 s3, s3, 0
	v_mul_lo_u32 v3, v1, s6
	s_add_u32 s0, s0, 8
	v_sub_u32_e32 v5, v4, v3
	s_addc_u32 s1, s1, 0
	s_add_i32 s4, s4, -1
	v_mov_b32_e32 v4, v1
	v_mad_u64_u32 v[2:3], s[6:7], v5, s9, v[2:3]
	v_mad_u64_u32 v[0:1], s[6:7], v5, s8, v[0:1]
	s_cmp_lg_u32 s4, 0
	v_mov_b32_e32 v1, v2
	s_cbranch_scc1 .LBB287_204
.LBB287_205:
	s_cbranch_execnz .LBB287_208
.LBB287_206:
	v_mul_hi_u32 v0, s21, v24
	v_add_u32_e32 v0, v24, v0
	v_lshrrev_b32_e32 v1, s22, v0
	v_mul_lo_u32 v0, v1, s20
	v_sub_u32_e32 v0, v24, v0
	v_mul_lo_u32 v2, v0, s25
	s_andn2_b64 vcc, exec, s[42:43]
	v_mul_lo_u32 v0, v0, s24
	s_cbranch_vccnz .LBB287_208
; %bb.207:
	v_mul_hi_u32 v3, s40, v1
	v_add_u32_e32 v3, v1, v3
	v_lshrrev_b32_e32 v3, s41, v3
	v_mul_lo_u32 v3, v3, s23
	v_sub_u32_e32 v3, v1, v3
	v_mad_u64_u32 v[0:1], s[0:1], v3, s26, v[0:1]
	v_mad_u64_u32 v[2:3], s[0:1], v3, s27, v[2:3]
.LBB287_208:
	global_load_sbyte v1, v2, s[18:19]
	s_bfe_i32 s0, s55, 0x80000
	s_bfe_i32 s1, s56, 0x80000
	v_add_u32_e32 v24, 0x80, v24
	s_waitcnt vmcnt(0)
	v_max_i16_e32 v1, s0, v1
	v_min_i16_e32 v1, s1, v1
	global_store_byte v0, v1, s[16:17]
	s_or_b64 exec, exec, s[48:49]
	v_cmp_gt_i32_e32 vcc, s57, v24
	s_and_saveexec_b64 s[48:49], vcc
	s_cbranch_execnz .LBB287_193
.LBB287_209:
	s_or_b64 exec, exec, s[48:49]
	v_cmp_gt_i32_e32 vcc, s57, v24
	s_and_saveexec_b64 s[48:49], vcc
	s_cbranch_execz .LBB287_226
.LBB287_210:
	s_andn2_b64 vcc, exec, s[36:37]
	s_cbranch_vccnz .LBB287_216
; %bb.211:
	s_andn2_b64 vcc, exec, s[46:47]
	s_cbranch_vccnz .LBB287_217
; %bb.212:
	s_add_i32 s60, s58, 1
	s_cmp_eq_u32 s54, 2
	s_cbranch_scc1 .LBB287_229
; %bb.213:
	s_and_b32 s59, s60, 28
	s_mov_b32 s61, 0
	v_mov_b32_e32 v0, 0
	v_mov_b32_e32 v2, 0
	s_mov_b64 s[50:51], s[34:35]
	s_mov_b64 s[52:53], s[44:45]
	v_mov_b32_e32 v4, v24
.LBB287_214:                            ; =>This Inner Loop Header: Depth=1
	s_load_dwordx8 s[8:15], s[50:51], 0x4
	s_load_dwordx4 s[28:31], s[50:51], 0x24
	s_load_dwordx8 s[0:7], s[52:53], 0x0
	s_add_u32 s50, s50, 48
	s_addc_u32 s51, s51, 0
	s_waitcnt lgkmcnt(0)
	v_mul_hi_u32 v1, s9, v4
	v_add_u32_e32 v1, v4, v1
	v_lshrrev_b32_e32 v1, s10, v1
	v_mul_lo_u32 v3, v1, s8
	v_mul_hi_u32 v5, s12, v1
	v_sub_u32_e32 v3, v4, v3
	v_add_u32_e32 v4, v1, v5
	v_lshrrev_b32_e32 v4, s13, v4
	v_mul_lo_u32 v6, v4, s11
	v_mul_hi_u32 v7, s15, v4
	v_sub_u32_e32 v1, v1, v6
	v_add_u32_e32 v6, v4, v7
	v_mul_lo_u32 v5, v3, s1
	v_mul_lo_u32 v3, v3, s0
	v_mul_lo_u32 v7, v1, s3
	v_mul_lo_u32 v1, v1, s2
	v_lshrrev_b32_e32 v6, s28, v6
	v_add3_u32 v0, v3, v0, v1
	v_mul_hi_u32 v3, s30, v6
	v_add3_u32 v1, v5, v2, v7
	v_mul_lo_u32 v2, v6, s14
	v_add_u32_e32 v3, v6, v3
	v_sub_u32_e32 v2, v4, v2
	v_lshrrev_b32_e32 v4, s31, v3
	s_add_i32 s61, s61, 4
	v_mul_lo_u32 v3, v4, s29
	s_add_u32 s52, s52, 32
	v_sub_u32_e32 v3, v6, v3
	s_addc_u32 s53, s53, 0
	v_mul_lo_u32 v5, v2, s4
	v_mul_lo_u32 v2, v2, s5
	;; [unrolled: 1-line block ×4, first 2 shown]
	s_cmp_eq_u32 s59, s61
	v_add3_u32 v2, v2, v1, v3
	v_add3_u32 v0, v5, v0, v6
	s_cbranch_scc0 .LBB287_214
; %bb.215:
	v_mov_b32_e32 v1, v2
	s_branch .LBB287_230
.LBB287_216:
                                        ; implicit-def: $vgpr2
                                        ; implicit-def: $vgpr0
	s_branch .LBB287_234
.LBB287_217:
	v_mov_b32_e32 v2, 0
	v_mov_b32_e32 v0, 0
	s_branch .LBB287_233
.LBB287_218:
	v_mov_b32_e32 v0, 0
	s_mov_b32 s59, 0
	v_mov_b32_e32 v1, v0
                                        ; implicit-def: $vgpr2
	v_mov_b32_e32 v4, v24
.LBB287_219:
	s_and_b32 s4, s60, 3
	s_cmp_eq_u32 s4, 0
	s_cbranch_scc1 .LBB287_222
; %bb.220:
	s_lshl_b32 s0, s59, 3
	s_add_u32 s0, s34, s0
	s_addc_u32 s1, s35, 0
	s_add_u32 s0, s0, 0xc4
	s_addc_u32 s1, s1, 0
	s_mul_i32 s2, s59, 12
	s_add_u32 s2, s34, s2
	s_addc_u32 s3, s35, 0
.LBB287_221:                            ; =>This Inner Loop Header: Depth=1
	s_load_dwordx2 s[6:7], s[2:3], 0x4
	s_load_dword s5, s[2:3], 0xc
	s_load_dwordx2 s[8:9], s[0:1], 0x0
	v_mov_b32_e32 v2, v1
	s_add_u32 s2, s2, 12
	s_waitcnt lgkmcnt(0)
	v_mul_hi_u32 v1, s7, v4
	v_add_u32_e32 v1, v4, v1
	v_lshrrev_b32_e32 v1, s5, v1
	s_addc_u32 s3, s3, 0
	v_mul_lo_u32 v3, v1, s6
	s_add_u32 s0, s0, 8
	v_sub_u32_e32 v5, v4, v3
	s_addc_u32 s1, s1, 0
	s_add_i32 s4, s4, -1
	v_mov_b32_e32 v4, v1
	v_mad_u64_u32 v[2:3], s[6:7], v5, s9, v[2:3]
	v_mad_u64_u32 v[0:1], s[6:7], v5, s8, v[0:1]
	s_cmp_lg_u32 s4, 0
	v_mov_b32_e32 v1, v2
	s_cbranch_scc1 .LBB287_221
.LBB287_222:
	s_cbranch_execnz .LBB287_225
.LBB287_223:
	v_mul_hi_u32 v0, s21, v24
	v_add_u32_e32 v0, v24, v0
	v_lshrrev_b32_e32 v1, s22, v0
	v_mul_lo_u32 v0, v1, s20
	v_sub_u32_e32 v0, v24, v0
	v_mul_lo_u32 v2, v0, s25
	s_andn2_b64 vcc, exec, s[42:43]
	v_mul_lo_u32 v0, v0, s24
	s_cbranch_vccnz .LBB287_225
; %bb.224:
	v_mul_hi_u32 v3, s40, v1
	v_add_u32_e32 v3, v1, v3
	v_lshrrev_b32_e32 v3, s41, v3
	v_mul_lo_u32 v3, v3, s23
	v_sub_u32_e32 v3, v1, v3
	v_mad_u64_u32 v[0:1], s[0:1], v3, s26, v[0:1]
	v_mad_u64_u32 v[2:3], s[0:1], v3, s27, v[2:3]
.LBB287_225:
	global_load_sbyte v1, v2, s[18:19]
	s_bfe_i32 s0, s55, 0x80000
	s_bfe_i32 s1, s56, 0x80000
	v_add_u32_e32 v24, 0x80, v24
	s_waitcnt vmcnt(0)
	v_max_i16_e32 v1, s0, v1
	v_min_i16_e32 v1, s1, v1
	global_store_byte v0, v1, s[16:17]
	s_or_b64 exec, exec, s[48:49]
	v_cmp_gt_i32_e32 vcc, s57, v24
	s_and_saveexec_b64 s[48:49], vcc
	s_cbranch_execnz .LBB287_210
.LBB287_226:
	s_or_b64 exec, exec, s[48:49]
	v_cmp_gt_i32_e32 vcc, s57, v24
	s_and_saveexec_b64 s[48:49], vcc
	s_cbranch_execnz .LBB287_237
.LBB287_227:
	s_or_b64 exec, exec, s[48:49]
                                        ; implicit-def: $vgpr32
                                        ; implicit-def: $vgpr24
	s_andn2_saveexec_b64 s[0:1], s[38:39]
	s_cbranch_execnz .LBB287_9
.LBB287_228:
	s_endpgm
.LBB287_229:
	v_mov_b32_e32 v0, 0
	s_mov_b32 s59, 0
	v_mov_b32_e32 v1, v0
                                        ; implicit-def: $vgpr2
	v_mov_b32_e32 v4, v24
.LBB287_230:
	s_and_b32 s4, s60, 3
	s_cmp_eq_u32 s4, 0
	s_cbranch_scc1 .LBB287_233
; %bb.231:
	s_lshl_b32 s0, s59, 3
	s_add_u32 s0, s34, s0
	s_addc_u32 s1, s35, 0
	s_add_u32 s0, s0, 0xc4
	s_addc_u32 s1, s1, 0
	s_mul_i32 s2, s59, 12
	s_add_u32 s2, s34, s2
	s_addc_u32 s3, s35, 0
.LBB287_232:                            ; =>This Inner Loop Header: Depth=1
	s_load_dwordx2 s[6:7], s[2:3], 0x4
	s_load_dword s5, s[2:3], 0xc
	s_load_dwordx2 s[8:9], s[0:1], 0x0
	v_mov_b32_e32 v2, v1
	s_add_u32 s2, s2, 12
	s_waitcnt lgkmcnt(0)
	v_mul_hi_u32 v1, s7, v4
	v_add_u32_e32 v1, v4, v1
	v_lshrrev_b32_e32 v1, s5, v1
	s_addc_u32 s3, s3, 0
	v_mul_lo_u32 v3, v1, s6
	s_add_u32 s0, s0, 8
	v_sub_u32_e32 v5, v4, v3
	s_addc_u32 s1, s1, 0
	s_add_i32 s4, s4, -1
	v_mov_b32_e32 v4, v1
	v_mad_u64_u32 v[2:3], s[6:7], v5, s9, v[2:3]
	v_mad_u64_u32 v[0:1], s[6:7], v5, s8, v[0:1]
	s_cmp_lg_u32 s4, 0
	v_mov_b32_e32 v1, v2
	s_cbranch_scc1 .LBB287_232
.LBB287_233:
	s_cbranch_execnz .LBB287_236
.LBB287_234:
	v_mul_hi_u32 v0, s21, v24
	v_add_u32_e32 v0, v24, v0
	v_lshrrev_b32_e32 v1, s22, v0
	v_mul_lo_u32 v0, v1, s20
	v_sub_u32_e32 v0, v24, v0
	v_mul_lo_u32 v2, v0, s25
	s_andn2_b64 vcc, exec, s[42:43]
	v_mul_lo_u32 v0, v0, s24
	s_cbranch_vccnz .LBB287_236
; %bb.235:
	v_mul_hi_u32 v3, s40, v1
	v_add_u32_e32 v3, v1, v3
	v_lshrrev_b32_e32 v3, s41, v3
	v_mul_lo_u32 v3, v3, s23
	v_sub_u32_e32 v3, v1, v3
	v_mad_u64_u32 v[0:1], s[0:1], v3, s26, v[0:1]
	v_mad_u64_u32 v[2:3], s[0:1], v3, s27, v[2:3]
.LBB287_236:
	global_load_sbyte v1, v2, s[18:19]
	s_bfe_i32 s0, s55, 0x80000
	s_bfe_i32 s1, s56, 0x80000
	v_add_u32_e32 v24, 0x80, v24
	s_waitcnt vmcnt(0)
	v_max_i16_e32 v1, s0, v1
	v_min_i16_e32 v1, s1, v1
	global_store_byte v0, v1, s[16:17]
	s_or_b64 exec, exec, s[48:49]
	v_cmp_gt_i32_e32 vcc, s57, v24
	s_and_saveexec_b64 s[48:49], vcc
	s_cbranch_execz .LBB287_227
.LBB287_237:
	s_andn2_b64 vcc, exec, s[36:37]
	s_cbranch_vccnz .LBB287_243
; %bb.238:
	s_andn2_b64 vcc, exec, s[46:47]
	s_cbranch_vccnz .LBB287_244
; %bb.239:
	s_add_i32 s58, s58, 1
	s_cmp_eq_u32 s54, 2
	s_cbranch_scc1 .LBB287_245
; %bb.240:
	s_and_b32 s50, s58, 28
	s_mov_b32 s51, 0
	v_mov_b32_e32 v0, 0
	v_mov_b32_e32 v2, 0
	s_mov_b64 s[46:47], s[34:35]
	v_mov_b32_e32 v4, v24
.LBB287_241:                            ; =>This Inner Loop Header: Depth=1
	s_load_dwordx8 s[8:15], s[46:47], 0x4
	s_load_dwordx4 s[28:31], s[46:47], 0x24
	s_load_dwordx8 s[0:7], s[44:45], 0x0
	s_add_u32 s46, s46, 48
	s_addc_u32 s47, s47, 0
	s_waitcnt lgkmcnt(0)
	v_mul_hi_u32 v1, s9, v4
	v_add_u32_e32 v1, v4, v1
	v_lshrrev_b32_e32 v1, s10, v1
	v_mul_lo_u32 v3, v1, s8
	v_mul_hi_u32 v5, s12, v1
	v_sub_u32_e32 v3, v4, v3
	v_add_u32_e32 v4, v1, v5
	v_lshrrev_b32_e32 v4, s13, v4
	v_mul_lo_u32 v6, v4, s11
	v_mul_hi_u32 v7, s15, v4
	v_sub_u32_e32 v1, v1, v6
	v_add_u32_e32 v6, v4, v7
	v_mul_lo_u32 v5, v3, s1
	v_mul_lo_u32 v3, v3, s0
	;; [unrolled: 1-line block ×4, first 2 shown]
	v_lshrrev_b32_e32 v6, s28, v6
	v_add3_u32 v0, v3, v0, v1
	v_mul_hi_u32 v3, s30, v6
	v_add3_u32 v1, v5, v2, v7
	v_mul_lo_u32 v2, v6, s14
	v_add_u32_e32 v3, v6, v3
	v_sub_u32_e32 v2, v4, v2
	v_lshrrev_b32_e32 v4, s31, v3
	s_add_i32 s51, s51, 4
	v_mul_lo_u32 v3, v4, s29
	s_add_u32 s44, s44, 32
	v_sub_u32_e32 v3, v6, v3
	s_addc_u32 s45, s45, 0
	v_mul_lo_u32 v5, v2, s4
	v_mul_lo_u32 v2, v2, s5
	;; [unrolled: 1-line block ×4, first 2 shown]
	s_cmp_eq_u32 s50, s51
	v_add3_u32 v2, v2, v1, v3
	v_add3_u32 v0, v5, v0, v6
	s_cbranch_scc0 .LBB287_241
; %bb.242:
	v_mov_b32_e32 v1, v2
	s_branch .LBB287_246
.LBB287_243:
                                        ; implicit-def: $vgpr2
                                        ; implicit-def: $vgpr0
	s_branch .LBB287_250
.LBB287_244:
	v_mov_b32_e32 v2, 0
	v_mov_b32_e32 v0, 0
	s_branch .LBB287_249
.LBB287_245:
	v_mov_b32_e32 v0, 0
	s_mov_b32 s50, 0
	v_mov_b32_e32 v1, v0
                                        ; implicit-def: $vgpr2
	v_mov_b32_e32 v4, v24
.LBB287_246:
	s_and_b32 s4, s58, 3
	s_cmp_eq_u32 s4, 0
	s_cbranch_scc1 .LBB287_249
; %bb.247:
	s_lshl_b32 s0, s50, 3
	s_add_u32 s0, s34, s0
	s_addc_u32 s1, s35, 0
	s_add_u32 s0, s0, 0xc4
	s_addc_u32 s1, s1, 0
	s_mul_i32 s2, s50, 12
	s_add_u32 s2, s34, s2
	s_addc_u32 s3, s35, 0
.LBB287_248:                            ; =>This Inner Loop Header: Depth=1
	s_load_dwordx2 s[6:7], s[2:3], 0x4
	s_load_dword s5, s[2:3], 0xc
	s_load_dwordx2 s[8:9], s[0:1], 0x0
	v_mov_b32_e32 v2, v1
	s_add_u32 s2, s2, 12
	s_waitcnt lgkmcnt(0)
	v_mul_hi_u32 v1, s7, v4
	v_add_u32_e32 v1, v4, v1
	v_lshrrev_b32_e32 v1, s5, v1
	s_addc_u32 s3, s3, 0
	v_mul_lo_u32 v3, v1, s6
	s_add_u32 s0, s0, 8
	v_sub_u32_e32 v5, v4, v3
	s_addc_u32 s1, s1, 0
	s_add_i32 s4, s4, -1
	v_mov_b32_e32 v4, v1
	v_mad_u64_u32 v[2:3], s[6:7], v5, s9, v[2:3]
	v_mad_u64_u32 v[0:1], s[6:7], v5, s8, v[0:1]
	s_cmp_lg_u32 s4, 0
	v_mov_b32_e32 v1, v2
	s_cbranch_scc1 .LBB287_248
.LBB287_249:
	s_cbranch_execnz .LBB287_252
.LBB287_250:
	v_mul_hi_u32 v0, s21, v24
	v_add_u32_e32 v0, v24, v0
	v_lshrrev_b32_e32 v1, s22, v0
	v_mul_lo_u32 v0, v1, s20
	v_sub_u32_e32 v0, v24, v0
	v_mul_lo_u32 v2, v0, s25
	s_andn2_b64 vcc, exec, s[42:43]
	v_mul_lo_u32 v0, v0, s24
	s_cbranch_vccnz .LBB287_252
; %bb.251:
	v_mul_hi_u32 v3, s40, v1
	v_add_u32_e32 v3, v1, v3
	v_lshrrev_b32_e32 v3, s41, v3
	v_mul_lo_u32 v3, v3, s23
	v_sub_u32_e32 v3, v1, v3
	v_mad_u64_u32 v[0:1], s[0:1], v3, s26, v[0:1]
	v_mad_u64_u32 v[2:3], s[0:1], v3, s27, v[2:3]
.LBB287_252:
	global_load_sbyte v1, v2, s[18:19]
	s_bfe_i32 s0, s55, 0x80000
	s_waitcnt vmcnt(0)
	v_max_i16_e32 v1, s0, v1
	s_bfe_i32 s0, s56, 0x80000
	v_min_i16_e32 v1, s0, v1
	global_store_byte v0, v1, s[16:17]
	s_or_b64 exec, exec, s[48:49]
                                        ; implicit-def: $vgpr32
                                        ; implicit-def: $vgpr24
	s_andn2_saveexec_b64 s[0:1], s[38:39]
	s_cbranch_execz .LBB287_228
	s_branch .LBB287_9
	.section	.rodata,"a",@progbits
	.p2align	6, 0x0
	.amdhsa_kernel _ZN2at6native32elementwise_kernel_manual_unrollILi128ELi8EZNS0_22gpu_kernel_impl_nocastIZZZNS0_17clamp_kernel_cudaERNS_18TensorIteratorBaseERKN3c106ScalarES8_ENKUlvE_clEvENKUlvE0_clEvEUlaE_EEvS4_RKT_EUlibE_EEviT1_
		.amdhsa_group_segment_fixed_size 0
		.amdhsa_private_segment_fixed_size 0
		.amdhsa_kernarg_size 360
		.amdhsa_user_sgpr_count 2
		.amdhsa_user_sgpr_dispatch_ptr 0
		.amdhsa_user_sgpr_queue_ptr 0
		.amdhsa_user_sgpr_kernarg_segment_ptr 1
		.amdhsa_user_sgpr_dispatch_id 0
		.amdhsa_user_sgpr_kernarg_preload_length 0
		.amdhsa_user_sgpr_kernarg_preload_offset 0
		.amdhsa_user_sgpr_private_segment_size 0
		.amdhsa_uses_dynamic_stack 0
		.amdhsa_enable_private_segment 0
		.amdhsa_system_sgpr_workgroup_id_x 1
		.amdhsa_system_sgpr_workgroup_id_y 0
		.amdhsa_system_sgpr_workgroup_id_z 0
		.amdhsa_system_sgpr_workgroup_info 0
		.amdhsa_system_vgpr_workitem_id 0
		.amdhsa_next_free_vgpr 33
		.amdhsa_next_free_sgpr 62
		.amdhsa_accum_offset 36
		.amdhsa_reserve_vcc 1
		.amdhsa_float_round_mode_32 0
		.amdhsa_float_round_mode_16_64 0
		.amdhsa_float_denorm_mode_32 3
		.amdhsa_float_denorm_mode_16_64 3
		.amdhsa_dx10_clamp 1
		.amdhsa_ieee_mode 1
		.amdhsa_fp16_overflow 0
		.amdhsa_tg_split 0
		.amdhsa_exception_fp_ieee_invalid_op 0
		.amdhsa_exception_fp_denorm_src 0
		.amdhsa_exception_fp_ieee_div_zero 0
		.amdhsa_exception_fp_ieee_overflow 0
		.amdhsa_exception_fp_ieee_underflow 0
		.amdhsa_exception_fp_ieee_inexact 0
		.amdhsa_exception_int_div_zero 0
	.end_amdhsa_kernel
	.section	.text._ZN2at6native32elementwise_kernel_manual_unrollILi128ELi8EZNS0_22gpu_kernel_impl_nocastIZZZNS0_17clamp_kernel_cudaERNS_18TensorIteratorBaseERKN3c106ScalarES8_ENKUlvE_clEvENKUlvE0_clEvEUlaE_EEvS4_RKT_EUlibE_EEviT1_,"axG",@progbits,_ZN2at6native32elementwise_kernel_manual_unrollILi128ELi8EZNS0_22gpu_kernel_impl_nocastIZZZNS0_17clamp_kernel_cudaERNS_18TensorIteratorBaseERKN3c106ScalarES8_ENKUlvE_clEvENKUlvE0_clEvEUlaE_EEvS4_RKT_EUlibE_EEviT1_,comdat
.Lfunc_end287:
	.size	_ZN2at6native32elementwise_kernel_manual_unrollILi128ELi8EZNS0_22gpu_kernel_impl_nocastIZZZNS0_17clamp_kernel_cudaERNS_18TensorIteratorBaseERKN3c106ScalarES8_ENKUlvE_clEvENKUlvE0_clEvEUlaE_EEvS4_RKT_EUlibE_EEviT1_, .Lfunc_end287-_ZN2at6native32elementwise_kernel_manual_unrollILi128ELi8EZNS0_22gpu_kernel_impl_nocastIZZZNS0_17clamp_kernel_cudaERNS_18TensorIteratorBaseERKN3c106ScalarES8_ENKUlvE_clEvENKUlvE0_clEvEUlaE_EEvS4_RKT_EUlibE_EEviT1_
                                        ; -- End function
	.set _ZN2at6native32elementwise_kernel_manual_unrollILi128ELi8EZNS0_22gpu_kernel_impl_nocastIZZZNS0_17clamp_kernel_cudaERNS_18TensorIteratorBaseERKN3c106ScalarES8_ENKUlvE_clEvENKUlvE0_clEvEUlaE_EEvS4_RKT_EUlibE_EEviT1_.num_vgpr, 33
	.set _ZN2at6native32elementwise_kernel_manual_unrollILi128ELi8EZNS0_22gpu_kernel_impl_nocastIZZZNS0_17clamp_kernel_cudaERNS_18TensorIteratorBaseERKN3c106ScalarES8_ENKUlvE_clEvENKUlvE0_clEvEUlaE_EEvS4_RKT_EUlibE_EEviT1_.num_agpr, 0
	.set _ZN2at6native32elementwise_kernel_manual_unrollILi128ELi8EZNS0_22gpu_kernel_impl_nocastIZZZNS0_17clamp_kernel_cudaERNS_18TensorIteratorBaseERKN3c106ScalarES8_ENKUlvE_clEvENKUlvE0_clEvEUlaE_EEvS4_RKT_EUlibE_EEviT1_.numbered_sgpr, 62
	.set _ZN2at6native32elementwise_kernel_manual_unrollILi128ELi8EZNS0_22gpu_kernel_impl_nocastIZZZNS0_17clamp_kernel_cudaERNS_18TensorIteratorBaseERKN3c106ScalarES8_ENKUlvE_clEvENKUlvE0_clEvEUlaE_EEvS4_RKT_EUlibE_EEviT1_.num_named_barrier, 0
	.set _ZN2at6native32elementwise_kernel_manual_unrollILi128ELi8EZNS0_22gpu_kernel_impl_nocastIZZZNS0_17clamp_kernel_cudaERNS_18TensorIteratorBaseERKN3c106ScalarES8_ENKUlvE_clEvENKUlvE0_clEvEUlaE_EEvS4_RKT_EUlibE_EEviT1_.private_seg_size, 0
	.set _ZN2at6native32elementwise_kernel_manual_unrollILi128ELi8EZNS0_22gpu_kernel_impl_nocastIZZZNS0_17clamp_kernel_cudaERNS_18TensorIteratorBaseERKN3c106ScalarES8_ENKUlvE_clEvENKUlvE0_clEvEUlaE_EEvS4_RKT_EUlibE_EEviT1_.uses_vcc, 1
	.set _ZN2at6native32elementwise_kernel_manual_unrollILi128ELi8EZNS0_22gpu_kernel_impl_nocastIZZZNS0_17clamp_kernel_cudaERNS_18TensorIteratorBaseERKN3c106ScalarES8_ENKUlvE_clEvENKUlvE0_clEvEUlaE_EEvS4_RKT_EUlibE_EEviT1_.uses_flat_scratch, 0
	.set _ZN2at6native32elementwise_kernel_manual_unrollILi128ELi8EZNS0_22gpu_kernel_impl_nocastIZZZNS0_17clamp_kernel_cudaERNS_18TensorIteratorBaseERKN3c106ScalarES8_ENKUlvE_clEvENKUlvE0_clEvEUlaE_EEvS4_RKT_EUlibE_EEviT1_.has_dyn_sized_stack, 0
	.set _ZN2at6native32elementwise_kernel_manual_unrollILi128ELi8EZNS0_22gpu_kernel_impl_nocastIZZZNS0_17clamp_kernel_cudaERNS_18TensorIteratorBaseERKN3c106ScalarES8_ENKUlvE_clEvENKUlvE0_clEvEUlaE_EEvS4_RKT_EUlibE_EEviT1_.has_recursion, 0
	.set _ZN2at6native32elementwise_kernel_manual_unrollILi128ELi8EZNS0_22gpu_kernel_impl_nocastIZZZNS0_17clamp_kernel_cudaERNS_18TensorIteratorBaseERKN3c106ScalarES8_ENKUlvE_clEvENKUlvE0_clEvEUlaE_EEvS4_RKT_EUlibE_EEviT1_.has_indirect_call, 0
	.section	.AMDGPU.csdata,"",@progbits
; Kernel info:
; codeLenInByte = 11604
; TotalNumSgprs: 68
; NumVgprs: 33
; NumAgprs: 0
; TotalNumVgprs: 33
; ScratchSize: 0
; MemoryBound: 0
; FloatMode: 240
; IeeeMode: 1
; LDSByteSize: 0 bytes/workgroup (compile time only)
; SGPRBlocks: 8
; VGPRBlocks: 4
; NumSGPRsForWavesPerEU: 68
; NumVGPRsForWavesPerEU: 33
; AccumOffset: 36
; Occupancy: 8
; WaveLimiterHint : 1
; COMPUTE_PGM_RSRC2:SCRATCH_EN: 0
; COMPUTE_PGM_RSRC2:USER_SGPR: 2
; COMPUTE_PGM_RSRC2:TRAP_HANDLER: 0
; COMPUTE_PGM_RSRC2:TGID_X_EN: 1
; COMPUTE_PGM_RSRC2:TGID_Y_EN: 0
; COMPUTE_PGM_RSRC2:TGID_Z_EN: 0
; COMPUTE_PGM_RSRC2:TIDIG_COMP_CNT: 0
; COMPUTE_PGM_RSRC3_GFX90A:ACCUM_OFFSET: 8
; COMPUTE_PGM_RSRC3_GFX90A:TG_SPLIT: 0
	.section	.text._ZN2at6native32elementwise_kernel_manual_unrollILi128ELi4EZNS0_15gpu_kernel_implIZZZNS0_17clamp_kernel_cudaERNS_18TensorIteratorBaseERKN3c106ScalarES8_ENKUlvE_clEvENKUlvE0_clEvEUlaE_EEvS4_RKT_EUlibE_EEviT1_,"axG",@progbits,_ZN2at6native32elementwise_kernel_manual_unrollILi128ELi4EZNS0_15gpu_kernel_implIZZZNS0_17clamp_kernel_cudaERNS_18TensorIteratorBaseERKN3c106ScalarES8_ENKUlvE_clEvENKUlvE0_clEvEUlaE_EEvS4_RKT_EUlibE_EEviT1_,comdat
	.globl	_ZN2at6native32elementwise_kernel_manual_unrollILi128ELi4EZNS0_15gpu_kernel_implIZZZNS0_17clamp_kernel_cudaERNS_18TensorIteratorBaseERKN3c106ScalarES8_ENKUlvE_clEvENKUlvE0_clEvEUlaE_EEvS4_RKT_EUlibE_EEviT1_ ; -- Begin function _ZN2at6native32elementwise_kernel_manual_unrollILi128ELi4EZNS0_15gpu_kernel_implIZZZNS0_17clamp_kernel_cudaERNS_18TensorIteratorBaseERKN3c106ScalarES8_ENKUlvE_clEvENKUlvE0_clEvEUlaE_EEvS4_RKT_EUlibE_EEviT1_
	.p2align	8
	.type	_ZN2at6native32elementwise_kernel_manual_unrollILi128ELi4EZNS0_15gpu_kernel_implIZZZNS0_17clamp_kernel_cudaERNS_18TensorIteratorBaseERKN3c106ScalarES8_ENKUlvE_clEvENKUlvE0_clEvEUlaE_EEvS4_RKT_EUlibE_EEviT1_,@function
_ZN2at6native32elementwise_kernel_manual_unrollILi128ELi4EZNS0_15gpu_kernel_implIZZZNS0_17clamp_kernel_cudaERNS_18TensorIteratorBaseERKN3c106ScalarES8_ENKUlvE_clEvENKUlvE0_clEvEUlaE_EEvS4_RKT_EUlibE_EEviT1_: ; @_ZN2at6native32elementwise_kernel_manual_unrollILi128ELi4EZNS0_15gpu_kernel_implIZZZNS0_17clamp_kernel_cudaERNS_18TensorIteratorBaseERKN3c106ScalarES8_ENKUlvE_clEvENKUlvE0_clEvEUlaE_EEvS4_RKT_EUlibE_EEviT1_
; %bb.0:
	s_load_dword s33, s[0:1], 0x20
	s_load_dwordx2 s[8:9], s[0:1], 0x18
	s_load_dword s38, s[0:1], 0x0
	s_load_dwordx4 s[4:7], s[0:1], 0x8
	v_lshl_or_b32 v10, s2, 9, v0
	v_or_b32_e32 v0, 0x180, v10
	s_waitcnt lgkmcnt(0)
	s_lshr_b32 s42, s33, 16
	s_lshr_b32 s43, s33, 8
	;; [unrolled: 1-line block ×3, first 2 shown]
	v_cmp_le_i32_e32 vcc, s38, v0
	s_mov_b64 s[2:3], 0
	s_mov_b64 s[12:13], 0
	s_and_saveexec_b64 s[0:1], vcc
	s_xor_b64 s[10:11], exec, s[0:1]
	s_cbranch_execz .LBB288_1011
; %bb.1:
	v_cmp_gt_i32_e32 vcc, s38, v10
	s_mov_b64 s[18:19], -1
	s_mov_b64 s[20:21], 0
	s_mov_b64 s[14:15], 0
	s_and_saveexec_b64 s[16:17], vcc
	s_cbranch_execz .LBB288_248
; %bb.2:
	v_mul_lo_u32 v0, v10, s9
	v_ashrrev_i32_e32 v1, 31, v0
	s_and_b32 s18, 0xffff, s44
	s_cmp_lt_i32 s18, 11
	v_lshl_add_u64 v[0:1], s[6:7], 0, v[0:1]
	s_cbranch_scc1 .LBB288_9
; %bb.3:
	s_cmp_gt_i32 s18, 25
	s_cbranch_scc0 .LBB288_18
; %bb.4:
	s_cmp_gt_i32 s18, 28
	s_cbranch_scc0 .LBB288_22
; %bb.5:
	s_cmp_gt_i32 s18, 43
	s_cbranch_scc0 .LBB288_24
; %bb.6:
	s_cmp_gt_i32 s18, 45
	s_cbranch_scc0 .LBB288_26
; %bb.7:
	s_cmp_eq_u32 s18, 46
	s_cbranch_scc0 .LBB288_28
; %bb.8:
	global_load_dword v2, v[0:1], off
	s_mov_b64 s[0:1], -1
	s_waitcnt vmcnt(0)
	v_lshlrev_b32_e32 v2, 16, v2
	v_cvt_i32_f32_e32 v2, v2
	s_branch .LBB288_30
.LBB288_9:
                                        ; implicit-def: $vgpr2
	s_mov_b64 s[0:1], 0
	s_cbranch_execnz .LBB288_199
.LBB288_10:
	s_andn2_b64 vcc, exec, s[0:1]
	s_cbranch_vccnz .LBB288_246
.LBB288_11:
	s_bfe_i32 s0, s33, 0x80000
	s_waitcnt vmcnt(0)
	v_max_i16_sdwa v0, sext(v2), s0 dst_sel:DWORD dst_unused:UNUSED_PAD src0_sel:BYTE_0 src1_sel:DWORD
	s_bfe_i32 s0, s43, 0x80000
	v_min_i16_e32 v4, s0, v0
	v_mul_lo_u32 v0, v10, s8
	v_ashrrev_i32_e32 v1, 31, v0
	s_and_b32 s24, s42, 0xff
	s_cmp_lt_i32 s24, 11
	v_lshl_add_u64 v[0:1], s[4:5], 0, v[0:1]
	s_cbranch_scc1 .LBB288_19
; %bb.12:
	s_and_b32 s25, 0xffff, s24
	s_cmp_gt_i32 s25, 25
	s_cbranch_scc0 .LBB288_23
; %bb.13:
	s_cmp_gt_i32 s25, 28
	s_cbranch_scc0 .LBB288_25
; %bb.14:
	;; [unrolled: 3-line block ×4, first 2 shown]
	s_mov_b64 s[18:19], 0
	s_mov_b64 s[0:1], -1
	s_cmp_eq_u32 s25, 46
	s_mov_b64 s[12:13], 0
	s_cbranch_scc0 .LBB288_34
; %bb.17:
	v_cvt_f32_i32_sdwa v2, sext(v4) dst_sel:DWORD dst_unused:UNUSED_PAD src0_sel:WORD_0
	s_movk_i32 s0, 0x7fff
	s_mov_b64 s[12:13], -1
	v_bfe_u32 v3, v2, 16, 1
	v_add3_u32 v2, v2, v3, s0
	v_lshrrev_b32_e32 v2, 16, v2
	global_store_dword v[0:1], v2, off
	s_mov_b64 s[0:1], 0
	s_branch .LBB288_34
.LBB288_18:
	s_mov_b64 s[0:1], 0
                                        ; implicit-def: $vgpr2
	s_cbranch_execnz .LBB288_166
	s_branch .LBB288_198
.LBB288_19:
	s_mov_b64 s[0:1], 0
	s_mov_b64 s[12:13], 0
	s_cbranch_execnz .LBB288_103
.LBB288_20:
	s_andn2_b64 vcc, exec, s[12:13]
	s_cbranch_vccnz .LBB288_141
.LBB288_21:
	v_add_u32_e32 v10, 0x80, v10
	s_mov_b64 s[18:19], -1
	s_branch .LBB288_247
.LBB288_22:
	s_mov_b64 s[12:13], -1
	s_mov_b64 s[0:1], 0
                                        ; implicit-def: $vgpr2
	s_branch .LBB288_149
.LBB288_23:
	s_mov_b64 s[18:19], -1
	s_mov_b64 s[0:1], 0
	s_mov_b64 s[12:13], 0
	s_branch .LBB288_61
.LBB288_24:
	s_mov_b64 s[12:13], -1
	s_mov_b64 s[0:1], 0
                                        ; implicit-def: $vgpr2
	s_branch .LBB288_144
.LBB288_25:
	s_mov_b64 s[18:19], -1
	s_mov_b64 s[0:1], 0
	s_mov_b64 s[12:13], 0
	s_branch .LBB288_44
.LBB288_26:
	s_mov_b64 s[12:13], -1
	s_branch .LBB288_29
.LBB288_27:
	s_mov_b64 s[18:19], -1
	s_mov_b64 s[0:1], 0
	s_mov_b64 s[12:13], 0
	s_branch .LBB288_40
.LBB288_28:
	s_mov_b64 s[14:15], -1
.LBB288_29:
	s_mov_b64 s[0:1], 0
                                        ; implicit-def: $vgpr2
.LBB288_30:
	s_and_b64 vcc, exec, s[12:13]
	s_cbranch_vccz .LBB288_143
; %bb.31:
	s_cmp_eq_u32 s18, 44
	s_cbranch_scc0 .LBB288_142
; %bb.32:
	global_load_ubyte v2, v[0:1], off
	s_mov_b64 s[0:1], -1
	s_mov_b64 s[14:15], 0
	s_waitcnt vmcnt(0)
	v_lshlrev_b32_e32 v3, 23, v2
	v_cvt_i32_f32_e32 v3, v3
	v_cmp_ne_u32_e32 vcc, 0, v2
	s_nop 1
	v_cndmask_b32_e32 v2, 0, v3, vcc
	s_branch .LBB288_143
.LBB288_33:
	s_mov_b64 s[18:19], -1
	s_mov_b64 s[0:1], 0
	s_mov_b64 s[12:13], 0
.LBB288_34:
	s_and_b64 vcc, exec, s[18:19]
	s_cbranch_vccz .LBB288_39
; %bb.35:
	s_cmp_eq_u32 s25, 44
	s_mov_b64 s[0:1], -1
	s_cbranch_scc0 .LBB288_39
; %bb.36:
	v_cvt_f32_i32_sdwa v2, sext(v4) dst_sel:DWORD dst_unused:UNUSED_PAD src0_sel:WORD_0
	s_movk_i32 s0, 0xff
	v_mov_b32_e32 v5, 0xff
	v_bfe_u32 v3, v2, 23, 8
	v_cmp_ne_u32_e32 vcc, s0, v3
	s_and_saveexec_b64 s[12:13], vcc
; %bb.37:
	s_mov_b32 s0, 0x3fffff
	v_lshrrev_b32_e32 v5, 23, v2
	v_and_b32_e32 v6, 0x400000, v2
	v_and_or_b32 v2, v2, s0, v3
	v_cmp_ne_u32_e32 vcc, 0, v6
	v_cmp_ne_u32_e64 s[0:1], 0, v2
	s_and_b64 s[0:1], vcc, s[0:1]
	s_nop 0
	v_cndmask_b32_e64 v2, 0, 1, s[0:1]
	v_add_u32_e32 v5, v5, v2
; %bb.38:
	s_or_b64 exec, exec, s[12:13]
	s_mov_b64 s[12:13], -1
	s_mov_b64 s[0:1], 0
	global_store_byte v[0:1], v5, off
.LBB288_39:
	s_mov_b64 s[18:19], 0
.LBB288_40:
	s_and_b64 vcc, exec, s[18:19]
	s_cbranch_vccz .LBB288_43
; %bb.41:
	s_cmp_eq_u32 s25, 29
	s_mov_b64 s[0:1], -1
	s_cbranch_scc0 .LBB288_43
; %bb.42:
	v_bfe_i32 v2, v4, 0, 16
	v_ashrrev_i32_e32 v3, 31, v2
	global_store_dwordx2 v[0:1], v[2:3], off
	s_mov_b64 s[12:13], -1
	s_mov_b64 s[0:1], 0
.LBB288_43:
	s_mov_b64 s[18:19], 0
.LBB288_44:
	s_and_b64 vcc, exec, s[18:19]
	s_cbranch_vccz .LBB288_60
; %bb.45:
	s_cmp_lt_i32 s25, 27
	s_mov_b64 s[12:13], -1
	s_cbranch_scc1 .LBB288_51
; %bb.46:
	s_cmp_gt_i32 s25, 27
	s_cbranch_scc0 .LBB288_48
; %bb.47:
	v_bfe_i32 v2, v4, 0, 16
	s_mov_b64 s[12:13], 0
	global_store_dword v[0:1], v2, off
.LBB288_48:
	s_andn2_b64 vcc, exec, s[12:13]
	s_cbranch_vccnz .LBB288_50
; %bb.49:
	global_store_short v[0:1], v4, off
.LBB288_50:
	s_mov_b64 s[12:13], 0
.LBB288_51:
	s_andn2_b64 vcc, exec, s[12:13]
	s_cbranch_vccnz .LBB288_59
; %bb.52:
	v_cvt_f32_i32_sdwa v2, sext(v4) dst_sel:DWORD dst_unused:UNUSED_PAD src0_sel:WORD_0
	s_mov_b32 s12, 0x43800000
	v_mov_b32_e32 v5, 0x80
	v_and_b32_e32 v3, 0x7fffffff, v2
	v_cmp_gt_u32_e32 vcc, s12, v3
	s_and_saveexec_b64 s[12:13], vcc
	s_cbranch_execz .LBB288_58
; %bb.53:
	s_mov_b32 s18, 0x3bffffff
	v_cmp_lt_u32_e32 vcc, s18, v3
	s_mov_b64 s[18:19], 0
                                        ; implicit-def: $vgpr3
	s_and_saveexec_b64 s[22:23], vcc
	s_xor_b64 s[22:23], exec, s[22:23]
	s_cbranch_execz .LBB288_275
; %bb.54:
	v_bfe_u32 v3, v2, 20, 1
	s_mov_b32 s26, 0x487ffff
	v_add3_u32 v3, v2, v3, s26
	s_mov_b64 s[18:19], exec
	v_lshrrev_b32_e32 v3, 20, v3
	s_andn2_saveexec_b64 s[22:23], s[22:23]
	s_cbranch_execnz .LBB288_276
.LBB288_55:
	s_or_b64 exec, exec, s[22:23]
	v_mov_b32_e32 v5, 0
	s_and_saveexec_b64 s[22:23], s[18:19]
.LBB288_56:
	v_lshrrev_b32_e32 v2, 24, v2
	s_movk_i32 s18, 0x80
	v_and_or_b32 v5, v2, s18, v3
.LBB288_57:
	s_or_b64 exec, exec, s[22:23]
.LBB288_58:
	s_or_b64 exec, exec, s[12:13]
	global_store_byte v[0:1], v5, off
.LBB288_59:
	s_mov_b64 s[12:13], -1
.LBB288_60:
	s_mov_b64 s[18:19], 0
.LBB288_61:
	s_and_b64 vcc, exec, s[18:19]
	s_cbranch_vccz .LBB288_102
; %bb.62:
	s_cmp_gt_i32 s25, 22
	s_mov_b64 s[18:19], -1
	s_cbranch_scc0 .LBB288_94
; %bb.63:
	s_cmp_lt_i32 s25, 24
	s_mov_b64 s[12:13], -1
	s_cbranch_scc1 .LBB288_83
; %bb.64:
	s_cmp_gt_i32 s25, 24
	s_cbranch_scc0 .LBB288_72
; %bb.65:
	v_cvt_f32_i32_sdwa v2, sext(v4) dst_sel:DWORD dst_unused:UNUSED_PAD src0_sel:WORD_0
	s_mov_b32 s12, 0x47800000
	v_mov_b32_e32 v5, 0x80
	v_and_b32_e32 v3, 0x7fffffff, v2
	v_cmp_gt_u32_e32 vcc, s12, v3
	s_and_saveexec_b64 s[12:13], vcc
	s_cbranch_execz .LBB288_71
; %bb.66:
	s_mov_b32 s18, 0x37ffffff
	v_cmp_lt_u32_e32 vcc, s18, v3
	s_mov_b64 s[18:19], 0
                                        ; implicit-def: $vgpr3
	s_and_saveexec_b64 s[22:23], vcc
	s_xor_b64 s[22:23], exec, s[22:23]
	s_cbranch_execz .LBB288_279
; %bb.67:
	v_bfe_u32 v3, v2, 21, 1
	s_mov_b32 s26, 0x88fffff
	v_add3_u32 v3, v2, v3, s26
	s_mov_b64 s[18:19], exec
	v_lshrrev_b32_e32 v3, 21, v3
	s_andn2_saveexec_b64 s[22:23], s[22:23]
	s_cbranch_execnz .LBB288_280
.LBB288_68:
	s_or_b64 exec, exec, s[22:23]
	v_mov_b32_e32 v5, 0
	s_and_saveexec_b64 s[22:23], s[18:19]
.LBB288_69:
	v_lshrrev_b32_e32 v2, 24, v2
	s_movk_i32 s18, 0x80
	v_and_or_b32 v5, v2, s18, v3
.LBB288_70:
	s_or_b64 exec, exec, s[22:23]
.LBB288_71:
	s_or_b64 exec, exec, s[12:13]
	s_mov_b64 s[12:13], 0
	global_store_byte v[0:1], v5, off
.LBB288_72:
	s_and_b64 vcc, exec, s[12:13]
	s_cbranch_vccz .LBB288_82
; %bb.73:
	v_cvt_f32_i32_sdwa v2, sext(v4) dst_sel:DWORD dst_unused:UNUSED_PAD src0_sel:WORD_0
	s_mov_b32 s12, 0x43f00000
                                        ; implicit-def: $vgpr3
	v_and_b32_e32 v5, 0x7fffffff, v2
	v_cmp_gt_u32_e32 vcc, s12, v5
	s_and_saveexec_b64 s[12:13], vcc
	s_xor_b64 s[12:13], exec, s[12:13]
	s_cbranch_execz .LBB288_79
; %bb.74:
	s_mov_b32 s18, 0x3c7fffff
	v_cmp_lt_u32_e32 vcc, s18, v5
                                        ; implicit-def: $vgpr3
	s_and_saveexec_b64 s[18:19], vcc
	s_xor_b64 s[18:19], exec, s[18:19]
; %bb.75:
	v_bfe_u32 v3, v2, 20, 1
	s_mov_b32 s22, 0x407ffff
	v_add3_u32 v3, v2, v3, s22
	v_lshrrev_b32_e32 v5, 20, v3
	v_and_b32_e32 v3, 0xff00000, v3
	s_mov_b32 s22, 0x7f00000
	v_mov_b32_e32 v6, 0x7e
	v_cmp_ne_u32_e32 vcc, s22, v3
	s_nop 1
	v_cndmask_b32_e32 v3, v6, v5, vcc
; %bb.76:
	s_andn2_saveexec_b64 s[18:19], s[18:19]
; %bb.77:
	s_mov_b32 s22, 0x46800000
	v_add_f32_e64 v3, |v2|, s22
; %bb.78:
	s_or_b64 exec, exec, s[18:19]
                                        ; implicit-def: $vgpr5
.LBB288_79:
	s_andn2_saveexec_b64 s[12:13], s[12:13]
; %bb.80:
	s_mov_b32 s18, 0x7f800000
	v_mov_b32_e32 v3, 0x7e
	v_mov_b32_e32 v6, 0x7f
	v_cmp_lt_u32_e32 vcc, s18, v5
	s_nop 1
	v_cndmask_b32_e32 v3, v3, v6, vcc
; %bb.81:
	s_or_b64 exec, exec, s[12:13]
	v_lshrrev_b32_e32 v2, 24, v2
	s_movk_i32 s12, 0x80
	v_and_or_b32 v2, v2, s12, v3
	global_store_byte v[0:1], v2, off
.LBB288_82:
	s_mov_b64 s[12:13], 0
.LBB288_83:
	s_andn2_b64 vcc, exec, s[12:13]
	s_cbranch_vccnz .LBB288_93
; %bb.84:
	v_cvt_f32_i32_sdwa v2, sext(v4) dst_sel:DWORD dst_unused:UNUSED_PAD src0_sel:WORD_0
	s_mov_b32 s12, 0x47800000
                                        ; implicit-def: $vgpr3
	v_and_b32_e32 v5, 0x7fffffff, v2
	v_cmp_gt_u32_e32 vcc, s12, v5
	s_and_saveexec_b64 s[12:13], vcc
	s_xor_b64 s[12:13], exec, s[12:13]
	s_cbranch_execz .LBB288_90
; %bb.85:
	s_mov_b32 s18, 0x387fffff
	v_cmp_lt_u32_e32 vcc, s18, v5
                                        ; implicit-def: $vgpr3
	s_and_saveexec_b64 s[18:19], vcc
	s_xor_b64 s[18:19], exec, s[18:19]
; %bb.86:
	v_bfe_u32 v3, v2, 21, 1
	s_mov_b32 s22, 0x80fffff
	v_add3_u32 v3, v2, v3, s22
	v_lshrrev_b32_e32 v3, 21, v3
; %bb.87:
	s_andn2_saveexec_b64 s[18:19], s[18:19]
; %bb.88:
	s_mov_b32 s22, 0x43000000
	v_add_f32_e64 v3, |v2|, s22
; %bb.89:
	s_or_b64 exec, exec, s[18:19]
                                        ; implicit-def: $vgpr5
.LBB288_90:
	s_andn2_saveexec_b64 s[12:13], s[12:13]
; %bb.91:
	s_mov_b32 s18, 0x7f800000
	v_mov_b32_e32 v3, 0x7c
	v_mov_b32_e32 v6, 0x7f
	v_cmp_lt_u32_e32 vcc, s18, v5
	s_nop 1
	v_cndmask_b32_e32 v3, v3, v6, vcc
; %bb.92:
	s_or_b64 exec, exec, s[12:13]
	v_lshrrev_b32_e32 v2, 24, v2
	s_movk_i32 s12, 0x80
	v_and_or_b32 v2, v2, s12, v3
	global_store_byte v[0:1], v2, off
.LBB288_93:
	s_mov_b64 s[18:19], 0
	s_mov_b64 s[12:13], -1
.LBB288_94:
	s_andn2_b64 vcc, exec, s[18:19]
	s_cbranch_vccnz .LBB288_102
; %bb.95:
	s_cmp_gt_i32 s25, 14
	s_mov_b64 s[18:19], -1
	s_cbranch_scc0 .LBB288_99
; %bb.96:
	s_cmp_eq_u32 s25, 15
	s_mov_b64 s[0:1], -1
	s_cbranch_scc0 .LBB288_98
; %bb.97:
	v_cvt_f32_i32_sdwa v2, sext(v4) dst_sel:DWORD dst_unused:UNUSED_PAD src0_sel:WORD_0
	s_movk_i32 s0, 0x7fff
	s_mov_b64 s[12:13], -1
	v_bfe_u32 v3, v2, 16, 1
	v_add3_u32 v2, v2, v3, s0
	global_store_short_d16_hi v[0:1], v2, off
	s_mov_b64 s[0:1], 0
.LBB288_98:
	s_mov_b64 s[18:19], 0
.LBB288_99:
	s_and_b64 vcc, exec, s[18:19]
	s_cbranch_vccz .LBB288_102
; %bb.100:
	s_cmp_eq_u32 s25, 11
	s_mov_b64 s[0:1], -1
	s_cbranch_scc0 .LBB288_102
; %bb.101:
	v_cmp_ne_u16_e32 vcc, 0, v4
	s_mov_b64 s[12:13], -1
	s_mov_b64 s[0:1], 0
	v_cndmask_b32_e64 v2, 0, 1, vcc
	global_store_byte v[0:1], v2, off
.LBB288_102:
	s_branch .LBB288_20
.LBB288_103:
	s_and_b32 s18, 0xffff, s24
	s_cmp_lt_i32 s18, 5
	s_mov_b64 s[12:13], -1
	s_cbranch_scc1 .LBB288_124
; %bb.104:
	s_cmp_lt_i32 s18, 8
	s_cbranch_scc1 .LBB288_114
; %bb.105:
	s_cmp_lt_i32 s18, 9
	s_cbranch_scc1 .LBB288_111
; %bb.106:
	s_cmp_gt_i32 s18, 9
	s_cbranch_scc0 .LBB288_108
; %bb.107:
	v_bfe_i32 v2, v4, 0, 16
	v_mov_b32_e32 v8, 0
	v_cvt_f64_i32_e32 v[6:7], v2
	v_mov_b32_e32 v9, v8
	global_store_dwordx4 v[0:1], v[6:9], off
	s_mov_b64 s[12:13], 0
.LBB288_108:
	s_andn2_b64 vcc, exec, s[12:13]
	s_cbranch_vccnz .LBB288_110
; %bb.109:
	v_cvt_f32_i32_sdwa v2, sext(v4) dst_sel:DWORD dst_unused:UNUSED_PAD src0_sel:WORD_0
	v_mov_b32_e32 v3, 0
	global_store_dwordx2 v[0:1], v[2:3], off
.LBB288_110:
	s_mov_b64 s[12:13], 0
.LBB288_111:
	s_andn2_b64 vcc, exec, s[12:13]
	s_cbranch_vccnz .LBB288_113
; %bb.112:
	v_cvt_f16_i16_e32 v2, v4
	global_store_dword v[0:1], v2, off
.LBB288_113:
	s_mov_b64 s[12:13], 0
.LBB288_114:
	s_andn2_b64 vcc, exec, s[12:13]
	s_cbranch_vccnz .LBB288_123
; %bb.115:
	s_cmp_lt_i32 s18, 6
	s_mov_b64 s[12:13], -1
	s_cbranch_scc1 .LBB288_121
; %bb.116:
	s_cmp_gt_i32 s18, 6
	s_cbranch_scc0 .LBB288_118
; %bb.117:
	v_bfe_i32 v2, v4, 0, 16
	v_cvt_f64_i32_e32 v[2:3], v2
	global_store_dwordx2 v[0:1], v[2:3], off
	s_mov_b64 s[12:13], 0
.LBB288_118:
	s_andn2_b64 vcc, exec, s[12:13]
	s_cbranch_vccnz .LBB288_120
; %bb.119:
	v_cvt_f32_i32_sdwa v2, sext(v4) dst_sel:DWORD dst_unused:UNUSED_PAD src0_sel:WORD_0
	global_store_dword v[0:1], v2, off
.LBB288_120:
	s_mov_b64 s[12:13], 0
.LBB288_121:
	s_andn2_b64 vcc, exec, s[12:13]
	s_cbranch_vccnz .LBB288_123
; %bb.122:
	v_cvt_f16_i16_e32 v2, v4
	global_store_short v[0:1], v2, off
.LBB288_123:
	s_mov_b64 s[12:13], 0
.LBB288_124:
	s_andn2_b64 vcc, exec, s[12:13]
	s_cbranch_vccnz .LBB288_140
; %bb.125:
	s_cmp_lt_i32 s18, 2
	s_mov_b64 s[12:13], -1
	s_cbranch_scc1 .LBB288_135
; %bb.126:
	s_cmp_lt_i32 s18, 3
	s_cbranch_scc1 .LBB288_132
; %bb.127:
	s_cmp_gt_i32 s18, 3
	v_bfe_i32 v2, v4, 0, 16
	s_cbranch_scc0 .LBB288_129
; %bb.128:
	v_ashrrev_i32_e32 v3, 31, v2
	global_store_dwordx2 v[0:1], v[2:3], off
	s_mov_b64 s[12:13], 0
.LBB288_129:
	s_andn2_b64 vcc, exec, s[12:13]
	s_cbranch_vccnz .LBB288_131
; %bb.130:
	global_store_dword v[0:1], v2, off
.LBB288_131:
	s_mov_b64 s[12:13], 0
.LBB288_132:
	s_andn2_b64 vcc, exec, s[12:13]
	s_cbranch_vccnz .LBB288_134
; %bb.133:
	global_store_short v[0:1], v4, off
.LBB288_134:
	s_mov_b64 s[12:13], 0
.LBB288_135:
	s_andn2_b64 vcc, exec, s[12:13]
	s_cbranch_vccnz .LBB288_140
; %bb.136:
	s_cmp_gt_i32 s18, 0
	s_mov_b64 s[12:13], -1
	s_cbranch_scc0 .LBB288_138
; %bb.137:
	global_store_byte v[0:1], v4, off
	s_mov_b64 s[12:13], 0
.LBB288_138:
	s_andn2_b64 vcc, exec, s[12:13]
	s_cbranch_vccnz .LBB288_140
; %bb.139:
	global_store_byte v[0:1], v4, off
.LBB288_140:
	s_branch .LBB288_21
.LBB288_141:
	s_mov_b64 s[18:19], 0
                                        ; implicit-def: $vgpr10
	s_branch .LBB288_247
.LBB288_142:
	s_mov_b64 s[14:15], -1
                                        ; implicit-def: $vgpr2
.LBB288_143:
	s_mov_b64 s[12:13], 0
.LBB288_144:
	s_and_b64 vcc, exec, s[12:13]
	s_cbranch_vccz .LBB288_148
; %bb.145:
	s_cmp_eq_u32 s18, 29
	s_cbranch_scc0 .LBB288_147
; %bb.146:
	global_load_dwordx2 v[2:3], v[0:1], off
	s_mov_b64 s[0:1], -1
	s_mov_b64 s[14:15], 0
	s_branch .LBB288_148
.LBB288_147:
	s_mov_b64 s[14:15], -1
                                        ; implicit-def: $vgpr2
.LBB288_148:
	s_mov_b64 s[12:13], 0
.LBB288_149:
	s_and_b64 vcc, exec, s[12:13]
	s_cbranch_vccz .LBB288_165
; %bb.150:
	s_cmp_lt_i32 s18, 27
	s_cbranch_scc1 .LBB288_153
; %bb.151:
	s_cmp_gt_i32 s18, 27
	s_cbranch_scc0 .LBB288_154
; %bb.152:
	global_load_dword v2, v[0:1], off
	s_mov_b64 s[0:1], 0
	s_branch .LBB288_155
.LBB288_153:
	s_mov_b64 s[0:1], -1
                                        ; implicit-def: $vgpr2
	s_branch .LBB288_158
.LBB288_154:
	s_mov_b64 s[0:1], -1
                                        ; implicit-def: $vgpr2
.LBB288_155:
	s_andn2_b64 vcc, exec, s[0:1]
	s_cbranch_vccnz .LBB288_157
; %bb.156:
	global_load_ushort v2, v[0:1], off
.LBB288_157:
	s_mov_b64 s[0:1], 0
.LBB288_158:
	s_andn2_b64 vcc, exec, s[0:1]
	s_cbranch_vccnz .LBB288_164
; %bb.159:
	global_load_ubyte v3, v[0:1], off
	s_movk_i32 s0, 0x7f
	s_mov_b64 s[12:13], 0
	s_waitcnt vmcnt(0)
	v_cmp_lt_i16_e32 vcc, s0, v3
	s_and_saveexec_b64 s[0:1], vcc
	s_xor_b64 s[0:1], exec, s[0:1]
	s_cbranch_execz .LBB288_175
; %bb.160:
	s_movk_i32 s12, 0x80
	v_cmp_ne_u16_e32 vcc, s12, v3
	s_and_b64 s[12:13], vcc, exec
	s_andn2_saveexec_b64 s[0:1], s[0:1]
	s_cbranch_execnz .LBB288_176
.LBB288_161:
	s_or_b64 exec, exec, s[0:1]
	v_mov_b32_e32 v2, 0
	s_and_saveexec_b64 s[0:1], s[12:13]
	s_cbranch_execz .LBB288_163
.LBB288_162:
	v_lshlrev_b32_e32 v2, 24, v3
	v_and_b32_e32 v3, 0xffff, v3
	v_and_b32_e32 v4, 7, v3
	v_ffbh_u32_e32 v6, v4
	v_min_u32_e32 v6, 32, v6
	v_subrev_u32_e32 v7, 28, v6
	v_bfe_u32 v5, v3, 3, 4
	v_lshlrev_b32_e32 v3, v7, v3
	v_sub_u32_e32 v6, 29, v6
	v_and_b32_e32 v3, 7, v3
	v_cmp_eq_u32_e32 vcc, 0, v5
	v_and_b32_e32 v2, 0x80000000, v2
	s_nop 0
	v_cndmask_b32_e32 v5, v5, v6, vcc
	v_cndmask_b32_e32 v3, v4, v3, vcc
	v_mov_b32_e32 v4, 0x3b800000
	v_lshlrev_b32_e32 v3, 20, v3
	v_lshl_add_u32 v4, v5, 23, v4
	v_or3_b32 v2, v2, v4, v3
	v_cvt_i32_f32_e32 v2, v2
.LBB288_163:
	s_or_b64 exec, exec, s[0:1]
.LBB288_164:
	s_mov_b64 s[0:1], -1
.LBB288_165:
	s_branch .LBB288_198
.LBB288_166:
	s_cmp_gt_i32 s18, 22
	s_cbranch_scc0 .LBB288_174
; %bb.167:
	s_cmp_lt_i32 s18, 24
	s_cbranch_scc1 .LBB288_177
; %bb.168:
	s_cmp_gt_i32 s18, 24
	s_cbranch_scc0 .LBB288_178
; %bb.169:
	global_load_ubyte v3, v[0:1], off
	s_movk_i32 s0, 0x7f
	s_mov_b64 s[12:13], 0
	s_waitcnt vmcnt(0)
	v_cmp_lt_i16_e32 vcc, s0, v3
	s_and_saveexec_b64 s[0:1], vcc
	s_xor_b64 s[0:1], exec, s[0:1]
	s_cbranch_execz .LBB288_190
; %bb.170:
	s_movk_i32 s12, 0x80
	v_cmp_ne_u16_e32 vcc, s12, v3
	s_and_b64 s[12:13], vcc, exec
	s_andn2_saveexec_b64 s[0:1], s[0:1]
	s_cbranch_execnz .LBB288_191
.LBB288_171:
	s_or_b64 exec, exec, s[0:1]
	v_mov_b32_e32 v2, 0
	s_and_saveexec_b64 s[0:1], s[12:13]
	s_cbranch_execz .LBB288_173
.LBB288_172:
	v_lshlrev_b32_e32 v2, 24, v3
	v_and_b32_e32 v3, 0xffff, v3
	v_and_b32_e32 v4, 3, v3
	v_ffbh_u32_e32 v6, v4
	v_min_u32_e32 v6, 32, v6
	v_subrev_u32_e32 v7, 29, v6
	v_bfe_u32 v5, v3, 2, 5
	v_lshlrev_b32_e32 v3, v7, v3
	v_sub_u32_e32 v6, 30, v6
	v_and_b32_e32 v3, 3, v3
	v_cmp_eq_u32_e32 vcc, 0, v5
	v_and_b32_e32 v2, 0x80000000, v2
	s_nop 0
	v_cndmask_b32_e32 v5, v5, v6, vcc
	v_cndmask_b32_e32 v3, v4, v3, vcc
	v_mov_b32_e32 v4, 0x37800000
	v_lshlrev_b32_e32 v3, 21, v3
	v_lshl_add_u32 v4, v5, 23, v4
	v_or3_b32 v2, v2, v4, v3
	v_cvt_i32_f32_e32 v2, v2
.LBB288_173:
	s_or_b64 exec, exec, s[0:1]
	s_mov_b64 s[0:1], 0
	s_branch .LBB288_179
.LBB288_174:
	s_mov_b64 s[12:13], -1
                                        ; implicit-def: $vgpr2
	s_branch .LBB288_185
.LBB288_175:
	s_andn2_saveexec_b64 s[0:1], s[0:1]
	s_cbranch_execz .LBB288_161
.LBB288_176:
	v_cmp_ne_u16_e32 vcc, 0, v3
	s_andn2_b64 s[12:13], s[12:13], exec
	s_and_b64 s[22:23], vcc, exec
	s_or_b64 s[12:13], s[12:13], s[22:23]
	s_or_b64 exec, exec, s[0:1]
	v_mov_b32_e32 v2, 0
	s_and_saveexec_b64 s[0:1], s[12:13]
	s_cbranch_execnz .LBB288_162
	s_branch .LBB288_163
.LBB288_177:
	s_mov_b64 s[0:1], -1
                                        ; implicit-def: $vgpr2
	s_branch .LBB288_182
.LBB288_178:
	s_mov_b64 s[0:1], -1
                                        ; implicit-def: $vgpr2
.LBB288_179:
	s_and_b64 vcc, exec, s[0:1]
	s_cbranch_vccz .LBB288_181
; %bb.180:
	global_load_ubyte v2, v[0:1], off
	s_mov_b32 s0, 0x7f800000
	s_waitcnt vmcnt(0)
	v_lshlrev_b32_e32 v2, 24, v2
	v_and_b32_e32 v3, 0x7f000000, v2
	v_ffbh_u32_e32 v4, v3
	v_min_u32_e32 v4, 32, v4
	v_sub_u32_e64 v4, v4, 4 clamp
	v_lshlrev_b32_e32 v6, v4, v3
	v_lshlrev_b32_e32 v4, 23, v4
	v_lshrrev_b32_e32 v6, 4, v6
	v_add_u32_e32 v5, 0x1000000, v3
	v_sub_u32_e32 v4, v6, v4
	v_ashrrev_i32_e32 v5, 8, v5
	v_add_u32_e32 v4, 0x3c000000, v4
	v_and_or_b32 v4, v5, s0, v4
	v_cmp_ne_u32_e32 vcc, 0, v3
	s_brev_b32 s0, 1
	s_nop 0
	v_cndmask_b32_e32 v3, 0, v4, vcc
	v_and_or_b32 v2, v2, s0, v3
	v_cvt_i32_f32_e32 v2, v2
.LBB288_181:
	s_mov_b64 s[0:1], 0
.LBB288_182:
	s_andn2_b64 vcc, exec, s[0:1]
	s_cbranch_vccnz .LBB288_184
; %bb.183:
	global_load_ubyte v2, v[0:1], off
	s_movk_i32 s0, 0x7f00
	s_brev_b32 s1, 16
	s_waitcnt vmcnt(0)
	v_lshlrev_b16_e32 v3, 8, v2
	v_lshlrev_b32_e32 v2, 25, v2
	v_lshrrev_b32_e32 v4, 4, v2
	v_and_or_b32 v5, v3, s0, 0.5
	v_or_b32_e32 v4, 0x70000000, v4
	v_add_f32_e32 v5, -0.5, v5
	v_mul_f32_e32 v4, 0x7800000, v4
	v_cmp_gt_u32_e32 vcc, s1, v2
	v_bfe_i32 v3, v3, 0, 16
	s_brev_b32 s0, 1
	v_cndmask_b32_e32 v2, v4, v5, vcc
	v_and_or_b32 v2, v3, s0, v2
	v_cvt_i32_f32_e32 v2, v2
.LBB288_184:
	s_mov_b64 s[12:13], 0
	s_mov_b64 s[0:1], -1
.LBB288_185:
	s_andn2_b64 vcc, exec, s[12:13]
	s_cbranch_vccnz .LBB288_198
; %bb.186:
	s_cmp_gt_i32 s18, 14
	s_cbranch_scc0 .LBB288_189
; %bb.187:
	s_cmp_eq_u32 s18, 15
	s_cbranch_scc0 .LBB288_192
; %bb.188:
	global_load_ushort v2, v[0:1], off
	s_mov_b64 s[0:1], -1
	s_mov_b64 s[14:15], 0
	s_waitcnt vmcnt(0)
	v_lshlrev_b32_e32 v2, 16, v2
	v_cvt_i32_f32_e32 v2, v2
	s_branch .LBB288_193
.LBB288_189:
	s_mov_b64 s[12:13], -1
                                        ; implicit-def: $vgpr2
	s_branch .LBB288_194
.LBB288_190:
	s_andn2_saveexec_b64 s[0:1], s[0:1]
	s_cbranch_execz .LBB288_171
.LBB288_191:
	v_cmp_ne_u16_e32 vcc, 0, v3
	s_andn2_b64 s[12:13], s[12:13], exec
	s_and_b64 s[22:23], vcc, exec
	s_or_b64 s[12:13], s[12:13], s[22:23]
	s_or_b64 exec, exec, s[0:1]
	v_mov_b32_e32 v2, 0
	s_and_saveexec_b64 s[0:1], s[12:13]
	s_cbranch_execnz .LBB288_172
	s_branch .LBB288_173
.LBB288_192:
	s_mov_b64 s[14:15], -1
                                        ; implicit-def: $vgpr2
.LBB288_193:
	s_mov_b64 s[12:13], 0
.LBB288_194:
	s_and_b64 vcc, exec, s[12:13]
	s_cbranch_vccz .LBB288_198
; %bb.195:
	s_cmp_eq_u32 s18, 11
	s_cbranch_scc0 .LBB288_197
; %bb.196:
	global_load_ubyte v2, v[0:1], off
	s_mov_b64 s[0:1], -1
	s_mov_b64 s[14:15], 0
	s_waitcnt vmcnt(0)
	v_cmp_ne_u16_e32 vcc, 0, v2
	s_nop 1
	v_cndmask_b32_e64 v2, 0, 1, vcc
	s_branch .LBB288_198
.LBB288_197:
	s_mov_b64 s[14:15], -1
                                        ; implicit-def: $vgpr2
.LBB288_198:
	s_branch .LBB288_10
.LBB288_199:
	s_cmp_lt_i32 s18, 5
	s_cbranch_scc1 .LBB288_204
; %bb.200:
	s_cmp_lt_i32 s18, 8
	s_cbranch_scc1 .LBB288_205
; %bb.201:
	;; [unrolled: 3-line block ×3, first 2 shown]
	s_cmp_gt_i32 s18, 9
	s_cbranch_scc0 .LBB288_207
; %bb.203:
	global_load_dwordx2 v[2:3], v[0:1], off
	s_mov_b64 s[0:1], 0
	s_waitcnt vmcnt(0)
	v_cvt_i32_f64_e32 v2, v[2:3]
	s_branch .LBB288_208
.LBB288_204:
                                        ; implicit-def: $vgpr2
	s_branch .LBB288_226
.LBB288_205:
	s_mov_b64 s[0:1], -1
                                        ; implicit-def: $vgpr2
	s_branch .LBB288_214
.LBB288_206:
	s_mov_b64 s[0:1], -1
                                        ; implicit-def: $vgpr2
	s_branch .LBB288_211
.LBB288_207:
	s_mov_b64 s[0:1], -1
                                        ; implicit-def: $vgpr2
.LBB288_208:
	s_andn2_b64 vcc, exec, s[0:1]
	s_cbranch_vccnz .LBB288_210
; %bb.209:
	global_load_dword v2, v[0:1], off
	s_waitcnt vmcnt(0)
	v_cvt_i32_f32_e32 v2, v2
.LBB288_210:
	s_mov_b64 s[0:1], 0
.LBB288_211:
	s_andn2_b64 vcc, exec, s[0:1]
	s_cbranch_vccnz .LBB288_213
; %bb.212:
	global_load_dword v2, v[0:1], off
	s_waitcnt vmcnt(0)
	v_cvt_i16_f16_e32 v2, v2
.LBB288_213:
	s_mov_b64 s[0:1], 0
.LBB288_214:
	s_andn2_b64 vcc, exec, s[0:1]
	s_cbranch_vccnz .LBB288_225
; %bb.215:
	s_cmp_lt_i32 s18, 6
	s_cbranch_scc1 .LBB288_218
; %bb.216:
	s_cmp_gt_i32 s18, 6
	s_cbranch_scc0 .LBB288_219
; %bb.217:
	global_load_dwordx2 v[2:3], v[0:1], off
	s_mov_b64 s[0:1], 0
	s_waitcnt vmcnt(0)
	v_cvt_i32_f64_e32 v2, v[2:3]
	s_branch .LBB288_220
.LBB288_218:
	s_mov_b64 s[0:1], -1
                                        ; implicit-def: $vgpr2
	s_branch .LBB288_223
.LBB288_219:
	s_mov_b64 s[0:1], -1
                                        ; implicit-def: $vgpr2
.LBB288_220:
	s_andn2_b64 vcc, exec, s[0:1]
	s_cbranch_vccnz .LBB288_222
; %bb.221:
	global_load_dword v2, v[0:1], off
	s_waitcnt vmcnt(0)
	v_cvt_i32_f32_e32 v2, v2
.LBB288_222:
	s_mov_b64 s[0:1], 0
.LBB288_223:
	s_andn2_b64 vcc, exec, s[0:1]
	s_cbranch_vccnz .LBB288_225
; %bb.224:
	global_load_ushort v2, v[0:1], off
	s_waitcnt vmcnt(0)
	v_cvt_i16_f16_e32 v2, v2
.LBB288_225:
	s_cbranch_execnz .LBB288_245
.LBB288_226:
	s_cmp_lt_i32 s18, 2
	s_cbranch_scc1 .LBB288_230
; %bb.227:
	s_cmp_lt_i32 s18, 3
	s_cbranch_scc1 .LBB288_231
; %bb.228:
	s_cmp_gt_i32 s18, 3
	s_cbranch_scc0 .LBB288_232
; %bb.229:
	global_load_dwordx2 v[2:3], v[0:1], off
	s_mov_b64 s[0:1], 0
	s_branch .LBB288_233
.LBB288_230:
	s_mov_b64 s[0:1], -1
                                        ; implicit-def: $vgpr2
	s_branch .LBB288_239
.LBB288_231:
	s_mov_b64 s[0:1], -1
                                        ; implicit-def: $vgpr2
	s_branch .LBB288_236
.LBB288_232:
	s_mov_b64 s[0:1], -1
                                        ; implicit-def: $vgpr2
.LBB288_233:
	s_andn2_b64 vcc, exec, s[0:1]
	s_cbranch_vccnz .LBB288_235
; %bb.234:
	global_load_dword v2, v[0:1], off
.LBB288_235:
	s_mov_b64 s[0:1], 0
.LBB288_236:
	s_andn2_b64 vcc, exec, s[0:1]
	s_cbranch_vccnz .LBB288_238
; %bb.237:
	global_load_ushort v2, v[0:1], off
.LBB288_238:
	s_mov_b64 s[0:1], 0
.LBB288_239:
	s_andn2_b64 vcc, exec, s[0:1]
	s_cbranch_vccnz .LBB288_245
; %bb.240:
	s_cmp_gt_i32 s18, 0
	s_cbranch_scc0 .LBB288_242
; %bb.241:
	global_load_ubyte v2, v[0:1], off
	s_mov_b64 s[0:1], 0
	s_branch .LBB288_243
.LBB288_242:
	s_mov_b64 s[0:1], -1
                                        ; implicit-def: $vgpr2
.LBB288_243:
	s_andn2_b64 vcc, exec, s[0:1]
	s_cbranch_vccnz .LBB288_245
; %bb.244:
	global_load_ubyte v2, v[0:1], off
.LBB288_245:
	s_branch .LBB288_11
.LBB288_246:
	s_mov_b64 s[0:1], 0
                                        ; implicit-def: $vgpr10
	s_mov_b64 s[18:19], 0
.LBB288_247:
	s_and_b64 s[12:13], s[0:1], exec
	s_and_b64 s[14:15], s[14:15], exec
	s_orn2_b64 s[18:19], s[18:19], exec
.LBB288_248:
	s_or_b64 exec, exec, s[16:17]
	s_mov_b64 s[22:23], 0
	s_mov_b64 s[0:1], 0
                                        ; implicit-def: $vgpr0_vgpr1
                                        ; implicit-def: $vgpr2
	s_and_saveexec_b64 s[16:17], s[18:19]
	s_cbranch_execz .LBB288_257
; %bb.249:
	v_cmp_gt_i32_e32 vcc, s38, v10
	s_mov_b64 s[0:1], -1
	s_mov_b64 s[18:19], s[14:15]
	s_mov_b64 s[20:21], s[12:13]
	s_and_saveexec_b64 s[22:23], vcc
	s_cbranch_execz .LBB288_505
; %bb.250:
	v_mul_lo_u32 v0, v10, s9
	v_ashrrev_i32_e32 v1, 31, v0
	s_and_b32 s24, 0xffff, s44
	s_cmp_lt_i32 s24, 11
	v_lshl_add_u64 v[0:1], s[6:7], 0, v[0:1]
	s_cbranch_scc1 .LBB288_260
; %bb.251:
	s_cmp_gt_i32 s24, 25
	s_cbranch_scc0 .LBB288_269
; %bb.252:
	s_cmp_gt_i32 s24, 28
	s_cbranch_scc0 .LBB288_271
	;; [unrolled: 3-line block ×4, first 2 shown]
; %bb.255:
	s_cmp_eq_u32 s24, 46
	s_mov_b64 s[20:21], 0
	s_cbranch_scc0 .LBB288_281
; %bb.256:
	global_load_dword v2, v[0:1], off
	s_mov_b64 s[18:19], 0
	s_waitcnt vmcnt(0)
	v_lshlrev_b32_e32 v2, 16, v2
	v_cvt_i32_f32_e32 v2, v2
	s_branch .LBB288_282
.LBB288_257:
	s_or_b64 exec, exec, s[16:17]
	s_mov_b64 s[16:17], 0
	s_and_saveexec_b64 s[18:19], s[14:15]
	s_cbranch_execnz .LBB288_843
.LBB288_258:
	s_or_b64 exec, exec, s[18:19]
	s_and_saveexec_b64 s[14:15], s[20:21]
	s_xor_b64 s[14:15], exec, s[14:15]
	s_cbranch_execz .LBB288_844
.LBB288_259:
	global_load_ubyte v2, v[0:1], off
	s_or_b64 s[0:1], s[0:1], exec
	s_waitcnt vmcnt(0)
	v_cmp_ne_u16_e32 vcc, 0, v2
	s_nop 1
	v_cndmask_b32_e64 v2, 0, 1, vcc
	s_or_b64 exec, exec, s[14:15]
	s_and_saveexec_b64 s[14:15], s[22:23]
	s_cbranch_execz .LBB288_890
	s_branch .LBB288_845
.LBB288_260:
	s_mov_b64 s[0:1], 0
                                        ; implicit-def: $vgpr2
	s_mov_b64 s[18:19], s[14:15]
	s_cbranch_execnz .LBB288_455
.LBB288_261:
	s_andn2_b64 vcc, exec, s[0:1]
	s_cbranch_vccnz .LBB288_503
.LBB288_262:
	s_bfe_i32 s0, s33, 0x80000
	s_waitcnt vmcnt(0)
	v_max_i16_sdwa v0, sext(v2), s0 dst_sel:DWORD dst_unused:UNUSED_PAD src0_sel:BYTE_0 src1_sel:DWORD
	s_bfe_i32 s0, s43, 0x80000
	v_min_i16_e32 v4, s0, v0
	v_mul_lo_u32 v0, v10, s8
	v_ashrrev_i32_e32 v1, 31, v0
	s_and_b32 s28, s42, 0xff
	s_cmp_lt_i32 s28, 11
	v_lshl_add_u64 v[0:1], s[4:5], 0, v[0:1]
	s_cbranch_scc1 .LBB288_270
; %bb.263:
	s_and_b32 s29, 0xffff, s28
	s_cmp_gt_i32 s29, 25
	s_cbranch_scc0 .LBB288_272
; %bb.264:
	s_cmp_gt_i32 s29, 28
	s_cbranch_scc0 .LBB288_274
; %bb.265:
	;; [unrolled: 3-line block ×4, first 2 shown]
	s_mov_b64 s[24:25], 0
	s_mov_b64 s[0:1], -1
	s_cmp_eq_u32 s29, 46
	s_mov_b64 s[20:21], 0
	s_cbranch_scc0 .LBB288_286
; %bb.268:
	v_cvt_f32_i32_sdwa v2, sext(v4) dst_sel:DWORD dst_unused:UNUSED_PAD src0_sel:WORD_0
	s_movk_i32 s0, 0x7fff
	s_mov_b64 s[20:21], -1
	v_bfe_u32 v3, v2, 16, 1
	v_add3_u32 v2, v2, v3, s0
	v_lshrrev_b32_e32 v2, 16, v2
	global_store_dword v[0:1], v2, off
	s_mov_b64 s[0:1], 0
	s_branch .LBB288_286
.LBB288_269:
	s_mov_b64 s[20:21], -1
	s_mov_b64 s[0:1], 0
	s_mov_b64 s[18:19], s[14:15]
                                        ; implicit-def: $vgpr2
	s_branch .LBB288_421
.LBB288_270:
	s_mov_b64 s[24:25], -1
	s_mov_b64 s[20:21], 0
	s_mov_b64 s[0:1], s[12:13]
	s_branch .LBB288_355
.LBB288_271:
	s_mov_b64 s[20:21], -1
	s_mov_b64 s[0:1], 0
	s_mov_b64 s[18:19], s[14:15]
                                        ; implicit-def: $vgpr2
	s_branch .LBB288_404
.LBB288_272:
	s_mov_b64 s[24:25], -1
	s_mov_b64 s[20:21], 0
	s_mov_b64 s[0:1], s[12:13]
	s_branch .LBB288_313
.LBB288_273:
	s_mov_b64 s[20:21], -1
	s_mov_b64 s[0:1], 0
	s_mov_b64 s[18:19], s[14:15]
                                        ; implicit-def: $vgpr2
	s_branch .LBB288_399
.LBB288_274:
	s_mov_b64 s[24:25], -1
	s_mov_b64 s[20:21], 0
	s_mov_b64 s[0:1], s[12:13]
	s_branch .LBB288_296
.LBB288_275:
	s_andn2_saveexec_b64 s[22:23], s[22:23]
	s_cbranch_execz .LBB288_55
.LBB288_276:
	s_mov_b32 s26, 0x46000000
	v_add_f32_e64 v3, |v2|, s26
	v_and_b32_e32 v3, 0xff, v3
	v_cmp_ne_u32_e32 vcc, 0, v3
	s_andn2_b64 s[18:19], s[18:19], exec
	s_and_b64 s[26:27], vcc, exec
	s_or_b64 s[18:19], s[18:19], s[26:27]
	s_or_b64 exec, exec, s[22:23]
	v_mov_b32_e32 v5, 0
	s_and_saveexec_b64 s[22:23], s[18:19]
	s_cbranch_execnz .LBB288_56
	s_branch .LBB288_57
.LBB288_277:
	s_mov_b64 s[20:21], -1
	s_mov_b64 s[0:1], 0
	s_mov_b64 s[18:19], s[14:15]
                                        ; implicit-def: $vgpr2
	s_branch .LBB288_282
.LBB288_278:
	s_mov_b64 s[24:25], -1
	s_mov_b64 s[20:21], 0
	s_mov_b64 s[0:1], s[12:13]
	s_branch .LBB288_292
.LBB288_279:
	s_andn2_saveexec_b64 s[22:23], s[22:23]
	s_cbranch_execz .LBB288_68
.LBB288_280:
	s_mov_b32 s26, 0x42800000
	v_add_f32_e64 v3, |v2|, s26
	v_and_b32_e32 v3, 0xff, v3
	v_cmp_ne_u32_e32 vcc, 0, v3
	s_andn2_b64 s[18:19], s[18:19], exec
	s_and_b64 s[26:27], vcc, exec
	s_or_b64 s[18:19], s[18:19], s[26:27]
	s_or_b64 exec, exec, s[22:23]
	v_mov_b32_e32 v5, 0
	s_and_saveexec_b64 s[22:23], s[18:19]
	s_cbranch_execnz .LBB288_69
	s_branch .LBB288_70
.LBB288_281:
	s_mov_b64 s[18:19], -1
                                        ; implicit-def: $vgpr2
	s_mov_b64 s[0:1], 0
.LBB288_282:
	s_and_b64 vcc, exec, s[20:21]
	s_cbranch_vccz .LBB288_398
; %bb.283:
	s_cmp_eq_u32 s24, 44
	s_cbranch_scc0 .LBB288_397
; %bb.284:
	global_load_ubyte v2, v[0:1], off
	s_mov_b64 s[0:1], -1
	s_mov_b64 s[18:19], 0
	s_waitcnt vmcnt(0)
	v_lshlrev_b32_e32 v3, 23, v2
	v_cvt_i32_f32_e32 v3, v3
	v_cmp_ne_u32_e32 vcc, 0, v2
	s_nop 1
	v_cndmask_b32_e32 v2, 0, v3, vcc
	s_branch .LBB288_398
.LBB288_285:
	s_mov_b64 s[24:25], -1
	s_mov_b64 s[20:21], 0
	s_mov_b64 s[0:1], s[12:13]
.LBB288_286:
	s_and_b64 vcc, exec, s[24:25]
	s_cbranch_vccz .LBB288_291
; %bb.287:
	s_cmp_eq_u32 s29, 44
	s_mov_b64 s[0:1], -1
	s_cbranch_scc0 .LBB288_291
; %bb.288:
	v_cvt_f32_i32_sdwa v2, sext(v4) dst_sel:DWORD dst_unused:UNUSED_PAD src0_sel:WORD_0
	s_movk_i32 s0, 0xff
	v_mov_b32_e32 v5, 0xff
	v_bfe_u32 v3, v2, 23, 8
	v_cmp_ne_u32_e32 vcc, s0, v3
	s_and_saveexec_b64 s[20:21], vcc
; %bb.289:
	s_mov_b32 s0, 0x3fffff
	v_lshrrev_b32_e32 v5, 23, v2
	v_and_b32_e32 v6, 0x400000, v2
	v_and_or_b32 v2, v2, s0, v3
	v_cmp_ne_u32_e32 vcc, 0, v6
	v_cmp_ne_u32_e64 s[0:1], 0, v2
	s_and_b64 s[0:1], vcc, s[0:1]
	s_nop 0
	v_cndmask_b32_e64 v2, 0, 1, s[0:1]
	v_add_u32_e32 v5, v5, v2
; %bb.290:
	s_or_b64 exec, exec, s[20:21]
	s_mov_b64 s[20:21], -1
	s_mov_b64 s[0:1], 0
	global_store_byte v[0:1], v5, off
.LBB288_291:
	s_mov_b64 s[24:25], 0
.LBB288_292:
	s_and_b64 vcc, exec, s[24:25]
	s_cbranch_vccz .LBB288_295
; %bb.293:
	s_cmp_eq_u32 s29, 29
	s_mov_b64 s[0:1], -1
	s_cbranch_scc0 .LBB288_295
; %bb.294:
	v_bfe_i32 v2, v4, 0, 16
	v_ashrrev_i32_e32 v3, 31, v2
	global_store_dwordx2 v[0:1], v[2:3], off
	s_mov_b64 s[20:21], -1
	s_mov_b64 s[0:1], 0
.LBB288_295:
	s_mov_b64 s[24:25], 0
.LBB288_296:
	s_and_b64 vcc, exec, s[24:25]
	s_cbranch_vccz .LBB288_312
; %bb.297:
	s_cmp_lt_i32 s29, 27
	s_mov_b64 s[20:21], -1
	s_cbranch_scc1 .LBB288_303
; %bb.298:
	s_cmp_gt_i32 s29, 27
	s_cbranch_scc0 .LBB288_300
; %bb.299:
	v_bfe_i32 v2, v4, 0, 16
	s_mov_b64 s[20:21], 0
	global_store_dword v[0:1], v2, off
.LBB288_300:
	s_andn2_b64 vcc, exec, s[20:21]
	s_cbranch_vccnz .LBB288_302
; %bb.301:
	global_store_short v[0:1], v4, off
.LBB288_302:
	s_mov_b64 s[20:21], 0
.LBB288_303:
	s_andn2_b64 vcc, exec, s[20:21]
	s_cbranch_vccnz .LBB288_311
; %bb.304:
	v_cvt_f32_i32_sdwa v2, sext(v4) dst_sel:DWORD dst_unused:UNUSED_PAD src0_sel:WORD_0
	s_mov_b32 s20, 0x43800000
	v_mov_b32_e32 v5, 0x80
	v_and_b32_e32 v3, 0x7fffffff, v2
	v_cmp_gt_u32_e32 vcc, s20, v3
	s_and_saveexec_b64 s[20:21], vcc
	s_cbranch_execz .LBB288_310
; %bb.305:
	s_mov_b32 s24, 0x3bffffff
	v_cmp_lt_u32_e32 vcc, s24, v3
	s_mov_b64 s[24:25], 0
                                        ; implicit-def: $vgpr3
	s_and_saveexec_b64 s[26:27], vcc
	s_xor_b64 s[26:27], exec, s[26:27]
	s_cbranch_execz .LBB288_518
; %bb.306:
	v_bfe_u32 v3, v2, 20, 1
	s_mov_b32 s30, 0x487ffff
	v_add3_u32 v3, v2, v3, s30
	s_mov_b64 s[24:25], exec
	v_lshrrev_b32_e32 v3, 20, v3
	s_andn2_saveexec_b64 s[26:27], s[26:27]
	s_cbranch_execnz .LBB288_519
.LBB288_307:
	s_or_b64 exec, exec, s[26:27]
	v_mov_b32_e32 v5, 0
	s_and_saveexec_b64 s[26:27], s[24:25]
.LBB288_308:
	v_lshrrev_b32_e32 v2, 24, v2
	s_movk_i32 s24, 0x80
	v_and_or_b32 v5, v2, s24, v3
.LBB288_309:
	s_or_b64 exec, exec, s[26:27]
.LBB288_310:
	s_or_b64 exec, exec, s[20:21]
	global_store_byte v[0:1], v5, off
.LBB288_311:
	s_mov_b64 s[20:21], -1
.LBB288_312:
	s_mov_b64 s[24:25], 0
.LBB288_313:
	s_and_b64 vcc, exec, s[24:25]
	s_cbranch_vccz .LBB288_354
; %bb.314:
	s_cmp_gt_i32 s29, 22
	s_mov_b64 s[24:25], -1
	s_cbranch_scc0 .LBB288_346
; %bb.315:
	s_cmp_lt_i32 s29, 24
	s_mov_b64 s[20:21], -1
	s_cbranch_scc1 .LBB288_335
; %bb.316:
	s_cmp_gt_i32 s29, 24
	s_cbranch_scc0 .LBB288_324
; %bb.317:
	v_cvt_f32_i32_sdwa v2, sext(v4) dst_sel:DWORD dst_unused:UNUSED_PAD src0_sel:WORD_0
	s_mov_b32 s20, 0x47800000
	v_mov_b32_e32 v5, 0x80
	v_and_b32_e32 v3, 0x7fffffff, v2
	v_cmp_gt_u32_e32 vcc, s20, v3
	s_and_saveexec_b64 s[20:21], vcc
	s_cbranch_execz .LBB288_323
; %bb.318:
	s_mov_b32 s24, 0x37ffffff
	v_cmp_lt_u32_e32 vcc, s24, v3
	s_mov_b64 s[24:25], 0
                                        ; implicit-def: $vgpr3
	s_and_saveexec_b64 s[26:27], vcc
	s_xor_b64 s[26:27], exec, s[26:27]
	s_cbranch_execz .LBB288_521
; %bb.319:
	v_bfe_u32 v3, v2, 21, 1
	s_mov_b32 s30, 0x88fffff
	v_add3_u32 v3, v2, v3, s30
	s_mov_b64 s[24:25], exec
	v_lshrrev_b32_e32 v3, 21, v3
	s_andn2_saveexec_b64 s[26:27], s[26:27]
	s_cbranch_execnz .LBB288_522
.LBB288_320:
	s_or_b64 exec, exec, s[26:27]
	v_mov_b32_e32 v5, 0
	s_and_saveexec_b64 s[26:27], s[24:25]
.LBB288_321:
	v_lshrrev_b32_e32 v2, 24, v2
	s_movk_i32 s24, 0x80
	v_and_or_b32 v5, v2, s24, v3
.LBB288_322:
	s_or_b64 exec, exec, s[26:27]
.LBB288_323:
	s_or_b64 exec, exec, s[20:21]
	s_mov_b64 s[20:21], 0
	global_store_byte v[0:1], v5, off
.LBB288_324:
	s_and_b64 vcc, exec, s[20:21]
	s_cbranch_vccz .LBB288_334
; %bb.325:
	v_cvt_f32_i32_sdwa v2, sext(v4) dst_sel:DWORD dst_unused:UNUSED_PAD src0_sel:WORD_0
	s_mov_b32 s20, 0x43f00000
                                        ; implicit-def: $vgpr3
	v_and_b32_e32 v5, 0x7fffffff, v2
	v_cmp_gt_u32_e32 vcc, s20, v5
	s_and_saveexec_b64 s[20:21], vcc
	s_xor_b64 s[20:21], exec, s[20:21]
	s_cbranch_execz .LBB288_331
; %bb.326:
	s_mov_b32 s24, 0x3c7fffff
	v_cmp_lt_u32_e32 vcc, s24, v5
                                        ; implicit-def: $vgpr3
	s_and_saveexec_b64 s[24:25], vcc
	s_xor_b64 s[24:25], exec, s[24:25]
; %bb.327:
	v_bfe_u32 v3, v2, 20, 1
	s_mov_b32 s26, 0x407ffff
	v_add3_u32 v3, v2, v3, s26
	v_lshrrev_b32_e32 v5, 20, v3
	v_and_b32_e32 v3, 0xff00000, v3
	s_mov_b32 s26, 0x7f00000
	v_mov_b32_e32 v6, 0x7e
	v_cmp_ne_u32_e32 vcc, s26, v3
	s_nop 1
	v_cndmask_b32_e32 v3, v6, v5, vcc
; %bb.328:
	s_andn2_saveexec_b64 s[24:25], s[24:25]
; %bb.329:
	s_mov_b32 s26, 0x46800000
	v_add_f32_e64 v3, |v2|, s26
; %bb.330:
	s_or_b64 exec, exec, s[24:25]
                                        ; implicit-def: $vgpr5
.LBB288_331:
	s_andn2_saveexec_b64 s[20:21], s[20:21]
; %bb.332:
	s_mov_b32 s24, 0x7f800000
	v_mov_b32_e32 v3, 0x7e
	v_mov_b32_e32 v6, 0x7f
	v_cmp_lt_u32_e32 vcc, s24, v5
	s_nop 1
	v_cndmask_b32_e32 v3, v3, v6, vcc
; %bb.333:
	s_or_b64 exec, exec, s[20:21]
	v_lshrrev_b32_e32 v2, 24, v2
	s_movk_i32 s20, 0x80
	v_and_or_b32 v2, v2, s20, v3
	global_store_byte v[0:1], v2, off
.LBB288_334:
	s_mov_b64 s[20:21], 0
.LBB288_335:
	s_andn2_b64 vcc, exec, s[20:21]
	s_cbranch_vccnz .LBB288_345
; %bb.336:
	v_cvt_f32_i32_sdwa v2, sext(v4) dst_sel:DWORD dst_unused:UNUSED_PAD src0_sel:WORD_0
	s_mov_b32 s20, 0x47800000
                                        ; implicit-def: $vgpr3
	v_and_b32_e32 v5, 0x7fffffff, v2
	v_cmp_gt_u32_e32 vcc, s20, v5
	s_and_saveexec_b64 s[20:21], vcc
	s_xor_b64 s[20:21], exec, s[20:21]
	s_cbranch_execz .LBB288_342
; %bb.337:
	s_mov_b32 s24, 0x387fffff
	v_cmp_lt_u32_e32 vcc, s24, v5
                                        ; implicit-def: $vgpr3
	s_and_saveexec_b64 s[24:25], vcc
	s_xor_b64 s[24:25], exec, s[24:25]
; %bb.338:
	v_bfe_u32 v3, v2, 21, 1
	s_mov_b32 s26, 0x80fffff
	v_add3_u32 v3, v2, v3, s26
	v_lshrrev_b32_e32 v3, 21, v3
; %bb.339:
	s_andn2_saveexec_b64 s[24:25], s[24:25]
; %bb.340:
	s_mov_b32 s26, 0x43000000
	v_add_f32_e64 v3, |v2|, s26
; %bb.341:
	s_or_b64 exec, exec, s[24:25]
                                        ; implicit-def: $vgpr5
.LBB288_342:
	s_andn2_saveexec_b64 s[20:21], s[20:21]
; %bb.343:
	s_mov_b32 s24, 0x7f800000
	v_mov_b32_e32 v3, 0x7c
	v_mov_b32_e32 v6, 0x7f
	v_cmp_lt_u32_e32 vcc, s24, v5
	s_nop 1
	v_cndmask_b32_e32 v3, v3, v6, vcc
; %bb.344:
	s_or_b64 exec, exec, s[20:21]
	v_lshrrev_b32_e32 v2, 24, v2
	s_movk_i32 s20, 0x80
	v_and_or_b32 v2, v2, s20, v3
	global_store_byte v[0:1], v2, off
.LBB288_345:
	s_mov_b64 s[24:25], 0
	s_mov_b64 s[20:21], -1
.LBB288_346:
	s_andn2_b64 vcc, exec, s[24:25]
	s_cbranch_vccnz .LBB288_354
; %bb.347:
	s_cmp_gt_i32 s29, 14
	s_mov_b64 s[24:25], -1
	s_cbranch_scc0 .LBB288_351
; %bb.348:
	s_cmp_eq_u32 s29, 15
	s_mov_b64 s[0:1], -1
	s_cbranch_scc0 .LBB288_350
; %bb.349:
	v_cvt_f32_i32_sdwa v2, sext(v4) dst_sel:DWORD dst_unused:UNUSED_PAD src0_sel:WORD_0
	s_movk_i32 s0, 0x7fff
	s_mov_b64 s[20:21], -1
	v_bfe_u32 v3, v2, 16, 1
	v_add3_u32 v2, v2, v3, s0
	global_store_short_d16_hi v[0:1], v2, off
	s_mov_b64 s[0:1], 0
.LBB288_350:
	s_mov_b64 s[24:25], 0
.LBB288_351:
	s_and_b64 vcc, exec, s[24:25]
	s_cbranch_vccz .LBB288_354
; %bb.352:
	s_cmp_eq_u32 s29, 11
	s_mov_b64 s[0:1], -1
	s_cbranch_scc0 .LBB288_354
; %bb.353:
	v_cmp_ne_u16_e32 vcc, 0, v4
	s_mov_b64 s[20:21], -1
	s_mov_b64 s[0:1], 0
	v_cndmask_b32_e64 v2, 0, 1, vcc
	global_store_byte v[0:1], v2, off
.LBB288_354:
	s_mov_b64 s[24:25], 0
.LBB288_355:
	s_and_b64 vcc, exec, s[24:25]
	s_cbranch_vccz .LBB288_394
; %bb.356:
	s_and_b32 s24, 0xffff, s28
	s_cmp_lt_i32 s24, 5
	s_mov_b64 s[20:21], -1
	s_cbranch_scc1 .LBB288_377
; %bb.357:
	s_cmp_lt_i32 s24, 8
	s_cbranch_scc1 .LBB288_367
; %bb.358:
	s_cmp_lt_i32 s24, 9
	s_cbranch_scc1 .LBB288_364
; %bb.359:
	s_cmp_gt_i32 s24, 9
	s_cbranch_scc0 .LBB288_361
; %bb.360:
	v_bfe_i32 v2, v4, 0, 16
	v_mov_b32_e32 v8, 0
	v_cvt_f64_i32_e32 v[6:7], v2
	v_mov_b32_e32 v9, v8
	s_mov_b64 s[20:21], 0
	global_store_dwordx4 v[0:1], v[6:9], off
.LBB288_361:
	s_andn2_b64 vcc, exec, s[20:21]
	s_cbranch_vccnz .LBB288_363
; %bb.362:
	v_cvt_f32_i32_sdwa v2, sext(v4) dst_sel:DWORD dst_unused:UNUSED_PAD src0_sel:WORD_0
	v_mov_b32_e32 v3, 0
	global_store_dwordx2 v[0:1], v[2:3], off
.LBB288_363:
	s_mov_b64 s[20:21], 0
.LBB288_364:
	s_andn2_b64 vcc, exec, s[20:21]
	s_cbranch_vccnz .LBB288_366
; %bb.365:
	v_cvt_f16_i16_e32 v2, v4
	global_store_dword v[0:1], v2, off
.LBB288_366:
	s_mov_b64 s[20:21], 0
.LBB288_367:
	s_andn2_b64 vcc, exec, s[20:21]
	s_cbranch_vccnz .LBB288_376
; %bb.368:
	s_cmp_lt_i32 s24, 6
	s_mov_b64 s[20:21], -1
	s_cbranch_scc1 .LBB288_374
; %bb.369:
	s_cmp_gt_i32 s24, 6
	s_cbranch_scc0 .LBB288_371
; %bb.370:
	v_bfe_i32 v2, v4, 0, 16
	v_cvt_f64_i32_e32 v[2:3], v2
	s_mov_b64 s[20:21], 0
	global_store_dwordx2 v[0:1], v[2:3], off
.LBB288_371:
	s_andn2_b64 vcc, exec, s[20:21]
	s_cbranch_vccnz .LBB288_373
; %bb.372:
	v_cvt_f32_i32_sdwa v2, sext(v4) dst_sel:DWORD dst_unused:UNUSED_PAD src0_sel:WORD_0
	global_store_dword v[0:1], v2, off
.LBB288_373:
	s_mov_b64 s[20:21], 0
.LBB288_374:
	s_andn2_b64 vcc, exec, s[20:21]
	s_cbranch_vccnz .LBB288_376
; %bb.375:
	v_cvt_f16_i16_e32 v2, v4
	global_store_short v[0:1], v2, off
.LBB288_376:
	s_mov_b64 s[20:21], 0
.LBB288_377:
	s_andn2_b64 vcc, exec, s[20:21]
	s_cbranch_vccnz .LBB288_393
; %bb.378:
	s_cmp_lt_i32 s24, 2
	s_mov_b64 s[20:21], -1
	s_cbranch_scc1 .LBB288_388
; %bb.379:
	s_cmp_lt_i32 s24, 3
	s_cbranch_scc1 .LBB288_385
; %bb.380:
	s_cmp_gt_i32 s24, 3
	v_bfe_i32 v2, v4, 0, 16
	s_cbranch_scc0 .LBB288_382
; %bb.381:
	v_ashrrev_i32_e32 v3, 31, v2
	s_mov_b64 s[20:21], 0
	global_store_dwordx2 v[0:1], v[2:3], off
.LBB288_382:
	s_andn2_b64 vcc, exec, s[20:21]
	s_cbranch_vccnz .LBB288_384
; %bb.383:
	global_store_dword v[0:1], v2, off
.LBB288_384:
	s_mov_b64 s[20:21], 0
.LBB288_385:
	s_andn2_b64 vcc, exec, s[20:21]
	s_cbranch_vccnz .LBB288_387
; %bb.386:
	global_store_short v[0:1], v4, off
.LBB288_387:
	s_mov_b64 s[20:21], 0
.LBB288_388:
	s_andn2_b64 vcc, exec, s[20:21]
	s_cbranch_vccnz .LBB288_393
; %bb.389:
	s_cmp_gt_i32 s24, 0
	s_mov_b64 s[20:21], -1
	s_cbranch_scc0 .LBB288_391
; %bb.390:
	s_mov_b64 s[20:21], 0
	global_store_byte v[0:1], v4, off
.LBB288_391:
	s_andn2_b64 vcc, exec, s[20:21]
	s_cbranch_vccnz .LBB288_393
; %bb.392:
	global_store_byte v[0:1], v4, off
.LBB288_393:
	s_mov_b64 s[20:21], -1
.LBB288_394:
	s_andn2_b64 vcc, exec, s[20:21]
	s_cbranch_vccnz .LBB288_396
; %bb.395:
	v_add_u32_e32 v10, 0x80, v10
	s_mov_b64 s[24:25], -1
	s_branch .LBB288_504
.LBB288_396:
	s_mov_b64 s[24:25], 0
                                        ; implicit-def: $vgpr10
	s_branch .LBB288_504
.LBB288_397:
	s_mov_b64 s[18:19], -1
                                        ; implicit-def: $vgpr2
.LBB288_398:
	s_mov_b64 s[20:21], 0
.LBB288_399:
	s_and_b64 vcc, exec, s[20:21]
	s_cbranch_vccz .LBB288_403
; %bb.400:
	s_cmp_eq_u32 s24, 29
	s_cbranch_scc0 .LBB288_402
; %bb.401:
	global_load_dwordx2 v[2:3], v[0:1], off
	s_mov_b64 s[0:1], -1
	s_mov_b64 s[18:19], 0
	s_branch .LBB288_403
.LBB288_402:
	s_mov_b64 s[18:19], -1
                                        ; implicit-def: $vgpr2
.LBB288_403:
	s_mov_b64 s[20:21], 0
.LBB288_404:
	s_and_b64 vcc, exec, s[20:21]
	s_cbranch_vccz .LBB288_420
; %bb.405:
	s_cmp_lt_i32 s24, 27
	s_cbranch_scc1 .LBB288_408
; %bb.406:
	s_cmp_gt_i32 s24, 27
	s_cbranch_scc0 .LBB288_409
; %bb.407:
	global_load_dword v2, v[0:1], off
	s_mov_b64 s[0:1], 0
	s_branch .LBB288_410
.LBB288_408:
	s_mov_b64 s[0:1], -1
                                        ; implicit-def: $vgpr2
	s_branch .LBB288_413
.LBB288_409:
	s_mov_b64 s[0:1], -1
                                        ; implicit-def: $vgpr2
.LBB288_410:
	s_andn2_b64 vcc, exec, s[0:1]
	s_cbranch_vccnz .LBB288_412
; %bb.411:
	global_load_ushort v2, v[0:1], off
.LBB288_412:
	s_mov_b64 s[0:1], 0
.LBB288_413:
	s_andn2_b64 vcc, exec, s[0:1]
	s_cbranch_vccnz .LBB288_419
; %bb.414:
	global_load_ubyte v3, v[0:1], off
	s_movk_i32 s0, 0x7f
	s_mov_b64 s[20:21], 0
	s_waitcnt vmcnt(0)
	v_cmp_lt_i16_e32 vcc, s0, v3
	s_and_saveexec_b64 s[0:1], vcc
	s_xor_b64 s[0:1], exec, s[0:1]
	s_cbranch_execz .LBB288_431
; %bb.415:
	s_movk_i32 s20, 0x80
	v_cmp_ne_u16_e32 vcc, s20, v3
	s_and_b64 s[20:21], vcc, exec
	s_andn2_saveexec_b64 s[0:1], s[0:1]
	s_cbranch_execnz .LBB288_432
.LBB288_416:
	s_or_b64 exec, exec, s[0:1]
	v_mov_b32_e32 v2, 0
	s_and_saveexec_b64 s[0:1], s[20:21]
	s_cbranch_execz .LBB288_418
.LBB288_417:
	v_lshlrev_b32_e32 v2, 24, v3
	v_and_b32_e32 v3, 0xffff, v3
	v_and_b32_e32 v4, 7, v3
	v_ffbh_u32_e32 v6, v4
	v_min_u32_e32 v6, 32, v6
	v_subrev_u32_e32 v7, 28, v6
	v_bfe_u32 v5, v3, 3, 4
	v_lshlrev_b32_e32 v3, v7, v3
	v_sub_u32_e32 v6, 29, v6
	v_and_b32_e32 v3, 7, v3
	v_cmp_eq_u32_e32 vcc, 0, v5
	v_and_b32_e32 v2, 0x80000000, v2
	s_nop 0
	v_cndmask_b32_e32 v5, v5, v6, vcc
	v_cndmask_b32_e32 v3, v4, v3, vcc
	v_mov_b32_e32 v4, 0x3b800000
	v_lshlrev_b32_e32 v3, 20, v3
	v_lshl_add_u32 v4, v5, 23, v4
	v_or3_b32 v2, v2, v4, v3
	v_cvt_i32_f32_e32 v2, v2
.LBB288_418:
	s_or_b64 exec, exec, s[0:1]
.LBB288_419:
	s_mov_b64 s[0:1], -1
.LBB288_420:
	s_mov_b64 s[20:21], 0
.LBB288_421:
	s_and_b64 vcc, exec, s[20:21]
	s_cbranch_vccz .LBB288_454
; %bb.422:
	s_cmp_gt_i32 s24, 22
	s_cbranch_scc0 .LBB288_430
; %bb.423:
	s_cmp_lt_i32 s24, 24
	s_cbranch_scc1 .LBB288_433
; %bb.424:
	s_cmp_gt_i32 s24, 24
	s_cbranch_scc0 .LBB288_434
; %bb.425:
	global_load_ubyte v3, v[0:1], off
	s_movk_i32 s0, 0x7f
	s_mov_b64 s[20:21], 0
	s_waitcnt vmcnt(0)
	v_cmp_lt_i16_e32 vcc, s0, v3
	s_and_saveexec_b64 s[0:1], vcc
	s_xor_b64 s[0:1], exec, s[0:1]
	s_cbranch_execz .LBB288_446
; %bb.426:
	s_movk_i32 s20, 0x80
	v_cmp_ne_u16_e32 vcc, s20, v3
	s_and_b64 s[20:21], vcc, exec
	s_andn2_saveexec_b64 s[0:1], s[0:1]
	s_cbranch_execnz .LBB288_447
.LBB288_427:
	s_or_b64 exec, exec, s[0:1]
	v_mov_b32_e32 v2, 0
	s_and_saveexec_b64 s[0:1], s[20:21]
	s_cbranch_execz .LBB288_429
.LBB288_428:
	v_lshlrev_b32_e32 v2, 24, v3
	v_and_b32_e32 v3, 0xffff, v3
	v_and_b32_e32 v4, 3, v3
	v_ffbh_u32_e32 v6, v4
	v_min_u32_e32 v6, 32, v6
	v_subrev_u32_e32 v7, 29, v6
	v_bfe_u32 v5, v3, 2, 5
	v_lshlrev_b32_e32 v3, v7, v3
	v_sub_u32_e32 v6, 30, v6
	v_and_b32_e32 v3, 3, v3
	v_cmp_eq_u32_e32 vcc, 0, v5
	v_and_b32_e32 v2, 0x80000000, v2
	s_nop 0
	v_cndmask_b32_e32 v5, v5, v6, vcc
	v_cndmask_b32_e32 v3, v4, v3, vcc
	v_mov_b32_e32 v4, 0x37800000
	v_lshlrev_b32_e32 v3, 21, v3
	v_lshl_add_u32 v4, v5, 23, v4
	v_or3_b32 v2, v2, v4, v3
	v_cvt_i32_f32_e32 v2, v2
.LBB288_429:
	s_or_b64 exec, exec, s[0:1]
	s_mov_b64 s[0:1], 0
	s_branch .LBB288_435
.LBB288_430:
	s_mov_b64 s[20:21], -1
                                        ; implicit-def: $vgpr2
	s_branch .LBB288_441
.LBB288_431:
	s_andn2_saveexec_b64 s[0:1], s[0:1]
	s_cbranch_execz .LBB288_416
.LBB288_432:
	v_cmp_ne_u16_e32 vcc, 0, v3
	s_andn2_b64 s[20:21], s[20:21], exec
	s_and_b64 s[26:27], vcc, exec
	s_or_b64 s[20:21], s[20:21], s[26:27]
	s_or_b64 exec, exec, s[0:1]
	v_mov_b32_e32 v2, 0
	s_and_saveexec_b64 s[0:1], s[20:21]
	s_cbranch_execnz .LBB288_417
	s_branch .LBB288_418
.LBB288_433:
	s_mov_b64 s[0:1], -1
                                        ; implicit-def: $vgpr2
	s_branch .LBB288_438
.LBB288_434:
	s_mov_b64 s[0:1], -1
                                        ; implicit-def: $vgpr2
.LBB288_435:
	s_and_b64 vcc, exec, s[0:1]
	s_cbranch_vccz .LBB288_437
; %bb.436:
	global_load_ubyte v2, v[0:1], off
	s_mov_b32 s0, 0x7f800000
	s_waitcnt vmcnt(0)
	v_lshlrev_b32_e32 v2, 24, v2
	v_and_b32_e32 v3, 0x7f000000, v2
	v_ffbh_u32_e32 v4, v3
	v_min_u32_e32 v4, 32, v4
	v_sub_u32_e64 v4, v4, 4 clamp
	v_lshlrev_b32_e32 v6, v4, v3
	v_lshlrev_b32_e32 v4, 23, v4
	v_lshrrev_b32_e32 v6, 4, v6
	v_add_u32_e32 v5, 0x1000000, v3
	v_sub_u32_e32 v4, v6, v4
	v_ashrrev_i32_e32 v5, 8, v5
	v_add_u32_e32 v4, 0x3c000000, v4
	v_and_or_b32 v4, v5, s0, v4
	v_cmp_ne_u32_e32 vcc, 0, v3
	s_brev_b32 s0, 1
	s_nop 0
	v_cndmask_b32_e32 v3, 0, v4, vcc
	v_and_or_b32 v2, v2, s0, v3
	v_cvt_i32_f32_e32 v2, v2
.LBB288_437:
	s_mov_b64 s[0:1], 0
.LBB288_438:
	s_andn2_b64 vcc, exec, s[0:1]
	s_cbranch_vccnz .LBB288_440
; %bb.439:
	global_load_ubyte v2, v[0:1], off
	s_movk_i32 s0, 0x7f00
	s_brev_b32 s1, 16
	s_waitcnt vmcnt(0)
	v_lshlrev_b16_e32 v3, 8, v2
	v_lshlrev_b32_e32 v2, 25, v2
	v_lshrrev_b32_e32 v4, 4, v2
	v_and_or_b32 v5, v3, s0, 0.5
	v_or_b32_e32 v4, 0x70000000, v4
	v_add_f32_e32 v5, -0.5, v5
	v_mul_f32_e32 v4, 0x7800000, v4
	v_cmp_gt_u32_e32 vcc, s1, v2
	v_bfe_i32 v3, v3, 0, 16
	s_brev_b32 s0, 1
	v_cndmask_b32_e32 v2, v4, v5, vcc
	v_and_or_b32 v2, v3, s0, v2
	v_cvt_i32_f32_e32 v2, v2
.LBB288_440:
	s_mov_b64 s[20:21], 0
	s_mov_b64 s[0:1], -1
.LBB288_441:
	s_andn2_b64 vcc, exec, s[20:21]
	s_cbranch_vccnz .LBB288_454
; %bb.442:
	s_cmp_gt_i32 s24, 14
	s_cbranch_scc0 .LBB288_445
; %bb.443:
	s_cmp_eq_u32 s24, 15
	s_cbranch_scc0 .LBB288_448
; %bb.444:
	global_load_ushort v2, v[0:1], off
	s_mov_b64 s[0:1], -1
	s_mov_b64 s[18:19], 0
	s_waitcnt vmcnt(0)
	v_lshlrev_b32_e32 v2, 16, v2
	v_cvt_i32_f32_e32 v2, v2
	s_branch .LBB288_449
.LBB288_445:
	s_mov_b64 s[20:21], -1
                                        ; implicit-def: $vgpr2
	s_branch .LBB288_450
.LBB288_446:
	s_andn2_saveexec_b64 s[0:1], s[0:1]
	s_cbranch_execz .LBB288_427
.LBB288_447:
	v_cmp_ne_u16_e32 vcc, 0, v3
	s_andn2_b64 s[20:21], s[20:21], exec
	s_and_b64 s[26:27], vcc, exec
	s_or_b64 s[20:21], s[20:21], s[26:27]
	s_or_b64 exec, exec, s[0:1]
	v_mov_b32_e32 v2, 0
	s_and_saveexec_b64 s[0:1], s[20:21]
	s_cbranch_execnz .LBB288_428
	s_branch .LBB288_429
.LBB288_448:
	s_mov_b64 s[18:19], -1
                                        ; implicit-def: $vgpr2
.LBB288_449:
	s_mov_b64 s[20:21], 0
.LBB288_450:
	s_and_b64 vcc, exec, s[20:21]
	s_cbranch_vccz .LBB288_454
; %bb.451:
	s_cmp_eq_u32 s24, 11
	s_cbranch_scc0 .LBB288_453
; %bb.452:
	global_load_ubyte v2, v[0:1], off
	s_mov_b64 s[0:1], -1
	s_mov_b64 s[18:19], 0
	s_waitcnt vmcnt(0)
	v_cmp_ne_u16_e32 vcc, 0, v2
	s_nop 1
	v_cndmask_b32_e64 v2, 0, 1, vcc
	s_branch .LBB288_454
.LBB288_453:
	s_mov_b64 s[18:19], -1
                                        ; implicit-def: $vgpr2
.LBB288_454:
	s_branch .LBB288_261
.LBB288_455:
	s_cmp_lt_i32 s24, 5
	s_cbranch_scc1 .LBB288_460
; %bb.456:
	s_cmp_lt_i32 s24, 8
	s_cbranch_scc1 .LBB288_461
; %bb.457:
	;; [unrolled: 3-line block ×3, first 2 shown]
	s_cmp_gt_i32 s24, 9
	s_cbranch_scc0 .LBB288_463
; %bb.459:
	global_load_dwordx2 v[2:3], v[0:1], off
	s_mov_b64 s[0:1], 0
	s_waitcnt vmcnt(0)
	v_cvt_i32_f64_e32 v2, v[2:3]
	s_branch .LBB288_464
.LBB288_460:
	s_mov_b64 s[0:1], -1
                                        ; implicit-def: $vgpr2
	s_branch .LBB288_482
.LBB288_461:
	s_mov_b64 s[0:1], -1
                                        ; implicit-def: $vgpr2
	s_branch .LBB288_470
.LBB288_462:
	s_mov_b64 s[0:1], -1
                                        ; implicit-def: $vgpr2
	s_branch .LBB288_467
.LBB288_463:
	s_mov_b64 s[0:1], -1
                                        ; implicit-def: $vgpr2
.LBB288_464:
	s_andn2_b64 vcc, exec, s[0:1]
	s_cbranch_vccnz .LBB288_466
; %bb.465:
	global_load_dword v2, v[0:1], off
	s_waitcnt vmcnt(0)
	v_cvt_i32_f32_e32 v2, v2
.LBB288_466:
	s_mov_b64 s[0:1], 0
.LBB288_467:
	s_andn2_b64 vcc, exec, s[0:1]
	s_cbranch_vccnz .LBB288_469
; %bb.468:
	global_load_dword v2, v[0:1], off
	s_waitcnt vmcnt(0)
	v_cvt_i16_f16_e32 v2, v2
.LBB288_469:
	s_mov_b64 s[0:1], 0
.LBB288_470:
	s_andn2_b64 vcc, exec, s[0:1]
	s_cbranch_vccnz .LBB288_481
; %bb.471:
	s_cmp_lt_i32 s24, 6
	s_cbranch_scc1 .LBB288_474
; %bb.472:
	s_cmp_gt_i32 s24, 6
	s_cbranch_scc0 .LBB288_475
; %bb.473:
	global_load_dwordx2 v[2:3], v[0:1], off
	s_mov_b64 s[0:1], 0
	s_waitcnt vmcnt(0)
	v_cvt_i32_f64_e32 v2, v[2:3]
	s_branch .LBB288_476
.LBB288_474:
	s_mov_b64 s[0:1], -1
                                        ; implicit-def: $vgpr2
	s_branch .LBB288_479
.LBB288_475:
	s_mov_b64 s[0:1], -1
                                        ; implicit-def: $vgpr2
.LBB288_476:
	s_andn2_b64 vcc, exec, s[0:1]
	s_cbranch_vccnz .LBB288_478
; %bb.477:
	global_load_dword v2, v[0:1], off
	s_waitcnt vmcnt(0)
	v_cvt_i32_f32_e32 v2, v2
.LBB288_478:
	s_mov_b64 s[0:1], 0
.LBB288_479:
	s_andn2_b64 vcc, exec, s[0:1]
	s_cbranch_vccnz .LBB288_481
; %bb.480:
	global_load_ushort v2, v[0:1], off
	s_waitcnt vmcnt(0)
	v_cvt_i16_f16_e32 v2, v2
.LBB288_481:
	s_mov_b64 s[0:1], 0
.LBB288_482:
	s_andn2_b64 vcc, exec, s[0:1]
	s_cbranch_vccnz .LBB288_502
; %bb.483:
	s_cmp_lt_i32 s24, 2
	s_cbranch_scc1 .LBB288_487
; %bb.484:
	s_cmp_lt_i32 s24, 3
	s_cbranch_scc1 .LBB288_488
; %bb.485:
	s_cmp_gt_i32 s24, 3
	s_cbranch_scc0 .LBB288_489
; %bb.486:
	global_load_dwordx2 v[2:3], v[0:1], off
	s_mov_b64 s[0:1], 0
	s_branch .LBB288_490
.LBB288_487:
	s_mov_b64 s[0:1], -1
                                        ; implicit-def: $vgpr2
	s_branch .LBB288_496
.LBB288_488:
	s_mov_b64 s[0:1], -1
                                        ; implicit-def: $vgpr2
	s_branch .LBB288_493
.LBB288_489:
	s_mov_b64 s[0:1], -1
                                        ; implicit-def: $vgpr2
.LBB288_490:
	s_andn2_b64 vcc, exec, s[0:1]
	s_cbranch_vccnz .LBB288_492
; %bb.491:
	global_load_dword v2, v[0:1], off
.LBB288_492:
	s_mov_b64 s[0:1], 0
.LBB288_493:
	s_andn2_b64 vcc, exec, s[0:1]
	s_cbranch_vccnz .LBB288_495
; %bb.494:
	global_load_ushort v2, v[0:1], off
.LBB288_495:
	s_mov_b64 s[0:1], 0
.LBB288_496:
	s_andn2_b64 vcc, exec, s[0:1]
	s_cbranch_vccnz .LBB288_502
; %bb.497:
	s_cmp_gt_i32 s24, 0
	s_cbranch_scc0 .LBB288_499
; %bb.498:
	global_load_ubyte v2, v[0:1], off
	s_mov_b64 s[0:1], 0
	s_branch .LBB288_500
.LBB288_499:
	s_mov_b64 s[0:1], -1
                                        ; implicit-def: $vgpr2
.LBB288_500:
	s_andn2_b64 vcc, exec, s[0:1]
	s_cbranch_vccnz .LBB288_502
; %bb.501:
	global_load_ubyte v2, v[0:1], off
.LBB288_502:
	s_branch .LBB288_262
.LBB288_503:
	s_mov_b64 s[24:25], 0
                                        ; implicit-def: $vgpr10
	s_mov_b64 s[0:1], s[12:13]
.LBB288_504:
	s_andn2_b64 s[20:21], s[12:13], exec
	s_and_b64 s[0:1], s[0:1], exec
	s_or_b64 s[20:21], s[20:21], s[0:1]
	s_andn2_b64 s[0:1], s[14:15], exec
	s_and_b64 s[18:19], s[18:19], exec
	s_or_b64 s[18:19], s[0:1], s[18:19]
	s_orn2_b64 s[0:1], s[24:25], exec
.LBB288_505:
	s_or_b64 exec, exec, s[22:23]
	s_mov_b64 s[24:25], 0
	s_mov_b64 s[26:27], 0
	;; [unrolled: 1-line block ×3, first 2 shown]
                                        ; implicit-def: $vgpr0_vgpr1
                                        ; implicit-def: $vgpr2
	s_and_saveexec_b64 s[22:23], s[0:1]
	s_cbranch_execz .LBB288_842
; %bb.506:
	v_cmp_gt_i32_e32 vcc, s38, v10
	s_mov_b64 s[34:35], -1
	s_mov_b64 s[0:1], s[18:19]
	s_mov_b64 s[28:29], s[20:21]
	s_and_saveexec_b64 s[24:25], vcc
	s_cbranch_execz .LBB288_760
; %bb.507:
	v_mul_lo_u32 v0, v10, s9
	v_ashrrev_i32_e32 v1, 31, v0
	s_and_b32 s30, 0xffff, s44
	s_cmp_lt_i32 s30, 11
	v_lshl_add_u64 v[0:1], s[6:7], 0, v[0:1]
	s_cbranch_scc1 .LBB288_514
; %bb.508:
	s_cmp_gt_i32 s30, 25
	s_cbranch_scc0 .LBB288_515
; %bb.509:
	s_cmp_gt_i32 s30, 28
	s_cbranch_scc0 .LBB288_516
	;; [unrolled: 3-line block ×4, first 2 shown]
; %bb.512:
	s_cmp_eq_u32 s30, 46
	s_mov_b64 s[28:29], 0
	s_cbranch_scc0 .LBB288_523
; %bb.513:
	global_load_dword v2, v[0:1], off
	s_mov_b64 s[0:1], -1
	s_waitcnt vmcnt(0)
	v_lshlrev_b32_e32 v2, 16, v2
	v_cvt_i32_f32_e32 v2, v2
	s_branch .LBB288_524
.LBB288_514:
	s_mov_b64 s[28:29], -1
	s_mov_b64 s[0:1], 0
                                        ; implicit-def: $vgpr2
	s_mov_b64 s[26:27], s[18:19]
	s_branch .LBB288_585
.LBB288_515:
	s_mov_b64 s[28:29], -1
	s_mov_b64 s[0:1], 0
	s_mov_b64 s[26:27], s[18:19]
                                        ; implicit-def: $vgpr2
	s_branch .LBB288_551
.LBB288_516:
	s_mov_b64 s[28:29], -1
	s_mov_b64 s[0:1], 0
	s_mov_b64 s[26:27], s[18:19]
                                        ; implicit-def: $vgpr2
	s_branch .LBB288_534
.LBB288_517:
	s_mov_b64 s[28:29], -1
	s_mov_b64 s[0:1], 0
	s_mov_b64 s[26:27], s[18:19]
                                        ; implicit-def: $vgpr2
	s_branch .LBB288_529
.LBB288_518:
	s_andn2_saveexec_b64 s[26:27], s[26:27]
	s_cbranch_execz .LBB288_307
.LBB288_519:
	s_mov_b32 s30, 0x46000000
	v_add_f32_e64 v3, |v2|, s30
	v_and_b32_e32 v3, 0xff, v3
	v_cmp_ne_u32_e32 vcc, 0, v3
	s_andn2_b64 s[24:25], s[24:25], exec
	s_and_b64 s[30:31], vcc, exec
	s_or_b64 s[24:25], s[24:25], s[30:31]
	s_or_b64 exec, exec, s[26:27]
	v_mov_b32_e32 v5, 0
	s_and_saveexec_b64 s[26:27], s[24:25]
	s_cbranch_execnz .LBB288_308
	s_branch .LBB288_309
.LBB288_520:
	s_mov_b64 s[28:29], -1
	s_mov_b64 s[0:1], 0
	s_mov_b64 s[26:27], s[18:19]
                                        ; implicit-def: $vgpr2
	s_branch .LBB288_524
.LBB288_521:
	s_andn2_saveexec_b64 s[26:27], s[26:27]
	s_cbranch_execz .LBB288_320
.LBB288_522:
	s_mov_b32 s30, 0x42800000
	v_add_f32_e64 v3, |v2|, s30
	v_and_b32_e32 v3, 0xff, v3
	v_cmp_ne_u32_e32 vcc, 0, v3
	s_andn2_b64 s[24:25], s[24:25], exec
	s_and_b64 s[30:31], vcc, exec
	s_or_b64 s[24:25], s[24:25], s[30:31]
	s_or_b64 exec, exec, s[26:27]
	v_mov_b32_e32 v5, 0
	s_and_saveexec_b64 s[26:27], s[24:25]
	s_cbranch_execnz .LBB288_321
	s_branch .LBB288_322
.LBB288_523:
	s_mov_b64 s[26:27], -1
                                        ; implicit-def: $vgpr2
	s_mov_b64 s[0:1], 0
.LBB288_524:
	s_and_b64 vcc, exec, s[28:29]
	s_cbranch_vccz .LBB288_528
; %bb.525:
	s_cmp_eq_u32 s30, 44
	s_cbranch_scc0 .LBB288_527
; %bb.526:
	global_load_ubyte v2, v[0:1], off
	s_mov_b64 s[0:1], -1
	s_mov_b64 s[26:27], 0
	s_waitcnt vmcnt(0)
	v_lshlrev_b32_e32 v3, 23, v2
	v_cvt_i32_f32_e32 v3, v3
	v_cmp_ne_u32_e32 vcc, 0, v2
	s_nop 1
	v_cndmask_b32_e32 v2, 0, v3, vcc
	s_branch .LBB288_528
.LBB288_527:
	s_mov_b64 s[26:27], -1
                                        ; implicit-def: $vgpr2
.LBB288_528:
	s_mov_b64 s[28:29], 0
.LBB288_529:
	s_and_b64 vcc, exec, s[28:29]
	s_cbranch_vccz .LBB288_533
; %bb.530:
	s_cmp_eq_u32 s30, 29
	s_cbranch_scc0 .LBB288_532
; %bb.531:
	global_load_dwordx2 v[2:3], v[0:1], off
	s_mov_b64 s[0:1], -1
	s_mov_b64 s[26:27], 0
	s_branch .LBB288_533
.LBB288_532:
	s_mov_b64 s[26:27], -1
                                        ; implicit-def: $vgpr2
.LBB288_533:
	s_mov_b64 s[28:29], 0
.LBB288_534:
	s_and_b64 vcc, exec, s[28:29]
	s_cbranch_vccz .LBB288_550
; %bb.535:
	s_cmp_lt_i32 s30, 27
	s_cbranch_scc1 .LBB288_538
; %bb.536:
	s_cmp_gt_i32 s30, 27
	s_cbranch_scc0 .LBB288_539
; %bb.537:
	global_load_dword v2, v[0:1], off
	s_mov_b64 s[0:1], 0
	s_branch .LBB288_540
.LBB288_538:
	s_mov_b64 s[0:1], -1
                                        ; implicit-def: $vgpr2
	s_branch .LBB288_543
.LBB288_539:
	s_mov_b64 s[0:1], -1
                                        ; implicit-def: $vgpr2
.LBB288_540:
	s_andn2_b64 vcc, exec, s[0:1]
	s_cbranch_vccnz .LBB288_542
; %bb.541:
	global_load_ushort v2, v[0:1], off
.LBB288_542:
	s_mov_b64 s[0:1], 0
.LBB288_543:
	s_andn2_b64 vcc, exec, s[0:1]
	s_cbranch_vccnz .LBB288_549
; %bb.544:
	global_load_ubyte v3, v[0:1], off
	s_movk_i32 s0, 0x7f
	s_mov_b64 s[28:29], 0
	s_waitcnt vmcnt(0)
	v_cmp_lt_i16_e32 vcc, s0, v3
	s_and_saveexec_b64 s[0:1], vcc
	s_xor_b64 s[0:1], exec, s[0:1]
	s_cbranch_execz .LBB288_561
; %bb.545:
	s_movk_i32 s28, 0x80
	v_cmp_ne_u16_e32 vcc, s28, v3
	s_and_b64 s[28:29], vcc, exec
	s_andn2_saveexec_b64 s[0:1], s[0:1]
	s_cbranch_execnz .LBB288_562
.LBB288_546:
	s_or_b64 exec, exec, s[0:1]
	v_mov_b32_e32 v2, 0
	s_and_saveexec_b64 s[0:1], s[28:29]
	s_cbranch_execz .LBB288_548
.LBB288_547:
	v_lshlrev_b32_e32 v2, 24, v3
	v_and_b32_e32 v3, 0xffff, v3
	v_and_b32_e32 v4, 7, v3
	v_ffbh_u32_e32 v6, v4
	v_min_u32_e32 v6, 32, v6
	v_subrev_u32_e32 v7, 28, v6
	v_bfe_u32 v5, v3, 3, 4
	v_lshlrev_b32_e32 v3, v7, v3
	v_sub_u32_e32 v6, 29, v6
	v_and_b32_e32 v3, 7, v3
	v_cmp_eq_u32_e32 vcc, 0, v5
	v_and_b32_e32 v2, 0x80000000, v2
	s_nop 0
	v_cndmask_b32_e32 v5, v5, v6, vcc
	v_cndmask_b32_e32 v3, v4, v3, vcc
	v_mov_b32_e32 v4, 0x3b800000
	v_lshlrev_b32_e32 v3, 20, v3
	v_lshl_add_u32 v4, v5, 23, v4
	v_or3_b32 v2, v2, v4, v3
	v_cvt_i32_f32_e32 v2, v2
.LBB288_548:
	s_or_b64 exec, exec, s[0:1]
.LBB288_549:
	s_mov_b64 s[0:1], -1
.LBB288_550:
	s_mov_b64 s[28:29], 0
.LBB288_551:
	s_and_b64 vcc, exec, s[28:29]
	s_cbranch_vccz .LBB288_584
; %bb.552:
	s_cmp_gt_i32 s30, 22
	s_cbranch_scc0 .LBB288_560
; %bb.553:
	s_cmp_lt_i32 s30, 24
	s_cbranch_scc1 .LBB288_563
; %bb.554:
	s_cmp_gt_i32 s30, 24
	s_cbranch_scc0 .LBB288_564
; %bb.555:
	global_load_ubyte v3, v[0:1], off
	s_movk_i32 s0, 0x7f
	s_mov_b64 s[28:29], 0
	s_waitcnt vmcnt(0)
	v_cmp_lt_i16_e32 vcc, s0, v3
	s_and_saveexec_b64 s[0:1], vcc
	s_xor_b64 s[0:1], exec, s[0:1]
	s_cbranch_execz .LBB288_576
; %bb.556:
	s_movk_i32 s28, 0x80
	v_cmp_ne_u16_e32 vcc, s28, v3
	s_and_b64 s[28:29], vcc, exec
	s_andn2_saveexec_b64 s[0:1], s[0:1]
	s_cbranch_execnz .LBB288_577
.LBB288_557:
	s_or_b64 exec, exec, s[0:1]
	v_mov_b32_e32 v2, 0
	s_and_saveexec_b64 s[0:1], s[28:29]
	s_cbranch_execz .LBB288_559
.LBB288_558:
	v_lshlrev_b32_e32 v2, 24, v3
	v_and_b32_e32 v3, 0xffff, v3
	v_and_b32_e32 v4, 3, v3
	v_ffbh_u32_e32 v6, v4
	v_min_u32_e32 v6, 32, v6
	v_subrev_u32_e32 v7, 29, v6
	v_bfe_u32 v5, v3, 2, 5
	v_lshlrev_b32_e32 v3, v7, v3
	v_sub_u32_e32 v6, 30, v6
	v_and_b32_e32 v3, 3, v3
	v_cmp_eq_u32_e32 vcc, 0, v5
	v_and_b32_e32 v2, 0x80000000, v2
	s_nop 0
	v_cndmask_b32_e32 v5, v5, v6, vcc
	v_cndmask_b32_e32 v3, v4, v3, vcc
	v_mov_b32_e32 v4, 0x37800000
	v_lshlrev_b32_e32 v3, 21, v3
	v_lshl_add_u32 v4, v5, 23, v4
	v_or3_b32 v2, v2, v4, v3
	v_cvt_i32_f32_e32 v2, v2
.LBB288_559:
	s_or_b64 exec, exec, s[0:1]
	s_mov_b64 s[0:1], 0
	s_branch .LBB288_565
.LBB288_560:
	s_mov_b64 s[28:29], -1
                                        ; implicit-def: $vgpr2
	s_branch .LBB288_571
.LBB288_561:
	s_andn2_saveexec_b64 s[0:1], s[0:1]
	s_cbranch_execz .LBB288_546
.LBB288_562:
	v_cmp_ne_u16_e32 vcc, 0, v3
	s_andn2_b64 s[28:29], s[28:29], exec
	s_and_b64 s[34:35], vcc, exec
	s_or_b64 s[28:29], s[28:29], s[34:35]
	s_or_b64 exec, exec, s[0:1]
	v_mov_b32_e32 v2, 0
	s_and_saveexec_b64 s[0:1], s[28:29]
	s_cbranch_execnz .LBB288_547
	s_branch .LBB288_548
.LBB288_563:
	s_mov_b64 s[0:1], -1
                                        ; implicit-def: $vgpr2
	s_branch .LBB288_568
.LBB288_564:
	s_mov_b64 s[0:1], -1
                                        ; implicit-def: $vgpr2
.LBB288_565:
	s_and_b64 vcc, exec, s[0:1]
	s_cbranch_vccz .LBB288_567
; %bb.566:
	global_load_ubyte v2, v[0:1], off
	s_mov_b32 s0, 0x7f800000
	s_waitcnt vmcnt(0)
	v_lshlrev_b32_e32 v2, 24, v2
	v_and_b32_e32 v3, 0x7f000000, v2
	v_ffbh_u32_e32 v4, v3
	v_min_u32_e32 v4, 32, v4
	v_sub_u32_e64 v4, v4, 4 clamp
	v_lshlrev_b32_e32 v6, v4, v3
	v_lshlrev_b32_e32 v4, 23, v4
	v_lshrrev_b32_e32 v6, 4, v6
	v_add_u32_e32 v5, 0x1000000, v3
	v_sub_u32_e32 v4, v6, v4
	v_ashrrev_i32_e32 v5, 8, v5
	v_add_u32_e32 v4, 0x3c000000, v4
	v_and_or_b32 v4, v5, s0, v4
	v_cmp_ne_u32_e32 vcc, 0, v3
	s_brev_b32 s0, 1
	s_nop 0
	v_cndmask_b32_e32 v3, 0, v4, vcc
	v_and_or_b32 v2, v2, s0, v3
	v_cvt_i32_f32_e32 v2, v2
.LBB288_567:
	s_mov_b64 s[0:1], 0
.LBB288_568:
	s_andn2_b64 vcc, exec, s[0:1]
	s_cbranch_vccnz .LBB288_570
; %bb.569:
	global_load_ubyte v2, v[0:1], off
	s_movk_i32 s0, 0x7f00
	s_brev_b32 s1, 16
	s_waitcnt vmcnt(0)
	v_lshlrev_b16_e32 v3, 8, v2
	v_lshlrev_b32_e32 v2, 25, v2
	v_lshrrev_b32_e32 v4, 4, v2
	v_and_or_b32 v5, v3, s0, 0.5
	v_or_b32_e32 v4, 0x70000000, v4
	v_add_f32_e32 v5, -0.5, v5
	v_mul_f32_e32 v4, 0x7800000, v4
	v_cmp_gt_u32_e32 vcc, s1, v2
	v_bfe_i32 v3, v3, 0, 16
	s_brev_b32 s0, 1
	v_cndmask_b32_e32 v2, v4, v5, vcc
	v_and_or_b32 v2, v3, s0, v2
	v_cvt_i32_f32_e32 v2, v2
.LBB288_570:
	s_mov_b64 s[28:29], 0
	s_mov_b64 s[0:1], -1
.LBB288_571:
	s_andn2_b64 vcc, exec, s[28:29]
	s_cbranch_vccnz .LBB288_584
; %bb.572:
	s_cmp_gt_i32 s30, 14
	s_cbranch_scc0 .LBB288_575
; %bb.573:
	s_cmp_eq_u32 s30, 15
	s_cbranch_scc0 .LBB288_578
; %bb.574:
	global_load_ushort v2, v[0:1], off
	s_mov_b64 s[0:1], -1
	s_mov_b64 s[26:27], 0
	s_waitcnt vmcnt(0)
	v_lshlrev_b32_e32 v2, 16, v2
	v_cvt_i32_f32_e32 v2, v2
	s_branch .LBB288_579
.LBB288_575:
	s_mov_b64 s[28:29], -1
                                        ; implicit-def: $vgpr2
	s_branch .LBB288_580
.LBB288_576:
	s_andn2_saveexec_b64 s[0:1], s[0:1]
	s_cbranch_execz .LBB288_557
.LBB288_577:
	v_cmp_ne_u16_e32 vcc, 0, v3
	s_andn2_b64 s[28:29], s[28:29], exec
	s_and_b64 s[34:35], vcc, exec
	s_or_b64 s[28:29], s[28:29], s[34:35]
	s_or_b64 exec, exec, s[0:1]
	v_mov_b32_e32 v2, 0
	s_and_saveexec_b64 s[0:1], s[28:29]
	s_cbranch_execnz .LBB288_558
	s_branch .LBB288_559
.LBB288_578:
	s_mov_b64 s[26:27], -1
                                        ; implicit-def: $vgpr2
.LBB288_579:
	s_mov_b64 s[28:29], 0
.LBB288_580:
	s_and_b64 vcc, exec, s[28:29]
	s_cbranch_vccz .LBB288_584
; %bb.581:
	s_cmp_eq_u32 s30, 11
	s_cbranch_scc0 .LBB288_583
; %bb.582:
	global_load_ubyte v2, v[0:1], off
	s_mov_b64 s[0:1], -1
	s_mov_b64 s[26:27], 0
	s_waitcnt vmcnt(0)
	v_cmp_ne_u16_e32 vcc, 0, v2
	s_nop 1
	v_cndmask_b32_e64 v2, 0, 1, vcc
	s_branch .LBB288_584
.LBB288_583:
	s_mov_b64 s[26:27], -1
                                        ; implicit-def: $vgpr2
.LBB288_584:
	s_mov_b64 s[28:29], 0
.LBB288_585:
	s_and_b64 vcc, exec, s[28:29]
	s_cbranch_vccz .LBB288_634
; %bb.586:
	s_cmp_lt_i32 s30, 5
	s_cbranch_scc1 .LBB288_591
; %bb.587:
	s_cmp_lt_i32 s30, 8
	s_cbranch_scc1 .LBB288_592
	;; [unrolled: 3-line block ×3, first 2 shown]
; %bb.589:
	s_cmp_gt_i32 s30, 9
	s_cbranch_scc0 .LBB288_594
; %bb.590:
	global_load_dwordx2 v[2:3], v[0:1], off
	s_mov_b64 s[0:1], 0
	s_waitcnt vmcnt(0)
	v_cvt_i32_f64_e32 v2, v[2:3]
	s_branch .LBB288_595
.LBB288_591:
	s_mov_b64 s[0:1], -1
                                        ; implicit-def: $vgpr2
	s_branch .LBB288_613
.LBB288_592:
	s_mov_b64 s[0:1], -1
                                        ; implicit-def: $vgpr2
	s_branch .LBB288_601
.LBB288_593:
	s_mov_b64 s[0:1], -1
                                        ; implicit-def: $vgpr2
	s_branch .LBB288_598
.LBB288_594:
	s_mov_b64 s[0:1], -1
                                        ; implicit-def: $vgpr2
.LBB288_595:
	s_andn2_b64 vcc, exec, s[0:1]
	s_cbranch_vccnz .LBB288_597
; %bb.596:
	global_load_dword v2, v[0:1], off
	s_waitcnt vmcnt(0)
	v_cvt_i32_f32_e32 v2, v2
.LBB288_597:
	s_mov_b64 s[0:1], 0
.LBB288_598:
	s_andn2_b64 vcc, exec, s[0:1]
	s_cbranch_vccnz .LBB288_600
; %bb.599:
	global_load_dword v2, v[0:1], off
	s_waitcnt vmcnt(0)
	v_cvt_i16_f16_e32 v2, v2
.LBB288_600:
	s_mov_b64 s[0:1], 0
.LBB288_601:
	s_andn2_b64 vcc, exec, s[0:1]
	s_cbranch_vccnz .LBB288_612
; %bb.602:
	s_cmp_lt_i32 s30, 6
	s_cbranch_scc1 .LBB288_605
; %bb.603:
	s_cmp_gt_i32 s30, 6
	s_cbranch_scc0 .LBB288_606
; %bb.604:
	global_load_dwordx2 v[2:3], v[0:1], off
	s_mov_b64 s[0:1], 0
	s_waitcnt vmcnt(0)
	v_cvt_i32_f64_e32 v2, v[2:3]
	s_branch .LBB288_607
.LBB288_605:
	s_mov_b64 s[0:1], -1
                                        ; implicit-def: $vgpr2
	s_branch .LBB288_610
.LBB288_606:
	s_mov_b64 s[0:1], -1
                                        ; implicit-def: $vgpr2
.LBB288_607:
	s_andn2_b64 vcc, exec, s[0:1]
	s_cbranch_vccnz .LBB288_609
; %bb.608:
	global_load_dword v2, v[0:1], off
	s_waitcnt vmcnt(0)
	v_cvt_i32_f32_e32 v2, v2
.LBB288_609:
	s_mov_b64 s[0:1], 0
.LBB288_610:
	s_andn2_b64 vcc, exec, s[0:1]
	s_cbranch_vccnz .LBB288_612
; %bb.611:
	global_load_ushort v2, v[0:1], off
	s_waitcnt vmcnt(0)
	v_cvt_i16_f16_e32 v2, v2
.LBB288_612:
	s_mov_b64 s[0:1], 0
.LBB288_613:
	s_andn2_b64 vcc, exec, s[0:1]
	s_cbranch_vccnz .LBB288_633
; %bb.614:
	s_cmp_lt_i32 s30, 2
	s_cbranch_scc1 .LBB288_618
; %bb.615:
	s_cmp_lt_i32 s30, 3
	s_cbranch_scc1 .LBB288_619
; %bb.616:
	s_cmp_gt_i32 s30, 3
	s_cbranch_scc0 .LBB288_620
; %bb.617:
	global_load_dwordx2 v[2:3], v[0:1], off
	s_mov_b64 s[0:1], 0
	s_branch .LBB288_621
.LBB288_618:
	s_mov_b64 s[0:1], -1
                                        ; implicit-def: $vgpr2
	s_branch .LBB288_627
.LBB288_619:
	s_mov_b64 s[0:1], -1
                                        ; implicit-def: $vgpr2
	s_branch .LBB288_624
.LBB288_620:
	s_mov_b64 s[0:1], -1
                                        ; implicit-def: $vgpr2
.LBB288_621:
	s_andn2_b64 vcc, exec, s[0:1]
	s_cbranch_vccnz .LBB288_623
; %bb.622:
	global_load_dword v2, v[0:1], off
.LBB288_623:
	s_mov_b64 s[0:1], 0
.LBB288_624:
	s_andn2_b64 vcc, exec, s[0:1]
	s_cbranch_vccnz .LBB288_626
; %bb.625:
	global_load_ushort v2, v[0:1], off
.LBB288_626:
	s_mov_b64 s[0:1], 0
.LBB288_627:
	s_andn2_b64 vcc, exec, s[0:1]
	s_cbranch_vccnz .LBB288_633
; %bb.628:
	s_cmp_gt_i32 s30, 0
	s_cbranch_scc0 .LBB288_630
; %bb.629:
	global_load_ubyte v2, v[0:1], off
	s_mov_b64 s[0:1], 0
	s_branch .LBB288_631
.LBB288_630:
	s_mov_b64 s[0:1], -1
                                        ; implicit-def: $vgpr2
.LBB288_631:
	s_andn2_b64 vcc, exec, s[0:1]
	s_cbranch_vccnz .LBB288_633
; %bb.632:
	global_load_ubyte v2, v[0:1], off
.LBB288_633:
	s_mov_b64 s[0:1], -1
.LBB288_634:
	s_andn2_b64 vcc, exec, s[0:1]
	s_cbranch_vccnz .LBB288_642
; %bb.635:
	s_bfe_i32 s0, s33, 0x80000
	s_waitcnt vmcnt(0)
	v_max_i16_sdwa v0, sext(v2), s0 dst_sel:DWORD dst_unused:UNUSED_PAD src0_sel:BYTE_0 src1_sel:DWORD
	s_bfe_i32 s0, s43, 0x80000
	v_min_i16_e32 v4, s0, v0
	v_mul_lo_u32 v0, v10, s8
	v_ashrrev_i32_e32 v1, 31, v0
	s_and_b32 s36, s42, 0xff
	s_cmp_lt_i32 s36, 11
	v_lshl_add_u64 v[0:1], s[4:5], 0, v[0:1]
	s_cbranch_scc1 .LBB288_643
; %bb.636:
	s_and_b32 s37, 0xffff, s36
	s_cmp_gt_i32 s37, 25
	s_cbranch_scc0 .LBB288_644
; %bb.637:
	s_cmp_gt_i32 s37, 28
	s_cbranch_scc0 .LBB288_645
; %bb.638:
	;; [unrolled: 3-line block ×4, first 2 shown]
	s_mov_b64 s[30:31], 0
	s_mov_b64 s[0:1], -1
	s_cmp_eq_u32 s37, 46
	s_mov_b64 s[28:29], 0
	s_cbranch_scc0 .LBB288_648
; %bb.641:
	v_cvt_f32_i32_sdwa v2, sext(v4) dst_sel:DWORD dst_unused:UNUSED_PAD src0_sel:WORD_0
	s_movk_i32 s0, 0x7fff
	s_mov_b64 s[28:29], -1
	v_bfe_u32 v3, v2, 16, 1
	v_add3_u32 v2, v2, v3, s0
	v_lshrrev_b32_e32 v2, 16, v2
	global_store_dword v[0:1], v2, off
	s_mov_b64 s[0:1], 0
	s_branch .LBB288_648
.LBB288_642:
	s_mov_b64 s[30:31], 0
                                        ; implicit-def: $vgpr10
	s_mov_b64 s[0:1], s[20:21]
	s_branch .LBB288_759
.LBB288_643:
	s_mov_b64 s[30:31], -1
	s_mov_b64 s[28:29], 0
	s_mov_b64 s[0:1], s[20:21]
	s_branch .LBB288_717
.LBB288_644:
	s_mov_b64 s[30:31], -1
	s_mov_b64 s[28:29], 0
	s_mov_b64 s[0:1], s[20:21]
	s_branch .LBB288_675
.LBB288_645:
	s_mov_b64 s[30:31], -1
	s_mov_b64 s[28:29], 0
	s_mov_b64 s[0:1], s[20:21]
	s_branch .LBB288_658
.LBB288_646:
	s_mov_b64 s[30:31], -1
	s_mov_b64 s[28:29], 0
	s_mov_b64 s[0:1], s[20:21]
	s_branch .LBB288_654
.LBB288_647:
	s_mov_b64 s[30:31], -1
	s_mov_b64 s[28:29], 0
	s_mov_b64 s[0:1], s[20:21]
.LBB288_648:
	s_and_b64 vcc, exec, s[30:31]
	s_cbranch_vccz .LBB288_653
; %bb.649:
	s_cmp_eq_u32 s37, 44
	s_mov_b64 s[0:1], -1
	s_cbranch_scc0 .LBB288_653
; %bb.650:
	v_cvt_f32_i32_sdwa v2, sext(v4) dst_sel:DWORD dst_unused:UNUSED_PAD src0_sel:WORD_0
	s_movk_i32 s0, 0xff
	v_mov_b32_e32 v5, 0xff
	v_bfe_u32 v3, v2, 23, 8
	v_cmp_ne_u32_e32 vcc, s0, v3
	s_and_saveexec_b64 s[28:29], vcc
; %bb.651:
	s_mov_b32 s0, 0x3fffff
	v_lshrrev_b32_e32 v5, 23, v2
	v_and_b32_e32 v6, 0x400000, v2
	v_and_or_b32 v2, v2, s0, v3
	v_cmp_ne_u32_e32 vcc, 0, v6
	v_cmp_ne_u32_e64 s[0:1], 0, v2
	s_and_b64 s[0:1], vcc, s[0:1]
	s_nop 0
	v_cndmask_b32_e64 v2, 0, 1, s[0:1]
	v_add_u32_e32 v5, v5, v2
; %bb.652:
	s_or_b64 exec, exec, s[28:29]
	s_mov_b64 s[28:29], -1
	s_mov_b64 s[0:1], 0
	global_store_byte v[0:1], v5, off
.LBB288_653:
	s_mov_b64 s[30:31], 0
.LBB288_654:
	s_and_b64 vcc, exec, s[30:31]
	s_cbranch_vccz .LBB288_657
; %bb.655:
	s_cmp_eq_u32 s37, 29
	s_mov_b64 s[0:1], -1
	s_cbranch_scc0 .LBB288_657
; %bb.656:
	v_bfe_i32 v2, v4, 0, 16
	v_ashrrev_i32_e32 v3, 31, v2
	global_store_dwordx2 v[0:1], v[2:3], off
	s_mov_b64 s[28:29], -1
	s_mov_b64 s[0:1], 0
.LBB288_657:
	s_mov_b64 s[30:31], 0
.LBB288_658:
	s_and_b64 vcc, exec, s[30:31]
	s_cbranch_vccz .LBB288_674
; %bb.659:
	s_cmp_lt_i32 s37, 27
	s_mov_b64 s[28:29], -1
	s_cbranch_scc1 .LBB288_665
; %bb.660:
	s_cmp_gt_i32 s37, 27
	s_cbranch_scc0 .LBB288_662
; %bb.661:
	v_bfe_i32 v2, v4, 0, 16
	s_mov_b64 s[28:29], 0
	global_store_dword v[0:1], v2, off
.LBB288_662:
	s_andn2_b64 vcc, exec, s[28:29]
	s_cbranch_vccnz .LBB288_664
; %bb.663:
	global_store_short v[0:1], v4, off
.LBB288_664:
	s_mov_b64 s[28:29], 0
.LBB288_665:
	s_andn2_b64 vcc, exec, s[28:29]
	s_cbranch_vccnz .LBB288_673
; %bb.666:
	v_cvt_f32_i32_sdwa v2, sext(v4) dst_sel:DWORD dst_unused:UNUSED_PAD src0_sel:WORD_0
	s_mov_b32 s28, 0x43800000
	v_mov_b32_e32 v5, 0x80
	v_and_b32_e32 v3, 0x7fffffff, v2
	v_cmp_gt_u32_e32 vcc, s28, v3
	s_and_saveexec_b64 s[28:29], vcc
	s_cbranch_execz .LBB288_672
; %bb.667:
	s_mov_b32 s30, 0x3bffffff
	v_cmp_lt_u32_e32 vcc, s30, v3
	s_mov_b64 s[30:31], 0
                                        ; implicit-def: $vgpr3
	s_and_saveexec_b64 s[34:35], vcc
	s_xor_b64 s[34:35], exec, s[34:35]
	s_cbranch_execz .LBB288_773
; %bb.668:
	v_bfe_u32 v3, v2, 20, 1
	s_mov_b32 s39, 0x487ffff
	v_add3_u32 v3, v2, v3, s39
	s_mov_b64 s[30:31], exec
	v_lshrrev_b32_e32 v3, 20, v3
	s_andn2_saveexec_b64 s[34:35], s[34:35]
	s_cbranch_execnz .LBB288_774
.LBB288_669:
	s_or_b64 exec, exec, s[34:35]
	v_mov_b32_e32 v5, 0
	s_and_saveexec_b64 s[34:35], s[30:31]
.LBB288_670:
	v_lshrrev_b32_e32 v2, 24, v2
	s_movk_i32 s30, 0x80
	v_and_or_b32 v5, v2, s30, v3
.LBB288_671:
	s_or_b64 exec, exec, s[34:35]
.LBB288_672:
	s_or_b64 exec, exec, s[28:29]
	global_store_byte v[0:1], v5, off
.LBB288_673:
	s_mov_b64 s[28:29], -1
.LBB288_674:
	s_mov_b64 s[30:31], 0
.LBB288_675:
	s_and_b64 vcc, exec, s[30:31]
	s_cbranch_vccz .LBB288_716
; %bb.676:
	s_cmp_gt_i32 s37, 22
	s_mov_b64 s[30:31], -1
	s_cbranch_scc0 .LBB288_708
; %bb.677:
	s_cmp_lt_i32 s37, 24
	s_mov_b64 s[28:29], -1
	s_cbranch_scc1 .LBB288_697
; %bb.678:
	s_cmp_gt_i32 s37, 24
	s_cbranch_scc0 .LBB288_686
; %bb.679:
	v_cvt_f32_i32_sdwa v2, sext(v4) dst_sel:DWORD dst_unused:UNUSED_PAD src0_sel:WORD_0
	s_mov_b32 s28, 0x47800000
	v_mov_b32_e32 v5, 0x80
	v_and_b32_e32 v3, 0x7fffffff, v2
	v_cmp_gt_u32_e32 vcc, s28, v3
	s_and_saveexec_b64 s[28:29], vcc
	s_cbranch_execz .LBB288_685
; %bb.680:
	s_mov_b32 s30, 0x37ffffff
	v_cmp_lt_u32_e32 vcc, s30, v3
	s_mov_b64 s[30:31], 0
                                        ; implicit-def: $vgpr3
	s_and_saveexec_b64 s[34:35], vcc
	s_xor_b64 s[34:35], exec, s[34:35]
	s_cbranch_execz .LBB288_776
; %bb.681:
	v_bfe_u32 v3, v2, 21, 1
	s_mov_b32 s39, 0x88fffff
	v_add3_u32 v3, v2, v3, s39
	s_mov_b64 s[30:31], exec
	v_lshrrev_b32_e32 v3, 21, v3
	s_andn2_saveexec_b64 s[34:35], s[34:35]
	s_cbranch_execnz .LBB288_777
.LBB288_682:
	s_or_b64 exec, exec, s[34:35]
	v_mov_b32_e32 v5, 0
	s_and_saveexec_b64 s[34:35], s[30:31]
.LBB288_683:
	v_lshrrev_b32_e32 v2, 24, v2
	s_movk_i32 s30, 0x80
	v_and_or_b32 v5, v2, s30, v3
.LBB288_684:
	s_or_b64 exec, exec, s[34:35]
.LBB288_685:
	s_or_b64 exec, exec, s[28:29]
	s_mov_b64 s[28:29], 0
	global_store_byte v[0:1], v5, off
.LBB288_686:
	s_and_b64 vcc, exec, s[28:29]
	s_cbranch_vccz .LBB288_696
; %bb.687:
	v_cvt_f32_i32_sdwa v2, sext(v4) dst_sel:DWORD dst_unused:UNUSED_PAD src0_sel:WORD_0
	s_mov_b32 s28, 0x43f00000
                                        ; implicit-def: $vgpr3
	v_and_b32_e32 v5, 0x7fffffff, v2
	v_cmp_gt_u32_e32 vcc, s28, v5
	s_and_saveexec_b64 s[28:29], vcc
	s_xor_b64 s[28:29], exec, s[28:29]
	s_cbranch_execz .LBB288_693
; %bb.688:
	s_mov_b32 s30, 0x3c7fffff
	v_cmp_lt_u32_e32 vcc, s30, v5
                                        ; implicit-def: $vgpr3
	s_and_saveexec_b64 s[30:31], vcc
	s_xor_b64 s[30:31], exec, s[30:31]
; %bb.689:
	v_bfe_u32 v3, v2, 20, 1
	s_mov_b32 s34, 0x407ffff
	v_add3_u32 v3, v2, v3, s34
	v_lshrrev_b32_e32 v5, 20, v3
	v_and_b32_e32 v3, 0xff00000, v3
	s_mov_b32 s34, 0x7f00000
	v_mov_b32_e32 v6, 0x7e
	v_cmp_ne_u32_e32 vcc, s34, v3
	s_nop 1
	v_cndmask_b32_e32 v3, v6, v5, vcc
; %bb.690:
	s_andn2_saveexec_b64 s[30:31], s[30:31]
; %bb.691:
	s_mov_b32 s34, 0x46800000
	v_add_f32_e64 v3, |v2|, s34
; %bb.692:
	s_or_b64 exec, exec, s[30:31]
                                        ; implicit-def: $vgpr5
.LBB288_693:
	s_andn2_saveexec_b64 s[28:29], s[28:29]
; %bb.694:
	s_mov_b32 s30, 0x7f800000
	v_mov_b32_e32 v3, 0x7e
	v_mov_b32_e32 v6, 0x7f
	v_cmp_lt_u32_e32 vcc, s30, v5
	s_nop 1
	v_cndmask_b32_e32 v3, v3, v6, vcc
; %bb.695:
	s_or_b64 exec, exec, s[28:29]
	v_lshrrev_b32_e32 v2, 24, v2
	s_movk_i32 s28, 0x80
	v_and_or_b32 v2, v2, s28, v3
	global_store_byte v[0:1], v2, off
.LBB288_696:
	s_mov_b64 s[28:29], 0
.LBB288_697:
	s_andn2_b64 vcc, exec, s[28:29]
	s_cbranch_vccnz .LBB288_707
; %bb.698:
	v_cvt_f32_i32_sdwa v2, sext(v4) dst_sel:DWORD dst_unused:UNUSED_PAD src0_sel:WORD_0
	s_mov_b32 s28, 0x47800000
                                        ; implicit-def: $vgpr3
	v_and_b32_e32 v5, 0x7fffffff, v2
	v_cmp_gt_u32_e32 vcc, s28, v5
	s_and_saveexec_b64 s[28:29], vcc
	s_xor_b64 s[28:29], exec, s[28:29]
	s_cbranch_execz .LBB288_704
; %bb.699:
	s_mov_b32 s30, 0x387fffff
	v_cmp_lt_u32_e32 vcc, s30, v5
                                        ; implicit-def: $vgpr3
	s_and_saveexec_b64 s[30:31], vcc
	s_xor_b64 s[30:31], exec, s[30:31]
; %bb.700:
	v_bfe_u32 v3, v2, 21, 1
	s_mov_b32 s34, 0x80fffff
	v_add3_u32 v3, v2, v3, s34
	v_lshrrev_b32_e32 v3, 21, v3
; %bb.701:
	s_andn2_saveexec_b64 s[30:31], s[30:31]
; %bb.702:
	s_mov_b32 s34, 0x43000000
	v_add_f32_e64 v3, |v2|, s34
; %bb.703:
	s_or_b64 exec, exec, s[30:31]
                                        ; implicit-def: $vgpr5
.LBB288_704:
	s_andn2_saveexec_b64 s[28:29], s[28:29]
; %bb.705:
	s_mov_b32 s30, 0x7f800000
	v_mov_b32_e32 v3, 0x7c
	v_mov_b32_e32 v6, 0x7f
	v_cmp_lt_u32_e32 vcc, s30, v5
	s_nop 1
	v_cndmask_b32_e32 v3, v3, v6, vcc
; %bb.706:
	s_or_b64 exec, exec, s[28:29]
	v_lshrrev_b32_e32 v2, 24, v2
	s_movk_i32 s28, 0x80
	v_and_or_b32 v2, v2, s28, v3
	global_store_byte v[0:1], v2, off
.LBB288_707:
	s_mov_b64 s[30:31], 0
	s_mov_b64 s[28:29], -1
.LBB288_708:
	s_andn2_b64 vcc, exec, s[30:31]
	s_cbranch_vccnz .LBB288_716
; %bb.709:
	s_cmp_gt_i32 s37, 14
	s_mov_b64 s[30:31], -1
	s_cbranch_scc0 .LBB288_713
; %bb.710:
	s_cmp_eq_u32 s37, 15
	s_mov_b64 s[0:1], -1
	s_cbranch_scc0 .LBB288_712
; %bb.711:
	v_cvt_f32_i32_sdwa v2, sext(v4) dst_sel:DWORD dst_unused:UNUSED_PAD src0_sel:WORD_0
	s_movk_i32 s0, 0x7fff
	s_mov_b64 s[28:29], -1
	v_bfe_u32 v3, v2, 16, 1
	v_add3_u32 v2, v2, v3, s0
	global_store_short_d16_hi v[0:1], v2, off
	s_mov_b64 s[0:1], 0
.LBB288_712:
	s_mov_b64 s[30:31], 0
.LBB288_713:
	s_and_b64 vcc, exec, s[30:31]
	s_cbranch_vccz .LBB288_716
; %bb.714:
	s_cmp_eq_u32 s37, 11
	s_mov_b64 s[0:1], -1
	s_cbranch_scc0 .LBB288_716
; %bb.715:
	v_cmp_ne_u16_e32 vcc, 0, v4
	s_mov_b64 s[28:29], -1
	s_mov_b64 s[0:1], 0
	v_cndmask_b32_e64 v2, 0, 1, vcc
	global_store_byte v[0:1], v2, off
.LBB288_716:
	s_mov_b64 s[30:31], 0
.LBB288_717:
	s_and_b64 vcc, exec, s[30:31]
	s_cbranch_vccz .LBB288_756
; %bb.718:
	s_and_b32 s30, 0xffff, s36
	s_cmp_lt_i32 s30, 5
	s_mov_b64 s[28:29], -1
	s_cbranch_scc1 .LBB288_739
; %bb.719:
	s_cmp_lt_i32 s30, 8
	s_cbranch_scc1 .LBB288_729
; %bb.720:
	s_cmp_lt_i32 s30, 9
	s_cbranch_scc1 .LBB288_726
; %bb.721:
	s_cmp_gt_i32 s30, 9
	s_cbranch_scc0 .LBB288_723
; %bb.722:
	v_bfe_i32 v2, v4, 0, 16
	v_mov_b32_e32 v8, 0
	v_cvt_f64_i32_e32 v[6:7], v2
	v_mov_b32_e32 v9, v8
	s_mov_b64 s[28:29], 0
	global_store_dwordx4 v[0:1], v[6:9], off
.LBB288_723:
	s_andn2_b64 vcc, exec, s[28:29]
	s_cbranch_vccnz .LBB288_725
; %bb.724:
	v_cvt_f32_i32_sdwa v2, sext(v4) dst_sel:DWORD dst_unused:UNUSED_PAD src0_sel:WORD_0
	v_mov_b32_e32 v3, 0
	global_store_dwordx2 v[0:1], v[2:3], off
.LBB288_725:
	s_mov_b64 s[28:29], 0
.LBB288_726:
	s_andn2_b64 vcc, exec, s[28:29]
	s_cbranch_vccnz .LBB288_728
; %bb.727:
	v_cvt_f16_i16_e32 v2, v4
	global_store_dword v[0:1], v2, off
.LBB288_728:
	s_mov_b64 s[28:29], 0
.LBB288_729:
	s_andn2_b64 vcc, exec, s[28:29]
	s_cbranch_vccnz .LBB288_738
; %bb.730:
	s_cmp_lt_i32 s30, 6
	s_mov_b64 s[28:29], -1
	s_cbranch_scc1 .LBB288_736
; %bb.731:
	s_cmp_gt_i32 s30, 6
	s_cbranch_scc0 .LBB288_733
; %bb.732:
	v_bfe_i32 v2, v4, 0, 16
	v_cvt_f64_i32_e32 v[2:3], v2
	s_mov_b64 s[28:29], 0
	global_store_dwordx2 v[0:1], v[2:3], off
.LBB288_733:
	s_andn2_b64 vcc, exec, s[28:29]
	s_cbranch_vccnz .LBB288_735
; %bb.734:
	v_cvt_f32_i32_sdwa v2, sext(v4) dst_sel:DWORD dst_unused:UNUSED_PAD src0_sel:WORD_0
	global_store_dword v[0:1], v2, off
.LBB288_735:
	s_mov_b64 s[28:29], 0
.LBB288_736:
	s_andn2_b64 vcc, exec, s[28:29]
	s_cbranch_vccnz .LBB288_738
; %bb.737:
	v_cvt_f16_i16_e32 v2, v4
	global_store_short v[0:1], v2, off
.LBB288_738:
	s_mov_b64 s[28:29], 0
.LBB288_739:
	s_andn2_b64 vcc, exec, s[28:29]
	s_cbranch_vccnz .LBB288_755
; %bb.740:
	s_cmp_lt_i32 s30, 2
	s_mov_b64 s[28:29], -1
	s_cbranch_scc1 .LBB288_750
; %bb.741:
	s_cmp_lt_i32 s30, 3
	s_cbranch_scc1 .LBB288_747
; %bb.742:
	s_cmp_gt_i32 s30, 3
	v_bfe_i32 v2, v4, 0, 16
	s_cbranch_scc0 .LBB288_744
; %bb.743:
	v_ashrrev_i32_e32 v3, 31, v2
	s_mov_b64 s[28:29], 0
	global_store_dwordx2 v[0:1], v[2:3], off
.LBB288_744:
	s_andn2_b64 vcc, exec, s[28:29]
	s_cbranch_vccnz .LBB288_746
; %bb.745:
	global_store_dword v[0:1], v2, off
.LBB288_746:
	s_mov_b64 s[28:29], 0
.LBB288_747:
	s_andn2_b64 vcc, exec, s[28:29]
	s_cbranch_vccnz .LBB288_749
; %bb.748:
	global_store_short v[0:1], v4, off
.LBB288_749:
	s_mov_b64 s[28:29], 0
.LBB288_750:
	s_andn2_b64 vcc, exec, s[28:29]
	s_cbranch_vccnz .LBB288_755
; %bb.751:
	s_cmp_gt_i32 s30, 0
	s_mov_b64 s[28:29], -1
	s_cbranch_scc0 .LBB288_753
; %bb.752:
	s_mov_b64 s[28:29], 0
	global_store_byte v[0:1], v4, off
.LBB288_753:
	s_andn2_b64 vcc, exec, s[28:29]
	s_cbranch_vccnz .LBB288_755
; %bb.754:
	global_store_byte v[0:1], v4, off
.LBB288_755:
	s_mov_b64 s[28:29], -1
.LBB288_756:
	s_andn2_b64 vcc, exec, s[28:29]
	s_cbranch_vccnz .LBB288_758
; %bb.757:
	v_add_u32_e32 v10, 0x80, v10
	s_mov_b64 s[30:31], -1
	s_branch .LBB288_759
.LBB288_758:
	s_mov_b64 s[30:31], 0
                                        ; implicit-def: $vgpr10
.LBB288_759:
	s_andn2_b64 s[28:29], s[20:21], exec
	s_and_b64 s[0:1], s[0:1], exec
	s_or_b64 s[28:29], s[28:29], s[0:1]
	s_andn2_b64 s[0:1], s[18:19], exec
	s_and_b64 s[26:27], s[26:27], exec
	s_or_b64 s[0:1], s[0:1], s[26:27]
	s_orn2_b64 s[34:35], s[30:31], exec
.LBB288_760:
	s_or_b64 exec, exec, s[24:25]
	s_mov_b64 s[30:31], 0
	s_mov_b64 s[26:27], 0
	;; [unrolled: 1-line block ×3, first 2 shown]
                                        ; implicit-def: $vgpr0_vgpr1
                                        ; implicit-def: $vgpr2
	s_and_saveexec_b64 s[24:25], s[34:35]
	s_cbranch_execz .LBB288_841
; %bb.761:
	v_cmp_gt_i32_e32 vcc, s38, v10
	s_mov_b64 s[34:35], 0
	s_mov_b64 s[38:39], s[0:1]
	;; [unrolled: 1-line block ×3, first 2 shown]
                                        ; implicit-def: $vgpr0_vgpr1
                                        ; implicit-def: $vgpr2
	s_and_saveexec_b64 s[26:27], vcc
	s_cbranch_execz .LBB288_840
; %bb.762:
	v_mul_lo_u32 v0, v10, s9
	v_ashrrev_i32_e32 v1, 31, v0
	s_and_b32 s40, 0xffff, s44
	s_cmp_lt_i32 s40, 11
	v_lshl_add_u64 v[0:1], s[6:7], 0, v[0:1]
	s_cbranch_scc1 .LBB288_769
; %bb.763:
	s_cmp_gt_i32 s40, 25
	s_cbranch_scc0 .LBB288_770
; %bb.764:
	s_cmp_gt_i32 s40, 28
	s_cbranch_scc0 .LBB288_771
; %bb.765:
	s_cmp_gt_i32 s40, 43
	s_cbranch_scc0 .LBB288_772
; %bb.766:
	s_cmp_gt_i32 s40, 45
	s_cbranch_scc0 .LBB288_775
; %bb.767:
	s_cmp_eq_u32 s40, 46
	s_mov_b64 s[38:39], 0
	s_cbranch_scc0 .LBB288_778
; %bb.768:
	global_load_dword v2, v[0:1], off
	s_mov_b64 s[36:37], -1
	s_waitcnt vmcnt(0)
	v_lshlrev_b32_e32 v2, 16, v2
	v_cvt_i32_f32_e32 v2, v2
	s_branch .LBB288_780
.LBB288_769:
	s_mov_b64 s[38:39], -1
                                        ; implicit-def: $vgpr2
	s_mov_b64 s[30:31], s[0:1]
	s_branch .LBB288_839
.LBB288_770:
	s_mov_b64 s[38:39], -1
	s_mov_b64 s[30:31], s[0:1]
                                        ; implicit-def: $vgpr2
	s_branch .LBB288_807
.LBB288_771:
	s_mov_b64 s[38:39], -1
	s_mov_b64 s[30:31], s[0:1]
                                        ; implicit-def: $vgpr2
	s_branch .LBB288_790
.LBB288_772:
	s_mov_b64 s[38:39], -1
	s_mov_b64 s[30:31], s[0:1]
                                        ; implicit-def: $vgpr2
	s_branch .LBB288_785
.LBB288_773:
	s_andn2_saveexec_b64 s[34:35], s[34:35]
	s_cbranch_execz .LBB288_669
.LBB288_774:
	s_mov_b32 s39, 0x46000000
	v_add_f32_e64 v3, |v2|, s39
	v_and_b32_e32 v3, 0xff, v3
	v_cmp_ne_u32_e32 vcc, 0, v3
	s_andn2_b64 s[30:31], s[30:31], exec
	s_and_b64 s[40:41], vcc, exec
	s_or_b64 s[30:31], s[30:31], s[40:41]
	s_or_b64 exec, exec, s[34:35]
	v_mov_b32_e32 v5, 0
	s_and_saveexec_b64 s[34:35], s[30:31]
	s_cbranch_execnz .LBB288_670
	s_branch .LBB288_671
.LBB288_775:
	s_mov_b64 s[38:39], -1
	s_mov_b64 s[30:31], s[0:1]
	s_branch .LBB288_779
.LBB288_776:
	s_andn2_saveexec_b64 s[34:35], s[34:35]
	s_cbranch_execz .LBB288_682
.LBB288_777:
	s_mov_b32 s39, 0x42800000
	v_add_f32_e64 v3, |v2|, s39
	v_and_b32_e32 v3, 0xff, v3
	v_cmp_ne_u32_e32 vcc, 0, v3
	s_andn2_b64 s[30:31], s[30:31], exec
	s_and_b64 s[40:41], vcc, exec
	s_or_b64 s[30:31], s[30:31], s[40:41]
	s_or_b64 exec, exec, s[34:35]
	v_mov_b32_e32 v5, 0
	s_and_saveexec_b64 s[34:35], s[30:31]
	s_cbranch_execnz .LBB288_683
	s_branch .LBB288_684
.LBB288_778:
	s_mov_b64 s[30:31], -1
.LBB288_779:
                                        ; implicit-def: $vgpr2
.LBB288_780:
	s_and_b64 vcc, exec, s[38:39]
	s_cbranch_vccz .LBB288_784
; %bb.781:
	s_cmp_eq_u32 s40, 44
	s_cbranch_scc0 .LBB288_783
; %bb.782:
	global_load_ubyte v2, v[0:1], off
	s_mov_b64 s[30:31], 0
	s_mov_b64 s[36:37], -1
	s_waitcnt vmcnt(0)
	v_lshlrev_b32_e32 v3, 23, v2
	v_cvt_i32_f32_e32 v3, v3
	v_cmp_ne_u32_e32 vcc, 0, v2
	s_nop 1
	v_cndmask_b32_e32 v2, 0, v3, vcc
	s_branch .LBB288_784
.LBB288_783:
	s_mov_b64 s[30:31], -1
                                        ; implicit-def: $vgpr2
.LBB288_784:
	s_mov_b64 s[38:39], 0
.LBB288_785:
	s_and_b64 vcc, exec, s[38:39]
	s_cbranch_vccz .LBB288_789
; %bb.786:
	s_cmp_eq_u32 s40, 29
	s_cbranch_scc0 .LBB288_788
; %bb.787:
	global_load_dwordx2 v[2:3], v[0:1], off
	s_mov_b64 s[30:31], 0
	s_mov_b64 s[36:37], -1
	s_branch .LBB288_789
.LBB288_788:
	s_mov_b64 s[30:31], -1
                                        ; implicit-def: $vgpr2
.LBB288_789:
	s_mov_b64 s[38:39], 0
.LBB288_790:
	s_and_b64 vcc, exec, s[38:39]
	s_cbranch_vccz .LBB288_806
; %bb.791:
	s_cmp_lt_i32 s40, 27
	s_cbranch_scc1 .LBB288_794
; %bb.792:
	s_cmp_gt_i32 s40, 27
	s_cbranch_scc0 .LBB288_795
; %bb.793:
	global_load_dword v2, v[0:1], off
	s_mov_b64 s[36:37], 0
	s_branch .LBB288_796
.LBB288_794:
	s_mov_b64 s[36:37], -1
                                        ; implicit-def: $vgpr2
	s_branch .LBB288_799
.LBB288_795:
	s_mov_b64 s[36:37], -1
                                        ; implicit-def: $vgpr2
.LBB288_796:
	s_andn2_b64 vcc, exec, s[36:37]
	s_cbranch_vccnz .LBB288_798
; %bb.797:
	global_load_ushort v2, v[0:1], off
.LBB288_798:
	s_mov_b64 s[36:37], 0
.LBB288_799:
	s_andn2_b64 vcc, exec, s[36:37]
	s_cbranch_vccnz .LBB288_805
; %bb.800:
	global_load_ubyte v3, v[0:1], off
	s_movk_i32 s36, 0x7f
	s_mov_b64 s[38:39], 0
	s_waitcnt vmcnt(0)
	v_cmp_lt_i16_e32 vcc, s36, v3
	s_and_saveexec_b64 s[36:37], vcc
	s_xor_b64 s[36:37], exec, s[36:37]
	s_cbranch_execz .LBB288_817
; %bb.801:
	s_movk_i32 s38, 0x80
	v_cmp_ne_u16_e32 vcc, s38, v3
	s_and_b64 s[38:39], vcc, exec
	s_andn2_saveexec_b64 s[36:37], s[36:37]
	s_cbranch_execnz .LBB288_818
.LBB288_802:
	s_or_b64 exec, exec, s[36:37]
	v_mov_b32_e32 v2, 0
	s_and_saveexec_b64 s[36:37], s[38:39]
	s_cbranch_execz .LBB288_804
.LBB288_803:
	v_lshlrev_b32_e32 v2, 24, v3
	v_and_b32_e32 v3, 0xffff, v3
	v_and_b32_e32 v4, 7, v3
	v_ffbh_u32_e32 v6, v4
	v_min_u32_e32 v6, 32, v6
	v_subrev_u32_e32 v7, 28, v6
	v_bfe_u32 v5, v3, 3, 4
	v_lshlrev_b32_e32 v3, v7, v3
	v_sub_u32_e32 v6, 29, v6
	v_and_b32_e32 v3, 7, v3
	v_cmp_eq_u32_e32 vcc, 0, v5
	v_and_b32_e32 v2, 0x80000000, v2
	s_nop 0
	v_cndmask_b32_e32 v5, v5, v6, vcc
	v_cndmask_b32_e32 v3, v4, v3, vcc
	v_mov_b32_e32 v4, 0x3b800000
	v_lshlrev_b32_e32 v3, 20, v3
	v_lshl_add_u32 v4, v5, 23, v4
	v_or3_b32 v2, v2, v4, v3
	v_cvt_i32_f32_e32 v2, v2
.LBB288_804:
	s_or_b64 exec, exec, s[36:37]
.LBB288_805:
	s_mov_b64 s[36:37], -1
.LBB288_806:
	s_mov_b64 s[38:39], 0
.LBB288_807:
	s_and_b64 vcc, exec, s[38:39]
	s_cbranch_vccz .LBB288_838
; %bb.808:
	s_cmp_gt_i32 s40, 22
	s_cbranch_scc0 .LBB288_816
; %bb.809:
	s_cmp_lt_i32 s40, 24
	s_cbranch_scc1 .LBB288_819
; %bb.810:
	s_cmp_gt_i32 s40, 24
	s_cbranch_scc0 .LBB288_820
; %bb.811:
	global_load_ubyte v3, v[0:1], off
	s_movk_i32 s34, 0x7f
	s_mov_b64 s[36:37], 0
	s_waitcnt vmcnt(0)
	v_cmp_lt_i16_e32 vcc, s34, v3
	s_and_saveexec_b64 s[34:35], vcc
	s_xor_b64 s[34:35], exec, s[34:35]
	s_cbranch_execz .LBB288_832
; %bb.812:
	s_movk_i32 s36, 0x80
	v_cmp_ne_u16_e32 vcc, s36, v3
	s_and_b64 s[36:37], vcc, exec
	s_andn2_saveexec_b64 s[34:35], s[34:35]
	s_cbranch_execnz .LBB288_833
.LBB288_813:
	s_or_b64 exec, exec, s[34:35]
	v_mov_b32_e32 v2, 0
	s_and_saveexec_b64 s[34:35], s[36:37]
	s_cbranch_execz .LBB288_815
.LBB288_814:
	v_lshlrev_b32_e32 v2, 24, v3
	v_and_b32_e32 v3, 0xffff, v3
	v_and_b32_e32 v4, 3, v3
	v_ffbh_u32_e32 v6, v4
	v_min_u32_e32 v6, 32, v6
	v_subrev_u32_e32 v7, 29, v6
	v_bfe_u32 v5, v3, 2, 5
	v_lshlrev_b32_e32 v3, v7, v3
	v_sub_u32_e32 v6, 30, v6
	v_and_b32_e32 v3, 3, v3
	v_cmp_eq_u32_e32 vcc, 0, v5
	v_and_b32_e32 v2, 0x80000000, v2
	s_nop 0
	v_cndmask_b32_e32 v5, v5, v6, vcc
	v_cndmask_b32_e32 v3, v4, v3, vcc
	v_mov_b32_e32 v4, 0x37800000
	v_lshlrev_b32_e32 v3, 21, v3
	v_lshl_add_u32 v4, v5, 23, v4
	v_or3_b32 v2, v2, v4, v3
	v_cvt_i32_f32_e32 v2, v2
.LBB288_815:
	s_or_b64 exec, exec, s[34:35]
	s_mov_b64 s[34:35], 0
	s_branch .LBB288_821
.LBB288_816:
	s_mov_b64 s[34:35], -1
                                        ; implicit-def: $vgpr2
	s_branch .LBB288_827
.LBB288_817:
	s_andn2_saveexec_b64 s[36:37], s[36:37]
	s_cbranch_execz .LBB288_802
.LBB288_818:
	v_cmp_ne_u16_e32 vcc, 0, v3
	s_andn2_b64 s[38:39], s[38:39], exec
	s_and_b64 s[46:47], vcc, exec
	s_or_b64 s[38:39], s[38:39], s[46:47]
	s_or_b64 exec, exec, s[36:37]
	v_mov_b32_e32 v2, 0
	s_and_saveexec_b64 s[36:37], s[38:39]
	s_cbranch_execnz .LBB288_803
	s_branch .LBB288_804
.LBB288_819:
	s_mov_b64 s[34:35], -1
                                        ; implicit-def: $vgpr2
	s_branch .LBB288_824
.LBB288_820:
	s_mov_b64 s[34:35], -1
                                        ; implicit-def: $vgpr2
.LBB288_821:
	s_and_b64 vcc, exec, s[34:35]
	s_cbranch_vccz .LBB288_823
; %bb.822:
	global_load_ubyte v2, v[0:1], off
	s_mov_b32 s34, 0x7f800000
	s_waitcnt vmcnt(0)
	v_lshlrev_b32_e32 v2, 24, v2
	v_and_b32_e32 v3, 0x7f000000, v2
	v_ffbh_u32_e32 v4, v3
	v_min_u32_e32 v4, 32, v4
	v_sub_u32_e64 v4, v4, 4 clamp
	v_lshlrev_b32_e32 v6, v4, v3
	v_lshlrev_b32_e32 v4, 23, v4
	v_lshrrev_b32_e32 v6, 4, v6
	v_add_u32_e32 v5, 0x1000000, v3
	v_sub_u32_e32 v4, v6, v4
	v_ashrrev_i32_e32 v5, 8, v5
	v_add_u32_e32 v4, 0x3c000000, v4
	v_and_or_b32 v4, v5, s34, v4
	v_cmp_ne_u32_e32 vcc, 0, v3
	s_brev_b32 s34, 1
	s_nop 0
	v_cndmask_b32_e32 v3, 0, v4, vcc
	v_and_or_b32 v2, v2, s34, v3
	v_cvt_i32_f32_e32 v2, v2
.LBB288_823:
	s_mov_b64 s[34:35], 0
.LBB288_824:
	s_andn2_b64 vcc, exec, s[34:35]
	s_cbranch_vccnz .LBB288_826
; %bb.825:
	global_load_ubyte v2, v[0:1], off
	s_movk_i32 s34, 0x7f00
	s_brev_b32 s35, 16
	s_waitcnt vmcnt(0)
	v_lshlrev_b16_e32 v3, 8, v2
	v_lshlrev_b32_e32 v2, 25, v2
	v_lshrrev_b32_e32 v4, 4, v2
	v_and_or_b32 v5, v3, s34, 0.5
	v_or_b32_e32 v4, 0x70000000, v4
	v_add_f32_e32 v5, -0.5, v5
	v_mul_f32_e32 v4, 0x7800000, v4
	v_cmp_gt_u32_e32 vcc, s35, v2
	v_bfe_i32 v3, v3, 0, 16
	s_brev_b32 s34, 1
	v_cndmask_b32_e32 v2, v4, v5, vcc
	v_and_or_b32 v2, v3, s34, v2
	v_cvt_i32_f32_e32 v2, v2
.LBB288_826:
	s_mov_b64 s[34:35], 0
	s_mov_b64 s[36:37], -1
.LBB288_827:
	s_andn2_b64 vcc, exec, s[34:35]
	s_mov_b64 s[34:35], 0
	s_cbranch_vccnz .LBB288_838
; %bb.828:
	s_cmp_gt_i32 s40, 14
	s_cbranch_scc0 .LBB288_831
; %bb.829:
	s_cmp_eq_u32 s40, 15
	s_cbranch_scc0 .LBB288_834
; %bb.830:
	global_load_ushort v2, v[0:1], off
	s_mov_b64 s[30:31], 0
	s_mov_b64 s[36:37], -1
	s_waitcnt vmcnt(0)
	v_lshlrev_b32_e32 v2, 16, v2
	v_cvt_i32_f32_e32 v2, v2
	s_branch .LBB288_835
.LBB288_831:
	s_mov_b64 s[38:39], -1
                                        ; implicit-def: $vgpr2
	s_branch .LBB288_836
.LBB288_832:
	s_andn2_saveexec_b64 s[34:35], s[34:35]
	s_cbranch_execz .LBB288_813
.LBB288_833:
	v_cmp_ne_u16_e32 vcc, 0, v3
	s_andn2_b64 s[36:37], s[36:37], exec
	s_and_b64 s[38:39], vcc, exec
	s_or_b64 s[36:37], s[36:37], s[38:39]
	s_or_b64 exec, exec, s[34:35]
	v_mov_b32_e32 v2, 0
	s_and_saveexec_b64 s[34:35], s[36:37]
	s_cbranch_execnz .LBB288_814
	s_branch .LBB288_815
.LBB288_834:
	s_mov_b64 s[30:31], -1
                                        ; implicit-def: $vgpr2
.LBB288_835:
	s_mov_b64 s[38:39], 0
.LBB288_836:
	s_and_b64 vcc, exec, s[38:39]
	s_cbranch_vccz .LBB288_838
; %bb.837:
	s_cmp_lg_u32 s40, 11
	s_cselect_b64 s[38:39], -1, 0
	s_andn2_b64 s[30:31], s[30:31], exec
	s_and_b64 s[38:39], s[38:39], exec
	s_mov_b64 s[34:35], -1
	s_or_b64 s[30:31], s[30:31], s[38:39]
.LBB288_838:
	s_mov_b64 s[38:39], 0
.LBB288_839:
	s_and_b64 s[40:41], s[38:39], exec
	s_andn2_b64 s[38:39], s[0:1], exec
	s_and_b64 s[30:31], s[30:31], exec
	s_and_b64 s[36:37], s[36:37], exec
	;; [unrolled: 1-line block ×3, first 2 shown]
	s_or_b64 s[38:39], s[38:39], s[30:31]
.LBB288_840:
	s_or_b64 exec, exec, s[26:27]
	s_and_b64 s[30:31], s[34:35], exec
	s_andn2_b64 s[0:1], s[0:1], exec
	s_and_b64 s[34:35], s[38:39], exec
	s_and_b64 s[36:37], s[36:37], exec
	;; [unrolled: 1-line block ×3, first 2 shown]
	s_or_b64 s[0:1], s[0:1], s[34:35]
.LBB288_841:
	s_or_b64 exec, exec, s[24:25]
	s_andn2_b64 s[20:21], s[20:21], exec
	s_and_b64 s[24:25], s[28:29], exec
	s_andn2_b64 s[18:19], s[18:19], exec
	s_and_b64 s[0:1], s[0:1], exec
	s_or_b64 s[20:21], s[20:21], s[24:25]
	s_and_b64 s[28:29], s[36:37], exec
	s_and_b64 s[26:27], s[26:27], exec
	;; [unrolled: 1-line block ×3, first 2 shown]
	s_or_b64 s[18:19], s[18:19], s[0:1]
.LBB288_842:
	s_or_b64 exec, exec, s[22:23]
	s_andn2_b64 s[0:1], s[12:13], exec
	s_and_b64 s[12:13], s[20:21], exec
	s_andn2_b64 s[14:15], s[14:15], exec
	s_and_b64 s[18:19], s[18:19], exec
	s_or_b64 s[12:13], s[0:1], s[12:13]
	s_and_b64 s[0:1], s[28:29], exec
	s_and_b64 s[22:23], s[26:27], exec
	;; [unrolled: 1-line block ×3, first 2 shown]
	s_or_b64 s[14:15], s[14:15], s[18:19]
	s_or_b64 exec, exec, s[16:17]
	s_mov_b64 s[16:17], 0
	s_and_saveexec_b64 s[18:19], s[14:15]
	s_cbranch_execz .LBB288_258
.LBB288_843:
	s_mov_b64 s[16:17], exec
	s_andn2_b64 s[20:21], s[20:21], exec
	s_trap 2
	s_or_b64 exec, exec, s[18:19]
	s_and_saveexec_b64 s[14:15], s[20:21]
	s_xor_b64 s[14:15], exec, s[14:15]
	s_cbranch_execnz .LBB288_259
.LBB288_844:
	s_or_b64 exec, exec, s[14:15]
	s_and_saveexec_b64 s[14:15], s[22:23]
	s_cbranch_execz .LBB288_890
.LBB288_845:
	s_sext_i32_i16 s18, s44
	s_cmp_lt_i32 s18, 5
	s_cbranch_scc1 .LBB288_850
; %bb.846:
	s_cmp_lt_i32 s18, 8
	s_cbranch_scc1 .LBB288_851
; %bb.847:
	;; [unrolled: 3-line block ×3, first 2 shown]
	s_cmp_gt_i32 s18, 9
	s_cbranch_scc0 .LBB288_853
; %bb.849:
	global_load_dwordx2 v[2:3], v[0:1], off
	s_mov_b64 s[18:19], 0
	s_waitcnt vmcnt(0)
	v_cvt_i32_f64_e32 v2, v[2:3]
	s_branch .LBB288_854
.LBB288_850:
                                        ; implicit-def: $vgpr2
	s_branch .LBB288_871
.LBB288_851:
                                        ; implicit-def: $vgpr2
	s_branch .LBB288_860
.LBB288_852:
	s_mov_b64 s[18:19], -1
                                        ; implicit-def: $vgpr2
	s_branch .LBB288_857
.LBB288_853:
	s_mov_b64 s[18:19], -1
                                        ; implicit-def: $vgpr2
.LBB288_854:
	s_andn2_b64 vcc, exec, s[18:19]
	s_cbranch_vccnz .LBB288_856
; %bb.855:
	global_load_dword v2, v[0:1], off
	s_waitcnt vmcnt(0)
	v_cvt_i32_f32_e32 v2, v2
.LBB288_856:
	s_mov_b64 s[18:19], 0
.LBB288_857:
	s_andn2_b64 vcc, exec, s[18:19]
	s_cbranch_vccnz .LBB288_859
; %bb.858:
	global_load_dword v2, v[0:1], off
	s_waitcnt vmcnt(0)
	v_cvt_i16_f16_e32 v2, v2
.LBB288_859:
	s_cbranch_execnz .LBB288_870
.LBB288_860:
	s_sext_i32_i16 s18, s44
	s_cmp_lt_i32 s18, 6
	s_cbranch_scc1 .LBB288_863
; %bb.861:
	s_cmp_gt_i32 s18, 6
	s_cbranch_scc0 .LBB288_864
; %bb.862:
	global_load_dwordx2 v[2:3], v[0:1], off
	s_mov_b64 s[18:19], 0
	s_waitcnt vmcnt(0)
	v_cvt_i32_f64_e32 v2, v[2:3]
	s_branch .LBB288_865
.LBB288_863:
	s_mov_b64 s[18:19], -1
                                        ; implicit-def: $vgpr2
	s_branch .LBB288_868
.LBB288_864:
	s_mov_b64 s[18:19], -1
                                        ; implicit-def: $vgpr2
.LBB288_865:
	s_andn2_b64 vcc, exec, s[18:19]
	s_cbranch_vccnz .LBB288_867
; %bb.866:
	global_load_dword v2, v[0:1], off
	s_waitcnt vmcnt(0)
	v_cvt_i32_f32_e32 v2, v2
.LBB288_867:
	s_mov_b64 s[18:19], 0
.LBB288_868:
	s_andn2_b64 vcc, exec, s[18:19]
	s_cbranch_vccnz .LBB288_870
; %bb.869:
	global_load_ushort v2, v[0:1], off
	s_waitcnt vmcnt(0)
	v_cvt_i16_f16_e32 v2, v2
.LBB288_870:
	s_cbranch_execnz .LBB288_889
.LBB288_871:
	s_sext_i32_i16 s18, s44
	s_cmp_lt_i32 s18, 2
	s_cbranch_scc1 .LBB288_875
; %bb.872:
	s_cmp_lt_i32 s18, 3
	s_cbranch_scc1 .LBB288_876
; %bb.873:
	s_cmp_gt_i32 s18, 3
	s_cbranch_scc0 .LBB288_877
; %bb.874:
	global_load_dwordx2 v[2:3], v[0:1], off
	s_mov_b64 s[18:19], 0
	s_branch .LBB288_878
.LBB288_875:
                                        ; implicit-def: $vgpr2
	s_branch .LBB288_884
.LBB288_876:
	s_mov_b64 s[18:19], -1
                                        ; implicit-def: $vgpr2
	s_branch .LBB288_881
.LBB288_877:
	s_mov_b64 s[18:19], -1
                                        ; implicit-def: $vgpr2
.LBB288_878:
	s_andn2_b64 vcc, exec, s[18:19]
	s_cbranch_vccnz .LBB288_880
; %bb.879:
	global_load_dword v2, v[0:1], off
.LBB288_880:
	s_mov_b64 s[18:19], 0
.LBB288_881:
	s_andn2_b64 vcc, exec, s[18:19]
	s_cbranch_vccnz .LBB288_883
; %bb.882:
	global_load_ushort v2, v[0:1], off
.LBB288_883:
	s_cbranch_execnz .LBB288_889
.LBB288_884:
	s_sext_i32_i16 s18, s44
	s_cmp_gt_i32 s18, 0
	s_cbranch_scc0 .LBB288_886
; %bb.885:
	global_load_ubyte v2, v[0:1], off
	s_mov_b64 s[18:19], 0
	s_branch .LBB288_887
.LBB288_886:
	s_mov_b64 s[18:19], -1
                                        ; implicit-def: $vgpr2
.LBB288_887:
	s_andn2_b64 vcc, exec, s[18:19]
	s_cbranch_vccnz .LBB288_889
; %bb.888:
	global_load_ubyte v2, v[0:1], off
.LBB288_889:
	s_or_b64 s[0:1], s[0:1], exec
.LBB288_890:
	s_or_b64 exec, exec, s[14:15]
	s_mov_b64 s[20:21], 0
	s_mov_b64 s[18:19], 0
                                        ; implicit-def: $sgpr26
                                        ; implicit-def: $vgpr0_vgpr1
                                        ; implicit-def: $vgpr3
	s_and_saveexec_b64 s[14:15], s[0:1]
	s_cbranch_execz .LBB288_898
; %bb.891:
	s_bfe_i32 s0, s33, 0x80000
	s_waitcnt vmcnt(0)
	v_max_i16_sdwa v0, sext(v2), s0 dst_sel:DWORD dst_unused:UNUSED_PAD src0_sel:BYTE_0 src1_sel:DWORD
	s_bfe_i32 s0, s43, 0x80000
	v_min_i16_e32 v3, s0, v0
	v_mul_lo_u32 v0, v10, s8
	v_ashrrev_i32_e32 v1, 31, v0
	s_and_b32 s26, s42, 0xff
	s_cmp_lt_i32 s26, 11
	v_lshl_add_u64 v[0:1], s[4:5], 0, v[0:1]
	s_cbranch_scc1 .LBB288_901
; %bb.892:
	s_and_b32 s27, 0xffff, s26
	s_mov_b64 s[20:21], -1
	s_cmp_gt_i32 s27, 25
	s_mov_b64 s[0:1], s[12:13]
	s_cbranch_scc0 .LBB288_929
; %bb.893:
	s_mov_b64 s[18:19], -1
	s_cmp_gt_i32 s27, 28
	s_mov_b64 s[0:1], s[12:13]
	s_cbranch_scc0 .LBB288_913
; %bb.894:
	s_cmp_gt_i32 s27, 43
	s_mov_b64 s[0:1], s[12:13]
	s_cbranch_scc0 .LBB288_909
; %bb.895:
	;; [unrolled: 4-line block ×3, first 2 shown]
	s_cmp_eq_u32 s27, 46
	s_mov_b64 s[0:1], -1
	s_cbranch_scc0 .LBB288_902
; %bb.897:
	v_cvt_f32_i32_sdwa v2, sext(v3) dst_sel:DWORD dst_unused:UNUSED_PAD src0_sel:WORD_0
	s_movk_i32 s0, 0x7fff
	s_mov_b64 s[18:19], 0
	v_bfe_u32 v4, v2, 16, 1
	v_add3_u32 v2, v2, v4, s0
	v_lshrrev_b32_e32 v2, 16, v2
	global_store_dword v[0:1], v2, off
	s_mov_b64 s[0:1], 0
	s_branch .LBB288_903
.LBB288_898:
	s_or_b64 exec, exec, s[14:15]
	s_and_saveexec_b64 s[0:1], s[12:13]
	s_cbranch_execnz .LBB288_971
.LBB288_899:
	s_or_b64 exec, exec, s[0:1]
	s_and_saveexec_b64 s[0:1], s[20:21]
	s_xor_b64 s[0:1], exec, s[0:1]
	s_cbranch_execz .LBB288_972
.LBB288_900:
	s_waitcnt vmcnt(0)
	v_mov_b32_e32 v2, 0
	v_cmp_ne_u16_sdwa s[12:13], v3, v2 src0_sel:BYTE_0 src1_sel:DWORD
	s_nop 1
	v_cndmask_b32_e64 v2, 0, 1, s[12:13]
	global_store_byte v[0:1], v2, off
	s_or_b64 exec, exec, s[0:1]
	s_and_saveexec_b64 s[0:1], s[18:19]
	s_xor_b64 s[0:1], exec, s[0:1]
	s_cbranch_execz .LBB288_1010
	s_branch .LBB288_973
.LBB288_901:
	s_mov_b64 s[18:19], -1
	s_mov_b64 s[0:1], s[12:13]
	s_branch .LBB288_970
.LBB288_902:
	s_mov_b64 s[18:19], 0
.LBB288_903:
	s_and_b64 vcc, exec, s[18:19]
	s_cbranch_vccz .LBB288_908
; %bb.904:
	s_cmp_eq_u32 s27, 44
	s_mov_b64 s[0:1], -1
	s_cbranch_scc0 .LBB288_908
; %bb.905:
	v_cvt_f32_i32_sdwa v2, sext(v3) dst_sel:DWORD dst_unused:UNUSED_PAD src0_sel:WORD_0
	s_movk_i32 s0, 0xff
	v_mov_b32_e32 v5, 0xff
	v_bfe_u32 v4, v2, 23, 8
	v_cmp_ne_u32_e32 vcc, s0, v4
	s_and_saveexec_b64 s[18:19], vcc
; %bb.906:
	s_mov_b32 s0, 0x3fffff
	v_lshrrev_b32_e32 v5, 23, v2
	v_and_b32_e32 v6, 0x400000, v2
	v_and_or_b32 v2, v2, s0, v4
	v_cmp_ne_u32_e32 vcc, 0, v6
	v_cmp_ne_u32_e64 s[0:1], 0, v2
	s_and_b64 s[0:1], vcc, s[0:1]
	s_nop 0
	v_cndmask_b32_e64 v2, 0, 1, s[0:1]
	v_add_u32_e32 v5, v5, v2
; %bb.907:
	s_or_b64 exec, exec, s[18:19]
	s_mov_b64 s[0:1], 0
	global_store_byte v[0:1], v5, off
.LBB288_908:
	s_mov_b64 s[18:19], 0
.LBB288_909:
	s_and_b64 vcc, exec, s[18:19]
	s_cbranch_vccz .LBB288_912
; %bb.910:
	s_cmp_eq_u32 s27, 29
	s_mov_b64 s[0:1], -1
	s_cbranch_scc0 .LBB288_912
; %bb.911:
	v_bfe_i32 v4, v3, 0, 16
	v_ashrrev_i32_e32 v5, 31, v4
	global_store_dwordx2 v[0:1], v[4:5], off
	s_mov_b64 s[0:1], 0
.LBB288_912:
	s_mov_b64 s[18:19], 0
.LBB288_913:
	s_and_b64 vcc, exec, s[18:19]
	s_cbranch_vccz .LBB288_928
; %bb.914:
	s_cmp_lt_i32 s27, 27
	s_mov_b64 s[18:19], -1
	s_cbranch_scc1 .LBB288_920
; %bb.915:
	s_cmp_gt_i32 s27, 27
	s_cbranch_scc0 .LBB288_917
; %bb.916:
	v_bfe_i32 v2, v3, 0, 16
	s_mov_b64 s[18:19], 0
	global_store_dword v[0:1], v2, off
.LBB288_917:
	s_andn2_b64 vcc, exec, s[18:19]
	s_cbranch_vccnz .LBB288_919
; %bb.918:
	global_store_short v[0:1], v3, off
.LBB288_919:
	s_mov_b64 s[18:19], 0
.LBB288_920:
	s_andn2_b64 vcc, exec, s[18:19]
	s_cbranch_vccnz .LBB288_928
; %bb.921:
	v_cvt_f32_i32_sdwa v2, sext(v3) dst_sel:DWORD dst_unused:UNUSED_PAD src0_sel:WORD_0
	s_mov_b32 s18, 0x43800000
	v_mov_b32_e32 v5, 0x80
	v_and_b32_e32 v4, 0x7fffffff, v2
	v_cmp_gt_u32_e32 vcc, s18, v4
	s_and_saveexec_b64 s[18:19], vcc
	s_cbranch_execz .LBB288_927
; %bb.922:
	s_mov_b32 s20, 0x3bffffff
	v_cmp_lt_u32_e32 vcc, s20, v4
	s_mov_b64 s[20:21], 0
                                        ; implicit-def: $vgpr4
	s_and_saveexec_b64 s[22:23], vcc
	s_xor_b64 s[22:23], exec, s[22:23]
	s_cbranch_execz .LBB288_1025
; %bb.923:
	v_bfe_u32 v4, v2, 20, 1
	s_mov_b32 s24, 0x487ffff
	v_add3_u32 v4, v2, v4, s24
	s_mov_b64 s[20:21], exec
	v_lshrrev_b32_e32 v4, 20, v4
	s_andn2_saveexec_b64 s[22:23], s[22:23]
	s_cbranch_execnz .LBB288_1026
.LBB288_924:
	s_or_b64 exec, exec, s[22:23]
	v_mov_b32_e32 v5, 0
	s_and_saveexec_b64 s[22:23], s[20:21]
.LBB288_925:
	v_lshrrev_b32_e32 v2, 24, v2
	s_movk_i32 s20, 0x80
	v_and_or_b32 v5, v2, s20, v4
.LBB288_926:
	s_or_b64 exec, exec, s[22:23]
.LBB288_927:
	s_or_b64 exec, exec, s[18:19]
	global_store_byte v[0:1], v5, off
.LBB288_928:
	s_mov_b64 s[20:21], 0
.LBB288_929:
	s_mov_b64 s[18:19], 0
	s_and_b64 vcc, exec, s[20:21]
	s_cbranch_vccz .LBB288_969
; %bb.930:
	s_cmp_gt_i32 s27, 22
	s_mov_b64 s[20:21], -1
	s_cbranch_scc0 .LBB288_962
; %bb.931:
	s_cmp_lt_i32 s27, 24
	s_cbranch_scc1 .LBB288_951
; %bb.932:
	s_cmp_gt_i32 s27, 24
	s_cbranch_scc0 .LBB288_940
; %bb.933:
	v_cvt_f32_i32_sdwa v2, sext(v3) dst_sel:DWORD dst_unused:UNUSED_PAD src0_sel:WORD_0
	s_mov_b32 s20, 0x47800000
	v_mov_b32_e32 v5, 0x80
	v_and_b32_e32 v4, 0x7fffffff, v2
	v_cmp_gt_u32_e32 vcc, s20, v4
	s_and_saveexec_b64 s[20:21], vcc
	s_cbranch_execz .LBB288_939
; %bb.934:
	s_mov_b32 s22, 0x37ffffff
	v_cmp_lt_u32_e32 vcc, s22, v4
	s_mov_b64 s[22:23], 0
                                        ; implicit-def: $vgpr4
	s_and_saveexec_b64 s[24:25], vcc
	s_xor_b64 s[24:25], exec, s[24:25]
	s_cbranch_execz .LBB288_1145
; %bb.935:
	v_bfe_u32 v4, v2, 21, 1
	s_mov_b32 s28, 0x88fffff
	v_add3_u32 v4, v2, v4, s28
	s_mov_b64 s[22:23], exec
	v_lshrrev_b32_e32 v4, 21, v4
	s_andn2_saveexec_b64 s[24:25], s[24:25]
	s_cbranch_execnz .LBB288_1146
.LBB288_936:
	s_or_b64 exec, exec, s[24:25]
	v_mov_b32_e32 v5, 0
	s_and_saveexec_b64 s[24:25], s[22:23]
.LBB288_937:
	v_lshrrev_b32_e32 v2, 24, v2
	s_movk_i32 s22, 0x80
	v_and_or_b32 v5, v2, s22, v4
.LBB288_938:
	s_or_b64 exec, exec, s[24:25]
.LBB288_939:
	s_or_b64 exec, exec, s[20:21]
	s_mov_b64 s[20:21], 0
	global_store_byte v[0:1], v5, off
.LBB288_940:
	s_and_b64 vcc, exec, s[20:21]
	s_cbranch_vccz .LBB288_950
; %bb.941:
	v_cvt_f32_i32_sdwa v2, sext(v3) dst_sel:DWORD dst_unused:UNUSED_PAD src0_sel:WORD_0
	s_mov_b32 s20, 0x43f00000
                                        ; implicit-def: $vgpr4
	v_and_b32_e32 v5, 0x7fffffff, v2
	v_cmp_gt_u32_e32 vcc, s20, v5
	s_and_saveexec_b64 s[20:21], vcc
	s_xor_b64 s[20:21], exec, s[20:21]
	s_cbranch_execz .LBB288_947
; %bb.942:
	s_mov_b32 s22, 0x3c7fffff
	v_cmp_lt_u32_e32 vcc, s22, v5
                                        ; implicit-def: $vgpr4
	s_and_saveexec_b64 s[22:23], vcc
	s_xor_b64 s[22:23], exec, s[22:23]
; %bb.943:
	v_bfe_u32 v4, v2, 20, 1
	s_mov_b32 s24, 0x407ffff
	v_add3_u32 v4, v2, v4, s24
	v_lshrrev_b32_e32 v5, 20, v4
	v_and_b32_e32 v4, 0xff00000, v4
	s_mov_b32 s24, 0x7f00000
	v_mov_b32_e32 v6, 0x7e
	v_cmp_ne_u32_e32 vcc, s24, v4
	s_nop 1
	v_cndmask_b32_e32 v4, v6, v5, vcc
; %bb.944:
	s_andn2_saveexec_b64 s[22:23], s[22:23]
; %bb.945:
	s_mov_b32 s24, 0x46800000
	v_add_f32_e64 v4, |v2|, s24
; %bb.946:
	s_or_b64 exec, exec, s[22:23]
                                        ; implicit-def: $vgpr5
.LBB288_947:
	s_andn2_saveexec_b64 s[20:21], s[20:21]
; %bb.948:
	s_mov_b32 s22, 0x7f800000
	v_mov_b32_e32 v4, 0x7e
	v_mov_b32_e32 v6, 0x7f
	v_cmp_lt_u32_e32 vcc, s22, v5
	s_nop 1
	v_cndmask_b32_e32 v4, v4, v6, vcc
; %bb.949:
	s_or_b64 exec, exec, s[20:21]
	v_lshrrev_b32_e32 v2, 24, v2
	s_movk_i32 s20, 0x80
	v_and_or_b32 v2, v2, s20, v4
	global_store_byte v[0:1], v2, off
.LBB288_950:
	s_mov_b64 s[20:21], 0
.LBB288_951:
	s_andn2_b64 vcc, exec, s[20:21]
	s_cbranch_vccnz .LBB288_961
; %bb.952:
	v_cvt_f32_i32_sdwa v2, sext(v3) dst_sel:DWORD dst_unused:UNUSED_PAD src0_sel:WORD_0
	s_mov_b32 s20, 0x47800000
                                        ; implicit-def: $vgpr4
	v_and_b32_e32 v5, 0x7fffffff, v2
	v_cmp_gt_u32_e32 vcc, s20, v5
	s_and_saveexec_b64 s[20:21], vcc
	s_xor_b64 s[20:21], exec, s[20:21]
	s_cbranch_execz .LBB288_958
; %bb.953:
	s_mov_b32 s22, 0x387fffff
	v_cmp_lt_u32_e32 vcc, s22, v5
                                        ; implicit-def: $vgpr4
	s_and_saveexec_b64 s[22:23], vcc
	s_xor_b64 s[22:23], exec, s[22:23]
; %bb.954:
	v_bfe_u32 v4, v2, 21, 1
	s_mov_b32 s24, 0x80fffff
	v_add3_u32 v4, v2, v4, s24
	v_lshrrev_b32_e32 v4, 21, v4
; %bb.955:
	s_andn2_saveexec_b64 s[22:23], s[22:23]
; %bb.956:
	s_mov_b32 s24, 0x43000000
	v_add_f32_e64 v4, |v2|, s24
; %bb.957:
	s_or_b64 exec, exec, s[22:23]
                                        ; implicit-def: $vgpr5
.LBB288_958:
	s_andn2_saveexec_b64 s[20:21], s[20:21]
; %bb.959:
	s_mov_b32 s22, 0x7f800000
	v_mov_b32_e32 v4, 0x7c
	v_mov_b32_e32 v6, 0x7f
	v_cmp_lt_u32_e32 vcc, s22, v5
	s_nop 1
	v_cndmask_b32_e32 v4, v4, v6, vcc
; %bb.960:
	s_or_b64 exec, exec, s[20:21]
	v_lshrrev_b32_e32 v2, 24, v2
	s_movk_i32 s20, 0x80
	v_and_or_b32 v2, v2, s20, v4
	global_store_byte v[0:1], v2, off
.LBB288_961:
	s_mov_b64 s[20:21], 0
.LBB288_962:
	s_andn2_b64 vcc, exec, s[20:21]
	s_mov_b64 s[20:21], 0
	s_cbranch_vccnz .LBB288_970
; %bb.963:
	s_cmp_gt_i32 s27, 14
	s_mov_b64 s[22:23], -1
	s_cbranch_scc0 .LBB288_967
; %bb.964:
	s_cmp_eq_u32 s27, 15
	s_mov_b64 s[0:1], -1
	s_cbranch_scc0 .LBB288_966
; %bb.965:
	v_cvt_f32_i32_sdwa v2, sext(v3) dst_sel:DWORD dst_unused:UNUSED_PAD src0_sel:WORD_0
	s_movk_i32 s0, 0x7fff
	v_bfe_u32 v4, v2, 16, 1
	v_add3_u32 v2, v2, v4, s0
	global_store_short_d16_hi v[0:1], v2, off
	s_mov_b64 s[0:1], 0
.LBB288_966:
	s_mov_b64 s[22:23], 0
.LBB288_967:
	s_and_b64 vcc, exec, s[22:23]
	s_cbranch_vccz .LBB288_970
; %bb.968:
	s_cmp_lg_u32 s27, 11
	s_cselect_b64 s[22:23], -1, 0
	s_andn2_b64 s[0:1], s[0:1], exec
	s_and_b64 s[22:23], s[22:23], exec
	s_mov_b64 s[20:21], -1
	s_or_b64 s[0:1], s[0:1], s[22:23]
	s_branch .LBB288_970
.LBB288_969:
	s_mov_b64 s[20:21], 0
.LBB288_970:
	s_andn2_b64 s[12:13], s[12:13], exec
	s_and_b64 s[0:1], s[0:1], exec
	s_and_b64 s[18:19], s[18:19], exec
	;; [unrolled: 1-line block ×3, first 2 shown]
	s_or_b64 s[12:13], s[12:13], s[0:1]
	s_or_b64 exec, exec, s[14:15]
	s_and_saveexec_b64 s[0:1], s[12:13]
	s_cbranch_execz .LBB288_899
.LBB288_971:
	s_or_b64 s[16:17], s[16:17], exec
	s_andn2_b64 s[20:21], s[20:21], exec
	s_trap 2
	s_or_b64 exec, exec, s[0:1]
	s_and_saveexec_b64 s[0:1], s[20:21]
	s_xor_b64 s[0:1], exec, s[0:1]
	s_cbranch_execnz .LBB288_900
.LBB288_972:
	s_or_b64 exec, exec, s[0:1]
	s_and_saveexec_b64 s[0:1], s[18:19]
	s_xor_b64 s[0:1], exec, s[0:1]
	s_cbranch_execz .LBB288_1010
.LBB288_973:
	s_sext_i32_i16 s14, s26
	s_cmp_lt_i32 s14, 5
	s_mov_b64 s[12:13], -1
	s_cbranch_scc1 .LBB288_994
; %bb.974:
	s_cmp_lt_i32 s14, 8
	s_cbranch_scc1 .LBB288_984
; %bb.975:
	s_cmp_lt_i32 s14, 9
	s_cbranch_scc1 .LBB288_981
; %bb.976:
	s_cmp_gt_i32 s14, 9
	s_cbranch_scc0 .LBB288_978
; %bb.977:
	s_waitcnt vmcnt(0)
	v_bfe_i32 v2, v3, 0, 8
	v_bfe_i32 v2, v2, 0, 16
	v_mov_b32_e32 v6, 0
	v_cvt_f64_i32_e32 v[4:5], v2
	v_mov_b32_e32 v7, v6
	s_mov_b64 s[12:13], 0
	global_store_dwordx4 v[0:1], v[4:7], off
.LBB288_978:
	s_andn2_b64 vcc, exec, s[12:13]
	s_cbranch_vccnz .LBB288_980
; %bb.979:
	s_waitcnt vmcnt(0)
	v_bfe_i32 v2, v3, 0, 8
	v_cvt_f32_i32_sdwa v4, sext(v2) dst_sel:DWORD dst_unused:UNUSED_PAD src0_sel:WORD_0
	v_mov_b32_e32 v5, 0
	global_store_dwordx2 v[0:1], v[4:5], off
.LBB288_980:
	s_mov_b64 s[12:13], 0
.LBB288_981:
	s_andn2_b64 vcc, exec, s[12:13]
	s_cbranch_vccnz .LBB288_983
; %bb.982:
	s_waitcnt vmcnt(0)
	v_cvt_f16_i16_sdwa v2, sext(v3) dst_sel:DWORD dst_unused:UNUSED_PAD src0_sel:BYTE_0
	global_store_dword v[0:1], v2, off
.LBB288_983:
	s_mov_b64 s[12:13], 0
.LBB288_984:
	s_andn2_b64 vcc, exec, s[12:13]
	s_cbranch_vccnz .LBB288_993
; %bb.985:
	s_sext_i32_i16 s14, s26
	s_cmp_lt_i32 s14, 6
	s_mov_b64 s[12:13], -1
	s_cbranch_scc1 .LBB288_991
; %bb.986:
	s_cmp_gt_i32 s14, 6
	s_cbranch_scc0 .LBB288_988
; %bb.987:
	s_waitcnt vmcnt(0)
	v_bfe_i32 v2, v3, 0, 8
	v_bfe_i32 v2, v2, 0, 16
	v_cvt_f64_i32_e32 v[4:5], v2
	s_mov_b64 s[12:13], 0
	global_store_dwordx2 v[0:1], v[4:5], off
.LBB288_988:
	s_andn2_b64 vcc, exec, s[12:13]
	s_cbranch_vccnz .LBB288_990
; %bb.989:
	s_waitcnt vmcnt(0)
	v_bfe_i32 v2, v3, 0, 8
	v_cvt_f32_i32_sdwa v2, sext(v2) dst_sel:DWORD dst_unused:UNUSED_PAD src0_sel:WORD_0
	global_store_dword v[0:1], v2, off
.LBB288_990:
	s_mov_b64 s[12:13], 0
.LBB288_991:
	s_andn2_b64 vcc, exec, s[12:13]
	s_cbranch_vccnz .LBB288_993
; %bb.992:
	s_waitcnt vmcnt(0)
	v_cvt_f16_i16_sdwa v2, sext(v3) dst_sel:DWORD dst_unused:UNUSED_PAD src0_sel:BYTE_0
	global_store_short v[0:1], v2, off
.LBB288_993:
	s_mov_b64 s[12:13], 0
.LBB288_994:
	s_andn2_b64 vcc, exec, s[12:13]
	s_cbranch_vccnz .LBB288_1010
; %bb.995:
	s_sext_i32_i16 s14, s26
	s_cmp_lt_i32 s14, 2
	s_mov_b64 s[12:13], -1
	s_cbranch_scc1 .LBB288_1005
; %bb.996:
	s_cmp_lt_i32 s14, 3
	s_cbranch_scc1 .LBB288_1002
; %bb.997:
	s_cmp_gt_i32 s14, 3
	s_cbranch_scc0 .LBB288_999
; %bb.998:
	s_waitcnt vmcnt(0)
	v_bfe_i32 v4, v3, 0, 8
	v_ashrrev_i32_e32 v5, 31, v4
	s_mov_b64 s[12:13], 0
	global_store_dwordx2 v[0:1], v[4:5], off
.LBB288_999:
	s_andn2_b64 vcc, exec, s[12:13]
	s_cbranch_vccnz .LBB288_1001
; %bb.1000:
	s_waitcnt vmcnt(0)
	v_bfe_i32 v2, v3, 0, 8
	global_store_dword v[0:1], v2, off
.LBB288_1001:
	s_mov_b64 s[12:13], 0
.LBB288_1002:
	s_andn2_b64 vcc, exec, s[12:13]
	s_cbranch_vccnz .LBB288_1004
; %bb.1003:
	s_waitcnt vmcnt(0)
	v_bfe_i32 v2, v3, 0, 8
	global_store_short v[0:1], v2, off
.LBB288_1004:
	s_mov_b64 s[12:13], 0
.LBB288_1005:
	s_andn2_b64 vcc, exec, s[12:13]
	s_cbranch_vccnz .LBB288_1010
; %bb.1006:
	s_sext_i32_i16 s12, s26
	s_cmp_gt_i32 s12, 0
	s_mov_b64 s[12:13], -1
	s_cbranch_scc0 .LBB288_1008
; %bb.1007:
	s_mov_b64 s[12:13], 0
	s_waitcnt vmcnt(0)
	global_store_byte v[0:1], v3, off
.LBB288_1008:
	s_andn2_b64 vcc, exec, s[12:13]
	s_cbranch_vccnz .LBB288_1010
; %bb.1009:
	s_waitcnt vmcnt(0)
	global_store_byte v[0:1], v3, off
.LBB288_1010:
	s_or_b64 exec, exec, s[0:1]
	s_and_b64 s[12:13], s[16:17], exec
                                        ; implicit-def: $vgpr10
.LBB288_1011:
	s_or_saveexec_b64 s[10:11], s[10:11]
	s_mov_b64 s[0:1], 0
                                        ; implicit-def: $sgpr20
                                        ; implicit-def: $vgpr0_vgpr1
                                        ; implicit-def: $vgpr3
	s_xor_b64 exec, exec, s[10:11]
	s_cbranch_execz .LBB288_1942
; %bb.1012:
	v_mul_lo_u32 v0, s9, v10
	v_ashrrev_i32_e32 v1, 31, v0
	s_and_b32 s20, 0xffff, s44
	s_cmp_lt_i32 s20, 11
	s_waitcnt vmcnt(0)
	v_lshl_add_u64 v[2:3], s[6:7], 0, v[0:1]
	s_cbranch_scc1 .LBB288_1019
; %bb.1013:
	s_cmp_gt_i32 s20, 25
	s_cbranch_scc0 .LBB288_1021
; %bb.1014:
	s_cmp_gt_i32 s20, 28
	s_cbranch_scc0 .LBB288_1022
	;; [unrolled: 3-line block ×4, first 2 shown]
; %bb.1017:
	s_cmp_eq_u32 s20, 46
	s_mov_b64 s[14:15], 0
	s_cbranch_scc0 .LBB288_1027
; %bb.1018:
	global_load_dword v1, v[2:3], off
	s_mov_b64 s[16:17], -1
	s_waitcnt vmcnt(0)
	v_lshlrev_b32_e32 v1, 16, v1
	v_cvt_i32_f32_e32 v6, v1
	s_branch .LBB288_1028
.LBB288_1019:
	s_mov_b64 s[16:17], 0
                                        ; implicit-def: $vgpr6
	s_mov_b64 s[14:15], s[12:13]
	s_cbranch_execnz .LBB288_1086
.LBB288_1020:
	s_andn2_b64 vcc, exec, s[16:17]
	s_cbranch_vccz .LBB288_1131
	s_branch .LBB288_1940
.LBB288_1021:
	s_mov_b64 s[16:17], 0
                                        ; implicit-def: $vgpr6
	s_cbranch_execnz .LBB288_1053
	s_branch .LBB288_1082
.LBB288_1022:
	s_mov_b64 s[16:17], 0
                                        ; implicit-def: $vgpr6
	s_cbranch_execz .LBB288_1052
	s_branch .LBB288_1037
.LBB288_1023:
	s_mov_b64 s[16:17], 0
                                        ; implicit-def: $vgpr6
	s_cbranch_execnz .LBB288_1033
	s_branch .LBB288_1036
.LBB288_1024:
	s_mov_b64 s[14:15], -1
	s_mov_b64 s[16:17], 0
                                        ; implicit-def: $vgpr6
	s_branch .LBB288_1028
.LBB288_1025:
	s_andn2_saveexec_b64 s[22:23], s[22:23]
	s_cbranch_execz .LBB288_924
.LBB288_1026:
	s_mov_b32 s24, 0x46000000
	v_add_f32_e64 v4, |v2|, s24
	v_and_b32_e32 v4, 0xff, v4
	v_cmp_ne_u32_e32 vcc, 0, v4
	s_andn2_b64 s[20:21], s[20:21], exec
	s_and_b64 s[24:25], vcc, exec
	s_or_b64 s[20:21], s[20:21], s[24:25]
	s_or_b64 exec, exec, s[22:23]
	v_mov_b32_e32 v5, 0
	s_and_saveexec_b64 s[22:23], s[20:21]
	s_cbranch_execnz .LBB288_925
	s_branch .LBB288_926
.LBB288_1027:
	s_mov_b64 s[0:1], -1
                                        ; implicit-def: $vgpr6
	s_mov_b64 s[16:17], 0
.LBB288_1028:
	s_and_b64 vcc, exec, s[14:15]
	s_cbranch_vccz .LBB288_1031
; %bb.1029:
	s_cmp_eq_u32 s20, 44
	s_cbranch_scc0 .LBB288_1032
; %bb.1030:
	global_load_ubyte v1, v[2:3], off
	s_mov_b64 s[0:1], 0
	s_mov_b64 s[16:17], -1
	s_waitcnt vmcnt(0)
	v_lshlrev_b32_e32 v4, 23, v1
	v_cvt_i32_f32_e32 v4, v4
	v_cmp_ne_u32_e32 vcc, 0, v1
	s_nop 1
	v_cndmask_b32_e32 v6, 0, v4, vcc
.LBB288_1031:
	s_branch .LBB288_1036
.LBB288_1032:
	s_mov_b64 s[0:1], -1
                                        ; implicit-def: $vgpr6
	s_branch .LBB288_1036
.LBB288_1033:
	s_cmp_eq_u32 s20, 29
	s_cbranch_scc0 .LBB288_1035
; %bb.1034:
	global_load_dwordx2 v[6:7], v[2:3], off
	s_mov_b64 s[0:1], 0
	s_mov_b64 s[16:17], -1
	s_branch .LBB288_1036
.LBB288_1035:
	s_mov_b64 s[0:1], -1
                                        ; implicit-def: $vgpr6
.LBB288_1036:
	s_branch .LBB288_1052
.LBB288_1037:
	s_cmp_lt_i32 s20, 27
	s_cbranch_scc1 .LBB288_1040
; %bb.1038:
	s_cmp_gt_i32 s20, 27
	s_cbranch_scc0 .LBB288_1041
; %bb.1039:
	global_load_dword v6, v[2:3], off
	s_mov_b64 s[14:15], 0
	s_branch .LBB288_1042
.LBB288_1040:
	s_mov_b64 s[14:15], -1
                                        ; implicit-def: $vgpr6
	s_branch .LBB288_1045
.LBB288_1041:
	s_mov_b64 s[14:15], -1
                                        ; implicit-def: $vgpr6
.LBB288_1042:
	s_andn2_b64 vcc, exec, s[14:15]
	s_cbranch_vccnz .LBB288_1044
; %bb.1043:
	global_load_ushort v6, v[2:3], off
.LBB288_1044:
	s_mov_b64 s[14:15], 0
.LBB288_1045:
	s_andn2_b64 vcc, exec, s[14:15]
	s_cbranch_vccnz .LBB288_1051
; %bb.1046:
	global_load_ubyte v1, v[2:3], off
	s_movk_i32 s14, 0x7f
	s_mov_b64 s[16:17], 0
	s_waitcnt vmcnt(0)
	v_cmp_lt_i16_e32 vcc, s14, v1
	s_and_saveexec_b64 s[14:15], vcc
	s_xor_b64 s[14:15], exec, s[14:15]
	s_cbranch_execz .LBB288_1062
; %bb.1047:
	s_movk_i32 s16, 0x80
	v_cmp_ne_u16_e32 vcc, s16, v1
	s_and_b64 s[16:17], vcc, exec
	s_andn2_saveexec_b64 s[14:15], s[14:15]
	s_cbranch_execnz .LBB288_1063
.LBB288_1048:
	s_or_b64 exec, exec, s[14:15]
	v_mov_b32_e32 v6, 0
	s_and_saveexec_b64 s[14:15], s[16:17]
	s_cbranch_execz .LBB288_1050
.LBB288_1049:
	v_lshlrev_b32_e32 v4, 24, v1
	v_and_b32_e32 v1, 0xffff, v1
	v_and_b32_e32 v5, 7, v1
	v_ffbh_u32_e32 v7, v5
	v_min_u32_e32 v7, 32, v7
	v_subrev_u32_e32 v8, 28, v7
	v_bfe_u32 v6, v1, 3, 4
	v_lshlrev_b32_e32 v1, v8, v1
	v_sub_u32_e32 v7, 29, v7
	v_and_b32_e32 v1, 7, v1
	v_cmp_eq_u32_e32 vcc, 0, v6
	v_and_b32_e32 v4, 0x80000000, v4
	s_nop 0
	v_cndmask_b32_e32 v6, v6, v7, vcc
	v_cndmask_b32_e32 v1, v5, v1, vcc
	v_mov_b32_e32 v5, 0x3b800000
	v_lshlrev_b32_e32 v1, 20, v1
	v_lshl_add_u32 v5, v6, 23, v5
	v_or3_b32 v1, v4, v5, v1
	v_cvt_i32_f32_e32 v6, v1
.LBB288_1050:
	s_or_b64 exec, exec, s[14:15]
.LBB288_1051:
	s_mov_b64 s[16:17], -1
.LBB288_1052:
	s_branch .LBB288_1082
.LBB288_1053:
	s_cmp_gt_i32 s20, 22
	s_cbranch_scc0 .LBB288_1061
; %bb.1054:
	s_cmp_lt_i32 s20, 24
	s_cbranch_scc1 .LBB288_1064
; %bb.1055:
	s_cmp_gt_i32 s20, 24
	s_cbranch_scc0 .LBB288_1065
; %bb.1056:
	global_load_ubyte v1, v[2:3], off
	s_movk_i32 s2, 0x7f
	s_mov_b64 s[14:15], 0
	s_waitcnt vmcnt(0)
	v_cmp_lt_i16_e32 vcc, s2, v1
	s_and_saveexec_b64 s[2:3], vcc
	s_xor_b64 s[2:3], exec, s[2:3]
	s_cbranch_execz .LBB288_1076
; %bb.1057:
	s_movk_i32 s14, 0x80
	v_cmp_ne_u16_e32 vcc, s14, v1
	s_and_b64 s[14:15], vcc, exec
	s_andn2_saveexec_b64 s[2:3], s[2:3]
	s_cbranch_execnz .LBB288_1077
.LBB288_1058:
	s_or_b64 exec, exec, s[2:3]
	v_mov_b32_e32 v6, 0
	s_and_saveexec_b64 s[2:3], s[14:15]
	s_cbranch_execz .LBB288_1060
.LBB288_1059:
	v_lshlrev_b32_e32 v4, 24, v1
	v_and_b32_e32 v1, 0xffff, v1
	v_and_b32_e32 v5, 3, v1
	v_ffbh_u32_e32 v7, v5
	v_min_u32_e32 v7, 32, v7
	v_subrev_u32_e32 v8, 29, v7
	v_bfe_u32 v6, v1, 2, 5
	v_lshlrev_b32_e32 v1, v8, v1
	v_sub_u32_e32 v7, 30, v7
	v_and_b32_e32 v1, 3, v1
	v_cmp_eq_u32_e32 vcc, 0, v6
	v_and_b32_e32 v4, 0x80000000, v4
	s_nop 0
	v_cndmask_b32_e32 v6, v6, v7, vcc
	v_cndmask_b32_e32 v1, v5, v1, vcc
	v_mov_b32_e32 v5, 0x37800000
	v_lshlrev_b32_e32 v1, 21, v1
	v_lshl_add_u32 v5, v6, 23, v5
	v_or3_b32 v1, v4, v5, v1
	v_cvt_i32_f32_e32 v6, v1
.LBB288_1060:
	s_or_b64 exec, exec, s[2:3]
	s_mov_b64 s[2:3], 0
	s_branch .LBB288_1066
.LBB288_1061:
                                        ; implicit-def: $vgpr6
	s_mov_b64 s[2:3], 0
	s_branch .LBB288_1072
.LBB288_1062:
	s_andn2_saveexec_b64 s[14:15], s[14:15]
	s_cbranch_execz .LBB288_1048
.LBB288_1063:
	v_cmp_ne_u16_e32 vcc, 0, v1
	s_andn2_b64 s[16:17], s[16:17], exec
	s_and_b64 s[18:19], vcc, exec
	s_or_b64 s[16:17], s[16:17], s[18:19]
	s_or_b64 exec, exec, s[14:15]
	v_mov_b32_e32 v6, 0
	s_and_saveexec_b64 s[14:15], s[16:17]
	s_cbranch_execnz .LBB288_1049
	s_branch .LBB288_1050
.LBB288_1064:
	s_mov_b64 s[2:3], -1
                                        ; implicit-def: $vgpr6
	s_branch .LBB288_1069
.LBB288_1065:
	s_mov_b64 s[2:3], -1
                                        ; implicit-def: $vgpr6
.LBB288_1066:
	s_and_b64 vcc, exec, s[2:3]
	s_cbranch_vccz .LBB288_1068
; %bb.1067:
	global_load_ubyte v1, v[2:3], off
	s_mov_b32 s2, 0x7f800000
	s_waitcnt vmcnt(0)
	v_lshlrev_b32_e32 v1, 24, v1
	v_and_b32_e32 v4, 0x7f000000, v1
	v_ffbh_u32_e32 v5, v4
	v_min_u32_e32 v5, 32, v5
	v_sub_u32_e64 v5, v5, 4 clamp
	v_lshlrev_b32_e32 v7, v5, v4
	v_lshlrev_b32_e32 v5, 23, v5
	v_lshrrev_b32_e32 v7, 4, v7
	v_add_u32_e32 v6, 0x1000000, v4
	v_sub_u32_e32 v5, v7, v5
	v_ashrrev_i32_e32 v6, 8, v6
	v_add_u32_e32 v5, 0x3c000000, v5
	v_and_or_b32 v5, v6, s2, v5
	v_cmp_ne_u32_e32 vcc, 0, v4
	s_brev_b32 s2, 1
	s_nop 0
	v_cndmask_b32_e32 v4, 0, v5, vcc
	v_and_or_b32 v1, v1, s2, v4
	v_cvt_i32_f32_e32 v6, v1
.LBB288_1068:
	s_mov_b64 s[2:3], 0
.LBB288_1069:
	s_andn2_b64 vcc, exec, s[2:3]
	s_cbranch_vccnz .LBB288_1071
; %bb.1070:
	global_load_ubyte v1, v[2:3], off
	s_movk_i32 s2, 0x7f00
	s_brev_b32 s3, 16
	s_waitcnt vmcnt(0)
	v_lshlrev_b16_e32 v4, 8, v1
	v_lshlrev_b32_e32 v1, 25, v1
	v_lshrrev_b32_e32 v5, 4, v1
	v_and_or_b32 v6, v4, s2, 0.5
	v_or_b32_e32 v5, 0x70000000, v5
	v_add_f32_e32 v6, -0.5, v6
	v_mul_f32_e32 v5, 0x7800000, v5
	v_cmp_gt_u32_e32 vcc, s3, v1
	v_bfe_i32 v4, v4, 0, 16
	s_brev_b32 s2, 1
	v_cndmask_b32_e32 v1, v5, v6, vcc
	v_and_or_b32 v1, v4, s2, v1
	v_cvt_i32_f32_e32 v6, v1
.LBB288_1071:
	s_mov_b64 s[16:17], -1
	s_mov_b64 s[2:3], 0
	s_cbranch_execnz .LBB288_1082
.LBB288_1072:
	s_cmp_gt_i32 s20, 14
	s_cbranch_scc0 .LBB288_1075
; %bb.1073:
	s_cmp_eq_u32 s20, 15
	s_cbranch_scc0 .LBB288_1078
; %bb.1074:
	global_load_ushort v1, v[2:3], off
	s_mov_b64 s[0:1], 0
	s_mov_b64 s[16:17], -1
	s_waitcnt vmcnt(0)
	v_lshlrev_b32_e32 v1, 16, v1
	v_cvt_i32_f32_e32 v6, v1
	s_branch .LBB288_1079
.LBB288_1075:
	s_mov_b64 s[14:15], -1
                                        ; implicit-def: $vgpr6
	s_branch .LBB288_1080
.LBB288_1076:
	s_andn2_saveexec_b64 s[2:3], s[2:3]
	s_cbranch_execz .LBB288_1058
.LBB288_1077:
	v_cmp_ne_u16_e32 vcc, 0, v1
	s_andn2_b64 s[14:15], s[14:15], exec
	s_and_b64 s[16:17], vcc, exec
	s_or_b64 s[14:15], s[14:15], s[16:17]
	s_or_b64 exec, exec, s[2:3]
	v_mov_b32_e32 v6, 0
	s_and_saveexec_b64 s[2:3], s[14:15]
	s_cbranch_execnz .LBB288_1059
	s_branch .LBB288_1060
.LBB288_1078:
	s_mov_b64 s[0:1], -1
                                        ; implicit-def: $vgpr6
.LBB288_1079:
	s_mov_b64 s[14:15], 0
.LBB288_1080:
	s_and_b64 vcc, exec, s[14:15]
	s_cbranch_vccz .LBB288_1082
; %bb.1081:
	s_cmp_lg_u32 s20, 11
	s_mov_b64 s[2:3], -1
	s_cselect_b64 s[0:1], -1, 0
.LBB288_1082:
	s_and_b64 vcc, exec, s[0:1]
	s_mov_b64 s[14:15], s[12:13]
	s_cbranch_vccnz .LBB288_1143
; %bb.1083:
	s_andn2_b64 vcc, exec, s[2:3]
	s_cbranch_vccnz .LBB288_1085
.LBB288_1084:
	global_load_ubyte v1, v[2:3], off
	s_mov_b64 s[16:17], -1
	s_waitcnt vmcnt(0)
	v_cmp_ne_u16_e32 vcc, 0, v1
	s_nop 1
	v_cndmask_b32_e64 v6, 0, 1, vcc
.LBB288_1085:
	s_branch .LBB288_1020
.LBB288_1086:
	s_cmp_lt_i32 s20, 5
	s_cbranch_scc1 .LBB288_1091
; %bb.1087:
	s_cmp_lt_i32 s20, 8
	s_cbranch_scc1 .LBB288_1092
; %bb.1088:
	;; [unrolled: 3-line block ×3, first 2 shown]
	s_cmp_gt_i32 s20, 9
	s_cbranch_scc0 .LBB288_1094
; %bb.1090:
	global_load_dwordx2 v[4:5], v[2:3], off
	s_mov_b64 s[0:1], 0
	s_waitcnt vmcnt(0)
	v_cvt_i32_f64_e32 v6, v[4:5]
	s_branch .LBB288_1095
.LBB288_1091:
                                        ; implicit-def: $vgpr6
	s_branch .LBB288_1112
.LBB288_1092:
                                        ; implicit-def: $vgpr6
	s_branch .LBB288_1101
.LBB288_1093:
	s_mov_b64 s[0:1], -1
                                        ; implicit-def: $vgpr6
	s_branch .LBB288_1098
.LBB288_1094:
	s_mov_b64 s[0:1], -1
                                        ; implicit-def: $vgpr6
.LBB288_1095:
	s_andn2_b64 vcc, exec, s[0:1]
	s_cbranch_vccnz .LBB288_1097
; %bb.1096:
	global_load_dword v1, v[2:3], off
	s_waitcnt vmcnt(0)
	v_cvt_i32_f32_e32 v6, v1
.LBB288_1097:
	s_mov_b64 s[0:1], 0
.LBB288_1098:
	s_andn2_b64 vcc, exec, s[0:1]
	s_cbranch_vccnz .LBB288_1100
; %bb.1099:
	global_load_dword v1, v[2:3], off
	s_waitcnt vmcnt(0)
	v_cvt_i16_f16_e32 v6, v1
.LBB288_1100:
	s_cbranch_execnz .LBB288_1111
.LBB288_1101:
	s_cmp_lt_i32 s20, 6
	s_cbranch_scc1 .LBB288_1104
; %bb.1102:
	s_cmp_gt_i32 s20, 6
	s_cbranch_scc0 .LBB288_1105
; %bb.1103:
	global_load_dwordx2 v[4:5], v[2:3], off
	s_mov_b64 s[0:1], 0
	s_waitcnt vmcnt(0)
	v_cvt_i32_f64_e32 v6, v[4:5]
	s_branch .LBB288_1106
.LBB288_1104:
	s_mov_b64 s[0:1], -1
                                        ; implicit-def: $vgpr6
	s_branch .LBB288_1109
.LBB288_1105:
	s_mov_b64 s[0:1], -1
                                        ; implicit-def: $vgpr6
.LBB288_1106:
	s_andn2_b64 vcc, exec, s[0:1]
	s_cbranch_vccnz .LBB288_1108
; %bb.1107:
	global_load_dword v1, v[2:3], off
	s_waitcnt vmcnt(0)
	v_cvt_i32_f32_e32 v6, v1
.LBB288_1108:
	s_mov_b64 s[0:1], 0
.LBB288_1109:
	s_andn2_b64 vcc, exec, s[0:1]
	s_cbranch_vccnz .LBB288_1111
; %bb.1110:
	global_load_ushort v1, v[2:3], off
	s_waitcnt vmcnt(0)
	v_cvt_i16_f16_e32 v6, v1
.LBB288_1111:
	s_cbranch_execnz .LBB288_1130
.LBB288_1112:
	s_cmp_lt_i32 s20, 2
	s_cbranch_scc1 .LBB288_1116
; %bb.1113:
	s_cmp_lt_i32 s20, 3
	s_cbranch_scc1 .LBB288_1117
; %bb.1114:
	s_cmp_gt_i32 s20, 3
	s_cbranch_scc0 .LBB288_1118
; %bb.1115:
	global_load_dwordx2 v[6:7], v[2:3], off
	s_mov_b64 s[0:1], 0
	s_branch .LBB288_1119
.LBB288_1116:
                                        ; implicit-def: $vgpr6
	s_branch .LBB288_1125
.LBB288_1117:
	s_mov_b64 s[0:1], -1
                                        ; implicit-def: $vgpr6
	s_branch .LBB288_1122
.LBB288_1118:
	s_mov_b64 s[0:1], -1
                                        ; implicit-def: $vgpr6
.LBB288_1119:
	s_andn2_b64 vcc, exec, s[0:1]
	s_cbranch_vccnz .LBB288_1121
; %bb.1120:
	global_load_dword v6, v[2:3], off
.LBB288_1121:
	s_mov_b64 s[0:1], 0
.LBB288_1122:
	s_andn2_b64 vcc, exec, s[0:1]
	s_cbranch_vccnz .LBB288_1124
; %bb.1123:
	global_load_ushort v6, v[2:3], off
.LBB288_1124:
	s_cbranch_execnz .LBB288_1130
.LBB288_1125:
	s_cmp_gt_i32 s20, 0
	s_cbranch_scc0 .LBB288_1127
; %bb.1126:
	global_load_ubyte v6, v[2:3], off
	s_mov_b64 s[0:1], 0
	s_branch .LBB288_1128
.LBB288_1127:
	s_mov_b64 s[0:1], -1
                                        ; implicit-def: $vgpr6
.LBB288_1128:
	s_andn2_b64 vcc, exec, s[0:1]
	s_cbranch_vccnz .LBB288_1130
; %bb.1129:
	global_load_ubyte v6, v[2:3], off
.LBB288_1130:
.LBB288_1131:
	s_lshl_b32 s9, s9, 7
	v_add_u32_e32 v0, s9, v0
	v_ashrrev_i32_e32 v1, 31, v0
	s_cmp_lt_i32 s20, 11
	v_lshl_add_u64 v[2:3], s[6:7], 0, v[0:1]
	s_cbranch_scc1 .LBB288_1138
; %bb.1132:
	s_cmp_gt_i32 s20, 25
	s_mov_b64 s[2:3], 0
	s_cbranch_scc0 .LBB288_1140
; %bb.1133:
	s_cmp_gt_i32 s20, 28
	s_cbranch_scc0 .LBB288_1141
; %bb.1134:
	s_cmp_gt_i32 s20, 43
	;; [unrolled: 3-line block ×3, first 2 shown]
	s_cbranch_scc0 .LBB288_1144
; %bb.1136:
	s_cmp_eq_u32 s20, 46
	s_mov_b64 s[18:19], 0
	s_cbranch_scc0 .LBB288_1147
; %bb.1137:
	global_load_dword v1, v[2:3], off
	s_mov_b64 s[0:1], 0
	s_mov_b64 s[16:17], -1
	s_waitcnt vmcnt(0)
	v_lshlrev_b32_e32 v1, 16, v1
	v_cvt_i32_f32_e32 v4, v1
	s_branch .LBB288_1148
.LBB288_1138:
	s_mov_b64 s[16:17], 0
                                        ; implicit-def: $vgpr4
	s_cbranch_execnz .LBB288_1209
.LBB288_1139:
	s_andn2_b64 vcc, exec, s[16:17]
	s_cbranch_vccnz .LBB288_1940
	s_branch .LBB288_1256
.LBB288_1140:
	s_mov_b64 s[16:17], 0
	s_mov_b64 s[0:1], 0
                                        ; implicit-def: $vgpr4
	s_cbranch_execnz .LBB288_1175
	s_branch .LBB288_1205
.LBB288_1141:
	s_mov_b64 s[18:19], -1
	s_mov_b64 s[16:17], 0
	s_mov_b64 s[0:1], 0
                                        ; implicit-def: $vgpr4
	s_branch .LBB288_1158
.LBB288_1142:
	s_mov_b64 s[18:19], -1
	s_mov_b64 s[16:17], 0
	s_mov_b64 s[0:1], 0
                                        ; implicit-def: $vgpr4
	s_branch .LBB288_1153
.LBB288_1143:
	s_or_b64 s[14:15], s[12:13], exec
	s_trap 2
	s_cbranch_execz .LBB288_1084
	s_branch .LBB288_1085
.LBB288_1144:
	s_mov_b64 s[18:19], -1
	s_mov_b64 s[16:17], 0
	s_mov_b64 s[0:1], 0
                                        ; implicit-def: $vgpr4
	s_branch .LBB288_1148
.LBB288_1145:
	s_andn2_saveexec_b64 s[24:25], s[24:25]
	s_cbranch_execz .LBB288_936
.LBB288_1146:
	s_mov_b32 s28, 0x42800000
	v_add_f32_e64 v4, |v2|, s28
	v_and_b32_e32 v4, 0xff, v4
	v_cmp_ne_u32_e32 vcc, 0, v4
	s_andn2_b64 s[22:23], s[22:23], exec
	s_and_b64 s[28:29], vcc, exec
	s_or_b64 s[22:23], s[22:23], s[28:29]
	s_or_b64 exec, exec, s[24:25]
	v_mov_b32_e32 v5, 0
	s_and_saveexec_b64 s[24:25], s[22:23]
	s_cbranch_execnz .LBB288_937
	s_branch .LBB288_938
.LBB288_1147:
	s_mov_b64 s[0:1], -1
                                        ; implicit-def: $vgpr4
	s_mov_b64 s[16:17], 0
.LBB288_1148:
	s_and_b64 vcc, exec, s[18:19]
	s_cbranch_vccz .LBB288_1152
; %bb.1149:
	s_cmp_eq_u32 s20, 44
	s_cbranch_scc0 .LBB288_1151
; %bb.1150:
	global_load_ubyte v1, v[2:3], off
	s_mov_b64 s[0:1], 0
	s_mov_b64 s[16:17], -1
	s_waitcnt vmcnt(0)
	v_lshlrev_b32_e32 v4, 23, v1
	v_cvt_i32_f32_e32 v4, v4
	v_cmp_ne_u32_e32 vcc, 0, v1
	s_nop 1
	v_cndmask_b32_e32 v4, 0, v4, vcc
	s_branch .LBB288_1152
.LBB288_1151:
	s_mov_b64 s[0:1], -1
                                        ; implicit-def: $vgpr4
.LBB288_1152:
	s_mov_b64 s[18:19], 0
.LBB288_1153:
	s_and_b64 vcc, exec, s[18:19]
	s_cbranch_vccz .LBB288_1157
; %bb.1154:
	s_cmp_eq_u32 s20, 29
	s_cbranch_scc0 .LBB288_1156
; %bb.1155:
	global_load_dwordx2 v[4:5], v[2:3], off
	s_mov_b64 s[0:1], 0
	s_mov_b64 s[16:17], -1
	s_branch .LBB288_1157
.LBB288_1156:
	s_mov_b64 s[0:1], -1
                                        ; implicit-def: $vgpr4
.LBB288_1157:
	s_mov_b64 s[18:19], 0
.LBB288_1158:
	s_and_b64 vcc, exec, s[18:19]
	s_cbranch_vccz .LBB288_1174
; %bb.1159:
	s_cmp_lt_i32 s20, 27
	s_cbranch_scc1 .LBB288_1162
; %bb.1160:
	s_cmp_gt_i32 s20, 27
	s_cbranch_scc0 .LBB288_1163
; %bb.1161:
	global_load_dword v4, v[2:3], off
	s_mov_b64 s[16:17], 0
	s_branch .LBB288_1164
.LBB288_1162:
	s_mov_b64 s[16:17], -1
                                        ; implicit-def: $vgpr4
	s_branch .LBB288_1167
.LBB288_1163:
	s_mov_b64 s[16:17], -1
                                        ; implicit-def: $vgpr4
.LBB288_1164:
	s_andn2_b64 vcc, exec, s[16:17]
	s_cbranch_vccnz .LBB288_1166
; %bb.1165:
	global_load_ushort v4, v[2:3], off
.LBB288_1166:
	s_mov_b64 s[16:17], 0
.LBB288_1167:
	s_andn2_b64 vcc, exec, s[16:17]
	s_cbranch_vccnz .LBB288_1173
; %bb.1168:
	global_load_ubyte v1, v[2:3], off
	s_movk_i32 s16, 0x7f
	s_mov_b64 s[18:19], 0
	s_waitcnt vmcnt(0)
	v_cmp_lt_i16_e32 vcc, s16, v1
	s_and_saveexec_b64 s[16:17], vcc
	s_xor_b64 s[16:17], exec, s[16:17]
	s_cbranch_execz .LBB288_1184
; %bb.1169:
	s_movk_i32 s18, 0x80
	v_cmp_ne_u16_e32 vcc, s18, v1
	s_and_b64 s[18:19], vcc, exec
	s_andn2_saveexec_b64 s[16:17], s[16:17]
	s_cbranch_execnz .LBB288_1185
.LBB288_1170:
	s_or_b64 exec, exec, s[16:17]
	v_mov_b32_e32 v4, 0
	s_and_saveexec_b64 s[16:17], s[18:19]
	s_cbranch_execz .LBB288_1172
.LBB288_1171:
	v_lshlrev_b32_e32 v4, 24, v1
	v_and_b32_e32 v1, 0xffff, v1
	v_and_b32_e32 v5, 7, v1
	v_ffbh_u32_e32 v8, v5
	v_min_u32_e32 v8, 32, v8
	v_subrev_u32_e32 v9, 28, v8
	v_bfe_u32 v7, v1, 3, 4
	v_lshlrev_b32_e32 v1, v9, v1
	v_sub_u32_e32 v8, 29, v8
	v_and_b32_e32 v1, 7, v1
	v_cmp_eq_u32_e32 vcc, 0, v7
	v_and_b32_e32 v4, 0x80000000, v4
	s_nop 0
	v_cndmask_b32_e32 v7, v7, v8, vcc
	v_cndmask_b32_e32 v1, v5, v1, vcc
	v_mov_b32_e32 v5, 0x3b800000
	v_lshlrev_b32_e32 v1, 20, v1
	v_lshl_add_u32 v5, v7, 23, v5
	v_or3_b32 v1, v4, v5, v1
	v_cvt_i32_f32_e32 v4, v1
.LBB288_1172:
	s_or_b64 exec, exec, s[16:17]
.LBB288_1173:
	s_mov_b64 s[16:17], -1
.LBB288_1174:
	s_branch .LBB288_1205
.LBB288_1175:
	s_cmp_gt_i32 s20, 22
	s_cbranch_scc0 .LBB288_1183
; %bb.1176:
	s_cmp_lt_i32 s20, 24
	s_cbranch_scc1 .LBB288_1186
; %bb.1177:
	s_cmp_gt_i32 s20, 24
	s_cbranch_scc0 .LBB288_1187
; %bb.1178:
	global_load_ubyte v1, v[2:3], off
	s_movk_i32 s2, 0x7f
	s_mov_b64 s[16:17], 0
	s_waitcnt vmcnt(0)
	v_cmp_lt_i16_e32 vcc, s2, v1
	s_and_saveexec_b64 s[2:3], vcc
	s_xor_b64 s[2:3], exec, s[2:3]
	s_cbranch_execz .LBB288_1199
; %bb.1179:
	s_movk_i32 s16, 0x80
	v_cmp_ne_u16_e32 vcc, s16, v1
	s_and_b64 s[16:17], vcc, exec
	s_andn2_saveexec_b64 s[2:3], s[2:3]
	s_cbranch_execnz .LBB288_1200
.LBB288_1180:
	s_or_b64 exec, exec, s[2:3]
	v_mov_b32_e32 v4, 0
	s_and_saveexec_b64 s[2:3], s[16:17]
	s_cbranch_execz .LBB288_1182
.LBB288_1181:
	v_lshlrev_b32_e32 v4, 24, v1
	v_and_b32_e32 v1, 0xffff, v1
	v_and_b32_e32 v5, 3, v1
	v_ffbh_u32_e32 v8, v5
	v_min_u32_e32 v8, 32, v8
	v_subrev_u32_e32 v9, 29, v8
	v_bfe_u32 v7, v1, 2, 5
	v_lshlrev_b32_e32 v1, v9, v1
	v_sub_u32_e32 v8, 30, v8
	v_and_b32_e32 v1, 3, v1
	v_cmp_eq_u32_e32 vcc, 0, v7
	v_and_b32_e32 v4, 0x80000000, v4
	s_nop 0
	v_cndmask_b32_e32 v7, v7, v8, vcc
	v_cndmask_b32_e32 v1, v5, v1, vcc
	v_mov_b32_e32 v5, 0x37800000
	v_lshlrev_b32_e32 v1, 21, v1
	v_lshl_add_u32 v5, v7, 23, v5
	v_or3_b32 v1, v4, v5, v1
	v_cvt_i32_f32_e32 v4, v1
.LBB288_1182:
	s_or_b64 exec, exec, s[2:3]
	s_mov_b64 s[2:3], 0
	s_branch .LBB288_1188
.LBB288_1183:
	s_mov_b64 s[2:3], -1
                                        ; implicit-def: $vgpr4
	s_branch .LBB288_1194
.LBB288_1184:
	s_andn2_saveexec_b64 s[16:17], s[16:17]
	s_cbranch_execz .LBB288_1170
.LBB288_1185:
	v_cmp_ne_u16_e32 vcc, 0, v1
	s_andn2_b64 s[18:19], s[18:19], exec
	s_and_b64 s[22:23], vcc, exec
	s_or_b64 s[18:19], s[18:19], s[22:23]
	s_or_b64 exec, exec, s[16:17]
	v_mov_b32_e32 v4, 0
	s_and_saveexec_b64 s[16:17], s[18:19]
	s_cbranch_execnz .LBB288_1171
	s_branch .LBB288_1172
.LBB288_1186:
	s_mov_b64 s[2:3], -1
                                        ; implicit-def: $vgpr4
	s_branch .LBB288_1191
.LBB288_1187:
	s_mov_b64 s[2:3], -1
                                        ; implicit-def: $vgpr4
.LBB288_1188:
	s_and_b64 vcc, exec, s[2:3]
	s_cbranch_vccz .LBB288_1190
; %bb.1189:
	global_load_ubyte v1, v[2:3], off
	s_mov_b32 s2, 0x7f800000
	s_waitcnt vmcnt(0)
	v_lshlrev_b32_e32 v1, 24, v1
	v_and_b32_e32 v4, 0x7f000000, v1
	v_ffbh_u32_e32 v5, v4
	v_min_u32_e32 v5, 32, v5
	v_sub_u32_e64 v5, v5, 4 clamp
	v_lshlrev_b32_e32 v8, v5, v4
	v_lshlrev_b32_e32 v5, 23, v5
	v_lshrrev_b32_e32 v8, 4, v8
	v_add_u32_e32 v7, 0x1000000, v4
	v_sub_u32_e32 v5, v8, v5
	v_ashrrev_i32_e32 v7, 8, v7
	v_add_u32_e32 v5, 0x3c000000, v5
	v_and_or_b32 v5, v7, s2, v5
	v_cmp_ne_u32_e32 vcc, 0, v4
	s_brev_b32 s2, 1
	s_nop 0
	v_cndmask_b32_e32 v4, 0, v5, vcc
	v_and_or_b32 v1, v1, s2, v4
	v_cvt_i32_f32_e32 v4, v1
.LBB288_1190:
	s_mov_b64 s[2:3], 0
.LBB288_1191:
	s_andn2_b64 vcc, exec, s[2:3]
	s_cbranch_vccnz .LBB288_1193
; %bb.1192:
	global_load_ubyte v1, v[2:3], off
	s_movk_i32 s2, 0x7f00
	s_brev_b32 s3, 16
	s_waitcnt vmcnt(0)
	v_lshlrev_b16_e32 v4, 8, v1
	v_lshlrev_b32_e32 v1, 25, v1
	v_lshrrev_b32_e32 v5, 4, v1
	v_and_or_b32 v7, v4, s2, 0.5
	v_or_b32_e32 v5, 0x70000000, v5
	v_add_f32_e32 v7, -0.5, v7
	v_mul_f32_e32 v5, 0x7800000, v5
	v_cmp_gt_u32_e32 vcc, s3, v1
	v_bfe_i32 v4, v4, 0, 16
	s_brev_b32 s2, 1
	v_cndmask_b32_e32 v1, v5, v7, vcc
	v_and_or_b32 v1, v4, s2, v1
	v_cvt_i32_f32_e32 v4, v1
.LBB288_1193:
	s_mov_b64 s[2:3], 0
	s_mov_b64 s[16:17], -1
.LBB288_1194:
	s_andn2_b64 vcc, exec, s[2:3]
	s_mov_b64 s[2:3], 0
	s_cbranch_vccnz .LBB288_1205
; %bb.1195:
	s_cmp_gt_i32 s20, 14
	s_cbranch_scc0 .LBB288_1198
; %bb.1196:
	s_cmp_eq_u32 s20, 15
	s_cbranch_scc0 .LBB288_1201
; %bb.1197:
	global_load_ushort v1, v[2:3], off
	s_mov_b64 s[0:1], 0
	s_mov_b64 s[16:17], -1
	s_waitcnt vmcnt(0)
	v_lshlrev_b32_e32 v1, 16, v1
	v_cvt_i32_f32_e32 v4, v1
	s_branch .LBB288_1202
.LBB288_1198:
	s_mov_b64 s[18:19], -1
                                        ; implicit-def: $vgpr4
	s_branch .LBB288_1203
.LBB288_1199:
	s_andn2_saveexec_b64 s[2:3], s[2:3]
	s_cbranch_execz .LBB288_1180
.LBB288_1200:
	v_cmp_ne_u16_e32 vcc, 0, v1
	s_andn2_b64 s[16:17], s[16:17], exec
	s_and_b64 s[18:19], vcc, exec
	s_or_b64 s[16:17], s[16:17], s[18:19]
	s_or_b64 exec, exec, s[2:3]
	v_mov_b32_e32 v4, 0
	s_and_saveexec_b64 s[2:3], s[16:17]
	s_cbranch_execnz .LBB288_1181
	s_branch .LBB288_1182
.LBB288_1201:
	s_mov_b64 s[0:1], -1
                                        ; implicit-def: $vgpr4
.LBB288_1202:
	s_mov_b64 s[18:19], 0
.LBB288_1203:
	s_and_b64 vcc, exec, s[18:19]
	s_cbranch_vccz .LBB288_1205
; %bb.1204:
	s_cmp_lg_u32 s20, 11
	s_mov_b64 s[2:3], -1
	s_cselect_b64 s[0:1], -1, 0
.LBB288_1205:
	s_and_b64 vcc, exec, s[0:1]
	s_cbranch_vccnz .LBB288_1268
; %bb.1206:
	s_andn2_b64 vcc, exec, s[2:3]
	s_cbranch_vccnz .LBB288_1208
.LBB288_1207:
	global_load_ubyte v1, v[2:3], off
	s_mov_b64 s[16:17], -1
	s_waitcnt vmcnt(0)
	v_cmp_ne_u16_e32 vcc, 0, v1
	s_nop 1
	v_cndmask_b32_e64 v4, 0, 1, vcc
.LBB288_1208:
	s_branch .LBB288_1139
.LBB288_1209:
	s_cmp_lt_i32 s20, 5
	s_cbranch_scc1 .LBB288_1214
; %bb.1210:
	s_cmp_lt_i32 s20, 8
	s_cbranch_scc1 .LBB288_1215
; %bb.1211:
	;; [unrolled: 3-line block ×3, first 2 shown]
	s_cmp_gt_i32 s20, 9
	s_cbranch_scc0 .LBB288_1217
; %bb.1213:
	global_load_dwordx2 v[4:5], v[2:3], off
	s_mov_b64 s[0:1], 0
	s_waitcnt vmcnt(0)
	v_cvt_i32_f64_e32 v4, v[4:5]
	s_branch .LBB288_1218
.LBB288_1214:
                                        ; implicit-def: $vgpr4
	s_branch .LBB288_1236
.LBB288_1215:
	s_mov_b64 s[0:1], -1
                                        ; implicit-def: $vgpr4
	s_branch .LBB288_1224
.LBB288_1216:
	s_mov_b64 s[0:1], -1
                                        ; implicit-def: $vgpr4
	s_branch .LBB288_1221
.LBB288_1217:
	s_mov_b64 s[0:1], -1
                                        ; implicit-def: $vgpr4
.LBB288_1218:
	s_andn2_b64 vcc, exec, s[0:1]
	s_cbranch_vccnz .LBB288_1220
; %bb.1219:
	global_load_dword v1, v[2:3], off
	s_waitcnt vmcnt(0)
	v_cvt_i32_f32_e32 v4, v1
.LBB288_1220:
	s_mov_b64 s[0:1], 0
.LBB288_1221:
	s_andn2_b64 vcc, exec, s[0:1]
	s_cbranch_vccnz .LBB288_1223
; %bb.1222:
	global_load_dword v1, v[2:3], off
	s_waitcnt vmcnt(0)
	v_cvt_i16_f16_e32 v4, v1
.LBB288_1223:
	s_mov_b64 s[0:1], 0
.LBB288_1224:
	s_andn2_b64 vcc, exec, s[0:1]
	s_cbranch_vccnz .LBB288_1235
; %bb.1225:
	s_cmp_lt_i32 s20, 6
	s_cbranch_scc1 .LBB288_1228
; %bb.1226:
	s_cmp_gt_i32 s20, 6
	s_cbranch_scc0 .LBB288_1229
; %bb.1227:
	global_load_dwordx2 v[4:5], v[2:3], off
	s_mov_b64 s[0:1], 0
	s_waitcnt vmcnt(0)
	v_cvt_i32_f64_e32 v4, v[4:5]
	s_branch .LBB288_1230
.LBB288_1228:
	s_mov_b64 s[0:1], -1
                                        ; implicit-def: $vgpr4
	s_branch .LBB288_1233
.LBB288_1229:
	s_mov_b64 s[0:1], -1
                                        ; implicit-def: $vgpr4
.LBB288_1230:
	s_andn2_b64 vcc, exec, s[0:1]
	s_cbranch_vccnz .LBB288_1232
; %bb.1231:
	global_load_dword v1, v[2:3], off
	s_waitcnt vmcnt(0)
	v_cvt_i32_f32_e32 v4, v1
.LBB288_1232:
	s_mov_b64 s[0:1], 0
.LBB288_1233:
	s_andn2_b64 vcc, exec, s[0:1]
	s_cbranch_vccnz .LBB288_1235
; %bb.1234:
	global_load_ushort v1, v[2:3], off
	s_waitcnt vmcnt(0)
	v_cvt_i16_f16_e32 v4, v1
.LBB288_1235:
	s_cbranch_execnz .LBB288_1255
.LBB288_1236:
	s_cmp_lt_i32 s20, 2
	s_cbranch_scc1 .LBB288_1240
; %bb.1237:
	s_cmp_lt_i32 s20, 3
	s_cbranch_scc1 .LBB288_1241
; %bb.1238:
	s_cmp_gt_i32 s20, 3
	s_cbranch_scc0 .LBB288_1242
; %bb.1239:
	global_load_dwordx2 v[4:5], v[2:3], off
	s_mov_b64 s[0:1], 0
	s_branch .LBB288_1243
.LBB288_1240:
	s_mov_b64 s[0:1], -1
                                        ; implicit-def: $vgpr4
	s_branch .LBB288_1249
.LBB288_1241:
	s_mov_b64 s[0:1], -1
                                        ; implicit-def: $vgpr4
	s_branch .LBB288_1246
.LBB288_1242:
	s_mov_b64 s[0:1], -1
                                        ; implicit-def: $vgpr4
.LBB288_1243:
	s_andn2_b64 vcc, exec, s[0:1]
	s_cbranch_vccnz .LBB288_1245
; %bb.1244:
	global_load_dword v4, v[2:3], off
.LBB288_1245:
	s_mov_b64 s[0:1], 0
.LBB288_1246:
	s_andn2_b64 vcc, exec, s[0:1]
	s_cbranch_vccnz .LBB288_1248
; %bb.1247:
	global_load_ushort v4, v[2:3], off
.LBB288_1248:
	s_mov_b64 s[0:1], 0
.LBB288_1249:
	s_andn2_b64 vcc, exec, s[0:1]
	s_cbranch_vccnz .LBB288_1255
; %bb.1250:
	s_cmp_gt_i32 s20, 0
	s_cbranch_scc0 .LBB288_1252
; %bb.1251:
	global_load_ubyte v4, v[2:3], off
	s_mov_b64 s[0:1], 0
	s_branch .LBB288_1253
.LBB288_1252:
	s_mov_b64 s[0:1], -1
                                        ; implicit-def: $vgpr4
.LBB288_1253:
	s_andn2_b64 vcc, exec, s[0:1]
	s_cbranch_vccnz .LBB288_1255
; %bb.1254:
	global_load_ubyte v4, v[2:3], off
.LBB288_1255:
.LBB288_1256:
	v_add_u32_e32 v0, s9, v0
	v_ashrrev_i32_e32 v1, 31, v0
	s_cmp_lt_i32 s20, 11
	v_lshl_add_u64 v[8:9], s[6:7], 0, v[0:1]
	s_cbranch_scc1 .LBB288_1263
; %bb.1257:
	s_cmp_gt_i32 s20, 25
	s_mov_b64 s[2:3], 0
	s_cbranch_scc0 .LBB288_1265
; %bb.1258:
	s_cmp_gt_i32 s20, 28
	s_cbranch_scc0 .LBB288_1266
; %bb.1259:
	s_cmp_gt_i32 s20, 43
	;; [unrolled: 3-line block ×3, first 2 shown]
	s_cbranch_scc0 .LBB288_1269
; %bb.1261:
	s_cmp_eq_u32 s20, 46
	s_mov_b64 s[18:19], 0
	s_cbranch_scc0 .LBB288_1270
; %bb.1262:
	global_load_dword v1, v[8:9], off
	s_mov_b64 s[0:1], 0
	s_mov_b64 s[16:17], -1
	s_waitcnt vmcnt(0)
	v_lshlrev_b32_e32 v1, 16, v1
	v_cvt_i32_f32_e32 v2, v1
	s_branch .LBB288_1271
.LBB288_1263:
	s_mov_b64 s[16:17], 0
                                        ; implicit-def: $vgpr2
	s_cbranch_execnz .LBB288_1333
.LBB288_1264:
	s_andn2_b64 vcc, exec, s[16:17]
	s_cbranch_vccnz .LBB288_1940
	s_branch .LBB288_1381
.LBB288_1265:
	s_mov_b64 s[18:19], -1
	s_mov_b64 s[16:17], 0
	s_mov_b64 s[0:1], 0
                                        ; implicit-def: $vgpr2
	s_branch .LBB288_1298
.LBB288_1266:
	s_mov_b64 s[18:19], -1
	s_mov_b64 s[16:17], 0
	s_mov_b64 s[0:1], 0
                                        ; implicit-def: $vgpr2
	s_branch .LBB288_1281
.LBB288_1267:
	s_mov_b64 s[18:19], -1
	s_mov_b64 s[16:17], 0
	s_mov_b64 s[0:1], 0
                                        ; implicit-def: $vgpr2
	s_branch .LBB288_1276
.LBB288_1268:
	s_trap 2
	s_or_b64 s[14:15], s[14:15], exec
	s_cbranch_execz .LBB288_1207
	s_branch .LBB288_1208
.LBB288_1269:
	s_mov_b64 s[18:19], -1
	s_mov_b64 s[16:17], 0
	s_mov_b64 s[0:1], 0
                                        ; implicit-def: $vgpr2
	s_branch .LBB288_1271
.LBB288_1270:
	s_mov_b64 s[0:1], -1
                                        ; implicit-def: $vgpr2
	s_mov_b64 s[16:17], 0
.LBB288_1271:
	s_and_b64 vcc, exec, s[18:19]
	s_cbranch_vccz .LBB288_1275
; %bb.1272:
	s_cmp_eq_u32 s20, 44
	s_cbranch_scc0 .LBB288_1274
; %bb.1273:
	global_load_ubyte v1, v[8:9], off
	s_mov_b64 s[0:1], 0
	s_mov_b64 s[16:17], -1
	s_waitcnt vmcnt(0)
	v_lshlrev_b32_e32 v2, 23, v1
	v_cvt_i32_f32_e32 v2, v2
	v_cmp_ne_u32_e32 vcc, 0, v1
	s_nop 1
	v_cndmask_b32_e32 v2, 0, v2, vcc
	s_branch .LBB288_1275
.LBB288_1274:
	s_mov_b64 s[0:1], -1
                                        ; implicit-def: $vgpr2
.LBB288_1275:
	s_mov_b64 s[18:19], 0
.LBB288_1276:
	s_and_b64 vcc, exec, s[18:19]
	s_cbranch_vccz .LBB288_1280
; %bb.1277:
	s_cmp_eq_u32 s20, 29
	s_cbranch_scc0 .LBB288_1279
; %bb.1278:
	global_load_dwordx2 v[2:3], v[8:9], off
	s_mov_b64 s[0:1], 0
	s_mov_b64 s[16:17], -1
	s_branch .LBB288_1280
.LBB288_1279:
	s_mov_b64 s[0:1], -1
                                        ; implicit-def: $vgpr2
.LBB288_1280:
	s_mov_b64 s[18:19], 0
.LBB288_1281:
	s_and_b64 vcc, exec, s[18:19]
	s_cbranch_vccz .LBB288_1297
; %bb.1282:
	s_cmp_lt_i32 s20, 27
	s_cbranch_scc1 .LBB288_1285
; %bb.1283:
	s_cmp_gt_i32 s20, 27
	s_cbranch_scc0 .LBB288_1286
; %bb.1284:
	global_load_dword v2, v[8:9], off
	s_mov_b64 s[16:17], 0
	s_branch .LBB288_1287
.LBB288_1285:
	s_mov_b64 s[16:17], -1
                                        ; implicit-def: $vgpr2
	s_branch .LBB288_1290
.LBB288_1286:
	s_mov_b64 s[16:17], -1
                                        ; implicit-def: $vgpr2
.LBB288_1287:
	s_andn2_b64 vcc, exec, s[16:17]
	s_cbranch_vccnz .LBB288_1289
; %bb.1288:
	global_load_ushort v2, v[8:9], off
.LBB288_1289:
	s_mov_b64 s[16:17], 0
.LBB288_1290:
	s_andn2_b64 vcc, exec, s[16:17]
	s_cbranch_vccnz .LBB288_1296
; %bb.1291:
	global_load_ubyte v1, v[8:9], off
	s_movk_i32 s16, 0x7f
	s_mov_b64 s[18:19], 0
	s_waitcnt vmcnt(0)
	v_cmp_lt_i16_e32 vcc, s16, v1
	s_and_saveexec_b64 s[16:17], vcc
	s_xor_b64 s[16:17], exec, s[16:17]
	s_cbranch_execz .LBB288_1308
; %bb.1292:
	s_movk_i32 s18, 0x80
	v_cmp_ne_u16_e32 vcc, s18, v1
	s_and_b64 s[18:19], vcc, exec
	s_andn2_saveexec_b64 s[16:17], s[16:17]
	s_cbranch_execnz .LBB288_1309
.LBB288_1293:
	s_or_b64 exec, exec, s[16:17]
	v_mov_b32_e32 v2, 0
	s_and_saveexec_b64 s[16:17], s[18:19]
	s_cbranch_execz .LBB288_1295
.LBB288_1294:
	v_lshlrev_b32_e32 v2, 24, v1
	v_and_b32_e32 v1, 0xffff, v1
	v_and_b32_e32 v3, 7, v1
	v_ffbh_u32_e32 v7, v3
	v_min_u32_e32 v7, 32, v7
	v_subrev_u32_e32 v11, 28, v7
	v_bfe_u32 v5, v1, 3, 4
	v_lshlrev_b32_e32 v1, v11, v1
	v_sub_u32_e32 v7, 29, v7
	v_and_b32_e32 v1, 7, v1
	v_cmp_eq_u32_e32 vcc, 0, v5
	v_and_b32_e32 v2, 0x80000000, v2
	s_nop 0
	v_cndmask_b32_e32 v5, v5, v7, vcc
	v_cndmask_b32_e32 v1, v3, v1, vcc
	v_mov_b32_e32 v3, 0x3b800000
	v_lshlrev_b32_e32 v1, 20, v1
	v_lshl_add_u32 v3, v5, 23, v3
	v_or3_b32 v1, v2, v3, v1
	v_cvt_i32_f32_e32 v2, v1
.LBB288_1295:
	s_or_b64 exec, exec, s[16:17]
.LBB288_1296:
	s_mov_b64 s[16:17], -1
.LBB288_1297:
	s_mov_b64 s[18:19], 0
.LBB288_1298:
	s_and_b64 vcc, exec, s[18:19]
	s_cbranch_vccz .LBB288_1329
; %bb.1299:
	s_cmp_gt_i32 s20, 22
	s_cbranch_scc0 .LBB288_1307
; %bb.1300:
	s_cmp_lt_i32 s20, 24
	s_cbranch_scc1 .LBB288_1310
; %bb.1301:
	s_cmp_gt_i32 s20, 24
	s_cbranch_scc0 .LBB288_1311
; %bb.1302:
	global_load_ubyte v1, v[8:9], off
	s_movk_i32 s2, 0x7f
	s_mov_b64 s[16:17], 0
	s_waitcnt vmcnt(0)
	v_cmp_lt_i16_e32 vcc, s2, v1
	s_and_saveexec_b64 s[2:3], vcc
	s_xor_b64 s[2:3], exec, s[2:3]
	s_cbranch_execz .LBB288_1323
; %bb.1303:
	s_movk_i32 s16, 0x80
	v_cmp_ne_u16_e32 vcc, s16, v1
	s_and_b64 s[16:17], vcc, exec
	s_andn2_saveexec_b64 s[2:3], s[2:3]
	s_cbranch_execnz .LBB288_1324
.LBB288_1304:
	s_or_b64 exec, exec, s[2:3]
	v_mov_b32_e32 v2, 0
	s_and_saveexec_b64 s[2:3], s[16:17]
	s_cbranch_execz .LBB288_1306
.LBB288_1305:
	v_lshlrev_b32_e32 v2, 24, v1
	v_and_b32_e32 v1, 0xffff, v1
	v_and_b32_e32 v3, 3, v1
	v_ffbh_u32_e32 v7, v3
	v_min_u32_e32 v7, 32, v7
	v_subrev_u32_e32 v11, 29, v7
	v_bfe_u32 v5, v1, 2, 5
	v_lshlrev_b32_e32 v1, v11, v1
	v_sub_u32_e32 v7, 30, v7
	v_and_b32_e32 v1, 3, v1
	v_cmp_eq_u32_e32 vcc, 0, v5
	v_and_b32_e32 v2, 0x80000000, v2
	s_nop 0
	v_cndmask_b32_e32 v5, v5, v7, vcc
	v_cndmask_b32_e32 v1, v3, v1, vcc
	v_mov_b32_e32 v3, 0x37800000
	v_lshlrev_b32_e32 v1, 21, v1
	v_lshl_add_u32 v3, v5, 23, v3
	v_or3_b32 v1, v2, v3, v1
	v_cvt_i32_f32_e32 v2, v1
.LBB288_1306:
	s_or_b64 exec, exec, s[2:3]
	s_mov_b64 s[2:3], 0
	s_branch .LBB288_1312
.LBB288_1307:
	s_mov_b64 s[2:3], -1
                                        ; implicit-def: $vgpr2
	s_branch .LBB288_1318
.LBB288_1308:
	s_andn2_saveexec_b64 s[16:17], s[16:17]
	s_cbranch_execz .LBB288_1293
.LBB288_1309:
	v_cmp_ne_u16_e32 vcc, 0, v1
	s_andn2_b64 s[18:19], s[18:19], exec
	s_and_b64 s[22:23], vcc, exec
	s_or_b64 s[18:19], s[18:19], s[22:23]
	s_or_b64 exec, exec, s[16:17]
	v_mov_b32_e32 v2, 0
	s_and_saveexec_b64 s[16:17], s[18:19]
	s_cbranch_execnz .LBB288_1294
	s_branch .LBB288_1295
.LBB288_1310:
	s_mov_b64 s[2:3], -1
                                        ; implicit-def: $vgpr2
	s_branch .LBB288_1315
.LBB288_1311:
	s_mov_b64 s[2:3], -1
                                        ; implicit-def: $vgpr2
.LBB288_1312:
	s_and_b64 vcc, exec, s[2:3]
	s_cbranch_vccz .LBB288_1314
; %bb.1313:
	global_load_ubyte v1, v[8:9], off
	s_mov_b32 s2, 0x7f800000
	s_waitcnt vmcnt(0)
	v_lshlrev_b32_e32 v1, 24, v1
	v_and_b32_e32 v2, 0x7f000000, v1
	v_ffbh_u32_e32 v3, v2
	v_min_u32_e32 v3, 32, v3
	v_sub_u32_e64 v3, v3, 4 clamp
	v_lshlrev_b32_e32 v7, v3, v2
	v_lshlrev_b32_e32 v3, 23, v3
	v_lshrrev_b32_e32 v7, 4, v7
	v_add_u32_e32 v5, 0x1000000, v2
	v_sub_u32_e32 v3, v7, v3
	v_ashrrev_i32_e32 v5, 8, v5
	v_add_u32_e32 v3, 0x3c000000, v3
	v_and_or_b32 v3, v5, s2, v3
	v_cmp_ne_u32_e32 vcc, 0, v2
	s_brev_b32 s2, 1
	s_nop 0
	v_cndmask_b32_e32 v2, 0, v3, vcc
	v_and_or_b32 v1, v1, s2, v2
	v_cvt_i32_f32_e32 v2, v1
.LBB288_1314:
	s_mov_b64 s[2:3], 0
.LBB288_1315:
	s_andn2_b64 vcc, exec, s[2:3]
	s_cbranch_vccnz .LBB288_1317
; %bb.1316:
	global_load_ubyte v1, v[8:9], off
	s_movk_i32 s2, 0x7f00
	s_brev_b32 s3, 16
	s_waitcnt vmcnt(0)
	v_lshlrev_b16_e32 v2, 8, v1
	v_lshlrev_b32_e32 v1, 25, v1
	v_lshrrev_b32_e32 v3, 4, v1
	v_and_or_b32 v5, v2, s2, 0.5
	v_or_b32_e32 v3, 0x70000000, v3
	v_add_f32_e32 v5, -0.5, v5
	v_mul_f32_e32 v3, 0x7800000, v3
	v_cmp_gt_u32_e32 vcc, s3, v1
	v_bfe_i32 v2, v2, 0, 16
	s_brev_b32 s2, 1
	v_cndmask_b32_e32 v1, v3, v5, vcc
	v_and_or_b32 v1, v2, s2, v1
	v_cvt_i32_f32_e32 v2, v1
.LBB288_1317:
	s_mov_b64 s[2:3], 0
	s_mov_b64 s[16:17], -1
.LBB288_1318:
	s_andn2_b64 vcc, exec, s[2:3]
	s_mov_b64 s[2:3], 0
	s_cbranch_vccnz .LBB288_1329
; %bb.1319:
	s_cmp_gt_i32 s20, 14
	s_cbranch_scc0 .LBB288_1322
; %bb.1320:
	s_cmp_eq_u32 s20, 15
	s_cbranch_scc0 .LBB288_1325
; %bb.1321:
	global_load_ushort v1, v[8:9], off
	s_mov_b64 s[0:1], 0
	s_mov_b64 s[16:17], -1
	s_waitcnt vmcnt(0)
	v_lshlrev_b32_e32 v1, 16, v1
	v_cvt_i32_f32_e32 v2, v1
	s_branch .LBB288_1326
.LBB288_1322:
	s_mov_b64 s[18:19], -1
                                        ; implicit-def: $vgpr2
	s_branch .LBB288_1327
.LBB288_1323:
	s_andn2_saveexec_b64 s[2:3], s[2:3]
	s_cbranch_execz .LBB288_1304
.LBB288_1324:
	v_cmp_ne_u16_e32 vcc, 0, v1
	s_andn2_b64 s[16:17], s[16:17], exec
	s_and_b64 s[18:19], vcc, exec
	s_or_b64 s[16:17], s[16:17], s[18:19]
	s_or_b64 exec, exec, s[2:3]
	v_mov_b32_e32 v2, 0
	s_and_saveexec_b64 s[2:3], s[16:17]
	s_cbranch_execnz .LBB288_1305
	s_branch .LBB288_1306
.LBB288_1325:
	s_mov_b64 s[0:1], -1
                                        ; implicit-def: $vgpr2
.LBB288_1326:
	s_mov_b64 s[18:19], 0
.LBB288_1327:
	s_and_b64 vcc, exec, s[18:19]
	s_cbranch_vccz .LBB288_1329
; %bb.1328:
	s_cmp_lg_u32 s20, 11
	s_mov_b64 s[2:3], -1
	s_cselect_b64 s[0:1], -1, 0
.LBB288_1329:
	s_and_b64 vcc, exec, s[0:1]
	s_cbranch_vccnz .LBB288_1392
; %bb.1330:
	s_andn2_b64 vcc, exec, s[2:3]
	s_cbranch_vccnz .LBB288_1332
.LBB288_1331:
	global_load_ubyte v1, v[8:9], off
	s_mov_b64 s[16:17], -1
	s_waitcnt vmcnt(0)
	v_cmp_ne_u16_e32 vcc, 0, v1
	s_nop 1
	v_cndmask_b32_e64 v2, 0, 1, vcc
.LBB288_1332:
	s_branch .LBB288_1264
.LBB288_1333:
	s_cmp_lt_i32 s20, 5
	s_cbranch_scc1 .LBB288_1338
; %bb.1334:
	s_cmp_lt_i32 s20, 8
	s_cbranch_scc1 .LBB288_1339
; %bb.1335:
	;; [unrolled: 3-line block ×3, first 2 shown]
	s_cmp_gt_i32 s20, 9
	s_cbranch_scc0 .LBB288_1341
; %bb.1337:
	global_load_dwordx2 v[2:3], v[8:9], off
	s_mov_b64 s[0:1], 0
	s_waitcnt vmcnt(0)
	v_cvt_i32_f64_e32 v2, v[2:3]
	s_branch .LBB288_1342
.LBB288_1338:
	s_mov_b64 s[0:1], -1
                                        ; implicit-def: $vgpr2
	s_branch .LBB288_1360
.LBB288_1339:
	s_mov_b64 s[0:1], -1
                                        ; implicit-def: $vgpr2
	s_branch .LBB288_1348
.LBB288_1340:
	s_mov_b64 s[0:1], -1
                                        ; implicit-def: $vgpr2
	s_branch .LBB288_1345
.LBB288_1341:
	s_mov_b64 s[0:1], -1
                                        ; implicit-def: $vgpr2
.LBB288_1342:
	s_andn2_b64 vcc, exec, s[0:1]
	s_cbranch_vccnz .LBB288_1344
; %bb.1343:
	global_load_dword v1, v[8:9], off
	s_waitcnt vmcnt(0)
	v_cvt_i32_f32_e32 v2, v1
.LBB288_1344:
	s_mov_b64 s[0:1], 0
.LBB288_1345:
	s_andn2_b64 vcc, exec, s[0:1]
	s_cbranch_vccnz .LBB288_1347
; %bb.1346:
	global_load_dword v1, v[8:9], off
	s_waitcnt vmcnt(0)
	v_cvt_i16_f16_e32 v2, v1
.LBB288_1347:
	s_mov_b64 s[0:1], 0
.LBB288_1348:
	s_andn2_b64 vcc, exec, s[0:1]
	s_cbranch_vccnz .LBB288_1359
; %bb.1349:
	s_cmp_lt_i32 s20, 6
	s_cbranch_scc1 .LBB288_1352
; %bb.1350:
	s_cmp_gt_i32 s20, 6
	s_cbranch_scc0 .LBB288_1353
; %bb.1351:
	global_load_dwordx2 v[2:3], v[8:9], off
	s_mov_b64 s[0:1], 0
	s_waitcnt vmcnt(0)
	v_cvt_i32_f64_e32 v2, v[2:3]
	s_branch .LBB288_1354
.LBB288_1352:
	s_mov_b64 s[0:1], -1
                                        ; implicit-def: $vgpr2
	s_branch .LBB288_1357
.LBB288_1353:
	s_mov_b64 s[0:1], -1
                                        ; implicit-def: $vgpr2
.LBB288_1354:
	s_andn2_b64 vcc, exec, s[0:1]
	s_cbranch_vccnz .LBB288_1356
; %bb.1355:
	global_load_dword v1, v[8:9], off
	s_waitcnt vmcnt(0)
	v_cvt_i32_f32_e32 v2, v1
.LBB288_1356:
	s_mov_b64 s[0:1], 0
.LBB288_1357:
	s_andn2_b64 vcc, exec, s[0:1]
	s_cbranch_vccnz .LBB288_1359
; %bb.1358:
	global_load_ushort v1, v[8:9], off
	s_waitcnt vmcnt(0)
	v_cvt_i16_f16_e32 v2, v1
.LBB288_1359:
	s_mov_b64 s[0:1], 0
.LBB288_1360:
	s_andn2_b64 vcc, exec, s[0:1]
	s_cbranch_vccnz .LBB288_1380
; %bb.1361:
	s_cmp_lt_i32 s20, 2
	s_cbranch_scc1 .LBB288_1365
; %bb.1362:
	s_cmp_lt_i32 s20, 3
	s_cbranch_scc1 .LBB288_1366
; %bb.1363:
	s_cmp_gt_i32 s20, 3
	s_cbranch_scc0 .LBB288_1367
; %bb.1364:
	global_load_dwordx2 v[2:3], v[8:9], off
	s_mov_b64 s[0:1], 0
	s_branch .LBB288_1368
.LBB288_1365:
	s_mov_b64 s[0:1], -1
                                        ; implicit-def: $vgpr2
	s_branch .LBB288_1374
.LBB288_1366:
	s_mov_b64 s[0:1], -1
                                        ; implicit-def: $vgpr2
	s_branch .LBB288_1371
.LBB288_1367:
	s_mov_b64 s[0:1], -1
                                        ; implicit-def: $vgpr2
.LBB288_1368:
	s_andn2_b64 vcc, exec, s[0:1]
	s_cbranch_vccnz .LBB288_1370
; %bb.1369:
	global_load_dword v2, v[8:9], off
.LBB288_1370:
	s_mov_b64 s[0:1], 0
.LBB288_1371:
	s_andn2_b64 vcc, exec, s[0:1]
	s_cbranch_vccnz .LBB288_1373
; %bb.1372:
	global_load_ushort v2, v[8:9], off
.LBB288_1373:
	s_mov_b64 s[0:1], 0
.LBB288_1374:
	s_andn2_b64 vcc, exec, s[0:1]
	s_cbranch_vccnz .LBB288_1380
; %bb.1375:
	s_cmp_gt_i32 s20, 0
	s_cbranch_scc0 .LBB288_1377
; %bb.1376:
	global_load_ubyte v2, v[8:9], off
	s_mov_b64 s[0:1], 0
	s_branch .LBB288_1378
.LBB288_1377:
	s_mov_b64 s[0:1], -1
                                        ; implicit-def: $vgpr2
.LBB288_1378:
	s_andn2_b64 vcc, exec, s[0:1]
	s_cbranch_vccnz .LBB288_1380
; %bb.1379:
	global_load_ubyte v2, v[8:9], off
.LBB288_1380:
.LBB288_1381:
	v_add_u32_e32 v0, s9, v0
	v_ashrrev_i32_e32 v1, 31, v0
	s_cmp_lt_i32 s20, 11
	v_lshl_add_u64 v[8:9], s[6:7], 0, v[0:1]
	s_cbranch_scc1 .LBB288_1388
; %bb.1382:
	s_cmp_gt_i32 s20, 25
	s_mov_b64 s[2:3], 0
	s_cbranch_scc0 .LBB288_1389
; %bb.1383:
	s_cmp_gt_i32 s20, 28
	s_cbranch_scc0 .LBB288_1390
; %bb.1384:
	s_cmp_gt_i32 s20, 43
	;; [unrolled: 3-line block ×3, first 2 shown]
	s_cbranch_scc0 .LBB288_1393
; %bb.1386:
	s_cmp_eq_u32 s20, 46
	s_mov_b64 s[16:17], 0
	s_cbranch_scc0 .LBB288_1394
; %bb.1387:
	global_load_dword v0, v[8:9], off
	s_mov_b64 s[0:1], 0
	s_mov_b64 s[6:7], -1
	s_waitcnt vmcnt(0)
	v_lshlrev_b32_e32 v0, 16, v0
	v_cvt_i32_f32_e32 v0, v0
	s_branch .LBB288_1395
.LBB288_1388:
	s_mov_b64 s[0:1], -1
	s_mov_b64 s[6:7], 0
                                        ; implicit-def: $vgpr0
	s_branch .LBB288_1457
.LBB288_1389:
	s_mov_b64 s[16:17], -1
	s_mov_b64 s[6:7], 0
	s_mov_b64 s[0:1], 0
                                        ; implicit-def: $vgpr0
	s_branch .LBB288_1422
.LBB288_1390:
	s_mov_b64 s[16:17], -1
	s_mov_b64 s[6:7], 0
	s_mov_b64 s[0:1], 0
                                        ; implicit-def: $vgpr0
	s_branch .LBB288_1405
.LBB288_1391:
	s_mov_b64 s[16:17], -1
	s_mov_b64 s[6:7], 0
	s_mov_b64 s[0:1], 0
                                        ; implicit-def: $vgpr0
	s_branch .LBB288_1400
.LBB288_1392:
	s_trap 2
	s_or_b64 s[14:15], s[14:15], exec
	s_cbranch_execz .LBB288_1331
	s_branch .LBB288_1332
.LBB288_1393:
	s_mov_b64 s[16:17], -1
	s_mov_b64 s[6:7], 0
	s_mov_b64 s[0:1], 0
                                        ; implicit-def: $vgpr0
	s_branch .LBB288_1395
.LBB288_1394:
	s_mov_b64 s[0:1], -1
                                        ; implicit-def: $vgpr0
	s_mov_b64 s[6:7], 0
.LBB288_1395:
	s_and_b64 vcc, exec, s[16:17]
	s_cbranch_vccz .LBB288_1399
; %bb.1396:
	s_cmp_eq_u32 s20, 44
	s_cbranch_scc0 .LBB288_1398
; %bb.1397:
	global_load_ubyte v0, v[8:9], off
	s_mov_b64 s[0:1], 0
	s_mov_b64 s[6:7], -1
	s_waitcnt vmcnt(0)
	v_lshlrev_b32_e32 v1, 23, v0
	v_cvt_i32_f32_e32 v1, v1
	v_cmp_ne_u32_e32 vcc, 0, v0
	s_nop 1
	v_cndmask_b32_e32 v0, 0, v1, vcc
	s_branch .LBB288_1399
.LBB288_1398:
	s_mov_b64 s[0:1], -1
                                        ; implicit-def: $vgpr0
.LBB288_1399:
	s_mov_b64 s[16:17], 0
.LBB288_1400:
	s_and_b64 vcc, exec, s[16:17]
	s_cbranch_vccz .LBB288_1404
; %bb.1401:
	s_cmp_eq_u32 s20, 29
	s_cbranch_scc0 .LBB288_1403
; %bb.1402:
	global_load_dwordx2 v[0:1], v[8:9], off
	s_mov_b64 s[0:1], 0
	s_mov_b64 s[6:7], -1
	s_branch .LBB288_1404
.LBB288_1403:
	s_mov_b64 s[0:1], -1
                                        ; implicit-def: $vgpr0
.LBB288_1404:
	s_mov_b64 s[16:17], 0
.LBB288_1405:
	s_and_b64 vcc, exec, s[16:17]
	s_cbranch_vccz .LBB288_1421
; %bb.1406:
	s_cmp_lt_i32 s20, 27
	s_cbranch_scc1 .LBB288_1409
; %bb.1407:
	s_cmp_gt_i32 s20, 27
	s_cbranch_scc0 .LBB288_1410
; %bb.1408:
	global_load_dword v0, v[8:9], off
	s_mov_b64 s[6:7], 0
	s_branch .LBB288_1411
.LBB288_1409:
	s_mov_b64 s[6:7], -1
                                        ; implicit-def: $vgpr0
	s_branch .LBB288_1414
.LBB288_1410:
	s_mov_b64 s[6:7], -1
                                        ; implicit-def: $vgpr0
.LBB288_1411:
	s_andn2_b64 vcc, exec, s[6:7]
	s_cbranch_vccnz .LBB288_1413
; %bb.1412:
	global_load_ushort v0, v[8:9], off
.LBB288_1413:
	s_mov_b64 s[6:7], 0
.LBB288_1414:
	s_andn2_b64 vcc, exec, s[6:7]
	s_cbranch_vccnz .LBB288_1420
; %bb.1415:
	global_load_ubyte v1, v[8:9], off
	s_movk_i32 s6, 0x7f
	s_mov_b64 s[16:17], 0
	s_waitcnt vmcnt(0)
	v_cmp_lt_i16_e32 vcc, s6, v1
	s_and_saveexec_b64 s[6:7], vcc
	s_xor_b64 s[6:7], exec, s[6:7]
	s_cbranch_execz .LBB288_1432
; %bb.1416:
	s_movk_i32 s9, 0x80
	v_cmp_ne_u16_e32 vcc, s9, v1
	s_and_b64 s[16:17], vcc, exec
	s_andn2_saveexec_b64 s[6:7], s[6:7]
	s_cbranch_execnz .LBB288_1433
.LBB288_1417:
	s_or_b64 exec, exec, s[6:7]
	v_mov_b32_e32 v0, 0
	s_and_saveexec_b64 s[6:7], s[16:17]
	s_cbranch_execz .LBB288_1419
.LBB288_1418:
	v_lshlrev_b32_e32 v0, 24, v1
	v_and_b32_e32 v1, 0xffff, v1
	v_and_b32_e32 v3, 7, v1
	v_ffbh_u32_e32 v7, v3
	v_min_u32_e32 v7, 32, v7
	v_subrev_u32_e32 v11, 28, v7
	v_bfe_u32 v5, v1, 3, 4
	v_lshlrev_b32_e32 v1, v11, v1
	v_sub_u32_e32 v7, 29, v7
	v_and_b32_e32 v1, 7, v1
	v_cmp_eq_u32_e32 vcc, 0, v5
	v_and_b32_e32 v0, 0x80000000, v0
	s_nop 0
	v_cndmask_b32_e32 v5, v5, v7, vcc
	v_cndmask_b32_e32 v1, v3, v1, vcc
	v_mov_b32_e32 v3, 0x3b800000
	v_lshlrev_b32_e32 v1, 20, v1
	v_lshl_add_u32 v3, v5, 23, v3
	v_or3_b32 v0, v0, v3, v1
	v_cvt_i32_f32_e32 v0, v0
.LBB288_1419:
	s_or_b64 exec, exec, s[6:7]
.LBB288_1420:
	s_mov_b64 s[6:7], -1
.LBB288_1421:
	s_mov_b64 s[16:17], 0
.LBB288_1422:
	s_and_b64 vcc, exec, s[16:17]
	s_cbranch_vccz .LBB288_1453
; %bb.1423:
	s_cmp_gt_i32 s20, 22
	s_cbranch_scc0 .LBB288_1431
; %bb.1424:
	s_cmp_lt_i32 s20, 24
	s_cbranch_scc1 .LBB288_1434
; %bb.1425:
	s_cmp_gt_i32 s20, 24
	s_cbranch_scc0 .LBB288_1435
; %bb.1426:
	global_load_ubyte v1, v[8:9], off
	s_movk_i32 s2, 0x7f
	s_mov_b64 s[6:7], 0
	s_waitcnt vmcnt(0)
	v_cmp_lt_i16_e32 vcc, s2, v1
	s_and_saveexec_b64 s[2:3], vcc
	s_xor_b64 s[2:3], exec, s[2:3]
	s_cbranch_execz .LBB288_1447
; %bb.1427:
	s_movk_i32 s6, 0x80
	v_cmp_ne_u16_e32 vcc, s6, v1
	s_and_b64 s[6:7], vcc, exec
	s_andn2_saveexec_b64 s[2:3], s[2:3]
	s_cbranch_execnz .LBB288_1448
.LBB288_1428:
	s_or_b64 exec, exec, s[2:3]
	v_mov_b32_e32 v0, 0
	s_and_saveexec_b64 s[2:3], s[6:7]
	s_cbranch_execz .LBB288_1430
.LBB288_1429:
	v_lshlrev_b32_e32 v0, 24, v1
	v_and_b32_e32 v1, 0xffff, v1
	v_and_b32_e32 v3, 3, v1
	v_ffbh_u32_e32 v7, v3
	v_min_u32_e32 v7, 32, v7
	v_subrev_u32_e32 v11, 29, v7
	v_bfe_u32 v5, v1, 2, 5
	v_lshlrev_b32_e32 v1, v11, v1
	v_sub_u32_e32 v7, 30, v7
	v_and_b32_e32 v1, 3, v1
	v_cmp_eq_u32_e32 vcc, 0, v5
	v_and_b32_e32 v0, 0x80000000, v0
	s_nop 0
	v_cndmask_b32_e32 v5, v5, v7, vcc
	v_cndmask_b32_e32 v1, v3, v1, vcc
	v_mov_b32_e32 v3, 0x37800000
	v_lshlrev_b32_e32 v1, 21, v1
	v_lshl_add_u32 v3, v5, 23, v3
	v_or3_b32 v0, v0, v3, v1
	v_cvt_i32_f32_e32 v0, v0
.LBB288_1430:
	s_or_b64 exec, exec, s[2:3]
	s_mov_b64 s[2:3], 0
	s_branch .LBB288_1436
.LBB288_1431:
	s_mov_b64 s[2:3], -1
                                        ; implicit-def: $vgpr0
	s_branch .LBB288_1442
.LBB288_1432:
	s_andn2_saveexec_b64 s[6:7], s[6:7]
	s_cbranch_execz .LBB288_1417
.LBB288_1433:
	v_cmp_ne_u16_e32 vcc, 0, v1
	s_andn2_b64 s[16:17], s[16:17], exec
	s_and_b64 s[18:19], vcc, exec
	s_or_b64 s[16:17], s[16:17], s[18:19]
	s_or_b64 exec, exec, s[6:7]
	v_mov_b32_e32 v0, 0
	s_and_saveexec_b64 s[6:7], s[16:17]
	s_cbranch_execnz .LBB288_1418
	s_branch .LBB288_1419
.LBB288_1434:
	s_mov_b64 s[2:3], -1
                                        ; implicit-def: $vgpr0
	s_branch .LBB288_1439
.LBB288_1435:
	s_mov_b64 s[2:3], -1
                                        ; implicit-def: $vgpr0
.LBB288_1436:
	s_and_b64 vcc, exec, s[2:3]
	s_cbranch_vccz .LBB288_1438
; %bb.1437:
	global_load_ubyte v0, v[8:9], off
	s_mov_b32 s2, 0x7f800000
	s_waitcnt vmcnt(0)
	v_lshlrev_b32_e32 v0, 24, v0
	v_and_b32_e32 v1, 0x7f000000, v0
	v_ffbh_u32_e32 v3, v1
	v_min_u32_e32 v3, 32, v3
	v_sub_u32_e64 v3, v3, 4 clamp
	v_lshlrev_b32_e32 v7, v3, v1
	v_lshlrev_b32_e32 v3, 23, v3
	v_lshrrev_b32_e32 v7, 4, v7
	v_add_u32_e32 v5, 0x1000000, v1
	v_sub_u32_e32 v3, v7, v3
	v_ashrrev_i32_e32 v5, 8, v5
	v_add_u32_e32 v3, 0x3c000000, v3
	v_and_or_b32 v3, v5, s2, v3
	v_cmp_ne_u32_e32 vcc, 0, v1
	s_brev_b32 s2, 1
	s_nop 0
	v_cndmask_b32_e32 v1, 0, v3, vcc
	v_and_or_b32 v0, v0, s2, v1
	v_cvt_i32_f32_e32 v0, v0
.LBB288_1438:
	s_mov_b64 s[2:3], 0
.LBB288_1439:
	s_andn2_b64 vcc, exec, s[2:3]
	s_cbranch_vccnz .LBB288_1441
; %bb.1440:
	global_load_ubyte v0, v[8:9], off
	s_movk_i32 s2, 0x7f00
	s_brev_b32 s3, 16
	s_waitcnt vmcnt(0)
	v_lshlrev_b16_e32 v1, 8, v0
	v_lshlrev_b32_e32 v0, 25, v0
	v_lshrrev_b32_e32 v3, 4, v0
	v_and_or_b32 v5, v1, s2, 0.5
	v_or_b32_e32 v3, 0x70000000, v3
	v_add_f32_e32 v5, -0.5, v5
	v_mul_f32_e32 v3, 0x7800000, v3
	v_cmp_gt_u32_e32 vcc, s3, v0
	v_bfe_i32 v1, v1, 0, 16
	s_brev_b32 s2, 1
	v_cndmask_b32_e32 v0, v3, v5, vcc
	v_and_or_b32 v0, v1, s2, v0
	v_cvt_i32_f32_e32 v0, v0
.LBB288_1441:
	s_mov_b64 s[2:3], 0
	s_mov_b64 s[6:7], -1
.LBB288_1442:
	s_andn2_b64 vcc, exec, s[2:3]
	s_mov_b64 s[2:3], 0
	s_cbranch_vccnz .LBB288_1453
; %bb.1443:
	s_cmp_gt_i32 s20, 14
	s_cbranch_scc0 .LBB288_1446
; %bb.1444:
	s_cmp_eq_u32 s20, 15
	s_cbranch_scc0 .LBB288_1449
; %bb.1445:
	global_load_ushort v0, v[8:9], off
	s_mov_b64 s[0:1], 0
	s_mov_b64 s[6:7], -1
	s_waitcnt vmcnt(0)
	v_lshlrev_b32_e32 v0, 16, v0
	v_cvt_i32_f32_e32 v0, v0
	s_branch .LBB288_1450
.LBB288_1446:
	s_mov_b64 s[16:17], -1
                                        ; implicit-def: $vgpr0
	s_branch .LBB288_1451
.LBB288_1447:
	s_andn2_saveexec_b64 s[2:3], s[2:3]
	s_cbranch_execz .LBB288_1428
.LBB288_1448:
	v_cmp_ne_u16_e32 vcc, 0, v1
	s_andn2_b64 s[6:7], s[6:7], exec
	s_and_b64 s[16:17], vcc, exec
	s_or_b64 s[6:7], s[6:7], s[16:17]
	s_or_b64 exec, exec, s[2:3]
	v_mov_b32_e32 v0, 0
	s_and_saveexec_b64 s[2:3], s[6:7]
	s_cbranch_execnz .LBB288_1429
	s_branch .LBB288_1430
.LBB288_1449:
	s_mov_b64 s[0:1], -1
                                        ; implicit-def: $vgpr0
.LBB288_1450:
	s_mov_b64 s[16:17], 0
.LBB288_1451:
	s_and_b64 vcc, exec, s[16:17]
	s_cbranch_vccz .LBB288_1453
; %bb.1452:
	s_cmp_lg_u32 s20, 11
	s_mov_b64 s[2:3], -1
	s_cselect_b64 s[0:1], -1, 0
.LBB288_1453:
	s_and_b64 vcc, exec, s[0:1]
	s_cbranch_vccnz .LBB288_1986
; %bb.1454:
	s_andn2_b64 vcc, exec, s[2:3]
	s_cbranch_vccnz .LBB288_1456
.LBB288_1455:
	global_load_ubyte v0, v[8:9], off
	s_mov_b64 s[6:7], -1
	s_waitcnt vmcnt(0)
	v_cmp_ne_u16_e32 vcc, 0, v0
	s_nop 1
	v_cndmask_b32_e64 v0, 0, 1, vcc
.LBB288_1456:
	s_mov_b64 s[0:1], 0
.LBB288_1457:
	s_and_b64 vcc, exec, s[0:1]
	s_cbranch_vccz .LBB288_1506
; %bb.1458:
	s_cmp_lt_i32 s20, 5
	s_cbranch_scc1 .LBB288_1463
; %bb.1459:
	s_cmp_lt_i32 s20, 8
	s_cbranch_scc1 .LBB288_1464
	;; [unrolled: 3-line block ×3, first 2 shown]
; %bb.1461:
	s_cmp_gt_i32 s20, 9
	s_cbranch_scc0 .LBB288_1466
; %bb.1462:
	global_load_dwordx2 v[0:1], v[8:9], off
	s_mov_b64 s[0:1], 0
	s_waitcnt vmcnt(0)
	v_cvt_i32_f64_e32 v0, v[0:1]
	s_branch .LBB288_1467
.LBB288_1463:
	s_mov_b64 s[0:1], -1
                                        ; implicit-def: $vgpr0
	s_branch .LBB288_1485
.LBB288_1464:
	s_mov_b64 s[0:1], -1
                                        ; implicit-def: $vgpr0
	s_branch .LBB288_1473
.LBB288_1465:
	s_mov_b64 s[0:1], -1
                                        ; implicit-def: $vgpr0
	s_branch .LBB288_1470
.LBB288_1466:
	s_mov_b64 s[0:1], -1
                                        ; implicit-def: $vgpr0
.LBB288_1467:
	s_andn2_b64 vcc, exec, s[0:1]
	s_cbranch_vccnz .LBB288_1469
; %bb.1468:
	global_load_dword v0, v[8:9], off
	s_waitcnt vmcnt(0)
	v_cvt_i32_f32_e32 v0, v0
.LBB288_1469:
	s_mov_b64 s[0:1], 0
.LBB288_1470:
	s_andn2_b64 vcc, exec, s[0:1]
	s_cbranch_vccnz .LBB288_1472
; %bb.1471:
	global_load_dword v0, v[8:9], off
	s_waitcnt vmcnt(0)
	v_cvt_i16_f16_e32 v0, v0
.LBB288_1472:
	s_mov_b64 s[0:1], 0
.LBB288_1473:
	s_andn2_b64 vcc, exec, s[0:1]
	s_cbranch_vccnz .LBB288_1484
; %bb.1474:
	s_cmp_lt_i32 s20, 6
	s_cbranch_scc1 .LBB288_1477
; %bb.1475:
	s_cmp_gt_i32 s20, 6
	s_cbranch_scc0 .LBB288_1478
; %bb.1476:
	global_load_dwordx2 v[0:1], v[8:9], off
	s_mov_b64 s[0:1], 0
	s_waitcnt vmcnt(0)
	v_cvt_i32_f64_e32 v0, v[0:1]
	s_branch .LBB288_1479
.LBB288_1477:
	s_mov_b64 s[0:1], -1
                                        ; implicit-def: $vgpr0
	s_branch .LBB288_1482
.LBB288_1478:
	s_mov_b64 s[0:1], -1
                                        ; implicit-def: $vgpr0
.LBB288_1479:
	s_andn2_b64 vcc, exec, s[0:1]
	s_cbranch_vccnz .LBB288_1481
; %bb.1480:
	global_load_dword v0, v[8:9], off
	s_waitcnt vmcnt(0)
	v_cvt_i32_f32_e32 v0, v0
.LBB288_1481:
	s_mov_b64 s[0:1], 0
.LBB288_1482:
	s_andn2_b64 vcc, exec, s[0:1]
	s_cbranch_vccnz .LBB288_1484
; %bb.1483:
	global_load_ushort v0, v[8:9], off
	s_waitcnt vmcnt(0)
	v_cvt_i16_f16_e32 v0, v0
.LBB288_1484:
	s_mov_b64 s[0:1], 0
.LBB288_1485:
	s_andn2_b64 vcc, exec, s[0:1]
	s_cbranch_vccnz .LBB288_1505
; %bb.1486:
	s_cmp_lt_i32 s20, 2
	s_cbranch_scc1 .LBB288_1490
; %bb.1487:
	s_cmp_lt_i32 s20, 3
	s_cbranch_scc1 .LBB288_1491
; %bb.1488:
	s_cmp_gt_i32 s20, 3
	s_cbranch_scc0 .LBB288_1492
; %bb.1489:
	global_load_dwordx2 v[0:1], v[8:9], off
	s_mov_b64 s[0:1], 0
	s_branch .LBB288_1493
.LBB288_1490:
	s_mov_b64 s[0:1], -1
                                        ; implicit-def: $vgpr0
	s_branch .LBB288_1499
.LBB288_1491:
	s_mov_b64 s[0:1], -1
                                        ; implicit-def: $vgpr0
	s_branch .LBB288_1496
.LBB288_1492:
	s_mov_b64 s[0:1], -1
                                        ; implicit-def: $vgpr0
.LBB288_1493:
	s_andn2_b64 vcc, exec, s[0:1]
	s_cbranch_vccnz .LBB288_1495
; %bb.1494:
	global_load_dword v0, v[8:9], off
.LBB288_1495:
	s_mov_b64 s[0:1], 0
.LBB288_1496:
	s_andn2_b64 vcc, exec, s[0:1]
	s_cbranch_vccnz .LBB288_1498
; %bb.1497:
	global_load_ushort v0, v[8:9], off
.LBB288_1498:
	s_mov_b64 s[0:1], 0
.LBB288_1499:
	s_andn2_b64 vcc, exec, s[0:1]
	s_cbranch_vccnz .LBB288_1505
; %bb.1500:
	s_cmp_gt_i32 s20, 0
	s_cbranch_scc0 .LBB288_1502
; %bb.1501:
	global_load_ubyte v0, v[8:9], off
	s_mov_b64 s[0:1], 0
	s_branch .LBB288_1503
.LBB288_1502:
	s_mov_b64 s[0:1], -1
                                        ; implicit-def: $vgpr0
.LBB288_1503:
	s_andn2_b64 vcc, exec, s[0:1]
	s_cbranch_vccnz .LBB288_1505
; %bb.1504:
	global_load_ubyte v0, v[8:9], off
.LBB288_1505:
	s_mov_b64 s[6:7], -1
.LBB288_1506:
	s_andn2_b64 vcc, exec, s[6:7]
	s_cbranch_vccnz .LBB288_1940
; %bb.1507:
	s_bfe_i32 s21, s33, 0x80000
	s_waitcnt vmcnt(0)
	v_max_i16_sdwa v1, sext(v6), s21 dst_sel:DWORD dst_unused:UNUSED_PAD src0_sel:BYTE_0 src1_sel:DWORD
	v_mul_lo_u32 v6, s8, v10
	s_bfe_i32 s22, s43, 0x80000
	v_ashrrev_i32_e32 v7, 31, v6
	s_and_b32 s20, s42, 0xff
	v_min_i16_e32 v1, s22, v1
	s_cmp_lt_i32 s20, 11
	v_lshl_add_u64 v[8:9], s[4:5], 0, v[6:7]
	s_cbranch_scc1 .LBB288_1585
; %bb.1508:
	s_and_b32 s9, 0xffff, s20
	s_mov_b64 s[16:17], -1
	s_mov_b64 s[2:3], 0
	s_cmp_gt_i32 s9, 25
	s_mov_b64 s[6:7], 0
	s_mov_b64 s[0:1], 0
	s_cbranch_scc0 .LBB288_1541
; %bb.1509:
	s_cmp_gt_i32 s9, 28
	s_cbranch_scc0 .LBB288_1524
; %bb.1510:
	s_cmp_gt_i32 s9, 43
	;; [unrolled: 3-line block ×3, first 2 shown]
	s_cbranch_scc0 .LBB288_1514
; %bb.1512:
	s_mov_b64 s[0:1], -1
	s_mov_b64 s[16:17], 0
	s_cmp_eq_u32 s9, 46
	s_cbranch_scc0 .LBB288_1514
; %bb.1513:
	v_cvt_f32_i32_sdwa v3, sext(v1) dst_sel:DWORD dst_unused:UNUSED_PAD src0_sel:WORD_0
	s_movk_i32 s6, 0x7fff
	s_mov_b64 s[0:1], 0
	v_bfe_u32 v5, v3, 16, 1
	v_add3_u32 v3, v3, v5, s6
	v_lshrrev_b32_e32 v3, 16, v3
	global_store_dword v[8:9], v3, off
	s_mov_b64 s[6:7], -1
.LBB288_1514:
	s_and_b64 vcc, exec, s[16:17]
	s_cbranch_vccz .LBB288_1519
; %bb.1515:
	s_cmp_eq_u32 s9, 44
	s_mov_b64 s[0:1], -1
	s_cbranch_scc0 .LBB288_1519
; %bb.1516:
	v_cvt_f32_i32_sdwa v3, sext(v1) dst_sel:DWORD dst_unused:UNUSED_PAD src0_sel:WORD_0
	s_movk_i32 s0, 0xff
	v_mov_b32_e32 v7, 0xff
	v_bfe_u32 v5, v3, 23, 8
	v_cmp_ne_u32_e32 vcc, s0, v5
	s_and_saveexec_b64 s[6:7], vcc
; %bb.1517:
	s_mov_b32 s0, 0x3fffff
	v_lshrrev_b32_e32 v7, 23, v3
	v_and_b32_e32 v10, 0x400000, v3
	v_and_or_b32 v3, v3, s0, v5
	v_cmp_ne_u32_e32 vcc, 0, v10
	v_cmp_ne_u32_e64 s[0:1], 0, v3
	s_and_b64 s[0:1], vcc, s[0:1]
	s_nop 0
	v_cndmask_b32_e64 v3, 0, 1, s[0:1]
	v_add_u32_e32 v7, v7, v3
; %bb.1518:
	s_or_b64 exec, exec, s[6:7]
	s_mov_b64 s[0:1], 0
	s_mov_b64 s[6:7], -1
	global_store_byte v[8:9], v7, off
.LBB288_1519:
	s_mov_b64 s[16:17], 0
.LBB288_1520:
	s_and_b64 vcc, exec, s[16:17]
	s_cbranch_vccz .LBB288_1523
; %bb.1521:
	s_cmp_eq_u32 s9, 29
	s_mov_b64 s[0:1], -1
	s_cbranch_scc0 .LBB288_1523
; %bb.1522:
	v_bfe_i32 v10, v1, 0, 16
	v_ashrrev_i32_e32 v11, 31, v10
	global_store_dwordx2 v[8:9], v[10:11], off
	s_mov_b64 s[0:1], 0
	s_mov_b64 s[6:7], -1
.LBB288_1523:
	s_mov_b64 s[16:17], 0
.LBB288_1524:
	s_and_b64 vcc, exec, s[16:17]
	s_cbranch_vccz .LBB288_1540
; %bb.1525:
	s_cmp_lt_i32 s9, 27
	s_mov_b64 s[6:7], -1
	s_cbranch_scc1 .LBB288_1531
; %bb.1526:
	s_cmp_gt_i32 s9, 27
	s_cbranch_scc0 .LBB288_1528
; %bb.1527:
	v_bfe_i32 v3, v1, 0, 16
	s_mov_b64 s[6:7], 0
	global_store_dword v[8:9], v3, off
.LBB288_1528:
	s_andn2_b64 vcc, exec, s[6:7]
	s_cbranch_vccnz .LBB288_1530
; %bb.1529:
	global_store_short v[8:9], v1, off
.LBB288_1530:
	s_mov_b64 s[6:7], 0
.LBB288_1531:
	s_andn2_b64 vcc, exec, s[6:7]
	s_cbranch_vccnz .LBB288_1539
; %bb.1532:
	v_cvt_f32_i32_sdwa v3, sext(v1) dst_sel:DWORD dst_unused:UNUSED_PAD src0_sel:WORD_0
	s_mov_b32 s6, 0x43800000
	v_mov_b32_e32 v7, 0x80
	v_and_b32_e32 v5, 0x7fffffff, v3
	v_cmp_gt_u32_e32 vcc, s6, v5
	s_and_saveexec_b64 s[6:7], vcc
	s_cbranch_execz .LBB288_1538
; %bb.1533:
	s_mov_b32 s16, 0x3bffffff
	v_cmp_lt_u32_e32 vcc, s16, v5
	s_mov_b64 s[16:17], 0
                                        ; implicit-def: $vgpr5
	s_and_saveexec_b64 s[18:19], vcc
	s_xor_b64 s[18:19], exec, s[18:19]
	s_cbranch_execz .LBB288_1987
; %bb.1534:
	v_bfe_u32 v5, v3, 20, 1
	s_mov_b32 s23, 0x487ffff
	v_add3_u32 v5, v3, v5, s23
	s_mov_b64 s[16:17], exec
	v_lshrrev_b32_e32 v5, 20, v5
	s_andn2_saveexec_b64 s[18:19], s[18:19]
	s_cbranch_execnz .LBB288_1988
.LBB288_1535:
	s_or_b64 exec, exec, s[18:19]
	v_mov_b32_e32 v7, 0
	s_and_saveexec_b64 s[18:19], s[16:17]
.LBB288_1536:
	v_lshrrev_b32_e32 v3, 24, v3
	s_movk_i32 s16, 0x80
	v_and_or_b32 v7, v3, s16, v5
.LBB288_1537:
	s_or_b64 exec, exec, s[18:19]
.LBB288_1538:
	s_or_b64 exec, exec, s[6:7]
	global_store_byte v[8:9], v7, off
.LBB288_1539:
	s_mov_b64 s[6:7], -1
.LBB288_1540:
	s_mov_b64 s[16:17], 0
.LBB288_1541:
	s_and_b64 vcc, exec, s[16:17]
	s_cbranch_vccz .LBB288_1581
; %bb.1542:
	s_cmp_gt_i32 s9, 22
	s_mov_b64 s[2:3], -1
	s_cbranch_scc0 .LBB288_1574
; %bb.1543:
	s_cmp_lt_i32 s9, 24
	s_cbranch_scc1 .LBB288_1563
; %bb.1544:
	s_cmp_gt_i32 s9, 24
	s_cbranch_scc0 .LBB288_1552
; %bb.1545:
	v_cvt_f32_i32_sdwa v3, sext(v1) dst_sel:DWORD dst_unused:UNUSED_PAD src0_sel:WORD_0
	s_mov_b32 s2, 0x47800000
	v_mov_b32_e32 v7, 0x80
	v_and_b32_e32 v5, 0x7fffffff, v3
	v_cmp_gt_u32_e32 vcc, s2, v5
	s_and_saveexec_b64 s[2:3], vcc
	s_cbranch_execz .LBB288_1551
; %bb.1546:
	s_mov_b32 s6, 0x37ffffff
	v_cmp_lt_u32_e32 vcc, s6, v5
	s_mov_b64 s[6:7], 0
                                        ; implicit-def: $vgpr5
	s_and_saveexec_b64 s[16:17], vcc
	s_xor_b64 s[16:17], exec, s[16:17]
	s_cbranch_execz .LBB288_1990
; %bb.1547:
	v_bfe_u32 v5, v3, 21, 1
	s_mov_b32 s18, 0x88fffff
	v_add3_u32 v5, v3, v5, s18
	s_mov_b64 s[6:7], exec
	v_lshrrev_b32_e32 v5, 21, v5
	s_andn2_saveexec_b64 s[16:17], s[16:17]
	s_cbranch_execnz .LBB288_1991
.LBB288_1548:
	s_or_b64 exec, exec, s[16:17]
	v_mov_b32_e32 v7, 0
	s_and_saveexec_b64 s[16:17], s[6:7]
.LBB288_1549:
	v_lshrrev_b32_e32 v3, 24, v3
	s_movk_i32 s6, 0x80
	v_and_or_b32 v7, v3, s6, v5
.LBB288_1550:
	s_or_b64 exec, exec, s[16:17]
.LBB288_1551:
	s_or_b64 exec, exec, s[2:3]
	s_mov_b64 s[2:3], 0
	global_store_byte v[8:9], v7, off
.LBB288_1552:
	s_and_b64 vcc, exec, s[2:3]
	s_cbranch_vccz .LBB288_1562
; %bb.1553:
	v_cvt_f32_i32_sdwa v3, sext(v1) dst_sel:DWORD dst_unused:UNUSED_PAD src0_sel:WORD_0
	s_mov_b32 s2, 0x43f00000
                                        ; implicit-def: $vgpr5
	v_and_b32_e32 v7, 0x7fffffff, v3
	v_cmp_gt_u32_e32 vcc, s2, v7
	s_and_saveexec_b64 s[2:3], vcc
	s_xor_b64 s[2:3], exec, s[2:3]
	s_cbranch_execz .LBB288_1559
; %bb.1554:
	s_mov_b32 s6, 0x3c7fffff
	v_cmp_lt_u32_e32 vcc, s6, v7
                                        ; implicit-def: $vgpr5
	s_and_saveexec_b64 s[6:7], vcc
	s_xor_b64 s[6:7], exec, s[6:7]
; %bb.1555:
	v_bfe_u32 v5, v3, 20, 1
	s_mov_b32 s16, 0x407ffff
	v_add3_u32 v5, v3, v5, s16
	v_lshrrev_b32_e32 v7, 20, v5
	v_and_b32_e32 v5, 0xff00000, v5
	s_mov_b32 s16, 0x7f00000
	v_mov_b32_e32 v10, 0x7e
	v_cmp_ne_u32_e32 vcc, s16, v5
	s_nop 1
	v_cndmask_b32_e32 v5, v10, v7, vcc
; %bb.1556:
	s_andn2_saveexec_b64 s[6:7], s[6:7]
; %bb.1557:
	s_mov_b32 s16, 0x46800000
	v_add_f32_e64 v5, |v3|, s16
; %bb.1558:
	s_or_b64 exec, exec, s[6:7]
                                        ; implicit-def: $vgpr7
.LBB288_1559:
	s_andn2_saveexec_b64 s[2:3], s[2:3]
; %bb.1560:
	s_mov_b32 s6, 0x7f800000
	v_mov_b32_e32 v5, 0x7e
	v_mov_b32_e32 v10, 0x7f
	v_cmp_lt_u32_e32 vcc, s6, v7
	s_nop 1
	v_cndmask_b32_e32 v5, v5, v10, vcc
; %bb.1561:
	s_or_b64 exec, exec, s[2:3]
	v_lshrrev_b32_e32 v3, 24, v3
	s_movk_i32 s2, 0x80
	v_and_or_b32 v3, v3, s2, v5
	global_store_byte v[8:9], v3, off
.LBB288_1562:
	s_mov_b64 s[2:3], 0
.LBB288_1563:
	s_andn2_b64 vcc, exec, s[2:3]
	s_cbranch_vccnz .LBB288_1573
; %bb.1564:
	v_cvt_f32_i32_sdwa v3, sext(v1) dst_sel:DWORD dst_unused:UNUSED_PAD src0_sel:WORD_0
	s_mov_b32 s2, 0x47800000
                                        ; implicit-def: $vgpr5
	v_and_b32_e32 v7, 0x7fffffff, v3
	v_cmp_gt_u32_e32 vcc, s2, v7
	s_and_saveexec_b64 s[2:3], vcc
	s_xor_b64 s[2:3], exec, s[2:3]
	s_cbranch_execz .LBB288_1570
; %bb.1565:
	s_mov_b32 s6, 0x387fffff
	v_cmp_lt_u32_e32 vcc, s6, v7
                                        ; implicit-def: $vgpr5
	s_and_saveexec_b64 s[6:7], vcc
	s_xor_b64 s[6:7], exec, s[6:7]
; %bb.1566:
	v_bfe_u32 v5, v3, 21, 1
	s_mov_b32 s16, 0x80fffff
	v_add3_u32 v5, v3, v5, s16
	v_lshrrev_b32_e32 v5, 21, v5
; %bb.1567:
	s_andn2_saveexec_b64 s[6:7], s[6:7]
; %bb.1568:
	s_mov_b32 s16, 0x43000000
	v_add_f32_e64 v5, |v3|, s16
; %bb.1569:
	s_or_b64 exec, exec, s[6:7]
                                        ; implicit-def: $vgpr7
.LBB288_1570:
	s_andn2_saveexec_b64 s[2:3], s[2:3]
; %bb.1571:
	s_mov_b32 s6, 0x7f800000
	v_mov_b32_e32 v5, 0x7c
	v_mov_b32_e32 v10, 0x7f
	v_cmp_lt_u32_e32 vcc, s6, v7
	s_nop 1
	v_cndmask_b32_e32 v5, v5, v10, vcc
; %bb.1572:
	s_or_b64 exec, exec, s[2:3]
	v_lshrrev_b32_e32 v3, 24, v3
	s_movk_i32 s2, 0x80
	v_and_or_b32 v3, v3, s2, v5
	global_store_byte v[8:9], v3, off
.LBB288_1573:
	s_mov_b64 s[2:3], 0
	s_mov_b64 s[6:7], -1
.LBB288_1574:
	s_andn2_b64 vcc, exec, s[2:3]
	s_mov_b64 s[2:3], 0
	s_cbranch_vccnz .LBB288_1581
; %bb.1575:
	s_cmp_gt_i32 s9, 14
	s_mov_b64 s[16:17], -1
	s_cbranch_scc0 .LBB288_1579
; %bb.1576:
	s_cmp_eq_u32 s9, 15
	s_mov_b64 s[0:1], -1
	s_cbranch_scc0 .LBB288_1578
; %bb.1577:
	v_cvt_f32_i32_sdwa v3, sext(v1) dst_sel:DWORD dst_unused:UNUSED_PAD src0_sel:WORD_0
	s_movk_i32 s2, 0x7fff
	s_mov_b64 s[0:1], 0
	s_mov_b64 s[6:7], -1
	v_bfe_u32 v5, v3, 16, 1
	v_add3_u32 v3, v3, v5, s2
	global_store_short_d16_hi v[8:9], v3, off
.LBB288_1578:
	s_mov_b64 s[16:17], 0
.LBB288_1579:
	s_mov_b64 s[2:3], 0
	s_and_b64 vcc, exec, s[16:17]
	s_cbranch_vccz .LBB288_1581
; %bb.1580:
	s_cmp_lg_u32 s9, 11
	s_mov_b64 s[2:3], -1
	s_cselect_b64 s[0:1], -1, 0
.LBB288_1581:
	s_and_b64 vcc, exec, s[0:1]
	s_cbranch_vccnz .LBB288_1989
; %bb.1582:
	s_andn2_b64 vcc, exec, s[2:3]
	s_cbranch_vccnz .LBB288_1584
.LBB288_1583:
	v_cmp_ne_u16_e32 vcc, 0, v1
	s_mov_b64 s[6:7], -1
	s_nop 0
	v_cndmask_b32_e64 v3, 0, 1, vcc
	global_store_byte v[8:9], v3, off
.LBB288_1584:
	s_mov_b64 s[0:1], 0
	s_branch .LBB288_1586
.LBB288_1585:
	s_mov_b64 s[0:1], -1
	s_mov_b64 s[6:7], 0
.LBB288_1586:
	s_and_b64 vcc, exec, s[0:1]
	s_cbranch_vccz .LBB288_1625
; %bb.1587:
	s_and_b32 s2, 0xffff, s20
	s_cmp_lt_i32 s2, 5
	s_mov_b64 s[0:1], -1
	s_cbranch_scc1 .LBB288_1608
; %bb.1588:
	s_cmp_lt_i32 s2, 8
	s_cbranch_scc1 .LBB288_1598
; %bb.1589:
	s_cmp_lt_i32 s2, 9
	s_cbranch_scc1 .LBB288_1595
; %bb.1590:
	s_cmp_gt_i32 s2, 9
	s_cbranch_scc0 .LBB288_1592
; %bb.1591:
	v_bfe_i32 v3, v1, 0, 16
	v_mov_b32_e32 v12, 0
	v_cvt_f64_i32_e32 v[10:11], v3
	v_mov_b32_e32 v13, v12
	global_store_dwordx4 v[8:9], v[10:13], off
	s_mov_b64 s[0:1], 0
.LBB288_1592:
	s_andn2_b64 vcc, exec, s[0:1]
	s_cbranch_vccnz .LBB288_1594
; %bb.1593:
	v_cvt_f32_i32_sdwa v10, sext(v1) dst_sel:DWORD dst_unused:UNUSED_PAD src0_sel:WORD_0
	v_mov_b32_e32 v11, 0
	global_store_dwordx2 v[8:9], v[10:11], off
.LBB288_1594:
	s_mov_b64 s[0:1], 0
.LBB288_1595:
	s_andn2_b64 vcc, exec, s[0:1]
	s_cbranch_vccnz .LBB288_1597
; %bb.1596:
	v_cvt_f16_i16_e32 v3, v1
	global_store_dword v[8:9], v3, off
.LBB288_1597:
	s_mov_b64 s[0:1], 0
.LBB288_1598:
	s_andn2_b64 vcc, exec, s[0:1]
	s_cbranch_vccnz .LBB288_1607
; %bb.1599:
	s_cmp_lt_i32 s2, 6
	s_mov_b64 s[0:1], -1
	s_cbranch_scc1 .LBB288_1605
; %bb.1600:
	s_cmp_gt_i32 s2, 6
	s_cbranch_scc0 .LBB288_1602
; %bb.1601:
	v_bfe_i32 v3, v1, 0, 16
	v_cvt_f64_i32_e32 v[10:11], v3
	global_store_dwordx2 v[8:9], v[10:11], off
	s_mov_b64 s[0:1], 0
.LBB288_1602:
	s_andn2_b64 vcc, exec, s[0:1]
	s_cbranch_vccnz .LBB288_1604
; %bb.1603:
	v_cvt_f32_i32_sdwa v3, sext(v1) dst_sel:DWORD dst_unused:UNUSED_PAD src0_sel:WORD_0
	global_store_dword v[8:9], v3, off
.LBB288_1604:
	s_mov_b64 s[0:1], 0
.LBB288_1605:
	s_andn2_b64 vcc, exec, s[0:1]
	s_cbranch_vccnz .LBB288_1607
; %bb.1606:
	v_cvt_f16_i16_e32 v3, v1
	global_store_short v[8:9], v3, off
.LBB288_1607:
	s_mov_b64 s[0:1], 0
.LBB288_1608:
	s_andn2_b64 vcc, exec, s[0:1]
	s_cbranch_vccnz .LBB288_1624
; %bb.1609:
	s_cmp_lt_i32 s2, 2
	s_mov_b64 s[0:1], -1
	s_cbranch_scc1 .LBB288_1619
; %bb.1610:
	s_cmp_lt_i32 s2, 3
	s_cbranch_scc1 .LBB288_1616
; %bb.1611:
	s_cmp_gt_i32 s2, 3
	v_bfe_i32 v10, v1, 0, 16
	s_cbranch_scc0 .LBB288_1613
; %bb.1612:
	v_ashrrev_i32_e32 v11, 31, v10
	global_store_dwordx2 v[8:9], v[10:11], off
	s_mov_b64 s[0:1], 0
.LBB288_1613:
	s_andn2_b64 vcc, exec, s[0:1]
	s_cbranch_vccnz .LBB288_1615
; %bb.1614:
	global_store_dword v[8:9], v10, off
.LBB288_1615:
	s_mov_b64 s[0:1], 0
.LBB288_1616:
	s_andn2_b64 vcc, exec, s[0:1]
	s_cbranch_vccnz .LBB288_1618
; %bb.1617:
	global_store_short v[8:9], v1, off
.LBB288_1618:
	s_mov_b64 s[0:1], 0
.LBB288_1619:
	s_andn2_b64 vcc, exec, s[0:1]
	s_cbranch_vccnz .LBB288_1624
; %bb.1620:
	s_cmp_gt_i32 s2, 0
	s_mov_b64 s[0:1], -1
	s_cbranch_scc0 .LBB288_1622
; %bb.1621:
	global_store_byte v[8:9], v1, off
	s_mov_b64 s[0:1], 0
.LBB288_1622:
	s_andn2_b64 vcc, exec, s[0:1]
	s_cbranch_vccnz .LBB288_1624
; %bb.1623:
	global_store_byte v[8:9], v1, off
.LBB288_1624:
	s_mov_b64 s[6:7], -1
.LBB288_1625:
	s_andn2_b64 vcc, exec, s[6:7]
	s_cbranch_vccnz .LBB288_1940
; %bb.1626:
	s_lshl_b32 s18, s8, 7
	v_max_i16_sdwa v1, sext(v4), s21 dst_sel:DWORD dst_unused:UNUSED_PAD src0_sel:BYTE_0 src1_sel:DWORD
	v_add_u32_e32 v4, s18, v6
	v_ashrrev_i32_e32 v5, 31, v4
	v_min_i16_e32 v1, s22, v1
	s_cmp_lt_i32 s20, 11
	v_lshl_add_u64 v[6:7], s[4:5], 0, v[4:5]
	s_cbranch_scc1 .LBB288_1704
; %bb.1627:
	s_and_b32 s19, 0xffff, s20
	s_mov_b64 s[8:9], -1
	s_mov_b64 s[2:3], 0
	s_cmp_gt_i32 s19, 25
	s_mov_b64 s[6:7], 0
	s_mov_b64 s[0:1], 0
	s_cbranch_scc0 .LBB288_1660
; %bb.1628:
	s_cmp_gt_i32 s19, 28
	s_cbranch_scc0 .LBB288_1643
; %bb.1629:
	s_cmp_gt_i32 s19, 43
	;; [unrolled: 3-line block ×3, first 2 shown]
	s_cbranch_scc0 .LBB288_1633
; %bb.1631:
	s_mov_b64 s[0:1], -1
	s_mov_b64 s[8:9], 0
	s_cmp_eq_u32 s19, 46
	s_cbranch_scc0 .LBB288_1633
; %bb.1632:
	v_cvt_f32_i32_sdwa v3, sext(v1) dst_sel:DWORD dst_unused:UNUSED_PAD src0_sel:WORD_0
	s_movk_i32 s6, 0x7fff
	s_mov_b64 s[0:1], 0
	v_bfe_u32 v5, v3, 16, 1
	v_add3_u32 v3, v3, v5, s6
	v_lshrrev_b32_e32 v3, 16, v3
	global_store_dword v[6:7], v3, off
	s_mov_b64 s[6:7], -1
.LBB288_1633:
	s_and_b64 vcc, exec, s[8:9]
	s_cbranch_vccz .LBB288_1638
; %bb.1634:
	s_cmp_eq_u32 s19, 44
	s_mov_b64 s[0:1], -1
	s_cbranch_scc0 .LBB288_1638
; %bb.1635:
	v_cvt_f32_i32_sdwa v3, sext(v1) dst_sel:DWORD dst_unused:UNUSED_PAD src0_sel:WORD_0
	s_movk_i32 s0, 0xff
	v_mov_b32_e32 v8, 0xff
	v_bfe_u32 v5, v3, 23, 8
	v_cmp_ne_u32_e32 vcc, s0, v5
	s_and_saveexec_b64 s[6:7], vcc
; %bb.1636:
	s_mov_b32 s0, 0x3fffff
	v_lshrrev_b32_e32 v8, 23, v3
	v_and_b32_e32 v9, 0x400000, v3
	v_and_or_b32 v3, v3, s0, v5
	v_cmp_ne_u32_e32 vcc, 0, v9
	v_cmp_ne_u32_e64 s[0:1], 0, v3
	s_and_b64 s[0:1], vcc, s[0:1]
	s_nop 0
	v_cndmask_b32_e64 v3, 0, 1, s[0:1]
	v_add_u32_e32 v8, v8, v3
; %bb.1637:
	s_or_b64 exec, exec, s[6:7]
	s_mov_b64 s[0:1], 0
	s_mov_b64 s[6:7], -1
	global_store_byte v[6:7], v8, off
.LBB288_1638:
	s_mov_b64 s[8:9], 0
.LBB288_1639:
	s_and_b64 vcc, exec, s[8:9]
	s_cbranch_vccz .LBB288_1642
; %bb.1640:
	s_cmp_eq_u32 s19, 29
	s_mov_b64 s[0:1], -1
	s_cbranch_scc0 .LBB288_1642
; %bb.1641:
	v_bfe_i32 v8, v1, 0, 16
	v_ashrrev_i32_e32 v9, 31, v8
	global_store_dwordx2 v[6:7], v[8:9], off
	s_mov_b64 s[0:1], 0
	s_mov_b64 s[6:7], -1
.LBB288_1642:
	s_mov_b64 s[8:9], 0
.LBB288_1643:
	s_and_b64 vcc, exec, s[8:9]
	s_cbranch_vccz .LBB288_1659
; %bb.1644:
	s_cmp_lt_i32 s19, 27
	s_mov_b64 s[6:7], -1
	s_cbranch_scc1 .LBB288_1650
; %bb.1645:
	s_cmp_gt_i32 s19, 27
	s_cbranch_scc0 .LBB288_1647
; %bb.1646:
	v_bfe_i32 v3, v1, 0, 16
	s_mov_b64 s[6:7], 0
	global_store_dword v[6:7], v3, off
.LBB288_1647:
	s_andn2_b64 vcc, exec, s[6:7]
	s_cbranch_vccnz .LBB288_1649
; %bb.1648:
	global_store_short v[6:7], v1, off
.LBB288_1649:
	s_mov_b64 s[6:7], 0
.LBB288_1650:
	s_andn2_b64 vcc, exec, s[6:7]
	s_cbranch_vccnz .LBB288_1658
; %bb.1651:
	v_cvt_f32_i32_sdwa v3, sext(v1) dst_sel:DWORD dst_unused:UNUSED_PAD src0_sel:WORD_0
	s_mov_b32 s6, 0x43800000
	v_mov_b32_e32 v8, 0x80
	v_and_b32_e32 v5, 0x7fffffff, v3
	v_cmp_gt_u32_e32 vcc, s6, v5
	s_and_saveexec_b64 s[6:7], vcc
	s_cbranch_execz .LBB288_1657
; %bb.1652:
	s_mov_b32 s8, 0x3bffffff
	v_cmp_lt_u32_e32 vcc, s8, v5
	s_mov_b64 s[8:9], 0
                                        ; implicit-def: $vgpr5
	s_and_saveexec_b64 s[16:17], vcc
	s_xor_b64 s[16:17], exec, s[16:17]
	s_cbranch_execz .LBB288_1992
; %bb.1653:
	v_bfe_u32 v5, v3, 20, 1
	s_mov_b32 s23, 0x487ffff
	v_add3_u32 v5, v3, v5, s23
	s_mov_b64 s[8:9], exec
	v_lshrrev_b32_e32 v5, 20, v5
	s_andn2_saveexec_b64 s[16:17], s[16:17]
	s_cbranch_execnz .LBB288_1993
.LBB288_1654:
	s_or_b64 exec, exec, s[16:17]
	v_mov_b32_e32 v8, 0
	s_and_saveexec_b64 s[16:17], s[8:9]
.LBB288_1655:
	v_lshrrev_b32_e32 v3, 24, v3
	s_movk_i32 s8, 0x80
	v_and_or_b32 v8, v3, s8, v5
.LBB288_1656:
	s_or_b64 exec, exec, s[16:17]
.LBB288_1657:
	s_or_b64 exec, exec, s[6:7]
	global_store_byte v[6:7], v8, off
.LBB288_1658:
	s_mov_b64 s[6:7], -1
.LBB288_1659:
	s_mov_b64 s[8:9], 0
.LBB288_1660:
	s_and_b64 vcc, exec, s[8:9]
	s_cbranch_vccz .LBB288_1700
; %bb.1661:
	s_cmp_gt_i32 s19, 22
	s_mov_b64 s[2:3], -1
	s_cbranch_scc0 .LBB288_1693
; %bb.1662:
	s_cmp_lt_i32 s19, 24
	s_cbranch_scc1 .LBB288_1682
; %bb.1663:
	s_cmp_gt_i32 s19, 24
	s_cbranch_scc0 .LBB288_1671
; %bb.1664:
	v_cvt_f32_i32_sdwa v3, sext(v1) dst_sel:DWORD dst_unused:UNUSED_PAD src0_sel:WORD_0
	s_mov_b32 s2, 0x47800000
	v_mov_b32_e32 v8, 0x80
	v_and_b32_e32 v5, 0x7fffffff, v3
	v_cmp_gt_u32_e32 vcc, s2, v5
	s_and_saveexec_b64 s[2:3], vcc
	s_cbranch_execz .LBB288_1670
; %bb.1665:
	s_mov_b32 s6, 0x37ffffff
	v_cmp_lt_u32_e32 vcc, s6, v5
	s_mov_b64 s[6:7], 0
                                        ; implicit-def: $vgpr5
	s_and_saveexec_b64 s[8:9], vcc
	s_xor_b64 s[8:9], exec, s[8:9]
	s_cbranch_execz .LBB288_1995
; %bb.1666:
	v_bfe_u32 v5, v3, 21, 1
	s_mov_b32 s16, 0x88fffff
	v_add3_u32 v5, v3, v5, s16
	s_mov_b64 s[6:7], exec
	v_lshrrev_b32_e32 v5, 21, v5
	s_andn2_saveexec_b64 s[8:9], s[8:9]
	s_cbranch_execnz .LBB288_1996
.LBB288_1667:
	s_or_b64 exec, exec, s[8:9]
	v_mov_b32_e32 v8, 0
	s_and_saveexec_b64 s[8:9], s[6:7]
.LBB288_1668:
	v_lshrrev_b32_e32 v3, 24, v3
	s_movk_i32 s6, 0x80
	v_and_or_b32 v8, v3, s6, v5
.LBB288_1669:
	s_or_b64 exec, exec, s[8:9]
.LBB288_1670:
	s_or_b64 exec, exec, s[2:3]
	s_mov_b64 s[2:3], 0
	global_store_byte v[6:7], v8, off
.LBB288_1671:
	s_and_b64 vcc, exec, s[2:3]
	s_cbranch_vccz .LBB288_1681
; %bb.1672:
	v_cvt_f32_i32_sdwa v3, sext(v1) dst_sel:DWORD dst_unused:UNUSED_PAD src0_sel:WORD_0
	s_mov_b32 s2, 0x43f00000
                                        ; implicit-def: $vgpr5
	v_and_b32_e32 v8, 0x7fffffff, v3
	v_cmp_gt_u32_e32 vcc, s2, v8
	s_and_saveexec_b64 s[2:3], vcc
	s_xor_b64 s[2:3], exec, s[2:3]
	s_cbranch_execz .LBB288_1678
; %bb.1673:
	s_mov_b32 s6, 0x3c7fffff
	v_cmp_lt_u32_e32 vcc, s6, v8
                                        ; implicit-def: $vgpr5
	s_and_saveexec_b64 s[6:7], vcc
	s_xor_b64 s[6:7], exec, s[6:7]
; %bb.1674:
	v_bfe_u32 v5, v3, 20, 1
	s_mov_b32 s8, 0x407ffff
	v_add3_u32 v5, v3, v5, s8
	v_lshrrev_b32_e32 v8, 20, v5
	v_and_b32_e32 v5, 0xff00000, v5
	s_mov_b32 s8, 0x7f00000
	v_mov_b32_e32 v9, 0x7e
	v_cmp_ne_u32_e32 vcc, s8, v5
	s_nop 1
	v_cndmask_b32_e32 v5, v9, v8, vcc
; %bb.1675:
	s_andn2_saveexec_b64 s[6:7], s[6:7]
; %bb.1676:
	s_mov_b32 s8, 0x46800000
	v_add_f32_e64 v5, |v3|, s8
; %bb.1677:
	s_or_b64 exec, exec, s[6:7]
                                        ; implicit-def: $vgpr8
.LBB288_1678:
	s_andn2_saveexec_b64 s[2:3], s[2:3]
; %bb.1679:
	s_mov_b32 s6, 0x7f800000
	v_mov_b32_e32 v5, 0x7e
	v_mov_b32_e32 v9, 0x7f
	v_cmp_lt_u32_e32 vcc, s6, v8
	s_nop 1
	v_cndmask_b32_e32 v5, v5, v9, vcc
; %bb.1680:
	s_or_b64 exec, exec, s[2:3]
	v_lshrrev_b32_e32 v3, 24, v3
	s_movk_i32 s2, 0x80
	v_and_or_b32 v3, v3, s2, v5
	global_store_byte v[6:7], v3, off
.LBB288_1681:
	s_mov_b64 s[2:3], 0
.LBB288_1682:
	s_andn2_b64 vcc, exec, s[2:3]
	s_cbranch_vccnz .LBB288_1692
; %bb.1683:
	v_cvt_f32_i32_sdwa v3, sext(v1) dst_sel:DWORD dst_unused:UNUSED_PAD src0_sel:WORD_0
	s_mov_b32 s2, 0x47800000
                                        ; implicit-def: $vgpr5
	v_and_b32_e32 v8, 0x7fffffff, v3
	v_cmp_gt_u32_e32 vcc, s2, v8
	s_and_saveexec_b64 s[2:3], vcc
	s_xor_b64 s[2:3], exec, s[2:3]
	s_cbranch_execz .LBB288_1689
; %bb.1684:
	s_mov_b32 s6, 0x387fffff
	v_cmp_lt_u32_e32 vcc, s6, v8
                                        ; implicit-def: $vgpr5
	s_and_saveexec_b64 s[6:7], vcc
	s_xor_b64 s[6:7], exec, s[6:7]
; %bb.1685:
	v_bfe_u32 v5, v3, 21, 1
	s_mov_b32 s8, 0x80fffff
	v_add3_u32 v5, v3, v5, s8
	v_lshrrev_b32_e32 v5, 21, v5
; %bb.1686:
	s_andn2_saveexec_b64 s[6:7], s[6:7]
; %bb.1687:
	s_mov_b32 s8, 0x43000000
	v_add_f32_e64 v5, |v3|, s8
; %bb.1688:
	s_or_b64 exec, exec, s[6:7]
                                        ; implicit-def: $vgpr8
.LBB288_1689:
	s_andn2_saveexec_b64 s[2:3], s[2:3]
; %bb.1690:
	s_mov_b32 s6, 0x7f800000
	v_mov_b32_e32 v5, 0x7c
	v_mov_b32_e32 v9, 0x7f
	v_cmp_lt_u32_e32 vcc, s6, v8
	s_nop 1
	v_cndmask_b32_e32 v5, v5, v9, vcc
; %bb.1691:
	s_or_b64 exec, exec, s[2:3]
	v_lshrrev_b32_e32 v3, 24, v3
	s_movk_i32 s2, 0x80
	v_and_or_b32 v3, v3, s2, v5
	global_store_byte v[6:7], v3, off
.LBB288_1692:
	s_mov_b64 s[2:3], 0
	s_mov_b64 s[6:7], -1
.LBB288_1693:
	s_andn2_b64 vcc, exec, s[2:3]
	s_mov_b64 s[2:3], 0
	s_cbranch_vccnz .LBB288_1700
; %bb.1694:
	s_cmp_gt_i32 s19, 14
	s_mov_b64 s[8:9], -1
	s_cbranch_scc0 .LBB288_1698
; %bb.1695:
	s_cmp_eq_u32 s19, 15
	s_mov_b64 s[0:1], -1
	s_cbranch_scc0 .LBB288_1697
; %bb.1696:
	v_cvt_f32_i32_sdwa v3, sext(v1) dst_sel:DWORD dst_unused:UNUSED_PAD src0_sel:WORD_0
	s_movk_i32 s2, 0x7fff
	s_mov_b64 s[0:1], 0
	s_mov_b64 s[6:7], -1
	v_bfe_u32 v5, v3, 16, 1
	v_add3_u32 v3, v3, v5, s2
	global_store_short_d16_hi v[6:7], v3, off
.LBB288_1697:
	s_mov_b64 s[8:9], 0
.LBB288_1698:
	s_mov_b64 s[2:3], 0
	s_and_b64 vcc, exec, s[8:9]
	s_cbranch_vccz .LBB288_1700
; %bb.1699:
	s_cmp_lg_u32 s19, 11
	s_mov_b64 s[2:3], -1
	s_cselect_b64 s[0:1], -1, 0
.LBB288_1700:
	s_and_b64 vcc, exec, s[0:1]
	s_cbranch_vccnz .LBB288_1994
; %bb.1701:
	s_andn2_b64 vcc, exec, s[2:3]
	s_cbranch_vccnz .LBB288_1703
.LBB288_1702:
	v_cmp_ne_u16_e32 vcc, 0, v1
	s_mov_b64 s[6:7], -1
	s_nop 0
	v_cndmask_b32_e64 v3, 0, 1, vcc
	global_store_byte v[6:7], v3, off
.LBB288_1703:
	s_mov_b64 s[0:1], 0
	s_branch .LBB288_1705
.LBB288_1704:
	s_mov_b64 s[0:1], -1
	s_mov_b64 s[6:7], 0
.LBB288_1705:
	s_and_b64 vcc, exec, s[0:1]
	s_cbranch_vccz .LBB288_1744
; %bb.1706:
	s_and_b32 s2, 0xffff, s20
	s_cmp_lt_i32 s2, 5
	s_mov_b64 s[0:1], -1
	s_cbranch_scc1 .LBB288_1727
; %bb.1707:
	s_cmp_lt_i32 s2, 8
	s_cbranch_scc1 .LBB288_1717
; %bb.1708:
	s_cmp_lt_i32 s2, 9
	s_cbranch_scc1 .LBB288_1714
; %bb.1709:
	s_cmp_gt_i32 s2, 9
	s_cbranch_scc0 .LBB288_1711
; %bb.1710:
	v_bfe_i32 v3, v1, 0, 16
	v_mov_b32_e32 v10, 0
	v_cvt_f64_i32_e32 v[8:9], v3
	v_mov_b32_e32 v11, v10
	global_store_dwordx4 v[6:7], v[8:11], off
	s_mov_b64 s[0:1], 0
.LBB288_1711:
	s_andn2_b64 vcc, exec, s[0:1]
	s_cbranch_vccnz .LBB288_1713
; %bb.1712:
	v_cvt_f32_i32_sdwa v8, sext(v1) dst_sel:DWORD dst_unused:UNUSED_PAD src0_sel:WORD_0
	v_mov_b32_e32 v9, 0
	global_store_dwordx2 v[6:7], v[8:9], off
.LBB288_1713:
	s_mov_b64 s[0:1], 0
.LBB288_1714:
	s_andn2_b64 vcc, exec, s[0:1]
	s_cbranch_vccnz .LBB288_1716
; %bb.1715:
	v_cvt_f16_i16_e32 v3, v1
	global_store_dword v[6:7], v3, off
.LBB288_1716:
	s_mov_b64 s[0:1], 0
.LBB288_1717:
	s_andn2_b64 vcc, exec, s[0:1]
	s_cbranch_vccnz .LBB288_1726
; %bb.1718:
	s_cmp_lt_i32 s2, 6
	s_mov_b64 s[0:1], -1
	s_cbranch_scc1 .LBB288_1724
; %bb.1719:
	s_cmp_gt_i32 s2, 6
	s_cbranch_scc0 .LBB288_1721
; %bb.1720:
	v_bfe_i32 v3, v1, 0, 16
	v_cvt_f64_i32_e32 v[8:9], v3
	global_store_dwordx2 v[6:7], v[8:9], off
	s_mov_b64 s[0:1], 0
.LBB288_1721:
	s_andn2_b64 vcc, exec, s[0:1]
	s_cbranch_vccnz .LBB288_1723
; %bb.1722:
	v_cvt_f32_i32_sdwa v3, sext(v1) dst_sel:DWORD dst_unused:UNUSED_PAD src0_sel:WORD_0
	global_store_dword v[6:7], v3, off
.LBB288_1723:
	s_mov_b64 s[0:1], 0
.LBB288_1724:
	s_andn2_b64 vcc, exec, s[0:1]
	s_cbranch_vccnz .LBB288_1726
; %bb.1725:
	v_cvt_f16_i16_e32 v3, v1
	global_store_short v[6:7], v3, off
.LBB288_1726:
	s_mov_b64 s[0:1], 0
.LBB288_1727:
	s_andn2_b64 vcc, exec, s[0:1]
	s_cbranch_vccnz .LBB288_1743
; %bb.1728:
	s_cmp_lt_i32 s2, 2
	s_mov_b64 s[0:1], -1
	s_cbranch_scc1 .LBB288_1738
; %bb.1729:
	s_cmp_lt_i32 s2, 3
	s_cbranch_scc1 .LBB288_1735
; %bb.1730:
	s_cmp_gt_i32 s2, 3
	v_bfe_i32 v8, v1, 0, 16
	s_cbranch_scc0 .LBB288_1732
; %bb.1731:
	v_ashrrev_i32_e32 v9, 31, v8
	global_store_dwordx2 v[6:7], v[8:9], off
	s_mov_b64 s[0:1], 0
.LBB288_1732:
	s_andn2_b64 vcc, exec, s[0:1]
	s_cbranch_vccnz .LBB288_1734
; %bb.1733:
	global_store_dword v[6:7], v8, off
.LBB288_1734:
	s_mov_b64 s[0:1], 0
.LBB288_1735:
	s_andn2_b64 vcc, exec, s[0:1]
	s_cbranch_vccnz .LBB288_1737
; %bb.1736:
	global_store_short v[6:7], v1, off
.LBB288_1737:
	s_mov_b64 s[0:1], 0
.LBB288_1738:
	s_andn2_b64 vcc, exec, s[0:1]
	s_cbranch_vccnz .LBB288_1743
; %bb.1739:
	s_cmp_gt_i32 s2, 0
	s_mov_b64 s[0:1], -1
	s_cbranch_scc0 .LBB288_1741
; %bb.1740:
	global_store_byte v[6:7], v1, off
	s_mov_b64 s[0:1], 0
.LBB288_1741:
	s_andn2_b64 vcc, exec, s[0:1]
	s_cbranch_vccnz .LBB288_1743
; %bb.1742:
	global_store_byte v[6:7], v1, off
.LBB288_1743:
	s_mov_b64 s[6:7], -1
.LBB288_1744:
	s_andn2_b64 vcc, exec, s[6:7]
	s_cbranch_vccnz .LBB288_1940
; %bb.1745:
	v_max_i16_sdwa v1, sext(v2), s21 dst_sel:DWORD dst_unused:UNUSED_PAD src0_sel:BYTE_0 src1_sel:DWORD
	v_add_u32_e32 v2, s18, v4
	v_ashrrev_i32_e32 v3, 31, v2
	v_min_i16_e32 v1, s22, v1
	s_cmp_lt_i32 s20, 11
	v_lshl_add_u64 v[4:5], s[4:5], 0, v[2:3]
	s_cbranch_scc1 .LBB288_1823
; %bb.1746:
	s_and_b32 s19, 0xffff, s20
	s_mov_b64 s[8:9], -1
	s_mov_b64 s[2:3], 0
	s_cmp_gt_i32 s19, 25
	s_mov_b64 s[6:7], 0
	s_mov_b64 s[0:1], 0
	s_cbranch_scc0 .LBB288_1779
; %bb.1747:
	s_cmp_gt_i32 s19, 28
	s_cbranch_scc0 .LBB288_1762
; %bb.1748:
	s_cmp_gt_i32 s19, 43
	;; [unrolled: 3-line block ×3, first 2 shown]
	s_cbranch_scc0 .LBB288_1752
; %bb.1750:
	s_mov_b64 s[0:1], -1
	s_mov_b64 s[8:9], 0
	s_cmp_eq_u32 s19, 46
	s_cbranch_scc0 .LBB288_1752
; %bb.1751:
	v_cvt_f32_i32_sdwa v3, sext(v1) dst_sel:DWORD dst_unused:UNUSED_PAD src0_sel:WORD_0
	s_movk_i32 s6, 0x7fff
	s_mov_b64 s[0:1], 0
	v_bfe_u32 v6, v3, 16, 1
	v_add3_u32 v3, v3, v6, s6
	v_lshrrev_b32_e32 v3, 16, v3
	global_store_dword v[4:5], v3, off
	s_mov_b64 s[6:7], -1
.LBB288_1752:
	s_and_b64 vcc, exec, s[8:9]
	s_cbranch_vccz .LBB288_1757
; %bb.1753:
	s_cmp_eq_u32 s19, 44
	s_mov_b64 s[0:1], -1
	s_cbranch_scc0 .LBB288_1757
; %bb.1754:
	v_cvt_f32_i32_sdwa v3, sext(v1) dst_sel:DWORD dst_unused:UNUSED_PAD src0_sel:WORD_0
	s_movk_i32 s0, 0xff
	v_mov_b32_e32 v7, 0xff
	v_bfe_u32 v6, v3, 23, 8
	v_cmp_ne_u32_e32 vcc, s0, v6
	s_and_saveexec_b64 s[6:7], vcc
; %bb.1755:
	s_mov_b32 s0, 0x3fffff
	v_lshrrev_b32_e32 v7, 23, v3
	v_and_b32_e32 v8, 0x400000, v3
	v_and_or_b32 v3, v3, s0, v6
	v_cmp_ne_u32_e32 vcc, 0, v8
	v_cmp_ne_u32_e64 s[0:1], 0, v3
	s_and_b64 s[0:1], vcc, s[0:1]
	s_nop 0
	v_cndmask_b32_e64 v3, 0, 1, s[0:1]
	v_add_u32_e32 v7, v7, v3
; %bb.1756:
	s_or_b64 exec, exec, s[6:7]
	s_mov_b64 s[0:1], 0
	s_mov_b64 s[6:7], -1
	global_store_byte v[4:5], v7, off
.LBB288_1757:
	s_mov_b64 s[8:9], 0
.LBB288_1758:
	s_and_b64 vcc, exec, s[8:9]
	s_cbranch_vccz .LBB288_1761
; %bb.1759:
	s_cmp_eq_u32 s19, 29
	s_mov_b64 s[0:1], -1
	s_cbranch_scc0 .LBB288_1761
; %bb.1760:
	v_bfe_i32 v6, v1, 0, 16
	v_ashrrev_i32_e32 v7, 31, v6
	global_store_dwordx2 v[4:5], v[6:7], off
	s_mov_b64 s[0:1], 0
	s_mov_b64 s[6:7], -1
.LBB288_1761:
	s_mov_b64 s[8:9], 0
.LBB288_1762:
	s_and_b64 vcc, exec, s[8:9]
	s_cbranch_vccz .LBB288_1778
; %bb.1763:
	s_cmp_lt_i32 s19, 27
	s_mov_b64 s[6:7], -1
	s_cbranch_scc1 .LBB288_1769
; %bb.1764:
	s_cmp_gt_i32 s19, 27
	s_cbranch_scc0 .LBB288_1766
; %bb.1765:
	v_bfe_i32 v3, v1, 0, 16
	s_mov_b64 s[6:7], 0
	global_store_dword v[4:5], v3, off
.LBB288_1766:
	s_andn2_b64 vcc, exec, s[6:7]
	s_cbranch_vccnz .LBB288_1768
; %bb.1767:
	global_store_short v[4:5], v1, off
.LBB288_1768:
	s_mov_b64 s[6:7], 0
.LBB288_1769:
	s_andn2_b64 vcc, exec, s[6:7]
	s_cbranch_vccnz .LBB288_1777
; %bb.1770:
	v_cvt_f32_i32_sdwa v3, sext(v1) dst_sel:DWORD dst_unused:UNUSED_PAD src0_sel:WORD_0
	s_mov_b32 s6, 0x43800000
	v_mov_b32_e32 v7, 0x80
	v_and_b32_e32 v6, 0x7fffffff, v3
	v_cmp_gt_u32_e32 vcc, s6, v6
	s_and_saveexec_b64 s[6:7], vcc
	s_cbranch_execz .LBB288_1776
; %bb.1771:
	s_mov_b32 s8, 0x3bffffff
	v_cmp_lt_u32_e32 vcc, s8, v6
	s_mov_b64 s[8:9], 0
                                        ; implicit-def: $vgpr6
	s_and_saveexec_b64 s[16:17], vcc
	s_xor_b64 s[16:17], exec, s[16:17]
	s_cbranch_execz .LBB288_1997
; %bb.1772:
	v_bfe_u32 v6, v3, 20, 1
	s_mov_b32 s23, 0x487ffff
	v_add3_u32 v6, v3, v6, s23
	s_mov_b64 s[8:9], exec
	v_lshrrev_b32_e32 v6, 20, v6
	s_andn2_saveexec_b64 s[16:17], s[16:17]
	s_cbranch_execnz .LBB288_1998
.LBB288_1773:
	s_or_b64 exec, exec, s[16:17]
	v_mov_b32_e32 v7, 0
	s_and_saveexec_b64 s[16:17], s[8:9]
.LBB288_1774:
	v_lshrrev_b32_e32 v3, 24, v3
	s_movk_i32 s8, 0x80
	v_and_or_b32 v7, v3, s8, v6
.LBB288_1775:
	s_or_b64 exec, exec, s[16:17]
.LBB288_1776:
	s_or_b64 exec, exec, s[6:7]
	global_store_byte v[4:5], v7, off
.LBB288_1777:
	s_mov_b64 s[6:7], -1
.LBB288_1778:
	s_mov_b64 s[8:9], 0
.LBB288_1779:
	s_and_b64 vcc, exec, s[8:9]
	s_cbranch_vccz .LBB288_1819
; %bb.1780:
	s_cmp_gt_i32 s19, 22
	s_mov_b64 s[2:3], -1
	s_cbranch_scc0 .LBB288_1812
; %bb.1781:
	s_cmp_lt_i32 s19, 24
	s_cbranch_scc1 .LBB288_1801
; %bb.1782:
	s_cmp_gt_i32 s19, 24
	s_cbranch_scc0 .LBB288_1790
; %bb.1783:
	v_cvt_f32_i32_sdwa v3, sext(v1) dst_sel:DWORD dst_unused:UNUSED_PAD src0_sel:WORD_0
	s_mov_b32 s2, 0x47800000
	v_mov_b32_e32 v7, 0x80
	v_and_b32_e32 v6, 0x7fffffff, v3
	v_cmp_gt_u32_e32 vcc, s2, v6
	s_and_saveexec_b64 s[2:3], vcc
	s_cbranch_execz .LBB288_1789
; %bb.1784:
	s_mov_b32 s6, 0x37ffffff
	v_cmp_lt_u32_e32 vcc, s6, v6
	s_mov_b64 s[6:7], 0
                                        ; implicit-def: $vgpr6
	s_and_saveexec_b64 s[8:9], vcc
	s_xor_b64 s[8:9], exec, s[8:9]
	s_cbranch_execz .LBB288_2000
; %bb.1785:
	v_bfe_u32 v6, v3, 21, 1
	s_mov_b32 s16, 0x88fffff
	v_add3_u32 v6, v3, v6, s16
	s_mov_b64 s[6:7], exec
	v_lshrrev_b32_e32 v6, 21, v6
	s_andn2_saveexec_b64 s[8:9], s[8:9]
	s_cbranch_execnz .LBB288_2001
.LBB288_1786:
	s_or_b64 exec, exec, s[8:9]
	v_mov_b32_e32 v7, 0
	s_and_saveexec_b64 s[8:9], s[6:7]
.LBB288_1787:
	v_lshrrev_b32_e32 v3, 24, v3
	s_movk_i32 s6, 0x80
	v_and_or_b32 v7, v3, s6, v6
.LBB288_1788:
	s_or_b64 exec, exec, s[8:9]
.LBB288_1789:
	s_or_b64 exec, exec, s[2:3]
	s_mov_b64 s[2:3], 0
	global_store_byte v[4:5], v7, off
.LBB288_1790:
	s_and_b64 vcc, exec, s[2:3]
	s_cbranch_vccz .LBB288_1800
; %bb.1791:
	v_cvt_f32_i32_sdwa v3, sext(v1) dst_sel:DWORD dst_unused:UNUSED_PAD src0_sel:WORD_0
	s_mov_b32 s2, 0x43f00000
                                        ; implicit-def: $vgpr6
	v_and_b32_e32 v7, 0x7fffffff, v3
	v_cmp_gt_u32_e32 vcc, s2, v7
	s_and_saveexec_b64 s[2:3], vcc
	s_xor_b64 s[2:3], exec, s[2:3]
	s_cbranch_execz .LBB288_1797
; %bb.1792:
	s_mov_b32 s6, 0x3c7fffff
	v_cmp_lt_u32_e32 vcc, s6, v7
                                        ; implicit-def: $vgpr6
	s_and_saveexec_b64 s[6:7], vcc
	s_xor_b64 s[6:7], exec, s[6:7]
; %bb.1793:
	v_bfe_u32 v6, v3, 20, 1
	s_mov_b32 s8, 0x407ffff
	v_add3_u32 v6, v3, v6, s8
	v_lshrrev_b32_e32 v7, 20, v6
	v_and_b32_e32 v6, 0xff00000, v6
	s_mov_b32 s8, 0x7f00000
	v_mov_b32_e32 v8, 0x7e
	v_cmp_ne_u32_e32 vcc, s8, v6
	s_nop 1
	v_cndmask_b32_e32 v6, v8, v7, vcc
; %bb.1794:
	s_andn2_saveexec_b64 s[6:7], s[6:7]
; %bb.1795:
	s_mov_b32 s8, 0x46800000
	v_add_f32_e64 v6, |v3|, s8
; %bb.1796:
	s_or_b64 exec, exec, s[6:7]
                                        ; implicit-def: $vgpr7
.LBB288_1797:
	s_andn2_saveexec_b64 s[2:3], s[2:3]
; %bb.1798:
	s_mov_b32 s6, 0x7f800000
	v_mov_b32_e32 v6, 0x7e
	v_mov_b32_e32 v8, 0x7f
	v_cmp_lt_u32_e32 vcc, s6, v7
	s_nop 1
	v_cndmask_b32_e32 v6, v6, v8, vcc
; %bb.1799:
	s_or_b64 exec, exec, s[2:3]
	v_lshrrev_b32_e32 v3, 24, v3
	s_movk_i32 s2, 0x80
	v_and_or_b32 v3, v3, s2, v6
	global_store_byte v[4:5], v3, off
.LBB288_1800:
	s_mov_b64 s[2:3], 0
.LBB288_1801:
	s_andn2_b64 vcc, exec, s[2:3]
	s_cbranch_vccnz .LBB288_1811
; %bb.1802:
	v_cvt_f32_i32_sdwa v3, sext(v1) dst_sel:DWORD dst_unused:UNUSED_PAD src0_sel:WORD_0
	s_mov_b32 s2, 0x47800000
                                        ; implicit-def: $vgpr6
	v_and_b32_e32 v7, 0x7fffffff, v3
	v_cmp_gt_u32_e32 vcc, s2, v7
	s_and_saveexec_b64 s[2:3], vcc
	s_xor_b64 s[2:3], exec, s[2:3]
	s_cbranch_execz .LBB288_1808
; %bb.1803:
	s_mov_b32 s6, 0x387fffff
	v_cmp_lt_u32_e32 vcc, s6, v7
                                        ; implicit-def: $vgpr6
	s_and_saveexec_b64 s[6:7], vcc
	s_xor_b64 s[6:7], exec, s[6:7]
; %bb.1804:
	v_bfe_u32 v6, v3, 21, 1
	s_mov_b32 s8, 0x80fffff
	v_add3_u32 v6, v3, v6, s8
	v_lshrrev_b32_e32 v6, 21, v6
; %bb.1805:
	s_andn2_saveexec_b64 s[6:7], s[6:7]
; %bb.1806:
	s_mov_b32 s8, 0x43000000
	v_add_f32_e64 v6, |v3|, s8
; %bb.1807:
	s_or_b64 exec, exec, s[6:7]
                                        ; implicit-def: $vgpr7
.LBB288_1808:
	s_andn2_saveexec_b64 s[2:3], s[2:3]
; %bb.1809:
	s_mov_b32 s6, 0x7f800000
	v_mov_b32_e32 v6, 0x7c
	v_mov_b32_e32 v8, 0x7f
	v_cmp_lt_u32_e32 vcc, s6, v7
	s_nop 1
	v_cndmask_b32_e32 v6, v6, v8, vcc
; %bb.1810:
	s_or_b64 exec, exec, s[2:3]
	v_lshrrev_b32_e32 v3, 24, v3
	s_movk_i32 s2, 0x80
	v_and_or_b32 v3, v3, s2, v6
	global_store_byte v[4:5], v3, off
.LBB288_1811:
	s_mov_b64 s[2:3], 0
	s_mov_b64 s[6:7], -1
.LBB288_1812:
	s_andn2_b64 vcc, exec, s[2:3]
	s_mov_b64 s[2:3], 0
	s_cbranch_vccnz .LBB288_1819
; %bb.1813:
	s_cmp_gt_i32 s19, 14
	s_mov_b64 s[8:9], -1
	s_cbranch_scc0 .LBB288_1817
; %bb.1814:
	s_cmp_eq_u32 s19, 15
	s_mov_b64 s[0:1], -1
	s_cbranch_scc0 .LBB288_1816
; %bb.1815:
	v_cvt_f32_i32_sdwa v3, sext(v1) dst_sel:DWORD dst_unused:UNUSED_PAD src0_sel:WORD_0
	s_movk_i32 s2, 0x7fff
	s_mov_b64 s[0:1], 0
	s_mov_b64 s[6:7], -1
	v_bfe_u32 v6, v3, 16, 1
	v_add3_u32 v3, v3, v6, s2
	global_store_short_d16_hi v[4:5], v3, off
.LBB288_1816:
	s_mov_b64 s[8:9], 0
.LBB288_1817:
	s_mov_b64 s[2:3], 0
	s_and_b64 vcc, exec, s[8:9]
	s_cbranch_vccz .LBB288_1819
; %bb.1818:
	s_cmp_lg_u32 s19, 11
	s_mov_b64 s[2:3], -1
	s_cselect_b64 s[0:1], -1, 0
.LBB288_1819:
	s_and_b64 vcc, exec, s[0:1]
	s_cbranch_vccnz .LBB288_1999
; %bb.1820:
	s_andn2_b64 vcc, exec, s[2:3]
	s_cbranch_vccnz .LBB288_1822
.LBB288_1821:
	v_cmp_ne_u16_e32 vcc, 0, v1
	s_mov_b64 s[6:7], -1
	s_nop 0
	v_cndmask_b32_e64 v3, 0, 1, vcc
	global_store_byte v[4:5], v3, off
.LBB288_1822:
	s_mov_b64 s[0:1], 0
	s_branch .LBB288_1824
.LBB288_1823:
	s_mov_b64 s[0:1], -1
	s_mov_b64 s[6:7], 0
.LBB288_1824:
	s_and_b64 vcc, exec, s[0:1]
	s_cbranch_vccz .LBB288_1863
; %bb.1825:
	s_and_b32 s2, 0xffff, s20
	s_cmp_lt_i32 s2, 5
	s_mov_b64 s[0:1], -1
	s_cbranch_scc1 .LBB288_1846
; %bb.1826:
	s_cmp_lt_i32 s2, 8
	s_cbranch_scc1 .LBB288_1836
; %bb.1827:
	s_cmp_lt_i32 s2, 9
	s_cbranch_scc1 .LBB288_1833
; %bb.1828:
	s_cmp_gt_i32 s2, 9
	s_cbranch_scc0 .LBB288_1830
; %bb.1829:
	v_bfe_i32 v3, v1, 0, 16
	v_mov_b32_e32 v8, 0
	v_cvt_f64_i32_e32 v[6:7], v3
	v_mov_b32_e32 v9, v8
	global_store_dwordx4 v[4:5], v[6:9], off
	s_mov_b64 s[0:1], 0
.LBB288_1830:
	s_andn2_b64 vcc, exec, s[0:1]
	s_cbranch_vccnz .LBB288_1832
; %bb.1831:
	v_cvt_f32_i32_sdwa v6, sext(v1) dst_sel:DWORD dst_unused:UNUSED_PAD src0_sel:WORD_0
	v_mov_b32_e32 v7, 0
	global_store_dwordx2 v[4:5], v[6:7], off
.LBB288_1832:
	s_mov_b64 s[0:1], 0
.LBB288_1833:
	s_andn2_b64 vcc, exec, s[0:1]
	s_cbranch_vccnz .LBB288_1835
; %bb.1834:
	v_cvt_f16_i16_e32 v3, v1
	global_store_dword v[4:5], v3, off
.LBB288_1835:
	s_mov_b64 s[0:1], 0
.LBB288_1836:
	s_andn2_b64 vcc, exec, s[0:1]
	s_cbranch_vccnz .LBB288_1845
; %bb.1837:
	s_cmp_lt_i32 s2, 6
	s_mov_b64 s[0:1], -1
	s_cbranch_scc1 .LBB288_1843
; %bb.1838:
	s_cmp_gt_i32 s2, 6
	s_cbranch_scc0 .LBB288_1840
; %bb.1839:
	v_bfe_i32 v3, v1, 0, 16
	v_cvt_f64_i32_e32 v[6:7], v3
	global_store_dwordx2 v[4:5], v[6:7], off
	s_mov_b64 s[0:1], 0
.LBB288_1840:
	s_andn2_b64 vcc, exec, s[0:1]
	s_cbranch_vccnz .LBB288_1842
; %bb.1841:
	v_cvt_f32_i32_sdwa v3, sext(v1) dst_sel:DWORD dst_unused:UNUSED_PAD src0_sel:WORD_0
	global_store_dword v[4:5], v3, off
.LBB288_1842:
	s_mov_b64 s[0:1], 0
.LBB288_1843:
	s_andn2_b64 vcc, exec, s[0:1]
	s_cbranch_vccnz .LBB288_1845
; %bb.1844:
	v_cvt_f16_i16_e32 v3, v1
	global_store_short v[4:5], v3, off
.LBB288_1845:
	s_mov_b64 s[0:1], 0
.LBB288_1846:
	s_andn2_b64 vcc, exec, s[0:1]
	s_cbranch_vccnz .LBB288_1862
; %bb.1847:
	s_cmp_lt_i32 s2, 2
	s_mov_b64 s[0:1], -1
	s_cbranch_scc1 .LBB288_1857
; %bb.1848:
	s_cmp_lt_i32 s2, 3
	s_cbranch_scc1 .LBB288_1854
; %bb.1849:
	s_cmp_gt_i32 s2, 3
	v_bfe_i32 v6, v1, 0, 16
	s_cbranch_scc0 .LBB288_1851
; %bb.1850:
	v_ashrrev_i32_e32 v7, 31, v6
	global_store_dwordx2 v[4:5], v[6:7], off
	s_mov_b64 s[0:1], 0
.LBB288_1851:
	s_andn2_b64 vcc, exec, s[0:1]
	s_cbranch_vccnz .LBB288_1853
; %bb.1852:
	global_store_dword v[4:5], v6, off
.LBB288_1853:
	s_mov_b64 s[0:1], 0
.LBB288_1854:
	s_andn2_b64 vcc, exec, s[0:1]
	s_cbranch_vccnz .LBB288_1856
; %bb.1855:
	global_store_short v[4:5], v1, off
.LBB288_1856:
	s_mov_b64 s[0:1], 0
.LBB288_1857:
	s_andn2_b64 vcc, exec, s[0:1]
	s_cbranch_vccnz .LBB288_1862
; %bb.1858:
	s_cmp_gt_i32 s2, 0
	s_mov_b64 s[0:1], -1
	s_cbranch_scc0 .LBB288_1860
; %bb.1859:
	global_store_byte v[4:5], v1, off
	s_mov_b64 s[0:1], 0
.LBB288_1860:
	s_andn2_b64 vcc, exec, s[0:1]
	s_cbranch_vccnz .LBB288_1862
; %bb.1861:
	global_store_byte v[4:5], v1, off
.LBB288_1862:
	s_mov_b64 s[6:7], -1
.LBB288_1863:
	s_andn2_b64 vcc, exec, s[6:7]
	s_cbranch_vccnz .LBB288_1940
; %bb.1864:
	v_max_i16_sdwa v0, sext(v0), s21 dst_sel:DWORD dst_unused:UNUSED_PAD src0_sel:BYTE_0 src1_sel:DWORD
	v_min_i16_e32 v3, s22, v0
	v_add_u32_e32 v0, s18, v2
	v_ashrrev_i32_e32 v1, 31, v0
	s_cmp_lt_i32 s20, 11
	v_lshl_add_u64 v[0:1], s[4:5], 0, v[0:1]
	s_cbranch_scc1 .LBB288_1985
; %bb.1865:
	s_and_b32 s16, 0xffff, s20
	s_mov_b64 s[4:5], -1
	s_mov_b64 s[2:3], 0
	s_cmp_gt_i32 s16, 25
	s_mov_b64 s[0:1], 0
	s_cbranch_scc0 .LBB288_1898
; %bb.1866:
	s_cmp_gt_i32 s16, 28
	s_cbranch_scc0 .LBB288_1882
; %bb.1867:
	s_cmp_gt_i32 s16, 43
	;; [unrolled: 3-line block ×3, first 2 shown]
	s_cbranch_scc0 .LBB288_1872
; %bb.1869:
	s_cmp_eq_u32 s16, 46
	s_mov_b64 s[0:1], -1
	s_cbranch_scc0 .LBB288_1871
; %bb.1870:
	v_cvt_f32_i32_sdwa v2, sext(v3) dst_sel:DWORD dst_unused:UNUSED_PAD src0_sel:WORD_0
	s_movk_i32 s0, 0x7fff
	v_bfe_u32 v4, v2, 16, 1
	v_add3_u32 v2, v2, v4, s0
	v_lshrrev_b32_e32 v2, 16, v2
	global_store_dword v[0:1], v2, off
	s_mov_b64 s[0:1], 0
.LBB288_1871:
	s_mov_b64 s[4:5], 0
.LBB288_1872:
	s_and_b64 vcc, exec, s[4:5]
	s_cbranch_vccz .LBB288_1877
; %bb.1873:
	s_cmp_eq_u32 s16, 44
	s_mov_b64 s[0:1], -1
	s_cbranch_scc0 .LBB288_1877
; %bb.1874:
	v_cvt_f32_i32_sdwa v2, sext(v3) dst_sel:DWORD dst_unused:UNUSED_PAD src0_sel:WORD_0
	s_movk_i32 s0, 0xff
	v_mov_b32_e32 v5, 0xff
	v_bfe_u32 v4, v2, 23, 8
	v_cmp_ne_u32_e32 vcc, s0, v4
	s_and_saveexec_b64 s[4:5], vcc
; %bb.1875:
	s_mov_b32 s0, 0x3fffff
	v_lshrrev_b32_e32 v5, 23, v2
	v_and_b32_e32 v6, 0x400000, v2
	v_and_or_b32 v2, v2, s0, v4
	v_cmp_ne_u32_e32 vcc, 0, v6
	v_cmp_ne_u32_e64 s[0:1], 0, v2
	s_and_b64 s[0:1], vcc, s[0:1]
	s_nop 0
	v_cndmask_b32_e64 v2, 0, 1, s[0:1]
	v_add_u32_e32 v5, v5, v2
; %bb.1876:
	s_or_b64 exec, exec, s[4:5]
	s_mov_b64 s[0:1], 0
	global_store_byte v[0:1], v5, off
.LBB288_1877:
	s_mov_b64 s[4:5], 0
.LBB288_1878:
	s_and_b64 vcc, exec, s[4:5]
	s_cbranch_vccz .LBB288_1881
; %bb.1879:
	s_cmp_eq_u32 s16, 29
	s_mov_b64 s[0:1], -1
	s_cbranch_scc0 .LBB288_1881
; %bb.1880:
	v_bfe_i32 v4, v3, 0, 16
	v_ashrrev_i32_e32 v5, 31, v4
	global_store_dwordx2 v[0:1], v[4:5], off
	s_mov_b64 s[0:1], 0
.LBB288_1881:
	s_mov_b64 s[4:5], 0
.LBB288_1882:
	s_and_b64 vcc, exec, s[4:5]
	s_cbranch_vccz .LBB288_1897
; %bb.1883:
	s_cmp_lt_i32 s16, 27
	s_mov_b64 s[4:5], -1
	s_cbranch_scc1 .LBB288_1889
; %bb.1884:
	s_cmp_gt_i32 s16, 27
	s_cbranch_scc0 .LBB288_1886
; %bb.1885:
	v_bfe_i32 v2, v3, 0, 16
	global_store_dword v[0:1], v2, off
	s_mov_b64 s[4:5], 0
.LBB288_1886:
	s_andn2_b64 vcc, exec, s[4:5]
	s_cbranch_vccnz .LBB288_1888
; %bb.1887:
	global_store_short v[0:1], v3, off
.LBB288_1888:
	s_mov_b64 s[4:5], 0
.LBB288_1889:
	s_andn2_b64 vcc, exec, s[4:5]
	s_cbranch_vccnz .LBB288_1897
; %bb.1890:
	v_cvt_f32_i32_sdwa v2, sext(v3) dst_sel:DWORD dst_unused:UNUSED_PAD src0_sel:WORD_0
	s_mov_b32 s4, 0x43800000
	v_mov_b32_e32 v5, 0x80
	v_and_b32_e32 v4, 0x7fffffff, v2
	v_cmp_gt_u32_e32 vcc, s4, v4
	s_and_saveexec_b64 s[4:5], vcc
	s_cbranch_execz .LBB288_1896
; %bb.1891:
	s_mov_b32 s6, 0x3bffffff
	v_cmp_lt_u32_e32 vcc, s6, v4
	s_mov_b64 s[6:7], 0
                                        ; implicit-def: $vgpr4
	s_and_saveexec_b64 s[8:9], vcc
	s_xor_b64 s[8:9], exec, s[8:9]
	s_cbranch_execz .LBB288_2002
; %bb.1892:
	v_bfe_u32 v4, v2, 20, 1
	s_mov_b32 s17, 0x487ffff
	v_add3_u32 v4, v2, v4, s17
	s_mov_b64 s[6:7], exec
	v_lshrrev_b32_e32 v4, 20, v4
	s_andn2_saveexec_b64 s[8:9], s[8:9]
	s_cbranch_execnz .LBB288_2003
.LBB288_1893:
	s_or_b64 exec, exec, s[8:9]
	v_mov_b32_e32 v5, 0
	s_and_saveexec_b64 s[8:9], s[6:7]
.LBB288_1894:
	v_lshrrev_b32_e32 v2, 24, v2
	s_movk_i32 s6, 0x80
	v_and_or_b32 v5, v2, s6, v4
.LBB288_1895:
	s_or_b64 exec, exec, s[8:9]
.LBB288_1896:
	s_or_b64 exec, exec, s[4:5]
	global_store_byte v[0:1], v5, off
.LBB288_1897:
	s_mov_b64 s[4:5], 0
.LBB288_1898:
	s_and_b64 vcc, exec, s[4:5]
	s_cbranch_vccz .LBB288_1938
; %bb.1899:
	s_cmp_gt_i32 s16, 22
	s_mov_b64 s[2:3], -1
	s_cbranch_scc0 .LBB288_1931
; %bb.1900:
	s_cmp_lt_i32 s16, 24
	s_cbranch_scc1 .LBB288_1920
; %bb.1901:
	s_cmp_gt_i32 s16, 24
	s_cbranch_scc0 .LBB288_1909
; %bb.1902:
	v_cvt_f32_i32_sdwa v2, sext(v3) dst_sel:DWORD dst_unused:UNUSED_PAD src0_sel:WORD_0
	s_mov_b32 s2, 0x47800000
	v_mov_b32_e32 v5, 0x80
	v_and_b32_e32 v4, 0x7fffffff, v2
	v_cmp_gt_u32_e32 vcc, s2, v4
	s_and_saveexec_b64 s[2:3], vcc
	s_cbranch_execz .LBB288_1908
; %bb.1903:
	s_mov_b32 s4, 0x37ffffff
	v_cmp_lt_u32_e32 vcc, s4, v4
	s_mov_b64 s[4:5], 0
                                        ; implicit-def: $vgpr4
	s_and_saveexec_b64 s[6:7], vcc
	s_xor_b64 s[6:7], exec, s[6:7]
	s_cbranch_execz .LBB288_2005
; %bb.1904:
	v_bfe_u32 v4, v2, 21, 1
	s_mov_b32 s8, 0x88fffff
	v_add3_u32 v4, v2, v4, s8
	s_mov_b64 s[4:5], exec
	v_lshrrev_b32_e32 v4, 21, v4
	s_andn2_saveexec_b64 s[6:7], s[6:7]
	s_cbranch_execnz .LBB288_2006
.LBB288_1905:
	s_or_b64 exec, exec, s[6:7]
	v_mov_b32_e32 v5, 0
	s_and_saveexec_b64 s[6:7], s[4:5]
.LBB288_1906:
	v_lshrrev_b32_e32 v2, 24, v2
	s_movk_i32 s4, 0x80
	v_and_or_b32 v5, v2, s4, v4
.LBB288_1907:
	s_or_b64 exec, exec, s[6:7]
.LBB288_1908:
	s_or_b64 exec, exec, s[2:3]
	s_mov_b64 s[2:3], 0
	global_store_byte v[0:1], v5, off
.LBB288_1909:
	s_and_b64 vcc, exec, s[2:3]
	s_cbranch_vccz .LBB288_1919
; %bb.1910:
	v_cvt_f32_i32_sdwa v2, sext(v3) dst_sel:DWORD dst_unused:UNUSED_PAD src0_sel:WORD_0
	s_mov_b32 s2, 0x43f00000
                                        ; implicit-def: $vgpr4
	v_and_b32_e32 v5, 0x7fffffff, v2
	v_cmp_gt_u32_e32 vcc, s2, v5
	s_and_saveexec_b64 s[2:3], vcc
	s_xor_b64 s[2:3], exec, s[2:3]
	s_cbranch_execz .LBB288_1916
; %bb.1911:
	s_mov_b32 s4, 0x3c7fffff
	v_cmp_lt_u32_e32 vcc, s4, v5
                                        ; implicit-def: $vgpr4
	s_and_saveexec_b64 s[4:5], vcc
	s_xor_b64 s[4:5], exec, s[4:5]
; %bb.1912:
	v_bfe_u32 v4, v2, 20, 1
	s_mov_b32 s6, 0x407ffff
	v_add3_u32 v4, v2, v4, s6
	v_lshrrev_b32_e32 v5, 20, v4
	v_and_b32_e32 v4, 0xff00000, v4
	s_mov_b32 s6, 0x7f00000
	v_mov_b32_e32 v6, 0x7e
	v_cmp_ne_u32_e32 vcc, s6, v4
	s_nop 1
	v_cndmask_b32_e32 v4, v6, v5, vcc
; %bb.1913:
	s_andn2_saveexec_b64 s[4:5], s[4:5]
; %bb.1914:
	s_mov_b32 s6, 0x46800000
	v_add_f32_e64 v4, |v2|, s6
; %bb.1915:
	s_or_b64 exec, exec, s[4:5]
                                        ; implicit-def: $vgpr5
.LBB288_1916:
	s_andn2_saveexec_b64 s[2:3], s[2:3]
; %bb.1917:
	s_mov_b32 s4, 0x7f800000
	v_mov_b32_e32 v4, 0x7e
	v_mov_b32_e32 v6, 0x7f
	v_cmp_lt_u32_e32 vcc, s4, v5
	s_nop 1
	v_cndmask_b32_e32 v4, v4, v6, vcc
; %bb.1918:
	s_or_b64 exec, exec, s[2:3]
	v_lshrrev_b32_e32 v2, 24, v2
	s_movk_i32 s2, 0x80
	v_and_or_b32 v2, v2, s2, v4
	global_store_byte v[0:1], v2, off
.LBB288_1919:
	s_mov_b64 s[2:3], 0
.LBB288_1920:
	s_andn2_b64 vcc, exec, s[2:3]
	s_cbranch_vccnz .LBB288_1930
; %bb.1921:
	v_cvt_f32_i32_sdwa v2, sext(v3) dst_sel:DWORD dst_unused:UNUSED_PAD src0_sel:WORD_0
	s_mov_b32 s2, 0x47800000
                                        ; implicit-def: $vgpr4
	v_and_b32_e32 v5, 0x7fffffff, v2
	v_cmp_gt_u32_e32 vcc, s2, v5
	s_and_saveexec_b64 s[2:3], vcc
	s_xor_b64 s[2:3], exec, s[2:3]
	s_cbranch_execz .LBB288_1927
; %bb.1922:
	s_mov_b32 s4, 0x387fffff
	v_cmp_lt_u32_e32 vcc, s4, v5
                                        ; implicit-def: $vgpr4
	s_and_saveexec_b64 s[4:5], vcc
	s_xor_b64 s[4:5], exec, s[4:5]
; %bb.1923:
	v_bfe_u32 v4, v2, 21, 1
	s_mov_b32 s6, 0x80fffff
	v_add3_u32 v4, v2, v4, s6
	v_lshrrev_b32_e32 v4, 21, v4
; %bb.1924:
	s_andn2_saveexec_b64 s[4:5], s[4:5]
; %bb.1925:
	s_mov_b32 s6, 0x43000000
	v_add_f32_e64 v4, |v2|, s6
; %bb.1926:
	s_or_b64 exec, exec, s[4:5]
                                        ; implicit-def: $vgpr5
.LBB288_1927:
	s_andn2_saveexec_b64 s[2:3], s[2:3]
; %bb.1928:
	s_mov_b32 s4, 0x7f800000
	v_mov_b32_e32 v4, 0x7c
	v_mov_b32_e32 v6, 0x7f
	v_cmp_lt_u32_e32 vcc, s4, v5
	s_nop 1
	v_cndmask_b32_e32 v4, v4, v6, vcc
; %bb.1929:
	s_or_b64 exec, exec, s[2:3]
	v_lshrrev_b32_e32 v2, 24, v2
	s_movk_i32 s2, 0x80
	v_and_or_b32 v2, v2, s2, v4
	global_store_byte v[0:1], v2, off
.LBB288_1930:
	s_mov_b64 s[2:3], 0
.LBB288_1931:
	s_andn2_b64 vcc, exec, s[2:3]
	s_mov_b64 s[2:3], 0
	s_cbranch_vccnz .LBB288_1938
; %bb.1932:
	s_cmp_gt_i32 s16, 14
	s_mov_b64 s[4:5], -1
	s_cbranch_scc0 .LBB288_1936
; %bb.1933:
	s_cmp_eq_u32 s16, 15
	s_mov_b64 s[0:1], -1
	s_cbranch_scc0 .LBB288_1935
; %bb.1934:
	v_cvt_f32_i32_sdwa v2, sext(v3) dst_sel:DWORD dst_unused:UNUSED_PAD src0_sel:WORD_0
	s_movk_i32 s0, 0x7fff
	v_bfe_u32 v4, v2, 16, 1
	v_add3_u32 v2, v2, v4, s0
	global_store_short_d16_hi v[0:1], v2, off
	s_mov_b64 s[0:1], 0
.LBB288_1935:
	s_mov_b64 s[4:5], 0
.LBB288_1936:
	s_and_b64 vcc, exec, s[4:5]
	s_cbranch_vccz .LBB288_1938
; %bb.1937:
	s_cmp_lg_u32 s16, 11
	s_mov_b64 s[2:3], -1
	s_cselect_b64 s[0:1], -1, 0
.LBB288_1938:
	s_and_b64 vcc, exec, s[0:1]
	s_cbranch_vccnz .LBB288_2004
.LBB288_1939:
	s_mov_b64 s[0:1], 0
	s_branch .LBB288_1941
.LBB288_1940:
	s_mov_b64 s[0:1], 0
	s_mov_b64 s[2:3], 0
                                        ; implicit-def: $sgpr20
                                        ; implicit-def: $vgpr0_vgpr1
                                        ; implicit-def: $vgpr3
.LBB288_1941:
	s_andn2_b64 s[4:5], s[12:13], exec
	s_and_b64 s[6:7], s[14:15], exec
	s_and_b64 s[0:1], s[0:1], exec
	;; [unrolled: 1-line block ×3, first 2 shown]
	s_or_b64 s[12:13], s[4:5], s[6:7]
.LBB288_1942:
	s_or_b64 exec, exec, s[10:11]
	s_and_saveexec_b64 s[4:5], s[12:13]
	s_cbranch_execz .LBB288_1945
; %bb.1943:
	; divergent unreachable
	s_or_b64 exec, exec, s[4:5]
	s_and_saveexec_b64 s[4:5], s[2:3]
	s_xor_b64 s[2:3], exec, s[4:5]
	s_cbranch_execnz .LBB288_1946
.LBB288_1944:
	s_or_b64 exec, exec, s[2:3]
	s_and_saveexec_b64 s[2:3], s[0:1]
	s_cbranch_execnz .LBB288_1947
	s_branch .LBB288_1984
.LBB288_1945:
	s_or_b64 exec, exec, s[4:5]
	s_and_saveexec_b64 s[4:5], s[2:3]
	s_xor_b64 s[2:3], exec, s[4:5]
	s_cbranch_execz .LBB288_1944
.LBB288_1946:
	s_waitcnt vmcnt(0)
	v_mov_b32_e32 v2, 0
	v_cmp_ne_u16_sdwa s[4:5], v3, v2 src0_sel:BYTE_0 src1_sel:DWORD
	s_nop 1
	v_cndmask_b32_e64 v2, 0, 1, s[4:5]
	global_store_byte v[0:1], v2, off
	s_or_b64 exec, exec, s[2:3]
	s_and_saveexec_b64 s[2:3], s[0:1]
	s_cbranch_execz .LBB288_1984
.LBB288_1947:
	s_sext_i32_i16 s2, s20
	s_cmp_lt_i32 s2, 5
	s_mov_b64 s[0:1], -1
	s_cbranch_scc1 .LBB288_1968
; %bb.1948:
	s_cmp_lt_i32 s2, 8
	s_cbranch_scc1 .LBB288_1958
; %bb.1949:
	s_cmp_lt_i32 s2, 9
	s_cbranch_scc1 .LBB288_1955
; %bb.1950:
	s_cmp_gt_i32 s2, 9
	s_cbranch_scc0 .LBB288_1952
; %bb.1951:
	s_waitcnt vmcnt(0)
	v_bfe_i32 v2, v3, 0, 8
	v_bfe_i32 v2, v2, 0, 16
	v_mov_b32_e32 v6, 0
	v_cvt_f64_i32_e32 v[4:5], v2
	v_mov_b32_e32 v7, v6
	global_store_dwordx4 v[0:1], v[4:7], off
	s_mov_b64 s[0:1], 0
.LBB288_1952:
	s_andn2_b64 vcc, exec, s[0:1]
	s_cbranch_vccnz .LBB288_1954
; %bb.1953:
	s_waitcnt vmcnt(0)
	v_bfe_i32 v2, v3, 0, 8
	v_cvt_f32_i32_sdwa v4, sext(v2) dst_sel:DWORD dst_unused:UNUSED_PAD src0_sel:WORD_0
	v_mov_b32_e32 v5, 0
	global_store_dwordx2 v[0:1], v[4:5], off
.LBB288_1954:
	s_mov_b64 s[0:1], 0
.LBB288_1955:
	s_andn2_b64 vcc, exec, s[0:1]
	s_cbranch_vccnz .LBB288_1957
; %bb.1956:
	s_waitcnt vmcnt(0)
	v_cvt_f16_i16_sdwa v2, sext(v3) dst_sel:DWORD dst_unused:UNUSED_PAD src0_sel:BYTE_0
	global_store_dword v[0:1], v2, off
.LBB288_1957:
	s_mov_b64 s[0:1], 0
.LBB288_1958:
	s_andn2_b64 vcc, exec, s[0:1]
	s_cbranch_vccnz .LBB288_1967
; %bb.1959:
	s_sext_i32_i16 s2, s20
	s_cmp_lt_i32 s2, 6
	s_mov_b64 s[0:1], -1
	s_cbranch_scc1 .LBB288_1965
; %bb.1960:
	s_cmp_gt_i32 s2, 6
	s_cbranch_scc0 .LBB288_1962
; %bb.1961:
	s_waitcnt vmcnt(0)
	v_bfe_i32 v2, v3, 0, 8
	v_bfe_i32 v2, v2, 0, 16
	v_cvt_f64_i32_e32 v[4:5], v2
	global_store_dwordx2 v[0:1], v[4:5], off
	s_mov_b64 s[0:1], 0
.LBB288_1962:
	s_andn2_b64 vcc, exec, s[0:1]
	s_cbranch_vccnz .LBB288_1964
; %bb.1963:
	s_waitcnt vmcnt(0)
	v_bfe_i32 v2, v3, 0, 8
	v_cvt_f32_i32_sdwa v2, sext(v2) dst_sel:DWORD dst_unused:UNUSED_PAD src0_sel:WORD_0
	global_store_dword v[0:1], v2, off
.LBB288_1964:
	s_mov_b64 s[0:1], 0
.LBB288_1965:
	s_andn2_b64 vcc, exec, s[0:1]
	s_cbranch_vccnz .LBB288_1967
; %bb.1966:
	s_waitcnt vmcnt(0)
	v_cvt_f16_i16_sdwa v2, sext(v3) dst_sel:DWORD dst_unused:UNUSED_PAD src0_sel:BYTE_0
	global_store_short v[0:1], v2, off
.LBB288_1967:
	s_mov_b64 s[0:1], 0
.LBB288_1968:
	s_andn2_b64 vcc, exec, s[0:1]
	s_cbranch_vccnz .LBB288_1984
; %bb.1969:
	s_sext_i32_i16 s2, s20
	s_cmp_lt_i32 s2, 2
	s_mov_b64 s[0:1], -1
	s_cbranch_scc1 .LBB288_1979
; %bb.1970:
	s_cmp_lt_i32 s2, 3
	s_cbranch_scc1 .LBB288_1976
; %bb.1971:
	s_cmp_gt_i32 s2, 3
	s_cbranch_scc0 .LBB288_1973
; %bb.1972:
	s_waitcnt vmcnt(0)
	v_bfe_i32 v4, v3, 0, 8
	v_ashrrev_i32_e32 v5, 31, v4
	global_store_dwordx2 v[0:1], v[4:5], off
	s_mov_b64 s[0:1], 0
.LBB288_1973:
	s_andn2_b64 vcc, exec, s[0:1]
	s_cbranch_vccnz .LBB288_1975
; %bb.1974:
	s_waitcnt vmcnt(0)
	v_bfe_i32 v2, v3, 0, 8
	global_store_dword v[0:1], v2, off
.LBB288_1975:
	s_mov_b64 s[0:1], 0
.LBB288_1976:
	s_andn2_b64 vcc, exec, s[0:1]
	s_cbranch_vccnz .LBB288_1978
; %bb.1977:
	s_waitcnt vmcnt(0)
	v_bfe_i32 v2, v3, 0, 8
	global_store_short v[0:1], v2, off
.LBB288_1978:
	s_mov_b64 s[0:1], 0
.LBB288_1979:
	s_andn2_b64 vcc, exec, s[0:1]
	s_cbranch_vccnz .LBB288_1984
; %bb.1980:
	s_sext_i32_i16 s0, s20
	s_cmp_gt_i32 s0, 0
	s_mov_b64 s[0:1], -1
	s_cbranch_scc0 .LBB288_1982
; %bb.1981:
	s_waitcnt vmcnt(0)
	global_store_byte v[0:1], v3, off
	s_mov_b64 s[0:1], 0
.LBB288_1982:
	s_andn2_b64 vcc, exec, s[0:1]
	s_cbranch_vccnz .LBB288_1984
; %bb.1983:
	s_waitcnt vmcnt(0)
	global_store_byte v[0:1], v3, off
	s_endpgm
.LBB288_1984:
	s_endpgm
.LBB288_1985:
	s_mov_b64 s[2:3], 0
	s_mov_b64 s[0:1], -1
	s_branch .LBB288_1941
.LBB288_1986:
	s_trap 2
	s_or_b64 s[14:15], s[14:15], exec
	s_cbranch_execz .LBB288_1455
	s_branch .LBB288_1456
.LBB288_1987:
	s_andn2_saveexec_b64 s[18:19], s[18:19]
	s_cbranch_execz .LBB288_1535
.LBB288_1988:
	s_mov_b32 s23, 0x46000000
	v_add_f32_e64 v5, |v3|, s23
	v_and_b32_e32 v5, 0xff, v5
	v_cmp_ne_u32_e32 vcc, 0, v5
	s_andn2_b64 s[16:17], s[16:17], exec
	s_and_b64 s[24:25], vcc, exec
	s_or_b64 s[16:17], s[16:17], s[24:25]
	s_or_b64 exec, exec, s[18:19]
	v_mov_b32_e32 v7, 0
	s_and_saveexec_b64 s[18:19], s[16:17]
	s_cbranch_execnz .LBB288_1536
	s_branch .LBB288_1537
.LBB288_1989:
	s_trap 2
	s_or_b64 s[14:15], s[14:15], exec
	s_cbranch_execz .LBB288_1583
	s_branch .LBB288_1584
.LBB288_1990:
	s_andn2_saveexec_b64 s[16:17], s[16:17]
	s_cbranch_execz .LBB288_1548
.LBB288_1991:
	s_mov_b32 s18, 0x42800000
	v_add_f32_e64 v5, |v3|, s18
	v_and_b32_e32 v5, 0xff, v5
	v_cmp_ne_u32_e32 vcc, 0, v5
	s_andn2_b64 s[6:7], s[6:7], exec
	s_and_b64 s[18:19], vcc, exec
	s_or_b64 s[6:7], s[6:7], s[18:19]
	s_or_b64 exec, exec, s[16:17]
	v_mov_b32_e32 v7, 0
	s_and_saveexec_b64 s[16:17], s[6:7]
	s_cbranch_execnz .LBB288_1549
	s_branch .LBB288_1550
.LBB288_1992:
	s_andn2_saveexec_b64 s[16:17], s[16:17]
	s_cbranch_execz .LBB288_1654
.LBB288_1993:
	s_mov_b32 s23, 0x46000000
	v_add_f32_e64 v5, |v3|, s23
	v_and_b32_e32 v5, 0xff, v5
	v_cmp_ne_u32_e32 vcc, 0, v5
	s_andn2_b64 s[8:9], s[8:9], exec
	s_and_b64 s[24:25], vcc, exec
	s_or_b64 s[8:9], s[8:9], s[24:25]
	s_or_b64 exec, exec, s[16:17]
	v_mov_b32_e32 v8, 0
	s_and_saveexec_b64 s[16:17], s[8:9]
	s_cbranch_execnz .LBB288_1655
	s_branch .LBB288_1656
.LBB288_1994:
	s_trap 2
	s_or_b64 s[14:15], s[14:15], exec
	s_cbranch_execz .LBB288_1702
	s_branch .LBB288_1703
.LBB288_1995:
	s_andn2_saveexec_b64 s[8:9], s[8:9]
	s_cbranch_execz .LBB288_1667
.LBB288_1996:
	s_mov_b32 s16, 0x42800000
	v_add_f32_e64 v5, |v3|, s16
	v_and_b32_e32 v5, 0xff, v5
	v_cmp_ne_u32_e32 vcc, 0, v5
	s_andn2_b64 s[6:7], s[6:7], exec
	s_and_b64 s[16:17], vcc, exec
	s_or_b64 s[6:7], s[6:7], s[16:17]
	s_or_b64 exec, exec, s[8:9]
	v_mov_b32_e32 v8, 0
	s_and_saveexec_b64 s[8:9], s[6:7]
	s_cbranch_execnz .LBB288_1668
	s_branch .LBB288_1669
.LBB288_1997:
	s_andn2_saveexec_b64 s[16:17], s[16:17]
	s_cbranch_execz .LBB288_1773
.LBB288_1998:
	s_mov_b32 s23, 0x46000000
	v_add_f32_e64 v6, |v3|, s23
	v_and_b32_e32 v6, 0xff, v6
	v_cmp_ne_u32_e32 vcc, 0, v6
	s_andn2_b64 s[8:9], s[8:9], exec
	s_and_b64 s[24:25], vcc, exec
	s_or_b64 s[8:9], s[8:9], s[24:25]
	s_or_b64 exec, exec, s[16:17]
	v_mov_b32_e32 v7, 0
	s_and_saveexec_b64 s[16:17], s[8:9]
	s_cbranch_execnz .LBB288_1774
	s_branch .LBB288_1775
.LBB288_1999:
	s_trap 2
	s_or_b64 s[14:15], s[14:15], exec
	s_cbranch_execz .LBB288_1821
	s_branch .LBB288_1822
.LBB288_2000:
	s_andn2_saveexec_b64 s[8:9], s[8:9]
	s_cbranch_execz .LBB288_1786
.LBB288_2001:
	s_mov_b32 s16, 0x42800000
	v_add_f32_e64 v6, |v3|, s16
	v_and_b32_e32 v6, 0xff, v6
	v_cmp_ne_u32_e32 vcc, 0, v6
	s_andn2_b64 s[6:7], s[6:7], exec
	s_and_b64 s[16:17], vcc, exec
	s_or_b64 s[6:7], s[6:7], s[16:17]
	s_or_b64 exec, exec, s[8:9]
	v_mov_b32_e32 v7, 0
	s_and_saveexec_b64 s[8:9], s[6:7]
	s_cbranch_execnz .LBB288_1787
	s_branch .LBB288_1788
.LBB288_2002:
	s_andn2_saveexec_b64 s[8:9], s[8:9]
	s_cbranch_execz .LBB288_1893
.LBB288_2003:
	s_mov_b32 s17, 0x46000000
	v_add_f32_e64 v4, |v2|, s17
	v_and_b32_e32 v4, 0xff, v4
	v_cmp_ne_u32_e32 vcc, 0, v4
	s_andn2_b64 s[6:7], s[6:7], exec
	s_and_b64 s[18:19], vcc, exec
	s_or_b64 s[6:7], s[6:7], s[18:19]
	s_or_b64 exec, exec, s[8:9]
	v_mov_b32_e32 v5, 0
	s_and_saveexec_b64 s[8:9], s[6:7]
	s_cbranch_execnz .LBB288_1894
	s_branch .LBB288_1895
.LBB288_2004:
	s_mov_b64 s[2:3], 0
	s_or_b64 s[14:15], s[14:15], exec
	s_trap 2
	s_branch .LBB288_1939
.LBB288_2005:
	s_andn2_saveexec_b64 s[6:7], s[6:7]
	s_cbranch_execz .LBB288_1905
.LBB288_2006:
	s_mov_b32 s8, 0x42800000
	v_add_f32_e64 v4, |v2|, s8
	v_and_b32_e32 v4, 0xff, v4
	v_cmp_ne_u32_e32 vcc, 0, v4
	s_andn2_b64 s[4:5], s[4:5], exec
	s_and_b64 s[8:9], vcc, exec
	s_or_b64 s[4:5], s[4:5], s[8:9]
	s_or_b64 exec, exec, s[6:7]
	v_mov_b32_e32 v5, 0
	s_and_saveexec_b64 s[6:7], s[4:5]
	s_cbranch_execnz .LBB288_1906
	s_branch .LBB288_1907
	.section	.rodata,"a",@progbits
	.p2align	6, 0x0
	.amdhsa_kernel _ZN2at6native32elementwise_kernel_manual_unrollILi128ELi4EZNS0_15gpu_kernel_implIZZZNS0_17clamp_kernel_cudaERNS_18TensorIteratorBaseERKN3c106ScalarES8_ENKUlvE_clEvENKUlvE0_clEvEUlaE_EEvS4_RKT_EUlibE_EEviT1_
		.amdhsa_group_segment_fixed_size 0
		.amdhsa_private_segment_fixed_size 0
		.amdhsa_kernarg_size 40
		.amdhsa_user_sgpr_count 2
		.amdhsa_user_sgpr_dispatch_ptr 0
		.amdhsa_user_sgpr_queue_ptr 0
		.amdhsa_user_sgpr_kernarg_segment_ptr 1
		.amdhsa_user_sgpr_dispatch_id 0
		.amdhsa_user_sgpr_kernarg_preload_length 0
		.amdhsa_user_sgpr_kernarg_preload_offset 0
		.amdhsa_user_sgpr_private_segment_size 0
		.amdhsa_uses_dynamic_stack 0
		.amdhsa_enable_private_segment 0
		.amdhsa_system_sgpr_workgroup_id_x 1
		.amdhsa_system_sgpr_workgroup_id_y 0
		.amdhsa_system_sgpr_workgroup_id_z 0
		.amdhsa_system_sgpr_workgroup_info 0
		.amdhsa_system_vgpr_workitem_id 0
		.amdhsa_next_free_vgpr 14
		.amdhsa_next_free_sgpr 48
		.amdhsa_accum_offset 16
		.amdhsa_reserve_vcc 1
		.amdhsa_float_round_mode_32 0
		.amdhsa_float_round_mode_16_64 0
		.amdhsa_float_denorm_mode_32 3
		.amdhsa_float_denorm_mode_16_64 3
		.amdhsa_dx10_clamp 1
		.amdhsa_ieee_mode 1
		.amdhsa_fp16_overflow 0
		.amdhsa_tg_split 0
		.amdhsa_exception_fp_ieee_invalid_op 0
		.amdhsa_exception_fp_denorm_src 0
		.amdhsa_exception_fp_ieee_div_zero 0
		.amdhsa_exception_fp_ieee_overflow 0
		.amdhsa_exception_fp_ieee_underflow 0
		.amdhsa_exception_fp_ieee_inexact 0
		.amdhsa_exception_int_div_zero 0
	.end_amdhsa_kernel
	.section	.text._ZN2at6native32elementwise_kernel_manual_unrollILi128ELi4EZNS0_15gpu_kernel_implIZZZNS0_17clamp_kernel_cudaERNS_18TensorIteratorBaseERKN3c106ScalarES8_ENKUlvE_clEvENKUlvE0_clEvEUlaE_EEvS4_RKT_EUlibE_EEviT1_,"axG",@progbits,_ZN2at6native32elementwise_kernel_manual_unrollILi128ELi4EZNS0_15gpu_kernel_implIZZZNS0_17clamp_kernel_cudaERNS_18TensorIteratorBaseERKN3c106ScalarES8_ENKUlvE_clEvENKUlvE0_clEvEUlaE_EEvS4_RKT_EUlibE_EEviT1_,comdat
.Lfunc_end288:
	.size	_ZN2at6native32elementwise_kernel_manual_unrollILi128ELi4EZNS0_15gpu_kernel_implIZZZNS0_17clamp_kernel_cudaERNS_18TensorIteratorBaseERKN3c106ScalarES8_ENKUlvE_clEvENKUlvE0_clEvEUlaE_EEvS4_RKT_EUlibE_EEviT1_, .Lfunc_end288-_ZN2at6native32elementwise_kernel_manual_unrollILi128ELi4EZNS0_15gpu_kernel_implIZZZNS0_17clamp_kernel_cudaERNS_18TensorIteratorBaseERKN3c106ScalarES8_ENKUlvE_clEvENKUlvE0_clEvEUlaE_EEvS4_RKT_EUlibE_EEviT1_
                                        ; -- End function
	.set _ZN2at6native32elementwise_kernel_manual_unrollILi128ELi4EZNS0_15gpu_kernel_implIZZZNS0_17clamp_kernel_cudaERNS_18TensorIteratorBaseERKN3c106ScalarES8_ENKUlvE_clEvENKUlvE0_clEvEUlaE_EEvS4_RKT_EUlibE_EEviT1_.num_vgpr, 14
	.set _ZN2at6native32elementwise_kernel_manual_unrollILi128ELi4EZNS0_15gpu_kernel_implIZZZNS0_17clamp_kernel_cudaERNS_18TensorIteratorBaseERKN3c106ScalarES8_ENKUlvE_clEvENKUlvE0_clEvEUlaE_EEvS4_RKT_EUlibE_EEviT1_.num_agpr, 0
	.set _ZN2at6native32elementwise_kernel_manual_unrollILi128ELi4EZNS0_15gpu_kernel_implIZZZNS0_17clamp_kernel_cudaERNS_18TensorIteratorBaseERKN3c106ScalarES8_ENKUlvE_clEvENKUlvE0_clEvEUlaE_EEvS4_RKT_EUlibE_EEviT1_.numbered_sgpr, 48
	.set _ZN2at6native32elementwise_kernel_manual_unrollILi128ELi4EZNS0_15gpu_kernel_implIZZZNS0_17clamp_kernel_cudaERNS_18TensorIteratorBaseERKN3c106ScalarES8_ENKUlvE_clEvENKUlvE0_clEvEUlaE_EEvS4_RKT_EUlibE_EEviT1_.num_named_barrier, 0
	.set _ZN2at6native32elementwise_kernel_manual_unrollILi128ELi4EZNS0_15gpu_kernel_implIZZZNS0_17clamp_kernel_cudaERNS_18TensorIteratorBaseERKN3c106ScalarES8_ENKUlvE_clEvENKUlvE0_clEvEUlaE_EEvS4_RKT_EUlibE_EEviT1_.private_seg_size, 0
	.set _ZN2at6native32elementwise_kernel_manual_unrollILi128ELi4EZNS0_15gpu_kernel_implIZZZNS0_17clamp_kernel_cudaERNS_18TensorIteratorBaseERKN3c106ScalarES8_ENKUlvE_clEvENKUlvE0_clEvEUlaE_EEvS4_RKT_EUlibE_EEviT1_.uses_vcc, 1
	.set _ZN2at6native32elementwise_kernel_manual_unrollILi128ELi4EZNS0_15gpu_kernel_implIZZZNS0_17clamp_kernel_cudaERNS_18TensorIteratorBaseERKN3c106ScalarES8_ENKUlvE_clEvENKUlvE0_clEvEUlaE_EEvS4_RKT_EUlibE_EEviT1_.uses_flat_scratch, 0
	.set _ZN2at6native32elementwise_kernel_manual_unrollILi128ELi4EZNS0_15gpu_kernel_implIZZZNS0_17clamp_kernel_cudaERNS_18TensorIteratorBaseERKN3c106ScalarES8_ENKUlvE_clEvENKUlvE0_clEvEUlaE_EEvS4_RKT_EUlibE_EEviT1_.has_dyn_sized_stack, 0
	.set _ZN2at6native32elementwise_kernel_manual_unrollILi128ELi4EZNS0_15gpu_kernel_implIZZZNS0_17clamp_kernel_cudaERNS_18TensorIteratorBaseERKN3c106ScalarES8_ENKUlvE_clEvENKUlvE0_clEvEUlaE_EEvS4_RKT_EUlibE_EEviT1_.has_recursion, 0
	.set _ZN2at6native32elementwise_kernel_manual_unrollILi128ELi4EZNS0_15gpu_kernel_implIZZZNS0_17clamp_kernel_cudaERNS_18TensorIteratorBaseERKN3c106ScalarES8_ENKUlvE_clEvENKUlvE0_clEvEUlaE_EEvS4_RKT_EUlibE_EEviT1_.has_indirect_call, 0
	.section	.AMDGPU.csdata,"",@progbits
; Kernel info:
; codeLenInByte = 30292
; TotalNumSgprs: 54
; NumVgprs: 14
; NumAgprs: 0
; TotalNumVgprs: 14
; ScratchSize: 0
; MemoryBound: 1
; FloatMode: 240
; IeeeMode: 1
; LDSByteSize: 0 bytes/workgroup (compile time only)
; SGPRBlocks: 6
; VGPRBlocks: 1
; NumSGPRsForWavesPerEU: 54
; NumVGPRsForWavesPerEU: 14
; AccumOffset: 16
; Occupancy: 8
; WaveLimiterHint : 0
; COMPUTE_PGM_RSRC2:SCRATCH_EN: 0
; COMPUTE_PGM_RSRC2:USER_SGPR: 2
; COMPUTE_PGM_RSRC2:TRAP_HANDLER: 0
; COMPUTE_PGM_RSRC2:TGID_X_EN: 1
; COMPUTE_PGM_RSRC2:TGID_Y_EN: 0
; COMPUTE_PGM_RSRC2:TGID_Z_EN: 0
; COMPUTE_PGM_RSRC2:TIDIG_COMP_CNT: 0
; COMPUTE_PGM_RSRC3_GFX90A:ACCUM_OFFSET: 3
; COMPUTE_PGM_RSRC3_GFX90A:TG_SPLIT: 0
	.section	.text._ZN2at6native32elementwise_kernel_manual_unrollILi128ELi4EZNS0_15gpu_kernel_implIZZZNS0_17clamp_kernel_cudaERNS_18TensorIteratorBaseERKN3c106ScalarES8_ENKUlvE_clEvENKUlvE0_clEvEUlaE_EEvS4_RKT_EUlibE0_EEviT1_,"axG",@progbits,_ZN2at6native32elementwise_kernel_manual_unrollILi128ELi4EZNS0_15gpu_kernel_implIZZZNS0_17clamp_kernel_cudaERNS_18TensorIteratorBaseERKN3c106ScalarES8_ENKUlvE_clEvENKUlvE0_clEvEUlaE_EEvS4_RKT_EUlibE0_EEviT1_,comdat
	.globl	_ZN2at6native32elementwise_kernel_manual_unrollILi128ELi4EZNS0_15gpu_kernel_implIZZZNS0_17clamp_kernel_cudaERNS_18TensorIteratorBaseERKN3c106ScalarES8_ENKUlvE_clEvENKUlvE0_clEvEUlaE_EEvS4_RKT_EUlibE0_EEviT1_ ; -- Begin function _ZN2at6native32elementwise_kernel_manual_unrollILi128ELi4EZNS0_15gpu_kernel_implIZZZNS0_17clamp_kernel_cudaERNS_18TensorIteratorBaseERKN3c106ScalarES8_ENKUlvE_clEvENKUlvE0_clEvEUlaE_EEvS4_RKT_EUlibE0_EEviT1_
	.p2align	8
	.type	_ZN2at6native32elementwise_kernel_manual_unrollILi128ELi4EZNS0_15gpu_kernel_implIZZZNS0_17clamp_kernel_cudaERNS_18TensorIteratorBaseERKN3c106ScalarES8_ENKUlvE_clEvENKUlvE0_clEvEUlaE_EEvS4_RKT_EUlibE0_EEviT1_,@function
_ZN2at6native32elementwise_kernel_manual_unrollILi128ELi4EZNS0_15gpu_kernel_implIZZZNS0_17clamp_kernel_cudaERNS_18TensorIteratorBaseERKN3c106ScalarES8_ENKUlvE_clEvENKUlvE0_clEvEUlaE_EEvS4_RKT_EUlibE0_EEviT1_: ; @_ZN2at6native32elementwise_kernel_manual_unrollILi128ELi4EZNS0_15gpu_kernel_implIZZZNS0_17clamp_kernel_cudaERNS_18TensorIteratorBaseERKN3c106ScalarES8_ENKUlvE_clEvENKUlvE0_clEvEUlaE_EEvS4_RKT_EUlibE0_EEviT1_
; %bb.0:
	s_load_dword s70, s[0:1], 0x0
	s_load_dword s33, s[0:1], 0x8
	s_add_u32 s34, s0, 8
	s_addc_u32 s35, s1, 0
	v_lshl_or_b32 v8, s2, 9, v0
	v_or_b32_e32 v16, 0x180, v8
	s_waitcnt lgkmcnt(0)
	s_add_i32 s72, s33, -1
	s_cmp_gt_u32 s72, 1
	v_cmp_le_i32_e32 vcc, s70, v16
	s_cselect_b64 s[42:43], -1, 0
	s_mov_b64 s[40:41], 0
	s_mov_b64 s[24:25], 0
	s_and_saveexec_b64 s[2:3], vcc
	s_xor_b64 s[44:45], exec, s[2:3]
	s_cbranch_execz .LBB289_1074
; %bb.1:
	s_load_dwordx4 s[24:27], s[34:35], 0x4
	s_load_dwordx2 s[46:47], s[34:35], 0x14
	s_load_dword s74, s[34:35], 0x158
	s_cmp_lg_u32 s33, 0
	s_load_dwordx4 s[28:31], s[34:35], 0xc4
	s_load_dwordx4 s[20:23], s[34:35], 0x148
	s_cselect_b64 s[52:53], -1, 0
	s_add_u32 s50, s34, 0xc4
	s_addc_u32 s51, s35, 0
	s_min_u32 s77, s72, 15
	s_cmp_gt_u32 s33, 1
	s_cselect_b64 s[48:49], -1, 0
	s_waitcnt lgkmcnt(0)
	s_lshr_b32 s73, s74, 16
	s_lshr_b32 s75, s74, 8
	;; [unrolled: 1-line block ×3, first 2 shown]
	v_cmp_gt_i32_e32 vcc, s70, v8
	s_mov_b64 s[4:5], -1
	s_mov_b64 s[62:63], 0
	s_mov_b64 s[56:57], 0
	;; [unrolled: 1-line block ×3, first 2 shown]
	s_and_saveexec_b64 s[58:59], vcc
	s_cbranch_execz .LBB289_263
; %bb.2:
	s_andn2_b64 vcc, exec, s[42:43]
	s_cbranch_vccnz .LBB289_8
; %bb.3:
	s_andn2_b64 vcc, exec, s[52:53]
	s_cbranch_vccnz .LBB289_9
; %bb.4:
	s_add_i32 s57, s77, 1
	s_cmp_eq_u32 s72, 2
	s_cbranch_scc1 .LBB289_10
; %bb.5:
	s_and_b32 s56, s57, 28
	s_mov_b32 s60, 0
	v_mov_b32_e32 v0, 0
	v_mov_b32_e32 v2, 0
	s_mov_b64 s[2:3], s[34:35]
	s_mov_b64 s[54:55], s[50:51]
	v_mov_b32_e32 v4, v8
.LBB289_6:                              ; =>This Inner Loop Header: Depth=1
	s_load_dwordx8 s[12:19], s[2:3], 0x4
	s_load_dwordx4 s[36:39], s[2:3], 0x24
	s_load_dwordx8 s[4:11], s[54:55], 0x0
	s_add_u32 s2, s2, 48
	s_addc_u32 s3, s3, 0
	s_waitcnt lgkmcnt(0)
	v_mul_hi_u32 v1, s13, v4
	v_add_u32_e32 v1, v4, v1
	v_lshrrev_b32_e32 v1, s14, v1
	v_mul_lo_u32 v3, v1, s12
	v_mul_hi_u32 v5, s16, v1
	v_sub_u32_e32 v3, v4, v3
	v_add_u32_e32 v4, v1, v5
	v_lshrrev_b32_e32 v4, s17, v4
	v_mul_lo_u32 v6, v4, s15
	v_mul_hi_u32 v7, s19, v4
	v_sub_u32_e32 v1, v1, v6
	v_add_u32_e32 v6, v4, v7
	v_mul_lo_u32 v5, v3, s5
	v_mul_lo_u32 v3, v3, s4
	;; [unrolled: 1-line block ×4, first 2 shown]
	v_lshrrev_b32_e32 v6, s36, v6
	v_add3_u32 v0, v3, v0, v1
	v_mul_hi_u32 v3, s38, v6
	v_add3_u32 v1, v5, v2, v7
	v_mul_lo_u32 v2, v6, s18
	v_add_u32_e32 v3, v6, v3
	v_sub_u32_e32 v2, v4, v2
	v_lshrrev_b32_e32 v4, s39, v3
	s_add_i32 s60, s60, 4
	v_mul_lo_u32 v3, v4, s37
	s_add_u32 s54, s54, 32
	v_sub_u32_e32 v3, v6, v3
	s_addc_u32 s55, s55, 0
	v_mul_lo_u32 v5, v2, s8
	v_mul_lo_u32 v2, v2, s9
	;; [unrolled: 1-line block ×4, first 2 shown]
	s_cmp_lg_u32 s56, s60
	v_add3_u32 v2, v2, v1, v3
	v_add3_u32 v0, v5, v0, v6
	s_cbranch_scc1 .LBB289_6
; %bb.7:
	v_mov_b32_e32 v1, v2
	s_branch .LBB289_11
.LBB289_8:
                                        ; implicit-def: $vgpr2
                                        ; implicit-def: $vgpr0
	s_branch .LBB289_15
.LBB289_9:
	v_mov_b32_e32 v2, 0
	v_mov_b32_e32 v0, 0
	s_branch .LBB289_14
.LBB289_10:
	v_mov_b32_e32 v0, 0
	s_mov_b32 s56, 0
	v_mov_b32_e32 v1, v0
                                        ; implicit-def: $vgpr2
	v_mov_b32_e32 v4, v8
.LBB289_11:
	s_and_b32 s6, s57, 3
	s_cmp_eq_u32 s6, 0
	s_cbranch_scc1 .LBB289_14
; %bb.12:
	s_lshl_b32 s2, s56, 3
	s_add_u32 s2, s34, s2
	s_addc_u32 s3, s35, 0
	s_add_u32 s2, s2, 0xc4
	s_addc_u32 s3, s3, 0
	s_mul_i32 s4, s56, 12
	s_add_u32 s4, s34, s4
	s_addc_u32 s5, s35, 0
.LBB289_13:                             ; =>This Inner Loop Header: Depth=1
	s_load_dwordx2 s[8:9], s[4:5], 0x4
	s_load_dword s7, s[4:5], 0xc
	s_load_dwordx2 s[10:11], s[2:3], 0x0
	v_mov_b32_e32 v2, v1
	s_add_u32 s4, s4, 12
	s_waitcnt lgkmcnt(0)
	v_mul_hi_u32 v1, s9, v4
	v_add_u32_e32 v1, v4, v1
	v_lshrrev_b32_e32 v1, s7, v1
	s_addc_u32 s5, s5, 0
	v_mul_lo_u32 v3, v1, s8
	s_add_u32 s2, s2, 8
	v_sub_u32_e32 v5, v4, v3
	s_addc_u32 s3, s3, 0
	s_add_i32 s6, s6, -1
	v_mov_b32_e32 v4, v1
	v_mad_u64_u32 v[2:3], s[8:9], v5, s11, v[2:3]
	v_mad_u64_u32 v[0:1], s[8:9], v5, s10, v[0:1]
	s_cmp_lg_u32 s6, 0
	v_mov_b32_e32 v1, v2
	s_cbranch_scc1 .LBB289_13
.LBB289_14:
	s_cbranch_execnz .LBB289_17
.LBB289_15:
	v_mul_hi_u32 v0, s25, v8
	v_add_u32_e32 v0, v8, v0
	v_lshrrev_b32_e32 v1, s26, v0
	v_mul_lo_u32 v0, v1, s24
	v_sub_u32_e32 v0, v8, v0
	v_mul_lo_u32 v2, v0, s29
	s_andn2_b64 vcc, exec, s[48:49]
	v_mul_lo_u32 v0, v0, s28
	s_cbranch_vccnz .LBB289_17
; %bb.16:
	v_mul_hi_u32 v3, s46, v1
	v_add_u32_e32 v3, v1, v3
	v_lshrrev_b32_e32 v3, s47, v3
	v_mul_lo_u32 v3, v3, s27
	v_sub_u32_e32 v3, v1, v3
	v_mad_u64_u32 v[0:1], s[2:3], v3, s30, v[0:1]
	v_mad_u64_u32 v[2:3], s[2:3], v3, s31, v[2:3]
.LBB289_17:
	v_mov_b32_e32 v3, 0
	s_and_b32 s8, 0xffff, s76
	s_cmp_lt_i32 s8, 11
	v_lshl_add_u64 v[2:3], s[22:23], 0, v[2:3]
	s_cbranch_scc1 .LBB289_24
; %bb.18:
	s_cmp_gt_i32 s8, 25
	s_cbranch_scc0 .LBB289_33
; %bb.19:
	s_cmp_gt_i32 s8, 28
	s_cbranch_scc0 .LBB289_36
	;; [unrolled: 3-line block ×4, first 2 shown]
; %bb.22:
	s_cmp_eq_u32 s8, 46
	s_mov_b64 s[6:7], 0
	s_cbranch_scc0 .LBB289_42
; %bb.23:
	global_load_dword v1, v[2:3], off
	s_mov_b64 s[2:3], -1
	s_mov_b64 s[4:5], 0
	s_waitcnt vmcnt(0)
	v_lshlrev_b32_e32 v1, 16, v1
	v_cvt_i32_f32_e32 v4, v1
	s_branch .LBB289_44
.LBB289_24:
	s_mov_b64 s[4:5], 0
                                        ; implicit-def: $vgpr4
	s_mov_b64 s[2:3], 0
	s_cbranch_execnz .LBB289_213
.LBB289_25:
	s_andn2_b64 vcc, exec, s[2:3]
	s_cbranch_vccnz .LBB289_260
.LBB289_26:
	s_bfe_i32 s2, s74, 0x80000
	s_waitcnt vmcnt(0)
	v_max_i16_sdwa v1, sext(v4), s2 dst_sel:DWORD dst_unused:UNUSED_PAD src0_sel:BYTE_0 src1_sel:DWORD
	s_bfe_i32 s2, s75, 0x80000
	v_min_i16_e32 v4, s2, v1
	v_mov_b32_e32 v1, 0
	s_and_b32 s12, s73, 0xff
	s_cmp_lt_i32 s12, 11
	v_lshl_add_u64 v[0:1], s[20:21], 0, v[0:1]
	s_cbranch_scc1 .LBB289_34
; %bb.27:
	s_and_b32 s13, 0xffff, s12
	s_cmp_gt_i32 s13, 25
	s_cbranch_scc0 .LBB289_37
; %bb.28:
	s_cmp_gt_i32 s13, 28
	s_cbranch_scc0 .LBB289_39
; %bb.29:
	;; [unrolled: 3-line block ×4, first 2 shown]
	s_mov_b64 s[8:9], 0
	s_mov_b64 s[2:3], -1
	s_cmp_eq_u32 s13, 46
	s_mov_b64 s[6:7], 0
	s_cbranch_scc0 .LBB289_48
; %bb.32:
	v_cvt_f32_i32_sdwa v2, sext(v4) dst_sel:DWORD dst_unused:UNUSED_PAD src0_sel:WORD_0
	s_movk_i32 s2, 0x7fff
	s_mov_b64 s[6:7], -1
	v_bfe_u32 v3, v2, 16, 1
	v_add3_u32 v2, v2, v3, s2
	v_lshrrev_b32_e32 v2, 16, v2
	global_store_dword v[0:1], v2, off
	s_mov_b64 s[2:3], 0
	s_branch .LBB289_48
.LBB289_33:
	s_mov_b64 s[4:5], 0
	s_mov_b64 s[2:3], 0
                                        ; implicit-def: $vgpr4
	s_cbranch_execnz .LBB289_180
	s_branch .LBB289_212
.LBB289_34:
	s_mov_b64 s[2:3], 0
	s_mov_b64 s[6:7], 0
	s_cbranch_execnz .LBB289_117
.LBB289_35:
	s_andn2_b64 vcc, exec, s[6:7]
	s_cbranch_vccnz .LBB289_261
	s_branch .LBB289_155
.LBB289_36:
	s_mov_b64 s[6:7], -1
	s_mov_b64 s[4:5], 0
	s_mov_b64 s[2:3], 0
                                        ; implicit-def: $vgpr4
	s_branch .LBB289_163
.LBB289_37:
	s_mov_b64 s[8:9], -1
	s_mov_b64 s[2:3], 0
	s_mov_b64 s[6:7], 0
	s_branch .LBB289_75
.LBB289_38:
	s_mov_b64 s[6:7], -1
	s_mov_b64 s[4:5], 0
	s_mov_b64 s[2:3], 0
                                        ; implicit-def: $vgpr4
	s_branch .LBB289_158
.LBB289_39:
	s_mov_b64 s[8:9], -1
	s_mov_b64 s[2:3], 0
	s_mov_b64 s[6:7], 0
	s_branch .LBB289_58
.LBB289_40:
	s_mov_b64 s[6:7], -1
	s_mov_b64 s[4:5], 0
	s_branch .LBB289_43
.LBB289_41:
	s_mov_b64 s[8:9], -1
	s_mov_b64 s[2:3], 0
	s_mov_b64 s[6:7], 0
	s_branch .LBB289_54
.LBB289_42:
	s_mov_b64 s[4:5], -1
.LBB289_43:
	s_mov_b64 s[2:3], 0
                                        ; implicit-def: $vgpr4
.LBB289_44:
	s_and_b64 vcc, exec, s[6:7]
	s_cbranch_vccz .LBB289_157
; %bb.45:
	s_cmp_eq_u32 s8, 44
	s_cbranch_scc0 .LBB289_156
; %bb.46:
	global_load_ubyte v1, v[2:3], off
	s_mov_b64 s[2:3], -1
	s_mov_b64 s[4:5], 0
	s_waitcnt vmcnt(0)
	v_lshlrev_b32_e32 v4, 23, v1
	v_cvt_i32_f32_e32 v4, v4
	v_cmp_ne_u32_e32 vcc, 0, v1
	s_nop 1
	v_cndmask_b32_e32 v4, 0, v4, vcc
	s_branch .LBB289_157
.LBB289_47:
	s_mov_b64 s[8:9], -1
	s_mov_b64 s[2:3], 0
	s_mov_b64 s[6:7], 0
.LBB289_48:
	s_and_b64 vcc, exec, s[8:9]
	s_cbranch_vccz .LBB289_53
; %bb.49:
	s_cmp_eq_u32 s13, 44
	s_mov_b64 s[2:3], -1
	s_cbranch_scc0 .LBB289_53
; %bb.50:
	v_cvt_f32_i32_sdwa v2, sext(v4) dst_sel:DWORD dst_unused:UNUSED_PAD src0_sel:WORD_0
	s_movk_i32 s2, 0xff
	v_mov_b32_e32 v5, 0xff
	v_bfe_u32 v3, v2, 23, 8
	v_cmp_ne_u32_e32 vcc, s2, v3
	s_and_saveexec_b64 s[6:7], vcc
; %bb.51:
	s_mov_b32 s2, 0x3fffff
	v_lshrrev_b32_e32 v5, 23, v2
	v_and_b32_e32 v6, 0x400000, v2
	v_and_or_b32 v2, v2, s2, v3
	v_cmp_ne_u32_e32 vcc, 0, v6
	v_cmp_ne_u32_e64 s[2:3], 0, v2
	s_and_b64 s[2:3], vcc, s[2:3]
	s_nop 0
	v_cndmask_b32_e64 v2, 0, 1, s[2:3]
	v_add_u32_e32 v5, v5, v2
; %bb.52:
	s_or_b64 exec, exec, s[6:7]
	s_mov_b64 s[6:7], -1
	s_mov_b64 s[2:3], 0
	global_store_byte v[0:1], v5, off
.LBB289_53:
	s_mov_b64 s[8:9], 0
.LBB289_54:
	s_and_b64 vcc, exec, s[8:9]
	s_cbranch_vccz .LBB289_57
; %bb.55:
	s_cmp_eq_u32 s13, 29
	s_mov_b64 s[2:3], -1
	s_cbranch_scc0 .LBB289_57
; %bb.56:
	v_bfe_i32 v2, v4, 0, 16
	v_ashrrev_i32_e32 v3, 31, v2
	global_store_dwordx2 v[0:1], v[2:3], off
	s_mov_b64 s[6:7], -1
	s_mov_b64 s[2:3], 0
.LBB289_57:
	s_mov_b64 s[8:9], 0
.LBB289_58:
	s_and_b64 vcc, exec, s[8:9]
	s_cbranch_vccz .LBB289_74
; %bb.59:
	s_cmp_lt_i32 s13, 27
	s_mov_b64 s[6:7], -1
	s_cbranch_scc1 .LBB289_65
; %bb.60:
	s_cmp_gt_i32 s13, 27
	s_cbranch_scc0 .LBB289_62
; %bb.61:
	v_bfe_i32 v2, v4, 0, 16
	s_mov_b64 s[6:7], 0
	global_store_dword v[0:1], v2, off
.LBB289_62:
	s_andn2_b64 vcc, exec, s[6:7]
	s_cbranch_vccnz .LBB289_64
; %bb.63:
	global_store_short v[0:1], v4, off
.LBB289_64:
	s_mov_b64 s[6:7], 0
.LBB289_65:
	s_andn2_b64 vcc, exec, s[6:7]
	s_cbranch_vccnz .LBB289_73
; %bb.66:
	v_cvt_f32_i32_sdwa v2, sext(v4) dst_sel:DWORD dst_unused:UNUSED_PAD src0_sel:WORD_0
	s_mov_b32 s6, 0x43800000
	v_mov_b32_e32 v5, 0x80
	v_and_b32_e32 v3, 0x7fffffff, v2
	v_cmp_gt_u32_e32 vcc, s6, v3
	s_and_saveexec_b64 s[6:7], vcc
	s_cbranch_execz .LBB289_72
; %bb.67:
	s_mov_b32 s8, 0x3bffffff
	v_cmp_lt_u32_e32 vcc, s8, v3
	s_mov_b64 s[8:9], 0
                                        ; implicit-def: $vgpr3
	s_and_saveexec_b64 s[10:11], vcc
	s_xor_b64 s[10:11], exec, s[10:11]
	s_cbranch_execz .LBB289_305
; %bb.68:
	v_bfe_u32 v3, v2, 20, 1
	s_mov_b32 s14, 0x487ffff
	v_add3_u32 v3, v2, v3, s14
	s_mov_b64 s[8:9], exec
	v_lshrrev_b32_e32 v3, 20, v3
	s_andn2_saveexec_b64 s[10:11], s[10:11]
	s_cbranch_execnz .LBB289_306
.LBB289_69:
	s_or_b64 exec, exec, s[10:11]
	v_mov_b32_e32 v5, 0
	s_and_saveexec_b64 s[10:11], s[8:9]
.LBB289_70:
	v_lshrrev_b32_e32 v2, 24, v2
	s_movk_i32 s8, 0x80
	v_and_or_b32 v5, v2, s8, v3
.LBB289_71:
	s_or_b64 exec, exec, s[10:11]
.LBB289_72:
	s_or_b64 exec, exec, s[6:7]
	global_store_byte v[0:1], v5, off
.LBB289_73:
	s_mov_b64 s[6:7], -1
.LBB289_74:
	s_mov_b64 s[8:9], 0
.LBB289_75:
	s_and_b64 vcc, exec, s[8:9]
	s_cbranch_vccz .LBB289_116
; %bb.76:
	s_cmp_gt_i32 s13, 22
	s_mov_b64 s[8:9], -1
	s_cbranch_scc0 .LBB289_108
; %bb.77:
	s_cmp_lt_i32 s13, 24
	s_mov_b64 s[6:7], -1
	s_cbranch_scc1 .LBB289_97
; %bb.78:
	s_cmp_gt_i32 s13, 24
	s_cbranch_scc0 .LBB289_86
; %bb.79:
	v_cvt_f32_i32_sdwa v2, sext(v4) dst_sel:DWORD dst_unused:UNUSED_PAD src0_sel:WORD_0
	s_mov_b32 s6, 0x47800000
	v_mov_b32_e32 v5, 0x80
	v_and_b32_e32 v3, 0x7fffffff, v2
	v_cmp_gt_u32_e32 vcc, s6, v3
	s_and_saveexec_b64 s[6:7], vcc
	s_cbranch_execz .LBB289_85
; %bb.80:
	s_mov_b32 s8, 0x37ffffff
	v_cmp_lt_u32_e32 vcc, s8, v3
	s_mov_b64 s[8:9], 0
                                        ; implicit-def: $vgpr3
	s_and_saveexec_b64 s[10:11], vcc
	s_xor_b64 s[10:11], exec, s[10:11]
	s_cbranch_execz .LBB289_309
; %bb.81:
	v_bfe_u32 v3, v2, 21, 1
	s_mov_b32 s14, 0x88fffff
	v_add3_u32 v3, v2, v3, s14
	s_mov_b64 s[8:9], exec
	v_lshrrev_b32_e32 v3, 21, v3
	s_andn2_saveexec_b64 s[10:11], s[10:11]
	s_cbranch_execnz .LBB289_310
.LBB289_82:
	s_or_b64 exec, exec, s[10:11]
	v_mov_b32_e32 v5, 0
	s_and_saveexec_b64 s[10:11], s[8:9]
.LBB289_83:
	v_lshrrev_b32_e32 v2, 24, v2
	s_movk_i32 s8, 0x80
	v_and_or_b32 v5, v2, s8, v3
.LBB289_84:
	s_or_b64 exec, exec, s[10:11]
.LBB289_85:
	s_or_b64 exec, exec, s[6:7]
	s_mov_b64 s[6:7], 0
	global_store_byte v[0:1], v5, off
.LBB289_86:
	s_and_b64 vcc, exec, s[6:7]
	s_cbranch_vccz .LBB289_96
; %bb.87:
	v_cvt_f32_i32_sdwa v2, sext(v4) dst_sel:DWORD dst_unused:UNUSED_PAD src0_sel:WORD_0
	s_mov_b32 s6, 0x43f00000
                                        ; implicit-def: $vgpr3
	v_and_b32_e32 v5, 0x7fffffff, v2
	v_cmp_gt_u32_e32 vcc, s6, v5
	s_and_saveexec_b64 s[6:7], vcc
	s_xor_b64 s[6:7], exec, s[6:7]
	s_cbranch_execz .LBB289_93
; %bb.88:
	s_mov_b32 s8, 0x3c7fffff
	v_cmp_lt_u32_e32 vcc, s8, v5
                                        ; implicit-def: $vgpr3
	s_and_saveexec_b64 s[8:9], vcc
	s_xor_b64 s[8:9], exec, s[8:9]
; %bb.89:
	v_bfe_u32 v3, v2, 20, 1
	s_mov_b32 s10, 0x407ffff
	v_add3_u32 v3, v2, v3, s10
	v_lshrrev_b32_e32 v5, 20, v3
	v_and_b32_e32 v3, 0xff00000, v3
	s_mov_b32 s10, 0x7f00000
	v_mov_b32_e32 v6, 0x7e
	v_cmp_ne_u32_e32 vcc, s10, v3
	s_nop 1
	v_cndmask_b32_e32 v3, v6, v5, vcc
; %bb.90:
	s_andn2_saveexec_b64 s[8:9], s[8:9]
; %bb.91:
	s_mov_b32 s10, 0x46800000
	v_add_f32_e64 v3, |v2|, s10
; %bb.92:
	s_or_b64 exec, exec, s[8:9]
                                        ; implicit-def: $vgpr5
.LBB289_93:
	s_andn2_saveexec_b64 s[6:7], s[6:7]
; %bb.94:
	s_mov_b32 s8, 0x7f800000
	v_mov_b32_e32 v3, 0x7e
	v_mov_b32_e32 v6, 0x7f
	v_cmp_lt_u32_e32 vcc, s8, v5
	s_nop 1
	v_cndmask_b32_e32 v3, v3, v6, vcc
; %bb.95:
	s_or_b64 exec, exec, s[6:7]
	v_lshrrev_b32_e32 v2, 24, v2
	s_movk_i32 s6, 0x80
	v_and_or_b32 v2, v2, s6, v3
	global_store_byte v[0:1], v2, off
.LBB289_96:
	s_mov_b64 s[6:7], 0
.LBB289_97:
	s_andn2_b64 vcc, exec, s[6:7]
	s_cbranch_vccnz .LBB289_107
; %bb.98:
	v_cvt_f32_i32_sdwa v2, sext(v4) dst_sel:DWORD dst_unused:UNUSED_PAD src0_sel:WORD_0
	s_mov_b32 s6, 0x47800000
                                        ; implicit-def: $vgpr3
	v_and_b32_e32 v5, 0x7fffffff, v2
	v_cmp_gt_u32_e32 vcc, s6, v5
	s_and_saveexec_b64 s[6:7], vcc
	s_xor_b64 s[6:7], exec, s[6:7]
	s_cbranch_execz .LBB289_104
; %bb.99:
	s_mov_b32 s8, 0x387fffff
	v_cmp_lt_u32_e32 vcc, s8, v5
                                        ; implicit-def: $vgpr3
	s_and_saveexec_b64 s[8:9], vcc
	s_xor_b64 s[8:9], exec, s[8:9]
; %bb.100:
	v_bfe_u32 v3, v2, 21, 1
	s_mov_b32 s10, 0x80fffff
	v_add3_u32 v3, v2, v3, s10
	v_lshrrev_b32_e32 v3, 21, v3
; %bb.101:
	s_andn2_saveexec_b64 s[8:9], s[8:9]
; %bb.102:
	s_mov_b32 s10, 0x43000000
	v_add_f32_e64 v3, |v2|, s10
; %bb.103:
	s_or_b64 exec, exec, s[8:9]
                                        ; implicit-def: $vgpr5
.LBB289_104:
	s_andn2_saveexec_b64 s[6:7], s[6:7]
; %bb.105:
	s_mov_b32 s8, 0x7f800000
	v_mov_b32_e32 v3, 0x7c
	v_mov_b32_e32 v6, 0x7f
	v_cmp_lt_u32_e32 vcc, s8, v5
	s_nop 1
	v_cndmask_b32_e32 v3, v3, v6, vcc
; %bb.106:
	s_or_b64 exec, exec, s[6:7]
	v_lshrrev_b32_e32 v2, 24, v2
	s_movk_i32 s6, 0x80
	v_and_or_b32 v2, v2, s6, v3
	global_store_byte v[0:1], v2, off
.LBB289_107:
	s_mov_b64 s[8:9], 0
	s_mov_b64 s[6:7], -1
.LBB289_108:
	s_andn2_b64 vcc, exec, s[8:9]
	s_cbranch_vccnz .LBB289_116
; %bb.109:
	s_cmp_gt_i32 s13, 14
	s_mov_b64 s[8:9], -1
	s_cbranch_scc0 .LBB289_113
; %bb.110:
	s_cmp_eq_u32 s13, 15
	s_mov_b64 s[2:3], -1
	s_cbranch_scc0 .LBB289_112
; %bb.111:
	v_cvt_f32_i32_sdwa v2, sext(v4) dst_sel:DWORD dst_unused:UNUSED_PAD src0_sel:WORD_0
	s_movk_i32 s2, 0x7fff
	s_mov_b64 s[6:7], -1
	v_bfe_u32 v3, v2, 16, 1
	v_add3_u32 v2, v2, v3, s2
	global_store_short_d16_hi v[0:1], v2, off
	s_mov_b64 s[2:3], 0
.LBB289_112:
	s_mov_b64 s[8:9], 0
.LBB289_113:
	s_and_b64 vcc, exec, s[8:9]
	s_cbranch_vccz .LBB289_116
; %bb.114:
	s_cmp_eq_u32 s13, 11
	s_mov_b64 s[2:3], -1
	s_cbranch_scc0 .LBB289_116
; %bb.115:
	v_cmp_ne_u16_e32 vcc, 0, v4
	s_mov_b64 s[6:7], -1
	s_mov_b64 s[2:3], 0
	v_cndmask_b32_e64 v2, 0, 1, vcc
	global_store_byte v[0:1], v2, off
.LBB289_116:
	s_branch .LBB289_35
.LBB289_117:
	s_and_b32 s8, 0xffff, s12
	s_cmp_lt_i32 s8, 5
	s_mov_b64 s[6:7], -1
	s_cbranch_scc1 .LBB289_138
; %bb.118:
	s_cmp_lt_i32 s8, 8
	s_cbranch_scc1 .LBB289_128
; %bb.119:
	s_cmp_lt_i32 s8, 9
	s_cbranch_scc1 .LBB289_125
; %bb.120:
	s_cmp_gt_i32 s8, 9
	s_cbranch_scc0 .LBB289_122
; %bb.121:
	v_bfe_i32 v2, v4, 0, 16
	v_mov_b32_e32 v12, 0
	v_cvt_f64_i32_e32 v[10:11], v2
	v_mov_b32_e32 v13, v12
	global_store_dwordx4 v[0:1], v[10:13], off
	s_mov_b64 s[6:7], 0
.LBB289_122:
	s_andn2_b64 vcc, exec, s[6:7]
	s_cbranch_vccnz .LBB289_124
; %bb.123:
	v_cvt_f32_i32_sdwa v2, sext(v4) dst_sel:DWORD dst_unused:UNUSED_PAD src0_sel:WORD_0
	v_mov_b32_e32 v3, 0
	global_store_dwordx2 v[0:1], v[2:3], off
.LBB289_124:
	s_mov_b64 s[6:7], 0
.LBB289_125:
	s_andn2_b64 vcc, exec, s[6:7]
	s_cbranch_vccnz .LBB289_127
; %bb.126:
	v_cvt_f16_i16_e32 v2, v4
	global_store_dword v[0:1], v2, off
.LBB289_127:
	s_mov_b64 s[6:7], 0
.LBB289_128:
	s_andn2_b64 vcc, exec, s[6:7]
	s_cbranch_vccnz .LBB289_137
; %bb.129:
	s_cmp_lt_i32 s8, 6
	s_mov_b64 s[6:7], -1
	s_cbranch_scc1 .LBB289_135
; %bb.130:
	s_cmp_gt_i32 s8, 6
	s_cbranch_scc0 .LBB289_132
; %bb.131:
	v_bfe_i32 v2, v4, 0, 16
	v_cvt_f64_i32_e32 v[2:3], v2
	global_store_dwordx2 v[0:1], v[2:3], off
	s_mov_b64 s[6:7], 0
.LBB289_132:
	s_andn2_b64 vcc, exec, s[6:7]
	s_cbranch_vccnz .LBB289_134
; %bb.133:
	v_cvt_f32_i32_sdwa v2, sext(v4) dst_sel:DWORD dst_unused:UNUSED_PAD src0_sel:WORD_0
	global_store_dword v[0:1], v2, off
.LBB289_134:
	s_mov_b64 s[6:7], 0
.LBB289_135:
	s_andn2_b64 vcc, exec, s[6:7]
	s_cbranch_vccnz .LBB289_137
; %bb.136:
	v_cvt_f16_i16_e32 v2, v4
	global_store_short v[0:1], v2, off
.LBB289_137:
	s_mov_b64 s[6:7], 0
.LBB289_138:
	s_andn2_b64 vcc, exec, s[6:7]
	s_cbranch_vccnz .LBB289_154
; %bb.139:
	s_cmp_lt_i32 s8, 2
	s_mov_b64 s[6:7], -1
	s_cbranch_scc1 .LBB289_149
; %bb.140:
	s_cmp_lt_i32 s8, 3
	s_cbranch_scc1 .LBB289_146
; %bb.141:
	s_cmp_gt_i32 s8, 3
	v_bfe_i32 v2, v4, 0, 16
	s_cbranch_scc0 .LBB289_143
; %bb.142:
	v_ashrrev_i32_e32 v3, 31, v2
	global_store_dwordx2 v[0:1], v[2:3], off
	s_mov_b64 s[6:7], 0
.LBB289_143:
	s_andn2_b64 vcc, exec, s[6:7]
	s_cbranch_vccnz .LBB289_145
; %bb.144:
	global_store_dword v[0:1], v2, off
.LBB289_145:
	s_mov_b64 s[6:7], 0
.LBB289_146:
	s_andn2_b64 vcc, exec, s[6:7]
	s_cbranch_vccnz .LBB289_148
; %bb.147:
	global_store_short v[0:1], v4, off
.LBB289_148:
	s_mov_b64 s[6:7], 0
.LBB289_149:
	s_andn2_b64 vcc, exec, s[6:7]
	s_cbranch_vccnz .LBB289_154
; %bb.150:
	s_cmp_gt_i32 s8, 0
	s_mov_b64 s[6:7], -1
	s_cbranch_scc0 .LBB289_152
; %bb.151:
	global_store_byte v[0:1], v4, off
	s_mov_b64 s[6:7], 0
.LBB289_152:
	s_andn2_b64 vcc, exec, s[6:7]
	s_cbranch_vccnz .LBB289_154
; %bb.153:
	global_store_byte v[0:1], v4, off
.LBB289_154:
.LBB289_155:
	v_add_u32_e32 v8, 0x80, v8
	s_mov_b64 s[6:7], -1
	s_branch .LBB289_262
.LBB289_156:
	s_mov_b64 s[4:5], -1
                                        ; implicit-def: $vgpr4
.LBB289_157:
	s_mov_b64 s[6:7], 0
.LBB289_158:
	s_and_b64 vcc, exec, s[6:7]
	s_cbranch_vccz .LBB289_162
; %bb.159:
	s_cmp_eq_u32 s8, 29
	s_cbranch_scc0 .LBB289_161
; %bb.160:
	global_load_dwordx2 v[4:5], v[2:3], off
	s_mov_b64 s[2:3], -1
	s_mov_b64 s[4:5], 0
	s_branch .LBB289_162
.LBB289_161:
	s_mov_b64 s[4:5], -1
                                        ; implicit-def: $vgpr4
.LBB289_162:
	s_mov_b64 s[6:7], 0
.LBB289_163:
	s_and_b64 vcc, exec, s[6:7]
	s_cbranch_vccz .LBB289_179
; %bb.164:
	s_cmp_lt_i32 s8, 27
	s_cbranch_scc1 .LBB289_167
; %bb.165:
	s_cmp_gt_i32 s8, 27
	s_cbranch_scc0 .LBB289_168
; %bb.166:
	global_load_dword v4, v[2:3], off
	s_mov_b64 s[2:3], 0
	s_branch .LBB289_169
.LBB289_167:
	s_mov_b64 s[2:3], -1
                                        ; implicit-def: $vgpr4
	s_branch .LBB289_172
.LBB289_168:
	s_mov_b64 s[2:3], -1
                                        ; implicit-def: $vgpr4
.LBB289_169:
	s_andn2_b64 vcc, exec, s[2:3]
	s_cbranch_vccnz .LBB289_171
; %bb.170:
	global_load_ushort v4, v[2:3], off
.LBB289_171:
	s_mov_b64 s[2:3], 0
.LBB289_172:
	s_andn2_b64 vcc, exec, s[2:3]
	s_cbranch_vccnz .LBB289_178
; %bb.173:
	global_load_ubyte v1, v[2:3], off
	s_movk_i32 s2, 0x7f
	s_mov_b64 s[6:7], 0
	s_waitcnt vmcnt(0)
	v_cmp_lt_i16_e32 vcc, s2, v1
	s_and_saveexec_b64 s[2:3], vcc
	s_xor_b64 s[2:3], exec, s[2:3]
	s_cbranch_execz .LBB289_189
; %bb.174:
	s_movk_i32 s6, 0x80
	v_cmp_ne_u16_e32 vcc, s6, v1
	s_and_b64 s[6:7], vcc, exec
	s_andn2_saveexec_b64 s[2:3], s[2:3]
	s_cbranch_execnz .LBB289_190
.LBB289_175:
	s_or_b64 exec, exec, s[2:3]
	v_mov_b32_e32 v4, 0
	s_and_saveexec_b64 s[2:3], s[6:7]
	s_cbranch_execz .LBB289_177
.LBB289_176:
	v_lshlrev_b32_e32 v4, 24, v1
	v_and_b32_e32 v1, 0xffff, v1
	v_and_b32_e32 v5, 7, v1
	v_ffbh_u32_e32 v7, v5
	v_min_u32_e32 v7, 32, v7
	v_subrev_u32_e32 v9, 28, v7
	v_bfe_u32 v6, v1, 3, 4
	v_lshlrev_b32_e32 v1, v9, v1
	v_sub_u32_e32 v7, 29, v7
	v_and_b32_e32 v1, 7, v1
	v_cmp_eq_u32_e32 vcc, 0, v6
	v_and_b32_e32 v4, 0x80000000, v4
	s_nop 0
	v_cndmask_b32_e32 v6, v6, v7, vcc
	v_cndmask_b32_e32 v1, v5, v1, vcc
	v_mov_b32_e32 v5, 0x3b800000
	v_lshlrev_b32_e32 v1, 20, v1
	v_lshl_add_u32 v5, v6, 23, v5
	v_or3_b32 v1, v4, v5, v1
	v_cvt_i32_f32_e32 v4, v1
.LBB289_177:
	s_or_b64 exec, exec, s[2:3]
.LBB289_178:
	s_mov_b64 s[2:3], -1
.LBB289_179:
	s_branch .LBB289_212
.LBB289_180:
	s_cmp_gt_i32 s8, 22
	s_cbranch_scc0 .LBB289_188
; %bb.181:
	s_cmp_lt_i32 s8, 24
	s_cbranch_scc1 .LBB289_191
; %bb.182:
	s_cmp_gt_i32 s8, 24
	s_cbranch_scc0 .LBB289_192
; %bb.183:
	global_load_ubyte v1, v[2:3], off
	s_movk_i32 s2, 0x7f
	s_mov_b64 s[6:7], 0
	s_waitcnt vmcnt(0)
	v_cmp_lt_i16_e32 vcc, s2, v1
	s_and_saveexec_b64 s[2:3], vcc
	s_xor_b64 s[2:3], exec, s[2:3]
	s_cbranch_execz .LBB289_204
; %bb.184:
	s_movk_i32 s6, 0x80
	v_cmp_ne_u16_e32 vcc, s6, v1
	s_and_b64 s[6:7], vcc, exec
	s_andn2_saveexec_b64 s[2:3], s[2:3]
	s_cbranch_execnz .LBB289_205
.LBB289_185:
	s_or_b64 exec, exec, s[2:3]
	v_mov_b32_e32 v4, 0
	s_and_saveexec_b64 s[2:3], s[6:7]
	s_cbranch_execz .LBB289_187
.LBB289_186:
	v_lshlrev_b32_e32 v4, 24, v1
	v_and_b32_e32 v1, 0xffff, v1
	v_and_b32_e32 v5, 3, v1
	v_ffbh_u32_e32 v7, v5
	v_min_u32_e32 v7, 32, v7
	v_subrev_u32_e32 v9, 29, v7
	v_bfe_u32 v6, v1, 2, 5
	v_lshlrev_b32_e32 v1, v9, v1
	v_sub_u32_e32 v7, 30, v7
	v_and_b32_e32 v1, 3, v1
	v_cmp_eq_u32_e32 vcc, 0, v6
	v_and_b32_e32 v4, 0x80000000, v4
	s_nop 0
	v_cndmask_b32_e32 v6, v6, v7, vcc
	v_cndmask_b32_e32 v1, v5, v1, vcc
	v_mov_b32_e32 v5, 0x37800000
	v_lshlrev_b32_e32 v1, 21, v1
	v_lshl_add_u32 v5, v6, 23, v5
	v_or3_b32 v1, v4, v5, v1
	v_cvt_i32_f32_e32 v4, v1
.LBB289_187:
	s_or_b64 exec, exec, s[2:3]
	s_mov_b64 s[2:3], 0
	s_branch .LBB289_193
.LBB289_188:
	s_mov_b64 s[6:7], -1
                                        ; implicit-def: $vgpr4
	s_branch .LBB289_199
.LBB289_189:
	s_andn2_saveexec_b64 s[2:3], s[2:3]
	s_cbranch_execz .LBB289_175
.LBB289_190:
	v_cmp_ne_u16_e32 vcc, 0, v1
	s_andn2_b64 s[6:7], s[6:7], exec
	s_and_b64 s[10:11], vcc, exec
	s_or_b64 s[6:7], s[6:7], s[10:11]
	s_or_b64 exec, exec, s[2:3]
	v_mov_b32_e32 v4, 0
	s_and_saveexec_b64 s[2:3], s[6:7]
	s_cbranch_execnz .LBB289_176
	s_branch .LBB289_177
.LBB289_191:
	s_mov_b64 s[2:3], -1
                                        ; implicit-def: $vgpr4
	s_branch .LBB289_196
.LBB289_192:
	s_mov_b64 s[2:3], -1
                                        ; implicit-def: $vgpr4
.LBB289_193:
	s_and_b64 vcc, exec, s[2:3]
	s_cbranch_vccz .LBB289_195
; %bb.194:
	global_load_ubyte v1, v[2:3], off
	s_mov_b32 s2, 0x7f800000
	s_waitcnt vmcnt(0)
	v_lshlrev_b32_e32 v1, 24, v1
	v_and_b32_e32 v4, 0x7f000000, v1
	v_ffbh_u32_e32 v5, v4
	v_min_u32_e32 v5, 32, v5
	v_sub_u32_e64 v5, v5, 4 clamp
	v_lshlrev_b32_e32 v7, v5, v4
	v_lshlrev_b32_e32 v5, 23, v5
	v_lshrrev_b32_e32 v7, 4, v7
	v_add_u32_e32 v6, 0x1000000, v4
	v_sub_u32_e32 v5, v7, v5
	v_ashrrev_i32_e32 v6, 8, v6
	v_add_u32_e32 v5, 0x3c000000, v5
	v_and_or_b32 v5, v6, s2, v5
	v_cmp_ne_u32_e32 vcc, 0, v4
	s_brev_b32 s2, 1
	s_nop 0
	v_cndmask_b32_e32 v4, 0, v5, vcc
	v_and_or_b32 v1, v1, s2, v4
	v_cvt_i32_f32_e32 v4, v1
.LBB289_195:
	s_mov_b64 s[2:3], 0
.LBB289_196:
	s_andn2_b64 vcc, exec, s[2:3]
	s_cbranch_vccnz .LBB289_198
; %bb.197:
	global_load_ubyte v1, v[2:3], off
	s_movk_i32 s2, 0x7f00
	s_brev_b32 s3, 16
	s_waitcnt vmcnt(0)
	v_lshlrev_b16_e32 v4, 8, v1
	v_lshlrev_b32_e32 v1, 25, v1
	v_lshrrev_b32_e32 v5, 4, v1
	v_and_or_b32 v6, v4, s2, 0.5
	v_or_b32_e32 v5, 0x70000000, v5
	v_add_f32_e32 v6, -0.5, v6
	v_mul_f32_e32 v5, 0x7800000, v5
	v_cmp_gt_u32_e32 vcc, s3, v1
	v_bfe_i32 v4, v4, 0, 16
	s_brev_b32 s2, 1
	v_cndmask_b32_e32 v1, v5, v6, vcc
	v_and_or_b32 v1, v4, s2, v1
	v_cvt_i32_f32_e32 v4, v1
.LBB289_198:
	s_mov_b64 s[6:7], 0
	s_mov_b64 s[2:3], -1
.LBB289_199:
	s_andn2_b64 vcc, exec, s[6:7]
	s_cbranch_vccnz .LBB289_212
; %bb.200:
	s_cmp_gt_i32 s8, 14
	s_cbranch_scc0 .LBB289_203
; %bb.201:
	s_cmp_eq_u32 s8, 15
	s_cbranch_scc0 .LBB289_206
; %bb.202:
	global_load_ushort v1, v[2:3], off
	s_mov_b64 s[2:3], -1
	s_mov_b64 s[4:5], 0
	s_waitcnt vmcnt(0)
	v_lshlrev_b32_e32 v1, 16, v1
	v_cvt_i32_f32_e32 v4, v1
	s_branch .LBB289_207
.LBB289_203:
	s_mov_b64 s[6:7], -1
                                        ; implicit-def: $vgpr4
	s_branch .LBB289_208
.LBB289_204:
	s_andn2_saveexec_b64 s[2:3], s[2:3]
	s_cbranch_execz .LBB289_185
.LBB289_205:
	v_cmp_ne_u16_e32 vcc, 0, v1
	s_andn2_b64 s[6:7], s[6:7], exec
	s_and_b64 s[10:11], vcc, exec
	s_or_b64 s[6:7], s[6:7], s[10:11]
	s_or_b64 exec, exec, s[2:3]
	v_mov_b32_e32 v4, 0
	s_and_saveexec_b64 s[2:3], s[6:7]
	s_cbranch_execnz .LBB289_186
	s_branch .LBB289_187
.LBB289_206:
	s_mov_b64 s[4:5], -1
                                        ; implicit-def: $vgpr4
.LBB289_207:
	s_mov_b64 s[6:7], 0
.LBB289_208:
	s_and_b64 vcc, exec, s[6:7]
	s_cbranch_vccz .LBB289_212
; %bb.209:
	s_cmp_eq_u32 s8, 11
	s_cbranch_scc0 .LBB289_211
; %bb.210:
	global_load_ubyte v1, v[2:3], off
	s_mov_b64 s[2:3], -1
	s_mov_b64 s[4:5], 0
	s_waitcnt vmcnt(0)
	v_cmp_ne_u16_e32 vcc, 0, v1
	s_nop 1
	v_cndmask_b32_e64 v4, 0, 1, vcc
	s_branch .LBB289_212
.LBB289_211:
	s_mov_b64 s[4:5], -1
                                        ; implicit-def: $vgpr4
.LBB289_212:
	s_branch .LBB289_25
.LBB289_213:
	s_cmp_lt_i32 s8, 5
	s_cbranch_scc1 .LBB289_218
; %bb.214:
	s_cmp_lt_i32 s8, 8
	s_cbranch_scc1 .LBB289_219
; %bb.215:
	;; [unrolled: 3-line block ×3, first 2 shown]
	s_cmp_gt_i32 s8, 9
	s_cbranch_scc0 .LBB289_221
; %bb.217:
	global_load_dwordx2 v[4:5], v[2:3], off
	s_mov_b64 s[2:3], 0
	s_waitcnt vmcnt(0)
	v_cvt_i32_f64_e32 v4, v[4:5]
	s_branch .LBB289_222
.LBB289_218:
                                        ; implicit-def: $vgpr4
	s_branch .LBB289_240
.LBB289_219:
	s_mov_b64 s[2:3], -1
                                        ; implicit-def: $vgpr4
	s_branch .LBB289_228
.LBB289_220:
	s_mov_b64 s[2:3], -1
                                        ; implicit-def: $vgpr4
	s_branch .LBB289_225
.LBB289_221:
	s_mov_b64 s[2:3], -1
                                        ; implicit-def: $vgpr4
.LBB289_222:
	s_andn2_b64 vcc, exec, s[2:3]
	s_cbranch_vccnz .LBB289_224
; %bb.223:
	global_load_dword v1, v[2:3], off
	s_waitcnt vmcnt(0)
	v_cvt_i32_f32_e32 v4, v1
.LBB289_224:
	s_mov_b64 s[2:3], 0
.LBB289_225:
	s_andn2_b64 vcc, exec, s[2:3]
	s_cbranch_vccnz .LBB289_227
; %bb.226:
	global_load_dword v1, v[2:3], off
	s_waitcnt vmcnt(0)
	v_cvt_i16_f16_e32 v4, v1
.LBB289_227:
	s_mov_b64 s[2:3], 0
.LBB289_228:
	s_andn2_b64 vcc, exec, s[2:3]
	s_cbranch_vccnz .LBB289_239
; %bb.229:
	s_cmp_lt_i32 s8, 6
	s_cbranch_scc1 .LBB289_232
; %bb.230:
	s_cmp_gt_i32 s8, 6
	s_cbranch_scc0 .LBB289_233
; %bb.231:
	global_load_dwordx2 v[4:5], v[2:3], off
	s_mov_b64 s[2:3], 0
	s_waitcnt vmcnt(0)
	v_cvt_i32_f64_e32 v4, v[4:5]
	s_branch .LBB289_234
.LBB289_232:
	s_mov_b64 s[2:3], -1
                                        ; implicit-def: $vgpr4
	s_branch .LBB289_237
.LBB289_233:
	s_mov_b64 s[2:3], -1
                                        ; implicit-def: $vgpr4
.LBB289_234:
	s_andn2_b64 vcc, exec, s[2:3]
	s_cbranch_vccnz .LBB289_236
; %bb.235:
	global_load_dword v1, v[2:3], off
	s_waitcnt vmcnt(0)
	v_cvt_i32_f32_e32 v4, v1
.LBB289_236:
	s_mov_b64 s[2:3], 0
.LBB289_237:
	s_andn2_b64 vcc, exec, s[2:3]
	s_cbranch_vccnz .LBB289_239
; %bb.238:
	global_load_ushort v1, v[2:3], off
	s_waitcnt vmcnt(0)
	v_cvt_i16_f16_e32 v4, v1
.LBB289_239:
	s_cbranch_execnz .LBB289_259
.LBB289_240:
	s_cmp_lt_i32 s8, 2
	s_cbranch_scc1 .LBB289_244
; %bb.241:
	s_cmp_lt_i32 s8, 3
	s_cbranch_scc1 .LBB289_245
; %bb.242:
	s_cmp_gt_i32 s8, 3
	s_cbranch_scc0 .LBB289_246
; %bb.243:
	global_load_dwordx2 v[4:5], v[2:3], off
	s_mov_b64 s[2:3], 0
	s_branch .LBB289_247
.LBB289_244:
	s_mov_b64 s[2:3], -1
                                        ; implicit-def: $vgpr4
	s_branch .LBB289_253
.LBB289_245:
	s_mov_b64 s[2:3], -1
                                        ; implicit-def: $vgpr4
	s_branch .LBB289_250
.LBB289_246:
	s_mov_b64 s[2:3], -1
                                        ; implicit-def: $vgpr4
.LBB289_247:
	s_andn2_b64 vcc, exec, s[2:3]
	s_cbranch_vccnz .LBB289_249
; %bb.248:
	global_load_dword v4, v[2:3], off
.LBB289_249:
	s_mov_b64 s[2:3], 0
.LBB289_250:
	s_andn2_b64 vcc, exec, s[2:3]
	s_cbranch_vccnz .LBB289_252
; %bb.251:
	global_load_ushort v4, v[2:3], off
.LBB289_252:
	s_mov_b64 s[2:3], 0
.LBB289_253:
	s_andn2_b64 vcc, exec, s[2:3]
	s_cbranch_vccnz .LBB289_259
; %bb.254:
	s_cmp_gt_i32 s8, 0
	s_cbranch_scc0 .LBB289_256
; %bb.255:
	global_load_ubyte v4, v[2:3], off
	s_mov_b64 s[2:3], 0
	s_branch .LBB289_257
.LBB289_256:
	s_mov_b64 s[2:3], -1
                                        ; implicit-def: $vgpr4
.LBB289_257:
	s_andn2_b64 vcc, exec, s[2:3]
	s_cbranch_vccnz .LBB289_259
; %bb.258:
	global_load_ubyte v4, v[2:3], off
.LBB289_259:
	s_branch .LBB289_26
.LBB289_260:
	s_mov_b64 s[2:3], 0
.LBB289_261:
	s_mov_b64 s[6:7], 0
                                        ; implicit-def: $vgpr8
.LBB289_262:
	s_and_b64 s[54:55], s[2:3], exec
	s_and_b64 s[56:57], s[4:5], exec
	s_orn2_b64 s[4:5], s[6:7], exec
.LBB289_263:
	s_or_b64 exec, exec, s[58:59]
	s_mov_b64 s[8:9], 0
	s_mov_b64 s[2:3], 0
                                        ; implicit-def: $vgpr2_vgpr3
                                        ; implicit-def: $vgpr0
                                        ; implicit-def: $vgpr4
	s_and_saveexec_b64 s[58:59], s[4:5]
	s_cbranch_execz .LBB289_271
; %bb.264:
	v_cmp_gt_i32_e32 vcc, s70, v8
	s_mov_b64 s[2:3], -1
	s_mov_b64 s[60:61], s[56:57]
	s_mov_b64 s[62:63], s[54:55]
	s_and_saveexec_b64 s[64:65], vcc
	s_cbranch_execz .LBB289_536
; %bb.265:
	s_andn2_b64 vcc, exec, s[42:43]
	s_cbranch_vccnz .LBB289_274
; %bb.266:
	s_andn2_b64 vcc, exec, s[52:53]
	s_cbranch_vccnz .LBB289_275
; %bb.267:
	s_add_i32 s63, s77, 1
	s_cmp_eq_u32 s72, 2
	s_cbranch_scc1 .LBB289_276
; %bb.268:
	s_and_b32 s62, s63, 28
	s_mov_b32 s66, 0
	v_mov_b32_e32 v0, 0
	v_mov_b32_e32 v2, 0
	s_mov_b64 s[2:3], s[34:35]
	s_mov_b64 s[60:61], s[50:51]
	s_waitcnt vmcnt(0)
	v_mov_b32_e32 v4, v8
.LBB289_269:                            ; =>This Inner Loop Header: Depth=1
	s_load_dwordx8 s[12:19], s[2:3], 0x4
	s_load_dwordx4 s[36:39], s[2:3], 0x24
	s_load_dwordx8 s[4:11], s[60:61], 0x0
	s_add_u32 s2, s2, 48
	s_addc_u32 s3, s3, 0
	s_waitcnt lgkmcnt(0)
	v_mul_hi_u32 v1, s13, v4
	v_add_u32_e32 v1, v4, v1
	v_lshrrev_b32_e32 v1, s14, v1
	v_mul_lo_u32 v3, v1, s12
	v_mul_hi_u32 v5, s16, v1
	v_sub_u32_e32 v3, v4, v3
	v_add_u32_e32 v4, v1, v5
	v_lshrrev_b32_e32 v4, s17, v4
	v_mul_lo_u32 v6, v4, s15
	v_mul_hi_u32 v7, s19, v4
	v_sub_u32_e32 v1, v1, v6
	v_add_u32_e32 v6, v4, v7
	v_mul_lo_u32 v5, v3, s5
	v_mul_lo_u32 v3, v3, s4
	v_mul_lo_u32 v7, v1, s7
	v_mul_lo_u32 v1, v1, s6
	v_lshrrev_b32_e32 v6, s36, v6
	v_add3_u32 v0, v3, v0, v1
	v_mul_hi_u32 v3, s38, v6
	v_add3_u32 v1, v5, v2, v7
	v_mul_lo_u32 v2, v6, s18
	v_add_u32_e32 v3, v6, v3
	v_sub_u32_e32 v2, v4, v2
	v_lshrrev_b32_e32 v4, s39, v3
	s_add_i32 s66, s66, 4
	v_mul_lo_u32 v3, v4, s37
	s_add_u32 s60, s60, 32
	v_sub_u32_e32 v3, v6, v3
	s_addc_u32 s61, s61, 0
	v_mul_lo_u32 v5, v2, s8
	v_mul_lo_u32 v2, v2, s9
	;; [unrolled: 1-line block ×4, first 2 shown]
	s_cmp_eq_u32 s62, s66
	v_add3_u32 v2, v2, v1, v3
	v_add3_u32 v0, v5, v0, v6
	s_cbranch_scc0 .LBB289_269
; %bb.270:
	v_mov_b32_e32 v1, v2
	s_branch .LBB289_277
.LBB289_271:
	s_or_b64 exec, exec, s[58:59]
	s_mov_b64 s[4:5], 0
	s_and_saveexec_b64 s[6:7], s[56:57]
	s_cbranch_execnz .LBB289_906
.LBB289_272:
	s_or_b64 exec, exec, s[6:7]
	s_and_saveexec_b64 s[6:7], s[62:63]
	s_xor_b64 s[6:7], exec, s[6:7]
	s_cbranch_execz .LBB289_907
.LBB289_273:
	global_load_ubyte v1, v[2:3], off
	s_or_b64 s[2:3], s[2:3], exec
	s_waitcnt vmcnt(0)
	v_cmp_ne_u16_e32 vcc, 0, v1
	s_nop 1
	v_cndmask_b32_e64 v4, 0, 1, vcc
	s_or_b64 exec, exec, s[6:7]
	s_and_saveexec_b64 s[6:7], s[8:9]
	s_cbranch_execz .LBB289_953
	s_branch .LBB289_908
.LBB289_274:
                                        ; implicit-def: $vgpr2
                                        ; implicit-def: $vgpr0
	s_andn2_b64 vcc, exec, s[2:3]
	s_cbranch_vccz .LBB289_281
	s_branch .LBB289_283
.LBB289_275:
	v_mov_b32_e32 v2, 0
	v_mov_b32_e32 v0, 0
	s_branch .LBB289_280
.LBB289_276:
	v_mov_b32_e32 v0, 0
	s_mov_b32 s62, 0
	v_mov_b32_e32 v1, v0
                                        ; implicit-def: $vgpr2
	s_waitcnt vmcnt(0)
	v_mov_b32_e32 v4, v8
.LBB289_277:
	s_and_b32 s6, s63, 3
	s_cmp_eq_u32 s6, 0
	s_cbranch_scc1 .LBB289_280
; %bb.278:
	s_lshl_b32 s2, s62, 3
	s_add_u32 s2, s34, s2
	s_addc_u32 s3, s35, 0
	s_add_u32 s2, s2, 0xc4
	s_addc_u32 s3, s3, 0
	s_mul_i32 s4, s62, 12
	s_add_u32 s4, s34, s4
	s_addc_u32 s5, s35, 0
.LBB289_279:                            ; =>This Inner Loop Header: Depth=1
	s_load_dwordx2 s[8:9], s[4:5], 0x4
	s_load_dword s7, s[4:5], 0xc
	s_load_dwordx2 s[10:11], s[2:3], 0x0
	v_mov_b32_e32 v2, v1
	s_add_u32 s4, s4, 12
	s_waitcnt lgkmcnt(0)
	v_mul_hi_u32 v1, s9, v4
	v_add_u32_e32 v1, v4, v1
	v_lshrrev_b32_e32 v1, s7, v1
	s_addc_u32 s5, s5, 0
	v_mul_lo_u32 v3, v1, s8
	s_add_u32 s2, s2, 8
	v_sub_u32_e32 v5, v4, v3
	s_addc_u32 s3, s3, 0
	s_add_i32 s6, s6, -1
	v_mov_b32_e32 v4, v1
	v_mad_u64_u32 v[2:3], s[8:9], v5, s11, v[2:3]
	v_mad_u64_u32 v[0:1], s[8:9], v5, s10, v[0:1]
	s_cmp_lg_u32 s6, 0
	v_mov_b32_e32 v1, v2
	s_cbranch_scc1 .LBB289_279
.LBB289_280:
	s_cbranch_execnz .LBB289_283
.LBB289_281:
	v_mul_hi_u32 v0, s25, v8
	v_add_u32_e32 v0, v8, v0
	v_lshrrev_b32_e32 v1, s26, v0
	v_mul_lo_u32 v0, v1, s24
	v_sub_u32_e32 v0, v8, v0
	v_mul_lo_u32 v2, v0, s29
	s_andn2_b64 vcc, exec, s[48:49]
	v_mul_lo_u32 v0, v0, s28
	s_cbranch_vccnz .LBB289_283
; %bb.282:
	v_mul_hi_u32 v3, s46, v1
	v_add_u32_e32 v3, v1, v3
	v_lshrrev_b32_e32 v3, s47, v3
	v_mul_lo_u32 v3, v3, s27
	v_sub_u32_e32 v3, v1, v3
	v_mad_u64_u32 v[0:1], s[2:3], v3, s30, v[0:1]
	v_mad_u64_u32 v[2:3], s[2:3], v3, s31, v[2:3]
.LBB289_283:
	v_mov_b32_e32 v3, 0
	s_and_b32 s8, 0xffff, s76
	s_cmp_lt_i32 s8, 11
	v_lshl_add_u64 v[2:3], s[22:23], 0, v[2:3]
	s_cbranch_scc1 .LBB289_290
; %bb.284:
	s_cmp_gt_i32 s8, 25
	s_cbranch_scc0 .LBB289_299
; %bb.285:
	s_cmp_gt_i32 s8, 28
	s_cbranch_scc0 .LBB289_301
	;; [unrolled: 3-line block ×4, first 2 shown]
; %bb.288:
	s_cmp_eq_u32 s8, 46
	s_mov_b64 s[6:7], 0
	s_cbranch_scc0 .LBB289_311
; %bb.289:
	global_load_dword v1, v[2:3], off
	s_mov_b64 s[2:3], -1
	s_mov_b64 s[4:5], 0
	s_waitcnt vmcnt(0)
	v_lshlrev_b32_e32 v1, 16, v1
	v_cvt_i32_f32_e32 v4, v1
	s_branch .LBB289_312
.LBB289_290:
	s_mov_b64 s[2:3], 0
                                        ; implicit-def: $vgpr4
	s_mov_b64 s[4:5], s[56:57]
	s_cbranch_execnz .LBB289_485
.LBB289_291:
	s_andn2_b64 vcc, exec, s[2:3]
	s_cbranch_vccnz .LBB289_533
.LBB289_292:
	s_bfe_i32 s2, s74, 0x80000
	s_waitcnt vmcnt(0)
	v_max_i16_sdwa v1, sext(v4), s2 dst_sel:DWORD dst_unused:UNUSED_PAD src0_sel:BYTE_0 src1_sel:DWORD
	s_bfe_i32 s2, s75, 0x80000
	v_min_i16_e32 v4, s2, v1
	v_mov_b32_e32 v1, 0
	s_and_b32 s12, s73, 0xff
	s_cmp_lt_i32 s12, 11
	v_lshl_add_u64 v[0:1], s[20:21], 0, v[0:1]
	s_cbranch_scc1 .LBB289_300
; %bb.293:
	s_and_b32 s13, 0xffff, s12
	s_cmp_gt_i32 s13, 25
	s_cbranch_scc0 .LBB289_302
; %bb.294:
	s_cmp_gt_i32 s13, 28
	s_cbranch_scc0 .LBB289_304
; %bb.295:
	;; [unrolled: 3-line block ×4, first 2 shown]
	s_mov_b64 s[8:9], 0
	s_mov_b64 s[2:3], -1
	s_cmp_eq_u32 s13, 46
	s_mov_b64 s[6:7], 0
	s_cbranch_scc0 .LBB289_316
; %bb.298:
	v_cvt_f32_i32_sdwa v2, sext(v4) dst_sel:DWORD dst_unused:UNUSED_PAD src0_sel:WORD_0
	s_movk_i32 s2, 0x7fff
	s_mov_b64 s[6:7], -1
	v_bfe_u32 v3, v2, 16, 1
	v_add3_u32 v2, v2, v3, s2
	v_lshrrev_b32_e32 v2, 16, v2
	global_store_dword v[0:1], v2, off
	s_mov_b64 s[2:3], 0
	s_branch .LBB289_316
.LBB289_299:
	s_mov_b64 s[6:7], -1
	s_mov_b64 s[2:3], 0
	s_mov_b64 s[4:5], s[56:57]
                                        ; implicit-def: $vgpr4
	s_branch .LBB289_451
.LBB289_300:
	s_mov_b64 s[8:9], -1
	s_mov_b64 s[6:7], 0
	s_mov_b64 s[2:3], s[54:55]
	s_branch .LBB289_385
.LBB289_301:
	s_mov_b64 s[6:7], -1
	s_mov_b64 s[2:3], 0
	s_mov_b64 s[4:5], s[56:57]
                                        ; implicit-def: $vgpr4
	s_branch .LBB289_434
.LBB289_302:
	s_mov_b64 s[8:9], -1
	s_mov_b64 s[6:7], 0
	s_mov_b64 s[2:3], s[54:55]
	s_branch .LBB289_343
.LBB289_303:
	s_mov_b64 s[6:7], -1
	s_mov_b64 s[2:3], 0
	s_mov_b64 s[4:5], s[56:57]
                                        ; implicit-def: $vgpr4
	s_branch .LBB289_429
.LBB289_304:
	s_mov_b64 s[8:9], -1
	s_mov_b64 s[6:7], 0
	s_mov_b64 s[2:3], s[54:55]
	s_branch .LBB289_326
.LBB289_305:
	s_andn2_saveexec_b64 s[10:11], s[10:11]
	s_cbranch_execz .LBB289_69
.LBB289_306:
	s_mov_b32 s14, 0x46000000
	v_add_f32_e64 v3, |v2|, s14
	v_and_b32_e32 v3, 0xff, v3
	v_cmp_ne_u32_e32 vcc, 0, v3
	s_andn2_b64 s[8:9], s[8:9], exec
	s_and_b64 s[14:15], vcc, exec
	s_or_b64 s[8:9], s[8:9], s[14:15]
	s_or_b64 exec, exec, s[10:11]
	v_mov_b32_e32 v5, 0
	s_and_saveexec_b64 s[10:11], s[8:9]
	s_cbranch_execnz .LBB289_70
	s_branch .LBB289_71
.LBB289_307:
	s_mov_b64 s[6:7], -1
	s_mov_b64 s[2:3], 0
	s_mov_b64 s[4:5], s[56:57]
                                        ; implicit-def: $vgpr4
	s_branch .LBB289_312
.LBB289_308:
	s_mov_b64 s[8:9], -1
	s_mov_b64 s[6:7], 0
	s_mov_b64 s[2:3], s[54:55]
	s_branch .LBB289_322
.LBB289_309:
	s_andn2_saveexec_b64 s[10:11], s[10:11]
	s_cbranch_execz .LBB289_82
.LBB289_310:
	s_mov_b32 s14, 0x42800000
	v_add_f32_e64 v3, |v2|, s14
	v_and_b32_e32 v3, 0xff, v3
	v_cmp_ne_u32_e32 vcc, 0, v3
	s_andn2_b64 s[8:9], s[8:9], exec
	s_and_b64 s[14:15], vcc, exec
	s_or_b64 s[8:9], s[8:9], s[14:15]
	s_or_b64 exec, exec, s[10:11]
	v_mov_b32_e32 v5, 0
	s_and_saveexec_b64 s[10:11], s[8:9]
	s_cbranch_execnz .LBB289_83
	s_branch .LBB289_84
.LBB289_311:
	s_mov_b64 s[4:5], -1
                                        ; implicit-def: $vgpr4
	s_mov_b64 s[2:3], 0
.LBB289_312:
	s_and_b64 vcc, exec, s[6:7]
	s_cbranch_vccz .LBB289_428
; %bb.313:
	s_cmp_eq_u32 s8, 44
	s_cbranch_scc0 .LBB289_427
; %bb.314:
	global_load_ubyte v1, v[2:3], off
	s_mov_b64 s[2:3], -1
	s_mov_b64 s[4:5], 0
	s_waitcnt vmcnt(0)
	v_lshlrev_b32_e32 v4, 23, v1
	v_cvt_i32_f32_e32 v4, v4
	v_cmp_ne_u32_e32 vcc, 0, v1
	s_nop 1
	v_cndmask_b32_e32 v4, 0, v4, vcc
	s_branch .LBB289_428
.LBB289_315:
	s_mov_b64 s[8:9], -1
	s_mov_b64 s[6:7], 0
	s_mov_b64 s[2:3], s[54:55]
.LBB289_316:
	s_and_b64 vcc, exec, s[8:9]
	s_cbranch_vccz .LBB289_321
; %bb.317:
	s_cmp_eq_u32 s13, 44
	s_mov_b64 s[2:3], -1
	s_cbranch_scc0 .LBB289_321
; %bb.318:
	v_cvt_f32_i32_sdwa v2, sext(v4) dst_sel:DWORD dst_unused:UNUSED_PAD src0_sel:WORD_0
	s_movk_i32 s2, 0xff
	v_mov_b32_e32 v5, 0xff
	v_bfe_u32 v3, v2, 23, 8
	v_cmp_ne_u32_e32 vcc, s2, v3
	s_and_saveexec_b64 s[6:7], vcc
; %bb.319:
	s_mov_b32 s2, 0x3fffff
	v_lshrrev_b32_e32 v5, 23, v2
	v_and_b32_e32 v6, 0x400000, v2
	v_and_or_b32 v2, v2, s2, v3
	v_cmp_ne_u32_e32 vcc, 0, v6
	v_cmp_ne_u32_e64 s[2:3], 0, v2
	s_and_b64 s[2:3], vcc, s[2:3]
	s_nop 0
	v_cndmask_b32_e64 v2, 0, 1, s[2:3]
	v_add_u32_e32 v5, v5, v2
; %bb.320:
	s_or_b64 exec, exec, s[6:7]
	s_mov_b64 s[6:7], -1
	s_mov_b64 s[2:3], 0
	global_store_byte v[0:1], v5, off
.LBB289_321:
	s_mov_b64 s[8:9], 0
.LBB289_322:
	s_and_b64 vcc, exec, s[8:9]
	s_cbranch_vccz .LBB289_325
; %bb.323:
	s_cmp_eq_u32 s13, 29
	s_mov_b64 s[2:3], -1
	s_cbranch_scc0 .LBB289_325
; %bb.324:
	v_bfe_i32 v2, v4, 0, 16
	v_ashrrev_i32_e32 v3, 31, v2
	global_store_dwordx2 v[0:1], v[2:3], off
	s_mov_b64 s[6:7], -1
	s_mov_b64 s[2:3], 0
.LBB289_325:
	s_mov_b64 s[8:9], 0
.LBB289_326:
	s_and_b64 vcc, exec, s[8:9]
	s_cbranch_vccz .LBB289_342
; %bb.327:
	s_cmp_lt_i32 s13, 27
	s_mov_b64 s[6:7], -1
	s_cbranch_scc1 .LBB289_333
; %bb.328:
	s_cmp_gt_i32 s13, 27
	s_cbranch_scc0 .LBB289_330
; %bb.329:
	v_bfe_i32 v2, v4, 0, 16
	s_mov_b64 s[6:7], 0
	global_store_dword v[0:1], v2, off
.LBB289_330:
	s_andn2_b64 vcc, exec, s[6:7]
	s_cbranch_vccnz .LBB289_332
; %bb.331:
	global_store_short v[0:1], v4, off
.LBB289_332:
	s_mov_b64 s[6:7], 0
.LBB289_333:
	s_andn2_b64 vcc, exec, s[6:7]
	s_cbranch_vccnz .LBB289_341
; %bb.334:
	v_cvt_f32_i32_sdwa v2, sext(v4) dst_sel:DWORD dst_unused:UNUSED_PAD src0_sel:WORD_0
	s_mov_b32 s6, 0x43800000
	v_mov_b32_e32 v5, 0x80
	v_and_b32_e32 v3, 0x7fffffff, v2
	v_cmp_gt_u32_e32 vcc, s6, v3
	s_and_saveexec_b64 s[6:7], vcc
	s_cbranch_execz .LBB289_340
; %bb.335:
	s_mov_b32 s8, 0x3bffffff
	v_cmp_lt_u32_e32 vcc, s8, v3
	s_mov_b64 s[8:9], 0
                                        ; implicit-def: $vgpr3
	s_and_saveexec_b64 s[10:11], vcc
	s_xor_b64 s[10:11], exec, s[10:11]
	s_cbranch_execz .LBB289_565
; %bb.336:
	v_bfe_u32 v3, v2, 20, 1
	s_mov_b32 s14, 0x487ffff
	v_add3_u32 v3, v2, v3, s14
	s_mov_b64 s[8:9], exec
	v_lshrrev_b32_e32 v3, 20, v3
	s_andn2_saveexec_b64 s[10:11], s[10:11]
	s_cbranch_execnz .LBB289_566
.LBB289_337:
	s_or_b64 exec, exec, s[10:11]
	v_mov_b32_e32 v5, 0
	s_and_saveexec_b64 s[10:11], s[8:9]
.LBB289_338:
	v_lshrrev_b32_e32 v2, 24, v2
	s_movk_i32 s8, 0x80
	v_and_or_b32 v5, v2, s8, v3
.LBB289_339:
	s_or_b64 exec, exec, s[10:11]
.LBB289_340:
	s_or_b64 exec, exec, s[6:7]
	global_store_byte v[0:1], v5, off
.LBB289_341:
	s_mov_b64 s[6:7], -1
.LBB289_342:
	s_mov_b64 s[8:9], 0
.LBB289_343:
	s_and_b64 vcc, exec, s[8:9]
	s_cbranch_vccz .LBB289_384
; %bb.344:
	s_cmp_gt_i32 s13, 22
	s_mov_b64 s[8:9], -1
	s_cbranch_scc0 .LBB289_376
; %bb.345:
	s_cmp_lt_i32 s13, 24
	s_mov_b64 s[6:7], -1
	s_cbranch_scc1 .LBB289_365
; %bb.346:
	s_cmp_gt_i32 s13, 24
	s_cbranch_scc0 .LBB289_354
; %bb.347:
	v_cvt_f32_i32_sdwa v2, sext(v4) dst_sel:DWORD dst_unused:UNUSED_PAD src0_sel:WORD_0
	s_mov_b32 s6, 0x47800000
	v_mov_b32_e32 v5, 0x80
	v_and_b32_e32 v3, 0x7fffffff, v2
	v_cmp_gt_u32_e32 vcc, s6, v3
	s_and_saveexec_b64 s[6:7], vcc
	s_cbranch_execz .LBB289_353
; %bb.348:
	s_mov_b32 s8, 0x37ffffff
	v_cmp_lt_u32_e32 vcc, s8, v3
	s_mov_b64 s[8:9], 0
                                        ; implicit-def: $vgpr3
	s_and_saveexec_b64 s[10:11], vcc
	s_xor_b64 s[10:11], exec, s[10:11]
	s_cbranch_execz .LBB289_568
; %bb.349:
	v_bfe_u32 v3, v2, 21, 1
	s_mov_b32 s14, 0x88fffff
	v_add3_u32 v3, v2, v3, s14
	s_mov_b64 s[8:9], exec
	v_lshrrev_b32_e32 v3, 21, v3
	s_andn2_saveexec_b64 s[10:11], s[10:11]
	s_cbranch_execnz .LBB289_569
.LBB289_350:
	s_or_b64 exec, exec, s[10:11]
	v_mov_b32_e32 v5, 0
	s_and_saveexec_b64 s[10:11], s[8:9]
.LBB289_351:
	v_lshrrev_b32_e32 v2, 24, v2
	s_movk_i32 s8, 0x80
	v_and_or_b32 v5, v2, s8, v3
.LBB289_352:
	s_or_b64 exec, exec, s[10:11]
.LBB289_353:
	s_or_b64 exec, exec, s[6:7]
	s_mov_b64 s[6:7], 0
	global_store_byte v[0:1], v5, off
.LBB289_354:
	s_and_b64 vcc, exec, s[6:7]
	s_cbranch_vccz .LBB289_364
; %bb.355:
	v_cvt_f32_i32_sdwa v2, sext(v4) dst_sel:DWORD dst_unused:UNUSED_PAD src0_sel:WORD_0
	s_mov_b32 s6, 0x43f00000
                                        ; implicit-def: $vgpr3
	v_and_b32_e32 v5, 0x7fffffff, v2
	v_cmp_gt_u32_e32 vcc, s6, v5
	s_and_saveexec_b64 s[6:7], vcc
	s_xor_b64 s[6:7], exec, s[6:7]
	s_cbranch_execz .LBB289_361
; %bb.356:
	s_mov_b32 s8, 0x3c7fffff
	v_cmp_lt_u32_e32 vcc, s8, v5
                                        ; implicit-def: $vgpr3
	s_and_saveexec_b64 s[8:9], vcc
	s_xor_b64 s[8:9], exec, s[8:9]
; %bb.357:
	v_bfe_u32 v3, v2, 20, 1
	s_mov_b32 s10, 0x407ffff
	v_add3_u32 v3, v2, v3, s10
	v_lshrrev_b32_e32 v5, 20, v3
	v_and_b32_e32 v3, 0xff00000, v3
	s_mov_b32 s10, 0x7f00000
	v_mov_b32_e32 v6, 0x7e
	v_cmp_ne_u32_e32 vcc, s10, v3
	s_nop 1
	v_cndmask_b32_e32 v3, v6, v5, vcc
; %bb.358:
	s_andn2_saveexec_b64 s[8:9], s[8:9]
; %bb.359:
	s_mov_b32 s10, 0x46800000
	v_add_f32_e64 v3, |v2|, s10
; %bb.360:
	s_or_b64 exec, exec, s[8:9]
                                        ; implicit-def: $vgpr5
.LBB289_361:
	s_andn2_saveexec_b64 s[6:7], s[6:7]
; %bb.362:
	s_mov_b32 s8, 0x7f800000
	v_mov_b32_e32 v3, 0x7e
	v_mov_b32_e32 v6, 0x7f
	v_cmp_lt_u32_e32 vcc, s8, v5
	s_nop 1
	v_cndmask_b32_e32 v3, v3, v6, vcc
; %bb.363:
	s_or_b64 exec, exec, s[6:7]
	v_lshrrev_b32_e32 v2, 24, v2
	s_movk_i32 s6, 0x80
	v_and_or_b32 v2, v2, s6, v3
	global_store_byte v[0:1], v2, off
.LBB289_364:
	s_mov_b64 s[6:7], 0
.LBB289_365:
	s_andn2_b64 vcc, exec, s[6:7]
	s_cbranch_vccnz .LBB289_375
; %bb.366:
	v_cvt_f32_i32_sdwa v2, sext(v4) dst_sel:DWORD dst_unused:UNUSED_PAD src0_sel:WORD_0
	s_mov_b32 s6, 0x47800000
                                        ; implicit-def: $vgpr3
	v_and_b32_e32 v5, 0x7fffffff, v2
	v_cmp_gt_u32_e32 vcc, s6, v5
	s_and_saveexec_b64 s[6:7], vcc
	s_xor_b64 s[6:7], exec, s[6:7]
	s_cbranch_execz .LBB289_372
; %bb.367:
	s_mov_b32 s8, 0x387fffff
	v_cmp_lt_u32_e32 vcc, s8, v5
                                        ; implicit-def: $vgpr3
	s_and_saveexec_b64 s[8:9], vcc
	s_xor_b64 s[8:9], exec, s[8:9]
; %bb.368:
	v_bfe_u32 v3, v2, 21, 1
	s_mov_b32 s10, 0x80fffff
	v_add3_u32 v3, v2, v3, s10
	v_lshrrev_b32_e32 v3, 21, v3
; %bb.369:
	s_andn2_saveexec_b64 s[8:9], s[8:9]
; %bb.370:
	s_mov_b32 s10, 0x43000000
	v_add_f32_e64 v3, |v2|, s10
; %bb.371:
	s_or_b64 exec, exec, s[8:9]
                                        ; implicit-def: $vgpr5
.LBB289_372:
	s_andn2_saveexec_b64 s[6:7], s[6:7]
; %bb.373:
	s_mov_b32 s8, 0x7f800000
	v_mov_b32_e32 v3, 0x7c
	v_mov_b32_e32 v6, 0x7f
	v_cmp_lt_u32_e32 vcc, s8, v5
	s_nop 1
	v_cndmask_b32_e32 v3, v3, v6, vcc
; %bb.374:
	s_or_b64 exec, exec, s[6:7]
	v_lshrrev_b32_e32 v2, 24, v2
	s_movk_i32 s6, 0x80
	v_and_or_b32 v2, v2, s6, v3
	global_store_byte v[0:1], v2, off
.LBB289_375:
	s_mov_b64 s[8:9], 0
	s_mov_b64 s[6:7], -1
.LBB289_376:
	s_andn2_b64 vcc, exec, s[8:9]
	s_cbranch_vccnz .LBB289_384
; %bb.377:
	s_cmp_gt_i32 s13, 14
	s_mov_b64 s[8:9], -1
	s_cbranch_scc0 .LBB289_381
; %bb.378:
	s_cmp_eq_u32 s13, 15
	s_mov_b64 s[2:3], -1
	s_cbranch_scc0 .LBB289_380
; %bb.379:
	v_cvt_f32_i32_sdwa v2, sext(v4) dst_sel:DWORD dst_unused:UNUSED_PAD src0_sel:WORD_0
	s_movk_i32 s2, 0x7fff
	s_mov_b64 s[6:7], -1
	v_bfe_u32 v3, v2, 16, 1
	v_add3_u32 v2, v2, v3, s2
	global_store_short_d16_hi v[0:1], v2, off
	s_mov_b64 s[2:3], 0
.LBB289_380:
	s_mov_b64 s[8:9], 0
.LBB289_381:
	s_and_b64 vcc, exec, s[8:9]
	s_cbranch_vccz .LBB289_384
; %bb.382:
	s_cmp_eq_u32 s13, 11
	s_mov_b64 s[2:3], -1
	s_cbranch_scc0 .LBB289_384
; %bb.383:
	v_cmp_ne_u16_e32 vcc, 0, v4
	s_mov_b64 s[6:7], -1
	s_mov_b64 s[2:3], 0
	v_cndmask_b32_e64 v2, 0, 1, vcc
	global_store_byte v[0:1], v2, off
.LBB289_384:
	s_mov_b64 s[8:9], 0
.LBB289_385:
	s_and_b64 vcc, exec, s[8:9]
	s_cbranch_vccz .LBB289_424
; %bb.386:
	s_and_b32 s8, 0xffff, s12
	s_cmp_lt_i32 s8, 5
	s_mov_b64 s[6:7], -1
	s_cbranch_scc1 .LBB289_407
; %bb.387:
	s_cmp_lt_i32 s8, 8
	s_cbranch_scc1 .LBB289_397
; %bb.388:
	s_cmp_lt_i32 s8, 9
	s_cbranch_scc1 .LBB289_394
; %bb.389:
	s_cmp_gt_i32 s8, 9
	s_cbranch_scc0 .LBB289_391
; %bb.390:
	v_bfe_i32 v2, v4, 0, 16
	v_mov_b32_e32 v12, 0
	v_cvt_f64_i32_e32 v[10:11], v2
	v_mov_b32_e32 v13, v12
	s_mov_b64 s[6:7], 0
	global_store_dwordx4 v[0:1], v[10:13], off
.LBB289_391:
	s_andn2_b64 vcc, exec, s[6:7]
	s_cbranch_vccnz .LBB289_393
; %bb.392:
	v_cvt_f32_i32_sdwa v2, sext(v4) dst_sel:DWORD dst_unused:UNUSED_PAD src0_sel:WORD_0
	v_mov_b32_e32 v3, 0
	global_store_dwordx2 v[0:1], v[2:3], off
.LBB289_393:
	s_mov_b64 s[6:7], 0
.LBB289_394:
	s_andn2_b64 vcc, exec, s[6:7]
	s_cbranch_vccnz .LBB289_396
; %bb.395:
	v_cvt_f16_i16_e32 v2, v4
	global_store_dword v[0:1], v2, off
.LBB289_396:
	s_mov_b64 s[6:7], 0
.LBB289_397:
	s_andn2_b64 vcc, exec, s[6:7]
	s_cbranch_vccnz .LBB289_406
; %bb.398:
	s_cmp_lt_i32 s8, 6
	s_mov_b64 s[6:7], -1
	s_cbranch_scc1 .LBB289_404
; %bb.399:
	s_cmp_gt_i32 s8, 6
	s_cbranch_scc0 .LBB289_401
; %bb.400:
	v_bfe_i32 v2, v4, 0, 16
	v_cvt_f64_i32_e32 v[2:3], v2
	s_mov_b64 s[6:7], 0
	global_store_dwordx2 v[0:1], v[2:3], off
.LBB289_401:
	s_andn2_b64 vcc, exec, s[6:7]
	s_cbranch_vccnz .LBB289_403
; %bb.402:
	v_cvt_f32_i32_sdwa v2, sext(v4) dst_sel:DWORD dst_unused:UNUSED_PAD src0_sel:WORD_0
	global_store_dword v[0:1], v2, off
.LBB289_403:
	s_mov_b64 s[6:7], 0
.LBB289_404:
	s_andn2_b64 vcc, exec, s[6:7]
	s_cbranch_vccnz .LBB289_406
; %bb.405:
	v_cvt_f16_i16_e32 v2, v4
	global_store_short v[0:1], v2, off
.LBB289_406:
	s_mov_b64 s[6:7], 0
.LBB289_407:
	s_andn2_b64 vcc, exec, s[6:7]
	s_cbranch_vccnz .LBB289_423
; %bb.408:
	s_cmp_lt_i32 s8, 2
	s_mov_b64 s[6:7], -1
	s_cbranch_scc1 .LBB289_418
; %bb.409:
	s_cmp_lt_i32 s8, 3
	s_cbranch_scc1 .LBB289_415
; %bb.410:
	s_cmp_gt_i32 s8, 3
	v_bfe_i32 v2, v4, 0, 16
	s_cbranch_scc0 .LBB289_412
; %bb.411:
	v_ashrrev_i32_e32 v3, 31, v2
	s_mov_b64 s[6:7], 0
	global_store_dwordx2 v[0:1], v[2:3], off
.LBB289_412:
	s_andn2_b64 vcc, exec, s[6:7]
	s_cbranch_vccnz .LBB289_414
; %bb.413:
	global_store_dword v[0:1], v2, off
.LBB289_414:
	s_mov_b64 s[6:7], 0
.LBB289_415:
	s_andn2_b64 vcc, exec, s[6:7]
	s_cbranch_vccnz .LBB289_417
; %bb.416:
	global_store_short v[0:1], v4, off
.LBB289_417:
	s_mov_b64 s[6:7], 0
.LBB289_418:
	s_andn2_b64 vcc, exec, s[6:7]
	s_cbranch_vccnz .LBB289_423
; %bb.419:
	s_cmp_gt_i32 s8, 0
	s_mov_b64 s[6:7], -1
	s_cbranch_scc0 .LBB289_421
; %bb.420:
	s_mov_b64 s[6:7], 0
	global_store_byte v[0:1], v4, off
.LBB289_421:
	s_andn2_b64 vcc, exec, s[6:7]
	s_cbranch_vccnz .LBB289_423
; %bb.422:
	global_store_byte v[0:1], v4, off
.LBB289_423:
	s_mov_b64 s[6:7], -1
.LBB289_424:
	s_andn2_b64 vcc, exec, s[6:7]
	s_cbranch_vccnz .LBB289_426
; %bb.425:
	v_add_u32_e32 v8, 0x80, v8
	s_mov_b64 s[6:7], -1
	s_branch .LBB289_535
.LBB289_426:
	s_mov_b64 s[6:7], 0
	s_branch .LBB289_534
.LBB289_427:
	s_mov_b64 s[4:5], -1
                                        ; implicit-def: $vgpr4
.LBB289_428:
	s_mov_b64 s[6:7], 0
.LBB289_429:
	s_and_b64 vcc, exec, s[6:7]
	s_cbranch_vccz .LBB289_433
; %bb.430:
	s_cmp_eq_u32 s8, 29
	s_cbranch_scc0 .LBB289_432
; %bb.431:
	global_load_dwordx2 v[4:5], v[2:3], off
	s_mov_b64 s[2:3], -1
	s_mov_b64 s[4:5], 0
	s_branch .LBB289_433
.LBB289_432:
	s_mov_b64 s[4:5], -1
                                        ; implicit-def: $vgpr4
.LBB289_433:
	s_mov_b64 s[6:7], 0
.LBB289_434:
	s_and_b64 vcc, exec, s[6:7]
	s_cbranch_vccz .LBB289_450
; %bb.435:
	s_cmp_lt_i32 s8, 27
	s_cbranch_scc1 .LBB289_438
; %bb.436:
	s_cmp_gt_i32 s8, 27
	s_cbranch_scc0 .LBB289_439
; %bb.437:
	global_load_dword v4, v[2:3], off
	s_mov_b64 s[2:3], 0
	s_branch .LBB289_440
.LBB289_438:
	s_mov_b64 s[2:3], -1
                                        ; implicit-def: $vgpr4
	s_branch .LBB289_443
.LBB289_439:
	s_mov_b64 s[2:3], -1
                                        ; implicit-def: $vgpr4
.LBB289_440:
	s_andn2_b64 vcc, exec, s[2:3]
	s_cbranch_vccnz .LBB289_442
; %bb.441:
	global_load_ushort v4, v[2:3], off
.LBB289_442:
	s_mov_b64 s[2:3], 0
.LBB289_443:
	s_andn2_b64 vcc, exec, s[2:3]
	s_cbranch_vccnz .LBB289_449
; %bb.444:
	global_load_ubyte v1, v[2:3], off
	s_movk_i32 s2, 0x7f
	s_mov_b64 s[6:7], 0
	s_waitcnt vmcnt(0)
	v_cmp_lt_i16_e32 vcc, s2, v1
	s_and_saveexec_b64 s[2:3], vcc
	s_xor_b64 s[2:3], exec, s[2:3]
	s_cbranch_execz .LBB289_461
; %bb.445:
	s_movk_i32 s6, 0x80
	v_cmp_ne_u16_e32 vcc, s6, v1
	s_and_b64 s[6:7], vcc, exec
	s_andn2_saveexec_b64 s[2:3], s[2:3]
	s_cbranch_execnz .LBB289_462
.LBB289_446:
	s_or_b64 exec, exec, s[2:3]
	v_mov_b32_e32 v4, 0
	s_and_saveexec_b64 s[2:3], s[6:7]
	s_cbranch_execz .LBB289_448
.LBB289_447:
	v_lshlrev_b32_e32 v4, 24, v1
	v_and_b32_e32 v1, 0xffff, v1
	v_and_b32_e32 v5, 7, v1
	v_ffbh_u32_e32 v7, v5
	v_min_u32_e32 v7, 32, v7
	v_subrev_u32_e32 v9, 28, v7
	v_bfe_u32 v6, v1, 3, 4
	v_lshlrev_b32_e32 v1, v9, v1
	v_sub_u32_e32 v7, 29, v7
	v_and_b32_e32 v1, 7, v1
	v_cmp_eq_u32_e32 vcc, 0, v6
	v_and_b32_e32 v4, 0x80000000, v4
	s_nop 0
	v_cndmask_b32_e32 v6, v6, v7, vcc
	v_cndmask_b32_e32 v1, v5, v1, vcc
	v_mov_b32_e32 v5, 0x3b800000
	v_lshlrev_b32_e32 v1, 20, v1
	v_lshl_add_u32 v5, v6, 23, v5
	v_or3_b32 v1, v4, v5, v1
	v_cvt_i32_f32_e32 v4, v1
.LBB289_448:
	s_or_b64 exec, exec, s[2:3]
.LBB289_449:
	s_mov_b64 s[2:3], -1
.LBB289_450:
	s_mov_b64 s[6:7], 0
.LBB289_451:
	s_and_b64 vcc, exec, s[6:7]
	s_cbranch_vccz .LBB289_484
; %bb.452:
	s_cmp_gt_i32 s8, 22
	s_cbranch_scc0 .LBB289_460
; %bb.453:
	s_cmp_lt_i32 s8, 24
	s_cbranch_scc1 .LBB289_463
; %bb.454:
	s_cmp_gt_i32 s8, 24
	s_cbranch_scc0 .LBB289_464
; %bb.455:
	global_load_ubyte v1, v[2:3], off
	s_movk_i32 s2, 0x7f
	s_mov_b64 s[6:7], 0
	s_waitcnt vmcnt(0)
	v_cmp_lt_i16_e32 vcc, s2, v1
	s_and_saveexec_b64 s[2:3], vcc
	s_xor_b64 s[2:3], exec, s[2:3]
	s_cbranch_execz .LBB289_476
; %bb.456:
	s_movk_i32 s6, 0x80
	v_cmp_ne_u16_e32 vcc, s6, v1
	s_and_b64 s[6:7], vcc, exec
	s_andn2_saveexec_b64 s[2:3], s[2:3]
	s_cbranch_execnz .LBB289_477
.LBB289_457:
	s_or_b64 exec, exec, s[2:3]
	v_mov_b32_e32 v4, 0
	s_and_saveexec_b64 s[2:3], s[6:7]
	s_cbranch_execz .LBB289_459
.LBB289_458:
	v_lshlrev_b32_e32 v4, 24, v1
	v_and_b32_e32 v1, 0xffff, v1
	v_and_b32_e32 v5, 3, v1
	v_ffbh_u32_e32 v7, v5
	v_min_u32_e32 v7, 32, v7
	v_subrev_u32_e32 v9, 29, v7
	v_bfe_u32 v6, v1, 2, 5
	v_lshlrev_b32_e32 v1, v9, v1
	v_sub_u32_e32 v7, 30, v7
	v_and_b32_e32 v1, 3, v1
	v_cmp_eq_u32_e32 vcc, 0, v6
	v_and_b32_e32 v4, 0x80000000, v4
	s_nop 0
	v_cndmask_b32_e32 v6, v6, v7, vcc
	v_cndmask_b32_e32 v1, v5, v1, vcc
	v_mov_b32_e32 v5, 0x37800000
	v_lshlrev_b32_e32 v1, 21, v1
	v_lshl_add_u32 v5, v6, 23, v5
	v_or3_b32 v1, v4, v5, v1
	v_cvt_i32_f32_e32 v4, v1
.LBB289_459:
	s_or_b64 exec, exec, s[2:3]
	s_mov_b64 s[2:3], 0
	s_branch .LBB289_465
.LBB289_460:
	s_mov_b64 s[6:7], -1
                                        ; implicit-def: $vgpr4
	s_branch .LBB289_471
.LBB289_461:
	s_andn2_saveexec_b64 s[2:3], s[2:3]
	s_cbranch_execz .LBB289_446
.LBB289_462:
	v_cmp_ne_u16_e32 vcc, 0, v1
	s_andn2_b64 s[6:7], s[6:7], exec
	s_and_b64 s[10:11], vcc, exec
	s_or_b64 s[6:7], s[6:7], s[10:11]
	s_or_b64 exec, exec, s[2:3]
	v_mov_b32_e32 v4, 0
	s_and_saveexec_b64 s[2:3], s[6:7]
	s_cbranch_execnz .LBB289_447
	s_branch .LBB289_448
.LBB289_463:
	s_mov_b64 s[2:3], -1
                                        ; implicit-def: $vgpr4
	s_branch .LBB289_468
.LBB289_464:
	s_mov_b64 s[2:3], -1
                                        ; implicit-def: $vgpr4
.LBB289_465:
	s_and_b64 vcc, exec, s[2:3]
	s_cbranch_vccz .LBB289_467
; %bb.466:
	global_load_ubyte v1, v[2:3], off
	s_mov_b32 s2, 0x7f800000
	s_waitcnt vmcnt(0)
	v_lshlrev_b32_e32 v1, 24, v1
	v_and_b32_e32 v4, 0x7f000000, v1
	v_ffbh_u32_e32 v5, v4
	v_min_u32_e32 v5, 32, v5
	v_sub_u32_e64 v5, v5, 4 clamp
	v_lshlrev_b32_e32 v7, v5, v4
	v_lshlrev_b32_e32 v5, 23, v5
	v_lshrrev_b32_e32 v7, 4, v7
	v_add_u32_e32 v6, 0x1000000, v4
	v_sub_u32_e32 v5, v7, v5
	v_ashrrev_i32_e32 v6, 8, v6
	v_add_u32_e32 v5, 0x3c000000, v5
	v_and_or_b32 v5, v6, s2, v5
	v_cmp_ne_u32_e32 vcc, 0, v4
	s_brev_b32 s2, 1
	s_nop 0
	v_cndmask_b32_e32 v4, 0, v5, vcc
	v_and_or_b32 v1, v1, s2, v4
	v_cvt_i32_f32_e32 v4, v1
.LBB289_467:
	s_mov_b64 s[2:3], 0
.LBB289_468:
	s_andn2_b64 vcc, exec, s[2:3]
	s_cbranch_vccnz .LBB289_470
; %bb.469:
	global_load_ubyte v1, v[2:3], off
	s_movk_i32 s2, 0x7f00
	s_brev_b32 s3, 16
	s_waitcnt vmcnt(0)
	v_lshlrev_b16_e32 v4, 8, v1
	v_lshlrev_b32_e32 v1, 25, v1
	v_lshrrev_b32_e32 v5, 4, v1
	v_and_or_b32 v6, v4, s2, 0.5
	v_or_b32_e32 v5, 0x70000000, v5
	v_add_f32_e32 v6, -0.5, v6
	v_mul_f32_e32 v5, 0x7800000, v5
	v_cmp_gt_u32_e32 vcc, s3, v1
	v_bfe_i32 v4, v4, 0, 16
	s_brev_b32 s2, 1
	v_cndmask_b32_e32 v1, v5, v6, vcc
	v_and_or_b32 v1, v4, s2, v1
	v_cvt_i32_f32_e32 v4, v1
.LBB289_470:
	s_mov_b64 s[6:7], 0
	s_mov_b64 s[2:3], -1
.LBB289_471:
	s_andn2_b64 vcc, exec, s[6:7]
	s_cbranch_vccnz .LBB289_484
; %bb.472:
	s_cmp_gt_i32 s8, 14
	s_cbranch_scc0 .LBB289_475
; %bb.473:
	s_cmp_eq_u32 s8, 15
	s_cbranch_scc0 .LBB289_478
; %bb.474:
	global_load_ushort v1, v[2:3], off
	s_mov_b64 s[2:3], -1
	s_mov_b64 s[4:5], 0
	s_waitcnt vmcnt(0)
	v_lshlrev_b32_e32 v1, 16, v1
	v_cvt_i32_f32_e32 v4, v1
	s_branch .LBB289_479
.LBB289_475:
	s_mov_b64 s[6:7], -1
                                        ; implicit-def: $vgpr4
	s_branch .LBB289_480
.LBB289_476:
	s_andn2_saveexec_b64 s[2:3], s[2:3]
	s_cbranch_execz .LBB289_457
.LBB289_477:
	v_cmp_ne_u16_e32 vcc, 0, v1
	s_andn2_b64 s[6:7], s[6:7], exec
	s_and_b64 s[10:11], vcc, exec
	s_or_b64 s[6:7], s[6:7], s[10:11]
	s_or_b64 exec, exec, s[2:3]
	v_mov_b32_e32 v4, 0
	s_and_saveexec_b64 s[2:3], s[6:7]
	s_cbranch_execnz .LBB289_458
	s_branch .LBB289_459
.LBB289_478:
	s_mov_b64 s[4:5], -1
                                        ; implicit-def: $vgpr4
.LBB289_479:
	s_mov_b64 s[6:7], 0
.LBB289_480:
	s_and_b64 vcc, exec, s[6:7]
	s_cbranch_vccz .LBB289_484
; %bb.481:
	s_cmp_eq_u32 s8, 11
	s_cbranch_scc0 .LBB289_483
; %bb.482:
	global_load_ubyte v1, v[2:3], off
	s_mov_b64 s[2:3], -1
	s_mov_b64 s[4:5], 0
	s_waitcnt vmcnt(0)
	v_cmp_ne_u16_e32 vcc, 0, v1
	s_nop 1
	v_cndmask_b32_e64 v4, 0, 1, vcc
	s_branch .LBB289_484
.LBB289_483:
	s_mov_b64 s[4:5], -1
                                        ; implicit-def: $vgpr4
.LBB289_484:
	s_branch .LBB289_291
.LBB289_485:
	s_cmp_lt_i32 s8, 5
	s_cbranch_scc1 .LBB289_490
; %bb.486:
	s_cmp_lt_i32 s8, 8
	s_cbranch_scc1 .LBB289_491
; %bb.487:
	;; [unrolled: 3-line block ×3, first 2 shown]
	s_cmp_gt_i32 s8, 9
	s_cbranch_scc0 .LBB289_493
; %bb.489:
	global_load_dwordx2 v[4:5], v[2:3], off
	s_mov_b64 s[2:3], 0
	s_waitcnt vmcnt(0)
	v_cvt_i32_f64_e32 v4, v[4:5]
	s_branch .LBB289_494
.LBB289_490:
	s_mov_b64 s[2:3], -1
                                        ; implicit-def: $vgpr4
	s_branch .LBB289_512
.LBB289_491:
	s_mov_b64 s[2:3], -1
                                        ; implicit-def: $vgpr4
	s_branch .LBB289_500
.LBB289_492:
	s_mov_b64 s[2:3], -1
                                        ; implicit-def: $vgpr4
	s_branch .LBB289_497
.LBB289_493:
	s_mov_b64 s[2:3], -1
                                        ; implicit-def: $vgpr4
.LBB289_494:
	s_andn2_b64 vcc, exec, s[2:3]
	s_cbranch_vccnz .LBB289_496
; %bb.495:
	global_load_dword v1, v[2:3], off
	s_waitcnt vmcnt(0)
	v_cvt_i32_f32_e32 v4, v1
.LBB289_496:
	s_mov_b64 s[2:3], 0
.LBB289_497:
	s_andn2_b64 vcc, exec, s[2:3]
	s_cbranch_vccnz .LBB289_499
; %bb.498:
	global_load_dword v1, v[2:3], off
	s_waitcnt vmcnt(0)
	v_cvt_i16_f16_e32 v4, v1
.LBB289_499:
	s_mov_b64 s[2:3], 0
.LBB289_500:
	s_andn2_b64 vcc, exec, s[2:3]
	s_cbranch_vccnz .LBB289_511
; %bb.501:
	s_cmp_lt_i32 s8, 6
	s_cbranch_scc1 .LBB289_504
; %bb.502:
	s_cmp_gt_i32 s8, 6
	s_cbranch_scc0 .LBB289_505
; %bb.503:
	global_load_dwordx2 v[4:5], v[2:3], off
	s_mov_b64 s[2:3], 0
	s_waitcnt vmcnt(0)
	v_cvt_i32_f64_e32 v4, v[4:5]
	s_branch .LBB289_506
.LBB289_504:
	s_mov_b64 s[2:3], -1
                                        ; implicit-def: $vgpr4
	s_branch .LBB289_509
.LBB289_505:
	s_mov_b64 s[2:3], -1
                                        ; implicit-def: $vgpr4
.LBB289_506:
	s_andn2_b64 vcc, exec, s[2:3]
	s_cbranch_vccnz .LBB289_508
; %bb.507:
	global_load_dword v1, v[2:3], off
	s_waitcnt vmcnt(0)
	v_cvt_i32_f32_e32 v4, v1
.LBB289_508:
	s_mov_b64 s[2:3], 0
.LBB289_509:
	s_andn2_b64 vcc, exec, s[2:3]
	s_cbranch_vccnz .LBB289_511
; %bb.510:
	global_load_ushort v1, v[2:3], off
	s_waitcnt vmcnt(0)
	v_cvt_i16_f16_e32 v4, v1
.LBB289_511:
	s_mov_b64 s[2:3], 0
.LBB289_512:
	s_andn2_b64 vcc, exec, s[2:3]
	s_cbranch_vccnz .LBB289_532
; %bb.513:
	s_cmp_lt_i32 s8, 2
	s_cbranch_scc1 .LBB289_517
; %bb.514:
	s_cmp_lt_i32 s8, 3
	s_cbranch_scc1 .LBB289_518
; %bb.515:
	s_cmp_gt_i32 s8, 3
	s_cbranch_scc0 .LBB289_519
; %bb.516:
	global_load_dwordx2 v[4:5], v[2:3], off
	s_mov_b64 s[2:3], 0
	s_branch .LBB289_520
.LBB289_517:
	s_mov_b64 s[2:3], -1
                                        ; implicit-def: $vgpr4
	s_branch .LBB289_526
.LBB289_518:
	s_mov_b64 s[2:3], -1
                                        ; implicit-def: $vgpr4
	s_branch .LBB289_523
.LBB289_519:
	s_mov_b64 s[2:3], -1
                                        ; implicit-def: $vgpr4
.LBB289_520:
	s_andn2_b64 vcc, exec, s[2:3]
	s_cbranch_vccnz .LBB289_522
; %bb.521:
	global_load_dword v4, v[2:3], off
.LBB289_522:
	s_mov_b64 s[2:3], 0
.LBB289_523:
	s_andn2_b64 vcc, exec, s[2:3]
	s_cbranch_vccnz .LBB289_525
; %bb.524:
	global_load_ushort v4, v[2:3], off
.LBB289_525:
	s_mov_b64 s[2:3], 0
.LBB289_526:
	s_andn2_b64 vcc, exec, s[2:3]
	s_cbranch_vccnz .LBB289_532
; %bb.527:
	s_cmp_gt_i32 s8, 0
	s_cbranch_scc0 .LBB289_529
; %bb.528:
	global_load_ubyte v4, v[2:3], off
	s_mov_b64 s[2:3], 0
	s_branch .LBB289_530
.LBB289_529:
	s_mov_b64 s[2:3], -1
                                        ; implicit-def: $vgpr4
.LBB289_530:
	s_andn2_b64 vcc, exec, s[2:3]
	s_cbranch_vccnz .LBB289_532
; %bb.531:
	global_load_ubyte v4, v[2:3], off
.LBB289_532:
	s_branch .LBB289_292
.LBB289_533:
	s_mov_b64 s[6:7], 0
	s_mov_b64 s[2:3], s[54:55]
.LBB289_534:
                                        ; implicit-def: $vgpr8
.LBB289_535:
	s_andn2_b64 s[8:9], s[54:55], exec
	s_and_b64 s[2:3], s[2:3], exec
	s_or_b64 s[62:63], s[8:9], s[2:3]
	s_andn2_b64 s[2:3], s[56:57], exec
	s_and_b64 s[4:5], s[4:5], exec
	s_or_b64 s[60:61], s[2:3], s[4:5]
	s_orn2_b64 s[2:3], s[6:7], exec
.LBB289_536:
	s_or_b64 exec, exec, s[64:65]
	s_mov_b64 s[4:5], 0
	s_mov_b64 s[6:7], 0
	;; [unrolled: 1-line block ×3, first 2 shown]
                                        ; implicit-def: $vgpr2_vgpr3
                                        ; implicit-def: $vgpr0
                                        ; implicit-def: $vgpr4
	s_and_saveexec_b64 s[64:65], s[2:3]
	s_cbranch_execz .LBB289_905
; %bb.537:
	v_cmp_gt_i32_e32 vcc, s70, v8
	s_mov_b64 s[6:7], -1
	s_mov_b64 s[2:3], s[60:61]
	s_mov_b64 s[68:69], s[62:63]
	s_and_saveexec_b64 s[66:67], vcc
	s_cbranch_execz .LBB289_808
; %bb.538:
	s_andn2_b64 vcc, exec, s[42:43]
	s_cbranch_vccnz .LBB289_544
; %bb.539:
	s_andn2_b64 vcc, exec, s[52:53]
	s_cbranch_vccnz .LBB289_545
; %bb.540:
	s_add_i32 s78, s77, 1
	s_cmp_eq_u32 s72, 2
	s_cbranch_scc1 .LBB289_546
; %bb.541:
	s_and_b32 s71, s78, 28
	s_mov_b32 s79, 0
	v_mov_b32_e32 v0, 0
	v_mov_b32_e32 v2, 0
	s_mov_b64 s[2:3], s[34:35]
	s_mov_b64 s[68:69], s[50:51]
	s_waitcnt vmcnt(0)
	v_mov_b32_e32 v4, v8
.LBB289_542:                            ; =>This Inner Loop Header: Depth=1
	s_load_dwordx8 s[12:19], s[2:3], 0x4
	s_load_dwordx4 s[36:39], s[2:3], 0x24
	s_load_dwordx8 s[4:11], s[68:69], 0x0
	s_add_u32 s2, s2, 48
	s_addc_u32 s3, s3, 0
	s_waitcnt lgkmcnt(0)
	v_mul_hi_u32 v1, s13, v4
	v_add_u32_e32 v1, v4, v1
	v_lshrrev_b32_e32 v1, s14, v1
	v_mul_lo_u32 v3, v1, s12
	v_mul_hi_u32 v5, s16, v1
	v_sub_u32_e32 v3, v4, v3
	v_add_u32_e32 v4, v1, v5
	v_lshrrev_b32_e32 v4, s17, v4
	v_mul_lo_u32 v6, v4, s15
	v_mul_hi_u32 v7, s19, v4
	v_sub_u32_e32 v1, v1, v6
	v_add_u32_e32 v6, v4, v7
	v_mul_lo_u32 v5, v3, s5
	v_mul_lo_u32 v3, v3, s4
	;; [unrolled: 1-line block ×4, first 2 shown]
	v_lshrrev_b32_e32 v6, s36, v6
	v_add3_u32 v0, v3, v0, v1
	v_mul_hi_u32 v3, s38, v6
	v_add3_u32 v1, v5, v2, v7
	v_mul_lo_u32 v2, v6, s18
	v_add_u32_e32 v3, v6, v3
	v_sub_u32_e32 v2, v4, v2
	v_lshrrev_b32_e32 v4, s39, v3
	s_add_i32 s79, s79, 4
	v_mul_lo_u32 v3, v4, s37
	s_add_u32 s68, s68, 32
	v_sub_u32_e32 v3, v6, v3
	s_addc_u32 s69, s69, 0
	v_mul_lo_u32 v5, v2, s8
	v_mul_lo_u32 v2, v2, s9
	;; [unrolled: 1-line block ×4, first 2 shown]
	s_cmp_eq_u32 s71, s79
	v_add3_u32 v2, v2, v1, v3
	v_add3_u32 v0, v5, v0, v6
	s_cbranch_scc0 .LBB289_542
; %bb.543:
	v_mov_b32_e32 v1, v2
	s_branch .LBB289_547
.LBB289_544:
	s_mov_b64 s[2:3], -1
                                        ; implicit-def: $vgpr2
                                        ; implicit-def: $vgpr0
	s_branch .LBB289_551
.LBB289_545:
	v_mov_b32_e32 v2, 0
	v_mov_b32_e32 v0, 0
	s_branch .LBB289_550
.LBB289_546:
	v_mov_b32_e32 v0, 0
	s_mov_b32 s71, 0
	v_mov_b32_e32 v1, v0
                                        ; implicit-def: $vgpr2
	s_waitcnt vmcnt(0)
	v_mov_b32_e32 v4, v8
.LBB289_547:
	s_and_b32 s6, s78, 3
	s_cmp_eq_u32 s6, 0
	s_cbranch_scc1 .LBB289_550
; %bb.548:
	s_lshl_b32 s2, s71, 3
	s_add_u32 s2, s34, s2
	s_addc_u32 s3, s35, 0
	s_add_u32 s2, s2, 0xc4
	s_addc_u32 s3, s3, 0
	s_mul_i32 s4, s71, 12
	s_add_u32 s4, s34, s4
	s_addc_u32 s5, s35, 0
.LBB289_549:                            ; =>This Inner Loop Header: Depth=1
	s_load_dwordx2 s[8:9], s[4:5], 0x4
	s_load_dword s7, s[4:5], 0xc
	s_load_dwordx2 s[10:11], s[2:3], 0x0
	v_mov_b32_e32 v2, v1
	s_add_u32 s4, s4, 12
	s_waitcnt lgkmcnt(0)
	v_mul_hi_u32 v1, s9, v4
	v_add_u32_e32 v1, v4, v1
	v_lshrrev_b32_e32 v1, s7, v1
	s_addc_u32 s5, s5, 0
	v_mul_lo_u32 v3, v1, s8
	s_add_u32 s2, s2, 8
	v_sub_u32_e32 v5, v4, v3
	s_addc_u32 s3, s3, 0
	s_add_i32 s6, s6, -1
	v_mov_b32_e32 v4, v1
	v_mad_u64_u32 v[2:3], s[8:9], v5, s11, v[2:3]
	v_mad_u64_u32 v[0:1], s[8:9], v5, s10, v[0:1]
	s_cmp_lg_u32 s6, 0
	v_mov_b32_e32 v1, v2
	s_cbranch_scc1 .LBB289_549
.LBB289_550:
	s_mov_b64 s[2:3], 0
.LBB289_551:
	s_andn2_b64 vcc, exec, s[2:3]
	s_cbranch_vccnz .LBB289_554
; %bb.552:
	v_mul_hi_u32 v0, s25, v8
	v_add_u32_e32 v0, v8, v0
	v_lshrrev_b32_e32 v1, s26, v0
	v_mul_lo_u32 v0, v1, s24
	v_sub_u32_e32 v0, v8, v0
	v_mul_lo_u32 v2, v0, s29
	s_andn2_b64 vcc, exec, s[48:49]
	v_mul_lo_u32 v0, v0, s28
	s_cbranch_vccnz .LBB289_554
; %bb.553:
	v_mul_hi_u32 v3, s46, v1
	v_add_u32_e32 v3, v1, v3
	v_lshrrev_b32_e32 v3, s47, v3
	v_mul_lo_u32 v3, v3, s27
	v_sub_u32_e32 v3, v1, v3
	v_mad_u64_u32 v[0:1], s[2:3], v3, s30, v[0:1]
	v_mad_u64_u32 v[2:3], s[2:3], v3, s31, v[2:3]
.LBB289_554:
	v_mov_b32_e32 v3, 0
	s_and_b32 s8, 0xffff, s76
	s_cmp_lt_i32 s8, 11
	v_lshl_add_u64 v[2:3], s[22:23], 0, v[2:3]
	s_cbranch_scc1 .LBB289_561
; %bb.555:
	s_cmp_gt_i32 s8, 25
	s_cbranch_scc0 .LBB289_562
; %bb.556:
	s_cmp_gt_i32 s8, 28
	s_cbranch_scc0 .LBB289_563
	;; [unrolled: 3-line block ×4, first 2 shown]
; %bb.559:
	s_cmp_eq_u32 s8, 46
	s_mov_b64 s[6:7], 0
	s_cbranch_scc0 .LBB289_570
; %bb.560:
	global_load_dword v1, v[2:3], off
	s_mov_b64 s[2:3], -1
	s_mov_b64 s[4:5], 0
	s_waitcnt vmcnt(0)
	v_lshlrev_b32_e32 v1, 16, v1
	v_cvt_i32_f32_e32 v4, v1
	s_branch .LBB289_571
.LBB289_561:
	s_mov_b64 s[6:7], -1
	s_mov_b64 s[2:3], 0
                                        ; implicit-def: $vgpr4
	s_mov_b64 s[4:5], s[60:61]
	s_branch .LBB289_632
.LBB289_562:
	s_mov_b64 s[6:7], -1
	s_mov_b64 s[2:3], 0
	s_mov_b64 s[4:5], s[60:61]
                                        ; implicit-def: $vgpr4
	s_branch .LBB289_598
.LBB289_563:
	s_mov_b64 s[6:7], -1
	s_mov_b64 s[2:3], 0
	s_mov_b64 s[4:5], s[60:61]
                                        ; implicit-def: $vgpr4
	s_branch .LBB289_581
.LBB289_564:
	s_mov_b64 s[6:7], -1
	s_mov_b64 s[2:3], 0
	s_mov_b64 s[4:5], s[60:61]
                                        ; implicit-def: $vgpr4
	s_branch .LBB289_576
.LBB289_565:
	s_andn2_saveexec_b64 s[10:11], s[10:11]
	s_cbranch_execz .LBB289_337
.LBB289_566:
	s_mov_b32 s14, 0x46000000
	v_add_f32_e64 v3, |v2|, s14
	v_and_b32_e32 v3, 0xff, v3
	v_cmp_ne_u32_e32 vcc, 0, v3
	s_andn2_b64 s[8:9], s[8:9], exec
	s_and_b64 s[14:15], vcc, exec
	s_or_b64 s[8:9], s[8:9], s[14:15]
	s_or_b64 exec, exec, s[10:11]
	v_mov_b32_e32 v5, 0
	s_and_saveexec_b64 s[10:11], s[8:9]
	s_cbranch_execnz .LBB289_338
	s_branch .LBB289_339
.LBB289_567:
	s_mov_b64 s[6:7], -1
	s_mov_b64 s[2:3], 0
	s_mov_b64 s[4:5], s[60:61]
                                        ; implicit-def: $vgpr4
	s_branch .LBB289_571
.LBB289_568:
	s_andn2_saveexec_b64 s[10:11], s[10:11]
	s_cbranch_execz .LBB289_350
.LBB289_569:
	s_mov_b32 s14, 0x42800000
	v_add_f32_e64 v3, |v2|, s14
	v_and_b32_e32 v3, 0xff, v3
	v_cmp_ne_u32_e32 vcc, 0, v3
	s_andn2_b64 s[8:9], s[8:9], exec
	s_and_b64 s[14:15], vcc, exec
	s_or_b64 s[8:9], s[8:9], s[14:15]
	s_or_b64 exec, exec, s[10:11]
	v_mov_b32_e32 v5, 0
	s_and_saveexec_b64 s[10:11], s[8:9]
	s_cbranch_execnz .LBB289_351
	s_branch .LBB289_352
.LBB289_570:
	s_mov_b64 s[4:5], -1
                                        ; implicit-def: $vgpr4
	s_mov_b64 s[2:3], 0
.LBB289_571:
	s_and_b64 vcc, exec, s[6:7]
	s_cbranch_vccz .LBB289_575
; %bb.572:
	s_cmp_eq_u32 s8, 44
	s_cbranch_scc0 .LBB289_574
; %bb.573:
	global_load_ubyte v1, v[2:3], off
	s_mov_b64 s[2:3], -1
	s_mov_b64 s[4:5], 0
	s_waitcnt vmcnt(0)
	v_lshlrev_b32_e32 v4, 23, v1
	v_cvt_i32_f32_e32 v4, v4
	v_cmp_ne_u32_e32 vcc, 0, v1
	s_nop 1
	v_cndmask_b32_e32 v4, 0, v4, vcc
	s_branch .LBB289_575
.LBB289_574:
	s_mov_b64 s[4:5], -1
                                        ; implicit-def: $vgpr4
.LBB289_575:
	s_mov_b64 s[6:7], 0
.LBB289_576:
	s_and_b64 vcc, exec, s[6:7]
	s_cbranch_vccz .LBB289_580
; %bb.577:
	s_cmp_eq_u32 s8, 29
	s_cbranch_scc0 .LBB289_579
; %bb.578:
	global_load_dwordx2 v[4:5], v[2:3], off
	s_mov_b64 s[2:3], -1
	s_mov_b64 s[4:5], 0
	s_branch .LBB289_580
.LBB289_579:
	s_mov_b64 s[4:5], -1
                                        ; implicit-def: $vgpr4
.LBB289_580:
	s_mov_b64 s[6:7], 0
.LBB289_581:
	s_and_b64 vcc, exec, s[6:7]
	s_cbranch_vccz .LBB289_597
; %bb.582:
	s_cmp_lt_i32 s8, 27
	s_cbranch_scc1 .LBB289_585
; %bb.583:
	s_cmp_gt_i32 s8, 27
	s_cbranch_scc0 .LBB289_586
; %bb.584:
	global_load_dword v4, v[2:3], off
	s_mov_b64 s[2:3], 0
	s_branch .LBB289_587
.LBB289_585:
	s_mov_b64 s[2:3], -1
                                        ; implicit-def: $vgpr4
	s_branch .LBB289_590
.LBB289_586:
	s_mov_b64 s[2:3], -1
                                        ; implicit-def: $vgpr4
.LBB289_587:
	s_andn2_b64 vcc, exec, s[2:3]
	s_cbranch_vccnz .LBB289_589
; %bb.588:
	global_load_ushort v4, v[2:3], off
.LBB289_589:
	s_mov_b64 s[2:3], 0
.LBB289_590:
	s_andn2_b64 vcc, exec, s[2:3]
	s_cbranch_vccnz .LBB289_596
; %bb.591:
	global_load_ubyte v1, v[2:3], off
	s_movk_i32 s2, 0x7f
	s_mov_b64 s[6:7], 0
	s_waitcnt vmcnt(0)
	v_cmp_lt_i16_e32 vcc, s2, v1
	s_and_saveexec_b64 s[2:3], vcc
	s_xor_b64 s[2:3], exec, s[2:3]
	s_cbranch_execz .LBB289_608
; %bb.592:
	s_movk_i32 s6, 0x80
	v_cmp_ne_u16_e32 vcc, s6, v1
	s_and_b64 s[6:7], vcc, exec
	s_andn2_saveexec_b64 s[2:3], s[2:3]
	s_cbranch_execnz .LBB289_609
.LBB289_593:
	s_or_b64 exec, exec, s[2:3]
	v_mov_b32_e32 v4, 0
	s_and_saveexec_b64 s[2:3], s[6:7]
	s_cbranch_execz .LBB289_595
.LBB289_594:
	v_lshlrev_b32_e32 v4, 24, v1
	v_and_b32_e32 v1, 0xffff, v1
	v_and_b32_e32 v5, 7, v1
	v_ffbh_u32_e32 v7, v5
	v_min_u32_e32 v7, 32, v7
	v_subrev_u32_e32 v9, 28, v7
	v_bfe_u32 v6, v1, 3, 4
	v_lshlrev_b32_e32 v1, v9, v1
	v_sub_u32_e32 v7, 29, v7
	v_and_b32_e32 v1, 7, v1
	v_cmp_eq_u32_e32 vcc, 0, v6
	v_and_b32_e32 v4, 0x80000000, v4
	s_nop 0
	v_cndmask_b32_e32 v6, v6, v7, vcc
	v_cndmask_b32_e32 v1, v5, v1, vcc
	v_mov_b32_e32 v5, 0x3b800000
	v_lshlrev_b32_e32 v1, 20, v1
	v_lshl_add_u32 v5, v6, 23, v5
	v_or3_b32 v1, v4, v5, v1
	v_cvt_i32_f32_e32 v4, v1
.LBB289_595:
	s_or_b64 exec, exec, s[2:3]
.LBB289_596:
	s_mov_b64 s[2:3], -1
.LBB289_597:
	s_mov_b64 s[6:7], 0
.LBB289_598:
	s_and_b64 vcc, exec, s[6:7]
	s_cbranch_vccz .LBB289_631
; %bb.599:
	s_cmp_gt_i32 s8, 22
	s_cbranch_scc0 .LBB289_607
; %bb.600:
	s_cmp_lt_i32 s8, 24
	s_cbranch_scc1 .LBB289_610
; %bb.601:
	s_cmp_gt_i32 s8, 24
	s_cbranch_scc0 .LBB289_611
; %bb.602:
	global_load_ubyte v1, v[2:3], off
	s_movk_i32 s2, 0x7f
	s_mov_b64 s[6:7], 0
	s_waitcnt vmcnt(0)
	v_cmp_lt_i16_e32 vcc, s2, v1
	s_and_saveexec_b64 s[2:3], vcc
	s_xor_b64 s[2:3], exec, s[2:3]
	s_cbranch_execz .LBB289_623
; %bb.603:
	s_movk_i32 s6, 0x80
	v_cmp_ne_u16_e32 vcc, s6, v1
	s_and_b64 s[6:7], vcc, exec
	s_andn2_saveexec_b64 s[2:3], s[2:3]
	s_cbranch_execnz .LBB289_624
.LBB289_604:
	s_or_b64 exec, exec, s[2:3]
	v_mov_b32_e32 v4, 0
	s_and_saveexec_b64 s[2:3], s[6:7]
	s_cbranch_execz .LBB289_606
.LBB289_605:
	v_lshlrev_b32_e32 v4, 24, v1
	v_and_b32_e32 v1, 0xffff, v1
	v_and_b32_e32 v5, 3, v1
	v_ffbh_u32_e32 v7, v5
	v_min_u32_e32 v7, 32, v7
	v_subrev_u32_e32 v9, 29, v7
	v_bfe_u32 v6, v1, 2, 5
	v_lshlrev_b32_e32 v1, v9, v1
	v_sub_u32_e32 v7, 30, v7
	v_and_b32_e32 v1, 3, v1
	v_cmp_eq_u32_e32 vcc, 0, v6
	v_and_b32_e32 v4, 0x80000000, v4
	s_nop 0
	v_cndmask_b32_e32 v6, v6, v7, vcc
	v_cndmask_b32_e32 v1, v5, v1, vcc
	v_mov_b32_e32 v5, 0x37800000
	v_lshlrev_b32_e32 v1, 21, v1
	v_lshl_add_u32 v5, v6, 23, v5
	v_or3_b32 v1, v4, v5, v1
	v_cvt_i32_f32_e32 v4, v1
.LBB289_606:
	s_or_b64 exec, exec, s[2:3]
	s_mov_b64 s[2:3], 0
	s_branch .LBB289_612
.LBB289_607:
	s_mov_b64 s[6:7], -1
                                        ; implicit-def: $vgpr4
	s_branch .LBB289_618
.LBB289_608:
	s_andn2_saveexec_b64 s[2:3], s[2:3]
	s_cbranch_execz .LBB289_593
.LBB289_609:
	v_cmp_ne_u16_e32 vcc, 0, v1
	s_andn2_b64 s[6:7], s[6:7], exec
	s_and_b64 s[10:11], vcc, exec
	s_or_b64 s[6:7], s[6:7], s[10:11]
	s_or_b64 exec, exec, s[2:3]
	v_mov_b32_e32 v4, 0
	s_and_saveexec_b64 s[2:3], s[6:7]
	s_cbranch_execnz .LBB289_594
	s_branch .LBB289_595
.LBB289_610:
	s_mov_b64 s[2:3], -1
                                        ; implicit-def: $vgpr4
	s_branch .LBB289_615
.LBB289_611:
	s_mov_b64 s[2:3], -1
                                        ; implicit-def: $vgpr4
.LBB289_612:
	s_and_b64 vcc, exec, s[2:3]
	s_cbranch_vccz .LBB289_614
; %bb.613:
	global_load_ubyte v1, v[2:3], off
	s_mov_b32 s2, 0x7f800000
	s_waitcnt vmcnt(0)
	v_lshlrev_b32_e32 v1, 24, v1
	v_and_b32_e32 v4, 0x7f000000, v1
	v_ffbh_u32_e32 v5, v4
	v_min_u32_e32 v5, 32, v5
	v_sub_u32_e64 v5, v5, 4 clamp
	v_lshlrev_b32_e32 v7, v5, v4
	v_lshlrev_b32_e32 v5, 23, v5
	v_lshrrev_b32_e32 v7, 4, v7
	v_add_u32_e32 v6, 0x1000000, v4
	v_sub_u32_e32 v5, v7, v5
	v_ashrrev_i32_e32 v6, 8, v6
	v_add_u32_e32 v5, 0x3c000000, v5
	v_and_or_b32 v5, v6, s2, v5
	v_cmp_ne_u32_e32 vcc, 0, v4
	s_brev_b32 s2, 1
	s_nop 0
	v_cndmask_b32_e32 v4, 0, v5, vcc
	v_and_or_b32 v1, v1, s2, v4
	v_cvt_i32_f32_e32 v4, v1
.LBB289_614:
	s_mov_b64 s[2:3], 0
.LBB289_615:
	s_andn2_b64 vcc, exec, s[2:3]
	s_cbranch_vccnz .LBB289_617
; %bb.616:
	global_load_ubyte v1, v[2:3], off
	s_movk_i32 s2, 0x7f00
	s_brev_b32 s3, 16
	s_waitcnt vmcnt(0)
	v_lshlrev_b16_e32 v4, 8, v1
	v_lshlrev_b32_e32 v1, 25, v1
	v_lshrrev_b32_e32 v5, 4, v1
	v_and_or_b32 v6, v4, s2, 0.5
	v_or_b32_e32 v5, 0x70000000, v5
	v_add_f32_e32 v6, -0.5, v6
	v_mul_f32_e32 v5, 0x7800000, v5
	v_cmp_gt_u32_e32 vcc, s3, v1
	v_bfe_i32 v4, v4, 0, 16
	s_brev_b32 s2, 1
	v_cndmask_b32_e32 v1, v5, v6, vcc
	v_and_or_b32 v1, v4, s2, v1
	v_cvt_i32_f32_e32 v4, v1
.LBB289_617:
	s_mov_b64 s[6:7], 0
	s_mov_b64 s[2:3], -1
.LBB289_618:
	s_andn2_b64 vcc, exec, s[6:7]
	s_cbranch_vccnz .LBB289_631
; %bb.619:
	s_cmp_gt_i32 s8, 14
	s_cbranch_scc0 .LBB289_622
; %bb.620:
	s_cmp_eq_u32 s8, 15
	s_cbranch_scc0 .LBB289_625
; %bb.621:
	global_load_ushort v1, v[2:3], off
	s_mov_b64 s[2:3], -1
	s_mov_b64 s[4:5], 0
	s_waitcnt vmcnt(0)
	v_lshlrev_b32_e32 v1, 16, v1
	v_cvt_i32_f32_e32 v4, v1
	s_branch .LBB289_626
.LBB289_622:
	s_mov_b64 s[6:7], -1
                                        ; implicit-def: $vgpr4
	s_branch .LBB289_627
.LBB289_623:
	s_andn2_saveexec_b64 s[2:3], s[2:3]
	s_cbranch_execz .LBB289_604
.LBB289_624:
	v_cmp_ne_u16_e32 vcc, 0, v1
	s_andn2_b64 s[6:7], s[6:7], exec
	s_and_b64 s[10:11], vcc, exec
	s_or_b64 s[6:7], s[6:7], s[10:11]
	s_or_b64 exec, exec, s[2:3]
	v_mov_b32_e32 v4, 0
	s_and_saveexec_b64 s[2:3], s[6:7]
	s_cbranch_execnz .LBB289_605
	s_branch .LBB289_606
.LBB289_625:
	s_mov_b64 s[4:5], -1
                                        ; implicit-def: $vgpr4
.LBB289_626:
	s_mov_b64 s[6:7], 0
.LBB289_627:
	s_and_b64 vcc, exec, s[6:7]
	s_cbranch_vccz .LBB289_631
; %bb.628:
	s_cmp_eq_u32 s8, 11
	s_cbranch_scc0 .LBB289_630
; %bb.629:
	global_load_ubyte v1, v[2:3], off
	s_mov_b64 s[2:3], -1
	s_mov_b64 s[4:5], 0
	s_waitcnt vmcnt(0)
	v_cmp_ne_u16_e32 vcc, 0, v1
	s_nop 1
	v_cndmask_b32_e64 v4, 0, 1, vcc
	s_branch .LBB289_631
.LBB289_630:
	s_mov_b64 s[4:5], -1
                                        ; implicit-def: $vgpr4
.LBB289_631:
	s_mov_b64 s[6:7], 0
.LBB289_632:
	s_and_b64 vcc, exec, s[6:7]
	s_cbranch_vccz .LBB289_681
; %bb.633:
	s_cmp_lt_i32 s8, 5
	s_cbranch_scc1 .LBB289_638
; %bb.634:
	s_cmp_lt_i32 s8, 8
	s_cbranch_scc1 .LBB289_639
; %bb.635:
	s_cmp_lt_i32 s8, 9
	s_cbranch_scc1 .LBB289_640
; %bb.636:
	s_cmp_gt_i32 s8, 9
	s_cbranch_scc0 .LBB289_641
; %bb.637:
	global_load_dwordx2 v[4:5], v[2:3], off
	s_mov_b64 s[2:3], 0
	s_waitcnt vmcnt(0)
	v_cvt_i32_f64_e32 v4, v[4:5]
	s_branch .LBB289_642
.LBB289_638:
	s_mov_b64 s[2:3], -1
                                        ; implicit-def: $vgpr4
	s_branch .LBB289_660
.LBB289_639:
	s_mov_b64 s[2:3], -1
                                        ; implicit-def: $vgpr4
	s_branch .LBB289_648
.LBB289_640:
	s_mov_b64 s[2:3], -1
                                        ; implicit-def: $vgpr4
	s_branch .LBB289_645
.LBB289_641:
	s_mov_b64 s[2:3], -1
                                        ; implicit-def: $vgpr4
.LBB289_642:
	s_andn2_b64 vcc, exec, s[2:3]
	s_cbranch_vccnz .LBB289_644
; %bb.643:
	global_load_dword v1, v[2:3], off
	s_waitcnt vmcnt(0)
	v_cvt_i32_f32_e32 v4, v1
.LBB289_644:
	s_mov_b64 s[2:3], 0
.LBB289_645:
	s_andn2_b64 vcc, exec, s[2:3]
	s_cbranch_vccnz .LBB289_647
; %bb.646:
	global_load_dword v1, v[2:3], off
	s_waitcnt vmcnt(0)
	v_cvt_i16_f16_e32 v4, v1
.LBB289_647:
	s_mov_b64 s[2:3], 0
.LBB289_648:
	s_andn2_b64 vcc, exec, s[2:3]
	s_cbranch_vccnz .LBB289_659
; %bb.649:
	s_cmp_lt_i32 s8, 6
	s_cbranch_scc1 .LBB289_652
; %bb.650:
	s_cmp_gt_i32 s8, 6
	s_cbranch_scc0 .LBB289_653
; %bb.651:
	global_load_dwordx2 v[4:5], v[2:3], off
	s_mov_b64 s[2:3], 0
	s_waitcnt vmcnt(0)
	v_cvt_i32_f64_e32 v4, v[4:5]
	s_branch .LBB289_654
.LBB289_652:
	s_mov_b64 s[2:3], -1
                                        ; implicit-def: $vgpr4
	s_branch .LBB289_657
.LBB289_653:
	s_mov_b64 s[2:3], -1
                                        ; implicit-def: $vgpr4
.LBB289_654:
	s_andn2_b64 vcc, exec, s[2:3]
	s_cbranch_vccnz .LBB289_656
; %bb.655:
	global_load_dword v1, v[2:3], off
	s_waitcnt vmcnt(0)
	v_cvt_i32_f32_e32 v4, v1
.LBB289_656:
	s_mov_b64 s[2:3], 0
.LBB289_657:
	s_andn2_b64 vcc, exec, s[2:3]
	s_cbranch_vccnz .LBB289_659
; %bb.658:
	global_load_ushort v1, v[2:3], off
	s_waitcnt vmcnt(0)
	v_cvt_i16_f16_e32 v4, v1
.LBB289_659:
	s_mov_b64 s[2:3], 0
.LBB289_660:
	s_andn2_b64 vcc, exec, s[2:3]
	s_cbranch_vccnz .LBB289_680
; %bb.661:
	s_cmp_lt_i32 s8, 2
	s_cbranch_scc1 .LBB289_665
; %bb.662:
	s_cmp_lt_i32 s8, 3
	s_cbranch_scc1 .LBB289_666
; %bb.663:
	s_cmp_gt_i32 s8, 3
	s_cbranch_scc0 .LBB289_667
; %bb.664:
	global_load_dwordx2 v[4:5], v[2:3], off
	s_mov_b64 s[2:3], 0
	s_branch .LBB289_668
.LBB289_665:
	s_mov_b64 s[2:3], -1
                                        ; implicit-def: $vgpr4
	s_branch .LBB289_674
.LBB289_666:
	s_mov_b64 s[2:3], -1
                                        ; implicit-def: $vgpr4
	s_branch .LBB289_671
.LBB289_667:
	s_mov_b64 s[2:3], -1
                                        ; implicit-def: $vgpr4
.LBB289_668:
	s_andn2_b64 vcc, exec, s[2:3]
	s_cbranch_vccnz .LBB289_670
; %bb.669:
	global_load_dword v4, v[2:3], off
.LBB289_670:
	s_mov_b64 s[2:3], 0
.LBB289_671:
	s_andn2_b64 vcc, exec, s[2:3]
	s_cbranch_vccnz .LBB289_673
; %bb.672:
	global_load_ushort v4, v[2:3], off
.LBB289_673:
	s_mov_b64 s[2:3], 0
.LBB289_674:
	s_andn2_b64 vcc, exec, s[2:3]
	s_cbranch_vccnz .LBB289_680
; %bb.675:
	s_cmp_gt_i32 s8, 0
	s_cbranch_scc0 .LBB289_677
; %bb.676:
	global_load_ubyte v4, v[2:3], off
	s_mov_b64 s[2:3], 0
	s_branch .LBB289_678
.LBB289_677:
	s_mov_b64 s[2:3], -1
                                        ; implicit-def: $vgpr4
.LBB289_678:
	s_andn2_b64 vcc, exec, s[2:3]
	s_cbranch_vccnz .LBB289_680
; %bb.679:
	global_load_ubyte v4, v[2:3], off
.LBB289_680:
	s_mov_b64 s[2:3], -1
.LBB289_681:
	s_andn2_b64 vcc, exec, s[2:3]
	s_cbranch_vccnz .LBB289_689
; %bb.682:
	s_bfe_i32 s2, s74, 0x80000
	s_waitcnt vmcnt(0)
	v_max_i16_sdwa v1, sext(v4), s2 dst_sel:DWORD dst_unused:UNUSED_PAD src0_sel:BYTE_0 src1_sel:DWORD
	s_bfe_i32 s2, s75, 0x80000
	v_min_i16_e32 v4, s2, v1
	v_mov_b32_e32 v1, 0
	s_and_b32 s12, s73, 0xff
	s_cmp_lt_i32 s12, 11
	v_lshl_add_u64 v[0:1], s[20:21], 0, v[0:1]
	s_cbranch_scc1 .LBB289_690
; %bb.683:
	s_and_b32 s13, 0xffff, s12
	s_cmp_gt_i32 s13, 25
	s_cbranch_scc0 .LBB289_691
; %bb.684:
	s_cmp_gt_i32 s13, 28
	s_cbranch_scc0 .LBB289_692
; %bb.685:
	;; [unrolled: 3-line block ×4, first 2 shown]
	s_mov_b64 s[8:9], 0
	s_mov_b64 s[2:3], -1
	s_cmp_eq_u32 s13, 46
	s_mov_b64 s[6:7], 0
	s_cbranch_scc0 .LBB289_695
; %bb.688:
	v_cvt_f32_i32_sdwa v2, sext(v4) dst_sel:DWORD dst_unused:UNUSED_PAD src0_sel:WORD_0
	s_movk_i32 s2, 0x7fff
	s_mov_b64 s[6:7], -1
	v_bfe_u32 v3, v2, 16, 1
	v_add3_u32 v2, v2, v3, s2
	v_lshrrev_b32_e32 v2, 16, v2
	global_store_dword v[0:1], v2, off
	s_mov_b64 s[2:3], 0
	s_branch .LBB289_695
.LBB289_689:
	s_mov_b64 s[6:7], 0
	s_mov_b64 s[2:3], s[62:63]
	s_branch .LBB289_806
.LBB289_690:
	s_mov_b64 s[8:9], -1
	s_mov_b64 s[6:7], 0
	s_mov_b64 s[2:3], s[62:63]
	s_branch .LBB289_764
.LBB289_691:
	s_mov_b64 s[8:9], -1
	s_mov_b64 s[6:7], 0
	s_mov_b64 s[2:3], s[62:63]
	s_branch .LBB289_722
.LBB289_692:
	s_mov_b64 s[8:9], -1
	s_mov_b64 s[6:7], 0
	s_mov_b64 s[2:3], s[62:63]
	s_branch .LBB289_705
.LBB289_693:
	s_mov_b64 s[8:9], -1
	s_mov_b64 s[6:7], 0
	s_mov_b64 s[2:3], s[62:63]
	s_branch .LBB289_701
.LBB289_694:
	s_mov_b64 s[8:9], -1
	s_mov_b64 s[6:7], 0
	s_mov_b64 s[2:3], s[62:63]
.LBB289_695:
	s_and_b64 vcc, exec, s[8:9]
	s_cbranch_vccz .LBB289_700
; %bb.696:
	s_cmp_eq_u32 s13, 44
	s_mov_b64 s[2:3], -1
	s_cbranch_scc0 .LBB289_700
; %bb.697:
	v_cvt_f32_i32_sdwa v2, sext(v4) dst_sel:DWORD dst_unused:UNUSED_PAD src0_sel:WORD_0
	s_movk_i32 s2, 0xff
	v_mov_b32_e32 v5, 0xff
	v_bfe_u32 v3, v2, 23, 8
	v_cmp_ne_u32_e32 vcc, s2, v3
	s_and_saveexec_b64 s[6:7], vcc
; %bb.698:
	s_mov_b32 s2, 0x3fffff
	v_lshrrev_b32_e32 v5, 23, v2
	v_and_b32_e32 v6, 0x400000, v2
	v_and_or_b32 v2, v2, s2, v3
	v_cmp_ne_u32_e32 vcc, 0, v6
	v_cmp_ne_u32_e64 s[2:3], 0, v2
	s_and_b64 s[2:3], vcc, s[2:3]
	s_nop 0
	v_cndmask_b32_e64 v2, 0, 1, s[2:3]
	v_add_u32_e32 v5, v5, v2
; %bb.699:
	s_or_b64 exec, exec, s[6:7]
	s_mov_b64 s[6:7], -1
	s_mov_b64 s[2:3], 0
	global_store_byte v[0:1], v5, off
.LBB289_700:
	s_mov_b64 s[8:9], 0
.LBB289_701:
	s_and_b64 vcc, exec, s[8:9]
	s_cbranch_vccz .LBB289_704
; %bb.702:
	s_cmp_eq_u32 s13, 29
	s_mov_b64 s[2:3], -1
	s_cbranch_scc0 .LBB289_704
; %bb.703:
	v_bfe_i32 v2, v4, 0, 16
	v_ashrrev_i32_e32 v3, 31, v2
	global_store_dwordx2 v[0:1], v[2:3], off
	s_mov_b64 s[6:7], -1
	s_mov_b64 s[2:3], 0
.LBB289_704:
	s_mov_b64 s[8:9], 0
.LBB289_705:
	s_and_b64 vcc, exec, s[8:9]
	s_cbranch_vccz .LBB289_721
; %bb.706:
	s_cmp_lt_i32 s13, 27
	s_mov_b64 s[6:7], -1
	s_cbranch_scc1 .LBB289_712
; %bb.707:
	s_cmp_gt_i32 s13, 27
	s_cbranch_scc0 .LBB289_709
; %bb.708:
	v_bfe_i32 v2, v4, 0, 16
	s_mov_b64 s[6:7], 0
	global_store_dword v[0:1], v2, off
.LBB289_709:
	s_andn2_b64 vcc, exec, s[6:7]
	s_cbranch_vccnz .LBB289_711
; %bb.710:
	global_store_short v[0:1], v4, off
.LBB289_711:
	s_mov_b64 s[6:7], 0
.LBB289_712:
	s_andn2_b64 vcc, exec, s[6:7]
	s_cbranch_vccnz .LBB289_720
; %bb.713:
	v_cvt_f32_i32_sdwa v2, sext(v4) dst_sel:DWORD dst_unused:UNUSED_PAD src0_sel:WORD_0
	s_mov_b32 s6, 0x43800000
	v_mov_b32_e32 v5, 0x80
	v_and_b32_e32 v3, 0x7fffffff, v2
	v_cmp_gt_u32_e32 vcc, s6, v3
	s_and_saveexec_b64 s[6:7], vcc
	s_cbranch_execz .LBB289_719
; %bb.714:
	s_mov_b32 s8, 0x3bffffff
	v_cmp_lt_u32_e32 vcc, s8, v3
	s_mov_b64 s[8:9], 0
                                        ; implicit-def: $vgpr3
	s_and_saveexec_b64 s[10:11], vcc
	s_xor_b64 s[10:11], exec, s[10:11]
	s_cbranch_execz .LBB289_837
; %bb.715:
	v_bfe_u32 v3, v2, 20, 1
	s_mov_b32 s14, 0x487ffff
	v_add3_u32 v3, v2, v3, s14
	s_mov_b64 s[8:9], exec
	v_lshrrev_b32_e32 v3, 20, v3
	s_andn2_saveexec_b64 s[10:11], s[10:11]
	s_cbranch_execnz .LBB289_838
.LBB289_716:
	s_or_b64 exec, exec, s[10:11]
	v_mov_b32_e32 v5, 0
	s_and_saveexec_b64 s[10:11], s[8:9]
.LBB289_717:
	v_lshrrev_b32_e32 v2, 24, v2
	s_movk_i32 s8, 0x80
	v_and_or_b32 v5, v2, s8, v3
.LBB289_718:
	s_or_b64 exec, exec, s[10:11]
.LBB289_719:
	s_or_b64 exec, exec, s[6:7]
	global_store_byte v[0:1], v5, off
.LBB289_720:
	s_mov_b64 s[6:7], -1
.LBB289_721:
	s_mov_b64 s[8:9], 0
.LBB289_722:
	s_and_b64 vcc, exec, s[8:9]
	s_cbranch_vccz .LBB289_763
; %bb.723:
	s_cmp_gt_i32 s13, 22
	s_mov_b64 s[8:9], -1
	s_cbranch_scc0 .LBB289_755
; %bb.724:
	s_cmp_lt_i32 s13, 24
	s_mov_b64 s[6:7], -1
	s_cbranch_scc1 .LBB289_744
; %bb.725:
	s_cmp_gt_i32 s13, 24
	s_cbranch_scc0 .LBB289_733
; %bb.726:
	v_cvt_f32_i32_sdwa v2, sext(v4) dst_sel:DWORD dst_unused:UNUSED_PAD src0_sel:WORD_0
	s_mov_b32 s6, 0x47800000
	v_mov_b32_e32 v5, 0x80
	v_and_b32_e32 v3, 0x7fffffff, v2
	v_cmp_gt_u32_e32 vcc, s6, v3
	s_and_saveexec_b64 s[6:7], vcc
	s_cbranch_execz .LBB289_732
; %bb.727:
	s_mov_b32 s8, 0x37ffffff
	v_cmp_lt_u32_e32 vcc, s8, v3
	s_mov_b64 s[8:9], 0
                                        ; implicit-def: $vgpr3
	s_and_saveexec_b64 s[10:11], vcc
	s_xor_b64 s[10:11], exec, s[10:11]
	s_cbranch_execz .LBB289_840
; %bb.728:
	v_bfe_u32 v3, v2, 21, 1
	s_mov_b32 s14, 0x88fffff
	v_add3_u32 v3, v2, v3, s14
	s_mov_b64 s[8:9], exec
	v_lshrrev_b32_e32 v3, 21, v3
	s_andn2_saveexec_b64 s[10:11], s[10:11]
	s_cbranch_execnz .LBB289_841
.LBB289_729:
	s_or_b64 exec, exec, s[10:11]
	v_mov_b32_e32 v5, 0
	s_and_saveexec_b64 s[10:11], s[8:9]
.LBB289_730:
	v_lshrrev_b32_e32 v2, 24, v2
	s_movk_i32 s8, 0x80
	v_and_or_b32 v5, v2, s8, v3
.LBB289_731:
	s_or_b64 exec, exec, s[10:11]
.LBB289_732:
	s_or_b64 exec, exec, s[6:7]
	s_mov_b64 s[6:7], 0
	global_store_byte v[0:1], v5, off
.LBB289_733:
	s_and_b64 vcc, exec, s[6:7]
	s_cbranch_vccz .LBB289_743
; %bb.734:
	v_cvt_f32_i32_sdwa v2, sext(v4) dst_sel:DWORD dst_unused:UNUSED_PAD src0_sel:WORD_0
	s_mov_b32 s6, 0x43f00000
                                        ; implicit-def: $vgpr3
	v_and_b32_e32 v5, 0x7fffffff, v2
	v_cmp_gt_u32_e32 vcc, s6, v5
	s_and_saveexec_b64 s[6:7], vcc
	s_xor_b64 s[6:7], exec, s[6:7]
	s_cbranch_execz .LBB289_740
; %bb.735:
	s_mov_b32 s8, 0x3c7fffff
	v_cmp_lt_u32_e32 vcc, s8, v5
                                        ; implicit-def: $vgpr3
	s_and_saveexec_b64 s[8:9], vcc
	s_xor_b64 s[8:9], exec, s[8:9]
; %bb.736:
	v_bfe_u32 v3, v2, 20, 1
	s_mov_b32 s10, 0x407ffff
	v_add3_u32 v3, v2, v3, s10
	v_lshrrev_b32_e32 v5, 20, v3
	v_and_b32_e32 v3, 0xff00000, v3
	s_mov_b32 s10, 0x7f00000
	v_mov_b32_e32 v6, 0x7e
	v_cmp_ne_u32_e32 vcc, s10, v3
	s_nop 1
	v_cndmask_b32_e32 v3, v6, v5, vcc
; %bb.737:
	s_andn2_saveexec_b64 s[8:9], s[8:9]
; %bb.738:
	s_mov_b32 s10, 0x46800000
	v_add_f32_e64 v3, |v2|, s10
; %bb.739:
	s_or_b64 exec, exec, s[8:9]
                                        ; implicit-def: $vgpr5
.LBB289_740:
	s_andn2_saveexec_b64 s[6:7], s[6:7]
; %bb.741:
	s_mov_b32 s8, 0x7f800000
	v_mov_b32_e32 v3, 0x7e
	v_mov_b32_e32 v6, 0x7f
	v_cmp_lt_u32_e32 vcc, s8, v5
	s_nop 1
	v_cndmask_b32_e32 v3, v3, v6, vcc
; %bb.742:
	s_or_b64 exec, exec, s[6:7]
	v_lshrrev_b32_e32 v2, 24, v2
	s_movk_i32 s6, 0x80
	v_and_or_b32 v2, v2, s6, v3
	global_store_byte v[0:1], v2, off
.LBB289_743:
	s_mov_b64 s[6:7], 0
.LBB289_744:
	s_andn2_b64 vcc, exec, s[6:7]
	s_cbranch_vccnz .LBB289_754
; %bb.745:
	v_cvt_f32_i32_sdwa v2, sext(v4) dst_sel:DWORD dst_unused:UNUSED_PAD src0_sel:WORD_0
	s_mov_b32 s6, 0x47800000
                                        ; implicit-def: $vgpr3
	v_and_b32_e32 v5, 0x7fffffff, v2
	v_cmp_gt_u32_e32 vcc, s6, v5
	s_and_saveexec_b64 s[6:7], vcc
	s_xor_b64 s[6:7], exec, s[6:7]
	s_cbranch_execz .LBB289_751
; %bb.746:
	s_mov_b32 s8, 0x387fffff
	v_cmp_lt_u32_e32 vcc, s8, v5
                                        ; implicit-def: $vgpr3
	s_and_saveexec_b64 s[8:9], vcc
	s_xor_b64 s[8:9], exec, s[8:9]
; %bb.747:
	v_bfe_u32 v3, v2, 21, 1
	s_mov_b32 s10, 0x80fffff
	v_add3_u32 v3, v2, v3, s10
	v_lshrrev_b32_e32 v3, 21, v3
; %bb.748:
	s_andn2_saveexec_b64 s[8:9], s[8:9]
; %bb.749:
	s_mov_b32 s10, 0x43000000
	v_add_f32_e64 v3, |v2|, s10
; %bb.750:
	s_or_b64 exec, exec, s[8:9]
                                        ; implicit-def: $vgpr5
.LBB289_751:
	s_andn2_saveexec_b64 s[6:7], s[6:7]
; %bb.752:
	s_mov_b32 s8, 0x7f800000
	v_mov_b32_e32 v3, 0x7c
	v_mov_b32_e32 v6, 0x7f
	v_cmp_lt_u32_e32 vcc, s8, v5
	s_nop 1
	v_cndmask_b32_e32 v3, v3, v6, vcc
; %bb.753:
	s_or_b64 exec, exec, s[6:7]
	v_lshrrev_b32_e32 v2, 24, v2
	s_movk_i32 s6, 0x80
	v_and_or_b32 v2, v2, s6, v3
	global_store_byte v[0:1], v2, off
.LBB289_754:
	s_mov_b64 s[8:9], 0
	s_mov_b64 s[6:7], -1
.LBB289_755:
	s_andn2_b64 vcc, exec, s[8:9]
	s_cbranch_vccnz .LBB289_763
; %bb.756:
	s_cmp_gt_i32 s13, 14
	s_mov_b64 s[8:9], -1
	s_cbranch_scc0 .LBB289_760
; %bb.757:
	s_cmp_eq_u32 s13, 15
	s_mov_b64 s[2:3], -1
	s_cbranch_scc0 .LBB289_759
; %bb.758:
	v_cvt_f32_i32_sdwa v2, sext(v4) dst_sel:DWORD dst_unused:UNUSED_PAD src0_sel:WORD_0
	s_movk_i32 s2, 0x7fff
	s_mov_b64 s[6:7], -1
	v_bfe_u32 v3, v2, 16, 1
	v_add3_u32 v2, v2, v3, s2
	global_store_short_d16_hi v[0:1], v2, off
	s_mov_b64 s[2:3], 0
.LBB289_759:
	s_mov_b64 s[8:9], 0
.LBB289_760:
	s_and_b64 vcc, exec, s[8:9]
	s_cbranch_vccz .LBB289_763
; %bb.761:
	s_cmp_eq_u32 s13, 11
	s_mov_b64 s[2:3], -1
	s_cbranch_scc0 .LBB289_763
; %bb.762:
	v_cmp_ne_u16_e32 vcc, 0, v4
	s_mov_b64 s[6:7], -1
	s_mov_b64 s[2:3], 0
	v_cndmask_b32_e64 v2, 0, 1, vcc
	global_store_byte v[0:1], v2, off
.LBB289_763:
	s_mov_b64 s[8:9], 0
.LBB289_764:
	s_and_b64 vcc, exec, s[8:9]
	s_cbranch_vccz .LBB289_803
; %bb.765:
	s_and_b32 s8, 0xffff, s12
	s_cmp_lt_i32 s8, 5
	s_mov_b64 s[6:7], -1
	s_cbranch_scc1 .LBB289_786
; %bb.766:
	s_cmp_lt_i32 s8, 8
	s_cbranch_scc1 .LBB289_776
; %bb.767:
	s_cmp_lt_i32 s8, 9
	s_cbranch_scc1 .LBB289_773
; %bb.768:
	s_cmp_gt_i32 s8, 9
	s_cbranch_scc0 .LBB289_770
; %bb.769:
	v_bfe_i32 v2, v4, 0, 16
	v_mov_b32_e32 v12, 0
	v_cvt_f64_i32_e32 v[10:11], v2
	v_mov_b32_e32 v13, v12
	s_mov_b64 s[6:7], 0
	global_store_dwordx4 v[0:1], v[10:13], off
.LBB289_770:
	s_andn2_b64 vcc, exec, s[6:7]
	s_cbranch_vccnz .LBB289_772
; %bb.771:
	v_cvt_f32_i32_sdwa v2, sext(v4) dst_sel:DWORD dst_unused:UNUSED_PAD src0_sel:WORD_0
	v_mov_b32_e32 v3, 0
	global_store_dwordx2 v[0:1], v[2:3], off
.LBB289_772:
	s_mov_b64 s[6:7], 0
.LBB289_773:
	s_andn2_b64 vcc, exec, s[6:7]
	s_cbranch_vccnz .LBB289_775
; %bb.774:
	v_cvt_f16_i16_e32 v2, v4
	global_store_dword v[0:1], v2, off
.LBB289_775:
	s_mov_b64 s[6:7], 0
.LBB289_776:
	s_andn2_b64 vcc, exec, s[6:7]
	s_cbranch_vccnz .LBB289_785
; %bb.777:
	s_cmp_lt_i32 s8, 6
	s_mov_b64 s[6:7], -1
	s_cbranch_scc1 .LBB289_783
; %bb.778:
	s_cmp_gt_i32 s8, 6
	s_cbranch_scc0 .LBB289_780
; %bb.779:
	v_bfe_i32 v2, v4, 0, 16
	v_cvt_f64_i32_e32 v[2:3], v2
	s_mov_b64 s[6:7], 0
	global_store_dwordx2 v[0:1], v[2:3], off
.LBB289_780:
	s_andn2_b64 vcc, exec, s[6:7]
	s_cbranch_vccnz .LBB289_782
; %bb.781:
	v_cvt_f32_i32_sdwa v2, sext(v4) dst_sel:DWORD dst_unused:UNUSED_PAD src0_sel:WORD_0
	global_store_dword v[0:1], v2, off
.LBB289_782:
	s_mov_b64 s[6:7], 0
.LBB289_783:
	s_andn2_b64 vcc, exec, s[6:7]
	s_cbranch_vccnz .LBB289_785
; %bb.784:
	v_cvt_f16_i16_e32 v2, v4
	global_store_short v[0:1], v2, off
.LBB289_785:
	s_mov_b64 s[6:7], 0
.LBB289_786:
	s_andn2_b64 vcc, exec, s[6:7]
	s_cbranch_vccnz .LBB289_802
; %bb.787:
	s_cmp_lt_i32 s8, 2
	s_mov_b64 s[6:7], -1
	s_cbranch_scc1 .LBB289_797
; %bb.788:
	s_cmp_lt_i32 s8, 3
	s_cbranch_scc1 .LBB289_794
; %bb.789:
	s_cmp_gt_i32 s8, 3
	v_bfe_i32 v2, v4, 0, 16
	s_cbranch_scc0 .LBB289_791
; %bb.790:
	v_ashrrev_i32_e32 v3, 31, v2
	s_mov_b64 s[6:7], 0
	global_store_dwordx2 v[0:1], v[2:3], off
.LBB289_791:
	s_andn2_b64 vcc, exec, s[6:7]
	s_cbranch_vccnz .LBB289_793
; %bb.792:
	global_store_dword v[0:1], v2, off
.LBB289_793:
	s_mov_b64 s[6:7], 0
.LBB289_794:
	s_andn2_b64 vcc, exec, s[6:7]
	s_cbranch_vccnz .LBB289_796
; %bb.795:
	global_store_short v[0:1], v4, off
.LBB289_796:
	s_mov_b64 s[6:7], 0
.LBB289_797:
	s_andn2_b64 vcc, exec, s[6:7]
	s_cbranch_vccnz .LBB289_802
; %bb.798:
	s_cmp_gt_i32 s8, 0
	s_mov_b64 s[6:7], -1
	s_cbranch_scc0 .LBB289_800
; %bb.799:
	s_mov_b64 s[6:7], 0
	global_store_byte v[0:1], v4, off
.LBB289_800:
	s_andn2_b64 vcc, exec, s[6:7]
	s_cbranch_vccnz .LBB289_802
; %bb.801:
	global_store_byte v[0:1], v4, off
.LBB289_802:
	s_mov_b64 s[6:7], -1
.LBB289_803:
	s_andn2_b64 vcc, exec, s[6:7]
	s_cbranch_vccnz .LBB289_805
; %bb.804:
	v_add_u32_e32 v8, 0x80, v8
	s_mov_b64 s[6:7], -1
	s_branch .LBB289_807
.LBB289_805:
	s_mov_b64 s[6:7], 0
.LBB289_806:
                                        ; implicit-def: $vgpr8
.LBB289_807:
	s_andn2_b64 s[8:9], s[62:63], exec
	s_and_b64 s[2:3], s[2:3], exec
	s_or_b64 s[68:69], s[8:9], s[2:3]
	s_andn2_b64 s[2:3], s[60:61], exec
	s_and_b64 s[4:5], s[4:5], exec
	s_or_b64 s[2:3], s[2:3], s[4:5]
	s_orn2_b64 s[6:7], s[6:7], exec
.LBB289_808:
	s_or_b64 exec, exec, s[66:67]
	s_mov_b64 s[4:5], 0
	s_mov_b64 s[10:11], 0
	;; [unrolled: 1-line block ×3, first 2 shown]
                                        ; implicit-def: $vgpr2_vgpr3
                                        ; implicit-def: $vgpr0
                                        ; implicit-def: $vgpr4
	s_and_saveexec_b64 s[66:67], s[6:7]
	s_cbranch_execz .LBB289_904
; %bb.809:
	v_cmp_gt_i32_e32 vcc, s70, v8
	s_mov_b64 s[6:7], 0
	s_mov_b64 s[12:13], s[2:3]
                                        ; implicit-def: $vgpr2_vgpr3
                                        ; implicit-def: $vgpr0
                                        ; implicit-def: $vgpr4
	s_and_saveexec_b64 s[70:71], vcc
	s_cbranch_execz .LBB289_903
; %bb.810:
	s_andn2_b64 vcc, exec, s[42:43]
	s_cbranch_vccnz .LBB289_816
; %bb.811:
	s_andn2_b64 vcc, exec, s[52:53]
	s_cbranch_vccnz .LBB289_817
; %bb.812:
	s_add_i32 s78, s77, 1
	s_cmp_eq_u32 s72, 2
	s_cbranch_scc1 .LBB289_818
; %bb.813:
	s_and_b32 s77, s78, 28
	s_mov_b32 s79, 0
	v_mov_b32_e32 v0, 0
	v_mov_b32_e32 v2, 0
	s_mov_b64 s[52:53], s[34:35]
	s_waitcnt vmcnt(0)
	v_mov_b32_e32 v4, v8
.LBB289_814:                            ; =>This Inner Loop Header: Depth=1
	s_load_dwordx8 s[12:19], s[52:53], 0x4
	s_load_dwordx4 s[36:39], s[52:53], 0x24
	s_load_dwordx8 s[4:11], s[50:51], 0x0
	s_add_u32 s52, s52, 48
	s_addc_u32 s53, s53, 0
	s_waitcnt lgkmcnt(0)
	v_mul_hi_u32 v1, s13, v4
	v_add_u32_e32 v1, v4, v1
	v_lshrrev_b32_e32 v1, s14, v1
	v_mul_lo_u32 v3, v1, s12
	v_mul_hi_u32 v5, s16, v1
	v_sub_u32_e32 v3, v4, v3
	v_add_u32_e32 v4, v1, v5
	v_lshrrev_b32_e32 v4, s17, v4
	v_mul_lo_u32 v6, v4, s15
	v_mul_hi_u32 v7, s19, v4
	v_sub_u32_e32 v1, v1, v6
	v_add_u32_e32 v6, v4, v7
	v_mul_lo_u32 v5, v3, s5
	v_mul_lo_u32 v3, v3, s4
	;; [unrolled: 1-line block ×4, first 2 shown]
	v_lshrrev_b32_e32 v6, s36, v6
	v_add3_u32 v0, v3, v0, v1
	v_mul_hi_u32 v3, s38, v6
	v_add3_u32 v1, v5, v2, v7
	v_mul_lo_u32 v2, v6, s18
	v_add_u32_e32 v3, v6, v3
	v_sub_u32_e32 v2, v4, v2
	v_lshrrev_b32_e32 v4, s39, v3
	s_add_i32 s79, s79, 4
	v_mul_lo_u32 v3, v4, s37
	s_add_u32 s50, s50, 32
	v_sub_u32_e32 v3, v6, v3
	s_addc_u32 s51, s51, 0
	v_mul_lo_u32 v5, v2, s8
	v_mul_lo_u32 v2, v2, s9
	;; [unrolled: 1-line block ×4, first 2 shown]
	s_cmp_eq_u32 s77, s79
	v_add3_u32 v2, v2, v1, v3
	v_add3_u32 v0, v5, v0, v6
	s_cbranch_scc0 .LBB289_814
; %bb.815:
	v_mov_b32_e32 v1, v2
	s_branch .LBB289_819
.LBB289_816:
	s_mov_b64 s[4:5], -1
                                        ; implicit-def: $vgpr2
                                        ; implicit-def: $vgpr0
	s_branch .LBB289_823
.LBB289_817:
	v_mov_b32_e32 v2, 0
	v_mov_b32_e32 v0, 0
	s_branch .LBB289_822
.LBB289_818:
	v_mov_b32_e32 v0, 0
	s_mov_b32 s77, 0
	v_mov_b32_e32 v1, v0
                                        ; implicit-def: $vgpr2
	s_waitcnt vmcnt(0)
	v_mov_b32_e32 v4, v8
.LBB289_819:
	s_and_b32 s8, s78, 3
	s_cmp_eq_u32 s8, 0
	s_cbranch_scc1 .LBB289_822
; %bb.820:
	s_lshl_b32 s4, s77, 3
	s_add_u32 s4, s34, s4
	s_addc_u32 s5, s35, 0
	s_add_u32 s4, s4, 0xc4
	s_addc_u32 s5, s5, 0
	s_mul_i32 s6, s77, 12
	s_add_u32 s6, s34, s6
	s_addc_u32 s7, s35, 0
.LBB289_821:                            ; =>This Inner Loop Header: Depth=1
	s_load_dwordx2 s[10:11], s[6:7], 0x4
	s_load_dword s9, s[6:7], 0xc
	s_load_dwordx2 s[12:13], s[4:5], 0x0
	v_mov_b32_e32 v2, v1
	s_add_u32 s6, s6, 12
	s_waitcnt lgkmcnt(0)
	v_mul_hi_u32 v1, s11, v4
	v_add_u32_e32 v1, v4, v1
	v_lshrrev_b32_e32 v1, s9, v1
	s_addc_u32 s7, s7, 0
	v_mul_lo_u32 v3, v1, s10
	s_add_u32 s4, s4, 8
	v_sub_u32_e32 v5, v4, v3
	s_addc_u32 s5, s5, 0
	s_add_i32 s8, s8, -1
	v_mov_b32_e32 v4, v1
	v_mad_u64_u32 v[2:3], s[10:11], v5, s13, v[2:3]
	v_mad_u64_u32 v[0:1], s[10:11], v5, s12, v[0:1]
	s_cmp_lg_u32 s8, 0
	v_mov_b32_e32 v1, v2
	s_cbranch_scc1 .LBB289_821
.LBB289_822:
	s_mov_b64 s[4:5], 0
.LBB289_823:
	s_andn2_b64 vcc, exec, s[4:5]
	s_cbranch_vccnz .LBB289_826
; %bb.824:
	v_mul_hi_u32 v0, s25, v8
	v_add_u32_e32 v0, v8, v0
	v_lshrrev_b32_e32 v1, s26, v0
	v_mul_lo_u32 v0, v1, s24
	v_sub_u32_e32 v0, v8, v0
	v_mul_lo_u32 v2, v0, s29
	s_andn2_b64 vcc, exec, s[48:49]
	v_mul_lo_u32 v0, v0, s28
	s_cbranch_vccnz .LBB289_826
; %bb.825:
	v_mul_hi_u32 v3, s46, v1
	v_add_u32_e32 v3, v1, v3
	v_lshrrev_b32_e32 v3, s47, v3
	v_mul_lo_u32 v3, v3, s27
	v_sub_u32_e32 v3, v1, v3
	v_mad_u64_u32 v[0:1], s[4:5], v3, s30, v[0:1]
	v_mad_u64_u32 v[2:3], s[4:5], v3, s31, v[2:3]
.LBB289_826:
	v_mov_b32_e32 v3, 0
	s_and_b32 s12, 0xffff, s76
	s_cmp_lt_i32 s12, 11
	v_lshl_add_u64 v[2:3], s[22:23], 0, v[2:3]
	s_cbranch_scc1 .LBB289_833
; %bb.827:
	s_cmp_gt_i32 s12, 25
	s_mov_b64 s[6:7], 0
	s_cbranch_scc0 .LBB289_834
; %bb.828:
	s_cmp_gt_i32 s12, 28
	s_cbranch_scc0 .LBB289_835
; %bb.829:
	s_cmp_gt_i32 s12, 43
	;; [unrolled: 3-line block ×3, first 2 shown]
	s_cbranch_scc0 .LBB289_839
; %bb.831:
	s_cmp_eq_u32 s12, 46
	s_mov_b64 s[10:11], 0
	s_cbranch_scc0 .LBB289_842
; %bb.832:
	global_load_dword v1, v[2:3], off
	s_mov_b64 s[4:5], 0
	s_mov_b64 s[8:9], -1
	s_waitcnt vmcnt(0)
	v_lshlrev_b32_e32 v1, 16, v1
	v_cvt_i32_f32_e32 v4, v1
	s_branch .LBB289_843
.LBB289_833:
	s_mov_b64 s[10:11], -1
	s_mov_b64 s[8:9], 0
	s_mov_b64 s[6:7], 0
	;; [unrolled: 1-line block ×3, first 2 shown]
                                        ; implicit-def: $vgpr4
	s_branch .LBB289_902
.LBB289_834:
	s_mov_b64 s[10:11], -1
	s_mov_b64 s[8:9], 0
	s_mov_b64 s[4:5], s[2:3]
                                        ; implicit-def: $vgpr4
	s_branch .LBB289_870
.LBB289_835:
	s_mov_b64 s[10:11], -1
	s_mov_b64 s[8:9], 0
	s_mov_b64 s[4:5], s[2:3]
                                        ; implicit-def: $vgpr4
	s_branch .LBB289_853
.LBB289_836:
	s_mov_b64 s[10:11], -1
	s_mov_b64 s[8:9], 0
	s_mov_b64 s[4:5], s[2:3]
                                        ; implicit-def: $vgpr4
	s_branch .LBB289_848
.LBB289_837:
	s_andn2_saveexec_b64 s[10:11], s[10:11]
	s_cbranch_execz .LBB289_716
.LBB289_838:
	s_mov_b32 s14, 0x46000000
	v_add_f32_e64 v3, |v2|, s14
	v_and_b32_e32 v3, 0xff, v3
	v_cmp_ne_u32_e32 vcc, 0, v3
	s_andn2_b64 s[8:9], s[8:9], exec
	s_and_b64 s[14:15], vcc, exec
	s_or_b64 s[8:9], s[8:9], s[14:15]
	s_or_b64 exec, exec, s[10:11]
	v_mov_b32_e32 v5, 0
	s_and_saveexec_b64 s[10:11], s[8:9]
	s_cbranch_execnz .LBB289_717
	s_branch .LBB289_718
.LBB289_839:
	s_mov_b64 s[10:11], -1
	s_mov_b64 s[8:9], 0
	s_mov_b64 s[4:5], s[2:3]
                                        ; implicit-def: $vgpr4
	s_branch .LBB289_843
.LBB289_840:
	s_andn2_saveexec_b64 s[10:11], s[10:11]
	s_cbranch_execz .LBB289_729
.LBB289_841:
	s_mov_b32 s14, 0x42800000
	v_add_f32_e64 v3, |v2|, s14
	v_and_b32_e32 v3, 0xff, v3
	v_cmp_ne_u32_e32 vcc, 0, v3
	s_andn2_b64 s[8:9], s[8:9], exec
	s_and_b64 s[14:15], vcc, exec
	s_or_b64 s[8:9], s[8:9], s[14:15]
	s_or_b64 exec, exec, s[10:11]
	v_mov_b32_e32 v5, 0
	s_and_saveexec_b64 s[10:11], s[8:9]
	s_cbranch_execnz .LBB289_730
	s_branch .LBB289_731
.LBB289_842:
	s_mov_b64 s[4:5], -1
                                        ; implicit-def: $vgpr4
	s_mov_b64 s[8:9], 0
.LBB289_843:
	s_and_b64 vcc, exec, s[10:11]
	s_cbranch_vccz .LBB289_847
; %bb.844:
	s_cmp_eq_u32 s12, 44
	s_cbranch_scc0 .LBB289_846
; %bb.845:
	global_load_ubyte v1, v[2:3], off
	s_mov_b64 s[4:5], 0
	s_mov_b64 s[8:9], -1
	s_waitcnt vmcnt(0)
	v_lshlrev_b32_e32 v4, 23, v1
	v_cvt_i32_f32_e32 v4, v4
	v_cmp_ne_u32_e32 vcc, 0, v1
	s_nop 1
	v_cndmask_b32_e32 v4, 0, v4, vcc
	s_branch .LBB289_847
.LBB289_846:
	s_mov_b64 s[4:5], -1
                                        ; implicit-def: $vgpr4
.LBB289_847:
	s_mov_b64 s[10:11], 0
.LBB289_848:
	s_and_b64 vcc, exec, s[10:11]
	s_cbranch_vccz .LBB289_852
; %bb.849:
	s_cmp_eq_u32 s12, 29
	s_cbranch_scc0 .LBB289_851
; %bb.850:
	global_load_dwordx2 v[4:5], v[2:3], off
	s_mov_b64 s[4:5], 0
	s_mov_b64 s[8:9], -1
	s_branch .LBB289_852
.LBB289_851:
	s_mov_b64 s[4:5], -1
                                        ; implicit-def: $vgpr4
.LBB289_852:
	s_mov_b64 s[10:11], 0
.LBB289_853:
	s_and_b64 vcc, exec, s[10:11]
	s_cbranch_vccz .LBB289_869
; %bb.854:
	s_cmp_lt_i32 s12, 27
	s_cbranch_scc1 .LBB289_857
; %bb.855:
	s_cmp_gt_i32 s12, 27
	s_cbranch_scc0 .LBB289_858
; %bb.856:
	global_load_dword v4, v[2:3], off
	s_mov_b64 s[8:9], 0
	s_branch .LBB289_859
.LBB289_857:
	s_mov_b64 s[8:9], -1
                                        ; implicit-def: $vgpr4
	s_branch .LBB289_862
.LBB289_858:
	s_mov_b64 s[8:9], -1
                                        ; implicit-def: $vgpr4
.LBB289_859:
	s_andn2_b64 vcc, exec, s[8:9]
	s_cbranch_vccnz .LBB289_861
; %bb.860:
	global_load_ushort v4, v[2:3], off
.LBB289_861:
	s_mov_b64 s[8:9], 0
.LBB289_862:
	s_andn2_b64 vcc, exec, s[8:9]
	s_cbranch_vccnz .LBB289_868
; %bb.863:
	global_load_ubyte v1, v[2:3], off
	s_movk_i32 s8, 0x7f
	s_mov_b64 s[10:11], 0
	s_waitcnt vmcnt(0)
	v_cmp_lt_i16_e32 vcc, s8, v1
	s_and_saveexec_b64 s[8:9], vcc
	s_xor_b64 s[8:9], exec, s[8:9]
	s_cbranch_execz .LBB289_880
; %bb.864:
	s_movk_i32 s10, 0x80
	v_cmp_ne_u16_e32 vcc, s10, v1
	s_and_b64 s[10:11], vcc, exec
	s_andn2_saveexec_b64 s[8:9], s[8:9]
	s_cbranch_execnz .LBB289_881
.LBB289_865:
	s_or_b64 exec, exec, s[8:9]
	v_mov_b32_e32 v4, 0
	s_and_saveexec_b64 s[8:9], s[10:11]
	s_cbranch_execz .LBB289_867
.LBB289_866:
	v_lshlrev_b32_e32 v4, 24, v1
	v_and_b32_e32 v1, 0xffff, v1
	v_and_b32_e32 v5, 7, v1
	v_ffbh_u32_e32 v7, v5
	v_min_u32_e32 v7, 32, v7
	v_subrev_u32_e32 v8, 28, v7
	v_bfe_u32 v6, v1, 3, 4
	v_lshlrev_b32_e32 v1, v8, v1
	v_sub_u32_e32 v7, 29, v7
	v_and_b32_e32 v1, 7, v1
	v_cmp_eq_u32_e32 vcc, 0, v6
	v_and_b32_e32 v4, 0x80000000, v4
	s_nop 0
	v_cndmask_b32_e32 v6, v6, v7, vcc
	v_cndmask_b32_e32 v1, v5, v1, vcc
	v_mov_b32_e32 v5, 0x3b800000
	v_lshlrev_b32_e32 v1, 20, v1
	v_lshl_add_u32 v5, v6, 23, v5
	v_or3_b32 v1, v4, v5, v1
	v_cvt_i32_f32_e32 v4, v1
.LBB289_867:
	s_or_b64 exec, exec, s[8:9]
.LBB289_868:
	s_mov_b64 s[8:9], -1
.LBB289_869:
	s_mov_b64 s[10:11], 0
.LBB289_870:
	s_and_b64 vcc, exec, s[10:11]
	s_cbranch_vccz .LBB289_901
; %bb.871:
	s_cmp_gt_i32 s12, 22
	s_cbranch_scc0 .LBB289_879
; %bb.872:
	s_cmp_lt_i32 s12, 24
	s_cbranch_scc1 .LBB289_882
; %bb.873:
	s_cmp_gt_i32 s12, 24
	s_cbranch_scc0 .LBB289_883
; %bb.874:
	global_load_ubyte v1, v[2:3], off
	s_movk_i32 s6, 0x7f
	s_mov_b64 s[8:9], 0
	s_waitcnt vmcnt(0)
	v_cmp_lt_i16_e32 vcc, s6, v1
	s_and_saveexec_b64 s[6:7], vcc
	s_xor_b64 s[6:7], exec, s[6:7]
	s_cbranch_execz .LBB289_895
; %bb.875:
	s_movk_i32 s8, 0x80
	v_cmp_ne_u16_e32 vcc, s8, v1
	s_and_b64 s[8:9], vcc, exec
	s_andn2_saveexec_b64 s[6:7], s[6:7]
	s_cbranch_execnz .LBB289_896
.LBB289_876:
	s_or_b64 exec, exec, s[6:7]
	v_mov_b32_e32 v4, 0
	s_and_saveexec_b64 s[6:7], s[8:9]
	s_cbranch_execz .LBB289_878
.LBB289_877:
	v_lshlrev_b32_e32 v4, 24, v1
	v_and_b32_e32 v1, 0xffff, v1
	v_and_b32_e32 v5, 3, v1
	v_ffbh_u32_e32 v7, v5
	v_min_u32_e32 v7, 32, v7
	v_subrev_u32_e32 v8, 29, v7
	v_bfe_u32 v6, v1, 2, 5
	v_lshlrev_b32_e32 v1, v8, v1
	v_sub_u32_e32 v7, 30, v7
	v_and_b32_e32 v1, 3, v1
	v_cmp_eq_u32_e32 vcc, 0, v6
	v_and_b32_e32 v4, 0x80000000, v4
	s_nop 0
	v_cndmask_b32_e32 v6, v6, v7, vcc
	v_cndmask_b32_e32 v1, v5, v1, vcc
	v_mov_b32_e32 v5, 0x37800000
	v_lshlrev_b32_e32 v1, 21, v1
	v_lshl_add_u32 v5, v6, 23, v5
	v_or3_b32 v1, v4, v5, v1
	v_cvt_i32_f32_e32 v4, v1
.LBB289_878:
	s_or_b64 exec, exec, s[6:7]
	s_mov_b64 s[6:7], 0
	s_branch .LBB289_884
.LBB289_879:
	s_mov_b64 s[6:7], -1
                                        ; implicit-def: $vgpr4
	s_branch .LBB289_890
.LBB289_880:
	s_andn2_saveexec_b64 s[8:9], s[8:9]
	s_cbranch_execz .LBB289_865
.LBB289_881:
	v_cmp_ne_u16_e32 vcc, 0, v1
	s_andn2_b64 s[10:11], s[10:11], exec
	s_and_b64 s[14:15], vcc, exec
	s_or_b64 s[10:11], s[10:11], s[14:15]
	s_or_b64 exec, exec, s[8:9]
	v_mov_b32_e32 v4, 0
	s_and_saveexec_b64 s[8:9], s[10:11]
	s_cbranch_execnz .LBB289_866
	s_branch .LBB289_867
.LBB289_882:
	s_mov_b64 s[6:7], -1
                                        ; implicit-def: $vgpr4
	s_branch .LBB289_887
.LBB289_883:
	s_mov_b64 s[6:7], -1
                                        ; implicit-def: $vgpr4
.LBB289_884:
	s_and_b64 vcc, exec, s[6:7]
	s_cbranch_vccz .LBB289_886
; %bb.885:
	global_load_ubyte v1, v[2:3], off
	s_mov_b32 s6, 0x7f800000
	s_waitcnt vmcnt(0)
	v_lshlrev_b32_e32 v1, 24, v1
	v_and_b32_e32 v4, 0x7f000000, v1
	v_ffbh_u32_e32 v5, v4
	v_min_u32_e32 v5, 32, v5
	v_sub_u32_e64 v5, v5, 4 clamp
	v_lshlrev_b32_e32 v7, v5, v4
	v_lshlrev_b32_e32 v5, 23, v5
	v_lshrrev_b32_e32 v7, 4, v7
	v_add_u32_e32 v6, 0x1000000, v4
	v_sub_u32_e32 v5, v7, v5
	v_ashrrev_i32_e32 v6, 8, v6
	v_add_u32_e32 v5, 0x3c000000, v5
	v_and_or_b32 v5, v6, s6, v5
	v_cmp_ne_u32_e32 vcc, 0, v4
	s_brev_b32 s6, 1
	s_nop 0
	v_cndmask_b32_e32 v4, 0, v5, vcc
	v_and_or_b32 v1, v1, s6, v4
	v_cvt_i32_f32_e32 v4, v1
.LBB289_886:
	s_mov_b64 s[6:7], 0
.LBB289_887:
	s_andn2_b64 vcc, exec, s[6:7]
	s_cbranch_vccnz .LBB289_889
; %bb.888:
	global_load_ubyte v1, v[2:3], off
	s_movk_i32 s6, 0x7f00
	s_brev_b32 s7, 16
	s_waitcnt vmcnt(0)
	v_lshlrev_b16_e32 v4, 8, v1
	v_lshlrev_b32_e32 v1, 25, v1
	v_lshrrev_b32_e32 v5, 4, v1
	v_and_or_b32 v6, v4, s6, 0.5
	v_or_b32_e32 v5, 0x70000000, v5
	v_add_f32_e32 v6, -0.5, v6
	v_mul_f32_e32 v5, 0x7800000, v5
	v_cmp_gt_u32_e32 vcc, s7, v1
	v_bfe_i32 v4, v4, 0, 16
	s_brev_b32 s6, 1
	v_cndmask_b32_e32 v1, v5, v6, vcc
	v_and_or_b32 v1, v4, s6, v1
	v_cvt_i32_f32_e32 v4, v1
.LBB289_889:
	s_mov_b64 s[6:7], 0
	s_mov_b64 s[8:9], -1
.LBB289_890:
	s_andn2_b64 vcc, exec, s[6:7]
	s_mov_b64 s[6:7], 0
	s_cbranch_vccnz .LBB289_901
; %bb.891:
	s_cmp_gt_i32 s12, 14
	s_cbranch_scc0 .LBB289_894
; %bb.892:
	s_cmp_eq_u32 s12, 15
	s_cbranch_scc0 .LBB289_897
; %bb.893:
	global_load_ushort v1, v[2:3], off
	s_mov_b64 s[4:5], 0
	s_mov_b64 s[8:9], -1
	s_waitcnt vmcnt(0)
	v_lshlrev_b32_e32 v1, 16, v1
	v_cvt_i32_f32_e32 v4, v1
	s_branch .LBB289_898
.LBB289_894:
	s_mov_b64 s[10:11], -1
                                        ; implicit-def: $vgpr4
	s_branch .LBB289_899
.LBB289_895:
	s_andn2_saveexec_b64 s[6:7], s[6:7]
	s_cbranch_execz .LBB289_876
.LBB289_896:
	v_cmp_ne_u16_e32 vcc, 0, v1
	s_andn2_b64 s[8:9], s[8:9], exec
	s_and_b64 s[10:11], vcc, exec
	s_or_b64 s[8:9], s[8:9], s[10:11]
	s_or_b64 exec, exec, s[6:7]
	v_mov_b32_e32 v4, 0
	s_and_saveexec_b64 s[6:7], s[8:9]
	s_cbranch_execnz .LBB289_877
	s_branch .LBB289_878
.LBB289_897:
	s_mov_b64 s[4:5], -1
                                        ; implicit-def: $vgpr4
.LBB289_898:
	s_mov_b64 s[10:11], 0
.LBB289_899:
	s_and_b64 vcc, exec, s[10:11]
	s_cbranch_vccz .LBB289_901
; %bb.900:
	s_cmp_lg_u32 s12, 11
	s_cselect_b64 s[10:11], -1, 0
	s_andn2_b64 s[4:5], s[4:5], exec
	s_and_b64 s[10:11], s[10:11], exec
	s_mov_b64 s[6:7], -1
	s_or_b64 s[4:5], s[4:5], s[10:11]
.LBB289_901:
	s_mov_b64 s[10:11], 0
.LBB289_902:
	s_andn2_b64 s[12:13], s[2:3], exec
	s_and_b64 s[4:5], s[4:5], exec
	s_and_b64 s[8:9], s[8:9], exec
	;; [unrolled: 1-line block ×4, first 2 shown]
	s_or_b64 s[12:13], s[12:13], s[4:5]
.LBB289_903:
	s_or_b64 exec, exec, s[70:71]
	s_and_b64 s[4:5], s[6:7], exec
	s_andn2_b64 s[2:3], s[2:3], exec
	s_and_b64 s[6:7], s[12:13], exec
	s_and_b64 s[8:9], s[8:9], exec
	;; [unrolled: 1-line block ×3, first 2 shown]
	s_or_b64 s[2:3], s[2:3], s[6:7]
.LBB289_904:
	s_or_b64 exec, exec, s[66:67]
	s_andn2_b64 s[6:7], s[62:63], exec
	s_and_b64 s[12:13], s[68:69], exec
	s_or_b64 s[62:63], s[6:7], s[12:13]
	s_and_b64 s[6:7], s[10:11], exec
	s_andn2_b64 s[10:11], s[60:61], exec
	s_and_b64 s[2:3], s[2:3], exec
	s_and_b64 s[8:9], s[8:9], exec
	;; [unrolled: 1-line block ×3, first 2 shown]
	s_or_b64 s[60:61], s[10:11], s[2:3]
.LBB289_905:
	s_or_b64 exec, exec, s[64:65]
	s_andn2_b64 s[2:3], s[54:55], exec
	s_and_b64 s[10:11], s[62:63], exec
	s_or_b64 s[54:55], s[2:3], s[10:11]
	s_and_b64 s[2:3], s[8:9], exec
	s_and_b64 s[8:9], s[6:7], exec
	;; [unrolled: 1-line block ×3, first 2 shown]
	s_andn2_b64 s[4:5], s[56:57], exec
	s_and_b64 s[6:7], s[60:61], exec
	s_or_b64 s[56:57], s[4:5], s[6:7]
	s_or_b64 exec, exec, s[58:59]
	s_mov_b64 s[4:5], 0
	s_and_saveexec_b64 s[6:7], s[56:57]
	s_cbranch_execz .LBB289_272
.LBB289_906:
	s_mov_b64 s[4:5], exec
	s_andn2_b64 s[62:63], s[62:63], exec
	s_trap 2
	s_or_b64 exec, exec, s[6:7]
	s_and_saveexec_b64 s[6:7], s[62:63]
	s_xor_b64 s[6:7], exec, s[6:7]
	s_cbranch_execnz .LBB289_273
.LBB289_907:
	s_or_b64 exec, exec, s[6:7]
	s_and_saveexec_b64 s[6:7], s[8:9]
	s_cbranch_execz .LBB289_953
.LBB289_908:
	s_sext_i32_i16 s8, s76
	s_cmp_lt_i32 s8, 5
	s_cbranch_scc1 .LBB289_913
; %bb.909:
	s_cmp_lt_i32 s8, 8
	s_cbranch_scc1 .LBB289_914
; %bb.910:
	;; [unrolled: 3-line block ×3, first 2 shown]
	s_cmp_gt_i32 s8, 9
	s_cbranch_scc0 .LBB289_916
; %bb.912:
	global_load_dwordx2 v[4:5], v[2:3], off
	s_mov_b64 s[8:9], 0
	s_waitcnt vmcnt(0)
	v_cvt_i32_f64_e32 v4, v[4:5]
	s_branch .LBB289_917
.LBB289_913:
                                        ; implicit-def: $vgpr4
	s_branch .LBB289_934
.LBB289_914:
                                        ; implicit-def: $vgpr4
	s_branch .LBB289_923
.LBB289_915:
	s_mov_b64 s[8:9], -1
                                        ; implicit-def: $vgpr4
	s_branch .LBB289_920
.LBB289_916:
	s_mov_b64 s[8:9], -1
                                        ; implicit-def: $vgpr4
.LBB289_917:
	s_andn2_b64 vcc, exec, s[8:9]
	s_cbranch_vccnz .LBB289_919
; %bb.918:
	global_load_dword v1, v[2:3], off
	s_waitcnt vmcnt(0)
	v_cvt_i32_f32_e32 v4, v1
.LBB289_919:
	s_mov_b64 s[8:9], 0
.LBB289_920:
	s_andn2_b64 vcc, exec, s[8:9]
	s_cbranch_vccnz .LBB289_922
; %bb.921:
	global_load_dword v1, v[2:3], off
	s_waitcnt vmcnt(0)
	v_cvt_i16_f16_e32 v4, v1
.LBB289_922:
	s_cbranch_execnz .LBB289_933
.LBB289_923:
	s_sext_i32_i16 s8, s76
	s_cmp_lt_i32 s8, 6
	s_cbranch_scc1 .LBB289_926
; %bb.924:
	s_cmp_gt_i32 s8, 6
	s_cbranch_scc0 .LBB289_927
; %bb.925:
	global_load_dwordx2 v[4:5], v[2:3], off
	s_mov_b64 s[8:9], 0
	s_waitcnt vmcnt(0)
	v_cvt_i32_f64_e32 v4, v[4:5]
	s_branch .LBB289_928
.LBB289_926:
	s_mov_b64 s[8:9], -1
                                        ; implicit-def: $vgpr4
	s_branch .LBB289_931
.LBB289_927:
	s_mov_b64 s[8:9], -1
                                        ; implicit-def: $vgpr4
.LBB289_928:
	s_andn2_b64 vcc, exec, s[8:9]
	s_cbranch_vccnz .LBB289_930
; %bb.929:
	global_load_dword v1, v[2:3], off
	s_waitcnt vmcnt(0)
	v_cvt_i32_f32_e32 v4, v1
.LBB289_930:
	s_mov_b64 s[8:9], 0
.LBB289_931:
	s_andn2_b64 vcc, exec, s[8:9]
	s_cbranch_vccnz .LBB289_933
; %bb.932:
	global_load_ushort v1, v[2:3], off
	s_waitcnt vmcnt(0)
	v_cvt_i16_f16_e32 v4, v1
.LBB289_933:
	s_cbranch_execnz .LBB289_952
.LBB289_934:
	s_sext_i32_i16 s8, s76
	s_cmp_lt_i32 s8, 2
	s_cbranch_scc1 .LBB289_938
; %bb.935:
	s_cmp_lt_i32 s8, 3
	s_cbranch_scc1 .LBB289_939
; %bb.936:
	s_cmp_gt_i32 s8, 3
	s_cbranch_scc0 .LBB289_940
; %bb.937:
	global_load_dwordx2 v[4:5], v[2:3], off
	s_mov_b64 s[8:9], 0
	s_branch .LBB289_941
.LBB289_938:
                                        ; implicit-def: $vgpr4
	s_branch .LBB289_947
.LBB289_939:
	s_mov_b64 s[8:9], -1
                                        ; implicit-def: $vgpr4
	s_branch .LBB289_944
.LBB289_940:
	s_mov_b64 s[8:9], -1
                                        ; implicit-def: $vgpr4
.LBB289_941:
	s_andn2_b64 vcc, exec, s[8:9]
	s_cbranch_vccnz .LBB289_943
; %bb.942:
	global_load_dword v4, v[2:3], off
.LBB289_943:
	s_mov_b64 s[8:9], 0
.LBB289_944:
	s_andn2_b64 vcc, exec, s[8:9]
	s_cbranch_vccnz .LBB289_946
; %bb.945:
	global_load_ushort v4, v[2:3], off
.LBB289_946:
	s_cbranch_execnz .LBB289_952
.LBB289_947:
	s_sext_i32_i16 s8, s76
	s_cmp_gt_i32 s8, 0
	s_cbranch_scc0 .LBB289_949
; %bb.948:
	global_load_ubyte v4, v[2:3], off
	s_mov_b64 s[8:9], 0
	s_branch .LBB289_950
.LBB289_949:
	s_mov_b64 s[8:9], -1
                                        ; implicit-def: $vgpr4
.LBB289_950:
	s_andn2_b64 vcc, exec, s[8:9]
	s_cbranch_vccnz .LBB289_952
; %bb.951:
	global_load_ubyte v4, v[2:3], off
.LBB289_952:
	s_or_b64 s[2:3], s[2:3], exec
.LBB289_953:
	s_or_b64 exec, exec, s[6:7]
	s_mov_b64 s[10:11], 0
	s_mov_b64 s[8:9], 0
                                        ; implicit-def: $sgpr16
                                        ; implicit-def: $vgpr2_vgpr3
                                        ; implicit-def: $vgpr5
	s_and_saveexec_b64 s[6:7], s[2:3]
	s_cbranch_execz .LBB289_961
; %bb.954:
	s_bfe_i32 s2, s74, 0x80000
	s_waitcnt vmcnt(0)
	v_max_i16_sdwa v1, sext(v4), s2 dst_sel:DWORD dst_unused:UNUSED_PAD src0_sel:BYTE_0 src1_sel:DWORD
	s_bfe_i32 s2, s75, 0x80000
	v_min_i16_e32 v5, s2, v1
	v_mov_b32_e32 v1, 0
	s_and_b32 s16, s73, 0xff
	s_cmp_lt_i32 s16, 11
	v_lshl_add_u64 v[2:3], s[20:21], 0, v[0:1]
	s_cbranch_scc1 .LBB289_964
; %bb.955:
	s_and_b32 s17, 0xffff, s16
	s_mov_b64 s[10:11], -1
	s_cmp_gt_i32 s17, 25
	s_mov_b64 s[2:3], s[54:55]
	s_cbranch_scc0 .LBB289_992
; %bb.956:
	s_mov_b64 s[8:9], -1
	s_cmp_gt_i32 s17, 28
	s_mov_b64 s[2:3], s[54:55]
	s_cbranch_scc0 .LBB289_976
; %bb.957:
	s_cmp_gt_i32 s17, 43
	s_mov_b64 s[2:3], s[54:55]
	s_cbranch_scc0 .LBB289_972
; %bb.958:
	;; [unrolled: 4-line block ×3, first 2 shown]
	s_cmp_eq_u32 s17, 46
	s_mov_b64 s[2:3], -1
	s_cbranch_scc0 .LBB289_965
; %bb.960:
	v_cvt_f32_i32_sdwa v0, sext(v5) dst_sel:DWORD dst_unused:UNUSED_PAD src0_sel:WORD_0
	s_movk_i32 s2, 0x7fff
	s_mov_b64 s[8:9], 0
	v_bfe_u32 v1, v0, 16, 1
	v_add3_u32 v0, v0, v1, s2
	v_lshrrev_b32_e32 v0, 16, v0
	global_store_dword v[2:3], v0, off
	s_mov_b64 s[2:3], 0
	s_branch .LBB289_966
.LBB289_961:
	s_or_b64 exec, exec, s[6:7]
	s_and_saveexec_b64 s[2:3], s[54:55]
	s_cbranch_execnz .LBB289_1034
.LBB289_962:
	s_or_b64 exec, exec, s[2:3]
	s_and_saveexec_b64 s[2:3], s[10:11]
	s_xor_b64 s[2:3], exec, s[2:3]
	s_cbranch_execz .LBB289_1035
.LBB289_963:
	v_mov_b32_e32 v0, 0
	s_waitcnt vmcnt(0)
	v_cmp_ne_u16_sdwa s[6:7], v5, v0 src0_sel:BYTE_0 src1_sel:DWORD
	s_nop 1
	v_cndmask_b32_e64 v0, 0, 1, s[6:7]
	global_store_byte v[2:3], v0, off
	s_or_b64 exec, exec, s[2:3]
	s_and_saveexec_b64 s[2:3], s[8:9]
	s_xor_b64 s[2:3], exec, s[2:3]
	s_cbranch_execz .LBB289_1073
	s_branch .LBB289_1036
.LBB289_964:
	s_mov_b64 s[8:9], -1
	s_mov_b64 s[2:3], s[54:55]
	s_branch .LBB289_1033
.LBB289_965:
	s_mov_b64 s[8:9], 0
.LBB289_966:
	s_and_b64 vcc, exec, s[8:9]
	s_cbranch_vccz .LBB289_971
; %bb.967:
	s_cmp_eq_u32 s17, 44
	s_mov_b64 s[2:3], -1
	s_cbranch_scc0 .LBB289_971
; %bb.968:
	v_cvt_f32_i32_sdwa v0, sext(v5) dst_sel:DWORD dst_unused:UNUSED_PAD src0_sel:WORD_0
	s_movk_i32 s2, 0xff
	v_mov_b32_e32 v4, 0xff
	v_bfe_u32 v1, v0, 23, 8
	v_cmp_ne_u32_e32 vcc, s2, v1
	s_and_saveexec_b64 s[8:9], vcc
; %bb.969:
	s_mov_b32 s2, 0x3fffff
	v_lshrrev_b32_e32 v4, 23, v0
	v_and_b32_e32 v6, 0x400000, v0
	v_and_or_b32 v0, v0, s2, v1
	v_cmp_ne_u32_e32 vcc, 0, v6
	v_cmp_ne_u32_e64 s[2:3], 0, v0
	s_and_b64 s[2:3], vcc, s[2:3]
	s_nop 0
	v_cndmask_b32_e64 v0, 0, 1, s[2:3]
	v_add_u32_e32 v4, v4, v0
; %bb.970:
	s_or_b64 exec, exec, s[8:9]
	s_mov_b64 s[2:3], 0
	global_store_byte v[2:3], v4, off
.LBB289_971:
	s_mov_b64 s[8:9], 0
.LBB289_972:
	s_and_b64 vcc, exec, s[8:9]
	s_cbranch_vccz .LBB289_975
; %bb.973:
	s_cmp_eq_u32 s17, 29
	s_mov_b64 s[2:3], -1
	s_cbranch_scc0 .LBB289_975
; %bb.974:
	v_bfe_i32 v0, v5, 0, 16
	v_ashrrev_i32_e32 v1, 31, v0
	global_store_dwordx2 v[2:3], v[0:1], off
	s_mov_b64 s[2:3], 0
.LBB289_975:
	s_mov_b64 s[8:9], 0
.LBB289_976:
	s_and_b64 vcc, exec, s[8:9]
	s_cbranch_vccz .LBB289_991
; %bb.977:
	s_cmp_lt_i32 s17, 27
	s_mov_b64 s[8:9], -1
	s_cbranch_scc1 .LBB289_983
; %bb.978:
	s_cmp_gt_i32 s17, 27
	s_cbranch_scc0 .LBB289_980
; %bb.979:
	v_bfe_i32 v0, v5, 0, 16
	s_mov_b64 s[8:9], 0
	global_store_dword v[2:3], v0, off
.LBB289_980:
	s_andn2_b64 vcc, exec, s[8:9]
	s_cbranch_vccnz .LBB289_982
; %bb.981:
	global_store_short v[2:3], v5, off
.LBB289_982:
	s_mov_b64 s[8:9], 0
.LBB289_983:
	s_andn2_b64 vcc, exec, s[8:9]
	s_cbranch_vccnz .LBB289_991
; %bb.984:
	v_cvt_f32_i32_sdwa v0, sext(v5) dst_sel:DWORD dst_unused:UNUSED_PAD src0_sel:WORD_0
	s_mov_b32 s8, 0x43800000
	v_mov_b32_e32 v4, 0x80
	v_and_b32_e32 v1, 0x7fffffff, v0
	v_cmp_gt_u32_e32 vcc, s8, v1
	s_and_saveexec_b64 s[8:9], vcc
	s_cbranch_execz .LBB289_990
; %bb.985:
	s_mov_b32 s10, 0x3bffffff
	v_cmp_lt_u32_e32 vcc, s10, v1
	s_mov_b64 s[10:11], 0
                                        ; implicit-def: $vgpr1
	s_and_saveexec_b64 s[12:13], vcc
	s_xor_b64 s[12:13], exec, s[12:13]
	s_cbranch_execz .LBB289_1144
; %bb.986:
	v_bfe_u32 v1, v0, 20, 1
	s_mov_b32 s14, 0x487ffff
	v_add3_u32 v1, v0, v1, s14
	s_mov_b64 s[10:11], exec
	v_lshrrev_b32_e32 v1, 20, v1
	s_andn2_saveexec_b64 s[12:13], s[12:13]
	s_cbranch_execnz .LBB289_1145
.LBB289_987:
	s_or_b64 exec, exec, s[12:13]
	v_mov_b32_e32 v4, 0
	s_and_saveexec_b64 s[12:13], s[10:11]
.LBB289_988:
	v_lshrrev_b32_e32 v0, 24, v0
	s_movk_i32 s10, 0x80
	v_and_or_b32 v4, v0, s10, v1
.LBB289_989:
	s_or_b64 exec, exec, s[12:13]
.LBB289_990:
	s_or_b64 exec, exec, s[8:9]
	global_store_byte v[2:3], v4, off
.LBB289_991:
	s_mov_b64 s[10:11], 0
.LBB289_992:
	s_mov_b64 s[8:9], 0
	s_and_b64 vcc, exec, s[10:11]
	s_cbranch_vccz .LBB289_1032
; %bb.993:
	s_cmp_gt_i32 s17, 22
	s_mov_b64 s[10:11], -1
	s_cbranch_scc0 .LBB289_1025
; %bb.994:
	s_cmp_lt_i32 s17, 24
	s_cbranch_scc1 .LBB289_1014
; %bb.995:
	s_cmp_gt_i32 s17, 24
	s_cbranch_scc0 .LBB289_1003
; %bb.996:
	v_cvt_f32_i32_sdwa v0, sext(v5) dst_sel:DWORD dst_unused:UNUSED_PAD src0_sel:WORD_0
	s_mov_b32 s10, 0x47800000
	v_mov_b32_e32 v4, 0x80
	v_and_b32_e32 v1, 0x7fffffff, v0
	v_cmp_gt_u32_e32 vcc, s10, v1
	s_and_saveexec_b64 s[10:11], vcc
	s_cbranch_execz .LBB289_1002
; %bb.997:
	s_mov_b32 s12, 0x37ffffff
	v_cmp_lt_u32_e32 vcc, s12, v1
	s_mov_b64 s[12:13], 0
                                        ; implicit-def: $vgpr1
	s_and_saveexec_b64 s[14:15], vcc
	s_xor_b64 s[14:15], exec, s[14:15]
	s_cbranch_execz .LBB289_1264
; %bb.998:
	v_bfe_u32 v1, v0, 21, 1
	s_mov_b32 s18, 0x88fffff
	v_add3_u32 v1, v0, v1, s18
	s_mov_b64 s[12:13], exec
	v_lshrrev_b32_e32 v1, 21, v1
	s_andn2_saveexec_b64 s[14:15], s[14:15]
	s_cbranch_execnz .LBB289_1265
.LBB289_999:
	s_or_b64 exec, exec, s[14:15]
	v_mov_b32_e32 v4, 0
	s_and_saveexec_b64 s[14:15], s[12:13]
.LBB289_1000:
	v_lshrrev_b32_e32 v0, 24, v0
	s_movk_i32 s12, 0x80
	v_and_or_b32 v4, v0, s12, v1
.LBB289_1001:
	s_or_b64 exec, exec, s[14:15]
.LBB289_1002:
	s_or_b64 exec, exec, s[10:11]
	s_mov_b64 s[10:11], 0
	global_store_byte v[2:3], v4, off
.LBB289_1003:
	s_and_b64 vcc, exec, s[10:11]
	s_cbranch_vccz .LBB289_1013
; %bb.1004:
	v_cvt_f32_i32_sdwa v0, sext(v5) dst_sel:DWORD dst_unused:UNUSED_PAD src0_sel:WORD_0
	s_mov_b32 s10, 0x43f00000
                                        ; implicit-def: $vgpr1
	v_and_b32_e32 v4, 0x7fffffff, v0
	v_cmp_gt_u32_e32 vcc, s10, v4
	s_and_saveexec_b64 s[10:11], vcc
	s_xor_b64 s[10:11], exec, s[10:11]
	s_cbranch_execz .LBB289_1010
; %bb.1005:
	s_mov_b32 s12, 0x3c7fffff
	v_cmp_lt_u32_e32 vcc, s12, v4
                                        ; implicit-def: $vgpr1
	s_and_saveexec_b64 s[12:13], vcc
	s_xor_b64 s[12:13], exec, s[12:13]
; %bb.1006:
	v_bfe_u32 v1, v0, 20, 1
	s_mov_b32 s14, 0x407ffff
	v_add3_u32 v1, v0, v1, s14
	v_lshrrev_b32_e32 v4, 20, v1
	v_and_b32_e32 v1, 0xff00000, v1
	s_mov_b32 s14, 0x7f00000
	v_mov_b32_e32 v6, 0x7e
	v_cmp_ne_u32_e32 vcc, s14, v1
	s_nop 1
	v_cndmask_b32_e32 v1, v6, v4, vcc
; %bb.1007:
	s_andn2_saveexec_b64 s[12:13], s[12:13]
; %bb.1008:
	s_mov_b32 s14, 0x46800000
	v_add_f32_e64 v1, |v0|, s14
; %bb.1009:
	s_or_b64 exec, exec, s[12:13]
                                        ; implicit-def: $vgpr4
.LBB289_1010:
	s_andn2_saveexec_b64 s[10:11], s[10:11]
; %bb.1011:
	s_mov_b32 s12, 0x7f800000
	v_mov_b32_e32 v1, 0x7e
	v_mov_b32_e32 v6, 0x7f
	v_cmp_lt_u32_e32 vcc, s12, v4
	s_nop 1
	v_cndmask_b32_e32 v1, v1, v6, vcc
; %bb.1012:
	s_or_b64 exec, exec, s[10:11]
	v_lshrrev_b32_e32 v0, 24, v0
	s_movk_i32 s10, 0x80
	v_and_or_b32 v0, v0, s10, v1
	global_store_byte v[2:3], v0, off
.LBB289_1013:
	s_mov_b64 s[10:11], 0
.LBB289_1014:
	s_andn2_b64 vcc, exec, s[10:11]
	s_cbranch_vccnz .LBB289_1024
; %bb.1015:
	v_cvt_f32_i32_sdwa v0, sext(v5) dst_sel:DWORD dst_unused:UNUSED_PAD src0_sel:WORD_0
	s_mov_b32 s10, 0x47800000
                                        ; implicit-def: $vgpr1
	v_and_b32_e32 v4, 0x7fffffff, v0
	v_cmp_gt_u32_e32 vcc, s10, v4
	s_and_saveexec_b64 s[10:11], vcc
	s_xor_b64 s[10:11], exec, s[10:11]
	s_cbranch_execz .LBB289_1021
; %bb.1016:
	s_mov_b32 s12, 0x387fffff
	v_cmp_lt_u32_e32 vcc, s12, v4
                                        ; implicit-def: $vgpr1
	s_and_saveexec_b64 s[12:13], vcc
	s_xor_b64 s[12:13], exec, s[12:13]
; %bb.1017:
	v_bfe_u32 v1, v0, 21, 1
	s_mov_b32 s14, 0x80fffff
	v_add3_u32 v1, v0, v1, s14
	v_lshrrev_b32_e32 v1, 21, v1
; %bb.1018:
	s_andn2_saveexec_b64 s[12:13], s[12:13]
; %bb.1019:
	s_mov_b32 s14, 0x43000000
	v_add_f32_e64 v1, |v0|, s14
; %bb.1020:
	s_or_b64 exec, exec, s[12:13]
                                        ; implicit-def: $vgpr4
.LBB289_1021:
	s_andn2_saveexec_b64 s[10:11], s[10:11]
; %bb.1022:
	s_mov_b32 s12, 0x7f800000
	v_mov_b32_e32 v1, 0x7c
	v_mov_b32_e32 v6, 0x7f
	v_cmp_lt_u32_e32 vcc, s12, v4
	s_nop 1
	v_cndmask_b32_e32 v1, v1, v6, vcc
; %bb.1023:
	s_or_b64 exec, exec, s[10:11]
	v_lshrrev_b32_e32 v0, 24, v0
	s_movk_i32 s10, 0x80
	v_and_or_b32 v0, v0, s10, v1
	global_store_byte v[2:3], v0, off
.LBB289_1024:
	s_mov_b64 s[10:11], 0
.LBB289_1025:
	s_andn2_b64 vcc, exec, s[10:11]
	s_mov_b64 s[10:11], 0
	s_cbranch_vccnz .LBB289_1033
; %bb.1026:
	s_cmp_gt_i32 s17, 14
	s_mov_b64 s[12:13], -1
	s_cbranch_scc0 .LBB289_1030
; %bb.1027:
	s_cmp_eq_u32 s17, 15
	s_mov_b64 s[2:3], -1
	s_cbranch_scc0 .LBB289_1029
; %bb.1028:
	v_cvt_f32_i32_sdwa v0, sext(v5) dst_sel:DWORD dst_unused:UNUSED_PAD src0_sel:WORD_0
	s_movk_i32 s2, 0x7fff
	v_bfe_u32 v1, v0, 16, 1
	v_add3_u32 v0, v0, v1, s2
	global_store_short_d16_hi v[2:3], v0, off
	s_mov_b64 s[2:3], 0
.LBB289_1029:
	s_mov_b64 s[12:13], 0
.LBB289_1030:
	s_and_b64 vcc, exec, s[12:13]
	s_cbranch_vccz .LBB289_1033
; %bb.1031:
	s_cmp_lg_u32 s17, 11
	s_cselect_b64 s[12:13], -1, 0
	s_andn2_b64 s[2:3], s[2:3], exec
	s_and_b64 s[12:13], s[12:13], exec
	s_mov_b64 s[10:11], -1
	s_or_b64 s[2:3], s[2:3], s[12:13]
	s_branch .LBB289_1033
.LBB289_1032:
	s_mov_b64 s[10:11], 0
.LBB289_1033:
	s_andn2_b64 s[12:13], s[54:55], exec
	s_and_b64 s[2:3], s[2:3], exec
	s_and_b64 s[8:9], s[8:9], exec
	;; [unrolled: 1-line block ×3, first 2 shown]
	s_or_b64 s[54:55], s[12:13], s[2:3]
	s_or_b64 exec, exec, s[6:7]
	s_and_saveexec_b64 s[2:3], s[54:55]
	s_cbranch_execz .LBB289_962
.LBB289_1034:
	s_or_b64 s[4:5], s[4:5], exec
	s_andn2_b64 s[10:11], s[10:11], exec
	s_trap 2
	s_or_b64 exec, exec, s[2:3]
	s_and_saveexec_b64 s[2:3], s[10:11]
	s_xor_b64 s[2:3], exec, s[2:3]
	s_cbranch_execnz .LBB289_963
.LBB289_1035:
	s_or_b64 exec, exec, s[2:3]
	s_and_saveexec_b64 s[2:3], s[8:9]
	s_xor_b64 s[2:3], exec, s[2:3]
	s_cbranch_execz .LBB289_1073
.LBB289_1036:
	s_sext_i32_i16 s8, s16
	s_cmp_lt_i32 s8, 5
	s_mov_b64 s[6:7], -1
	s_cbranch_scc1 .LBB289_1057
; %bb.1037:
	s_cmp_lt_i32 s8, 8
	s_cbranch_scc1 .LBB289_1047
; %bb.1038:
	s_cmp_lt_i32 s8, 9
	s_cbranch_scc1 .LBB289_1044
; %bb.1039:
	s_cmp_gt_i32 s8, 9
	s_cbranch_scc0 .LBB289_1041
; %bb.1040:
	s_waitcnt vmcnt(0)
	v_bfe_i32 v0, v5, 0, 8
	v_bfe_i32 v0, v0, 0, 16
	v_mov_b32_e32 v8, 0
	v_cvt_f64_i32_e32 v[6:7], v0
	v_mov_b32_e32 v9, v8
	s_mov_b64 s[6:7], 0
	global_store_dwordx4 v[2:3], v[6:9], off
.LBB289_1041:
	s_andn2_b64 vcc, exec, s[6:7]
	s_cbranch_vccnz .LBB289_1043
; %bb.1042:
	s_waitcnt vmcnt(0)
	v_bfe_i32 v0, v5, 0, 8
	v_cvt_f32_i32_sdwa v0, sext(v0) dst_sel:DWORD dst_unused:UNUSED_PAD src0_sel:WORD_0
	v_mov_b32_e32 v1, 0
	global_store_dwordx2 v[2:3], v[0:1], off
.LBB289_1043:
	s_mov_b64 s[6:7], 0
.LBB289_1044:
	s_andn2_b64 vcc, exec, s[6:7]
	s_cbranch_vccnz .LBB289_1046
; %bb.1045:
	s_waitcnt vmcnt(0)
	v_cvt_f16_i16_sdwa v0, sext(v5) dst_sel:DWORD dst_unused:UNUSED_PAD src0_sel:BYTE_0
	global_store_dword v[2:3], v0, off
.LBB289_1046:
	s_mov_b64 s[6:7], 0
.LBB289_1047:
	s_andn2_b64 vcc, exec, s[6:7]
	s_cbranch_vccnz .LBB289_1056
; %bb.1048:
	s_sext_i32_i16 s8, s16
	s_cmp_lt_i32 s8, 6
	s_mov_b64 s[6:7], -1
	s_cbranch_scc1 .LBB289_1054
; %bb.1049:
	s_cmp_gt_i32 s8, 6
	s_cbranch_scc0 .LBB289_1051
; %bb.1050:
	s_waitcnt vmcnt(0)
	v_bfe_i32 v0, v5, 0, 8
	v_bfe_i32 v0, v0, 0, 16
	v_cvt_f64_i32_e32 v[0:1], v0
	s_mov_b64 s[6:7], 0
	global_store_dwordx2 v[2:3], v[0:1], off
.LBB289_1051:
	s_andn2_b64 vcc, exec, s[6:7]
	s_cbranch_vccnz .LBB289_1053
; %bb.1052:
	s_waitcnt vmcnt(0)
	v_bfe_i32 v0, v5, 0, 8
	v_cvt_f32_i32_sdwa v0, sext(v0) dst_sel:DWORD dst_unused:UNUSED_PAD src0_sel:WORD_0
	global_store_dword v[2:3], v0, off
.LBB289_1053:
	s_mov_b64 s[6:7], 0
.LBB289_1054:
	s_andn2_b64 vcc, exec, s[6:7]
	s_cbranch_vccnz .LBB289_1056
; %bb.1055:
	s_waitcnt vmcnt(0)
	v_cvt_f16_i16_sdwa v0, sext(v5) dst_sel:DWORD dst_unused:UNUSED_PAD src0_sel:BYTE_0
	global_store_short v[2:3], v0, off
.LBB289_1056:
	s_mov_b64 s[6:7], 0
.LBB289_1057:
	s_andn2_b64 vcc, exec, s[6:7]
	s_cbranch_vccnz .LBB289_1073
; %bb.1058:
	s_sext_i32_i16 s8, s16
	s_cmp_lt_i32 s8, 2
	s_mov_b64 s[6:7], -1
	s_cbranch_scc1 .LBB289_1068
; %bb.1059:
	s_cmp_lt_i32 s8, 3
	s_cbranch_scc1 .LBB289_1065
; %bb.1060:
	s_cmp_gt_i32 s8, 3
	s_cbranch_scc0 .LBB289_1062
; %bb.1061:
	s_waitcnt vmcnt(0)
	v_bfe_i32 v0, v5, 0, 8
	v_ashrrev_i32_e32 v1, 31, v0
	s_mov_b64 s[6:7], 0
	global_store_dwordx2 v[2:3], v[0:1], off
.LBB289_1062:
	s_andn2_b64 vcc, exec, s[6:7]
	s_cbranch_vccnz .LBB289_1064
; %bb.1063:
	s_waitcnt vmcnt(0)
	v_bfe_i32 v0, v5, 0, 8
	global_store_dword v[2:3], v0, off
.LBB289_1064:
	s_mov_b64 s[6:7], 0
.LBB289_1065:
	s_andn2_b64 vcc, exec, s[6:7]
	s_cbranch_vccnz .LBB289_1067
; %bb.1066:
	s_waitcnt vmcnt(0)
	v_bfe_i32 v0, v5, 0, 8
	global_store_short v[2:3], v0, off
.LBB289_1067:
	s_mov_b64 s[6:7], 0
.LBB289_1068:
	s_andn2_b64 vcc, exec, s[6:7]
	s_cbranch_vccnz .LBB289_1073
; %bb.1069:
	s_sext_i32_i16 s6, s16
	s_cmp_gt_i32 s6, 0
	s_mov_b64 s[6:7], -1
	s_cbranch_scc0 .LBB289_1071
; %bb.1070:
	s_mov_b64 s[6:7], 0
	s_waitcnt vmcnt(0)
	global_store_byte v[2:3], v5, off
.LBB289_1071:
	s_andn2_b64 vcc, exec, s[6:7]
	s_cbranch_vccnz .LBB289_1073
; %bb.1072:
	s_waitcnt vmcnt(0)
	global_store_byte v[2:3], v5, off
.LBB289_1073:
	s_or_b64 exec, exec, s[2:3]
	s_and_b64 s[24:25], s[4:5], exec
                                        ; implicit-def: $vgpr16
                                        ; implicit-def: $vgpr8
.LBB289_1074:
	s_or_saveexec_b64 s[26:27], s[44:45]
	s_mov_b64 s[6:7], 0
                                        ; implicit-def: $vgpr0_vgpr1
                                        ; implicit-def: $sgpr14
                                        ; implicit-def: $vgpr2
	s_xor_b64 exec, exec, s[26:27]
	s_cbranch_execz .LBB289_2061
; %bb.1075:
	v_cndmask_b32_e64 v0, 0, 1, s[42:43]
	v_cmp_ne_u32_e64 s[2:3], 1, v0
	s_andn2_b64 vcc, exec, s[42:43]
	s_cbranch_vccnz .LBB289_1081
; %bb.1076:
	s_cmp_lg_u32 s33, 0
	s_mov_b32 s36, 0
	s_cbranch_scc0 .LBB289_1082
; %bb.1077:
	s_min_u32 s37, s72, 15
	s_add_i32 s37, s37, 1
	s_cmp_eq_u32 s72, 2
	s_cbranch_scc1 .LBB289_1083
; %bb.1078:
	s_and_b32 s36, s37, 28
	s_add_u32 s28, s34, 0xc4
	s_addc_u32 s29, s35, 0
	s_mov_b32 s38, 0
	v_mov_b32_e32 v6, 0
	v_mov_b32_e32 v14, 0
	s_mov_b64 s[30:31], s[34:35]
	v_mov_b32_e32 v0, v8
.LBB289_1079:                           ; =>This Inner Loop Header: Depth=1
	s_load_dwordx8 s[12:19], s[30:31], 0x4
	s_load_dwordx4 s[20:23], s[30:31], 0x24
	s_load_dwordx8 s[4:11], s[28:29], 0x0
	s_add_u32 s30, s30, 48
	s_addc_u32 s31, s31, 0
	s_waitcnt lgkmcnt(0)
	v_mul_hi_u32 v1, s13, v0
	v_add_u32_e32 v1, v0, v1
	v_lshrrev_b32_e32 v1, s14, v1
	v_mul_lo_u32 v2, v1, s12
	v_mul_hi_u32 v3, s16, v1
	v_sub_u32_e32 v0, v0, v2
	v_add_u32_e32 v2, v1, v3
	v_lshrrev_b32_e32 v2, s17, v2
	s_waitcnt vmcnt(0)
	v_mul_lo_u32 v4, v2, s15
	v_mul_hi_u32 v5, s19, v2
	v_sub_u32_e32 v1, v1, v4
	v_add_u32_e32 v4, v2, v5
	v_mul_lo_u32 v3, v0, s5
	v_mul_lo_u32 v0, v0, s4
	v_mul_lo_u32 v5, v1, s7
	v_mul_lo_u32 v1, v1, s6
	v_lshrrev_b32_e32 v4, s20, v4
	v_add3_u32 v1, v0, v6, v1
	v_add3_u32 v3, v3, v14, v5
	v_mul_lo_u32 v0, v4, s18
	v_mul_hi_u32 v5, s22, v4
	v_sub_u32_e32 v0, v2, v0
	v_add_u32_e32 v2, v4, v5
	v_mul_lo_u32 v5, v0, s8
	v_mul_lo_u32 v6, v0, s9
	v_lshrrev_b32_e32 v0, s23, v2
	s_add_i32 s38, s38, 4
	v_mul_lo_u32 v2, v0, s21
	s_add_u32 s28, s28, 32
	v_sub_u32_e32 v2, v4, v2
	s_addc_u32 s29, s29, 0
	v_mul_lo_u32 v4, v2, s10
	v_mul_lo_u32 v2, v2, s11
	s_cmp_lg_u32 s36, s38
	v_add3_u32 v14, v6, v3, v2
	v_add3_u32 v6, v5, v1, v4
	s_cbranch_scc1 .LBB289_1079
; %bb.1080:
	v_mov_b32_e32 v1, v14
	s_and_b32 s8, s37, 3
	s_cmp_eq_u32 s8, 0
	s_cbranch_scc0 .LBB289_1084
	s_branch .LBB289_1086
.LBB289_1081:
                                        ; implicit-def: $vgpr14
                                        ; implicit-def: $vgpr6
	s_branch .LBB289_1087
.LBB289_1082:
	v_mov_b32_e32 v14, 0
	v_mov_b32_e32 v6, 0
	s_branch .LBB289_1086
.LBB289_1083:
	v_mov_b32_e32 v6, 0
                                        ; implicit-def: $vgpr14
	v_mov_b32_e32 v1, v6
	v_mov_b32_e32 v0, v8
	s_and_b32 s8, s37, 3
	s_cmp_eq_u32 s8, 0
	s_cbranch_scc1 .LBB289_1086
.LBB289_1084:
	s_lshl_b32 s4, s36, 3
	s_add_u32 s4, s34, s4
	s_addc_u32 s5, s35, 0
	s_add_u32 s4, s4, 0xc4
	s_addc_u32 s5, s5, 0
	s_mul_i32 s6, s36, 12
	s_add_u32 s6, s34, s6
	s_addc_u32 s7, s35, 0
.LBB289_1085:                           ; =>This Inner Loop Header: Depth=1
	s_load_dwordx2 s[10:11], s[6:7], 0x4
	s_load_dword s9, s[6:7], 0xc
	s_load_dwordx2 s[12:13], s[4:5], 0x0
	v_mov_b32_e32 v2, v1
	s_add_u32 s6, s6, 12
	s_waitcnt lgkmcnt(0)
	v_mul_hi_u32 v1, s11, v0
	v_add_u32_e32 v1, v0, v1
	v_lshrrev_b32_e32 v1, s9, v1
	s_addc_u32 s7, s7, 0
	v_mul_lo_u32 v3, v1, s10
	s_add_u32 s4, s4, 8
	v_sub_u32_e32 v3, v0, v3
	s_addc_u32 s5, s5, 0
	s_add_i32 s8, s8, -1
	v_mad_u64_u32 v[14:15], s[10:11], v3, s13, v[2:3]
	s_cmp_lg_u32 s8, 0
	v_mov_b32_e32 v0, v1
	v_mad_u64_u32 v[6:7], s[10:11], v3, s12, v[6:7]
	v_mov_b32_e32 v1, v14
	s_cbranch_scc1 .LBB289_1085
.LBB289_1086:
	s_cbranch_execnz .LBB289_1089
.LBB289_1087:
	s_load_dwordx4 s[4:7], s[34:35], 0x4
	s_load_dwordx2 s[8:9], s[34:35], 0xc4
	s_cmp_lt_u32 s33, 2
	s_waitcnt lgkmcnt(0)
	v_mul_hi_u32 v0, s5, v8
	v_add_u32_e32 v0, v8, v0
	v_lshrrev_b32_e32 v0, s6, v0
	v_mul_lo_u32 v1, v0, s4
	v_sub_u32_e32 v1, v8, v1
	v_mul_lo_u32 v14, v1, s9
	v_mul_lo_u32 v6, v1, s8
	s_cbranch_scc1 .LBB289_1089
; %bb.1088:
	s_load_dwordx4 s[4:7], s[34:35], 0x10
	s_load_dwordx2 s[8:9], s[34:35], 0xcc
	s_waitcnt lgkmcnt(0)
	v_mul_hi_u32 v1, s5, v0
	v_add_u32_e32 v1, v0, v1
	v_lshrrev_b32_e32 v1, s6, v1
	v_mul_lo_u32 v1, v1, s4
	v_sub_u32_e32 v0, v0, v1
	v_mad_u64_u32 v[6:7], s[4:5], v0, s8, v[6:7]
	v_mad_u64_u32 v[14:15], s[4:5], v0, s9, v[14:15]
.LBB289_1089:
	s_and_b64 vcc, exec, s[2:3]
	v_add_u32_e32 v0, 0x80, v8
	s_cbranch_vccnz .LBB289_1095
; %bb.1090:
	s_cmp_lg_u32 s33, 0
	s_mov_b32 s36, 0
	s_cbranch_scc0 .LBB289_1096
; %bb.1091:
	s_min_u32 s37, s72, 15
	s_add_i32 s37, s37, 1
	s_cmp_eq_u32 s72, 2
	s_cbranch_scc1 .LBB289_1097
; %bb.1092:
	s_and_b32 s36, s37, 28
	s_add_u32 s28, s34, 0xc4
	s_addc_u32 s29, s35, 0
	s_mov_b32 s38, 0
	s_waitcnt vmcnt(0)
	v_mov_b32_e32 v4, 0
	v_mov_b32_e32 v12, 0
	s_mov_b64 s[30:31], s[34:35]
	v_mov_b32_e32 v2, v0
.LBB289_1093:                           ; =>This Inner Loop Header: Depth=1
	s_load_dwordx8 s[12:19], s[30:31], 0x4
	s_load_dwordx4 s[20:23], s[30:31], 0x24
	s_load_dwordx8 s[4:11], s[28:29], 0x0
	s_add_u32 s30, s30, 48
	s_addc_u32 s31, s31, 0
	s_waitcnt lgkmcnt(0)
	v_mul_hi_u32 v1, s13, v2
	v_add_u32_e32 v1, v2, v1
	v_lshrrev_b32_e32 v1, s14, v1
	v_mul_lo_u32 v3, v1, s12
	v_mul_hi_u32 v5, s16, v1
	v_sub_u32_e32 v2, v2, v3
	v_add_u32_e32 v3, v1, v5
	v_lshrrev_b32_e32 v3, s17, v3
	v_mul_lo_u32 v7, v3, s15
	v_mul_hi_u32 v9, s19, v3
	v_sub_u32_e32 v1, v1, v7
	v_add_u32_e32 v7, v3, v9
	v_mul_lo_u32 v5, v2, s5
	v_mul_lo_u32 v2, v2, s4
	;; [unrolled: 1-line block ×4, first 2 shown]
	v_lshrrev_b32_e32 v7, s20, v7
	v_add3_u32 v1, v2, v4, v1
	v_add3_u32 v4, v5, v12, v9
	v_mul_lo_u32 v2, v7, s18
	v_mul_hi_u32 v5, s22, v7
	v_sub_u32_e32 v2, v3, v2
	v_add_u32_e32 v3, v7, v5
	v_mul_lo_u32 v5, v2, s8
	v_mul_lo_u32 v9, v2, s9
	v_lshrrev_b32_e32 v2, s23, v3
	s_add_i32 s38, s38, 4
	v_mul_lo_u32 v3, v2, s21
	s_add_u32 s28, s28, 32
	v_sub_u32_e32 v3, v7, v3
	s_addc_u32 s29, s29, 0
	v_mul_lo_u32 v7, v3, s10
	v_mul_lo_u32 v3, v3, s11
	s_cmp_lg_u32 s36, s38
	v_add3_u32 v12, v9, v4, v3
	v_add3_u32 v4, v5, v1, v7
	s_cbranch_scc1 .LBB289_1093
; %bb.1094:
	v_mov_b32_e32 v1, v12
	s_and_b32 s8, s37, 3
	s_cmp_eq_u32 s8, 0
	s_cbranch_scc0 .LBB289_1098
	s_branch .LBB289_1100
.LBB289_1095:
                                        ; implicit-def: $vgpr12
                                        ; implicit-def: $vgpr4
	s_branch .LBB289_1101
.LBB289_1096:
	v_mov_b32_e32 v12, 0
	s_waitcnt vmcnt(0)
	v_mov_b32_e32 v4, 0
	s_branch .LBB289_1100
.LBB289_1097:
	s_waitcnt vmcnt(0)
	v_mov_b32_e32 v4, 0
                                        ; implicit-def: $vgpr12
	v_mov_b32_e32 v1, v4
	v_mov_b32_e32 v2, v0
	s_and_b32 s8, s37, 3
	s_cmp_eq_u32 s8, 0
	s_cbranch_scc1 .LBB289_1100
.LBB289_1098:
	s_lshl_b32 s4, s36, 3
	s_add_u32 s4, s34, s4
	s_addc_u32 s5, s35, 0
	s_add_u32 s4, s4, 0xc4
	s_addc_u32 s5, s5, 0
	s_mul_i32 s6, s36, 12
	s_add_u32 s6, s34, s6
	s_addc_u32 s7, s35, 0
.LBB289_1099:                           ; =>This Inner Loop Header: Depth=1
	s_load_dwordx2 s[10:11], s[6:7], 0x4
	s_load_dword s9, s[6:7], 0xc
	s_load_dwordx2 s[12:13], s[4:5], 0x0
	v_mov_b32_e32 v10, v1
	s_add_u32 s6, s6, 12
	s_waitcnt lgkmcnt(0)
	v_mul_hi_u32 v1, s11, v2
	v_add_u32_e32 v1, v2, v1
	v_lshrrev_b32_e32 v1, s9, v1
	s_addc_u32 s7, s7, 0
	v_mul_lo_u32 v3, v1, s10
	s_add_u32 s4, s4, 8
	v_sub_u32_e32 v3, v2, v3
	s_addc_u32 s5, s5, 0
	s_add_i32 s8, s8, -1
	v_mad_u64_u32 v[12:13], s[10:11], v3, s13, v[10:11]
	s_cmp_lg_u32 s8, 0
	v_mov_b32_e32 v2, v1
	v_mad_u64_u32 v[4:5], s[10:11], v3, s12, v[4:5]
	v_mov_b32_e32 v1, v12
	s_cbranch_scc1 .LBB289_1099
.LBB289_1100:
	s_cbranch_execnz .LBB289_1103
.LBB289_1101:
	s_load_dwordx4 s[4:7], s[34:35], 0x4
	s_load_dwordx2 s[8:9], s[34:35], 0xc4
	s_cmp_lt_u32 s33, 2
	s_waitcnt lgkmcnt(0)
	v_mul_hi_u32 v1, s5, v0
	v_add_u32_e32 v1, v0, v1
	v_lshrrev_b32_e32 v1, s6, v1
	v_mul_lo_u32 v2, v1, s4
	v_sub_u32_e32 v0, v0, v2
	v_mul_lo_u32 v12, v0, s9
	s_waitcnt vmcnt(0)
	v_mul_lo_u32 v4, v0, s8
	s_cbranch_scc1 .LBB289_1103
; %bb.1102:
	s_load_dwordx4 s[4:7], s[34:35], 0x10
	s_load_dwordx2 s[8:9], s[34:35], 0xcc
	s_waitcnt lgkmcnt(0)
	v_mul_hi_u32 v0, s5, v1
	v_add_u32_e32 v0, v1, v0
	v_lshrrev_b32_e32 v0, s6, v0
	v_mul_lo_u32 v0, v0, s4
	v_sub_u32_e32 v0, v1, v0
	v_mad_u64_u32 v[4:5], s[4:5], v0, s8, v[4:5]
	v_mad_u64_u32 v[12:13], s[4:5], v0, s9, v[12:13]
.LBB289_1103:
	s_and_b64 vcc, exec, s[2:3]
	v_add_u32_e32 v0, 0x100, v8
	s_cbranch_vccnz .LBB289_1109
; %bb.1104:
	s_cmp_lg_u32 s33, 0
	s_mov_b32 s36, 0
	s_cbranch_scc0 .LBB289_1110
; %bb.1105:
	s_min_u32 s37, s72, 15
	s_add_i32 s37, s37, 1
	s_cmp_eq_u32 s72, 2
	s_cbranch_scc1 .LBB289_1111
; %bb.1106:
	s_and_b32 s36, s37, 28
	s_add_u32 s28, s34, 0xc4
	s_addc_u32 s29, s35, 0
	s_mov_b32 s38, 0
	v_mov_b32_e32 v2, 0
	v_mov_b32_e32 v10, 0
	s_mov_b64 s[30:31], s[34:35]
	s_waitcnt vmcnt(0)
	v_mov_b32_e32 v5, v0
.LBB289_1107:                           ; =>This Inner Loop Header: Depth=1
	s_load_dwordx8 s[12:19], s[30:31], 0x4
	s_load_dwordx4 s[20:23], s[30:31], 0x24
	s_load_dwordx8 s[4:11], s[28:29], 0x0
	s_add_u32 s30, s30, 48
	s_addc_u32 s31, s31, 0
	s_waitcnt lgkmcnt(0)
	v_mul_hi_u32 v1, s13, v5
	v_add_u32_e32 v1, v5, v1
	v_lshrrev_b32_e32 v1, s14, v1
	v_mul_lo_u32 v3, v1, s12
	v_mul_hi_u32 v7, s16, v1
	v_sub_u32_e32 v3, v5, v3
	v_add_u32_e32 v5, v1, v7
	v_lshrrev_b32_e32 v5, s17, v5
	v_mul_lo_u32 v8, v5, s15
	v_mul_hi_u32 v9, s19, v5
	v_sub_u32_e32 v1, v1, v8
	v_add_u32_e32 v8, v5, v9
	v_mul_lo_u32 v7, v3, s5
	v_mul_lo_u32 v3, v3, s4
	;; [unrolled: 1-line block ×4, first 2 shown]
	v_lshrrev_b32_e32 v8, s20, v8
	v_add3_u32 v1, v3, v2, v1
	v_add3_u32 v2, v7, v10, v9
	v_mul_lo_u32 v3, v8, s18
	v_mul_hi_u32 v7, s22, v8
	v_sub_u32_e32 v3, v5, v3
	v_add_u32_e32 v5, v8, v7
	v_lshrrev_b32_e32 v5, s23, v5
	s_add_i32 s38, s38, 4
	v_mul_lo_u32 v9, v5, s21
	s_add_u32 s28, s28, 32
	v_sub_u32_e32 v8, v8, v9
	s_addc_u32 s29, s29, 0
	v_mul_lo_u32 v7, v3, s8
	v_mul_lo_u32 v3, v3, s9
	;; [unrolled: 1-line block ×4, first 2 shown]
	s_cmp_lg_u32 s36, s38
	v_add3_u32 v10, v3, v2, v8
	v_add3_u32 v2, v7, v1, v9
	s_cbranch_scc1 .LBB289_1107
; %bb.1108:
	v_mov_b32_e32 v1, v10
	s_and_b32 s8, s37, 3
	s_cmp_eq_u32 s8, 0
	s_cbranch_scc0 .LBB289_1112
	s_branch .LBB289_1114
.LBB289_1109:
                                        ; implicit-def: $vgpr10
                                        ; implicit-def: $vgpr2
	s_branch .LBB289_1115
.LBB289_1110:
	v_mov_b32_e32 v10, 0
	v_mov_b32_e32 v2, 0
	s_branch .LBB289_1114
.LBB289_1111:
	v_mov_b32_e32 v2, 0
                                        ; implicit-def: $vgpr10
	v_mov_b32_e32 v1, v2
	s_waitcnt vmcnt(0)
	v_mov_b32_e32 v5, v0
	s_and_b32 s8, s37, 3
	s_cmp_eq_u32 s8, 0
	s_cbranch_scc1 .LBB289_1114
.LBB289_1112:
	s_lshl_b32 s4, s36, 3
	s_add_u32 s4, s34, s4
	s_addc_u32 s5, s35, 0
	s_add_u32 s4, s4, 0xc4
	s_addc_u32 s5, s5, 0
	s_mul_i32 s6, s36, 12
	s_add_u32 s6, s34, s6
	s_addc_u32 s7, s35, 0
.LBB289_1113:                           ; =>This Inner Loop Header: Depth=1
	s_load_dwordx2 s[10:11], s[6:7], 0x4
	s_load_dword s9, s[6:7], 0xc
	s_load_dwordx2 s[12:13], s[4:5], 0x0
	v_mov_b32_e32 v8, v1
	s_add_u32 s6, s6, 12
	s_waitcnt lgkmcnt(0)
	v_mul_hi_u32 v1, s11, v5
	v_add_u32_e32 v1, v5, v1
	v_lshrrev_b32_e32 v1, s9, v1
	s_addc_u32 s7, s7, 0
	v_mul_lo_u32 v3, v1, s10
	s_add_u32 s4, s4, 8
	v_sub_u32_e32 v3, v5, v3
	s_addc_u32 s5, s5, 0
	s_add_i32 s8, s8, -1
	v_mad_u64_u32 v[10:11], s[10:11], v3, s13, v[8:9]
	s_cmp_lg_u32 s8, 0
	v_mov_b32_e32 v5, v1
	v_mad_u64_u32 v[2:3], s[10:11], v3, s12, v[2:3]
	v_mov_b32_e32 v1, v10
	s_cbranch_scc1 .LBB289_1113
.LBB289_1114:
	s_cbranch_execnz .LBB289_1117
.LBB289_1115:
	s_load_dwordx4 s[4:7], s[34:35], 0x4
	s_load_dwordx2 s[8:9], s[34:35], 0xc4
	s_cmp_lt_u32 s33, 2
	s_waitcnt lgkmcnt(0)
	v_mul_hi_u32 v1, s5, v0
	v_add_u32_e32 v1, v0, v1
	v_lshrrev_b32_e32 v1, s6, v1
	v_mul_lo_u32 v2, v1, s4
	v_sub_u32_e32 v0, v0, v2
	v_mul_lo_u32 v10, v0, s9
	v_mul_lo_u32 v2, v0, s8
	s_cbranch_scc1 .LBB289_1117
; %bb.1116:
	s_load_dwordx4 s[4:7], s[34:35], 0x10
	s_load_dwordx2 s[8:9], s[34:35], 0xcc
	s_waitcnt lgkmcnt(0)
	v_mul_hi_u32 v0, s5, v1
	v_add_u32_e32 v0, v1, v0
	v_lshrrev_b32_e32 v0, s6, v0
	v_mul_lo_u32 v0, v0, s4
	v_sub_u32_e32 v0, v1, v0
	v_mad_u64_u32 v[2:3], s[4:5], v0, s8, v[2:3]
	v_mad_u64_u32 v[10:11], s[4:5], v0, s9, v[10:11]
.LBB289_1117:
	s_and_b64 vcc, exec, s[2:3]
	s_cbranch_vccnz .LBB289_1123
; %bb.1118:
	s_cmp_lg_u32 s33, 0
	s_mov_b32 s30, 0
	s_cbranch_scc0 .LBB289_1124
; %bb.1119:
	s_min_u32 s31, s72, 15
	s_add_i32 s31, s31, 1
	s_cmp_eq_u32 s72, 2
	s_cbranch_scc1 .LBB289_1125
; %bb.1120:
	s_and_b32 s30, s31, 28
	s_add_u32 s2, s34, 0xc4
	s_addc_u32 s3, s35, 0
	s_mov_b32 s36, 0
	v_mov_b32_e32 v0, 0
	v_mov_b32_e32 v8, 0
	s_mov_b64 s[28:29], s[34:35]
	v_mov_b32_e32 v3, v16
.LBB289_1121:                           ; =>This Inner Loop Header: Depth=1
	s_load_dwordx8 s[12:19], s[28:29], 0x4
	s_load_dwordx4 s[20:23], s[28:29], 0x24
	s_load_dwordx8 s[4:11], s[2:3], 0x0
	s_add_u32 s28, s28, 48
	s_addc_u32 s29, s29, 0
	s_waitcnt lgkmcnt(0)
	v_mul_hi_u32 v1, s13, v3
	v_add_u32_e32 v1, v3, v1
	v_lshrrev_b32_e32 v1, s14, v1
	s_waitcnt vmcnt(0)
	v_mul_lo_u32 v5, v1, s12
	v_mul_hi_u32 v7, s16, v1
	v_sub_u32_e32 v3, v3, v5
	v_add_u32_e32 v5, v1, v7
	v_lshrrev_b32_e32 v5, s17, v5
	v_mul_lo_u32 v9, v5, s15
	v_mul_hi_u32 v11, s19, v5
	v_sub_u32_e32 v1, v1, v9
	v_add_u32_e32 v9, v5, v11
	v_mul_lo_u32 v7, v3, s5
	v_mul_lo_u32 v3, v3, s4
	;; [unrolled: 1-line block ×4, first 2 shown]
	v_lshrrev_b32_e32 v9, s20, v9
	v_add3_u32 v0, v3, v0, v1
	v_add3_u32 v1, v7, v8, v11
	v_mul_lo_u32 v3, v9, s18
	v_mul_hi_u32 v7, s22, v9
	v_sub_u32_e32 v3, v5, v3
	v_add_u32_e32 v5, v9, v7
	v_mul_lo_u32 v7, v3, s8
	v_mul_lo_u32 v8, v3, s9
	v_lshrrev_b32_e32 v3, s23, v5
	s_add_i32 s36, s36, 4
	v_mul_lo_u32 v5, v3, s21
	s_add_u32 s2, s2, 32
	v_sub_u32_e32 v5, v9, v5
	s_addc_u32 s3, s3, 0
	v_mul_lo_u32 v9, v5, s10
	v_mul_lo_u32 v5, v5, s11
	s_cmp_lg_u32 s30, s36
	v_add3_u32 v8, v8, v1, v5
	v_add3_u32 v0, v7, v0, v9
	s_cbranch_scc1 .LBB289_1121
; %bb.1122:
	v_mov_b32_e32 v1, v8
	s_and_b32 s6, s31, 3
	s_cmp_eq_u32 s6, 0
	s_cbranch_scc0 .LBB289_1126
	s_branch .LBB289_1128
.LBB289_1123:
                                        ; implicit-def: $vgpr8
                                        ; implicit-def: $vgpr0
	s_branch .LBB289_1129
.LBB289_1124:
	v_mov_b32_e32 v8, 0
	v_mov_b32_e32 v0, 0
	s_branch .LBB289_1128
.LBB289_1125:
	v_mov_b32_e32 v0, 0
                                        ; implicit-def: $vgpr8
	v_mov_b32_e32 v1, v0
	v_mov_b32_e32 v3, v16
	s_and_b32 s6, s31, 3
	s_cmp_eq_u32 s6, 0
	s_cbranch_scc1 .LBB289_1128
.LBB289_1126:
	s_lshl_b32 s2, s30, 3
	s_add_u32 s2, s34, s2
	s_addc_u32 s3, s35, 0
	s_add_u32 s2, s2, 0xc4
	s_addc_u32 s3, s3, 0
	s_mul_i32 s4, s30, 12
	s_add_u32 s4, s34, s4
	s_addc_u32 s5, s35, 0
.LBB289_1127:                           ; =>This Inner Loop Header: Depth=1
	s_load_dwordx2 s[8:9], s[4:5], 0x4
	s_load_dword s7, s[4:5], 0xc
	s_load_dwordx2 s[10:11], s[2:3], 0x0
	v_mov_b32_e32 v8, v1
	s_add_u32 s4, s4, 12
	s_waitcnt lgkmcnt(0)
	v_mul_hi_u32 v1, s9, v3
	v_add_u32_e32 v1, v3, v1
	v_lshrrev_b32_e32 v1, s7, v1
	s_addc_u32 s5, s5, 0
	s_waitcnt vmcnt(0)
	v_mul_lo_u32 v5, v1, s8
	s_add_u32 s2, s2, 8
	v_sub_u32_e32 v5, v3, v5
	s_addc_u32 s3, s3, 0
	s_add_i32 s6, s6, -1
	v_mov_b32_e32 v3, v1
	v_mad_u64_u32 v[8:9], s[8:9], v5, s11, v[8:9]
	v_mad_u64_u32 v[0:1], s[8:9], v5, s10, v[0:1]
	s_cmp_lg_u32 s6, 0
	v_mov_b32_e32 v1, v8
	s_cbranch_scc1 .LBB289_1127
.LBB289_1128:
	s_cbranch_execnz .LBB289_1131
.LBB289_1129:
	s_load_dwordx4 s[4:7], s[34:35], 0x4
	s_load_dwordx2 s[2:3], s[34:35], 0xc4
	s_cmp_lt_u32 s33, 2
	s_waitcnt lgkmcnt(0)
	v_mul_hi_u32 v0, s5, v16
	v_add_u32_e32 v0, v16, v0
	v_lshrrev_b32_e32 v1, s6, v0
	v_mul_lo_u32 v0, v1, s4
	v_sub_u32_e32 v0, v16, v0
	v_mul_lo_u32 v8, v0, s3
	v_mul_lo_u32 v0, v0, s2
	s_cbranch_scc1 .LBB289_1131
; %bb.1130:
	s_load_dwordx4 s[4:7], s[34:35], 0x10
	s_load_dwordx2 s[2:3], s[34:35], 0xcc
	s_waitcnt lgkmcnt(0)
	v_mul_hi_u32 v3, s5, v1
	v_add_u32_e32 v3, v1, v3
	v_lshrrev_b32_e32 v3, s6, v3
	v_mul_lo_u32 v3, v3, s4
	v_sub_u32_e32 v3, v1, v3
	v_mad_u64_u32 v[0:1], s[4:5], v3, s2, v[0:1]
	v_mad_u64_u32 v[8:9], s[2:3], v3, s3, v[8:9]
.LBB289_1131:
	s_load_dword s14, s[0:1], 0x160
	s_load_dwordx4 s[4:7], s[34:35], 0x148
	v_mov_b32_e32 v15, 0
	s_waitcnt lgkmcnt(0)
	s_lshr_b32 s12, s14, 24
	s_cmp_lt_i32 s12, 11
	v_lshl_add_u64 v[16:17], s[6:7], 0, v[14:15]
	s_cbranch_scc1 .LBB289_1138
; %bb.1132:
	s_and_b32 s13, 0xffff, s12
	s_cmp_gt_i32 s13, 25
	s_mov_b64 s[8:9], 0
	s_cbranch_scc0 .LBB289_1140
; %bb.1133:
	s_cmp_gt_i32 s13, 28
	s_cbranch_scc0 .LBB289_1141
; %bb.1134:
	s_cmp_gt_i32 s13, 43
	;; [unrolled: 3-line block ×3, first 2 shown]
	s_cbranch_scc0 .LBB289_1143
; %bb.1136:
	s_cmp_eq_u32 s13, 46
	s_mov_b64 s[2:3], 0
	s_cbranch_scc0 .LBB289_1146
; %bb.1137:
	global_load_dword v1, v[16:17], off
	s_mov_b64 s[0:1], 0
	s_mov_b64 s[10:11], -1
	s_waitcnt vmcnt(0)
	v_lshlrev_b32_e32 v1, 16, v1
	v_cvt_i32_f32_e32 v14, v1
	s_branch .LBB289_1147
.LBB289_1138:
	s_mov_b64 s[10:11], 0
                                        ; implicit-def: $vgpr14
	s_mov_b64 s[2:3], s[24:25]
	s_cbranch_execnz .LBB289_1205
.LBB289_1139:
	s_andn2_b64 vcc, exec, s[10:11]
	s_cbranch_vccz .LBB289_1250
	s_branch .LBB289_2059
.LBB289_1140:
	s_mov_b64 s[10:11], 0
	s_mov_b64 s[0:1], 0
                                        ; implicit-def: $vgpr14
	s_cbranch_execnz .LBB289_1172
	s_branch .LBB289_1201
.LBB289_1141:
	s_mov_b64 s[10:11], 0
	s_mov_b64 s[0:1], 0
                                        ; implicit-def: $vgpr14
	s_cbranch_execz .LBB289_1171
	s_branch .LBB289_1156
.LBB289_1142:
	s_mov_b64 s[10:11], 0
	s_mov_b64 s[0:1], 0
                                        ; implicit-def: $vgpr14
	s_cbranch_execnz .LBB289_1152
	s_branch .LBB289_1155
.LBB289_1143:
	s_mov_b64 s[2:3], -1
	s_mov_b64 s[10:11], 0
	s_mov_b64 s[0:1], 0
                                        ; implicit-def: $vgpr14
	s_branch .LBB289_1147
.LBB289_1144:
	s_andn2_saveexec_b64 s[12:13], s[12:13]
	s_cbranch_execz .LBB289_987
.LBB289_1145:
	s_mov_b32 s14, 0x46000000
	v_add_f32_e64 v1, |v0|, s14
	v_and_b32_e32 v1, 0xff, v1
	v_cmp_ne_u32_e32 vcc, 0, v1
	s_andn2_b64 s[10:11], s[10:11], exec
	s_and_b64 s[14:15], vcc, exec
	s_or_b64 s[10:11], s[10:11], s[14:15]
	s_or_b64 exec, exec, s[12:13]
	v_mov_b32_e32 v4, 0
	s_and_saveexec_b64 s[12:13], s[10:11]
	s_cbranch_execnz .LBB289_988
	s_branch .LBB289_989
.LBB289_1146:
	s_mov_b64 s[0:1], -1
                                        ; implicit-def: $vgpr14
	s_mov_b64 s[10:11], 0
.LBB289_1147:
	s_and_b64 vcc, exec, s[2:3]
	s_cbranch_vccz .LBB289_1150
; %bb.1148:
	s_cmp_eq_u32 s13, 44
	s_cbranch_scc0 .LBB289_1151
; %bb.1149:
	global_load_ubyte v1, v[16:17], off
	s_mov_b64 s[0:1], 0
	s_mov_b64 s[10:11], -1
	s_waitcnt vmcnt(0)
	v_lshlrev_b32_e32 v3, 23, v1
	v_cvt_i32_f32_e32 v3, v3
	v_cmp_ne_u32_e32 vcc, 0, v1
	s_nop 1
	v_cndmask_b32_e32 v14, 0, v3, vcc
.LBB289_1150:
	s_branch .LBB289_1155
.LBB289_1151:
	s_mov_b64 s[0:1], -1
                                        ; implicit-def: $vgpr14
	s_branch .LBB289_1155
.LBB289_1152:
	s_cmp_eq_u32 s13, 29
	s_cbranch_scc0 .LBB289_1154
; %bb.1153:
	global_load_dwordx2 v[14:15], v[16:17], off
	s_mov_b64 s[0:1], 0
	s_mov_b64 s[10:11], -1
	s_branch .LBB289_1155
.LBB289_1154:
	s_mov_b64 s[0:1], -1
                                        ; implicit-def: $vgpr14
.LBB289_1155:
	s_branch .LBB289_1171
.LBB289_1156:
	s_cmp_lt_i32 s13, 27
	s_cbranch_scc1 .LBB289_1159
; %bb.1157:
	s_cmp_gt_i32 s13, 27
	s_cbranch_scc0 .LBB289_1160
; %bb.1158:
	global_load_dword v14, v[16:17], off
	s_mov_b64 s[2:3], 0
	s_branch .LBB289_1161
.LBB289_1159:
	s_mov_b64 s[2:3], -1
                                        ; implicit-def: $vgpr14
	s_branch .LBB289_1164
.LBB289_1160:
	s_mov_b64 s[2:3], -1
                                        ; implicit-def: $vgpr14
.LBB289_1161:
	s_andn2_b64 vcc, exec, s[2:3]
	s_cbranch_vccnz .LBB289_1163
; %bb.1162:
	global_load_ushort v14, v[16:17], off
.LBB289_1163:
	s_mov_b64 s[2:3], 0
.LBB289_1164:
	s_andn2_b64 vcc, exec, s[2:3]
	s_cbranch_vccnz .LBB289_1170
; %bb.1165:
	global_load_ubyte v1, v[16:17], off
	s_movk_i32 s2, 0x7f
	s_mov_b64 s[10:11], 0
	s_waitcnt vmcnt(0)
	v_cmp_lt_i16_e32 vcc, s2, v1
	s_and_saveexec_b64 s[2:3], vcc
	s_xor_b64 s[2:3], exec, s[2:3]
	s_cbranch_execz .LBB289_1181
; %bb.1166:
	s_movk_i32 s10, 0x80
	v_cmp_ne_u16_e32 vcc, s10, v1
	s_and_b64 s[10:11], vcc, exec
	s_andn2_saveexec_b64 s[2:3], s[2:3]
	s_cbranch_execnz .LBB289_1182
.LBB289_1167:
	s_or_b64 exec, exec, s[2:3]
	v_mov_b32_e32 v14, 0
	s_and_saveexec_b64 s[2:3], s[10:11]
	s_cbranch_execz .LBB289_1169
.LBB289_1168:
	v_lshlrev_b32_e32 v3, 24, v1
	v_and_b32_e32 v1, 0xffff, v1
	v_and_b32_e32 v5, 7, v1
	v_ffbh_u32_e32 v9, v5
	v_min_u32_e32 v9, 32, v9
	v_subrev_u32_e32 v11, 28, v9
	v_bfe_u32 v7, v1, 3, 4
	v_lshlrev_b32_e32 v1, v11, v1
	v_sub_u32_e32 v9, 29, v9
	v_and_b32_e32 v1, 7, v1
	v_cmp_eq_u32_e32 vcc, 0, v7
	v_and_b32_e32 v3, 0x80000000, v3
	s_nop 0
	v_cndmask_b32_e32 v7, v7, v9, vcc
	v_cndmask_b32_e32 v1, v5, v1, vcc
	v_mov_b32_e32 v5, 0x3b800000
	v_lshlrev_b32_e32 v1, 20, v1
	v_lshl_add_u32 v5, v7, 23, v5
	v_or3_b32 v1, v3, v5, v1
	v_cvt_i32_f32_e32 v14, v1
.LBB289_1169:
	s_or_b64 exec, exec, s[2:3]
.LBB289_1170:
	s_mov_b64 s[10:11], -1
.LBB289_1171:
	s_branch .LBB289_1201
.LBB289_1172:
	s_cmp_gt_i32 s13, 22
	s_cbranch_scc0 .LBB289_1180
; %bb.1173:
	s_cmp_lt_i32 s13, 24
	s_cbranch_scc1 .LBB289_1183
; %bb.1174:
	s_cmp_gt_i32 s13, 24
	s_cbranch_scc0 .LBB289_1184
; %bb.1175:
	global_load_ubyte v1, v[16:17], off
	s_movk_i32 s2, 0x7f
	s_waitcnt vmcnt(0)
	v_cmp_lt_i16_e32 vcc, s2, v1
	s_and_saveexec_b64 s[2:3], vcc
	s_xor_b64 s[2:3], exec, s[2:3]
	s_cbranch_execz .LBB289_1195
; %bb.1176:
	s_movk_i32 s8, 0x80
	v_cmp_ne_u16_e32 vcc, s8, v1
	s_and_b64 s[8:9], vcc, exec
	s_andn2_saveexec_b64 s[2:3], s[2:3]
	s_cbranch_execnz .LBB289_1196
.LBB289_1177:
	s_or_b64 exec, exec, s[2:3]
	v_mov_b32_e32 v14, 0
	s_and_saveexec_b64 s[2:3], s[8:9]
	s_cbranch_execz .LBB289_1179
.LBB289_1178:
	v_lshlrev_b32_e32 v3, 24, v1
	v_and_b32_e32 v1, 0xffff, v1
	v_and_b32_e32 v5, 3, v1
	v_ffbh_u32_e32 v9, v5
	v_min_u32_e32 v9, 32, v9
	v_subrev_u32_e32 v11, 29, v9
	v_bfe_u32 v7, v1, 2, 5
	v_lshlrev_b32_e32 v1, v11, v1
	v_sub_u32_e32 v9, 30, v9
	v_and_b32_e32 v1, 3, v1
	v_cmp_eq_u32_e32 vcc, 0, v7
	v_and_b32_e32 v3, 0x80000000, v3
	s_nop 0
	v_cndmask_b32_e32 v7, v7, v9, vcc
	v_cndmask_b32_e32 v1, v5, v1, vcc
	v_mov_b32_e32 v5, 0x37800000
	v_lshlrev_b32_e32 v1, 21, v1
	v_lshl_add_u32 v5, v7, 23, v5
	v_or3_b32 v1, v3, v5, v1
	v_cvt_i32_f32_e32 v14, v1
.LBB289_1179:
	s_or_b64 exec, exec, s[2:3]
	s_mov_b64 s[2:3], 0
	s_branch .LBB289_1185
.LBB289_1180:
                                        ; implicit-def: $vgpr14
	s_mov_b64 s[8:9], 0
	s_branch .LBB289_1191
.LBB289_1181:
	s_andn2_saveexec_b64 s[2:3], s[2:3]
	s_cbranch_execz .LBB289_1167
.LBB289_1182:
	v_cmp_ne_u16_e32 vcc, 0, v1
	s_andn2_b64 s[10:11], s[10:11], exec
	s_and_b64 s[16:17], vcc, exec
	s_or_b64 s[10:11], s[10:11], s[16:17]
	s_or_b64 exec, exec, s[2:3]
	v_mov_b32_e32 v14, 0
	s_and_saveexec_b64 s[2:3], s[10:11]
	s_cbranch_execnz .LBB289_1168
	s_branch .LBB289_1169
.LBB289_1183:
	s_mov_b64 s[2:3], -1
                                        ; implicit-def: $vgpr14
	s_branch .LBB289_1188
.LBB289_1184:
	s_mov_b64 s[2:3], -1
                                        ; implicit-def: $vgpr14
.LBB289_1185:
	s_and_b64 vcc, exec, s[2:3]
	s_cbranch_vccz .LBB289_1187
; %bb.1186:
	global_load_ubyte v1, v[16:17], off
	s_mov_b32 s2, 0x7f800000
	s_waitcnt vmcnt(0)
	v_lshlrev_b32_e32 v1, 24, v1
	v_and_b32_e32 v3, 0x7f000000, v1
	v_ffbh_u32_e32 v5, v3
	v_min_u32_e32 v5, 32, v5
	v_sub_u32_e64 v5, v5, 4 clamp
	v_lshlrev_b32_e32 v9, v5, v3
	v_lshlrev_b32_e32 v5, 23, v5
	v_lshrrev_b32_e32 v9, 4, v9
	v_add_u32_e32 v7, 0x1000000, v3
	v_sub_u32_e32 v5, v9, v5
	v_ashrrev_i32_e32 v7, 8, v7
	v_add_u32_e32 v5, 0x3c000000, v5
	v_and_or_b32 v5, v7, s2, v5
	v_cmp_ne_u32_e32 vcc, 0, v3
	s_brev_b32 s2, 1
	s_nop 0
	v_cndmask_b32_e32 v3, 0, v5, vcc
	v_and_or_b32 v1, v1, s2, v3
	v_cvt_i32_f32_e32 v14, v1
.LBB289_1187:
	s_mov_b64 s[2:3], 0
.LBB289_1188:
	s_andn2_b64 vcc, exec, s[2:3]
	s_cbranch_vccnz .LBB289_1190
; %bb.1189:
	global_load_ubyte v1, v[16:17], off
	s_movk_i32 s2, 0x7f00
	s_brev_b32 s3, 16
	s_waitcnt vmcnt(0)
	v_lshlrev_b16_e32 v3, 8, v1
	v_lshlrev_b32_e32 v1, 25, v1
	v_lshrrev_b32_e32 v5, 4, v1
	v_and_or_b32 v7, v3, s2, 0.5
	v_or_b32_e32 v5, 0x70000000, v5
	v_add_f32_e32 v7, -0.5, v7
	v_mul_f32_e32 v5, 0x7800000, v5
	v_cmp_gt_u32_e32 vcc, s3, v1
	v_bfe_i32 v3, v3, 0, 16
	s_brev_b32 s2, 1
	v_cndmask_b32_e32 v1, v5, v7, vcc
	v_and_or_b32 v1, v3, s2, v1
	v_cvt_i32_f32_e32 v14, v1
.LBB289_1190:
	s_mov_b64 s[10:11], -1
	s_mov_b64 s[8:9], 0
	s_cbranch_execnz .LBB289_1201
.LBB289_1191:
	s_cmp_gt_i32 s13, 14
	s_cbranch_scc0 .LBB289_1194
; %bb.1192:
	s_cmp_eq_u32 s13, 15
	s_cbranch_scc0 .LBB289_1197
; %bb.1193:
	global_load_ushort v1, v[16:17], off
	s_mov_b64 s[0:1], 0
	s_mov_b64 s[10:11], -1
	s_waitcnt vmcnt(0)
	v_lshlrev_b32_e32 v1, 16, v1
	v_cvt_i32_f32_e32 v14, v1
	s_branch .LBB289_1198
.LBB289_1194:
	s_mov_b64 s[2:3], -1
                                        ; implicit-def: $vgpr14
	s_branch .LBB289_1199
.LBB289_1195:
	s_andn2_saveexec_b64 s[2:3], s[2:3]
	s_cbranch_execz .LBB289_1177
.LBB289_1196:
	v_cmp_ne_u16_e32 vcc, 0, v1
	s_andn2_b64 s[8:9], s[8:9], exec
	s_and_b64 s[10:11], vcc, exec
	s_or_b64 s[8:9], s[8:9], s[10:11]
	s_or_b64 exec, exec, s[2:3]
	v_mov_b32_e32 v14, 0
	s_and_saveexec_b64 s[2:3], s[8:9]
	s_cbranch_execnz .LBB289_1178
	s_branch .LBB289_1179
.LBB289_1197:
	s_mov_b64 s[0:1], -1
                                        ; implicit-def: $vgpr14
.LBB289_1198:
	s_mov_b64 s[2:3], 0
.LBB289_1199:
	s_and_b64 vcc, exec, s[2:3]
	s_cbranch_vccz .LBB289_1201
; %bb.1200:
	s_cmp_lg_u32 s13, 11
	s_mov_b64 s[8:9], -1
	s_cselect_b64 s[0:1], -1, 0
.LBB289_1201:
	s_and_b64 vcc, exec, s[0:1]
	s_mov_b64 s[2:3], s[24:25]
	s_cbranch_vccnz .LBB289_1262
; %bb.1202:
	s_andn2_b64 vcc, exec, s[8:9]
	s_cbranch_vccnz .LBB289_1204
.LBB289_1203:
	global_load_ubyte v1, v[16:17], off
	s_mov_b64 s[10:11], -1
	s_waitcnt vmcnt(0)
	v_cmp_ne_u16_e32 vcc, 0, v1
	s_nop 1
	v_cndmask_b32_e64 v14, 0, 1, vcc
.LBB289_1204:
	s_branch .LBB289_1139
.LBB289_1205:
	s_and_b32 s8, 0xffff, s12
	s_cmp_lt_i32 s8, 5
	s_cbranch_scc1 .LBB289_1210
; %bb.1206:
	s_cmp_lt_i32 s8, 8
	s_cbranch_scc1 .LBB289_1211
; %bb.1207:
	;; [unrolled: 3-line block ×3, first 2 shown]
	s_cmp_gt_i32 s8, 9
	s_cbranch_scc0 .LBB289_1213
; %bb.1209:
	global_load_dwordx2 v[14:15], v[16:17], off
	s_mov_b64 s[0:1], 0
	s_waitcnt vmcnt(0)
	v_cvt_i32_f64_e32 v14, v[14:15]
	s_branch .LBB289_1214
.LBB289_1210:
                                        ; implicit-def: $vgpr14
	s_branch .LBB289_1231
.LBB289_1211:
                                        ; implicit-def: $vgpr14
	s_branch .LBB289_1220
.LBB289_1212:
	s_mov_b64 s[0:1], -1
                                        ; implicit-def: $vgpr14
	s_branch .LBB289_1217
.LBB289_1213:
	s_mov_b64 s[0:1], -1
                                        ; implicit-def: $vgpr14
.LBB289_1214:
	s_andn2_b64 vcc, exec, s[0:1]
	s_cbranch_vccnz .LBB289_1216
; %bb.1215:
	global_load_dword v1, v[16:17], off
	s_waitcnt vmcnt(0)
	v_cvt_i32_f32_e32 v14, v1
.LBB289_1216:
	s_mov_b64 s[0:1], 0
.LBB289_1217:
	s_andn2_b64 vcc, exec, s[0:1]
	s_cbranch_vccnz .LBB289_1219
; %bb.1218:
	global_load_dword v1, v[16:17], off
	s_waitcnt vmcnt(0)
	v_cvt_i16_f16_e32 v14, v1
.LBB289_1219:
	s_cbranch_execnz .LBB289_1230
.LBB289_1220:
	s_cmp_lt_i32 s8, 6
	s_cbranch_scc1 .LBB289_1223
; %bb.1221:
	s_cmp_gt_i32 s8, 6
	s_cbranch_scc0 .LBB289_1224
; %bb.1222:
	global_load_dwordx2 v[14:15], v[16:17], off
	s_mov_b64 s[0:1], 0
	s_waitcnt vmcnt(0)
	v_cvt_i32_f64_e32 v14, v[14:15]
	s_branch .LBB289_1225
.LBB289_1223:
	s_mov_b64 s[0:1], -1
                                        ; implicit-def: $vgpr14
	s_branch .LBB289_1228
.LBB289_1224:
	s_mov_b64 s[0:1], -1
                                        ; implicit-def: $vgpr14
.LBB289_1225:
	s_andn2_b64 vcc, exec, s[0:1]
	s_cbranch_vccnz .LBB289_1227
; %bb.1226:
	global_load_dword v1, v[16:17], off
	s_waitcnt vmcnt(0)
	v_cvt_i32_f32_e32 v14, v1
.LBB289_1227:
	s_mov_b64 s[0:1], 0
.LBB289_1228:
	s_andn2_b64 vcc, exec, s[0:1]
	s_cbranch_vccnz .LBB289_1230
; %bb.1229:
	global_load_ushort v1, v[16:17], off
	s_waitcnt vmcnt(0)
	v_cvt_i16_f16_e32 v14, v1
.LBB289_1230:
	s_cbranch_execnz .LBB289_1249
.LBB289_1231:
	s_cmp_lt_i32 s8, 2
	s_cbranch_scc1 .LBB289_1235
; %bb.1232:
	s_cmp_lt_i32 s8, 3
	s_cbranch_scc1 .LBB289_1236
; %bb.1233:
	s_cmp_gt_i32 s8, 3
	s_cbranch_scc0 .LBB289_1237
; %bb.1234:
	global_load_dwordx2 v[14:15], v[16:17], off
	s_mov_b64 s[0:1], 0
	s_branch .LBB289_1238
.LBB289_1235:
                                        ; implicit-def: $vgpr14
	s_branch .LBB289_1244
.LBB289_1236:
	s_mov_b64 s[0:1], -1
                                        ; implicit-def: $vgpr14
	s_branch .LBB289_1241
.LBB289_1237:
	s_mov_b64 s[0:1], -1
                                        ; implicit-def: $vgpr14
.LBB289_1238:
	s_andn2_b64 vcc, exec, s[0:1]
	s_cbranch_vccnz .LBB289_1240
; %bb.1239:
	global_load_dword v14, v[16:17], off
.LBB289_1240:
	s_mov_b64 s[0:1], 0
.LBB289_1241:
	s_andn2_b64 vcc, exec, s[0:1]
	s_cbranch_vccnz .LBB289_1243
; %bb.1242:
	global_load_ushort v14, v[16:17], off
.LBB289_1243:
	s_cbranch_execnz .LBB289_1249
.LBB289_1244:
	s_cmp_gt_i32 s8, 0
	s_cbranch_scc0 .LBB289_1246
; %bb.1245:
	global_load_ubyte v14, v[16:17], off
	s_mov_b64 s[0:1], 0
	s_branch .LBB289_1247
.LBB289_1246:
	s_mov_b64 s[0:1], -1
                                        ; implicit-def: $vgpr14
.LBB289_1247:
	s_andn2_b64 vcc, exec, s[0:1]
	s_cbranch_vccnz .LBB289_1249
; %bb.1248:
	global_load_ubyte v14, v[16:17], off
.LBB289_1249:
.LBB289_1250:
	v_mov_b32_e32 v13, 0
	s_and_b32 s15, 0xffff, s12
	s_cmp_lt_i32 s15, 11
	v_lshl_add_u64 v[16:17], s[6:7], 0, v[12:13]
	s_cbranch_scc1 .LBB289_1257
; %bb.1251:
	s_cmp_gt_i32 s15, 25
	s_mov_b64 s[8:9], 0
	s_cbranch_scc0 .LBB289_1259
; %bb.1252:
	s_cmp_gt_i32 s15, 28
	s_cbranch_scc0 .LBB289_1260
; %bb.1253:
	s_cmp_gt_i32 s15, 43
	;; [unrolled: 3-line block ×3, first 2 shown]
	s_cbranch_scc0 .LBB289_1263
; %bb.1255:
	s_cmp_eq_u32 s15, 46
	s_mov_b64 s[12:13], 0
	s_cbranch_scc0 .LBB289_1266
; %bb.1256:
	global_load_dword v1, v[16:17], off
	s_mov_b64 s[0:1], 0
	s_mov_b64 s[10:11], -1
	s_waitcnt vmcnt(0)
	v_lshlrev_b32_e32 v1, 16, v1
	v_cvt_i32_f32_e32 v12, v1
	s_branch .LBB289_1267
.LBB289_1257:
	s_mov_b64 s[10:11], 0
                                        ; implicit-def: $vgpr12
	s_cbranch_execnz .LBB289_1328
.LBB289_1258:
	s_andn2_b64 vcc, exec, s[10:11]
	s_cbranch_vccnz .LBB289_2059
	s_branch .LBB289_1375
.LBB289_1259:
	s_mov_b64 s[10:11], 0
	s_mov_b64 s[0:1], 0
                                        ; implicit-def: $vgpr12
	s_cbranch_execnz .LBB289_1294
	s_branch .LBB289_1324
.LBB289_1260:
	s_mov_b64 s[12:13], -1
	s_mov_b64 s[10:11], 0
	s_mov_b64 s[0:1], 0
                                        ; implicit-def: $vgpr12
	s_branch .LBB289_1277
.LBB289_1261:
	s_mov_b64 s[12:13], -1
	s_mov_b64 s[10:11], 0
	s_mov_b64 s[0:1], 0
                                        ; implicit-def: $vgpr12
	s_branch .LBB289_1272
.LBB289_1262:
	s_or_b64 s[2:3], s[24:25], exec
	s_trap 2
	s_cbranch_execz .LBB289_1203
	s_branch .LBB289_1204
.LBB289_1263:
	s_mov_b64 s[12:13], -1
	s_mov_b64 s[10:11], 0
	s_mov_b64 s[0:1], 0
                                        ; implicit-def: $vgpr12
	s_branch .LBB289_1267
.LBB289_1264:
	s_andn2_saveexec_b64 s[14:15], s[14:15]
	s_cbranch_execz .LBB289_999
.LBB289_1265:
	s_mov_b32 s18, 0x42800000
	v_add_f32_e64 v1, |v0|, s18
	v_and_b32_e32 v1, 0xff, v1
	v_cmp_ne_u32_e32 vcc, 0, v1
	s_andn2_b64 s[12:13], s[12:13], exec
	s_and_b64 s[18:19], vcc, exec
	s_or_b64 s[12:13], s[12:13], s[18:19]
	s_or_b64 exec, exec, s[14:15]
	v_mov_b32_e32 v4, 0
	s_and_saveexec_b64 s[14:15], s[12:13]
	s_cbranch_execnz .LBB289_1000
	s_branch .LBB289_1001
.LBB289_1266:
	s_mov_b64 s[0:1], -1
                                        ; implicit-def: $vgpr12
	s_mov_b64 s[10:11], 0
.LBB289_1267:
	s_and_b64 vcc, exec, s[12:13]
	s_cbranch_vccz .LBB289_1271
; %bb.1268:
	s_cmp_eq_u32 s15, 44
	s_cbranch_scc0 .LBB289_1270
; %bb.1269:
	global_load_ubyte v1, v[16:17], off
	s_mov_b64 s[0:1], 0
	s_mov_b64 s[10:11], -1
	s_waitcnt vmcnt(0)
	v_lshlrev_b32_e32 v3, 23, v1
	v_cvt_i32_f32_e32 v3, v3
	v_cmp_ne_u32_e32 vcc, 0, v1
	s_nop 1
	v_cndmask_b32_e32 v12, 0, v3, vcc
	s_branch .LBB289_1271
.LBB289_1270:
	s_mov_b64 s[0:1], -1
                                        ; implicit-def: $vgpr12
.LBB289_1271:
	s_mov_b64 s[12:13], 0
.LBB289_1272:
	s_and_b64 vcc, exec, s[12:13]
	s_cbranch_vccz .LBB289_1276
; %bb.1273:
	s_cmp_eq_u32 s15, 29
	s_cbranch_scc0 .LBB289_1275
; %bb.1274:
	global_load_dwordx2 v[12:13], v[16:17], off
	s_mov_b64 s[0:1], 0
	s_mov_b64 s[10:11], -1
	s_branch .LBB289_1276
.LBB289_1275:
	s_mov_b64 s[0:1], -1
                                        ; implicit-def: $vgpr12
.LBB289_1276:
	s_mov_b64 s[12:13], 0
.LBB289_1277:
	s_and_b64 vcc, exec, s[12:13]
	s_cbranch_vccz .LBB289_1293
; %bb.1278:
	s_cmp_lt_i32 s15, 27
	s_cbranch_scc1 .LBB289_1281
; %bb.1279:
	s_cmp_gt_i32 s15, 27
	s_cbranch_scc0 .LBB289_1282
; %bb.1280:
	global_load_dword v12, v[16:17], off
	s_mov_b64 s[10:11], 0
	s_branch .LBB289_1283
.LBB289_1281:
	s_mov_b64 s[10:11], -1
                                        ; implicit-def: $vgpr12
	s_branch .LBB289_1286
.LBB289_1282:
	s_mov_b64 s[10:11], -1
                                        ; implicit-def: $vgpr12
.LBB289_1283:
	s_andn2_b64 vcc, exec, s[10:11]
	s_cbranch_vccnz .LBB289_1285
; %bb.1284:
	global_load_ushort v12, v[16:17], off
.LBB289_1285:
	s_mov_b64 s[10:11], 0
.LBB289_1286:
	s_andn2_b64 vcc, exec, s[10:11]
	s_cbranch_vccnz .LBB289_1292
; %bb.1287:
	global_load_ubyte v1, v[16:17], off
	s_movk_i32 s10, 0x7f
	s_mov_b64 s[12:13], 0
	s_waitcnt vmcnt(0)
	v_cmp_lt_i16_e32 vcc, s10, v1
	s_and_saveexec_b64 s[10:11], vcc
	s_xor_b64 s[10:11], exec, s[10:11]
	s_cbranch_execz .LBB289_1303
; %bb.1288:
	s_movk_i32 s12, 0x80
	v_cmp_ne_u16_e32 vcc, s12, v1
	s_and_b64 s[12:13], vcc, exec
	s_andn2_saveexec_b64 s[10:11], s[10:11]
	s_cbranch_execnz .LBB289_1304
.LBB289_1289:
	s_or_b64 exec, exec, s[10:11]
	v_mov_b32_e32 v12, 0
	s_and_saveexec_b64 s[10:11], s[12:13]
	s_cbranch_execz .LBB289_1291
.LBB289_1290:
	v_lshlrev_b32_e32 v3, 24, v1
	v_and_b32_e32 v1, 0xffff, v1
	v_and_b32_e32 v5, 7, v1
	v_ffbh_u32_e32 v9, v5
	v_min_u32_e32 v9, 32, v9
	v_subrev_u32_e32 v11, 28, v9
	v_bfe_u32 v7, v1, 3, 4
	v_lshlrev_b32_e32 v1, v11, v1
	v_sub_u32_e32 v9, 29, v9
	v_and_b32_e32 v1, 7, v1
	v_cmp_eq_u32_e32 vcc, 0, v7
	v_and_b32_e32 v3, 0x80000000, v3
	s_nop 0
	v_cndmask_b32_e32 v7, v7, v9, vcc
	v_cndmask_b32_e32 v1, v5, v1, vcc
	v_mov_b32_e32 v5, 0x3b800000
	v_lshlrev_b32_e32 v1, 20, v1
	v_lshl_add_u32 v5, v7, 23, v5
	v_or3_b32 v1, v3, v5, v1
	v_cvt_i32_f32_e32 v12, v1
.LBB289_1291:
	s_or_b64 exec, exec, s[10:11]
.LBB289_1292:
	s_mov_b64 s[10:11], -1
.LBB289_1293:
	s_branch .LBB289_1324
.LBB289_1294:
	s_cmp_gt_i32 s15, 22
	s_cbranch_scc0 .LBB289_1302
; %bb.1295:
	s_cmp_lt_i32 s15, 24
	s_cbranch_scc1 .LBB289_1305
; %bb.1296:
	s_cmp_gt_i32 s15, 24
	s_cbranch_scc0 .LBB289_1306
; %bb.1297:
	global_load_ubyte v1, v[16:17], off
	s_movk_i32 s8, 0x7f
	s_mov_b64 s[10:11], 0
	s_waitcnt vmcnt(0)
	v_cmp_lt_i16_e32 vcc, s8, v1
	s_and_saveexec_b64 s[8:9], vcc
	s_xor_b64 s[8:9], exec, s[8:9]
	s_cbranch_execz .LBB289_1318
; %bb.1298:
	s_movk_i32 s10, 0x80
	v_cmp_ne_u16_e32 vcc, s10, v1
	s_and_b64 s[10:11], vcc, exec
	s_andn2_saveexec_b64 s[8:9], s[8:9]
	s_cbranch_execnz .LBB289_1319
.LBB289_1299:
	s_or_b64 exec, exec, s[8:9]
	v_mov_b32_e32 v12, 0
	s_and_saveexec_b64 s[8:9], s[10:11]
	s_cbranch_execz .LBB289_1301
.LBB289_1300:
	v_lshlrev_b32_e32 v3, 24, v1
	v_and_b32_e32 v1, 0xffff, v1
	v_and_b32_e32 v5, 3, v1
	v_ffbh_u32_e32 v9, v5
	v_min_u32_e32 v9, 32, v9
	v_subrev_u32_e32 v11, 29, v9
	v_bfe_u32 v7, v1, 2, 5
	v_lshlrev_b32_e32 v1, v11, v1
	v_sub_u32_e32 v9, 30, v9
	v_and_b32_e32 v1, 3, v1
	v_cmp_eq_u32_e32 vcc, 0, v7
	v_and_b32_e32 v3, 0x80000000, v3
	s_nop 0
	v_cndmask_b32_e32 v7, v7, v9, vcc
	v_cndmask_b32_e32 v1, v5, v1, vcc
	v_mov_b32_e32 v5, 0x37800000
	v_lshlrev_b32_e32 v1, 21, v1
	v_lshl_add_u32 v5, v7, 23, v5
	v_or3_b32 v1, v3, v5, v1
	v_cvt_i32_f32_e32 v12, v1
.LBB289_1301:
	s_or_b64 exec, exec, s[8:9]
	s_mov_b64 s[8:9], 0
	s_branch .LBB289_1307
.LBB289_1302:
	s_mov_b64 s[8:9], -1
                                        ; implicit-def: $vgpr12
	s_branch .LBB289_1313
.LBB289_1303:
	s_andn2_saveexec_b64 s[10:11], s[10:11]
	s_cbranch_execz .LBB289_1289
.LBB289_1304:
	v_cmp_ne_u16_e32 vcc, 0, v1
	s_andn2_b64 s[12:13], s[12:13], exec
	s_and_b64 s[16:17], vcc, exec
	s_or_b64 s[12:13], s[12:13], s[16:17]
	s_or_b64 exec, exec, s[10:11]
	v_mov_b32_e32 v12, 0
	s_and_saveexec_b64 s[10:11], s[12:13]
	s_cbranch_execnz .LBB289_1290
	s_branch .LBB289_1291
.LBB289_1305:
	s_mov_b64 s[8:9], -1
                                        ; implicit-def: $vgpr12
	s_branch .LBB289_1310
.LBB289_1306:
	s_mov_b64 s[8:9], -1
                                        ; implicit-def: $vgpr12
.LBB289_1307:
	s_and_b64 vcc, exec, s[8:9]
	s_cbranch_vccz .LBB289_1309
; %bb.1308:
	global_load_ubyte v1, v[16:17], off
	s_mov_b32 s8, 0x7f800000
	s_waitcnt vmcnt(0)
	v_lshlrev_b32_e32 v1, 24, v1
	v_and_b32_e32 v3, 0x7f000000, v1
	v_ffbh_u32_e32 v5, v3
	v_min_u32_e32 v5, 32, v5
	v_sub_u32_e64 v5, v5, 4 clamp
	v_lshlrev_b32_e32 v9, v5, v3
	v_lshlrev_b32_e32 v5, 23, v5
	v_lshrrev_b32_e32 v9, 4, v9
	v_add_u32_e32 v7, 0x1000000, v3
	v_sub_u32_e32 v5, v9, v5
	v_ashrrev_i32_e32 v7, 8, v7
	v_add_u32_e32 v5, 0x3c000000, v5
	v_and_or_b32 v5, v7, s8, v5
	v_cmp_ne_u32_e32 vcc, 0, v3
	s_brev_b32 s8, 1
	s_nop 0
	v_cndmask_b32_e32 v3, 0, v5, vcc
	v_and_or_b32 v1, v1, s8, v3
	v_cvt_i32_f32_e32 v12, v1
.LBB289_1309:
	s_mov_b64 s[8:9], 0
.LBB289_1310:
	s_andn2_b64 vcc, exec, s[8:9]
	s_cbranch_vccnz .LBB289_1312
; %bb.1311:
	global_load_ubyte v1, v[16:17], off
	s_movk_i32 s8, 0x7f00
	s_brev_b32 s9, 16
	s_waitcnt vmcnt(0)
	v_lshlrev_b16_e32 v3, 8, v1
	v_lshlrev_b32_e32 v1, 25, v1
	v_lshrrev_b32_e32 v5, 4, v1
	v_and_or_b32 v7, v3, s8, 0.5
	v_or_b32_e32 v5, 0x70000000, v5
	v_add_f32_e32 v7, -0.5, v7
	v_mul_f32_e32 v5, 0x7800000, v5
	v_cmp_gt_u32_e32 vcc, s9, v1
	v_bfe_i32 v3, v3, 0, 16
	s_brev_b32 s8, 1
	v_cndmask_b32_e32 v1, v5, v7, vcc
	v_and_or_b32 v1, v3, s8, v1
	v_cvt_i32_f32_e32 v12, v1
.LBB289_1312:
	s_mov_b64 s[8:9], 0
	s_mov_b64 s[10:11], -1
.LBB289_1313:
	s_andn2_b64 vcc, exec, s[8:9]
	s_mov_b64 s[8:9], 0
	s_cbranch_vccnz .LBB289_1324
; %bb.1314:
	s_cmp_gt_i32 s15, 14
	s_cbranch_scc0 .LBB289_1317
; %bb.1315:
	s_cmp_eq_u32 s15, 15
	s_cbranch_scc0 .LBB289_1320
; %bb.1316:
	global_load_ushort v1, v[16:17], off
	s_mov_b64 s[0:1], 0
	s_mov_b64 s[10:11], -1
	s_waitcnt vmcnt(0)
	v_lshlrev_b32_e32 v1, 16, v1
	v_cvt_i32_f32_e32 v12, v1
	s_branch .LBB289_1321
.LBB289_1317:
	s_mov_b64 s[12:13], -1
                                        ; implicit-def: $vgpr12
	s_branch .LBB289_1322
.LBB289_1318:
	s_andn2_saveexec_b64 s[8:9], s[8:9]
	s_cbranch_execz .LBB289_1299
.LBB289_1319:
	v_cmp_ne_u16_e32 vcc, 0, v1
	s_andn2_b64 s[10:11], s[10:11], exec
	s_and_b64 s[12:13], vcc, exec
	s_or_b64 s[10:11], s[10:11], s[12:13]
	s_or_b64 exec, exec, s[8:9]
	v_mov_b32_e32 v12, 0
	s_and_saveexec_b64 s[8:9], s[10:11]
	s_cbranch_execnz .LBB289_1300
	s_branch .LBB289_1301
.LBB289_1320:
	s_mov_b64 s[0:1], -1
                                        ; implicit-def: $vgpr12
.LBB289_1321:
	s_mov_b64 s[12:13], 0
.LBB289_1322:
	s_and_b64 vcc, exec, s[12:13]
	s_cbranch_vccz .LBB289_1324
; %bb.1323:
	s_cmp_lg_u32 s15, 11
	s_mov_b64 s[8:9], -1
	s_cselect_b64 s[0:1], -1, 0
.LBB289_1324:
	s_and_b64 vcc, exec, s[0:1]
	s_cbranch_vccnz .LBB289_1387
; %bb.1325:
	s_andn2_b64 vcc, exec, s[8:9]
	s_cbranch_vccnz .LBB289_1327
.LBB289_1326:
	global_load_ubyte v1, v[16:17], off
	s_mov_b64 s[10:11], -1
	s_waitcnt vmcnt(0)
	v_cmp_ne_u16_e32 vcc, 0, v1
	s_nop 1
	v_cndmask_b32_e64 v12, 0, 1, vcc
.LBB289_1327:
	s_branch .LBB289_1258
.LBB289_1328:
	s_cmp_lt_i32 s15, 5
	s_cbranch_scc1 .LBB289_1333
; %bb.1329:
	s_cmp_lt_i32 s15, 8
	s_cbranch_scc1 .LBB289_1334
; %bb.1330:
	;; [unrolled: 3-line block ×3, first 2 shown]
	s_cmp_gt_i32 s15, 9
	s_cbranch_scc0 .LBB289_1336
; %bb.1332:
	global_load_dwordx2 v[12:13], v[16:17], off
	s_mov_b64 s[0:1], 0
	s_waitcnt vmcnt(0)
	v_cvt_i32_f64_e32 v12, v[12:13]
	s_branch .LBB289_1337
.LBB289_1333:
                                        ; implicit-def: $vgpr12
	s_branch .LBB289_1355
.LBB289_1334:
	s_mov_b64 s[0:1], -1
                                        ; implicit-def: $vgpr12
	s_branch .LBB289_1343
.LBB289_1335:
	s_mov_b64 s[0:1], -1
                                        ; implicit-def: $vgpr12
	s_branch .LBB289_1340
.LBB289_1336:
	s_mov_b64 s[0:1], -1
                                        ; implicit-def: $vgpr12
.LBB289_1337:
	s_andn2_b64 vcc, exec, s[0:1]
	s_cbranch_vccnz .LBB289_1339
; %bb.1338:
	global_load_dword v1, v[16:17], off
	s_waitcnt vmcnt(0)
	v_cvt_i32_f32_e32 v12, v1
.LBB289_1339:
	s_mov_b64 s[0:1], 0
.LBB289_1340:
	s_andn2_b64 vcc, exec, s[0:1]
	s_cbranch_vccnz .LBB289_1342
; %bb.1341:
	global_load_dword v1, v[16:17], off
	s_waitcnt vmcnt(0)
	v_cvt_i16_f16_e32 v12, v1
.LBB289_1342:
	s_mov_b64 s[0:1], 0
.LBB289_1343:
	s_andn2_b64 vcc, exec, s[0:1]
	s_cbranch_vccnz .LBB289_1354
; %bb.1344:
	s_cmp_lt_i32 s15, 6
	s_cbranch_scc1 .LBB289_1347
; %bb.1345:
	s_cmp_gt_i32 s15, 6
	s_cbranch_scc0 .LBB289_1348
; %bb.1346:
	global_load_dwordx2 v[12:13], v[16:17], off
	s_mov_b64 s[0:1], 0
	s_waitcnt vmcnt(0)
	v_cvt_i32_f64_e32 v12, v[12:13]
	s_branch .LBB289_1349
.LBB289_1347:
	s_mov_b64 s[0:1], -1
                                        ; implicit-def: $vgpr12
	s_branch .LBB289_1352
.LBB289_1348:
	s_mov_b64 s[0:1], -1
                                        ; implicit-def: $vgpr12
.LBB289_1349:
	s_andn2_b64 vcc, exec, s[0:1]
	s_cbranch_vccnz .LBB289_1351
; %bb.1350:
	global_load_dword v1, v[16:17], off
	s_waitcnt vmcnt(0)
	v_cvt_i32_f32_e32 v12, v1
.LBB289_1351:
	s_mov_b64 s[0:1], 0
.LBB289_1352:
	s_andn2_b64 vcc, exec, s[0:1]
	s_cbranch_vccnz .LBB289_1354
; %bb.1353:
	global_load_ushort v1, v[16:17], off
	s_waitcnt vmcnt(0)
	v_cvt_i16_f16_e32 v12, v1
.LBB289_1354:
	s_cbranch_execnz .LBB289_1374
.LBB289_1355:
	s_cmp_lt_i32 s15, 2
	s_cbranch_scc1 .LBB289_1359
; %bb.1356:
	s_cmp_lt_i32 s15, 3
	s_cbranch_scc1 .LBB289_1360
; %bb.1357:
	s_cmp_gt_i32 s15, 3
	s_cbranch_scc0 .LBB289_1361
; %bb.1358:
	global_load_dwordx2 v[12:13], v[16:17], off
	s_mov_b64 s[0:1], 0
	s_branch .LBB289_1362
.LBB289_1359:
	s_mov_b64 s[0:1], -1
                                        ; implicit-def: $vgpr12
	s_branch .LBB289_1368
.LBB289_1360:
	s_mov_b64 s[0:1], -1
                                        ; implicit-def: $vgpr12
	s_branch .LBB289_1365
.LBB289_1361:
	s_mov_b64 s[0:1], -1
                                        ; implicit-def: $vgpr12
.LBB289_1362:
	s_andn2_b64 vcc, exec, s[0:1]
	s_cbranch_vccnz .LBB289_1364
; %bb.1363:
	global_load_dword v12, v[16:17], off
.LBB289_1364:
	s_mov_b64 s[0:1], 0
.LBB289_1365:
	s_andn2_b64 vcc, exec, s[0:1]
	s_cbranch_vccnz .LBB289_1367
; %bb.1366:
	global_load_ushort v12, v[16:17], off
.LBB289_1367:
	s_mov_b64 s[0:1], 0
.LBB289_1368:
	s_andn2_b64 vcc, exec, s[0:1]
	s_cbranch_vccnz .LBB289_1374
; %bb.1369:
	s_cmp_gt_i32 s15, 0
	s_cbranch_scc0 .LBB289_1371
; %bb.1370:
	global_load_ubyte v12, v[16:17], off
	s_mov_b64 s[0:1], 0
	s_branch .LBB289_1372
.LBB289_1371:
	s_mov_b64 s[0:1], -1
                                        ; implicit-def: $vgpr12
.LBB289_1372:
	s_andn2_b64 vcc, exec, s[0:1]
	s_cbranch_vccnz .LBB289_1374
; %bb.1373:
	global_load_ubyte v12, v[16:17], off
.LBB289_1374:
.LBB289_1375:
	v_mov_b32_e32 v11, 0
	s_cmp_lt_i32 s15, 11
	v_lshl_add_u64 v[16:17], s[6:7], 0, v[10:11]
	s_cbranch_scc1 .LBB289_1382
; %bb.1376:
	s_cmp_gt_i32 s15, 25
	s_mov_b64 s[8:9], 0
	s_cbranch_scc0 .LBB289_1384
; %bb.1377:
	s_cmp_gt_i32 s15, 28
	s_cbranch_scc0 .LBB289_1385
; %bb.1378:
	s_cmp_gt_i32 s15, 43
	;; [unrolled: 3-line block ×3, first 2 shown]
	s_cbranch_scc0 .LBB289_1388
; %bb.1380:
	s_cmp_eq_u32 s15, 46
	s_mov_b64 s[12:13], 0
	s_cbranch_scc0 .LBB289_1389
; %bb.1381:
	global_load_dword v1, v[16:17], off
	s_mov_b64 s[0:1], 0
	s_mov_b64 s[10:11], -1
	s_waitcnt vmcnt(0)
	v_lshlrev_b32_e32 v1, 16, v1
	v_cvt_i32_f32_e32 v10, v1
	s_branch .LBB289_1390
.LBB289_1382:
	s_mov_b64 s[10:11], 0
                                        ; implicit-def: $vgpr10
	s_cbranch_execnz .LBB289_1452
.LBB289_1383:
	s_andn2_b64 vcc, exec, s[10:11]
	s_cbranch_vccnz .LBB289_2059
	s_branch .LBB289_1500
.LBB289_1384:
	s_mov_b64 s[12:13], -1
	s_mov_b64 s[10:11], 0
	s_mov_b64 s[0:1], 0
                                        ; implicit-def: $vgpr10
	s_branch .LBB289_1417
.LBB289_1385:
	s_mov_b64 s[12:13], -1
	s_mov_b64 s[10:11], 0
	s_mov_b64 s[0:1], 0
                                        ; implicit-def: $vgpr10
	s_branch .LBB289_1400
.LBB289_1386:
	s_mov_b64 s[12:13], -1
	s_mov_b64 s[10:11], 0
	s_mov_b64 s[0:1], 0
                                        ; implicit-def: $vgpr10
	s_branch .LBB289_1395
.LBB289_1387:
	s_trap 2
	s_or_b64 s[2:3], s[2:3], exec
	s_cbranch_execz .LBB289_1326
	s_branch .LBB289_1327
.LBB289_1388:
	s_mov_b64 s[12:13], -1
	s_mov_b64 s[10:11], 0
	s_mov_b64 s[0:1], 0
                                        ; implicit-def: $vgpr10
	s_branch .LBB289_1390
.LBB289_1389:
	s_mov_b64 s[0:1], -1
                                        ; implicit-def: $vgpr10
	s_mov_b64 s[10:11], 0
.LBB289_1390:
	s_and_b64 vcc, exec, s[12:13]
	s_cbranch_vccz .LBB289_1394
; %bb.1391:
	s_cmp_eq_u32 s15, 44
	s_cbranch_scc0 .LBB289_1393
; %bb.1392:
	global_load_ubyte v1, v[16:17], off
	s_mov_b64 s[0:1], 0
	s_mov_b64 s[10:11], -1
	s_waitcnt vmcnt(0)
	v_lshlrev_b32_e32 v3, 23, v1
	v_cvt_i32_f32_e32 v3, v3
	v_cmp_ne_u32_e32 vcc, 0, v1
	s_nop 1
	v_cndmask_b32_e32 v10, 0, v3, vcc
	s_branch .LBB289_1394
.LBB289_1393:
	s_mov_b64 s[0:1], -1
                                        ; implicit-def: $vgpr10
.LBB289_1394:
	s_mov_b64 s[12:13], 0
.LBB289_1395:
	s_and_b64 vcc, exec, s[12:13]
	s_cbranch_vccz .LBB289_1399
; %bb.1396:
	s_cmp_eq_u32 s15, 29
	s_cbranch_scc0 .LBB289_1398
; %bb.1397:
	global_load_dwordx2 v[10:11], v[16:17], off
	s_mov_b64 s[0:1], 0
	s_mov_b64 s[10:11], -1
	s_branch .LBB289_1399
.LBB289_1398:
	s_mov_b64 s[0:1], -1
                                        ; implicit-def: $vgpr10
.LBB289_1399:
	s_mov_b64 s[12:13], 0
.LBB289_1400:
	s_and_b64 vcc, exec, s[12:13]
	s_cbranch_vccz .LBB289_1416
; %bb.1401:
	s_cmp_lt_i32 s15, 27
	s_cbranch_scc1 .LBB289_1404
; %bb.1402:
	s_cmp_gt_i32 s15, 27
	s_cbranch_scc0 .LBB289_1405
; %bb.1403:
	global_load_dword v10, v[16:17], off
	s_mov_b64 s[10:11], 0
	s_branch .LBB289_1406
.LBB289_1404:
	s_mov_b64 s[10:11], -1
                                        ; implicit-def: $vgpr10
	s_branch .LBB289_1409
.LBB289_1405:
	s_mov_b64 s[10:11], -1
                                        ; implicit-def: $vgpr10
.LBB289_1406:
	s_andn2_b64 vcc, exec, s[10:11]
	s_cbranch_vccnz .LBB289_1408
; %bb.1407:
	global_load_ushort v10, v[16:17], off
.LBB289_1408:
	s_mov_b64 s[10:11], 0
.LBB289_1409:
	s_andn2_b64 vcc, exec, s[10:11]
	s_cbranch_vccnz .LBB289_1415
; %bb.1410:
	global_load_ubyte v1, v[16:17], off
	s_movk_i32 s10, 0x7f
	s_mov_b64 s[12:13], 0
	s_waitcnt vmcnt(0)
	v_cmp_lt_i16_e32 vcc, s10, v1
	s_and_saveexec_b64 s[10:11], vcc
	s_xor_b64 s[10:11], exec, s[10:11]
	s_cbranch_execz .LBB289_1427
; %bb.1411:
	s_movk_i32 s12, 0x80
	v_cmp_ne_u16_e32 vcc, s12, v1
	s_and_b64 s[12:13], vcc, exec
	s_andn2_saveexec_b64 s[10:11], s[10:11]
	s_cbranch_execnz .LBB289_1428
.LBB289_1412:
	s_or_b64 exec, exec, s[10:11]
	v_mov_b32_e32 v10, 0
	s_and_saveexec_b64 s[10:11], s[12:13]
	s_cbranch_execz .LBB289_1414
.LBB289_1413:
	v_lshlrev_b32_e32 v3, 24, v1
	v_and_b32_e32 v1, 0xffff, v1
	v_and_b32_e32 v5, 7, v1
	v_ffbh_u32_e32 v9, v5
	v_min_u32_e32 v9, 32, v9
	v_subrev_u32_e32 v10, 28, v9
	v_bfe_u32 v7, v1, 3, 4
	v_lshlrev_b32_e32 v1, v10, v1
	v_sub_u32_e32 v9, 29, v9
	v_and_b32_e32 v1, 7, v1
	v_cmp_eq_u32_e32 vcc, 0, v7
	v_and_b32_e32 v3, 0x80000000, v3
	s_nop 0
	v_cndmask_b32_e32 v7, v7, v9, vcc
	v_cndmask_b32_e32 v1, v5, v1, vcc
	v_mov_b32_e32 v5, 0x3b800000
	v_lshlrev_b32_e32 v1, 20, v1
	v_lshl_add_u32 v5, v7, 23, v5
	v_or3_b32 v1, v3, v5, v1
	v_cvt_i32_f32_e32 v10, v1
.LBB289_1414:
	s_or_b64 exec, exec, s[10:11]
.LBB289_1415:
	s_mov_b64 s[10:11], -1
.LBB289_1416:
	s_mov_b64 s[12:13], 0
.LBB289_1417:
	s_and_b64 vcc, exec, s[12:13]
	s_cbranch_vccz .LBB289_1448
; %bb.1418:
	s_cmp_gt_i32 s15, 22
	s_cbranch_scc0 .LBB289_1426
; %bb.1419:
	s_cmp_lt_i32 s15, 24
	s_cbranch_scc1 .LBB289_1429
; %bb.1420:
	s_cmp_gt_i32 s15, 24
	s_cbranch_scc0 .LBB289_1430
; %bb.1421:
	global_load_ubyte v1, v[16:17], off
	s_movk_i32 s8, 0x7f
	s_mov_b64 s[10:11], 0
	s_waitcnt vmcnt(0)
	v_cmp_lt_i16_e32 vcc, s8, v1
	s_and_saveexec_b64 s[8:9], vcc
	s_xor_b64 s[8:9], exec, s[8:9]
	s_cbranch_execz .LBB289_1442
; %bb.1422:
	s_movk_i32 s10, 0x80
	v_cmp_ne_u16_e32 vcc, s10, v1
	s_and_b64 s[10:11], vcc, exec
	s_andn2_saveexec_b64 s[8:9], s[8:9]
	s_cbranch_execnz .LBB289_1443
.LBB289_1423:
	s_or_b64 exec, exec, s[8:9]
	v_mov_b32_e32 v10, 0
	s_and_saveexec_b64 s[8:9], s[10:11]
	s_cbranch_execz .LBB289_1425
.LBB289_1424:
	v_lshlrev_b32_e32 v3, 24, v1
	v_and_b32_e32 v1, 0xffff, v1
	v_and_b32_e32 v5, 3, v1
	v_ffbh_u32_e32 v9, v5
	v_min_u32_e32 v9, 32, v9
	v_subrev_u32_e32 v10, 29, v9
	v_bfe_u32 v7, v1, 2, 5
	v_lshlrev_b32_e32 v1, v10, v1
	v_sub_u32_e32 v9, 30, v9
	v_and_b32_e32 v1, 3, v1
	v_cmp_eq_u32_e32 vcc, 0, v7
	v_and_b32_e32 v3, 0x80000000, v3
	s_nop 0
	v_cndmask_b32_e32 v7, v7, v9, vcc
	v_cndmask_b32_e32 v1, v5, v1, vcc
	v_mov_b32_e32 v5, 0x37800000
	v_lshlrev_b32_e32 v1, 21, v1
	v_lshl_add_u32 v5, v7, 23, v5
	v_or3_b32 v1, v3, v5, v1
	v_cvt_i32_f32_e32 v10, v1
.LBB289_1425:
	s_or_b64 exec, exec, s[8:9]
	s_mov_b64 s[8:9], 0
	s_branch .LBB289_1431
.LBB289_1426:
	s_mov_b64 s[8:9], -1
                                        ; implicit-def: $vgpr10
	s_branch .LBB289_1437
.LBB289_1427:
	s_andn2_saveexec_b64 s[10:11], s[10:11]
	s_cbranch_execz .LBB289_1412
.LBB289_1428:
	v_cmp_ne_u16_e32 vcc, 0, v1
	s_andn2_b64 s[12:13], s[12:13], exec
	s_and_b64 s[16:17], vcc, exec
	s_or_b64 s[12:13], s[12:13], s[16:17]
	s_or_b64 exec, exec, s[10:11]
	v_mov_b32_e32 v10, 0
	s_and_saveexec_b64 s[10:11], s[12:13]
	s_cbranch_execnz .LBB289_1413
	s_branch .LBB289_1414
.LBB289_1429:
	s_mov_b64 s[8:9], -1
                                        ; implicit-def: $vgpr10
	s_branch .LBB289_1434
.LBB289_1430:
	s_mov_b64 s[8:9], -1
                                        ; implicit-def: $vgpr10
.LBB289_1431:
	s_and_b64 vcc, exec, s[8:9]
	s_cbranch_vccz .LBB289_1433
; %bb.1432:
	global_load_ubyte v1, v[16:17], off
	s_mov_b32 s8, 0x7f800000
	s_waitcnt vmcnt(0)
	v_lshlrev_b32_e32 v1, 24, v1
	v_and_b32_e32 v3, 0x7f000000, v1
	v_ffbh_u32_e32 v5, v3
	v_min_u32_e32 v5, 32, v5
	v_sub_u32_e64 v5, v5, 4 clamp
	v_lshlrev_b32_e32 v9, v5, v3
	v_lshlrev_b32_e32 v5, 23, v5
	v_lshrrev_b32_e32 v9, 4, v9
	v_add_u32_e32 v7, 0x1000000, v3
	v_sub_u32_e32 v5, v9, v5
	v_ashrrev_i32_e32 v7, 8, v7
	v_add_u32_e32 v5, 0x3c000000, v5
	v_and_or_b32 v5, v7, s8, v5
	v_cmp_ne_u32_e32 vcc, 0, v3
	s_brev_b32 s8, 1
	s_nop 0
	v_cndmask_b32_e32 v3, 0, v5, vcc
	v_and_or_b32 v1, v1, s8, v3
	v_cvt_i32_f32_e32 v10, v1
.LBB289_1433:
	s_mov_b64 s[8:9], 0
.LBB289_1434:
	s_andn2_b64 vcc, exec, s[8:9]
	s_cbranch_vccnz .LBB289_1436
; %bb.1435:
	global_load_ubyte v1, v[16:17], off
	s_movk_i32 s8, 0x7f00
	s_brev_b32 s9, 16
	s_waitcnt vmcnt(0)
	v_lshlrev_b16_e32 v3, 8, v1
	v_lshlrev_b32_e32 v1, 25, v1
	v_lshrrev_b32_e32 v5, 4, v1
	v_and_or_b32 v7, v3, s8, 0.5
	v_or_b32_e32 v5, 0x70000000, v5
	v_add_f32_e32 v7, -0.5, v7
	v_mul_f32_e32 v5, 0x7800000, v5
	v_cmp_gt_u32_e32 vcc, s9, v1
	v_bfe_i32 v3, v3, 0, 16
	s_brev_b32 s8, 1
	v_cndmask_b32_e32 v1, v5, v7, vcc
	v_and_or_b32 v1, v3, s8, v1
	v_cvt_i32_f32_e32 v10, v1
.LBB289_1436:
	s_mov_b64 s[8:9], 0
	s_mov_b64 s[10:11], -1
.LBB289_1437:
	s_andn2_b64 vcc, exec, s[8:9]
	s_mov_b64 s[8:9], 0
	s_cbranch_vccnz .LBB289_1448
; %bb.1438:
	s_cmp_gt_i32 s15, 14
	s_cbranch_scc0 .LBB289_1441
; %bb.1439:
	s_cmp_eq_u32 s15, 15
	s_cbranch_scc0 .LBB289_1444
; %bb.1440:
	global_load_ushort v1, v[16:17], off
	s_mov_b64 s[0:1], 0
	s_mov_b64 s[10:11], -1
	s_waitcnt vmcnt(0)
	v_lshlrev_b32_e32 v1, 16, v1
	v_cvt_i32_f32_e32 v10, v1
	s_branch .LBB289_1445
.LBB289_1441:
	s_mov_b64 s[12:13], -1
                                        ; implicit-def: $vgpr10
	s_branch .LBB289_1446
.LBB289_1442:
	s_andn2_saveexec_b64 s[8:9], s[8:9]
	s_cbranch_execz .LBB289_1423
.LBB289_1443:
	v_cmp_ne_u16_e32 vcc, 0, v1
	s_andn2_b64 s[10:11], s[10:11], exec
	s_and_b64 s[12:13], vcc, exec
	s_or_b64 s[10:11], s[10:11], s[12:13]
	s_or_b64 exec, exec, s[8:9]
	v_mov_b32_e32 v10, 0
	s_and_saveexec_b64 s[8:9], s[10:11]
	s_cbranch_execnz .LBB289_1424
	s_branch .LBB289_1425
.LBB289_1444:
	s_mov_b64 s[0:1], -1
                                        ; implicit-def: $vgpr10
.LBB289_1445:
	s_mov_b64 s[12:13], 0
.LBB289_1446:
	s_and_b64 vcc, exec, s[12:13]
	s_cbranch_vccz .LBB289_1448
; %bb.1447:
	s_cmp_lg_u32 s15, 11
	s_mov_b64 s[8:9], -1
	s_cselect_b64 s[0:1], -1, 0
.LBB289_1448:
	s_and_b64 vcc, exec, s[0:1]
	s_cbranch_vccnz .LBB289_1511
; %bb.1449:
	s_andn2_b64 vcc, exec, s[8:9]
	s_cbranch_vccnz .LBB289_1451
.LBB289_1450:
	global_load_ubyte v1, v[16:17], off
	s_mov_b64 s[10:11], -1
	s_waitcnt vmcnt(0)
	v_cmp_ne_u16_e32 vcc, 0, v1
	s_nop 1
	v_cndmask_b32_e64 v10, 0, 1, vcc
.LBB289_1451:
	s_branch .LBB289_1383
.LBB289_1452:
	s_cmp_lt_i32 s15, 5
	s_cbranch_scc1 .LBB289_1457
; %bb.1453:
	s_cmp_lt_i32 s15, 8
	s_cbranch_scc1 .LBB289_1458
; %bb.1454:
	;; [unrolled: 3-line block ×3, first 2 shown]
	s_cmp_gt_i32 s15, 9
	s_cbranch_scc0 .LBB289_1460
; %bb.1456:
	global_load_dwordx2 v[10:11], v[16:17], off
	s_mov_b64 s[0:1], 0
	s_waitcnt vmcnt(0)
	v_cvt_i32_f64_e32 v10, v[10:11]
	s_branch .LBB289_1461
.LBB289_1457:
	s_mov_b64 s[0:1], -1
                                        ; implicit-def: $vgpr10
	s_branch .LBB289_1479
.LBB289_1458:
	s_mov_b64 s[0:1], -1
                                        ; implicit-def: $vgpr10
	s_branch .LBB289_1467
.LBB289_1459:
	s_mov_b64 s[0:1], -1
                                        ; implicit-def: $vgpr10
	s_branch .LBB289_1464
.LBB289_1460:
	s_mov_b64 s[0:1], -1
                                        ; implicit-def: $vgpr10
.LBB289_1461:
	s_andn2_b64 vcc, exec, s[0:1]
	s_cbranch_vccnz .LBB289_1463
; %bb.1462:
	global_load_dword v1, v[16:17], off
	s_waitcnt vmcnt(0)
	v_cvt_i32_f32_e32 v10, v1
.LBB289_1463:
	s_mov_b64 s[0:1], 0
.LBB289_1464:
	s_andn2_b64 vcc, exec, s[0:1]
	s_cbranch_vccnz .LBB289_1466
; %bb.1465:
	global_load_dword v1, v[16:17], off
	s_waitcnt vmcnt(0)
	v_cvt_i16_f16_e32 v10, v1
.LBB289_1466:
	s_mov_b64 s[0:1], 0
.LBB289_1467:
	s_andn2_b64 vcc, exec, s[0:1]
	s_cbranch_vccnz .LBB289_1478
; %bb.1468:
	s_cmp_lt_i32 s15, 6
	s_cbranch_scc1 .LBB289_1471
; %bb.1469:
	s_cmp_gt_i32 s15, 6
	s_cbranch_scc0 .LBB289_1472
; %bb.1470:
	global_load_dwordx2 v[10:11], v[16:17], off
	s_mov_b64 s[0:1], 0
	s_waitcnt vmcnt(0)
	v_cvt_i32_f64_e32 v10, v[10:11]
	s_branch .LBB289_1473
.LBB289_1471:
	s_mov_b64 s[0:1], -1
                                        ; implicit-def: $vgpr10
	s_branch .LBB289_1476
.LBB289_1472:
	s_mov_b64 s[0:1], -1
                                        ; implicit-def: $vgpr10
.LBB289_1473:
	s_andn2_b64 vcc, exec, s[0:1]
	s_cbranch_vccnz .LBB289_1475
; %bb.1474:
	global_load_dword v1, v[16:17], off
	s_waitcnt vmcnt(0)
	v_cvt_i32_f32_e32 v10, v1
.LBB289_1475:
	s_mov_b64 s[0:1], 0
.LBB289_1476:
	s_andn2_b64 vcc, exec, s[0:1]
	s_cbranch_vccnz .LBB289_1478
; %bb.1477:
	global_load_ushort v1, v[16:17], off
	s_waitcnt vmcnt(0)
	v_cvt_i16_f16_e32 v10, v1
.LBB289_1478:
	s_mov_b64 s[0:1], 0
.LBB289_1479:
	s_andn2_b64 vcc, exec, s[0:1]
	s_cbranch_vccnz .LBB289_1499
; %bb.1480:
	s_cmp_lt_i32 s15, 2
	s_cbranch_scc1 .LBB289_1484
; %bb.1481:
	s_cmp_lt_i32 s15, 3
	s_cbranch_scc1 .LBB289_1485
; %bb.1482:
	s_cmp_gt_i32 s15, 3
	s_cbranch_scc0 .LBB289_1486
; %bb.1483:
	global_load_dwordx2 v[10:11], v[16:17], off
	s_mov_b64 s[0:1], 0
	s_branch .LBB289_1487
.LBB289_1484:
	s_mov_b64 s[0:1], -1
                                        ; implicit-def: $vgpr10
	s_branch .LBB289_1493
.LBB289_1485:
	s_mov_b64 s[0:1], -1
                                        ; implicit-def: $vgpr10
	s_branch .LBB289_1490
.LBB289_1486:
	s_mov_b64 s[0:1], -1
                                        ; implicit-def: $vgpr10
.LBB289_1487:
	s_andn2_b64 vcc, exec, s[0:1]
	s_cbranch_vccnz .LBB289_1489
; %bb.1488:
	global_load_dword v10, v[16:17], off
.LBB289_1489:
	s_mov_b64 s[0:1], 0
.LBB289_1490:
	s_andn2_b64 vcc, exec, s[0:1]
	s_cbranch_vccnz .LBB289_1492
; %bb.1491:
	global_load_ushort v10, v[16:17], off
.LBB289_1492:
	s_mov_b64 s[0:1], 0
.LBB289_1493:
	s_andn2_b64 vcc, exec, s[0:1]
	s_cbranch_vccnz .LBB289_1499
; %bb.1494:
	s_cmp_gt_i32 s15, 0
	s_cbranch_scc0 .LBB289_1496
; %bb.1495:
	global_load_ubyte v10, v[16:17], off
	s_mov_b64 s[0:1], 0
	s_branch .LBB289_1497
.LBB289_1496:
	s_mov_b64 s[0:1], -1
                                        ; implicit-def: $vgpr10
.LBB289_1497:
	s_andn2_b64 vcc, exec, s[0:1]
	s_cbranch_vccnz .LBB289_1499
; %bb.1498:
	global_load_ubyte v10, v[16:17], off
.LBB289_1499:
.LBB289_1500:
	v_mov_b32_e32 v9, 0
	s_cmp_lt_i32 s15, 11
	v_lshl_add_u64 v[16:17], s[6:7], 0, v[8:9]
	s_cbranch_scc1 .LBB289_1507
; %bb.1501:
	s_cmp_gt_i32 s15, 25
	s_mov_b64 s[6:7], 0
	s_cbranch_scc0 .LBB289_1508
; %bb.1502:
	s_cmp_gt_i32 s15, 28
	s_cbranch_scc0 .LBB289_1509
; %bb.1503:
	s_cmp_gt_i32 s15, 43
	;; [unrolled: 3-line block ×3, first 2 shown]
	s_cbranch_scc0 .LBB289_1512
; %bb.1505:
	s_cmp_eq_u32 s15, 46
	s_mov_b64 s[10:11], 0
	s_cbranch_scc0 .LBB289_1513
; %bb.1506:
	global_load_dword v1, v[16:17], off
	s_mov_b64 s[0:1], 0
	s_mov_b64 s[8:9], -1
	s_waitcnt vmcnt(0)
	v_lshlrev_b32_e32 v1, 16, v1
	v_cvt_i32_f32_e32 v8, v1
	s_branch .LBB289_1514
.LBB289_1507:
	s_mov_b64 s[0:1], -1
	s_mov_b64 s[8:9], 0
                                        ; implicit-def: $vgpr8
	s_branch .LBB289_1576
.LBB289_1508:
	s_mov_b64 s[10:11], -1
	s_mov_b64 s[8:9], 0
	s_mov_b64 s[0:1], 0
                                        ; implicit-def: $vgpr8
	s_branch .LBB289_1541
.LBB289_1509:
	s_mov_b64 s[10:11], -1
	s_mov_b64 s[8:9], 0
	s_mov_b64 s[0:1], 0
                                        ; implicit-def: $vgpr8
	s_branch .LBB289_1524
.LBB289_1510:
	s_mov_b64 s[10:11], -1
	s_mov_b64 s[8:9], 0
	s_mov_b64 s[0:1], 0
                                        ; implicit-def: $vgpr8
	s_branch .LBB289_1519
.LBB289_1511:
	s_trap 2
	s_or_b64 s[2:3], s[2:3], exec
	s_cbranch_execz .LBB289_1450
	s_branch .LBB289_1451
.LBB289_1512:
	s_mov_b64 s[10:11], -1
	s_mov_b64 s[8:9], 0
	s_mov_b64 s[0:1], 0
                                        ; implicit-def: $vgpr8
	s_branch .LBB289_1514
.LBB289_1513:
	s_mov_b64 s[0:1], -1
                                        ; implicit-def: $vgpr8
	s_mov_b64 s[8:9], 0
.LBB289_1514:
	s_and_b64 vcc, exec, s[10:11]
	s_cbranch_vccz .LBB289_1518
; %bb.1515:
	s_cmp_eq_u32 s15, 44
	s_cbranch_scc0 .LBB289_1517
; %bb.1516:
	global_load_ubyte v1, v[16:17], off
	s_mov_b64 s[0:1], 0
	s_mov_b64 s[8:9], -1
	s_waitcnt vmcnt(0)
	v_lshlrev_b32_e32 v3, 23, v1
	v_cvt_i32_f32_e32 v3, v3
	v_cmp_ne_u32_e32 vcc, 0, v1
	s_nop 1
	v_cndmask_b32_e32 v8, 0, v3, vcc
	s_branch .LBB289_1518
.LBB289_1517:
	s_mov_b64 s[0:1], -1
                                        ; implicit-def: $vgpr8
.LBB289_1518:
	s_mov_b64 s[10:11], 0
.LBB289_1519:
	s_and_b64 vcc, exec, s[10:11]
	s_cbranch_vccz .LBB289_1523
; %bb.1520:
	s_cmp_eq_u32 s15, 29
	s_cbranch_scc0 .LBB289_1522
; %bb.1521:
	global_load_dwordx2 v[8:9], v[16:17], off
	s_mov_b64 s[0:1], 0
	s_mov_b64 s[8:9], -1
	s_branch .LBB289_1523
.LBB289_1522:
	s_mov_b64 s[0:1], -1
                                        ; implicit-def: $vgpr8
.LBB289_1523:
	s_mov_b64 s[10:11], 0
.LBB289_1524:
	s_and_b64 vcc, exec, s[10:11]
	s_cbranch_vccz .LBB289_1540
; %bb.1525:
	s_cmp_lt_i32 s15, 27
	s_cbranch_scc1 .LBB289_1528
; %bb.1526:
	s_cmp_gt_i32 s15, 27
	s_cbranch_scc0 .LBB289_1529
; %bb.1527:
	global_load_dword v8, v[16:17], off
	s_mov_b64 s[8:9], 0
	s_branch .LBB289_1530
.LBB289_1528:
	s_mov_b64 s[8:9], -1
                                        ; implicit-def: $vgpr8
	s_branch .LBB289_1533
.LBB289_1529:
	s_mov_b64 s[8:9], -1
                                        ; implicit-def: $vgpr8
.LBB289_1530:
	s_andn2_b64 vcc, exec, s[8:9]
	s_cbranch_vccnz .LBB289_1532
; %bb.1531:
	global_load_ushort v8, v[16:17], off
.LBB289_1532:
	s_mov_b64 s[8:9], 0
.LBB289_1533:
	s_andn2_b64 vcc, exec, s[8:9]
	s_cbranch_vccnz .LBB289_1539
; %bb.1534:
	global_load_ubyte v1, v[16:17], off
	s_movk_i32 s8, 0x7f
	s_mov_b64 s[10:11], 0
	s_waitcnt vmcnt(0)
	v_cmp_lt_i16_e32 vcc, s8, v1
	s_and_saveexec_b64 s[8:9], vcc
	s_xor_b64 s[8:9], exec, s[8:9]
	s_cbranch_execz .LBB289_1551
; %bb.1535:
	s_movk_i32 s10, 0x80
	v_cmp_ne_u16_e32 vcc, s10, v1
	s_and_b64 s[10:11], vcc, exec
	s_andn2_saveexec_b64 s[8:9], s[8:9]
	s_cbranch_execnz .LBB289_1552
.LBB289_1536:
	s_or_b64 exec, exec, s[8:9]
	v_mov_b32_e32 v8, 0
	s_and_saveexec_b64 s[8:9], s[10:11]
	s_cbranch_execz .LBB289_1538
.LBB289_1537:
	v_lshlrev_b32_e32 v3, 24, v1
	v_and_b32_e32 v1, 0xffff, v1
	v_and_b32_e32 v5, 7, v1
	v_ffbh_u32_e32 v8, v5
	v_min_u32_e32 v8, 32, v8
	v_subrev_u32_e32 v9, 28, v8
	v_bfe_u32 v7, v1, 3, 4
	v_lshlrev_b32_e32 v1, v9, v1
	v_sub_u32_e32 v8, 29, v8
	v_and_b32_e32 v1, 7, v1
	v_cmp_eq_u32_e32 vcc, 0, v7
	v_and_b32_e32 v3, 0x80000000, v3
	s_nop 0
	v_cndmask_b32_e32 v7, v7, v8, vcc
	v_cndmask_b32_e32 v1, v5, v1, vcc
	v_mov_b32_e32 v5, 0x3b800000
	v_lshlrev_b32_e32 v1, 20, v1
	v_lshl_add_u32 v5, v7, 23, v5
	v_or3_b32 v1, v3, v5, v1
	v_cvt_i32_f32_e32 v8, v1
.LBB289_1538:
	s_or_b64 exec, exec, s[8:9]
.LBB289_1539:
	s_mov_b64 s[8:9], -1
.LBB289_1540:
	s_mov_b64 s[10:11], 0
.LBB289_1541:
	s_and_b64 vcc, exec, s[10:11]
	s_cbranch_vccz .LBB289_1572
; %bb.1542:
	s_cmp_gt_i32 s15, 22
	s_cbranch_scc0 .LBB289_1550
; %bb.1543:
	s_cmp_lt_i32 s15, 24
	s_cbranch_scc1 .LBB289_1553
; %bb.1544:
	s_cmp_gt_i32 s15, 24
	s_cbranch_scc0 .LBB289_1554
; %bb.1545:
	global_load_ubyte v1, v[16:17], off
	s_movk_i32 s6, 0x7f
	s_mov_b64 s[8:9], 0
	s_waitcnt vmcnt(0)
	v_cmp_lt_i16_e32 vcc, s6, v1
	s_and_saveexec_b64 s[6:7], vcc
	s_xor_b64 s[6:7], exec, s[6:7]
	s_cbranch_execz .LBB289_1566
; %bb.1546:
	s_movk_i32 s8, 0x80
	v_cmp_ne_u16_e32 vcc, s8, v1
	s_and_b64 s[8:9], vcc, exec
	s_andn2_saveexec_b64 s[6:7], s[6:7]
	s_cbranch_execnz .LBB289_1567
.LBB289_1547:
	s_or_b64 exec, exec, s[6:7]
	v_mov_b32_e32 v8, 0
	s_and_saveexec_b64 s[6:7], s[8:9]
	s_cbranch_execz .LBB289_1549
.LBB289_1548:
	v_lshlrev_b32_e32 v3, 24, v1
	v_and_b32_e32 v1, 0xffff, v1
	v_and_b32_e32 v5, 3, v1
	v_ffbh_u32_e32 v8, v5
	v_min_u32_e32 v8, 32, v8
	v_subrev_u32_e32 v9, 29, v8
	v_bfe_u32 v7, v1, 2, 5
	v_lshlrev_b32_e32 v1, v9, v1
	v_sub_u32_e32 v8, 30, v8
	v_and_b32_e32 v1, 3, v1
	v_cmp_eq_u32_e32 vcc, 0, v7
	v_and_b32_e32 v3, 0x80000000, v3
	s_nop 0
	v_cndmask_b32_e32 v7, v7, v8, vcc
	v_cndmask_b32_e32 v1, v5, v1, vcc
	v_mov_b32_e32 v5, 0x37800000
	v_lshlrev_b32_e32 v1, 21, v1
	v_lshl_add_u32 v5, v7, 23, v5
	v_or3_b32 v1, v3, v5, v1
	v_cvt_i32_f32_e32 v8, v1
.LBB289_1549:
	s_or_b64 exec, exec, s[6:7]
	s_mov_b64 s[6:7], 0
	s_branch .LBB289_1555
.LBB289_1550:
	s_mov_b64 s[6:7], -1
                                        ; implicit-def: $vgpr8
	s_branch .LBB289_1561
.LBB289_1551:
	s_andn2_saveexec_b64 s[8:9], s[8:9]
	s_cbranch_execz .LBB289_1536
.LBB289_1552:
	v_cmp_ne_u16_e32 vcc, 0, v1
	s_andn2_b64 s[10:11], s[10:11], exec
	s_and_b64 s[12:13], vcc, exec
	s_or_b64 s[10:11], s[10:11], s[12:13]
	s_or_b64 exec, exec, s[8:9]
	v_mov_b32_e32 v8, 0
	s_and_saveexec_b64 s[8:9], s[10:11]
	s_cbranch_execnz .LBB289_1537
	s_branch .LBB289_1538
.LBB289_1553:
	s_mov_b64 s[6:7], -1
                                        ; implicit-def: $vgpr8
	s_branch .LBB289_1558
.LBB289_1554:
	s_mov_b64 s[6:7], -1
                                        ; implicit-def: $vgpr8
.LBB289_1555:
	s_and_b64 vcc, exec, s[6:7]
	s_cbranch_vccz .LBB289_1557
; %bb.1556:
	global_load_ubyte v1, v[16:17], off
	s_mov_b32 s6, 0x7f800000
	s_waitcnt vmcnt(0)
	v_lshlrev_b32_e32 v1, 24, v1
	v_and_b32_e32 v3, 0x7f000000, v1
	v_ffbh_u32_e32 v5, v3
	v_min_u32_e32 v5, 32, v5
	v_sub_u32_e64 v5, v5, 4 clamp
	v_lshlrev_b32_e32 v8, v5, v3
	v_lshlrev_b32_e32 v5, 23, v5
	v_lshrrev_b32_e32 v8, 4, v8
	v_add_u32_e32 v7, 0x1000000, v3
	v_sub_u32_e32 v5, v8, v5
	v_ashrrev_i32_e32 v7, 8, v7
	v_add_u32_e32 v5, 0x3c000000, v5
	v_and_or_b32 v5, v7, s6, v5
	v_cmp_ne_u32_e32 vcc, 0, v3
	s_brev_b32 s6, 1
	s_nop 0
	v_cndmask_b32_e32 v3, 0, v5, vcc
	v_and_or_b32 v1, v1, s6, v3
	v_cvt_i32_f32_e32 v8, v1
.LBB289_1557:
	s_mov_b64 s[6:7], 0
.LBB289_1558:
	s_andn2_b64 vcc, exec, s[6:7]
	s_cbranch_vccnz .LBB289_1560
; %bb.1559:
	global_load_ubyte v1, v[16:17], off
	s_movk_i32 s6, 0x7f00
	s_brev_b32 s7, 16
	s_waitcnt vmcnt(0)
	v_lshlrev_b16_e32 v3, 8, v1
	v_lshlrev_b32_e32 v1, 25, v1
	v_lshrrev_b32_e32 v5, 4, v1
	v_and_or_b32 v7, v3, s6, 0.5
	v_or_b32_e32 v5, 0x70000000, v5
	v_add_f32_e32 v7, -0.5, v7
	v_mul_f32_e32 v5, 0x7800000, v5
	v_cmp_gt_u32_e32 vcc, s7, v1
	v_bfe_i32 v3, v3, 0, 16
	s_brev_b32 s6, 1
	v_cndmask_b32_e32 v1, v5, v7, vcc
	v_and_or_b32 v1, v3, s6, v1
	v_cvt_i32_f32_e32 v8, v1
.LBB289_1560:
	s_mov_b64 s[6:7], 0
	s_mov_b64 s[8:9], -1
.LBB289_1561:
	s_andn2_b64 vcc, exec, s[6:7]
	s_mov_b64 s[6:7], 0
	s_cbranch_vccnz .LBB289_1572
; %bb.1562:
	s_cmp_gt_i32 s15, 14
	s_cbranch_scc0 .LBB289_1565
; %bb.1563:
	s_cmp_eq_u32 s15, 15
	s_cbranch_scc0 .LBB289_1568
; %bb.1564:
	global_load_ushort v1, v[16:17], off
	s_mov_b64 s[0:1], 0
	s_mov_b64 s[8:9], -1
	s_waitcnt vmcnt(0)
	v_lshlrev_b32_e32 v1, 16, v1
	v_cvt_i32_f32_e32 v8, v1
	s_branch .LBB289_1569
.LBB289_1565:
	s_mov_b64 s[10:11], -1
                                        ; implicit-def: $vgpr8
	s_branch .LBB289_1570
.LBB289_1566:
	s_andn2_saveexec_b64 s[6:7], s[6:7]
	s_cbranch_execz .LBB289_1547
.LBB289_1567:
	v_cmp_ne_u16_e32 vcc, 0, v1
	s_andn2_b64 s[8:9], s[8:9], exec
	s_and_b64 s[10:11], vcc, exec
	s_or_b64 s[8:9], s[8:9], s[10:11]
	s_or_b64 exec, exec, s[6:7]
	v_mov_b32_e32 v8, 0
	s_and_saveexec_b64 s[6:7], s[8:9]
	s_cbranch_execnz .LBB289_1548
	s_branch .LBB289_1549
.LBB289_1568:
	s_mov_b64 s[0:1], -1
                                        ; implicit-def: $vgpr8
.LBB289_1569:
	s_mov_b64 s[10:11], 0
.LBB289_1570:
	s_and_b64 vcc, exec, s[10:11]
	s_cbranch_vccz .LBB289_1572
; %bb.1571:
	s_cmp_lg_u32 s15, 11
	s_mov_b64 s[6:7], -1
	s_cselect_b64 s[0:1], -1, 0
.LBB289_1572:
	s_and_b64 vcc, exec, s[0:1]
	s_cbranch_vccnz .LBB289_2105
; %bb.1573:
	s_andn2_b64 vcc, exec, s[6:7]
	s_cbranch_vccnz .LBB289_1575
.LBB289_1574:
	global_load_ubyte v1, v[16:17], off
	s_mov_b64 s[8:9], -1
	s_waitcnt vmcnt(0)
	v_cmp_ne_u16_e32 vcc, 0, v1
	s_nop 1
	v_cndmask_b32_e64 v8, 0, 1, vcc
.LBB289_1575:
	s_mov_b64 s[0:1], 0
.LBB289_1576:
	s_and_b64 vcc, exec, s[0:1]
	s_cbranch_vccz .LBB289_1625
; %bb.1577:
	s_cmp_lt_i32 s15, 5
	s_cbranch_scc1 .LBB289_1582
; %bb.1578:
	s_cmp_lt_i32 s15, 8
	s_cbranch_scc1 .LBB289_1583
	;; [unrolled: 3-line block ×3, first 2 shown]
; %bb.1580:
	s_cmp_gt_i32 s15, 9
	s_cbranch_scc0 .LBB289_1585
; %bb.1581:
	global_load_dwordx2 v[8:9], v[16:17], off
	s_mov_b64 s[0:1], 0
	s_waitcnt vmcnt(0)
	v_cvt_i32_f64_e32 v8, v[8:9]
	s_branch .LBB289_1586
.LBB289_1582:
	s_mov_b64 s[0:1], -1
                                        ; implicit-def: $vgpr8
	s_branch .LBB289_1604
.LBB289_1583:
	s_mov_b64 s[0:1], -1
                                        ; implicit-def: $vgpr8
	s_branch .LBB289_1592
.LBB289_1584:
	s_mov_b64 s[0:1], -1
                                        ; implicit-def: $vgpr8
	s_branch .LBB289_1589
.LBB289_1585:
	s_mov_b64 s[0:1], -1
                                        ; implicit-def: $vgpr8
.LBB289_1586:
	s_andn2_b64 vcc, exec, s[0:1]
	s_cbranch_vccnz .LBB289_1588
; %bb.1587:
	global_load_dword v1, v[16:17], off
	s_waitcnt vmcnt(0)
	v_cvt_i32_f32_e32 v8, v1
.LBB289_1588:
	s_mov_b64 s[0:1], 0
.LBB289_1589:
	s_andn2_b64 vcc, exec, s[0:1]
	s_cbranch_vccnz .LBB289_1591
; %bb.1590:
	global_load_dword v1, v[16:17], off
	s_waitcnt vmcnt(0)
	v_cvt_i16_f16_e32 v8, v1
.LBB289_1591:
	s_mov_b64 s[0:1], 0
.LBB289_1592:
	s_andn2_b64 vcc, exec, s[0:1]
	s_cbranch_vccnz .LBB289_1603
; %bb.1593:
	s_cmp_lt_i32 s15, 6
	s_cbranch_scc1 .LBB289_1596
; %bb.1594:
	s_cmp_gt_i32 s15, 6
	s_cbranch_scc0 .LBB289_1597
; %bb.1595:
	global_load_dwordx2 v[8:9], v[16:17], off
	s_mov_b64 s[0:1], 0
	s_waitcnt vmcnt(0)
	v_cvt_i32_f64_e32 v8, v[8:9]
	s_branch .LBB289_1598
.LBB289_1596:
	s_mov_b64 s[0:1], -1
                                        ; implicit-def: $vgpr8
	s_branch .LBB289_1601
.LBB289_1597:
	s_mov_b64 s[0:1], -1
                                        ; implicit-def: $vgpr8
.LBB289_1598:
	s_andn2_b64 vcc, exec, s[0:1]
	s_cbranch_vccnz .LBB289_1600
; %bb.1599:
	global_load_dword v1, v[16:17], off
	s_waitcnt vmcnt(0)
	v_cvt_i32_f32_e32 v8, v1
.LBB289_1600:
	s_mov_b64 s[0:1], 0
.LBB289_1601:
	s_andn2_b64 vcc, exec, s[0:1]
	s_cbranch_vccnz .LBB289_1603
; %bb.1602:
	global_load_ushort v1, v[16:17], off
	s_waitcnt vmcnt(0)
	v_cvt_i16_f16_e32 v8, v1
.LBB289_1603:
	s_mov_b64 s[0:1], 0
.LBB289_1604:
	s_andn2_b64 vcc, exec, s[0:1]
	s_cbranch_vccnz .LBB289_1624
; %bb.1605:
	s_cmp_lt_i32 s15, 2
	s_cbranch_scc1 .LBB289_1609
; %bb.1606:
	s_cmp_lt_i32 s15, 3
	s_cbranch_scc1 .LBB289_1610
; %bb.1607:
	s_cmp_gt_i32 s15, 3
	s_cbranch_scc0 .LBB289_1611
; %bb.1608:
	global_load_dwordx2 v[8:9], v[16:17], off
	s_mov_b64 s[0:1], 0
	s_branch .LBB289_1612
.LBB289_1609:
	s_mov_b64 s[0:1], -1
                                        ; implicit-def: $vgpr8
	s_branch .LBB289_1618
.LBB289_1610:
	s_mov_b64 s[0:1], -1
                                        ; implicit-def: $vgpr8
	s_branch .LBB289_1615
.LBB289_1611:
	s_mov_b64 s[0:1], -1
                                        ; implicit-def: $vgpr8
.LBB289_1612:
	s_andn2_b64 vcc, exec, s[0:1]
	s_cbranch_vccnz .LBB289_1614
; %bb.1613:
	global_load_dword v8, v[16:17], off
.LBB289_1614:
	s_mov_b64 s[0:1], 0
.LBB289_1615:
	s_andn2_b64 vcc, exec, s[0:1]
	s_cbranch_vccnz .LBB289_1617
; %bb.1616:
	global_load_ushort v8, v[16:17], off
.LBB289_1617:
	s_mov_b64 s[0:1], 0
.LBB289_1618:
	s_andn2_b64 vcc, exec, s[0:1]
	s_cbranch_vccnz .LBB289_1624
; %bb.1619:
	s_cmp_gt_i32 s15, 0
	s_cbranch_scc0 .LBB289_1621
; %bb.1620:
	global_load_ubyte v8, v[16:17], off
	s_mov_b64 s[0:1], 0
	s_branch .LBB289_1622
.LBB289_1621:
	s_mov_b64 s[0:1], -1
                                        ; implicit-def: $vgpr8
.LBB289_1622:
	s_andn2_b64 vcc, exec, s[0:1]
	s_cbranch_vccnz .LBB289_1624
; %bb.1623:
	global_load_ubyte v8, v[16:17], off
.LBB289_1624:
	s_mov_b64 s[8:9], -1
.LBB289_1625:
	s_andn2_b64 vcc, exec, s[8:9]
	s_cbranch_vccnz .LBB289_2059
; %bb.1626:
	s_load_dword s16, s[34:35], 0x158
	s_bfe_u32 s17, s14, 0x80010
	v_mov_b32_e32 v7, 0
	v_lshl_add_u64 v[6:7], s[4:5], 0, v[6:7]
	s_waitcnt lgkmcnt(0)
	s_bfe_i32 s15, s16, 0x80000
	s_sext_i32_i16 s0, s16
	s_lshr_b32 s0, s0, 8
	s_waitcnt vmcnt(0)
	v_max_i16_sdwa v1, sext(v14), s15 dst_sel:DWORD dst_unused:UNUSED_PAD src0_sel:BYTE_0 src1_sel:DWORD
	v_min_i16_e32 v1, s0, v1
	s_cmp_lt_i32 s17, 11
	s_cbranch_scc1 .LBB289_1704
; %bb.1627:
	s_and_b32 s18, 0xffff, s17
	s_mov_b64 s[10:11], -1
	s_mov_b64 s[6:7], 0
	s_cmp_gt_i32 s18, 25
	s_mov_b64 s[8:9], 0
	s_mov_b64 s[0:1], 0
	s_cbranch_scc0 .LBB289_1660
; %bb.1628:
	s_cmp_gt_i32 s18, 28
	s_cbranch_scc0 .LBB289_1643
; %bb.1629:
	s_cmp_gt_i32 s18, 43
	;; [unrolled: 3-line block ×3, first 2 shown]
	s_cbranch_scc0 .LBB289_1633
; %bb.1631:
	s_mov_b64 s[0:1], -1
	s_mov_b64 s[10:11], 0
	s_cmp_eq_u32 s18, 46
	s_cbranch_scc0 .LBB289_1633
; %bb.1632:
	v_bfe_i32 v3, v1, 0, 8
	v_cvt_f32_i32_sdwa v3, sext(v3) dst_sel:DWORD dst_unused:UNUSED_PAD src0_sel:WORD_0
	s_movk_i32 s8, 0x7fff
	s_mov_b64 s[0:1], 0
	v_bfe_u32 v5, v3, 16, 1
	v_add3_u32 v3, v3, v5, s8
	v_lshrrev_b32_e32 v3, 16, v3
	global_store_dword v[6:7], v3, off
	s_mov_b64 s[8:9], -1
.LBB289_1633:
	s_and_b64 vcc, exec, s[10:11]
	s_cbranch_vccz .LBB289_1638
; %bb.1634:
	s_cmp_eq_u32 s18, 44
	s_mov_b64 s[0:1], -1
	s_cbranch_scc0 .LBB289_1638
; %bb.1635:
	v_bfe_i32 v3, v1, 0, 8
	v_cvt_f32_i32_sdwa v3, sext(v3) dst_sel:DWORD dst_unused:UNUSED_PAD src0_sel:WORD_0
	s_movk_i32 s0, 0xff
	v_mov_b32_e32 v9, 0xff
	v_bfe_u32 v5, v3, 23, 8
	v_cmp_ne_u32_e32 vcc, s0, v5
	s_and_saveexec_b64 s[8:9], vcc
; %bb.1636:
	s_mov_b32 s0, 0x3fffff
	v_lshrrev_b32_e32 v9, 23, v3
	v_and_b32_e32 v11, 0x400000, v3
	v_and_or_b32 v3, v3, s0, v5
	v_cmp_ne_u32_e32 vcc, 0, v11
	v_cmp_ne_u32_e64 s[0:1], 0, v3
	s_and_b64 s[0:1], vcc, s[0:1]
	s_nop 0
	v_cndmask_b32_e64 v3, 0, 1, s[0:1]
	v_add_u32_e32 v9, v9, v3
; %bb.1637:
	s_or_b64 exec, exec, s[8:9]
	s_mov_b64 s[0:1], 0
	s_mov_b64 s[8:9], -1
	global_store_byte v[6:7], v9, off
.LBB289_1638:
	s_mov_b64 s[10:11], 0
.LBB289_1639:
	s_and_b64 vcc, exec, s[10:11]
	s_cbranch_vccz .LBB289_1642
; %bb.1640:
	s_cmp_eq_u32 s18, 29
	s_mov_b64 s[0:1], -1
	s_cbranch_scc0 .LBB289_1642
; %bb.1641:
	v_bfe_i32 v14, v1, 0, 8
	v_ashrrev_i32_e32 v15, 31, v14
	global_store_dwordx2 v[6:7], v[14:15], off
	s_mov_b64 s[0:1], 0
	s_mov_b64 s[8:9], -1
.LBB289_1642:
	s_mov_b64 s[10:11], 0
.LBB289_1643:
	s_and_b64 vcc, exec, s[10:11]
	s_cbranch_vccz .LBB289_1659
; %bb.1644:
	s_cmp_lt_i32 s18, 27
	s_mov_b64 s[8:9], -1
	s_cbranch_scc1 .LBB289_1650
; %bb.1645:
	s_cmp_gt_i32 s18, 27
	s_cbranch_scc0 .LBB289_1647
; %bb.1646:
	v_bfe_i32 v3, v1, 0, 8
	s_mov_b64 s[8:9], 0
	global_store_dword v[6:7], v3, off
.LBB289_1647:
	s_andn2_b64 vcc, exec, s[8:9]
	s_cbranch_vccnz .LBB289_1649
; %bb.1648:
	v_bfe_i32 v3, v1, 0, 8
	global_store_short v[6:7], v3, off
.LBB289_1649:
	s_mov_b64 s[8:9], 0
.LBB289_1650:
	s_andn2_b64 vcc, exec, s[8:9]
	s_cbranch_vccnz .LBB289_1658
; %bb.1651:
	v_bfe_i32 v3, v1, 0, 8
	v_cvt_f32_i32_sdwa v3, sext(v3) dst_sel:DWORD dst_unused:UNUSED_PAD src0_sel:WORD_0
	s_mov_b32 s8, 0x43800000
	v_mov_b32_e32 v9, 0x80
	v_and_b32_e32 v5, 0x7fffffff, v3
	v_cmp_gt_u32_e32 vcc, s8, v5
	s_and_saveexec_b64 s[8:9], vcc
	s_cbranch_execz .LBB289_1657
; %bb.1652:
	s_mov_b32 s10, 0x3bffffff
	v_cmp_lt_u32_e32 vcc, s10, v5
	s_mov_b64 s[10:11], 0
                                        ; implicit-def: $vgpr5
	s_and_saveexec_b64 s[12:13], vcc
	s_xor_b64 s[12:13], exec, s[12:13]
	s_cbranch_execz .LBB289_2106
; %bb.1653:
	v_bfe_u32 v5, v3, 20, 1
	s_mov_b32 s19, 0x487ffff
	v_add3_u32 v5, v3, v5, s19
	s_mov_b64 s[10:11], exec
	v_lshrrev_b32_e32 v5, 20, v5
	s_andn2_saveexec_b64 s[12:13], s[12:13]
	s_cbranch_execnz .LBB289_2107
.LBB289_1654:
	s_or_b64 exec, exec, s[12:13]
	v_mov_b32_e32 v9, 0
	s_and_saveexec_b64 s[12:13], s[10:11]
.LBB289_1655:
	v_lshrrev_b32_e32 v3, 24, v3
	s_movk_i32 s10, 0x80
	v_and_or_b32 v9, v3, s10, v5
.LBB289_1656:
	s_or_b64 exec, exec, s[12:13]
.LBB289_1657:
	s_or_b64 exec, exec, s[8:9]
	global_store_byte v[6:7], v9, off
.LBB289_1658:
	s_mov_b64 s[8:9], -1
.LBB289_1659:
	s_mov_b64 s[10:11], 0
.LBB289_1660:
	s_and_b64 vcc, exec, s[10:11]
	s_cbranch_vccz .LBB289_1700
; %bb.1661:
	s_cmp_gt_i32 s18, 22
	s_mov_b64 s[6:7], -1
	s_cbranch_scc0 .LBB289_1693
; %bb.1662:
	s_cmp_lt_i32 s18, 24
	s_cbranch_scc1 .LBB289_1682
; %bb.1663:
	s_cmp_gt_i32 s18, 24
	s_cbranch_scc0 .LBB289_1671
; %bb.1664:
	v_bfe_i32 v3, v1, 0, 8
	v_cvt_f32_i32_sdwa v3, sext(v3) dst_sel:DWORD dst_unused:UNUSED_PAD src0_sel:WORD_0
	s_mov_b32 s6, 0x47800000
	v_mov_b32_e32 v9, 0x80
	v_and_b32_e32 v5, 0x7fffffff, v3
	v_cmp_gt_u32_e32 vcc, s6, v5
	s_and_saveexec_b64 s[6:7], vcc
	s_cbranch_execz .LBB289_1670
; %bb.1665:
	s_mov_b32 s8, 0x37ffffff
	v_cmp_lt_u32_e32 vcc, s8, v5
	s_mov_b64 s[8:9], 0
                                        ; implicit-def: $vgpr5
	s_and_saveexec_b64 s[10:11], vcc
	s_xor_b64 s[10:11], exec, s[10:11]
	s_cbranch_execz .LBB289_2109
; %bb.1666:
	v_bfe_u32 v5, v3, 21, 1
	s_mov_b32 s12, 0x88fffff
	v_add3_u32 v5, v3, v5, s12
	s_mov_b64 s[8:9], exec
	v_lshrrev_b32_e32 v5, 21, v5
	s_andn2_saveexec_b64 s[10:11], s[10:11]
	s_cbranch_execnz .LBB289_2110
.LBB289_1667:
	s_or_b64 exec, exec, s[10:11]
	v_mov_b32_e32 v9, 0
	s_and_saveexec_b64 s[10:11], s[8:9]
.LBB289_1668:
	v_lshrrev_b32_e32 v3, 24, v3
	s_movk_i32 s8, 0x80
	v_and_or_b32 v9, v3, s8, v5
.LBB289_1669:
	s_or_b64 exec, exec, s[10:11]
.LBB289_1670:
	s_or_b64 exec, exec, s[6:7]
	s_mov_b64 s[6:7], 0
	global_store_byte v[6:7], v9, off
.LBB289_1671:
	s_and_b64 vcc, exec, s[6:7]
	s_cbranch_vccz .LBB289_1681
; %bb.1672:
	v_bfe_i32 v3, v1, 0, 8
	v_cvt_f32_i32_sdwa v3, sext(v3) dst_sel:DWORD dst_unused:UNUSED_PAD src0_sel:WORD_0
	s_mov_b32 s6, 0x43f00000
                                        ; implicit-def: $vgpr5
	v_and_b32_e32 v9, 0x7fffffff, v3
	v_cmp_gt_u32_e32 vcc, s6, v9
	s_and_saveexec_b64 s[6:7], vcc
	s_xor_b64 s[6:7], exec, s[6:7]
	s_cbranch_execz .LBB289_1678
; %bb.1673:
	s_mov_b32 s8, 0x3c7fffff
	v_cmp_lt_u32_e32 vcc, s8, v9
                                        ; implicit-def: $vgpr5
	s_and_saveexec_b64 s[8:9], vcc
	s_xor_b64 s[8:9], exec, s[8:9]
; %bb.1674:
	v_bfe_u32 v5, v3, 20, 1
	s_mov_b32 s10, 0x407ffff
	v_add3_u32 v5, v3, v5, s10
	v_lshrrev_b32_e32 v9, 20, v5
	v_and_b32_e32 v5, 0xff00000, v5
	s_mov_b32 s10, 0x7f00000
	v_mov_b32_e32 v11, 0x7e
	v_cmp_ne_u32_e32 vcc, s10, v5
	s_nop 1
	v_cndmask_b32_e32 v5, v11, v9, vcc
; %bb.1675:
	s_andn2_saveexec_b64 s[8:9], s[8:9]
; %bb.1676:
	s_mov_b32 s10, 0x46800000
	v_add_f32_e64 v5, |v3|, s10
; %bb.1677:
	s_or_b64 exec, exec, s[8:9]
                                        ; implicit-def: $vgpr9
.LBB289_1678:
	s_andn2_saveexec_b64 s[6:7], s[6:7]
; %bb.1679:
	s_mov_b32 s8, 0x7f800000
	v_mov_b32_e32 v5, 0x7e
	v_mov_b32_e32 v11, 0x7f
	v_cmp_lt_u32_e32 vcc, s8, v9
	s_nop 1
	v_cndmask_b32_e32 v5, v5, v11, vcc
; %bb.1680:
	s_or_b64 exec, exec, s[6:7]
	v_lshrrev_b32_e32 v3, 24, v3
	s_movk_i32 s6, 0x80
	v_and_or_b32 v3, v3, s6, v5
	global_store_byte v[6:7], v3, off
.LBB289_1681:
	s_mov_b64 s[6:7], 0
.LBB289_1682:
	s_andn2_b64 vcc, exec, s[6:7]
	s_cbranch_vccnz .LBB289_1692
; %bb.1683:
	v_bfe_i32 v3, v1, 0, 8
	v_cvt_f32_i32_sdwa v3, sext(v3) dst_sel:DWORD dst_unused:UNUSED_PAD src0_sel:WORD_0
	s_mov_b32 s6, 0x47800000
                                        ; implicit-def: $vgpr5
	v_and_b32_e32 v9, 0x7fffffff, v3
	v_cmp_gt_u32_e32 vcc, s6, v9
	s_and_saveexec_b64 s[6:7], vcc
	s_xor_b64 s[6:7], exec, s[6:7]
	s_cbranch_execz .LBB289_1689
; %bb.1684:
	s_mov_b32 s8, 0x387fffff
	v_cmp_lt_u32_e32 vcc, s8, v9
                                        ; implicit-def: $vgpr5
	s_and_saveexec_b64 s[8:9], vcc
	s_xor_b64 s[8:9], exec, s[8:9]
; %bb.1685:
	v_bfe_u32 v5, v3, 21, 1
	s_mov_b32 s10, 0x80fffff
	v_add3_u32 v5, v3, v5, s10
	v_lshrrev_b32_e32 v5, 21, v5
; %bb.1686:
	s_andn2_saveexec_b64 s[8:9], s[8:9]
; %bb.1687:
	s_mov_b32 s10, 0x43000000
	v_add_f32_e64 v5, |v3|, s10
; %bb.1688:
	s_or_b64 exec, exec, s[8:9]
                                        ; implicit-def: $vgpr9
.LBB289_1689:
	s_andn2_saveexec_b64 s[6:7], s[6:7]
; %bb.1690:
	s_mov_b32 s8, 0x7f800000
	v_mov_b32_e32 v5, 0x7c
	v_mov_b32_e32 v11, 0x7f
	v_cmp_lt_u32_e32 vcc, s8, v9
	s_nop 1
	v_cndmask_b32_e32 v5, v5, v11, vcc
; %bb.1691:
	s_or_b64 exec, exec, s[6:7]
	v_lshrrev_b32_e32 v3, 24, v3
	s_movk_i32 s6, 0x80
	v_and_or_b32 v3, v3, s6, v5
	global_store_byte v[6:7], v3, off
.LBB289_1692:
	s_mov_b64 s[6:7], 0
	s_mov_b64 s[8:9], -1
.LBB289_1693:
	s_andn2_b64 vcc, exec, s[6:7]
	s_mov_b64 s[6:7], 0
	s_cbranch_vccnz .LBB289_1700
; %bb.1694:
	s_cmp_gt_i32 s18, 14
	s_mov_b64 s[10:11], -1
	s_cbranch_scc0 .LBB289_1698
; %bb.1695:
	s_cmp_eq_u32 s18, 15
	s_mov_b64 s[0:1], -1
	s_cbranch_scc0 .LBB289_1697
; %bb.1696:
	v_bfe_i32 v3, v1, 0, 8
	v_cvt_f32_i32_sdwa v3, sext(v3) dst_sel:DWORD dst_unused:UNUSED_PAD src0_sel:WORD_0
	s_movk_i32 s6, 0x7fff
	s_mov_b64 s[0:1], 0
	s_mov_b64 s[8:9], -1
	v_bfe_u32 v5, v3, 16, 1
	v_add3_u32 v3, v3, v5, s6
	global_store_short_d16_hi v[6:7], v3, off
.LBB289_1697:
	s_mov_b64 s[10:11], 0
.LBB289_1698:
	s_mov_b64 s[6:7], 0
	s_and_b64 vcc, exec, s[10:11]
	s_cbranch_vccz .LBB289_1700
; %bb.1699:
	s_cmp_lg_u32 s18, 11
	s_mov_b64 s[6:7], -1
	s_cselect_b64 s[0:1], -1, 0
.LBB289_1700:
	s_and_b64 vcc, exec, s[0:1]
	s_cbranch_vccnz .LBB289_2108
; %bb.1701:
	s_andn2_b64 vcc, exec, s[6:7]
	s_cbranch_vccnz .LBB289_1703
.LBB289_1702:
	v_mov_b32_e32 v3, 0
	v_cmp_ne_u16_sdwa s[0:1], v1, v3 src0_sel:BYTE_0 src1_sel:DWORD
	s_mov_b64 s[8:9], -1
	s_nop 0
	v_cndmask_b32_e64 v3, 0, 1, s[0:1]
	global_store_byte v[6:7], v3, off
.LBB289_1703:
	s_mov_b64 s[0:1], 0
	s_branch .LBB289_1705
.LBB289_1704:
	s_mov_b64 s[0:1], -1
	s_mov_b64 s[8:9], 0
.LBB289_1705:
	s_and_b64 vcc, exec, s[0:1]
	s_cbranch_vccz .LBB289_1744
; %bb.1706:
	s_and_b32 s6, 0xffff, s17
	s_cmp_lt_i32 s6, 5
	s_mov_b64 s[0:1], -1
	s_cbranch_scc1 .LBB289_1727
; %bb.1707:
	s_cmp_lt_i32 s6, 8
	s_cbranch_scc1 .LBB289_1717
; %bb.1708:
	s_cmp_lt_i32 s6, 9
	s_cbranch_scc1 .LBB289_1714
; %bb.1709:
	s_cmp_gt_i32 s6, 9
	s_cbranch_scc0 .LBB289_1711
; %bb.1710:
	v_bfe_i32 v3, v1, 0, 8
	v_bfe_i32 v3, v3, 0, 16
	v_mov_b32_e32 v16, 0
	v_cvt_f64_i32_e32 v[14:15], v3
	v_mov_b32_e32 v17, v16
	global_store_dwordx4 v[6:7], v[14:17], off
	s_mov_b64 s[0:1], 0
.LBB289_1711:
	s_andn2_b64 vcc, exec, s[0:1]
	s_cbranch_vccnz .LBB289_1713
; %bb.1712:
	v_bfe_i32 v3, v1, 0, 8
	v_cvt_f32_i32_sdwa v14, sext(v3) dst_sel:DWORD dst_unused:UNUSED_PAD src0_sel:WORD_0
	v_mov_b32_e32 v15, 0
	global_store_dwordx2 v[6:7], v[14:15], off
.LBB289_1713:
	s_mov_b64 s[0:1], 0
.LBB289_1714:
	s_andn2_b64 vcc, exec, s[0:1]
	s_cbranch_vccnz .LBB289_1716
; %bb.1715:
	v_cvt_f16_i16_sdwa v3, sext(v1) dst_sel:DWORD dst_unused:UNUSED_PAD src0_sel:BYTE_0
	global_store_dword v[6:7], v3, off
.LBB289_1716:
	s_mov_b64 s[0:1], 0
.LBB289_1717:
	s_andn2_b64 vcc, exec, s[0:1]
	s_cbranch_vccnz .LBB289_1726
; %bb.1718:
	s_cmp_lt_i32 s6, 6
	s_mov_b64 s[0:1], -1
	s_cbranch_scc1 .LBB289_1724
; %bb.1719:
	s_cmp_gt_i32 s6, 6
	s_cbranch_scc0 .LBB289_1721
; %bb.1720:
	v_bfe_i32 v3, v1, 0, 8
	v_bfe_i32 v3, v3, 0, 16
	v_cvt_f64_i32_e32 v[14:15], v3
	global_store_dwordx2 v[6:7], v[14:15], off
	s_mov_b64 s[0:1], 0
.LBB289_1721:
	s_andn2_b64 vcc, exec, s[0:1]
	s_cbranch_vccnz .LBB289_1723
; %bb.1722:
	v_bfe_i32 v3, v1, 0, 8
	v_cvt_f32_i32_sdwa v3, sext(v3) dst_sel:DWORD dst_unused:UNUSED_PAD src0_sel:WORD_0
	global_store_dword v[6:7], v3, off
.LBB289_1723:
	s_mov_b64 s[0:1], 0
.LBB289_1724:
	s_andn2_b64 vcc, exec, s[0:1]
	s_cbranch_vccnz .LBB289_1726
; %bb.1725:
	v_cvt_f16_i16_sdwa v3, sext(v1) dst_sel:DWORD dst_unused:UNUSED_PAD src0_sel:BYTE_0
	global_store_short v[6:7], v3, off
.LBB289_1726:
	s_mov_b64 s[0:1], 0
.LBB289_1727:
	s_andn2_b64 vcc, exec, s[0:1]
	s_cbranch_vccnz .LBB289_1743
; %bb.1728:
	s_cmp_lt_i32 s6, 2
	s_mov_b64 s[0:1], -1
	s_cbranch_scc1 .LBB289_1738
; %bb.1729:
	s_cmp_lt_i32 s6, 3
	s_cbranch_scc1 .LBB289_1735
; %bb.1730:
	s_cmp_gt_i32 s6, 3
	s_cbranch_scc0 .LBB289_1732
; %bb.1731:
	v_bfe_i32 v14, v1, 0, 8
	v_ashrrev_i32_e32 v15, 31, v14
	global_store_dwordx2 v[6:7], v[14:15], off
	s_mov_b64 s[0:1], 0
.LBB289_1732:
	s_andn2_b64 vcc, exec, s[0:1]
	s_cbranch_vccnz .LBB289_1734
; %bb.1733:
	v_bfe_i32 v3, v1, 0, 8
	global_store_dword v[6:7], v3, off
.LBB289_1734:
	s_mov_b64 s[0:1], 0
.LBB289_1735:
	s_andn2_b64 vcc, exec, s[0:1]
	s_cbranch_vccnz .LBB289_1737
; %bb.1736:
	v_bfe_i32 v3, v1, 0, 8
	global_store_short v[6:7], v3, off
.LBB289_1737:
	s_mov_b64 s[0:1], 0
.LBB289_1738:
	s_andn2_b64 vcc, exec, s[0:1]
	s_cbranch_vccnz .LBB289_1743
; %bb.1739:
	s_cmp_gt_i32 s6, 0
	s_mov_b64 s[0:1], -1
	s_cbranch_scc0 .LBB289_1741
; %bb.1740:
	global_store_byte v[6:7], v1, off
	s_mov_b64 s[0:1], 0
.LBB289_1741:
	s_andn2_b64 vcc, exec, s[0:1]
	s_cbranch_vccnz .LBB289_1743
; %bb.1742:
	global_store_byte v[6:7], v1, off
.LBB289_1743:
	s_mov_b64 s[8:9], -1
.LBB289_1744:
	s_andn2_b64 vcc, exec, s[8:9]
	s_cbranch_vccnz .LBB289_2059
; %bb.1745:
	s_bfe_u32 s0, s16, 0x80008
	s_lshr_b32 s1, s14, 16
	s_and_b32 s14, s1, 0xff
	v_max_i16_sdwa v1, sext(v12), s15 dst_sel:DWORD dst_unused:UNUSED_PAD src0_sel:BYTE_0 src1_sel:DWORD
	s_bfe_i32 s16, s0, 0x80000
	v_mov_b32_e32 v5, 0
	v_min_i16_e32 v1, s16, v1
	s_cmp_lt_i32 s14, 11
	v_lshl_add_u64 v[4:5], s[4:5], 0, v[4:5]
	s_cbranch_scc1 .LBB289_1823
; %bb.1746:
	s_and_b32 s17, 0xffff, s14
	s_mov_b64 s[10:11], -1
	s_mov_b64 s[6:7], 0
	s_cmp_gt_i32 s17, 25
	s_mov_b64 s[8:9], 0
	s_mov_b64 s[0:1], 0
	s_cbranch_scc0 .LBB289_1779
; %bb.1747:
	s_cmp_gt_i32 s17, 28
	s_cbranch_scc0 .LBB289_1762
; %bb.1748:
	s_cmp_gt_i32 s17, 43
	;; [unrolled: 3-line block ×3, first 2 shown]
	s_cbranch_scc0 .LBB289_1752
; %bb.1750:
	s_mov_b64 s[0:1], -1
	s_mov_b64 s[10:11], 0
	s_cmp_eq_u32 s17, 46
	s_cbranch_scc0 .LBB289_1752
; %bb.1751:
	v_cvt_f32_i32_sdwa v3, sext(v1) dst_sel:DWORD dst_unused:UNUSED_PAD src0_sel:WORD_0
	s_movk_i32 s8, 0x7fff
	s_mov_b64 s[0:1], 0
	v_bfe_u32 v6, v3, 16, 1
	v_add3_u32 v3, v3, v6, s8
	v_lshrrev_b32_e32 v3, 16, v3
	global_store_dword v[4:5], v3, off
	s_mov_b64 s[8:9], -1
.LBB289_1752:
	s_and_b64 vcc, exec, s[10:11]
	s_cbranch_vccz .LBB289_1757
; %bb.1753:
	s_cmp_eq_u32 s17, 44
	s_mov_b64 s[0:1], -1
	s_cbranch_scc0 .LBB289_1757
; %bb.1754:
	v_cvt_f32_i32_sdwa v3, sext(v1) dst_sel:DWORD dst_unused:UNUSED_PAD src0_sel:WORD_0
	s_movk_i32 s0, 0xff
	v_mov_b32_e32 v7, 0xff
	v_bfe_u32 v6, v3, 23, 8
	v_cmp_ne_u32_e32 vcc, s0, v6
	s_and_saveexec_b64 s[8:9], vcc
; %bb.1755:
	s_mov_b32 s0, 0x3fffff
	v_lshrrev_b32_e32 v7, 23, v3
	v_and_b32_e32 v9, 0x400000, v3
	v_and_or_b32 v3, v3, s0, v6
	v_cmp_ne_u32_e32 vcc, 0, v9
	v_cmp_ne_u32_e64 s[0:1], 0, v3
	s_and_b64 s[0:1], vcc, s[0:1]
	s_nop 0
	v_cndmask_b32_e64 v3, 0, 1, s[0:1]
	v_add_u32_e32 v7, v7, v3
; %bb.1756:
	s_or_b64 exec, exec, s[8:9]
	s_mov_b64 s[0:1], 0
	s_mov_b64 s[8:9], -1
	global_store_byte v[4:5], v7, off
.LBB289_1757:
	s_mov_b64 s[10:11], 0
.LBB289_1758:
	s_and_b64 vcc, exec, s[10:11]
	s_cbranch_vccz .LBB289_1761
; %bb.1759:
	s_cmp_eq_u32 s17, 29
	s_mov_b64 s[0:1], -1
	s_cbranch_scc0 .LBB289_1761
; %bb.1760:
	v_bfe_i32 v6, v1, 0, 16
	v_ashrrev_i32_e32 v7, 31, v6
	global_store_dwordx2 v[4:5], v[6:7], off
	s_mov_b64 s[0:1], 0
	s_mov_b64 s[8:9], -1
.LBB289_1761:
	s_mov_b64 s[10:11], 0
.LBB289_1762:
	s_and_b64 vcc, exec, s[10:11]
	s_cbranch_vccz .LBB289_1778
; %bb.1763:
	s_cmp_lt_i32 s17, 27
	s_mov_b64 s[8:9], -1
	s_cbranch_scc1 .LBB289_1769
; %bb.1764:
	s_cmp_gt_i32 s17, 27
	s_cbranch_scc0 .LBB289_1766
; %bb.1765:
	v_bfe_i32 v3, v1, 0, 16
	s_mov_b64 s[8:9], 0
	global_store_dword v[4:5], v3, off
.LBB289_1766:
	s_andn2_b64 vcc, exec, s[8:9]
	s_cbranch_vccnz .LBB289_1768
; %bb.1767:
	global_store_short v[4:5], v1, off
.LBB289_1768:
	s_mov_b64 s[8:9], 0
.LBB289_1769:
	s_andn2_b64 vcc, exec, s[8:9]
	s_cbranch_vccnz .LBB289_1777
; %bb.1770:
	v_cvt_f32_i32_sdwa v3, sext(v1) dst_sel:DWORD dst_unused:UNUSED_PAD src0_sel:WORD_0
	s_mov_b32 s8, 0x43800000
	v_mov_b32_e32 v7, 0x80
	v_and_b32_e32 v6, 0x7fffffff, v3
	v_cmp_gt_u32_e32 vcc, s8, v6
	s_and_saveexec_b64 s[8:9], vcc
	s_cbranch_execz .LBB289_1776
; %bb.1771:
	s_mov_b32 s10, 0x3bffffff
	v_cmp_lt_u32_e32 vcc, s10, v6
	s_mov_b64 s[10:11], 0
                                        ; implicit-def: $vgpr6
	s_and_saveexec_b64 s[12:13], vcc
	s_xor_b64 s[12:13], exec, s[12:13]
	s_cbranch_execz .LBB289_2111
; %bb.1772:
	v_bfe_u32 v6, v3, 20, 1
	s_mov_b32 s18, 0x487ffff
	v_add3_u32 v6, v3, v6, s18
	s_mov_b64 s[10:11], exec
	v_lshrrev_b32_e32 v6, 20, v6
	s_andn2_saveexec_b64 s[12:13], s[12:13]
	s_cbranch_execnz .LBB289_2112
.LBB289_1773:
	s_or_b64 exec, exec, s[12:13]
	v_mov_b32_e32 v7, 0
	s_and_saveexec_b64 s[12:13], s[10:11]
.LBB289_1774:
	v_lshrrev_b32_e32 v3, 24, v3
	s_movk_i32 s10, 0x80
	v_and_or_b32 v7, v3, s10, v6
.LBB289_1775:
	s_or_b64 exec, exec, s[12:13]
.LBB289_1776:
	s_or_b64 exec, exec, s[8:9]
	global_store_byte v[4:5], v7, off
.LBB289_1777:
	s_mov_b64 s[8:9], -1
.LBB289_1778:
	s_mov_b64 s[10:11], 0
.LBB289_1779:
	s_and_b64 vcc, exec, s[10:11]
	s_cbranch_vccz .LBB289_1819
; %bb.1780:
	s_cmp_gt_i32 s17, 22
	s_mov_b64 s[6:7], -1
	s_cbranch_scc0 .LBB289_1812
; %bb.1781:
	s_cmp_lt_i32 s17, 24
	s_cbranch_scc1 .LBB289_1801
; %bb.1782:
	s_cmp_gt_i32 s17, 24
	s_cbranch_scc0 .LBB289_1790
; %bb.1783:
	v_cvt_f32_i32_sdwa v3, sext(v1) dst_sel:DWORD dst_unused:UNUSED_PAD src0_sel:WORD_0
	s_mov_b32 s6, 0x47800000
	v_mov_b32_e32 v7, 0x80
	v_and_b32_e32 v6, 0x7fffffff, v3
	v_cmp_gt_u32_e32 vcc, s6, v6
	s_and_saveexec_b64 s[6:7], vcc
	s_cbranch_execz .LBB289_1789
; %bb.1784:
	s_mov_b32 s8, 0x37ffffff
	v_cmp_lt_u32_e32 vcc, s8, v6
	s_mov_b64 s[8:9], 0
                                        ; implicit-def: $vgpr6
	s_and_saveexec_b64 s[10:11], vcc
	s_xor_b64 s[10:11], exec, s[10:11]
	s_cbranch_execz .LBB289_2114
; %bb.1785:
	v_bfe_u32 v6, v3, 21, 1
	s_mov_b32 s12, 0x88fffff
	v_add3_u32 v6, v3, v6, s12
	s_mov_b64 s[8:9], exec
	v_lshrrev_b32_e32 v6, 21, v6
	s_andn2_saveexec_b64 s[10:11], s[10:11]
	s_cbranch_execnz .LBB289_2115
.LBB289_1786:
	s_or_b64 exec, exec, s[10:11]
	v_mov_b32_e32 v7, 0
	s_and_saveexec_b64 s[10:11], s[8:9]
.LBB289_1787:
	v_lshrrev_b32_e32 v3, 24, v3
	s_movk_i32 s8, 0x80
	v_and_or_b32 v7, v3, s8, v6
.LBB289_1788:
	s_or_b64 exec, exec, s[10:11]
.LBB289_1789:
	s_or_b64 exec, exec, s[6:7]
	s_mov_b64 s[6:7], 0
	global_store_byte v[4:5], v7, off
.LBB289_1790:
	s_and_b64 vcc, exec, s[6:7]
	s_cbranch_vccz .LBB289_1800
; %bb.1791:
	v_cvt_f32_i32_sdwa v3, sext(v1) dst_sel:DWORD dst_unused:UNUSED_PAD src0_sel:WORD_0
	s_mov_b32 s6, 0x43f00000
                                        ; implicit-def: $vgpr6
	v_and_b32_e32 v7, 0x7fffffff, v3
	v_cmp_gt_u32_e32 vcc, s6, v7
	s_and_saveexec_b64 s[6:7], vcc
	s_xor_b64 s[6:7], exec, s[6:7]
	s_cbranch_execz .LBB289_1797
; %bb.1792:
	s_mov_b32 s8, 0x3c7fffff
	v_cmp_lt_u32_e32 vcc, s8, v7
                                        ; implicit-def: $vgpr6
	s_and_saveexec_b64 s[8:9], vcc
	s_xor_b64 s[8:9], exec, s[8:9]
; %bb.1793:
	v_bfe_u32 v6, v3, 20, 1
	s_mov_b32 s10, 0x407ffff
	v_add3_u32 v6, v3, v6, s10
	v_lshrrev_b32_e32 v7, 20, v6
	v_and_b32_e32 v6, 0xff00000, v6
	s_mov_b32 s10, 0x7f00000
	v_mov_b32_e32 v9, 0x7e
	v_cmp_ne_u32_e32 vcc, s10, v6
	s_nop 1
	v_cndmask_b32_e32 v6, v9, v7, vcc
; %bb.1794:
	s_andn2_saveexec_b64 s[8:9], s[8:9]
; %bb.1795:
	s_mov_b32 s10, 0x46800000
	v_add_f32_e64 v6, |v3|, s10
; %bb.1796:
	s_or_b64 exec, exec, s[8:9]
                                        ; implicit-def: $vgpr7
.LBB289_1797:
	s_andn2_saveexec_b64 s[6:7], s[6:7]
; %bb.1798:
	s_mov_b32 s8, 0x7f800000
	v_mov_b32_e32 v6, 0x7e
	v_mov_b32_e32 v9, 0x7f
	v_cmp_lt_u32_e32 vcc, s8, v7
	s_nop 1
	v_cndmask_b32_e32 v6, v6, v9, vcc
; %bb.1799:
	s_or_b64 exec, exec, s[6:7]
	v_lshrrev_b32_e32 v3, 24, v3
	s_movk_i32 s6, 0x80
	v_and_or_b32 v3, v3, s6, v6
	global_store_byte v[4:5], v3, off
.LBB289_1800:
	s_mov_b64 s[6:7], 0
.LBB289_1801:
	s_andn2_b64 vcc, exec, s[6:7]
	s_cbranch_vccnz .LBB289_1811
; %bb.1802:
	v_cvt_f32_i32_sdwa v3, sext(v1) dst_sel:DWORD dst_unused:UNUSED_PAD src0_sel:WORD_0
	s_mov_b32 s6, 0x47800000
                                        ; implicit-def: $vgpr6
	v_and_b32_e32 v7, 0x7fffffff, v3
	v_cmp_gt_u32_e32 vcc, s6, v7
	s_and_saveexec_b64 s[6:7], vcc
	s_xor_b64 s[6:7], exec, s[6:7]
	s_cbranch_execz .LBB289_1808
; %bb.1803:
	s_mov_b32 s8, 0x387fffff
	v_cmp_lt_u32_e32 vcc, s8, v7
                                        ; implicit-def: $vgpr6
	s_and_saveexec_b64 s[8:9], vcc
	s_xor_b64 s[8:9], exec, s[8:9]
; %bb.1804:
	v_bfe_u32 v6, v3, 21, 1
	s_mov_b32 s10, 0x80fffff
	v_add3_u32 v6, v3, v6, s10
	v_lshrrev_b32_e32 v6, 21, v6
; %bb.1805:
	s_andn2_saveexec_b64 s[8:9], s[8:9]
; %bb.1806:
	s_mov_b32 s10, 0x43000000
	v_add_f32_e64 v6, |v3|, s10
; %bb.1807:
	s_or_b64 exec, exec, s[8:9]
                                        ; implicit-def: $vgpr7
.LBB289_1808:
	s_andn2_saveexec_b64 s[6:7], s[6:7]
; %bb.1809:
	s_mov_b32 s8, 0x7f800000
	v_mov_b32_e32 v6, 0x7c
	v_mov_b32_e32 v9, 0x7f
	v_cmp_lt_u32_e32 vcc, s8, v7
	s_nop 1
	v_cndmask_b32_e32 v6, v6, v9, vcc
; %bb.1810:
	s_or_b64 exec, exec, s[6:7]
	v_lshrrev_b32_e32 v3, 24, v3
	s_movk_i32 s6, 0x80
	v_and_or_b32 v3, v3, s6, v6
	global_store_byte v[4:5], v3, off
.LBB289_1811:
	s_mov_b64 s[6:7], 0
	s_mov_b64 s[8:9], -1
.LBB289_1812:
	s_andn2_b64 vcc, exec, s[6:7]
	s_mov_b64 s[6:7], 0
	s_cbranch_vccnz .LBB289_1819
; %bb.1813:
	s_cmp_gt_i32 s17, 14
	s_mov_b64 s[10:11], -1
	s_cbranch_scc0 .LBB289_1817
; %bb.1814:
	s_cmp_eq_u32 s17, 15
	s_mov_b64 s[0:1], -1
	s_cbranch_scc0 .LBB289_1816
; %bb.1815:
	v_cvt_f32_i32_sdwa v3, sext(v1) dst_sel:DWORD dst_unused:UNUSED_PAD src0_sel:WORD_0
	s_movk_i32 s6, 0x7fff
	s_mov_b64 s[0:1], 0
	s_mov_b64 s[8:9], -1
	v_bfe_u32 v6, v3, 16, 1
	v_add3_u32 v3, v3, v6, s6
	global_store_short_d16_hi v[4:5], v3, off
.LBB289_1816:
	s_mov_b64 s[10:11], 0
.LBB289_1817:
	s_mov_b64 s[6:7], 0
	s_and_b64 vcc, exec, s[10:11]
	s_cbranch_vccz .LBB289_1819
; %bb.1818:
	s_cmp_lg_u32 s17, 11
	s_mov_b64 s[6:7], -1
	s_cselect_b64 s[0:1], -1, 0
.LBB289_1819:
	s_and_b64 vcc, exec, s[0:1]
	s_cbranch_vccnz .LBB289_2113
; %bb.1820:
	s_andn2_b64 vcc, exec, s[6:7]
	s_cbranch_vccnz .LBB289_1822
.LBB289_1821:
	v_cmp_ne_u16_e32 vcc, 0, v1
	s_mov_b64 s[8:9], -1
	s_nop 0
	v_cndmask_b32_e64 v3, 0, 1, vcc
	global_store_byte v[4:5], v3, off
.LBB289_1822:
	s_mov_b64 s[0:1], 0
	s_branch .LBB289_1824
.LBB289_1823:
	s_mov_b64 s[0:1], -1
	s_mov_b64 s[8:9], 0
.LBB289_1824:
	s_and_b64 vcc, exec, s[0:1]
	s_cbranch_vccz .LBB289_1863
; %bb.1825:
	s_and_b32 s6, 0xffff, s14
	s_cmp_lt_i32 s6, 5
	s_mov_b64 s[0:1], -1
	s_cbranch_scc1 .LBB289_1846
; %bb.1826:
	s_cmp_lt_i32 s6, 8
	s_cbranch_scc1 .LBB289_1836
; %bb.1827:
	s_cmp_lt_i32 s6, 9
	s_cbranch_scc1 .LBB289_1833
; %bb.1828:
	s_cmp_gt_i32 s6, 9
	s_cbranch_scc0 .LBB289_1830
; %bb.1829:
	v_bfe_i32 v3, v1, 0, 16
	v_mov_b32_e32 v14, 0
	v_cvt_f64_i32_e32 v[12:13], v3
	v_mov_b32_e32 v15, v14
	global_store_dwordx4 v[4:5], v[12:15], off
	s_mov_b64 s[0:1], 0
.LBB289_1830:
	s_andn2_b64 vcc, exec, s[0:1]
	s_cbranch_vccnz .LBB289_1832
; %bb.1831:
	v_cvt_f32_i32_sdwa v6, sext(v1) dst_sel:DWORD dst_unused:UNUSED_PAD src0_sel:WORD_0
	v_mov_b32_e32 v7, 0
	global_store_dwordx2 v[4:5], v[6:7], off
.LBB289_1832:
	s_mov_b64 s[0:1], 0
.LBB289_1833:
	s_andn2_b64 vcc, exec, s[0:1]
	s_cbranch_vccnz .LBB289_1835
; %bb.1834:
	v_cvt_f16_i16_e32 v3, v1
	global_store_dword v[4:5], v3, off
.LBB289_1835:
	s_mov_b64 s[0:1], 0
.LBB289_1836:
	s_andn2_b64 vcc, exec, s[0:1]
	s_cbranch_vccnz .LBB289_1845
; %bb.1837:
	s_cmp_lt_i32 s6, 6
	s_mov_b64 s[0:1], -1
	s_cbranch_scc1 .LBB289_1843
; %bb.1838:
	s_cmp_gt_i32 s6, 6
	s_cbranch_scc0 .LBB289_1840
; %bb.1839:
	v_bfe_i32 v3, v1, 0, 16
	v_cvt_f64_i32_e32 v[6:7], v3
	global_store_dwordx2 v[4:5], v[6:7], off
	s_mov_b64 s[0:1], 0
.LBB289_1840:
	s_andn2_b64 vcc, exec, s[0:1]
	s_cbranch_vccnz .LBB289_1842
; %bb.1841:
	v_cvt_f32_i32_sdwa v3, sext(v1) dst_sel:DWORD dst_unused:UNUSED_PAD src0_sel:WORD_0
	global_store_dword v[4:5], v3, off
.LBB289_1842:
	s_mov_b64 s[0:1], 0
.LBB289_1843:
	s_andn2_b64 vcc, exec, s[0:1]
	s_cbranch_vccnz .LBB289_1845
; %bb.1844:
	v_cvt_f16_i16_e32 v3, v1
	global_store_short v[4:5], v3, off
.LBB289_1845:
	s_mov_b64 s[0:1], 0
.LBB289_1846:
	s_andn2_b64 vcc, exec, s[0:1]
	s_cbranch_vccnz .LBB289_1862
; %bb.1847:
	s_cmp_lt_i32 s6, 2
	s_mov_b64 s[0:1], -1
	s_cbranch_scc1 .LBB289_1857
; %bb.1848:
	s_cmp_lt_i32 s6, 3
	s_cbranch_scc1 .LBB289_1854
; %bb.1849:
	s_cmp_gt_i32 s6, 3
	s_cbranch_scc0 .LBB289_1851
; %bb.1850:
	v_bfe_i32 v6, v1, 0, 16
	v_ashrrev_i32_e32 v7, 31, v6
	global_store_dwordx2 v[4:5], v[6:7], off
	s_mov_b64 s[0:1], 0
.LBB289_1851:
	s_andn2_b64 vcc, exec, s[0:1]
	s_cbranch_vccnz .LBB289_1853
; %bb.1852:
	v_bfe_i32 v3, v1, 0, 16
	global_store_dword v[4:5], v3, off
.LBB289_1853:
	s_mov_b64 s[0:1], 0
.LBB289_1854:
	s_andn2_b64 vcc, exec, s[0:1]
	s_cbranch_vccnz .LBB289_1856
; %bb.1855:
	global_store_short v[4:5], v1, off
.LBB289_1856:
	s_mov_b64 s[0:1], 0
.LBB289_1857:
	s_andn2_b64 vcc, exec, s[0:1]
	s_cbranch_vccnz .LBB289_1862
; %bb.1858:
	s_cmp_gt_i32 s6, 0
	s_mov_b64 s[0:1], -1
	s_cbranch_scc0 .LBB289_1860
; %bb.1859:
	global_store_byte v[4:5], v1, off
	s_mov_b64 s[0:1], 0
.LBB289_1860:
	s_andn2_b64 vcc, exec, s[0:1]
	s_cbranch_vccnz .LBB289_1862
; %bb.1861:
	global_store_byte v[4:5], v1, off
.LBB289_1862:
	s_mov_b64 s[8:9], -1
.LBB289_1863:
	s_andn2_b64 vcc, exec, s[8:9]
	s_cbranch_vccnz .LBB289_2059
; %bb.1864:
	v_max_i16_sdwa v1, sext(v10), s15 dst_sel:DWORD dst_unused:UNUSED_PAD src0_sel:BYTE_0 src1_sel:DWORD
	v_mov_b32_e32 v3, 0
	v_min_i16_e32 v1, s16, v1
	s_cmp_lt_i32 s14, 11
	v_lshl_add_u64 v[2:3], s[4:5], 0, v[2:3]
	s_cbranch_scc1 .LBB289_1942
; %bb.1865:
	s_and_b32 s17, 0xffff, s14
	s_mov_b64 s[10:11], -1
	s_mov_b64 s[6:7], 0
	s_cmp_gt_i32 s17, 25
	s_mov_b64 s[8:9], 0
	s_mov_b64 s[0:1], 0
	s_cbranch_scc0 .LBB289_1898
; %bb.1866:
	s_cmp_gt_i32 s17, 28
	s_cbranch_scc0 .LBB289_1881
; %bb.1867:
	s_cmp_gt_i32 s17, 43
	;; [unrolled: 3-line block ×3, first 2 shown]
	s_cbranch_scc0 .LBB289_1871
; %bb.1869:
	s_mov_b64 s[0:1], -1
	s_mov_b64 s[10:11], 0
	s_cmp_eq_u32 s17, 46
	s_cbranch_scc0 .LBB289_1871
; %bb.1870:
	v_cvt_f32_i32_sdwa v4, sext(v1) dst_sel:DWORD dst_unused:UNUSED_PAD src0_sel:WORD_0
	s_movk_i32 s8, 0x7fff
	s_mov_b64 s[0:1], 0
	v_bfe_u32 v5, v4, 16, 1
	v_add3_u32 v4, v4, v5, s8
	v_lshrrev_b32_e32 v4, 16, v4
	global_store_dword v[2:3], v4, off
	s_mov_b64 s[8:9], -1
.LBB289_1871:
	s_and_b64 vcc, exec, s[10:11]
	s_cbranch_vccz .LBB289_1876
; %bb.1872:
	s_cmp_eq_u32 s17, 44
	s_mov_b64 s[0:1], -1
	s_cbranch_scc0 .LBB289_1876
; %bb.1873:
	v_cvt_f32_i32_sdwa v4, sext(v1) dst_sel:DWORD dst_unused:UNUSED_PAD src0_sel:WORD_0
	s_movk_i32 s0, 0xff
	v_mov_b32_e32 v6, 0xff
	v_bfe_u32 v5, v4, 23, 8
	v_cmp_ne_u32_e32 vcc, s0, v5
	s_and_saveexec_b64 s[8:9], vcc
; %bb.1874:
	s_mov_b32 s0, 0x3fffff
	v_lshrrev_b32_e32 v6, 23, v4
	v_and_b32_e32 v7, 0x400000, v4
	v_and_or_b32 v4, v4, s0, v5
	v_cmp_ne_u32_e32 vcc, 0, v7
	v_cmp_ne_u32_e64 s[0:1], 0, v4
	s_and_b64 s[0:1], vcc, s[0:1]
	s_nop 0
	v_cndmask_b32_e64 v4, 0, 1, s[0:1]
	v_add_u32_e32 v6, v6, v4
; %bb.1875:
	s_or_b64 exec, exec, s[8:9]
	s_mov_b64 s[0:1], 0
	s_mov_b64 s[8:9], -1
	global_store_byte v[2:3], v6, off
.LBB289_1876:
	s_mov_b64 s[10:11], 0
.LBB289_1877:
	s_and_b64 vcc, exec, s[10:11]
	s_cbranch_vccz .LBB289_1880
; %bb.1878:
	s_cmp_eq_u32 s17, 29
	s_mov_b64 s[0:1], -1
	s_cbranch_scc0 .LBB289_1880
; %bb.1879:
	v_bfe_i32 v4, v1, 0, 16
	v_ashrrev_i32_e32 v5, 31, v4
	global_store_dwordx2 v[2:3], v[4:5], off
	s_mov_b64 s[0:1], 0
	s_mov_b64 s[8:9], -1
.LBB289_1880:
	s_mov_b64 s[10:11], 0
.LBB289_1881:
	s_and_b64 vcc, exec, s[10:11]
	s_cbranch_vccz .LBB289_1897
; %bb.1882:
	s_cmp_lt_i32 s17, 27
	s_mov_b64 s[8:9], -1
	s_cbranch_scc1 .LBB289_1888
; %bb.1883:
	s_cmp_gt_i32 s17, 27
	s_cbranch_scc0 .LBB289_1885
; %bb.1884:
	v_bfe_i32 v4, v1, 0, 16
	s_mov_b64 s[8:9], 0
	global_store_dword v[2:3], v4, off
.LBB289_1885:
	s_andn2_b64 vcc, exec, s[8:9]
	s_cbranch_vccnz .LBB289_1887
; %bb.1886:
	global_store_short v[2:3], v1, off
.LBB289_1887:
	s_mov_b64 s[8:9], 0
.LBB289_1888:
	s_andn2_b64 vcc, exec, s[8:9]
	s_cbranch_vccnz .LBB289_1896
; %bb.1889:
	v_cvt_f32_i32_sdwa v4, sext(v1) dst_sel:DWORD dst_unused:UNUSED_PAD src0_sel:WORD_0
	s_mov_b32 s8, 0x43800000
	v_mov_b32_e32 v6, 0x80
	v_and_b32_e32 v5, 0x7fffffff, v4
	v_cmp_gt_u32_e32 vcc, s8, v5
	s_and_saveexec_b64 s[8:9], vcc
	s_cbranch_execz .LBB289_1895
; %bb.1890:
	s_mov_b32 s10, 0x3bffffff
	v_cmp_lt_u32_e32 vcc, s10, v5
	s_mov_b64 s[10:11], 0
                                        ; implicit-def: $vgpr5
	s_and_saveexec_b64 s[12:13], vcc
	s_xor_b64 s[12:13], exec, s[12:13]
	s_cbranch_execz .LBB289_2116
; %bb.1891:
	v_bfe_u32 v5, v4, 20, 1
	s_mov_b32 s18, 0x487ffff
	v_add3_u32 v5, v4, v5, s18
	s_mov_b64 s[10:11], exec
	v_lshrrev_b32_e32 v5, 20, v5
	s_andn2_saveexec_b64 s[12:13], s[12:13]
	s_cbranch_execnz .LBB289_2117
.LBB289_1892:
	s_or_b64 exec, exec, s[12:13]
	v_mov_b32_e32 v6, 0
	s_and_saveexec_b64 s[12:13], s[10:11]
.LBB289_1893:
	v_lshrrev_b32_e32 v4, 24, v4
	s_movk_i32 s10, 0x80
	v_and_or_b32 v6, v4, s10, v5
.LBB289_1894:
	s_or_b64 exec, exec, s[12:13]
.LBB289_1895:
	s_or_b64 exec, exec, s[8:9]
	global_store_byte v[2:3], v6, off
.LBB289_1896:
	s_mov_b64 s[8:9], -1
.LBB289_1897:
	s_mov_b64 s[10:11], 0
.LBB289_1898:
	s_and_b64 vcc, exec, s[10:11]
	s_cbranch_vccz .LBB289_1938
; %bb.1899:
	s_cmp_gt_i32 s17, 22
	s_mov_b64 s[6:7], -1
	s_cbranch_scc0 .LBB289_1931
; %bb.1900:
	s_cmp_lt_i32 s17, 24
	s_cbranch_scc1 .LBB289_1920
; %bb.1901:
	s_cmp_gt_i32 s17, 24
	s_cbranch_scc0 .LBB289_1909
; %bb.1902:
	v_cvt_f32_i32_sdwa v4, sext(v1) dst_sel:DWORD dst_unused:UNUSED_PAD src0_sel:WORD_0
	s_mov_b32 s6, 0x47800000
	v_mov_b32_e32 v6, 0x80
	v_and_b32_e32 v5, 0x7fffffff, v4
	v_cmp_gt_u32_e32 vcc, s6, v5
	s_and_saveexec_b64 s[6:7], vcc
	s_cbranch_execz .LBB289_1908
; %bb.1903:
	s_mov_b32 s8, 0x37ffffff
	v_cmp_lt_u32_e32 vcc, s8, v5
	s_mov_b64 s[8:9], 0
                                        ; implicit-def: $vgpr5
	s_and_saveexec_b64 s[10:11], vcc
	s_xor_b64 s[10:11], exec, s[10:11]
	s_cbranch_execz .LBB289_2119
; %bb.1904:
	v_bfe_u32 v5, v4, 21, 1
	s_mov_b32 s12, 0x88fffff
	v_add3_u32 v5, v4, v5, s12
	s_mov_b64 s[8:9], exec
	v_lshrrev_b32_e32 v5, 21, v5
	s_andn2_saveexec_b64 s[10:11], s[10:11]
	s_cbranch_execnz .LBB289_2120
.LBB289_1905:
	s_or_b64 exec, exec, s[10:11]
	v_mov_b32_e32 v6, 0
	s_and_saveexec_b64 s[10:11], s[8:9]
.LBB289_1906:
	v_lshrrev_b32_e32 v4, 24, v4
	s_movk_i32 s8, 0x80
	v_and_or_b32 v6, v4, s8, v5
.LBB289_1907:
	s_or_b64 exec, exec, s[10:11]
.LBB289_1908:
	s_or_b64 exec, exec, s[6:7]
	s_mov_b64 s[6:7], 0
	global_store_byte v[2:3], v6, off
.LBB289_1909:
	s_and_b64 vcc, exec, s[6:7]
	s_cbranch_vccz .LBB289_1919
; %bb.1910:
	v_cvt_f32_i32_sdwa v4, sext(v1) dst_sel:DWORD dst_unused:UNUSED_PAD src0_sel:WORD_0
	s_mov_b32 s6, 0x43f00000
                                        ; implicit-def: $vgpr5
	v_and_b32_e32 v6, 0x7fffffff, v4
	v_cmp_gt_u32_e32 vcc, s6, v6
	s_and_saveexec_b64 s[6:7], vcc
	s_xor_b64 s[6:7], exec, s[6:7]
	s_cbranch_execz .LBB289_1916
; %bb.1911:
	s_mov_b32 s8, 0x3c7fffff
	v_cmp_lt_u32_e32 vcc, s8, v6
                                        ; implicit-def: $vgpr5
	s_and_saveexec_b64 s[8:9], vcc
	s_xor_b64 s[8:9], exec, s[8:9]
; %bb.1912:
	v_bfe_u32 v5, v4, 20, 1
	s_mov_b32 s10, 0x407ffff
	v_add3_u32 v5, v4, v5, s10
	v_lshrrev_b32_e32 v6, 20, v5
	v_and_b32_e32 v5, 0xff00000, v5
	s_mov_b32 s10, 0x7f00000
	v_mov_b32_e32 v7, 0x7e
	v_cmp_ne_u32_e32 vcc, s10, v5
	s_nop 1
	v_cndmask_b32_e32 v5, v7, v6, vcc
; %bb.1913:
	s_andn2_saveexec_b64 s[8:9], s[8:9]
; %bb.1914:
	s_mov_b32 s10, 0x46800000
	v_add_f32_e64 v5, |v4|, s10
; %bb.1915:
	s_or_b64 exec, exec, s[8:9]
                                        ; implicit-def: $vgpr6
.LBB289_1916:
	s_andn2_saveexec_b64 s[6:7], s[6:7]
; %bb.1917:
	s_mov_b32 s8, 0x7f800000
	v_mov_b32_e32 v5, 0x7e
	v_mov_b32_e32 v7, 0x7f
	v_cmp_lt_u32_e32 vcc, s8, v6
	s_nop 1
	v_cndmask_b32_e32 v5, v5, v7, vcc
; %bb.1918:
	s_or_b64 exec, exec, s[6:7]
	v_lshrrev_b32_e32 v4, 24, v4
	s_movk_i32 s6, 0x80
	v_and_or_b32 v4, v4, s6, v5
	global_store_byte v[2:3], v4, off
.LBB289_1919:
	s_mov_b64 s[6:7], 0
.LBB289_1920:
	s_andn2_b64 vcc, exec, s[6:7]
	s_cbranch_vccnz .LBB289_1930
; %bb.1921:
	v_cvt_f32_i32_sdwa v4, sext(v1) dst_sel:DWORD dst_unused:UNUSED_PAD src0_sel:WORD_0
	s_mov_b32 s6, 0x47800000
                                        ; implicit-def: $vgpr5
	v_and_b32_e32 v6, 0x7fffffff, v4
	v_cmp_gt_u32_e32 vcc, s6, v6
	s_and_saveexec_b64 s[6:7], vcc
	s_xor_b64 s[6:7], exec, s[6:7]
	s_cbranch_execz .LBB289_1927
; %bb.1922:
	s_mov_b32 s8, 0x387fffff
	v_cmp_lt_u32_e32 vcc, s8, v6
                                        ; implicit-def: $vgpr5
	s_and_saveexec_b64 s[8:9], vcc
	s_xor_b64 s[8:9], exec, s[8:9]
; %bb.1923:
	v_bfe_u32 v5, v4, 21, 1
	s_mov_b32 s10, 0x80fffff
	v_add3_u32 v5, v4, v5, s10
	v_lshrrev_b32_e32 v5, 21, v5
; %bb.1924:
	s_andn2_saveexec_b64 s[8:9], s[8:9]
; %bb.1925:
	s_mov_b32 s10, 0x43000000
	v_add_f32_e64 v5, |v4|, s10
; %bb.1926:
	s_or_b64 exec, exec, s[8:9]
                                        ; implicit-def: $vgpr6
.LBB289_1927:
	s_andn2_saveexec_b64 s[6:7], s[6:7]
; %bb.1928:
	s_mov_b32 s8, 0x7f800000
	v_mov_b32_e32 v5, 0x7c
	v_mov_b32_e32 v7, 0x7f
	v_cmp_lt_u32_e32 vcc, s8, v6
	s_nop 1
	v_cndmask_b32_e32 v5, v5, v7, vcc
; %bb.1929:
	s_or_b64 exec, exec, s[6:7]
	v_lshrrev_b32_e32 v4, 24, v4
	s_movk_i32 s6, 0x80
	v_and_or_b32 v4, v4, s6, v5
	global_store_byte v[2:3], v4, off
.LBB289_1930:
	s_mov_b64 s[6:7], 0
	s_mov_b64 s[8:9], -1
.LBB289_1931:
	s_andn2_b64 vcc, exec, s[6:7]
	s_mov_b64 s[6:7], 0
	s_cbranch_vccnz .LBB289_1938
; %bb.1932:
	s_cmp_gt_i32 s17, 14
	s_mov_b64 s[10:11], -1
	s_cbranch_scc0 .LBB289_1936
; %bb.1933:
	s_cmp_eq_u32 s17, 15
	s_mov_b64 s[0:1], -1
	s_cbranch_scc0 .LBB289_1935
; %bb.1934:
	v_cvt_f32_i32_sdwa v4, sext(v1) dst_sel:DWORD dst_unused:UNUSED_PAD src0_sel:WORD_0
	s_movk_i32 s6, 0x7fff
	s_mov_b64 s[0:1], 0
	s_mov_b64 s[8:9], -1
	v_bfe_u32 v5, v4, 16, 1
	v_add3_u32 v4, v4, v5, s6
	global_store_short_d16_hi v[2:3], v4, off
.LBB289_1935:
	s_mov_b64 s[10:11], 0
.LBB289_1936:
	s_mov_b64 s[6:7], 0
	s_and_b64 vcc, exec, s[10:11]
	s_cbranch_vccz .LBB289_1938
; %bb.1937:
	s_cmp_lg_u32 s17, 11
	s_mov_b64 s[6:7], -1
	s_cselect_b64 s[0:1], -1, 0
.LBB289_1938:
	s_and_b64 vcc, exec, s[0:1]
	s_cbranch_vccnz .LBB289_2118
; %bb.1939:
	s_andn2_b64 vcc, exec, s[6:7]
	s_cbranch_vccnz .LBB289_1941
.LBB289_1940:
	v_cmp_ne_u16_e32 vcc, 0, v1
	s_mov_b64 s[8:9], -1
	s_nop 0
	v_cndmask_b32_e64 v4, 0, 1, vcc
	global_store_byte v[2:3], v4, off
.LBB289_1941:
	s_mov_b64 s[0:1], 0
	s_branch .LBB289_1943
.LBB289_1942:
	s_mov_b64 s[0:1], -1
	s_mov_b64 s[8:9], 0
.LBB289_1943:
	s_and_b64 vcc, exec, s[0:1]
	s_cbranch_vccz .LBB289_1982
; %bb.1944:
	s_and_b32 s6, 0xffff, s14
	s_cmp_lt_i32 s6, 5
	s_mov_b64 s[0:1], -1
	s_cbranch_scc1 .LBB289_1965
; %bb.1945:
	s_cmp_lt_i32 s6, 8
	s_cbranch_scc1 .LBB289_1955
; %bb.1946:
	s_cmp_lt_i32 s6, 9
	s_cbranch_scc1 .LBB289_1952
; %bb.1947:
	s_cmp_gt_i32 s6, 9
	s_cbranch_scc0 .LBB289_1949
; %bb.1948:
	v_bfe_i32 v4, v1, 0, 16
	v_mov_b32_e32 v6, 0
	v_cvt_f64_i32_e32 v[4:5], v4
	v_mov_b32_e32 v7, v6
	global_store_dwordx4 v[2:3], v[4:7], off
	s_mov_b64 s[0:1], 0
.LBB289_1949:
	s_andn2_b64 vcc, exec, s[0:1]
	s_cbranch_vccnz .LBB289_1951
; %bb.1950:
	v_cvt_f32_i32_sdwa v4, sext(v1) dst_sel:DWORD dst_unused:UNUSED_PAD src0_sel:WORD_0
	v_mov_b32_e32 v5, 0
	global_store_dwordx2 v[2:3], v[4:5], off
.LBB289_1951:
	s_mov_b64 s[0:1], 0
.LBB289_1952:
	s_andn2_b64 vcc, exec, s[0:1]
	s_cbranch_vccnz .LBB289_1954
; %bb.1953:
	v_cvt_f16_i16_e32 v4, v1
	global_store_dword v[2:3], v4, off
.LBB289_1954:
	s_mov_b64 s[0:1], 0
.LBB289_1955:
	s_andn2_b64 vcc, exec, s[0:1]
	s_cbranch_vccnz .LBB289_1964
; %bb.1956:
	s_cmp_lt_i32 s6, 6
	s_mov_b64 s[0:1], -1
	s_cbranch_scc1 .LBB289_1962
; %bb.1957:
	s_cmp_gt_i32 s6, 6
	s_cbranch_scc0 .LBB289_1959
; %bb.1958:
	v_bfe_i32 v4, v1, 0, 16
	v_cvt_f64_i32_e32 v[4:5], v4
	global_store_dwordx2 v[2:3], v[4:5], off
	s_mov_b64 s[0:1], 0
.LBB289_1959:
	s_andn2_b64 vcc, exec, s[0:1]
	s_cbranch_vccnz .LBB289_1961
; %bb.1960:
	v_cvt_f32_i32_sdwa v4, sext(v1) dst_sel:DWORD dst_unused:UNUSED_PAD src0_sel:WORD_0
	global_store_dword v[2:3], v4, off
.LBB289_1961:
	s_mov_b64 s[0:1], 0
.LBB289_1962:
	s_andn2_b64 vcc, exec, s[0:1]
	s_cbranch_vccnz .LBB289_1964
; %bb.1963:
	v_cvt_f16_i16_e32 v4, v1
	global_store_short v[2:3], v4, off
.LBB289_1964:
	s_mov_b64 s[0:1], 0
.LBB289_1965:
	s_andn2_b64 vcc, exec, s[0:1]
	s_cbranch_vccnz .LBB289_1981
; %bb.1966:
	s_cmp_lt_i32 s6, 2
	s_mov_b64 s[0:1], -1
	s_cbranch_scc1 .LBB289_1976
; %bb.1967:
	s_cmp_lt_i32 s6, 3
	s_cbranch_scc1 .LBB289_1973
; %bb.1968:
	s_cmp_gt_i32 s6, 3
	v_bfe_i32 v4, v1, 0, 16
	s_cbranch_scc0 .LBB289_1970
; %bb.1969:
	v_ashrrev_i32_e32 v5, 31, v4
	global_store_dwordx2 v[2:3], v[4:5], off
	s_mov_b64 s[0:1], 0
.LBB289_1970:
	s_andn2_b64 vcc, exec, s[0:1]
	s_cbranch_vccnz .LBB289_1972
; %bb.1971:
	global_store_dword v[2:3], v4, off
.LBB289_1972:
	s_mov_b64 s[0:1], 0
.LBB289_1973:
	s_andn2_b64 vcc, exec, s[0:1]
	s_cbranch_vccnz .LBB289_1975
; %bb.1974:
	global_store_short v[2:3], v1, off
.LBB289_1975:
	s_mov_b64 s[0:1], 0
.LBB289_1976:
	s_andn2_b64 vcc, exec, s[0:1]
	s_cbranch_vccnz .LBB289_1981
; %bb.1977:
	s_cmp_gt_i32 s6, 0
	s_mov_b64 s[0:1], -1
	s_cbranch_scc0 .LBB289_1979
; %bb.1978:
	global_store_byte v[2:3], v1, off
	s_mov_b64 s[0:1], 0
.LBB289_1979:
	s_andn2_b64 vcc, exec, s[0:1]
	s_cbranch_vccnz .LBB289_1981
; %bb.1980:
	global_store_byte v[2:3], v1, off
.LBB289_1981:
	s_mov_b64 s[8:9], -1
.LBB289_1982:
	s_andn2_b64 vcc, exec, s[8:9]
	s_cbranch_vccnz .LBB289_2059
; %bb.1983:
	v_max_i16_sdwa v1, sext(v8), s15 dst_sel:DWORD dst_unused:UNUSED_PAD src0_sel:BYTE_0 src1_sel:DWORD
	v_min_i16_e32 v2, s16, v1
	v_mov_b32_e32 v1, 0
	s_cmp_lt_i32 s14, 11
	v_lshl_add_u64 v[0:1], s[4:5], 0, v[0:1]
	s_cbranch_scc1 .LBB289_2104
; %bb.1984:
	s_and_b32 s12, 0xffff, s14
	s_mov_b64 s[6:7], -1
	s_mov_b64 s[4:5], 0
	s_cmp_gt_i32 s12, 25
	s_mov_b64 s[0:1], 0
	s_cbranch_scc0 .LBB289_2017
; %bb.1985:
	s_cmp_gt_i32 s12, 28
	s_cbranch_scc0 .LBB289_2001
; %bb.1986:
	s_cmp_gt_i32 s12, 43
	;; [unrolled: 3-line block ×3, first 2 shown]
	s_cbranch_scc0 .LBB289_1991
; %bb.1988:
	s_cmp_eq_u32 s12, 46
	s_mov_b64 s[0:1], -1
	s_cbranch_scc0 .LBB289_1990
; %bb.1989:
	v_cvt_f32_i32_sdwa v3, sext(v2) dst_sel:DWORD dst_unused:UNUSED_PAD src0_sel:WORD_0
	s_movk_i32 s0, 0x7fff
	v_bfe_u32 v4, v3, 16, 1
	v_add3_u32 v3, v3, v4, s0
	v_lshrrev_b32_e32 v3, 16, v3
	global_store_dword v[0:1], v3, off
	s_mov_b64 s[0:1], 0
.LBB289_1990:
	s_mov_b64 s[6:7], 0
.LBB289_1991:
	s_and_b64 vcc, exec, s[6:7]
	s_cbranch_vccz .LBB289_1996
; %bb.1992:
	s_cmp_eq_u32 s12, 44
	s_mov_b64 s[0:1], -1
	s_cbranch_scc0 .LBB289_1996
; %bb.1993:
	v_cvt_f32_i32_sdwa v3, sext(v2) dst_sel:DWORD dst_unused:UNUSED_PAD src0_sel:WORD_0
	s_movk_i32 s0, 0xff
	v_mov_b32_e32 v5, 0xff
	v_bfe_u32 v4, v3, 23, 8
	v_cmp_ne_u32_e32 vcc, s0, v4
	s_and_saveexec_b64 s[6:7], vcc
; %bb.1994:
	s_mov_b32 s0, 0x3fffff
	v_lshrrev_b32_e32 v5, 23, v3
	v_and_b32_e32 v6, 0x400000, v3
	v_and_or_b32 v3, v3, s0, v4
	v_cmp_ne_u32_e32 vcc, 0, v6
	v_cmp_ne_u32_e64 s[0:1], 0, v3
	s_and_b64 s[0:1], vcc, s[0:1]
	s_nop 0
	v_cndmask_b32_e64 v3, 0, 1, s[0:1]
	v_add_u32_e32 v5, v5, v3
; %bb.1995:
	s_or_b64 exec, exec, s[6:7]
	s_mov_b64 s[0:1], 0
	global_store_byte v[0:1], v5, off
.LBB289_1996:
	s_mov_b64 s[6:7], 0
.LBB289_1997:
	s_and_b64 vcc, exec, s[6:7]
	s_cbranch_vccz .LBB289_2000
; %bb.1998:
	s_cmp_eq_u32 s12, 29
	s_mov_b64 s[0:1], -1
	s_cbranch_scc0 .LBB289_2000
; %bb.1999:
	v_bfe_i32 v4, v2, 0, 16
	v_ashrrev_i32_e32 v5, 31, v4
	global_store_dwordx2 v[0:1], v[4:5], off
	s_mov_b64 s[0:1], 0
.LBB289_2000:
	s_mov_b64 s[6:7], 0
.LBB289_2001:
	s_and_b64 vcc, exec, s[6:7]
	s_cbranch_vccz .LBB289_2016
; %bb.2002:
	s_cmp_lt_i32 s12, 27
	s_mov_b64 s[6:7], -1
	s_cbranch_scc1 .LBB289_2008
; %bb.2003:
	s_cmp_gt_i32 s12, 27
	s_cbranch_scc0 .LBB289_2005
; %bb.2004:
	v_bfe_i32 v3, v2, 0, 16
	global_store_dword v[0:1], v3, off
	s_mov_b64 s[6:7], 0
.LBB289_2005:
	s_andn2_b64 vcc, exec, s[6:7]
	s_cbranch_vccnz .LBB289_2007
; %bb.2006:
	global_store_short v[0:1], v2, off
.LBB289_2007:
	s_mov_b64 s[6:7], 0
.LBB289_2008:
	s_andn2_b64 vcc, exec, s[6:7]
	s_cbranch_vccnz .LBB289_2016
; %bb.2009:
	v_cvt_f32_i32_sdwa v3, sext(v2) dst_sel:DWORD dst_unused:UNUSED_PAD src0_sel:WORD_0
	s_mov_b32 s6, 0x43800000
	v_mov_b32_e32 v5, 0x80
	v_and_b32_e32 v4, 0x7fffffff, v3
	v_cmp_gt_u32_e32 vcc, s6, v4
	s_and_saveexec_b64 s[6:7], vcc
	s_cbranch_execz .LBB289_2015
; %bb.2010:
	s_mov_b32 s8, 0x3bffffff
	v_cmp_lt_u32_e32 vcc, s8, v4
	s_mov_b64 s[8:9], 0
                                        ; implicit-def: $vgpr4
	s_and_saveexec_b64 s[10:11], vcc
	s_xor_b64 s[10:11], exec, s[10:11]
	s_cbranch_execz .LBB289_2121
; %bb.2011:
	v_bfe_u32 v4, v3, 20, 1
	s_mov_b32 s13, 0x487ffff
	v_add3_u32 v4, v3, v4, s13
	s_mov_b64 s[8:9], exec
	v_lshrrev_b32_e32 v4, 20, v4
	s_andn2_saveexec_b64 s[10:11], s[10:11]
	s_cbranch_execnz .LBB289_2122
.LBB289_2012:
	s_or_b64 exec, exec, s[10:11]
	v_mov_b32_e32 v5, 0
	s_and_saveexec_b64 s[10:11], s[8:9]
.LBB289_2013:
	v_lshrrev_b32_e32 v3, 24, v3
	s_movk_i32 s8, 0x80
	v_and_or_b32 v5, v3, s8, v4
.LBB289_2014:
	s_or_b64 exec, exec, s[10:11]
.LBB289_2015:
	s_or_b64 exec, exec, s[6:7]
	global_store_byte v[0:1], v5, off
.LBB289_2016:
	s_mov_b64 s[6:7], 0
.LBB289_2017:
	s_and_b64 vcc, exec, s[6:7]
	s_cbranch_vccz .LBB289_2057
; %bb.2018:
	s_cmp_gt_i32 s12, 22
	s_mov_b64 s[4:5], -1
	s_cbranch_scc0 .LBB289_2050
; %bb.2019:
	s_cmp_lt_i32 s12, 24
	s_cbranch_scc1 .LBB289_2039
; %bb.2020:
	s_cmp_gt_i32 s12, 24
	s_cbranch_scc0 .LBB289_2028
; %bb.2021:
	v_cvt_f32_i32_sdwa v3, sext(v2) dst_sel:DWORD dst_unused:UNUSED_PAD src0_sel:WORD_0
	s_mov_b32 s4, 0x47800000
	v_mov_b32_e32 v5, 0x80
	v_and_b32_e32 v4, 0x7fffffff, v3
	v_cmp_gt_u32_e32 vcc, s4, v4
	s_and_saveexec_b64 s[4:5], vcc
	s_cbranch_execz .LBB289_2027
; %bb.2022:
	s_mov_b32 s6, 0x37ffffff
	v_cmp_lt_u32_e32 vcc, s6, v4
	s_mov_b64 s[6:7], 0
                                        ; implicit-def: $vgpr4
	s_and_saveexec_b64 s[8:9], vcc
	s_xor_b64 s[8:9], exec, s[8:9]
	s_cbranch_execz .LBB289_2124
; %bb.2023:
	v_bfe_u32 v4, v3, 21, 1
	s_mov_b32 s10, 0x88fffff
	v_add3_u32 v4, v3, v4, s10
	s_mov_b64 s[6:7], exec
	v_lshrrev_b32_e32 v4, 21, v4
	s_andn2_saveexec_b64 s[8:9], s[8:9]
	s_cbranch_execnz .LBB289_2125
.LBB289_2024:
	s_or_b64 exec, exec, s[8:9]
	v_mov_b32_e32 v5, 0
	s_and_saveexec_b64 s[8:9], s[6:7]
.LBB289_2025:
	v_lshrrev_b32_e32 v3, 24, v3
	s_movk_i32 s6, 0x80
	v_and_or_b32 v5, v3, s6, v4
.LBB289_2026:
	s_or_b64 exec, exec, s[8:9]
.LBB289_2027:
	s_or_b64 exec, exec, s[4:5]
	s_mov_b64 s[4:5], 0
	global_store_byte v[0:1], v5, off
.LBB289_2028:
	s_and_b64 vcc, exec, s[4:5]
	s_cbranch_vccz .LBB289_2038
; %bb.2029:
	v_cvt_f32_i32_sdwa v3, sext(v2) dst_sel:DWORD dst_unused:UNUSED_PAD src0_sel:WORD_0
	s_mov_b32 s4, 0x43f00000
                                        ; implicit-def: $vgpr4
	v_and_b32_e32 v5, 0x7fffffff, v3
	v_cmp_gt_u32_e32 vcc, s4, v5
	s_and_saveexec_b64 s[4:5], vcc
	s_xor_b64 s[4:5], exec, s[4:5]
	s_cbranch_execz .LBB289_2035
; %bb.2030:
	s_mov_b32 s6, 0x3c7fffff
	v_cmp_lt_u32_e32 vcc, s6, v5
                                        ; implicit-def: $vgpr4
	s_and_saveexec_b64 s[6:7], vcc
	s_xor_b64 s[6:7], exec, s[6:7]
; %bb.2031:
	v_bfe_u32 v4, v3, 20, 1
	s_mov_b32 s8, 0x407ffff
	v_add3_u32 v4, v3, v4, s8
	v_lshrrev_b32_e32 v5, 20, v4
	v_and_b32_e32 v4, 0xff00000, v4
	s_mov_b32 s8, 0x7f00000
	v_mov_b32_e32 v6, 0x7e
	v_cmp_ne_u32_e32 vcc, s8, v4
	s_nop 1
	v_cndmask_b32_e32 v4, v6, v5, vcc
; %bb.2032:
	s_andn2_saveexec_b64 s[6:7], s[6:7]
; %bb.2033:
	s_mov_b32 s8, 0x46800000
	v_add_f32_e64 v4, |v3|, s8
; %bb.2034:
	s_or_b64 exec, exec, s[6:7]
                                        ; implicit-def: $vgpr5
.LBB289_2035:
	s_andn2_saveexec_b64 s[4:5], s[4:5]
; %bb.2036:
	s_mov_b32 s6, 0x7f800000
	v_mov_b32_e32 v4, 0x7e
	v_mov_b32_e32 v6, 0x7f
	v_cmp_lt_u32_e32 vcc, s6, v5
	s_nop 1
	v_cndmask_b32_e32 v4, v4, v6, vcc
; %bb.2037:
	s_or_b64 exec, exec, s[4:5]
	v_lshrrev_b32_e32 v3, 24, v3
	s_movk_i32 s4, 0x80
	v_and_or_b32 v3, v3, s4, v4
	global_store_byte v[0:1], v3, off
.LBB289_2038:
	s_mov_b64 s[4:5], 0
.LBB289_2039:
	s_andn2_b64 vcc, exec, s[4:5]
	s_cbranch_vccnz .LBB289_2049
; %bb.2040:
	v_cvt_f32_i32_sdwa v3, sext(v2) dst_sel:DWORD dst_unused:UNUSED_PAD src0_sel:WORD_0
	s_mov_b32 s4, 0x47800000
                                        ; implicit-def: $vgpr4
	v_and_b32_e32 v5, 0x7fffffff, v3
	v_cmp_gt_u32_e32 vcc, s4, v5
	s_and_saveexec_b64 s[4:5], vcc
	s_xor_b64 s[4:5], exec, s[4:5]
	s_cbranch_execz .LBB289_2046
; %bb.2041:
	s_mov_b32 s6, 0x387fffff
	v_cmp_lt_u32_e32 vcc, s6, v5
                                        ; implicit-def: $vgpr4
	s_and_saveexec_b64 s[6:7], vcc
	s_xor_b64 s[6:7], exec, s[6:7]
; %bb.2042:
	v_bfe_u32 v4, v3, 21, 1
	s_mov_b32 s8, 0x80fffff
	v_add3_u32 v4, v3, v4, s8
	v_lshrrev_b32_e32 v4, 21, v4
; %bb.2043:
	s_andn2_saveexec_b64 s[6:7], s[6:7]
; %bb.2044:
	s_mov_b32 s8, 0x43000000
	v_add_f32_e64 v4, |v3|, s8
; %bb.2045:
	s_or_b64 exec, exec, s[6:7]
                                        ; implicit-def: $vgpr5
.LBB289_2046:
	s_andn2_saveexec_b64 s[4:5], s[4:5]
; %bb.2047:
	s_mov_b32 s6, 0x7f800000
	v_mov_b32_e32 v4, 0x7c
	v_mov_b32_e32 v6, 0x7f
	v_cmp_lt_u32_e32 vcc, s6, v5
	s_nop 1
	v_cndmask_b32_e32 v4, v4, v6, vcc
; %bb.2048:
	s_or_b64 exec, exec, s[4:5]
	v_lshrrev_b32_e32 v3, 24, v3
	s_movk_i32 s4, 0x80
	v_and_or_b32 v3, v3, s4, v4
	global_store_byte v[0:1], v3, off
.LBB289_2049:
	s_mov_b64 s[4:5], 0
.LBB289_2050:
	s_andn2_b64 vcc, exec, s[4:5]
	s_mov_b64 s[4:5], 0
	s_cbranch_vccnz .LBB289_2057
; %bb.2051:
	s_cmp_gt_i32 s12, 14
	s_mov_b64 s[6:7], -1
	s_cbranch_scc0 .LBB289_2055
; %bb.2052:
	s_cmp_eq_u32 s12, 15
	s_mov_b64 s[0:1], -1
	s_cbranch_scc0 .LBB289_2054
; %bb.2053:
	v_cvt_f32_i32_sdwa v3, sext(v2) dst_sel:DWORD dst_unused:UNUSED_PAD src0_sel:WORD_0
	s_movk_i32 s0, 0x7fff
	v_bfe_u32 v4, v3, 16, 1
	v_add3_u32 v3, v3, v4, s0
	global_store_short_d16_hi v[0:1], v3, off
	s_mov_b64 s[0:1], 0
.LBB289_2054:
	s_mov_b64 s[6:7], 0
.LBB289_2055:
	s_and_b64 vcc, exec, s[6:7]
	s_cbranch_vccz .LBB289_2057
; %bb.2056:
	s_cmp_lg_u32 s12, 11
	s_mov_b64 s[4:5], -1
	s_cselect_b64 s[0:1], -1, 0
.LBB289_2057:
	s_and_b64 vcc, exec, s[0:1]
	s_cbranch_vccnz .LBB289_2123
.LBB289_2058:
	s_mov_b64 s[0:1], 0
	s_branch .LBB289_2060
.LBB289_2059:
	s_mov_b64 s[0:1], 0
	s_mov_b64 s[4:5], 0
                                        ; implicit-def: $vgpr0_vgpr1
                                        ; implicit-def: $sgpr14
                                        ; implicit-def: $vgpr2
.LBB289_2060:
	s_and_b64 s[6:7], s[0:1], exec
	s_andn2_b64 s[0:1], s[24:25], exec
	s_and_b64 s[2:3], s[2:3], exec
	s_and_b64 s[40:41], s[4:5], exec
	s_or_b64 s[24:25], s[0:1], s[2:3]
.LBB289_2061:
	s_or_b64 exec, exec, s[26:27]
	s_and_saveexec_b64 s[0:1], s[24:25]
	s_cbranch_execz .LBB289_2064
; %bb.2062:
	; divergent unreachable
	s_or_b64 exec, exec, s[0:1]
	s_and_saveexec_b64 s[0:1], s[40:41]
	s_xor_b64 s[0:1], exec, s[0:1]
	s_cbranch_execnz .LBB289_2065
.LBB289_2063:
	s_or_b64 exec, exec, s[0:1]
	s_and_saveexec_b64 s[0:1], s[6:7]
	s_cbranch_execnz .LBB289_2066
	s_branch .LBB289_2103
.LBB289_2064:
	s_or_b64 exec, exec, s[0:1]
	s_and_saveexec_b64 s[0:1], s[40:41]
	s_xor_b64 s[0:1], exec, s[0:1]
	s_cbranch_execz .LBB289_2063
.LBB289_2065:
	v_mov_b32_e32 v3, 0
	v_cmp_ne_u16_sdwa s[2:3], v2, v3 src0_sel:BYTE_0 src1_sel:DWORD
	s_nop 1
	v_cndmask_b32_e64 v3, 0, 1, s[2:3]
	global_store_byte v[0:1], v3, off
	s_or_b64 exec, exec, s[0:1]
	s_and_saveexec_b64 s[0:1], s[6:7]
	s_cbranch_execz .LBB289_2103
.LBB289_2066:
	s_sext_i32_i16 s2, s14
	s_cmp_lt_i32 s2, 5
	s_mov_b64 s[0:1], -1
	s_cbranch_scc1 .LBB289_2087
; %bb.2067:
	s_cmp_lt_i32 s2, 8
	s_cbranch_scc1 .LBB289_2077
; %bb.2068:
	s_cmp_lt_i32 s2, 9
	s_cbranch_scc1 .LBB289_2074
; %bb.2069:
	s_cmp_gt_i32 s2, 9
	s_cbranch_scc0 .LBB289_2071
; %bb.2070:
	v_bfe_i32 v3, v2, 0, 8
	v_bfe_i32 v3, v3, 0, 16
	v_mov_b32_e32 v6, 0
	s_waitcnt vmcnt(0)
	v_cvt_f64_i32_e32 v[4:5], v3
	v_mov_b32_e32 v7, v6
	global_store_dwordx4 v[0:1], v[4:7], off
	s_mov_b64 s[0:1], 0
.LBB289_2071:
	s_andn2_b64 vcc, exec, s[0:1]
	s_cbranch_vccnz .LBB289_2073
; %bb.2072:
	v_bfe_i32 v3, v2, 0, 8
	s_waitcnt vmcnt(0)
	v_cvt_f32_i32_sdwa v4, sext(v3) dst_sel:DWORD dst_unused:UNUSED_PAD src0_sel:WORD_0
	v_mov_b32_e32 v5, 0
	global_store_dwordx2 v[0:1], v[4:5], off
.LBB289_2073:
	s_mov_b64 s[0:1], 0
.LBB289_2074:
	s_andn2_b64 vcc, exec, s[0:1]
	s_cbranch_vccnz .LBB289_2076
; %bb.2075:
	v_cvt_f16_i16_sdwa v3, sext(v2) dst_sel:DWORD dst_unused:UNUSED_PAD src0_sel:BYTE_0
	global_store_dword v[0:1], v3, off
.LBB289_2076:
	s_mov_b64 s[0:1], 0
.LBB289_2077:
	s_andn2_b64 vcc, exec, s[0:1]
	s_cbranch_vccnz .LBB289_2086
; %bb.2078:
	s_sext_i32_i16 s2, s14
	s_cmp_lt_i32 s2, 6
	s_mov_b64 s[0:1], -1
	s_cbranch_scc1 .LBB289_2084
; %bb.2079:
	s_cmp_gt_i32 s2, 6
	s_cbranch_scc0 .LBB289_2081
; %bb.2080:
	v_bfe_i32 v3, v2, 0, 8
	v_bfe_i32 v3, v3, 0, 16
	s_waitcnt vmcnt(0)
	v_cvt_f64_i32_e32 v[4:5], v3
	global_store_dwordx2 v[0:1], v[4:5], off
	s_mov_b64 s[0:1], 0
.LBB289_2081:
	s_andn2_b64 vcc, exec, s[0:1]
	s_cbranch_vccnz .LBB289_2083
; %bb.2082:
	v_bfe_i32 v3, v2, 0, 8
	v_cvt_f32_i32_sdwa v3, sext(v3) dst_sel:DWORD dst_unused:UNUSED_PAD src0_sel:WORD_0
	global_store_dword v[0:1], v3, off
.LBB289_2083:
	s_mov_b64 s[0:1], 0
.LBB289_2084:
	s_andn2_b64 vcc, exec, s[0:1]
	s_cbranch_vccnz .LBB289_2086
; %bb.2085:
	v_cvt_f16_i16_sdwa v3, sext(v2) dst_sel:DWORD dst_unused:UNUSED_PAD src0_sel:BYTE_0
	global_store_short v[0:1], v3, off
.LBB289_2086:
	s_mov_b64 s[0:1], 0
.LBB289_2087:
	s_andn2_b64 vcc, exec, s[0:1]
	s_cbranch_vccnz .LBB289_2103
; %bb.2088:
	s_sext_i32_i16 s2, s14
	s_cmp_lt_i32 s2, 2
	s_mov_b64 s[0:1], -1
	s_cbranch_scc1 .LBB289_2098
; %bb.2089:
	s_cmp_lt_i32 s2, 3
	s_cbranch_scc1 .LBB289_2095
; %bb.2090:
	s_cmp_gt_i32 s2, 3
	s_cbranch_scc0 .LBB289_2092
; %bb.2091:
	s_waitcnt vmcnt(0)
	v_bfe_i32 v4, v2, 0, 8
	v_ashrrev_i32_e32 v5, 31, v4
	global_store_dwordx2 v[0:1], v[4:5], off
	s_mov_b64 s[0:1], 0
.LBB289_2092:
	s_andn2_b64 vcc, exec, s[0:1]
	s_cbranch_vccnz .LBB289_2094
; %bb.2093:
	v_bfe_i32 v3, v2, 0, 8
	global_store_dword v[0:1], v3, off
.LBB289_2094:
	s_mov_b64 s[0:1], 0
.LBB289_2095:
	s_andn2_b64 vcc, exec, s[0:1]
	s_cbranch_vccnz .LBB289_2097
; %bb.2096:
	v_bfe_i32 v3, v2, 0, 8
	global_store_short v[0:1], v3, off
.LBB289_2097:
	s_mov_b64 s[0:1], 0
.LBB289_2098:
	s_andn2_b64 vcc, exec, s[0:1]
	s_cbranch_vccnz .LBB289_2103
; %bb.2099:
	s_sext_i32_i16 s0, s14
	s_cmp_gt_i32 s0, 0
	s_mov_b64 s[0:1], -1
	s_cbranch_scc0 .LBB289_2101
; %bb.2100:
	global_store_byte v[0:1], v2, off
	s_mov_b64 s[0:1], 0
.LBB289_2101:
	s_andn2_b64 vcc, exec, s[0:1]
	s_cbranch_vccnz .LBB289_2103
; %bb.2102:
	global_store_byte v[0:1], v2, off
	s_endpgm
.LBB289_2103:
	s_endpgm
.LBB289_2104:
	s_mov_b64 s[4:5], 0
	s_mov_b64 s[0:1], -1
	s_branch .LBB289_2060
.LBB289_2105:
	s_trap 2
	s_or_b64 s[2:3], s[2:3], exec
	s_cbranch_execz .LBB289_1574
	s_branch .LBB289_1575
.LBB289_2106:
	s_andn2_saveexec_b64 s[12:13], s[12:13]
	s_cbranch_execz .LBB289_1654
.LBB289_2107:
	s_mov_b32 s19, 0x46000000
	v_add_f32_e64 v5, |v3|, s19
	v_and_b32_e32 v5, 0xff, v5
	v_cmp_ne_u32_e32 vcc, 0, v5
	s_andn2_b64 s[10:11], s[10:11], exec
	s_and_b64 s[20:21], vcc, exec
	s_or_b64 s[10:11], s[10:11], s[20:21]
	s_or_b64 exec, exec, s[12:13]
	v_mov_b32_e32 v9, 0
	s_and_saveexec_b64 s[12:13], s[10:11]
	s_cbranch_execnz .LBB289_1655
	s_branch .LBB289_1656
.LBB289_2108:
	s_trap 2
	s_or_b64 s[2:3], s[2:3], exec
	s_cbranch_execz .LBB289_1702
	s_branch .LBB289_1703
.LBB289_2109:
	s_andn2_saveexec_b64 s[10:11], s[10:11]
	s_cbranch_execz .LBB289_1667
.LBB289_2110:
	s_mov_b32 s12, 0x42800000
	v_add_f32_e64 v5, |v3|, s12
	v_and_b32_e32 v5, 0xff, v5
	v_cmp_ne_u32_e32 vcc, 0, v5
	s_andn2_b64 s[8:9], s[8:9], exec
	s_and_b64 s[12:13], vcc, exec
	s_or_b64 s[8:9], s[8:9], s[12:13]
	s_or_b64 exec, exec, s[10:11]
	v_mov_b32_e32 v9, 0
	s_and_saveexec_b64 s[10:11], s[8:9]
	s_cbranch_execnz .LBB289_1668
	s_branch .LBB289_1669
.LBB289_2111:
	s_andn2_saveexec_b64 s[12:13], s[12:13]
	s_cbranch_execz .LBB289_1773
.LBB289_2112:
	s_mov_b32 s18, 0x46000000
	v_add_f32_e64 v6, |v3|, s18
	v_and_b32_e32 v6, 0xff, v6
	v_cmp_ne_u32_e32 vcc, 0, v6
	s_andn2_b64 s[10:11], s[10:11], exec
	s_and_b64 s[18:19], vcc, exec
	s_or_b64 s[10:11], s[10:11], s[18:19]
	s_or_b64 exec, exec, s[12:13]
	v_mov_b32_e32 v7, 0
	s_and_saveexec_b64 s[12:13], s[10:11]
	s_cbranch_execnz .LBB289_1774
	s_branch .LBB289_1775
.LBB289_2113:
	s_trap 2
	s_or_b64 s[2:3], s[2:3], exec
	s_cbranch_execz .LBB289_1821
	s_branch .LBB289_1822
.LBB289_2114:
	s_andn2_saveexec_b64 s[10:11], s[10:11]
	s_cbranch_execz .LBB289_1786
.LBB289_2115:
	s_mov_b32 s12, 0x42800000
	v_add_f32_e64 v6, |v3|, s12
	v_and_b32_e32 v6, 0xff, v6
	v_cmp_ne_u32_e32 vcc, 0, v6
	s_andn2_b64 s[8:9], s[8:9], exec
	s_and_b64 s[12:13], vcc, exec
	s_or_b64 s[8:9], s[8:9], s[12:13]
	s_or_b64 exec, exec, s[10:11]
	v_mov_b32_e32 v7, 0
	s_and_saveexec_b64 s[10:11], s[8:9]
	s_cbranch_execnz .LBB289_1787
	s_branch .LBB289_1788
.LBB289_2116:
	s_andn2_saveexec_b64 s[12:13], s[12:13]
	s_cbranch_execz .LBB289_1892
.LBB289_2117:
	s_mov_b32 s18, 0x46000000
	v_add_f32_e64 v5, |v4|, s18
	v_and_b32_e32 v5, 0xff, v5
	v_cmp_ne_u32_e32 vcc, 0, v5
	s_andn2_b64 s[10:11], s[10:11], exec
	s_and_b64 s[18:19], vcc, exec
	s_or_b64 s[10:11], s[10:11], s[18:19]
	s_or_b64 exec, exec, s[12:13]
	v_mov_b32_e32 v6, 0
	s_and_saveexec_b64 s[12:13], s[10:11]
	s_cbranch_execnz .LBB289_1893
	s_branch .LBB289_1894
.LBB289_2118:
	s_trap 2
	s_or_b64 s[2:3], s[2:3], exec
	s_cbranch_execz .LBB289_1940
	s_branch .LBB289_1941
.LBB289_2119:
	s_andn2_saveexec_b64 s[10:11], s[10:11]
	s_cbranch_execz .LBB289_1905
.LBB289_2120:
	s_mov_b32 s12, 0x42800000
	v_add_f32_e64 v5, |v4|, s12
	v_and_b32_e32 v5, 0xff, v5
	v_cmp_ne_u32_e32 vcc, 0, v5
	s_andn2_b64 s[8:9], s[8:9], exec
	s_and_b64 s[12:13], vcc, exec
	s_or_b64 s[8:9], s[8:9], s[12:13]
	s_or_b64 exec, exec, s[10:11]
	v_mov_b32_e32 v6, 0
	s_and_saveexec_b64 s[10:11], s[8:9]
	s_cbranch_execnz .LBB289_1906
	s_branch .LBB289_1907
.LBB289_2121:
	s_andn2_saveexec_b64 s[10:11], s[10:11]
	s_cbranch_execz .LBB289_2012
.LBB289_2122:
	s_mov_b32 s13, 0x46000000
	v_add_f32_e64 v4, |v3|, s13
	v_and_b32_e32 v4, 0xff, v4
	v_cmp_ne_u32_e32 vcc, 0, v4
	s_andn2_b64 s[8:9], s[8:9], exec
	s_and_b64 s[16:17], vcc, exec
	s_or_b64 s[8:9], s[8:9], s[16:17]
	s_or_b64 exec, exec, s[10:11]
	v_mov_b32_e32 v5, 0
	s_and_saveexec_b64 s[10:11], s[8:9]
	s_cbranch_execnz .LBB289_2013
	s_branch .LBB289_2014
.LBB289_2123:
	s_mov_b64 s[4:5], 0
	s_or_b64 s[2:3], s[2:3], exec
	s_trap 2
	s_branch .LBB289_2058
.LBB289_2124:
	s_andn2_saveexec_b64 s[8:9], s[8:9]
	s_cbranch_execz .LBB289_2024
.LBB289_2125:
	s_mov_b32 s10, 0x42800000
	v_add_f32_e64 v4, |v3|, s10
	v_and_b32_e32 v4, 0xff, v4
	v_cmp_ne_u32_e32 vcc, 0, v4
	s_andn2_b64 s[6:7], s[6:7], exec
	s_and_b64 s[10:11], vcc, exec
	s_or_b64 s[6:7], s[6:7], s[10:11]
	s_or_b64 exec, exec, s[8:9]
	v_mov_b32_e32 v5, 0
	s_and_saveexec_b64 s[8:9], s[6:7]
	s_cbranch_execnz .LBB289_2025
	s_branch .LBB289_2026
	.section	.rodata,"a",@progbits
	.p2align	6, 0x0
	.amdhsa_kernel _ZN2at6native32elementwise_kernel_manual_unrollILi128ELi4EZNS0_15gpu_kernel_implIZZZNS0_17clamp_kernel_cudaERNS_18TensorIteratorBaseERKN3c106ScalarES8_ENKUlvE_clEvENKUlvE0_clEvEUlaE_EEvS4_RKT_EUlibE0_EEviT1_
		.amdhsa_group_segment_fixed_size 0
		.amdhsa_private_segment_fixed_size 0
		.amdhsa_kernarg_size 360
		.amdhsa_user_sgpr_count 2
		.amdhsa_user_sgpr_dispatch_ptr 0
		.amdhsa_user_sgpr_queue_ptr 0
		.amdhsa_user_sgpr_kernarg_segment_ptr 1
		.amdhsa_user_sgpr_dispatch_id 0
		.amdhsa_user_sgpr_kernarg_preload_length 0
		.amdhsa_user_sgpr_kernarg_preload_offset 0
		.amdhsa_user_sgpr_private_segment_size 0
		.amdhsa_uses_dynamic_stack 0
		.amdhsa_enable_private_segment 0
		.amdhsa_system_sgpr_workgroup_id_x 1
		.amdhsa_system_sgpr_workgroup_id_y 0
		.amdhsa_system_sgpr_workgroup_id_z 0
		.amdhsa_system_sgpr_workgroup_info 0
		.amdhsa_system_vgpr_workitem_id 0
		.amdhsa_next_free_vgpr 18
		.amdhsa_next_free_sgpr 80
		.amdhsa_accum_offset 20
		.amdhsa_reserve_vcc 1
		.amdhsa_float_round_mode_32 0
		.amdhsa_float_round_mode_16_64 0
		.amdhsa_float_denorm_mode_32 3
		.amdhsa_float_denorm_mode_16_64 3
		.amdhsa_dx10_clamp 1
		.amdhsa_ieee_mode 1
		.amdhsa_fp16_overflow 0
		.amdhsa_tg_split 0
		.amdhsa_exception_fp_ieee_invalid_op 0
		.amdhsa_exception_fp_denorm_src 0
		.amdhsa_exception_fp_ieee_div_zero 0
		.amdhsa_exception_fp_ieee_overflow 0
		.amdhsa_exception_fp_ieee_underflow 0
		.amdhsa_exception_fp_ieee_inexact 0
		.amdhsa_exception_int_div_zero 0
	.end_amdhsa_kernel
	.section	.text._ZN2at6native32elementwise_kernel_manual_unrollILi128ELi4EZNS0_15gpu_kernel_implIZZZNS0_17clamp_kernel_cudaERNS_18TensorIteratorBaseERKN3c106ScalarES8_ENKUlvE_clEvENKUlvE0_clEvEUlaE_EEvS4_RKT_EUlibE0_EEviT1_,"axG",@progbits,_ZN2at6native32elementwise_kernel_manual_unrollILi128ELi4EZNS0_15gpu_kernel_implIZZZNS0_17clamp_kernel_cudaERNS_18TensorIteratorBaseERKN3c106ScalarES8_ENKUlvE_clEvENKUlvE0_clEvEUlaE_EEvS4_RKT_EUlibE0_EEviT1_,comdat
.Lfunc_end289:
	.size	_ZN2at6native32elementwise_kernel_manual_unrollILi128ELi4EZNS0_15gpu_kernel_implIZZZNS0_17clamp_kernel_cudaERNS_18TensorIteratorBaseERKN3c106ScalarES8_ENKUlvE_clEvENKUlvE0_clEvEUlaE_EEvS4_RKT_EUlibE0_EEviT1_, .Lfunc_end289-_ZN2at6native32elementwise_kernel_manual_unrollILi128ELi4EZNS0_15gpu_kernel_implIZZZNS0_17clamp_kernel_cudaERNS_18TensorIteratorBaseERKN3c106ScalarES8_ENKUlvE_clEvENKUlvE0_clEvEUlaE_EEvS4_RKT_EUlibE0_EEviT1_
                                        ; -- End function
	.set _ZN2at6native32elementwise_kernel_manual_unrollILi128ELi4EZNS0_15gpu_kernel_implIZZZNS0_17clamp_kernel_cudaERNS_18TensorIteratorBaseERKN3c106ScalarES8_ENKUlvE_clEvENKUlvE0_clEvEUlaE_EEvS4_RKT_EUlibE0_EEviT1_.num_vgpr, 18
	.set _ZN2at6native32elementwise_kernel_manual_unrollILi128ELi4EZNS0_15gpu_kernel_implIZZZNS0_17clamp_kernel_cudaERNS_18TensorIteratorBaseERKN3c106ScalarES8_ENKUlvE_clEvENKUlvE0_clEvEUlaE_EEvS4_RKT_EUlibE0_EEviT1_.num_agpr, 0
	.set _ZN2at6native32elementwise_kernel_manual_unrollILi128ELi4EZNS0_15gpu_kernel_implIZZZNS0_17clamp_kernel_cudaERNS_18TensorIteratorBaseERKN3c106ScalarES8_ENKUlvE_clEvENKUlvE0_clEvEUlaE_EEvS4_RKT_EUlibE0_EEviT1_.numbered_sgpr, 80
	.set _ZN2at6native32elementwise_kernel_manual_unrollILi128ELi4EZNS0_15gpu_kernel_implIZZZNS0_17clamp_kernel_cudaERNS_18TensorIteratorBaseERKN3c106ScalarES8_ENKUlvE_clEvENKUlvE0_clEvEUlaE_EEvS4_RKT_EUlibE0_EEviT1_.num_named_barrier, 0
	.set _ZN2at6native32elementwise_kernel_manual_unrollILi128ELi4EZNS0_15gpu_kernel_implIZZZNS0_17clamp_kernel_cudaERNS_18TensorIteratorBaseERKN3c106ScalarES8_ENKUlvE_clEvENKUlvE0_clEvEUlaE_EEvS4_RKT_EUlibE0_EEviT1_.private_seg_size, 0
	.set _ZN2at6native32elementwise_kernel_manual_unrollILi128ELi4EZNS0_15gpu_kernel_implIZZZNS0_17clamp_kernel_cudaERNS_18TensorIteratorBaseERKN3c106ScalarES8_ENKUlvE_clEvENKUlvE0_clEvEUlaE_EEvS4_RKT_EUlibE0_EEviT1_.uses_vcc, 1
	.set _ZN2at6native32elementwise_kernel_manual_unrollILi128ELi4EZNS0_15gpu_kernel_implIZZZNS0_17clamp_kernel_cudaERNS_18TensorIteratorBaseERKN3c106ScalarES8_ENKUlvE_clEvENKUlvE0_clEvEUlaE_EEvS4_RKT_EUlibE0_EEviT1_.uses_flat_scratch, 0
	.set _ZN2at6native32elementwise_kernel_manual_unrollILi128ELi4EZNS0_15gpu_kernel_implIZZZNS0_17clamp_kernel_cudaERNS_18TensorIteratorBaseERKN3c106ScalarES8_ENKUlvE_clEvENKUlvE0_clEvEUlaE_EEvS4_RKT_EUlibE0_EEviT1_.has_dyn_sized_stack, 0
	.set _ZN2at6native32elementwise_kernel_manual_unrollILi128ELi4EZNS0_15gpu_kernel_implIZZZNS0_17clamp_kernel_cudaERNS_18TensorIteratorBaseERKN3c106ScalarES8_ENKUlvE_clEvENKUlvE0_clEvEUlaE_EEvS4_RKT_EUlibE0_EEviT1_.has_recursion, 0
	.set _ZN2at6native32elementwise_kernel_manual_unrollILi128ELi4EZNS0_15gpu_kernel_implIZZZNS0_17clamp_kernel_cudaERNS_18TensorIteratorBaseERKN3c106ScalarES8_ENKUlvE_clEvENKUlvE0_clEvEUlaE_EEvS4_RKT_EUlibE0_EEviT1_.has_indirect_call, 0
	.section	.AMDGPU.csdata,"",@progbits
; Kernel info:
; codeLenInByte = 35860
; TotalNumSgprs: 86
; NumVgprs: 18
; NumAgprs: 0
; TotalNumVgprs: 18
; ScratchSize: 0
; MemoryBound: 1
; FloatMode: 240
; IeeeMode: 1
; LDSByteSize: 0 bytes/workgroup (compile time only)
; SGPRBlocks: 10
; VGPRBlocks: 2
; NumSGPRsForWavesPerEU: 86
; NumVGPRsForWavesPerEU: 18
; AccumOffset: 20
; Occupancy: 8
; WaveLimiterHint : 1
; COMPUTE_PGM_RSRC2:SCRATCH_EN: 0
; COMPUTE_PGM_RSRC2:USER_SGPR: 2
; COMPUTE_PGM_RSRC2:TRAP_HANDLER: 0
; COMPUTE_PGM_RSRC2:TGID_X_EN: 1
; COMPUTE_PGM_RSRC2:TGID_Y_EN: 0
; COMPUTE_PGM_RSRC2:TGID_Z_EN: 0
; COMPUTE_PGM_RSRC2:TIDIG_COMP_CNT: 0
; COMPUTE_PGM_RSRC3_GFX90A:ACCUM_OFFSET: 4
; COMPUTE_PGM_RSRC3_GFX90A:TG_SPLIT: 0
	.section	.text._ZN2at6native29vectorized_elementwise_kernelILi16EZZZNS0_17clamp_kernel_cudaERNS_18TensorIteratorBaseERKN3c106ScalarES7_ENKUlvE_clEvENKUlvE1_clEvEUliE_St5arrayIPcLm2EEEEviT0_T1_,"axG",@progbits,_ZN2at6native29vectorized_elementwise_kernelILi16EZZZNS0_17clamp_kernel_cudaERNS_18TensorIteratorBaseERKN3c106ScalarES7_ENKUlvE_clEvENKUlvE1_clEvEUliE_St5arrayIPcLm2EEEEviT0_T1_,comdat
	.globl	_ZN2at6native29vectorized_elementwise_kernelILi16EZZZNS0_17clamp_kernel_cudaERNS_18TensorIteratorBaseERKN3c106ScalarES7_ENKUlvE_clEvENKUlvE1_clEvEUliE_St5arrayIPcLm2EEEEviT0_T1_ ; -- Begin function _ZN2at6native29vectorized_elementwise_kernelILi16EZZZNS0_17clamp_kernel_cudaERNS_18TensorIteratorBaseERKN3c106ScalarES7_ENKUlvE_clEvENKUlvE1_clEvEUliE_St5arrayIPcLm2EEEEviT0_T1_
	.p2align	8
	.type	_ZN2at6native29vectorized_elementwise_kernelILi16EZZZNS0_17clamp_kernel_cudaERNS_18TensorIteratorBaseERKN3c106ScalarES7_ENKUlvE_clEvENKUlvE1_clEvEUliE_St5arrayIPcLm2EEEEviT0_T1_,@function
_ZN2at6native29vectorized_elementwise_kernelILi16EZZZNS0_17clamp_kernel_cudaERNS_18TensorIteratorBaseERKN3c106ScalarES7_ENKUlvE_clEvENKUlvE1_clEvEUliE_St5arrayIPcLm2EEEEviT0_T1_: ; @_ZN2at6native29vectorized_elementwise_kernelILi16EZZZNS0_17clamp_kernel_cudaERNS_18TensorIteratorBaseERKN3c106ScalarES7_ENKUlvE_clEvENKUlvE1_clEvEUliE_St5arrayIPcLm2EEEEviT0_T1_
; %bb.0:
	s_load_dwordx8 s[4:11], s[0:1], 0x0
	s_lshl_b32 s2, s2, 10
	s_mov_b64 s[0:1], -1
	s_waitcnt lgkmcnt(0)
	s_sub_i32 s4, s4, s2
	s_cmpk_gt_i32 s4, 0x3ff
	s_cbranch_scc0 .LBB290_2
; %bb.1:
	s_ashr_i32 s3, s2, 31
	s_lshl_b64 s[0:1], s[2:3], 2
	s_add_u32 s12, s10, s0
	s_addc_u32 s13, s11, s1
	v_lshlrev_b32_e32 v1, 4, v0
	global_load_dwordx4 v[2:5], v1, s[12:13]
	s_add_u32 s0, s8, s0
	s_addc_u32 s1, s9, s1
	s_waitcnt vmcnt(0)
	v_max_i32_e32 v2, s5, v2
	v_max_i32_e32 v3, s5, v3
	;; [unrolled: 1-line block ×4, first 2 shown]
	v_min_i32_e32 v2, s6, v2
	v_min_i32_e32 v3, s6, v3
	;; [unrolled: 1-line block ×4, first 2 shown]
	global_store_dwordx4 v1, v[2:5], s[0:1]
	s_mov_b64 s[0:1], 0
.LBB290_2:
	s_andn2_b64 vcc, exec, s[0:1]
	s_cbranch_vccnz .LBB290_16
; %bb.3:
	v_cmp_gt_i32_e32 vcc, s4, v0
	v_or_b32_e32 v1, 0x100, v0
	v_mov_b32_e32 v4, 0
	v_or_b32_e32 v2, s2, v0
	v_mov_b32_e32 v5, 0
	v_mov_b32_e32 v3, 0
	;; [unrolled: 1-line block ×3, first 2 shown]
	s_and_saveexec_b64 s[12:13], vcc
	s_cbranch_execz .LBB290_11
; %bb.4:
	v_mov_b32_e32 v3, 0
	v_lshl_add_u64 v[4:5], v[2:3], 2, s[10:11]
	global_load_dword v8, v[4:5], off
	v_cmp_gt_u32_e64 s[0:1], s4, v1
	v_mov_b32_e32 v5, v3
	v_mov_b32_e32 v4, v3
	s_and_saveexec_b64 s[14:15], s[0:1]
	s_cbranch_execz .LBB290_10
; %bb.5:
	v_add_u32_e32 v4, s2, v0
	v_mov_b32_e32 v5, 0
	v_lshl_add_u64 v[6:7], v[4:5], 2, s[10:11]
	global_load_dword v3, v[6:7], off offset:1024
	v_or_b32_e32 v4, 0x200, v0
	v_cmp_gt_u32_e64 s[0:1], s4, v4
	v_mov_b32_e32 v4, v5
	s_and_saveexec_b64 s[10:11], s[0:1]
	s_cbranch_execz .LBB290_9
; %bb.6:
	global_load_dword v5, v[6:7], off offset:2048
	v_or_b32_e32 v4, 0x300, v0
	v_cmp_gt_u32_e64 s[0:1], s4, v4
	v_mov_b32_e32 v4, 0
	s_and_saveexec_b64 s[16:17], s[0:1]
	s_cbranch_execz .LBB290_8
; %bb.7:
	global_load_dword v4, v[6:7], off offset:3072
.LBB290_8:
	s_or_b64 exec, exec, s[16:17]
.LBB290_9:
	s_or_b64 exec, exec, s[10:11]
.LBB290_10:
	s_or_b64 exec, exec, s[14:15]
.LBB290_11:
	s_or_b64 exec, exec, s[12:13]
	s_waitcnt vmcnt(0)
	v_max_i32_e32 v6, s5, v8
	v_max_i32_e32 v3, s5, v3
	v_min_i32_e32 v6, s6, v6
	v_min_i32_e32 v3, s6, v3
	v_cmp_gt_i32_e64 s[0:1], s4, v1
	v_cndmask_b32_e32 v7, 0, v6, vcc
	v_max_i32_e32 v5, s5, v5
	v_cndmask_b32_e64 v6, 0, v3, s[0:1]
	v_or_b32_e32 v3, 0x200, v0
	v_min_i32_e32 v5, s6, v5
	v_cmp_gt_i32_e64 s[0:1], s4, v3
	v_or_b32_e32 v3, 0x300, v0
	v_max_i32_e32 v4, s5, v4
	v_cndmask_b32_e64 v5, 0, v5, s[0:1]
	v_min_i32_e32 v4, s6, v4
	v_cmp_gt_i32_e64 s[0:1], s4, v3
	s_nop 1
	v_cndmask_b32_e64 v4, 0, v4, s[0:1]
	s_and_saveexec_b64 s[0:1], vcc
	s_cbranch_execnz .LBB290_17
; %bb.12:
	s_or_b64 exec, exec, s[0:1]
	v_cmp_gt_i32_e32 vcc, s4, v0
	s_and_saveexec_b64 s[0:1], vcc
	s_cbranch_execnz .LBB290_18
.LBB290_13:
	s_or_b64 exec, exec, s[0:1]
	v_cmp_gt_i32_e32 vcc, s4, v0
	s_and_saveexec_b64 s[0:1], vcc
	s_cbranch_execnz .LBB290_19
.LBB290_14:
	s_or_b64 exec, exec, s[0:1]
	v_cmp_gt_i32_e32 vcc, s4, v0
	s_and_saveexec_b64 s[0:1], vcc
	s_cbranch_execz .LBB290_16
.LBB290_15:
	v_add_u32_e32 v0, s2, v0
	v_mov_b32_e32 v1, 0
	v_lshl_add_u64 v[0:1], v[0:1], 2, s[8:9]
	global_store_dword v[0:1], v4, off
.LBB290_16:
	s_endpgm
.LBB290_17:
	v_mov_b32_e32 v3, 0
	v_lshl_add_u64 v[2:3], v[2:3], 2, s[8:9]
	v_mov_b32_e32 v0, v1
	global_store_dword v[2:3], v7, off
	s_or_b64 exec, exec, s[0:1]
	v_cmp_gt_i32_e32 vcc, s4, v0
	s_and_saveexec_b64 s[0:1], vcc
	s_cbranch_execz .LBB290_13
.LBB290_18:
	v_add_u32_e32 v2, s2, v0
	v_mov_b32_e32 v3, 0
	v_lshl_add_u64 v[2:3], v[2:3], 2, s[8:9]
	v_add_u32_e32 v0, 0x100, v0
	global_store_dword v[2:3], v6, off
	s_or_b64 exec, exec, s[0:1]
	v_cmp_gt_i32_e32 vcc, s4, v0
	s_and_saveexec_b64 s[0:1], vcc
	s_cbranch_execz .LBB290_14
.LBB290_19:
	v_add_u32_e32 v2, s2, v0
	v_mov_b32_e32 v3, 0
	v_lshl_add_u64 v[2:3], v[2:3], 2, s[8:9]
	v_add_u32_e32 v0, 0x100, v0
	global_store_dword v[2:3], v5, off
	s_or_b64 exec, exec, s[0:1]
	v_cmp_gt_i32_e32 vcc, s4, v0
	s_and_saveexec_b64 s[0:1], vcc
	s_cbranch_execnz .LBB290_15
	s_branch .LBB290_16
	.section	.rodata,"a",@progbits
	.p2align	6, 0x0
	.amdhsa_kernel _ZN2at6native29vectorized_elementwise_kernelILi16EZZZNS0_17clamp_kernel_cudaERNS_18TensorIteratorBaseERKN3c106ScalarES7_ENKUlvE_clEvENKUlvE1_clEvEUliE_St5arrayIPcLm2EEEEviT0_T1_
		.amdhsa_group_segment_fixed_size 0
		.amdhsa_private_segment_fixed_size 0
		.amdhsa_kernarg_size 32
		.amdhsa_user_sgpr_count 2
		.amdhsa_user_sgpr_dispatch_ptr 0
		.amdhsa_user_sgpr_queue_ptr 0
		.amdhsa_user_sgpr_kernarg_segment_ptr 1
		.amdhsa_user_sgpr_dispatch_id 0
		.amdhsa_user_sgpr_kernarg_preload_length 0
		.amdhsa_user_sgpr_kernarg_preload_offset 0
		.amdhsa_user_sgpr_private_segment_size 0
		.amdhsa_uses_dynamic_stack 0
		.amdhsa_enable_private_segment 0
		.amdhsa_system_sgpr_workgroup_id_x 1
		.amdhsa_system_sgpr_workgroup_id_y 0
		.amdhsa_system_sgpr_workgroup_id_z 0
		.amdhsa_system_sgpr_workgroup_info 0
		.amdhsa_system_vgpr_workitem_id 0
		.amdhsa_next_free_vgpr 9
		.amdhsa_next_free_sgpr 18
		.amdhsa_accum_offset 12
		.amdhsa_reserve_vcc 1
		.amdhsa_float_round_mode_32 0
		.amdhsa_float_round_mode_16_64 0
		.amdhsa_float_denorm_mode_32 3
		.amdhsa_float_denorm_mode_16_64 3
		.amdhsa_dx10_clamp 1
		.amdhsa_ieee_mode 1
		.amdhsa_fp16_overflow 0
		.amdhsa_tg_split 0
		.amdhsa_exception_fp_ieee_invalid_op 0
		.amdhsa_exception_fp_denorm_src 0
		.amdhsa_exception_fp_ieee_div_zero 0
		.amdhsa_exception_fp_ieee_overflow 0
		.amdhsa_exception_fp_ieee_underflow 0
		.amdhsa_exception_fp_ieee_inexact 0
		.amdhsa_exception_int_div_zero 0
	.end_amdhsa_kernel
	.section	.text._ZN2at6native29vectorized_elementwise_kernelILi16EZZZNS0_17clamp_kernel_cudaERNS_18TensorIteratorBaseERKN3c106ScalarES7_ENKUlvE_clEvENKUlvE1_clEvEUliE_St5arrayIPcLm2EEEEviT0_T1_,"axG",@progbits,_ZN2at6native29vectorized_elementwise_kernelILi16EZZZNS0_17clamp_kernel_cudaERNS_18TensorIteratorBaseERKN3c106ScalarES7_ENKUlvE_clEvENKUlvE1_clEvEUliE_St5arrayIPcLm2EEEEviT0_T1_,comdat
.Lfunc_end290:
	.size	_ZN2at6native29vectorized_elementwise_kernelILi16EZZZNS0_17clamp_kernel_cudaERNS_18TensorIteratorBaseERKN3c106ScalarES7_ENKUlvE_clEvENKUlvE1_clEvEUliE_St5arrayIPcLm2EEEEviT0_T1_, .Lfunc_end290-_ZN2at6native29vectorized_elementwise_kernelILi16EZZZNS0_17clamp_kernel_cudaERNS_18TensorIteratorBaseERKN3c106ScalarES7_ENKUlvE_clEvENKUlvE1_clEvEUliE_St5arrayIPcLm2EEEEviT0_T1_
                                        ; -- End function
	.set _ZN2at6native29vectorized_elementwise_kernelILi16EZZZNS0_17clamp_kernel_cudaERNS_18TensorIteratorBaseERKN3c106ScalarES7_ENKUlvE_clEvENKUlvE1_clEvEUliE_St5arrayIPcLm2EEEEviT0_T1_.num_vgpr, 9
	.set _ZN2at6native29vectorized_elementwise_kernelILi16EZZZNS0_17clamp_kernel_cudaERNS_18TensorIteratorBaseERKN3c106ScalarES7_ENKUlvE_clEvENKUlvE1_clEvEUliE_St5arrayIPcLm2EEEEviT0_T1_.num_agpr, 0
	.set _ZN2at6native29vectorized_elementwise_kernelILi16EZZZNS0_17clamp_kernel_cudaERNS_18TensorIteratorBaseERKN3c106ScalarES7_ENKUlvE_clEvENKUlvE1_clEvEUliE_St5arrayIPcLm2EEEEviT0_T1_.numbered_sgpr, 18
	.set _ZN2at6native29vectorized_elementwise_kernelILi16EZZZNS0_17clamp_kernel_cudaERNS_18TensorIteratorBaseERKN3c106ScalarES7_ENKUlvE_clEvENKUlvE1_clEvEUliE_St5arrayIPcLm2EEEEviT0_T1_.num_named_barrier, 0
	.set _ZN2at6native29vectorized_elementwise_kernelILi16EZZZNS0_17clamp_kernel_cudaERNS_18TensorIteratorBaseERKN3c106ScalarES7_ENKUlvE_clEvENKUlvE1_clEvEUliE_St5arrayIPcLm2EEEEviT0_T1_.private_seg_size, 0
	.set _ZN2at6native29vectorized_elementwise_kernelILi16EZZZNS0_17clamp_kernel_cudaERNS_18TensorIteratorBaseERKN3c106ScalarES7_ENKUlvE_clEvENKUlvE1_clEvEUliE_St5arrayIPcLm2EEEEviT0_T1_.uses_vcc, 1
	.set _ZN2at6native29vectorized_elementwise_kernelILi16EZZZNS0_17clamp_kernel_cudaERNS_18TensorIteratorBaseERKN3c106ScalarES7_ENKUlvE_clEvENKUlvE1_clEvEUliE_St5arrayIPcLm2EEEEviT0_T1_.uses_flat_scratch, 0
	.set _ZN2at6native29vectorized_elementwise_kernelILi16EZZZNS0_17clamp_kernel_cudaERNS_18TensorIteratorBaseERKN3c106ScalarES7_ENKUlvE_clEvENKUlvE1_clEvEUliE_St5arrayIPcLm2EEEEviT0_T1_.has_dyn_sized_stack, 0
	.set _ZN2at6native29vectorized_elementwise_kernelILi16EZZZNS0_17clamp_kernel_cudaERNS_18TensorIteratorBaseERKN3c106ScalarES7_ENKUlvE_clEvENKUlvE1_clEvEUliE_St5arrayIPcLm2EEEEviT0_T1_.has_recursion, 0
	.set _ZN2at6native29vectorized_elementwise_kernelILi16EZZZNS0_17clamp_kernel_cudaERNS_18TensorIteratorBaseERKN3c106ScalarES7_ENKUlvE_clEvENKUlvE1_clEvEUliE_St5arrayIPcLm2EEEEviT0_T1_.has_indirect_call, 0
	.section	.AMDGPU.csdata,"",@progbits
; Kernel info:
; codeLenInByte = 652
; TotalNumSgprs: 24
; NumVgprs: 9
; NumAgprs: 0
; TotalNumVgprs: 9
; ScratchSize: 0
; MemoryBound: 0
; FloatMode: 240
; IeeeMode: 1
; LDSByteSize: 0 bytes/workgroup (compile time only)
; SGPRBlocks: 2
; VGPRBlocks: 1
; NumSGPRsForWavesPerEU: 24
; NumVGPRsForWavesPerEU: 9
; AccumOffset: 12
; Occupancy: 8
; WaveLimiterHint : 0
; COMPUTE_PGM_RSRC2:SCRATCH_EN: 0
; COMPUTE_PGM_RSRC2:USER_SGPR: 2
; COMPUTE_PGM_RSRC2:TRAP_HANDLER: 0
; COMPUTE_PGM_RSRC2:TGID_X_EN: 1
; COMPUTE_PGM_RSRC2:TGID_Y_EN: 0
; COMPUTE_PGM_RSRC2:TGID_Z_EN: 0
; COMPUTE_PGM_RSRC2:TIDIG_COMP_CNT: 0
; COMPUTE_PGM_RSRC3_GFX90A:ACCUM_OFFSET: 2
; COMPUTE_PGM_RSRC3_GFX90A:TG_SPLIT: 0
	.section	.text._ZN2at6native29vectorized_elementwise_kernelILi8EZZZNS0_17clamp_kernel_cudaERNS_18TensorIteratorBaseERKN3c106ScalarES7_ENKUlvE_clEvENKUlvE1_clEvEUliE_St5arrayIPcLm2EEEEviT0_T1_,"axG",@progbits,_ZN2at6native29vectorized_elementwise_kernelILi8EZZZNS0_17clamp_kernel_cudaERNS_18TensorIteratorBaseERKN3c106ScalarES7_ENKUlvE_clEvENKUlvE1_clEvEUliE_St5arrayIPcLm2EEEEviT0_T1_,comdat
	.globl	_ZN2at6native29vectorized_elementwise_kernelILi8EZZZNS0_17clamp_kernel_cudaERNS_18TensorIteratorBaseERKN3c106ScalarES7_ENKUlvE_clEvENKUlvE1_clEvEUliE_St5arrayIPcLm2EEEEviT0_T1_ ; -- Begin function _ZN2at6native29vectorized_elementwise_kernelILi8EZZZNS0_17clamp_kernel_cudaERNS_18TensorIteratorBaseERKN3c106ScalarES7_ENKUlvE_clEvENKUlvE1_clEvEUliE_St5arrayIPcLm2EEEEviT0_T1_
	.p2align	8
	.type	_ZN2at6native29vectorized_elementwise_kernelILi8EZZZNS0_17clamp_kernel_cudaERNS_18TensorIteratorBaseERKN3c106ScalarES7_ENKUlvE_clEvENKUlvE1_clEvEUliE_St5arrayIPcLm2EEEEviT0_T1_,@function
_ZN2at6native29vectorized_elementwise_kernelILi8EZZZNS0_17clamp_kernel_cudaERNS_18TensorIteratorBaseERKN3c106ScalarES7_ENKUlvE_clEvENKUlvE1_clEvEUliE_St5arrayIPcLm2EEEEviT0_T1_: ; @_ZN2at6native29vectorized_elementwise_kernelILi8EZZZNS0_17clamp_kernel_cudaERNS_18TensorIteratorBaseERKN3c106ScalarES7_ENKUlvE_clEvENKUlvE1_clEvEUliE_St5arrayIPcLm2EEEEviT0_T1_
; %bb.0:
	s_load_dwordx8 s[4:11], s[0:1], 0x0
	s_lshl_b32 s2, s2, 10
	s_mov_b64 s[0:1], -1
	s_waitcnt lgkmcnt(0)
	s_sub_i32 s4, s4, s2
	s_cmpk_gt_i32 s4, 0x3ff
	s_cbranch_scc0 .LBB291_2
; %bb.1:
	s_ashr_i32 s3, s2, 31
	s_lshl_b64 s[0:1], s[2:3], 2
	s_add_u32 s12, s10, s0
	s_addc_u32 s13, s11, s1
	v_lshlrev_b32_e32 v1, 4, v0
	global_load_dwordx4 v[2:5], v1, s[12:13]
	s_add_u32 s0, s8, s0
	s_addc_u32 s1, s9, s1
	s_waitcnt vmcnt(0)
	v_max_i32_e32 v2, s5, v2
	v_max_i32_e32 v3, s5, v3
	;; [unrolled: 1-line block ×4, first 2 shown]
	v_min_i32_e32 v2, s6, v2
	v_min_i32_e32 v3, s6, v3
	;; [unrolled: 1-line block ×4, first 2 shown]
	global_store_dwordx4 v1, v[2:5], s[0:1]
	s_mov_b64 s[0:1], 0
.LBB291_2:
	s_andn2_b64 vcc, exec, s[0:1]
	s_cbranch_vccnz .LBB291_16
; %bb.3:
	v_cmp_gt_i32_e32 vcc, s4, v0
	v_or_b32_e32 v1, 0x100, v0
	v_mov_b32_e32 v4, 0
	v_or_b32_e32 v2, s2, v0
	v_mov_b32_e32 v5, 0
	v_mov_b32_e32 v3, 0
	;; [unrolled: 1-line block ×3, first 2 shown]
	s_and_saveexec_b64 s[12:13], vcc
	s_cbranch_execz .LBB291_11
; %bb.4:
	v_mov_b32_e32 v3, 0
	v_lshl_add_u64 v[4:5], v[2:3], 2, s[10:11]
	global_load_dword v8, v[4:5], off
	v_cmp_gt_u32_e64 s[0:1], s4, v1
	v_mov_b32_e32 v5, v3
	v_mov_b32_e32 v4, v3
	s_and_saveexec_b64 s[14:15], s[0:1]
	s_cbranch_execz .LBB291_10
; %bb.5:
	v_add_u32_e32 v4, s2, v0
	v_mov_b32_e32 v5, 0
	v_lshl_add_u64 v[6:7], v[4:5], 2, s[10:11]
	global_load_dword v3, v[6:7], off offset:1024
	v_or_b32_e32 v4, 0x200, v0
	v_cmp_gt_u32_e64 s[0:1], s4, v4
	v_mov_b32_e32 v4, v5
	s_and_saveexec_b64 s[10:11], s[0:1]
	s_cbranch_execz .LBB291_9
; %bb.6:
	global_load_dword v5, v[6:7], off offset:2048
	v_or_b32_e32 v4, 0x300, v0
	v_cmp_gt_u32_e64 s[0:1], s4, v4
	v_mov_b32_e32 v4, 0
	s_and_saveexec_b64 s[16:17], s[0:1]
	s_cbranch_execz .LBB291_8
; %bb.7:
	global_load_dword v4, v[6:7], off offset:3072
.LBB291_8:
	s_or_b64 exec, exec, s[16:17]
.LBB291_9:
	s_or_b64 exec, exec, s[10:11]
.LBB291_10:
	s_or_b64 exec, exec, s[14:15]
.LBB291_11:
	s_or_b64 exec, exec, s[12:13]
	s_waitcnt vmcnt(0)
	v_max_i32_e32 v6, s5, v8
	v_max_i32_e32 v3, s5, v3
	v_min_i32_e32 v6, s6, v6
	v_min_i32_e32 v3, s6, v3
	v_cmp_gt_i32_e64 s[0:1], s4, v1
	v_cndmask_b32_e32 v7, 0, v6, vcc
	v_max_i32_e32 v5, s5, v5
	v_cndmask_b32_e64 v6, 0, v3, s[0:1]
	v_or_b32_e32 v3, 0x200, v0
	v_min_i32_e32 v5, s6, v5
	v_cmp_gt_i32_e64 s[0:1], s4, v3
	v_or_b32_e32 v3, 0x300, v0
	v_max_i32_e32 v4, s5, v4
	v_cndmask_b32_e64 v5, 0, v5, s[0:1]
	v_min_i32_e32 v4, s6, v4
	v_cmp_gt_i32_e64 s[0:1], s4, v3
	s_nop 1
	v_cndmask_b32_e64 v4, 0, v4, s[0:1]
	s_and_saveexec_b64 s[0:1], vcc
	s_cbranch_execnz .LBB291_17
; %bb.12:
	s_or_b64 exec, exec, s[0:1]
	v_cmp_gt_i32_e32 vcc, s4, v0
	s_and_saveexec_b64 s[0:1], vcc
	s_cbranch_execnz .LBB291_18
.LBB291_13:
	s_or_b64 exec, exec, s[0:1]
	v_cmp_gt_i32_e32 vcc, s4, v0
	s_and_saveexec_b64 s[0:1], vcc
	s_cbranch_execnz .LBB291_19
.LBB291_14:
	s_or_b64 exec, exec, s[0:1]
	v_cmp_gt_i32_e32 vcc, s4, v0
	s_and_saveexec_b64 s[0:1], vcc
	s_cbranch_execz .LBB291_16
.LBB291_15:
	v_add_u32_e32 v0, s2, v0
	v_mov_b32_e32 v1, 0
	v_lshl_add_u64 v[0:1], v[0:1], 2, s[8:9]
	global_store_dword v[0:1], v4, off
.LBB291_16:
	s_endpgm
.LBB291_17:
	v_mov_b32_e32 v3, 0
	v_lshl_add_u64 v[2:3], v[2:3], 2, s[8:9]
	v_mov_b32_e32 v0, v1
	global_store_dword v[2:3], v7, off
	s_or_b64 exec, exec, s[0:1]
	v_cmp_gt_i32_e32 vcc, s4, v0
	s_and_saveexec_b64 s[0:1], vcc
	s_cbranch_execz .LBB291_13
.LBB291_18:
	v_add_u32_e32 v2, s2, v0
	v_mov_b32_e32 v3, 0
	v_lshl_add_u64 v[2:3], v[2:3], 2, s[8:9]
	v_add_u32_e32 v0, 0x100, v0
	global_store_dword v[2:3], v6, off
	s_or_b64 exec, exec, s[0:1]
	v_cmp_gt_i32_e32 vcc, s4, v0
	s_and_saveexec_b64 s[0:1], vcc
	s_cbranch_execz .LBB291_14
.LBB291_19:
	v_add_u32_e32 v2, s2, v0
	v_mov_b32_e32 v3, 0
	v_lshl_add_u64 v[2:3], v[2:3], 2, s[8:9]
	v_add_u32_e32 v0, 0x100, v0
	global_store_dword v[2:3], v5, off
	s_or_b64 exec, exec, s[0:1]
	v_cmp_gt_i32_e32 vcc, s4, v0
	s_and_saveexec_b64 s[0:1], vcc
	s_cbranch_execnz .LBB291_15
	s_branch .LBB291_16
	.section	.rodata,"a",@progbits
	.p2align	6, 0x0
	.amdhsa_kernel _ZN2at6native29vectorized_elementwise_kernelILi8EZZZNS0_17clamp_kernel_cudaERNS_18TensorIteratorBaseERKN3c106ScalarES7_ENKUlvE_clEvENKUlvE1_clEvEUliE_St5arrayIPcLm2EEEEviT0_T1_
		.amdhsa_group_segment_fixed_size 0
		.amdhsa_private_segment_fixed_size 0
		.amdhsa_kernarg_size 32
		.amdhsa_user_sgpr_count 2
		.amdhsa_user_sgpr_dispatch_ptr 0
		.amdhsa_user_sgpr_queue_ptr 0
		.amdhsa_user_sgpr_kernarg_segment_ptr 1
		.amdhsa_user_sgpr_dispatch_id 0
		.amdhsa_user_sgpr_kernarg_preload_length 0
		.amdhsa_user_sgpr_kernarg_preload_offset 0
		.amdhsa_user_sgpr_private_segment_size 0
		.amdhsa_uses_dynamic_stack 0
		.amdhsa_enable_private_segment 0
		.amdhsa_system_sgpr_workgroup_id_x 1
		.amdhsa_system_sgpr_workgroup_id_y 0
		.amdhsa_system_sgpr_workgroup_id_z 0
		.amdhsa_system_sgpr_workgroup_info 0
		.amdhsa_system_vgpr_workitem_id 0
		.amdhsa_next_free_vgpr 9
		.amdhsa_next_free_sgpr 18
		.amdhsa_accum_offset 12
		.amdhsa_reserve_vcc 1
		.amdhsa_float_round_mode_32 0
		.amdhsa_float_round_mode_16_64 0
		.amdhsa_float_denorm_mode_32 3
		.amdhsa_float_denorm_mode_16_64 3
		.amdhsa_dx10_clamp 1
		.amdhsa_ieee_mode 1
		.amdhsa_fp16_overflow 0
		.amdhsa_tg_split 0
		.amdhsa_exception_fp_ieee_invalid_op 0
		.amdhsa_exception_fp_denorm_src 0
		.amdhsa_exception_fp_ieee_div_zero 0
		.amdhsa_exception_fp_ieee_overflow 0
		.amdhsa_exception_fp_ieee_underflow 0
		.amdhsa_exception_fp_ieee_inexact 0
		.amdhsa_exception_int_div_zero 0
	.end_amdhsa_kernel
	.section	.text._ZN2at6native29vectorized_elementwise_kernelILi8EZZZNS0_17clamp_kernel_cudaERNS_18TensorIteratorBaseERKN3c106ScalarES7_ENKUlvE_clEvENKUlvE1_clEvEUliE_St5arrayIPcLm2EEEEviT0_T1_,"axG",@progbits,_ZN2at6native29vectorized_elementwise_kernelILi8EZZZNS0_17clamp_kernel_cudaERNS_18TensorIteratorBaseERKN3c106ScalarES7_ENKUlvE_clEvENKUlvE1_clEvEUliE_St5arrayIPcLm2EEEEviT0_T1_,comdat
.Lfunc_end291:
	.size	_ZN2at6native29vectorized_elementwise_kernelILi8EZZZNS0_17clamp_kernel_cudaERNS_18TensorIteratorBaseERKN3c106ScalarES7_ENKUlvE_clEvENKUlvE1_clEvEUliE_St5arrayIPcLm2EEEEviT0_T1_, .Lfunc_end291-_ZN2at6native29vectorized_elementwise_kernelILi8EZZZNS0_17clamp_kernel_cudaERNS_18TensorIteratorBaseERKN3c106ScalarES7_ENKUlvE_clEvENKUlvE1_clEvEUliE_St5arrayIPcLm2EEEEviT0_T1_
                                        ; -- End function
	.set _ZN2at6native29vectorized_elementwise_kernelILi8EZZZNS0_17clamp_kernel_cudaERNS_18TensorIteratorBaseERKN3c106ScalarES7_ENKUlvE_clEvENKUlvE1_clEvEUliE_St5arrayIPcLm2EEEEviT0_T1_.num_vgpr, 9
	.set _ZN2at6native29vectorized_elementwise_kernelILi8EZZZNS0_17clamp_kernel_cudaERNS_18TensorIteratorBaseERKN3c106ScalarES7_ENKUlvE_clEvENKUlvE1_clEvEUliE_St5arrayIPcLm2EEEEviT0_T1_.num_agpr, 0
	.set _ZN2at6native29vectorized_elementwise_kernelILi8EZZZNS0_17clamp_kernel_cudaERNS_18TensorIteratorBaseERKN3c106ScalarES7_ENKUlvE_clEvENKUlvE1_clEvEUliE_St5arrayIPcLm2EEEEviT0_T1_.numbered_sgpr, 18
	.set _ZN2at6native29vectorized_elementwise_kernelILi8EZZZNS0_17clamp_kernel_cudaERNS_18TensorIteratorBaseERKN3c106ScalarES7_ENKUlvE_clEvENKUlvE1_clEvEUliE_St5arrayIPcLm2EEEEviT0_T1_.num_named_barrier, 0
	.set _ZN2at6native29vectorized_elementwise_kernelILi8EZZZNS0_17clamp_kernel_cudaERNS_18TensorIteratorBaseERKN3c106ScalarES7_ENKUlvE_clEvENKUlvE1_clEvEUliE_St5arrayIPcLm2EEEEviT0_T1_.private_seg_size, 0
	.set _ZN2at6native29vectorized_elementwise_kernelILi8EZZZNS0_17clamp_kernel_cudaERNS_18TensorIteratorBaseERKN3c106ScalarES7_ENKUlvE_clEvENKUlvE1_clEvEUliE_St5arrayIPcLm2EEEEviT0_T1_.uses_vcc, 1
	.set _ZN2at6native29vectorized_elementwise_kernelILi8EZZZNS0_17clamp_kernel_cudaERNS_18TensorIteratorBaseERKN3c106ScalarES7_ENKUlvE_clEvENKUlvE1_clEvEUliE_St5arrayIPcLm2EEEEviT0_T1_.uses_flat_scratch, 0
	.set _ZN2at6native29vectorized_elementwise_kernelILi8EZZZNS0_17clamp_kernel_cudaERNS_18TensorIteratorBaseERKN3c106ScalarES7_ENKUlvE_clEvENKUlvE1_clEvEUliE_St5arrayIPcLm2EEEEviT0_T1_.has_dyn_sized_stack, 0
	.set _ZN2at6native29vectorized_elementwise_kernelILi8EZZZNS0_17clamp_kernel_cudaERNS_18TensorIteratorBaseERKN3c106ScalarES7_ENKUlvE_clEvENKUlvE1_clEvEUliE_St5arrayIPcLm2EEEEviT0_T1_.has_recursion, 0
	.set _ZN2at6native29vectorized_elementwise_kernelILi8EZZZNS0_17clamp_kernel_cudaERNS_18TensorIteratorBaseERKN3c106ScalarES7_ENKUlvE_clEvENKUlvE1_clEvEUliE_St5arrayIPcLm2EEEEviT0_T1_.has_indirect_call, 0
	.section	.AMDGPU.csdata,"",@progbits
; Kernel info:
; codeLenInByte = 652
; TotalNumSgprs: 24
; NumVgprs: 9
; NumAgprs: 0
; TotalNumVgprs: 9
; ScratchSize: 0
; MemoryBound: 0
; FloatMode: 240
; IeeeMode: 1
; LDSByteSize: 0 bytes/workgroup (compile time only)
; SGPRBlocks: 2
; VGPRBlocks: 1
; NumSGPRsForWavesPerEU: 24
; NumVGPRsForWavesPerEU: 9
; AccumOffset: 12
; Occupancy: 8
; WaveLimiterHint : 0
; COMPUTE_PGM_RSRC2:SCRATCH_EN: 0
; COMPUTE_PGM_RSRC2:USER_SGPR: 2
; COMPUTE_PGM_RSRC2:TRAP_HANDLER: 0
; COMPUTE_PGM_RSRC2:TGID_X_EN: 1
; COMPUTE_PGM_RSRC2:TGID_Y_EN: 0
; COMPUTE_PGM_RSRC2:TGID_Z_EN: 0
; COMPUTE_PGM_RSRC2:TIDIG_COMP_CNT: 0
; COMPUTE_PGM_RSRC3_GFX90A:ACCUM_OFFSET: 2
; COMPUTE_PGM_RSRC3_GFX90A:TG_SPLIT: 0
	.section	.text._ZN2at6native29vectorized_elementwise_kernelILi4EZZZNS0_17clamp_kernel_cudaERNS_18TensorIteratorBaseERKN3c106ScalarES7_ENKUlvE_clEvENKUlvE1_clEvEUliE_St5arrayIPcLm2EEEEviT0_T1_,"axG",@progbits,_ZN2at6native29vectorized_elementwise_kernelILi4EZZZNS0_17clamp_kernel_cudaERNS_18TensorIteratorBaseERKN3c106ScalarES7_ENKUlvE_clEvENKUlvE1_clEvEUliE_St5arrayIPcLm2EEEEviT0_T1_,comdat
	.globl	_ZN2at6native29vectorized_elementwise_kernelILi4EZZZNS0_17clamp_kernel_cudaERNS_18TensorIteratorBaseERKN3c106ScalarES7_ENKUlvE_clEvENKUlvE1_clEvEUliE_St5arrayIPcLm2EEEEviT0_T1_ ; -- Begin function _ZN2at6native29vectorized_elementwise_kernelILi4EZZZNS0_17clamp_kernel_cudaERNS_18TensorIteratorBaseERKN3c106ScalarES7_ENKUlvE_clEvENKUlvE1_clEvEUliE_St5arrayIPcLm2EEEEviT0_T1_
	.p2align	8
	.type	_ZN2at6native29vectorized_elementwise_kernelILi4EZZZNS0_17clamp_kernel_cudaERNS_18TensorIteratorBaseERKN3c106ScalarES7_ENKUlvE_clEvENKUlvE1_clEvEUliE_St5arrayIPcLm2EEEEviT0_T1_,@function
_ZN2at6native29vectorized_elementwise_kernelILi4EZZZNS0_17clamp_kernel_cudaERNS_18TensorIteratorBaseERKN3c106ScalarES7_ENKUlvE_clEvENKUlvE1_clEvEUliE_St5arrayIPcLm2EEEEviT0_T1_: ; @_ZN2at6native29vectorized_elementwise_kernelILi4EZZZNS0_17clamp_kernel_cudaERNS_18TensorIteratorBaseERKN3c106ScalarES7_ENKUlvE_clEvENKUlvE1_clEvEUliE_St5arrayIPcLm2EEEEviT0_T1_
; %bb.0:
	s_load_dwordx8 s[4:11], s[0:1], 0x0
	s_lshl_b32 s2, s2, 10
	s_mov_b64 s[0:1], -1
	s_waitcnt lgkmcnt(0)
	s_sub_i32 s4, s4, s2
	s_cmpk_gt_i32 s4, 0x3ff
	s_cbranch_scc0 .LBB292_2
; %bb.1:
	s_ashr_i32 s3, s2, 31
	s_lshl_b64 s[0:1], s[2:3], 2
	s_add_u32 s12, s10, s0
	s_addc_u32 s13, s11, s1
	v_lshlrev_b32_e32 v1, 4, v0
	global_load_dwordx4 v[2:5], v1, s[12:13]
	s_add_u32 s0, s8, s0
	s_addc_u32 s1, s9, s1
	s_waitcnt vmcnt(0)
	v_max_i32_e32 v2, s5, v2
	v_max_i32_e32 v3, s5, v3
	;; [unrolled: 1-line block ×4, first 2 shown]
	v_min_i32_e32 v2, s6, v2
	v_min_i32_e32 v3, s6, v3
	;; [unrolled: 1-line block ×4, first 2 shown]
	global_store_dwordx4 v1, v[2:5], s[0:1]
	s_mov_b64 s[0:1], 0
.LBB292_2:
	s_andn2_b64 vcc, exec, s[0:1]
	s_cbranch_vccnz .LBB292_16
; %bb.3:
	v_cmp_gt_i32_e32 vcc, s4, v0
	v_or_b32_e32 v1, 0x100, v0
	v_mov_b32_e32 v4, 0
	v_or_b32_e32 v2, s2, v0
	v_mov_b32_e32 v5, 0
	v_mov_b32_e32 v3, 0
	;; [unrolled: 1-line block ×3, first 2 shown]
	s_and_saveexec_b64 s[12:13], vcc
	s_cbranch_execz .LBB292_11
; %bb.4:
	v_mov_b32_e32 v3, 0
	v_lshl_add_u64 v[4:5], v[2:3], 2, s[10:11]
	global_load_dword v8, v[4:5], off
	v_cmp_gt_u32_e64 s[0:1], s4, v1
	v_mov_b32_e32 v5, v3
	v_mov_b32_e32 v4, v3
	s_and_saveexec_b64 s[14:15], s[0:1]
	s_cbranch_execz .LBB292_10
; %bb.5:
	v_add_u32_e32 v4, s2, v0
	v_mov_b32_e32 v5, 0
	v_lshl_add_u64 v[6:7], v[4:5], 2, s[10:11]
	global_load_dword v3, v[6:7], off offset:1024
	v_or_b32_e32 v4, 0x200, v0
	v_cmp_gt_u32_e64 s[0:1], s4, v4
	v_mov_b32_e32 v4, v5
	s_and_saveexec_b64 s[10:11], s[0:1]
	s_cbranch_execz .LBB292_9
; %bb.6:
	global_load_dword v5, v[6:7], off offset:2048
	v_or_b32_e32 v4, 0x300, v0
	v_cmp_gt_u32_e64 s[0:1], s4, v4
	v_mov_b32_e32 v4, 0
	s_and_saveexec_b64 s[16:17], s[0:1]
	s_cbranch_execz .LBB292_8
; %bb.7:
	global_load_dword v4, v[6:7], off offset:3072
.LBB292_8:
	s_or_b64 exec, exec, s[16:17]
.LBB292_9:
	s_or_b64 exec, exec, s[10:11]
.LBB292_10:
	s_or_b64 exec, exec, s[14:15]
.LBB292_11:
	s_or_b64 exec, exec, s[12:13]
	s_waitcnt vmcnt(0)
	v_max_i32_e32 v6, s5, v8
	v_max_i32_e32 v3, s5, v3
	v_min_i32_e32 v6, s6, v6
	v_min_i32_e32 v3, s6, v3
	v_cmp_gt_i32_e64 s[0:1], s4, v1
	v_cndmask_b32_e32 v7, 0, v6, vcc
	v_max_i32_e32 v5, s5, v5
	v_cndmask_b32_e64 v6, 0, v3, s[0:1]
	v_or_b32_e32 v3, 0x200, v0
	v_min_i32_e32 v5, s6, v5
	v_cmp_gt_i32_e64 s[0:1], s4, v3
	v_or_b32_e32 v3, 0x300, v0
	v_max_i32_e32 v4, s5, v4
	v_cndmask_b32_e64 v5, 0, v5, s[0:1]
	v_min_i32_e32 v4, s6, v4
	v_cmp_gt_i32_e64 s[0:1], s4, v3
	s_nop 1
	v_cndmask_b32_e64 v4, 0, v4, s[0:1]
	s_and_saveexec_b64 s[0:1], vcc
	s_cbranch_execnz .LBB292_17
; %bb.12:
	s_or_b64 exec, exec, s[0:1]
	v_cmp_gt_i32_e32 vcc, s4, v0
	s_and_saveexec_b64 s[0:1], vcc
	s_cbranch_execnz .LBB292_18
.LBB292_13:
	s_or_b64 exec, exec, s[0:1]
	v_cmp_gt_i32_e32 vcc, s4, v0
	s_and_saveexec_b64 s[0:1], vcc
	s_cbranch_execnz .LBB292_19
.LBB292_14:
	s_or_b64 exec, exec, s[0:1]
	v_cmp_gt_i32_e32 vcc, s4, v0
	s_and_saveexec_b64 s[0:1], vcc
	s_cbranch_execz .LBB292_16
.LBB292_15:
	v_add_u32_e32 v0, s2, v0
	v_mov_b32_e32 v1, 0
	v_lshl_add_u64 v[0:1], v[0:1], 2, s[8:9]
	global_store_dword v[0:1], v4, off
.LBB292_16:
	s_endpgm
.LBB292_17:
	v_mov_b32_e32 v3, 0
	v_lshl_add_u64 v[2:3], v[2:3], 2, s[8:9]
	v_mov_b32_e32 v0, v1
	global_store_dword v[2:3], v7, off
	s_or_b64 exec, exec, s[0:1]
	v_cmp_gt_i32_e32 vcc, s4, v0
	s_and_saveexec_b64 s[0:1], vcc
	s_cbranch_execz .LBB292_13
.LBB292_18:
	v_add_u32_e32 v2, s2, v0
	v_mov_b32_e32 v3, 0
	v_lshl_add_u64 v[2:3], v[2:3], 2, s[8:9]
	v_add_u32_e32 v0, 0x100, v0
	global_store_dword v[2:3], v6, off
	s_or_b64 exec, exec, s[0:1]
	v_cmp_gt_i32_e32 vcc, s4, v0
	s_and_saveexec_b64 s[0:1], vcc
	s_cbranch_execz .LBB292_14
.LBB292_19:
	v_add_u32_e32 v2, s2, v0
	v_mov_b32_e32 v3, 0
	v_lshl_add_u64 v[2:3], v[2:3], 2, s[8:9]
	v_add_u32_e32 v0, 0x100, v0
	global_store_dword v[2:3], v5, off
	s_or_b64 exec, exec, s[0:1]
	v_cmp_gt_i32_e32 vcc, s4, v0
	s_and_saveexec_b64 s[0:1], vcc
	s_cbranch_execnz .LBB292_15
	s_branch .LBB292_16
	.section	.rodata,"a",@progbits
	.p2align	6, 0x0
	.amdhsa_kernel _ZN2at6native29vectorized_elementwise_kernelILi4EZZZNS0_17clamp_kernel_cudaERNS_18TensorIteratorBaseERKN3c106ScalarES7_ENKUlvE_clEvENKUlvE1_clEvEUliE_St5arrayIPcLm2EEEEviT0_T1_
		.amdhsa_group_segment_fixed_size 0
		.amdhsa_private_segment_fixed_size 0
		.amdhsa_kernarg_size 32
		.amdhsa_user_sgpr_count 2
		.amdhsa_user_sgpr_dispatch_ptr 0
		.amdhsa_user_sgpr_queue_ptr 0
		.amdhsa_user_sgpr_kernarg_segment_ptr 1
		.amdhsa_user_sgpr_dispatch_id 0
		.amdhsa_user_sgpr_kernarg_preload_length 0
		.amdhsa_user_sgpr_kernarg_preload_offset 0
		.amdhsa_user_sgpr_private_segment_size 0
		.amdhsa_uses_dynamic_stack 0
		.amdhsa_enable_private_segment 0
		.amdhsa_system_sgpr_workgroup_id_x 1
		.amdhsa_system_sgpr_workgroup_id_y 0
		.amdhsa_system_sgpr_workgroup_id_z 0
		.amdhsa_system_sgpr_workgroup_info 0
		.amdhsa_system_vgpr_workitem_id 0
		.amdhsa_next_free_vgpr 9
		.amdhsa_next_free_sgpr 18
		.amdhsa_accum_offset 12
		.amdhsa_reserve_vcc 1
		.amdhsa_float_round_mode_32 0
		.amdhsa_float_round_mode_16_64 0
		.amdhsa_float_denorm_mode_32 3
		.amdhsa_float_denorm_mode_16_64 3
		.amdhsa_dx10_clamp 1
		.amdhsa_ieee_mode 1
		.amdhsa_fp16_overflow 0
		.amdhsa_tg_split 0
		.amdhsa_exception_fp_ieee_invalid_op 0
		.amdhsa_exception_fp_denorm_src 0
		.amdhsa_exception_fp_ieee_div_zero 0
		.amdhsa_exception_fp_ieee_overflow 0
		.amdhsa_exception_fp_ieee_underflow 0
		.amdhsa_exception_fp_ieee_inexact 0
		.amdhsa_exception_int_div_zero 0
	.end_amdhsa_kernel
	.section	.text._ZN2at6native29vectorized_elementwise_kernelILi4EZZZNS0_17clamp_kernel_cudaERNS_18TensorIteratorBaseERKN3c106ScalarES7_ENKUlvE_clEvENKUlvE1_clEvEUliE_St5arrayIPcLm2EEEEviT0_T1_,"axG",@progbits,_ZN2at6native29vectorized_elementwise_kernelILi4EZZZNS0_17clamp_kernel_cudaERNS_18TensorIteratorBaseERKN3c106ScalarES7_ENKUlvE_clEvENKUlvE1_clEvEUliE_St5arrayIPcLm2EEEEviT0_T1_,comdat
.Lfunc_end292:
	.size	_ZN2at6native29vectorized_elementwise_kernelILi4EZZZNS0_17clamp_kernel_cudaERNS_18TensorIteratorBaseERKN3c106ScalarES7_ENKUlvE_clEvENKUlvE1_clEvEUliE_St5arrayIPcLm2EEEEviT0_T1_, .Lfunc_end292-_ZN2at6native29vectorized_elementwise_kernelILi4EZZZNS0_17clamp_kernel_cudaERNS_18TensorIteratorBaseERKN3c106ScalarES7_ENKUlvE_clEvENKUlvE1_clEvEUliE_St5arrayIPcLm2EEEEviT0_T1_
                                        ; -- End function
	.set _ZN2at6native29vectorized_elementwise_kernelILi4EZZZNS0_17clamp_kernel_cudaERNS_18TensorIteratorBaseERKN3c106ScalarES7_ENKUlvE_clEvENKUlvE1_clEvEUliE_St5arrayIPcLm2EEEEviT0_T1_.num_vgpr, 9
	.set _ZN2at6native29vectorized_elementwise_kernelILi4EZZZNS0_17clamp_kernel_cudaERNS_18TensorIteratorBaseERKN3c106ScalarES7_ENKUlvE_clEvENKUlvE1_clEvEUliE_St5arrayIPcLm2EEEEviT0_T1_.num_agpr, 0
	.set _ZN2at6native29vectorized_elementwise_kernelILi4EZZZNS0_17clamp_kernel_cudaERNS_18TensorIteratorBaseERKN3c106ScalarES7_ENKUlvE_clEvENKUlvE1_clEvEUliE_St5arrayIPcLm2EEEEviT0_T1_.numbered_sgpr, 18
	.set _ZN2at6native29vectorized_elementwise_kernelILi4EZZZNS0_17clamp_kernel_cudaERNS_18TensorIteratorBaseERKN3c106ScalarES7_ENKUlvE_clEvENKUlvE1_clEvEUliE_St5arrayIPcLm2EEEEviT0_T1_.num_named_barrier, 0
	.set _ZN2at6native29vectorized_elementwise_kernelILi4EZZZNS0_17clamp_kernel_cudaERNS_18TensorIteratorBaseERKN3c106ScalarES7_ENKUlvE_clEvENKUlvE1_clEvEUliE_St5arrayIPcLm2EEEEviT0_T1_.private_seg_size, 0
	.set _ZN2at6native29vectorized_elementwise_kernelILi4EZZZNS0_17clamp_kernel_cudaERNS_18TensorIteratorBaseERKN3c106ScalarES7_ENKUlvE_clEvENKUlvE1_clEvEUliE_St5arrayIPcLm2EEEEviT0_T1_.uses_vcc, 1
	.set _ZN2at6native29vectorized_elementwise_kernelILi4EZZZNS0_17clamp_kernel_cudaERNS_18TensorIteratorBaseERKN3c106ScalarES7_ENKUlvE_clEvENKUlvE1_clEvEUliE_St5arrayIPcLm2EEEEviT0_T1_.uses_flat_scratch, 0
	.set _ZN2at6native29vectorized_elementwise_kernelILi4EZZZNS0_17clamp_kernel_cudaERNS_18TensorIteratorBaseERKN3c106ScalarES7_ENKUlvE_clEvENKUlvE1_clEvEUliE_St5arrayIPcLm2EEEEviT0_T1_.has_dyn_sized_stack, 0
	.set _ZN2at6native29vectorized_elementwise_kernelILi4EZZZNS0_17clamp_kernel_cudaERNS_18TensorIteratorBaseERKN3c106ScalarES7_ENKUlvE_clEvENKUlvE1_clEvEUliE_St5arrayIPcLm2EEEEviT0_T1_.has_recursion, 0
	.set _ZN2at6native29vectorized_elementwise_kernelILi4EZZZNS0_17clamp_kernel_cudaERNS_18TensorIteratorBaseERKN3c106ScalarES7_ENKUlvE_clEvENKUlvE1_clEvEUliE_St5arrayIPcLm2EEEEviT0_T1_.has_indirect_call, 0
	.section	.AMDGPU.csdata,"",@progbits
; Kernel info:
; codeLenInByte = 652
; TotalNumSgprs: 24
; NumVgprs: 9
; NumAgprs: 0
; TotalNumVgprs: 9
; ScratchSize: 0
; MemoryBound: 0
; FloatMode: 240
; IeeeMode: 1
; LDSByteSize: 0 bytes/workgroup (compile time only)
; SGPRBlocks: 2
; VGPRBlocks: 1
; NumSGPRsForWavesPerEU: 24
; NumVGPRsForWavesPerEU: 9
; AccumOffset: 12
; Occupancy: 8
; WaveLimiterHint : 0
; COMPUTE_PGM_RSRC2:SCRATCH_EN: 0
; COMPUTE_PGM_RSRC2:USER_SGPR: 2
; COMPUTE_PGM_RSRC2:TRAP_HANDLER: 0
; COMPUTE_PGM_RSRC2:TGID_X_EN: 1
; COMPUTE_PGM_RSRC2:TGID_Y_EN: 0
; COMPUTE_PGM_RSRC2:TGID_Z_EN: 0
; COMPUTE_PGM_RSRC2:TIDIG_COMP_CNT: 0
; COMPUTE_PGM_RSRC3_GFX90A:ACCUM_OFFSET: 2
; COMPUTE_PGM_RSRC3_GFX90A:TG_SPLIT: 0
	.section	.text._ZN2at6native29vectorized_elementwise_kernelILi2EZZZNS0_17clamp_kernel_cudaERNS_18TensorIteratorBaseERKN3c106ScalarES7_ENKUlvE_clEvENKUlvE1_clEvEUliE_St5arrayIPcLm2EEEEviT0_T1_,"axG",@progbits,_ZN2at6native29vectorized_elementwise_kernelILi2EZZZNS0_17clamp_kernel_cudaERNS_18TensorIteratorBaseERKN3c106ScalarES7_ENKUlvE_clEvENKUlvE1_clEvEUliE_St5arrayIPcLm2EEEEviT0_T1_,comdat
	.globl	_ZN2at6native29vectorized_elementwise_kernelILi2EZZZNS0_17clamp_kernel_cudaERNS_18TensorIteratorBaseERKN3c106ScalarES7_ENKUlvE_clEvENKUlvE1_clEvEUliE_St5arrayIPcLm2EEEEviT0_T1_ ; -- Begin function _ZN2at6native29vectorized_elementwise_kernelILi2EZZZNS0_17clamp_kernel_cudaERNS_18TensorIteratorBaseERKN3c106ScalarES7_ENKUlvE_clEvENKUlvE1_clEvEUliE_St5arrayIPcLm2EEEEviT0_T1_
	.p2align	8
	.type	_ZN2at6native29vectorized_elementwise_kernelILi2EZZZNS0_17clamp_kernel_cudaERNS_18TensorIteratorBaseERKN3c106ScalarES7_ENKUlvE_clEvENKUlvE1_clEvEUliE_St5arrayIPcLm2EEEEviT0_T1_,@function
_ZN2at6native29vectorized_elementwise_kernelILi2EZZZNS0_17clamp_kernel_cudaERNS_18TensorIteratorBaseERKN3c106ScalarES7_ENKUlvE_clEvENKUlvE1_clEvEUliE_St5arrayIPcLm2EEEEviT0_T1_: ; @_ZN2at6native29vectorized_elementwise_kernelILi2EZZZNS0_17clamp_kernel_cudaERNS_18TensorIteratorBaseERKN3c106ScalarES7_ENKUlvE_clEvENKUlvE1_clEvEUliE_St5arrayIPcLm2EEEEviT0_T1_
; %bb.0:
	s_load_dwordx8 s[4:11], s[0:1], 0x0
	s_lshl_b32 s2, s2, 10
	s_mov_b64 s[0:1], -1
	s_waitcnt lgkmcnt(0)
	s_sub_i32 s4, s4, s2
	s_cmpk_gt_i32 s4, 0x3ff
	s_cbranch_scc0 .LBB293_2
; %bb.1:
	s_ashr_i32 s3, s2, 31
	s_lshl_b64 s[0:1], s[2:3], 2
	s_add_u32 s12, s10, s0
	s_addc_u32 s13, s11, s1
	v_lshlrev_b32_e32 v1, 3, v0
	global_load_dwordx2 v[2:3], v1, s[12:13]
	global_load_dwordx2 v[4:5], v1, s[12:13] offset:2048
	s_add_u32 s0, s8, s0
	s_addc_u32 s1, s9, s1
	s_waitcnt vmcnt(1)
	v_max_i32_e32 v2, s5, v2
	v_max_i32_e32 v3, s5, v3
	s_waitcnt vmcnt(0)
	v_max_i32_e32 v4, s5, v4
	v_max_i32_e32 v5, s5, v5
	v_min_i32_e32 v2, s6, v2
	v_min_i32_e32 v3, s6, v3
	;; [unrolled: 1-line block ×4, first 2 shown]
	global_store_dwordx2 v1, v[2:3], s[0:1]
	global_store_dwordx2 v1, v[4:5], s[0:1] offset:2048
	s_mov_b64 s[0:1], 0
.LBB293_2:
	s_andn2_b64 vcc, exec, s[0:1]
	s_cbranch_vccnz .LBB293_16
; %bb.3:
	v_cmp_gt_i32_e32 vcc, s4, v0
	v_or_b32_e32 v1, 0x100, v0
	v_mov_b32_e32 v4, 0
	v_or_b32_e32 v2, s2, v0
	v_mov_b32_e32 v5, 0
	v_mov_b32_e32 v3, 0
	;; [unrolled: 1-line block ×3, first 2 shown]
	s_and_saveexec_b64 s[12:13], vcc
	s_cbranch_execz .LBB293_11
; %bb.4:
	v_mov_b32_e32 v3, 0
	v_lshl_add_u64 v[4:5], v[2:3], 2, s[10:11]
	global_load_dword v8, v[4:5], off
	v_cmp_gt_u32_e64 s[0:1], s4, v1
	v_mov_b32_e32 v5, v3
	v_mov_b32_e32 v4, v3
	s_and_saveexec_b64 s[14:15], s[0:1]
	s_cbranch_execz .LBB293_10
; %bb.5:
	v_add_u32_e32 v4, s2, v0
	v_mov_b32_e32 v5, 0
	v_lshl_add_u64 v[6:7], v[4:5], 2, s[10:11]
	global_load_dword v3, v[6:7], off offset:1024
	v_or_b32_e32 v4, 0x200, v0
	v_cmp_gt_u32_e64 s[0:1], s4, v4
	v_mov_b32_e32 v4, v5
	s_and_saveexec_b64 s[10:11], s[0:1]
	s_cbranch_execz .LBB293_9
; %bb.6:
	global_load_dword v5, v[6:7], off offset:2048
	v_or_b32_e32 v4, 0x300, v0
	v_cmp_gt_u32_e64 s[0:1], s4, v4
	v_mov_b32_e32 v4, 0
	s_and_saveexec_b64 s[16:17], s[0:1]
	s_cbranch_execz .LBB293_8
; %bb.7:
	global_load_dword v4, v[6:7], off offset:3072
.LBB293_8:
	s_or_b64 exec, exec, s[16:17]
.LBB293_9:
	s_or_b64 exec, exec, s[10:11]
.LBB293_10:
	s_or_b64 exec, exec, s[14:15]
.LBB293_11:
	s_or_b64 exec, exec, s[12:13]
	s_waitcnt vmcnt(0)
	v_max_i32_e32 v6, s5, v8
	v_max_i32_e32 v3, s5, v3
	v_min_i32_e32 v6, s6, v6
	v_min_i32_e32 v3, s6, v3
	v_cmp_gt_i32_e64 s[0:1], s4, v1
	v_cndmask_b32_e32 v7, 0, v6, vcc
	v_max_i32_e32 v5, s5, v5
	v_cndmask_b32_e64 v6, 0, v3, s[0:1]
	v_or_b32_e32 v3, 0x200, v0
	v_min_i32_e32 v5, s6, v5
	v_cmp_gt_i32_e64 s[0:1], s4, v3
	v_or_b32_e32 v3, 0x300, v0
	v_max_i32_e32 v4, s5, v4
	v_cndmask_b32_e64 v5, 0, v5, s[0:1]
	v_min_i32_e32 v4, s6, v4
	v_cmp_gt_i32_e64 s[0:1], s4, v3
	s_nop 1
	v_cndmask_b32_e64 v4, 0, v4, s[0:1]
	s_and_saveexec_b64 s[0:1], vcc
	s_cbranch_execnz .LBB293_17
; %bb.12:
	s_or_b64 exec, exec, s[0:1]
	v_cmp_gt_i32_e32 vcc, s4, v0
	s_and_saveexec_b64 s[0:1], vcc
	s_cbranch_execnz .LBB293_18
.LBB293_13:
	s_or_b64 exec, exec, s[0:1]
	v_cmp_gt_i32_e32 vcc, s4, v0
	s_and_saveexec_b64 s[0:1], vcc
	s_cbranch_execnz .LBB293_19
.LBB293_14:
	s_or_b64 exec, exec, s[0:1]
	v_cmp_gt_i32_e32 vcc, s4, v0
	s_and_saveexec_b64 s[0:1], vcc
	s_cbranch_execz .LBB293_16
.LBB293_15:
	v_add_u32_e32 v0, s2, v0
	v_mov_b32_e32 v1, 0
	v_lshl_add_u64 v[0:1], v[0:1], 2, s[8:9]
	global_store_dword v[0:1], v4, off
.LBB293_16:
	s_endpgm
.LBB293_17:
	v_mov_b32_e32 v3, 0
	v_lshl_add_u64 v[2:3], v[2:3], 2, s[8:9]
	v_mov_b32_e32 v0, v1
	global_store_dword v[2:3], v7, off
	s_or_b64 exec, exec, s[0:1]
	v_cmp_gt_i32_e32 vcc, s4, v0
	s_and_saveexec_b64 s[0:1], vcc
	s_cbranch_execz .LBB293_13
.LBB293_18:
	v_add_u32_e32 v2, s2, v0
	v_mov_b32_e32 v3, 0
	v_lshl_add_u64 v[2:3], v[2:3], 2, s[8:9]
	v_add_u32_e32 v0, 0x100, v0
	global_store_dword v[2:3], v6, off
	s_or_b64 exec, exec, s[0:1]
	v_cmp_gt_i32_e32 vcc, s4, v0
	s_and_saveexec_b64 s[0:1], vcc
	s_cbranch_execz .LBB293_14
.LBB293_19:
	v_add_u32_e32 v2, s2, v0
	v_mov_b32_e32 v3, 0
	v_lshl_add_u64 v[2:3], v[2:3], 2, s[8:9]
	v_add_u32_e32 v0, 0x100, v0
	global_store_dword v[2:3], v5, off
	s_or_b64 exec, exec, s[0:1]
	v_cmp_gt_i32_e32 vcc, s4, v0
	s_and_saveexec_b64 s[0:1], vcc
	s_cbranch_execnz .LBB293_15
	s_branch .LBB293_16
	.section	.rodata,"a",@progbits
	.p2align	6, 0x0
	.amdhsa_kernel _ZN2at6native29vectorized_elementwise_kernelILi2EZZZNS0_17clamp_kernel_cudaERNS_18TensorIteratorBaseERKN3c106ScalarES7_ENKUlvE_clEvENKUlvE1_clEvEUliE_St5arrayIPcLm2EEEEviT0_T1_
		.amdhsa_group_segment_fixed_size 0
		.amdhsa_private_segment_fixed_size 0
		.amdhsa_kernarg_size 32
		.amdhsa_user_sgpr_count 2
		.amdhsa_user_sgpr_dispatch_ptr 0
		.amdhsa_user_sgpr_queue_ptr 0
		.amdhsa_user_sgpr_kernarg_segment_ptr 1
		.amdhsa_user_sgpr_dispatch_id 0
		.amdhsa_user_sgpr_kernarg_preload_length 0
		.amdhsa_user_sgpr_kernarg_preload_offset 0
		.amdhsa_user_sgpr_private_segment_size 0
		.amdhsa_uses_dynamic_stack 0
		.amdhsa_enable_private_segment 0
		.amdhsa_system_sgpr_workgroup_id_x 1
		.amdhsa_system_sgpr_workgroup_id_y 0
		.amdhsa_system_sgpr_workgroup_id_z 0
		.amdhsa_system_sgpr_workgroup_info 0
		.amdhsa_system_vgpr_workitem_id 0
		.amdhsa_next_free_vgpr 9
		.amdhsa_next_free_sgpr 18
		.amdhsa_accum_offset 12
		.amdhsa_reserve_vcc 1
		.amdhsa_float_round_mode_32 0
		.amdhsa_float_round_mode_16_64 0
		.amdhsa_float_denorm_mode_32 3
		.amdhsa_float_denorm_mode_16_64 3
		.amdhsa_dx10_clamp 1
		.amdhsa_ieee_mode 1
		.amdhsa_fp16_overflow 0
		.amdhsa_tg_split 0
		.amdhsa_exception_fp_ieee_invalid_op 0
		.amdhsa_exception_fp_denorm_src 0
		.amdhsa_exception_fp_ieee_div_zero 0
		.amdhsa_exception_fp_ieee_overflow 0
		.amdhsa_exception_fp_ieee_underflow 0
		.amdhsa_exception_fp_ieee_inexact 0
		.amdhsa_exception_int_div_zero 0
	.end_amdhsa_kernel
	.section	.text._ZN2at6native29vectorized_elementwise_kernelILi2EZZZNS0_17clamp_kernel_cudaERNS_18TensorIteratorBaseERKN3c106ScalarES7_ENKUlvE_clEvENKUlvE1_clEvEUliE_St5arrayIPcLm2EEEEviT0_T1_,"axG",@progbits,_ZN2at6native29vectorized_elementwise_kernelILi2EZZZNS0_17clamp_kernel_cudaERNS_18TensorIteratorBaseERKN3c106ScalarES7_ENKUlvE_clEvENKUlvE1_clEvEUliE_St5arrayIPcLm2EEEEviT0_T1_,comdat
.Lfunc_end293:
	.size	_ZN2at6native29vectorized_elementwise_kernelILi2EZZZNS0_17clamp_kernel_cudaERNS_18TensorIteratorBaseERKN3c106ScalarES7_ENKUlvE_clEvENKUlvE1_clEvEUliE_St5arrayIPcLm2EEEEviT0_T1_, .Lfunc_end293-_ZN2at6native29vectorized_elementwise_kernelILi2EZZZNS0_17clamp_kernel_cudaERNS_18TensorIteratorBaseERKN3c106ScalarES7_ENKUlvE_clEvENKUlvE1_clEvEUliE_St5arrayIPcLm2EEEEviT0_T1_
                                        ; -- End function
	.set _ZN2at6native29vectorized_elementwise_kernelILi2EZZZNS0_17clamp_kernel_cudaERNS_18TensorIteratorBaseERKN3c106ScalarES7_ENKUlvE_clEvENKUlvE1_clEvEUliE_St5arrayIPcLm2EEEEviT0_T1_.num_vgpr, 9
	.set _ZN2at6native29vectorized_elementwise_kernelILi2EZZZNS0_17clamp_kernel_cudaERNS_18TensorIteratorBaseERKN3c106ScalarES7_ENKUlvE_clEvENKUlvE1_clEvEUliE_St5arrayIPcLm2EEEEviT0_T1_.num_agpr, 0
	.set _ZN2at6native29vectorized_elementwise_kernelILi2EZZZNS0_17clamp_kernel_cudaERNS_18TensorIteratorBaseERKN3c106ScalarES7_ENKUlvE_clEvENKUlvE1_clEvEUliE_St5arrayIPcLm2EEEEviT0_T1_.numbered_sgpr, 18
	.set _ZN2at6native29vectorized_elementwise_kernelILi2EZZZNS0_17clamp_kernel_cudaERNS_18TensorIteratorBaseERKN3c106ScalarES7_ENKUlvE_clEvENKUlvE1_clEvEUliE_St5arrayIPcLm2EEEEviT0_T1_.num_named_barrier, 0
	.set _ZN2at6native29vectorized_elementwise_kernelILi2EZZZNS0_17clamp_kernel_cudaERNS_18TensorIteratorBaseERKN3c106ScalarES7_ENKUlvE_clEvENKUlvE1_clEvEUliE_St5arrayIPcLm2EEEEviT0_T1_.private_seg_size, 0
	.set _ZN2at6native29vectorized_elementwise_kernelILi2EZZZNS0_17clamp_kernel_cudaERNS_18TensorIteratorBaseERKN3c106ScalarES7_ENKUlvE_clEvENKUlvE1_clEvEUliE_St5arrayIPcLm2EEEEviT0_T1_.uses_vcc, 1
	.set _ZN2at6native29vectorized_elementwise_kernelILi2EZZZNS0_17clamp_kernel_cudaERNS_18TensorIteratorBaseERKN3c106ScalarES7_ENKUlvE_clEvENKUlvE1_clEvEUliE_St5arrayIPcLm2EEEEviT0_T1_.uses_flat_scratch, 0
	.set _ZN2at6native29vectorized_elementwise_kernelILi2EZZZNS0_17clamp_kernel_cudaERNS_18TensorIteratorBaseERKN3c106ScalarES7_ENKUlvE_clEvENKUlvE1_clEvEUliE_St5arrayIPcLm2EEEEviT0_T1_.has_dyn_sized_stack, 0
	.set _ZN2at6native29vectorized_elementwise_kernelILi2EZZZNS0_17clamp_kernel_cudaERNS_18TensorIteratorBaseERKN3c106ScalarES7_ENKUlvE_clEvENKUlvE1_clEvEUliE_St5arrayIPcLm2EEEEviT0_T1_.has_recursion, 0
	.set _ZN2at6native29vectorized_elementwise_kernelILi2EZZZNS0_17clamp_kernel_cudaERNS_18TensorIteratorBaseERKN3c106ScalarES7_ENKUlvE_clEvENKUlvE1_clEvEUliE_St5arrayIPcLm2EEEEviT0_T1_.has_indirect_call, 0
	.section	.AMDGPU.csdata,"",@progbits
; Kernel info:
; codeLenInByte = 672
; TotalNumSgprs: 24
; NumVgprs: 9
; NumAgprs: 0
; TotalNumVgprs: 9
; ScratchSize: 0
; MemoryBound: 0
; FloatMode: 240
; IeeeMode: 1
; LDSByteSize: 0 bytes/workgroup (compile time only)
; SGPRBlocks: 2
; VGPRBlocks: 1
; NumSGPRsForWavesPerEU: 24
; NumVGPRsForWavesPerEU: 9
; AccumOffset: 12
; Occupancy: 8
; WaveLimiterHint : 1
; COMPUTE_PGM_RSRC2:SCRATCH_EN: 0
; COMPUTE_PGM_RSRC2:USER_SGPR: 2
; COMPUTE_PGM_RSRC2:TRAP_HANDLER: 0
; COMPUTE_PGM_RSRC2:TGID_X_EN: 1
; COMPUTE_PGM_RSRC2:TGID_Y_EN: 0
; COMPUTE_PGM_RSRC2:TGID_Z_EN: 0
; COMPUTE_PGM_RSRC2:TIDIG_COMP_CNT: 0
; COMPUTE_PGM_RSRC3_GFX90A:ACCUM_OFFSET: 2
; COMPUTE_PGM_RSRC3_GFX90A:TG_SPLIT: 0
	.section	.text._ZN2at6native27unrolled_elementwise_kernelIZZZNS0_17clamp_kernel_cudaERNS_18TensorIteratorBaseERKN3c106ScalarES7_ENKUlvE_clEvENKUlvE1_clEvEUliE_St5arrayIPcLm2EELi4E23TrivialOffsetCalculatorILi1EjESF_NS0_6memory15LoadWithoutCastENSG_16StoreWithoutCastEEEviT_T0_T2_T3_T4_T5_,"axG",@progbits,_ZN2at6native27unrolled_elementwise_kernelIZZZNS0_17clamp_kernel_cudaERNS_18TensorIteratorBaseERKN3c106ScalarES7_ENKUlvE_clEvENKUlvE1_clEvEUliE_St5arrayIPcLm2EELi4E23TrivialOffsetCalculatorILi1EjESF_NS0_6memory15LoadWithoutCastENSG_16StoreWithoutCastEEEviT_T0_T2_T3_T4_T5_,comdat
	.globl	_ZN2at6native27unrolled_elementwise_kernelIZZZNS0_17clamp_kernel_cudaERNS_18TensorIteratorBaseERKN3c106ScalarES7_ENKUlvE_clEvENKUlvE1_clEvEUliE_St5arrayIPcLm2EELi4E23TrivialOffsetCalculatorILi1EjESF_NS0_6memory15LoadWithoutCastENSG_16StoreWithoutCastEEEviT_T0_T2_T3_T4_T5_ ; -- Begin function _ZN2at6native27unrolled_elementwise_kernelIZZZNS0_17clamp_kernel_cudaERNS_18TensorIteratorBaseERKN3c106ScalarES7_ENKUlvE_clEvENKUlvE1_clEvEUliE_St5arrayIPcLm2EELi4E23TrivialOffsetCalculatorILi1EjESF_NS0_6memory15LoadWithoutCastENSG_16StoreWithoutCastEEEviT_T0_T2_T3_T4_T5_
	.p2align	8
	.type	_ZN2at6native27unrolled_elementwise_kernelIZZZNS0_17clamp_kernel_cudaERNS_18TensorIteratorBaseERKN3c106ScalarES7_ENKUlvE_clEvENKUlvE1_clEvEUliE_St5arrayIPcLm2EELi4E23TrivialOffsetCalculatorILi1EjESF_NS0_6memory15LoadWithoutCastENSG_16StoreWithoutCastEEEviT_T0_T2_T3_T4_T5_,@function
_ZN2at6native27unrolled_elementwise_kernelIZZZNS0_17clamp_kernel_cudaERNS_18TensorIteratorBaseERKN3c106ScalarES7_ENKUlvE_clEvENKUlvE1_clEvEUliE_St5arrayIPcLm2EELi4E23TrivialOffsetCalculatorILi1EjESF_NS0_6memory15LoadWithoutCastENSG_16StoreWithoutCastEEEviT_T0_T2_T3_T4_T5_: ; @_ZN2at6native27unrolled_elementwise_kernelIZZZNS0_17clamp_kernel_cudaERNS_18TensorIteratorBaseERKN3c106ScalarES7_ENKUlvE_clEvENKUlvE1_clEvEUliE_St5arrayIPcLm2EELi4E23TrivialOffsetCalculatorILi1EjESF_NS0_6memory15LoadWithoutCastENSG_16StoreWithoutCastEEEviT_T0_T2_T3_T4_T5_
; %bb.0:
	s_load_dwordx8 s[4:11], s[0:1], 0x0
	s_waitcnt lgkmcnt(0)
	s_lshl_b32 s7, s2, 10
	v_mov_b32_e32 v7, 0
	v_or_b32_e32 v1, 0x100, v0
	v_or_b32_e32 v2, s7, v0
	s_sub_i32 s4, s4, s7
	v_cmp_gt_i32_e32 vcc, s4, v0
	v_mov_b32_e32 v5, 0
	v_mov_b32_e32 v3, v7
	v_mov_b32_e32 v8, 0
	s_and_saveexec_b64 s[2:3], vcc
	s_cbranch_execz .LBB294_8
; %bb.1:
	v_mov_b32_e32 v3, 0
	v_lshl_add_u64 v[4:5], v[2:3], 2, s[10:11]
	global_load_dword v8, v[4:5], off
	v_cmp_gt_u32_e64 s[0:1], s4, v1
	v_mov_b32_e32 v5, v3
	v_mov_b32_e32 v7, v3
	s_and_saveexec_b64 s[12:13], s[0:1]
	s_cbranch_execz .LBB294_7
; %bb.2:
	v_add_u32_e32 v4, s7, v1
	v_mov_b32_e32 v5, 0
	v_lshl_add_u64 v[6:7], v[4:5], 2, s[10:11]
	global_load_dword v3, v[6:7], off
	v_or_b32_e32 v4, 0x200, v0
	v_cmp_gt_u32_e64 s[0:1], s4, v4
	v_mov_b32_e32 v7, v5
	s_and_saveexec_b64 s[14:15], s[0:1]
	s_cbranch_execz .LBB294_6
; %bb.3:
	v_add_u32_e32 v6, s7, v4
	v_mov_b32_e32 v7, 0
	v_lshl_add_u64 v[4:5], v[6:7], 2, s[10:11]
	global_load_dword v5, v[4:5], off
	v_or_b32_e32 v4, 0x300, v0
	v_cmp_gt_u32_e64 s[0:1], s4, v4
	s_and_saveexec_b64 s[16:17], s[0:1]
	s_cbranch_execz .LBB294_5
; %bb.4:
	v_add_u32_e32 v6, s7, v4
	v_mov_b32_e32 v7, 0
	v_lshl_add_u64 v[6:7], v[6:7], 2, s[10:11]
	global_load_dword v7, v[6:7], off
.LBB294_5:
	s_or_b64 exec, exec, s[16:17]
.LBB294_6:
	s_or_b64 exec, exec, s[14:15]
.LBB294_7:
	s_or_b64 exec, exec, s[12:13]
.LBB294_8:
	s_or_b64 exec, exec, s[2:3]
	s_waitcnt vmcnt(0)
	v_max_i32_e32 v4, s5, v8
	v_max_i32_e32 v3, s5, v3
	v_min_i32_e32 v4, s6, v4
	v_min_i32_e32 v3, s6, v3
	v_cmp_gt_i32_e64 s[0:1], s4, v1
	v_cndmask_b32_e32 v8, 0, v4, vcc
	v_max_i32_e32 v4, s5, v5
	v_cndmask_b32_e64 v6, 0, v3, s[0:1]
	v_or_b32_e32 v3, 0x200, v0
	v_min_i32_e32 v4, s6, v4
	v_cmp_gt_i32_e64 s[0:1], s4, v3
	v_or_b32_e32 v3, 0x300, v0
	s_nop 0
	v_cndmask_b32_e64 v5, 0, v4, s[0:1]
	v_max_i32_e32 v4, s5, v7
	v_min_i32_e32 v4, s6, v4
	v_cmp_gt_i32_e64 s[0:1], s4, v3
	s_nop 1
	v_cndmask_b32_e64 v4, 0, v4, s[0:1]
	s_and_saveexec_b64 s[0:1], vcc
	s_cbranch_execnz .LBB294_13
; %bb.9:
	s_or_b64 exec, exec, s[0:1]
	v_cmp_gt_i32_e32 vcc, s4, v0
	s_and_saveexec_b64 s[0:1], vcc
	s_cbranch_execnz .LBB294_14
.LBB294_10:
	s_or_b64 exec, exec, s[0:1]
	v_cmp_gt_i32_e32 vcc, s4, v0
	s_and_saveexec_b64 s[0:1], vcc
	s_cbranch_execnz .LBB294_15
.LBB294_11:
	s_or_b64 exec, exec, s[0:1]
	v_cmp_gt_i32_e32 vcc, s4, v0
	s_and_saveexec_b64 s[0:1], vcc
	s_cbranch_execnz .LBB294_16
.LBB294_12:
	s_endpgm
.LBB294_13:
	v_mov_b32_e32 v3, 0
	v_lshl_add_u64 v[2:3], v[2:3], 2, s[8:9]
	v_mov_b32_e32 v0, v1
	global_store_dword v[2:3], v8, off
	s_or_b64 exec, exec, s[0:1]
	v_cmp_gt_i32_e32 vcc, s4, v0
	s_and_saveexec_b64 s[0:1], vcc
	s_cbranch_execz .LBB294_10
.LBB294_14:
	v_add_u32_e32 v2, 0x100, v0
	v_add_u32_e32 v0, s7, v0
	v_mov_b32_e32 v1, 0
	v_lshl_add_u64 v[0:1], v[0:1], 2, s[8:9]
	global_store_dword v[0:1], v6, off
	v_mov_b32_e32 v0, v2
	s_or_b64 exec, exec, s[0:1]
	v_cmp_gt_i32_e32 vcc, s4, v0
	s_and_saveexec_b64 s[0:1], vcc
	s_cbranch_execz .LBB294_11
.LBB294_15:
	v_add_u32_e32 v2, 0x100, v0
	v_add_u32_e32 v0, s7, v0
	v_mov_b32_e32 v1, 0
	v_lshl_add_u64 v[0:1], v[0:1], 2, s[8:9]
	global_store_dword v[0:1], v5, off
	v_mov_b32_e32 v0, v2
	s_or_b64 exec, exec, s[0:1]
	v_cmp_gt_i32_e32 vcc, s4, v0
	s_and_saveexec_b64 s[0:1], vcc
	s_cbranch_execz .LBB294_12
.LBB294_16:
	v_add_u32_e32 v0, s7, v0
	v_mov_b32_e32 v1, 0
	v_lshl_add_u64 v[0:1], v[0:1], 2, s[8:9]
	global_store_dword v[0:1], v4, off
	s_endpgm
	.section	.rodata,"a",@progbits
	.p2align	6, 0x0
	.amdhsa_kernel _ZN2at6native27unrolled_elementwise_kernelIZZZNS0_17clamp_kernel_cudaERNS_18TensorIteratorBaseERKN3c106ScalarES7_ENKUlvE_clEvENKUlvE1_clEvEUliE_St5arrayIPcLm2EELi4E23TrivialOffsetCalculatorILi1EjESF_NS0_6memory15LoadWithoutCastENSG_16StoreWithoutCastEEEviT_T0_T2_T3_T4_T5_
		.amdhsa_group_segment_fixed_size 0
		.amdhsa_private_segment_fixed_size 0
		.amdhsa_kernarg_size 36
		.amdhsa_user_sgpr_count 2
		.amdhsa_user_sgpr_dispatch_ptr 0
		.amdhsa_user_sgpr_queue_ptr 0
		.amdhsa_user_sgpr_kernarg_segment_ptr 1
		.amdhsa_user_sgpr_dispatch_id 0
		.amdhsa_user_sgpr_kernarg_preload_length 0
		.amdhsa_user_sgpr_kernarg_preload_offset 0
		.amdhsa_user_sgpr_private_segment_size 0
		.amdhsa_uses_dynamic_stack 0
		.amdhsa_enable_private_segment 0
		.amdhsa_system_sgpr_workgroup_id_x 1
		.amdhsa_system_sgpr_workgroup_id_y 0
		.amdhsa_system_sgpr_workgroup_id_z 0
		.amdhsa_system_sgpr_workgroup_info 0
		.amdhsa_system_vgpr_workitem_id 0
		.amdhsa_next_free_vgpr 9
		.amdhsa_next_free_sgpr 18
		.amdhsa_accum_offset 12
		.amdhsa_reserve_vcc 1
		.amdhsa_float_round_mode_32 0
		.amdhsa_float_round_mode_16_64 0
		.amdhsa_float_denorm_mode_32 3
		.amdhsa_float_denorm_mode_16_64 3
		.amdhsa_dx10_clamp 1
		.amdhsa_ieee_mode 1
		.amdhsa_fp16_overflow 0
		.amdhsa_tg_split 0
		.amdhsa_exception_fp_ieee_invalid_op 0
		.amdhsa_exception_fp_denorm_src 0
		.amdhsa_exception_fp_ieee_div_zero 0
		.amdhsa_exception_fp_ieee_overflow 0
		.amdhsa_exception_fp_ieee_underflow 0
		.amdhsa_exception_fp_ieee_inexact 0
		.amdhsa_exception_int_div_zero 0
	.end_amdhsa_kernel
	.section	.text._ZN2at6native27unrolled_elementwise_kernelIZZZNS0_17clamp_kernel_cudaERNS_18TensorIteratorBaseERKN3c106ScalarES7_ENKUlvE_clEvENKUlvE1_clEvEUliE_St5arrayIPcLm2EELi4E23TrivialOffsetCalculatorILi1EjESF_NS0_6memory15LoadWithoutCastENSG_16StoreWithoutCastEEEviT_T0_T2_T3_T4_T5_,"axG",@progbits,_ZN2at6native27unrolled_elementwise_kernelIZZZNS0_17clamp_kernel_cudaERNS_18TensorIteratorBaseERKN3c106ScalarES7_ENKUlvE_clEvENKUlvE1_clEvEUliE_St5arrayIPcLm2EELi4E23TrivialOffsetCalculatorILi1EjESF_NS0_6memory15LoadWithoutCastENSG_16StoreWithoutCastEEEviT_T0_T2_T3_T4_T5_,comdat
.Lfunc_end294:
	.size	_ZN2at6native27unrolled_elementwise_kernelIZZZNS0_17clamp_kernel_cudaERNS_18TensorIteratorBaseERKN3c106ScalarES7_ENKUlvE_clEvENKUlvE1_clEvEUliE_St5arrayIPcLm2EELi4E23TrivialOffsetCalculatorILi1EjESF_NS0_6memory15LoadWithoutCastENSG_16StoreWithoutCastEEEviT_T0_T2_T3_T4_T5_, .Lfunc_end294-_ZN2at6native27unrolled_elementwise_kernelIZZZNS0_17clamp_kernel_cudaERNS_18TensorIteratorBaseERKN3c106ScalarES7_ENKUlvE_clEvENKUlvE1_clEvEUliE_St5arrayIPcLm2EELi4E23TrivialOffsetCalculatorILi1EjESF_NS0_6memory15LoadWithoutCastENSG_16StoreWithoutCastEEEviT_T0_T2_T3_T4_T5_
                                        ; -- End function
	.set _ZN2at6native27unrolled_elementwise_kernelIZZZNS0_17clamp_kernel_cudaERNS_18TensorIteratorBaseERKN3c106ScalarES7_ENKUlvE_clEvENKUlvE1_clEvEUliE_St5arrayIPcLm2EELi4E23TrivialOffsetCalculatorILi1EjESF_NS0_6memory15LoadWithoutCastENSG_16StoreWithoutCastEEEviT_T0_T2_T3_T4_T5_.num_vgpr, 9
	.set _ZN2at6native27unrolled_elementwise_kernelIZZZNS0_17clamp_kernel_cudaERNS_18TensorIteratorBaseERKN3c106ScalarES7_ENKUlvE_clEvENKUlvE1_clEvEUliE_St5arrayIPcLm2EELi4E23TrivialOffsetCalculatorILi1EjESF_NS0_6memory15LoadWithoutCastENSG_16StoreWithoutCastEEEviT_T0_T2_T3_T4_T5_.num_agpr, 0
	.set _ZN2at6native27unrolled_elementwise_kernelIZZZNS0_17clamp_kernel_cudaERNS_18TensorIteratorBaseERKN3c106ScalarES7_ENKUlvE_clEvENKUlvE1_clEvEUliE_St5arrayIPcLm2EELi4E23TrivialOffsetCalculatorILi1EjESF_NS0_6memory15LoadWithoutCastENSG_16StoreWithoutCastEEEviT_T0_T2_T3_T4_T5_.numbered_sgpr, 18
	.set _ZN2at6native27unrolled_elementwise_kernelIZZZNS0_17clamp_kernel_cudaERNS_18TensorIteratorBaseERKN3c106ScalarES7_ENKUlvE_clEvENKUlvE1_clEvEUliE_St5arrayIPcLm2EELi4E23TrivialOffsetCalculatorILi1EjESF_NS0_6memory15LoadWithoutCastENSG_16StoreWithoutCastEEEviT_T0_T2_T3_T4_T5_.num_named_barrier, 0
	.set _ZN2at6native27unrolled_elementwise_kernelIZZZNS0_17clamp_kernel_cudaERNS_18TensorIteratorBaseERKN3c106ScalarES7_ENKUlvE_clEvENKUlvE1_clEvEUliE_St5arrayIPcLm2EELi4E23TrivialOffsetCalculatorILi1EjESF_NS0_6memory15LoadWithoutCastENSG_16StoreWithoutCastEEEviT_T0_T2_T3_T4_T5_.private_seg_size, 0
	.set _ZN2at6native27unrolled_elementwise_kernelIZZZNS0_17clamp_kernel_cudaERNS_18TensorIteratorBaseERKN3c106ScalarES7_ENKUlvE_clEvENKUlvE1_clEvEUliE_St5arrayIPcLm2EELi4E23TrivialOffsetCalculatorILi1EjESF_NS0_6memory15LoadWithoutCastENSG_16StoreWithoutCastEEEviT_T0_T2_T3_T4_T5_.uses_vcc, 1
	.set _ZN2at6native27unrolled_elementwise_kernelIZZZNS0_17clamp_kernel_cudaERNS_18TensorIteratorBaseERKN3c106ScalarES7_ENKUlvE_clEvENKUlvE1_clEvEUliE_St5arrayIPcLm2EELi4E23TrivialOffsetCalculatorILi1EjESF_NS0_6memory15LoadWithoutCastENSG_16StoreWithoutCastEEEviT_T0_T2_T3_T4_T5_.uses_flat_scratch, 0
	.set _ZN2at6native27unrolled_elementwise_kernelIZZZNS0_17clamp_kernel_cudaERNS_18TensorIteratorBaseERKN3c106ScalarES7_ENKUlvE_clEvENKUlvE1_clEvEUliE_St5arrayIPcLm2EELi4E23TrivialOffsetCalculatorILi1EjESF_NS0_6memory15LoadWithoutCastENSG_16StoreWithoutCastEEEviT_T0_T2_T3_T4_T5_.has_dyn_sized_stack, 0
	.set _ZN2at6native27unrolled_elementwise_kernelIZZZNS0_17clamp_kernel_cudaERNS_18TensorIteratorBaseERKN3c106ScalarES7_ENKUlvE_clEvENKUlvE1_clEvEUliE_St5arrayIPcLm2EELi4E23TrivialOffsetCalculatorILi1EjESF_NS0_6memory15LoadWithoutCastENSG_16StoreWithoutCastEEEviT_T0_T2_T3_T4_T5_.has_recursion, 0
	.set _ZN2at6native27unrolled_elementwise_kernelIZZZNS0_17clamp_kernel_cudaERNS_18TensorIteratorBaseERKN3c106ScalarES7_ENKUlvE_clEvENKUlvE1_clEvEUliE_St5arrayIPcLm2EELi4E23TrivialOffsetCalculatorILi1EjESF_NS0_6memory15LoadWithoutCastENSG_16StoreWithoutCastEEEviT_T0_T2_T3_T4_T5_.has_indirect_call, 0
	.section	.AMDGPU.csdata,"",@progbits
; Kernel info:
; codeLenInByte = 588
; TotalNumSgprs: 24
; NumVgprs: 9
; NumAgprs: 0
; TotalNumVgprs: 9
; ScratchSize: 0
; MemoryBound: 0
; FloatMode: 240
; IeeeMode: 1
; LDSByteSize: 0 bytes/workgroup (compile time only)
; SGPRBlocks: 2
; VGPRBlocks: 1
; NumSGPRsForWavesPerEU: 24
; NumVGPRsForWavesPerEU: 9
; AccumOffset: 12
; Occupancy: 8
; WaveLimiterHint : 0
; COMPUTE_PGM_RSRC2:SCRATCH_EN: 0
; COMPUTE_PGM_RSRC2:USER_SGPR: 2
; COMPUTE_PGM_RSRC2:TRAP_HANDLER: 0
; COMPUTE_PGM_RSRC2:TGID_X_EN: 1
; COMPUTE_PGM_RSRC2:TGID_Y_EN: 0
; COMPUTE_PGM_RSRC2:TGID_Z_EN: 0
; COMPUTE_PGM_RSRC2:TIDIG_COMP_CNT: 0
; COMPUTE_PGM_RSRC3_GFX90A:ACCUM_OFFSET: 2
; COMPUTE_PGM_RSRC3_GFX90A:TG_SPLIT: 0
	.section	.text._ZN2at6native32elementwise_kernel_manual_unrollILi128ELi4EZNS0_22gpu_kernel_impl_nocastIZZZNS0_17clamp_kernel_cudaERNS_18TensorIteratorBaseERKN3c106ScalarES8_ENKUlvE_clEvENKUlvE1_clEvEUliE_EEvS4_RKT_EUlibE_EEviT1_,"axG",@progbits,_ZN2at6native32elementwise_kernel_manual_unrollILi128ELi4EZNS0_22gpu_kernel_impl_nocastIZZZNS0_17clamp_kernel_cudaERNS_18TensorIteratorBaseERKN3c106ScalarES8_ENKUlvE_clEvENKUlvE1_clEvEUliE_EEvS4_RKT_EUlibE_EEviT1_,comdat
	.globl	_ZN2at6native32elementwise_kernel_manual_unrollILi128ELi4EZNS0_22gpu_kernel_impl_nocastIZZZNS0_17clamp_kernel_cudaERNS_18TensorIteratorBaseERKN3c106ScalarES8_ENKUlvE_clEvENKUlvE1_clEvEUliE_EEvS4_RKT_EUlibE_EEviT1_ ; -- Begin function _ZN2at6native32elementwise_kernel_manual_unrollILi128ELi4EZNS0_22gpu_kernel_impl_nocastIZZZNS0_17clamp_kernel_cudaERNS_18TensorIteratorBaseERKN3c106ScalarES8_ENKUlvE_clEvENKUlvE1_clEvEUliE_EEvS4_RKT_EUlibE_EEviT1_
	.p2align	8
	.type	_ZN2at6native32elementwise_kernel_manual_unrollILi128ELi4EZNS0_22gpu_kernel_impl_nocastIZZZNS0_17clamp_kernel_cudaERNS_18TensorIteratorBaseERKN3c106ScalarES8_ENKUlvE_clEvENKUlvE1_clEvEUliE_EEvS4_RKT_EUlibE_EEviT1_,@function
_ZN2at6native32elementwise_kernel_manual_unrollILi128ELi4EZNS0_22gpu_kernel_impl_nocastIZZZNS0_17clamp_kernel_cudaERNS_18TensorIteratorBaseERKN3c106ScalarES8_ENKUlvE_clEvENKUlvE1_clEvEUliE_EEvS4_RKT_EUlibE_EEviT1_: ; @_ZN2at6native32elementwise_kernel_manual_unrollILi128ELi4EZNS0_22gpu_kernel_impl_nocastIZZZNS0_17clamp_kernel_cudaERNS_18TensorIteratorBaseERKN3c106ScalarES8_ENKUlvE_clEvENKUlvE1_clEvEUliE_EEvS4_RKT_EUlibE_EEviT1_
; %bb.0:
	s_load_dword s57, s[0:1], 0x0
	s_load_dword s33, s[0:1], 0x8
	s_add_u32 s34, s0, 8
	s_addc_u32 s35, s1, 0
	v_lshl_or_b32 v8, s2, 9, v0
	v_or_b32_e32 v16, 0x180, v8
	s_waitcnt lgkmcnt(0)
	s_add_i32 s56, s33, -1
	s_cmp_gt_u32 s56, 1
	v_cmp_le_i32_e32 vcc, s57, v16
	s_cselect_b64 s[36:37], -1, 0
	s_and_saveexec_b64 s[0:1], vcc
	s_xor_b64 s[38:39], exec, s[0:1]
	s_cbranch_execz .LBB295_8
; %bb.1:
	s_load_dwordx4 s[24:27], s[34:35], 0x4
	s_load_dwordx2 s[42:43], s[34:35], 0x14
	s_load_dwordx4 s[20:23], s[34:35], 0xc4
	s_load_dwordx4 s[16:19], s[34:35], 0x148
	s_load_dwordx2 s[40:41], s[34:35], 0x158
	s_cmp_lg_u32 s33, 0
	s_cselect_b64 s[48:49], -1, 0
	s_add_u32 s46, s34, 0xc4
	s_addc_u32 s47, s35, 0
	s_min_u32 s58, s56, 15
	s_cmp_gt_u32 s33, 1
	s_cselect_b64 s[44:45], -1, 0
	v_cmp_gt_i32_e32 vcc, s57, v8
	s_and_saveexec_b64 s[50:51], vcc
	s_cbranch_execz .LBB295_15
; %bb.2:
	s_andn2_b64 vcc, exec, s[36:37]
	s_cbranch_vccnz .LBB295_23
; %bb.3:
	s_andn2_b64 vcc, exec, s[48:49]
	s_cbranch_vccnz .LBB295_75
; %bb.4:
	s_add_i32 s60, s58, 1
	s_cmp_eq_u32 s56, 2
	s_cbranch_scc1 .LBB295_77
; %bb.5:
	s_and_b32 s59, s60, 28
	s_mov_b32 s61, 0
	v_mov_b32_e32 v0, 0
	v_mov_b32_e32 v2, 0
	s_mov_b64 s[52:53], s[34:35]
	s_mov_b64 s[54:55], s[46:47]
	v_mov_b32_e32 v4, v8
.LBB295_6:                              ; =>This Inner Loop Header: Depth=1
	s_load_dwordx8 s[8:15], s[52:53], 0x4
	s_load_dwordx4 s[28:31], s[52:53], 0x24
	s_load_dwordx8 s[0:7], s[54:55], 0x0
	s_add_u32 s52, s52, 48
	s_addc_u32 s53, s53, 0
	s_waitcnt lgkmcnt(0)
	v_mul_hi_u32 v1, s9, v4
	v_add_u32_e32 v1, v4, v1
	v_lshrrev_b32_e32 v1, s10, v1
	v_mul_lo_u32 v3, v1, s8
	v_mul_hi_u32 v5, s12, v1
	v_sub_u32_e32 v3, v4, v3
	v_add_u32_e32 v4, v1, v5
	v_lshrrev_b32_e32 v4, s13, v4
	v_mul_lo_u32 v6, v4, s11
	v_mul_hi_u32 v7, s15, v4
	v_sub_u32_e32 v1, v1, v6
	v_add_u32_e32 v6, v4, v7
	v_mul_lo_u32 v5, v3, s1
	v_mul_lo_u32 v3, v3, s0
	;; [unrolled: 1-line block ×4, first 2 shown]
	v_lshrrev_b32_e32 v6, s28, v6
	v_add3_u32 v0, v3, v0, v1
	v_mul_hi_u32 v3, s30, v6
	v_add3_u32 v1, v5, v2, v7
	v_mul_lo_u32 v2, v6, s14
	v_add_u32_e32 v3, v6, v3
	v_sub_u32_e32 v2, v4, v2
	v_lshrrev_b32_e32 v4, s31, v3
	s_add_i32 s61, s61, 4
	v_mul_lo_u32 v3, v4, s29
	s_add_u32 s54, s54, 32
	v_sub_u32_e32 v3, v6, v3
	s_addc_u32 s55, s55, 0
	v_mul_lo_u32 v5, v2, s4
	v_mul_lo_u32 v2, v2, s5
	;; [unrolled: 1-line block ×4, first 2 shown]
	s_cmp_lg_u32 s59, s61
	v_add3_u32 v2, v2, v1, v3
	v_add3_u32 v0, v5, v0, v6
	s_cbranch_scc1 .LBB295_6
; %bb.7:
	v_mov_b32_e32 v1, v2
	s_branch .LBB295_78
.LBB295_8:
	s_andn2_saveexec_b64 s[0:1], s[38:39]
	s_cbranch_execz .LBB295_104
.LBB295_9:
	v_cndmask_b32_e64 v0, 0, 1, s[36:37]
	v_cmp_ne_u32_e64 s[0:1], 1, v0
	s_andn2_b64 vcc, exec, s[36:37]
	s_cbranch_vccnz .LBB295_22
; %bb.10:
	s_cmp_lg_u32 s33, 0
	s_waitcnt lgkmcnt(0)
	s_mov_b32 s26, 0
	s_cbranch_scc0 .LBB295_25
; %bb.11:
	s_min_u32 s27, s56, 15
	s_add_i32 s27, s27, 1
	s_cmp_eq_u32 s56, 2
	s_cbranch_scc1 .LBB295_26
; %bb.12:
	s_and_b32 s26, s27, 28
	s_add_u32 s2, s34, 0xc4
	s_addc_u32 s3, s35, 0
	s_mov_b32 s28, 0
	v_mov_b32_e32 v0, 0
	v_mov_b32_e32 v2, 0
	s_mov_b64 s[24:25], s[34:35]
	v_mov_b32_e32 v4, v8
.LBB295_13:                             ; =>This Inner Loop Header: Depth=1
	s_load_dwordx8 s[12:19], s[24:25], 0x4
	s_load_dwordx4 s[20:23], s[24:25], 0x24
	s_load_dwordx8 s[4:11], s[2:3], 0x0
	s_add_u32 s24, s24, 48
	s_addc_u32 s25, s25, 0
	s_waitcnt lgkmcnt(0)
	v_mul_hi_u32 v1, s13, v4
	v_add_u32_e32 v1, v4, v1
	v_lshrrev_b32_e32 v1, s14, v1
	v_mul_lo_u32 v3, v1, s12
	v_mul_hi_u32 v5, s16, v1
	v_sub_u32_e32 v3, v4, v3
	v_add_u32_e32 v4, v1, v5
	v_lshrrev_b32_e32 v4, s17, v4
	v_mul_lo_u32 v6, v4, s15
	v_mul_hi_u32 v7, s19, v4
	v_sub_u32_e32 v1, v1, v6
	v_add_u32_e32 v6, v4, v7
	v_mul_lo_u32 v5, v3, s5
	v_mul_lo_u32 v3, v3, s4
	;; [unrolled: 1-line block ×4, first 2 shown]
	v_lshrrev_b32_e32 v6, s20, v6
	v_add3_u32 v0, v3, v0, v1
	v_mul_hi_u32 v3, s22, v6
	v_add3_u32 v1, v5, v2, v7
	v_mul_lo_u32 v2, v6, s18
	v_add_u32_e32 v3, v6, v3
	v_sub_u32_e32 v2, v4, v2
	v_lshrrev_b32_e32 v4, s23, v3
	s_add_i32 s28, s28, 4
	v_mul_lo_u32 v3, v4, s21
	s_add_u32 s2, s2, 32
	v_sub_u32_e32 v3, v6, v3
	s_addc_u32 s3, s3, 0
	v_mul_lo_u32 v5, v2, s8
	v_mul_lo_u32 v2, v2, s9
	;; [unrolled: 1-line block ×4, first 2 shown]
	s_cmp_lg_u32 s26, s28
	v_add3_u32 v2, v2, v1, v3
	v_add3_u32 v0, v5, v0, v6
	s_cbranch_scc1 .LBB295_13
; %bb.14:
	v_mov_b32_e32 v1, v2
	s_and_b32 s6, s27, 3
	s_cmp_eq_u32 s6, 0
	s_cbranch_scc0 .LBB295_27
	s_branch .LBB295_29
.LBB295_15:
	s_or_b64 exec, exec, s[50:51]
	v_cmp_gt_i32_e32 vcc, s57, v8
	s_and_saveexec_b64 s[50:51], vcc
	s_cbranch_execz .LBB295_85
.LBB295_16:
	s_andn2_b64 vcc, exec, s[36:37]
	s_cbranch_vccnz .LBB295_24
; %bb.17:
	s_andn2_b64 vcc, exec, s[48:49]
	s_cbranch_vccnz .LBB295_76
; %bb.18:
	s_add_i32 s60, s58, 1
	s_cmp_eq_u32 s56, 2
	s_cbranch_scc1 .LBB295_94
; %bb.19:
	s_and_b32 s59, s60, 28
	s_mov_b32 s61, 0
	v_mov_b32_e32 v0, 0
	v_mov_b32_e32 v2, 0
	s_mov_b64 s[52:53], s[34:35]
	s_mov_b64 s[54:55], s[46:47]
	v_mov_b32_e32 v4, v8
.LBB295_20:                             ; =>This Inner Loop Header: Depth=1
	s_load_dwordx8 s[8:15], s[52:53], 0x4
	s_load_dwordx4 s[28:31], s[52:53], 0x24
	s_load_dwordx8 s[0:7], s[54:55], 0x0
	s_add_u32 s52, s52, 48
	s_addc_u32 s53, s53, 0
	s_waitcnt lgkmcnt(0)
	v_mul_hi_u32 v1, s9, v4
	v_add_u32_e32 v1, v4, v1
	v_lshrrev_b32_e32 v1, s10, v1
	v_mul_lo_u32 v3, v1, s8
	v_mul_hi_u32 v5, s12, v1
	v_sub_u32_e32 v3, v4, v3
	v_add_u32_e32 v4, v1, v5
	v_lshrrev_b32_e32 v4, s13, v4
	v_mul_lo_u32 v6, v4, s11
	v_mul_hi_u32 v7, s15, v4
	v_sub_u32_e32 v1, v1, v6
	v_add_u32_e32 v6, v4, v7
	v_mul_lo_u32 v5, v3, s1
	v_mul_lo_u32 v3, v3, s0
	;; [unrolled: 1-line block ×4, first 2 shown]
	v_lshrrev_b32_e32 v6, s28, v6
	v_add3_u32 v0, v3, v0, v1
	v_mul_hi_u32 v3, s30, v6
	v_add3_u32 v1, v5, v2, v7
	v_mul_lo_u32 v2, v6, s14
	v_add_u32_e32 v3, v6, v3
	v_sub_u32_e32 v2, v4, v2
	v_lshrrev_b32_e32 v4, s31, v3
	s_add_i32 s61, s61, 4
	v_mul_lo_u32 v3, v4, s29
	s_add_u32 s54, s54, 32
	v_sub_u32_e32 v3, v6, v3
	s_addc_u32 s55, s55, 0
	v_mul_lo_u32 v5, v2, s4
	v_mul_lo_u32 v2, v2, s5
	;; [unrolled: 1-line block ×4, first 2 shown]
	s_cmp_eq_u32 s59, s61
	v_add3_u32 v2, v2, v1, v3
	v_add3_u32 v0, v5, v0, v6
	s_cbranch_scc0 .LBB295_20
; %bb.21:
	v_mov_b32_e32 v1, v2
	s_branch .LBB295_95
.LBB295_22:
                                        ; implicit-def: $vgpr2
                                        ; implicit-def: $vgpr0
	s_branch .LBB295_30
.LBB295_23:
                                        ; implicit-def: $vgpr2
                                        ; implicit-def: $vgpr0
	s_branch .LBB295_82
.LBB295_24:
                                        ; implicit-def: $vgpr2
                                        ; implicit-def: $vgpr0
	s_branch .LBB295_99
.LBB295_25:
	v_mov_b32_e32 v2, 0
	v_mov_b32_e32 v0, 0
	s_branch .LBB295_29
.LBB295_26:
	v_mov_b32_e32 v0, 0
                                        ; implicit-def: $vgpr2
	v_mov_b32_e32 v1, v0
	v_mov_b32_e32 v4, v8
	s_and_b32 s6, s27, 3
	s_cmp_eq_u32 s6, 0
	s_cbranch_scc1 .LBB295_29
.LBB295_27:
	s_lshl_b32 s2, s26, 3
	s_add_u32 s2, s34, s2
	s_addc_u32 s3, s35, 0
	s_add_u32 s2, s2, 0xc4
	s_addc_u32 s3, s3, 0
	s_mul_i32 s4, s26, 12
	s_add_u32 s4, s34, s4
	s_addc_u32 s5, s35, 0
.LBB295_28:                             ; =>This Inner Loop Header: Depth=1
	s_load_dwordx2 s[8:9], s[4:5], 0x4
	s_load_dword s7, s[4:5], 0xc
	s_load_dwordx2 s[10:11], s[2:3], 0x0
	v_mov_b32_e32 v2, v1
	s_add_u32 s4, s4, 12
	s_waitcnt lgkmcnt(0)
	v_mul_hi_u32 v1, s9, v4
	v_add_u32_e32 v1, v4, v1
	v_lshrrev_b32_e32 v1, s7, v1
	s_addc_u32 s5, s5, 0
	v_mul_lo_u32 v3, v1, s8
	s_add_u32 s2, s2, 8
	v_sub_u32_e32 v5, v4, v3
	s_addc_u32 s3, s3, 0
	s_add_i32 s6, s6, -1
	v_mov_b32_e32 v4, v1
	v_mad_u64_u32 v[2:3], s[8:9], v5, s11, v[2:3]
	v_mad_u64_u32 v[0:1], s[8:9], v5, s10, v[0:1]
	s_cmp_lg_u32 s6, 0
	v_mov_b32_e32 v1, v2
	s_cbranch_scc1 .LBB295_28
.LBB295_29:
	s_cbranch_execnz .LBB295_32
.LBB295_30:
	s_load_dwordx4 s[4:7], s[34:35], 0x4
	s_load_dwordx2 s[2:3], s[34:35], 0xc4
	s_cmp_lt_u32 s33, 2
	s_waitcnt lgkmcnt(0)
	v_mul_hi_u32 v0, s5, v8
	v_add_u32_e32 v0, v8, v0
	v_lshrrev_b32_e32 v1, s6, v0
	v_mul_lo_u32 v0, v1, s4
	v_sub_u32_e32 v0, v8, v0
	v_mul_lo_u32 v2, v0, s3
	v_mul_lo_u32 v0, v0, s2
	s_cbranch_scc1 .LBB295_32
; %bb.31:
	s_load_dwordx4 s[4:7], s[34:35], 0x10
	s_load_dwordx2 s[2:3], s[34:35], 0xcc
	s_waitcnt lgkmcnt(0)
	v_mul_hi_u32 v3, s5, v1
	v_add_u32_e32 v3, v1, v3
	v_lshrrev_b32_e32 v3, s6, v3
	v_mul_lo_u32 v3, v3, s4
	v_sub_u32_e32 v3, v1, v3
	v_mad_u64_u32 v[0:1], s[4:5], v3, s2, v[0:1]
	v_mad_u64_u32 v[2:3], s[2:3], v3, s3, v[2:3]
.LBB295_32:
	s_and_b64 vcc, exec, s[0:1]
	v_add_u32_e32 v3, 0x80, v8
	s_cbranch_vccnz .LBB295_38
; %bb.33:
	s_cmp_lg_u32 s33, 0
	s_waitcnt lgkmcnt(0)
	s_mov_b32 s26, 0
	s_cbranch_scc0 .LBB295_39
; %bb.34:
	s_min_u32 s27, s56, 15
	s_add_i32 s27, s27, 1
	s_cmp_eq_u32 s56, 2
	s_cbranch_scc1 .LBB295_40
; %bb.35:
	s_and_b32 s26, s27, 28
	s_add_u32 s2, s34, 0xc4
	s_addc_u32 s3, s35, 0
	s_mov_b32 s28, 0
	v_mov_b32_e32 v4, 0
	v_mov_b32_e32 v6, 0
	s_mov_b64 s[24:25], s[34:35]
	v_mov_b32_e32 v9, v3
.LBB295_36:                             ; =>This Inner Loop Header: Depth=1
	s_load_dwordx8 s[12:19], s[24:25], 0x4
	s_load_dwordx4 s[20:23], s[24:25], 0x24
	s_load_dwordx8 s[4:11], s[2:3], 0x0
	s_add_u32 s24, s24, 48
	s_addc_u32 s25, s25, 0
	s_waitcnt lgkmcnt(0)
	v_mul_hi_u32 v1, s13, v9
	v_add_u32_e32 v1, v9, v1
	v_lshrrev_b32_e32 v1, s14, v1
	v_mul_hi_u32 v7, s16, v1
	v_add_u32_e32 v7, v1, v7
	v_lshrrev_b32_e32 v7, s17, v7
	v_mul_lo_u32 v5, v1, s12
	v_mul_lo_u32 v10, v7, s15
	v_mul_hi_u32 v11, s19, v7
	v_sub_u32_e32 v5, v9, v5
	v_sub_u32_e32 v1, v1, v10
	v_add_u32_e32 v10, v7, v11
	v_mul_lo_u32 v9, v5, s5
	v_mul_lo_u32 v5, v5, s4
	;; [unrolled: 1-line block ×4, first 2 shown]
	v_lshrrev_b32_e32 v10, s20, v10
	v_add3_u32 v1, v5, v4, v1
	v_add3_u32 v4, v9, v6, v11
	v_mul_hi_u32 v6, s22, v10
	v_add_u32_e32 v6, v10, v6
	v_lshrrev_b32_e32 v9, s23, v6
	s_add_i32 s28, s28, 4
	v_mul_lo_u32 v5, v10, s18
	v_mul_lo_u32 v6, v9, s21
	s_add_u32 s2, s2, 32
	v_sub_u32_e32 v5, v7, v5
	v_sub_u32_e32 v6, v10, v6
	s_addc_u32 s3, s3, 0
	v_mul_lo_u32 v7, v5, s8
	v_mul_lo_u32 v5, v5, s9
	;; [unrolled: 1-line block ×4, first 2 shown]
	s_cmp_lg_u32 s26, s28
	v_add3_u32 v6, v5, v4, v6
	v_add3_u32 v4, v7, v1, v10
	s_cbranch_scc1 .LBB295_36
; %bb.37:
	v_mov_b32_e32 v1, v6
	s_and_b32 s6, s27, 3
	s_cmp_eq_u32 s6, 0
	s_cbranch_scc0 .LBB295_41
	s_branch .LBB295_43
.LBB295_38:
                                        ; implicit-def: $vgpr6
                                        ; implicit-def: $vgpr4
	s_branch .LBB295_44
.LBB295_39:
	v_mov_b32_e32 v6, 0
	v_mov_b32_e32 v4, 0
	s_branch .LBB295_43
.LBB295_40:
	v_mov_b32_e32 v4, 0
                                        ; implicit-def: $vgpr6
	v_mov_b32_e32 v1, v4
	v_mov_b32_e32 v9, v3
	s_and_b32 s6, s27, 3
	s_cmp_eq_u32 s6, 0
	s_cbranch_scc1 .LBB295_43
.LBB295_41:
	s_lshl_b32 s2, s26, 3
	s_add_u32 s2, s34, s2
	s_addc_u32 s3, s35, 0
	s_add_u32 s2, s2, 0xc4
	s_addc_u32 s3, s3, 0
	s_mul_i32 s4, s26, 12
	s_add_u32 s4, s34, s4
	s_addc_u32 s5, s35, 0
.LBB295_42:                             ; =>This Inner Loop Header: Depth=1
	s_load_dwordx2 s[8:9], s[4:5], 0x4
	s_load_dword s7, s[4:5], 0xc
	s_load_dwordx2 s[10:11], s[2:3], 0x0
	v_mov_b32_e32 v6, v1
	s_add_u32 s4, s4, 12
	s_waitcnt lgkmcnt(0)
	v_mul_hi_u32 v1, s9, v9
	v_add_u32_e32 v1, v9, v1
	v_lshrrev_b32_e32 v1, s7, v1
	s_addc_u32 s5, s5, 0
	v_mul_lo_u32 v5, v1, s8
	s_add_u32 s2, s2, 8
	v_sub_u32_e32 v5, v9, v5
	s_addc_u32 s3, s3, 0
	s_add_i32 s6, s6, -1
	v_mad_u64_u32 v[6:7], s[8:9], v5, s11, v[6:7]
	s_cmp_lg_u32 s6, 0
	v_mov_b32_e32 v9, v1
	v_mad_u64_u32 v[4:5], s[8:9], v5, s10, v[4:5]
	v_mov_b32_e32 v1, v6
	s_cbranch_scc1 .LBB295_42
.LBB295_43:
	s_cbranch_execnz .LBB295_46
.LBB295_44:
	s_load_dwordx4 s[4:7], s[34:35], 0x4
	s_load_dwordx2 s[2:3], s[34:35], 0xc4
	s_cmp_lt_u32 s33, 2
	s_waitcnt lgkmcnt(0)
	v_mul_hi_u32 v1, s5, v3
	v_add_u32_e32 v1, v3, v1
	v_lshrrev_b32_e32 v1, s6, v1
	v_mul_lo_u32 v4, v1, s4
	v_sub_u32_e32 v3, v3, v4
	v_mul_lo_u32 v6, v3, s3
	v_mul_lo_u32 v4, v3, s2
	s_cbranch_scc1 .LBB295_46
; %bb.45:
	s_load_dwordx4 s[4:7], s[34:35], 0x10
	s_load_dwordx2 s[2:3], s[34:35], 0xcc
	s_waitcnt lgkmcnt(0)
	v_mul_hi_u32 v3, s5, v1
	v_add_u32_e32 v3, v1, v3
	v_lshrrev_b32_e32 v3, s6, v3
	v_mul_lo_u32 v3, v3, s4
	v_sub_u32_e32 v1, v1, v3
	v_mad_u64_u32 v[4:5], s[4:5], v1, s2, v[4:5]
	v_mad_u64_u32 v[6:7], s[2:3], v1, s3, v[6:7]
.LBB295_46:
	s_and_b64 vcc, exec, s[0:1]
	v_add_u32_e32 v3, 0x100, v8
	s_cbranch_vccnz .LBB295_52
; %bb.47:
	s_cmp_lg_u32 s33, 0
	s_waitcnt lgkmcnt(0)
	s_mov_b32 s26, 0
	s_cbranch_scc0 .LBB295_53
; %bb.48:
	s_min_u32 s27, s56, 15
	s_add_i32 s27, s27, 1
	s_cmp_eq_u32 s56, 2
	s_cbranch_scc1 .LBB295_54
; %bb.49:
	s_and_b32 s26, s27, 28
	s_add_u32 s2, s34, 0xc4
	s_addc_u32 s3, s35, 0
	s_mov_b32 s28, 0
	v_mov_b32_e32 v8, 0
	v_mov_b32_e32 v10, 0
	s_mov_b64 s[24:25], s[34:35]
	v_mov_b32_e32 v5, v3
.LBB295_50:                             ; =>This Inner Loop Header: Depth=1
	s_load_dwordx8 s[12:19], s[24:25], 0x4
	s_load_dwordx4 s[20:23], s[24:25], 0x24
	s_load_dwordx8 s[4:11], s[2:3], 0x0
	s_add_u32 s24, s24, 48
	s_addc_u32 s25, s25, 0
	s_waitcnt lgkmcnt(0)
	v_mul_hi_u32 v1, s13, v5
	v_add_u32_e32 v1, v5, v1
	v_lshrrev_b32_e32 v1, s14, v1
	v_mul_lo_u32 v7, v1, s12
	v_mul_hi_u32 v9, s16, v1
	v_sub_u32_e32 v5, v5, v7
	v_add_u32_e32 v7, v1, v9
	v_lshrrev_b32_e32 v7, s17, v7
	v_mul_lo_u32 v11, v7, s15
	v_mul_hi_u32 v12, s19, v7
	v_sub_u32_e32 v1, v1, v11
	v_add_u32_e32 v11, v7, v12
	v_mul_lo_u32 v9, v5, s5
	v_mul_lo_u32 v5, v5, s4
	;; [unrolled: 1-line block ×4, first 2 shown]
	v_lshrrev_b32_e32 v11, s20, v11
	v_add3_u32 v1, v5, v8, v1
	v_add3_u32 v8, v9, v10, v12
	v_mul_lo_u32 v5, v11, s18
	v_mul_hi_u32 v9, s22, v11
	v_sub_u32_e32 v5, v7, v5
	v_add_u32_e32 v7, v11, v9
	v_mul_lo_u32 v9, v5, s8
	v_mul_lo_u32 v10, v5, s9
	v_lshrrev_b32_e32 v5, s23, v7
	s_add_i32 s28, s28, 4
	v_mul_lo_u32 v7, v5, s21
	s_add_u32 s2, s2, 32
	v_sub_u32_e32 v7, v11, v7
	s_addc_u32 s3, s3, 0
	v_mul_lo_u32 v11, v7, s10
	v_mul_lo_u32 v7, v7, s11
	s_cmp_lg_u32 s26, s28
	v_add3_u32 v10, v10, v8, v7
	v_add3_u32 v8, v9, v1, v11
	s_cbranch_scc1 .LBB295_50
; %bb.51:
	v_mov_b32_e32 v1, v10
	s_and_b32 s6, s27, 3
	s_cmp_eq_u32 s6, 0
	s_cbranch_scc0 .LBB295_55
	s_branch .LBB295_57
.LBB295_52:
                                        ; implicit-def: $vgpr10
                                        ; implicit-def: $vgpr8
	s_branch .LBB295_58
.LBB295_53:
	v_mov_b32_e32 v10, 0
	v_mov_b32_e32 v8, 0
	s_branch .LBB295_57
.LBB295_54:
	v_mov_b32_e32 v8, 0
                                        ; implicit-def: $vgpr10
	v_mov_b32_e32 v1, v8
	v_mov_b32_e32 v5, v3
	s_and_b32 s6, s27, 3
	s_cmp_eq_u32 s6, 0
	s_cbranch_scc1 .LBB295_57
.LBB295_55:
	s_lshl_b32 s2, s26, 3
	s_add_u32 s2, s34, s2
	s_addc_u32 s3, s35, 0
	s_add_u32 s2, s2, 0xc4
	s_addc_u32 s3, s3, 0
	s_mul_i32 s4, s26, 12
	s_add_u32 s4, s34, s4
	s_addc_u32 s5, s35, 0
.LBB295_56:                             ; =>This Inner Loop Header: Depth=1
	s_load_dwordx2 s[8:9], s[4:5], 0x4
	s_load_dword s7, s[4:5], 0xc
	s_load_dwordx2 s[10:11], s[2:3], 0x0
	v_mov_b32_e32 v10, v1
	s_add_u32 s4, s4, 12
	s_waitcnt lgkmcnt(0)
	v_mul_hi_u32 v1, s9, v5
	v_add_u32_e32 v1, v5, v1
	v_lshrrev_b32_e32 v1, s7, v1
	s_addc_u32 s5, s5, 0
	v_mul_lo_u32 v7, v1, s8
	s_add_u32 s2, s2, 8
	v_sub_u32_e32 v7, v5, v7
	s_addc_u32 s3, s3, 0
	s_add_i32 s6, s6, -1
	v_mad_u64_u32 v[10:11], s[8:9], v7, s11, v[10:11]
	s_cmp_lg_u32 s6, 0
	v_mov_b32_e32 v5, v1
	v_mad_u64_u32 v[8:9], s[8:9], v7, s10, v[8:9]
	v_mov_b32_e32 v1, v10
	s_cbranch_scc1 .LBB295_56
.LBB295_57:
	s_cbranch_execnz .LBB295_60
.LBB295_58:
	s_load_dwordx4 s[4:7], s[34:35], 0x4
	s_load_dwordx2 s[2:3], s[34:35], 0xc4
	s_cmp_lt_u32 s33, 2
	s_waitcnt lgkmcnt(0)
	v_mul_hi_u32 v1, s5, v3
	v_add_u32_e32 v1, v3, v1
	v_lshrrev_b32_e32 v1, s6, v1
	v_mul_lo_u32 v5, v1, s4
	v_sub_u32_e32 v3, v3, v5
	v_mul_lo_u32 v10, v3, s3
	v_mul_lo_u32 v8, v3, s2
	s_cbranch_scc1 .LBB295_60
; %bb.59:
	s_load_dwordx4 s[4:7], s[34:35], 0x10
	s_load_dwordx2 s[2:3], s[34:35], 0xcc
	s_waitcnt lgkmcnt(0)
	v_mul_hi_u32 v3, s5, v1
	v_add_u32_e32 v3, v1, v3
	v_lshrrev_b32_e32 v3, s6, v3
	v_mul_lo_u32 v3, v3, s4
	v_sub_u32_e32 v1, v1, v3
	v_mad_u64_u32 v[8:9], s[4:5], v1, s2, v[8:9]
	v_mad_u64_u32 v[10:11], s[2:3], v1, s3, v[10:11]
.LBB295_60:
	s_and_b64 vcc, exec, s[0:1]
	s_cbranch_vccnz .LBB295_66
; %bb.61:
	s_cmp_lg_u32 s33, 0
	s_waitcnt lgkmcnt(0)
	s_mov_b32 s24, 0
	s_cbranch_scc0 .LBB295_67
; %bb.62:
	s_min_u32 s25, s56, 15
	s_add_i32 s25, s25, 1
	s_cmp_eq_u32 s56, 2
	s_cbranch_scc1 .LBB295_68
; %bb.63:
	s_and_b32 s24, s25, 28
	s_add_u32 s20, s34, 0xc4
	s_addc_u32 s21, s35, 0
	s_mov_b32 s26, 0
	v_mov_b32_e32 v12, 0
	v_mov_b32_e32 v14, 0
	s_mov_b64 s[22:23], s[34:35]
	v_mov_b32_e32 v3, v16
.LBB295_64:                             ; =>This Inner Loop Header: Depth=1
	s_load_dwordx8 s[8:15], s[22:23], 0x4
	s_load_dwordx4 s[16:19], s[22:23], 0x24
	s_load_dwordx8 s[0:7], s[20:21], 0x0
	s_add_u32 s22, s22, 48
	s_addc_u32 s23, s23, 0
	s_waitcnt lgkmcnt(0)
	v_mul_hi_u32 v1, s9, v3
	v_add_u32_e32 v1, v3, v1
	v_lshrrev_b32_e32 v1, s10, v1
	v_mul_lo_u32 v5, v1, s8
	v_mul_hi_u32 v7, s12, v1
	v_sub_u32_e32 v3, v3, v5
	v_add_u32_e32 v5, v1, v7
	v_lshrrev_b32_e32 v5, s13, v5
	v_mul_lo_u32 v9, v5, s11
	v_mul_hi_u32 v11, s15, v5
	v_sub_u32_e32 v1, v1, v9
	v_add_u32_e32 v9, v5, v11
	v_mul_lo_u32 v7, v3, s1
	v_mul_lo_u32 v3, v3, s0
	;; [unrolled: 1-line block ×4, first 2 shown]
	v_lshrrev_b32_e32 v9, s16, v9
	v_add3_u32 v1, v3, v12, v1
	v_add3_u32 v7, v7, v14, v11
	v_mul_lo_u32 v3, v9, s14
	v_mul_hi_u32 v11, s18, v9
	v_sub_u32_e32 v3, v5, v3
	v_add_u32_e32 v5, v9, v11
	v_mul_lo_u32 v11, v3, s4
	v_mul_lo_u32 v12, v3, s5
	v_lshrrev_b32_e32 v3, s19, v5
	s_add_i32 s26, s26, 4
	v_mul_lo_u32 v5, v3, s17
	s_add_u32 s20, s20, 32
	v_sub_u32_e32 v5, v9, v5
	s_addc_u32 s21, s21, 0
	v_mul_lo_u32 v9, v5, s6
	v_mul_lo_u32 v5, v5, s7
	s_cmp_lg_u32 s24, s26
	v_add3_u32 v14, v12, v7, v5
	v_add3_u32 v12, v11, v1, v9
	s_cbranch_scc1 .LBB295_64
; %bb.65:
	v_mov_b32_e32 v1, v14
	s_and_b32 s4, s25, 3
	s_cmp_eq_u32 s4, 0
	s_cbranch_scc0 .LBB295_69
	s_branch .LBB295_71
.LBB295_66:
                                        ; implicit-def: $vgpr14
                                        ; implicit-def: $vgpr12
	s_branch .LBB295_72
.LBB295_67:
	v_mov_b32_e32 v14, 0
	v_mov_b32_e32 v12, 0
	s_branch .LBB295_71
.LBB295_68:
	v_mov_b32_e32 v12, 0
                                        ; implicit-def: $vgpr14
	v_mov_b32_e32 v1, v12
	v_mov_b32_e32 v3, v16
	s_and_b32 s4, s25, 3
	s_cmp_eq_u32 s4, 0
	s_cbranch_scc1 .LBB295_71
.LBB295_69:
	s_lshl_b32 s0, s24, 3
	s_add_u32 s0, s34, s0
	s_addc_u32 s1, s35, 0
	s_add_u32 s0, s0, 0xc4
	s_addc_u32 s1, s1, 0
	s_mul_i32 s2, s24, 12
	s_add_u32 s2, s34, s2
	s_addc_u32 s3, s35, 0
.LBB295_70:                             ; =>This Inner Loop Header: Depth=1
	s_load_dwordx2 s[6:7], s[2:3], 0x4
	s_load_dword s5, s[2:3], 0xc
	s_load_dwordx2 s[8:9], s[0:1], 0x0
	v_mov_b32_e32 v14, v1
	s_add_u32 s2, s2, 12
	s_waitcnt lgkmcnt(0)
	v_mul_hi_u32 v1, s7, v3
	v_add_u32_e32 v1, v3, v1
	v_lshrrev_b32_e32 v1, s5, v1
	s_addc_u32 s3, s3, 0
	v_mul_lo_u32 v5, v1, s6
	s_add_u32 s0, s0, 8
	v_sub_u32_e32 v5, v3, v5
	s_addc_u32 s1, s1, 0
	s_add_i32 s4, s4, -1
	v_mad_u64_u32 v[14:15], s[6:7], v5, s9, v[14:15]
	s_cmp_lg_u32 s4, 0
	v_mov_b32_e32 v3, v1
	v_mad_u64_u32 v[12:13], s[6:7], v5, s8, v[12:13]
	v_mov_b32_e32 v1, v14
	s_cbranch_scc1 .LBB295_70
.LBB295_71:
	s_cbranch_execnz .LBB295_74
.LBB295_72:
	s_load_dwordx4 s[0:3], s[34:35], 0x4
	s_load_dwordx2 s[4:5], s[34:35], 0xc4
	s_cmp_lt_u32 s33, 2
	s_waitcnt lgkmcnt(0)
	v_mul_hi_u32 v1, s1, v16
	v_add_u32_e32 v1, v16, v1
	v_lshrrev_b32_e32 v1, s2, v1
	v_mul_lo_u32 v3, v1, s0
	v_sub_u32_e32 v3, v16, v3
	v_mul_lo_u32 v14, v3, s5
	v_mul_lo_u32 v12, v3, s4
	s_cbranch_scc1 .LBB295_74
; %bb.73:
	s_load_dwordx4 s[0:3], s[34:35], 0x10
	s_load_dwordx2 s[4:5], s[34:35], 0xcc
	s_waitcnt lgkmcnt(0)
	v_mul_hi_u32 v3, s1, v1
	v_add_u32_e32 v3, v1, v3
	v_lshrrev_b32_e32 v3, s2, v3
	v_mul_lo_u32 v3, v3, s0
	v_sub_u32_e32 v1, v1, v3
	v_mad_u64_u32 v[12:13], s[0:1], v1, s4, v[12:13]
	v_mad_u64_u32 v[14:15], s[0:1], v1, s5, v[14:15]
.LBB295_74:
	s_load_dwordx4 s[0:3], s[34:35], 0x148
	s_load_dwordx2 s[4:5], s[34:35], 0x158
	s_waitcnt lgkmcnt(0)
	global_load_dword v1, v2, s[2:3]
	global_load_dword v3, v6, s[2:3]
	;; [unrolled: 1-line block ×4, first 2 shown]
	s_waitcnt vmcnt(3)
	v_max_i32_e32 v1, s4, v1
	s_waitcnt vmcnt(2)
	v_max_i32_e32 v2, s4, v3
	;; [unrolled: 2-line block ×4, first 2 shown]
	v_min_i32_e32 v1, s5, v1
	v_min_i32_e32 v2, s5, v2
	;; [unrolled: 1-line block ×4, first 2 shown]
	global_store_dword v0, v1, s[0:1]
	global_store_dword v4, v2, s[0:1]
	;; [unrolled: 1-line block ×4, first 2 shown]
	s_endpgm
.LBB295_75:
	v_mov_b32_e32 v2, 0
	v_mov_b32_e32 v0, 0
	s_branch .LBB295_81
.LBB295_76:
	v_mov_b32_e32 v2, 0
	v_mov_b32_e32 v0, 0
	s_branch .LBB295_98
.LBB295_77:
	v_mov_b32_e32 v0, 0
	s_mov_b32 s59, 0
	v_mov_b32_e32 v1, v0
                                        ; implicit-def: $vgpr2
	v_mov_b32_e32 v4, v8
.LBB295_78:
	s_and_b32 s4, s60, 3
	s_cmp_eq_u32 s4, 0
	s_cbranch_scc1 .LBB295_81
; %bb.79:
	s_lshl_b32 s0, s59, 3
	s_add_u32 s0, s34, s0
	s_addc_u32 s1, s35, 0
	s_add_u32 s0, s0, 0xc4
	s_addc_u32 s1, s1, 0
	s_mul_i32 s2, s59, 12
	s_add_u32 s2, s34, s2
	s_addc_u32 s3, s35, 0
.LBB295_80:                             ; =>This Inner Loop Header: Depth=1
	s_load_dwordx2 s[6:7], s[2:3], 0x4
	s_load_dword s5, s[2:3], 0xc
	s_load_dwordx2 s[8:9], s[0:1], 0x0
	v_mov_b32_e32 v2, v1
	s_add_u32 s2, s2, 12
	s_waitcnt lgkmcnt(0)
	v_mul_hi_u32 v1, s7, v4
	v_add_u32_e32 v1, v4, v1
	v_lshrrev_b32_e32 v1, s5, v1
	s_addc_u32 s3, s3, 0
	v_mul_lo_u32 v3, v1, s6
	s_add_u32 s0, s0, 8
	v_sub_u32_e32 v5, v4, v3
	s_addc_u32 s1, s1, 0
	s_add_i32 s4, s4, -1
	v_mov_b32_e32 v4, v1
	v_mad_u64_u32 v[2:3], s[6:7], v5, s9, v[2:3]
	v_mad_u64_u32 v[0:1], s[6:7], v5, s8, v[0:1]
	s_cmp_lg_u32 s4, 0
	v_mov_b32_e32 v1, v2
	s_cbranch_scc1 .LBB295_80
.LBB295_81:
	s_cbranch_execnz .LBB295_84
.LBB295_82:
	s_waitcnt lgkmcnt(0)
	v_mul_hi_u32 v0, s25, v8
	v_add_u32_e32 v0, v8, v0
	v_lshrrev_b32_e32 v1, s26, v0
	v_mul_lo_u32 v0, v1, s24
	v_sub_u32_e32 v0, v8, v0
	v_mul_lo_u32 v2, v0, s21
	s_andn2_b64 vcc, exec, s[44:45]
	v_mul_lo_u32 v0, v0, s20
	s_cbranch_vccnz .LBB295_84
; %bb.83:
	v_mul_hi_u32 v3, s42, v1
	v_add_u32_e32 v3, v1, v3
	v_lshrrev_b32_e32 v3, s43, v3
	v_mul_lo_u32 v3, v3, s27
	v_sub_u32_e32 v3, v1, v3
	v_mad_u64_u32 v[0:1], s[0:1], v3, s22, v[0:1]
	v_mad_u64_u32 v[2:3], s[0:1], v3, s23, v[2:3]
.LBB295_84:
	s_waitcnt lgkmcnt(0)
	global_load_dword v1, v2, s[18:19]
	v_add_u32_e32 v8, 0x80, v8
	s_waitcnt vmcnt(0)
	v_max_i32_e32 v1, s40, v1
	v_min_i32_e32 v1, s41, v1
	global_store_dword v0, v1, s[16:17]
	s_or_b64 exec, exec, s[50:51]
	v_cmp_gt_i32_e32 vcc, s57, v8
	s_and_saveexec_b64 s[50:51], vcc
	s_cbranch_execnz .LBB295_16
.LBB295_85:
	s_or_b64 exec, exec, s[50:51]
	v_cmp_gt_i32_e32 vcc, s57, v8
	s_and_saveexec_b64 s[50:51], vcc
	s_cbranch_execz .LBB295_102
.LBB295_86:
	s_andn2_b64 vcc, exec, s[36:37]
	s_cbranch_vccnz .LBB295_92
; %bb.87:
	s_andn2_b64 vcc, exec, s[48:49]
	s_cbranch_vccnz .LBB295_93
; %bb.88:
	s_add_i32 s60, s58, 1
	s_cmp_eq_u32 s56, 2
	s_cbranch_scc1 .LBB295_105
; %bb.89:
	s_and_b32 s59, s60, 28
	s_mov_b32 s61, 0
	v_mov_b32_e32 v0, 0
	v_mov_b32_e32 v2, 0
	s_mov_b64 s[52:53], s[34:35]
	s_mov_b64 s[54:55], s[46:47]
	v_mov_b32_e32 v4, v8
.LBB295_90:                             ; =>This Inner Loop Header: Depth=1
	s_load_dwordx8 s[8:15], s[52:53], 0x4
	s_load_dwordx4 s[28:31], s[52:53], 0x24
	s_load_dwordx8 s[0:7], s[54:55], 0x0
	s_add_u32 s52, s52, 48
	s_addc_u32 s53, s53, 0
	s_waitcnt lgkmcnt(0)
	v_mul_hi_u32 v1, s9, v4
	v_add_u32_e32 v1, v4, v1
	v_lshrrev_b32_e32 v1, s10, v1
	v_mul_lo_u32 v3, v1, s8
	v_mul_hi_u32 v5, s12, v1
	v_sub_u32_e32 v3, v4, v3
	v_add_u32_e32 v4, v1, v5
	v_lshrrev_b32_e32 v4, s13, v4
	v_mul_lo_u32 v6, v4, s11
	v_mul_hi_u32 v7, s15, v4
	v_sub_u32_e32 v1, v1, v6
	v_add_u32_e32 v6, v4, v7
	v_mul_lo_u32 v5, v3, s1
	v_mul_lo_u32 v3, v3, s0
	;; [unrolled: 1-line block ×4, first 2 shown]
	v_lshrrev_b32_e32 v6, s28, v6
	v_add3_u32 v0, v3, v0, v1
	v_mul_hi_u32 v3, s30, v6
	v_add3_u32 v1, v5, v2, v7
	v_mul_lo_u32 v2, v6, s14
	v_add_u32_e32 v3, v6, v3
	v_sub_u32_e32 v2, v4, v2
	v_lshrrev_b32_e32 v4, s31, v3
	s_add_i32 s61, s61, 4
	v_mul_lo_u32 v3, v4, s29
	s_add_u32 s54, s54, 32
	v_sub_u32_e32 v3, v6, v3
	s_addc_u32 s55, s55, 0
	v_mul_lo_u32 v5, v2, s4
	v_mul_lo_u32 v2, v2, s5
	;; [unrolled: 1-line block ×4, first 2 shown]
	s_cmp_eq_u32 s59, s61
	v_add3_u32 v2, v2, v1, v3
	v_add3_u32 v0, v5, v0, v6
	s_cbranch_scc0 .LBB295_90
; %bb.91:
	v_mov_b32_e32 v1, v2
	s_branch .LBB295_106
.LBB295_92:
                                        ; implicit-def: $vgpr2
                                        ; implicit-def: $vgpr0
	s_branch .LBB295_110
.LBB295_93:
	v_mov_b32_e32 v2, 0
	v_mov_b32_e32 v0, 0
	s_branch .LBB295_109
.LBB295_94:
	v_mov_b32_e32 v0, 0
	s_mov_b32 s59, 0
	v_mov_b32_e32 v1, v0
                                        ; implicit-def: $vgpr2
	v_mov_b32_e32 v4, v8
.LBB295_95:
	s_and_b32 s4, s60, 3
	s_cmp_eq_u32 s4, 0
	s_cbranch_scc1 .LBB295_98
; %bb.96:
	s_lshl_b32 s0, s59, 3
	s_add_u32 s0, s34, s0
	s_addc_u32 s1, s35, 0
	s_add_u32 s0, s0, 0xc4
	s_addc_u32 s1, s1, 0
	s_mul_i32 s2, s59, 12
	s_add_u32 s2, s34, s2
	s_addc_u32 s3, s35, 0
.LBB295_97:                             ; =>This Inner Loop Header: Depth=1
	s_load_dwordx2 s[6:7], s[2:3], 0x4
	s_load_dword s5, s[2:3], 0xc
	s_load_dwordx2 s[8:9], s[0:1], 0x0
	v_mov_b32_e32 v2, v1
	s_add_u32 s2, s2, 12
	s_waitcnt lgkmcnt(0)
	v_mul_hi_u32 v1, s7, v4
	v_add_u32_e32 v1, v4, v1
	v_lshrrev_b32_e32 v1, s5, v1
	s_addc_u32 s3, s3, 0
	v_mul_lo_u32 v3, v1, s6
	s_add_u32 s0, s0, 8
	v_sub_u32_e32 v5, v4, v3
	s_addc_u32 s1, s1, 0
	s_add_i32 s4, s4, -1
	v_mov_b32_e32 v4, v1
	v_mad_u64_u32 v[2:3], s[6:7], v5, s9, v[2:3]
	v_mad_u64_u32 v[0:1], s[6:7], v5, s8, v[0:1]
	s_cmp_lg_u32 s4, 0
	v_mov_b32_e32 v1, v2
	s_cbranch_scc1 .LBB295_97
.LBB295_98:
	s_cbranch_execnz .LBB295_101
.LBB295_99:
	s_waitcnt lgkmcnt(0)
	v_mul_hi_u32 v0, s25, v8
	v_add_u32_e32 v0, v8, v0
	v_lshrrev_b32_e32 v1, s26, v0
	v_mul_lo_u32 v0, v1, s24
	v_sub_u32_e32 v0, v8, v0
	v_mul_lo_u32 v2, v0, s21
	s_andn2_b64 vcc, exec, s[44:45]
	v_mul_lo_u32 v0, v0, s20
	s_cbranch_vccnz .LBB295_101
; %bb.100:
	v_mul_hi_u32 v3, s42, v1
	v_add_u32_e32 v3, v1, v3
	v_lshrrev_b32_e32 v3, s43, v3
	v_mul_lo_u32 v3, v3, s27
	v_sub_u32_e32 v3, v1, v3
	v_mad_u64_u32 v[0:1], s[0:1], v3, s22, v[0:1]
	v_mad_u64_u32 v[2:3], s[0:1], v3, s23, v[2:3]
.LBB295_101:
	s_waitcnt lgkmcnt(0)
	global_load_dword v1, v2, s[18:19]
	v_add_u32_e32 v8, 0x80, v8
	s_waitcnt vmcnt(0)
	v_max_i32_e32 v1, s40, v1
	v_min_i32_e32 v1, s41, v1
	global_store_dword v0, v1, s[16:17]
	s_or_b64 exec, exec, s[50:51]
	v_cmp_gt_i32_e32 vcc, s57, v8
	s_and_saveexec_b64 s[50:51], vcc
	s_cbranch_execnz .LBB295_86
.LBB295_102:
	s_or_b64 exec, exec, s[50:51]
	v_cmp_gt_i32_e32 vcc, s57, v8
	s_and_saveexec_b64 s[50:51], vcc
	s_cbranch_execnz .LBB295_113
.LBB295_103:
	s_or_b64 exec, exec, s[50:51]
                                        ; implicit-def: $vgpr16
                                        ; implicit-def: $vgpr8
	s_andn2_saveexec_b64 s[0:1], s[38:39]
	s_cbranch_execnz .LBB295_9
.LBB295_104:
	s_endpgm
.LBB295_105:
	v_mov_b32_e32 v0, 0
	s_mov_b32 s59, 0
	v_mov_b32_e32 v1, v0
                                        ; implicit-def: $vgpr2
	v_mov_b32_e32 v4, v8
.LBB295_106:
	s_and_b32 s4, s60, 3
	s_cmp_eq_u32 s4, 0
	s_cbranch_scc1 .LBB295_109
; %bb.107:
	s_lshl_b32 s0, s59, 3
	s_add_u32 s0, s34, s0
	s_addc_u32 s1, s35, 0
	s_add_u32 s0, s0, 0xc4
	s_addc_u32 s1, s1, 0
	s_mul_i32 s2, s59, 12
	s_add_u32 s2, s34, s2
	s_addc_u32 s3, s35, 0
.LBB295_108:                            ; =>This Inner Loop Header: Depth=1
	s_load_dwordx2 s[6:7], s[2:3], 0x4
	s_load_dword s5, s[2:3], 0xc
	s_load_dwordx2 s[8:9], s[0:1], 0x0
	v_mov_b32_e32 v2, v1
	s_add_u32 s2, s2, 12
	s_waitcnt lgkmcnt(0)
	v_mul_hi_u32 v1, s7, v4
	v_add_u32_e32 v1, v4, v1
	v_lshrrev_b32_e32 v1, s5, v1
	s_addc_u32 s3, s3, 0
	v_mul_lo_u32 v3, v1, s6
	s_add_u32 s0, s0, 8
	v_sub_u32_e32 v5, v4, v3
	s_addc_u32 s1, s1, 0
	s_add_i32 s4, s4, -1
	v_mov_b32_e32 v4, v1
	v_mad_u64_u32 v[2:3], s[6:7], v5, s9, v[2:3]
	v_mad_u64_u32 v[0:1], s[6:7], v5, s8, v[0:1]
	s_cmp_lg_u32 s4, 0
	v_mov_b32_e32 v1, v2
	s_cbranch_scc1 .LBB295_108
.LBB295_109:
	s_cbranch_execnz .LBB295_112
.LBB295_110:
	s_waitcnt lgkmcnt(0)
	v_mul_hi_u32 v0, s25, v8
	v_add_u32_e32 v0, v8, v0
	v_lshrrev_b32_e32 v1, s26, v0
	v_mul_lo_u32 v0, v1, s24
	v_sub_u32_e32 v0, v8, v0
	v_mul_lo_u32 v2, v0, s21
	s_andn2_b64 vcc, exec, s[44:45]
	v_mul_lo_u32 v0, v0, s20
	s_cbranch_vccnz .LBB295_112
; %bb.111:
	v_mul_hi_u32 v3, s42, v1
	v_add_u32_e32 v3, v1, v3
	v_lshrrev_b32_e32 v3, s43, v3
	v_mul_lo_u32 v3, v3, s27
	v_sub_u32_e32 v3, v1, v3
	v_mad_u64_u32 v[0:1], s[0:1], v3, s22, v[0:1]
	v_mad_u64_u32 v[2:3], s[0:1], v3, s23, v[2:3]
.LBB295_112:
	s_waitcnt lgkmcnt(0)
	global_load_dword v1, v2, s[18:19]
	v_add_u32_e32 v8, 0x80, v8
	s_waitcnt vmcnt(0)
	v_max_i32_e32 v1, s40, v1
	v_min_i32_e32 v1, s41, v1
	global_store_dword v0, v1, s[16:17]
	s_or_b64 exec, exec, s[50:51]
	v_cmp_gt_i32_e32 vcc, s57, v8
	s_and_saveexec_b64 s[50:51], vcc
	s_cbranch_execz .LBB295_103
.LBB295_113:
	s_andn2_b64 vcc, exec, s[36:37]
	s_cbranch_vccnz .LBB295_119
; %bb.114:
	s_andn2_b64 vcc, exec, s[48:49]
	s_cbranch_vccnz .LBB295_120
; %bb.115:
	s_add_i32 s58, s58, 1
	s_cmp_eq_u32 s56, 2
	s_cbranch_scc1 .LBB295_121
; %bb.116:
	s_and_b32 s52, s58, 28
	s_mov_b32 s53, 0
	v_mov_b32_e32 v0, 0
	v_mov_b32_e32 v2, 0
	s_mov_b64 s[48:49], s[34:35]
	v_mov_b32_e32 v4, v8
.LBB295_117:                            ; =>This Inner Loop Header: Depth=1
	s_load_dwordx8 s[8:15], s[48:49], 0x4
	s_load_dwordx4 s[28:31], s[48:49], 0x24
	s_load_dwordx8 s[0:7], s[46:47], 0x0
	s_add_u32 s48, s48, 48
	s_addc_u32 s49, s49, 0
	s_waitcnt lgkmcnt(0)
	v_mul_hi_u32 v1, s9, v4
	v_add_u32_e32 v1, v4, v1
	v_lshrrev_b32_e32 v1, s10, v1
	v_mul_lo_u32 v3, v1, s8
	v_mul_hi_u32 v5, s12, v1
	v_sub_u32_e32 v3, v4, v3
	v_add_u32_e32 v4, v1, v5
	v_lshrrev_b32_e32 v4, s13, v4
	v_mul_lo_u32 v6, v4, s11
	v_mul_hi_u32 v7, s15, v4
	v_sub_u32_e32 v1, v1, v6
	v_add_u32_e32 v6, v4, v7
	v_mul_lo_u32 v5, v3, s1
	v_mul_lo_u32 v3, v3, s0
	;; [unrolled: 1-line block ×4, first 2 shown]
	v_lshrrev_b32_e32 v6, s28, v6
	v_add3_u32 v0, v3, v0, v1
	v_mul_hi_u32 v3, s30, v6
	v_add3_u32 v1, v5, v2, v7
	v_mul_lo_u32 v2, v6, s14
	v_add_u32_e32 v3, v6, v3
	v_sub_u32_e32 v2, v4, v2
	v_lshrrev_b32_e32 v4, s31, v3
	s_add_i32 s53, s53, 4
	v_mul_lo_u32 v3, v4, s29
	s_add_u32 s46, s46, 32
	v_sub_u32_e32 v3, v6, v3
	s_addc_u32 s47, s47, 0
	v_mul_lo_u32 v5, v2, s4
	v_mul_lo_u32 v2, v2, s5
	;; [unrolled: 1-line block ×4, first 2 shown]
	s_cmp_eq_u32 s52, s53
	v_add3_u32 v2, v2, v1, v3
	v_add3_u32 v0, v5, v0, v6
	s_cbranch_scc0 .LBB295_117
; %bb.118:
	v_mov_b32_e32 v1, v2
	s_branch .LBB295_122
.LBB295_119:
                                        ; implicit-def: $vgpr2
                                        ; implicit-def: $vgpr0
	s_branch .LBB295_126
.LBB295_120:
	v_mov_b32_e32 v2, 0
	v_mov_b32_e32 v0, 0
	s_branch .LBB295_125
.LBB295_121:
	v_mov_b32_e32 v0, 0
	s_mov_b32 s52, 0
	v_mov_b32_e32 v1, v0
                                        ; implicit-def: $vgpr2
	v_mov_b32_e32 v4, v8
.LBB295_122:
	s_and_b32 s4, s58, 3
	s_cmp_eq_u32 s4, 0
	s_cbranch_scc1 .LBB295_125
; %bb.123:
	s_lshl_b32 s0, s52, 3
	s_add_u32 s0, s34, s0
	s_addc_u32 s1, s35, 0
	s_add_u32 s0, s0, 0xc4
	s_addc_u32 s1, s1, 0
	s_mul_i32 s2, s52, 12
	s_add_u32 s2, s34, s2
	s_addc_u32 s3, s35, 0
.LBB295_124:                            ; =>This Inner Loop Header: Depth=1
	s_load_dwordx2 s[6:7], s[2:3], 0x4
	s_load_dword s5, s[2:3], 0xc
	s_load_dwordx2 s[8:9], s[0:1], 0x0
	v_mov_b32_e32 v2, v1
	s_add_u32 s2, s2, 12
	s_waitcnt lgkmcnt(0)
	v_mul_hi_u32 v1, s7, v4
	v_add_u32_e32 v1, v4, v1
	v_lshrrev_b32_e32 v1, s5, v1
	s_addc_u32 s3, s3, 0
	v_mul_lo_u32 v3, v1, s6
	s_add_u32 s0, s0, 8
	v_sub_u32_e32 v5, v4, v3
	s_addc_u32 s1, s1, 0
	s_add_i32 s4, s4, -1
	v_mov_b32_e32 v4, v1
	v_mad_u64_u32 v[2:3], s[6:7], v5, s9, v[2:3]
	v_mad_u64_u32 v[0:1], s[6:7], v5, s8, v[0:1]
	s_cmp_lg_u32 s4, 0
	v_mov_b32_e32 v1, v2
	s_cbranch_scc1 .LBB295_124
.LBB295_125:
	s_cbranch_execnz .LBB295_128
.LBB295_126:
	s_waitcnt lgkmcnt(0)
	v_mul_hi_u32 v0, s25, v8
	v_add_u32_e32 v0, v8, v0
	v_lshrrev_b32_e32 v1, s26, v0
	v_mul_lo_u32 v0, v1, s24
	v_sub_u32_e32 v0, v8, v0
	v_mul_lo_u32 v2, v0, s21
	s_andn2_b64 vcc, exec, s[44:45]
	v_mul_lo_u32 v0, v0, s20
	s_cbranch_vccnz .LBB295_128
; %bb.127:
	v_mul_hi_u32 v3, s42, v1
	v_add_u32_e32 v3, v1, v3
	v_lshrrev_b32_e32 v3, s43, v3
	v_mul_lo_u32 v3, v3, s27
	v_sub_u32_e32 v3, v1, v3
	v_mad_u64_u32 v[0:1], s[0:1], v3, s22, v[0:1]
	v_mad_u64_u32 v[2:3], s[0:1], v3, s23, v[2:3]
.LBB295_128:
	s_waitcnt lgkmcnt(0)
	global_load_dword v1, v2, s[18:19]
	s_waitcnt vmcnt(0)
	v_max_i32_e32 v1, s40, v1
	v_min_i32_e32 v1, s41, v1
	global_store_dword v0, v1, s[16:17]
	s_or_b64 exec, exec, s[50:51]
                                        ; implicit-def: $vgpr16
                                        ; implicit-def: $vgpr8
	s_andn2_saveexec_b64 s[0:1], s[38:39]
	s_cbranch_execz .LBB295_104
	s_branch .LBB295_9
	.section	.rodata,"a",@progbits
	.p2align	6, 0x0
	.amdhsa_kernel _ZN2at6native32elementwise_kernel_manual_unrollILi128ELi4EZNS0_22gpu_kernel_impl_nocastIZZZNS0_17clamp_kernel_cudaERNS_18TensorIteratorBaseERKN3c106ScalarES8_ENKUlvE_clEvENKUlvE1_clEvEUliE_EEvS4_RKT_EUlibE_EEviT1_
		.amdhsa_group_segment_fixed_size 0
		.amdhsa_private_segment_fixed_size 0
		.amdhsa_kernarg_size 360
		.amdhsa_user_sgpr_count 2
		.amdhsa_user_sgpr_dispatch_ptr 0
		.amdhsa_user_sgpr_queue_ptr 0
		.amdhsa_user_sgpr_kernarg_segment_ptr 1
		.amdhsa_user_sgpr_dispatch_id 0
		.amdhsa_user_sgpr_kernarg_preload_length 0
		.amdhsa_user_sgpr_kernarg_preload_offset 0
		.amdhsa_user_sgpr_private_segment_size 0
		.amdhsa_uses_dynamic_stack 0
		.amdhsa_enable_private_segment 0
		.amdhsa_system_sgpr_workgroup_id_x 1
		.amdhsa_system_sgpr_workgroup_id_y 0
		.amdhsa_system_sgpr_workgroup_id_z 0
		.amdhsa_system_sgpr_workgroup_info 0
		.amdhsa_system_vgpr_workitem_id 0
		.amdhsa_next_free_vgpr 17
		.amdhsa_next_free_sgpr 62
		.amdhsa_accum_offset 20
		.amdhsa_reserve_vcc 1
		.amdhsa_float_round_mode_32 0
		.amdhsa_float_round_mode_16_64 0
		.amdhsa_float_denorm_mode_32 3
		.amdhsa_float_denorm_mode_16_64 3
		.amdhsa_dx10_clamp 1
		.amdhsa_ieee_mode 1
		.amdhsa_fp16_overflow 0
		.amdhsa_tg_split 0
		.amdhsa_exception_fp_ieee_invalid_op 0
		.amdhsa_exception_fp_denorm_src 0
		.amdhsa_exception_fp_ieee_div_zero 0
		.amdhsa_exception_fp_ieee_overflow 0
		.amdhsa_exception_fp_ieee_underflow 0
		.amdhsa_exception_fp_ieee_inexact 0
		.amdhsa_exception_int_div_zero 0
	.end_amdhsa_kernel
	.section	.text._ZN2at6native32elementwise_kernel_manual_unrollILi128ELi4EZNS0_22gpu_kernel_impl_nocastIZZZNS0_17clamp_kernel_cudaERNS_18TensorIteratorBaseERKN3c106ScalarES8_ENKUlvE_clEvENKUlvE1_clEvEUliE_EEvS4_RKT_EUlibE_EEviT1_,"axG",@progbits,_ZN2at6native32elementwise_kernel_manual_unrollILi128ELi4EZNS0_22gpu_kernel_impl_nocastIZZZNS0_17clamp_kernel_cudaERNS_18TensorIteratorBaseERKN3c106ScalarES8_ENKUlvE_clEvENKUlvE1_clEvEUliE_EEvS4_RKT_EUlibE_EEviT1_,comdat
.Lfunc_end295:
	.size	_ZN2at6native32elementwise_kernel_manual_unrollILi128ELi4EZNS0_22gpu_kernel_impl_nocastIZZZNS0_17clamp_kernel_cudaERNS_18TensorIteratorBaseERKN3c106ScalarES8_ENKUlvE_clEvENKUlvE1_clEvEUliE_EEvS4_RKT_EUlibE_EEviT1_, .Lfunc_end295-_ZN2at6native32elementwise_kernel_manual_unrollILi128ELi4EZNS0_22gpu_kernel_impl_nocastIZZZNS0_17clamp_kernel_cudaERNS_18TensorIteratorBaseERKN3c106ScalarES8_ENKUlvE_clEvENKUlvE1_clEvEUliE_EEvS4_RKT_EUlibE_EEviT1_
                                        ; -- End function
	.set _ZN2at6native32elementwise_kernel_manual_unrollILi128ELi4EZNS0_22gpu_kernel_impl_nocastIZZZNS0_17clamp_kernel_cudaERNS_18TensorIteratorBaseERKN3c106ScalarES8_ENKUlvE_clEvENKUlvE1_clEvEUliE_EEvS4_RKT_EUlibE_EEviT1_.num_vgpr, 17
	.set _ZN2at6native32elementwise_kernel_manual_unrollILi128ELi4EZNS0_22gpu_kernel_impl_nocastIZZZNS0_17clamp_kernel_cudaERNS_18TensorIteratorBaseERKN3c106ScalarES8_ENKUlvE_clEvENKUlvE1_clEvEUliE_EEvS4_RKT_EUlibE_EEviT1_.num_agpr, 0
	.set _ZN2at6native32elementwise_kernel_manual_unrollILi128ELi4EZNS0_22gpu_kernel_impl_nocastIZZZNS0_17clamp_kernel_cudaERNS_18TensorIteratorBaseERKN3c106ScalarES8_ENKUlvE_clEvENKUlvE1_clEvEUliE_EEvS4_RKT_EUlibE_EEviT1_.numbered_sgpr, 62
	.set _ZN2at6native32elementwise_kernel_manual_unrollILi128ELi4EZNS0_22gpu_kernel_impl_nocastIZZZNS0_17clamp_kernel_cudaERNS_18TensorIteratorBaseERKN3c106ScalarES8_ENKUlvE_clEvENKUlvE1_clEvEUliE_EEvS4_RKT_EUlibE_EEviT1_.num_named_barrier, 0
	.set _ZN2at6native32elementwise_kernel_manual_unrollILi128ELi4EZNS0_22gpu_kernel_impl_nocastIZZZNS0_17clamp_kernel_cudaERNS_18TensorIteratorBaseERKN3c106ScalarES8_ENKUlvE_clEvENKUlvE1_clEvEUliE_EEvS4_RKT_EUlibE_EEviT1_.private_seg_size, 0
	.set _ZN2at6native32elementwise_kernel_manual_unrollILi128ELi4EZNS0_22gpu_kernel_impl_nocastIZZZNS0_17clamp_kernel_cudaERNS_18TensorIteratorBaseERKN3c106ScalarES8_ENKUlvE_clEvENKUlvE1_clEvEUliE_EEvS4_RKT_EUlibE_EEviT1_.uses_vcc, 1
	.set _ZN2at6native32elementwise_kernel_manual_unrollILi128ELi4EZNS0_22gpu_kernel_impl_nocastIZZZNS0_17clamp_kernel_cudaERNS_18TensorIteratorBaseERKN3c106ScalarES8_ENKUlvE_clEvENKUlvE1_clEvEUliE_EEvS4_RKT_EUlibE_EEviT1_.uses_flat_scratch, 0
	.set _ZN2at6native32elementwise_kernel_manual_unrollILi128ELi4EZNS0_22gpu_kernel_impl_nocastIZZZNS0_17clamp_kernel_cudaERNS_18TensorIteratorBaseERKN3c106ScalarES8_ENKUlvE_clEvENKUlvE1_clEvEUliE_EEvS4_RKT_EUlibE_EEviT1_.has_dyn_sized_stack, 0
	.set _ZN2at6native32elementwise_kernel_manual_unrollILi128ELi4EZNS0_22gpu_kernel_impl_nocastIZZZNS0_17clamp_kernel_cudaERNS_18TensorIteratorBaseERKN3c106ScalarES8_ENKUlvE_clEvENKUlvE1_clEvEUliE_EEvS4_RKT_EUlibE_EEviT1_.has_recursion, 0
	.set _ZN2at6native32elementwise_kernel_manual_unrollILi128ELi4EZNS0_22gpu_kernel_impl_nocastIZZZNS0_17clamp_kernel_cudaERNS_18TensorIteratorBaseERKN3c106ScalarES8_ENKUlvE_clEvENKUlvE1_clEvEUliE_EEvS4_RKT_EUlibE_EEviT1_.has_indirect_call, 0
	.section	.AMDGPU.csdata,"",@progbits
; Kernel info:
; codeLenInByte = 5856
; TotalNumSgprs: 68
; NumVgprs: 17
; NumAgprs: 0
; TotalNumVgprs: 17
; ScratchSize: 0
; MemoryBound: 0
; FloatMode: 240
; IeeeMode: 1
; LDSByteSize: 0 bytes/workgroup (compile time only)
; SGPRBlocks: 8
; VGPRBlocks: 2
; NumSGPRsForWavesPerEU: 68
; NumVGPRsForWavesPerEU: 17
; AccumOffset: 20
; Occupancy: 8
; WaveLimiterHint : 1
; COMPUTE_PGM_RSRC2:SCRATCH_EN: 0
; COMPUTE_PGM_RSRC2:USER_SGPR: 2
; COMPUTE_PGM_RSRC2:TRAP_HANDLER: 0
; COMPUTE_PGM_RSRC2:TGID_X_EN: 1
; COMPUTE_PGM_RSRC2:TGID_Y_EN: 0
; COMPUTE_PGM_RSRC2:TGID_Z_EN: 0
; COMPUTE_PGM_RSRC2:TIDIG_COMP_CNT: 0
; COMPUTE_PGM_RSRC3_GFX90A:ACCUM_OFFSET: 4
; COMPUTE_PGM_RSRC3_GFX90A:TG_SPLIT: 0
	.section	.text._ZN2at6native32elementwise_kernel_manual_unrollILi128ELi4EZNS0_15gpu_kernel_implIZZZNS0_17clamp_kernel_cudaERNS_18TensorIteratorBaseERKN3c106ScalarES8_ENKUlvE_clEvENKUlvE1_clEvEUliE_EEvS4_RKT_EUlibE_EEviT1_,"axG",@progbits,_ZN2at6native32elementwise_kernel_manual_unrollILi128ELi4EZNS0_15gpu_kernel_implIZZZNS0_17clamp_kernel_cudaERNS_18TensorIteratorBaseERKN3c106ScalarES8_ENKUlvE_clEvENKUlvE1_clEvEUliE_EEvS4_RKT_EUlibE_EEviT1_,comdat
	.globl	_ZN2at6native32elementwise_kernel_manual_unrollILi128ELi4EZNS0_15gpu_kernel_implIZZZNS0_17clamp_kernel_cudaERNS_18TensorIteratorBaseERKN3c106ScalarES8_ENKUlvE_clEvENKUlvE1_clEvEUliE_EEvS4_RKT_EUlibE_EEviT1_ ; -- Begin function _ZN2at6native32elementwise_kernel_manual_unrollILi128ELi4EZNS0_15gpu_kernel_implIZZZNS0_17clamp_kernel_cudaERNS_18TensorIteratorBaseERKN3c106ScalarES8_ENKUlvE_clEvENKUlvE1_clEvEUliE_EEvS4_RKT_EUlibE_EEviT1_
	.p2align	8
	.type	_ZN2at6native32elementwise_kernel_manual_unrollILi128ELi4EZNS0_15gpu_kernel_implIZZZNS0_17clamp_kernel_cudaERNS_18TensorIteratorBaseERKN3c106ScalarES8_ENKUlvE_clEvENKUlvE1_clEvEUliE_EEvS4_RKT_EUlibE_EEviT1_,@function
_ZN2at6native32elementwise_kernel_manual_unrollILi128ELi4EZNS0_15gpu_kernel_implIZZZNS0_17clamp_kernel_cudaERNS_18TensorIteratorBaseERKN3c106ScalarES8_ENKUlvE_clEvENKUlvE1_clEvEUliE_EEvS4_RKT_EUlibE_EEviT1_: ; @_ZN2at6native32elementwise_kernel_manual_unrollILi128ELi4EZNS0_15gpu_kernel_implIZZZNS0_17clamp_kernel_cudaERNS_18TensorIteratorBaseERKN3c106ScalarES8_ENKUlvE_clEvENKUlvE1_clEvEUliE_EEvS4_RKT_EUlibE_EEviT1_
; %bb.0:
	s_load_dword s33, s[0:1], 0x28
	s_load_dword s40, s[0:1], 0x0
	s_load_dwordx8 s[4:11], s[0:1], 0x8
	v_lshl_or_b32 v4, s2, 9, v0
	v_or_b32_e32 v0, 0x180, v4
	s_waitcnt lgkmcnt(0)
	s_bfe_u32 s44, s33, 0x80008
	v_cmp_le_i32_e32 vcc, s40, v0
	s_mov_b64 s[2:3], 0
	s_mov_b64 s[14:15], 0
	s_and_saveexec_b64 s[0:1], vcc
	s_xor_b64 s[12:13], exec, s[0:1]
	s_cbranch_execz .LBB296_1011
; %bb.1:
	v_cmp_gt_i32_e32 vcc, s40, v4
	s_mov_b64 s[20:21], -1
	s_mov_b64 s[22:23], 0
	s_mov_b64 s[16:17], 0
	s_and_saveexec_b64 s[18:19], vcc
	s_cbranch_execz .LBB296_248
; %bb.2:
	v_mul_lo_u32 v0, v4, s9
	v_ashrrev_i32_e32 v1, 31, v0
	s_and_b32 s20, 0xffff, s44
	s_cmp_lt_i32 s20, 11
	v_lshl_add_u64 v[0:1], s[6:7], 0, v[0:1]
	s_cbranch_scc1 .LBB296_9
; %bb.3:
	s_cmp_gt_i32 s20, 25
	s_cbranch_scc0 .LBB296_18
; %bb.4:
	s_cmp_gt_i32 s20, 28
	s_cbranch_scc0 .LBB296_22
	;; [unrolled: 3-line block ×4, first 2 shown]
; %bb.7:
	s_cmp_eq_u32 s20, 46
	s_cbranch_scc0 .LBB296_28
; %bb.8:
	global_load_dword v2, v[0:1], off
	s_mov_b64 s[0:1], -1
	s_waitcnt vmcnt(0)
	v_lshlrev_b32_e32 v2, 16, v2
	v_cvt_i32_f32_e32 v2, v2
	s_branch .LBB296_30
.LBB296_9:
                                        ; implicit-def: $vgpr2
	s_mov_b64 s[0:1], 0
	s_cbranch_execnz .LBB296_199
.LBB296_10:
	s_andn2_b64 vcc, exec, s[0:1]
	s_cbranch_vccnz .LBB296_246
.LBB296_11:
	s_waitcnt vmcnt(0)
	v_max_i32_e32 v0, s10, v2
	v_mul_lo_u32 v2, v4, s8
	v_ashrrev_i32_e32 v3, 31, v2
	s_and_b32 s26, s33, 0xff
	v_min_i32_e32 v0, s11, v0
	s_cmp_lt_i32 s26, 11
	v_lshl_add_u64 v[2:3], s[4:5], 0, v[2:3]
	s_cbranch_scc1 .LBB296_19
; %bb.12:
	s_and_b32 s27, 0xffff, s26
	s_cmp_gt_i32 s27, 25
	s_cbranch_scc0 .LBB296_23
; %bb.13:
	s_cmp_gt_i32 s27, 28
	s_cbranch_scc0 .LBB296_25
; %bb.14:
	;; [unrolled: 3-line block ×4, first 2 shown]
	s_mov_b64 s[20:21], 0
	s_mov_b64 s[0:1], -1
	s_cmp_eq_u32 s27, 46
	s_mov_b64 s[14:15], 0
	s_cbranch_scc0 .LBB296_34
; %bb.17:
	v_cvt_f32_i32_e32 v1, v0
	s_movk_i32 s0, 0x7fff
	s_mov_b64 s[14:15], -1
	v_bfe_u32 v5, v1, 16, 1
	v_add3_u32 v1, v1, v5, s0
	v_lshrrev_b32_e32 v1, 16, v1
	global_store_dword v[2:3], v1, off
	s_mov_b64 s[0:1], 0
	s_branch .LBB296_34
.LBB296_18:
	s_mov_b64 s[0:1], 0
                                        ; implicit-def: $vgpr2
	s_cbranch_execnz .LBB296_166
	s_branch .LBB296_198
.LBB296_19:
	s_mov_b64 s[0:1], 0
	s_mov_b64 s[14:15], 0
	s_cbranch_execnz .LBB296_103
.LBB296_20:
	s_andn2_b64 vcc, exec, s[14:15]
	s_cbranch_vccnz .LBB296_141
.LBB296_21:
	v_add_u32_e32 v4, 0x80, v4
	s_mov_b64 s[20:21], -1
	s_branch .LBB296_247
.LBB296_22:
	s_mov_b64 s[14:15], -1
	s_mov_b64 s[0:1], 0
                                        ; implicit-def: $vgpr2
	s_branch .LBB296_149
.LBB296_23:
	s_mov_b64 s[20:21], -1
	s_mov_b64 s[0:1], 0
	s_mov_b64 s[14:15], 0
	s_branch .LBB296_61
.LBB296_24:
	s_mov_b64 s[14:15], -1
	s_mov_b64 s[0:1], 0
                                        ; implicit-def: $vgpr2
	s_branch .LBB296_144
.LBB296_25:
	s_mov_b64 s[20:21], -1
	s_mov_b64 s[0:1], 0
	s_mov_b64 s[14:15], 0
	s_branch .LBB296_44
.LBB296_26:
	s_mov_b64 s[14:15], -1
	s_branch .LBB296_29
.LBB296_27:
	s_mov_b64 s[20:21], -1
	s_mov_b64 s[0:1], 0
	s_mov_b64 s[14:15], 0
	s_branch .LBB296_40
.LBB296_28:
	s_mov_b64 s[16:17], -1
.LBB296_29:
	s_mov_b64 s[0:1], 0
                                        ; implicit-def: $vgpr2
.LBB296_30:
	s_and_b64 vcc, exec, s[14:15]
	s_cbranch_vccz .LBB296_143
; %bb.31:
	s_cmp_eq_u32 s20, 44
	s_cbranch_scc0 .LBB296_142
; %bb.32:
	global_load_ubyte v2, v[0:1], off
	s_mov_b64 s[0:1], -1
	s_mov_b64 s[16:17], 0
	s_waitcnt vmcnt(0)
	v_lshlrev_b32_e32 v3, 23, v2
	v_cvt_i32_f32_e32 v3, v3
	v_cmp_ne_u32_e32 vcc, 0, v2
	s_nop 1
	v_cndmask_b32_e32 v2, 0, v3, vcc
	s_branch .LBB296_143
.LBB296_33:
	s_mov_b64 s[20:21], -1
	s_mov_b64 s[0:1], 0
	s_mov_b64 s[14:15], 0
.LBB296_34:
	s_and_b64 vcc, exec, s[20:21]
	s_cbranch_vccz .LBB296_39
; %bb.35:
	s_cmp_eq_u32 s27, 44
	s_mov_b64 s[0:1], -1
	s_cbranch_scc0 .LBB296_39
; %bb.36:
	v_cvt_f32_i32_e32 v1, v0
	s_movk_i32 s0, 0xff
	v_mov_b32_e32 v6, 0xff
	v_bfe_u32 v5, v1, 23, 8
	v_cmp_ne_u32_e32 vcc, s0, v5
	s_and_saveexec_b64 s[14:15], vcc
; %bb.37:
	s_mov_b32 s0, 0x3fffff
	v_lshrrev_b32_e32 v6, 23, v1
	v_and_b32_e32 v7, 0x400000, v1
	v_and_or_b32 v1, v1, s0, v5
	v_cmp_ne_u32_e32 vcc, 0, v7
	v_cmp_ne_u32_e64 s[0:1], 0, v1
	s_and_b64 s[0:1], vcc, s[0:1]
	s_nop 0
	v_cndmask_b32_e64 v1, 0, 1, s[0:1]
	v_add_u32_e32 v6, v6, v1
; %bb.38:
	s_or_b64 exec, exec, s[14:15]
	s_mov_b64 s[14:15], -1
	s_mov_b64 s[0:1], 0
	global_store_byte v[2:3], v6, off
.LBB296_39:
	s_mov_b64 s[20:21], 0
.LBB296_40:
	s_and_b64 vcc, exec, s[20:21]
	s_cbranch_vccz .LBB296_43
; %bb.41:
	s_cmp_eq_u32 s27, 29
	s_mov_b64 s[0:1], -1
	s_cbranch_scc0 .LBB296_43
; %bb.42:
	v_ashrrev_i32_e32 v1, 31, v0
	global_store_dwordx2 v[2:3], v[0:1], off
	s_mov_b64 s[14:15], -1
	s_mov_b64 s[0:1], 0
.LBB296_43:
	s_mov_b64 s[20:21], 0
.LBB296_44:
	s_and_b64 vcc, exec, s[20:21]
	s_cbranch_vccz .LBB296_60
; %bb.45:
	s_cmp_lt_i32 s27, 27
	s_mov_b64 s[14:15], -1
	s_cbranch_scc1 .LBB296_51
; %bb.46:
	s_cmp_gt_i32 s27, 27
	s_cbranch_scc0 .LBB296_48
; %bb.47:
	s_mov_b64 s[14:15], 0
	global_store_dword v[2:3], v0, off
.LBB296_48:
	s_andn2_b64 vcc, exec, s[14:15]
	s_cbranch_vccnz .LBB296_50
; %bb.49:
	global_store_short v[2:3], v0, off
.LBB296_50:
	s_mov_b64 s[14:15], 0
.LBB296_51:
	s_andn2_b64 vcc, exec, s[14:15]
	s_cbranch_vccnz .LBB296_59
; %bb.52:
	v_cvt_f32_i32_e32 v1, v0
	s_mov_b32 s14, 0x43800000
	v_mov_b32_e32 v6, 0x80
	v_and_b32_e32 v5, 0x7fffffff, v1
	v_cmp_gt_u32_e32 vcc, s14, v5
	s_and_saveexec_b64 s[14:15], vcc
	s_cbranch_execz .LBB296_58
; %bb.53:
	s_mov_b32 s20, 0x3bffffff
	v_cmp_lt_u32_e32 vcc, s20, v5
	s_mov_b64 s[20:21], 0
                                        ; implicit-def: $vgpr5
	s_and_saveexec_b64 s[24:25], vcc
	s_xor_b64 s[24:25], exec, s[24:25]
	s_cbranch_execz .LBB296_275
; %bb.54:
	v_bfe_u32 v5, v1, 20, 1
	s_mov_b32 s28, 0x487ffff
	v_add3_u32 v5, v1, v5, s28
	s_mov_b64 s[20:21], exec
	v_lshrrev_b32_e32 v5, 20, v5
	s_andn2_saveexec_b64 s[24:25], s[24:25]
	s_cbranch_execnz .LBB296_276
.LBB296_55:
	s_or_b64 exec, exec, s[24:25]
	v_mov_b32_e32 v6, 0
	s_and_saveexec_b64 s[24:25], s[20:21]
.LBB296_56:
	v_lshrrev_b32_e32 v1, 24, v1
	s_movk_i32 s20, 0x80
	v_and_or_b32 v6, v1, s20, v5
.LBB296_57:
	s_or_b64 exec, exec, s[24:25]
.LBB296_58:
	s_or_b64 exec, exec, s[14:15]
	global_store_byte v[2:3], v6, off
.LBB296_59:
	s_mov_b64 s[14:15], -1
.LBB296_60:
	s_mov_b64 s[20:21], 0
.LBB296_61:
	s_and_b64 vcc, exec, s[20:21]
	s_cbranch_vccz .LBB296_102
; %bb.62:
	s_cmp_gt_i32 s27, 22
	s_mov_b64 s[20:21], -1
	s_cbranch_scc0 .LBB296_94
; %bb.63:
	s_cmp_lt_i32 s27, 24
	s_mov_b64 s[14:15], -1
	s_cbranch_scc1 .LBB296_83
; %bb.64:
	s_cmp_gt_i32 s27, 24
	s_cbranch_scc0 .LBB296_72
; %bb.65:
	v_cvt_f32_i32_e32 v1, v0
	s_mov_b32 s14, 0x47800000
	v_mov_b32_e32 v6, 0x80
	v_and_b32_e32 v5, 0x7fffffff, v1
	v_cmp_gt_u32_e32 vcc, s14, v5
	s_and_saveexec_b64 s[14:15], vcc
	s_cbranch_execz .LBB296_71
; %bb.66:
	s_mov_b32 s20, 0x37ffffff
	v_cmp_lt_u32_e32 vcc, s20, v5
	s_mov_b64 s[20:21], 0
                                        ; implicit-def: $vgpr5
	s_and_saveexec_b64 s[24:25], vcc
	s_xor_b64 s[24:25], exec, s[24:25]
	s_cbranch_execz .LBB296_279
; %bb.67:
	v_bfe_u32 v5, v1, 21, 1
	s_mov_b32 s28, 0x88fffff
	v_add3_u32 v5, v1, v5, s28
	s_mov_b64 s[20:21], exec
	v_lshrrev_b32_e32 v5, 21, v5
	s_andn2_saveexec_b64 s[24:25], s[24:25]
	s_cbranch_execnz .LBB296_280
.LBB296_68:
	s_or_b64 exec, exec, s[24:25]
	v_mov_b32_e32 v6, 0
	s_and_saveexec_b64 s[24:25], s[20:21]
.LBB296_69:
	v_lshrrev_b32_e32 v1, 24, v1
	s_movk_i32 s20, 0x80
	v_and_or_b32 v6, v1, s20, v5
.LBB296_70:
	s_or_b64 exec, exec, s[24:25]
.LBB296_71:
	s_or_b64 exec, exec, s[14:15]
	s_mov_b64 s[14:15], 0
	global_store_byte v[2:3], v6, off
.LBB296_72:
	s_and_b64 vcc, exec, s[14:15]
	s_cbranch_vccz .LBB296_82
; %bb.73:
	v_cvt_f32_i32_e32 v1, v0
	s_mov_b32 s14, 0x43f00000
                                        ; implicit-def: $vgpr5
	v_and_b32_e32 v6, 0x7fffffff, v1
	v_cmp_gt_u32_e32 vcc, s14, v6
	s_and_saveexec_b64 s[14:15], vcc
	s_xor_b64 s[14:15], exec, s[14:15]
	s_cbranch_execz .LBB296_79
; %bb.74:
	s_mov_b32 s20, 0x3c7fffff
	v_cmp_lt_u32_e32 vcc, s20, v6
                                        ; implicit-def: $vgpr5
	s_and_saveexec_b64 s[20:21], vcc
	s_xor_b64 s[20:21], exec, s[20:21]
; %bb.75:
	v_bfe_u32 v5, v1, 20, 1
	s_mov_b32 s24, 0x407ffff
	v_add3_u32 v5, v1, v5, s24
	v_lshrrev_b32_e32 v6, 20, v5
	v_and_b32_e32 v5, 0xff00000, v5
	s_mov_b32 s24, 0x7f00000
	v_mov_b32_e32 v7, 0x7e
	v_cmp_ne_u32_e32 vcc, s24, v5
	s_nop 1
	v_cndmask_b32_e32 v5, v7, v6, vcc
; %bb.76:
	s_andn2_saveexec_b64 s[20:21], s[20:21]
; %bb.77:
	s_mov_b32 s24, 0x46800000
	v_add_f32_e64 v5, |v1|, s24
; %bb.78:
	s_or_b64 exec, exec, s[20:21]
                                        ; implicit-def: $vgpr6
.LBB296_79:
	s_andn2_saveexec_b64 s[14:15], s[14:15]
; %bb.80:
	s_mov_b32 s20, 0x7f800000
	v_mov_b32_e32 v5, 0x7e
	v_mov_b32_e32 v7, 0x7f
	v_cmp_lt_u32_e32 vcc, s20, v6
	s_nop 1
	v_cndmask_b32_e32 v5, v5, v7, vcc
; %bb.81:
	s_or_b64 exec, exec, s[14:15]
	v_lshrrev_b32_e32 v1, 24, v1
	s_movk_i32 s14, 0x80
	v_and_or_b32 v1, v1, s14, v5
	global_store_byte v[2:3], v1, off
.LBB296_82:
	s_mov_b64 s[14:15], 0
.LBB296_83:
	s_andn2_b64 vcc, exec, s[14:15]
	s_cbranch_vccnz .LBB296_93
; %bb.84:
	v_cvt_f32_i32_e32 v1, v0
	s_mov_b32 s14, 0x47800000
                                        ; implicit-def: $vgpr5
	v_and_b32_e32 v6, 0x7fffffff, v1
	v_cmp_gt_u32_e32 vcc, s14, v6
	s_and_saveexec_b64 s[14:15], vcc
	s_xor_b64 s[14:15], exec, s[14:15]
	s_cbranch_execz .LBB296_90
; %bb.85:
	s_mov_b32 s20, 0x387fffff
	v_cmp_lt_u32_e32 vcc, s20, v6
                                        ; implicit-def: $vgpr5
	s_and_saveexec_b64 s[20:21], vcc
	s_xor_b64 s[20:21], exec, s[20:21]
; %bb.86:
	v_bfe_u32 v5, v1, 21, 1
	s_mov_b32 s24, 0x80fffff
	v_add3_u32 v5, v1, v5, s24
	v_lshrrev_b32_e32 v5, 21, v5
; %bb.87:
	s_andn2_saveexec_b64 s[20:21], s[20:21]
; %bb.88:
	s_mov_b32 s24, 0x43000000
	v_add_f32_e64 v5, |v1|, s24
; %bb.89:
	s_or_b64 exec, exec, s[20:21]
                                        ; implicit-def: $vgpr6
.LBB296_90:
	s_andn2_saveexec_b64 s[14:15], s[14:15]
; %bb.91:
	s_mov_b32 s20, 0x7f800000
	v_mov_b32_e32 v5, 0x7c
	v_mov_b32_e32 v7, 0x7f
	v_cmp_lt_u32_e32 vcc, s20, v6
	s_nop 1
	v_cndmask_b32_e32 v5, v5, v7, vcc
; %bb.92:
	s_or_b64 exec, exec, s[14:15]
	v_lshrrev_b32_e32 v1, 24, v1
	s_movk_i32 s14, 0x80
	v_and_or_b32 v1, v1, s14, v5
	global_store_byte v[2:3], v1, off
.LBB296_93:
	s_mov_b64 s[20:21], 0
	s_mov_b64 s[14:15], -1
.LBB296_94:
	s_andn2_b64 vcc, exec, s[20:21]
	s_cbranch_vccnz .LBB296_102
; %bb.95:
	s_cmp_gt_i32 s27, 14
	s_mov_b64 s[20:21], -1
	s_cbranch_scc0 .LBB296_99
; %bb.96:
	s_cmp_eq_u32 s27, 15
	s_mov_b64 s[0:1], -1
	s_cbranch_scc0 .LBB296_98
; %bb.97:
	v_cvt_f32_i32_e32 v1, v0
	s_movk_i32 s0, 0x7fff
	s_mov_b64 s[14:15], -1
	v_bfe_u32 v5, v1, 16, 1
	v_add3_u32 v1, v1, v5, s0
	global_store_short_d16_hi v[2:3], v1, off
	s_mov_b64 s[0:1], 0
.LBB296_98:
	s_mov_b64 s[20:21], 0
.LBB296_99:
	s_and_b64 vcc, exec, s[20:21]
	s_cbranch_vccz .LBB296_102
; %bb.100:
	s_cmp_eq_u32 s27, 11
	s_mov_b64 s[0:1], -1
	s_cbranch_scc0 .LBB296_102
; %bb.101:
	v_cmp_ne_u32_e32 vcc, 0, v0
	s_mov_b64 s[14:15], -1
	s_mov_b64 s[0:1], 0
	v_cndmask_b32_e64 v1, 0, 1, vcc
	global_store_byte v[2:3], v1, off
.LBB296_102:
	s_branch .LBB296_20
.LBB296_103:
	s_and_b32 s20, 0xffff, s26
	s_cmp_lt_i32 s20, 5
	s_mov_b64 s[14:15], -1
	s_cbranch_scc1 .LBB296_124
; %bb.104:
	s_cmp_lt_i32 s20, 8
	s_cbranch_scc1 .LBB296_114
; %bb.105:
	s_cmp_lt_i32 s20, 9
	s_cbranch_scc1 .LBB296_111
; %bb.106:
	s_cmp_gt_i32 s20, 9
	s_cbranch_scc0 .LBB296_108
; %bb.107:
	v_mov_b32_e32 v8, 0
	v_cvt_f64_i32_e32 v[6:7], v0
	v_mov_b32_e32 v9, v8
	global_store_dwordx4 v[2:3], v[6:9], off
	s_mov_b64 s[14:15], 0
.LBB296_108:
	s_andn2_b64 vcc, exec, s[14:15]
	s_cbranch_vccnz .LBB296_110
; %bb.109:
	v_cvt_f32_i32_e32 v6, v0
	v_mov_b32_e32 v7, 0
	global_store_dwordx2 v[2:3], v[6:7], off
.LBB296_110:
	s_mov_b64 s[14:15], 0
.LBB296_111:
	s_andn2_b64 vcc, exec, s[14:15]
	s_cbranch_vccnz .LBB296_113
; %bb.112:
	v_cvt_f32_i32_e32 v1, v0
	v_cvt_f16_f32_e32 v1, v1
	global_store_dword v[2:3], v1, off
.LBB296_113:
	s_mov_b64 s[14:15], 0
.LBB296_114:
	s_andn2_b64 vcc, exec, s[14:15]
	s_cbranch_vccnz .LBB296_123
; %bb.115:
	s_cmp_lt_i32 s20, 6
	s_mov_b64 s[14:15], -1
	s_cbranch_scc1 .LBB296_121
; %bb.116:
	s_cmp_gt_i32 s20, 6
	s_cbranch_scc0 .LBB296_118
; %bb.117:
	v_cvt_f64_i32_e32 v[6:7], v0
	global_store_dwordx2 v[2:3], v[6:7], off
	s_mov_b64 s[14:15], 0
.LBB296_118:
	s_andn2_b64 vcc, exec, s[14:15]
	s_cbranch_vccnz .LBB296_120
; %bb.119:
	v_cvt_f32_i32_e32 v1, v0
	global_store_dword v[2:3], v1, off
.LBB296_120:
	s_mov_b64 s[14:15], 0
.LBB296_121:
	s_andn2_b64 vcc, exec, s[14:15]
	s_cbranch_vccnz .LBB296_123
; %bb.122:
	v_cvt_f32_i32_e32 v1, v0
	v_cvt_f16_f32_e32 v1, v1
	global_store_short v[2:3], v1, off
.LBB296_123:
	s_mov_b64 s[14:15], 0
.LBB296_124:
	s_andn2_b64 vcc, exec, s[14:15]
	s_cbranch_vccnz .LBB296_140
; %bb.125:
	s_cmp_lt_i32 s20, 2
	s_mov_b64 s[14:15], -1
	s_cbranch_scc1 .LBB296_135
; %bb.126:
	s_cmp_lt_i32 s20, 3
	s_cbranch_scc1 .LBB296_132
; %bb.127:
	s_cmp_gt_i32 s20, 3
	s_cbranch_scc0 .LBB296_129
; %bb.128:
	v_ashrrev_i32_e32 v1, 31, v0
	global_store_dwordx2 v[2:3], v[0:1], off
	s_mov_b64 s[14:15], 0
.LBB296_129:
	s_andn2_b64 vcc, exec, s[14:15]
	s_cbranch_vccnz .LBB296_131
; %bb.130:
	global_store_dword v[2:3], v0, off
.LBB296_131:
	s_mov_b64 s[14:15], 0
.LBB296_132:
	s_andn2_b64 vcc, exec, s[14:15]
	s_cbranch_vccnz .LBB296_134
; %bb.133:
	global_store_short v[2:3], v0, off
.LBB296_134:
	s_mov_b64 s[14:15], 0
.LBB296_135:
	s_andn2_b64 vcc, exec, s[14:15]
	s_cbranch_vccnz .LBB296_140
; %bb.136:
	s_cmp_gt_i32 s20, 0
	s_mov_b64 s[14:15], -1
	s_cbranch_scc0 .LBB296_138
; %bb.137:
	global_store_byte v[2:3], v0, off
	s_mov_b64 s[14:15], 0
.LBB296_138:
	s_andn2_b64 vcc, exec, s[14:15]
	s_cbranch_vccnz .LBB296_140
; %bb.139:
	global_store_byte v[2:3], v0, off
.LBB296_140:
	s_branch .LBB296_21
.LBB296_141:
	s_mov_b64 s[20:21], 0
                                        ; implicit-def: $vgpr4
	s_branch .LBB296_247
.LBB296_142:
	s_mov_b64 s[16:17], -1
                                        ; implicit-def: $vgpr2
.LBB296_143:
	s_mov_b64 s[14:15], 0
.LBB296_144:
	s_and_b64 vcc, exec, s[14:15]
	s_cbranch_vccz .LBB296_148
; %bb.145:
	s_cmp_eq_u32 s20, 29
	s_cbranch_scc0 .LBB296_147
; %bb.146:
	global_load_dword v2, v[0:1], off
	s_mov_b64 s[0:1], -1
	s_mov_b64 s[16:17], 0
	s_branch .LBB296_148
.LBB296_147:
	s_mov_b64 s[16:17], -1
                                        ; implicit-def: $vgpr2
.LBB296_148:
	s_mov_b64 s[14:15], 0
.LBB296_149:
	s_and_b64 vcc, exec, s[14:15]
	s_cbranch_vccz .LBB296_165
; %bb.150:
	s_cmp_lt_i32 s20, 27
	s_cbranch_scc1 .LBB296_153
; %bb.151:
	s_cmp_gt_i32 s20, 27
	s_cbranch_scc0 .LBB296_154
; %bb.152:
	global_load_dword v2, v[0:1], off
	s_mov_b64 s[0:1], 0
	s_branch .LBB296_155
.LBB296_153:
	s_mov_b64 s[0:1], -1
                                        ; implicit-def: $vgpr2
	s_branch .LBB296_158
.LBB296_154:
	s_mov_b64 s[0:1], -1
                                        ; implicit-def: $vgpr2
.LBB296_155:
	s_andn2_b64 vcc, exec, s[0:1]
	s_cbranch_vccnz .LBB296_157
; %bb.156:
	global_load_ushort v2, v[0:1], off
.LBB296_157:
	s_mov_b64 s[0:1], 0
.LBB296_158:
	s_andn2_b64 vcc, exec, s[0:1]
	s_cbranch_vccnz .LBB296_164
; %bb.159:
	global_load_ubyte v3, v[0:1], off
	s_movk_i32 s0, 0x7f
	s_mov_b64 s[14:15], 0
	s_waitcnt vmcnt(0)
	v_cmp_lt_i16_e32 vcc, s0, v3
	s_and_saveexec_b64 s[0:1], vcc
	s_xor_b64 s[0:1], exec, s[0:1]
	s_cbranch_execz .LBB296_175
; %bb.160:
	s_movk_i32 s14, 0x80
	v_cmp_ne_u16_e32 vcc, s14, v3
	s_and_b64 s[14:15], vcc, exec
	s_andn2_saveexec_b64 s[0:1], s[0:1]
	s_cbranch_execnz .LBB296_176
.LBB296_161:
	s_or_b64 exec, exec, s[0:1]
	v_mov_b32_e32 v2, 0
	s_and_saveexec_b64 s[0:1], s[14:15]
	s_cbranch_execz .LBB296_163
.LBB296_162:
	v_lshlrev_b32_e32 v2, 24, v3
	v_and_b32_e32 v3, 0xffff, v3
	v_and_b32_e32 v5, 7, v3
	v_ffbh_u32_e32 v7, v5
	v_min_u32_e32 v7, 32, v7
	v_subrev_u32_e32 v8, 28, v7
	v_bfe_u32 v6, v3, 3, 4
	v_lshlrev_b32_e32 v3, v8, v3
	v_sub_u32_e32 v7, 29, v7
	v_and_b32_e32 v3, 7, v3
	v_cmp_eq_u32_e32 vcc, 0, v6
	v_and_b32_e32 v2, 0x80000000, v2
	s_nop 0
	v_cndmask_b32_e32 v6, v6, v7, vcc
	v_cndmask_b32_e32 v3, v5, v3, vcc
	v_mov_b32_e32 v5, 0x3b800000
	v_lshlrev_b32_e32 v3, 20, v3
	v_lshl_add_u32 v5, v6, 23, v5
	v_or3_b32 v2, v2, v5, v3
	v_cvt_i32_f32_e32 v2, v2
.LBB296_163:
	s_or_b64 exec, exec, s[0:1]
.LBB296_164:
	s_mov_b64 s[0:1], -1
.LBB296_165:
	s_branch .LBB296_198
.LBB296_166:
	s_cmp_gt_i32 s20, 22
	s_cbranch_scc0 .LBB296_174
; %bb.167:
	s_cmp_lt_i32 s20, 24
	s_cbranch_scc1 .LBB296_177
; %bb.168:
	s_cmp_gt_i32 s20, 24
	s_cbranch_scc0 .LBB296_178
; %bb.169:
	global_load_ubyte v3, v[0:1], off
	s_movk_i32 s0, 0x7f
	s_mov_b64 s[14:15], 0
	s_waitcnt vmcnt(0)
	v_cmp_lt_i16_e32 vcc, s0, v3
	s_and_saveexec_b64 s[0:1], vcc
	s_xor_b64 s[0:1], exec, s[0:1]
	s_cbranch_execz .LBB296_190
; %bb.170:
	s_movk_i32 s14, 0x80
	v_cmp_ne_u16_e32 vcc, s14, v3
	s_and_b64 s[14:15], vcc, exec
	s_andn2_saveexec_b64 s[0:1], s[0:1]
	s_cbranch_execnz .LBB296_191
.LBB296_171:
	s_or_b64 exec, exec, s[0:1]
	v_mov_b32_e32 v2, 0
	s_and_saveexec_b64 s[0:1], s[14:15]
	s_cbranch_execz .LBB296_173
.LBB296_172:
	v_lshlrev_b32_e32 v2, 24, v3
	v_and_b32_e32 v3, 0xffff, v3
	v_and_b32_e32 v5, 3, v3
	v_ffbh_u32_e32 v7, v5
	v_min_u32_e32 v7, 32, v7
	v_subrev_u32_e32 v8, 29, v7
	v_bfe_u32 v6, v3, 2, 5
	v_lshlrev_b32_e32 v3, v8, v3
	v_sub_u32_e32 v7, 30, v7
	v_and_b32_e32 v3, 3, v3
	v_cmp_eq_u32_e32 vcc, 0, v6
	v_and_b32_e32 v2, 0x80000000, v2
	s_nop 0
	v_cndmask_b32_e32 v6, v6, v7, vcc
	v_cndmask_b32_e32 v3, v5, v3, vcc
	v_mov_b32_e32 v5, 0x37800000
	v_lshlrev_b32_e32 v3, 21, v3
	v_lshl_add_u32 v5, v6, 23, v5
	v_or3_b32 v2, v2, v5, v3
	v_cvt_i32_f32_e32 v2, v2
.LBB296_173:
	s_or_b64 exec, exec, s[0:1]
	s_mov_b64 s[0:1], 0
	s_branch .LBB296_179
.LBB296_174:
	s_mov_b64 s[14:15], -1
                                        ; implicit-def: $vgpr2
	s_branch .LBB296_185
.LBB296_175:
	s_andn2_saveexec_b64 s[0:1], s[0:1]
	s_cbranch_execz .LBB296_161
.LBB296_176:
	v_cmp_ne_u16_e32 vcc, 0, v3
	s_andn2_b64 s[14:15], s[14:15], exec
	s_and_b64 s[24:25], vcc, exec
	s_or_b64 s[14:15], s[14:15], s[24:25]
	s_or_b64 exec, exec, s[0:1]
	v_mov_b32_e32 v2, 0
	s_and_saveexec_b64 s[0:1], s[14:15]
	s_cbranch_execnz .LBB296_162
	s_branch .LBB296_163
.LBB296_177:
	s_mov_b64 s[0:1], -1
                                        ; implicit-def: $vgpr2
	s_branch .LBB296_182
.LBB296_178:
	s_mov_b64 s[0:1], -1
                                        ; implicit-def: $vgpr2
.LBB296_179:
	s_and_b64 vcc, exec, s[0:1]
	s_cbranch_vccz .LBB296_181
; %bb.180:
	global_load_ubyte v2, v[0:1], off
	s_mov_b32 s0, 0x7f800000
	s_waitcnt vmcnt(0)
	v_lshlrev_b32_e32 v2, 24, v2
	v_and_b32_e32 v3, 0x7f000000, v2
	v_ffbh_u32_e32 v5, v3
	v_min_u32_e32 v5, 32, v5
	v_sub_u32_e64 v5, v5, 4 clamp
	v_lshlrev_b32_e32 v7, v5, v3
	v_lshlrev_b32_e32 v5, 23, v5
	v_lshrrev_b32_e32 v7, 4, v7
	v_add_u32_e32 v6, 0x1000000, v3
	v_sub_u32_e32 v5, v7, v5
	v_ashrrev_i32_e32 v6, 8, v6
	v_add_u32_e32 v5, 0x3c000000, v5
	v_and_or_b32 v5, v6, s0, v5
	v_cmp_ne_u32_e32 vcc, 0, v3
	s_brev_b32 s0, 1
	s_nop 0
	v_cndmask_b32_e32 v3, 0, v5, vcc
	v_and_or_b32 v2, v2, s0, v3
	v_cvt_i32_f32_e32 v2, v2
.LBB296_181:
	s_mov_b64 s[0:1], 0
.LBB296_182:
	s_andn2_b64 vcc, exec, s[0:1]
	s_cbranch_vccnz .LBB296_184
; %bb.183:
	global_load_ubyte v2, v[0:1], off
	s_movk_i32 s0, 0x7f00
	s_brev_b32 s1, 16
	s_waitcnt vmcnt(0)
	v_lshlrev_b16_e32 v3, 8, v2
	v_lshlrev_b32_e32 v2, 25, v2
	v_lshrrev_b32_e32 v5, 4, v2
	v_and_or_b32 v6, v3, s0, 0.5
	v_or_b32_e32 v5, 0x70000000, v5
	v_add_f32_e32 v6, -0.5, v6
	v_mul_f32_e32 v5, 0x7800000, v5
	v_cmp_gt_u32_e32 vcc, s1, v2
	v_bfe_i32 v3, v3, 0, 16
	s_brev_b32 s0, 1
	v_cndmask_b32_e32 v2, v5, v6, vcc
	v_and_or_b32 v2, v3, s0, v2
	v_cvt_i32_f32_e32 v2, v2
.LBB296_184:
	s_mov_b64 s[14:15], 0
	s_mov_b64 s[0:1], -1
.LBB296_185:
	s_andn2_b64 vcc, exec, s[14:15]
	s_cbranch_vccnz .LBB296_198
; %bb.186:
	s_cmp_gt_i32 s20, 14
	s_cbranch_scc0 .LBB296_189
; %bb.187:
	s_cmp_eq_u32 s20, 15
	s_cbranch_scc0 .LBB296_192
; %bb.188:
	global_load_ushort v2, v[0:1], off
	s_mov_b64 s[0:1], -1
	s_mov_b64 s[16:17], 0
	s_waitcnt vmcnt(0)
	v_lshlrev_b32_e32 v2, 16, v2
	v_cvt_i32_f32_e32 v2, v2
	s_branch .LBB296_193
.LBB296_189:
	s_mov_b64 s[14:15], -1
                                        ; implicit-def: $vgpr2
	s_branch .LBB296_194
.LBB296_190:
	s_andn2_saveexec_b64 s[0:1], s[0:1]
	s_cbranch_execz .LBB296_171
.LBB296_191:
	v_cmp_ne_u16_e32 vcc, 0, v3
	s_andn2_b64 s[14:15], s[14:15], exec
	s_and_b64 s[24:25], vcc, exec
	s_or_b64 s[14:15], s[14:15], s[24:25]
	s_or_b64 exec, exec, s[0:1]
	v_mov_b32_e32 v2, 0
	s_and_saveexec_b64 s[0:1], s[14:15]
	s_cbranch_execnz .LBB296_172
	s_branch .LBB296_173
.LBB296_192:
	s_mov_b64 s[16:17], -1
                                        ; implicit-def: $vgpr2
.LBB296_193:
	s_mov_b64 s[14:15], 0
.LBB296_194:
	s_and_b64 vcc, exec, s[14:15]
	s_cbranch_vccz .LBB296_198
; %bb.195:
	s_cmp_eq_u32 s20, 11
	s_cbranch_scc0 .LBB296_197
; %bb.196:
	global_load_ubyte v2, v[0:1], off
	s_mov_b64 s[0:1], -1
	s_mov_b64 s[16:17], 0
	s_waitcnt vmcnt(0)
	v_cmp_ne_u16_e32 vcc, 0, v2
	s_nop 1
	v_cndmask_b32_e64 v2, 0, 1, vcc
	s_branch .LBB296_198
.LBB296_197:
	s_mov_b64 s[16:17], -1
                                        ; implicit-def: $vgpr2
.LBB296_198:
	s_branch .LBB296_10
.LBB296_199:
	s_cmp_lt_i32 s20, 5
	s_cbranch_scc1 .LBB296_204
; %bb.200:
	s_cmp_lt_i32 s20, 8
	s_cbranch_scc1 .LBB296_205
; %bb.201:
	;; [unrolled: 3-line block ×3, first 2 shown]
	s_cmp_gt_i32 s20, 9
	s_cbranch_scc0 .LBB296_207
; %bb.203:
	global_load_dwordx2 v[2:3], v[0:1], off
	s_mov_b64 s[0:1], 0
	s_waitcnt vmcnt(0)
	v_cvt_i32_f64_e32 v2, v[2:3]
	s_branch .LBB296_208
.LBB296_204:
                                        ; implicit-def: $vgpr2
	s_branch .LBB296_226
.LBB296_205:
	s_mov_b64 s[0:1], -1
                                        ; implicit-def: $vgpr2
	s_branch .LBB296_214
.LBB296_206:
	s_mov_b64 s[0:1], -1
                                        ; implicit-def: $vgpr2
	s_branch .LBB296_211
.LBB296_207:
	s_mov_b64 s[0:1], -1
                                        ; implicit-def: $vgpr2
.LBB296_208:
	s_andn2_b64 vcc, exec, s[0:1]
	s_cbranch_vccnz .LBB296_210
; %bb.209:
	global_load_dword v2, v[0:1], off
	s_waitcnt vmcnt(0)
	v_cvt_i32_f32_e32 v2, v2
.LBB296_210:
	s_mov_b64 s[0:1], 0
.LBB296_211:
	s_andn2_b64 vcc, exec, s[0:1]
	s_cbranch_vccnz .LBB296_213
; %bb.212:
	global_load_dword v2, v[0:1], off
	s_waitcnt vmcnt(0)
	v_cvt_f32_f16_e32 v2, v2
	v_cvt_i32_f32_e32 v2, v2
.LBB296_213:
	s_mov_b64 s[0:1], 0
.LBB296_214:
	s_andn2_b64 vcc, exec, s[0:1]
	s_cbranch_vccnz .LBB296_225
; %bb.215:
	s_cmp_lt_i32 s20, 6
	s_cbranch_scc1 .LBB296_218
; %bb.216:
	s_cmp_gt_i32 s20, 6
	s_cbranch_scc0 .LBB296_219
; %bb.217:
	global_load_dwordx2 v[2:3], v[0:1], off
	s_mov_b64 s[0:1], 0
	s_waitcnt vmcnt(0)
	v_cvt_i32_f64_e32 v2, v[2:3]
	s_branch .LBB296_220
.LBB296_218:
	s_mov_b64 s[0:1], -1
                                        ; implicit-def: $vgpr2
	s_branch .LBB296_223
.LBB296_219:
	s_mov_b64 s[0:1], -1
                                        ; implicit-def: $vgpr2
.LBB296_220:
	s_andn2_b64 vcc, exec, s[0:1]
	s_cbranch_vccnz .LBB296_222
; %bb.221:
	global_load_dword v2, v[0:1], off
	s_waitcnt vmcnt(0)
	v_cvt_i32_f32_e32 v2, v2
.LBB296_222:
	s_mov_b64 s[0:1], 0
.LBB296_223:
	s_andn2_b64 vcc, exec, s[0:1]
	s_cbranch_vccnz .LBB296_225
; %bb.224:
	global_load_ushort v2, v[0:1], off
	s_waitcnt vmcnt(0)
	v_cvt_f32_f16_e32 v2, v2
	v_cvt_i32_f32_e32 v2, v2
.LBB296_225:
	s_cbranch_execnz .LBB296_245
.LBB296_226:
	s_cmp_lt_i32 s20, 2
	s_cbranch_scc1 .LBB296_230
; %bb.227:
	s_cmp_lt_i32 s20, 3
	s_cbranch_scc1 .LBB296_231
; %bb.228:
	s_cmp_gt_i32 s20, 3
	s_cbranch_scc0 .LBB296_232
; %bb.229:
	global_load_dword v2, v[0:1], off
	s_mov_b64 s[0:1], 0
	s_branch .LBB296_233
.LBB296_230:
	s_mov_b64 s[0:1], -1
                                        ; implicit-def: $vgpr2
	s_branch .LBB296_239
.LBB296_231:
	s_mov_b64 s[0:1], -1
                                        ; implicit-def: $vgpr2
	s_branch .LBB296_236
.LBB296_232:
	s_mov_b64 s[0:1], -1
                                        ; implicit-def: $vgpr2
.LBB296_233:
	s_andn2_b64 vcc, exec, s[0:1]
	s_cbranch_vccnz .LBB296_235
; %bb.234:
	global_load_dword v2, v[0:1], off
.LBB296_235:
	s_mov_b64 s[0:1], 0
.LBB296_236:
	s_andn2_b64 vcc, exec, s[0:1]
	s_cbranch_vccnz .LBB296_238
; %bb.237:
	global_load_sshort v2, v[0:1], off
.LBB296_238:
	s_mov_b64 s[0:1], 0
.LBB296_239:
	s_andn2_b64 vcc, exec, s[0:1]
	s_cbranch_vccnz .LBB296_245
; %bb.240:
	s_cmp_gt_i32 s20, 0
	s_cbranch_scc0 .LBB296_242
; %bb.241:
	global_load_sbyte v2, v[0:1], off
	s_mov_b64 s[0:1], 0
	s_branch .LBB296_243
.LBB296_242:
	s_mov_b64 s[0:1], -1
                                        ; implicit-def: $vgpr2
.LBB296_243:
	s_andn2_b64 vcc, exec, s[0:1]
	s_cbranch_vccnz .LBB296_245
; %bb.244:
	global_load_ubyte v2, v[0:1], off
.LBB296_245:
	s_branch .LBB296_11
.LBB296_246:
	s_mov_b64 s[0:1], 0
                                        ; implicit-def: $vgpr4
	s_mov_b64 s[20:21], 0
.LBB296_247:
	s_and_b64 s[14:15], s[0:1], exec
	s_and_b64 s[16:17], s[16:17], exec
	s_orn2_b64 s[20:21], s[20:21], exec
.LBB296_248:
	s_or_b64 exec, exec, s[18:19]
	s_mov_b64 s[24:25], 0
	s_mov_b64 s[0:1], 0
                                        ; implicit-def: $vgpr0_vgpr1
                                        ; implicit-def: $vgpr5
	s_and_saveexec_b64 s[18:19], s[20:21]
	s_cbranch_execz .LBB296_257
; %bb.249:
	v_cmp_gt_i32_e32 vcc, s40, v4
	s_mov_b64 s[0:1], -1
	s_mov_b64 s[20:21], s[16:17]
	s_mov_b64 s[22:23], s[14:15]
	s_and_saveexec_b64 s[24:25], vcc
	s_cbranch_execz .LBB296_505
; %bb.250:
	v_mul_lo_u32 v0, v4, s9
	v_ashrrev_i32_e32 v1, 31, v0
	s_and_b32 s26, 0xffff, s44
	s_cmp_lt_i32 s26, 11
	v_lshl_add_u64 v[0:1], s[6:7], 0, v[0:1]
	s_cbranch_scc1 .LBB296_260
; %bb.251:
	s_cmp_gt_i32 s26, 25
	s_cbranch_scc0 .LBB296_269
; %bb.252:
	s_cmp_gt_i32 s26, 28
	s_cbranch_scc0 .LBB296_271
	;; [unrolled: 3-line block ×4, first 2 shown]
; %bb.255:
	s_cmp_eq_u32 s26, 46
	s_mov_b64 s[22:23], 0
	s_cbranch_scc0 .LBB296_281
; %bb.256:
	global_load_dword v2, v[0:1], off
	s_mov_b64 s[20:21], 0
	s_waitcnt vmcnt(0)
	v_lshlrev_b32_e32 v2, 16, v2
	v_cvt_i32_f32_e32 v2, v2
	s_branch .LBB296_282
.LBB296_257:
	s_or_b64 exec, exec, s[18:19]
	s_mov_b64 s[18:19], 0
	s_and_saveexec_b64 s[20:21], s[16:17]
	s_cbranch_execnz .LBB296_843
.LBB296_258:
	s_or_b64 exec, exec, s[20:21]
	s_and_saveexec_b64 s[16:17], s[22:23]
	s_xor_b64 s[16:17], exec, s[16:17]
	s_cbranch_execz .LBB296_844
.LBB296_259:
	global_load_ubyte v2, v[0:1], off
	s_or_b64 s[0:1], s[0:1], exec
	s_waitcnt vmcnt(0)
	v_cmp_ne_u16_e32 vcc, 0, v2
	s_nop 1
	v_cndmask_b32_e64 v5, 0, 1, vcc
	s_or_b64 exec, exec, s[16:17]
	s_and_saveexec_b64 s[16:17], s[24:25]
	s_cbranch_execz .LBB296_890
	s_branch .LBB296_845
.LBB296_260:
	s_mov_b64 s[0:1], 0
                                        ; implicit-def: $vgpr2
	s_mov_b64 s[20:21], s[16:17]
	s_cbranch_execnz .LBB296_455
.LBB296_261:
	s_andn2_b64 vcc, exec, s[0:1]
	s_cbranch_vccnz .LBB296_503
.LBB296_262:
	s_waitcnt vmcnt(0)
	v_max_i32_e32 v0, s10, v2
	v_mul_lo_u32 v2, v4, s8
	v_ashrrev_i32_e32 v3, 31, v2
	s_and_b32 s30, s33, 0xff
	v_min_i32_e32 v0, s11, v0
	s_cmp_lt_i32 s30, 11
	v_lshl_add_u64 v[2:3], s[4:5], 0, v[2:3]
	s_cbranch_scc1 .LBB296_270
; %bb.263:
	s_and_b32 s31, 0xffff, s30
	s_cmp_gt_i32 s31, 25
	s_cbranch_scc0 .LBB296_272
; %bb.264:
	s_cmp_gt_i32 s31, 28
	s_cbranch_scc0 .LBB296_274
; %bb.265:
	s_cmp_gt_i32 s31, 43
	s_cbranch_scc0 .LBB296_278
; %bb.266:
	s_cmp_gt_i32 s31, 45
	s_cbranch_scc0 .LBB296_285
; %bb.267:
	s_mov_b64 s[26:27], 0
	s_mov_b64 s[0:1], -1
	s_cmp_eq_u32 s31, 46
	s_mov_b64 s[22:23], 0
	s_cbranch_scc0 .LBB296_286
; %bb.268:
	v_cvt_f32_i32_e32 v1, v0
	s_movk_i32 s0, 0x7fff
	s_mov_b64 s[22:23], -1
	v_bfe_u32 v5, v1, 16, 1
	v_add3_u32 v1, v1, v5, s0
	v_lshrrev_b32_e32 v1, 16, v1
	global_store_dword v[2:3], v1, off
	s_mov_b64 s[0:1], 0
	s_branch .LBB296_286
.LBB296_269:
	s_mov_b64 s[22:23], -1
	s_mov_b64 s[0:1], 0
	s_mov_b64 s[20:21], s[16:17]
                                        ; implicit-def: $vgpr2
	s_branch .LBB296_421
.LBB296_270:
	s_mov_b64 s[26:27], -1
	s_mov_b64 s[22:23], 0
	s_mov_b64 s[0:1], s[14:15]
	s_branch .LBB296_355
.LBB296_271:
	s_mov_b64 s[22:23], -1
	s_mov_b64 s[0:1], 0
	s_mov_b64 s[20:21], s[16:17]
                                        ; implicit-def: $vgpr2
	s_branch .LBB296_404
.LBB296_272:
	s_mov_b64 s[26:27], -1
	s_mov_b64 s[22:23], 0
	s_mov_b64 s[0:1], s[14:15]
	s_branch .LBB296_313
.LBB296_273:
	s_mov_b64 s[22:23], -1
	s_mov_b64 s[0:1], 0
	s_mov_b64 s[20:21], s[16:17]
                                        ; implicit-def: $vgpr2
	s_branch .LBB296_399
.LBB296_274:
	s_mov_b64 s[26:27], -1
	s_mov_b64 s[22:23], 0
	s_mov_b64 s[0:1], s[14:15]
	s_branch .LBB296_296
.LBB296_275:
	s_andn2_saveexec_b64 s[24:25], s[24:25]
	s_cbranch_execz .LBB296_55
.LBB296_276:
	s_mov_b32 s28, 0x46000000
	v_add_f32_e64 v5, |v1|, s28
	v_and_b32_e32 v5, 0xff, v5
	v_cmp_ne_u32_e32 vcc, 0, v5
	s_andn2_b64 s[20:21], s[20:21], exec
	s_and_b64 s[28:29], vcc, exec
	s_or_b64 s[20:21], s[20:21], s[28:29]
	s_or_b64 exec, exec, s[24:25]
	v_mov_b32_e32 v6, 0
	s_and_saveexec_b64 s[24:25], s[20:21]
	s_cbranch_execnz .LBB296_56
	s_branch .LBB296_57
.LBB296_277:
	s_mov_b64 s[22:23], -1
	s_mov_b64 s[0:1], 0
	s_mov_b64 s[20:21], s[16:17]
                                        ; implicit-def: $vgpr2
	s_branch .LBB296_282
.LBB296_278:
	s_mov_b64 s[26:27], -1
	s_mov_b64 s[22:23], 0
	s_mov_b64 s[0:1], s[14:15]
	s_branch .LBB296_292
.LBB296_279:
	s_andn2_saveexec_b64 s[24:25], s[24:25]
	s_cbranch_execz .LBB296_68
.LBB296_280:
	s_mov_b32 s28, 0x42800000
	v_add_f32_e64 v5, |v1|, s28
	v_and_b32_e32 v5, 0xff, v5
	v_cmp_ne_u32_e32 vcc, 0, v5
	s_andn2_b64 s[20:21], s[20:21], exec
	s_and_b64 s[28:29], vcc, exec
	s_or_b64 s[20:21], s[20:21], s[28:29]
	s_or_b64 exec, exec, s[24:25]
	v_mov_b32_e32 v6, 0
	s_and_saveexec_b64 s[24:25], s[20:21]
	s_cbranch_execnz .LBB296_69
	s_branch .LBB296_70
.LBB296_281:
	s_mov_b64 s[20:21], -1
                                        ; implicit-def: $vgpr2
	s_mov_b64 s[0:1], 0
.LBB296_282:
	s_and_b64 vcc, exec, s[22:23]
	s_cbranch_vccz .LBB296_398
; %bb.283:
	s_cmp_eq_u32 s26, 44
	s_cbranch_scc0 .LBB296_397
; %bb.284:
	global_load_ubyte v2, v[0:1], off
	s_mov_b64 s[0:1], -1
	s_mov_b64 s[20:21], 0
	s_waitcnt vmcnt(0)
	v_lshlrev_b32_e32 v3, 23, v2
	v_cvt_i32_f32_e32 v3, v3
	v_cmp_ne_u32_e32 vcc, 0, v2
	s_nop 1
	v_cndmask_b32_e32 v2, 0, v3, vcc
	s_branch .LBB296_398
.LBB296_285:
	s_mov_b64 s[26:27], -1
	s_mov_b64 s[22:23], 0
	s_mov_b64 s[0:1], s[14:15]
.LBB296_286:
	s_and_b64 vcc, exec, s[26:27]
	s_cbranch_vccz .LBB296_291
; %bb.287:
	s_cmp_eq_u32 s31, 44
	s_mov_b64 s[0:1], -1
	s_cbranch_scc0 .LBB296_291
; %bb.288:
	v_cvt_f32_i32_e32 v1, v0
	s_movk_i32 s0, 0xff
	v_mov_b32_e32 v6, 0xff
	v_bfe_u32 v5, v1, 23, 8
	v_cmp_ne_u32_e32 vcc, s0, v5
	s_and_saveexec_b64 s[22:23], vcc
; %bb.289:
	s_mov_b32 s0, 0x3fffff
	v_lshrrev_b32_e32 v6, 23, v1
	v_and_b32_e32 v7, 0x400000, v1
	v_and_or_b32 v1, v1, s0, v5
	v_cmp_ne_u32_e32 vcc, 0, v7
	v_cmp_ne_u32_e64 s[0:1], 0, v1
	s_and_b64 s[0:1], vcc, s[0:1]
	s_nop 0
	v_cndmask_b32_e64 v1, 0, 1, s[0:1]
	v_add_u32_e32 v6, v6, v1
; %bb.290:
	s_or_b64 exec, exec, s[22:23]
	s_mov_b64 s[22:23], -1
	s_mov_b64 s[0:1], 0
	global_store_byte v[2:3], v6, off
.LBB296_291:
	s_mov_b64 s[26:27], 0
.LBB296_292:
	s_and_b64 vcc, exec, s[26:27]
	s_cbranch_vccz .LBB296_295
; %bb.293:
	s_cmp_eq_u32 s31, 29
	s_mov_b64 s[0:1], -1
	s_cbranch_scc0 .LBB296_295
; %bb.294:
	v_ashrrev_i32_e32 v1, 31, v0
	global_store_dwordx2 v[2:3], v[0:1], off
	s_mov_b64 s[22:23], -1
	s_mov_b64 s[0:1], 0
.LBB296_295:
	s_mov_b64 s[26:27], 0
.LBB296_296:
	s_and_b64 vcc, exec, s[26:27]
	s_cbranch_vccz .LBB296_312
; %bb.297:
	s_cmp_lt_i32 s31, 27
	s_mov_b64 s[22:23], -1
	s_cbranch_scc1 .LBB296_303
; %bb.298:
	s_cmp_gt_i32 s31, 27
	s_cbranch_scc0 .LBB296_300
; %bb.299:
	s_mov_b64 s[22:23], 0
	global_store_dword v[2:3], v0, off
.LBB296_300:
	s_andn2_b64 vcc, exec, s[22:23]
	s_cbranch_vccnz .LBB296_302
; %bb.301:
	global_store_short v[2:3], v0, off
.LBB296_302:
	s_mov_b64 s[22:23], 0
.LBB296_303:
	s_andn2_b64 vcc, exec, s[22:23]
	s_cbranch_vccnz .LBB296_311
; %bb.304:
	v_cvt_f32_i32_e32 v1, v0
	s_mov_b32 s22, 0x43800000
	v_mov_b32_e32 v6, 0x80
	v_and_b32_e32 v5, 0x7fffffff, v1
	v_cmp_gt_u32_e32 vcc, s22, v5
	s_and_saveexec_b64 s[22:23], vcc
	s_cbranch_execz .LBB296_310
; %bb.305:
	s_mov_b32 s26, 0x3bffffff
	v_cmp_lt_u32_e32 vcc, s26, v5
	s_mov_b64 s[26:27], 0
                                        ; implicit-def: $vgpr5
	s_and_saveexec_b64 s[28:29], vcc
	s_xor_b64 s[28:29], exec, s[28:29]
	s_cbranch_execz .LBB296_518
; %bb.306:
	v_bfe_u32 v5, v1, 20, 1
	s_mov_b32 s34, 0x487ffff
	v_add3_u32 v5, v1, v5, s34
	s_mov_b64 s[26:27], exec
	v_lshrrev_b32_e32 v5, 20, v5
	s_andn2_saveexec_b64 s[28:29], s[28:29]
	s_cbranch_execnz .LBB296_519
.LBB296_307:
	s_or_b64 exec, exec, s[28:29]
	v_mov_b32_e32 v6, 0
	s_and_saveexec_b64 s[28:29], s[26:27]
.LBB296_308:
	v_lshrrev_b32_e32 v1, 24, v1
	s_movk_i32 s26, 0x80
	v_and_or_b32 v6, v1, s26, v5
.LBB296_309:
	s_or_b64 exec, exec, s[28:29]
.LBB296_310:
	s_or_b64 exec, exec, s[22:23]
	global_store_byte v[2:3], v6, off
.LBB296_311:
	s_mov_b64 s[22:23], -1
.LBB296_312:
	s_mov_b64 s[26:27], 0
.LBB296_313:
	s_and_b64 vcc, exec, s[26:27]
	s_cbranch_vccz .LBB296_354
; %bb.314:
	s_cmp_gt_i32 s31, 22
	s_mov_b64 s[26:27], -1
	s_cbranch_scc0 .LBB296_346
; %bb.315:
	s_cmp_lt_i32 s31, 24
	s_mov_b64 s[22:23], -1
	s_cbranch_scc1 .LBB296_335
; %bb.316:
	s_cmp_gt_i32 s31, 24
	s_cbranch_scc0 .LBB296_324
; %bb.317:
	v_cvt_f32_i32_e32 v1, v0
	s_mov_b32 s22, 0x47800000
	v_mov_b32_e32 v6, 0x80
	v_and_b32_e32 v5, 0x7fffffff, v1
	v_cmp_gt_u32_e32 vcc, s22, v5
	s_and_saveexec_b64 s[22:23], vcc
	s_cbranch_execz .LBB296_323
; %bb.318:
	s_mov_b32 s26, 0x37ffffff
	v_cmp_lt_u32_e32 vcc, s26, v5
	s_mov_b64 s[26:27], 0
                                        ; implicit-def: $vgpr5
	s_and_saveexec_b64 s[28:29], vcc
	s_xor_b64 s[28:29], exec, s[28:29]
	s_cbranch_execz .LBB296_521
; %bb.319:
	v_bfe_u32 v5, v1, 21, 1
	s_mov_b32 s34, 0x88fffff
	v_add3_u32 v5, v1, v5, s34
	s_mov_b64 s[26:27], exec
	v_lshrrev_b32_e32 v5, 21, v5
	s_andn2_saveexec_b64 s[28:29], s[28:29]
	s_cbranch_execnz .LBB296_522
.LBB296_320:
	s_or_b64 exec, exec, s[28:29]
	v_mov_b32_e32 v6, 0
	s_and_saveexec_b64 s[28:29], s[26:27]
.LBB296_321:
	v_lshrrev_b32_e32 v1, 24, v1
	s_movk_i32 s26, 0x80
	v_and_or_b32 v6, v1, s26, v5
.LBB296_322:
	s_or_b64 exec, exec, s[28:29]
.LBB296_323:
	s_or_b64 exec, exec, s[22:23]
	s_mov_b64 s[22:23], 0
	global_store_byte v[2:3], v6, off
.LBB296_324:
	s_and_b64 vcc, exec, s[22:23]
	s_cbranch_vccz .LBB296_334
; %bb.325:
	v_cvt_f32_i32_e32 v1, v0
	s_mov_b32 s22, 0x43f00000
                                        ; implicit-def: $vgpr5
	v_and_b32_e32 v6, 0x7fffffff, v1
	v_cmp_gt_u32_e32 vcc, s22, v6
	s_and_saveexec_b64 s[22:23], vcc
	s_xor_b64 s[22:23], exec, s[22:23]
	s_cbranch_execz .LBB296_331
; %bb.326:
	s_mov_b32 s26, 0x3c7fffff
	v_cmp_lt_u32_e32 vcc, s26, v6
                                        ; implicit-def: $vgpr5
	s_and_saveexec_b64 s[26:27], vcc
	s_xor_b64 s[26:27], exec, s[26:27]
; %bb.327:
	v_bfe_u32 v5, v1, 20, 1
	s_mov_b32 s28, 0x407ffff
	v_add3_u32 v5, v1, v5, s28
	v_lshrrev_b32_e32 v6, 20, v5
	v_and_b32_e32 v5, 0xff00000, v5
	s_mov_b32 s28, 0x7f00000
	v_mov_b32_e32 v7, 0x7e
	v_cmp_ne_u32_e32 vcc, s28, v5
	s_nop 1
	v_cndmask_b32_e32 v5, v7, v6, vcc
; %bb.328:
	s_andn2_saveexec_b64 s[26:27], s[26:27]
; %bb.329:
	s_mov_b32 s28, 0x46800000
	v_add_f32_e64 v5, |v1|, s28
; %bb.330:
	s_or_b64 exec, exec, s[26:27]
                                        ; implicit-def: $vgpr6
.LBB296_331:
	s_andn2_saveexec_b64 s[22:23], s[22:23]
; %bb.332:
	s_mov_b32 s26, 0x7f800000
	v_mov_b32_e32 v5, 0x7e
	v_mov_b32_e32 v7, 0x7f
	v_cmp_lt_u32_e32 vcc, s26, v6
	s_nop 1
	v_cndmask_b32_e32 v5, v5, v7, vcc
; %bb.333:
	s_or_b64 exec, exec, s[22:23]
	v_lshrrev_b32_e32 v1, 24, v1
	s_movk_i32 s22, 0x80
	v_and_or_b32 v1, v1, s22, v5
	global_store_byte v[2:3], v1, off
.LBB296_334:
	s_mov_b64 s[22:23], 0
.LBB296_335:
	s_andn2_b64 vcc, exec, s[22:23]
	s_cbranch_vccnz .LBB296_345
; %bb.336:
	v_cvt_f32_i32_e32 v1, v0
	s_mov_b32 s22, 0x47800000
                                        ; implicit-def: $vgpr5
	v_and_b32_e32 v6, 0x7fffffff, v1
	v_cmp_gt_u32_e32 vcc, s22, v6
	s_and_saveexec_b64 s[22:23], vcc
	s_xor_b64 s[22:23], exec, s[22:23]
	s_cbranch_execz .LBB296_342
; %bb.337:
	s_mov_b32 s26, 0x387fffff
	v_cmp_lt_u32_e32 vcc, s26, v6
                                        ; implicit-def: $vgpr5
	s_and_saveexec_b64 s[26:27], vcc
	s_xor_b64 s[26:27], exec, s[26:27]
; %bb.338:
	v_bfe_u32 v5, v1, 21, 1
	s_mov_b32 s28, 0x80fffff
	v_add3_u32 v5, v1, v5, s28
	v_lshrrev_b32_e32 v5, 21, v5
; %bb.339:
	s_andn2_saveexec_b64 s[26:27], s[26:27]
; %bb.340:
	s_mov_b32 s28, 0x43000000
	v_add_f32_e64 v5, |v1|, s28
; %bb.341:
	s_or_b64 exec, exec, s[26:27]
                                        ; implicit-def: $vgpr6
.LBB296_342:
	s_andn2_saveexec_b64 s[22:23], s[22:23]
; %bb.343:
	s_mov_b32 s26, 0x7f800000
	v_mov_b32_e32 v5, 0x7c
	v_mov_b32_e32 v7, 0x7f
	v_cmp_lt_u32_e32 vcc, s26, v6
	s_nop 1
	v_cndmask_b32_e32 v5, v5, v7, vcc
; %bb.344:
	s_or_b64 exec, exec, s[22:23]
	v_lshrrev_b32_e32 v1, 24, v1
	s_movk_i32 s22, 0x80
	v_and_or_b32 v1, v1, s22, v5
	global_store_byte v[2:3], v1, off
.LBB296_345:
	s_mov_b64 s[26:27], 0
	s_mov_b64 s[22:23], -1
.LBB296_346:
	s_andn2_b64 vcc, exec, s[26:27]
	s_cbranch_vccnz .LBB296_354
; %bb.347:
	s_cmp_gt_i32 s31, 14
	s_mov_b64 s[26:27], -1
	s_cbranch_scc0 .LBB296_351
; %bb.348:
	s_cmp_eq_u32 s31, 15
	s_mov_b64 s[0:1], -1
	s_cbranch_scc0 .LBB296_350
; %bb.349:
	v_cvt_f32_i32_e32 v1, v0
	s_movk_i32 s0, 0x7fff
	s_mov_b64 s[22:23], -1
	v_bfe_u32 v5, v1, 16, 1
	v_add3_u32 v1, v1, v5, s0
	global_store_short_d16_hi v[2:3], v1, off
	s_mov_b64 s[0:1], 0
.LBB296_350:
	s_mov_b64 s[26:27], 0
.LBB296_351:
	s_and_b64 vcc, exec, s[26:27]
	s_cbranch_vccz .LBB296_354
; %bb.352:
	s_cmp_eq_u32 s31, 11
	s_mov_b64 s[0:1], -1
	s_cbranch_scc0 .LBB296_354
; %bb.353:
	v_cmp_ne_u32_e32 vcc, 0, v0
	s_mov_b64 s[22:23], -1
	s_mov_b64 s[0:1], 0
	v_cndmask_b32_e64 v1, 0, 1, vcc
	global_store_byte v[2:3], v1, off
.LBB296_354:
	s_mov_b64 s[26:27], 0
.LBB296_355:
	s_and_b64 vcc, exec, s[26:27]
	s_cbranch_vccz .LBB296_394
; %bb.356:
	s_and_b32 s26, 0xffff, s30
	s_cmp_lt_i32 s26, 5
	s_mov_b64 s[22:23], -1
	s_cbranch_scc1 .LBB296_377
; %bb.357:
	s_cmp_lt_i32 s26, 8
	s_cbranch_scc1 .LBB296_367
; %bb.358:
	s_cmp_lt_i32 s26, 9
	s_cbranch_scc1 .LBB296_364
; %bb.359:
	s_cmp_gt_i32 s26, 9
	s_cbranch_scc0 .LBB296_361
; %bb.360:
	v_mov_b32_e32 v8, 0
	v_cvt_f64_i32_e32 v[6:7], v0
	v_mov_b32_e32 v9, v8
	s_mov_b64 s[22:23], 0
	global_store_dwordx4 v[2:3], v[6:9], off
.LBB296_361:
	s_andn2_b64 vcc, exec, s[22:23]
	s_cbranch_vccnz .LBB296_363
; %bb.362:
	v_cvt_f32_i32_e32 v6, v0
	v_mov_b32_e32 v7, 0
	global_store_dwordx2 v[2:3], v[6:7], off
.LBB296_363:
	s_mov_b64 s[22:23], 0
.LBB296_364:
	s_andn2_b64 vcc, exec, s[22:23]
	s_cbranch_vccnz .LBB296_366
; %bb.365:
	v_cvt_f32_i32_e32 v1, v0
	v_cvt_f16_f32_e32 v1, v1
	global_store_dword v[2:3], v1, off
.LBB296_366:
	s_mov_b64 s[22:23], 0
.LBB296_367:
	s_andn2_b64 vcc, exec, s[22:23]
	s_cbranch_vccnz .LBB296_376
; %bb.368:
	s_cmp_lt_i32 s26, 6
	s_mov_b64 s[22:23], -1
	s_cbranch_scc1 .LBB296_374
; %bb.369:
	s_cmp_gt_i32 s26, 6
	s_cbranch_scc0 .LBB296_371
; %bb.370:
	v_cvt_f64_i32_e32 v[6:7], v0
	s_mov_b64 s[22:23], 0
	global_store_dwordx2 v[2:3], v[6:7], off
.LBB296_371:
	s_andn2_b64 vcc, exec, s[22:23]
	s_cbranch_vccnz .LBB296_373
; %bb.372:
	v_cvt_f32_i32_e32 v1, v0
	global_store_dword v[2:3], v1, off
.LBB296_373:
	s_mov_b64 s[22:23], 0
.LBB296_374:
	s_andn2_b64 vcc, exec, s[22:23]
	s_cbranch_vccnz .LBB296_376
; %bb.375:
	v_cvt_f32_i32_e32 v1, v0
	v_cvt_f16_f32_e32 v1, v1
	global_store_short v[2:3], v1, off
.LBB296_376:
	s_mov_b64 s[22:23], 0
.LBB296_377:
	s_andn2_b64 vcc, exec, s[22:23]
	s_cbranch_vccnz .LBB296_393
; %bb.378:
	s_cmp_lt_i32 s26, 2
	s_mov_b64 s[22:23], -1
	s_cbranch_scc1 .LBB296_388
; %bb.379:
	s_cmp_lt_i32 s26, 3
	s_cbranch_scc1 .LBB296_385
; %bb.380:
	s_cmp_gt_i32 s26, 3
	s_cbranch_scc0 .LBB296_382
; %bb.381:
	v_ashrrev_i32_e32 v1, 31, v0
	s_mov_b64 s[22:23], 0
	global_store_dwordx2 v[2:3], v[0:1], off
.LBB296_382:
	s_andn2_b64 vcc, exec, s[22:23]
	s_cbranch_vccnz .LBB296_384
; %bb.383:
	global_store_dword v[2:3], v0, off
.LBB296_384:
	s_mov_b64 s[22:23], 0
.LBB296_385:
	s_andn2_b64 vcc, exec, s[22:23]
	s_cbranch_vccnz .LBB296_387
; %bb.386:
	global_store_short v[2:3], v0, off
.LBB296_387:
	s_mov_b64 s[22:23], 0
.LBB296_388:
	s_andn2_b64 vcc, exec, s[22:23]
	s_cbranch_vccnz .LBB296_393
; %bb.389:
	s_cmp_gt_i32 s26, 0
	s_mov_b64 s[22:23], -1
	s_cbranch_scc0 .LBB296_391
; %bb.390:
	s_mov_b64 s[22:23], 0
	global_store_byte v[2:3], v0, off
.LBB296_391:
	s_andn2_b64 vcc, exec, s[22:23]
	s_cbranch_vccnz .LBB296_393
; %bb.392:
	global_store_byte v[2:3], v0, off
.LBB296_393:
	s_mov_b64 s[22:23], -1
.LBB296_394:
	s_andn2_b64 vcc, exec, s[22:23]
	s_cbranch_vccnz .LBB296_396
; %bb.395:
	v_add_u32_e32 v4, 0x80, v4
	s_mov_b64 s[26:27], -1
	s_branch .LBB296_504
.LBB296_396:
	s_mov_b64 s[26:27], 0
                                        ; implicit-def: $vgpr4
	s_branch .LBB296_504
.LBB296_397:
	s_mov_b64 s[20:21], -1
                                        ; implicit-def: $vgpr2
.LBB296_398:
	s_mov_b64 s[22:23], 0
.LBB296_399:
	s_and_b64 vcc, exec, s[22:23]
	s_cbranch_vccz .LBB296_403
; %bb.400:
	s_cmp_eq_u32 s26, 29
	s_cbranch_scc0 .LBB296_402
; %bb.401:
	global_load_dword v2, v[0:1], off
	s_mov_b64 s[0:1], -1
	s_mov_b64 s[20:21], 0
	s_branch .LBB296_403
.LBB296_402:
	s_mov_b64 s[20:21], -1
                                        ; implicit-def: $vgpr2
.LBB296_403:
	s_mov_b64 s[22:23], 0
.LBB296_404:
	s_and_b64 vcc, exec, s[22:23]
	s_cbranch_vccz .LBB296_420
; %bb.405:
	s_cmp_lt_i32 s26, 27
	s_cbranch_scc1 .LBB296_408
; %bb.406:
	s_cmp_gt_i32 s26, 27
	s_cbranch_scc0 .LBB296_409
; %bb.407:
	global_load_dword v2, v[0:1], off
	s_mov_b64 s[0:1], 0
	s_branch .LBB296_410
.LBB296_408:
	s_mov_b64 s[0:1], -1
                                        ; implicit-def: $vgpr2
	s_branch .LBB296_413
.LBB296_409:
	s_mov_b64 s[0:1], -1
                                        ; implicit-def: $vgpr2
.LBB296_410:
	s_andn2_b64 vcc, exec, s[0:1]
	s_cbranch_vccnz .LBB296_412
; %bb.411:
	global_load_ushort v2, v[0:1], off
.LBB296_412:
	s_mov_b64 s[0:1], 0
.LBB296_413:
	s_andn2_b64 vcc, exec, s[0:1]
	s_cbranch_vccnz .LBB296_419
; %bb.414:
	global_load_ubyte v3, v[0:1], off
	s_movk_i32 s0, 0x7f
	s_mov_b64 s[22:23], 0
	s_waitcnt vmcnt(0)
	v_cmp_lt_i16_e32 vcc, s0, v3
	s_and_saveexec_b64 s[0:1], vcc
	s_xor_b64 s[0:1], exec, s[0:1]
	s_cbranch_execz .LBB296_431
; %bb.415:
	s_movk_i32 s22, 0x80
	v_cmp_ne_u16_e32 vcc, s22, v3
	s_and_b64 s[22:23], vcc, exec
	s_andn2_saveexec_b64 s[0:1], s[0:1]
	s_cbranch_execnz .LBB296_432
.LBB296_416:
	s_or_b64 exec, exec, s[0:1]
	v_mov_b32_e32 v2, 0
	s_and_saveexec_b64 s[0:1], s[22:23]
	s_cbranch_execz .LBB296_418
.LBB296_417:
	v_lshlrev_b32_e32 v2, 24, v3
	v_and_b32_e32 v3, 0xffff, v3
	v_and_b32_e32 v5, 7, v3
	v_ffbh_u32_e32 v7, v5
	v_min_u32_e32 v7, 32, v7
	v_subrev_u32_e32 v8, 28, v7
	v_bfe_u32 v6, v3, 3, 4
	v_lshlrev_b32_e32 v3, v8, v3
	v_sub_u32_e32 v7, 29, v7
	v_and_b32_e32 v3, 7, v3
	v_cmp_eq_u32_e32 vcc, 0, v6
	v_and_b32_e32 v2, 0x80000000, v2
	s_nop 0
	v_cndmask_b32_e32 v6, v6, v7, vcc
	v_cndmask_b32_e32 v3, v5, v3, vcc
	v_mov_b32_e32 v5, 0x3b800000
	v_lshlrev_b32_e32 v3, 20, v3
	v_lshl_add_u32 v5, v6, 23, v5
	v_or3_b32 v2, v2, v5, v3
	v_cvt_i32_f32_e32 v2, v2
.LBB296_418:
	s_or_b64 exec, exec, s[0:1]
.LBB296_419:
	s_mov_b64 s[0:1], -1
.LBB296_420:
	s_mov_b64 s[22:23], 0
.LBB296_421:
	s_and_b64 vcc, exec, s[22:23]
	s_cbranch_vccz .LBB296_454
; %bb.422:
	s_cmp_gt_i32 s26, 22
	s_cbranch_scc0 .LBB296_430
; %bb.423:
	s_cmp_lt_i32 s26, 24
	s_cbranch_scc1 .LBB296_433
; %bb.424:
	s_cmp_gt_i32 s26, 24
	s_cbranch_scc0 .LBB296_434
; %bb.425:
	global_load_ubyte v3, v[0:1], off
	s_movk_i32 s0, 0x7f
	s_mov_b64 s[22:23], 0
	s_waitcnt vmcnt(0)
	v_cmp_lt_i16_e32 vcc, s0, v3
	s_and_saveexec_b64 s[0:1], vcc
	s_xor_b64 s[0:1], exec, s[0:1]
	s_cbranch_execz .LBB296_446
; %bb.426:
	s_movk_i32 s22, 0x80
	v_cmp_ne_u16_e32 vcc, s22, v3
	s_and_b64 s[22:23], vcc, exec
	s_andn2_saveexec_b64 s[0:1], s[0:1]
	s_cbranch_execnz .LBB296_447
.LBB296_427:
	s_or_b64 exec, exec, s[0:1]
	v_mov_b32_e32 v2, 0
	s_and_saveexec_b64 s[0:1], s[22:23]
	s_cbranch_execz .LBB296_429
.LBB296_428:
	v_lshlrev_b32_e32 v2, 24, v3
	v_and_b32_e32 v3, 0xffff, v3
	v_and_b32_e32 v5, 3, v3
	v_ffbh_u32_e32 v7, v5
	v_min_u32_e32 v7, 32, v7
	v_subrev_u32_e32 v8, 29, v7
	v_bfe_u32 v6, v3, 2, 5
	v_lshlrev_b32_e32 v3, v8, v3
	v_sub_u32_e32 v7, 30, v7
	v_and_b32_e32 v3, 3, v3
	v_cmp_eq_u32_e32 vcc, 0, v6
	v_and_b32_e32 v2, 0x80000000, v2
	s_nop 0
	v_cndmask_b32_e32 v6, v6, v7, vcc
	v_cndmask_b32_e32 v3, v5, v3, vcc
	v_mov_b32_e32 v5, 0x37800000
	v_lshlrev_b32_e32 v3, 21, v3
	v_lshl_add_u32 v5, v6, 23, v5
	v_or3_b32 v2, v2, v5, v3
	v_cvt_i32_f32_e32 v2, v2
.LBB296_429:
	s_or_b64 exec, exec, s[0:1]
	s_mov_b64 s[0:1], 0
	s_branch .LBB296_435
.LBB296_430:
	s_mov_b64 s[22:23], -1
                                        ; implicit-def: $vgpr2
	s_branch .LBB296_441
.LBB296_431:
	s_andn2_saveexec_b64 s[0:1], s[0:1]
	s_cbranch_execz .LBB296_416
.LBB296_432:
	v_cmp_ne_u16_e32 vcc, 0, v3
	s_andn2_b64 s[22:23], s[22:23], exec
	s_and_b64 s[28:29], vcc, exec
	s_or_b64 s[22:23], s[22:23], s[28:29]
	s_or_b64 exec, exec, s[0:1]
	v_mov_b32_e32 v2, 0
	s_and_saveexec_b64 s[0:1], s[22:23]
	s_cbranch_execnz .LBB296_417
	s_branch .LBB296_418
.LBB296_433:
	s_mov_b64 s[0:1], -1
                                        ; implicit-def: $vgpr2
	s_branch .LBB296_438
.LBB296_434:
	s_mov_b64 s[0:1], -1
                                        ; implicit-def: $vgpr2
.LBB296_435:
	s_and_b64 vcc, exec, s[0:1]
	s_cbranch_vccz .LBB296_437
; %bb.436:
	global_load_ubyte v2, v[0:1], off
	s_mov_b32 s0, 0x7f800000
	s_waitcnt vmcnt(0)
	v_lshlrev_b32_e32 v2, 24, v2
	v_and_b32_e32 v3, 0x7f000000, v2
	v_ffbh_u32_e32 v5, v3
	v_min_u32_e32 v5, 32, v5
	v_sub_u32_e64 v5, v5, 4 clamp
	v_lshlrev_b32_e32 v7, v5, v3
	v_lshlrev_b32_e32 v5, 23, v5
	v_lshrrev_b32_e32 v7, 4, v7
	v_add_u32_e32 v6, 0x1000000, v3
	v_sub_u32_e32 v5, v7, v5
	v_ashrrev_i32_e32 v6, 8, v6
	v_add_u32_e32 v5, 0x3c000000, v5
	v_and_or_b32 v5, v6, s0, v5
	v_cmp_ne_u32_e32 vcc, 0, v3
	s_brev_b32 s0, 1
	s_nop 0
	v_cndmask_b32_e32 v3, 0, v5, vcc
	v_and_or_b32 v2, v2, s0, v3
	v_cvt_i32_f32_e32 v2, v2
.LBB296_437:
	s_mov_b64 s[0:1], 0
.LBB296_438:
	s_andn2_b64 vcc, exec, s[0:1]
	s_cbranch_vccnz .LBB296_440
; %bb.439:
	global_load_ubyte v2, v[0:1], off
	s_movk_i32 s0, 0x7f00
	s_brev_b32 s1, 16
	s_waitcnt vmcnt(0)
	v_lshlrev_b16_e32 v3, 8, v2
	v_lshlrev_b32_e32 v2, 25, v2
	v_lshrrev_b32_e32 v5, 4, v2
	v_and_or_b32 v6, v3, s0, 0.5
	v_or_b32_e32 v5, 0x70000000, v5
	v_add_f32_e32 v6, -0.5, v6
	v_mul_f32_e32 v5, 0x7800000, v5
	v_cmp_gt_u32_e32 vcc, s1, v2
	v_bfe_i32 v3, v3, 0, 16
	s_brev_b32 s0, 1
	v_cndmask_b32_e32 v2, v5, v6, vcc
	v_and_or_b32 v2, v3, s0, v2
	v_cvt_i32_f32_e32 v2, v2
.LBB296_440:
	s_mov_b64 s[22:23], 0
	s_mov_b64 s[0:1], -1
.LBB296_441:
	s_andn2_b64 vcc, exec, s[22:23]
	s_cbranch_vccnz .LBB296_454
; %bb.442:
	s_cmp_gt_i32 s26, 14
	s_cbranch_scc0 .LBB296_445
; %bb.443:
	s_cmp_eq_u32 s26, 15
	s_cbranch_scc0 .LBB296_448
; %bb.444:
	global_load_ushort v2, v[0:1], off
	s_mov_b64 s[0:1], -1
	s_mov_b64 s[20:21], 0
	s_waitcnt vmcnt(0)
	v_lshlrev_b32_e32 v2, 16, v2
	v_cvt_i32_f32_e32 v2, v2
	s_branch .LBB296_449
.LBB296_445:
	s_mov_b64 s[22:23], -1
                                        ; implicit-def: $vgpr2
	s_branch .LBB296_450
.LBB296_446:
	s_andn2_saveexec_b64 s[0:1], s[0:1]
	s_cbranch_execz .LBB296_427
.LBB296_447:
	v_cmp_ne_u16_e32 vcc, 0, v3
	s_andn2_b64 s[22:23], s[22:23], exec
	s_and_b64 s[28:29], vcc, exec
	s_or_b64 s[22:23], s[22:23], s[28:29]
	s_or_b64 exec, exec, s[0:1]
	v_mov_b32_e32 v2, 0
	s_and_saveexec_b64 s[0:1], s[22:23]
	s_cbranch_execnz .LBB296_428
	s_branch .LBB296_429
.LBB296_448:
	s_mov_b64 s[20:21], -1
                                        ; implicit-def: $vgpr2
.LBB296_449:
	s_mov_b64 s[22:23], 0
.LBB296_450:
	s_and_b64 vcc, exec, s[22:23]
	s_cbranch_vccz .LBB296_454
; %bb.451:
	s_cmp_eq_u32 s26, 11
	s_cbranch_scc0 .LBB296_453
; %bb.452:
	global_load_ubyte v2, v[0:1], off
	s_mov_b64 s[0:1], -1
	s_mov_b64 s[20:21], 0
	s_waitcnt vmcnt(0)
	v_cmp_ne_u16_e32 vcc, 0, v2
	s_nop 1
	v_cndmask_b32_e64 v2, 0, 1, vcc
	s_branch .LBB296_454
.LBB296_453:
	s_mov_b64 s[20:21], -1
                                        ; implicit-def: $vgpr2
.LBB296_454:
	s_branch .LBB296_261
.LBB296_455:
	s_cmp_lt_i32 s26, 5
	s_cbranch_scc1 .LBB296_460
; %bb.456:
	s_cmp_lt_i32 s26, 8
	s_cbranch_scc1 .LBB296_461
; %bb.457:
	;; [unrolled: 3-line block ×3, first 2 shown]
	s_cmp_gt_i32 s26, 9
	s_cbranch_scc0 .LBB296_463
; %bb.459:
	global_load_dwordx2 v[2:3], v[0:1], off
	s_mov_b64 s[0:1], 0
	s_waitcnt vmcnt(0)
	v_cvt_i32_f64_e32 v2, v[2:3]
	s_branch .LBB296_464
.LBB296_460:
	s_mov_b64 s[0:1], -1
                                        ; implicit-def: $vgpr2
	s_branch .LBB296_482
.LBB296_461:
	s_mov_b64 s[0:1], -1
                                        ; implicit-def: $vgpr2
	s_branch .LBB296_470
.LBB296_462:
	s_mov_b64 s[0:1], -1
                                        ; implicit-def: $vgpr2
	s_branch .LBB296_467
.LBB296_463:
	s_mov_b64 s[0:1], -1
                                        ; implicit-def: $vgpr2
.LBB296_464:
	s_andn2_b64 vcc, exec, s[0:1]
	s_cbranch_vccnz .LBB296_466
; %bb.465:
	global_load_dword v2, v[0:1], off
	s_waitcnt vmcnt(0)
	v_cvt_i32_f32_e32 v2, v2
.LBB296_466:
	s_mov_b64 s[0:1], 0
.LBB296_467:
	s_andn2_b64 vcc, exec, s[0:1]
	s_cbranch_vccnz .LBB296_469
; %bb.468:
	global_load_dword v2, v[0:1], off
	s_waitcnt vmcnt(0)
	v_cvt_f32_f16_e32 v2, v2
	v_cvt_i32_f32_e32 v2, v2
.LBB296_469:
	s_mov_b64 s[0:1], 0
.LBB296_470:
	s_andn2_b64 vcc, exec, s[0:1]
	s_cbranch_vccnz .LBB296_481
; %bb.471:
	s_cmp_lt_i32 s26, 6
	s_cbranch_scc1 .LBB296_474
; %bb.472:
	s_cmp_gt_i32 s26, 6
	s_cbranch_scc0 .LBB296_475
; %bb.473:
	global_load_dwordx2 v[2:3], v[0:1], off
	s_mov_b64 s[0:1], 0
	s_waitcnt vmcnt(0)
	v_cvt_i32_f64_e32 v2, v[2:3]
	s_branch .LBB296_476
.LBB296_474:
	s_mov_b64 s[0:1], -1
                                        ; implicit-def: $vgpr2
	s_branch .LBB296_479
.LBB296_475:
	s_mov_b64 s[0:1], -1
                                        ; implicit-def: $vgpr2
.LBB296_476:
	s_andn2_b64 vcc, exec, s[0:1]
	s_cbranch_vccnz .LBB296_478
; %bb.477:
	global_load_dword v2, v[0:1], off
	s_waitcnt vmcnt(0)
	v_cvt_i32_f32_e32 v2, v2
.LBB296_478:
	s_mov_b64 s[0:1], 0
.LBB296_479:
	s_andn2_b64 vcc, exec, s[0:1]
	s_cbranch_vccnz .LBB296_481
; %bb.480:
	global_load_ushort v2, v[0:1], off
	s_waitcnt vmcnt(0)
	v_cvt_f32_f16_e32 v2, v2
	v_cvt_i32_f32_e32 v2, v2
.LBB296_481:
	s_mov_b64 s[0:1], 0
.LBB296_482:
	s_andn2_b64 vcc, exec, s[0:1]
	s_cbranch_vccnz .LBB296_502
; %bb.483:
	s_cmp_lt_i32 s26, 2
	s_cbranch_scc1 .LBB296_487
; %bb.484:
	s_cmp_lt_i32 s26, 3
	s_cbranch_scc1 .LBB296_488
; %bb.485:
	s_cmp_gt_i32 s26, 3
	s_cbranch_scc0 .LBB296_489
; %bb.486:
	global_load_dword v2, v[0:1], off
	s_mov_b64 s[0:1], 0
	s_branch .LBB296_490
.LBB296_487:
	s_mov_b64 s[0:1], -1
                                        ; implicit-def: $vgpr2
	s_branch .LBB296_496
.LBB296_488:
	s_mov_b64 s[0:1], -1
                                        ; implicit-def: $vgpr2
	s_branch .LBB296_493
.LBB296_489:
	s_mov_b64 s[0:1], -1
                                        ; implicit-def: $vgpr2
.LBB296_490:
	s_andn2_b64 vcc, exec, s[0:1]
	s_cbranch_vccnz .LBB296_492
; %bb.491:
	global_load_dword v2, v[0:1], off
.LBB296_492:
	s_mov_b64 s[0:1], 0
.LBB296_493:
	s_andn2_b64 vcc, exec, s[0:1]
	s_cbranch_vccnz .LBB296_495
; %bb.494:
	global_load_sshort v2, v[0:1], off
.LBB296_495:
	s_mov_b64 s[0:1], 0
.LBB296_496:
	s_andn2_b64 vcc, exec, s[0:1]
	s_cbranch_vccnz .LBB296_502
; %bb.497:
	s_cmp_gt_i32 s26, 0
	s_cbranch_scc0 .LBB296_499
; %bb.498:
	global_load_sbyte v2, v[0:1], off
	s_mov_b64 s[0:1], 0
	s_branch .LBB296_500
.LBB296_499:
	s_mov_b64 s[0:1], -1
                                        ; implicit-def: $vgpr2
.LBB296_500:
	s_andn2_b64 vcc, exec, s[0:1]
	s_cbranch_vccnz .LBB296_502
; %bb.501:
	global_load_ubyte v2, v[0:1], off
.LBB296_502:
	s_branch .LBB296_262
.LBB296_503:
	s_mov_b64 s[26:27], 0
                                        ; implicit-def: $vgpr4
	s_mov_b64 s[0:1], s[14:15]
.LBB296_504:
	s_andn2_b64 s[22:23], s[14:15], exec
	s_and_b64 s[0:1], s[0:1], exec
	s_or_b64 s[22:23], s[22:23], s[0:1]
	s_andn2_b64 s[0:1], s[16:17], exec
	s_and_b64 s[20:21], s[20:21], exec
	s_or_b64 s[20:21], s[0:1], s[20:21]
	s_orn2_b64 s[0:1], s[26:27], exec
.LBB296_505:
	s_or_b64 exec, exec, s[24:25]
	s_mov_b64 s[26:27], 0
	s_mov_b64 s[28:29], 0
	;; [unrolled: 1-line block ×3, first 2 shown]
                                        ; implicit-def: $vgpr0_vgpr1
                                        ; implicit-def: $vgpr5
	s_and_saveexec_b64 s[24:25], s[0:1]
	s_cbranch_execz .LBB296_842
; %bb.506:
	v_cmp_gt_i32_e32 vcc, s40, v4
	s_mov_b64 s[36:37], -1
	s_mov_b64 s[0:1], s[20:21]
	s_mov_b64 s[30:31], s[22:23]
	s_and_saveexec_b64 s[26:27], vcc
	s_cbranch_execz .LBB296_760
; %bb.507:
	v_mul_lo_u32 v0, v4, s9
	v_ashrrev_i32_e32 v1, 31, v0
	s_and_b32 s34, 0xffff, s44
	s_cmp_lt_i32 s34, 11
	v_lshl_add_u64 v[0:1], s[6:7], 0, v[0:1]
	s_cbranch_scc1 .LBB296_514
; %bb.508:
	s_cmp_gt_i32 s34, 25
	s_cbranch_scc0 .LBB296_515
; %bb.509:
	s_cmp_gt_i32 s34, 28
	s_cbranch_scc0 .LBB296_516
	;; [unrolled: 3-line block ×4, first 2 shown]
; %bb.512:
	s_cmp_eq_u32 s34, 46
	s_mov_b64 s[30:31], 0
	s_cbranch_scc0 .LBB296_523
; %bb.513:
	global_load_dword v2, v[0:1], off
	s_mov_b64 s[0:1], -1
	s_waitcnt vmcnt(0)
	v_lshlrev_b32_e32 v2, 16, v2
	v_cvt_i32_f32_e32 v2, v2
	s_branch .LBB296_524
.LBB296_514:
	s_mov_b64 s[30:31], -1
	s_mov_b64 s[0:1], 0
                                        ; implicit-def: $vgpr2
	s_mov_b64 s[28:29], s[20:21]
	s_branch .LBB296_585
.LBB296_515:
	s_mov_b64 s[30:31], -1
	s_mov_b64 s[0:1], 0
	s_mov_b64 s[28:29], s[20:21]
                                        ; implicit-def: $vgpr2
	s_branch .LBB296_551
.LBB296_516:
	s_mov_b64 s[30:31], -1
	s_mov_b64 s[0:1], 0
	s_mov_b64 s[28:29], s[20:21]
                                        ; implicit-def: $vgpr2
	s_branch .LBB296_534
.LBB296_517:
	s_mov_b64 s[30:31], -1
	s_mov_b64 s[0:1], 0
	s_mov_b64 s[28:29], s[20:21]
                                        ; implicit-def: $vgpr2
	s_branch .LBB296_529
.LBB296_518:
	s_andn2_saveexec_b64 s[28:29], s[28:29]
	s_cbranch_execz .LBB296_307
.LBB296_519:
	s_mov_b32 s34, 0x46000000
	v_add_f32_e64 v5, |v1|, s34
	v_and_b32_e32 v5, 0xff, v5
	v_cmp_ne_u32_e32 vcc, 0, v5
	s_andn2_b64 s[26:27], s[26:27], exec
	s_and_b64 s[34:35], vcc, exec
	s_or_b64 s[26:27], s[26:27], s[34:35]
	s_or_b64 exec, exec, s[28:29]
	v_mov_b32_e32 v6, 0
	s_and_saveexec_b64 s[28:29], s[26:27]
	s_cbranch_execnz .LBB296_308
	s_branch .LBB296_309
.LBB296_520:
	s_mov_b64 s[30:31], -1
	s_mov_b64 s[0:1], 0
	s_mov_b64 s[28:29], s[20:21]
                                        ; implicit-def: $vgpr2
	s_branch .LBB296_524
.LBB296_521:
	s_andn2_saveexec_b64 s[28:29], s[28:29]
	s_cbranch_execz .LBB296_320
.LBB296_522:
	s_mov_b32 s34, 0x42800000
	v_add_f32_e64 v5, |v1|, s34
	v_and_b32_e32 v5, 0xff, v5
	v_cmp_ne_u32_e32 vcc, 0, v5
	s_andn2_b64 s[26:27], s[26:27], exec
	s_and_b64 s[34:35], vcc, exec
	s_or_b64 s[26:27], s[26:27], s[34:35]
	s_or_b64 exec, exec, s[28:29]
	v_mov_b32_e32 v6, 0
	s_and_saveexec_b64 s[28:29], s[26:27]
	s_cbranch_execnz .LBB296_321
	s_branch .LBB296_322
.LBB296_523:
	s_mov_b64 s[28:29], -1
                                        ; implicit-def: $vgpr2
	s_mov_b64 s[0:1], 0
.LBB296_524:
	s_and_b64 vcc, exec, s[30:31]
	s_cbranch_vccz .LBB296_528
; %bb.525:
	s_cmp_eq_u32 s34, 44
	s_cbranch_scc0 .LBB296_527
; %bb.526:
	global_load_ubyte v2, v[0:1], off
	s_mov_b64 s[0:1], -1
	s_mov_b64 s[28:29], 0
	s_waitcnt vmcnt(0)
	v_lshlrev_b32_e32 v3, 23, v2
	v_cvt_i32_f32_e32 v3, v3
	v_cmp_ne_u32_e32 vcc, 0, v2
	s_nop 1
	v_cndmask_b32_e32 v2, 0, v3, vcc
	s_branch .LBB296_528
.LBB296_527:
	s_mov_b64 s[28:29], -1
                                        ; implicit-def: $vgpr2
.LBB296_528:
	s_mov_b64 s[30:31], 0
.LBB296_529:
	s_and_b64 vcc, exec, s[30:31]
	s_cbranch_vccz .LBB296_533
; %bb.530:
	s_cmp_eq_u32 s34, 29
	s_cbranch_scc0 .LBB296_532
; %bb.531:
	global_load_dword v2, v[0:1], off
	s_mov_b64 s[0:1], -1
	s_mov_b64 s[28:29], 0
	s_branch .LBB296_533
.LBB296_532:
	s_mov_b64 s[28:29], -1
                                        ; implicit-def: $vgpr2
.LBB296_533:
	s_mov_b64 s[30:31], 0
.LBB296_534:
	s_and_b64 vcc, exec, s[30:31]
	s_cbranch_vccz .LBB296_550
; %bb.535:
	s_cmp_lt_i32 s34, 27
	s_cbranch_scc1 .LBB296_538
; %bb.536:
	s_cmp_gt_i32 s34, 27
	s_cbranch_scc0 .LBB296_539
; %bb.537:
	global_load_dword v2, v[0:1], off
	s_mov_b64 s[0:1], 0
	s_branch .LBB296_540
.LBB296_538:
	s_mov_b64 s[0:1], -1
                                        ; implicit-def: $vgpr2
	s_branch .LBB296_543
.LBB296_539:
	s_mov_b64 s[0:1], -1
                                        ; implicit-def: $vgpr2
.LBB296_540:
	s_andn2_b64 vcc, exec, s[0:1]
	s_cbranch_vccnz .LBB296_542
; %bb.541:
	global_load_ushort v2, v[0:1], off
.LBB296_542:
	s_mov_b64 s[0:1], 0
.LBB296_543:
	s_andn2_b64 vcc, exec, s[0:1]
	s_cbranch_vccnz .LBB296_549
; %bb.544:
	global_load_ubyte v3, v[0:1], off
	s_movk_i32 s0, 0x7f
	s_mov_b64 s[30:31], 0
	s_waitcnt vmcnt(0)
	v_cmp_lt_i16_e32 vcc, s0, v3
	s_and_saveexec_b64 s[0:1], vcc
	s_xor_b64 s[0:1], exec, s[0:1]
	s_cbranch_execz .LBB296_561
; %bb.545:
	s_movk_i32 s30, 0x80
	v_cmp_ne_u16_e32 vcc, s30, v3
	s_and_b64 s[30:31], vcc, exec
	s_andn2_saveexec_b64 s[0:1], s[0:1]
	s_cbranch_execnz .LBB296_562
.LBB296_546:
	s_or_b64 exec, exec, s[0:1]
	v_mov_b32_e32 v2, 0
	s_and_saveexec_b64 s[0:1], s[30:31]
	s_cbranch_execz .LBB296_548
.LBB296_547:
	v_lshlrev_b32_e32 v2, 24, v3
	v_and_b32_e32 v3, 0xffff, v3
	v_and_b32_e32 v5, 7, v3
	v_ffbh_u32_e32 v7, v5
	v_min_u32_e32 v7, 32, v7
	v_subrev_u32_e32 v8, 28, v7
	v_bfe_u32 v6, v3, 3, 4
	v_lshlrev_b32_e32 v3, v8, v3
	v_sub_u32_e32 v7, 29, v7
	v_and_b32_e32 v3, 7, v3
	v_cmp_eq_u32_e32 vcc, 0, v6
	v_and_b32_e32 v2, 0x80000000, v2
	s_nop 0
	v_cndmask_b32_e32 v6, v6, v7, vcc
	v_cndmask_b32_e32 v3, v5, v3, vcc
	v_mov_b32_e32 v5, 0x3b800000
	v_lshlrev_b32_e32 v3, 20, v3
	v_lshl_add_u32 v5, v6, 23, v5
	v_or3_b32 v2, v2, v5, v3
	v_cvt_i32_f32_e32 v2, v2
.LBB296_548:
	s_or_b64 exec, exec, s[0:1]
.LBB296_549:
	s_mov_b64 s[0:1], -1
.LBB296_550:
	s_mov_b64 s[30:31], 0
.LBB296_551:
	s_and_b64 vcc, exec, s[30:31]
	s_cbranch_vccz .LBB296_584
; %bb.552:
	s_cmp_gt_i32 s34, 22
	s_cbranch_scc0 .LBB296_560
; %bb.553:
	s_cmp_lt_i32 s34, 24
	s_cbranch_scc1 .LBB296_563
; %bb.554:
	s_cmp_gt_i32 s34, 24
	s_cbranch_scc0 .LBB296_564
; %bb.555:
	global_load_ubyte v3, v[0:1], off
	s_movk_i32 s0, 0x7f
	s_mov_b64 s[30:31], 0
	s_waitcnt vmcnt(0)
	v_cmp_lt_i16_e32 vcc, s0, v3
	s_and_saveexec_b64 s[0:1], vcc
	s_xor_b64 s[0:1], exec, s[0:1]
	s_cbranch_execz .LBB296_576
; %bb.556:
	s_movk_i32 s30, 0x80
	v_cmp_ne_u16_e32 vcc, s30, v3
	s_and_b64 s[30:31], vcc, exec
	s_andn2_saveexec_b64 s[0:1], s[0:1]
	s_cbranch_execnz .LBB296_577
.LBB296_557:
	s_or_b64 exec, exec, s[0:1]
	v_mov_b32_e32 v2, 0
	s_and_saveexec_b64 s[0:1], s[30:31]
	s_cbranch_execz .LBB296_559
.LBB296_558:
	v_lshlrev_b32_e32 v2, 24, v3
	v_and_b32_e32 v3, 0xffff, v3
	v_and_b32_e32 v5, 3, v3
	v_ffbh_u32_e32 v7, v5
	v_min_u32_e32 v7, 32, v7
	v_subrev_u32_e32 v8, 29, v7
	v_bfe_u32 v6, v3, 2, 5
	v_lshlrev_b32_e32 v3, v8, v3
	v_sub_u32_e32 v7, 30, v7
	v_and_b32_e32 v3, 3, v3
	v_cmp_eq_u32_e32 vcc, 0, v6
	v_and_b32_e32 v2, 0x80000000, v2
	s_nop 0
	v_cndmask_b32_e32 v6, v6, v7, vcc
	v_cndmask_b32_e32 v3, v5, v3, vcc
	v_mov_b32_e32 v5, 0x37800000
	v_lshlrev_b32_e32 v3, 21, v3
	v_lshl_add_u32 v5, v6, 23, v5
	v_or3_b32 v2, v2, v5, v3
	v_cvt_i32_f32_e32 v2, v2
.LBB296_559:
	s_or_b64 exec, exec, s[0:1]
	s_mov_b64 s[0:1], 0
	s_branch .LBB296_565
.LBB296_560:
	s_mov_b64 s[30:31], -1
                                        ; implicit-def: $vgpr2
	s_branch .LBB296_571
.LBB296_561:
	s_andn2_saveexec_b64 s[0:1], s[0:1]
	s_cbranch_execz .LBB296_546
.LBB296_562:
	v_cmp_ne_u16_e32 vcc, 0, v3
	s_andn2_b64 s[30:31], s[30:31], exec
	s_and_b64 s[36:37], vcc, exec
	s_or_b64 s[30:31], s[30:31], s[36:37]
	s_or_b64 exec, exec, s[0:1]
	v_mov_b32_e32 v2, 0
	s_and_saveexec_b64 s[0:1], s[30:31]
	s_cbranch_execnz .LBB296_547
	s_branch .LBB296_548
.LBB296_563:
	s_mov_b64 s[0:1], -1
                                        ; implicit-def: $vgpr2
	s_branch .LBB296_568
.LBB296_564:
	s_mov_b64 s[0:1], -1
                                        ; implicit-def: $vgpr2
.LBB296_565:
	s_and_b64 vcc, exec, s[0:1]
	s_cbranch_vccz .LBB296_567
; %bb.566:
	global_load_ubyte v2, v[0:1], off
	s_mov_b32 s0, 0x7f800000
	s_waitcnt vmcnt(0)
	v_lshlrev_b32_e32 v2, 24, v2
	v_and_b32_e32 v3, 0x7f000000, v2
	v_ffbh_u32_e32 v5, v3
	v_min_u32_e32 v5, 32, v5
	v_sub_u32_e64 v5, v5, 4 clamp
	v_lshlrev_b32_e32 v7, v5, v3
	v_lshlrev_b32_e32 v5, 23, v5
	v_lshrrev_b32_e32 v7, 4, v7
	v_add_u32_e32 v6, 0x1000000, v3
	v_sub_u32_e32 v5, v7, v5
	v_ashrrev_i32_e32 v6, 8, v6
	v_add_u32_e32 v5, 0x3c000000, v5
	v_and_or_b32 v5, v6, s0, v5
	v_cmp_ne_u32_e32 vcc, 0, v3
	s_brev_b32 s0, 1
	s_nop 0
	v_cndmask_b32_e32 v3, 0, v5, vcc
	v_and_or_b32 v2, v2, s0, v3
	v_cvt_i32_f32_e32 v2, v2
.LBB296_567:
	s_mov_b64 s[0:1], 0
.LBB296_568:
	s_andn2_b64 vcc, exec, s[0:1]
	s_cbranch_vccnz .LBB296_570
; %bb.569:
	global_load_ubyte v2, v[0:1], off
	s_movk_i32 s0, 0x7f00
	s_brev_b32 s1, 16
	s_waitcnt vmcnt(0)
	v_lshlrev_b16_e32 v3, 8, v2
	v_lshlrev_b32_e32 v2, 25, v2
	v_lshrrev_b32_e32 v5, 4, v2
	v_and_or_b32 v6, v3, s0, 0.5
	v_or_b32_e32 v5, 0x70000000, v5
	v_add_f32_e32 v6, -0.5, v6
	v_mul_f32_e32 v5, 0x7800000, v5
	v_cmp_gt_u32_e32 vcc, s1, v2
	v_bfe_i32 v3, v3, 0, 16
	s_brev_b32 s0, 1
	v_cndmask_b32_e32 v2, v5, v6, vcc
	v_and_or_b32 v2, v3, s0, v2
	v_cvt_i32_f32_e32 v2, v2
.LBB296_570:
	s_mov_b64 s[30:31], 0
	s_mov_b64 s[0:1], -1
.LBB296_571:
	s_andn2_b64 vcc, exec, s[30:31]
	s_cbranch_vccnz .LBB296_584
; %bb.572:
	s_cmp_gt_i32 s34, 14
	s_cbranch_scc0 .LBB296_575
; %bb.573:
	s_cmp_eq_u32 s34, 15
	s_cbranch_scc0 .LBB296_578
; %bb.574:
	global_load_ushort v2, v[0:1], off
	s_mov_b64 s[0:1], -1
	s_mov_b64 s[28:29], 0
	s_waitcnt vmcnt(0)
	v_lshlrev_b32_e32 v2, 16, v2
	v_cvt_i32_f32_e32 v2, v2
	s_branch .LBB296_579
.LBB296_575:
	s_mov_b64 s[30:31], -1
                                        ; implicit-def: $vgpr2
	s_branch .LBB296_580
.LBB296_576:
	s_andn2_saveexec_b64 s[0:1], s[0:1]
	s_cbranch_execz .LBB296_557
.LBB296_577:
	v_cmp_ne_u16_e32 vcc, 0, v3
	s_andn2_b64 s[30:31], s[30:31], exec
	s_and_b64 s[36:37], vcc, exec
	s_or_b64 s[30:31], s[30:31], s[36:37]
	s_or_b64 exec, exec, s[0:1]
	v_mov_b32_e32 v2, 0
	s_and_saveexec_b64 s[0:1], s[30:31]
	s_cbranch_execnz .LBB296_558
	s_branch .LBB296_559
.LBB296_578:
	s_mov_b64 s[28:29], -1
                                        ; implicit-def: $vgpr2
.LBB296_579:
	s_mov_b64 s[30:31], 0
.LBB296_580:
	s_and_b64 vcc, exec, s[30:31]
	s_cbranch_vccz .LBB296_584
; %bb.581:
	s_cmp_eq_u32 s34, 11
	s_cbranch_scc0 .LBB296_583
; %bb.582:
	global_load_ubyte v2, v[0:1], off
	s_mov_b64 s[0:1], -1
	s_mov_b64 s[28:29], 0
	s_waitcnt vmcnt(0)
	v_cmp_ne_u16_e32 vcc, 0, v2
	s_nop 1
	v_cndmask_b32_e64 v2, 0, 1, vcc
	s_branch .LBB296_584
.LBB296_583:
	s_mov_b64 s[28:29], -1
                                        ; implicit-def: $vgpr2
.LBB296_584:
	s_mov_b64 s[30:31], 0
.LBB296_585:
	s_and_b64 vcc, exec, s[30:31]
	s_cbranch_vccz .LBB296_634
; %bb.586:
	s_cmp_lt_i32 s34, 5
	s_cbranch_scc1 .LBB296_591
; %bb.587:
	s_cmp_lt_i32 s34, 8
	s_cbranch_scc1 .LBB296_592
	;; [unrolled: 3-line block ×3, first 2 shown]
; %bb.589:
	s_cmp_gt_i32 s34, 9
	s_cbranch_scc0 .LBB296_594
; %bb.590:
	global_load_dwordx2 v[2:3], v[0:1], off
	s_mov_b64 s[0:1], 0
	s_waitcnt vmcnt(0)
	v_cvt_i32_f64_e32 v2, v[2:3]
	s_branch .LBB296_595
.LBB296_591:
	s_mov_b64 s[0:1], -1
                                        ; implicit-def: $vgpr2
	s_branch .LBB296_613
.LBB296_592:
	s_mov_b64 s[0:1], -1
                                        ; implicit-def: $vgpr2
	s_branch .LBB296_601
.LBB296_593:
	s_mov_b64 s[0:1], -1
                                        ; implicit-def: $vgpr2
	s_branch .LBB296_598
.LBB296_594:
	s_mov_b64 s[0:1], -1
                                        ; implicit-def: $vgpr2
.LBB296_595:
	s_andn2_b64 vcc, exec, s[0:1]
	s_cbranch_vccnz .LBB296_597
; %bb.596:
	global_load_dword v2, v[0:1], off
	s_waitcnt vmcnt(0)
	v_cvt_i32_f32_e32 v2, v2
.LBB296_597:
	s_mov_b64 s[0:1], 0
.LBB296_598:
	s_andn2_b64 vcc, exec, s[0:1]
	s_cbranch_vccnz .LBB296_600
; %bb.599:
	global_load_dword v2, v[0:1], off
	s_waitcnt vmcnt(0)
	v_cvt_f32_f16_e32 v2, v2
	v_cvt_i32_f32_e32 v2, v2
.LBB296_600:
	s_mov_b64 s[0:1], 0
.LBB296_601:
	s_andn2_b64 vcc, exec, s[0:1]
	s_cbranch_vccnz .LBB296_612
; %bb.602:
	s_cmp_lt_i32 s34, 6
	s_cbranch_scc1 .LBB296_605
; %bb.603:
	s_cmp_gt_i32 s34, 6
	s_cbranch_scc0 .LBB296_606
; %bb.604:
	global_load_dwordx2 v[2:3], v[0:1], off
	s_mov_b64 s[0:1], 0
	s_waitcnt vmcnt(0)
	v_cvt_i32_f64_e32 v2, v[2:3]
	s_branch .LBB296_607
.LBB296_605:
	s_mov_b64 s[0:1], -1
                                        ; implicit-def: $vgpr2
	s_branch .LBB296_610
.LBB296_606:
	s_mov_b64 s[0:1], -1
                                        ; implicit-def: $vgpr2
.LBB296_607:
	s_andn2_b64 vcc, exec, s[0:1]
	s_cbranch_vccnz .LBB296_609
; %bb.608:
	global_load_dword v2, v[0:1], off
	s_waitcnt vmcnt(0)
	v_cvt_i32_f32_e32 v2, v2
.LBB296_609:
	s_mov_b64 s[0:1], 0
.LBB296_610:
	s_andn2_b64 vcc, exec, s[0:1]
	s_cbranch_vccnz .LBB296_612
; %bb.611:
	global_load_ushort v2, v[0:1], off
	s_waitcnt vmcnt(0)
	v_cvt_f32_f16_e32 v2, v2
	v_cvt_i32_f32_e32 v2, v2
.LBB296_612:
	s_mov_b64 s[0:1], 0
.LBB296_613:
	s_andn2_b64 vcc, exec, s[0:1]
	s_cbranch_vccnz .LBB296_633
; %bb.614:
	s_cmp_lt_i32 s34, 2
	s_cbranch_scc1 .LBB296_618
; %bb.615:
	s_cmp_lt_i32 s34, 3
	s_cbranch_scc1 .LBB296_619
; %bb.616:
	s_cmp_gt_i32 s34, 3
	s_cbranch_scc0 .LBB296_620
; %bb.617:
	global_load_dword v2, v[0:1], off
	s_mov_b64 s[0:1], 0
	s_branch .LBB296_621
.LBB296_618:
	s_mov_b64 s[0:1], -1
                                        ; implicit-def: $vgpr2
	s_branch .LBB296_627
.LBB296_619:
	s_mov_b64 s[0:1], -1
                                        ; implicit-def: $vgpr2
	s_branch .LBB296_624
.LBB296_620:
	s_mov_b64 s[0:1], -1
                                        ; implicit-def: $vgpr2
.LBB296_621:
	s_andn2_b64 vcc, exec, s[0:1]
	s_cbranch_vccnz .LBB296_623
; %bb.622:
	global_load_dword v2, v[0:1], off
.LBB296_623:
	s_mov_b64 s[0:1], 0
.LBB296_624:
	s_andn2_b64 vcc, exec, s[0:1]
	s_cbranch_vccnz .LBB296_626
; %bb.625:
	global_load_sshort v2, v[0:1], off
.LBB296_626:
	s_mov_b64 s[0:1], 0
.LBB296_627:
	s_andn2_b64 vcc, exec, s[0:1]
	s_cbranch_vccnz .LBB296_633
; %bb.628:
	s_cmp_gt_i32 s34, 0
	s_cbranch_scc0 .LBB296_630
; %bb.629:
	global_load_sbyte v2, v[0:1], off
	s_mov_b64 s[0:1], 0
	s_branch .LBB296_631
.LBB296_630:
	s_mov_b64 s[0:1], -1
                                        ; implicit-def: $vgpr2
.LBB296_631:
	s_andn2_b64 vcc, exec, s[0:1]
	s_cbranch_vccnz .LBB296_633
; %bb.632:
	global_load_ubyte v2, v[0:1], off
.LBB296_633:
	s_mov_b64 s[0:1], -1
.LBB296_634:
	s_andn2_b64 vcc, exec, s[0:1]
	s_cbranch_vccnz .LBB296_642
; %bb.635:
	s_waitcnt vmcnt(0)
	v_max_i32_e32 v0, s10, v2
	v_mul_lo_u32 v2, v4, s8
	v_ashrrev_i32_e32 v3, 31, v2
	s_and_b32 s38, s33, 0xff
	v_min_i32_e32 v0, s11, v0
	s_cmp_lt_i32 s38, 11
	v_lshl_add_u64 v[2:3], s[4:5], 0, v[2:3]
	s_cbranch_scc1 .LBB296_643
; %bb.636:
	s_and_b32 s39, 0xffff, s38
	s_cmp_gt_i32 s39, 25
	s_cbranch_scc0 .LBB296_644
; %bb.637:
	s_cmp_gt_i32 s39, 28
	s_cbranch_scc0 .LBB296_645
; %bb.638:
	;; [unrolled: 3-line block ×4, first 2 shown]
	s_mov_b64 s[34:35], 0
	s_mov_b64 s[0:1], -1
	s_cmp_eq_u32 s39, 46
	s_mov_b64 s[30:31], 0
	s_cbranch_scc0 .LBB296_648
; %bb.641:
	v_cvt_f32_i32_e32 v1, v0
	s_movk_i32 s0, 0x7fff
	s_mov_b64 s[30:31], -1
	v_bfe_u32 v5, v1, 16, 1
	v_add3_u32 v1, v1, v5, s0
	v_lshrrev_b32_e32 v1, 16, v1
	global_store_dword v[2:3], v1, off
	s_mov_b64 s[0:1], 0
	s_branch .LBB296_648
.LBB296_642:
	s_mov_b64 s[34:35], 0
                                        ; implicit-def: $vgpr4
	s_mov_b64 s[0:1], s[22:23]
	s_branch .LBB296_759
.LBB296_643:
	s_mov_b64 s[34:35], -1
	s_mov_b64 s[30:31], 0
	s_mov_b64 s[0:1], s[22:23]
	s_branch .LBB296_717
.LBB296_644:
	s_mov_b64 s[34:35], -1
	s_mov_b64 s[30:31], 0
	s_mov_b64 s[0:1], s[22:23]
	s_branch .LBB296_675
.LBB296_645:
	s_mov_b64 s[34:35], -1
	s_mov_b64 s[30:31], 0
	s_mov_b64 s[0:1], s[22:23]
	s_branch .LBB296_658
.LBB296_646:
	s_mov_b64 s[34:35], -1
	s_mov_b64 s[30:31], 0
	s_mov_b64 s[0:1], s[22:23]
	s_branch .LBB296_654
.LBB296_647:
	s_mov_b64 s[34:35], -1
	s_mov_b64 s[30:31], 0
	s_mov_b64 s[0:1], s[22:23]
.LBB296_648:
	s_and_b64 vcc, exec, s[34:35]
	s_cbranch_vccz .LBB296_653
; %bb.649:
	s_cmp_eq_u32 s39, 44
	s_mov_b64 s[0:1], -1
	s_cbranch_scc0 .LBB296_653
; %bb.650:
	v_cvt_f32_i32_e32 v1, v0
	s_movk_i32 s0, 0xff
	v_mov_b32_e32 v6, 0xff
	v_bfe_u32 v5, v1, 23, 8
	v_cmp_ne_u32_e32 vcc, s0, v5
	s_and_saveexec_b64 s[30:31], vcc
; %bb.651:
	s_mov_b32 s0, 0x3fffff
	v_lshrrev_b32_e32 v6, 23, v1
	v_and_b32_e32 v7, 0x400000, v1
	v_and_or_b32 v1, v1, s0, v5
	v_cmp_ne_u32_e32 vcc, 0, v7
	v_cmp_ne_u32_e64 s[0:1], 0, v1
	s_and_b64 s[0:1], vcc, s[0:1]
	s_nop 0
	v_cndmask_b32_e64 v1, 0, 1, s[0:1]
	v_add_u32_e32 v6, v6, v1
; %bb.652:
	s_or_b64 exec, exec, s[30:31]
	s_mov_b64 s[30:31], -1
	s_mov_b64 s[0:1], 0
	global_store_byte v[2:3], v6, off
.LBB296_653:
	s_mov_b64 s[34:35], 0
.LBB296_654:
	s_and_b64 vcc, exec, s[34:35]
	s_cbranch_vccz .LBB296_657
; %bb.655:
	s_cmp_eq_u32 s39, 29
	s_mov_b64 s[0:1], -1
	s_cbranch_scc0 .LBB296_657
; %bb.656:
	v_ashrrev_i32_e32 v1, 31, v0
	global_store_dwordx2 v[2:3], v[0:1], off
	s_mov_b64 s[30:31], -1
	s_mov_b64 s[0:1], 0
.LBB296_657:
	s_mov_b64 s[34:35], 0
.LBB296_658:
	s_and_b64 vcc, exec, s[34:35]
	s_cbranch_vccz .LBB296_674
; %bb.659:
	s_cmp_lt_i32 s39, 27
	s_mov_b64 s[30:31], -1
	s_cbranch_scc1 .LBB296_665
; %bb.660:
	s_cmp_gt_i32 s39, 27
	s_cbranch_scc0 .LBB296_662
; %bb.661:
	s_mov_b64 s[30:31], 0
	global_store_dword v[2:3], v0, off
.LBB296_662:
	s_andn2_b64 vcc, exec, s[30:31]
	s_cbranch_vccnz .LBB296_664
; %bb.663:
	global_store_short v[2:3], v0, off
.LBB296_664:
	s_mov_b64 s[30:31], 0
.LBB296_665:
	s_andn2_b64 vcc, exec, s[30:31]
	s_cbranch_vccnz .LBB296_673
; %bb.666:
	v_cvt_f32_i32_e32 v1, v0
	s_mov_b32 s30, 0x43800000
	v_mov_b32_e32 v6, 0x80
	v_and_b32_e32 v5, 0x7fffffff, v1
	v_cmp_gt_u32_e32 vcc, s30, v5
	s_and_saveexec_b64 s[30:31], vcc
	s_cbranch_execz .LBB296_672
; %bb.667:
	s_mov_b32 s34, 0x3bffffff
	v_cmp_lt_u32_e32 vcc, s34, v5
	s_mov_b64 s[34:35], 0
                                        ; implicit-def: $vgpr5
	s_and_saveexec_b64 s[36:37], vcc
	s_xor_b64 s[36:37], exec, s[36:37]
	s_cbranch_execz .LBB296_773
; %bb.668:
	v_bfe_u32 v5, v1, 20, 1
	s_mov_b32 s41, 0x487ffff
	v_add3_u32 v5, v1, v5, s41
	s_mov_b64 s[34:35], exec
	v_lshrrev_b32_e32 v5, 20, v5
	s_andn2_saveexec_b64 s[36:37], s[36:37]
	s_cbranch_execnz .LBB296_774
.LBB296_669:
	s_or_b64 exec, exec, s[36:37]
	v_mov_b32_e32 v6, 0
	s_and_saveexec_b64 s[36:37], s[34:35]
.LBB296_670:
	v_lshrrev_b32_e32 v1, 24, v1
	s_movk_i32 s34, 0x80
	v_and_or_b32 v6, v1, s34, v5
.LBB296_671:
	s_or_b64 exec, exec, s[36:37]
.LBB296_672:
	s_or_b64 exec, exec, s[30:31]
	global_store_byte v[2:3], v6, off
.LBB296_673:
	s_mov_b64 s[30:31], -1
.LBB296_674:
	s_mov_b64 s[34:35], 0
.LBB296_675:
	s_and_b64 vcc, exec, s[34:35]
	s_cbranch_vccz .LBB296_716
; %bb.676:
	s_cmp_gt_i32 s39, 22
	s_mov_b64 s[34:35], -1
	s_cbranch_scc0 .LBB296_708
; %bb.677:
	s_cmp_lt_i32 s39, 24
	s_mov_b64 s[30:31], -1
	s_cbranch_scc1 .LBB296_697
; %bb.678:
	s_cmp_gt_i32 s39, 24
	s_cbranch_scc0 .LBB296_686
; %bb.679:
	v_cvt_f32_i32_e32 v1, v0
	s_mov_b32 s30, 0x47800000
	v_mov_b32_e32 v6, 0x80
	v_and_b32_e32 v5, 0x7fffffff, v1
	v_cmp_gt_u32_e32 vcc, s30, v5
	s_and_saveexec_b64 s[30:31], vcc
	s_cbranch_execz .LBB296_685
; %bb.680:
	s_mov_b32 s34, 0x37ffffff
	v_cmp_lt_u32_e32 vcc, s34, v5
	s_mov_b64 s[34:35], 0
                                        ; implicit-def: $vgpr5
	s_and_saveexec_b64 s[36:37], vcc
	s_xor_b64 s[36:37], exec, s[36:37]
	s_cbranch_execz .LBB296_776
; %bb.681:
	v_bfe_u32 v5, v1, 21, 1
	s_mov_b32 s41, 0x88fffff
	v_add3_u32 v5, v1, v5, s41
	s_mov_b64 s[34:35], exec
	v_lshrrev_b32_e32 v5, 21, v5
	s_andn2_saveexec_b64 s[36:37], s[36:37]
	s_cbranch_execnz .LBB296_777
.LBB296_682:
	s_or_b64 exec, exec, s[36:37]
	v_mov_b32_e32 v6, 0
	s_and_saveexec_b64 s[36:37], s[34:35]
.LBB296_683:
	v_lshrrev_b32_e32 v1, 24, v1
	s_movk_i32 s34, 0x80
	v_and_or_b32 v6, v1, s34, v5
.LBB296_684:
	s_or_b64 exec, exec, s[36:37]
.LBB296_685:
	s_or_b64 exec, exec, s[30:31]
	s_mov_b64 s[30:31], 0
	global_store_byte v[2:3], v6, off
.LBB296_686:
	s_and_b64 vcc, exec, s[30:31]
	s_cbranch_vccz .LBB296_696
; %bb.687:
	v_cvt_f32_i32_e32 v1, v0
	s_mov_b32 s30, 0x43f00000
                                        ; implicit-def: $vgpr5
	v_and_b32_e32 v6, 0x7fffffff, v1
	v_cmp_gt_u32_e32 vcc, s30, v6
	s_and_saveexec_b64 s[30:31], vcc
	s_xor_b64 s[30:31], exec, s[30:31]
	s_cbranch_execz .LBB296_693
; %bb.688:
	s_mov_b32 s34, 0x3c7fffff
	v_cmp_lt_u32_e32 vcc, s34, v6
                                        ; implicit-def: $vgpr5
	s_and_saveexec_b64 s[34:35], vcc
	s_xor_b64 s[34:35], exec, s[34:35]
; %bb.689:
	v_bfe_u32 v5, v1, 20, 1
	s_mov_b32 s36, 0x407ffff
	v_add3_u32 v5, v1, v5, s36
	v_lshrrev_b32_e32 v6, 20, v5
	v_and_b32_e32 v5, 0xff00000, v5
	s_mov_b32 s36, 0x7f00000
	v_mov_b32_e32 v7, 0x7e
	v_cmp_ne_u32_e32 vcc, s36, v5
	s_nop 1
	v_cndmask_b32_e32 v5, v7, v6, vcc
; %bb.690:
	s_andn2_saveexec_b64 s[34:35], s[34:35]
; %bb.691:
	s_mov_b32 s36, 0x46800000
	v_add_f32_e64 v5, |v1|, s36
; %bb.692:
	s_or_b64 exec, exec, s[34:35]
                                        ; implicit-def: $vgpr6
.LBB296_693:
	s_andn2_saveexec_b64 s[30:31], s[30:31]
; %bb.694:
	s_mov_b32 s34, 0x7f800000
	v_mov_b32_e32 v5, 0x7e
	v_mov_b32_e32 v7, 0x7f
	v_cmp_lt_u32_e32 vcc, s34, v6
	s_nop 1
	v_cndmask_b32_e32 v5, v5, v7, vcc
; %bb.695:
	s_or_b64 exec, exec, s[30:31]
	v_lshrrev_b32_e32 v1, 24, v1
	s_movk_i32 s30, 0x80
	v_and_or_b32 v1, v1, s30, v5
	global_store_byte v[2:3], v1, off
.LBB296_696:
	s_mov_b64 s[30:31], 0
.LBB296_697:
	s_andn2_b64 vcc, exec, s[30:31]
	s_cbranch_vccnz .LBB296_707
; %bb.698:
	v_cvt_f32_i32_e32 v1, v0
	s_mov_b32 s30, 0x47800000
                                        ; implicit-def: $vgpr5
	v_and_b32_e32 v6, 0x7fffffff, v1
	v_cmp_gt_u32_e32 vcc, s30, v6
	s_and_saveexec_b64 s[30:31], vcc
	s_xor_b64 s[30:31], exec, s[30:31]
	s_cbranch_execz .LBB296_704
; %bb.699:
	s_mov_b32 s34, 0x387fffff
	v_cmp_lt_u32_e32 vcc, s34, v6
                                        ; implicit-def: $vgpr5
	s_and_saveexec_b64 s[34:35], vcc
	s_xor_b64 s[34:35], exec, s[34:35]
; %bb.700:
	v_bfe_u32 v5, v1, 21, 1
	s_mov_b32 s36, 0x80fffff
	v_add3_u32 v5, v1, v5, s36
	v_lshrrev_b32_e32 v5, 21, v5
; %bb.701:
	s_andn2_saveexec_b64 s[34:35], s[34:35]
; %bb.702:
	s_mov_b32 s36, 0x43000000
	v_add_f32_e64 v5, |v1|, s36
; %bb.703:
	s_or_b64 exec, exec, s[34:35]
                                        ; implicit-def: $vgpr6
.LBB296_704:
	s_andn2_saveexec_b64 s[30:31], s[30:31]
; %bb.705:
	s_mov_b32 s34, 0x7f800000
	v_mov_b32_e32 v5, 0x7c
	v_mov_b32_e32 v7, 0x7f
	v_cmp_lt_u32_e32 vcc, s34, v6
	s_nop 1
	v_cndmask_b32_e32 v5, v5, v7, vcc
; %bb.706:
	s_or_b64 exec, exec, s[30:31]
	v_lshrrev_b32_e32 v1, 24, v1
	s_movk_i32 s30, 0x80
	v_and_or_b32 v1, v1, s30, v5
	global_store_byte v[2:3], v1, off
.LBB296_707:
	s_mov_b64 s[34:35], 0
	s_mov_b64 s[30:31], -1
.LBB296_708:
	s_andn2_b64 vcc, exec, s[34:35]
	s_cbranch_vccnz .LBB296_716
; %bb.709:
	s_cmp_gt_i32 s39, 14
	s_mov_b64 s[34:35], -1
	s_cbranch_scc0 .LBB296_713
; %bb.710:
	s_cmp_eq_u32 s39, 15
	s_mov_b64 s[0:1], -1
	s_cbranch_scc0 .LBB296_712
; %bb.711:
	v_cvt_f32_i32_e32 v1, v0
	s_movk_i32 s0, 0x7fff
	s_mov_b64 s[30:31], -1
	v_bfe_u32 v5, v1, 16, 1
	v_add3_u32 v1, v1, v5, s0
	global_store_short_d16_hi v[2:3], v1, off
	s_mov_b64 s[0:1], 0
.LBB296_712:
	s_mov_b64 s[34:35], 0
.LBB296_713:
	s_and_b64 vcc, exec, s[34:35]
	s_cbranch_vccz .LBB296_716
; %bb.714:
	s_cmp_eq_u32 s39, 11
	s_mov_b64 s[0:1], -1
	s_cbranch_scc0 .LBB296_716
; %bb.715:
	v_cmp_ne_u32_e32 vcc, 0, v0
	s_mov_b64 s[30:31], -1
	s_mov_b64 s[0:1], 0
	v_cndmask_b32_e64 v1, 0, 1, vcc
	global_store_byte v[2:3], v1, off
.LBB296_716:
	s_mov_b64 s[34:35], 0
.LBB296_717:
	s_and_b64 vcc, exec, s[34:35]
	s_cbranch_vccz .LBB296_756
; %bb.718:
	s_and_b32 s34, 0xffff, s38
	s_cmp_lt_i32 s34, 5
	s_mov_b64 s[30:31], -1
	s_cbranch_scc1 .LBB296_739
; %bb.719:
	s_cmp_lt_i32 s34, 8
	s_cbranch_scc1 .LBB296_729
; %bb.720:
	s_cmp_lt_i32 s34, 9
	s_cbranch_scc1 .LBB296_726
; %bb.721:
	s_cmp_gt_i32 s34, 9
	s_cbranch_scc0 .LBB296_723
; %bb.722:
	v_mov_b32_e32 v8, 0
	v_cvt_f64_i32_e32 v[6:7], v0
	v_mov_b32_e32 v9, v8
	s_mov_b64 s[30:31], 0
	global_store_dwordx4 v[2:3], v[6:9], off
.LBB296_723:
	s_andn2_b64 vcc, exec, s[30:31]
	s_cbranch_vccnz .LBB296_725
; %bb.724:
	v_cvt_f32_i32_e32 v6, v0
	v_mov_b32_e32 v7, 0
	global_store_dwordx2 v[2:3], v[6:7], off
.LBB296_725:
	s_mov_b64 s[30:31], 0
.LBB296_726:
	s_andn2_b64 vcc, exec, s[30:31]
	s_cbranch_vccnz .LBB296_728
; %bb.727:
	v_cvt_f32_i32_e32 v1, v0
	v_cvt_f16_f32_e32 v1, v1
	global_store_dword v[2:3], v1, off
.LBB296_728:
	s_mov_b64 s[30:31], 0
.LBB296_729:
	s_andn2_b64 vcc, exec, s[30:31]
	s_cbranch_vccnz .LBB296_738
; %bb.730:
	s_cmp_lt_i32 s34, 6
	s_mov_b64 s[30:31], -1
	s_cbranch_scc1 .LBB296_736
; %bb.731:
	s_cmp_gt_i32 s34, 6
	s_cbranch_scc0 .LBB296_733
; %bb.732:
	v_cvt_f64_i32_e32 v[6:7], v0
	s_mov_b64 s[30:31], 0
	global_store_dwordx2 v[2:3], v[6:7], off
.LBB296_733:
	s_andn2_b64 vcc, exec, s[30:31]
	s_cbranch_vccnz .LBB296_735
; %bb.734:
	v_cvt_f32_i32_e32 v1, v0
	global_store_dword v[2:3], v1, off
.LBB296_735:
	s_mov_b64 s[30:31], 0
.LBB296_736:
	s_andn2_b64 vcc, exec, s[30:31]
	s_cbranch_vccnz .LBB296_738
; %bb.737:
	v_cvt_f32_i32_e32 v1, v0
	v_cvt_f16_f32_e32 v1, v1
	global_store_short v[2:3], v1, off
.LBB296_738:
	s_mov_b64 s[30:31], 0
.LBB296_739:
	s_andn2_b64 vcc, exec, s[30:31]
	s_cbranch_vccnz .LBB296_755
; %bb.740:
	s_cmp_lt_i32 s34, 2
	s_mov_b64 s[30:31], -1
	s_cbranch_scc1 .LBB296_750
; %bb.741:
	s_cmp_lt_i32 s34, 3
	s_cbranch_scc1 .LBB296_747
; %bb.742:
	s_cmp_gt_i32 s34, 3
	s_cbranch_scc0 .LBB296_744
; %bb.743:
	v_ashrrev_i32_e32 v1, 31, v0
	s_mov_b64 s[30:31], 0
	global_store_dwordx2 v[2:3], v[0:1], off
.LBB296_744:
	s_andn2_b64 vcc, exec, s[30:31]
	s_cbranch_vccnz .LBB296_746
; %bb.745:
	global_store_dword v[2:3], v0, off
.LBB296_746:
	s_mov_b64 s[30:31], 0
.LBB296_747:
	s_andn2_b64 vcc, exec, s[30:31]
	s_cbranch_vccnz .LBB296_749
; %bb.748:
	global_store_short v[2:3], v0, off
.LBB296_749:
	s_mov_b64 s[30:31], 0
.LBB296_750:
	s_andn2_b64 vcc, exec, s[30:31]
	s_cbranch_vccnz .LBB296_755
; %bb.751:
	s_cmp_gt_i32 s34, 0
	s_mov_b64 s[30:31], -1
	s_cbranch_scc0 .LBB296_753
; %bb.752:
	s_mov_b64 s[30:31], 0
	global_store_byte v[2:3], v0, off
.LBB296_753:
	s_andn2_b64 vcc, exec, s[30:31]
	s_cbranch_vccnz .LBB296_755
; %bb.754:
	global_store_byte v[2:3], v0, off
.LBB296_755:
	s_mov_b64 s[30:31], -1
.LBB296_756:
	s_andn2_b64 vcc, exec, s[30:31]
	s_cbranch_vccnz .LBB296_758
; %bb.757:
	v_add_u32_e32 v4, 0x80, v4
	s_mov_b64 s[34:35], -1
	s_branch .LBB296_759
.LBB296_758:
	s_mov_b64 s[34:35], 0
                                        ; implicit-def: $vgpr4
.LBB296_759:
	s_andn2_b64 s[30:31], s[22:23], exec
	s_and_b64 s[0:1], s[0:1], exec
	s_or_b64 s[30:31], s[30:31], s[0:1]
	s_andn2_b64 s[0:1], s[20:21], exec
	s_and_b64 s[28:29], s[28:29], exec
	s_or_b64 s[0:1], s[0:1], s[28:29]
	s_orn2_b64 s[36:37], s[34:35], exec
.LBB296_760:
	s_or_b64 exec, exec, s[26:27]
	s_mov_b64 s[34:35], 0
	s_mov_b64 s[28:29], 0
	s_mov_b64 s[38:39], 0
                                        ; implicit-def: $vgpr0_vgpr1
                                        ; implicit-def: $vgpr5
	s_and_saveexec_b64 s[26:27], s[36:37]
	s_cbranch_execz .LBB296_841
; %bb.761:
	v_cmp_gt_i32_e32 vcc, s40, v4
	s_mov_b64 s[36:37], 0
	s_mov_b64 s[40:41], s[0:1]
	;; [unrolled: 1-line block ×3, first 2 shown]
                                        ; implicit-def: $vgpr0_vgpr1
                                        ; implicit-def: $vgpr5
	s_and_saveexec_b64 s[28:29], vcc
	s_cbranch_execz .LBB296_840
; %bb.762:
	v_mul_lo_u32 v0, v4, s9
	v_ashrrev_i32_e32 v1, 31, v0
	s_and_b32 s42, 0xffff, s44
	s_cmp_lt_i32 s42, 11
	v_lshl_add_u64 v[0:1], s[6:7], 0, v[0:1]
	s_cbranch_scc1 .LBB296_769
; %bb.763:
	s_cmp_gt_i32 s42, 25
	s_cbranch_scc0 .LBB296_770
; %bb.764:
	s_cmp_gt_i32 s42, 28
	s_cbranch_scc0 .LBB296_771
	;; [unrolled: 3-line block ×4, first 2 shown]
; %bb.767:
	s_cmp_eq_u32 s42, 46
	s_mov_b64 s[40:41], 0
	s_cbranch_scc0 .LBB296_778
; %bb.768:
	global_load_dword v2, v[0:1], off
	s_mov_b64 s[38:39], -1
	s_waitcnt vmcnt(0)
	v_lshlrev_b32_e32 v2, 16, v2
	v_cvt_i32_f32_e32 v5, v2
	s_branch .LBB296_780
.LBB296_769:
	s_mov_b64 s[40:41], -1
                                        ; implicit-def: $vgpr5
	s_mov_b64 s[34:35], s[0:1]
	s_branch .LBB296_839
.LBB296_770:
	s_mov_b64 s[40:41], -1
	s_mov_b64 s[34:35], s[0:1]
                                        ; implicit-def: $vgpr5
	s_branch .LBB296_807
.LBB296_771:
	s_mov_b64 s[40:41], -1
	s_mov_b64 s[34:35], s[0:1]
                                        ; implicit-def: $vgpr5
	s_branch .LBB296_790
.LBB296_772:
	s_mov_b64 s[40:41], -1
	s_mov_b64 s[34:35], s[0:1]
                                        ; implicit-def: $vgpr5
	s_branch .LBB296_785
.LBB296_773:
	s_andn2_saveexec_b64 s[36:37], s[36:37]
	s_cbranch_execz .LBB296_669
.LBB296_774:
	s_mov_b32 s41, 0x46000000
	v_add_f32_e64 v5, |v1|, s41
	v_and_b32_e32 v5, 0xff, v5
	v_cmp_ne_u32_e32 vcc, 0, v5
	s_andn2_b64 s[34:35], s[34:35], exec
	s_and_b64 s[42:43], vcc, exec
	s_or_b64 s[34:35], s[34:35], s[42:43]
	s_or_b64 exec, exec, s[36:37]
	v_mov_b32_e32 v6, 0
	s_and_saveexec_b64 s[36:37], s[34:35]
	s_cbranch_execnz .LBB296_670
	s_branch .LBB296_671
.LBB296_775:
	s_mov_b64 s[40:41], -1
	s_mov_b64 s[34:35], s[0:1]
	s_branch .LBB296_779
.LBB296_776:
	s_andn2_saveexec_b64 s[36:37], s[36:37]
	s_cbranch_execz .LBB296_682
.LBB296_777:
	s_mov_b32 s41, 0x42800000
	v_add_f32_e64 v5, |v1|, s41
	v_and_b32_e32 v5, 0xff, v5
	v_cmp_ne_u32_e32 vcc, 0, v5
	s_andn2_b64 s[34:35], s[34:35], exec
	s_and_b64 s[42:43], vcc, exec
	s_or_b64 s[34:35], s[34:35], s[42:43]
	s_or_b64 exec, exec, s[36:37]
	v_mov_b32_e32 v6, 0
	s_and_saveexec_b64 s[36:37], s[34:35]
	s_cbranch_execnz .LBB296_683
	s_branch .LBB296_684
.LBB296_778:
	s_mov_b64 s[34:35], -1
.LBB296_779:
                                        ; implicit-def: $vgpr5
.LBB296_780:
	s_and_b64 vcc, exec, s[40:41]
	s_cbranch_vccz .LBB296_784
; %bb.781:
	s_cmp_eq_u32 s42, 44
	s_cbranch_scc0 .LBB296_783
; %bb.782:
	global_load_ubyte v2, v[0:1], off
	s_mov_b64 s[34:35], 0
	s_mov_b64 s[38:39], -1
	s_waitcnt vmcnt(0)
	v_lshlrev_b32_e32 v3, 23, v2
	v_cvt_i32_f32_e32 v3, v3
	v_cmp_ne_u32_e32 vcc, 0, v2
	s_nop 1
	v_cndmask_b32_e32 v5, 0, v3, vcc
	s_branch .LBB296_784
.LBB296_783:
	s_mov_b64 s[34:35], -1
                                        ; implicit-def: $vgpr5
.LBB296_784:
	s_mov_b64 s[40:41], 0
.LBB296_785:
	s_and_b64 vcc, exec, s[40:41]
	s_cbranch_vccz .LBB296_789
; %bb.786:
	s_cmp_eq_u32 s42, 29
	s_cbranch_scc0 .LBB296_788
; %bb.787:
	global_load_dword v5, v[0:1], off
	s_mov_b64 s[34:35], 0
	s_mov_b64 s[38:39], -1
	s_branch .LBB296_789
.LBB296_788:
	s_mov_b64 s[34:35], -1
                                        ; implicit-def: $vgpr5
.LBB296_789:
	s_mov_b64 s[40:41], 0
.LBB296_790:
	s_and_b64 vcc, exec, s[40:41]
	s_cbranch_vccz .LBB296_806
; %bb.791:
	s_cmp_lt_i32 s42, 27
	s_cbranch_scc1 .LBB296_794
; %bb.792:
	s_cmp_gt_i32 s42, 27
	s_cbranch_scc0 .LBB296_795
; %bb.793:
	global_load_dword v5, v[0:1], off
	s_mov_b64 s[38:39], 0
	s_branch .LBB296_796
.LBB296_794:
	s_mov_b64 s[38:39], -1
                                        ; implicit-def: $vgpr5
	s_branch .LBB296_799
.LBB296_795:
	s_mov_b64 s[38:39], -1
                                        ; implicit-def: $vgpr5
.LBB296_796:
	s_andn2_b64 vcc, exec, s[38:39]
	s_cbranch_vccnz .LBB296_798
; %bb.797:
	global_load_ushort v5, v[0:1], off
.LBB296_798:
	s_mov_b64 s[38:39], 0
.LBB296_799:
	s_andn2_b64 vcc, exec, s[38:39]
	s_cbranch_vccnz .LBB296_805
; %bb.800:
	global_load_ubyte v2, v[0:1], off
	s_movk_i32 s38, 0x7f
	s_mov_b64 s[40:41], 0
	s_waitcnt vmcnt(0)
	v_cmp_lt_i16_e32 vcc, s38, v2
	s_and_saveexec_b64 s[38:39], vcc
	s_xor_b64 s[38:39], exec, s[38:39]
	s_cbranch_execz .LBB296_817
; %bb.801:
	s_movk_i32 s40, 0x80
	v_cmp_ne_u16_e32 vcc, s40, v2
	s_and_b64 s[40:41], vcc, exec
	s_andn2_saveexec_b64 s[38:39], s[38:39]
	s_cbranch_execnz .LBB296_818
.LBB296_802:
	s_or_b64 exec, exec, s[38:39]
	v_mov_b32_e32 v5, 0
	s_and_saveexec_b64 s[38:39], s[40:41]
	s_cbranch_execz .LBB296_804
.LBB296_803:
	v_lshlrev_b32_e32 v3, 24, v2
	v_and_b32_e32 v2, 0xffff, v2
	v_and_b32_e32 v5, 7, v2
	v_ffbh_u32_e32 v7, v5
	v_min_u32_e32 v7, 32, v7
	v_subrev_u32_e32 v8, 28, v7
	v_bfe_u32 v6, v2, 3, 4
	v_lshlrev_b32_e32 v2, v8, v2
	v_sub_u32_e32 v7, 29, v7
	v_and_b32_e32 v2, 7, v2
	v_cmp_eq_u32_e32 vcc, 0, v6
	v_and_b32_e32 v3, 0x80000000, v3
	s_nop 0
	v_cndmask_b32_e32 v6, v6, v7, vcc
	v_cndmask_b32_e32 v2, v5, v2, vcc
	v_mov_b32_e32 v5, 0x3b800000
	v_lshlrev_b32_e32 v2, 20, v2
	v_lshl_add_u32 v5, v6, 23, v5
	v_or3_b32 v2, v3, v5, v2
	v_cvt_i32_f32_e32 v5, v2
.LBB296_804:
	s_or_b64 exec, exec, s[38:39]
.LBB296_805:
	s_mov_b64 s[38:39], -1
.LBB296_806:
	s_mov_b64 s[40:41], 0
.LBB296_807:
	s_and_b64 vcc, exec, s[40:41]
	s_cbranch_vccz .LBB296_838
; %bb.808:
	s_cmp_gt_i32 s42, 22
	s_cbranch_scc0 .LBB296_816
; %bb.809:
	s_cmp_lt_i32 s42, 24
	s_cbranch_scc1 .LBB296_819
; %bb.810:
	s_cmp_gt_i32 s42, 24
	s_cbranch_scc0 .LBB296_820
; %bb.811:
	global_load_ubyte v2, v[0:1], off
	s_movk_i32 s36, 0x7f
	s_mov_b64 s[38:39], 0
	s_waitcnt vmcnt(0)
	v_cmp_lt_i16_e32 vcc, s36, v2
	s_and_saveexec_b64 s[36:37], vcc
	s_xor_b64 s[36:37], exec, s[36:37]
	s_cbranch_execz .LBB296_832
; %bb.812:
	s_movk_i32 s38, 0x80
	v_cmp_ne_u16_e32 vcc, s38, v2
	s_and_b64 s[38:39], vcc, exec
	s_andn2_saveexec_b64 s[36:37], s[36:37]
	s_cbranch_execnz .LBB296_833
.LBB296_813:
	s_or_b64 exec, exec, s[36:37]
	v_mov_b32_e32 v5, 0
	s_and_saveexec_b64 s[36:37], s[38:39]
	s_cbranch_execz .LBB296_815
.LBB296_814:
	v_lshlrev_b32_e32 v3, 24, v2
	v_and_b32_e32 v2, 0xffff, v2
	v_and_b32_e32 v5, 3, v2
	v_ffbh_u32_e32 v7, v5
	v_min_u32_e32 v7, 32, v7
	v_subrev_u32_e32 v8, 29, v7
	v_bfe_u32 v6, v2, 2, 5
	v_lshlrev_b32_e32 v2, v8, v2
	v_sub_u32_e32 v7, 30, v7
	v_and_b32_e32 v2, 3, v2
	v_cmp_eq_u32_e32 vcc, 0, v6
	v_and_b32_e32 v3, 0x80000000, v3
	s_nop 0
	v_cndmask_b32_e32 v6, v6, v7, vcc
	v_cndmask_b32_e32 v2, v5, v2, vcc
	v_mov_b32_e32 v5, 0x37800000
	v_lshlrev_b32_e32 v2, 21, v2
	v_lshl_add_u32 v5, v6, 23, v5
	v_or3_b32 v2, v3, v5, v2
	v_cvt_i32_f32_e32 v5, v2
.LBB296_815:
	s_or_b64 exec, exec, s[36:37]
	s_mov_b64 s[36:37], 0
	s_branch .LBB296_821
.LBB296_816:
	s_mov_b64 s[36:37], -1
                                        ; implicit-def: $vgpr5
	s_branch .LBB296_827
.LBB296_817:
	s_andn2_saveexec_b64 s[38:39], s[38:39]
	s_cbranch_execz .LBB296_802
.LBB296_818:
	v_cmp_ne_u16_e32 vcc, 0, v2
	s_andn2_b64 s[40:41], s[40:41], exec
	s_and_b64 s[46:47], vcc, exec
	s_or_b64 s[40:41], s[40:41], s[46:47]
	s_or_b64 exec, exec, s[38:39]
	v_mov_b32_e32 v5, 0
	s_and_saveexec_b64 s[38:39], s[40:41]
	s_cbranch_execnz .LBB296_803
	s_branch .LBB296_804
.LBB296_819:
	s_mov_b64 s[36:37], -1
                                        ; implicit-def: $vgpr5
	s_branch .LBB296_824
.LBB296_820:
	s_mov_b64 s[36:37], -1
                                        ; implicit-def: $vgpr5
.LBB296_821:
	s_and_b64 vcc, exec, s[36:37]
	s_cbranch_vccz .LBB296_823
; %bb.822:
	global_load_ubyte v2, v[0:1], off
	s_mov_b32 s36, 0x7f800000
	s_waitcnt vmcnt(0)
	v_lshlrev_b32_e32 v2, 24, v2
	v_and_b32_e32 v3, 0x7f000000, v2
	v_ffbh_u32_e32 v5, v3
	v_min_u32_e32 v5, 32, v5
	v_sub_u32_e64 v5, v5, 4 clamp
	v_lshlrev_b32_e32 v7, v5, v3
	v_lshlrev_b32_e32 v5, 23, v5
	v_lshrrev_b32_e32 v7, 4, v7
	v_add_u32_e32 v6, 0x1000000, v3
	v_sub_u32_e32 v5, v7, v5
	v_ashrrev_i32_e32 v6, 8, v6
	v_add_u32_e32 v5, 0x3c000000, v5
	v_and_or_b32 v5, v6, s36, v5
	v_cmp_ne_u32_e32 vcc, 0, v3
	s_brev_b32 s36, 1
	s_nop 0
	v_cndmask_b32_e32 v3, 0, v5, vcc
	v_and_or_b32 v2, v2, s36, v3
	v_cvt_i32_f32_e32 v5, v2
.LBB296_823:
	s_mov_b64 s[36:37], 0
.LBB296_824:
	s_andn2_b64 vcc, exec, s[36:37]
	s_cbranch_vccnz .LBB296_826
; %bb.825:
	global_load_ubyte v2, v[0:1], off
	s_movk_i32 s36, 0x7f00
	s_brev_b32 s37, 16
	s_waitcnt vmcnt(0)
	v_lshlrev_b16_e32 v3, 8, v2
	v_lshlrev_b32_e32 v2, 25, v2
	v_lshrrev_b32_e32 v5, 4, v2
	v_and_or_b32 v6, v3, s36, 0.5
	v_or_b32_e32 v5, 0x70000000, v5
	v_add_f32_e32 v6, -0.5, v6
	v_mul_f32_e32 v5, 0x7800000, v5
	v_cmp_gt_u32_e32 vcc, s37, v2
	v_bfe_i32 v3, v3, 0, 16
	s_brev_b32 s36, 1
	v_cndmask_b32_e32 v2, v5, v6, vcc
	v_and_or_b32 v2, v3, s36, v2
	v_cvt_i32_f32_e32 v5, v2
.LBB296_826:
	s_mov_b64 s[36:37], 0
	s_mov_b64 s[38:39], -1
.LBB296_827:
	s_andn2_b64 vcc, exec, s[36:37]
	s_mov_b64 s[36:37], 0
	s_cbranch_vccnz .LBB296_838
; %bb.828:
	s_cmp_gt_i32 s42, 14
	s_cbranch_scc0 .LBB296_831
; %bb.829:
	s_cmp_eq_u32 s42, 15
	s_cbranch_scc0 .LBB296_834
; %bb.830:
	global_load_ushort v2, v[0:1], off
	s_mov_b64 s[34:35], 0
	s_mov_b64 s[38:39], -1
	s_waitcnt vmcnt(0)
	v_lshlrev_b32_e32 v2, 16, v2
	v_cvt_i32_f32_e32 v5, v2
	s_branch .LBB296_835
.LBB296_831:
	s_mov_b64 s[40:41], -1
                                        ; implicit-def: $vgpr5
	s_branch .LBB296_836
.LBB296_832:
	s_andn2_saveexec_b64 s[36:37], s[36:37]
	s_cbranch_execz .LBB296_813
.LBB296_833:
	v_cmp_ne_u16_e32 vcc, 0, v2
	s_andn2_b64 s[38:39], s[38:39], exec
	s_and_b64 s[40:41], vcc, exec
	s_or_b64 s[38:39], s[38:39], s[40:41]
	s_or_b64 exec, exec, s[36:37]
	v_mov_b32_e32 v5, 0
	s_and_saveexec_b64 s[36:37], s[38:39]
	s_cbranch_execnz .LBB296_814
	s_branch .LBB296_815
.LBB296_834:
	s_mov_b64 s[34:35], -1
                                        ; implicit-def: $vgpr5
.LBB296_835:
	s_mov_b64 s[40:41], 0
.LBB296_836:
	s_and_b64 vcc, exec, s[40:41]
	s_cbranch_vccz .LBB296_838
; %bb.837:
	s_cmp_lg_u32 s42, 11
	s_cselect_b64 s[40:41], -1, 0
	s_andn2_b64 s[34:35], s[34:35], exec
	s_and_b64 s[40:41], s[40:41], exec
	s_mov_b64 s[36:37], -1
	s_or_b64 s[34:35], s[34:35], s[40:41]
.LBB296_838:
	s_mov_b64 s[40:41], 0
.LBB296_839:
	s_and_b64 s[42:43], s[40:41], exec
	s_andn2_b64 s[40:41], s[0:1], exec
	s_and_b64 s[34:35], s[34:35], exec
	s_and_b64 s[38:39], s[38:39], exec
	;; [unrolled: 1-line block ×3, first 2 shown]
	s_or_b64 s[40:41], s[40:41], s[34:35]
.LBB296_840:
	s_or_b64 exec, exec, s[28:29]
	s_and_b64 s[34:35], s[36:37], exec
	s_andn2_b64 s[0:1], s[0:1], exec
	s_and_b64 s[36:37], s[40:41], exec
	s_and_b64 s[38:39], s[38:39], exec
	;; [unrolled: 1-line block ×3, first 2 shown]
	s_or_b64 s[0:1], s[0:1], s[36:37]
.LBB296_841:
	s_or_b64 exec, exec, s[26:27]
	s_andn2_b64 s[22:23], s[22:23], exec
	s_and_b64 s[26:27], s[30:31], exec
	s_andn2_b64 s[20:21], s[20:21], exec
	s_and_b64 s[0:1], s[0:1], exec
	s_or_b64 s[22:23], s[22:23], s[26:27]
	s_and_b64 s[30:31], s[38:39], exec
	s_and_b64 s[28:29], s[28:29], exec
	;; [unrolled: 1-line block ×3, first 2 shown]
	s_or_b64 s[20:21], s[20:21], s[0:1]
.LBB296_842:
	s_or_b64 exec, exec, s[24:25]
	s_andn2_b64 s[0:1], s[14:15], exec
	s_and_b64 s[14:15], s[22:23], exec
	s_andn2_b64 s[16:17], s[16:17], exec
	s_and_b64 s[20:21], s[20:21], exec
	s_or_b64 s[14:15], s[0:1], s[14:15]
	s_and_b64 s[0:1], s[30:31], exec
	s_and_b64 s[24:25], s[28:29], exec
	;; [unrolled: 1-line block ×3, first 2 shown]
	s_or_b64 s[16:17], s[16:17], s[20:21]
	s_or_b64 exec, exec, s[18:19]
	s_mov_b64 s[18:19], 0
	s_and_saveexec_b64 s[20:21], s[16:17]
	s_cbranch_execz .LBB296_258
.LBB296_843:
	s_mov_b64 s[18:19], exec
	s_andn2_b64 s[22:23], s[22:23], exec
	s_trap 2
	s_or_b64 exec, exec, s[20:21]
	s_and_saveexec_b64 s[16:17], s[22:23]
	s_xor_b64 s[16:17], exec, s[16:17]
	s_cbranch_execnz .LBB296_259
.LBB296_844:
	s_or_b64 exec, exec, s[16:17]
	s_and_saveexec_b64 s[16:17], s[24:25]
	s_cbranch_execz .LBB296_890
.LBB296_845:
	s_sext_i32_i16 s20, s44
	s_cmp_lt_i32 s20, 5
	s_cbranch_scc1 .LBB296_850
; %bb.846:
	s_cmp_lt_i32 s20, 8
	s_cbranch_scc1 .LBB296_851
; %bb.847:
	;; [unrolled: 3-line block ×3, first 2 shown]
	s_cmp_gt_i32 s20, 9
	s_cbranch_scc0 .LBB296_853
; %bb.849:
	global_load_dwordx2 v[2:3], v[0:1], off
	s_mov_b64 s[20:21], 0
	s_waitcnt vmcnt(0)
	v_cvt_i32_f64_e32 v5, v[2:3]
	s_branch .LBB296_854
.LBB296_850:
                                        ; implicit-def: $vgpr5
	s_branch .LBB296_871
.LBB296_851:
                                        ; implicit-def: $vgpr5
	s_branch .LBB296_860
.LBB296_852:
	s_mov_b64 s[20:21], -1
                                        ; implicit-def: $vgpr5
	s_branch .LBB296_857
.LBB296_853:
	s_mov_b64 s[20:21], -1
                                        ; implicit-def: $vgpr5
.LBB296_854:
	s_andn2_b64 vcc, exec, s[20:21]
	s_cbranch_vccnz .LBB296_856
; %bb.855:
	global_load_dword v2, v[0:1], off
	s_waitcnt vmcnt(0)
	v_cvt_i32_f32_e32 v5, v2
.LBB296_856:
	s_mov_b64 s[20:21], 0
.LBB296_857:
	s_andn2_b64 vcc, exec, s[20:21]
	s_cbranch_vccnz .LBB296_859
; %bb.858:
	global_load_dword v2, v[0:1], off
	s_waitcnt vmcnt(0)
	v_cvt_f32_f16_e32 v2, v2
	v_cvt_i32_f32_e32 v5, v2
.LBB296_859:
	s_cbranch_execnz .LBB296_870
.LBB296_860:
	s_sext_i32_i16 s20, s44
	s_cmp_lt_i32 s20, 6
	s_cbranch_scc1 .LBB296_863
; %bb.861:
	s_cmp_gt_i32 s20, 6
	s_cbranch_scc0 .LBB296_864
; %bb.862:
	global_load_dwordx2 v[2:3], v[0:1], off
	s_mov_b64 s[20:21], 0
	s_waitcnt vmcnt(0)
	v_cvt_i32_f64_e32 v5, v[2:3]
	s_branch .LBB296_865
.LBB296_863:
	s_mov_b64 s[20:21], -1
                                        ; implicit-def: $vgpr5
	s_branch .LBB296_868
.LBB296_864:
	s_mov_b64 s[20:21], -1
                                        ; implicit-def: $vgpr5
.LBB296_865:
	s_andn2_b64 vcc, exec, s[20:21]
	s_cbranch_vccnz .LBB296_867
; %bb.866:
	global_load_dword v2, v[0:1], off
	s_waitcnt vmcnt(0)
	v_cvt_i32_f32_e32 v5, v2
.LBB296_867:
	s_mov_b64 s[20:21], 0
.LBB296_868:
	s_andn2_b64 vcc, exec, s[20:21]
	s_cbranch_vccnz .LBB296_870
; %bb.869:
	global_load_ushort v2, v[0:1], off
	s_waitcnt vmcnt(0)
	v_cvt_f32_f16_e32 v2, v2
	v_cvt_i32_f32_e32 v5, v2
.LBB296_870:
	s_cbranch_execnz .LBB296_889
.LBB296_871:
	s_sext_i32_i16 s20, s44
	s_cmp_lt_i32 s20, 2
	s_cbranch_scc1 .LBB296_875
; %bb.872:
	s_cmp_lt_i32 s20, 3
	s_cbranch_scc1 .LBB296_876
; %bb.873:
	s_cmp_gt_i32 s20, 3
	s_cbranch_scc0 .LBB296_877
; %bb.874:
	global_load_dword v5, v[0:1], off
	s_mov_b64 s[20:21], 0
	s_branch .LBB296_878
.LBB296_875:
                                        ; implicit-def: $vgpr5
	s_branch .LBB296_884
.LBB296_876:
	s_mov_b64 s[20:21], -1
                                        ; implicit-def: $vgpr5
	s_branch .LBB296_881
.LBB296_877:
	s_mov_b64 s[20:21], -1
                                        ; implicit-def: $vgpr5
.LBB296_878:
	s_andn2_b64 vcc, exec, s[20:21]
	s_cbranch_vccnz .LBB296_880
; %bb.879:
	global_load_dword v5, v[0:1], off
.LBB296_880:
	s_mov_b64 s[20:21], 0
.LBB296_881:
	s_andn2_b64 vcc, exec, s[20:21]
	s_cbranch_vccnz .LBB296_883
; %bb.882:
	global_load_sshort v5, v[0:1], off
.LBB296_883:
	s_cbranch_execnz .LBB296_889
.LBB296_884:
	s_sext_i32_i16 s20, s44
	s_cmp_gt_i32 s20, 0
	s_cbranch_scc0 .LBB296_886
; %bb.885:
	global_load_sbyte v5, v[0:1], off
	s_mov_b64 s[20:21], 0
	s_branch .LBB296_887
.LBB296_886:
	s_mov_b64 s[20:21], -1
                                        ; implicit-def: $vgpr5
.LBB296_887:
	s_andn2_b64 vcc, exec, s[20:21]
	s_cbranch_vccnz .LBB296_889
; %bb.888:
	global_load_ubyte v5, v[0:1], off
.LBB296_889:
	s_or_b64 s[0:1], s[0:1], exec
.LBB296_890:
	s_or_b64 exec, exec, s[16:17]
	s_mov_b64 s[22:23], 0
	s_mov_b64 s[20:21], 0
                                        ; implicit-def: $sgpr28
                                        ; implicit-def: $vgpr2_vgpr3
                                        ; implicit-def: $vgpr0
	s_and_saveexec_b64 s[16:17], s[0:1]
	s_cbranch_execz .LBB296_898
; %bb.891:
	s_waitcnt vmcnt(0)
	v_mul_lo_u32 v2, v4, s8
	v_max_i32_e32 v0, s10, v5
	v_ashrrev_i32_e32 v3, 31, v2
	s_and_b32 s28, s33, 0xff
	v_min_i32_e32 v0, s11, v0
	s_cmp_lt_i32 s28, 11
	v_lshl_add_u64 v[2:3], s[4:5], 0, v[2:3]
	s_cbranch_scc1 .LBB296_901
; %bb.892:
	s_and_b32 s29, 0xffff, s28
	s_mov_b64 s[22:23], -1
	s_cmp_gt_i32 s29, 25
	s_mov_b64 s[0:1], s[14:15]
	s_cbranch_scc0 .LBB296_929
; %bb.893:
	s_mov_b64 s[20:21], -1
	s_cmp_gt_i32 s29, 28
	s_mov_b64 s[0:1], s[14:15]
	s_cbranch_scc0 .LBB296_913
; %bb.894:
	s_cmp_gt_i32 s29, 43
	s_mov_b64 s[0:1], s[14:15]
	s_cbranch_scc0 .LBB296_909
; %bb.895:
	;; [unrolled: 4-line block ×3, first 2 shown]
	s_cmp_eq_u32 s29, 46
	s_mov_b64 s[0:1], -1
	s_cbranch_scc0 .LBB296_902
; %bb.897:
	v_cvt_f32_i32_e32 v1, v0
	s_movk_i32 s0, 0x7fff
	s_mov_b64 s[20:21], 0
	v_bfe_u32 v4, v1, 16, 1
	v_add3_u32 v1, v1, v4, s0
	v_lshrrev_b32_e32 v1, 16, v1
	global_store_dword v[2:3], v1, off
	s_mov_b64 s[0:1], 0
	s_branch .LBB296_903
.LBB296_898:
	s_or_b64 exec, exec, s[16:17]
	s_and_saveexec_b64 s[0:1], s[14:15]
	s_cbranch_execnz .LBB296_971
.LBB296_899:
	s_or_b64 exec, exec, s[0:1]
	s_and_saveexec_b64 s[0:1], s[22:23]
	s_xor_b64 s[0:1], exec, s[0:1]
	s_cbranch_execz .LBB296_972
.LBB296_900:
	v_cmp_ne_u32_e32 vcc, 0, v0
	s_nop 1
	v_cndmask_b32_e64 v1, 0, 1, vcc
	s_waitcnt vmcnt(0)
	global_store_byte v[2:3], v1, off
	s_or_b64 exec, exec, s[0:1]
	s_and_saveexec_b64 s[0:1], s[20:21]
	s_xor_b64 s[0:1], exec, s[0:1]
	s_cbranch_execz .LBB296_1010
	s_branch .LBB296_973
.LBB296_901:
	s_mov_b64 s[20:21], -1
	s_mov_b64 s[0:1], s[14:15]
	s_branch .LBB296_970
.LBB296_902:
	s_mov_b64 s[20:21], 0
.LBB296_903:
	s_and_b64 vcc, exec, s[20:21]
	s_cbranch_vccz .LBB296_908
; %bb.904:
	s_cmp_eq_u32 s29, 44
	s_mov_b64 s[0:1], -1
	s_cbranch_scc0 .LBB296_908
; %bb.905:
	v_cvt_f32_i32_e32 v1, v0
	s_movk_i32 s0, 0xff
	v_mov_b32_e32 v5, 0xff
	v_bfe_u32 v4, v1, 23, 8
	v_cmp_ne_u32_e32 vcc, s0, v4
	s_and_saveexec_b64 s[20:21], vcc
; %bb.906:
	s_mov_b32 s0, 0x3fffff
	v_lshrrev_b32_e32 v5, 23, v1
	v_and_b32_e32 v6, 0x400000, v1
	v_and_or_b32 v1, v1, s0, v4
	v_cmp_ne_u32_e32 vcc, 0, v6
	v_cmp_ne_u32_e64 s[0:1], 0, v1
	s_and_b64 s[0:1], vcc, s[0:1]
	s_nop 0
	v_cndmask_b32_e64 v1, 0, 1, s[0:1]
	v_add_u32_e32 v5, v5, v1
; %bb.907:
	s_or_b64 exec, exec, s[20:21]
	s_mov_b64 s[0:1], 0
	global_store_byte v[2:3], v5, off
.LBB296_908:
	s_mov_b64 s[20:21], 0
.LBB296_909:
	s_and_b64 vcc, exec, s[20:21]
	s_cbranch_vccz .LBB296_912
; %bb.910:
	s_cmp_eq_u32 s29, 29
	s_mov_b64 s[0:1], -1
	s_cbranch_scc0 .LBB296_912
; %bb.911:
	v_ashrrev_i32_e32 v1, 31, v0
	global_store_dwordx2 v[2:3], v[0:1], off
	s_mov_b64 s[0:1], 0
.LBB296_912:
	s_mov_b64 s[20:21], 0
.LBB296_913:
	s_and_b64 vcc, exec, s[20:21]
	s_cbranch_vccz .LBB296_928
; %bb.914:
	s_cmp_lt_i32 s29, 27
	s_mov_b64 s[20:21], -1
	s_cbranch_scc1 .LBB296_920
; %bb.915:
	s_cmp_gt_i32 s29, 27
	s_cbranch_scc0 .LBB296_917
; %bb.916:
	s_mov_b64 s[20:21], 0
	global_store_dword v[2:3], v0, off
.LBB296_917:
	s_andn2_b64 vcc, exec, s[20:21]
	s_cbranch_vccnz .LBB296_919
; %bb.918:
	global_store_short v[2:3], v0, off
.LBB296_919:
	s_mov_b64 s[20:21], 0
.LBB296_920:
	s_andn2_b64 vcc, exec, s[20:21]
	s_cbranch_vccnz .LBB296_928
; %bb.921:
	v_cvt_f32_i32_e32 v1, v0
	s_mov_b32 s20, 0x43800000
	v_mov_b32_e32 v5, 0x80
	v_and_b32_e32 v4, 0x7fffffff, v1
	v_cmp_gt_u32_e32 vcc, s20, v4
	s_and_saveexec_b64 s[20:21], vcc
	s_cbranch_execz .LBB296_927
; %bb.922:
	s_mov_b32 s22, 0x3bffffff
	v_cmp_lt_u32_e32 vcc, s22, v4
	s_mov_b64 s[22:23], 0
                                        ; implicit-def: $vgpr4
	s_and_saveexec_b64 s[24:25], vcc
	s_xor_b64 s[24:25], exec, s[24:25]
	s_cbranch_execz .LBB296_1025
; %bb.923:
	v_bfe_u32 v4, v1, 20, 1
	s_mov_b32 s26, 0x487ffff
	v_add3_u32 v4, v1, v4, s26
	s_mov_b64 s[22:23], exec
	v_lshrrev_b32_e32 v4, 20, v4
	s_andn2_saveexec_b64 s[24:25], s[24:25]
	s_cbranch_execnz .LBB296_1026
.LBB296_924:
	s_or_b64 exec, exec, s[24:25]
	v_mov_b32_e32 v5, 0
	s_and_saveexec_b64 s[24:25], s[22:23]
.LBB296_925:
	v_lshrrev_b32_e32 v1, 24, v1
	s_movk_i32 s22, 0x80
	v_and_or_b32 v5, v1, s22, v4
.LBB296_926:
	s_or_b64 exec, exec, s[24:25]
.LBB296_927:
	s_or_b64 exec, exec, s[20:21]
	global_store_byte v[2:3], v5, off
.LBB296_928:
	s_mov_b64 s[22:23], 0
.LBB296_929:
	s_mov_b64 s[20:21], 0
	s_and_b64 vcc, exec, s[22:23]
	s_cbranch_vccz .LBB296_969
; %bb.930:
	s_cmp_gt_i32 s29, 22
	s_mov_b64 s[22:23], -1
	s_cbranch_scc0 .LBB296_962
; %bb.931:
	s_cmp_lt_i32 s29, 24
	s_cbranch_scc1 .LBB296_951
; %bb.932:
	s_cmp_gt_i32 s29, 24
	s_cbranch_scc0 .LBB296_940
; %bb.933:
	v_cvt_f32_i32_e32 v1, v0
	s_mov_b32 s22, 0x47800000
	v_mov_b32_e32 v5, 0x80
	v_and_b32_e32 v4, 0x7fffffff, v1
	v_cmp_gt_u32_e32 vcc, s22, v4
	s_and_saveexec_b64 s[22:23], vcc
	s_cbranch_execz .LBB296_939
; %bb.934:
	s_mov_b32 s24, 0x37ffffff
	v_cmp_lt_u32_e32 vcc, s24, v4
	s_mov_b64 s[24:25], 0
                                        ; implicit-def: $vgpr4
	s_and_saveexec_b64 s[26:27], vcc
	s_xor_b64 s[26:27], exec, s[26:27]
	s_cbranch_execz .LBB296_1145
; %bb.935:
	v_bfe_u32 v4, v1, 21, 1
	s_mov_b32 s30, 0x88fffff
	v_add3_u32 v4, v1, v4, s30
	s_mov_b64 s[24:25], exec
	v_lshrrev_b32_e32 v4, 21, v4
	s_andn2_saveexec_b64 s[26:27], s[26:27]
	s_cbranch_execnz .LBB296_1146
.LBB296_936:
	s_or_b64 exec, exec, s[26:27]
	v_mov_b32_e32 v5, 0
	s_and_saveexec_b64 s[26:27], s[24:25]
.LBB296_937:
	v_lshrrev_b32_e32 v1, 24, v1
	s_movk_i32 s24, 0x80
	v_and_or_b32 v5, v1, s24, v4
.LBB296_938:
	s_or_b64 exec, exec, s[26:27]
.LBB296_939:
	s_or_b64 exec, exec, s[22:23]
	s_mov_b64 s[22:23], 0
	global_store_byte v[2:3], v5, off
.LBB296_940:
	s_and_b64 vcc, exec, s[22:23]
	s_cbranch_vccz .LBB296_950
; %bb.941:
	v_cvt_f32_i32_e32 v1, v0
	s_mov_b32 s22, 0x43f00000
                                        ; implicit-def: $vgpr4
	v_and_b32_e32 v5, 0x7fffffff, v1
	v_cmp_gt_u32_e32 vcc, s22, v5
	s_and_saveexec_b64 s[22:23], vcc
	s_xor_b64 s[22:23], exec, s[22:23]
	s_cbranch_execz .LBB296_947
; %bb.942:
	s_mov_b32 s24, 0x3c7fffff
	v_cmp_lt_u32_e32 vcc, s24, v5
                                        ; implicit-def: $vgpr4
	s_and_saveexec_b64 s[24:25], vcc
	s_xor_b64 s[24:25], exec, s[24:25]
; %bb.943:
	v_bfe_u32 v4, v1, 20, 1
	s_mov_b32 s26, 0x407ffff
	v_add3_u32 v4, v1, v4, s26
	v_lshrrev_b32_e32 v5, 20, v4
	v_and_b32_e32 v4, 0xff00000, v4
	s_mov_b32 s26, 0x7f00000
	v_mov_b32_e32 v6, 0x7e
	v_cmp_ne_u32_e32 vcc, s26, v4
	s_nop 1
	v_cndmask_b32_e32 v4, v6, v5, vcc
; %bb.944:
	s_andn2_saveexec_b64 s[24:25], s[24:25]
; %bb.945:
	s_mov_b32 s26, 0x46800000
	v_add_f32_e64 v4, |v1|, s26
; %bb.946:
	s_or_b64 exec, exec, s[24:25]
                                        ; implicit-def: $vgpr5
.LBB296_947:
	s_andn2_saveexec_b64 s[22:23], s[22:23]
; %bb.948:
	s_mov_b32 s24, 0x7f800000
	v_mov_b32_e32 v4, 0x7e
	v_mov_b32_e32 v6, 0x7f
	v_cmp_lt_u32_e32 vcc, s24, v5
	s_nop 1
	v_cndmask_b32_e32 v4, v4, v6, vcc
; %bb.949:
	s_or_b64 exec, exec, s[22:23]
	v_lshrrev_b32_e32 v1, 24, v1
	s_movk_i32 s22, 0x80
	v_and_or_b32 v1, v1, s22, v4
	global_store_byte v[2:3], v1, off
.LBB296_950:
	s_mov_b64 s[22:23], 0
.LBB296_951:
	s_andn2_b64 vcc, exec, s[22:23]
	s_cbranch_vccnz .LBB296_961
; %bb.952:
	v_cvt_f32_i32_e32 v1, v0
	s_mov_b32 s22, 0x47800000
                                        ; implicit-def: $vgpr4
	v_and_b32_e32 v5, 0x7fffffff, v1
	v_cmp_gt_u32_e32 vcc, s22, v5
	s_and_saveexec_b64 s[22:23], vcc
	s_xor_b64 s[22:23], exec, s[22:23]
	s_cbranch_execz .LBB296_958
; %bb.953:
	s_mov_b32 s24, 0x387fffff
	v_cmp_lt_u32_e32 vcc, s24, v5
                                        ; implicit-def: $vgpr4
	s_and_saveexec_b64 s[24:25], vcc
	s_xor_b64 s[24:25], exec, s[24:25]
; %bb.954:
	v_bfe_u32 v4, v1, 21, 1
	s_mov_b32 s26, 0x80fffff
	v_add3_u32 v4, v1, v4, s26
	v_lshrrev_b32_e32 v4, 21, v4
; %bb.955:
	s_andn2_saveexec_b64 s[24:25], s[24:25]
; %bb.956:
	s_mov_b32 s26, 0x43000000
	v_add_f32_e64 v4, |v1|, s26
; %bb.957:
	s_or_b64 exec, exec, s[24:25]
                                        ; implicit-def: $vgpr5
.LBB296_958:
	s_andn2_saveexec_b64 s[22:23], s[22:23]
; %bb.959:
	s_mov_b32 s24, 0x7f800000
	v_mov_b32_e32 v4, 0x7c
	v_mov_b32_e32 v6, 0x7f
	v_cmp_lt_u32_e32 vcc, s24, v5
	s_nop 1
	v_cndmask_b32_e32 v4, v4, v6, vcc
; %bb.960:
	s_or_b64 exec, exec, s[22:23]
	v_lshrrev_b32_e32 v1, 24, v1
	s_movk_i32 s22, 0x80
	v_and_or_b32 v1, v1, s22, v4
	global_store_byte v[2:3], v1, off
.LBB296_961:
	s_mov_b64 s[22:23], 0
.LBB296_962:
	s_andn2_b64 vcc, exec, s[22:23]
	s_mov_b64 s[22:23], 0
	s_cbranch_vccnz .LBB296_970
; %bb.963:
	s_cmp_gt_i32 s29, 14
	s_mov_b64 s[24:25], -1
	s_cbranch_scc0 .LBB296_967
; %bb.964:
	s_cmp_eq_u32 s29, 15
	s_mov_b64 s[0:1], -1
	s_cbranch_scc0 .LBB296_966
; %bb.965:
	v_cvt_f32_i32_e32 v1, v0
	s_movk_i32 s0, 0x7fff
	v_bfe_u32 v4, v1, 16, 1
	v_add3_u32 v1, v1, v4, s0
	global_store_short_d16_hi v[2:3], v1, off
	s_mov_b64 s[0:1], 0
.LBB296_966:
	s_mov_b64 s[24:25], 0
.LBB296_967:
	s_and_b64 vcc, exec, s[24:25]
	s_cbranch_vccz .LBB296_970
; %bb.968:
	s_cmp_lg_u32 s29, 11
	s_cselect_b64 s[24:25], -1, 0
	s_andn2_b64 s[0:1], s[0:1], exec
	s_and_b64 s[24:25], s[24:25], exec
	s_mov_b64 s[22:23], -1
	s_or_b64 s[0:1], s[0:1], s[24:25]
	s_branch .LBB296_970
.LBB296_969:
	s_mov_b64 s[22:23], 0
.LBB296_970:
	s_andn2_b64 s[14:15], s[14:15], exec
	s_and_b64 s[0:1], s[0:1], exec
	s_and_b64 s[20:21], s[20:21], exec
	;; [unrolled: 1-line block ×3, first 2 shown]
	s_or_b64 s[14:15], s[14:15], s[0:1]
	s_or_b64 exec, exec, s[16:17]
	s_and_saveexec_b64 s[0:1], s[14:15]
	s_cbranch_execz .LBB296_899
.LBB296_971:
	s_or_b64 s[18:19], s[18:19], exec
	s_andn2_b64 s[22:23], s[22:23], exec
	s_trap 2
	s_or_b64 exec, exec, s[0:1]
	s_and_saveexec_b64 s[0:1], s[22:23]
	s_xor_b64 s[0:1], exec, s[0:1]
	s_cbranch_execnz .LBB296_900
.LBB296_972:
	s_or_b64 exec, exec, s[0:1]
	s_and_saveexec_b64 s[0:1], s[20:21]
	s_xor_b64 s[0:1], exec, s[0:1]
	s_cbranch_execz .LBB296_1010
.LBB296_973:
	s_sext_i32_i16 s16, s28
	s_cmp_lt_i32 s16, 5
	s_mov_b64 s[14:15], -1
	s_cbranch_scc1 .LBB296_994
; %bb.974:
	s_cmp_lt_i32 s16, 8
	s_cbranch_scc1 .LBB296_984
; %bb.975:
	s_cmp_lt_i32 s16, 9
	s_cbranch_scc1 .LBB296_981
; %bb.976:
	s_cmp_gt_i32 s16, 9
	s_cbranch_scc0 .LBB296_978
; %bb.977:
	v_mov_b32_e32 v6, 0
	s_waitcnt vmcnt(0)
	v_cvt_f64_i32_e32 v[4:5], v0
	v_mov_b32_e32 v7, v6
	s_mov_b64 s[14:15], 0
	global_store_dwordx4 v[2:3], v[4:7], off
.LBB296_978:
	s_andn2_b64 vcc, exec, s[14:15]
	s_cbranch_vccnz .LBB296_980
; %bb.979:
	v_cvt_f32_i32_e32 v4, v0
	s_waitcnt vmcnt(0)
	v_mov_b32_e32 v5, 0
	global_store_dwordx2 v[2:3], v[4:5], off
.LBB296_980:
	s_mov_b64 s[14:15], 0
.LBB296_981:
	s_andn2_b64 vcc, exec, s[14:15]
	s_cbranch_vccnz .LBB296_983
; %bb.982:
	v_cvt_f32_i32_e32 v1, v0
	v_cvt_f16_f32_e32 v1, v1
	s_waitcnt vmcnt(0)
	global_store_dword v[2:3], v1, off
.LBB296_983:
	s_mov_b64 s[14:15], 0
.LBB296_984:
	s_andn2_b64 vcc, exec, s[14:15]
	s_cbranch_vccnz .LBB296_993
; %bb.985:
	s_sext_i32_i16 s16, s28
	s_cmp_lt_i32 s16, 6
	s_mov_b64 s[14:15], -1
	s_cbranch_scc1 .LBB296_991
; %bb.986:
	s_cmp_gt_i32 s16, 6
	s_cbranch_scc0 .LBB296_988
; %bb.987:
	s_waitcnt vmcnt(0)
	v_cvt_f64_i32_e32 v[4:5], v0
	s_mov_b64 s[14:15], 0
	global_store_dwordx2 v[2:3], v[4:5], off
.LBB296_988:
	s_andn2_b64 vcc, exec, s[14:15]
	s_cbranch_vccnz .LBB296_990
; %bb.989:
	v_cvt_f32_i32_e32 v1, v0
	s_waitcnt vmcnt(0)
	global_store_dword v[2:3], v1, off
.LBB296_990:
	s_mov_b64 s[14:15], 0
.LBB296_991:
	s_andn2_b64 vcc, exec, s[14:15]
	s_cbranch_vccnz .LBB296_993
; %bb.992:
	v_cvt_f32_i32_e32 v1, v0
	v_cvt_f16_f32_e32 v1, v1
	s_waitcnt vmcnt(0)
	global_store_short v[2:3], v1, off
.LBB296_993:
	s_mov_b64 s[14:15], 0
.LBB296_994:
	s_andn2_b64 vcc, exec, s[14:15]
	s_cbranch_vccnz .LBB296_1010
; %bb.995:
	s_sext_i32_i16 s16, s28
	s_cmp_lt_i32 s16, 2
	s_mov_b64 s[14:15], -1
	s_cbranch_scc1 .LBB296_1005
; %bb.996:
	s_cmp_lt_i32 s16, 3
	s_cbranch_scc1 .LBB296_1002
; %bb.997:
	s_cmp_gt_i32 s16, 3
	s_cbranch_scc0 .LBB296_999
; %bb.998:
	v_ashrrev_i32_e32 v1, 31, v0
	s_mov_b64 s[14:15], 0
	s_waitcnt vmcnt(0)
	global_store_dwordx2 v[2:3], v[0:1], off
.LBB296_999:
	s_andn2_b64 vcc, exec, s[14:15]
	s_cbranch_vccnz .LBB296_1001
; %bb.1000:
	s_waitcnt vmcnt(0)
	global_store_dword v[2:3], v0, off
.LBB296_1001:
	s_mov_b64 s[14:15], 0
.LBB296_1002:
	s_andn2_b64 vcc, exec, s[14:15]
	s_cbranch_vccnz .LBB296_1004
; %bb.1003:
	s_waitcnt vmcnt(0)
	global_store_short v[2:3], v0, off
.LBB296_1004:
	s_mov_b64 s[14:15], 0
.LBB296_1005:
	s_andn2_b64 vcc, exec, s[14:15]
	s_cbranch_vccnz .LBB296_1010
; %bb.1006:
	s_sext_i32_i16 s14, s28
	s_cmp_gt_i32 s14, 0
	s_mov_b64 s[14:15], -1
	s_cbranch_scc0 .LBB296_1008
; %bb.1007:
	s_mov_b64 s[14:15], 0
	s_waitcnt vmcnt(0)
	global_store_byte v[2:3], v0, off
.LBB296_1008:
	s_andn2_b64 vcc, exec, s[14:15]
	s_cbranch_vccnz .LBB296_1010
; %bb.1009:
	s_waitcnt vmcnt(0)
	global_store_byte v[2:3], v0, off
.LBB296_1010:
	s_or_b64 exec, exec, s[0:1]
	s_and_b64 s[14:15], s[18:19], exec
                                        ; implicit-def: $vgpr4
.LBB296_1011:
	s_or_saveexec_b64 s[12:13], s[12:13]
	s_mov_b64 s[0:1], 0
                                        ; implicit-def: $sgpr22
                                        ; implicit-def: $vgpr0_vgpr1
                                        ; implicit-def: $vgpr2
	s_xor_b64 exec, exec, s[12:13]
	s_cbranch_execz .LBB296_1942
; %bb.1012:
	v_mul_lo_u32 v0, s9, v4
	v_ashrrev_i32_e32 v1, 31, v0
	s_and_b32 s22, 0xffff, s44
	s_cmp_lt_i32 s22, 11
	s_waitcnt vmcnt(0)
	v_lshl_add_u64 v[2:3], s[6:7], 0, v[0:1]
	s_cbranch_scc1 .LBB296_1019
; %bb.1013:
	s_cmp_gt_i32 s22, 25
	s_cbranch_scc0 .LBB296_1021
; %bb.1014:
	s_cmp_gt_i32 s22, 28
	s_cbranch_scc0 .LBB296_1022
	;; [unrolled: 3-line block ×4, first 2 shown]
; %bb.1017:
	s_cmp_eq_u32 s22, 46
	s_mov_b64 s[16:17], 0
	s_cbranch_scc0 .LBB296_1027
; %bb.1018:
	global_load_dword v1, v[2:3], off
	s_mov_b64 s[18:19], -1
	s_waitcnt vmcnt(0)
	v_lshlrev_b32_e32 v1, 16, v1
	v_cvt_i32_f32_e32 v5, v1
	s_branch .LBB296_1028
.LBB296_1019:
	s_mov_b64 s[18:19], 0
                                        ; implicit-def: $vgpr5
	s_mov_b64 s[16:17], s[14:15]
	s_cbranch_execnz .LBB296_1086
.LBB296_1020:
	s_andn2_b64 vcc, exec, s[18:19]
	s_cbranch_vccz .LBB296_1131
	s_branch .LBB296_1940
.LBB296_1021:
	s_mov_b64 s[18:19], 0
                                        ; implicit-def: $vgpr5
	s_cbranch_execnz .LBB296_1053
	s_branch .LBB296_1082
.LBB296_1022:
	s_mov_b64 s[18:19], 0
                                        ; implicit-def: $vgpr5
	s_cbranch_execz .LBB296_1052
	s_branch .LBB296_1037
.LBB296_1023:
	s_mov_b64 s[18:19], 0
                                        ; implicit-def: $vgpr5
	s_cbranch_execnz .LBB296_1033
	s_branch .LBB296_1036
.LBB296_1024:
	s_mov_b64 s[16:17], -1
	s_mov_b64 s[18:19], 0
                                        ; implicit-def: $vgpr5
	s_branch .LBB296_1028
.LBB296_1025:
	s_andn2_saveexec_b64 s[24:25], s[24:25]
	s_cbranch_execz .LBB296_924
.LBB296_1026:
	s_mov_b32 s26, 0x46000000
	v_add_f32_e64 v4, |v1|, s26
	v_and_b32_e32 v4, 0xff, v4
	v_cmp_ne_u32_e32 vcc, 0, v4
	s_andn2_b64 s[22:23], s[22:23], exec
	s_and_b64 s[26:27], vcc, exec
	s_or_b64 s[22:23], s[22:23], s[26:27]
	s_or_b64 exec, exec, s[24:25]
	v_mov_b32_e32 v5, 0
	s_and_saveexec_b64 s[24:25], s[22:23]
	s_cbranch_execnz .LBB296_925
	s_branch .LBB296_926
.LBB296_1027:
	s_mov_b64 s[0:1], -1
                                        ; implicit-def: $vgpr5
	s_mov_b64 s[18:19], 0
.LBB296_1028:
	s_and_b64 vcc, exec, s[16:17]
	s_cbranch_vccz .LBB296_1031
; %bb.1029:
	s_cmp_eq_u32 s22, 44
	s_cbranch_scc0 .LBB296_1032
; %bb.1030:
	global_load_ubyte v1, v[2:3], off
	s_mov_b64 s[0:1], 0
	s_mov_b64 s[18:19], -1
	s_waitcnt vmcnt(0)
	v_lshlrev_b32_e32 v5, 23, v1
	v_cvt_i32_f32_e32 v5, v5
	v_cmp_ne_u32_e32 vcc, 0, v1
	s_nop 1
	v_cndmask_b32_e32 v5, 0, v5, vcc
.LBB296_1031:
	s_branch .LBB296_1036
.LBB296_1032:
	s_mov_b64 s[0:1], -1
                                        ; implicit-def: $vgpr5
	s_branch .LBB296_1036
.LBB296_1033:
	s_cmp_eq_u32 s22, 29
	s_cbranch_scc0 .LBB296_1035
; %bb.1034:
	global_load_dword v5, v[2:3], off
	s_mov_b64 s[0:1], 0
	s_mov_b64 s[18:19], -1
	s_branch .LBB296_1036
.LBB296_1035:
	s_mov_b64 s[0:1], -1
                                        ; implicit-def: $vgpr5
.LBB296_1036:
	s_branch .LBB296_1052
.LBB296_1037:
	s_cmp_lt_i32 s22, 27
	s_cbranch_scc1 .LBB296_1040
; %bb.1038:
	s_cmp_gt_i32 s22, 27
	s_cbranch_scc0 .LBB296_1041
; %bb.1039:
	global_load_dword v5, v[2:3], off
	s_mov_b64 s[16:17], 0
	s_branch .LBB296_1042
.LBB296_1040:
	s_mov_b64 s[16:17], -1
                                        ; implicit-def: $vgpr5
	s_branch .LBB296_1045
.LBB296_1041:
	s_mov_b64 s[16:17], -1
                                        ; implicit-def: $vgpr5
.LBB296_1042:
	s_andn2_b64 vcc, exec, s[16:17]
	s_cbranch_vccnz .LBB296_1044
; %bb.1043:
	global_load_ushort v5, v[2:3], off
.LBB296_1044:
	s_mov_b64 s[16:17], 0
.LBB296_1045:
	s_andn2_b64 vcc, exec, s[16:17]
	s_cbranch_vccnz .LBB296_1051
; %bb.1046:
	global_load_ubyte v1, v[2:3], off
	s_movk_i32 s16, 0x7f
	s_mov_b64 s[18:19], 0
	s_waitcnt vmcnt(0)
	v_cmp_lt_i16_e32 vcc, s16, v1
	s_and_saveexec_b64 s[16:17], vcc
	s_xor_b64 s[16:17], exec, s[16:17]
	s_cbranch_execz .LBB296_1062
; %bb.1047:
	s_movk_i32 s18, 0x80
	v_cmp_ne_u16_e32 vcc, s18, v1
	s_and_b64 s[18:19], vcc, exec
	s_andn2_saveexec_b64 s[16:17], s[16:17]
	s_cbranch_execnz .LBB296_1063
.LBB296_1048:
	s_or_b64 exec, exec, s[16:17]
	v_mov_b32_e32 v5, 0
	s_and_saveexec_b64 s[16:17], s[18:19]
	s_cbranch_execz .LBB296_1050
.LBB296_1049:
	v_lshlrev_b32_e32 v5, 24, v1
	v_and_b32_e32 v1, 0xffff, v1
	v_and_b32_e32 v6, 7, v1
	v_ffbh_u32_e32 v8, v6
	v_min_u32_e32 v8, 32, v8
	v_subrev_u32_e32 v9, 28, v8
	v_bfe_u32 v7, v1, 3, 4
	v_lshlrev_b32_e32 v1, v9, v1
	v_sub_u32_e32 v8, 29, v8
	v_and_b32_e32 v1, 7, v1
	v_cmp_eq_u32_e32 vcc, 0, v7
	v_and_b32_e32 v5, 0x80000000, v5
	s_nop 0
	v_cndmask_b32_e32 v7, v7, v8, vcc
	v_cndmask_b32_e32 v1, v6, v1, vcc
	v_mov_b32_e32 v6, 0x3b800000
	v_lshlrev_b32_e32 v1, 20, v1
	v_lshl_add_u32 v6, v7, 23, v6
	v_or3_b32 v1, v5, v6, v1
	v_cvt_i32_f32_e32 v5, v1
.LBB296_1050:
	s_or_b64 exec, exec, s[16:17]
.LBB296_1051:
	s_mov_b64 s[18:19], -1
.LBB296_1052:
	s_branch .LBB296_1082
.LBB296_1053:
	s_cmp_gt_i32 s22, 22
	s_cbranch_scc0 .LBB296_1061
; %bb.1054:
	s_cmp_lt_i32 s22, 24
	s_cbranch_scc1 .LBB296_1064
; %bb.1055:
	s_cmp_gt_i32 s22, 24
	s_cbranch_scc0 .LBB296_1065
; %bb.1056:
	global_load_ubyte v1, v[2:3], off
	s_movk_i32 s2, 0x7f
	s_mov_b64 s[16:17], 0
	s_waitcnt vmcnt(0)
	v_cmp_lt_i16_e32 vcc, s2, v1
	s_and_saveexec_b64 s[2:3], vcc
	s_xor_b64 s[2:3], exec, s[2:3]
	s_cbranch_execz .LBB296_1076
; %bb.1057:
	s_movk_i32 s16, 0x80
	v_cmp_ne_u16_e32 vcc, s16, v1
	s_and_b64 s[16:17], vcc, exec
	s_andn2_saveexec_b64 s[2:3], s[2:3]
	s_cbranch_execnz .LBB296_1077
.LBB296_1058:
	s_or_b64 exec, exec, s[2:3]
	v_mov_b32_e32 v5, 0
	s_and_saveexec_b64 s[2:3], s[16:17]
	s_cbranch_execz .LBB296_1060
.LBB296_1059:
	v_lshlrev_b32_e32 v5, 24, v1
	v_and_b32_e32 v1, 0xffff, v1
	v_and_b32_e32 v6, 3, v1
	v_ffbh_u32_e32 v8, v6
	v_min_u32_e32 v8, 32, v8
	v_subrev_u32_e32 v9, 29, v8
	v_bfe_u32 v7, v1, 2, 5
	v_lshlrev_b32_e32 v1, v9, v1
	v_sub_u32_e32 v8, 30, v8
	v_and_b32_e32 v1, 3, v1
	v_cmp_eq_u32_e32 vcc, 0, v7
	v_and_b32_e32 v5, 0x80000000, v5
	s_nop 0
	v_cndmask_b32_e32 v7, v7, v8, vcc
	v_cndmask_b32_e32 v1, v6, v1, vcc
	v_mov_b32_e32 v6, 0x37800000
	v_lshlrev_b32_e32 v1, 21, v1
	v_lshl_add_u32 v6, v7, 23, v6
	v_or3_b32 v1, v5, v6, v1
	v_cvt_i32_f32_e32 v5, v1
.LBB296_1060:
	s_or_b64 exec, exec, s[2:3]
	s_mov_b64 s[2:3], 0
	s_branch .LBB296_1066
.LBB296_1061:
                                        ; implicit-def: $vgpr5
	s_mov_b64 s[2:3], 0
	s_branch .LBB296_1072
.LBB296_1062:
	s_andn2_saveexec_b64 s[16:17], s[16:17]
	s_cbranch_execz .LBB296_1048
.LBB296_1063:
	v_cmp_ne_u16_e32 vcc, 0, v1
	s_andn2_b64 s[18:19], s[18:19], exec
	s_and_b64 s[20:21], vcc, exec
	s_or_b64 s[18:19], s[18:19], s[20:21]
	s_or_b64 exec, exec, s[16:17]
	v_mov_b32_e32 v5, 0
	s_and_saveexec_b64 s[16:17], s[18:19]
	s_cbranch_execnz .LBB296_1049
	s_branch .LBB296_1050
.LBB296_1064:
	s_mov_b64 s[2:3], -1
                                        ; implicit-def: $vgpr5
	s_branch .LBB296_1069
.LBB296_1065:
	s_mov_b64 s[2:3], -1
                                        ; implicit-def: $vgpr5
.LBB296_1066:
	s_and_b64 vcc, exec, s[2:3]
	s_cbranch_vccz .LBB296_1068
; %bb.1067:
	global_load_ubyte v1, v[2:3], off
	s_mov_b32 s2, 0x7f800000
	s_waitcnt vmcnt(0)
	v_lshlrev_b32_e32 v1, 24, v1
	v_and_b32_e32 v5, 0x7f000000, v1
	v_ffbh_u32_e32 v6, v5
	v_min_u32_e32 v6, 32, v6
	v_sub_u32_e64 v6, v6, 4 clamp
	v_lshlrev_b32_e32 v8, v6, v5
	v_lshlrev_b32_e32 v6, 23, v6
	v_lshrrev_b32_e32 v8, 4, v8
	v_add_u32_e32 v7, 0x1000000, v5
	v_sub_u32_e32 v6, v8, v6
	v_ashrrev_i32_e32 v7, 8, v7
	v_add_u32_e32 v6, 0x3c000000, v6
	v_and_or_b32 v6, v7, s2, v6
	v_cmp_ne_u32_e32 vcc, 0, v5
	s_brev_b32 s2, 1
	s_nop 0
	v_cndmask_b32_e32 v5, 0, v6, vcc
	v_and_or_b32 v1, v1, s2, v5
	v_cvt_i32_f32_e32 v5, v1
.LBB296_1068:
	s_mov_b64 s[2:3], 0
.LBB296_1069:
	s_andn2_b64 vcc, exec, s[2:3]
	s_cbranch_vccnz .LBB296_1071
; %bb.1070:
	global_load_ubyte v1, v[2:3], off
	s_movk_i32 s2, 0x7f00
	s_brev_b32 s3, 16
	s_waitcnt vmcnt(0)
	v_lshlrev_b16_e32 v5, 8, v1
	v_lshlrev_b32_e32 v1, 25, v1
	v_lshrrev_b32_e32 v6, 4, v1
	v_and_or_b32 v7, v5, s2, 0.5
	v_or_b32_e32 v6, 0x70000000, v6
	v_add_f32_e32 v7, -0.5, v7
	v_mul_f32_e32 v6, 0x7800000, v6
	v_cmp_gt_u32_e32 vcc, s3, v1
	v_bfe_i32 v5, v5, 0, 16
	s_brev_b32 s2, 1
	v_cndmask_b32_e32 v1, v6, v7, vcc
	v_and_or_b32 v1, v5, s2, v1
	v_cvt_i32_f32_e32 v5, v1
.LBB296_1071:
	s_mov_b64 s[18:19], -1
	s_mov_b64 s[2:3], 0
	s_cbranch_execnz .LBB296_1082
.LBB296_1072:
	s_cmp_gt_i32 s22, 14
	s_cbranch_scc0 .LBB296_1075
; %bb.1073:
	s_cmp_eq_u32 s22, 15
	s_cbranch_scc0 .LBB296_1078
; %bb.1074:
	global_load_ushort v1, v[2:3], off
	s_mov_b64 s[0:1], 0
	s_mov_b64 s[18:19], -1
	s_waitcnt vmcnt(0)
	v_lshlrev_b32_e32 v1, 16, v1
	v_cvt_i32_f32_e32 v5, v1
	s_branch .LBB296_1079
.LBB296_1075:
	s_mov_b64 s[16:17], -1
                                        ; implicit-def: $vgpr5
	s_branch .LBB296_1080
.LBB296_1076:
	s_andn2_saveexec_b64 s[2:3], s[2:3]
	s_cbranch_execz .LBB296_1058
.LBB296_1077:
	v_cmp_ne_u16_e32 vcc, 0, v1
	s_andn2_b64 s[16:17], s[16:17], exec
	s_and_b64 s[18:19], vcc, exec
	s_or_b64 s[16:17], s[16:17], s[18:19]
	s_or_b64 exec, exec, s[2:3]
	v_mov_b32_e32 v5, 0
	s_and_saveexec_b64 s[2:3], s[16:17]
	s_cbranch_execnz .LBB296_1059
	s_branch .LBB296_1060
.LBB296_1078:
	s_mov_b64 s[0:1], -1
                                        ; implicit-def: $vgpr5
.LBB296_1079:
	s_mov_b64 s[16:17], 0
.LBB296_1080:
	s_and_b64 vcc, exec, s[16:17]
	s_cbranch_vccz .LBB296_1082
; %bb.1081:
	s_cmp_lg_u32 s22, 11
	s_mov_b64 s[2:3], -1
	s_cselect_b64 s[0:1], -1, 0
.LBB296_1082:
	s_and_b64 vcc, exec, s[0:1]
	s_mov_b64 s[16:17], s[14:15]
	s_cbranch_vccnz .LBB296_1143
; %bb.1083:
	s_andn2_b64 vcc, exec, s[2:3]
	s_cbranch_vccnz .LBB296_1085
.LBB296_1084:
	global_load_ubyte v1, v[2:3], off
	s_mov_b64 s[18:19], -1
	s_waitcnt vmcnt(0)
	v_cmp_ne_u16_e32 vcc, 0, v1
	s_nop 1
	v_cndmask_b32_e64 v5, 0, 1, vcc
.LBB296_1085:
	s_branch .LBB296_1020
.LBB296_1086:
	s_cmp_lt_i32 s22, 5
	s_cbranch_scc1 .LBB296_1091
; %bb.1087:
	s_cmp_lt_i32 s22, 8
	s_cbranch_scc1 .LBB296_1092
; %bb.1088:
	;; [unrolled: 3-line block ×3, first 2 shown]
	s_cmp_gt_i32 s22, 9
	s_cbranch_scc0 .LBB296_1094
; %bb.1090:
	global_load_dwordx2 v[6:7], v[2:3], off
	s_mov_b64 s[0:1], 0
	s_waitcnt vmcnt(0)
	v_cvt_i32_f64_e32 v5, v[6:7]
	s_branch .LBB296_1095
.LBB296_1091:
                                        ; implicit-def: $vgpr5
	s_branch .LBB296_1112
.LBB296_1092:
                                        ; implicit-def: $vgpr5
	s_branch .LBB296_1101
.LBB296_1093:
	s_mov_b64 s[0:1], -1
                                        ; implicit-def: $vgpr5
	s_branch .LBB296_1098
.LBB296_1094:
	s_mov_b64 s[0:1], -1
                                        ; implicit-def: $vgpr5
.LBB296_1095:
	s_andn2_b64 vcc, exec, s[0:1]
	s_cbranch_vccnz .LBB296_1097
; %bb.1096:
	global_load_dword v1, v[2:3], off
	s_waitcnt vmcnt(0)
	v_cvt_i32_f32_e32 v5, v1
.LBB296_1097:
	s_mov_b64 s[0:1], 0
.LBB296_1098:
	s_andn2_b64 vcc, exec, s[0:1]
	s_cbranch_vccnz .LBB296_1100
; %bb.1099:
	global_load_dword v1, v[2:3], off
	s_waitcnt vmcnt(0)
	v_cvt_f32_f16_e32 v1, v1
	v_cvt_i32_f32_e32 v5, v1
.LBB296_1100:
	s_cbranch_execnz .LBB296_1111
.LBB296_1101:
	s_cmp_lt_i32 s22, 6
	s_cbranch_scc1 .LBB296_1104
; %bb.1102:
	s_cmp_gt_i32 s22, 6
	s_cbranch_scc0 .LBB296_1105
; %bb.1103:
	global_load_dwordx2 v[6:7], v[2:3], off
	s_mov_b64 s[0:1], 0
	s_waitcnt vmcnt(0)
	v_cvt_i32_f64_e32 v5, v[6:7]
	s_branch .LBB296_1106
.LBB296_1104:
	s_mov_b64 s[0:1], -1
                                        ; implicit-def: $vgpr5
	s_branch .LBB296_1109
.LBB296_1105:
	s_mov_b64 s[0:1], -1
                                        ; implicit-def: $vgpr5
.LBB296_1106:
	s_andn2_b64 vcc, exec, s[0:1]
	s_cbranch_vccnz .LBB296_1108
; %bb.1107:
	global_load_dword v1, v[2:3], off
	s_waitcnt vmcnt(0)
	v_cvt_i32_f32_e32 v5, v1
.LBB296_1108:
	s_mov_b64 s[0:1], 0
.LBB296_1109:
	s_andn2_b64 vcc, exec, s[0:1]
	s_cbranch_vccnz .LBB296_1111
; %bb.1110:
	global_load_ushort v1, v[2:3], off
	s_waitcnt vmcnt(0)
	v_cvt_f32_f16_e32 v1, v1
	v_cvt_i32_f32_e32 v5, v1
.LBB296_1111:
	s_cbranch_execnz .LBB296_1130
.LBB296_1112:
	s_cmp_lt_i32 s22, 2
	s_cbranch_scc1 .LBB296_1116
; %bb.1113:
	s_cmp_lt_i32 s22, 3
	s_cbranch_scc1 .LBB296_1117
; %bb.1114:
	s_cmp_gt_i32 s22, 3
	s_cbranch_scc0 .LBB296_1118
; %bb.1115:
	global_load_dword v5, v[2:3], off
	s_mov_b64 s[0:1], 0
	s_branch .LBB296_1119
.LBB296_1116:
                                        ; implicit-def: $vgpr5
	s_branch .LBB296_1125
.LBB296_1117:
	s_mov_b64 s[0:1], -1
                                        ; implicit-def: $vgpr5
	s_branch .LBB296_1122
.LBB296_1118:
	s_mov_b64 s[0:1], -1
                                        ; implicit-def: $vgpr5
.LBB296_1119:
	s_andn2_b64 vcc, exec, s[0:1]
	s_cbranch_vccnz .LBB296_1121
; %bb.1120:
	global_load_dword v5, v[2:3], off
.LBB296_1121:
	s_mov_b64 s[0:1], 0
.LBB296_1122:
	s_andn2_b64 vcc, exec, s[0:1]
	s_cbranch_vccnz .LBB296_1124
; %bb.1123:
	global_load_sshort v5, v[2:3], off
.LBB296_1124:
	s_cbranch_execnz .LBB296_1130
.LBB296_1125:
	s_cmp_gt_i32 s22, 0
	s_cbranch_scc0 .LBB296_1127
; %bb.1126:
	global_load_sbyte v5, v[2:3], off
	s_mov_b64 s[0:1], 0
	s_branch .LBB296_1128
.LBB296_1127:
	s_mov_b64 s[0:1], -1
                                        ; implicit-def: $vgpr5
.LBB296_1128:
	s_andn2_b64 vcc, exec, s[0:1]
	s_cbranch_vccnz .LBB296_1130
; %bb.1129:
	global_load_ubyte v5, v[2:3], off
.LBB296_1130:
.LBB296_1131:
	s_lshl_b32 s9, s9, 7
	v_add_u32_e32 v0, s9, v0
	v_ashrrev_i32_e32 v1, 31, v0
	s_cmp_lt_i32 s22, 11
	v_lshl_add_u64 v[2:3], s[6:7], 0, v[0:1]
	s_cbranch_scc1 .LBB296_1138
; %bb.1132:
	s_cmp_gt_i32 s22, 25
	s_mov_b64 s[2:3], 0
	s_cbranch_scc0 .LBB296_1140
; %bb.1133:
	s_cmp_gt_i32 s22, 28
	s_cbranch_scc0 .LBB296_1141
; %bb.1134:
	s_cmp_gt_i32 s22, 43
	;; [unrolled: 3-line block ×3, first 2 shown]
	s_cbranch_scc0 .LBB296_1144
; %bb.1136:
	s_cmp_eq_u32 s22, 46
	s_mov_b64 s[20:21], 0
	s_cbranch_scc0 .LBB296_1147
; %bb.1137:
	global_load_dword v1, v[2:3], off
	s_mov_b64 s[0:1], 0
	s_mov_b64 s[18:19], -1
	s_waitcnt vmcnt(0)
	v_lshlrev_b32_e32 v1, 16, v1
	v_cvt_i32_f32_e32 v8, v1
	s_branch .LBB296_1148
.LBB296_1138:
	s_mov_b64 s[18:19], 0
                                        ; implicit-def: $vgpr8
	s_cbranch_execnz .LBB296_1209
.LBB296_1139:
	s_andn2_b64 vcc, exec, s[18:19]
	s_cbranch_vccnz .LBB296_1940
	s_branch .LBB296_1256
.LBB296_1140:
	s_mov_b64 s[18:19], 0
	s_mov_b64 s[0:1], 0
                                        ; implicit-def: $vgpr8
	s_cbranch_execnz .LBB296_1175
	s_branch .LBB296_1205
.LBB296_1141:
	s_mov_b64 s[20:21], -1
	s_mov_b64 s[18:19], 0
	s_mov_b64 s[0:1], 0
                                        ; implicit-def: $vgpr8
	s_branch .LBB296_1158
.LBB296_1142:
	s_mov_b64 s[20:21], -1
	s_mov_b64 s[18:19], 0
	s_mov_b64 s[0:1], 0
                                        ; implicit-def: $vgpr8
	s_branch .LBB296_1153
.LBB296_1143:
	s_or_b64 s[16:17], s[14:15], exec
	s_trap 2
	s_cbranch_execz .LBB296_1084
	s_branch .LBB296_1085
.LBB296_1144:
	s_mov_b64 s[20:21], -1
	s_mov_b64 s[18:19], 0
	s_mov_b64 s[0:1], 0
                                        ; implicit-def: $vgpr8
	s_branch .LBB296_1148
.LBB296_1145:
	s_andn2_saveexec_b64 s[26:27], s[26:27]
	s_cbranch_execz .LBB296_936
.LBB296_1146:
	s_mov_b32 s30, 0x42800000
	v_add_f32_e64 v4, |v1|, s30
	v_and_b32_e32 v4, 0xff, v4
	v_cmp_ne_u32_e32 vcc, 0, v4
	s_andn2_b64 s[24:25], s[24:25], exec
	s_and_b64 s[30:31], vcc, exec
	s_or_b64 s[24:25], s[24:25], s[30:31]
	s_or_b64 exec, exec, s[26:27]
	v_mov_b32_e32 v5, 0
	s_and_saveexec_b64 s[26:27], s[24:25]
	s_cbranch_execnz .LBB296_937
	s_branch .LBB296_938
.LBB296_1147:
	s_mov_b64 s[0:1], -1
                                        ; implicit-def: $vgpr8
	s_mov_b64 s[18:19], 0
.LBB296_1148:
	s_and_b64 vcc, exec, s[20:21]
	s_cbranch_vccz .LBB296_1152
; %bb.1149:
	s_cmp_eq_u32 s22, 44
	s_cbranch_scc0 .LBB296_1151
; %bb.1150:
	global_load_ubyte v1, v[2:3], off
	s_mov_b64 s[0:1], 0
	s_mov_b64 s[18:19], -1
	s_waitcnt vmcnt(0)
	v_lshlrev_b32_e32 v6, 23, v1
	v_cvt_i32_f32_e32 v6, v6
	v_cmp_ne_u32_e32 vcc, 0, v1
	s_nop 1
	v_cndmask_b32_e32 v8, 0, v6, vcc
	s_branch .LBB296_1152
.LBB296_1151:
	s_mov_b64 s[0:1], -1
                                        ; implicit-def: $vgpr8
.LBB296_1152:
	s_mov_b64 s[20:21], 0
.LBB296_1153:
	s_and_b64 vcc, exec, s[20:21]
	s_cbranch_vccz .LBB296_1157
; %bb.1154:
	s_cmp_eq_u32 s22, 29
	s_cbranch_scc0 .LBB296_1156
; %bb.1155:
	global_load_dword v8, v[2:3], off
	s_mov_b64 s[0:1], 0
	s_mov_b64 s[18:19], -1
	s_branch .LBB296_1157
.LBB296_1156:
	s_mov_b64 s[0:1], -1
                                        ; implicit-def: $vgpr8
.LBB296_1157:
	s_mov_b64 s[20:21], 0
.LBB296_1158:
	s_and_b64 vcc, exec, s[20:21]
	s_cbranch_vccz .LBB296_1174
; %bb.1159:
	s_cmp_lt_i32 s22, 27
	s_cbranch_scc1 .LBB296_1162
; %bb.1160:
	s_cmp_gt_i32 s22, 27
	s_cbranch_scc0 .LBB296_1163
; %bb.1161:
	global_load_dword v8, v[2:3], off
	s_mov_b64 s[18:19], 0
	s_branch .LBB296_1164
.LBB296_1162:
	s_mov_b64 s[18:19], -1
                                        ; implicit-def: $vgpr8
	s_branch .LBB296_1167
.LBB296_1163:
	s_mov_b64 s[18:19], -1
                                        ; implicit-def: $vgpr8
.LBB296_1164:
	s_andn2_b64 vcc, exec, s[18:19]
	s_cbranch_vccnz .LBB296_1166
; %bb.1165:
	global_load_ushort v8, v[2:3], off
.LBB296_1166:
	s_mov_b64 s[18:19], 0
.LBB296_1167:
	s_andn2_b64 vcc, exec, s[18:19]
	s_cbranch_vccnz .LBB296_1173
; %bb.1168:
	global_load_ubyte v1, v[2:3], off
	s_movk_i32 s18, 0x7f
	s_mov_b64 s[20:21], 0
	s_waitcnt vmcnt(0)
	v_cmp_lt_i16_e32 vcc, s18, v1
	s_and_saveexec_b64 s[18:19], vcc
	s_xor_b64 s[18:19], exec, s[18:19]
	s_cbranch_execz .LBB296_1184
; %bb.1169:
	s_movk_i32 s20, 0x80
	v_cmp_ne_u16_e32 vcc, s20, v1
	s_and_b64 s[20:21], vcc, exec
	s_andn2_saveexec_b64 s[18:19], s[18:19]
	s_cbranch_execnz .LBB296_1185
.LBB296_1170:
	s_or_b64 exec, exec, s[18:19]
	v_mov_b32_e32 v8, 0
	s_and_saveexec_b64 s[18:19], s[20:21]
	s_cbranch_execz .LBB296_1172
.LBB296_1171:
	v_lshlrev_b32_e32 v6, 24, v1
	v_and_b32_e32 v1, 0xffff, v1
	v_and_b32_e32 v7, 7, v1
	v_ffbh_u32_e32 v9, v7
	v_min_u32_e32 v9, 32, v9
	v_subrev_u32_e32 v10, 28, v9
	v_bfe_u32 v8, v1, 3, 4
	v_lshlrev_b32_e32 v1, v10, v1
	v_sub_u32_e32 v9, 29, v9
	v_and_b32_e32 v1, 7, v1
	v_cmp_eq_u32_e32 vcc, 0, v8
	v_and_b32_e32 v6, 0x80000000, v6
	s_nop 0
	v_cndmask_b32_e32 v8, v8, v9, vcc
	v_cndmask_b32_e32 v1, v7, v1, vcc
	v_mov_b32_e32 v7, 0x3b800000
	v_lshlrev_b32_e32 v1, 20, v1
	v_lshl_add_u32 v7, v8, 23, v7
	v_or3_b32 v1, v6, v7, v1
	v_cvt_i32_f32_e32 v8, v1
.LBB296_1172:
	s_or_b64 exec, exec, s[18:19]
.LBB296_1173:
	s_mov_b64 s[18:19], -1
.LBB296_1174:
	s_branch .LBB296_1205
.LBB296_1175:
	s_cmp_gt_i32 s22, 22
	s_cbranch_scc0 .LBB296_1183
; %bb.1176:
	s_cmp_lt_i32 s22, 24
	s_cbranch_scc1 .LBB296_1186
; %bb.1177:
	s_cmp_gt_i32 s22, 24
	s_cbranch_scc0 .LBB296_1187
; %bb.1178:
	global_load_ubyte v1, v[2:3], off
	s_movk_i32 s2, 0x7f
	s_mov_b64 s[18:19], 0
	s_waitcnt vmcnt(0)
	v_cmp_lt_i16_e32 vcc, s2, v1
	s_and_saveexec_b64 s[2:3], vcc
	s_xor_b64 s[2:3], exec, s[2:3]
	s_cbranch_execz .LBB296_1199
; %bb.1179:
	s_movk_i32 s18, 0x80
	v_cmp_ne_u16_e32 vcc, s18, v1
	s_and_b64 s[18:19], vcc, exec
	s_andn2_saveexec_b64 s[2:3], s[2:3]
	s_cbranch_execnz .LBB296_1200
.LBB296_1180:
	s_or_b64 exec, exec, s[2:3]
	v_mov_b32_e32 v8, 0
	s_and_saveexec_b64 s[2:3], s[18:19]
	s_cbranch_execz .LBB296_1182
.LBB296_1181:
	v_lshlrev_b32_e32 v6, 24, v1
	v_and_b32_e32 v1, 0xffff, v1
	v_and_b32_e32 v7, 3, v1
	v_ffbh_u32_e32 v9, v7
	v_min_u32_e32 v9, 32, v9
	v_subrev_u32_e32 v10, 29, v9
	v_bfe_u32 v8, v1, 2, 5
	v_lshlrev_b32_e32 v1, v10, v1
	v_sub_u32_e32 v9, 30, v9
	v_and_b32_e32 v1, 3, v1
	v_cmp_eq_u32_e32 vcc, 0, v8
	v_and_b32_e32 v6, 0x80000000, v6
	s_nop 0
	v_cndmask_b32_e32 v8, v8, v9, vcc
	v_cndmask_b32_e32 v1, v7, v1, vcc
	v_mov_b32_e32 v7, 0x37800000
	v_lshlrev_b32_e32 v1, 21, v1
	v_lshl_add_u32 v7, v8, 23, v7
	v_or3_b32 v1, v6, v7, v1
	v_cvt_i32_f32_e32 v8, v1
.LBB296_1182:
	s_or_b64 exec, exec, s[2:3]
	s_mov_b64 s[2:3], 0
	s_branch .LBB296_1188
.LBB296_1183:
	s_mov_b64 s[2:3], -1
                                        ; implicit-def: $vgpr8
	s_branch .LBB296_1194
.LBB296_1184:
	s_andn2_saveexec_b64 s[18:19], s[18:19]
	s_cbranch_execz .LBB296_1170
.LBB296_1185:
	v_cmp_ne_u16_e32 vcc, 0, v1
	s_andn2_b64 s[20:21], s[20:21], exec
	s_and_b64 s[24:25], vcc, exec
	s_or_b64 s[20:21], s[20:21], s[24:25]
	s_or_b64 exec, exec, s[18:19]
	v_mov_b32_e32 v8, 0
	s_and_saveexec_b64 s[18:19], s[20:21]
	s_cbranch_execnz .LBB296_1171
	s_branch .LBB296_1172
.LBB296_1186:
	s_mov_b64 s[2:3], -1
                                        ; implicit-def: $vgpr8
	s_branch .LBB296_1191
.LBB296_1187:
	s_mov_b64 s[2:3], -1
                                        ; implicit-def: $vgpr8
.LBB296_1188:
	s_and_b64 vcc, exec, s[2:3]
	s_cbranch_vccz .LBB296_1190
; %bb.1189:
	global_load_ubyte v1, v[2:3], off
	s_mov_b32 s2, 0x7f800000
	s_waitcnt vmcnt(0)
	v_lshlrev_b32_e32 v1, 24, v1
	v_and_b32_e32 v6, 0x7f000000, v1
	v_ffbh_u32_e32 v7, v6
	v_min_u32_e32 v7, 32, v7
	v_sub_u32_e64 v7, v7, 4 clamp
	v_lshlrev_b32_e32 v9, v7, v6
	v_lshlrev_b32_e32 v7, 23, v7
	v_lshrrev_b32_e32 v9, 4, v9
	v_add_u32_e32 v8, 0x1000000, v6
	v_sub_u32_e32 v7, v9, v7
	v_ashrrev_i32_e32 v8, 8, v8
	v_add_u32_e32 v7, 0x3c000000, v7
	v_and_or_b32 v7, v8, s2, v7
	v_cmp_ne_u32_e32 vcc, 0, v6
	s_brev_b32 s2, 1
	s_nop 0
	v_cndmask_b32_e32 v6, 0, v7, vcc
	v_and_or_b32 v1, v1, s2, v6
	v_cvt_i32_f32_e32 v8, v1
.LBB296_1190:
	s_mov_b64 s[2:3], 0
.LBB296_1191:
	s_andn2_b64 vcc, exec, s[2:3]
	s_cbranch_vccnz .LBB296_1193
; %bb.1192:
	global_load_ubyte v1, v[2:3], off
	s_movk_i32 s2, 0x7f00
	s_brev_b32 s3, 16
	s_waitcnt vmcnt(0)
	v_lshlrev_b16_e32 v6, 8, v1
	v_lshlrev_b32_e32 v1, 25, v1
	v_lshrrev_b32_e32 v7, 4, v1
	v_and_or_b32 v8, v6, s2, 0.5
	v_or_b32_e32 v7, 0x70000000, v7
	v_add_f32_e32 v8, -0.5, v8
	v_mul_f32_e32 v7, 0x7800000, v7
	v_cmp_gt_u32_e32 vcc, s3, v1
	v_bfe_i32 v6, v6, 0, 16
	s_brev_b32 s2, 1
	v_cndmask_b32_e32 v1, v7, v8, vcc
	v_and_or_b32 v1, v6, s2, v1
	v_cvt_i32_f32_e32 v8, v1
.LBB296_1193:
	s_mov_b64 s[2:3], 0
	s_mov_b64 s[18:19], -1
.LBB296_1194:
	s_andn2_b64 vcc, exec, s[2:3]
	s_mov_b64 s[2:3], 0
	s_cbranch_vccnz .LBB296_1205
; %bb.1195:
	s_cmp_gt_i32 s22, 14
	s_cbranch_scc0 .LBB296_1198
; %bb.1196:
	s_cmp_eq_u32 s22, 15
	s_cbranch_scc0 .LBB296_1201
; %bb.1197:
	global_load_ushort v1, v[2:3], off
	s_mov_b64 s[0:1], 0
	s_mov_b64 s[18:19], -1
	s_waitcnt vmcnt(0)
	v_lshlrev_b32_e32 v1, 16, v1
	v_cvt_i32_f32_e32 v8, v1
	s_branch .LBB296_1202
.LBB296_1198:
	s_mov_b64 s[20:21], -1
                                        ; implicit-def: $vgpr8
	s_branch .LBB296_1203
.LBB296_1199:
	s_andn2_saveexec_b64 s[2:3], s[2:3]
	s_cbranch_execz .LBB296_1180
.LBB296_1200:
	v_cmp_ne_u16_e32 vcc, 0, v1
	s_andn2_b64 s[18:19], s[18:19], exec
	s_and_b64 s[20:21], vcc, exec
	s_or_b64 s[18:19], s[18:19], s[20:21]
	s_or_b64 exec, exec, s[2:3]
	v_mov_b32_e32 v8, 0
	s_and_saveexec_b64 s[2:3], s[18:19]
	s_cbranch_execnz .LBB296_1181
	s_branch .LBB296_1182
.LBB296_1201:
	s_mov_b64 s[0:1], -1
                                        ; implicit-def: $vgpr8
.LBB296_1202:
	s_mov_b64 s[20:21], 0
.LBB296_1203:
	s_and_b64 vcc, exec, s[20:21]
	s_cbranch_vccz .LBB296_1205
; %bb.1204:
	s_cmp_lg_u32 s22, 11
	s_mov_b64 s[2:3], -1
	s_cselect_b64 s[0:1], -1, 0
.LBB296_1205:
	s_and_b64 vcc, exec, s[0:1]
	s_cbranch_vccnz .LBB296_1268
; %bb.1206:
	s_andn2_b64 vcc, exec, s[2:3]
	s_cbranch_vccnz .LBB296_1208
.LBB296_1207:
	global_load_ubyte v1, v[2:3], off
	s_mov_b64 s[18:19], -1
	s_waitcnt vmcnt(0)
	v_cmp_ne_u16_e32 vcc, 0, v1
	s_nop 1
	v_cndmask_b32_e64 v8, 0, 1, vcc
.LBB296_1208:
	s_branch .LBB296_1139
.LBB296_1209:
	s_cmp_lt_i32 s22, 5
	s_cbranch_scc1 .LBB296_1214
; %bb.1210:
	s_cmp_lt_i32 s22, 8
	s_cbranch_scc1 .LBB296_1215
; %bb.1211:
	;; [unrolled: 3-line block ×3, first 2 shown]
	s_cmp_gt_i32 s22, 9
	s_cbranch_scc0 .LBB296_1217
; %bb.1213:
	global_load_dwordx2 v[6:7], v[2:3], off
	s_mov_b64 s[0:1], 0
	s_waitcnt vmcnt(0)
	v_cvt_i32_f64_e32 v8, v[6:7]
	s_branch .LBB296_1218
.LBB296_1214:
                                        ; implicit-def: $vgpr8
	s_branch .LBB296_1236
.LBB296_1215:
	s_mov_b64 s[0:1], -1
                                        ; implicit-def: $vgpr8
	s_branch .LBB296_1224
.LBB296_1216:
	s_mov_b64 s[0:1], -1
                                        ; implicit-def: $vgpr8
	s_branch .LBB296_1221
.LBB296_1217:
	s_mov_b64 s[0:1], -1
                                        ; implicit-def: $vgpr8
.LBB296_1218:
	s_andn2_b64 vcc, exec, s[0:1]
	s_cbranch_vccnz .LBB296_1220
; %bb.1219:
	global_load_dword v1, v[2:3], off
	s_waitcnt vmcnt(0)
	v_cvt_i32_f32_e32 v8, v1
.LBB296_1220:
	s_mov_b64 s[0:1], 0
.LBB296_1221:
	s_andn2_b64 vcc, exec, s[0:1]
	s_cbranch_vccnz .LBB296_1223
; %bb.1222:
	global_load_dword v1, v[2:3], off
	s_waitcnt vmcnt(0)
	v_cvt_f32_f16_e32 v1, v1
	v_cvt_i32_f32_e32 v8, v1
.LBB296_1223:
	s_mov_b64 s[0:1], 0
.LBB296_1224:
	s_andn2_b64 vcc, exec, s[0:1]
	s_cbranch_vccnz .LBB296_1235
; %bb.1225:
	s_cmp_lt_i32 s22, 6
	s_cbranch_scc1 .LBB296_1228
; %bb.1226:
	s_cmp_gt_i32 s22, 6
	s_cbranch_scc0 .LBB296_1229
; %bb.1227:
	global_load_dwordx2 v[6:7], v[2:3], off
	s_mov_b64 s[0:1], 0
	s_waitcnt vmcnt(0)
	v_cvt_i32_f64_e32 v8, v[6:7]
	s_branch .LBB296_1230
.LBB296_1228:
	s_mov_b64 s[0:1], -1
                                        ; implicit-def: $vgpr8
	s_branch .LBB296_1233
.LBB296_1229:
	s_mov_b64 s[0:1], -1
                                        ; implicit-def: $vgpr8
.LBB296_1230:
	s_andn2_b64 vcc, exec, s[0:1]
	s_cbranch_vccnz .LBB296_1232
; %bb.1231:
	global_load_dword v1, v[2:3], off
	s_waitcnt vmcnt(0)
	v_cvt_i32_f32_e32 v8, v1
.LBB296_1232:
	s_mov_b64 s[0:1], 0
.LBB296_1233:
	s_andn2_b64 vcc, exec, s[0:1]
	s_cbranch_vccnz .LBB296_1235
; %bb.1234:
	global_load_ushort v1, v[2:3], off
	s_waitcnt vmcnt(0)
	v_cvt_f32_f16_e32 v1, v1
	v_cvt_i32_f32_e32 v8, v1
.LBB296_1235:
	s_cbranch_execnz .LBB296_1255
.LBB296_1236:
	s_cmp_lt_i32 s22, 2
	s_cbranch_scc1 .LBB296_1240
; %bb.1237:
	s_cmp_lt_i32 s22, 3
	s_cbranch_scc1 .LBB296_1241
; %bb.1238:
	s_cmp_gt_i32 s22, 3
	s_cbranch_scc0 .LBB296_1242
; %bb.1239:
	global_load_dword v8, v[2:3], off
	s_mov_b64 s[0:1], 0
	s_branch .LBB296_1243
.LBB296_1240:
	s_mov_b64 s[0:1], -1
                                        ; implicit-def: $vgpr8
	s_branch .LBB296_1249
.LBB296_1241:
	s_mov_b64 s[0:1], -1
                                        ; implicit-def: $vgpr8
	s_branch .LBB296_1246
.LBB296_1242:
	s_mov_b64 s[0:1], -1
                                        ; implicit-def: $vgpr8
.LBB296_1243:
	s_andn2_b64 vcc, exec, s[0:1]
	s_cbranch_vccnz .LBB296_1245
; %bb.1244:
	global_load_dword v8, v[2:3], off
.LBB296_1245:
	s_mov_b64 s[0:1], 0
.LBB296_1246:
	s_andn2_b64 vcc, exec, s[0:1]
	s_cbranch_vccnz .LBB296_1248
; %bb.1247:
	global_load_sshort v8, v[2:3], off
.LBB296_1248:
	s_mov_b64 s[0:1], 0
.LBB296_1249:
	s_andn2_b64 vcc, exec, s[0:1]
	s_cbranch_vccnz .LBB296_1255
; %bb.1250:
	s_cmp_gt_i32 s22, 0
	s_cbranch_scc0 .LBB296_1252
; %bb.1251:
	global_load_sbyte v8, v[2:3], off
	s_mov_b64 s[0:1], 0
	s_branch .LBB296_1253
.LBB296_1252:
	s_mov_b64 s[0:1], -1
                                        ; implicit-def: $vgpr8
.LBB296_1253:
	s_andn2_b64 vcc, exec, s[0:1]
	s_cbranch_vccnz .LBB296_1255
; %bb.1254:
	global_load_ubyte v8, v[2:3], off
.LBB296_1255:
.LBB296_1256:
	v_add_u32_e32 v0, s9, v0
	v_ashrrev_i32_e32 v1, 31, v0
	s_cmp_lt_i32 s22, 11
	v_lshl_add_u64 v[2:3], s[6:7], 0, v[0:1]
	s_cbranch_scc1 .LBB296_1263
; %bb.1257:
	s_cmp_gt_i32 s22, 25
	s_mov_b64 s[2:3], 0
	s_cbranch_scc0 .LBB296_1265
; %bb.1258:
	s_cmp_gt_i32 s22, 28
	s_cbranch_scc0 .LBB296_1266
; %bb.1259:
	s_cmp_gt_i32 s22, 43
	;; [unrolled: 3-line block ×3, first 2 shown]
	s_cbranch_scc0 .LBB296_1269
; %bb.1261:
	s_cmp_eq_u32 s22, 46
	s_mov_b64 s[20:21], 0
	s_cbranch_scc0 .LBB296_1270
; %bb.1262:
	global_load_dword v1, v[2:3], off
	s_mov_b64 s[0:1], 0
	s_mov_b64 s[18:19], -1
	s_waitcnt vmcnt(0)
	v_lshlrev_b32_e32 v1, 16, v1
	v_cvt_i32_f32_e32 v7, v1
	s_branch .LBB296_1271
.LBB296_1263:
	s_mov_b64 s[18:19], 0
                                        ; implicit-def: $vgpr7
	s_cbranch_execnz .LBB296_1333
.LBB296_1264:
	s_andn2_b64 vcc, exec, s[18:19]
	s_cbranch_vccnz .LBB296_1940
	s_branch .LBB296_1381
.LBB296_1265:
	s_mov_b64 s[20:21], -1
	s_mov_b64 s[18:19], 0
	s_mov_b64 s[0:1], 0
                                        ; implicit-def: $vgpr7
	s_branch .LBB296_1298
.LBB296_1266:
	s_mov_b64 s[20:21], -1
	s_mov_b64 s[18:19], 0
	s_mov_b64 s[0:1], 0
                                        ; implicit-def: $vgpr7
	s_branch .LBB296_1281
.LBB296_1267:
	s_mov_b64 s[20:21], -1
	s_mov_b64 s[18:19], 0
	s_mov_b64 s[0:1], 0
                                        ; implicit-def: $vgpr7
	s_branch .LBB296_1276
.LBB296_1268:
	s_trap 2
	s_or_b64 s[16:17], s[16:17], exec
	s_cbranch_execz .LBB296_1207
	s_branch .LBB296_1208
.LBB296_1269:
	s_mov_b64 s[20:21], -1
	s_mov_b64 s[18:19], 0
	s_mov_b64 s[0:1], 0
                                        ; implicit-def: $vgpr7
	s_branch .LBB296_1271
.LBB296_1270:
	s_mov_b64 s[0:1], -1
                                        ; implicit-def: $vgpr7
	s_mov_b64 s[18:19], 0
.LBB296_1271:
	s_and_b64 vcc, exec, s[20:21]
	s_cbranch_vccz .LBB296_1275
; %bb.1272:
	s_cmp_eq_u32 s22, 44
	s_cbranch_scc0 .LBB296_1274
; %bb.1273:
	global_load_ubyte v1, v[2:3], off
	s_mov_b64 s[0:1], 0
	s_mov_b64 s[18:19], -1
	s_waitcnt vmcnt(0)
	v_lshlrev_b32_e32 v6, 23, v1
	v_cvt_i32_f32_e32 v6, v6
	v_cmp_ne_u32_e32 vcc, 0, v1
	s_nop 1
	v_cndmask_b32_e32 v7, 0, v6, vcc
	s_branch .LBB296_1275
.LBB296_1274:
	s_mov_b64 s[0:1], -1
                                        ; implicit-def: $vgpr7
.LBB296_1275:
	s_mov_b64 s[20:21], 0
.LBB296_1276:
	s_and_b64 vcc, exec, s[20:21]
	s_cbranch_vccz .LBB296_1280
; %bb.1277:
	s_cmp_eq_u32 s22, 29
	s_cbranch_scc0 .LBB296_1279
; %bb.1278:
	global_load_dword v7, v[2:3], off
	s_mov_b64 s[0:1], 0
	s_mov_b64 s[18:19], -1
	s_branch .LBB296_1280
.LBB296_1279:
	s_mov_b64 s[0:1], -1
                                        ; implicit-def: $vgpr7
.LBB296_1280:
	s_mov_b64 s[20:21], 0
.LBB296_1281:
	s_and_b64 vcc, exec, s[20:21]
	s_cbranch_vccz .LBB296_1297
; %bb.1282:
	s_cmp_lt_i32 s22, 27
	s_cbranch_scc1 .LBB296_1285
; %bb.1283:
	s_cmp_gt_i32 s22, 27
	s_cbranch_scc0 .LBB296_1286
; %bb.1284:
	global_load_dword v7, v[2:3], off
	s_mov_b64 s[18:19], 0
	s_branch .LBB296_1287
.LBB296_1285:
	s_mov_b64 s[18:19], -1
                                        ; implicit-def: $vgpr7
	s_branch .LBB296_1290
.LBB296_1286:
	s_mov_b64 s[18:19], -1
                                        ; implicit-def: $vgpr7
.LBB296_1287:
	s_andn2_b64 vcc, exec, s[18:19]
	s_cbranch_vccnz .LBB296_1289
; %bb.1288:
	global_load_ushort v7, v[2:3], off
.LBB296_1289:
	s_mov_b64 s[18:19], 0
.LBB296_1290:
	s_andn2_b64 vcc, exec, s[18:19]
	s_cbranch_vccnz .LBB296_1296
; %bb.1291:
	global_load_ubyte v1, v[2:3], off
	s_movk_i32 s18, 0x7f
	s_mov_b64 s[20:21], 0
	s_waitcnt vmcnt(0)
	v_cmp_lt_i16_e32 vcc, s18, v1
	s_and_saveexec_b64 s[18:19], vcc
	s_xor_b64 s[18:19], exec, s[18:19]
	s_cbranch_execz .LBB296_1308
; %bb.1292:
	s_movk_i32 s20, 0x80
	v_cmp_ne_u16_e32 vcc, s20, v1
	s_and_b64 s[20:21], vcc, exec
	s_andn2_saveexec_b64 s[18:19], s[18:19]
	s_cbranch_execnz .LBB296_1309
.LBB296_1293:
	s_or_b64 exec, exec, s[18:19]
	v_mov_b32_e32 v7, 0
	s_and_saveexec_b64 s[18:19], s[20:21]
	s_cbranch_execz .LBB296_1295
.LBB296_1294:
	v_lshlrev_b32_e32 v6, 24, v1
	v_and_b32_e32 v1, 0xffff, v1
	v_and_b32_e32 v7, 7, v1
	v_ffbh_u32_e32 v10, v7
	v_min_u32_e32 v10, 32, v10
	v_subrev_u32_e32 v11, 28, v10
	v_bfe_u32 v9, v1, 3, 4
	v_lshlrev_b32_e32 v1, v11, v1
	v_sub_u32_e32 v10, 29, v10
	v_and_b32_e32 v1, 7, v1
	v_cmp_eq_u32_e32 vcc, 0, v9
	v_and_b32_e32 v6, 0x80000000, v6
	s_nop 0
	v_cndmask_b32_e32 v9, v9, v10, vcc
	v_cndmask_b32_e32 v1, v7, v1, vcc
	v_mov_b32_e32 v7, 0x3b800000
	v_lshlrev_b32_e32 v1, 20, v1
	v_lshl_add_u32 v7, v9, 23, v7
	v_or3_b32 v1, v6, v7, v1
	v_cvt_i32_f32_e32 v7, v1
.LBB296_1295:
	s_or_b64 exec, exec, s[18:19]
.LBB296_1296:
	s_mov_b64 s[18:19], -1
.LBB296_1297:
	s_mov_b64 s[20:21], 0
.LBB296_1298:
	s_and_b64 vcc, exec, s[20:21]
	s_cbranch_vccz .LBB296_1329
; %bb.1299:
	s_cmp_gt_i32 s22, 22
	s_cbranch_scc0 .LBB296_1307
; %bb.1300:
	s_cmp_lt_i32 s22, 24
	s_cbranch_scc1 .LBB296_1310
; %bb.1301:
	s_cmp_gt_i32 s22, 24
	s_cbranch_scc0 .LBB296_1311
; %bb.1302:
	global_load_ubyte v1, v[2:3], off
	s_movk_i32 s2, 0x7f
	s_mov_b64 s[18:19], 0
	s_waitcnt vmcnt(0)
	v_cmp_lt_i16_e32 vcc, s2, v1
	s_and_saveexec_b64 s[2:3], vcc
	s_xor_b64 s[2:3], exec, s[2:3]
	s_cbranch_execz .LBB296_1323
; %bb.1303:
	s_movk_i32 s18, 0x80
	v_cmp_ne_u16_e32 vcc, s18, v1
	s_and_b64 s[18:19], vcc, exec
	s_andn2_saveexec_b64 s[2:3], s[2:3]
	s_cbranch_execnz .LBB296_1324
.LBB296_1304:
	s_or_b64 exec, exec, s[2:3]
	v_mov_b32_e32 v7, 0
	s_and_saveexec_b64 s[2:3], s[18:19]
	s_cbranch_execz .LBB296_1306
.LBB296_1305:
	v_lshlrev_b32_e32 v6, 24, v1
	v_and_b32_e32 v1, 0xffff, v1
	v_and_b32_e32 v7, 3, v1
	v_ffbh_u32_e32 v10, v7
	v_min_u32_e32 v10, 32, v10
	v_subrev_u32_e32 v11, 29, v10
	v_bfe_u32 v9, v1, 2, 5
	v_lshlrev_b32_e32 v1, v11, v1
	v_sub_u32_e32 v10, 30, v10
	v_and_b32_e32 v1, 3, v1
	v_cmp_eq_u32_e32 vcc, 0, v9
	v_and_b32_e32 v6, 0x80000000, v6
	s_nop 0
	v_cndmask_b32_e32 v9, v9, v10, vcc
	v_cndmask_b32_e32 v1, v7, v1, vcc
	v_mov_b32_e32 v7, 0x37800000
	v_lshlrev_b32_e32 v1, 21, v1
	v_lshl_add_u32 v7, v9, 23, v7
	v_or3_b32 v1, v6, v7, v1
	v_cvt_i32_f32_e32 v7, v1
.LBB296_1306:
	s_or_b64 exec, exec, s[2:3]
	s_mov_b64 s[2:3], 0
	s_branch .LBB296_1312
.LBB296_1307:
	s_mov_b64 s[2:3], -1
                                        ; implicit-def: $vgpr7
	s_branch .LBB296_1318
.LBB296_1308:
	s_andn2_saveexec_b64 s[18:19], s[18:19]
	s_cbranch_execz .LBB296_1293
.LBB296_1309:
	v_cmp_ne_u16_e32 vcc, 0, v1
	s_andn2_b64 s[20:21], s[20:21], exec
	s_and_b64 s[24:25], vcc, exec
	s_or_b64 s[20:21], s[20:21], s[24:25]
	s_or_b64 exec, exec, s[18:19]
	v_mov_b32_e32 v7, 0
	s_and_saveexec_b64 s[18:19], s[20:21]
	s_cbranch_execnz .LBB296_1294
	s_branch .LBB296_1295
.LBB296_1310:
	s_mov_b64 s[2:3], -1
                                        ; implicit-def: $vgpr7
	s_branch .LBB296_1315
.LBB296_1311:
	s_mov_b64 s[2:3], -1
                                        ; implicit-def: $vgpr7
.LBB296_1312:
	s_and_b64 vcc, exec, s[2:3]
	s_cbranch_vccz .LBB296_1314
; %bb.1313:
	global_load_ubyte v1, v[2:3], off
	s_mov_b32 s2, 0x7f800000
	s_waitcnt vmcnt(0)
	v_lshlrev_b32_e32 v1, 24, v1
	v_and_b32_e32 v6, 0x7f000000, v1
	v_ffbh_u32_e32 v7, v6
	v_min_u32_e32 v7, 32, v7
	v_sub_u32_e64 v7, v7, 4 clamp
	v_lshlrev_b32_e32 v10, v7, v6
	v_lshlrev_b32_e32 v7, 23, v7
	v_lshrrev_b32_e32 v10, 4, v10
	v_add_u32_e32 v9, 0x1000000, v6
	v_sub_u32_e32 v7, v10, v7
	v_ashrrev_i32_e32 v9, 8, v9
	v_add_u32_e32 v7, 0x3c000000, v7
	v_and_or_b32 v7, v9, s2, v7
	v_cmp_ne_u32_e32 vcc, 0, v6
	s_brev_b32 s2, 1
	s_nop 0
	v_cndmask_b32_e32 v6, 0, v7, vcc
	v_and_or_b32 v1, v1, s2, v6
	v_cvt_i32_f32_e32 v7, v1
.LBB296_1314:
	s_mov_b64 s[2:3], 0
.LBB296_1315:
	s_andn2_b64 vcc, exec, s[2:3]
	s_cbranch_vccnz .LBB296_1317
; %bb.1316:
	global_load_ubyte v1, v[2:3], off
	s_movk_i32 s2, 0x7f00
	s_brev_b32 s3, 16
	s_waitcnt vmcnt(0)
	v_lshlrev_b16_e32 v6, 8, v1
	v_lshlrev_b32_e32 v1, 25, v1
	v_lshrrev_b32_e32 v7, 4, v1
	v_and_or_b32 v9, v6, s2, 0.5
	v_or_b32_e32 v7, 0x70000000, v7
	v_add_f32_e32 v9, -0.5, v9
	v_mul_f32_e32 v7, 0x7800000, v7
	v_cmp_gt_u32_e32 vcc, s3, v1
	v_bfe_i32 v6, v6, 0, 16
	s_brev_b32 s2, 1
	v_cndmask_b32_e32 v1, v7, v9, vcc
	v_and_or_b32 v1, v6, s2, v1
	v_cvt_i32_f32_e32 v7, v1
.LBB296_1317:
	s_mov_b64 s[2:3], 0
	s_mov_b64 s[18:19], -1
.LBB296_1318:
	s_andn2_b64 vcc, exec, s[2:3]
	s_mov_b64 s[2:3], 0
	s_cbranch_vccnz .LBB296_1329
; %bb.1319:
	s_cmp_gt_i32 s22, 14
	s_cbranch_scc0 .LBB296_1322
; %bb.1320:
	s_cmp_eq_u32 s22, 15
	s_cbranch_scc0 .LBB296_1325
; %bb.1321:
	global_load_ushort v1, v[2:3], off
	s_mov_b64 s[0:1], 0
	s_mov_b64 s[18:19], -1
	s_waitcnt vmcnt(0)
	v_lshlrev_b32_e32 v1, 16, v1
	v_cvt_i32_f32_e32 v7, v1
	s_branch .LBB296_1326
.LBB296_1322:
	s_mov_b64 s[20:21], -1
                                        ; implicit-def: $vgpr7
	s_branch .LBB296_1327
.LBB296_1323:
	s_andn2_saveexec_b64 s[2:3], s[2:3]
	s_cbranch_execz .LBB296_1304
.LBB296_1324:
	v_cmp_ne_u16_e32 vcc, 0, v1
	s_andn2_b64 s[18:19], s[18:19], exec
	s_and_b64 s[20:21], vcc, exec
	s_or_b64 s[18:19], s[18:19], s[20:21]
	s_or_b64 exec, exec, s[2:3]
	v_mov_b32_e32 v7, 0
	s_and_saveexec_b64 s[2:3], s[18:19]
	s_cbranch_execnz .LBB296_1305
	s_branch .LBB296_1306
.LBB296_1325:
	s_mov_b64 s[0:1], -1
                                        ; implicit-def: $vgpr7
.LBB296_1326:
	s_mov_b64 s[20:21], 0
.LBB296_1327:
	s_and_b64 vcc, exec, s[20:21]
	s_cbranch_vccz .LBB296_1329
; %bb.1328:
	s_cmp_lg_u32 s22, 11
	s_mov_b64 s[2:3], -1
	s_cselect_b64 s[0:1], -1, 0
.LBB296_1329:
	s_and_b64 vcc, exec, s[0:1]
	s_cbranch_vccnz .LBB296_1392
; %bb.1330:
	s_andn2_b64 vcc, exec, s[2:3]
	s_cbranch_vccnz .LBB296_1332
.LBB296_1331:
	global_load_ubyte v1, v[2:3], off
	s_mov_b64 s[18:19], -1
	s_waitcnt vmcnt(0)
	v_cmp_ne_u16_e32 vcc, 0, v1
	s_nop 1
	v_cndmask_b32_e64 v7, 0, 1, vcc
.LBB296_1332:
	s_branch .LBB296_1264
.LBB296_1333:
	s_cmp_lt_i32 s22, 5
	s_cbranch_scc1 .LBB296_1338
; %bb.1334:
	s_cmp_lt_i32 s22, 8
	s_cbranch_scc1 .LBB296_1339
; %bb.1335:
	;; [unrolled: 3-line block ×3, first 2 shown]
	s_cmp_gt_i32 s22, 9
	s_cbranch_scc0 .LBB296_1341
; %bb.1337:
	global_load_dwordx2 v[6:7], v[2:3], off
	s_mov_b64 s[0:1], 0
	s_waitcnt vmcnt(0)
	v_cvt_i32_f64_e32 v7, v[6:7]
	s_branch .LBB296_1342
.LBB296_1338:
	s_mov_b64 s[0:1], -1
                                        ; implicit-def: $vgpr7
	s_branch .LBB296_1360
.LBB296_1339:
	s_mov_b64 s[0:1], -1
                                        ; implicit-def: $vgpr7
	s_branch .LBB296_1348
.LBB296_1340:
	s_mov_b64 s[0:1], -1
                                        ; implicit-def: $vgpr7
	s_branch .LBB296_1345
.LBB296_1341:
	s_mov_b64 s[0:1], -1
                                        ; implicit-def: $vgpr7
.LBB296_1342:
	s_andn2_b64 vcc, exec, s[0:1]
	s_cbranch_vccnz .LBB296_1344
; %bb.1343:
	global_load_dword v1, v[2:3], off
	s_waitcnt vmcnt(0)
	v_cvt_i32_f32_e32 v7, v1
.LBB296_1344:
	s_mov_b64 s[0:1], 0
.LBB296_1345:
	s_andn2_b64 vcc, exec, s[0:1]
	s_cbranch_vccnz .LBB296_1347
; %bb.1346:
	global_load_dword v1, v[2:3], off
	s_waitcnt vmcnt(0)
	v_cvt_f32_f16_e32 v1, v1
	v_cvt_i32_f32_e32 v7, v1
.LBB296_1347:
	s_mov_b64 s[0:1], 0
.LBB296_1348:
	s_andn2_b64 vcc, exec, s[0:1]
	s_cbranch_vccnz .LBB296_1359
; %bb.1349:
	s_cmp_lt_i32 s22, 6
	s_cbranch_scc1 .LBB296_1352
; %bb.1350:
	s_cmp_gt_i32 s22, 6
	s_cbranch_scc0 .LBB296_1353
; %bb.1351:
	global_load_dwordx2 v[6:7], v[2:3], off
	s_mov_b64 s[0:1], 0
	s_waitcnt vmcnt(0)
	v_cvt_i32_f64_e32 v7, v[6:7]
	s_branch .LBB296_1354
.LBB296_1352:
	s_mov_b64 s[0:1], -1
                                        ; implicit-def: $vgpr7
	s_branch .LBB296_1357
.LBB296_1353:
	s_mov_b64 s[0:1], -1
                                        ; implicit-def: $vgpr7
.LBB296_1354:
	s_andn2_b64 vcc, exec, s[0:1]
	s_cbranch_vccnz .LBB296_1356
; %bb.1355:
	global_load_dword v1, v[2:3], off
	s_waitcnt vmcnt(0)
	v_cvt_i32_f32_e32 v7, v1
.LBB296_1356:
	s_mov_b64 s[0:1], 0
.LBB296_1357:
	s_andn2_b64 vcc, exec, s[0:1]
	s_cbranch_vccnz .LBB296_1359
; %bb.1358:
	global_load_ushort v1, v[2:3], off
	s_waitcnt vmcnt(0)
	v_cvt_f32_f16_e32 v1, v1
	v_cvt_i32_f32_e32 v7, v1
.LBB296_1359:
	s_mov_b64 s[0:1], 0
.LBB296_1360:
	s_andn2_b64 vcc, exec, s[0:1]
	s_cbranch_vccnz .LBB296_1380
; %bb.1361:
	s_cmp_lt_i32 s22, 2
	s_cbranch_scc1 .LBB296_1365
; %bb.1362:
	s_cmp_lt_i32 s22, 3
	s_cbranch_scc1 .LBB296_1366
; %bb.1363:
	s_cmp_gt_i32 s22, 3
	s_cbranch_scc0 .LBB296_1367
; %bb.1364:
	global_load_dword v7, v[2:3], off
	s_mov_b64 s[0:1], 0
	s_branch .LBB296_1368
.LBB296_1365:
	s_mov_b64 s[0:1], -1
                                        ; implicit-def: $vgpr7
	s_branch .LBB296_1374
.LBB296_1366:
	s_mov_b64 s[0:1], -1
                                        ; implicit-def: $vgpr7
	s_branch .LBB296_1371
.LBB296_1367:
	s_mov_b64 s[0:1], -1
                                        ; implicit-def: $vgpr7
.LBB296_1368:
	s_andn2_b64 vcc, exec, s[0:1]
	s_cbranch_vccnz .LBB296_1370
; %bb.1369:
	global_load_dword v7, v[2:3], off
.LBB296_1370:
	s_mov_b64 s[0:1], 0
.LBB296_1371:
	s_andn2_b64 vcc, exec, s[0:1]
	s_cbranch_vccnz .LBB296_1373
; %bb.1372:
	global_load_sshort v7, v[2:3], off
.LBB296_1373:
	s_mov_b64 s[0:1], 0
.LBB296_1374:
	s_andn2_b64 vcc, exec, s[0:1]
	s_cbranch_vccnz .LBB296_1380
; %bb.1375:
	s_cmp_gt_i32 s22, 0
	s_cbranch_scc0 .LBB296_1377
; %bb.1376:
	global_load_sbyte v7, v[2:3], off
	s_mov_b64 s[0:1], 0
	s_branch .LBB296_1378
.LBB296_1377:
	s_mov_b64 s[0:1], -1
                                        ; implicit-def: $vgpr7
.LBB296_1378:
	s_andn2_b64 vcc, exec, s[0:1]
	s_cbranch_vccnz .LBB296_1380
; %bb.1379:
	global_load_ubyte v7, v[2:3], off
.LBB296_1380:
.LBB296_1381:
	v_add_u32_e32 v0, s9, v0
	v_ashrrev_i32_e32 v1, 31, v0
	s_cmp_lt_i32 s22, 11
	v_lshl_add_u64 v[0:1], s[6:7], 0, v[0:1]
	s_cbranch_scc1 .LBB296_1388
; %bb.1382:
	s_cmp_gt_i32 s22, 25
	s_mov_b64 s[2:3], 0
	s_cbranch_scc0 .LBB296_1389
; %bb.1383:
	s_cmp_gt_i32 s22, 28
	s_cbranch_scc0 .LBB296_1390
; %bb.1384:
	s_cmp_gt_i32 s22, 43
	;; [unrolled: 3-line block ×3, first 2 shown]
	s_cbranch_scc0 .LBB296_1393
; %bb.1386:
	s_cmp_eq_u32 s22, 46
	s_mov_b64 s[18:19], 0
	s_cbranch_scc0 .LBB296_1394
; %bb.1387:
	global_load_dword v2, v[0:1], off
	s_mov_b64 s[0:1], 0
	s_mov_b64 s[6:7], -1
	s_waitcnt vmcnt(0)
	v_lshlrev_b32_e32 v2, 16, v2
	v_cvt_i32_f32_e32 v6, v2
	s_branch .LBB296_1395
.LBB296_1388:
	s_mov_b64 s[0:1], -1
	s_mov_b64 s[6:7], 0
                                        ; implicit-def: $vgpr6
	s_branch .LBB296_1457
.LBB296_1389:
	s_mov_b64 s[18:19], -1
	s_mov_b64 s[6:7], 0
	s_mov_b64 s[0:1], 0
                                        ; implicit-def: $vgpr6
	s_branch .LBB296_1422
.LBB296_1390:
	s_mov_b64 s[18:19], -1
	s_mov_b64 s[6:7], 0
	s_mov_b64 s[0:1], 0
                                        ; implicit-def: $vgpr6
	s_branch .LBB296_1405
.LBB296_1391:
	s_mov_b64 s[18:19], -1
	s_mov_b64 s[6:7], 0
	s_mov_b64 s[0:1], 0
                                        ; implicit-def: $vgpr6
	s_branch .LBB296_1400
.LBB296_1392:
	s_trap 2
	s_or_b64 s[16:17], s[16:17], exec
	s_cbranch_execz .LBB296_1331
	s_branch .LBB296_1332
.LBB296_1393:
	s_mov_b64 s[18:19], -1
	s_mov_b64 s[6:7], 0
	s_mov_b64 s[0:1], 0
                                        ; implicit-def: $vgpr6
	s_branch .LBB296_1395
.LBB296_1394:
	s_mov_b64 s[0:1], -1
                                        ; implicit-def: $vgpr6
	s_mov_b64 s[6:7], 0
.LBB296_1395:
	s_and_b64 vcc, exec, s[18:19]
	s_cbranch_vccz .LBB296_1399
; %bb.1396:
	s_cmp_eq_u32 s22, 44
	s_cbranch_scc0 .LBB296_1398
; %bb.1397:
	global_load_ubyte v2, v[0:1], off
	s_mov_b64 s[0:1], 0
	s_mov_b64 s[6:7], -1
	s_waitcnt vmcnt(0)
	v_lshlrev_b32_e32 v3, 23, v2
	v_cvt_i32_f32_e32 v3, v3
	v_cmp_ne_u32_e32 vcc, 0, v2
	s_nop 1
	v_cndmask_b32_e32 v6, 0, v3, vcc
	s_branch .LBB296_1399
.LBB296_1398:
	s_mov_b64 s[0:1], -1
                                        ; implicit-def: $vgpr6
.LBB296_1399:
	s_mov_b64 s[18:19], 0
.LBB296_1400:
	s_and_b64 vcc, exec, s[18:19]
	s_cbranch_vccz .LBB296_1404
; %bb.1401:
	s_cmp_eq_u32 s22, 29
	s_cbranch_scc0 .LBB296_1403
; %bb.1402:
	global_load_dword v6, v[0:1], off
	s_mov_b64 s[0:1], 0
	s_mov_b64 s[6:7], -1
	s_branch .LBB296_1404
.LBB296_1403:
	s_mov_b64 s[0:1], -1
                                        ; implicit-def: $vgpr6
.LBB296_1404:
	s_mov_b64 s[18:19], 0
.LBB296_1405:
	s_and_b64 vcc, exec, s[18:19]
	s_cbranch_vccz .LBB296_1421
; %bb.1406:
	s_cmp_lt_i32 s22, 27
	s_cbranch_scc1 .LBB296_1409
; %bb.1407:
	s_cmp_gt_i32 s22, 27
	s_cbranch_scc0 .LBB296_1410
; %bb.1408:
	global_load_dword v6, v[0:1], off
	s_mov_b64 s[6:7], 0
	s_branch .LBB296_1411
.LBB296_1409:
	s_mov_b64 s[6:7], -1
                                        ; implicit-def: $vgpr6
	s_branch .LBB296_1414
.LBB296_1410:
	s_mov_b64 s[6:7], -1
                                        ; implicit-def: $vgpr6
.LBB296_1411:
	s_andn2_b64 vcc, exec, s[6:7]
	s_cbranch_vccnz .LBB296_1413
; %bb.1412:
	global_load_ushort v6, v[0:1], off
.LBB296_1413:
	s_mov_b64 s[6:7], 0
.LBB296_1414:
	s_andn2_b64 vcc, exec, s[6:7]
	s_cbranch_vccnz .LBB296_1420
; %bb.1415:
	global_load_ubyte v2, v[0:1], off
	s_movk_i32 s6, 0x7f
	s_mov_b64 s[18:19], 0
	s_waitcnt vmcnt(0)
	v_cmp_lt_i16_e32 vcc, s6, v2
	s_and_saveexec_b64 s[6:7], vcc
	s_xor_b64 s[6:7], exec, s[6:7]
	s_cbranch_execz .LBB296_1432
; %bb.1416:
	s_movk_i32 s9, 0x80
	v_cmp_ne_u16_e32 vcc, s9, v2
	s_and_b64 s[18:19], vcc, exec
	s_andn2_saveexec_b64 s[6:7], s[6:7]
	s_cbranch_execnz .LBB296_1433
.LBB296_1417:
	s_or_b64 exec, exec, s[6:7]
	v_mov_b32_e32 v6, 0
	s_and_saveexec_b64 s[6:7], s[18:19]
	s_cbranch_execz .LBB296_1419
.LBB296_1418:
	v_lshlrev_b32_e32 v3, 24, v2
	v_and_b32_e32 v2, 0xffff, v2
	v_and_b32_e32 v6, 7, v2
	v_ffbh_u32_e32 v10, v6
	v_min_u32_e32 v10, 32, v10
	v_subrev_u32_e32 v11, 28, v10
	v_bfe_u32 v9, v2, 3, 4
	v_lshlrev_b32_e32 v2, v11, v2
	v_sub_u32_e32 v10, 29, v10
	v_and_b32_e32 v2, 7, v2
	v_cmp_eq_u32_e32 vcc, 0, v9
	v_and_b32_e32 v3, 0x80000000, v3
	s_nop 0
	v_cndmask_b32_e32 v9, v9, v10, vcc
	v_cndmask_b32_e32 v2, v6, v2, vcc
	v_mov_b32_e32 v6, 0x3b800000
	v_lshlrev_b32_e32 v2, 20, v2
	v_lshl_add_u32 v6, v9, 23, v6
	v_or3_b32 v2, v3, v6, v2
	v_cvt_i32_f32_e32 v6, v2
.LBB296_1419:
	s_or_b64 exec, exec, s[6:7]
.LBB296_1420:
	s_mov_b64 s[6:7], -1
.LBB296_1421:
	s_mov_b64 s[18:19], 0
.LBB296_1422:
	s_and_b64 vcc, exec, s[18:19]
	s_cbranch_vccz .LBB296_1453
; %bb.1423:
	s_cmp_gt_i32 s22, 22
	s_cbranch_scc0 .LBB296_1431
; %bb.1424:
	s_cmp_lt_i32 s22, 24
	s_cbranch_scc1 .LBB296_1434
; %bb.1425:
	s_cmp_gt_i32 s22, 24
	s_cbranch_scc0 .LBB296_1435
; %bb.1426:
	global_load_ubyte v2, v[0:1], off
	s_movk_i32 s2, 0x7f
	s_mov_b64 s[6:7], 0
	s_waitcnt vmcnt(0)
	v_cmp_lt_i16_e32 vcc, s2, v2
	s_and_saveexec_b64 s[2:3], vcc
	s_xor_b64 s[2:3], exec, s[2:3]
	s_cbranch_execz .LBB296_1447
; %bb.1427:
	s_movk_i32 s6, 0x80
	v_cmp_ne_u16_e32 vcc, s6, v2
	s_and_b64 s[6:7], vcc, exec
	s_andn2_saveexec_b64 s[2:3], s[2:3]
	s_cbranch_execnz .LBB296_1448
.LBB296_1428:
	s_or_b64 exec, exec, s[2:3]
	v_mov_b32_e32 v6, 0
	s_and_saveexec_b64 s[2:3], s[6:7]
	s_cbranch_execz .LBB296_1430
.LBB296_1429:
	v_lshlrev_b32_e32 v3, 24, v2
	v_and_b32_e32 v2, 0xffff, v2
	v_and_b32_e32 v6, 3, v2
	v_ffbh_u32_e32 v10, v6
	v_min_u32_e32 v10, 32, v10
	v_subrev_u32_e32 v11, 29, v10
	v_bfe_u32 v9, v2, 2, 5
	v_lshlrev_b32_e32 v2, v11, v2
	v_sub_u32_e32 v10, 30, v10
	v_and_b32_e32 v2, 3, v2
	v_cmp_eq_u32_e32 vcc, 0, v9
	v_and_b32_e32 v3, 0x80000000, v3
	s_nop 0
	v_cndmask_b32_e32 v9, v9, v10, vcc
	v_cndmask_b32_e32 v2, v6, v2, vcc
	v_mov_b32_e32 v6, 0x37800000
	v_lshlrev_b32_e32 v2, 21, v2
	v_lshl_add_u32 v6, v9, 23, v6
	v_or3_b32 v2, v3, v6, v2
	v_cvt_i32_f32_e32 v6, v2
.LBB296_1430:
	s_or_b64 exec, exec, s[2:3]
	s_mov_b64 s[2:3], 0
	s_branch .LBB296_1436
.LBB296_1431:
	s_mov_b64 s[2:3], -1
                                        ; implicit-def: $vgpr6
	s_branch .LBB296_1442
.LBB296_1432:
	s_andn2_saveexec_b64 s[6:7], s[6:7]
	s_cbranch_execz .LBB296_1417
.LBB296_1433:
	v_cmp_ne_u16_e32 vcc, 0, v2
	s_andn2_b64 s[18:19], s[18:19], exec
	s_and_b64 s[20:21], vcc, exec
	s_or_b64 s[18:19], s[18:19], s[20:21]
	s_or_b64 exec, exec, s[6:7]
	v_mov_b32_e32 v6, 0
	s_and_saveexec_b64 s[6:7], s[18:19]
	s_cbranch_execnz .LBB296_1418
	s_branch .LBB296_1419
.LBB296_1434:
	s_mov_b64 s[2:3], -1
                                        ; implicit-def: $vgpr6
	s_branch .LBB296_1439
.LBB296_1435:
	s_mov_b64 s[2:3], -1
                                        ; implicit-def: $vgpr6
.LBB296_1436:
	s_and_b64 vcc, exec, s[2:3]
	s_cbranch_vccz .LBB296_1438
; %bb.1437:
	global_load_ubyte v2, v[0:1], off
	s_mov_b32 s2, 0x7f800000
	s_waitcnt vmcnt(0)
	v_lshlrev_b32_e32 v2, 24, v2
	v_and_b32_e32 v3, 0x7f000000, v2
	v_ffbh_u32_e32 v6, v3
	v_min_u32_e32 v6, 32, v6
	v_sub_u32_e64 v6, v6, 4 clamp
	v_lshlrev_b32_e32 v10, v6, v3
	v_lshlrev_b32_e32 v6, 23, v6
	v_lshrrev_b32_e32 v10, 4, v10
	v_add_u32_e32 v9, 0x1000000, v3
	v_sub_u32_e32 v6, v10, v6
	v_ashrrev_i32_e32 v9, 8, v9
	v_add_u32_e32 v6, 0x3c000000, v6
	v_and_or_b32 v6, v9, s2, v6
	v_cmp_ne_u32_e32 vcc, 0, v3
	s_brev_b32 s2, 1
	s_nop 0
	v_cndmask_b32_e32 v3, 0, v6, vcc
	v_and_or_b32 v2, v2, s2, v3
	v_cvt_i32_f32_e32 v6, v2
.LBB296_1438:
	s_mov_b64 s[2:3], 0
.LBB296_1439:
	s_andn2_b64 vcc, exec, s[2:3]
	s_cbranch_vccnz .LBB296_1441
; %bb.1440:
	global_load_ubyte v2, v[0:1], off
	s_movk_i32 s2, 0x7f00
	s_brev_b32 s3, 16
	s_waitcnt vmcnt(0)
	v_lshlrev_b16_e32 v3, 8, v2
	v_lshlrev_b32_e32 v2, 25, v2
	v_lshrrev_b32_e32 v6, 4, v2
	v_and_or_b32 v9, v3, s2, 0.5
	v_or_b32_e32 v6, 0x70000000, v6
	v_add_f32_e32 v9, -0.5, v9
	v_mul_f32_e32 v6, 0x7800000, v6
	v_cmp_gt_u32_e32 vcc, s3, v2
	v_bfe_i32 v3, v3, 0, 16
	s_brev_b32 s2, 1
	v_cndmask_b32_e32 v2, v6, v9, vcc
	v_and_or_b32 v2, v3, s2, v2
	v_cvt_i32_f32_e32 v6, v2
.LBB296_1441:
	s_mov_b64 s[2:3], 0
	s_mov_b64 s[6:7], -1
.LBB296_1442:
	s_andn2_b64 vcc, exec, s[2:3]
	s_mov_b64 s[2:3], 0
	s_cbranch_vccnz .LBB296_1453
; %bb.1443:
	s_cmp_gt_i32 s22, 14
	s_cbranch_scc0 .LBB296_1446
; %bb.1444:
	s_cmp_eq_u32 s22, 15
	s_cbranch_scc0 .LBB296_1449
; %bb.1445:
	global_load_ushort v2, v[0:1], off
	s_mov_b64 s[0:1], 0
	s_mov_b64 s[6:7], -1
	s_waitcnt vmcnt(0)
	v_lshlrev_b32_e32 v2, 16, v2
	v_cvt_i32_f32_e32 v6, v2
	s_branch .LBB296_1450
.LBB296_1446:
	s_mov_b64 s[18:19], -1
                                        ; implicit-def: $vgpr6
	s_branch .LBB296_1451
.LBB296_1447:
	s_andn2_saveexec_b64 s[2:3], s[2:3]
	s_cbranch_execz .LBB296_1428
.LBB296_1448:
	v_cmp_ne_u16_e32 vcc, 0, v2
	s_andn2_b64 s[6:7], s[6:7], exec
	s_and_b64 s[18:19], vcc, exec
	s_or_b64 s[6:7], s[6:7], s[18:19]
	s_or_b64 exec, exec, s[2:3]
	v_mov_b32_e32 v6, 0
	s_and_saveexec_b64 s[2:3], s[6:7]
	s_cbranch_execnz .LBB296_1429
	s_branch .LBB296_1430
.LBB296_1449:
	s_mov_b64 s[0:1], -1
                                        ; implicit-def: $vgpr6
.LBB296_1450:
	s_mov_b64 s[18:19], 0
.LBB296_1451:
	s_and_b64 vcc, exec, s[18:19]
	s_cbranch_vccz .LBB296_1453
; %bb.1452:
	s_cmp_lg_u32 s22, 11
	s_mov_b64 s[2:3], -1
	s_cselect_b64 s[0:1], -1, 0
.LBB296_1453:
	s_and_b64 vcc, exec, s[0:1]
	s_cbranch_vccnz .LBB296_1986
; %bb.1454:
	s_andn2_b64 vcc, exec, s[2:3]
	s_cbranch_vccnz .LBB296_1456
.LBB296_1455:
	global_load_ubyte v2, v[0:1], off
	s_mov_b64 s[6:7], -1
	s_waitcnt vmcnt(0)
	v_cmp_ne_u16_e32 vcc, 0, v2
	s_nop 1
	v_cndmask_b32_e64 v6, 0, 1, vcc
.LBB296_1456:
	s_mov_b64 s[0:1], 0
.LBB296_1457:
	s_and_b64 vcc, exec, s[0:1]
	s_cbranch_vccz .LBB296_1506
; %bb.1458:
	s_cmp_lt_i32 s22, 5
	s_cbranch_scc1 .LBB296_1463
; %bb.1459:
	s_cmp_lt_i32 s22, 8
	s_cbranch_scc1 .LBB296_1464
	;; [unrolled: 3-line block ×3, first 2 shown]
; %bb.1461:
	s_cmp_gt_i32 s22, 9
	s_cbranch_scc0 .LBB296_1466
; %bb.1462:
	global_load_dwordx2 v[2:3], v[0:1], off
	s_mov_b64 s[0:1], 0
	s_waitcnt vmcnt(0)
	v_cvt_i32_f64_e32 v6, v[2:3]
	s_branch .LBB296_1467
.LBB296_1463:
	s_mov_b64 s[0:1], -1
                                        ; implicit-def: $vgpr6
	s_branch .LBB296_1485
.LBB296_1464:
	s_mov_b64 s[0:1], -1
                                        ; implicit-def: $vgpr6
	s_branch .LBB296_1473
.LBB296_1465:
	s_mov_b64 s[0:1], -1
                                        ; implicit-def: $vgpr6
	s_branch .LBB296_1470
.LBB296_1466:
	s_mov_b64 s[0:1], -1
                                        ; implicit-def: $vgpr6
.LBB296_1467:
	s_andn2_b64 vcc, exec, s[0:1]
	s_cbranch_vccnz .LBB296_1469
; %bb.1468:
	global_load_dword v2, v[0:1], off
	s_waitcnt vmcnt(0)
	v_cvt_i32_f32_e32 v6, v2
.LBB296_1469:
	s_mov_b64 s[0:1], 0
.LBB296_1470:
	s_andn2_b64 vcc, exec, s[0:1]
	s_cbranch_vccnz .LBB296_1472
; %bb.1471:
	global_load_dword v2, v[0:1], off
	s_waitcnt vmcnt(0)
	v_cvt_f32_f16_e32 v2, v2
	v_cvt_i32_f32_e32 v6, v2
.LBB296_1472:
	s_mov_b64 s[0:1], 0
.LBB296_1473:
	s_andn2_b64 vcc, exec, s[0:1]
	s_cbranch_vccnz .LBB296_1484
; %bb.1474:
	s_cmp_lt_i32 s22, 6
	s_cbranch_scc1 .LBB296_1477
; %bb.1475:
	s_cmp_gt_i32 s22, 6
	s_cbranch_scc0 .LBB296_1478
; %bb.1476:
	global_load_dwordx2 v[2:3], v[0:1], off
	s_mov_b64 s[0:1], 0
	s_waitcnt vmcnt(0)
	v_cvt_i32_f64_e32 v6, v[2:3]
	s_branch .LBB296_1479
.LBB296_1477:
	s_mov_b64 s[0:1], -1
                                        ; implicit-def: $vgpr6
	s_branch .LBB296_1482
.LBB296_1478:
	s_mov_b64 s[0:1], -1
                                        ; implicit-def: $vgpr6
.LBB296_1479:
	s_andn2_b64 vcc, exec, s[0:1]
	s_cbranch_vccnz .LBB296_1481
; %bb.1480:
	global_load_dword v2, v[0:1], off
	s_waitcnt vmcnt(0)
	v_cvt_i32_f32_e32 v6, v2
.LBB296_1481:
	s_mov_b64 s[0:1], 0
.LBB296_1482:
	s_andn2_b64 vcc, exec, s[0:1]
	s_cbranch_vccnz .LBB296_1484
; %bb.1483:
	global_load_ushort v2, v[0:1], off
	s_waitcnt vmcnt(0)
	v_cvt_f32_f16_e32 v2, v2
	v_cvt_i32_f32_e32 v6, v2
.LBB296_1484:
	s_mov_b64 s[0:1], 0
.LBB296_1485:
	s_andn2_b64 vcc, exec, s[0:1]
	s_cbranch_vccnz .LBB296_1505
; %bb.1486:
	s_cmp_lt_i32 s22, 2
	s_cbranch_scc1 .LBB296_1490
; %bb.1487:
	s_cmp_lt_i32 s22, 3
	s_cbranch_scc1 .LBB296_1491
; %bb.1488:
	s_cmp_gt_i32 s22, 3
	s_cbranch_scc0 .LBB296_1492
; %bb.1489:
	global_load_dword v6, v[0:1], off
	s_mov_b64 s[0:1], 0
	s_branch .LBB296_1493
.LBB296_1490:
	s_mov_b64 s[0:1], -1
                                        ; implicit-def: $vgpr6
	s_branch .LBB296_1499
.LBB296_1491:
	s_mov_b64 s[0:1], -1
                                        ; implicit-def: $vgpr6
	s_branch .LBB296_1496
.LBB296_1492:
	s_mov_b64 s[0:1], -1
                                        ; implicit-def: $vgpr6
.LBB296_1493:
	s_andn2_b64 vcc, exec, s[0:1]
	s_cbranch_vccnz .LBB296_1495
; %bb.1494:
	global_load_dword v6, v[0:1], off
.LBB296_1495:
	s_mov_b64 s[0:1], 0
.LBB296_1496:
	s_andn2_b64 vcc, exec, s[0:1]
	s_cbranch_vccnz .LBB296_1498
; %bb.1497:
	global_load_sshort v6, v[0:1], off
.LBB296_1498:
	s_mov_b64 s[0:1], 0
.LBB296_1499:
	s_andn2_b64 vcc, exec, s[0:1]
	s_cbranch_vccnz .LBB296_1505
; %bb.1500:
	s_cmp_gt_i32 s22, 0
	s_cbranch_scc0 .LBB296_1502
; %bb.1501:
	global_load_sbyte v6, v[0:1], off
	s_mov_b64 s[0:1], 0
	s_branch .LBB296_1503
.LBB296_1502:
	s_mov_b64 s[0:1], -1
                                        ; implicit-def: $vgpr6
.LBB296_1503:
	s_andn2_b64 vcc, exec, s[0:1]
	s_cbranch_vccnz .LBB296_1505
; %bb.1504:
	global_load_ubyte v6, v[0:1], off
.LBB296_1505:
	s_mov_b64 s[6:7], -1
.LBB296_1506:
	s_andn2_b64 vcc, exec, s[6:7]
	s_cbranch_vccnz .LBB296_1940
; %bb.1507:
	s_waitcnt vmcnt(0)
	v_max_i32_e32 v0, s10, v5
	v_min_i32_e32 v2, s11, v0
	v_mul_lo_u32 v0, s8, v4
	v_ashrrev_i32_e32 v1, 31, v0
	s_and_b32 s22, s33, 0xff
	s_cmp_lt_i32 s22, 11
	v_lshl_add_u64 v[4:5], s[4:5], 0, v[0:1]
	s_cbranch_scc1 .LBB296_1585
; %bb.1508:
	s_and_b32 s9, 0xffff, s22
	s_mov_b64 s[18:19], -1
	s_mov_b64 s[2:3], 0
	s_cmp_gt_i32 s9, 25
	s_mov_b64 s[6:7], 0
	s_mov_b64 s[0:1], 0
	s_cbranch_scc0 .LBB296_1541
; %bb.1509:
	s_cmp_gt_i32 s9, 28
	s_cbranch_scc0 .LBB296_1524
; %bb.1510:
	s_cmp_gt_i32 s9, 43
	;; [unrolled: 3-line block ×3, first 2 shown]
	s_cbranch_scc0 .LBB296_1514
; %bb.1512:
	s_mov_b64 s[0:1], -1
	s_mov_b64 s[18:19], 0
	s_cmp_eq_u32 s9, 46
	s_cbranch_scc0 .LBB296_1514
; %bb.1513:
	v_cvt_f32_i32_e32 v1, v2
	s_movk_i32 s6, 0x7fff
	s_mov_b64 s[0:1], 0
	v_bfe_u32 v3, v1, 16, 1
	v_add3_u32 v1, v1, v3, s6
	v_lshrrev_b32_e32 v1, 16, v1
	global_store_dword v[4:5], v1, off
	s_mov_b64 s[6:7], -1
.LBB296_1514:
	s_and_b64 vcc, exec, s[18:19]
	s_cbranch_vccz .LBB296_1519
; %bb.1515:
	s_cmp_eq_u32 s9, 44
	s_mov_b64 s[0:1], -1
	s_cbranch_scc0 .LBB296_1519
; %bb.1516:
	v_cvt_f32_i32_e32 v1, v2
	s_movk_i32 s0, 0xff
	v_mov_b32_e32 v9, 0xff
	v_bfe_u32 v3, v1, 23, 8
	v_cmp_ne_u32_e32 vcc, s0, v3
	s_and_saveexec_b64 s[6:7], vcc
; %bb.1517:
	s_mov_b32 s0, 0x3fffff
	v_lshrrev_b32_e32 v9, 23, v1
	v_and_b32_e32 v10, 0x400000, v1
	v_and_or_b32 v1, v1, s0, v3
	v_cmp_ne_u32_e32 vcc, 0, v10
	v_cmp_ne_u32_e64 s[0:1], 0, v1
	s_and_b64 s[0:1], vcc, s[0:1]
	s_nop 0
	v_cndmask_b32_e64 v1, 0, 1, s[0:1]
	v_add_u32_e32 v9, v9, v1
; %bb.1518:
	s_or_b64 exec, exec, s[6:7]
	s_mov_b64 s[0:1], 0
	s_mov_b64 s[6:7], -1
	global_store_byte v[4:5], v9, off
.LBB296_1519:
	s_mov_b64 s[18:19], 0
.LBB296_1520:
	s_and_b64 vcc, exec, s[18:19]
	s_cbranch_vccz .LBB296_1523
; %bb.1521:
	s_cmp_eq_u32 s9, 29
	s_mov_b64 s[0:1], -1
	s_cbranch_scc0 .LBB296_1523
; %bb.1522:
	v_ashrrev_i32_e32 v3, 31, v2
	global_store_dwordx2 v[4:5], v[2:3], off
	s_mov_b64 s[0:1], 0
	s_mov_b64 s[6:7], -1
.LBB296_1523:
	s_mov_b64 s[18:19], 0
.LBB296_1524:
	s_and_b64 vcc, exec, s[18:19]
	s_cbranch_vccz .LBB296_1540
; %bb.1525:
	s_cmp_lt_i32 s9, 27
	s_mov_b64 s[6:7], -1
	s_cbranch_scc1 .LBB296_1531
; %bb.1526:
	s_cmp_gt_i32 s9, 27
	s_cbranch_scc0 .LBB296_1528
; %bb.1527:
	s_mov_b64 s[6:7], 0
	global_store_dword v[4:5], v2, off
.LBB296_1528:
	s_andn2_b64 vcc, exec, s[6:7]
	s_cbranch_vccnz .LBB296_1530
; %bb.1529:
	global_store_short v[4:5], v2, off
.LBB296_1530:
	s_mov_b64 s[6:7], 0
.LBB296_1531:
	s_andn2_b64 vcc, exec, s[6:7]
	s_cbranch_vccnz .LBB296_1539
; %bb.1532:
	v_cvt_f32_i32_e32 v1, v2
	s_mov_b32 s6, 0x43800000
	v_mov_b32_e32 v9, 0x80
	v_and_b32_e32 v3, 0x7fffffff, v1
	v_cmp_gt_u32_e32 vcc, s6, v3
	s_and_saveexec_b64 s[6:7], vcc
	s_cbranch_execz .LBB296_1538
; %bb.1533:
	s_mov_b32 s18, 0x3bffffff
	v_cmp_lt_u32_e32 vcc, s18, v3
	s_mov_b64 s[18:19], 0
                                        ; implicit-def: $vgpr3
	s_and_saveexec_b64 s[20:21], vcc
	s_xor_b64 s[20:21], exec, s[20:21]
	s_cbranch_execz .LBB296_1987
; %bb.1534:
	v_bfe_u32 v3, v1, 20, 1
	s_mov_b32 s23, 0x487ffff
	v_add3_u32 v3, v1, v3, s23
	s_mov_b64 s[18:19], exec
	v_lshrrev_b32_e32 v3, 20, v3
	s_andn2_saveexec_b64 s[20:21], s[20:21]
	s_cbranch_execnz .LBB296_1988
.LBB296_1535:
	s_or_b64 exec, exec, s[20:21]
	v_mov_b32_e32 v9, 0
	s_and_saveexec_b64 s[20:21], s[18:19]
.LBB296_1536:
	v_lshrrev_b32_e32 v1, 24, v1
	s_movk_i32 s18, 0x80
	v_and_or_b32 v9, v1, s18, v3
.LBB296_1537:
	s_or_b64 exec, exec, s[20:21]
.LBB296_1538:
	s_or_b64 exec, exec, s[6:7]
	global_store_byte v[4:5], v9, off
.LBB296_1539:
	s_mov_b64 s[6:7], -1
.LBB296_1540:
	s_mov_b64 s[18:19], 0
.LBB296_1541:
	s_and_b64 vcc, exec, s[18:19]
	s_cbranch_vccz .LBB296_1581
; %bb.1542:
	s_cmp_gt_i32 s9, 22
	s_mov_b64 s[2:3], -1
	s_cbranch_scc0 .LBB296_1574
; %bb.1543:
	s_cmp_lt_i32 s9, 24
	s_cbranch_scc1 .LBB296_1563
; %bb.1544:
	s_cmp_gt_i32 s9, 24
	s_cbranch_scc0 .LBB296_1552
; %bb.1545:
	v_cvt_f32_i32_e32 v1, v2
	s_mov_b32 s2, 0x47800000
	v_mov_b32_e32 v9, 0x80
	v_and_b32_e32 v3, 0x7fffffff, v1
	v_cmp_gt_u32_e32 vcc, s2, v3
	s_and_saveexec_b64 s[2:3], vcc
	s_cbranch_execz .LBB296_1551
; %bb.1546:
	s_mov_b32 s6, 0x37ffffff
	v_cmp_lt_u32_e32 vcc, s6, v3
	s_mov_b64 s[6:7], 0
                                        ; implicit-def: $vgpr3
	s_and_saveexec_b64 s[18:19], vcc
	s_xor_b64 s[18:19], exec, s[18:19]
	s_cbranch_execz .LBB296_1990
; %bb.1547:
	v_bfe_u32 v3, v1, 21, 1
	s_mov_b32 s20, 0x88fffff
	v_add3_u32 v3, v1, v3, s20
	s_mov_b64 s[6:7], exec
	v_lshrrev_b32_e32 v3, 21, v3
	s_andn2_saveexec_b64 s[18:19], s[18:19]
	s_cbranch_execnz .LBB296_1991
.LBB296_1548:
	s_or_b64 exec, exec, s[18:19]
	v_mov_b32_e32 v9, 0
	s_and_saveexec_b64 s[18:19], s[6:7]
.LBB296_1549:
	v_lshrrev_b32_e32 v1, 24, v1
	s_movk_i32 s6, 0x80
	v_and_or_b32 v9, v1, s6, v3
.LBB296_1550:
	s_or_b64 exec, exec, s[18:19]
.LBB296_1551:
	s_or_b64 exec, exec, s[2:3]
	s_mov_b64 s[2:3], 0
	global_store_byte v[4:5], v9, off
.LBB296_1552:
	s_and_b64 vcc, exec, s[2:3]
	s_cbranch_vccz .LBB296_1562
; %bb.1553:
	v_cvt_f32_i32_e32 v1, v2
	s_mov_b32 s2, 0x43f00000
                                        ; implicit-def: $vgpr3
	v_and_b32_e32 v9, 0x7fffffff, v1
	v_cmp_gt_u32_e32 vcc, s2, v9
	s_and_saveexec_b64 s[2:3], vcc
	s_xor_b64 s[2:3], exec, s[2:3]
	s_cbranch_execz .LBB296_1559
; %bb.1554:
	s_mov_b32 s6, 0x3c7fffff
	v_cmp_lt_u32_e32 vcc, s6, v9
                                        ; implicit-def: $vgpr3
	s_and_saveexec_b64 s[6:7], vcc
	s_xor_b64 s[6:7], exec, s[6:7]
; %bb.1555:
	v_bfe_u32 v3, v1, 20, 1
	s_mov_b32 s18, 0x407ffff
	v_add3_u32 v3, v1, v3, s18
	v_lshrrev_b32_e32 v9, 20, v3
	v_and_b32_e32 v3, 0xff00000, v3
	s_mov_b32 s18, 0x7f00000
	v_mov_b32_e32 v10, 0x7e
	v_cmp_ne_u32_e32 vcc, s18, v3
	s_nop 1
	v_cndmask_b32_e32 v3, v10, v9, vcc
; %bb.1556:
	s_andn2_saveexec_b64 s[6:7], s[6:7]
; %bb.1557:
	s_mov_b32 s18, 0x46800000
	v_add_f32_e64 v3, |v1|, s18
; %bb.1558:
	s_or_b64 exec, exec, s[6:7]
                                        ; implicit-def: $vgpr9
.LBB296_1559:
	s_andn2_saveexec_b64 s[2:3], s[2:3]
; %bb.1560:
	s_mov_b32 s6, 0x7f800000
	v_mov_b32_e32 v3, 0x7e
	v_mov_b32_e32 v10, 0x7f
	v_cmp_lt_u32_e32 vcc, s6, v9
	s_nop 1
	v_cndmask_b32_e32 v3, v3, v10, vcc
; %bb.1561:
	s_or_b64 exec, exec, s[2:3]
	v_lshrrev_b32_e32 v1, 24, v1
	s_movk_i32 s2, 0x80
	v_and_or_b32 v1, v1, s2, v3
	global_store_byte v[4:5], v1, off
.LBB296_1562:
	s_mov_b64 s[2:3], 0
.LBB296_1563:
	s_andn2_b64 vcc, exec, s[2:3]
	s_cbranch_vccnz .LBB296_1573
; %bb.1564:
	v_cvt_f32_i32_e32 v1, v2
	s_mov_b32 s2, 0x47800000
                                        ; implicit-def: $vgpr3
	v_and_b32_e32 v9, 0x7fffffff, v1
	v_cmp_gt_u32_e32 vcc, s2, v9
	s_and_saveexec_b64 s[2:3], vcc
	s_xor_b64 s[2:3], exec, s[2:3]
	s_cbranch_execz .LBB296_1570
; %bb.1565:
	s_mov_b32 s6, 0x387fffff
	v_cmp_lt_u32_e32 vcc, s6, v9
                                        ; implicit-def: $vgpr3
	s_and_saveexec_b64 s[6:7], vcc
	s_xor_b64 s[6:7], exec, s[6:7]
; %bb.1566:
	v_bfe_u32 v3, v1, 21, 1
	s_mov_b32 s18, 0x80fffff
	v_add3_u32 v3, v1, v3, s18
	v_lshrrev_b32_e32 v3, 21, v3
; %bb.1567:
	s_andn2_saveexec_b64 s[6:7], s[6:7]
; %bb.1568:
	s_mov_b32 s18, 0x43000000
	v_add_f32_e64 v3, |v1|, s18
; %bb.1569:
	s_or_b64 exec, exec, s[6:7]
                                        ; implicit-def: $vgpr9
.LBB296_1570:
	s_andn2_saveexec_b64 s[2:3], s[2:3]
; %bb.1571:
	s_mov_b32 s6, 0x7f800000
	v_mov_b32_e32 v3, 0x7c
	v_mov_b32_e32 v10, 0x7f
	v_cmp_lt_u32_e32 vcc, s6, v9
	s_nop 1
	v_cndmask_b32_e32 v3, v3, v10, vcc
; %bb.1572:
	s_or_b64 exec, exec, s[2:3]
	v_lshrrev_b32_e32 v1, 24, v1
	s_movk_i32 s2, 0x80
	v_and_or_b32 v1, v1, s2, v3
	global_store_byte v[4:5], v1, off
.LBB296_1573:
	s_mov_b64 s[2:3], 0
	s_mov_b64 s[6:7], -1
.LBB296_1574:
	s_andn2_b64 vcc, exec, s[2:3]
	s_mov_b64 s[2:3], 0
	s_cbranch_vccnz .LBB296_1581
; %bb.1575:
	s_cmp_gt_i32 s9, 14
	s_mov_b64 s[18:19], -1
	s_cbranch_scc0 .LBB296_1579
; %bb.1576:
	s_cmp_eq_u32 s9, 15
	s_mov_b64 s[0:1], -1
	s_cbranch_scc0 .LBB296_1578
; %bb.1577:
	v_cvt_f32_i32_e32 v1, v2
	s_movk_i32 s2, 0x7fff
	s_mov_b64 s[0:1], 0
	s_mov_b64 s[6:7], -1
	v_bfe_u32 v3, v1, 16, 1
	v_add3_u32 v1, v1, v3, s2
	global_store_short_d16_hi v[4:5], v1, off
.LBB296_1578:
	s_mov_b64 s[18:19], 0
.LBB296_1579:
	s_mov_b64 s[2:3], 0
	s_and_b64 vcc, exec, s[18:19]
	s_cbranch_vccz .LBB296_1581
; %bb.1580:
	s_cmp_lg_u32 s9, 11
	s_mov_b64 s[2:3], -1
	s_cselect_b64 s[0:1], -1, 0
.LBB296_1581:
	s_and_b64 vcc, exec, s[0:1]
	s_cbranch_vccnz .LBB296_1989
; %bb.1582:
	s_andn2_b64 vcc, exec, s[2:3]
	s_cbranch_vccnz .LBB296_1584
.LBB296_1583:
	v_cmp_ne_u32_e32 vcc, 0, v2
	s_mov_b64 s[6:7], -1
	s_nop 0
	v_cndmask_b32_e64 v1, 0, 1, vcc
	global_store_byte v[4:5], v1, off
.LBB296_1584:
	s_mov_b64 s[0:1], 0
	s_branch .LBB296_1586
.LBB296_1585:
	s_mov_b64 s[0:1], -1
	s_mov_b64 s[6:7], 0
.LBB296_1586:
	s_and_b64 vcc, exec, s[0:1]
	s_cbranch_vccz .LBB296_1625
; %bb.1587:
	s_and_b32 s2, 0xffff, s22
	s_cmp_lt_i32 s2, 5
	s_mov_b64 s[0:1], -1
	s_cbranch_scc1 .LBB296_1608
; %bb.1588:
	s_cmp_lt_i32 s2, 8
	s_cbranch_scc1 .LBB296_1598
; %bb.1589:
	s_cmp_lt_i32 s2, 9
	s_cbranch_scc1 .LBB296_1595
; %bb.1590:
	s_cmp_gt_i32 s2, 9
	s_cbranch_scc0 .LBB296_1592
; %bb.1591:
	v_mov_b32_e32 v12, 0
	v_cvt_f64_i32_e32 v[10:11], v2
	v_mov_b32_e32 v13, v12
	global_store_dwordx4 v[4:5], v[10:13], off
	s_mov_b64 s[0:1], 0
.LBB296_1592:
	s_andn2_b64 vcc, exec, s[0:1]
	s_cbranch_vccnz .LBB296_1594
; %bb.1593:
	v_cvt_f32_i32_e32 v10, v2
	v_mov_b32_e32 v11, 0
	global_store_dwordx2 v[4:5], v[10:11], off
.LBB296_1594:
	s_mov_b64 s[0:1], 0
.LBB296_1595:
	s_andn2_b64 vcc, exec, s[0:1]
	s_cbranch_vccnz .LBB296_1597
; %bb.1596:
	v_cvt_f32_i32_e32 v1, v2
	v_cvt_f16_f32_e32 v1, v1
	global_store_dword v[4:5], v1, off
.LBB296_1597:
	s_mov_b64 s[0:1], 0
.LBB296_1598:
	s_andn2_b64 vcc, exec, s[0:1]
	s_cbranch_vccnz .LBB296_1607
; %bb.1599:
	s_cmp_lt_i32 s2, 6
	s_mov_b64 s[0:1], -1
	s_cbranch_scc1 .LBB296_1605
; %bb.1600:
	s_cmp_gt_i32 s2, 6
	s_cbranch_scc0 .LBB296_1602
; %bb.1601:
	v_cvt_f64_i32_e32 v[10:11], v2
	global_store_dwordx2 v[4:5], v[10:11], off
	s_mov_b64 s[0:1], 0
.LBB296_1602:
	s_andn2_b64 vcc, exec, s[0:1]
	s_cbranch_vccnz .LBB296_1604
; %bb.1603:
	v_cvt_f32_i32_e32 v1, v2
	global_store_dword v[4:5], v1, off
.LBB296_1604:
	s_mov_b64 s[0:1], 0
.LBB296_1605:
	s_andn2_b64 vcc, exec, s[0:1]
	s_cbranch_vccnz .LBB296_1607
; %bb.1606:
	v_cvt_f32_i32_e32 v1, v2
	v_cvt_f16_f32_e32 v1, v1
	global_store_short v[4:5], v1, off
.LBB296_1607:
	s_mov_b64 s[0:1], 0
.LBB296_1608:
	s_andn2_b64 vcc, exec, s[0:1]
	s_cbranch_vccnz .LBB296_1624
; %bb.1609:
	s_cmp_lt_i32 s2, 2
	s_mov_b64 s[0:1], -1
	s_cbranch_scc1 .LBB296_1619
; %bb.1610:
	s_cmp_lt_i32 s2, 3
	s_cbranch_scc1 .LBB296_1616
; %bb.1611:
	s_cmp_gt_i32 s2, 3
	s_cbranch_scc0 .LBB296_1613
; %bb.1612:
	v_ashrrev_i32_e32 v3, 31, v2
	global_store_dwordx2 v[4:5], v[2:3], off
	s_mov_b64 s[0:1], 0
.LBB296_1613:
	s_andn2_b64 vcc, exec, s[0:1]
	s_cbranch_vccnz .LBB296_1615
; %bb.1614:
	global_store_dword v[4:5], v2, off
.LBB296_1615:
	s_mov_b64 s[0:1], 0
.LBB296_1616:
	s_andn2_b64 vcc, exec, s[0:1]
	s_cbranch_vccnz .LBB296_1618
; %bb.1617:
	global_store_short v[4:5], v2, off
.LBB296_1618:
	s_mov_b64 s[0:1], 0
.LBB296_1619:
	s_andn2_b64 vcc, exec, s[0:1]
	s_cbranch_vccnz .LBB296_1624
; %bb.1620:
	s_cmp_gt_i32 s2, 0
	s_mov_b64 s[0:1], -1
	s_cbranch_scc0 .LBB296_1622
; %bb.1621:
	global_store_byte v[4:5], v2, off
	s_mov_b64 s[0:1], 0
.LBB296_1622:
	s_andn2_b64 vcc, exec, s[0:1]
	s_cbranch_vccnz .LBB296_1624
; %bb.1623:
	global_store_byte v[4:5], v2, off
.LBB296_1624:
	s_mov_b64 s[6:7], -1
.LBB296_1625:
	s_andn2_b64 vcc, exec, s[6:7]
	s_cbranch_vccnz .LBB296_1940
; %bb.1626:
	s_lshl_b32 s20, s8, 7
	v_max_i32_e32 v1, s10, v8
	v_add_u32_e32 v0, s20, v0
	v_min_i32_e32 v2, s11, v1
	v_ashrrev_i32_e32 v1, 31, v0
	s_cmp_lt_i32 s22, 11
	v_lshl_add_u64 v[4:5], s[4:5], 0, v[0:1]
	s_cbranch_scc1 .LBB296_1704
; %bb.1627:
	s_and_b32 s21, 0xffff, s22
	s_mov_b64 s[8:9], -1
	s_mov_b64 s[2:3], 0
	s_cmp_gt_i32 s21, 25
	s_mov_b64 s[6:7], 0
	s_mov_b64 s[0:1], 0
	s_cbranch_scc0 .LBB296_1660
; %bb.1628:
	s_cmp_gt_i32 s21, 28
	s_cbranch_scc0 .LBB296_1643
; %bb.1629:
	s_cmp_gt_i32 s21, 43
	;; [unrolled: 3-line block ×3, first 2 shown]
	s_cbranch_scc0 .LBB296_1633
; %bb.1631:
	s_mov_b64 s[0:1], -1
	s_mov_b64 s[8:9], 0
	s_cmp_eq_u32 s21, 46
	s_cbranch_scc0 .LBB296_1633
; %bb.1632:
	v_cvt_f32_i32_e32 v1, v2
	s_movk_i32 s6, 0x7fff
	s_mov_b64 s[0:1], 0
	v_bfe_u32 v3, v1, 16, 1
	v_add3_u32 v1, v1, v3, s6
	v_lshrrev_b32_e32 v1, 16, v1
	global_store_dword v[4:5], v1, off
	s_mov_b64 s[6:7], -1
.LBB296_1633:
	s_and_b64 vcc, exec, s[8:9]
	s_cbranch_vccz .LBB296_1638
; %bb.1634:
	s_cmp_eq_u32 s21, 44
	s_mov_b64 s[0:1], -1
	s_cbranch_scc0 .LBB296_1638
; %bb.1635:
	v_cvt_f32_i32_e32 v1, v2
	s_movk_i32 s0, 0xff
	v_mov_b32_e32 v8, 0xff
	v_bfe_u32 v3, v1, 23, 8
	v_cmp_ne_u32_e32 vcc, s0, v3
	s_and_saveexec_b64 s[6:7], vcc
; %bb.1636:
	s_mov_b32 s0, 0x3fffff
	v_lshrrev_b32_e32 v8, 23, v1
	v_and_b32_e32 v9, 0x400000, v1
	v_and_or_b32 v1, v1, s0, v3
	v_cmp_ne_u32_e32 vcc, 0, v9
	v_cmp_ne_u32_e64 s[0:1], 0, v1
	s_and_b64 s[0:1], vcc, s[0:1]
	s_nop 0
	v_cndmask_b32_e64 v1, 0, 1, s[0:1]
	v_add_u32_e32 v8, v8, v1
; %bb.1637:
	s_or_b64 exec, exec, s[6:7]
	s_mov_b64 s[0:1], 0
	s_mov_b64 s[6:7], -1
	global_store_byte v[4:5], v8, off
.LBB296_1638:
	s_mov_b64 s[8:9], 0
.LBB296_1639:
	s_and_b64 vcc, exec, s[8:9]
	s_cbranch_vccz .LBB296_1642
; %bb.1640:
	s_cmp_eq_u32 s21, 29
	s_mov_b64 s[0:1], -1
	s_cbranch_scc0 .LBB296_1642
; %bb.1641:
	v_ashrrev_i32_e32 v3, 31, v2
	global_store_dwordx2 v[4:5], v[2:3], off
	s_mov_b64 s[0:1], 0
	s_mov_b64 s[6:7], -1
.LBB296_1642:
	s_mov_b64 s[8:9], 0
.LBB296_1643:
	s_and_b64 vcc, exec, s[8:9]
	s_cbranch_vccz .LBB296_1659
; %bb.1644:
	s_cmp_lt_i32 s21, 27
	s_mov_b64 s[6:7], -1
	s_cbranch_scc1 .LBB296_1650
; %bb.1645:
	s_cmp_gt_i32 s21, 27
	s_cbranch_scc0 .LBB296_1647
; %bb.1646:
	s_mov_b64 s[6:7], 0
	global_store_dword v[4:5], v2, off
.LBB296_1647:
	s_andn2_b64 vcc, exec, s[6:7]
	s_cbranch_vccnz .LBB296_1649
; %bb.1648:
	global_store_short v[4:5], v2, off
.LBB296_1649:
	s_mov_b64 s[6:7], 0
.LBB296_1650:
	s_andn2_b64 vcc, exec, s[6:7]
	s_cbranch_vccnz .LBB296_1658
; %bb.1651:
	v_cvt_f32_i32_e32 v1, v2
	s_mov_b32 s6, 0x43800000
	v_mov_b32_e32 v8, 0x80
	v_and_b32_e32 v3, 0x7fffffff, v1
	v_cmp_gt_u32_e32 vcc, s6, v3
	s_and_saveexec_b64 s[6:7], vcc
	s_cbranch_execz .LBB296_1657
; %bb.1652:
	s_mov_b32 s8, 0x3bffffff
	v_cmp_lt_u32_e32 vcc, s8, v3
	s_mov_b64 s[8:9], 0
                                        ; implicit-def: $vgpr3
	s_and_saveexec_b64 s[18:19], vcc
	s_xor_b64 s[18:19], exec, s[18:19]
	s_cbranch_execz .LBB296_1992
; %bb.1653:
	v_bfe_u32 v3, v1, 20, 1
	s_mov_b32 s23, 0x487ffff
	v_add3_u32 v3, v1, v3, s23
	s_mov_b64 s[8:9], exec
	v_lshrrev_b32_e32 v3, 20, v3
	s_andn2_saveexec_b64 s[18:19], s[18:19]
	s_cbranch_execnz .LBB296_1993
.LBB296_1654:
	s_or_b64 exec, exec, s[18:19]
	v_mov_b32_e32 v8, 0
	s_and_saveexec_b64 s[18:19], s[8:9]
.LBB296_1655:
	v_lshrrev_b32_e32 v1, 24, v1
	s_movk_i32 s8, 0x80
	v_and_or_b32 v8, v1, s8, v3
.LBB296_1656:
	s_or_b64 exec, exec, s[18:19]
.LBB296_1657:
	s_or_b64 exec, exec, s[6:7]
	global_store_byte v[4:5], v8, off
.LBB296_1658:
	s_mov_b64 s[6:7], -1
.LBB296_1659:
	s_mov_b64 s[8:9], 0
.LBB296_1660:
	s_and_b64 vcc, exec, s[8:9]
	s_cbranch_vccz .LBB296_1700
; %bb.1661:
	s_cmp_gt_i32 s21, 22
	s_mov_b64 s[2:3], -1
	s_cbranch_scc0 .LBB296_1693
; %bb.1662:
	s_cmp_lt_i32 s21, 24
	s_cbranch_scc1 .LBB296_1682
; %bb.1663:
	s_cmp_gt_i32 s21, 24
	s_cbranch_scc0 .LBB296_1671
; %bb.1664:
	v_cvt_f32_i32_e32 v1, v2
	s_mov_b32 s2, 0x47800000
	v_mov_b32_e32 v8, 0x80
	v_and_b32_e32 v3, 0x7fffffff, v1
	v_cmp_gt_u32_e32 vcc, s2, v3
	s_and_saveexec_b64 s[2:3], vcc
	s_cbranch_execz .LBB296_1670
; %bb.1665:
	s_mov_b32 s6, 0x37ffffff
	v_cmp_lt_u32_e32 vcc, s6, v3
	s_mov_b64 s[6:7], 0
                                        ; implicit-def: $vgpr3
	s_and_saveexec_b64 s[8:9], vcc
	s_xor_b64 s[8:9], exec, s[8:9]
	s_cbranch_execz .LBB296_1995
; %bb.1666:
	v_bfe_u32 v3, v1, 21, 1
	s_mov_b32 s18, 0x88fffff
	v_add3_u32 v3, v1, v3, s18
	s_mov_b64 s[6:7], exec
	v_lshrrev_b32_e32 v3, 21, v3
	s_andn2_saveexec_b64 s[8:9], s[8:9]
	s_cbranch_execnz .LBB296_1996
.LBB296_1667:
	s_or_b64 exec, exec, s[8:9]
	v_mov_b32_e32 v8, 0
	s_and_saveexec_b64 s[8:9], s[6:7]
.LBB296_1668:
	v_lshrrev_b32_e32 v1, 24, v1
	s_movk_i32 s6, 0x80
	v_and_or_b32 v8, v1, s6, v3
.LBB296_1669:
	s_or_b64 exec, exec, s[8:9]
.LBB296_1670:
	s_or_b64 exec, exec, s[2:3]
	s_mov_b64 s[2:3], 0
	global_store_byte v[4:5], v8, off
.LBB296_1671:
	s_and_b64 vcc, exec, s[2:3]
	s_cbranch_vccz .LBB296_1681
; %bb.1672:
	v_cvt_f32_i32_e32 v1, v2
	s_mov_b32 s2, 0x43f00000
                                        ; implicit-def: $vgpr3
	v_and_b32_e32 v8, 0x7fffffff, v1
	v_cmp_gt_u32_e32 vcc, s2, v8
	s_and_saveexec_b64 s[2:3], vcc
	s_xor_b64 s[2:3], exec, s[2:3]
	s_cbranch_execz .LBB296_1678
; %bb.1673:
	s_mov_b32 s6, 0x3c7fffff
	v_cmp_lt_u32_e32 vcc, s6, v8
                                        ; implicit-def: $vgpr3
	s_and_saveexec_b64 s[6:7], vcc
	s_xor_b64 s[6:7], exec, s[6:7]
; %bb.1674:
	v_bfe_u32 v3, v1, 20, 1
	s_mov_b32 s8, 0x407ffff
	v_add3_u32 v3, v1, v3, s8
	v_lshrrev_b32_e32 v8, 20, v3
	v_and_b32_e32 v3, 0xff00000, v3
	s_mov_b32 s8, 0x7f00000
	v_mov_b32_e32 v9, 0x7e
	v_cmp_ne_u32_e32 vcc, s8, v3
	s_nop 1
	v_cndmask_b32_e32 v3, v9, v8, vcc
; %bb.1675:
	s_andn2_saveexec_b64 s[6:7], s[6:7]
; %bb.1676:
	s_mov_b32 s8, 0x46800000
	v_add_f32_e64 v3, |v1|, s8
; %bb.1677:
	s_or_b64 exec, exec, s[6:7]
                                        ; implicit-def: $vgpr8
.LBB296_1678:
	s_andn2_saveexec_b64 s[2:3], s[2:3]
; %bb.1679:
	s_mov_b32 s6, 0x7f800000
	v_mov_b32_e32 v3, 0x7e
	v_mov_b32_e32 v9, 0x7f
	v_cmp_lt_u32_e32 vcc, s6, v8
	s_nop 1
	v_cndmask_b32_e32 v3, v3, v9, vcc
; %bb.1680:
	s_or_b64 exec, exec, s[2:3]
	v_lshrrev_b32_e32 v1, 24, v1
	s_movk_i32 s2, 0x80
	v_and_or_b32 v1, v1, s2, v3
	global_store_byte v[4:5], v1, off
.LBB296_1681:
	s_mov_b64 s[2:3], 0
.LBB296_1682:
	s_andn2_b64 vcc, exec, s[2:3]
	s_cbranch_vccnz .LBB296_1692
; %bb.1683:
	v_cvt_f32_i32_e32 v1, v2
	s_mov_b32 s2, 0x47800000
                                        ; implicit-def: $vgpr3
	v_and_b32_e32 v8, 0x7fffffff, v1
	v_cmp_gt_u32_e32 vcc, s2, v8
	s_and_saveexec_b64 s[2:3], vcc
	s_xor_b64 s[2:3], exec, s[2:3]
	s_cbranch_execz .LBB296_1689
; %bb.1684:
	s_mov_b32 s6, 0x387fffff
	v_cmp_lt_u32_e32 vcc, s6, v8
                                        ; implicit-def: $vgpr3
	s_and_saveexec_b64 s[6:7], vcc
	s_xor_b64 s[6:7], exec, s[6:7]
; %bb.1685:
	v_bfe_u32 v3, v1, 21, 1
	s_mov_b32 s8, 0x80fffff
	v_add3_u32 v3, v1, v3, s8
	v_lshrrev_b32_e32 v3, 21, v3
; %bb.1686:
	s_andn2_saveexec_b64 s[6:7], s[6:7]
; %bb.1687:
	s_mov_b32 s8, 0x43000000
	v_add_f32_e64 v3, |v1|, s8
; %bb.1688:
	s_or_b64 exec, exec, s[6:7]
                                        ; implicit-def: $vgpr8
.LBB296_1689:
	s_andn2_saveexec_b64 s[2:3], s[2:3]
; %bb.1690:
	s_mov_b32 s6, 0x7f800000
	v_mov_b32_e32 v3, 0x7c
	v_mov_b32_e32 v9, 0x7f
	v_cmp_lt_u32_e32 vcc, s6, v8
	s_nop 1
	v_cndmask_b32_e32 v3, v3, v9, vcc
; %bb.1691:
	s_or_b64 exec, exec, s[2:3]
	v_lshrrev_b32_e32 v1, 24, v1
	s_movk_i32 s2, 0x80
	v_and_or_b32 v1, v1, s2, v3
	global_store_byte v[4:5], v1, off
.LBB296_1692:
	s_mov_b64 s[2:3], 0
	s_mov_b64 s[6:7], -1
.LBB296_1693:
	s_andn2_b64 vcc, exec, s[2:3]
	s_mov_b64 s[2:3], 0
	s_cbranch_vccnz .LBB296_1700
; %bb.1694:
	s_cmp_gt_i32 s21, 14
	s_mov_b64 s[8:9], -1
	s_cbranch_scc0 .LBB296_1698
; %bb.1695:
	s_cmp_eq_u32 s21, 15
	s_mov_b64 s[0:1], -1
	s_cbranch_scc0 .LBB296_1697
; %bb.1696:
	v_cvt_f32_i32_e32 v1, v2
	s_movk_i32 s2, 0x7fff
	s_mov_b64 s[0:1], 0
	s_mov_b64 s[6:7], -1
	v_bfe_u32 v3, v1, 16, 1
	v_add3_u32 v1, v1, v3, s2
	global_store_short_d16_hi v[4:5], v1, off
.LBB296_1697:
	s_mov_b64 s[8:9], 0
.LBB296_1698:
	s_mov_b64 s[2:3], 0
	s_and_b64 vcc, exec, s[8:9]
	s_cbranch_vccz .LBB296_1700
; %bb.1699:
	s_cmp_lg_u32 s21, 11
	s_mov_b64 s[2:3], -1
	s_cselect_b64 s[0:1], -1, 0
.LBB296_1700:
	s_and_b64 vcc, exec, s[0:1]
	s_cbranch_vccnz .LBB296_1994
; %bb.1701:
	s_andn2_b64 vcc, exec, s[2:3]
	s_cbranch_vccnz .LBB296_1703
.LBB296_1702:
	v_cmp_ne_u32_e32 vcc, 0, v2
	s_mov_b64 s[6:7], -1
	s_nop 0
	v_cndmask_b32_e64 v1, 0, 1, vcc
	global_store_byte v[4:5], v1, off
.LBB296_1703:
	s_mov_b64 s[0:1], 0
	s_branch .LBB296_1705
.LBB296_1704:
	s_mov_b64 s[0:1], -1
	s_mov_b64 s[6:7], 0
.LBB296_1705:
	s_and_b64 vcc, exec, s[0:1]
	s_cbranch_vccz .LBB296_1744
; %bb.1706:
	s_and_b32 s2, 0xffff, s22
	s_cmp_lt_i32 s2, 5
	s_mov_b64 s[0:1], -1
	s_cbranch_scc1 .LBB296_1727
; %bb.1707:
	s_cmp_lt_i32 s2, 8
	s_cbranch_scc1 .LBB296_1717
; %bb.1708:
	s_cmp_lt_i32 s2, 9
	s_cbranch_scc1 .LBB296_1714
; %bb.1709:
	s_cmp_gt_i32 s2, 9
	s_cbranch_scc0 .LBB296_1711
; %bb.1710:
	v_mov_b32_e32 v10, 0
	v_cvt_f64_i32_e32 v[8:9], v2
	v_mov_b32_e32 v11, v10
	global_store_dwordx4 v[4:5], v[8:11], off
	s_mov_b64 s[0:1], 0
.LBB296_1711:
	s_andn2_b64 vcc, exec, s[0:1]
	s_cbranch_vccnz .LBB296_1713
; %bb.1712:
	v_cvt_f32_i32_e32 v8, v2
	v_mov_b32_e32 v9, 0
	global_store_dwordx2 v[4:5], v[8:9], off
.LBB296_1713:
	s_mov_b64 s[0:1], 0
.LBB296_1714:
	s_andn2_b64 vcc, exec, s[0:1]
	s_cbranch_vccnz .LBB296_1716
; %bb.1715:
	v_cvt_f32_i32_e32 v1, v2
	v_cvt_f16_f32_e32 v1, v1
	global_store_dword v[4:5], v1, off
.LBB296_1716:
	s_mov_b64 s[0:1], 0
.LBB296_1717:
	s_andn2_b64 vcc, exec, s[0:1]
	s_cbranch_vccnz .LBB296_1726
; %bb.1718:
	s_cmp_lt_i32 s2, 6
	s_mov_b64 s[0:1], -1
	s_cbranch_scc1 .LBB296_1724
; %bb.1719:
	s_cmp_gt_i32 s2, 6
	s_cbranch_scc0 .LBB296_1721
; %bb.1720:
	v_cvt_f64_i32_e32 v[8:9], v2
	global_store_dwordx2 v[4:5], v[8:9], off
	s_mov_b64 s[0:1], 0
.LBB296_1721:
	s_andn2_b64 vcc, exec, s[0:1]
	s_cbranch_vccnz .LBB296_1723
; %bb.1722:
	v_cvt_f32_i32_e32 v1, v2
	global_store_dword v[4:5], v1, off
.LBB296_1723:
	s_mov_b64 s[0:1], 0
.LBB296_1724:
	s_andn2_b64 vcc, exec, s[0:1]
	s_cbranch_vccnz .LBB296_1726
; %bb.1725:
	v_cvt_f32_i32_e32 v1, v2
	v_cvt_f16_f32_e32 v1, v1
	global_store_short v[4:5], v1, off
.LBB296_1726:
	s_mov_b64 s[0:1], 0
.LBB296_1727:
	s_andn2_b64 vcc, exec, s[0:1]
	s_cbranch_vccnz .LBB296_1743
; %bb.1728:
	s_cmp_lt_i32 s2, 2
	s_mov_b64 s[0:1], -1
	s_cbranch_scc1 .LBB296_1738
; %bb.1729:
	s_cmp_lt_i32 s2, 3
	s_cbranch_scc1 .LBB296_1735
; %bb.1730:
	s_cmp_gt_i32 s2, 3
	s_cbranch_scc0 .LBB296_1732
; %bb.1731:
	v_ashrrev_i32_e32 v3, 31, v2
	global_store_dwordx2 v[4:5], v[2:3], off
	s_mov_b64 s[0:1], 0
.LBB296_1732:
	s_andn2_b64 vcc, exec, s[0:1]
	s_cbranch_vccnz .LBB296_1734
; %bb.1733:
	global_store_dword v[4:5], v2, off
.LBB296_1734:
	s_mov_b64 s[0:1], 0
.LBB296_1735:
	s_andn2_b64 vcc, exec, s[0:1]
	s_cbranch_vccnz .LBB296_1737
; %bb.1736:
	global_store_short v[4:5], v2, off
.LBB296_1737:
	s_mov_b64 s[0:1], 0
.LBB296_1738:
	s_andn2_b64 vcc, exec, s[0:1]
	s_cbranch_vccnz .LBB296_1743
; %bb.1739:
	s_cmp_gt_i32 s2, 0
	s_mov_b64 s[0:1], -1
	s_cbranch_scc0 .LBB296_1741
; %bb.1740:
	global_store_byte v[4:5], v2, off
	s_mov_b64 s[0:1], 0
.LBB296_1741:
	s_andn2_b64 vcc, exec, s[0:1]
	s_cbranch_vccnz .LBB296_1743
; %bb.1742:
	global_store_byte v[4:5], v2, off
.LBB296_1743:
	s_mov_b64 s[6:7], -1
.LBB296_1744:
	s_andn2_b64 vcc, exec, s[6:7]
	s_cbranch_vccnz .LBB296_1940
; %bb.1745:
	v_max_i32_e32 v1, s10, v7
	v_add_u32_e32 v0, s20, v0
	v_min_i32_e32 v2, s11, v1
	v_ashrrev_i32_e32 v1, 31, v0
	s_cmp_lt_i32 s22, 11
	v_lshl_add_u64 v[4:5], s[4:5], 0, v[0:1]
	s_cbranch_scc1 .LBB296_1823
; %bb.1746:
	s_and_b32 s21, 0xffff, s22
	s_mov_b64 s[8:9], -1
	s_mov_b64 s[2:3], 0
	s_cmp_gt_i32 s21, 25
	s_mov_b64 s[6:7], 0
	s_mov_b64 s[0:1], 0
	s_cbranch_scc0 .LBB296_1779
; %bb.1747:
	s_cmp_gt_i32 s21, 28
	s_cbranch_scc0 .LBB296_1762
; %bb.1748:
	s_cmp_gt_i32 s21, 43
	;; [unrolled: 3-line block ×3, first 2 shown]
	s_cbranch_scc0 .LBB296_1752
; %bb.1750:
	s_mov_b64 s[0:1], -1
	s_mov_b64 s[8:9], 0
	s_cmp_eq_u32 s21, 46
	s_cbranch_scc0 .LBB296_1752
; %bb.1751:
	v_cvt_f32_i32_e32 v1, v2
	s_movk_i32 s6, 0x7fff
	s_mov_b64 s[0:1], 0
	v_bfe_u32 v3, v1, 16, 1
	v_add3_u32 v1, v1, v3, s6
	v_lshrrev_b32_e32 v1, 16, v1
	global_store_dword v[4:5], v1, off
	s_mov_b64 s[6:7], -1
.LBB296_1752:
	s_and_b64 vcc, exec, s[8:9]
	s_cbranch_vccz .LBB296_1757
; %bb.1753:
	s_cmp_eq_u32 s21, 44
	s_mov_b64 s[0:1], -1
	s_cbranch_scc0 .LBB296_1757
; %bb.1754:
	v_cvt_f32_i32_e32 v1, v2
	s_movk_i32 s0, 0xff
	v_mov_b32_e32 v7, 0xff
	v_bfe_u32 v3, v1, 23, 8
	v_cmp_ne_u32_e32 vcc, s0, v3
	s_and_saveexec_b64 s[6:7], vcc
; %bb.1755:
	s_mov_b32 s0, 0x3fffff
	v_lshrrev_b32_e32 v7, 23, v1
	v_and_b32_e32 v8, 0x400000, v1
	v_and_or_b32 v1, v1, s0, v3
	v_cmp_ne_u32_e32 vcc, 0, v8
	v_cmp_ne_u32_e64 s[0:1], 0, v1
	s_and_b64 s[0:1], vcc, s[0:1]
	s_nop 0
	v_cndmask_b32_e64 v1, 0, 1, s[0:1]
	v_add_u32_e32 v7, v7, v1
; %bb.1756:
	s_or_b64 exec, exec, s[6:7]
	s_mov_b64 s[0:1], 0
	s_mov_b64 s[6:7], -1
	global_store_byte v[4:5], v7, off
.LBB296_1757:
	s_mov_b64 s[8:9], 0
.LBB296_1758:
	s_and_b64 vcc, exec, s[8:9]
	s_cbranch_vccz .LBB296_1761
; %bb.1759:
	s_cmp_eq_u32 s21, 29
	s_mov_b64 s[0:1], -1
	s_cbranch_scc0 .LBB296_1761
; %bb.1760:
	v_ashrrev_i32_e32 v3, 31, v2
	global_store_dwordx2 v[4:5], v[2:3], off
	s_mov_b64 s[0:1], 0
	s_mov_b64 s[6:7], -1
.LBB296_1761:
	s_mov_b64 s[8:9], 0
.LBB296_1762:
	s_and_b64 vcc, exec, s[8:9]
	s_cbranch_vccz .LBB296_1778
; %bb.1763:
	s_cmp_lt_i32 s21, 27
	s_mov_b64 s[6:7], -1
	s_cbranch_scc1 .LBB296_1769
; %bb.1764:
	s_cmp_gt_i32 s21, 27
	s_cbranch_scc0 .LBB296_1766
; %bb.1765:
	s_mov_b64 s[6:7], 0
	global_store_dword v[4:5], v2, off
.LBB296_1766:
	s_andn2_b64 vcc, exec, s[6:7]
	s_cbranch_vccnz .LBB296_1768
; %bb.1767:
	global_store_short v[4:5], v2, off
.LBB296_1768:
	s_mov_b64 s[6:7], 0
.LBB296_1769:
	s_andn2_b64 vcc, exec, s[6:7]
	s_cbranch_vccnz .LBB296_1777
; %bb.1770:
	v_cvt_f32_i32_e32 v1, v2
	s_mov_b32 s6, 0x43800000
	v_mov_b32_e32 v7, 0x80
	v_and_b32_e32 v3, 0x7fffffff, v1
	v_cmp_gt_u32_e32 vcc, s6, v3
	s_and_saveexec_b64 s[6:7], vcc
	s_cbranch_execz .LBB296_1776
; %bb.1771:
	s_mov_b32 s8, 0x3bffffff
	v_cmp_lt_u32_e32 vcc, s8, v3
	s_mov_b64 s[8:9], 0
                                        ; implicit-def: $vgpr3
	s_and_saveexec_b64 s[18:19], vcc
	s_xor_b64 s[18:19], exec, s[18:19]
	s_cbranch_execz .LBB296_1997
; %bb.1772:
	v_bfe_u32 v3, v1, 20, 1
	s_mov_b32 s23, 0x487ffff
	v_add3_u32 v3, v1, v3, s23
	s_mov_b64 s[8:9], exec
	v_lshrrev_b32_e32 v3, 20, v3
	s_andn2_saveexec_b64 s[18:19], s[18:19]
	s_cbranch_execnz .LBB296_1998
.LBB296_1773:
	s_or_b64 exec, exec, s[18:19]
	v_mov_b32_e32 v7, 0
	s_and_saveexec_b64 s[18:19], s[8:9]
.LBB296_1774:
	v_lshrrev_b32_e32 v1, 24, v1
	s_movk_i32 s8, 0x80
	v_and_or_b32 v7, v1, s8, v3
.LBB296_1775:
	s_or_b64 exec, exec, s[18:19]
.LBB296_1776:
	s_or_b64 exec, exec, s[6:7]
	global_store_byte v[4:5], v7, off
.LBB296_1777:
	s_mov_b64 s[6:7], -1
.LBB296_1778:
	s_mov_b64 s[8:9], 0
.LBB296_1779:
	s_and_b64 vcc, exec, s[8:9]
	s_cbranch_vccz .LBB296_1819
; %bb.1780:
	s_cmp_gt_i32 s21, 22
	s_mov_b64 s[2:3], -1
	s_cbranch_scc0 .LBB296_1812
; %bb.1781:
	s_cmp_lt_i32 s21, 24
	s_cbranch_scc1 .LBB296_1801
; %bb.1782:
	s_cmp_gt_i32 s21, 24
	s_cbranch_scc0 .LBB296_1790
; %bb.1783:
	v_cvt_f32_i32_e32 v1, v2
	s_mov_b32 s2, 0x47800000
	v_mov_b32_e32 v7, 0x80
	v_and_b32_e32 v3, 0x7fffffff, v1
	v_cmp_gt_u32_e32 vcc, s2, v3
	s_and_saveexec_b64 s[2:3], vcc
	s_cbranch_execz .LBB296_1789
; %bb.1784:
	s_mov_b32 s6, 0x37ffffff
	v_cmp_lt_u32_e32 vcc, s6, v3
	s_mov_b64 s[6:7], 0
                                        ; implicit-def: $vgpr3
	s_and_saveexec_b64 s[8:9], vcc
	s_xor_b64 s[8:9], exec, s[8:9]
	s_cbranch_execz .LBB296_2000
; %bb.1785:
	v_bfe_u32 v3, v1, 21, 1
	s_mov_b32 s18, 0x88fffff
	v_add3_u32 v3, v1, v3, s18
	s_mov_b64 s[6:7], exec
	v_lshrrev_b32_e32 v3, 21, v3
	s_andn2_saveexec_b64 s[8:9], s[8:9]
	s_cbranch_execnz .LBB296_2001
.LBB296_1786:
	s_or_b64 exec, exec, s[8:9]
	v_mov_b32_e32 v7, 0
	s_and_saveexec_b64 s[8:9], s[6:7]
.LBB296_1787:
	v_lshrrev_b32_e32 v1, 24, v1
	s_movk_i32 s6, 0x80
	v_and_or_b32 v7, v1, s6, v3
.LBB296_1788:
	s_or_b64 exec, exec, s[8:9]
.LBB296_1789:
	s_or_b64 exec, exec, s[2:3]
	s_mov_b64 s[2:3], 0
	global_store_byte v[4:5], v7, off
.LBB296_1790:
	s_and_b64 vcc, exec, s[2:3]
	s_cbranch_vccz .LBB296_1800
; %bb.1791:
	v_cvt_f32_i32_e32 v1, v2
	s_mov_b32 s2, 0x43f00000
                                        ; implicit-def: $vgpr3
	v_and_b32_e32 v7, 0x7fffffff, v1
	v_cmp_gt_u32_e32 vcc, s2, v7
	s_and_saveexec_b64 s[2:3], vcc
	s_xor_b64 s[2:3], exec, s[2:3]
	s_cbranch_execz .LBB296_1797
; %bb.1792:
	s_mov_b32 s6, 0x3c7fffff
	v_cmp_lt_u32_e32 vcc, s6, v7
                                        ; implicit-def: $vgpr3
	s_and_saveexec_b64 s[6:7], vcc
	s_xor_b64 s[6:7], exec, s[6:7]
; %bb.1793:
	v_bfe_u32 v3, v1, 20, 1
	s_mov_b32 s8, 0x407ffff
	v_add3_u32 v3, v1, v3, s8
	v_lshrrev_b32_e32 v7, 20, v3
	v_and_b32_e32 v3, 0xff00000, v3
	s_mov_b32 s8, 0x7f00000
	v_mov_b32_e32 v8, 0x7e
	v_cmp_ne_u32_e32 vcc, s8, v3
	s_nop 1
	v_cndmask_b32_e32 v3, v8, v7, vcc
; %bb.1794:
	s_andn2_saveexec_b64 s[6:7], s[6:7]
; %bb.1795:
	s_mov_b32 s8, 0x46800000
	v_add_f32_e64 v3, |v1|, s8
; %bb.1796:
	s_or_b64 exec, exec, s[6:7]
                                        ; implicit-def: $vgpr7
.LBB296_1797:
	s_andn2_saveexec_b64 s[2:3], s[2:3]
; %bb.1798:
	s_mov_b32 s6, 0x7f800000
	v_mov_b32_e32 v3, 0x7e
	v_mov_b32_e32 v8, 0x7f
	v_cmp_lt_u32_e32 vcc, s6, v7
	s_nop 1
	v_cndmask_b32_e32 v3, v3, v8, vcc
; %bb.1799:
	s_or_b64 exec, exec, s[2:3]
	v_lshrrev_b32_e32 v1, 24, v1
	s_movk_i32 s2, 0x80
	v_and_or_b32 v1, v1, s2, v3
	global_store_byte v[4:5], v1, off
.LBB296_1800:
	s_mov_b64 s[2:3], 0
.LBB296_1801:
	s_andn2_b64 vcc, exec, s[2:3]
	s_cbranch_vccnz .LBB296_1811
; %bb.1802:
	v_cvt_f32_i32_e32 v1, v2
	s_mov_b32 s2, 0x47800000
                                        ; implicit-def: $vgpr3
	v_and_b32_e32 v7, 0x7fffffff, v1
	v_cmp_gt_u32_e32 vcc, s2, v7
	s_and_saveexec_b64 s[2:3], vcc
	s_xor_b64 s[2:3], exec, s[2:3]
	s_cbranch_execz .LBB296_1808
; %bb.1803:
	s_mov_b32 s6, 0x387fffff
	v_cmp_lt_u32_e32 vcc, s6, v7
                                        ; implicit-def: $vgpr3
	s_and_saveexec_b64 s[6:7], vcc
	s_xor_b64 s[6:7], exec, s[6:7]
; %bb.1804:
	v_bfe_u32 v3, v1, 21, 1
	s_mov_b32 s8, 0x80fffff
	v_add3_u32 v3, v1, v3, s8
	v_lshrrev_b32_e32 v3, 21, v3
; %bb.1805:
	s_andn2_saveexec_b64 s[6:7], s[6:7]
; %bb.1806:
	s_mov_b32 s8, 0x43000000
	v_add_f32_e64 v3, |v1|, s8
; %bb.1807:
	s_or_b64 exec, exec, s[6:7]
                                        ; implicit-def: $vgpr7
.LBB296_1808:
	s_andn2_saveexec_b64 s[2:3], s[2:3]
; %bb.1809:
	s_mov_b32 s6, 0x7f800000
	v_mov_b32_e32 v3, 0x7c
	v_mov_b32_e32 v8, 0x7f
	v_cmp_lt_u32_e32 vcc, s6, v7
	s_nop 1
	v_cndmask_b32_e32 v3, v3, v8, vcc
; %bb.1810:
	s_or_b64 exec, exec, s[2:3]
	v_lshrrev_b32_e32 v1, 24, v1
	s_movk_i32 s2, 0x80
	v_and_or_b32 v1, v1, s2, v3
	global_store_byte v[4:5], v1, off
.LBB296_1811:
	s_mov_b64 s[2:3], 0
	s_mov_b64 s[6:7], -1
.LBB296_1812:
	s_andn2_b64 vcc, exec, s[2:3]
	s_mov_b64 s[2:3], 0
	s_cbranch_vccnz .LBB296_1819
; %bb.1813:
	s_cmp_gt_i32 s21, 14
	s_mov_b64 s[8:9], -1
	s_cbranch_scc0 .LBB296_1817
; %bb.1814:
	s_cmp_eq_u32 s21, 15
	s_mov_b64 s[0:1], -1
	s_cbranch_scc0 .LBB296_1816
; %bb.1815:
	v_cvt_f32_i32_e32 v1, v2
	s_movk_i32 s2, 0x7fff
	s_mov_b64 s[0:1], 0
	s_mov_b64 s[6:7], -1
	v_bfe_u32 v3, v1, 16, 1
	v_add3_u32 v1, v1, v3, s2
	global_store_short_d16_hi v[4:5], v1, off
.LBB296_1816:
	s_mov_b64 s[8:9], 0
.LBB296_1817:
	s_mov_b64 s[2:3], 0
	s_and_b64 vcc, exec, s[8:9]
	s_cbranch_vccz .LBB296_1819
; %bb.1818:
	s_cmp_lg_u32 s21, 11
	s_mov_b64 s[2:3], -1
	s_cselect_b64 s[0:1], -1, 0
.LBB296_1819:
	s_and_b64 vcc, exec, s[0:1]
	s_cbranch_vccnz .LBB296_1999
; %bb.1820:
	s_andn2_b64 vcc, exec, s[2:3]
	s_cbranch_vccnz .LBB296_1822
.LBB296_1821:
	v_cmp_ne_u32_e32 vcc, 0, v2
	s_mov_b64 s[6:7], -1
	s_nop 0
	v_cndmask_b32_e64 v1, 0, 1, vcc
	global_store_byte v[4:5], v1, off
.LBB296_1822:
	s_mov_b64 s[0:1], 0
	s_branch .LBB296_1824
.LBB296_1823:
	s_mov_b64 s[0:1], -1
	s_mov_b64 s[6:7], 0
.LBB296_1824:
	s_and_b64 vcc, exec, s[0:1]
	s_cbranch_vccz .LBB296_1863
; %bb.1825:
	s_and_b32 s2, 0xffff, s22
	s_cmp_lt_i32 s2, 5
	s_mov_b64 s[0:1], -1
	s_cbranch_scc1 .LBB296_1846
; %bb.1826:
	s_cmp_lt_i32 s2, 8
	s_cbranch_scc1 .LBB296_1836
; %bb.1827:
	s_cmp_lt_i32 s2, 9
	s_cbranch_scc1 .LBB296_1833
; %bb.1828:
	s_cmp_gt_i32 s2, 9
	s_cbranch_scc0 .LBB296_1830
; %bb.1829:
	v_mov_b32_e32 v10, 0
	v_cvt_f64_i32_e32 v[8:9], v2
	v_mov_b32_e32 v11, v10
	global_store_dwordx4 v[4:5], v[8:11], off
	s_mov_b64 s[0:1], 0
.LBB296_1830:
	s_andn2_b64 vcc, exec, s[0:1]
	s_cbranch_vccnz .LBB296_1832
; %bb.1831:
	v_cvt_f32_i32_e32 v8, v2
	v_mov_b32_e32 v9, 0
	global_store_dwordx2 v[4:5], v[8:9], off
.LBB296_1832:
	s_mov_b64 s[0:1], 0
.LBB296_1833:
	s_andn2_b64 vcc, exec, s[0:1]
	s_cbranch_vccnz .LBB296_1835
; %bb.1834:
	v_cvt_f32_i32_e32 v1, v2
	v_cvt_f16_f32_e32 v1, v1
	global_store_dword v[4:5], v1, off
.LBB296_1835:
	s_mov_b64 s[0:1], 0
.LBB296_1836:
	s_andn2_b64 vcc, exec, s[0:1]
	s_cbranch_vccnz .LBB296_1845
; %bb.1837:
	s_cmp_lt_i32 s2, 6
	s_mov_b64 s[0:1], -1
	s_cbranch_scc1 .LBB296_1843
; %bb.1838:
	s_cmp_gt_i32 s2, 6
	s_cbranch_scc0 .LBB296_1840
; %bb.1839:
	v_cvt_f64_i32_e32 v[8:9], v2
	global_store_dwordx2 v[4:5], v[8:9], off
	s_mov_b64 s[0:1], 0
.LBB296_1840:
	s_andn2_b64 vcc, exec, s[0:1]
	s_cbranch_vccnz .LBB296_1842
; %bb.1841:
	v_cvt_f32_i32_e32 v1, v2
	global_store_dword v[4:5], v1, off
.LBB296_1842:
	s_mov_b64 s[0:1], 0
.LBB296_1843:
	s_andn2_b64 vcc, exec, s[0:1]
	s_cbranch_vccnz .LBB296_1845
; %bb.1844:
	v_cvt_f32_i32_e32 v1, v2
	v_cvt_f16_f32_e32 v1, v1
	global_store_short v[4:5], v1, off
.LBB296_1845:
	s_mov_b64 s[0:1], 0
.LBB296_1846:
	s_andn2_b64 vcc, exec, s[0:1]
	s_cbranch_vccnz .LBB296_1862
; %bb.1847:
	s_cmp_lt_i32 s2, 2
	s_mov_b64 s[0:1], -1
	s_cbranch_scc1 .LBB296_1857
; %bb.1848:
	s_cmp_lt_i32 s2, 3
	s_cbranch_scc1 .LBB296_1854
; %bb.1849:
	s_cmp_gt_i32 s2, 3
	s_cbranch_scc0 .LBB296_1851
; %bb.1850:
	v_ashrrev_i32_e32 v3, 31, v2
	global_store_dwordx2 v[4:5], v[2:3], off
	s_mov_b64 s[0:1], 0
.LBB296_1851:
	s_andn2_b64 vcc, exec, s[0:1]
	s_cbranch_vccnz .LBB296_1853
; %bb.1852:
	global_store_dword v[4:5], v2, off
.LBB296_1853:
	s_mov_b64 s[0:1], 0
.LBB296_1854:
	s_andn2_b64 vcc, exec, s[0:1]
	s_cbranch_vccnz .LBB296_1856
; %bb.1855:
	global_store_short v[4:5], v2, off
.LBB296_1856:
	s_mov_b64 s[0:1], 0
.LBB296_1857:
	s_andn2_b64 vcc, exec, s[0:1]
	s_cbranch_vccnz .LBB296_1862
; %bb.1858:
	s_cmp_gt_i32 s2, 0
	s_mov_b64 s[0:1], -1
	s_cbranch_scc0 .LBB296_1860
; %bb.1859:
	global_store_byte v[4:5], v2, off
	s_mov_b64 s[0:1], 0
.LBB296_1860:
	s_andn2_b64 vcc, exec, s[0:1]
	s_cbranch_vccnz .LBB296_1862
; %bb.1861:
	global_store_byte v[4:5], v2, off
.LBB296_1862:
	s_mov_b64 s[6:7], -1
.LBB296_1863:
	s_andn2_b64 vcc, exec, s[6:7]
	s_cbranch_vccnz .LBB296_1940
; %bb.1864:
	v_max_i32_e32 v1, s10, v6
	v_add_u32_e32 v0, s20, v0
	v_min_i32_e32 v2, s11, v1
	v_ashrrev_i32_e32 v1, 31, v0
	s_cmp_lt_i32 s22, 11
	v_lshl_add_u64 v[0:1], s[4:5], 0, v[0:1]
	s_cbranch_scc1 .LBB296_1985
; %bb.1865:
	s_and_b32 s10, 0xffff, s22
	s_mov_b64 s[4:5], -1
	s_mov_b64 s[2:3], 0
	s_cmp_gt_i32 s10, 25
	s_mov_b64 s[0:1], 0
	s_cbranch_scc0 .LBB296_1898
; %bb.1866:
	s_cmp_gt_i32 s10, 28
	s_cbranch_scc0 .LBB296_1882
; %bb.1867:
	s_cmp_gt_i32 s10, 43
	;; [unrolled: 3-line block ×3, first 2 shown]
	s_cbranch_scc0 .LBB296_1872
; %bb.1869:
	s_cmp_eq_u32 s10, 46
	s_mov_b64 s[0:1], -1
	s_cbranch_scc0 .LBB296_1871
; %bb.1870:
	v_cvt_f32_i32_e32 v3, v2
	s_movk_i32 s0, 0x7fff
	v_bfe_u32 v4, v3, 16, 1
	v_add3_u32 v3, v3, v4, s0
	v_lshrrev_b32_e32 v3, 16, v3
	global_store_dword v[0:1], v3, off
	s_mov_b64 s[0:1], 0
.LBB296_1871:
	s_mov_b64 s[4:5], 0
.LBB296_1872:
	s_and_b64 vcc, exec, s[4:5]
	s_cbranch_vccz .LBB296_1877
; %bb.1873:
	s_cmp_eq_u32 s10, 44
	s_mov_b64 s[0:1], -1
	s_cbranch_scc0 .LBB296_1877
; %bb.1874:
	v_cvt_f32_i32_e32 v3, v2
	s_movk_i32 s0, 0xff
	v_mov_b32_e32 v5, 0xff
	v_bfe_u32 v4, v3, 23, 8
	v_cmp_ne_u32_e32 vcc, s0, v4
	s_and_saveexec_b64 s[4:5], vcc
; %bb.1875:
	s_mov_b32 s0, 0x3fffff
	v_lshrrev_b32_e32 v5, 23, v3
	v_and_b32_e32 v6, 0x400000, v3
	v_and_or_b32 v3, v3, s0, v4
	v_cmp_ne_u32_e32 vcc, 0, v6
	v_cmp_ne_u32_e64 s[0:1], 0, v3
	s_and_b64 s[0:1], vcc, s[0:1]
	s_nop 0
	v_cndmask_b32_e64 v3, 0, 1, s[0:1]
	v_add_u32_e32 v5, v5, v3
; %bb.1876:
	s_or_b64 exec, exec, s[4:5]
	s_mov_b64 s[0:1], 0
	global_store_byte v[0:1], v5, off
.LBB296_1877:
	s_mov_b64 s[4:5], 0
.LBB296_1878:
	s_and_b64 vcc, exec, s[4:5]
	s_cbranch_vccz .LBB296_1881
; %bb.1879:
	s_cmp_eq_u32 s10, 29
	s_mov_b64 s[0:1], -1
	s_cbranch_scc0 .LBB296_1881
; %bb.1880:
	v_ashrrev_i32_e32 v3, 31, v2
	global_store_dwordx2 v[0:1], v[2:3], off
	s_mov_b64 s[0:1], 0
.LBB296_1881:
	s_mov_b64 s[4:5], 0
.LBB296_1882:
	s_and_b64 vcc, exec, s[4:5]
	s_cbranch_vccz .LBB296_1897
; %bb.1883:
	s_cmp_lt_i32 s10, 27
	s_mov_b64 s[4:5], -1
	s_cbranch_scc1 .LBB296_1889
; %bb.1884:
	s_cmp_gt_i32 s10, 27
	s_cbranch_scc0 .LBB296_1886
; %bb.1885:
	global_store_dword v[0:1], v2, off
	s_mov_b64 s[4:5], 0
.LBB296_1886:
	s_andn2_b64 vcc, exec, s[4:5]
	s_cbranch_vccnz .LBB296_1888
; %bb.1887:
	global_store_short v[0:1], v2, off
.LBB296_1888:
	s_mov_b64 s[4:5], 0
.LBB296_1889:
	s_andn2_b64 vcc, exec, s[4:5]
	s_cbranch_vccnz .LBB296_1897
; %bb.1890:
	v_cvt_f32_i32_e32 v3, v2
	s_mov_b32 s4, 0x43800000
	v_mov_b32_e32 v5, 0x80
	v_and_b32_e32 v4, 0x7fffffff, v3
	v_cmp_gt_u32_e32 vcc, s4, v4
	s_and_saveexec_b64 s[4:5], vcc
	s_cbranch_execz .LBB296_1896
; %bb.1891:
	s_mov_b32 s6, 0x3bffffff
	v_cmp_lt_u32_e32 vcc, s6, v4
	s_mov_b64 s[6:7], 0
                                        ; implicit-def: $vgpr4
	s_and_saveexec_b64 s[8:9], vcc
	s_xor_b64 s[8:9], exec, s[8:9]
	s_cbranch_execz .LBB296_2002
; %bb.1892:
	v_bfe_u32 v4, v3, 20, 1
	s_mov_b32 s11, 0x487ffff
	v_add3_u32 v4, v3, v4, s11
	s_mov_b64 s[6:7], exec
	v_lshrrev_b32_e32 v4, 20, v4
	s_andn2_saveexec_b64 s[8:9], s[8:9]
	s_cbranch_execnz .LBB296_2003
.LBB296_1893:
	s_or_b64 exec, exec, s[8:9]
	v_mov_b32_e32 v5, 0
	s_and_saveexec_b64 s[8:9], s[6:7]
.LBB296_1894:
	v_lshrrev_b32_e32 v3, 24, v3
	s_movk_i32 s6, 0x80
	v_and_or_b32 v5, v3, s6, v4
.LBB296_1895:
	s_or_b64 exec, exec, s[8:9]
.LBB296_1896:
	s_or_b64 exec, exec, s[4:5]
	global_store_byte v[0:1], v5, off
.LBB296_1897:
	s_mov_b64 s[4:5], 0
.LBB296_1898:
	s_and_b64 vcc, exec, s[4:5]
	s_cbranch_vccz .LBB296_1938
; %bb.1899:
	s_cmp_gt_i32 s10, 22
	s_mov_b64 s[2:3], -1
	s_cbranch_scc0 .LBB296_1931
; %bb.1900:
	s_cmp_lt_i32 s10, 24
	s_cbranch_scc1 .LBB296_1920
; %bb.1901:
	s_cmp_gt_i32 s10, 24
	s_cbranch_scc0 .LBB296_1909
; %bb.1902:
	v_cvt_f32_i32_e32 v3, v2
	s_mov_b32 s2, 0x47800000
	v_mov_b32_e32 v5, 0x80
	v_and_b32_e32 v4, 0x7fffffff, v3
	v_cmp_gt_u32_e32 vcc, s2, v4
	s_and_saveexec_b64 s[2:3], vcc
	s_cbranch_execz .LBB296_1908
; %bb.1903:
	s_mov_b32 s4, 0x37ffffff
	v_cmp_lt_u32_e32 vcc, s4, v4
	s_mov_b64 s[4:5], 0
                                        ; implicit-def: $vgpr4
	s_and_saveexec_b64 s[6:7], vcc
	s_xor_b64 s[6:7], exec, s[6:7]
	s_cbranch_execz .LBB296_2005
; %bb.1904:
	v_bfe_u32 v4, v3, 21, 1
	s_mov_b32 s8, 0x88fffff
	v_add3_u32 v4, v3, v4, s8
	s_mov_b64 s[4:5], exec
	v_lshrrev_b32_e32 v4, 21, v4
	s_andn2_saveexec_b64 s[6:7], s[6:7]
	s_cbranch_execnz .LBB296_2006
.LBB296_1905:
	s_or_b64 exec, exec, s[6:7]
	v_mov_b32_e32 v5, 0
	s_and_saveexec_b64 s[6:7], s[4:5]
.LBB296_1906:
	v_lshrrev_b32_e32 v3, 24, v3
	s_movk_i32 s4, 0x80
	v_and_or_b32 v5, v3, s4, v4
.LBB296_1907:
	s_or_b64 exec, exec, s[6:7]
.LBB296_1908:
	s_or_b64 exec, exec, s[2:3]
	s_mov_b64 s[2:3], 0
	global_store_byte v[0:1], v5, off
.LBB296_1909:
	s_and_b64 vcc, exec, s[2:3]
	s_cbranch_vccz .LBB296_1919
; %bb.1910:
	v_cvt_f32_i32_e32 v3, v2
	s_mov_b32 s2, 0x43f00000
                                        ; implicit-def: $vgpr4
	v_and_b32_e32 v5, 0x7fffffff, v3
	v_cmp_gt_u32_e32 vcc, s2, v5
	s_and_saveexec_b64 s[2:3], vcc
	s_xor_b64 s[2:3], exec, s[2:3]
	s_cbranch_execz .LBB296_1916
; %bb.1911:
	s_mov_b32 s4, 0x3c7fffff
	v_cmp_lt_u32_e32 vcc, s4, v5
                                        ; implicit-def: $vgpr4
	s_and_saveexec_b64 s[4:5], vcc
	s_xor_b64 s[4:5], exec, s[4:5]
; %bb.1912:
	v_bfe_u32 v4, v3, 20, 1
	s_mov_b32 s6, 0x407ffff
	v_add3_u32 v4, v3, v4, s6
	v_lshrrev_b32_e32 v5, 20, v4
	v_and_b32_e32 v4, 0xff00000, v4
	s_mov_b32 s6, 0x7f00000
	v_mov_b32_e32 v6, 0x7e
	v_cmp_ne_u32_e32 vcc, s6, v4
	s_nop 1
	v_cndmask_b32_e32 v4, v6, v5, vcc
; %bb.1913:
	s_andn2_saveexec_b64 s[4:5], s[4:5]
; %bb.1914:
	s_mov_b32 s6, 0x46800000
	v_add_f32_e64 v4, |v3|, s6
; %bb.1915:
	s_or_b64 exec, exec, s[4:5]
                                        ; implicit-def: $vgpr5
.LBB296_1916:
	s_andn2_saveexec_b64 s[2:3], s[2:3]
; %bb.1917:
	s_mov_b32 s4, 0x7f800000
	v_mov_b32_e32 v4, 0x7e
	v_mov_b32_e32 v6, 0x7f
	v_cmp_lt_u32_e32 vcc, s4, v5
	s_nop 1
	v_cndmask_b32_e32 v4, v4, v6, vcc
; %bb.1918:
	s_or_b64 exec, exec, s[2:3]
	v_lshrrev_b32_e32 v3, 24, v3
	s_movk_i32 s2, 0x80
	v_and_or_b32 v3, v3, s2, v4
	global_store_byte v[0:1], v3, off
.LBB296_1919:
	s_mov_b64 s[2:3], 0
.LBB296_1920:
	s_andn2_b64 vcc, exec, s[2:3]
	s_cbranch_vccnz .LBB296_1930
; %bb.1921:
	v_cvt_f32_i32_e32 v3, v2
	s_mov_b32 s2, 0x47800000
                                        ; implicit-def: $vgpr4
	v_and_b32_e32 v5, 0x7fffffff, v3
	v_cmp_gt_u32_e32 vcc, s2, v5
	s_and_saveexec_b64 s[2:3], vcc
	s_xor_b64 s[2:3], exec, s[2:3]
	s_cbranch_execz .LBB296_1927
; %bb.1922:
	s_mov_b32 s4, 0x387fffff
	v_cmp_lt_u32_e32 vcc, s4, v5
                                        ; implicit-def: $vgpr4
	s_and_saveexec_b64 s[4:5], vcc
	s_xor_b64 s[4:5], exec, s[4:5]
; %bb.1923:
	v_bfe_u32 v4, v3, 21, 1
	s_mov_b32 s6, 0x80fffff
	v_add3_u32 v4, v3, v4, s6
	v_lshrrev_b32_e32 v4, 21, v4
; %bb.1924:
	s_andn2_saveexec_b64 s[4:5], s[4:5]
; %bb.1925:
	s_mov_b32 s6, 0x43000000
	v_add_f32_e64 v4, |v3|, s6
; %bb.1926:
	s_or_b64 exec, exec, s[4:5]
                                        ; implicit-def: $vgpr5
.LBB296_1927:
	s_andn2_saveexec_b64 s[2:3], s[2:3]
; %bb.1928:
	s_mov_b32 s4, 0x7f800000
	v_mov_b32_e32 v4, 0x7c
	v_mov_b32_e32 v6, 0x7f
	v_cmp_lt_u32_e32 vcc, s4, v5
	s_nop 1
	v_cndmask_b32_e32 v4, v4, v6, vcc
; %bb.1929:
	s_or_b64 exec, exec, s[2:3]
	v_lshrrev_b32_e32 v3, 24, v3
	s_movk_i32 s2, 0x80
	v_and_or_b32 v3, v3, s2, v4
	global_store_byte v[0:1], v3, off
.LBB296_1930:
	s_mov_b64 s[2:3], 0
.LBB296_1931:
	s_andn2_b64 vcc, exec, s[2:3]
	s_mov_b64 s[2:3], 0
	s_cbranch_vccnz .LBB296_1938
; %bb.1932:
	s_cmp_gt_i32 s10, 14
	s_mov_b64 s[4:5], -1
	s_cbranch_scc0 .LBB296_1936
; %bb.1933:
	s_cmp_eq_u32 s10, 15
	s_mov_b64 s[0:1], -1
	s_cbranch_scc0 .LBB296_1935
; %bb.1934:
	v_cvt_f32_i32_e32 v3, v2
	s_movk_i32 s0, 0x7fff
	v_bfe_u32 v4, v3, 16, 1
	v_add3_u32 v3, v3, v4, s0
	global_store_short_d16_hi v[0:1], v3, off
	s_mov_b64 s[0:1], 0
.LBB296_1935:
	s_mov_b64 s[4:5], 0
.LBB296_1936:
	s_and_b64 vcc, exec, s[4:5]
	s_cbranch_vccz .LBB296_1938
; %bb.1937:
	s_cmp_lg_u32 s10, 11
	s_mov_b64 s[2:3], -1
	s_cselect_b64 s[0:1], -1, 0
.LBB296_1938:
	s_and_b64 vcc, exec, s[0:1]
	s_cbranch_vccnz .LBB296_2004
.LBB296_1939:
	s_mov_b64 s[0:1], 0
	s_branch .LBB296_1941
.LBB296_1940:
	s_mov_b64 s[0:1], 0
	s_mov_b64 s[2:3], 0
                                        ; implicit-def: $sgpr22
                                        ; implicit-def: $vgpr0_vgpr1
                                        ; implicit-def: $vgpr2
.LBB296_1941:
	s_andn2_b64 s[4:5], s[14:15], exec
	s_and_b64 s[6:7], s[16:17], exec
	s_and_b64 s[0:1], s[0:1], exec
	;; [unrolled: 1-line block ×3, first 2 shown]
	s_or_b64 s[14:15], s[4:5], s[6:7]
.LBB296_1942:
	s_or_b64 exec, exec, s[12:13]
	s_and_saveexec_b64 s[4:5], s[14:15]
	s_cbranch_execz .LBB296_1945
; %bb.1943:
	; divergent unreachable
	s_or_b64 exec, exec, s[4:5]
	s_and_saveexec_b64 s[4:5], s[2:3]
	s_xor_b64 s[2:3], exec, s[4:5]
	s_cbranch_execnz .LBB296_1946
.LBB296_1944:
	s_or_b64 exec, exec, s[2:3]
	s_and_saveexec_b64 s[2:3], s[0:1]
	s_cbranch_execnz .LBB296_1947
	s_branch .LBB296_1984
.LBB296_1945:
	s_or_b64 exec, exec, s[4:5]
	s_and_saveexec_b64 s[4:5], s[2:3]
	s_xor_b64 s[2:3], exec, s[4:5]
	s_cbranch_execz .LBB296_1944
.LBB296_1946:
	s_waitcnt vmcnt(0)
	v_cmp_ne_u32_e32 vcc, 0, v2
	s_nop 1
	v_cndmask_b32_e64 v3, 0, 1, vcc
	global_store_byte v[0:1], v3, off
	s_or_b64 exec, exec, s[2:3]
	s_and_saveexec_b64 s[2:3], s[0:1]
	s_cbranch_execz .LBB296_1984
.LBB296_1947:
	s_sext_i32_i16 s2, s22
	s_cmp_lt_i32 s2, 5
	s_mov_b64 s[0:1], -1
	s_cbranch_scc1 .LBB296_1968
; %bb.1948:
	s_cmp_lt_i32 s2, 8
	s_cbranch_scc1 .LBB296_1958
; %bb.1949:
	s_cmp_lt_i32 s2, 9
	s_cbranch_scc1 .LBB296_1955
; %bb.1950:
	s_cmp_gt_i32 s2, 9
	s_cbranch_scc0 .LBB296_1952
; %bb.1951:
	s_waitcnt vmcnt(0)
	v_mov_b32_e32 v6, 0
	v_cvt_f64_i32_e32 v[4:5], v2
	v_mov_b32_e32 v7, v6
	global_store_dwordx4 v[0:1], v[4:7], off
	s_mov_b64 s[0:1], 0
.LBB296_1952:
	s_andn2_b64 vcc, exec, s[0:1]
	s_cbranch_vccnz .LBB296_1954
; %bb.1953:
	s_waitcnt vmcnt(0)
	v_cvt_f32_i32_e32 v4, v2
	v_mov_b32_e32 v5, 0
	global_store_dwordx2 v[0:1], v[4:5], off
.LBB296_1954:
	s_mov_b64 s[0:1], 0
.LBB296_1955:
	s_andn2_b64 vcc, exec, s[0:1]
	s_cbranch_vccnz .LBB296_1957
; %bb.1956:
	s_waitcnt vmcnt(0)
	v_cvt_f32_i32_e32 v3, v2
	v_cvt_f16_f32_e32 v3, v3
	global_store_dword v[0:1], v3, off
.LBB296_1957:
	s_mov_b64 s[0:1], 0
.LBB296_1958:
	s_andn2_b64 vcc, exec, s[0:1]
	s_cbranch_vccnz .LBB296_1967
; %bb.1959:
	s_sext_i32_i16 s2, s22
	s_cmp_lt_i32 s2, 6
	s_mov_b64 s[0:1], -1
	s_cbranch_scc1 .LBB296_1965
; %bb.1960:
	s_cmp_gt_i32 s2, 6
	s_cbranch_scc0 .LBB296_1962
; %bb.1961:
	s_waitcnt vmcnt(0)
	v_cvt_f64_i32_e32 v[4:5], v2
	global_store_dwordx2 v[0:1], v[4:5], off
	s_mov_b64 s[0:1], 0
.LBB296_1962:
	s_andn2_b64 vcc, exec, s[0:1]
	s_cbranch_vccnz .LBB296_1964
; %bb.1963:
	s_waitcnt vmcnt(0)
	v_cvt_f32_i32_e32 v3, v2
	global_store_dword v[0:1], v3, off
.LBB296_1964:
	s_mov_b64 s[0:1], 0
.LBB296_1965:
	s_andn2_b64 vcc, exec, s[0:1]
	s_cbranch_vccnz .LBB296_1967
; %bb.1966:
	s_waitcnt vmcnt(0)
	v_cvt_f32_i32_e32 v3, v2
	v_cvt_f16_f32_e32 v3, v3
	global_store_short v[0:1], v3, off
.LBB296_1967:
	s_mov_b64 s[0:1], 0
.LBB296_1968:
	s_andn2_b64 vcc, exec, s[0:1]
	s_cbranch_vccnz .LBB296_1984
; %bb.1969:
	s_sext_i32_i16 s2, s22
	s_cmp_lt_i32 s2, 2
	s_mov_b64 s[0:1], -1
	s_cbranch_scc1 .LBB296_1979
; %bb.1970:
	s_cmp_lt_i32 s2, 3
	s_cbranch_scc1 .LBB296_1976
; %bb.1971:
	s_cmp_gt_i32 s2, 3
	s_cbranch_scc0 .LBB296_1973
; %bb.1972:
	s_waitcnt vmcnt(0)
	v_ashrrev_i32_e32 v3, 31, v2
	global_store_dwordx2 v[0:1], v[2:3], off
	s_mov_b64 s[0:1], 0
.LBB296_1973:
	s_andn2_b64 vcc, exec, s[0:1]
	s_cbranch_vccnz .LBB296_1975
; %bb.1974:
	s_waitcnt vmcnt(0)
	global_store_dword v[0:1], v2, off
.LBB296_1975:
	s_mov_b64 s[0:1], 0
.LBB296_1976:
	s_andn2_b64 vcc, exec, s[0:1]
	s_cbranch_vccnz .LBB296_1978
; %bb.1977:
	s_waitcnt vmcnt(0)
	global_store_short v[0:1], v2, off
.LBB296_1978:
	s_mov_b64 s[0:1], 0
.LBB296_1979:
	s_andn2_b64 vcc, exec, s[0:1]
	s_cbranch_vccnz .LBB296_1984
; %bb.1980:
	s_sext_i32_i16 s0, s22
	s_cmp_gt_i32 s0, 0
	s_mov_b64 s[0:1], -1
	s_cbranch_scc0 .LBB296_1982
; %bb.1981:
	s_waitcnt vmcnt(0)
	global_store_byte v[0:1], v2, off
	s_mov_b64 s[0:1], 0
.LBB296_1982:
	s_andn2_b64 vcc, exec, s[0:1]
	s_cbranch_vccnz .LBB296_1984
; %bb.1983:
	s_waitcnt vmcnt(0)
	global_store_byte v[0:1], v2, off
	s_endpgm
.LBB296_1984:
	s_endpgm
.LBB296_1985:
	s_mov_b64 s[2:3], 0
	s_mov_b64 s[0:1], -1
	s_branch .LBB296_1941
.LBB296_1986:
	s_trap 2
	s_or_b64 s[16:17], s[16:17], exec
	s_cbranch_execz .LBB296_1455
	s_branch .LBB296_1456
.LBB296_1987:
	s_andn2_saveexec_b64 s[20:21], s[20:21]
	s_cbranch_execz .LBB296_1535
.LBB296_1988:
	s_mov_b32 s23, 0x46000000
	v_add_f32_e64 v3, |v1|, s23
	v_and_b32_e32 v3, 0xff, v3
	v_cmp_ne_u32_e32 vcc, 0, v3
	s_andn2_b64 s[18:19], s[18:19], exec
	s_and_b64 s[24:25], vcc, exec
	s_or_b64 s[18:19], s[18:19], s[24:25]
	s_or_b64 exec, exec, s[20:21]
	v_mov_b32_e32 v9, 0
	s_and_saveexec_b64 s[20:21], s[18:19]
	s_cbranch_execnz .LBB296_1536
	s_branch .LBB296_1537
.LBB296_1989:
	s_trap 2
	s_or_b64 s[16:17], s[16:17], exec
	s_cbranch_execz .LBB296_1583
	s_branch .LBB296_1584
.LBB296_1990:
	s_andn2_saveexec_b64 s[18:19], s[18:19]
	s_cbranch_execz .LBB296_1548
.LBB296_1991:
	s_mov_b32 s20, 0x42800000
	v_add_f32_e64 v3, |v1|, s20
	v_and_b32_e32 v3, 0xff, v3
	v_cmp_ne_u32_e32 vcc, 0, v3
	s_andn2_b64 s[6:7], s[6:7], exec
	s_and_b64 s[20:21], vcc, exec
	s_or_b64 s[6:7], s[6:7], s[20:21]
	s_or_b64 exec, exec, s[18:19]
	v_mov_b32_e32 v9, 0
	s_and_saveexec_b64 s[18:19], s[6:7]
	s_cbranch_execnz .LBB296_1549
	s_branch .LBB296_1550
.LBB296_1992:
	s_andn2_saveexec_b64 s[18:19], s[18:19]
	s_cbranch_execz .LBB296_1654
.LBB296_1993:
	s_mov_b32 s23, 0x46000000
	v_add_f32_e64 v3, |v1|, s23
	v_and_b32_e32 v3, 0xff, v3
	v_cmp_ne_u32_e32 vcc, 0, v3
	s_andn2_b64 s[8:9], s[8:9], exec
	s_and_b64 s[24:25], vcc, exec
	s_or_b64 s[8:9], s[8:9], s[24:25]
	s_or_b64 exec, exec, s[18:19]
	v_mov_b32_e32 v8, 0
	s_and_saveexec_b64 s[18:19], s[8:9]
	s_cbranch_execnz .LBB296_1655
	s_branch .LBB296_1656
.LBB296_1994:
	s_trap 2
	s_or_b64 s[16:17], s[16:17], exec
	s_cbranch_execz .LBB296_1702
	s_branch .LBB296_1703
.LBB296_1995:
	s_andn2_saveexec_b64 s[8:9], s[8:9]
	s_cbranch_execz .LBB296_1667
.LBB296_1996:
	s_mov_b32 s18, 0x42800000
	v_add_f32_e64 v3, |v1|, s18
	v_and_b32_e32 v3, 0xff, v3
	v_cmp_ne_u32_e32 vcc, 0, v3
	s_andn2_b64 s[6:7], s[6:7], exec
	s_and_b64 s[18:19], vcc, exec
	s_or_b64 s[6:7], s[6:7], s[18:19]
	s_or_b64 exec, exec, s[8:9]
	v_mov_b32_e32 v8, 0
	s_and_saveexec_b64 s[8:9], s[6:7]
	s_cbranch_execnz .LBB296_1668
	s_branch .LBB296_1669
.LBB296_1997:
	s_andn2_saveexec_b64 s[18:19], s[18:19]
	s_cbranch_execz .LBB296_1773
.LBB296_1998:
	s_mov_b32 s23, 0x46000000
	v_add_f32_e64 v3, |v1|, s23
	v_and_b32_e32 v3, 0xff, v3
	v_cmp_ne_u32_e32 vcc, 0, v3
	s_andn2_b64 s[8:9], s[8:9], exec
	s_and_b64 s[24:25], vcc, exec
	s_or_b64 s[8:9], s[8:9], s[24:25]
	s_or_b64 exec, exec, s[18:19]
	v_mov_b32_e32 v7, 0
	s_and_saveexec_b64 s[18:19], s[8:9]
	s_cbranch_execnz .LBB296_1774
	s_branch .LBB296_1775
.LBB296_1999:
	s_trap 2
	s_or_b64 s[16:17], s[16:17], exec
	s_cbranch_execz .LBB296_1821
	s_branch .LBB296_1822
.LBB296_2000:
	s_andn2_saveexec_b64 s[8:9], s[8:9]
	s_cbranch_execz .LBB296_1786
.LBB296_2001:
	s_mov_b32 s18, 0x42800000
	v_add_f32_e64 v3, |v1|, s18
	v_and_b32_e32 v3, 0xff, v3
	v_cmp_ne_u32_e32 vcc, 0, v3
	s_andn2_b64 s[6:7], s[6:7], exec
	s_and_b64 s[18:19], vcc, exec
	s_or_b64 s[6:7], s[6:7], s[18:19]
	s_or_b64 exec, exec, s[8:9]
	v_mov_b32_e32 v7, 0
	s_and_saveexec_b64 s[8:9], s[6:7]
	s_cbranch_execnz .LBB296_1787
	s_branch .LBB296_1788
.LBB296_2002:
	s_andn2_saveexec_b64 s[8:9], s[8:9]
	s_cbranch_execz .LBB296_1893
.LBB296_2003:
	s_mov_b32 s11, 0x46000000
	v_add_f32_e64 v4, |v3|, s11
	v_and_b32_e32 v4, 0xff, v4
	v_cmp_ne_u32_e32 vcc, 0, v4
	s_andn2_b64 s[6:7], s[6:7], exec
	s_and_b64 s[18:19], vcc, exec
	s_or_b64 s[6:7], s[6:7], s[18:19]
	s_or_b64 exec, exec, s[8:9]
	v_mov_b32_e32 v5, 0
	s_and_saveexec_b64 s[8:9], s[6:7]
	s_cbranch_execnz .LBB296_1894
	s_branch .LBB296_1895
.LBB296_2004:
	s_mov_b64 s[2:3], 0
	s_or_b64 s[16:17], s[16:17], exec
	s_trap 2
	s_branch .LBB296_1939
.LBB296_2005:
	s_andn2_saveexec_b64 s[6:7], s[6:7]
	s_cbranch_execz .LBB296_1905
.LBB296_2006:
	s_mov_b32 s8, 0x42800000
	v_add_f32_e64 v4, |v3|, s8
	v_and_b32_e32 v4, 0xff, v4
	v_cmp_ne_u32_e32 vcc, 0, v4
	s_andn2_b64 s[4:5], s[4:5], exec
	s_and_b64 s[8:9], vcc, exec
	s_or_b64 s[4:5], s[4:5], s[8:9]
	s_or_b64 exec, exec, s[6:7]
	v_mov_b32_e32 v5, 0
	s_and_saveexec_b64 s[6:7], s[4:5]
	s_cbranch_execnz .LBB296_1906
	s_branch .LBB296_1907
	.section	.rodata,"a",@progbits
	.p2align	6, 0x0
	.amdhsa_kernel _ZN2at6native32elementwise_kernel_manual_unrollILi128ELi4EZNS0_15gpu_kernel_implIZZZNS0_17clamp_kernel_cudaERNS_18TensorIteratorBaseERKN3c106ScalarES8_ENKUlvE_clEvENKUlvE1_clEvEUliE_EEvS4_RKT_EUlibE_EEviT1_
		.amdhsa_group_segment_fixed_size 0
		.amdhsa_private_segment_fixed_size 0
		.amdhsa_kernarg_size 48
		.amdhsa_user_sgpr_count 2
		.amdhsa_user_sgpr_dispatch_ptr 0
		.amdhsa_user_sgpr_queue_ptr 0
		.amdhsa_user_sgpr_kernarg_segment_ptr 1
		.amdhsa_user_sgpr_dispatch_id 0
		.amdhsa_user_sgpr_kernarg_preload_length 0
		.amdhsa_user_sgpr_kernarg_preload_offset 0
		.amdhsa_user_sgpr_private_segment_size 0
		.amdhsa_uses_dynamic_stack 0
		.amdhsa_enable_private_segment 0
		.amdhsa_system_sgpr_workgroup_id_x 1
		.amdhsa_system_sgpr_workgroup_id_y 0
		.amdhsa_system_sgpr_workgroup_id_z 0
		.amdhsa_system_sgpr_workgroup_info 0
		.amdhsa_system_vgpr_workitem_id 0
		.amdhsa_next_free_vgpr 14
		.amdhsa_next_free_sgpr 48
		.amdhsa_accum_offset 16
		.amdhsa_reserve_vcc 1
		.amdhsa_float_round_mode_32 0
		.amdhsa_float_round_mode_16_64 0
		.amdhsa_float_denorm_mode_32 3
		.amdhsa_float_denorm_mode_16_64 3
		.amdhsa_dx10_clamp 1
		.amdhsa_ieee_mode 1
		.amdhsa_fp16_overflow 0
		.amdhsa_tg_split 0
		.amdhsa_exception_fp_ieee_invalid_op 0
		.amdhsa_exception_fp_denorm_src 0
		.amdhsa_exception_fp_ieee_div_zero 0
		.amdhsa_exception_fp_ieee_overflow 0
		.amdhsa_exception_fp_ieee_underflow 0
		.amdhsa_exception_fp_ieee_inexact 0
		.amdhsa_exception_int_div_zero 0
	.end_amdhsa_kernel
	.section	.text._ZN2at6native32elementwise_kernel_manual_unrollILi128ELi4EZNS0_15gpu_kernel_implIZZZNS0_17clamp_kernel_cudaERNS_18TensorIteratorBaseERKN3c106ScalarES8_ENKUlvE_clEvENKUlvE1_clEvEUliE_EEvS4_RKT_EUlibE_EEviT1_,"axG",@progbits,_ZN2at6native32elementwise_kernel_manual_unrollILi128ELi4EZNS0_15gpu_kernel_implIZZZNS0_17clamp_kernel_cudaERNS_18TensorIteratorBaseERKN3c106ScalarES8_ENKUlvE_clEvENKUlvE1_clEvEUliE_EEvS4_RKT_EUlibE_EEviT1_,comdat
.Lfunc_end296:
	.size	_ZN2at6native32elementwise_kernel_manual_unrollILi128ELi4EZNS0_15gpu_kernel_implIZZZNS0_17clamp_kernel_cudaERNS_18TensorIteratorBaseERKN3c106ScalarES8_ENKUlvE_clEvENKUlvE1_clEvEUliE_EEvS4_RKT_EUlibE_EEviT1_, .Lfunc_end296-_ZN2at6native32elementwise_kernel_manual_unrollILi128ELi4EZNS0_15gpu_kernel_implIZZZNS0_17clamp_kernel_cudaERNS_18TensorIteratorBaseERKN3c106ScalarES8_ENKUlvE_clEvENKUlvE1_clEvEUliE_EEvS4_RKT_EUlibE_EEviT1_
                                        ; -- End function
	.set _ZN2at6native32elementwise_kernel_manual_unrollILi128ELi4EZNS0_15gpu_kernel_implIZZZNS0_17clamp_kernel_cudaERNS_18TensorIteratorBaseERKN3c106ScalarES8_ENKUlvE_clEvENKUlvE1_clEvEUliE_EEvS4_RKT_EUlibE_EEviT1_.num_vgpr, 14
	.set _ZN2at6native32elementwise_kernel_manual_unrollILi128ELi4EZNS0_15gpu_kernel_implIZZZNS0_17clamp_kernel_cudaERNS_18TensorIteratorBaseERKN3c106ScalarES8_ENKUlvE_clEvENKUlvE1_clEvEUliE_EEvS4_RKT_EUlibE_EEviT1_.num_agpr, 0
	.set _ZN2at6native32elementwise_kernel_manual_unrollILi128ELi4EZNS0_15gpu_kernel_implIZZZNS0_17clamp_kernel_cudaERNS_18TensorIteratorBaseERKN3c106ScalarES8_ENKUlvE_clEvENKUlvE1_clEvEUliE_EEvS4_RKT_EUlibE_EEviT1_.numbered_sgpr, 48
	.set _ZN2at6native32elementwise_kernel_manual_unrollILi128ELi4EZNS0_15gpu_kernel_implIZZZNS0_17clamp_kernel_cudaERNS_18TensorIteratorBaseERKN3c106ScalarES8_ENKUlvE_clEvENKUlvE1_clEvEUliE_EEvS4_RKT_EUlibE_EEviT1_.num_named_barrier, 0
	.set _ZN2at6native32elementwise_kernel_manual_unrollILi128ELi4EZNS0_15gpu_kernel_implIZZZNS0_17clamp_kernel_cudaERNS_18TensorIteratorBaseERKN3c106ScalarES8_ENKUlvE_clEvENKUlvE1_clEvEUliE_EEvS4_RKT_EUlibE_EEviT1_.private_seg_size, 0
	.set _ZN2at6native32elementwise_kernel_manual_unrollILi128ELi4EZNS0_15gpu_kernel_implIZZZNS0_17clamp_kernel_cudaERNS_18TensorIteratorBaseERKN3c106ScalarES8_ENKUlvE_clEvENKUlvE1_clEvEUliE_EEvS4_RKT_EUlibE_EEviT1_.uses_vcc, 1
	.set _ZN2at6native32elementwise_kernel_manual_unrollILi128ELi4EZNS0_15gpu_kernel_implIZZZNS0_17clamp_kernel_cudaERNS_18TensorIteratorBaseERKN3c106ScalarES8_ENKUlvE_clEvENKUlvE1_clEvEUliE_EEvS4_RKT_EUlibE_EEviT1_.uses_flat_scratch, 0
	.set _ZN2at6native32elementwise_kernel_manual_unrollILi128ELi4EZNS0_15gpu_kernel_implIZZZNS0_17clamp_kernel_cudaERNS_18TensorIteratorBaseERKN3c106ScalarES8_ENKUlvE_clEvENKUlvE1_clEvEUliE_EEvS4_RKT_EUlibE_EEviT1_.has_dyn_sized_stack, 0
	.set _ZN2at6native32elementwise_kernel_manual_unrollILi128ELi4EZNS0_15gpu_kernel_implIZZZNS0_17clamp_kernel_cudaERNS_18TensorIteratorBaseERKN3c106ScalarES8_ENKUlvE_clEvENKUlvE1_clEvEUliE_EEvS4_RKT_EUlibE_EEviT1_.has_recursion, 0
	.set _ZN2at6native32elementwise_kernel_manual_unrollILi128ELi4EZNS0_15gpu_kernel_implIZZZNS0_17clamp_kernel_cudaERNS_18TensorIteratorBaseERKN3c106ScalarES8_ENKUlvE_clEvENKUlvE1_clEvEUliE_EEvS4_RKT_EUlibE_EEviT1_.has_indirect_call, 0
	.section	.AMDGPU.csdata,"",@progbits
; Kernel info:
; codeLenInByte = 29560
; TotalNumSgprs: 54
; NumVgprs: 14
; NumAgprs: 0
; TotalNumVgprs: 14
; ScratchSize: 0
; MemoryBound: 1
; FloatMode: 240
; IeeeMode: 1
; LDSByteSize: 0 bytes/workgroup (compile time only)
; SGPRBlocks: 6
; VGPRBlocks: 1
; NumSGPRsForWavesPerEU: 54
; NumVGPRsForWavesPerEU: 14
; AccumOffset: 16
; Occupancy: 8
; WaveLimiterHint : 0
; COMPUTE_PGM_RSRC2:SCRATCH_EN: 0
; COMPUTE_PGM_RSRC2:USER_SGPR: 2
; COMPUTE_PGM_RSRC2:TRAP_HANDLER: 0
; COMPUTE_PGM_RSRC2:TGID_X_EN: 1
; COMPUTE_PGM_RSRC2:TGID_Y_EN: 0
; COMPUTE_PGM_RSRC2:TGID_Z_EN: 0
; COMPUTE_PGM_RSRC2:TIDIG_COMP_CNT: 0
; COMPUTE_PGM_RSRC3_GFX90A:ACCUM_OFFSET: 3
; COMPUTE_PGM_RSRC3_GFX90A:TG_SPLIT: 0
	.section	.text._ZN2at6native32elementwise_kernel_manual_unrollILi128ELi4EZNS0_15gpu_kernel_implIZZZNS0_17clamp_kernel_cudaERNS_18TensorIteratorBaseERKN3c106ScalarES8_ENKUlvE_clEvENKUlvE1_clEvEUliE_EEvS4_RKT_EUlibE0_EEviT1_,"axG",@progbits,_ZN2at6native32elementwise_kernel_manual_unrollILi128ELi4EZNS0_15gpu_kernel_implIZZZNS0_17clamp_kernel_cudaERNS_18TensorIteratorBaseERKN3c106ScalarES8_ENKUlvE_clEvENKUlvE1_clEvEUliE_EEvS4_RKT_EUlibE0_EEviT1_,comdat
	.globl	_ZN2at6native32elementwise_kernel_manual_unrollILi128ELi4EZNS0_15gpu_kernel_implIZZZNS0_17clamp_kernel_cudaERNS_18TensorIteratorBaseERKN3c106ScalarES8_ENKUlvE_clEvENKUlvE1_clEvEUliE_EEvS4_RKT_EUlibE0_EEviT1_ ; -- Begin function _ZN2at6native32elementwise_kernel_manual_unrollILi128ELi4EZNS0_15gpu_kernel_implIZZZNS0_17clamp_kernel_cudaERNS_18TensorIteratorBaseERKN3c106ScalarES8_ENKUlvE_clEvENKUlvE1_clEvEUliE_EEvS4_RKT_EUlibE0_EEviT1_
	.p2align	8
	.type	_ZN2at6native32elementwise_kernel_manual_unrollILi128ELi4EZNS0_15gpu_kernel_implIZZZNS0_17clamp_kernel_cudaERNS_18TensorIteratorBaseERKN3c106ScalarES8_ENKUlvE_clEvENKUlvE1_clEvEUliE_EEvS4_RKT_EUlibE0_EEviT1_,@function
_ZN2at6native32elementwise_kernel_manual_unrollILi128ELi4EZNS0_15gpu_kernel_implIZZZNS0_17clamp_kernel_cudaERNS_18TensorIteratorBaseERKN3c106ScalarES8_ENKUlvE_clEvENKUlvE1_clEvEUliE_EEvS4_RKT_EUlibE0_EEviT1_: ; @_ZN2at6native32elementwise_kernel_manual_unrollILi128ELi4EZNS0_15gpu_kernel_implIZZZNS0_17clamp_kernel_cudaERNS_18TensorIteratorBaseERKN3c106ScalarES8_ENKUlvE_clEvENKUlvE1_clEvEUliE_EEvS4_RKT_EUlibE0_EEviT1_
; %bb.0:
	s_load_dword s72, s[0:1], 0x0
	s_load_dword s33, s[0:1], 0x8
	s_add_u32 s34, s0, 8
	s_addc_u32 s35, s1, 0
	v_lshl_or_b32 v8, s2, 9, v0
	v_or_b32_e32 v16, 0x180, v8
	s_waitcnt lgkmcnt(0)
	s_add_i32 s74, s33, -1
	s_cmp_gt_u32 s74, 1
	v_cmp_le_i32_e32 vcc, s72, v16
	s_cselect_b64 s[42:43], -1, 0
	s_mov_b64 s[40:41], 0
	s_mov_b64 s[24:25], 0
	s_and_saveexec_b64 s[2:3], vcc
	s_xor_b64 s[44:45], exec, s[2:3]
	s_cbranch_execz .LBB297_1074
; %bb.1:
	s_load_dwordx4 s[24:27], s[34:35], 0x4
	s_load_dwordx2 s[48:49], s[34:35], 0x14
	s_load_dwordx2 s[46:47], s[34:35], 0x158
	s_load_dword s75, s[34:35], 0x160
	s_cmp_lg_u32 s33, 0
	s_load_dwordx4 s[28:31], s[34:35], 0xc4
	s_load_dwordx4 s[20:23], s[34:35], 0x148
	s_cselect_b64 s[54:55], -1, 0
	s_add_u32 s52, s34, 0xc4
	s_addc_u32 s53, s35, 0
	s_min_u32 s77, s74, 15
	s_cmp_gt_u32 s33, 1
	s_cselect_b64 s[50:51], -1, 0
	s_waitcnt lgkmcnt(0)
	s_bfe_u32 s76, s75, 0x80008
	v_cmp_gt_i32_e32 vcc, s72, v8
	s_mov_b64 s[4:5], -1
	s_mov_b64 s[64:65], 0
	s_mov_b64 s[58:59], 0
	;; [unrolled: 1-line block ×3, first 2 shown]
	s_and_saveexec_b64 s[60:61], vcc
	s_cbranch_execz .LBB297_263
; %bb.2:
	s_andn2_b64 vcc, exec, s[42:43]
	s_cbranch_vccnz .LBB297_8
; %bb.3:
	s_andn2_b64 vcc, exec, s[54:55]
	s_cbranch_vccnz .LBB297_9
; %bb.4:
	s_add_i32 s59, s77, 1
	s_cmp_eq_u32 s74, 2
	s_cbranch_scc1 .LBB297_10
; %bb.5:
	s_and_b32 s58, s59, 28
	s_mov_b32 s62, 0
	v_mov_b32_e32 v0, 0
	v_mov_b32_e32 v2, 0
	s_mov_b64 s[2:3], s[34:35]
	s_mov_b64 s[56:57], s[52:53]
	v_mov_b32_e32 v4, v8
.LBB297_6:                              ; =>This Inner Loop Header: Depth=1
	s_load_dwordx8 s[12:19], s[2:3], 0x4
	s_load_dwordx4 s[36:39], s[2:3], 0x24
	s_load_dwordx8 s[4:11], s[56:57], 0x0
	s_add_u32 s2, s2, 48
	s_addc_u32 s3, s3, 0
	s_waitcnt lgkmcnt(0)
	v_mul_hi_u32 v1, s13, v4
	v_add_u32_e32 v1, v4, v1
	v_lshrrev_b32_e32 v1, s14, v1
	v_mul_lo_u32 v3, v1, s12
	v_mul_hi_u32 v5, s16, v1
	v_sub_u32_e32 v3, v4, v3
	v_add_u32_e32 v4, v1, v5
	v_lshrrev_b32_e32 v4, s17, v4
	v_mul_lo_u32 v6, v4, s15
	v_mul_hi_u32 v7, s19, v4
	v_sub_u32_e32 v1, v1, v6
	v_add_u32_e32 v6, v4, v7
	v_mul_lo_u32 v5, v3, s5
	v_mul_lo_u32 v3, v3, s4
	;; [unrolled: 1-line block ×4, first 2 shown]
	v_lshrrev_b32_e32 v6, s36, v6
	v_add3_u32 v0, v3, v0, v1
	v_mul_hi_u32 v3, s38, v6
	v_add3_u32 v1, v5, v2, v7
	v_mul_lo_u32 v2, v6, s18
	v_add_u32_e32 v3, v6, v3
	v_sub_u32_e32 v2, v4, v2
	v_lshrrev_b32_e32 v4, s39, v3
	s_add_i32 s62, s62, 4
	v_mul_lo_u32 v3, v4, s37
	s_add_u32 s56, s56, 32
	v_sub_u32_e32 v3, v6, v3
	s_addc_u32 s57, s57, 0
	v_mul_lo_u32 v5, v2, s8
	v_mul_lo_u32 v2, v2, s9
	;; [unrolled: 1-line block ×4, first 2 shown]
	s_cmp_lg_u32 s58, s62
	v_add3_u32 v2, v2, v1, v3
	v_add3_u32 v0, v5, v0, v6
	s_cbranch_scc1 .LBB297_6
; %bb.7:
	v_mov_b32_e32 v1, v2
	s_branch .LBB297_11
.LBB297_8:
                                        ; implicit-def: $vgpr2
                                        ; implicit-def: $vgpr0
	s_branch .LBB297_15
.LBB297_9:
	v_mov_b32_e32 v2, 0
	v_mov_b32_e32 v0, 0
	s_branch .LBB297_14
.LBB297_10:
	v_mov_b32_e32 v0, 0
	s_mov_b32 s58, 0
	v_mov_b32_e32 v1, v0
                                        ; implicit-def: $vgpr2
	v_mov_b32_e32 v4, v8
.LBB297_11:
	s_and_b32 s6, s59, 3
	s_cmp_eq_u32 s6, 0
	s_cbranch_scc1 .LBB297_14
; %bb.12:
	s_lshl_b32 s2, s58, 3
	s_add_u32 s2, s34, s2
	s_addc_u32 s3, s35, 0
	s_add_u32 s2, s2, 0xc4
	s_addc_u32 s3, s3, 0
	s_mul_i32 s4, s58, 12
	s_add_u32 s4, s34, s4
	s_addc_u32 s5, s35, 0
.LBB297_13:                             ; =>This Inner Loop Header: Depth=1
	s_load_dwordx2 s[8:9], s[4:5], 0x4
	s_load_dword s7, s[4:5], 0xc
	s_load_dwordx2 s[10:11], s[2:3], 0x0
	v_mov_b32_e32 v2, v1
	s_add_u32 s4, s4, 12
	s_waitcnt lgkmcnt(0)
	v_mul_hi_u32 v1, s9, v4
	v_add_u32_e32 v1, v4, v1
	v_lshrrev_b32_e32 v1, s7, v1
	s_addc_u32 s5, s5, 0
	v_mul_lo_u32 v3, v1, s8
	s_add_u32 s2, s2, 8
	v_sub_u32_e32 v5, v4, v3
	s_addc_u32 s3, s3, 0
	s_add_i32 s6, s6, -1
	v_mov_b32_e32 v4, v1
	v_mad_u64_u32 v[2:3], s[8:9], v5, s11, v[2:3]
	v_mad_u64_u32 v[0:1], s[8:9], v5, s10, v[0:1]
	s_cmp_lg_u32 s6, 0
	v_mov_b32_e32 v1, v2
	s_cbranch_scc1 .LBB297_13
.LBB297_14:
	s_cbranch_execnz .LBB297_17
.LBB297_15:
	v_mul_hi_u32 v0, s25, v8
	v_add_u32_e32 v0, v8, v0
	v_lshrrev_b32_e32 v1, s26, v0
	v_mul_lo_u32 v0, v1, s24
	v_sub_u32_e32 v0, v8, v0
	v_mul_lo_u32 v2, v0, s29
	s_andn2_b64 vcc, exec, s[50:51]
	v_mul_lo_u32 v0, v0, s28
	s_cbranch_vccnz .LBB297_17
; %bb.16:
	v_mul_hi_u32 v3, s48, v1
	v_add_u32_e32 v3, v1, v3
	v_lshrrev_b32_e32 v3, s49, v3
	v_mul_lo_u32 v3, v3, s27
	v_sub_u32_e32 v3, v1, v3
	v_mad_u64_u32 v[0:1], s[2:3], v3, s30, v[0:1]
	v_mad_u64_u32 v[2:3], s[2:3], v3, s31, v[2:3]
.LBB297_17:
	v_mov_b32_e32 v3, 0
	s_and_b32 s8, 0xffff, s76
	s_cmp_lt_i32 s8, 11
	v_lshl_add_u64 v[2:3], s[22:23], 0, v[2:3]
	s_cbranch_scc1 .LBB297_24
; %bb.18:
	s_cmp_gt_i32 s8, 25
	s_cbranch_scc0 .LBB297_33
; %bb.19:
	s_cmp_gt_i32 s8, 28
	s_cbranch_scc0 .LBB297_36
	;; [unrolled: 3-line block ×4, first 2 shown]
; %bb.22:
	s_cmp_eq_u32 s8, 46
	s_mov_b64 s[6:7], 0
	s_cbranch_scc0 .LBB297_42
; %bb.23:
	global_load_dword v1, v[2:3], off
	s_mov_b64 s[2:3], -1
	s_mov_b64 s[4:5], 0
	s_waitcnt vmcnt(0)
	v_lshlrev_b32_e32 v1, 16, v1
	v_cvt_i32_f32_e32 v1, v1
	s_branch .LBB297_44
.LBB297_24:
	s_mov_b64 s[4:5], 0
                                        ; implicit-def: $vgpr1
	s_mov_b64 s[2:3], 0
	s_cbranch_execnz .LBB297_213
.LBB297_25:
	s_andn2_b64 vcc, exec, s[2:3]
	s_cbranch_vccnz .LBB297_260
.LBB297_26:
	s_waitcnt vmcnt(0)
	v_max_i32_e32 v1, s46, v1
	v_min_i32_e32 v2, s47, v1
	v_mov_b32_e32 v1, 0
	s_and_b32 s12, s75, 0xff
	s_cmp_lt_i32 s12, 11
	v_lshl_add_u64 v[0:1], s[20:21], 0, v[0:1]
	s_cbranch_scc1 .LBB297_34
; %bb.27:
	s_and_b32 s13, 0xffff, s12
	s_cmp_gt_i32 s13, 25
	s_cbranch_scc0 .LBB297_37
; %bb.28:
	s_cmp_gt_i32 s13, 28
	s_cbranch_scc0 .LBB297_39
; %bb.29:
	;; [unrolled: 3-line block ×4, first 2 shown]
	s_mov_b64 s[8:9], 0
	s_mov_b64 s[2:3], -1
	s_cmp_eq_u32 s13, 46
	s_mov_b64 s[6:7], 0
	s_cbranch_scc0 .LBB297_48
; %bb.32:
	v_cvt_f32_i32_e32 v3, v2
	s_movk_i32 s2, 0x7fff
	s_mov_b64 s[6:7], -1
	v_bfe_u32 v4, v3, 16, 1
	v_add3_u32 v3, v3, v4, s2
	v_lshrrev_b32_e32 v3, 16, v3
	global_store_dword v[0:1], v3, off
	s_mov_b64 s[2:3], 0
	s_branch .LBB297_48
.LBB297_33:
	s_mov_b64 s[4:5], 0
	s_mov_b64 s[2:3], 0
                                        ; implicit-def: $vgpr1
	s_cbranch_execnz .LBB297_180
	s_branch .LBB297_212
.LBB297_34:
	s_mov_b64 s[2:3], 0
	s_mov_b64 s[6:7], 0
	s_cbranch_execnz .LBB297_117
.LBB297_35:
	s_andn2_b64 vcc, exec, s[6:7]
	s_cbranch_vccnz .LBB297_261
	s_branch .LBB297_155
.LBB297_36:
	s_mov_b64 s[6:7], -1
	s_mov_b64 s[4:5], 0
	s_mov_b64 s[2:3], 0
                                        ; implicit-def: $vgpr1
	s_branch .LBB297_163
.LBB297_37:
	s_mov_b64 s[8:9], -1
	s_mov_b64 s[2:3], 0
	s_mov_b64 s[6:7], 0
	s_branch .LBB297_75
.LBB297_38:
	s_mov_b64 s[6:7], -1
	s_mov_b64 s[4:5], 0
	s_mov_b64 s[2:3], 0
                                        ; implicit-def: $vgpr1
	s_branch .LBB297_158
.LBB297_39:
	s_mov_b64 s[8:9], -1
	s_mov_b64 s[2:3], 0
	s_mov_b64 s[6:7], 0
	s_branch .LBB297_58
.LBB297_40:
	s_mov_b64 s[6:7], -1
	s_mov_b64 s[4:5], 0
	s_branch .LBB297_43
.LBB297_41:
	s_mov_b64 s[8:9], -1
	s_mov_b64 s[2:3], 0
	s_mov_b64 s[6:7], 0
	s_branch .LBB297_54
.LBB297_42:
	s_mov_b64 s[4:5], -1
.LBB297_43:
	s_mov_b64 s[2:3], 0
                                        ; implicit-def: $vgpr1
.LBB297_44:
	s_and_b64 vcc, exec, s[6:7]
	s_cbranch_vccz .LBB297_157
; %bb.45:
	s_cmp_eq_u32 s8, 44
	s_cbranch_scc0 .LBB297_156
; %bb.46:
	global_load_ubyte v1, v[2:3], off
	s_mov_b64 s[2:3], -1
	s_mov_b64 s[4:5], 0
	s_waitcnt vmcnt(0)
	v_lshlrev_b32_e32 v4, 23, v1
	v_cvt_i32_f32_e32 v4, v4
	v_cmp_ne_u32_e32 vcc, 0, v1
	s_nop 1
	v_cndmask_b32_e32 v1, 0, v4, vcc
	s_branch .LBB297_157
.LBB297_47:
	s_mov_b64 s[8:9], -1
	s_mov_b64 s[2:3], 0
	s_mov_b64 s[6:7], 0
.LBB297_48:
	s_and_b64 vcc, exec, s[8:9]
	s_cbranch_vccz .LBB297_53
; %bb.49:
	s_cmp_eq_u32 s13, 44
	s_mov_b64 s[2:3], -1
	s_cbranch_scc0 .LBB297_53
; %bb.50:
	v_cvt_f32_i32_e32 v3, v2
	s_movk_i32 s2, 0xff
	v_mov_b32_e32 v5, 0xff
	v_bfe_u32 v4, v3, 23, 8
	v_cmp_ne_u32_e32 vcc, s2, v4
	s_and_saveexec_b64 s[6:7], vcc
; %bb.51:
	s_mov_b32 s2, 0x3fffff
	v_lshrrev_b32_e32 v5, 23, v3
	v_and_b32_e32 v6, 0x400000, v3
	v_and_or_b32 v3, v3, s2, v4
	v_cmp_ne_u32_e32 vcc, 0, v6
	v_cmp_ne_u32_e64 s[2:3], 0, v3
	s_and_b64 s[2:3], vcc, s[2:3]
	s_nop 0
	v_cndmask_b32_e64 v3, 0, 1, s[2:3]
	v_add_u32_e32 v5, v5, v3
; %bb.52:
	s_or_b64 exec, exec, s[6:7]
	s_mov_b64 s[6:7], -1
	s_mov_b64 s[2:3], 0
	global_store_byte v[0:1], v5, off
.LBB297_53:
	s_mov_b64 s[8:9], 0
.LBB297_54:
	s_and_b64 vcc, exec, s[8:9]
	s_cbranch_vccz .LBB297_57
; %bb.55:
	s_cmp_eq_u32 s13, 29
	s_mov_b64 s[2:3], -1
	s_cbranch_scc0 .LBB297_57
; %bb.56:
	v_ashrrev_i32_e32 v3, 31, v2
	global_store_dwordx2 v[0:1], v[2:3], off
	s_mov_b64 s[6:7], -1
	s_mov_b64 s[2:3], 0
.LBB297_57:
	s_mov_b64 s[8:9], 0
.LBB297_58:
	s_and_b64 vcc, exec, s[8:9]
	s_cbranch_vccz .LBB297_74
; %bb.59:
	s_cmp_lt_i32 s13, 27
	s_mov_b64 s[6:7], -1
	s_cbranch_scc1 .LBB297_65
; %bb.60:
	s_cmp_gt_i32 s13, 27
	s_cbranch_scc0 .LBB297_62
; %bb.61:
	s_mov_b64 s[6:7], 0
	global_store_dword v[0:1], v2, off
.LBB297_62:
	s_andn2_b64 vcc, exec, s[6:7]
	s_cbranch_vccnz .LBB297_64
; %bb.63:
	global_store_short v[0:1], v2, off
.LBB297_64:
	s_mov_b64 s[6:7], 0
.LBB297_65:
	s_andn2_b64 vcc, exec, s[6:7]
	s_cbranch_vccnz .LBB297_73
; %bb.66:
	v_cvt_f32_i32_e32 v3, v2
	s_mov_b32 s6, 0x43800000
	v_mov_b32_e32 v5, 0x80
	v_and_b32_e32 v4, 0x7fffffff, v3
	v_cmp_gt_u32_e32 vcc, s6, v4
	s_and_saveexec_b64 s[6:7], vcc
	s_cbranch_execz .LBB297_72
; %bb.67:
	s_mov_b32 s8, 0x3bffffff
	v_cmp_lt_u32_e32 vcc, s8, v4
	s_mov_b64 s[8:9], 0
                                        ; implicit-def: $vgpr4
	s_and_saveexec_b64 s[10:11], vcc
	s_xor_b64 s[10:11], exec, s[10:11]
	s_cbranch_execz .LBB297_305
; %bb.68:
	v_bfe_u32 v4, v3, 20, 1
	s_mov_b32 s14, 0x487ffff
	v_add3_u32 v4, v3, v4, s14
	s_mov_b64 s[8:9], exec
	v_lshrrev_b32_e32 v4, 20, v4
	s_andn2_saveexec_b64 s[10:11], s[10:11]
	s_cbranch_execnz .LBB297_306
.LBB297_69:
	s_or_b64 exec, exec, s[10:11]
	v_mov_b32_e32 v5, 0
	s_and_saveexec_b64 s[10:11], s[8:9]
.LBB297_70:
	v_lshrrev_b32_e32 v3, 24, v3
	s_movk_i32 s8, 0x80
	v_and_or_b32 v5, v3, s8, v4
.LBB297_71:
	s_or_b64 exec, exec, s[10:11]
.LBB297_72:
	s_or_b64 exec, exec, s[6:7]
	global_store_byte v[0:1], v5, off
.LBB297_73:
	s_mov_b64 s[6:7], -1
.LBB297_74:
	s_mov_b64 s[8:9], 0
.LBB297_75:
	s_and_b64 vcc, exec, s[8:9]
	s_cbranch_vccz .LBB297_116
; %bb.76:
	s_cmp_gt_i32 s13, 22
	s_mov_b64 s[8:9], -1
	s_cbranch_scc0 .LBB297_108
; %bb.77:
	s_cmp_lt_i32 s13, 24
	s_mov_b64 s[6:7], -1
	s_cbranch_scc1 .LBB297_97
; %bb.78:
	s_cmp_gt_i32 s13, 24
	s_cbranch_scc0 .LBB297_86
; %bb.79:
	v_cvt_f32_i32_e32 v3, v2
	s_mov_b32 s6, 0x47800000
	v_mov_b32_e32 v5, 0x80
	v_and_b32_e32 v4, 0x7fffffff, v3
	v_cmp_gt_u32_e32 vcc, s6, v4
	s_and_saveexec_b64 s[6:7], vcc
	s_cbranch_execz .LBB297_85
; %bb.80:
	s_mov_b32 s8, 0x37ffffff
	v_cmp_lt_u32_e32 vcc, s8, v4
	s_mov_b64 s[8:9], 0
                                        ; implicit-def: $vgpr4
	s_and_saveexec_b64 s[10:11], vcc
	s_xor_b64 s[10:11], exec, s[10:11]
	s_cbranch_execz .LBB297_309
; %bb.81:
	v_bfe_u32 v4, v3, 21, 1
	s_mov_b32 s14, 0x88fffff
	v_add3_u32 v4, v3, v4, s14
	s_mov_b64 s[8:9], exec
	v_lshrrev_b32_e32 v4, 21, v4
	s_andn2_saveexec_b64 s[10:11], s[10:11]
	s_cbranch_execnz .LBB297_310
.LBB297_82:
	s_or_b64 exec, exec, s[10:11]
	v_mov_b32_e32 v5, 0
	s_and_saveexec_b64 s[10:11], s[8:9]
.LBB297_83:
	v_lshrrev_b32_e32 v3, 24, v3
	s_movk_i32 s8, 0x80
	v_and_or_b32 v5, v3, s8, v4
.LBB297_84:
	s_or_b64 exec, exec, s[10:11]
.LBB297_85:
	s_or_b64 exec, exec, s[6:7]
	s_mov_b64 s[6:7], 0
	global_store_byte v[0:1], v5, off
.LBB297_86:
	s_and_b64 vcc, exec, s[6:7]
	s_cbranch_vccz .LBB297_96
; %bb.87:
	v_cvt_f32_i32_e32 v3, v2
	s_mov_b32 s6, 0x43f00000
                                        ; implicit-def: $vgpr4
	v_and_b32_e32 v5, 0x7fffffff, v3
	v_cmp_gt_u32_e32 vcc, s6, v5
	s_and_saveexec_b64 s[6:7], vcc
	s_xor_b64 s[6:7], exec, s[6:7]
	s_cbranch_execz .LBB297_93
; %bb.88:
	s_mov_b32 s8, 0x3c7fffff
	v_cmp_lt_u32_e32 vcc, s8, v5
                                        ; implicit-def: $vgpr4
	s_and_saveexec_b64 s[8:9], vcc
	s_xor_b64 s[8:9], exec, s[8:9]
; %bb.89:
	v_bfe_u32 v4, v3, 20, 1
	s_mov_b32 s10, 0x407ffff
	v_add3_u32 v4, v3, v4, s10
	v_lshrrev_b32_e32 v5, 20, v4
	v_and_b32_e32 v4, 0xff00000, v4
	s_mov_b32 s10, 0x7f00000
	v_mov_b32_e32 v6, 0x7e
	v_cmp_ne_u32_e32 vcc, s10, v4
	s_nop 1
	v_cndmask_b32_e32 v4, v6, v5, vcc
; %bb.90:
	s_andn2_saveexec_b64 s[8:9], s[8:9]
; %bb.91:
	s_mov_b32 s10, 0x46800000
	v_add_f32_e64 v4, |v3|, s10
; %bb.92:
	s_or_b64 exec, exec, s[8:9]
                                        ; implicit-def: $vgpr5
.LBB297_93:
	s_andn2_saveexec_b64 s[6:7], s[6:7]
; %bb.94:
	s_mov_b32 s8, 0x7f800000
	v_mov_b32_e32 v4, 0x7e
	v_mov_b32_e32 v6, 0x7f
	v_cmp_lt_u32_e32 vcc, s8, v5
	s_nop 1
	v_cndmask_b32_e32 v4, v4, v6, vcc
; %bb.95:
	s_or_b64 exec, exec, s[6:7]
	v_lshrrev_b32_e32 v3, 24, v3
	s_movk_i32 s6, 0x80
	v_and_or_b32 v3, v3, s6, v4
	global_store_byte v[0:1], v3, off
.LBB297_96:
	s_mov_b64 s[6:7], 0
.LBB297_97:
	s_andn2_b64 vcc, exec, s[6:7]
	s_cbranch_vccnz .LBB297_107
; %bb.98:
	v_cvt_f32_i32_e32 v3, v2
	s_mov_b32 s6, 0x47800000
                                        ; implicit-def: $vgpr4
	v_and_b32_e32 v5, 0x7fffffff, v3
	v_cmp_gt_u32_e32 vcc, s6, v5
	s_and_saveexec_b64 s[6:7], vcc
	s_xor_b64 s[6:7], exec, s[6:7]
	s_cbranch_execz .LBB297_104
; %bb.99:
	s_mov_b32 s8, 0x387fffff
	v_cmp_lt_u32_e32 vcc, s8, v5
                                        ; implicit-def: $vgpr4
	s_and_saveexec_b64 s[8:9], vcc
	s_xor_b64 s[8:9], exec, s[8:9]
; %bb.100:
	v_bfe_u32 v4, v3, 21, 1
	s_mov_b32 s10, 0x80fffff
	v_add3_u32 v4, v3, v4, s10
	v_lshrrev_b32_e32 v4, 21, v4
; %bb.101:
	s_andn2_saveexec_b64 s[8:9], s[8:9]
; %bb.102:
	s_mov_b32 s10, 0x43000000
	v_add_f32_e64 v4, |v3|, s10
; %bb.103:
	s_or_b64 exec, exec, s[8:9]
                                        ; implicit-def: $vgpr5
.LBB297_104:
	s_andn2_saveexec_b64 s[6:7], s[6:7]
; %bb.105:
	s_mov_b32 s8, 0x7f800000
	v_mov_b32_e32 v4, 0x7c
	v_mov_b32_e32 v6, 0x7f
	v_cmp_lt_u32_e32 vcc, s8, v5
	s_nop 1
	v_cndmask_b32_e32 v4, v4, v6, vcc
; %bb.106:
	s_or_b64 exec, exec, s[6:7]
	v_lshrrev_b32_e32 v3, 24, v3
	s_movk_i32 s6, 0x80
	v_and_or_b32 v3, v3, s6, v4
	global_store_byte v[0:1], v3, off
.LBB297_107:
	s_mov_b64 s[8:9], 0
	s_mov_b64 s[6:7], -1
.LBB297_108:
	s_andn2_b64 vcc, exec, s[8:9]
	s_cbranch_vccnz .LBB297_116
; %bb.109:
	s_cmp_gt_i32 s13, 14
	s_mov_b64 s[8:9], -1
	s_cbranch_scc0 .LBB297_113
; %bb.110:
	s_cmp_eq_u32 s13, 15
	s_mov_b64 s[2:3], -1
	s_cbranch_scc0 .LBB297_112
; %bb.111:
	v_cvt_f32_i32_e32 v3, v2
	s_movk_i32 s2, 0x7fff
	s_mov_b64 s[6:7], -1
	v_bfe_u32 v4, v3, 16, 1
	v_add3_u32 v3, v3, v4, s2
	global_store_short_d16_hi v[0:1], v3, off
	s_mov_b64 s[2:3], 0
.LBB297_112:
	s_mov_b64 s[8:9], 0
.LBB297_113:
	s_and_b64 vcc, exec, s[8:9]
	s_cbranch_vccz .LBB297_116
; %bb.114:
	s_cmp_eq_u32 s13, 11
	s_mov_b64 s[2:3], -1
	s_cbranch_scc0 .LBB297_116
; %bb.115:
	v_cmp_ne_u32_e32 vcc, 0, v2
	s_mov_b64 s[6:7], -1
	s_mov_b64 s[2:3], 0
	v_cndmask_b32_e64 v3, 0, 1, vcc
	global_store_byte v[0:1], v3, off
.LBB297_116:
	s_branch .LBB297_35
.LBB297_117:
	s_and_b32 s8, 0xffff, s12
	s_cmp_lt_i32 s8, 5
	s_mov_b64 s[6:7], -1
	s_cbranch_scc1 .LBB297_138
; %bb.118:
	s_cmp_lt_i32 s8, 8
	s_cbranch_scc1 .LBB297_128
; %bb.119:
	s_cmp_lt_i32 s8, 9
	s_cbranch_scc1 .LBB297_125
; %bb.120:
	s_cmp_gt_i32 s8, 9
	s_cbranch_scc0 .LBB297_122
; %bb.121:
	v_mov_b32_e32 v6, 0
	v_cvt_f64_i32_e32 v[4:5], v2
	v_mov_b32_e32 v7, v6
	global_store_dwordx4 v[0:1], v[4:7], off
	s_mov_b64 s[6:7], 0
.LBB297_122:
	s_andn2_b64 vcc, exec, s[6:7]
	s_cbranch_vccnz .LBB297_124
; %bb.123:
	v_cvt_f32_i32_e32 v4, v2
	v_mov_b32_e32 v5, 0
	global_store_dwordx2 v[0:1], v[4:5], off
.LBB297_124:
	s_mov_b64 s[6:7], 0
.LBB297_125:
	s_andn2_b64 vcc, exec, s[6:7]
	s_cbranch_vccnz .LBB297_127
; %bb.126:
	v_cvt_f32_i32_e32 v3, v2
	v_cvt_f16_f32_e32 v3, v3
	global_store_dword v[0:1], v3, off
.LBB297_127:
	s_mov_b64 s[6:7], 0
.LBB297_128:
	s_andn2_b64 vcc, exec, s[6:7]
	s_cbranch_vccnz .LBB297_137
; %bb.129:
	s_cmp_lt_i32 s8, 6
	s_mov_b64 s[6:7], -1
	s_cbranch_scc1 .LBB297_135
; %bb.130:
	s_cmp_gt_i32 s8, 6
	s_cbranch_scc0 .LBB297_132
; %bb.131:
	v_cvt_f64_i32_e32 v[4:5], v2
	global_store_dwordx2 v[0:1], v[4:5], off
	s_mov_b64 s[6:7], 0
.LBB297_132:
	s_andn2_b64 vcc, exec, s[6:7]
	s_cbranch_vccnz .LBB297_134
; %bb.133:
	v_cvt_f32_i32_e32 v3, v2
	global_store_dword v[0:1], v3, off
.LBB297_134:
	s_mov_b64 s[6:7], 0
.LBB297_135:
	s_andn2_b64 vcc, exec, s[6:7]
	s_cbranch_vccnz .LBB297_137
; %bb.136:
	v_cvt_f32_i32_e32 v3, v2
	v_cvt_f16_f32_e32 v3, v3
	global_store_short v[0:1], v3, off
.LBB297_137:
	s_mov_b64 s[6:7], 0
.LBB297_138:
	s_andn2_b64 vcc, exec, s[6:7]
	s_cbranch_vccnz .LBB297_154
; %bb.139:
	s_cmp_lt_i32 s8, 2
	s_mov_b64 s[6:7], -1
	s_cbranch_scc1 .LBB297_149
; %bb.140:
	s_cmp_lt_i32 s8, 3
	s_cbranch_scc1 .LBB297_146
; %bb.141:
	s_cmp_gt_i32 s8, 3
	s_cbranch_scc0 .LBB297_143
; %bb.142:
	v_ashrrev_i32_e32 v3, 31, v2
	global_store_dwordx2 v[0:1], v[2:3], off
	s_mov_b64 s[6:7], 0
.LBB297_143:
	s_andn2_b64 vcc, exec, s[6:7]
	s_cbranch_vccnz .LBB297_145
; %bb.144:
	global_store_dword v[0:1], v2, off
.LBB297_145:
	s_mov_b64 s[6:7], 0
.LBB297_146:
	s_andn2_b64 vcc, exec, s[6:7]
	s_cbranch_vccnz .LBB297_148
; %bb.147:
	global_store_short v[0:1], v2, off
.LBB297_148:
	s_mov_b64 s[6:7], 0
.LBB297_149:
	s_andn2_b64 vcc, exec, s[6:7]
	s_cbranch_vccnz .LBB297_154
; %bb.150:
	s_cmp_gt_i32 s8, 0
	s_mov_b64 s[6:7], -1
	s_cbranch_scc0 .LBB297_152
; %bb.151:
	global_store_byte v[0:1], v2, off
	s_mov_b64 s[6:7], 0
.LBB297_152:
	s_andn2_b64 vcc, exec, s[6:7]
	s_cbranch_vccnz .LBB297_154
; %bb.153:
	global_store_byte v[0:1], v2, off
.LBB297_154:
.LBB297_155:
	v_add_u32_e32 v8, 0x80, v8
	s_mov_b64 s[6:7], -1
	s_branch .LBB297_262
.LBB297_156:
	s_mov_b64 s[4:5], -1
                                        ; implicit-def: $vgpr1
.LBB297_157:
	s_mov_b64 s[6:7], 0
.LBB297_158:
	s_and_b64 vcc, exec, s[6:7]
	s_cbranch_vccz .LBB297_162
; %bb.159:
	s_cmp_eq_u32 s8, 29
	s_cbranch_scc0 .LBB297_161
; %bb.160:
	global_load_dword v1, v[2:3], off
	s_mov_b64 s[2:3], -1
	s_mov_b64 s[4:5], 0
	s_branch .LBB297_162
.LBB297_161:
	s_mov_b64 s[4:5], -1
                                        ; implicit-def: $vgpr1
.LBB297_162:
	s_mov_b64 s[6:7], 0
.LBB297_163:
	s_and_b64 vcc, exec, s[6:7]
	s_cbranch_vccz .LBB297_179
; %bb.164:
	s_cmp_lt_i32 s8, 27
	s_cbranch_scc1 .LBB297_167
; %bb.165:
	s_cmp_gt_i32 s8, 27
	s_cbranch_scc0 .LBB297_168
; %bb.166:
	global_load_dword v1, v[2:3], off
	s_mov_b64 s[2:3], 0
	s_branch .LBB297_169
.LBB297_167:
	s_mov_b64 s[2:3], -1
                                        ; implicit-def: $vgpr1
	s_branch .LBB297_172
.LBB297_168:
	s_mov_b64 s[2:3], -1
                                        ; implicit-def: $vgpr1
.LBB297_169:
	s_andn2_b64 vcc, exec, s[2:3]
	s_cbranch_vccnz .LBB297_171
; %bb.170:
	global_load_ushort v1, v[2:3], off
.LBB297_171:
	s_mov_b64 s[2:3], 0
.LBB297_172:
	s_andn2_b64 vcc, exec, s[2:3]
	s_cbranch_vccnz .LBB297_178
; %bb.173:
	global_load_ubyte v4, v[2:3], off
	s_movk_i32 s2, 0x7f
	s_mov_b64 s[6:7], 0
	s_waitcnt vmcnt(0)
	v_cmp_lt_i16_e32 vcc, s2, v4
	s_and_saveexec_b64 s[2:3], vcc
	s_xor_b64 s[2:3], exec, s[2:3]
	s_cbranch_execz .LBB297_189
; %bb.174:
	s_movk_i32 s6, 0x80
	v_cmp_ne_u16_e32 vcc, s6, v4
	s_and_b64 s[6:7], vcc, exec
	s_andn2_saveexec_b64 s[2:3], s[2:3]
	s_cbranch_execnz .LBB297_190
.LBB297_175:
	s_or_b64 exec, exec, s[2:3]
	v_mov_b32_e32 v1, 0
	s_and_saveexec_b64 s[2:3], s[6:7]
	s_cbranch_execz .LBB297_177
.LBB297_176:
	v_lshlrev_b32_e32 v1, 24, v4
	v_and_b32_e32 v4, 0xffff, v4
	v_and_b32_e32 v5, 7, v4
	v_ffbh_u32_e32 v7, v5
	v_min_u32_e32 v7, 32, v7
	v_subrev_u32_e32 v9, 28, v7
	v_bfe_u32 v6, v4, 3, 4
	v_lshlrev_b32_e32 v4, v9, v4
	v_sub_u32_e32 v7, 29, v7
	v_and_b32_e32 v4, 7, v4
	v_cmp_eq_u32_e32 vcc, 0, v6
	v_and_b32_e32 v1, 0x80000000, v1
	s_nop 0
	v_cndmask_b32_e32 v6, v6, v7, vcc
	v_cndmask_b32_e32 v4, v5, v4, vcc
	v_mov_b32_e32 v5, 0x3b800000
	v_lshlrev_b32_e32 v4, 20, v4
	v_lshl_add_u32 v5, v6, 23, v5
	v_or3_b32 v1, v1, v5, v4
	v_cvt_i32_f32_e32 v1, v1
.LBB297_177:
	s_or_b64 exec, exec, s[2:3]
.LBB297_178:
	s_mov_b64 s[2:3], -1
.LBB297_179:
	s_branch .LBB297_212
.LBB297_180:
	s_cmp_gt_i32 s8, 22
	s_cbranch_scc0 .LBB297_188
; %bb.181:
	s_cmp_lt_i32 s8, 24
	s_cbranch_scc1 .LBB297_191
; %bb.182:
	s_cmp_gt_i32 s8, 24
	s_cbranch_scc0 .LBB297_192
; %bb.183:
	global_load_ubyte v4, v[2:3], off
	s_movk_i32 s2, 0x7f
	s_mov_b64 s[6:7], 0
	s_waitcnt vmcnt(0)
	v_cmp_lt_i16_e32 vcc, s2, v4
	s_and_saveexec_b64 s[2:3], vcc
	s_xor_b64 s[2:3], exec, s[2:3]
	s_cbranch_execz .LBB297_204
; %bb.184:
	s_movk_i32 s6, 0x80
	v_cmp_ne_u16_e32 vcc, s6, v4
	s_and_b64 s[6:7], vcc, exec
	s_andn2_saveexec_b64 s[2:3], s[2:3]
	s_cbranch_execnz .LBB297_205
.LBB297_185:
	s_or_b64 exec, exec, s[2:3]
	v_mov_b32_e32 v1, 0
	s_and_saveexec_b64 s[2:3], s[6:7]
	s_cbranch_execz .LBB297_187
.LBB297_186:
	v_lshlrev_b32_e32 v1, 24, v4
	v_and_b32_e32 v4, 0xffff, v4
	v_and_b32_e32 v5, 3, v4
	v_ffbh_u32_e32 v7, v5
	v_min_u32_e32 v7, 32, v7
	v_subrev_u32_e32 v9, 29, v7
	v_bfe_u32 v6, v4, 2, 5
	v_lshlrev_b32_e32 v4, v9, v4
	v_sub_u32_e32 v7, 30, v7
	v_and_b32_e32 v4, 3, v4
	v_cmp_eq_u32_e32 vcc, 0, v6
	v_and_b32_e32 v1, 0x80000000, v1
	s_nop 0
	v_cndmask_b32_e32 v6, v6, v7, vcc
	v_cndmask_b32_e32 v4, v5, v4, vcc
	v_mov_b32_e32 v5, 0x37800000
	v_lshlrev_b32_e32 v4, 21, v4
	v_lshl_add_u32 v5, v6, 23, v5
	v_or3_b32 v1, v1, v5, v4
	v_cvt_i32_f32_e32 v1, v1
.LBB297_187:
	s_or_b64 exec, exec, s[2:3]
	s_mov_b64 s[2:3], 0
	s_branch .LBB297_193
.LBB297_188:
	s_mov_b64 s[6:7], -1
                                        ; implicit-def: $vgpr1
	s_branch .LBB297_199
.LBB297_189:
	s_andn2_saveexec_b64 s[2:3], s[2:3]
	s_cbranch_execz .LBB297_175
.LBB297_190:
	v_cmp_ne_u16_e32 vcc, 0, v4
	s_andn2_b64 s[6:7], s[6:7], exec
	s_and_b64 s[10:11], vcc, exec
	s_or_b64 s[6:7], s[6:7], s[10:11]
	s_or_b64 exec, exec, s[2:3]
	v_mov_b32_e32 v1, 0
	s_and_saveexec_b64 s[2:3], s[6:7]
	s_cbranch_execnz .LBB297_176
	s_branch .LBB297_177
.LBB297_191:
	s_mov_b64 s[2:3], -1
                                        ; implicit-def: $vgpr1
	s_branch .LBB297_196
.LBB297_192:
	s_mov_b64 s[2:3], -1
                                        ; implicit-def: $vgpr1
.LBB297_193:
	s_and_b64 vcc, exec, s[2:3]
	s_cbranch_vccz .LBB297_195
; %bb.194:
	global_load_ubyte v1, v[2:3], off
	s_mov_b32 s2, 0x7f800000
	s_waitcnt vmcnt(0)
	v_lshlrev_b32_e32 v1, 24, v1
	v_and_b32_e32 v4, 0x7f000000, v1
	v_ffbh_u32_e32 v5, v4
	v_min_u32_e32 v5, 32, v5
	v_sub_u32_e64 v5, v5, 4 clamp
	v_lshlrev_b32_e32 v7, v5, v4
	v_lshlrev_b32_e32 v5, 23, v5
	v_lshrrev_b32_e32 v7, 4, v7
	v_add_u32_e32 v6, 0x1000000, v4
	v_sub_u32_e32 v5, v7, v5
	v_ashrrev_i32_e32 v6, 8, v6
	v_add_u32_e32 v5, 0x3c000000, v5
	v_and_or_b32 v5, v6, s2, v5
	v_cmp_ne_u32_e32 vcc, 0, v4
	s_brev_b32 s2, 1
	s_nop 0
	v_cndmask_b32_e32 v4, 0, v5, vcc
	v_and_or_b32 v1, v1, s2, v4
	v_cvt_i32_f32_e32 v1, v1
.LBB297_195:
	s_mov_b64 s[2:3], 0
.LBB297_196:
	s_andn2_b64 vcc, exec, s[2:3]
	s_cbranch_vccnz .LBB297_198
; %bb.197:
	global_load_ubyte v1, v[2:3], off
	s_movk_i32 s2, 0x7f00
	s_brev_b32 s3, 16
	s_waitcnt vmcnt(0)
	v_lshlrev_b16_e32 v4, 8, v1
	v_lshlrev_b32_e32 v1, 25, v1
	v_lshrrev_b32_e32 v5, 4, v1
	v_and_or_b32 v6, v4, s2, 0.5
	v_or_b32_e32 v5, 0x70000000, v5
	v_add_f32_e32 v6, -0.5, v6
	v_mul_f32_e32 v5, 0x7800000, v5
	v_cmp_gt_u32_e32 vcc, s3, v1
	v_bfe_i32 v4, v4, 0, 16
	s_brev_b32 s2, 1
	v_cndmask_b32_e32 v1, v5, v6, vcc
	v_and_or_b32 v1, v4, s2, v1
	v_cvt_i32_f32_e32 v1, v1
.LBB297_198:
	s_mov_b64 s[6:7], 0
	s_mov_b64 s[2:3], -1
.LBB297_199:
	s_andn2_b64 vcc, exec, s[6:7]
	s_cbranch_vccnz .LBB297_212
; %bb.200:
	s_cmp_gt_i32 s8, 14
	s_cbranch_scc0 .LBB297_203
; %bb.201:
	s_cmp_eq_u32 s8, 15
	s_cbranch_scc0 .LBB297_206
; %bb.202:
	global_load_ushort v1, v[2:3], off
	s_mov_b64 s[2:3], -1
	s_mov_b64 s[4:5], 0
	s_waitcnt vmcnt(0)
	v_lshlrev_b32_e32 v1, 16, v1
	v_cvt_i32_f32_e32 v1, v1
	s_branch .LBB297_207
.LBB297_203:
	s_mov_b64 s[6:7], -1
                                        ; implicit-def: $vgpr1
	s_branch .LBB297_208
.LBB297_204:
	s_andn2_saveexec_b64 s[2:3], s[2:3]
	s_cbranch_execz .LBB297_185
.LBB297_205:
	v_cmp_ne_u16_e32 vcc, 0, v4
	s_andn2_b64 s[6:7], s[6:7], exec
	s_and_b64 s[10:11], vcc, exec
	s_or_b64 s[6:7], s[6:7], s[10:11]
	s_or_b64 exec, exec, s[2:3]
	v_mov_b32_e32 v1, 0
	s_and_saveexec_b64 s[2:3], s[6:7]
	s_cbranch_execnz .LBB297_186
	s_branch .LBB297_187
.LBB297_206:
	s_mov_b64 s[4:5], -1
                                        ; implicit-def: $vgpr1
.LBB297_207:
	s_mov_b64 s[6:7], 0
.LBB297_208:
	s_and_b64 vcc, exec, s[6:7]
	s_cbranch_vccz .LBB297_212
; %bb.209:
	s_cmp_eq_u32 s8, 11
	s_cbranch_scc0 .LBB297_211
; %bb.210:
	global_load_ubyte v1, v[2:3], off
	s_mov_b64 s[2:3], -1
	s_mov_b64 s[4:5], 0
	s_waitcnt vmcnt(0)
	v_cmp_ne_u16_e32 vcc, 0, v1
	s_nop 1
	v_cndmask_b32_e64 v1, 0, 1, vcc
	s_branch .LBB297_212
.LBB297_211:
	s_mov_b64 s[4:5], -1
                                        ; implicit-def: $vgpr1
.LBB297_212:
	s_branch .LBB297_25
.LBB297_213:
	s_cmp_lt_i32 s8, 5
	s_cbranch_scc1 .LBB297_218
; %bb.214:
	s_cmp_lt_i32 s8, 8
	s_cbranch_scc1 .LBB297_219
; %bb.215:
	;; [unrolled: 3-line block ×3, first 2 shown]
	s_cmp_gt_i32 s8, 9
	s_cbranch_scc0 .LBB297_221
; %bb.217:
	global_load_dwordx2 v[4:5], v[2:3], off
	s_mov_b64 s[2:3], 0
	s_waitcnt vmcnt(0)
	v_cvt_i32_f64_e32 v1, v[4:5]
	s_branch .LBB297_222
.LBB297_218:
                                        ; implicit-def: $vgpr1
	s_branch .LBB297_240
.LBB297_219:
	s_mov_b64 s[2:3], -1
                                        ; implicit-def: $vgpr1
	s_branch .LBB297_228
.LBB297_220:
	s_mov_b64 s[2:3], -1
                                        ; implicit-def: $vgpr1
	s_branch .LBB297_225
.LBB297_221:
	s_mov_b64 s[2:3], -1
                                        ; implicit-def: $vgpr1
.LBB297_222:
	s_andn2_b64 vcc, exec, s[2:3]
	s_cbranch_vccnz .LBB297_224
; %bb.223:
	global_load_dword v1, v[2:3], off
	s_waitcnt vmcnt(0)
	v_cvt_i32_f32_e32 v1, v1
.LBB297_224:
	s_mov_b64 s[2:3], 0
.LBB297_225:
	s_andn2_b64 vcc, exec, s[2:3]
	s_cbranch_vccnz .LBB297_227
; %bb.226:
	global_load_dword v1, v[2:3], off
	s_waitcnt vmcnt(0)
	v_cvt_f32_f16_e32 v1, v1
	v_cvt_i32_f32_e32 v1, v1
.LBB297_227:
	s_mov_b64 s[2:3], 0
.LBB297_228:
	s_andn2_b64 vcc, exec, s[2:3]
	s_cbranch_vccnz .LBB297_239
; %bb.229:
	s_cmp_lt_i32 s8, 6
	s_cbranch_scc1 .LBB297_232
; %bb.230:
	s_cmp_gt_i32 s8, 6
	s_cbranch_scc0 .LBB297_233
; %bb.231:
	global_load_dwordx2 v[4:5], v[2:3], off
	s_mov_b64 s[2:3], 0
	s_waitcnt vmcnt(0)
	v_cvt_i32_f64_e32 v1, v[4:5]
	s_branch .LBB297_234
.LBB297_232:
	s_mov_b64 s[2:3], -1
                                        ; implicit-def: $vgpr1
	s_branch .LBB297_237
.LBB297_233:
	s_mov_b64 s[2:3], -1
                                        ; implicit-def: $vgpr1
.LBB297_234:
	s_andn2_b64 vcc, exec, s[2:3]
	s_cbranch_vccnz .LBB297_236
; %bb.235:
	global_load_dword v1, v[2:3], off
	s_waitcnt vmcnt(0)
	v_cvt_i32_f32_e32 v1, v1
.LBB297_236:
	s_mov_b64 s[2:3], 0
.LBB297_237:
	s_andn2_b64 vcc, exec, s[2:3]
	s_cbranch_vccnz .LBB297_239
; %bb.238:
	global_load_ushort v1, v[2:3], off
	s_waitcnt vmcnt(0)
	v_cvt_f32_f16_e32 v1, v1
	v_cvt_i32_f32_e32 v1, v1
.LBB297_239:
	s_cbranch_execnz .LBB297_259
.LBB297_240:
	s_cmp_lt_i32 s8, 2
	s_cbranch_scc1 .LBB297_244
; %bb.241:
	s_cmp_lt_i32 s8, 3
	s_cbranch_scc1 .LBB297_245
; %bb.242:
	s_cmp_gt_i32 s8, 3
	s_cbranch_scc0 .LBB297_246
; %bb.243:
	global_load_dword v1, v[2:3], off
	s_mov_b64 s[2:3], 0
	s_branch .LBB297_247
.LBB297_244:
	s_mov_b64 s[2:3], -1
                                        ; implicit-def: $vgpr1
	s_branch .LBB297_253
.LBB297_245:
	s_mov_b64 s[2:3], -1
                                        ; implicit-def: $vgpr1
	s_branch .LBB297_250
.LBB297_246:
	s_mov_b64 s[2:3], -1
                                        ; implicit-def: $vgpr1
.LBB297_247:
	s_andn2_b64 vcc, exec, s[2:3]
	s_cbranch_vccnz .LBB297_249
; %bb.248:
	global_load_dword v1, v[2:3], off
.LBB297_249:
	s_mov_b64 s[2:3], 0
.LBB297_250:
	s_andn2_b64 vcc, exec, s[2:3]
	s_cbranch_vccnz .LBB297_252
; %bb.251:
	global_load_sshort v1, v[2:3], off
.LBB297_252:
	s_mov_b64 s[2:3], 0
.LBB297_253:
	s_andn2_b64 vcc, exec, s[2:3]
	s_cbranch_vccnz .LBB297_259
; %bb.254:
	s_cmp_gt_i32 s8, 0
	s_cbranch_scc0 .LBB297_256
; %bb.255:
	global_load_sbyte v1, v[2:3], off
	s_mov_b64 s[2:3], 0
	s_branch .LBB297_257
.LBB297_256:
	s_mov_b64 s[2:3], -1
                                        ; implicit-def: $vgpr1
.LBB297_257:
	s_andn2_b64 vcc, exec, s[2:3]
	s_cbranch_vccnz .LBB297_259
; %bb.258:
	global_load_ubyte v1, v[2:3], off
.LBB297_259:
	s_branch .LBB297_26
.LBB297_260:
	s_mov_b64 s[2:3], 0
.LBB297_261:
	s_mov_b64 s[6:7], 0
                                        ; implicit-def: $vgpr8
.LBB297_262:
	s_and_b64 s[56:57], s[2:3], exec
	s_and_b64 s[58:59], s[4:5], exec
	s_orn2_b64 s[4:5], s[6:7], exec
.LBB297_263:
	s_or_b64 exec, exec, s[60:61]
	s_mov_b64 s[8:9], 0
	s_mov_b64 s[2:3], 0
                                        ; implicit-def: $vgpr2_vgpr3
                                        ; implicit-def: $vgpr0
                                        ; implicit-def: $vgpr1
	s_and_saveexec_b64 s[60:61], s[4:5]
	s_cbranch_execz .LBB297_271
; %bb.264:
	v_cmp_gt_i32_e32 vcc, s72, v8
	s_mov_b64 s[2:3], -1
	s_mov_b64 s[62:63], s[58:59]
	s_mov_b64 s[64:65], s[56:57]
	s_and_saveexec_b64 s[66:67], vcc
	s_cbranch_execz .LBB297_536
; %bb.265:
	s_andn2_b64 vcc, exec, s[42:43]
	s_cbranch_vccnz .LBB297_274
; %bb.266:
	s_andn2_b64 vcc, exec, s[54:55]
	s_cbranch_vccnz .LBB297_275
; %bb.267:
	s_add_i32 s65, s77, 1
	s_cmp_eq_u32 s74, 2
	s_cbranch_scc1 .LBB297_276
; %bb.268:
	s_and_b32 s64, s65, 28
	s_mov_b32 s68, 0
	v_mov_b32_e32 v0, 0
	v_mov_b32_e32 v2, 0
	s_mov_b64 s[2:3], s[34:35]
	s_mov_b64 s[62:63], s[52:53]
	v_mov_b32_e32 v4, v8
.LBB297_269:                            ; =>This Inner Loop Header: Depth=1
	s_load_dwordx8 s[12:19], s[2:3], 0x4
	s_load_dwordx4 s[36:39], s[2:3], 0x24
	s_load_dwordx8 s[4:11], s[62:63], 0x0
	s_add_u32 s2, s2, 48
	s_addc_u32 s3, s3, 0
	s_waitcnt vmcnt(0) lgkmcnt(0)
	v_mul_hi_u32 v1, s13, v4
	v_add_u32_e32 v1, v4, v1
	v_lshrrev_b32_e32 v1, s14, v1
	v_mul_lo_u32 v3, v1, s12
	v_mul_hi_u32 v5, s16, v1
	v_sub_u32_e32 v3, v4, v3
	v_add_u32_e32 v4, v1, v5
	v_lshrrev_b32_e32 v4, s17, v4
	v_mul_lo_u32 v6, v4, s15
	v_mul_hi_u32 v7, s19, v4
	v_sub_u32_e32 v1, v1, v6
	v_add_u32_e32 v6, v4, v7
	v_mul_lo_u32 v5, v3, s5
	v_mul_lo_u32 v3, v3, s4
	;; [unrolled: 1-line block ×4, first 2 shown]
	v_lshrrev_b32_e32 v6, s36, v6
	v_add3_u32 v0, v3, v0, v1
	v_mul_hi_u32 v3, s38, v6
	v_add3_u32 v1, v5, v2, v7
	v_mul_lo_u32 v2, v6, s18
	v_add_u32_e32 v3, v6, v3
	v_sub_u32_e32 v2, v4, v2
	v_lshrrev_b32_e32 v4, s39, v3
	s_add_i32 s68, s68, 4
	v_mul_lo_u32 v3, v4, s37
	s_add_u32 s62, s62, 32
	v_sub_u32_e32 v3, v6, v3
	s_addc_u32 s63, s63, 0
	v_mul_lo_u32 v5, v2, s8
	v_mul_lo_u32 v2, v2, s9
	;; [unrolled: 1-line block ×4, first 2 shown]
	s_cmp_eq_u32 s64, s68
	v_add3_u32 v2, v2, v1, v3
	v_add3_u32 v0, v5, v0, v6
	s_cbranch_scc0 .LBB297_269
; %bb.270:
	v_mov_b32_e32 v1, v2
	s_branch .LBB297_277
.LBB297_271:
	s_or_b64 exec, exec, s[60:61]
	s_mov_b64 s[4:5], 0
	s_and_saveexec_b64 s[6:7], s[58:59]
	s_cbranch_execnz .LBB297_906
.LBB297_272:
	s_or_b64 exec, exec, s[6:7]
	s_and_saveexec_b64 s[6:7], s[64:65]
	s_xor_b64 s[6:7], exec, s[6:7]
	s_cbranch_execz .LBB297_907
.LBB297_273:
	global_load_ubyte v1, v[2:3], off
	s_or_b64 s[2:3], s[2:3], exec
	s_waitcnt vmcnt(0)
	v_cmp_ne_u16_e32 vcc, 0, v1
	s_nop 1
	v_cndmask_b32_e64 v1, 0, 1, vcc
	s_or_b64 exec, exec, s[6:7]
	s_and_saveexec_b64 s[6:7], s[8:9]
	s_cbranch_execz .LBB297_953
	s_branch .LBB297_908
.LBB297_274:
                                        ; implicit-def: $vgpr2
                                        ; implicit-def: $vgpr0
	s_andn2_b64 vcc, exec, s[2:3]
	s_cbranch_vccz .LBB297_281
	s_branch .LBB297_283
.LBB297_275:
	v_mov_b32_e32 v2, 0
	v_mov_b32_e32 v0, 0
	s_branch .LBB297_280
.LBB297_276:
	v_mov_b32_e32 v0, 0
	s_mov_b32 s64, 0
	s_waitcnt vmcnt(0)
	v_mov_b32_e32 v1, v0
                                        ; implicit-def: $vgpr2
	v_mov_b32_e32 v4, v8
.LBB297_277:
	s_and_b32 s6, s65, 3
	s_cmp_eq_u32 s6, 0
	s_cbranch_scc1 .LBB297_280
; %bb.278:
	s_lshl_b32 s2, s64, 3
	s_add_u32 s2, s34, s2
	s_addc_u32 s3, s35, 0
	s_add_u32 s2, s2, 0xc4
	s_addc_u32 s3, s3, 0
	s_mul_i32 s4, s64, 12
	s_add_u32 s4, s34, s4
	s_addc_u32 s5, s35, 0
.LBB297_279:                            ; =>This Inner Loop Header: Depth=1
	s_load_dwordx2 s[8:9], s[4:5], 0x4
	s_load_dword s7, s[4:5], 0xc
	s_load_dwordx2 s[10:11], s[2:3], 0x0
	v_mov_b32_e32 v2, v1
	s_add_u32 s4, s4, 12
	s_waitcnt lgkmcnt(0)
	v_mul_hi_u32 v1, s9, v4
	v_add_u32_e32 v1, v4, v1
	v_lshrrev_b32_e32 v1, s7, v1
	s_addc_u32 s5, s5, 0
	v_mul_lo_u32 v3, v1, s8
	s_add_u32 s2, s2, 8
	v_sub_u32_e32 v5, v4, v3
	s_addc_u32 s3, s3, 0
	s_add_i32 s6, s6, -1
	v_mov_b32_e32 v4, v1
	v_mad_u64_u32 v[2:3], s[8:9], v5, s11, v[2:3]
	v_mad_u64_u32 v[0:1], s[8:9], v5, s10, v[0:1]
	s_cmp_lg_u32 s6, 0
	v_mov_b32_e32 v1, v2
	s_cbranch_scc1 .LBB297_279
.LBB297_280:
	s_cbranch_execnz .LBB297_283
.LBB297_281:
	v_mul_hi_u32 v0, s25, v8
	v_add_u32_e32 v0, v8, v0
	s_waitcnt vmcnt(0)
	v_lshrrev_b32_e32 v1, s26, v0
	v_mul_lo_u32 v0, v1, s24
	v_sub_u32_e32 v0, v8, v0
	v_mul_lo_u32 v2, v0, s29
	s_andn2_b64 vcc, exec, s[50:51]
	v_mul_lo_u32 v0, v0, s28
	s_cbranch_vccnz .LBB297_283
; %bb.282:
	v_mul_hi_u32 v3, s48, v1
	v_add_u32_e32 v3, v1, v3
	v_lshrrev_b32_e32 v3, s49, v3
	v_mul_lo_u32 v3, v3, s27
	v_sub_u32_e32 v3, v1, v3
	v_mad_u64_u32 v[0:1], s[2:3], v3, s30, v[0:1]
	v_mad_u64_u32 v[2:3], s[2:3], v3, s31, v[2:3]
.LBB297_283:
	v_mov_b32_e32 v3, 0
	s_and_b32 s8, 0xffff, s76
	s_cmp_lt_i32 s8, 11
	v_lshl_add_u64 v[2:3], s[22:23], 0, v[2:3]
	s_cbranch_scc1 .LBB297_290
; %bb.284:
	s_cmp_gt_i32 s8, 25
	s_cbranch_scc0 .LBB297_299
; %bb.285:
	s_cmp_gt_i32 s8, 28
	s_cbranch_scc0 .LBB297_301
	;; [unrolled: 3-line block ×4, first 2 shown]
; %bb.288:
	s_cmp_eq_u32 s8, 46
	s_mov_b64 s[6:7], 0
	s_cbranch_scc0 .LBB297_311
; %bb.289:
	global_load_dword v1, v[2:3], off
	s_mov_b64 s[2:3], -1
	s_mov_b64 s[4:5], 0
	s_waitcnt vmcnt(0)
	v_lshlrev_b32_e32 v1, 16, v1
	v_cvt_i32_f32_e32 v1, v1
	s_branch .LBB297_312
.LBB297_290:
	s_mov_b64 s[2:3], 0
                                        ; implicit-def: $vgpr1
	s_mov_b64 s[4:5], s[58:59]
	s_cbranch_execnz .LBB297_485
.LBB297_291:
	s_andn2_b64 vcc, exec, s[2:3]
	s_cbranch_vccnz .LBB297_533
.LBB297_292:
	s_waitcnt vmcnt(0)
	v_max_i32_e32 v1, s46, v1
	v_min_i32_e32 v2, s47, v1
	v_mov_b32_e32 v1, 0
	s_and_b32 s12, s75, 0xff
	s_cmp_lt_i32 s12, 11
	v_lshl_add_u64 v[0:1], s[20:21], 0, v[0:1]
	s_cbranch_scc1 .LBB297_300
; %bb.293:
	s_and_b32 s13, 0xffff, s12
	s_cmp_gt_i32 s13, 25
	s_cbranch_scc0 .LBB297_302
; %bb.294:
	s_cmp_gt_i32 s13, 28
	s_cbranch_scc0 .LBB297_304
; %bb.295:
	;; [unrolled: 3-line block ×4, first 2 shown]
	s_mov_b64 s[8:9], 0
	s_mov_b64 s[2:3], -1
	s_cmp_eq_u32 s13, 46
	s_mov_b64 s[6:7], 0
	s_cbranch_scc0 .LBB297_316
; %bb.298:
	v_cvt_f32_i32_e32 v3, v2
	s_movk_i32 s2, 0x7fff
	s_mov_b64 s[6:7], -1
	v_bfe_u32 v4, v3, 16, 1
	v_add3_u32 v3, v3, v4, s2
	v_lshrrev_b32_e32 v3, 16, v3
	global_store_dword v[0:1], v3, off
	s_mov_b64 s[2:3], 0
	s_branch .LBB297_316
.LBB297_299:
	s_mov_b64 s[6:7], -1
	s_mov_b64 s[2:3], 0
	s_mov_b64 s[4:5], s[58:59]
                                        ; implicit-def: $vgpr1
	s_branch .LBB297_451
.LBB297_300:
	s_mov_b64 s[8:9], -1
	s_mov_b64 s[6:7], 0
	s_mov_b64 s[2:3], s[56:57]
	s_branch .LBB297_385
.LBB297_301:
	s_mov_b64 s[6:7], -1
	s_mov_b64 s[2:3], 0
	s_mov_b64 s[4:5], s[58:59]
                                        ; implicit-def: $vgpr1
	s_branch .LBB297_434
.LBB297_302:
	s_mov_b64 s[8:9], -1
	s_mov_b64 s[6:7], 0
	s_mov_b64 s[2:3], s[56:57]
	s_branch .LBB297_343
.LBB297_303:
	s_mov_b64 s[6:7], -1
	s_mov_b64 s[2:3], 0
	s_mov_b64 s[4:5], s[58:59]
                                        ; implicit-def: $vgpr1
	s_branch .LBB297_429
.LBB297_304:
	s_mov_b64 s[8:9], -1
	s_mov_b64 s[6:7], 0
	s_mov_b64 s[2:3], s[56:57]
	s_branch .LBB297_326
.LBB297_305:
	s_andn2_saveexec_b64 s[10:11], s[10:11]
	s_cbranch_execz .LBB297_69
.LBB297_306:
	s_mov_b32 s14, 0x46000000
	v_add_f32_e64 v4, |v3|, s14
	v_and_b32_e32 v4, 0xff, v4
	v_cmp_ne_u32_e32 vcc, 0, v4
	s_andn2_b64 s[8:9], s[8:9], exec
	s_and_b64 s[14:15], vcc, exec
	s_or_b64 s[8:9], s[8:9], s[14:15]
	s_or_b64 exec, exec, s[10:11]
	v_mov_b32_e32 v5, 0
	s_and_saveexec_b64 s[10:11], s[8:9]
	s_cbranch_execnz .LBB297_70
	s_branch .LBB297_71
.LBB297_307:
	s_mov_b64 s[6:7], -1
	s_mov_b64 s[2:3], 0
	s_mov_b64 s[4:5], s[58:59]
                                        ; implicit-def: $vgpr1
	s_branch .LBB297_312
.LBB297_308:
	s_mov_b64 s[8:9], -1
	s_mov_b64 s[6:7], 0
	s_mov_b64 s[2:3], s[56:57]
	s_branch .LBB297_322
.LBB297_309:
	s_andn2_saveexec_b64 s[10:11], s[10:11]
	s_cbranch_execz .LBB297_82
.LBB297_310:
	s_mov_b32 s14, 0x42800000
	v_add_f32_e64 v4, |v3|, s14
	v_and_b32_e32 v4, 0xff, v4
	v_cmp_ne_u32_e32 vcc, 0, v4
	s_andn2_b64 s[8:9], s[8:9], exec
	s_and_b64 s[14:15], vcc, exec
	s_or_b64 s[8:9], s[8:9], s[14:15]
	s_or_b64 exec, exec, s[10:11]
	v_mov_b32_e32 v5, 0
	s_and_saveexec_b64 s[10:11], s[8:9]
	s_cbranch_execnz .LBB297_83
	s_branch .LBB297_84
.LBB297_311:
	s_mov_b64 s[4:5], -1
                                        ; implicit-def: $vgpr1
	s_mov_b64 s[2:3], 0
.LBB297_312:
	s_and_b64 vcc, exec, s[6:7]
	s_cbranch_vccz .LBB297_428
; %bb.313:
	s_cmp_eq_u32 s8, 44
	s_cbranch_scc0 .LBB297_427
; %bb.314:
	global_load_ubyte v1, v[2:3], off
	s_mov_b64 s[2:3], -1
	s_mov_b64 s[4:5], 0
	s_waitcnt vmcnt(0)
	v_lshlrev_b32_e32 v4, 23, v1
	v_cvt_i32_f32_e32 v4, v4
	v_cmp_ne_u32_e32 vcc, 0, v1
	s_nop 1
	v_cndmask_b32_e32 v1, 0, v4, vcc
	s_branch .LBB297_428
.LBB297_315:
	s_mov_b64 s[8:9], -1
	s_mov_b64 s[6:7], 0
	s_mov_b64 s[2:3], s[56:57]
.LBB297_316:
	s_and_b64 vcc, exec, s[8:9]
	s_cbranch_vccz .LBB297_321
; %bb.317:
	s_cmp_eq_u32 s13, 44
	s_mov_b64 s[2:3], -1
	s_cbranch_scc0 .LBB297_321
; %bb.318:
	v_cvt_f32_i32_e32 v3, v2
	s_movk_i32 s2, 0xff
	v_mov_b32_e32 v5, 0xff
	v_bfe_u32 v4, v3, 23, 8
	v_cmp_ne_u32_e32 vcc, s2, v4
	s_and_saveexec_b64 s[6:7], vcc
; %bb.319:
	s_mov_b32 s2, 0x3fffff
	v_lshrrev_b32_e32 v5, 23, v3
	v_and_b32_e32 v6, 0x400000, v3
	v_and_or_b32 v3, v3, s2, v4
	v_cmp_ne_u32_e32 vcc, 0, v6
	v_cmp_ne_u32_e64 s[2:3], 0, v3
	s_and_b64 s[2:3], vcc, s[2:3]
	s_nop 0
	v_cndmask_b32_e64 v3, 0, 1, s[2:3]
	v_add_u32_e32 v5, v5, v3
; %bb.320:
	s_or_b64 exec, exec, s[6:7]
	s_mov_b64 s[6:7], -1
	s_mov_b64 s[2:3], 0
	global_store_byte v[0:1], v5, off
.LBB297_321:
	s_mov_b64 s[8:9], 0
.LBB297_322:
	s_and_b64 vcc, exec, s[8:9]
	s_cbranch_vccz .LBB297_325
; %bb.323:
	s_cmp_eq_u32 s13, 29
	s_mov_b64 s[2:3], -1
	s_cbranch_scc0 .LBB297_325
; %bb.324:
	v_ashrrev_i32_e32 v3, 31, v2
	global_store_dwordx2 v[0:1], v[2:3], off
	s_mov_b64 s[6:7], -1
	s_mov_b64 s[2:3], 0
.LBB297_325:
	s_mov_b64 s[8:9], 0
.LBB297_326:
	s_and_b64 vcc, exec, s[8:9]
	s_cbranch_vccz .LBB297_342
; %bb.327:
	s_cmp_lt_i32 s13, 27
	s_mov_b64 s[6:7], -1
	s_cbranch_scc1 .LBB297_333
; %bb.328:
	s_cmp_gt_i32 s13, 27
	s_cbranch_scc0 .LBB297_330
; %bb.329:
	s_mov_b64 s[6:7], 0
	global_store_dword v[0:1], v2, off
.LBB297_330:
	s_andn2_b64 vcc, exec, s[6:7]
	s_cbranch_vccnz .LBB297_332
; %bb.331:
	global_store_short v[0:1], v2, off
.LBB297_332:
	s_mov_b64 s[6:7], 0
.LBB297_333:
	s_andn2_b64 vcc, exec, s[6:7]
	s_cbranch_vccnz .LBB297_341
; %bb.334:
	v_cvt_f32_i32_e32 v3, v2
	s_mov_b32 s6, 0x43800000
	v_mov_b32_e32 v5, 0x80
	v_and_b32_e32 v4, 0x7fffffff, v3
	v_cmp_gt_u32_e32 vcc, s6, v4
	s_and_saveexec_b64 s[6:7], vcc
	s_cbranch_execz .LBB297_340
; %bb.335:
	s_mov_b32 s8, 0x3bffffff
	v_cmp_lt_u32_e32 vcc, s8, v4
	s_mov_b64 s[8:9], 0
                                        ; implicit-def: $vgpr4
	s_and_saveexec_b64 s[10:11], vcc
	s_xor_b64 s[10:11], exec, s[10:11]
	s_cbranch_execz .LBB297_565
; %bb.336:
	v_bfe_u32 v4, v3, 20, 1
	s_mov_b32 s14, 0x487ffff
	v_add3_u32 v4, v3, v4, s14
	s_mov_b64 s[8:9], exec
	v_lshrrev_b32_e32 v4, 20, v4
	s_andn2_saveexec_b64 s[10:11], s[10:11]
	s_cbranch_execnz .LBB297_566
.LBB297_337:
	s_or_b64 exec, exec, s[10:11]
	v_mov_b32_e32 v5, 0
	s_and_saveexec_b64 s[10:11], s[8:9]
.LBB297_338:
	v_lshrrev_b32_e32 v3, 24, v3
	s_movk_i32 s8, 0x80
	v_and_or_b32 v5, v3, s8, v4
.LBB297_339:
	s_or_b64 exec, exec, s[10:11]
.LBB297_340:
	s_or_b64 exec, exec, s[6:7]
	global_store_byte v[0:1], v5, off
.LBB297_341:
	s_mov_b64 s[6:7], -1
.LBB297_342:
	s_mov_b64 s[8:9], 0
.LBB297_343:
	s_and_b64 vcc, exec, s[8:9]
	s_cbranch_vccz .LBB297_384
; %bb.344:
	s_cmp_gt_i32 s13, 22
	s_mov_b64 s[8:9], -1
	s_cbranch_scc0 .LBB297_376
; %bb.345:
	s_cmp_lt_i32 s13, 24
	s_mov_b64 s[6:7], -1
	s_cbranch_scc1 .LBB297_365
; %bb.346:
	s_cmp_gt_i32 s13, 24
	s_cbranch_scc0 .LBB297_354
; %bb.347:
	v_cvt_f32_i32_e32 v3, v2
	s_mov_b32 s6, 0x47800000
	v_mov_b32_e32 v5, 0x80
	v_and_b32_e32 v4, 0x7fffffff, v3
	v_cmp_gt_u32_e32 vcc, s6, v4
	s_and_saveexec_b64 s[6:7], vcc
	s_cbranch_execz .LBB297_353
; %bb.348:
	s_mov_b32 s8, 0x37ffffff
	v_cmp_lt_u32_e32 vcc, s8, v4
	s_mov_b64 s[8:9], 0
                                        ; implicit-def: $vgpr4
	s_and_saveexec_b64 s[10:11], vcc
	s_xor_b64 s[10:11], exec, s[10:11]
	s_cbranch_execz .LBB297_568
; %bb.349:
	v_bfe_u32 v4, v3, 21, 1
	s_mov_b32 s14, 0x88fffff
	v_add3_u32 v4, v3, v4, s14
	s_mov_b64 s[8:9], exec
	v_lshrrev_b32_e32 v4, 21, v4
	s_andn2_saveexec_b64 s[10:11], s[10:11]
	s_cbranch_execnz .LBB297_569
.LBB297_350:
	s_or_b64 exec, exec, s[10:11]
	v_mov_b32_e32 v5, 0
	s_and_saveexec_b64 s[10:11], s[8:9]
.LBB297_351:
	v_lshrrev_b32_e32 v3, 24, v3
	s_movk_i32 s8, 0x80
	v_and_or_b32 v5, v3, s8, v4
.LBB297_352:
	s_or_b64 exec, exec, s[10:11]
.LBB297_353:
	s_or_b64 exec, exec, s[6:7]
	s_mov_b64 s[6:7], 0
	global_store_byte v[0:1], v5, off
.LBB297_354:
	s_and_b64 vcc, exec, s[6:7]
	s_cbranch_vccz .LBB297_364
; %bb.355:
	v_cvt_f32_i32_e32 v3, v2
	s_mov_b32 s6, 0x43f00000
                                        ; implicit-def: $vgpr4
	v_and_b32_e32 v5, 0x7fffffff, v3
	v_cmp_gt_u32_e32 vcc, s6, v5
	s_and_saveexec_b64 s[6:7], vcc
	s_xor_b64 s[6:7], exec, s[6:7]
	s_cbranch_execz .LBB297_361
; %bb.356:
	s_mov_b32 s8, 0x3c7fffff
	v_cmp_lt_u32_e32 vcc, s8, v5
                                        ; implicit-def: $vgpr4
	s_and_saveexec_b64 s[8:9], vcc
	s_xor_b64 s[8:9], exec, s[8:9]
; %bb.357:
	v_bfe_u32 v4, v3, 20, 1
	s_mov_b32 s10, 0x407ffff
	v_add3_u32 v4, v3, v4, s10
	v_lshrrev_b32_e32 v5, 20, v4
	v_and_b32_e32 v4, 0xff00000, v4
	s_mov_b32 s10, 0x7f00000
	v_mov_b32_e32 v6, 0x7e
	v_cmp_ne_u32_e32 vcc, s10, v4
	s_nop 1
	v_cndmask_b32_e32 v4, v6, v5, vcc
; %bb.358:
	s_andn2_saveexec_b64 s[8:9], s[8:9]
; %bb.359:
	s_mov_b32 s10, 0x46800000
	v_add_f32_e64 v4, |v3|, s10
; %bb.360:
	s_or_b64 exec, exec, s[8:9]
                                        ; implicit-def: $vgpr5
.LBB297_361:
	s_andn2_saveexec_b64 s[6:7], s[6:7]
; %bb.362:
	s_mov_b32 s8, 0x7f800000
	v_mov_b32_e32 v4, 0x7e
	v_mov_b32_e32 v6, 0x7f
	v_cmp_lt_u32_e32 vcc, s8, v5
	s_nop 1
	v_cndmask_b32_e32 v4, v4, v6, vcc
; %bb.363:
	s_or_b64 exec, exec, s[6:7]
	v_lshrrev_b32_e32 v3, 24, v3
	s_movk_i32 s6, 0x80
	v_and_or_b32 v3, v3, s6, v4
	global_store_byte v[0:1], v3, off
.LBB297_364:
	s_mov_b64 s[6:7], 0
.LBB297_365:
	s_andn2_b64 vcc, exec, s[6:7]
	s_cbranch_vccnz .LBB297_375
; %bb.366:
	v_cvt_f32_i32_e32 v3, v2
	s_mov_b32 s6, 0x47800000
                                        ; implicit-def: $vgpr4
	v_and_b32_e32 v5, 0x7fffffff, v3
	v_cmp_gt_u32_e32 vcc, s6, v5
	s_and_saveexec_b64 s[6:7], vcc
	s_xor_b64 s[6:7], exec, s[6:7]
	s_cbranch_execz .LBB297_372
; %bb.367:
	s_mov_b32 s8, 0x387fffff
	v_cmp_lt_u32_e32 vcc, s8, v5
                                        ; implicit-def: $vgpr4
	s_and_saveexec_b64 s[8:9], vcc
	s_xor_b64 s[8:9], exec, s[8:9]
; %bb.368:
	v_bfe_u32 v4, v3, 21, 1
	s_mov_b32 s10, 0x80fffff
	v_add3_u32 v4, v3, v4, s10
	v_lshrrev_b32_e32 v4, 21, v4
; %bb.369:
	s_andn2_saveexec_b64 s[8:9], s[8:9]
; %bb.370:
	s_mov_b32 s10, 0x43000000
	v_add_f32_e64 v4, |v3|, s10
; %bb.371:
	s_or_b64 exec, exec, s[8:9]
                                        ; implicit-def: $vgpr5
.LBB297_372:
	s_andn2_saveexec_b64 s[6:7], s[6:7]
; %bb.373:
	s_mov_b32 s8, 0x7f800000
	v_mov_b32_e32 v4, 0x7c
	v_mov_b32_e32 v6, 0x7f
	v_cmp_lt_u32_e32 vcc, s8, v5
	s_nop 1
	v_cndmask_b32_e32 v4, v4, v6, vcc
; %bb.374:
	s_or_b64 exec, exec, s[6:7]
	v_lshrrev_b32_e32 v3, 24, v3
	s_movk_i32 s6, 0x80
	v_and_or_b32 v3, v3, s6, v4
	global_store_byte v[0:1], v3, off
.LBB297_375:
	s_mov_b64 s[8:9], 0
	s_mov_b64 s[6:7], -1
.LBB297_376:
	s_andn2_b64 vcc, exec, s[8:9]
	s_cbranch_vccnz .LBB297_384
; %bb.377:
	s_cmp_gt_i32 s13, 14
	s_mov_b64 s[8:9], -1
	s_cbranch_scc0 .LBB297_381
; %bb.378:
	s_cmp_eq_u32 s13, 15
	s_mov_b64 s[2:3], -1
	s_cbranch_scc0 .LBB297_380
; %bb.379:
	v_cvt_f32_i32_e32 v3, v2
	s_movk_i32 s2, 0x7fff
	s_mov_b64 s[6:7], -1
	v_bfe_u32 v4, v3, 16, 1
	v_add3_u32 v3, v3, v4, s2
	global_store_short_d16_hi v[0:1], v3, off
	s_mov_b64 s[2:3], 0
.LBB297_380:
	s_mov_b64 s[8:9], 0
.LBB297_381:
	s_and_b64 vcc, exec, s[8:9]
	s_cbranch_vccz .LBB297_384
; %bb.382:
	s_cmp_eq_u32 s13, 11
	s_mov_b64 s[2:3], -1
	s_cbranch_scc0 .LBB297_384
; %bb.383:
	v_cmp_ne_u32_e32 vcc, 0, v2
	s_mov_b64 s[6:7], -1
	s_mov_b64 s[2:3], 0
	v_cndmask_b32_e64 v3, 0, 1, vcc
	global_store_byte v[0:1], v3, off
.LBB297_384:
	s_mov_b64 s[8:9], 0
.LBB297_385:
	s_and_b64 vcc, exec, s[8:9]
	s_cbranch_vccz .LBB297_424
; %bb.386:
	s_and_b32 s8, 0xffff, s12
	s_cmp_lt_i32 s8, 5
	s_mov_b64 s[6:7], -1
	s_cbranch_scc1 .LBB297_407
; %bb.387:
	s_cmp_lt_i32 s8, 8
	s_cbranch_scc1 .LBB297_397
; %bb.388:
	s_cmp_lt_i32 s8, 9
	s_cbranch_scc1 .LBB297_394
; %bb.389:
	s_cmp_gt_i32 s8, 9
	s_cbranch_scc0 .LBB297_391
; %bb.390:
	v_mov_b32_e32 v6, 0
	v_cvt_f64_i32_e32 v[4:5], v2
	v_mov_b32_e32 v7, v6
	s_mov_b64 s[6:7], 0
	global_store_dwordx4 v[0:1], v[4:7], off
.LBB297_391:
	s_andn2_b64 vcc, exec, s[6:7]
	s_cbranch_vccnz .LBB297_393
; %bb.392:
	v_cvt_f32_i32_e32 v4, v2
	v_mov_b32_e32 v5, 0
	global_store_dwordx2 v[0:1], v[4:5], off
.LBB297_393:
	s_mov_b64 s[6:7], 0
.LBB297_394:
	s_andn2_b64 vcc, exec, s[6:7]
	s_cbranch_vccnz .LBB297_396
; %bb.395:
	v_cvt_f32_i32_e32 v3, v2
	v_cvt_f16_f32_e32 v3, v3
	global_store_dword v[0:1], v3, off
.LBB297_396:
	s_mov_b64 s[6:7], 0
.LBB297_397:
	s_andn2_b64 vcc, exec, s[6:7]
	s_cbranch_vccnz .LBB297_406
; %bb.398:
	s_cmp_lt_i32 s8, 6
	s_mov_b64 s[6:7], -1
	s_cbranch_scc1 .LBB297_404
; %bb.399:
	s_cmp_gt_i32 s8, 6
	s_cbranch_scc0 .LBB297_401
; %bb.400:
	v_cvt_f64_i32_e32 v[4:5], v2
	s_mov_b64 s[6:7], 0
	global_store_dwordx2 v[0:1], v[4:5], off
.LBB297_401:
	s_andn2_b64 vcc, exec, s[6:7]
	s_cbranch_vccnz .LBB297_403
; %bb.402:
	v_cvt_f32_i32_e32 v3, v2
	global_store_dword v[0:1], v3, off
.LBB297_403:
	s_mov_b64 s[6:7], 0
.LBB297_404:
	s_andn2_b64 vcc, exec, s[6:7]
	s_cbranch_vccnz .LBB297_406
; %bb.405:
	v_cvt_f32_i32_e32 v3, v2
	v_cvt_f16_f32_e32 v3, v3
	global_store_short v[0:1], v3, off
.LBB297_406:
	s_mov_b64 s[6:7], 0
.LBB297_407:
	s_andn2_b64 vcc, exec, s[6:7]
	s_cbranch_vccnz .LBB297_423
; %bb.408:
	s_cmp_lt_i32 s8, 2
	s_mov_b64 s[6:7], -1
	s_cbranch_scc1 .LBB297_418
; %bb.409:
	s_cmp_lt_i32 s8, 3
	s_cbranch_scc1 .LBB297_415
; %bb.410:
	s_cmp_gt_i32 s8, 3
	s_cbranch_scc0 .LBB297_412
; %bb.411:
	v_ashrrev_i32_e32 v3, 31, v2
	s_mov_b64 s[6:7], 0
	global_store_dwordx2 v[0:1], v[2:3], off
.LBB297_412:
	s_andn2_b64 vcc, exec, s[6:7]
	s_cbranch_vccnz .LBB297_414
; %bb.413:
	global_store_dword v[0:1], v2, off
.LBB297_414:
	s_mov_b64 s[6:7], 0
.LBB297_415:
	s_andn2_b64 vcc, exec, s[6:7]
	s_cbranch_vccnz .LBB297_417
; %bb.416:
	global_store_short v[0:1], v2, off
.LBB297_417:
	s_mov_b64 s[6:7], 0
.LBB297_418:
	s_andn2_b64 vcc, exec, s[6:7]
	s_cbranch_vccnz .LBB297_423
; %bb.419:
	s_cmp_gt_i32 s8, 0
	s_mov_b64 s[6:7], -1
	s_cbranch_scc0 .LBB297_421
; %bb.420:
	s_mov_b64 s[6:7], 0
	global_store_byte v[0:1], v2, off
.LBB297_421:
	s_andn2_b64 vcc, exec, s[6:7]
	s_cbranch_vccnz .LBB297_423
; %bb.422:
	global_store_byte v[0:1], v2, off
.LBB297_423:
	s_mov_b64 s[6:7], -1
.LBB297_424:
	s_andn2_b64 vcc, exec, s[6:7]
	s_cbranch_vccnz .LBB297_426
; %bb.425:
	v_add_u32_e32 v8, 0x80, v8
	s_mov_b64 s[6:7], -1
	s_branch .LBB297_535
.LBB297_426:
	s_mov_b64 s[6:7], 0
	s_branch .LBB297_534
.LBB297_427:
	s_mov_b64 s[4:5], -1
                                        ; implicit-def: $vgpr1
.LBB297_428:
	s_mov_b64 s[6:7], 0
.LBB297_429:
	s_and_b64 vcc, exec, s[6:7]
	s_cbranch_vccz .LBB297_433
; %bb.430:
	s_cmp_eq_u32 s8, 29
	s_cbranch_scc0 .LBB297_432
; %bb.431:
	global_load_dword v1, v[2:3], off
	s_mov_b64 s[2:3], -1
	s_mov_b64 s[4:5], 0
	s_branch .LBB297_433
.LBB297_432:
	s_mov_b64 s[4:5], -1
                                        ; implicit-def: $vgpr1
.LBB297_433:
	s_mov_b64 s[6:7], 0
.LBB297_434:
	s_and_b64 vcc, exec, s[6:7]
	s_cbranch_vccz .LBB297_450
; %bb.435:
	s_cmp_lt_i32 s8, 27
	s_cbranch_scc1 .LBB297_438
; %bb.436:
	s_cmp_gt_i32 s8, 27
	s_cbranch_scc0 .LBB297_439
; %bb.437:
	global_load_dword v1, v[2:3], off
	s_mov_b64 s[2:3], 0
	s_branch .LBB297_440
.LBB297_438:
	s_mov_b64 s[2:3], -1
                                        ; implicit-def: $vgpr1
	s_branch .LBB297_443
.LBB297_439:
	s_mov_b64 s[2:3], -1
                                        ; implicit-def: $vgpr1
.LBB297_440:
	s_andn2_b64 vcc, exec, s[2:3]
	s_cbranch_vccnz .LBB297_442
; %bb.441:
	global_load_ushort v1, v[2:3], off
.LBB297_442:
	s_mov_b64 s[2:3], 0
.LBB297_443:
	s_andn2_b64 vcc, exec, s[2:3]
	s_cbranch_vccnz .LBB297_449
; %bb.444:
	global_load_ubyte v4, v[2:3], off
	s_movk_i32 s2, 0x7f
	s_mov_b64 s[6:7], 0
	s_waitcnt vmcnt(0)
	v_cmp_lt_i16_e32 vcc, s2, v4
	s_and_saveexec_b64 s[2:3], vcc
	s_xor_b64 s[2:3], exec, s[2:3]
	s_cbranch_execz .LBB297_461
; %bb.445:
	s_movk_i32 s6, 0x80
	v_cmp_ne_u16_e32 vcc, s6, v4
	s_and_b64 s[6:7], vcc, exec
	s_andn2_saveexec_b64 s[2:3], s[2:3]
	s_cbranch_execnz .LBB297_462
.LBB297_446:
	s_or_b64 exec, exec, s[2:3]
	v_mov_b32_e32 v1, 0
	s_and_saveexec_b64 s[2:3], s[6:7]
	s_cbranch_execz .LBB297_448
.LBB297_447:
	v_lshlrev_b32_e32 v1, 24, v4
	v_and_b32_e32 v4, 0xffff, v4
	v_and_b32_e32 v5, 7, v4
	v_ffbh_u32_e32 v7, v5
	v_min_u32_e32 v7, 32, v7
	v_subrev_u32_e32 v9, 28, v7
	v_bfe_u32 v6, v4, 3, 4
	v_lshlrev_b32_e32 v4, v9, v4
	v_sub_u32_e32 v7, 29, v7
	v_and_b32_e32 v4, 7, v4
	v_cmp_eq_u32_e32 vcc, 0, v6
	v_and_b32_e32 v1, 0x80000000, v1
	s_nop 0
	v_cndmask_b32_e32 v6, v6, v7, vcc
	v_cndmask_b32_e32 v4, v5, v4, vcc
	v_mov_b32_e32 v5, 0x3b800000
	v_lshlrev_b32_e32 v4, 20, v4
	v_lshl_add_u32 v5, v6, 23, v5
	v_or3_b32 v1, v1, v5, v4
	v_cvt_i32_f32_e32 v1, v1
.LBB297_448:
	s_or_b64 exec, exec, s[2:3]
.LBB297_449:
	s_mov_b64 s[2:3], -1
.LBB297_450:
	s_mov_b64 s[6:7], 0
.LBB297_451:
	s_and_b64 vcc, exec, s[6:7]
	s_cbranch_vccz .LBB297_484
; %bb.452:
	s_cmp_gt_i32 s8, 22
	s_cbranch_scc0 .LBB297_460
; %bb.453:
	s_cmp_lt_i32 s8, 24
	s_cbranch_scc1 .LBB297_463
; %bb.454:
	s_cmp_gt_i32 s8, 24
	s_cbranch_scc0 .LBB297_464
; %bb.455:
	global_load_ubyte v4, v[2:3], off
	s_movk_i32 s2, 0x7f
	s_mov_b64 s[6:7], 0
	s_waitcnt vmcnt(0)
	v_cmp_lt_i16_e32 vcc, s2, v4
	s_and_saveexec_b64 s[2:3], vcc
	s_xor_b64 s[2:3], exec, s[2:3]
	s_cbranch_execz .LBB297_476
; %bb.456:
	s_movk_i32 s6, 0x80
	v_cmp_ne_u16_e32 vcc, s6, v4
	s_and_b64 s[6:7], vcc, exec
	s_andn2_saveexec_b64 s[2:3], s[2:3]
	s_cbranch_execnz .LBB297_477
.LBB297_457:
	s_or_b64 exec, exec, s[2:3]
	v_mov_b32_e32 v1, 0
	s_and_saveexec_b64 s[2:3], s[6:7]
	s_cbranch_execz .LBB297_459
.LBB297_458:
	v_lshlrev_b32_e32 v1, 24, v4
	v_and_b32_e32 v4, 0xffff, v4
	v_and_b32_e32 v5, 3, v4
	v_ffbh_u32_e32 v7, v5
	v_min_u32_e32 v7, 32, v7
	v_subrev_u32_e32 v9, 29, v7
	v_bfe_u32 v6, v4, 2, 5
	v_lshlrev_b32_e32 v4, v9, v4
	v_sub_u32_e32 v7, 30, v7
	v_and_b32_e32 v4, 3, v4
	v_cmp_eq_u32_e32 vcc, 0, v6
	v_and_b32_e32 v1, 0x80000000, v1
	s_nop 0
	v_cndmask_b32_e32 v6, v6, v7, vcc
	v_cndmask_b32_e32 v4, v5, v4, vcc
	v_mov_b32_e32 v5, 0x37800000
	v_lshlrev_b32_e32 v4, 21, v4
	v_lshl_add_u32 v5, v6, 23, v5
	v_or3_b32 v1, v1, v5, v4
	v_cvt_i32_f32_e32 v1, v1
.LBB297_459:
	s_or_b64 exec, exec, s[2:3]
	s_mov_b64 s[2:3], 0
	s_branch .LBB297_465
.LBB297_460:
	s_mov_b64 s[6:7], -1
                                        ; implicit-def: $vgpr1
	s_branch .LBB297_471
.LBB297_461:
	s_andn2_saveexec_b64 s[2:3], s[2:3]
	s_cbranch_execz .LBB297_446
.LBB297_462:
	v_cmp_ne_u16_e32 vcc, 0, v4
	s_andn2_b64 s[6:7], s[6:7], exec
	s_and_b64 s[10:11], vcc, exec
	s_or_b64 s[6:7], s[6:7], s[10:11]
	s_or_b64 exec, exec, s[2:3]
	v_mov_b32_e32 v1, 0
	s_and_saveexec_b64 s[2:3], s[6:7]
	s_cbranch_execnz .LBB297_447
	s_branch .LBB297_448
.LBB297_463:
	s_mov_b64 s[2:3], -1
                                        ; implicit-def: $vgpr1
	s_branch .LBB297_468
.LBB297_464:
	s_mov_b64 s[2:3], -1
                                        ; implicit-def: $vgpr1
.LBB297_465:
	s_and_b64 vcc, exec, s[2:3]
	s_cbranch_vccz .LBB297_467
; %bb.466:
	global_load_ubyte v1, v[2:3], off
	s_mov_b32 s2, 0x7f800000
	s_waitcnt vmcnt(0)
	v_lshlrev_b32_e32 v1, 24, v1
	v_and_b32_e32 v4, 0x7f000000, v1
	v_ffbh_u32_e32 v5, v4
	v_min_u32_e32 v5, 32, v5
	v_sub_u32_e64 v5, v5, 4 clamp
	v_lshlrev_b32_e32 v7, v5, v4
	v_lshlrev_b32_e32 v5, 23, v5
	v_lshrrev_b32_e32 v7, 4, v7
	v_add_u32_e32 v6, 0x1000000, v4
	v_sub_u32_e32 v5, v7, v5
	v_ashrrev_i32_e32 v6, 8, v6
	v_add_u32_e32 v5, 0x3c000000, v5
	v_and_or_b32 v5, v6, s2, v5
	v_cmp_ne_u32_e32 vcc, 0, v4
	s_brev_b32 s2, 1
	s_nop 0
	v_cndmask_b32_e32 v4, 0, v5, vcc
	v_and_or_b32 v1, v1, s2, v4
	v_cvt_i32_f32_e32 v1, v1
.LBB297_467:
	s_mov_b64 s[2:3], 0
.LBB297_468:
	s_andn2_b64 vcc, exec, s[2:3]
	s_cbranch_vccnz .LBB297_470
; %bb.469:
	global_load_ubyte v1, v[2:3], off
	s_movk_i32 s2, 0x7f00
	s_brev_b32 s3, 16
	s_waitcnt vmcnt(0)
	v_lshlrev_b16_e32 v4, 8, v1
	v_lshlrev_b32_e32 v1, 25, v1
	v_lshrrev_b32_e32 v5, 4, v1
	v_and_or_b32 v6, v4, s2, 0.5
	v_or_b32_e32 v5, 0x70000000, v5
	v_add_f32_e32 v6, -0.5, v6
	v_mul_f32_e32 v5, 0x7800000, v5
	v_cmp_gt_u32_e32 vcc, s3, v1
	v_bfe_i32 v4, v4, 0, 16
	s_brev_b32 s2, 1
	v_cndmask_b32_e32 v1, v5, v6, vcc
	v_and_or_b32 v1, v4, s2, v1
	v_cvt_i32_f32_e32 v1, v1
.LBB297_470:
	s_mov_b64 s[6:7], 0
	s_mov_b64 s[2:3], -1
.LBB297_471:
	s_andn2_b64 vcc, exec, s[6:7]
	s_cbranch_vccnz .LBB297_484
; %bb.472:
	s_cmp_gt_i32 s8, 14
	s_cbranch_scc0 .LBB297_475
; %bb.473:
	s_cmp_eq_u32 s8, 15
	s_cbranch_scc0 .LBB297_478
; %bb.474:
	global_load_ushort v1, v[2:3], off
	s_mov_b64 s[2:3], -1
	s_mov_b64 s[4:5], 0
	s_waitcnt vmcnt(0)
	v_lshlrev_b32_e32 v1, 16, v1
	v_cvt_i32_f32_e32 v1, v1
	s_branch .LBB297_479
.LBB297_475:
	s_mov_b64 s[6:7], -1
                                        ; implicit-def: $vgpr1
	s_branch .LBB297_480
.LBB297_476:
	s_andn2_saveexec_b64 s[2:3], s[2:3]
	s_cbranch_execz .LBB297_457
.LBB297_477:
	v_cmp_ne_u16_e32 vcc, 0, v4
	s_andn2_b64 s[6:7], s[6:7], exec
	s_and_b64 s[10:11], vcc, exec
	s_or_b64 s[6:7], s[6:7], s[10:11]
	s_or_b64 exec, exec, s[2:3]
	v_mov_b32_e32 v1, 0
	s_and_saveexec_b64 s[2:3], s[6:7]
	s_cbranch_execnz .LBB297_458
	s_branch .LBB297_459
.LBB297_478:
	s_mov_b64 s[4:5], -1
                                        ; implicit-def: $vgpr1
.LBB297_479:
	s_mov_b64 s[6:7], 0
.LBB297_480:
	s_and_b64 vcc, exec, s[6:7]
	s_cbranch_vccz .LBB297_484
; %bb.481:
	s_cmp_eq_u32 s8, 11
	s_cbranch_scc0 .LBB297_483
; %bb.482:
	global_load_ubyte v1, v[2:3], off
	s_mov_b64 s[2:3], -1
	s_mov_b64 s[4:5], 0
	s_waitcnt vmcnt(0)
	v_cmp_ne_u16_e32 vcc, 0, v1
	s_nop 1
	v_cndmask_b32_e64 v1, 0, 1, vcc
	s_branch .LBB297_484
.LBB297_483:
	s_mov_b64 s[4:5], -1
                                        ; implicit-def: $vgpr1
.LBB297_484:
	s_branch .LBB297_291
.LBB297_485:
	s_cmp_lt_i32 s8, 5
	s_cbranch_scc1 .LBB297_490
; %bb.486:
	s_cmp_lt_i32 s8, 8
	s_cbranch_scc1 .LBB297_491
; %bb.487:
	s_cmp_lt_i32 s8, 9
	s_cbranch_scc1 .LBB297_492
; %bb.488:
	s_cmp_gt_i32 s8, 9
	s_cbranch_scc0 .LBB297_493
; %bb.489:
	global_load_dwordx2 v[4:5], v[2:3], off
	s_mov_b64 s[2:3], 0
	s_waitcnt vmcnt(0)
	v_cvt_i32_f64_e32 v1, v[4:5]
	s_branch .LBB297_494
.LBB297_490:
	s_mov_b64 s[2:3], -1
                                        ; implicit-def: $vgpr1
	s_branch .LBB297_512
.LBB297_491:
	s_mov_b64 s[2:3], -1
                                        ; implicit-def: $vgpr1
	s_branch .LBB297_500
.LBB297_492:
	s_mov_b64 s[2:3], -1
                                        ; implicit-def: $vgpr1
	s_branch .LBB297_497
.LBB297_493:
	s_mov_b64 s[2:3], -1
                                        ; implicit-def: $vgpr1
.LBB297_494:
	s_andn2_b64 vcc, exec, s[2:3]
	s_cbranch_vccnz .LBB297_496
; %bb.495:
	global_load_dword v1, v[2:3], off
	s_waitcnt vmcnt(0)
	v_cvt_i32_f32_e32 v1, v1
.LBB297_496:
	s_mov_b64 s[2:3], 0
.LBB297_497:
	s_andn2_b64 vcc, exec, s[2:3]
	s_cbranch_vccnz .LBB297_499
; %bb.498:
	global_load_dword v1, v[2:3], off
	s_waitcnt vmcnt(0)
	v_cvt_f32_f16_e32 v1, v1
	v_cvt_i32_f32_e32 v1, v1
.LBB297_499:
	s_mov_b64 s[2:3], 0
.LBB297_500:
	s_andn2_b64 vcc, exec, s[2:3]
	s_cbranch_vccnz .LBB297_511
; %bb.501:
	s_cmp_lt_i32 s8, 6
	s_cbranch_scc1 .LBB297_504
; %bb.502:
	s_cmp_gt_i32 s8, 6
	s_cbranch_scc0 .LBB297_505
; %bb.503:
	global_load_dwordx2 v[4:5], v[2:3], off
	s_mov_b64 s[2:3], 0
	s_waitcnt vmcnt(0)
	v_cvt_i32_f64_e32 v1, v[4:5]
	s_branch .LBB297_506
.LBB297_504:
	s_mov_b64 s[2:3], -1
                                        ; implicit-def: $vgpr1
	s_branch .LBB297_509
.LBB297_505:
	s_mov_b64 s[2:3], -1
                                        ; implicit-def: $vgpr1
.LBB297_506:
	s_andn2_b64 vcc, exec, s[2:3]
	s_cbranch_vccnz .LBB297_508
; %bb.507:
	global_load_dword v1, v[2:3], off
	s_waitcnt vmcnt(0)
	v_cvt_i32_f32_e32 v1, v1
.LBB297_508:
	s_mov_b64 s[2:3], 0
.LBB297_509:
	s_andn2_b64 vcc, exec, s[2:3]
	s_cbranch_vccnz .LBB297_511
; %bb.510:
	global_load_ushort v1, v[2:3], off
	s_waitcnt vmcnt(0)
	v_cvt_f32_f16_e32 v1, v1
	v_cvt_i32_f32_e32 v1, v1
.LBB297_511:
	s_mov_b64 s[2:3], 0
.LBB297_512:
	s_andn2_b64 vcc, exec, s[2:3]
	s_cbranch_vccnz .LBB297_532
; %bb.513:
	s_cmp_lt_i32 s8, 2
	s_cbranch_scc1 .LBB297_517
; %bb.514:
	s_cmp_lt_i32 s8, 3
	s_cbranch_scc1 .LBB297_518
; %bb.515:
	s_cmp_gt_i32 s8, 3
	s_cbranch_scc0 .LBB297_519
; %bb.516:
	global_load_dword v1, v[2:3], off
	s_mov_b64 s[2:3], 0
	s_branch .LBB297_520
.LBB297_517:
	s_mov_b64 s[2:3], -1
                                        ; implicit-def: $vgpr1
	s_branch .LBB297_526
.LBB297_518:
	s_mov_b64 s[2:3], -1
                                        ; implicit-def: $vgpr1
	s_branch .LBB297_523
.LBB297_519:
	s_mov_b64 s[2:3], -1
                                        ; implicit-def: $vgpr1
.LBB297_520:
	s_andn2_b64 vcc, exec, s[2:3]
	s_cbranch_vccnz .LBB297_522
; %bb.521:
	global_load_dword v1, v[2:3], off
.LBB297_522:
	s_mov_b64 s[2:3], 0
.LBB297_523:
	s_andn2_b64 vcc, exec, s[2:3]
	s_cbranch_vccnz .LBB297_525
; %bb.524:
	global_load_sshort v1, v[2:3], off
.LBB297_525:
	s_mov_b64 s[2:3], 0
.LBB297_526:
	s_andn2_b64 vcc, exec, s[2:3]
	s_cbranch_vccnz .LBB297_532
; %bb.527:
	s_cmp_gt_i32 s8, 0
	s_cbranch_scc0 .LBB297_529
; %bb.528:
	global_load_sbyte v1, v[2:3], off
	s_mov_b64 s[2:3], 0
	s_branch .LBB297_530
.LBB297_529:
	s_mov_b64 s[2:3], -1
                                        ; implicit-def: $vgpr1
.LBB297_530:
	s_andn2_b64 vcc, exec, s[2:3]
	s_cbranch_vccnz .LBB297_532
; %bb.531:
	global_load_ubyte v1, v[2:3], off
.LBB297_532:
	s_branch .LBB297_292
.LBB297_533:
	s_mov_b64 s[6:7], 0
	s_mov_b64 s[2:3], s[56:57]
.LBB297_534:
                                        ; implicit-def: $vgpr8
.LBB297_535:
	s_andn2_b64 s[8:9], s[56:57], exec
	s_and_b64 s[2:3], s[2:3], exec
	s_or_b64 s[64:65], s[8:9], s[2:3]
	s_andn2_b64 s[2:3], s[58:59], exec
	s_and_b64 s[4:5], s[4:5], exec
	s_or_b64 s[62:63], s[2:3], s[4:5]
	s_orn2_b64 s[2:3], s[6:7], exec
.LBB297_536:
	s_or_b64 exec, exec, s[66:67]
	s_mov_b64 s[4:5], 0
	s_mov_b64 s[6:7], 0
	s_mov_b64 s[8:9], 0
                                        ; implicit-def: $vgpr2_vgpr3
                                        ; implicit-def: $vgpr0
                                        ; implicit-def: $vgpr1
	s_and_saveexec_b64 s[66:67], s[2:3]
	s_cbranch_execz .LBB297_905
; %bb.537:
	v_cmp_gt_i32_e32 vcc, s72, v8
	s_mov_b64 s[6:7], -1
	s_mov_b64 s[2:3], s[62:63]
	s_mov_b64 s[70:71], s[64:65]
	s_and_saveexec_b64 s[68:69], vcc
	s_cbranch_execz .LBB297_808
; %bb.538:
	s_andn2_b64 vcc, exec, s[42:43]
	s_cbranch_vccnz .LBB297_544
; %bb.539:
	s_andn2_b64 vcc, exec, s[54:55]
	s_cbranch_vccnz .LBB297_545
; %bb.540:
	s_add_i32 s78, s77, 1
	s_cmp_eq_u32 s74, 2
	s_cbranch_scc1 .LBB297_546
; %bb.541:
	s_and_b32 s73, s78, 28
	s_mov_b32 s79, 0
	v_mov_b32_e32 v0, 0
	v_mov_b32_e32 v2, 0
	s_mov_b64 s[2:3], s[34:35]
	s_mov_b64 s[70:71], s[52:53]
	v_mov_b32_e32 v4, v8
.LBB297_542:                            ; =>This Inner Loop Header: Depth=1
	s_load_dwordx8 s[12:19], s[2:3], 0x4
	s_load_dwordx4 s[36:39], s[2:3], 0x24
	s_load_dwordx8 s[4:11], s[70:71], 0x0
	s_add_u32 s2, s2, 48
	s_addc_u32 s3, s3, 0
	s_waitcnt vmcnt(0) lgkmcnt(0)
	v_mul_hi_u32 v1, s13, v4
	v_add_u32_e32 v1, v4, v1
	v_lshrrev_b32_e32 v1, s14, v1
	v_mul_lo_u32 v3, v1, s12
	v_mul_hi_u32 v5, s16, v1
	v_sub_u32_e32 v3, v4, v3
	v_add_u32_e32 v4, v1, v5
	v_lshrrev_b32_e32 v4, s17, v4
	v_mul_lo_u32 v6, v4, s15
	v_mul_hi_u32 v7, s19, v4
	v_sub_u32_e32 v1, v1, v6
	v_add_u32_e32 v6, v4, v7
	v_mul_lo_u32 v5, v3, s5
	v_mul_lo_u32 v3, v3, s4
	;; [unrolled: 1-line block ×4, first 2 shown]
	v_lshrrev_b32_e32 v6, s36, v6
	v_add3_u32 v0, v3, v0, v1
	v_mul_hi_u32 v3, s38, v6
	v_add3_u32 v1, v5, v2, v7
	v_mul_lo_u32 v2, v6, s18
	v_add_u32_e32 v3, v6, v3
	v_sub_u32_e32 v2, v4, v2
	v_lshrrev_b32_e32 v4, s39, v3
	s_add_i32 s79, s79, 4
	v_mul_lo_u32 v3, v4, s37
	s_add_u32 s70, s70, 32
	v_sub_u32_e32 v3, v6, v3
	s_addc_u32 s71, s71, 0
	v_mul_lo_u32 v5, v2, s8
	v_mul_lo_u32 v2, v2, s9
	;; [unrolled: 1-line block ×4, first 2 shown]
	s_cmp_eq_u32 s73, s79
	v_add3_u32 v2, v2, v1, v3
	v_add3_u32 v0, v5, v0, v6
	s_cbranch_scc0 .LBB297_542
; %bb.543:
	v_mov_b32_e32 v1, v2
	s_branch .LBB297_547
.LBB297_544:
	s_mov_b64 s[2:3], -1
                                        ; implicit-def: $vgpr2
                                        ; implicit-def: $vgpr0
	s_branch .LBB297_551
.LBB297_545:
	v_mov_b32_e32 v2, 0
	v_mov_b32_e32 v0, 0
	s_branch .LBB297_550
.LBB297_546:
	v_mov_b32_e32 v0, 0
	s_mov_b32 s73, 0
	s_waitcnt vmcnt(0)
	v_mov_b32_e32 v1, v0
                                        ; implicit-def: $vgpr2
	v_mov_b32_e32 v4, v8
.LBB297_547:
	s_and_b32 s6, s78, 3
	s_cmp_eq_u32 s6, 0
	s_cbranch_scc1 .LBB297_550
; %bb.548:
	s_lshl_b32 s2, s73, 3
	s_add_u32 s2, s34, s2
	s_addc_u32 s3, s35, 0
	s_add_u32 s2, s2, 0xc4
	s_addc_u32 s3, s3, 0
	s_mul_i32 s4, s73, 12
	s_add_u32 s4, s34, s4
	s_addc_u32 s5, s35, 0
.LBB297_549:                            ; =>This Inner Loop Header: Depth=1
	s_load_dwordx2 s[8:9], s[4:5], 0x4
	s_load_dword s7, s[4:5], 0xc
	s_load_dwordx2 s[10:11], s[2:3], 0x0
	v_mov_b32_e32 v2, v1
	s_add_u32 s4, s4, 12
	s_waitcnt lgkmcnt(0)
	v_mul_hi_u32 v1, s9, v4
	v_add_u32_e32 v1, v4, v1
	v_lshrrev_b32_e32 v1, s7, v1
	s_addc_u32 s5, s5, 0
	v_mul_lo_u32 v3, v1, s8
	s_add_u32 s2, s2, 8
	v_sub_u32_e32 v5, v4, v3
	s_addc_u32 s3, s3, 0
	s_add_i32 s6, s6, -1
	v_mov_b32_e32 v4, v1
	v_mad_u64_u32 v[2:3], s[8:9], v5, s11, v[2:3]
	v_mad_u64_u32 v[0:1], s[8:9], v5, s10, v[0:1]
	s_cmp_lg_u32 s6, 0
	v_mov_b32_e32 v1, v2
	s_cbranch_scc1 .LBB297_549
.LBB297_550:
	s_mov_b64 s[2:3], 0
.LBB297_551:
	s_andn2_b64 vcc, exec, s[2:3]
	s_cbranch_vccnz .LBB297_554
; %bb.552:
	v_mul_hi_u32 v0, s25, v8
	v_add_u32_e32 v0, v8, v0
	s_waitcnt vmcnt(0)
	v_lshrrev_b32_e32 v1, s26, v0
	v_mul_lo_u32 v0, v1, s24
	v_sub_u32_e32 v0, v8, v0
	v_mul_lo_u32 v2, v0, s29
	s_andn2_b64 vcc, exec, s[50:51]
	v_mul_lo_u32 v0, v0, s28
	s_cbranch_vccnz .LBB297_554
; %bb.553:
	v_mul_hi_u32 v3, s48, v1
	v_add_u32_e32 v3, v1, v3
	v_lshrrev_b32_e32 v3, s49, v3
	v_mul_lo_u32 v3, v3, s27
	v_sub_u32_e32 v3, v1, v3
	v_mad_u64_u32 v[0:1], s[2:3], v3, s30, v[0:1]
	v_mad_u64_u32 v[2:3], s[2:3], v3, s31, v[2:3]
.LBB297_554:
	v_mov_b32_e32 v3, 0
	s_and_b32 s8, 0xffff, s76
	s_cmp_lt_i32 s8, 11
	v_lshl_add_u64 v[2:3], s[22:23], 0, v[2:3]
	s_cbranch_scc1 .LBB297_561
; %bb.555:
	s_cmp_gt_i32 s8, 25
	s_cbranch_scc0 .LBB297_562
; %bb.556:
	s_cmp_gt_i32 s8, 28
	s_cbranch_scc0 .LBB297_563
	;; [unrolled: 3-line block ×4, first 2 shown]
; %bb.559:
	s_cmp_eq_u32 s8, 46
	s_mov_b64 s[6:7], 0
	s_cbranch_scc0 .LBB297_570
; %bb.560:
	global_load_dword v1, v[2:3], off
	s_mov_b64 s[2:3], -1
	s_mov_b64 s[4:5], 0
	s_waitcnt vmcnt(0)
	v_lshlrev_b32_e32 v1, 16, v1
	v_cvt_i32_f32_e32 v1, v1
	s_branch .LBB297_571
.LBB297_561:
	s_mov_b64 s[6:7], -1
	s_mov_b64 s[2:3], 0
                                        ; implicit-def: $vgpr1
	s_mov_b64 s[4:5], s[62:63]
	s_branch .LBB297_632
.LBB297_562:
	s_mov_b64 s[6:7], -1
	s_mov_b64 s[2:3], 0
	s_mov_b64 s[4:5], s[62:63]
                                        ; implicit-def: $vgpr1
	s_branch .LBB297_598
.LBB297_563:
	s_mov_b64 s[6:7], -1
	s_mov_b64 s[2:3], 0
	s_mov_b64 s[4:5], s[62:63]
                                        ; implicit-def: $vgpr1
	s_branch .LBB297_581
.LBB297_564:
	s_mov_b64 s[6:7], -1
	s_mov_b64 s[2:3], 0
	s_mov_b64 s[4:5], s[62:63]
                                        ; implicit-def: $vgpr1
	s_branch .LBB297_576
.LBB297_565:
	s_andn2_saveexec_b64 s[10:11], s[10:11]
	s_cbranch_execz .LBB297_337
.LBB297_566:
	s_mov_b32 s14, 0x46000000
	v_add_f32_e64 v4, |v3|, s14
	v_and_b32_e32 v4, 0xff, v4
	v_cmp_ne_u32_e32 vcc, 0, v4
	s_andn2_b64 s[8:9], s[8:9], exec
	s_and_b64 s[14:15], vcc, exec
	s_or_b64 s[8:9], s[8:9], s[14:15]
	s_or_b64 exec, exec, s[10:11]
	v_mov_b32_e32 v5, 0
	s_and_saveexec_b64 s[10:11], s[8:9]
	s_cbranch_execnz .LBB297_338
	s_branch .LBB297_339
.LBB297_567:
	s_mov_b64 s[6:7], -1
	s_mov_b64 s[2:3], 0
	s_mov_b64 s[4:5], s[62:63]
                                        ; implicit-def: $vgpr1
	s_branch .LBB297_571
.LBB297_568:
	s_andn2_saveexec_b64 s[10:11], s[10:11]
	s_cbranch_execz .LBB297_350
.LBB297_569:
	s_mov_b32 s14, 0x42800000
	v_add_f32_e64 v4, |v3|, s14
	v_and_b32_e32 v4, 0xff, v4
	v_cmp_ne_u32_e32 vcc, 0, v4
	s_andn2_b64 s[8:9], s[8:9], exec
	s_and_b64 s[14:15], vcc, exec
	s_or_b64 s[8:9], s[8:9], s[14:15]
	s_or_b64 exec, exec, s[10:11]
	v_mov_b32_e32 v5, 0
	s_and_saveexec_b64 s[10:11], s[8:9]
	s_cbranch_execnz .LBB297_351
	s_branch .LBB297_352
.LBB297_570:
	s_mov_b64 s[4:5], -1
                                        ; implicit-def: $vgpr1
	s_mov_b64 s[2:3], 0
.LBB297_571:
	s_and_b64 vcc, exec, s[6:7]
	s_cbranch_vccz .LBB297_575
; %bb.572:
	s_cmp_eq_u32 s8, 44
	s_cbranch_scc0 .LBB297_574
; %bb.573:
	global_load_ubyte v1, v[2:3], off
	s_mov_b64 s[2:3], -1
	s_mov_b64 s[4:5], 0
	s_waitcnt vmcnt(0)
	v_lshlrev_b32_e32 v4, 23, v1
	v_cvt_i32_f32_e32 v4, v4
	v_cmp_ne_u32_e32 vcc, 0, v1
	s_nop 1
	v_cndmask_b32_e32 v1, 0, v4, vcc
	s_branch .LBB297_575
.LBB297_574:
	s_mov_b64 s[4:5], -1
                                        ; implicit-def: $vgpr1
.LBB297_575:
	s_mov_b64 s[6:7], 0
.LBB297_576:
	s_and_b64 vcc, exec, s[6:7]
	s_cbranch_vccz .LBB297_580
; %bb.577:
	s_cmp_eq_u32 s8, 29
	s_cbranch_scc0 .LBB297_579
; %bb.578:
	global_load_dword v1, v[2:3], off
	s_mov_b64 s[2:3], -1
	s_mov_b64 s[4:5], 0
	s_branch .LBB297_580
.LBB297_579:
	s_mov_b64 s[4:5], -1
                                        ; implicit-def: $vgpr1
.LBB297_580:
	s_mov_b64 s[6:7], 0
.LBB297_581:
	s_and_b64 vcc, exec, s[6:7]
	s_cbranch_vccz .LBB297_597
; %bb.582:
	s_cmp_lt_i32 s8, 27
	s_cbranch_scc1 .LBB297_585
; %bb.583:
	s_cmp_gt_i32 s8, 27
	s_cbranch_scc0 .LBB297_586
; %bb.584:
	global_load_dword v1, v[2:3], off
	s_mov_b64 s[2:3], 0
	s_branch .LBB297_587
.LBB297_585:
	s_mov_b64 s[2:3], -1
                                        ; implicit-def: $vgpr1
	s_branch .LBB297_590
.LBB297_586:
	s_mov_b64 s[2:3], -1
                                        ; implicit-def: $vgpr1
.LBB297_587:
	s_andn2_b64 vcc, exec, s[2:3]
	s_cbranch_vccnz .LBB297_589
; %bb.588:
	global_load_ushort v1, v[2:3], off
.LBB297_589:
	s_mov_b64 s[2:3], 0
.LBB297_590:
	s_andn2_b64 vcc, exec, s[2:3]
	s_cbranch_vccnz .LBB297_596
; %bb.591:
	global_load_ubyte v4, v[2:3], off
	s_movk_i32 s2, 0x7f
	s_mov_b64 s[6:7], 0
	s_waitcnt vmcnt(0)
	v_cmp_lt_i16_e32 vcc, s2, v4
	s_and_saveexec_b64 s[2:3], vcc
	s_xor_b64 s[2:3], exec, s[2:3]
	s_cbranch_execz .LBB297_608
; %bb.592:
	s_movk_i32 s6, 0x80
	v_cmp_ne_u16_e32 vcc, s6, v4
	s_and_b64 s[6:7], vcc, exec
	s_andn2_saveexec_b64 s[2:3], s[2:3]
	s_cbranch_execnz .LBB297_609
.LBB297_593:
	s_or_b64 exec, exec, s[2:3]
	v_mov_b32_e32 v1, 0
	s_and_saveexec_b64 s[2:3], s[6:7]
	s_cbranch_execz .LBB297_595
.LBB297_594:
	v_lshlrev_b32_e32 v1, 24, v4
	v_and_b32_e32 v4, 0xffff, v4
	v_and_b32_e32 v5, 7, v4
	v_ffbh_u32_e32 v7, v5
	v_min_u32_e32 v7, 32, v7
	v_subrev_u32_e32 v9, 28, v7
	v_bfe_u32 v6, v4, 3, 4
	v_lshlrev_b32_e32 v4, v9, v4
	v_sub_u32_e32 v7, 29, v7
	v_and_b32_e32 v4, 7, v4
	v_cmp_eq_u32_e32 vcc, 0, v6
	v_and_b32_e32 v1, 0x80000000, v1
	s_nop 0
	v_cndmask_b32_e32 v6, v6, v7, vcc
	v_cndmask_b32_e32 v4, v5, v4, vcc
	v_mov_b32_e32 v5, 0x3b800000
	v_lshlrev_b32_e32 v4, 20, v4
	v_lshl_add_u32 v5, v6, 23, v5
	v_or3_b32 v1, v1, v5, v4
	v_cvt_i32_f32_e32 v1, v1
.LBB297_595:
	s_or_b64 exec, exec, s[2:3]
.LBB297_596:
	s_mov_b64 s[2:3], -1
.LBB297_597:
	s_mov_b64 s[6:7], 0
.LBB297_598:
	s_and_b64 vcc, exec, s[6:7]
	s_cbranch_vccz .LBB297_631
; %bb.599:
	s_cmp_gt_i32 s8, 22
	s_cbranch_scc0 .LBB297_607
; %bb.600:
	s_cmp_lt_i32 s8, 24
	s_cbranch_scc1 .LBB297_610
; %bb.601:
	s_cmp_gt_i32 s8, 24
	s_cbranch_scc0 .LBB297_611
; %bb.602:
	global_load_ubyte v4, v[2:3], off
	s_movk_i32 s2, 0x7f
	s_mov_b64 s[6:7], 0
	s_waitcnt vmcnt(0)
	v_cmp_lt_i16_e32 vcc, s2, v4
	s_and_saveexec_b64 s[2:3], vcc
	s_xor_b64 s[2:3], exec, s[2:3]
	s_cbranch_execz .LBB297_623
; %bb.603:
	s_movk_i32 s6, 0x80
	v_cmp_ne_u16_e32 vcc, s6, v4
	s_and_b64 s[6:7], vcc, exec
	s_andn2_saveexec_b64 s[2:3], s[2:3]
	s_cbranch_execnz .LBB297_624
.LBB297_604:
	s_or_b64 exec, exec, s[2:3]
	v_mov_b32_e32 v1, 0
	s_and_saveexec_b64 s[2:3], s[6:7]
	s_cbranch_execz .LBB297_606
.LBB297_605:
	v_lshlrev_b32_e32 v1, 24, v4
	v_and_b32_e32 v4, 0xffff, v4
	v_and_b32_e32 v5, 3, v4
	v_ffbh_u32_e32 v7, v5
	v_min_u32_e32 v7, 32, v7
	v_subrev_u32_e32 v9, 29, v7
	v_bfe_u32 v6, v4, 2, 5
	v_lshlrev_b32_e32 v4, v9, v4
	v_sub_u32_e32 v7, 30, v7
	v_and_b32_e32 v4, 3, v4
	v_cmp_eq_u32_e32 vcc, 0, v6
	v_and_b32_e32 v1, 0x80000000, v1
	s_nop 0
	v_cndmask_b32_e32 v6, v6, v7, vcc
	v_cndmask_b32_e32 v4, v5, v4, vcc
	v_mov_b32_e32 v5, 0x37800000
	v_lshlrev_b32_e32 v4, 21, v4
	v_lshl_add_u32 v5, v6, 23, v5
	v_or3_b32 v1, v1, v5, v4
	v_cvt_i32_f32_e32 v1, v1
.LBB297_606:
	s_or_b64 exec, exec, s[2:3]
	s_mov_b64 s[2:3], 0
	s_branch .LBB297_612
.LBB297_607:
	s_mov_b64 s[6:7], -1
                                        ; implicit-def: $vgpr1
	s_branch .LBB297_618
.LBB297_608:
	s_andn2_saveexec_b64 s[2:3], s[2:3]
	s_cbranch_execz .LBB297_593
.LBB297_609:
	v_cmp_ne_u16_e32 vcc, 0, v4
	s_andn2_b64 s[6:7], s[6:7], exec
	s_and_b64 s[10:11], vcc, exec
	s_or_b64 s[6:7], s[6:7], s[10:11]
	s_or_b64 exec, exec, s[2:3]
	v_mov_b32_e32 v1, 0
	s_and_saveexec_b64 s[2:3], s[6:7]
	s_cbranch_execnz .LBB297_594
	s_branch .LBB297_595
.LBB297_610:
	s_mov_b64 s[2:3], -1
                                        ; implicit-def: $vgpr1
	s_branch .LBB297_615
.LBB297_611:
	s_mov_b64 s[2:3], -1
                                        ; implicit-def: $vgpr1
.LBB297_612:
	s_and_b64 vcc, exec, s[2:3]
	s_cbranch_vccz .LBB297_614
; %bb.613:
	global_load_ubyte v1, v[2:3], off
	s_mov_b32 s2, 0x7f800000
	s_waitcnt vmcnt(0)
	v_lshlrev_b32_e32 v1, 24, v1
	v_and_b32_e32 v4, 0x7f000000, v1
	v_ffbh_u32_e32 v5, v4
	v_min_u32_e32 v5, 32, v5
	v_sub_u32_e64 v5, v5, 4 clamp
	v_lshlrev_b32_e32 v7, v5, v4
	v_lshlrev_b32_e32 v5, 23, v5
	v_lshrrev_b32_e32 v7, 4, v7
	v_add_u32_e32 v6, 0x1000000, v4
	v_sub_u32_e32 v5, v7, v5
	v_ashrrev_i32_e32 v6, 8, v6
	v_add_u32_e32 v5, 0x3c000000, v5
	v_and_or_b32 v5, v6, s2, v5
	v_cmp_ne_u32_e32 vcc, 0, v4
	s_brev_b32 s2, 1
	s_nop 0
	v_cndmask_b32_e32 v4, 0, v5, vcc
	v_and_or_b32 v1, v1, s2, v4
	v_cvt_i32_f32_e32 v1, v1
.LBB297_614:
	s_mov_b64 s[2:3], 0
.LBB297_615:
	s_andn2_b64 vcc, exec, s[2:3]
	s_cbranch_vccnz .LBB297_617
; %bb.616:
	global_load_ubyte v1, v[2:3], off
	s_movk_i32 s2, 0x7f00
	s_brev_b32 s3, 16
	s_waitcnt vmcnt(0)
	v_lshlrev_b16_e32 v4, 8, v1
	v_lshlrev_b32_e32 v1, 25, v1
	v_lshrrev_b32_e32 v5, 4, v1
	v_and_or_b32 v6, v4, s2, 0.5
	v_or_b32_e32 v5, 0x70000000, v5
	v_add_f32_e32 v6, -0.5, v6
	v_mul_f32_e32 v5, 0x7800000, v5
	v_cmp_gt_u32_e32 vcc, s3, v1
	v_bfe_i32 v4, v4, 0, 16
	s_brev_b32 s2, 1
	v_cndmask_b32_e32 v1, v5, v6, vcc
	v_and_or_b32 v1, v4, s2, v1
	v_cvt_i32_f32_e32 v1, v1
.LBB297_617:
	s_mov_b64 s[6:7], 0
	s_mov_b64 s[2:3], -1
.LBB297_618:
	s_andn2_b64 vcc, exec, s[6:7]
	s_cbranch_vccnz .LBB297_631
; %bb.619:
	s_cmp_gt_i32 s8, 14
	s_cbranch_scc0 .LBB297_622
; %bb.620:
	s_cmp_eq_u32 s8, 15
	s_cbranch_scc0 .LBB297_625
; %bb.621:
	global_load_ushort v1, v[2:3], off
	s_mov_b64 s[2:3], -1
	s_mov_b64 s[4:5], 0
	s_waitcnt vmcnt(0)
	v_lshlrev_b32_e32 v1, 16, v1
	v_cvt_i32_f32_e32 v1, v1
	s_branch .LBB297_626
.LBB297_622:
	s_mov_b64 s[6:7], -1
                                        ; implicit-def: $vgpr1
	s_branch .LBB297_627
.LBB297_623:
	s_andn2_saveexec_b64 s[2:3], s[2:3]
	s_cbranch_execz .LBB297_604
.LBB297_624:
	v_cmp_ne_u16_e32 vcc, 0, v4
	s_andn2_b64 s[6:7], s[6:7], exec
	s_and_b64 s[10:11], vcc, exec
	s_or_b64 s[6:7], s[6:7], s[10:11]
	s_or_b64 exec, exec, s[2:3]
	v_mov_b32_e32 v1, 0
	s_and_saveexec_b64 s[2:3], s[6:7]
	s_cbranch_execnz .LBB297_605
	s_branch .LBB297_606
.LBB297_625:
	s_mov_b64 s[4:5], -1
                                        ; implicit-def: $vgpr1
.LBB297_626:
	s_mov_b64 s[6:7], 0
.LBB297_627:
	s_and_b64 vcc, exec, s[6:7]
	s_cbranch_vccz .LBB297_631
; %bb.628:
	s_cmp_eq_u32 s8, 11
	s_cbranch_scc0 .LBB297_630
; %bb.629:
	global_load_ubyte v1, v[2:3], off
	s_mov_b64 s[2:3], -1
	s_mov_b64 s[4:5], 0
	s_waitcnt vmcnt(0)
	v_cmp_ne_u16_e32 vcc, 0, v1
	s_nop 1
	v_cndmask_b32_e64 v1, 0, 1, vcc
	s_branch .LBB297_631
.LBB297_630:
	s_mov_b64 s[4:5], -1
                                        ; implicit-def: $vgpr1
.LBB297_631:
	s_mov_b64 s[6:7], 0
.LBB297_632:
	s_and_b64 vcc, exec, s[6:7]
	s_cbranch_vccz .LBB297_681
; %bb.633:
	s_cmp_lt_i32 s8, 5
	s_cbranch_scc1 .LBB297_638
; %bb.634:
	s_cmp_lt_i32 s8, 8
	s_cbranch_scc1 .LBB297_639
	;; [unrolled: 3-line block ×3, first 2 shown]
; %bb.636:
	s_cmp_gt_i32 s8, 9
	s_cbranch_scc0 .LBB297_641
; %bb.637:
	global_load_dwordx2 v[4:5], v[2:3], off
	s_mov_b64 s[2:3], 0
	s_waitcnt vmcnt(0)
	v_cvt_i32_f64_e32 v1, v[4:5]
	s_branch .LBB297_642
.LBB297_638:
	s_mov_b64 s[2:3], -1
                                        ; implicit-def: $vgpr1
	s_branch .LBB297_660
.LBB297_639:
	s_mov_b64 s[2:3], -1
                                        ; implicit-def: $vgpr1
	s_branch .LBB297_648
.LBB297_640:
	s_mov_b64 s[2:3], -1
                                        ; implicit-def: $vgpr1
	s_branch .LBB297_645
.LBB297_641:
	s_mov_b64 s[2:3], -1
                                        ; implicit-def: $vgpr1
.LBB297_642:
	s_andn2_b64 vcc, exec, s[2:3]
	s_cbranch_vccnz .LBB297_644
; %bb.643:
	global_load_dword v1, v[2:3], off
	s_waitcnt vmcnt(0)
	v_cvt_i32_f32_e32 v1, v1
.LBB297_644:
	s_mov_b64 s[2:3], 0
.LBB297_645:
	s_andn2_b64 vcc, exec, s[2:3]
	s_cbranch_vccnz .LBB297_647
; %bb.646:
	global_load_dword v1, v[2:3], off
	s_waitcnt vmcnt(0)
	v_cvt_f32_f16_e32 v1, v1
	v_cvt_i32_f32_e32 v1, v1
.LBB297_647:
	s_mov_b64 s[2:3], 0
.LBB297_648:
	s_andn2_b64 vcc, exec, s[2:3]
	s_cbranch_vccnz .LBB297_659
; %bb.649:
	s_cmp_lt_i32 s8, 6
	s_cbranch_scc1 .LBB297_652
; %bb.650:
	s_cmp_gt_i32 s8, 6
	s_cbranch_scc0 .LBB297_653
; %bb.651:
	global_load_dwordx2 v[4:5], v[2:3], off
	s_mov_b64 s[2:3], 0
	s_waitcnt vmcnt(0)
	v_cvt_i32_f64_e32 v1, v[4:5]
	s_branch .LBB297_654
.LBB297_652:
	s_mov_b64 s[2:3], -1
                                        ; implicit-def: $vgpr1
	s_branch .LBB297_657
.LBB297_653:
	s_mov_b64 s[2:3], -1
                                        ; implicit-def: $vgpr1
.LBB297_654:
	s_andn2_b64 vcc, exec, s[2:3]
	s_cbranch_vccnz .LBB297_656
; %bb.655:
	global_load_dword v1, v[2:3], off
	s_waitcnt vmcnt(0)
	v_cvt_i32_f32_e32 v1, v1
.LBB297_656:
	s_mov_b64 s[2:3], 0
.LBB297_657:
	s_andn2_b64 vcc, exec, s[2:3]
	s_cbranch_vccnz .LBB297_659
; %bb.658:
	global_load_ushort v1, v[2:3], off
	s_waitcnt vmcnt(0)
	v_cvt_f32_f16_e32 v1, v1
	v_cvt_i32_f32_e32 v1, v1
.LBB297_659:
	s_mov_b64 s[2:3], 0
.LBB297_660:
	s_andn2_b64 vcc, exec, s[2:3]
	s_cbranch_vccnz .LBB297_680
; %bb.661:
	s_cmp_lt_i32 s8, 2
	s_cbranch_scc1 .LBB297_665
; %bb.662:
	s_cmp_lt_i32 s8, 3
	s_cbranch_scc1 .LBB297_666
; %bb.663:
	s_cmp_gt_i32 s8, 3
	s_cbranch_scc0 .LBB297_667
; %bb.664:
	global_load_dword v1, v[2:3], off
	s_mov_b64 s[2:3], 0
	s_branch .LBB297_668
.LBB297_665:
	s_mov_b64 s[2:3], -1
                                        ; implicit-def: $vgpr1
	s_branch .LBB297_674
.LBB297_666:
	s_mov_b64 s[2:3], -1
                                        ; implicit-def: $vgpr1
	s_branch .LBB297_671
.LBB297_667:
	s_mov_b64 s[2:3], -1
                                        ; implicit-def: $vgpr1
.LBB297_668:
	s_andn2_b64 vcc, exec, s[2:3]
	s_cbranch_vccnz .LBB297_670
; %bb.669:
	global_load_dword v1, v[2:3], off
.LBB297_670:
	s_mov_b64 s[2:3], 0
.LBB297_671:
	s_andn2_b64 vcc, exec, s[2:3]
	s_cbranch_vccnz .LBB297_673
; %bb.672:
	global_load_sshort v1, v[2:3], off
.LBB297_673:
	s_mov_b64 s[2:3], 0
.LBB297_674:
	s_andn2_b64 vcc, exec, s[2:3]
	s_cbranch_vccnz .LBB297_680
; %bb.675:
	s_cmp_gt_i32 s8, 0
	s_cbranch_scc0 .LBB297_677
; %bb.676:
	global_load_sbyte v1, v[2:3], off
	s_mov_b64 s[2:3], 0
	s_branch .LBB297_678
.LBB297_677:
	s_mov_b64 s[2:3], -1
                                        ; implicit-def: $vgpr1
.LBB297_678:
	s_andn2_b64 vcc, exec, s[2:3]
	s_cbranch_vccnz .LBB297_680
; %bb.679:
	global_load_ubyte v1, v[2:3], off
.LBB297_680:
	s_mov_b64 s[2:3], -1
.LBB297_681:
	s_andn2_b64 vcc, exec, s[2:3]
	s_cbranch_vccnz .LBB297_689
; %bb.682:
	s_waitcnt vmcnt(0)
	v_max_i32_e32 v1, s46, v1
	v_min_i32_e32 v2, s47, v1
	v_mov_b32_e32 v1, 0
	s_and_b32 s12, s75, 0xff
	s_cmp_lt_i32 s12, 11
	v_lshl_add_u64 v[0:1], s[20:21], 0, v[0:1]
	s_cbranch_scc1 .LBB297_690
; %bb.683:
	s_and_b32 s13, 0xffff, s12
	s_cmp_gt_i32 s13, 25
	s_cbranch_scc0 .LBB297_691
; %bb.684:
	s_cmp_gt_i32 s13, 28
	s_cbranch_scc0 .LBB297_692
; %bb.685:
	;; [unrolled: 3-line block ×4, first 2 shown]
	s_mov_b64 s[8:9], 0
	s_mov_b64 s[2:3], -1
	s_cmp_eq_u32 s13, 46
	s_mov_b64 s[6:7], 0
	s_cbranch_scc0 .LBB297_695
; %bb.688:
	v_cvt_f32_i32_e32 v3, v2
	s_movk_i32 s2, 0x7fff
	s_mov_b64 s[6:7], -1
	v_bfe_u32 v4, v3, 16, 1
	v_add3_u32 v3, v3, v4, s2
	v_lshrrev_b32_e32 v3, 16, v3
	global_store_dword v[0:1], v3, off
	s_mov_b64 s[2:3], 0
	s_branch .LBB297_695
.LBB297_689:
	s_mov_b64 s[6:7], 0
	s_mov_b64 s[2:3], s[64:65]
	s_branch .LBB297_806
.LBB297_690:
	s_mov_b64 s[8:9], -1
	s_mov_b64 s[6:7], 0
	s_mov_b64 s[2:3], s[64:65]
	s_branch .LBB297_764
.LBB297_691:
	s_mov_b64 s[8:9], -1
	s_mov_b64 s[6:7], 0
	s_mov_b64 s[2:3], s[64:65]
	s_branch .LBB297_722
.LBB297_692:
	s_mov_b64 s[8:9], -1
	s_mov_b64 s[6:7], 0
	s_mov_b64 s[2:3], s[64:65]
	s_branch .LBB297_705
.LBB297_693:
	s_mov_b64 s[8:9], -1
	s_mov_b64 s[6:7], 0
	s_mov_b64 s[2:3], s[64:65]
	s_branch .LBB297_701
.LBB297_694:
	s_mov_b64 s[8:9], -1
	s_mov_b64 s[6:7], 0
	s_mov_b64 s[2:3], s[64:65]
.LBB297_695:
	s_and_b64 vcc, exec, s[8:9]
	s_cbranch_vccz .LBB297_700
; %bb.696:
	s_cmp_eq_u32 s13, 44
	s_mov_b64 s[2:3], -1
	s_cbranch_scc0 .LBB297_700
; %bb.697:
	v_cvt_f32_i32_e32 v3, v2
	s_movk_i32 s2, 0xff
	v_mov_b32_e32 v5, 0xff
	v_bfe_u32 v4, v3, 23, 8
	v_cmp_ne_u32_e32 vcc, s2, v4
	s_and_saveexec_b64 s[6:7], vcc
; %bb.698:
	s_mov_b32 s2, 0x3fffff
	v_lshrrev_b32_e32 v5, 23, v3
	v_and_b32_e32 v6, 0x400000, v3
	v_and_or_b32 v3, v3, s2, v4
	v_cmp_ne_u32_e32 vcc, 0, v6
	v_cmp_ne_u32_e64 s[2:3], 0, v3
	s_and_b64 s[2:3], vcc, s[2:3]
	s_nop 0
	v_cndmask_b32_e64 v3, 0, 1, s[2:3]
	v_add_u32_e32 v5, v5, v3
; %bb.699:
	s_or_b64 exec, exec, s[6:7]
	s_mov_b64 s[6:7], -1
	s_mov_b64 s[2:3], 0
	global_store_byte v[0:1], v5, off
.LBB297_700:
	s_mov_b64 s[8:9], 0
.LBB297_701:
	s_and_b64 vcc, exec, s[8:9]
	s_cbranch_vccz .LBB297_704
; %bb.702:
	s_cmp_eq_u32 s13, 29
	s_mov_b64 s[2:3], -1
	s_cbranch_scc0 .LBB297_704
; %bb.703:
	v_ashrrev_i32_e32 v3, 31, v2
	global_store_dwordx2 v[0:1], v[2:3], off
	s_mov_b64 s[6:7], -1
	s_mov_b64 s[2:3], 0
.LBB297_704:
	s_mov_b64 s[8:9], 0
.LBB297_705:
	s_and_b64 vcc, exec, s[8:9]
	s_cbranch_vccz .LBB297_721
; %bb.706:
	s_cmp_lt_i32 s13, 27
	s_mov_b64 s[6:7], -1
	s_cbranch_scc1 .LBB297_712
; %bb.707:
	s_cmp_gt_i32 s13, 27
	s_cbranch_scc0 .LBB297_709
; %bb.708:
	s_mov_b64 s[6:7], 0
	global_store_dword v[0:1], v2, off
.LBB297_709:
	s_andn2_b64 vcc, exec, s[6:7]
	s_cbranch_vccnz .LBB297_711
; %bb.710:
	global_store_short v[0:1], v2, off
.LBB297_711:
	s_mov_b64 s[6:7], 0
.LBB297_712:
	s_andn2_b64 vcc, exec, s[6:7]
	s_cbranch_vccnz .LBB297_720
; %bb.713:
	v_cvt_f32_i32_e32 v3, v2
	s_mov_b32 s6, 0x43800000
	v_mov_b32_e32 v5, 0x80
	v_and_b32_e32 v4, 0x7fffffff, v3
	v_cmp_gt_u32_e32 vcc, s6, v4
	s_and_saveexec_b64 s[6:7], vcc
	s_cbranch_execz .LBB297_719
; %bb.714:
	s_mov_b32 s8, 0x3bffffff
	v_cmp_lt_u32_e32 vcc, s8, v4
	s_mov_b64 s[8:9], 0
                                        ; implicit-def: $vgpr4
	s_and_saveexec_b64 s[10:11], vcc
	s_xor_b64 s[10:11], exec, s[10:11]
	s_cbranch_execz .LBB297_837
; %bb.715:
	v_bfe_u32 v4, v3, 20, 1
	s_mov_b32 s14, 0x487ffff
	v_add3_u32 v4, v3, v4, s14
	s_mov_b64 s[8:9], exec
	v_lshrrev_b32_e32 v4, 20, v4
	s_andn2_saveexec_b64 s[10:11], s[10:11]
	s_cbranch_execnz .LBB297_838
.LBB297_716:
	s_or_b64 exec, exec, s[10:11]
	v_mov_b32_e32 v5, 0
	s_and_saveexec_b64 s[10:11], s[8:9]
.LBB297_717:
	v_lshrrev_b32_e32 v3, 24, v3
	s_movk_i32 s8, 0x80
	v_and_or_b32 v5, v3, s8, v4
.LBB297_718:
	s_or_b64 exec, exec, s[10:11]
.LBB297_719:
	s_or_b64 exec, exec, s[6:7]
	global_store_byte v[0:1], v5, off
.LBB297_720:
	s_mov_b64 s[6:7], -1
.LBB297_721:
	s_mov_b64 s[8:9], 0
.LBB297_722:
	s_and_b64 vcc, exec, s[8:9]
	s_cbranch_vccz .LBB297_763
; %bb.723:
	s_cmp_gt_i32 s13, 22
	s_mov_b64 s[8:9], -1
	s_cbranch_scc0 .LBB297_755
; %bb.724:
	s_cmp_lt_i32 s13, 24
	s_mov_b64 s[6:7], -1
	s_cbranch_scc1 .LBB297_744
; %bb.725:
	s_cmp_gt_i32 s13, 24
	s_cbranch_scc0 .LBB297_733
; %bb.726:
	v_cvt_f32_i32_e32 v3, v2
	s_mov_b32 s6, 0x47800000
	v_mov_b32_e32 v5, 0x80
	v_and_b32_e32 v4, 0x7fffffff, v3
	v_cmp_gt_u32_e32 vcc, s6, v4
	s_and_saveexec_b64 s[6:7], vcc
	s_cbranch_execz .LBB297_732
; %bb.727:
	s_mov_b32 s8, 0x37ffffff
	v_cmp_lt_u32_e32 vcc, s8, v4
	s_mov_b64 s[8:9], 0
                                        ; implicit-def: $vgpr4
	s_and_saveexec_b64 s[10:11], vcc
	s_xor_b64 s[10:11], exec, s[10:11]
	s_cbranch_execz .LBB297_840
; %bb.728:
	v_bfe_u32 v4, v3, 21, 1
	s_mov_b32 s14, 0x88fffff
	v_add3_u32 v4, v3, v4, s14
	s_mov_b64 s[8:9], exec
	v_lshrrev_b32_e32 v4, 21, v4
	s_andn2_saveexec_b64 s[10:11], s[10:11]
	s_cbranch_execnz .LBB297_841
.LBB297_729:
	s_or_b64 exec, exec, s[10:11]
	v_mov_b32_e32 v5, 0
	s_and_saveexec_b64 s[10:11], s[8:9]
.LBB297_730:
	v_lshrrev_b32_e32 v3, 24, v3
	s_movk_i32 s8, 0x80
	v_and_or_b32 v5, v3, s8, v4
.LBB297_731:
	s_or_b64 exec, exec, s[10:11]
.LBB297_732:
	s_or_b64 exec, exec, s[6:7]
	s_mov_b64 s[6:7], 0
	global_store_byte v[0:1], v5, off
.LBB297_733:
	s_and_b64 vcc, exec, s[6:7]
	s_cbranch_vccz .LBB297_743
; %bb.734:
	v_cvt_f32_i32_e32 v3, v2
	s_mov_b32 s6, 0x43f00000
                                        ; implicit-def: $vgpr4
	v_and_b32_e32 v5, 0x7fffffff, v3
	v_cmp_gt_u32_e32 vcc, s6, v5
	s_and_saveexec_b64 s[6:7], vcc
	s_xor_b64 s[6:7], exec, s[6:7]
	s_cbranch_execz .LBB297_740
; %bb.735:
	s_mov_b32 s8, 0x3c7fffff
	v_cmp_lt_u32_e32 vcc, s8, v5
                                        ; implicit-def: $vgpr4
	s_and_saveexec_b64 s[8:9], vcc
	s_xor_b64 s[8:9], exec, s[8:9]
; %bb.736:
	v_bfe_u32 v4, v3, 20, 1
	s_mov_b32 s10, 0x407ffff
	v_add3_u32 v4, v3, v4, s10
	v_lshrrev_b32_e32 v5, 20, v4
	v_and_b32_e32 v4, 0xff00000, v4
	s_mov_b32 s10, 0x7f00000
	v_mov_b32_e32 v6, 0x7e
	v_cmp_ne_u32_e32 vcc, s10, v4
	s_nop 1
	v_cndmask_b32_e32 v4, v6, v5, vcc
; %bb.737:
	s_andn2_saveexec_b64 s[8:9], s[8:9]
; %bb.738:
	s_mov_b32 s10, 0x46800000
	v_add_f32_e64 v4, |v3|, s10
; %bb.739:
	s_or_b64 exec, exec, s[8:9]
                                        ; implicit-def: $vgpr5
.LBB297_740:
	s_andn2_saveexec_b64 s[6:7], s[6:7]
; %bb.741:
	s_mov_b32 s8, 0x7f800000
	v_mov_b32_e32 v4, 0x7e
	v_mov_b32_e32 v6, 0x7f
	v_cmp_lt_u32_e32 vcc, s8, v5
	s_nop 1
	v_cndmask_b32_e32 v4, v4, v6, vcc
; %bb.742:
	s_or_b64 exec, exec, s[6:7]
	v_lshrrev_b32_e32 v3, 24, v3
	s_movk_i32 s6, 0x80
	v_and_or_b32 v3, v3, s6, v4
	global_store_byte v[0:1], v3, off
.LBB297_743:
	s_mov_b64 s[6:7], 0
.LBB297_744:
	s_andn2_b64 vcc, exec, s[6:7]
	s_cbranch_vccnz .LBB297_754
; %bb.745:
	v_cvt_f32_i32_e32 v3, v2
	s_mov_b32 s6, 0x47800000
                                        ; implicit-def: $vgpr4
	v_and_b32_e32 v5, 0x7fffffff, v3
	v_cmp_gt_u32_e32 vcc, s6, v5
	s_and_saveexec_b64 s[6:7], vcc
	s_xor_b64 s[6:7], exec, s[6:7]
	s_cbranch_execz .LBB297_751
; %bb.746:
	s_mov_b32 s8, 0x387fffff
	v_cmp_lt_u32_e32 vcc, s8, v5
                                        ; implicit-def: $vgpr4
	s_and_saveexec_b64 s[8:9], vcc
	s_xor_b64 s[8:9], exec, s[8:9]
; %bb.747:
	v_bfe_u32 v4, v3, 21, 1
	s_mov_b32 s10, 0x80fffff
	v_add3_u32 v4, v3, v4, s10
	v_lshrrev_b32_e32 v4, 21, v4
; %bb.748:
	s_andn2_saveexec_b64 s[8:9], s[8:9]
; %bb.749:
	s_mov_b32 s10, 0x43000000
	v_add_f32_e64 v4, |v3|, s10
; %bb.750:
	s_or_b64 exec, exec, s[8:9]
                                        ; implicit-def: $vgpr5
.LBB297_751:
	s_andn2_saveexec_b64 s[6:7], s[6:7]
; %bb.752:
	s_mov_b32 s8, 0x7f800000
	v_mov_b32_e32 v4, 0x7c
	v_mov_b32_e32 v6, 0x7f
	v_cmp_lt_u32_e32 vcc, s8, v5
	s_nop 1
	v_cndmask_b32_e32 v4, v4, v6, vcc
; %bb.753:
	s_or_b64 exec, exec, s[6:7]
	v_lshrrev_b32_e32 v3, 24, v3
	s_movk_i32 s6, 0x80
	v_and_or_b32 v3, v3, s6, v4
	global_store_byte v[0:1], v3, off
.LBB297_754:
	s_mov_b64 s[8:9], 0
	s_mov_b64 s[6:7], -1
.LBB297_755:
	s_andn2_b64 vcc, exec, s[8:9]
	s_cbranch_vccnz .LBB297_763
; %bb.756:
	s_cmp_gt_i32 s13, 14
	s_mov_b64 s[8:9], -1
	s_cbranch_scc0 .LBB297_760
; %bb.757:
	s_cmp_eq_u32 s13, 15
	s_mov_b64 s[2:3], -1
	s_cbranch_scc0 .LBB297_759
; %bb.758:
	v_cvt_f32_i32_e32 v3, v2
	s_movk_i32 s2, 0x7fff
	s_mov_b64 s[6:7], -1
	v_bfe_u32 v4, v3, 16, 1
	v_add3_u32 v3, v3, v4, s2
	global_store_short_d16_hi v[0:1], v3, off
	s_mov_b64 s[2:3], 0
.LBB297_759:
	s_mov_b64 s[8:9], 0
.LBB297_760:
	s_and_b64 vcc, exec, s[8:9]
	s_cbranch_vccz .LBB297_763
; %bb.761:
	s_cmp_eq_u32 s13, 11
	s_mov_b64 s[2:3], -1
	s_cbranch_scc0 .LBB297_763
; %bb.762:
	v_cmp_ne_u32_e32 vcc, 0, v2
	s_mov_b64 s[6:7], -1
	s_mov_b64 s[2:3], 0
	v_cndmask_b32_e64 v3, 0, 1, vcc
	global_store_byte v[0:1], v3, off
.LBB297_763:
	s_mov_b64 s[8:9], 0
.LBB297_764:
	s_and_b64 vcc, exec, s[8:9]
	s_cbranch_vccz .LBB297_803
; %bb.765:
	s_and_b32 s8, 0xffff, s12
	s_cmp_lt_i32 s8, 5
	s_mov_b64 s[6:7], -1
	s_cbranch_scc1 .LBB297_786
; %bb.766:
	s_cmp_lt_i32 s8, 8
	s_cbranch_scc1 .LBB297_776
; %bb.767:
	s_cmp_lt_i32 s8, 9
	s_cbranch_scc1 .LBB297_773
; %bb.768:
	s_cmp_gt_i32 s8, 9
	s_cbranch_scc0 .LBB297_770
; %bb.769:
	v_mov_b32_e32 v6, 0
	v_cvt_f64_i32_e32 v[4:5], v2
	v_mov_b32_e32 v7, v6
	s_mov_b64 s[6:7], 0
	global_store_dwordx4 v[0:1], v[4:7], off
.LBB297_770:
	s_andn2_b64 vcc, exec, s[6:7]
	s_cbranch_vccnz .LBB297_772
; %bb.771:
	v_cvt_f32_i32_e32 v4, v2
	v_mov_b32_e32 v5, 0
	global_store_dwordx2 v[0:1], v[4:5], off
.LBB297_772:
	s_mov_b64 s[6:7], 0
.LBB297_773:
	s_andn2_b64 vcc, exec, s[6:7]
	s_cbranch_vccnz .LBB297_775
; %bb.774:
	v_cvt_f32_i32_e32 v3, v2
	v_cvt_f16_f32_e32 v3, v3
	global_store_dword v[0:1], v3, off
.LBB297_775:
	s_mov_b64 s[6:7], 0
.LBB297_776:
	s_andn2_b64 vcc, exec, s[6:7]
	s_cbranch_vccnz .LBB297_785
; %bb.777:
	s_cmp_lt_i32 s8, 6
	s_mov_b64 s[6:7], -1
	s_cbranch_scc1 .LBB297_783
; %bb.778:
	s_cmp_gt_i32 s8, 6
	s_cbranch_scc0 .LBB297_780
; %bb.779:
	v_cvt_f64_i32_e32 v[4:5], v2
	s_mov_b64 s[6:7], 0
	global_store_dwordx2 v[0:1], v[4:5], off
.LBB297_780:
	s_andn2_b64 vcc, exec, s[6:7]
	s_cbranch_vccnz .LBB297_782
; %bb.781:
	v_cvt_f32_i32_e32 v3, v2
	global_store_dword v[0:1], v3, off
.LBB297_782:
	s_mov_b64 s[6:7], 0
.LBB297_783:
	s_andn2_b64 vcc, exec, s[6:7]
	s_cbranch_vccnz .LBB297_785
; %bb.784:
	v_cvt_f32_i32_e32 v3, v2
	v_cvt_f16_f32_e32 v3, v3
	global_store_short v[0:1], v3, off
.LBB297_785:
	s_mov_b64 s[6:7], 0
.LBB297_786:
	s_andn2_b64 vcc, exec, s[6:7]
	s_cbranch_vccnz .LBB297_802
; %bb.787:
	s_cmp_lt_i32 s8, 2
	s_mov_b64 s[6:7], -1
	s_cbranch_scc1 .LBB297_797
; %bb.788:
	s_cmp_lt_i32 s8, 3
	s_cbranch_scc1 .LBB297_794
; %bb.789:
	s_cmp_gt_i32 s8, 3
	s_cbranch_scc0 .LBB297_791
; %bb.790:
	v_ashrrev_i32_e32 v3, 31, v2
	s_mov_b64 s[6:7], 0
	global_store_dwordx2 v[0:1], v[2:3], off
.LBB297_791:
	s_andn2_b64 vcc, exec, s[6:7]
	s_cbranch_vccnz .LBB297_793
; %bb.792:
	global_store_dword v[0:1], v2, off
.LBB297_793:
	s_mov_b64 s[6:7], 0
.LBB297_794:
	s_andn2_b64 vcc, exec, s[6:7]
	s_cbranch_vccnz .LBB297_796
; %bb.795:
	global_store_short v[0:1], v2, off
.LBB297_796:
	s_mov_b64 s[6:7], 0
.LBB297_797:
	s_andn2_b64 vcc, exec, s[6:7]
	s_cbranch_vccnz .LBB297_802
; %bb.798:
	s_cmp_gt_i32 s8, 0
	s_mov_b64 s[6:7], -1
	s_cbranch_scc0 .LBB297_800
; %bb.799:
	s_mov_b64 s[6:7], 0
	global_store_byte v[0:1], v2, off
.LBB297_800:
	s_andn2_b64 vcc, exec, s[6:7]
	s_cbranch_vccnz .LBB297_802
; %bb.801:
	global_store_byte v[0:1], v2, off
.LBB297_802:
	s_mov_b64 s[6:7], -1
.LBB297_803:
	s_andn2_b64 vcc, exec, s[6:7]
	s_cbranch_vccnz .LBB297_805
; %bb.804:
	v_add_u32_e32 v8, 0x80, v8
	s_mov_b64 s[6:7], -1
	s_branch .LBB297_807
.LBB297_805:
	s_mov_b64 s[6:7], 0
.LBB297_806:
                                        ; implicit-def: $vgpr8
.LBB297_807:
	s_andn2_b64 s[8:9], s[64:65], exec
	s_and_b64 s[2:3], s[2:3], exec
	s_or_b64 s[70:71], s[8:9], s[2:3]
	s_andn2_b64 s[2:3], s[62:63], exec
	s_and_b64 s[4:5], s[4:5], exec
	s_or_b64 s[2:3], s[2:3], s[4:5]
	s_orn2_b64 s[6:7], s[6:7], exec
.LBB297_808:
	s_or_b64 exec, exec, s[68:69]
	s_mov_b64 s[4:5], 0
	s_mov_b64 s[10:11], 0
	s_mov_b64 s[8:9], 0
                                        ; implicit-def: $vgpr2_vgpr3
                                        ; implicit-def: $vgpr0
                                        ; implicit-def: $vgpr1
	s_and_saveexec_b64 s[68:69], s[6:7]
	s_cbranch_execz .LBB297_904
; %bb.809:
	v_cmp_gt_i32_e32 vcc, s72, v8
	s_mov_b64 s[6:7], 0
	s_mov_b64 s[12:13], s[2:3]
                                        ; implicit-def: $vgpr2_vgpr3
                                        ; implicit-def: $vgpr0
                                        ; implicit-def: $vgpr1
	s_and_saveexec_b64 s[72:73], vcc
	s_cbranch_execz .LBB297_903
; %bb.810:
	s_andn2_b64 vcc, exec, s[42:43]
	s_cbranch_vccnz .LBB297_816
; %bb.811:
	s_andn2_b64 vcc, exec, s[54:55]
	s_cbranch_vccnz .LBB297_817
; %bb.812:
	s_add_i32 s78, s77, 1
	s_cmp_eq_u32 s74, 2
	s_cbranch_scc1 .LBB297_818
; %bb.813:
	s_and_b32 s77, s78, 28
	s_mov_b32 s79, 0
	v_mov_b32_e32 v0, 0
	v_mov_b32_e32 v2, 0
	s_mov_b64 s[54:55], s[34:35]
	v_mov_b32_e32 v4, v8
.LBB297_814:                            ; =>This Inner Loop Header: Depth=1
	s_load_dwordx8 s[12:19], s[54:55], 0x4
	s_load_dwordx4 s[36:39], s[54:55], 0x24
	s_load_dwordx8 s[4:11], s[52:53], 0x0
	s_add_u32 s54, s54, 48
	s_addc_u32 s55, s55, 0
	s_waitcnt vmcnt(0) lgkmcnt(0)
	v_mul_hi_u32 v1, s13, v4
	v_add_u32_e32 v1, v4, v1
	v_lshrrev_b32_e32 v1, s14, v1
	v_mul_lo_u32 v3, v1, s12
	v_mul_hi_u32 v5, s16, v1
	v_sub_u32_e32 v3, v4, v3
	v_add_u32_e32 v4, v1, v5
	v_lshrrev_b32_e32 v4, s17, v4
	v_mul_lo_u32 v6, v4, s15
	v_mul_hi_u32 v7, s19, v4
	v_sub_u32_e32 v1, v1, v6
	v_add_u32_e32 v6, v4, v7
	v_mul_lo_u32 v5, v3, s5
	v_mul_lo_u32 v3, v3, s4
	;; [unrolled: 1-line block ×4, first 2 shown]
	v_lshrrev_b32_e32 v6, s36, v6
	v_add3_u32 v0, v3, v0, v1
	v_mul_hi_u32 v3, s38, v6
	v_add3_u32 v1, v5, v2, v7
	v_mul_lo_u32 v2, v6, s18
	v_add_u32_e32 v3, v6, v3
	v_sub_u32_e32 v2, v4, v2
	v_lshrrev_b32_e32 v4, s39, v3
	s_add_i32 s79, s79, 4
	v_mul_lo_u32 v3, v4, s37
	s_add_u32 s52, s52, 32
	v_sub_u32_e32 v3, v6, v3
	s_addc_u32 s53, s53, 0
	v_mul_lo_u32 v5, v2, s8
	v_mul_lo_u32 v2, v2, s9
	;; [unrolled: 1-line block ×4, first 2 shown]
	s_cmp_eq_u32 s77, s79
	v_add3_u32 v2, v2, v1, v3
	v_add3_u32 v0, v5, v0, v6
	s_cbranch_scc0 .LBB297_814
; %bb.815:
	v_mov_b32_e32 v1, v2
	s_branch .LBB297_819
.LBB297_816:
	s_mov_b64 s[4:5], -1
                                        ; implicit-def: $vgpr2
                                        ; implicit-def: $vgpr0
	s_branch .LBB297_823
.LBB297_817:
	v_mov_b32_e32 v2, 0
	v_mov_b32_e32 v0, 0
	s_branch .LBB297_822
.LBB297_818:
	v_mov_b32_e32 v0, 0
	s_mov_b32 s77, 0
	s_waitcnt vmcnt(0)
	v_mov_b32_e32 v1, v0
                                        ; implicit-def: $vgpr2
	v_mov_b32_e32 v4, v8
.LBB297_819:
	s_and_b32 s8, s78, 3
	s_cmp_eq_u32 s8, 0
	s_cbranch_scc1 .LBB297_822
; %bb.820:
	s_lshl_b32 s4, s77, 3
	s_add_u32 s4, s34, s4
	s_addc_u32 s5, s35, 0
	s_add_u32 s4, s4, 0xc4
	s_addc_u32 s5, s5, 0
	s_mul_i32 s6, s77, 12
	s_add_u32 s6, s34, s6
	s_addc_u32 s7, s35, 0
.LBB297_821:                            ; =>This Inner Loop Header: Depth=1
	s_load_dwordx2 s[10:11], s[6:7], 0x4
	s_load_dword s9, s[6:7], 0xc
	s_load_dwordx2 s[12:13], s[4:5], 0x0
	v_mov_b32_e32 v2, v1
	s_add_u32 s6, s6, 12
	s_waitcnt lgkmcnt(0)
	v_mul_hi_u32 v1, s11, v4
	v_add_u32_e32 v1, v4, v1
	v_lshrrev_b32_e32 v1, s9, v1
	s_addc_u32 s7, s7, 0
	v_mul_lo_u32 v3, v1, s10
	s_add_u32 s4, s4, 8
	v_sub_u32_e32 v5, v4, v3
	s_addc_u32 s5, s5, 0
	s_add_i32 s8, s8, -1
	v_mov_b32_e32 v4, v1
	v_mad_u64_u32 v[2:3], s[10:11], v5, s13, v[2:3]
	v_mad_u64_u32 v[0:1], s[10:11], v5, s12, v[0:1]
	s_cmp_lg_u32 s8, 0
	v_mov_b32_e32 v1, v2
	s_cbranch_scc1 .LBB297_821
.LBB297_822:
	s_mov_b64 s[4:5], 0
.LBB297_823:
	s_andn2_b64 vcc, exec, s[4:5]
	s_cbranch_vccnz .LBB297_826
; %bb.824:
	v_mul_hi_u32 v0, s25, v8
	v_add_u32_e32 v0, v8, v0
	s_waitcnt vmcnt(0)
	v_lshrrev_b32_e32 v1, s26, v0
	v_mul_lo_u32 v0, v1, s24
	v_sub_u32_e32 v0, v8, v0
	v_mul_lo_u32 v2, v0, s29
	s_andn2_b64 vcc, exec, s[50:51]
	v_mul_lo_u32 v0, v0, s28
	s_cbranch_vccnz .LBB297_826
; %bb.825:
	v_mul_hi_u32 v3, s48, v1
	v_add_u32_e32 v3, v1, v3
	v_lshrrev_b32_e32 v3, s49, v3
	v_mul_lo_u32 v3, v3, s27
	v_sub_u32_e32 v3, v1, v3
	v_mad_u64_u32 v[0:1], s[4:5], v3, s30, v[0:1]
	v_mad_u64_u32 v[2:3], s[4:5], v3, s31, v[2:3]
.LBB297_826:
	v_mov_b32_e32 v3, 0
	s_and_b32 s12, 0xffff, s76
	s_cmp_lt_i32 s12, 11
	v_lshl_add_u64 v[2:3], s[22:23], 0, v[2:3]
	s_cbranch_scc1 .LBB297_833
; %bb.827:
	s_cmp_gt_i32 s12, 25
	s_mov_b64 s[6:7], 0
	s_cbranch_scc0 .LBB297_834
; %bb.828:
	s_cmp_gt_i32 s12, 28
	s_cbranch_scc0 .LBB297_835
; %bb.829:
	s_cmp_gt_i32 s12, 43
	;; [unrolled: 3-line block ×3, first 2 shown]
	s_cbranch_scc0 .LBB297_839
; %bb.831:
	s_cmp_eq_u32 s12, 46
	s_mov_b64 s[10:11], 0
	s_cbranch_scc0 .LBB297_842
; %bb.832:
	global_load_dword v1, v[2:3], off
	s_mov_b64 s[4:5], 0
	s_mov_b64 s[8:9], -1
	s_waitcnt vmcnt(0)
	v_lshlrev_b32_e32 v1, 16, v1
	v_cvt_i32_f32_e32 v1, v1
	s_branch .LBB297_843
.LBB297_833:
	s_mov_b64 s[10:11], -1
	s_mov_b64 s[8:9], 0
	s_mov_b64 s[6:7], 0
	;; [unrolled: 1-line block ×3, first 2 shown]
                                        ; implicit-def: $vgpr1
	s_branch .LBB297_902
.LBB297_834:
	s_mov_b64 s[10:11], -1
	s_mov_b64 s[8:9], 0
	s_mov_b64 s[4:5], s[2:3]
                                        ; implicit-def: $vgpr1
	s_branch .LBB297_870
.LBB297_835:
	s_mov_b64 s[10:11], -1
	s_mov_b64 s[8:9], 0
	s_mov_b64 s[4:5], s[2:3]
                                        ; implicit-def: $vgpr1
	s_branch .LBB297_853
.LBB297_836:
	s_mov_b64 s[10:11], -1
	s_mov_b64 s[8:9], 0
	s_mov_b64 s[4:5], s[2:3]
                                        ; implicit-def: $vgpr1
	s_branch .LBB297_848
.LBB297_837:
	s_andn2_saveexec_b64 s[10:11], s[10:11]
	s_cbranch_execz .LBB297_716
.LBB297_838:
	s_mov_b32 s14, 0x46000000
	v_add_f32_e64 v4, |v3|, s14
	v_and_b32_e32 v4, 0xff, v4
	v_cmp_ne_u32_e32 vcc, 0, v4
	s_andn2_b64 s[8:9], s[8:9], exec
	s_and_b64 s[14:15], vcc, exec
	s_or_b64 s[8:9], s[8:9], s[14:15]
	s_or_b64 exec, exec, s[10:11]
	v_mov_b32_e32 v5, 0
	s_and_saveexec_b64 s[10:11], s[8:9]
	s_cbranch_execnz .LBB297_717
	s_branch .LBB297_718
.LBB297_839:
	s_mov_b64 s[10:11], -1
	s_mov_b64 s[8:9], 0
	s_mov_b64 s[4:5], s[2:3]
                                        ; implicit-def: $vgpr1
	s_branch .LBB297_843
.LBB297_840:
	s_andn2_saveexec_b64 s[10:11], s[10:11]
	s_cbranch_execz .LBB297_729
.LBB297_841:
	s_mov_b32 s14, 0x42800000
	v_add_f32_e64 v4, |v3|, s14
	v_and_b32_e32 v4, 0xff, v4
	v_cmp_ne_u32_e32 vcc, 0, v4
	s_andn2_b64 s[8:9], s[8:9], exec
	s_and_b64 s[14:15], vcc, exec
	s_or_b64 s[8:9], s[8:9], s[14:15]
	s_or_b64 exec, exec, s[10:11]
	v_mov_b32_e32 v5, 0
	s_and_saveexec_b64 s[10:11], s[8:9]
	s_cbranch_execnz .LBB297_730
	s_branch .LBB297_731
.LBB297_842:
	s_mov_b64 s[4:5], -1
                                        ; implicit-def: $vgpr1
	s_mov_b64 s[8:9], 0
.LBB297_843:
	s_and_b64 vcc, exec, s[10:11]
	s_cbranch_vccz .LBB297_847
; %bb.844:
	s_cmp_eq_u32 s12, 44
	s_cbranch_scc0 .LBB297_846
; %bb.845:
	global_load_ubyte v1, v[2:3], off
	s_mov_b64 s[4:5], 0
	s_mov_b64 s[8:9], -1
	s_waitcnt vmcnt(0)
	v_lshlrev_b32_e32 v4, 23, v1
	v_cvt_i32_f32_e32 v4, v4
	v_cmp_ne_u32_e32 vcc, 0, v1
	s_nop 1
	v_cndmask_b32_e32 v1, 0, v4, vcc
	s_branch .LBB297_847
.LBB297_846:
	s_mov_b64 s[4:5], -1
                                        ; implicit-def: $vgpr1
.LBB297_847:
	s_mov_b64 s[10:11], 0
.LBB297_848:
	s_and_b64 vcc, exec, s[10:11]
	s_cbranch_vccz .LBB297_852
; %bb.849:
	s_cmp_eq_u32 s12, 29
	s_cbranch_scc0 .LBB297_851
; %bb.850:
	global_load_dword v1, v[2:3], off
	s_mov_b64 s[4:5], 0
	s_mov_b64 s[8:9], -1
	s_branch .LBB297_852
.LBB297_851:
	s_mov_b64 s[4:5], -1
                                        ; implicit-def: $vgpr1
.LBB297_852:
	s_mov_b64 s[10:11], 0
.LBB297_853:
	s_and_b64 vcc, exec, s[10:11]
	s_cbranch_vccz .LBB297_869
; %bb.854:
	s_cmp_lt_i32 s12, 27
	s_cbranch_scc1 .LBB297_857
; %bb.855:
	s_cmp_gt_i32 s12, 27
	s_cbranch_scc0 .LBB297_858
; %bb.856:
	global_load_dword v1, v[2:3], off
	s_mov_b64 s[8:9], 0
	s_branch .LBB297_859
.LBB297_857:
	s_mov_b64 s[8:9], -1
                                        ; implicit-def: $vgpr1
	s_branch .LBB297_862
.LBB297_858:
	s_mov_b64 s[8:9], -1
                                        ; implicit-def: $vgpr1
.LBB297_859:
	s_andn2_b64 vcc, exec, s[8:9]
	s_cbranch_vccnz .LBB297_861
; %bb.860:
	global_load_ushort v1, v[2:3], off
.LBB297_861:
	s_mov_b64 s[8:9], 0
.LBB297_862:
	s_andn2_b64 vcc, exec, s[8:9]
	s_cbranch_vccnz .LBB297_868
; %bb.863:
	global_load_ubyte v4, v[2:3], off
	s_movk_i32 s8, 0x7f
	s_mov_b64 s[10:11], 0
	s_waitcnt vmcnt(0)
	v_cmp_lt_i16_e32 vcc, s8, v4
	s_and_saveexec_b64 s[8:9], vcc
	s_xor_b64 s[8:9], exec, s[8:9]
	s_cbranch_execz .LBB297_880
; %bb.864:
	s_movk_i32 s10, 0x80
	v_cmp_ne_u16_e32 vcc, s10, v4
	s_and_b64 s[10:11], vcc, exec
	s_andn2_saveexec_b64 s[8:9], s[8:9]
	s_cbranch_execnz .LBB297_881
.LBB297_865:
	s_or_b64 exec, exec, s[8:9]
	v_mov_b32_e32 v1, 0
	s_and_saveexec_b64 s[8:9], s[10:11]
	s_cbranch_execz .LBB297_867
.LBB297_866:
	v_lshlrev_b32_e32 v1, 24, v4
	v_and_b32_e32 v4, 0xffff, v4
	v_and_b32_e32 v5, 7, v4
	v_ffbh_u32_e32 v7, v5
	v_min_u32_e32 v7, 32, v7
	v_subrev_u32_e32 v8, 28, v7
	v_bfe_u32 v6, v4, 3, 4
	v_lshlrev_b32_e32 v4, v8, v4
	v_sub_u32_e32 v7, 29, v7
	v_and_b32_e32 v4, 7, v4
	v_cmp_eq_u32_e32 vcc, 0, v6
	v_and_b32_e32 v1, 0x80000000, v1
	s_nop 0
	v_cndmask_b32_e32 v6, v6, v7, vcc
	v_cndmask_b32_e32 v4, v5, v4, vcc
	v_mov_b32_e32 v5, 0x3b800000
	v_lshlrev_b32_e32 v4, 20, v4
	v_lshl_add_u32 v5, v6, 23, v5
	v_or3_b32 v1, v1, v5, v4
	v_cvt_i32_f32_e32 v1, v1
.LBB297_867:
	s_or_b64 exec, exec, s[8:9]
.LBB297_868:
	s_mov_b64 s[8:9], -1
.LBB297_869:
	s_mov_b64 s[10:11], 0
.LBB297_870:
	s_and_b64 vcc, exec, s[10:11]
	s_cbranch_vccz .LBB297_901
; %bb.871:
	s_cmp_gt_i32 s12, 22
	s_cbranch_scc0 .LBB297_879
; %bb.872:
	s_cmp_lt_i32 s12, 24
	s_cbranch_scc1 .LBB297_882
; %bb.873:
	s_cmp_gt_i32 s12, 24
	s_cbranch_scc0 .LBB297_883
; %bb.874:
	global_load_ubyte v4, v[2:3], off
	s_movk_i32 s6, 0x7f
	s_mov_b64 s[8:9], 0
	s_waitcnt vmcnt(0)
	v_cmp_lt_i16_e32 vcc, s6, v4
	s_and_saveexec_b64 s[6:7], vcc
	s_xor_b64 s[6:7], exec, s[6:7]
	s_cbranch_execz .LBB297_895
; %bb.875:
	s_movk_i32 s8, 0x80
	v_cmp_ne_u16_e32 vcc, s8, v4
	s_and_b64 s[8:9], vcc, exec
	s_andn2_saveexec_b64 s[6:7], s[6:7]
	s_cbranch_execnz .LBB297_896
.LBB297_876:
	s_or_b64 exec, exec, s[6:7]
	v_mov_b32_e32 v1, 0
	s_and_saveexec_b64 s[6:7], s[8:9]
	s_cbranch_execz .LBB297_878
.LBB297_877:
	v_lshlrev_b32_e32 v1, 24, v4
	v_and_b32_e32 v4, 0xffff, v4
	v_and_b32_e32 v5, 3, v4
	v_ffbh_u32_e32 v7, v5
	v_min_u32_e32 v7, 32, v7
	v_subrev_u32_e32 v8, 29, v7
	v_bfe_u32 v6, v4, 2, 5
	v_lshlrev_b32_e32 v4, v8, v4
	v_sub_u32_e32 v7, 30, v7
	v_and_b32_e32 v4, 3, v4
	v_cmp_eq_u32_e32 vcc, 0, v6
	v_and_b32_e32 v1, 0x80000000, v1
	s_nop 0
	v_cndmask_b32_e32 v6, v6, v7, vcc
	v_cndmask_b32_e32 v4, v5, v4, vcc
	v_mov_b32_e32 v5, 0x37800000
	v_lshlrev_b32_e32 v4, 21, v4
	v_lshl_add_u32 v5, v6, 23, v5
	v_or3_b32 v1, v1, v5, v4
	v_cvt_i32_f32_e32 v1, v1
.LBB297_878:
	s_or_b64 exec, exec, s[6:7]
	s_mov_b64 s[6:7], 0
	s_branch .LBB297_884
.LBB297_879:
	s_mov_b64 s[6:7], -1
                                        ; implicit-def: $vgpr1
	s_branch .LBB297_890
.LBB297_880:
	s_andn2_saveexec_b64 s[8:9], s[8:9]
	s_cbranch_execz .LBB297_865
.LBB297_881:
	v_cmp_ne_u16_e32 vcc, 0, v4
	s_andn2_b64 s[10:11], s[10:11], exec
	s_and_b64 s[14:15], vcc, exec
	s_or_b64 s[10:11], s[10:11], s[14:15]
	s_or_b64 exec, exec, s[8:9]
	v_mov_b32_e32 v1, 0
	s_and_saveexec_b64 s[8:9], s[10:11]
	s_cbranch_execnz .LBB297_866
	s_branch .LBB297_867
.LBB297_882:
	s_mov_b64 s[6:7], -1
                                        ; implicit-def: $vgpr1
	s_branch .LBB297_887
.LBB297_883:
	s_mov_b64 s[6:7], -1
                                        ; implicit-def: $vgpr1
.LBB297_884:
	s_and_b64 vcc, exec, s[6:7]
	s_cbranch_vccz .LBB297_886
; %bb.885:
	global_load_ubyte v1, v[2:3], off
	s_mov_b32 s6, 0x7f800000
	s_waitcnt vmcnt(0)
	v_lshlrev_b32_e32 v1, 24, v1
	v_and_b32_e32 v4, 0x7f000000, v1
	v_ffbh_u32_e32 v5, v4
	v_min_u32_e32 v5, 32, v5
	v_sub_u32_e64 v5, v5, 4 clamp
	v_lshlrev_b32_e32 v7, v5, v4
	v_lshlrev_b32_e32 v5, 23, v5
	v_lshrrev_b32_e32 v7, 4, v7
	v_add_u32_e32 v6, 0x1000000, v4
	v_sub_u32_e32 v5, v7, v5
	v_ashrrev_i32_e32 v6, 8, v6
	v_add_u32_e32 v5, 0x3c000000, v5
	v_and_or_b32 v5, v6, s6, v5
	v_cmp_ne_u32_e32 vcc, 0, v4
	s_brev_b32 s6, 1
	s_nop 0
	v_cndmask_b32_e32 v4, 0, v5, vcc
	v_and_or_b32 v1, v1, s6, v4
	v_cvt_i32_f32_e32 v1, v1
.LBB297_886:
	s_mov_b64 s[6:7], 0
.LBB297_887:
	s_andn2_b64 vcc, exec, s[6:7]
	s_cbranch_vccnz .LBB297_889
; %bb.888:
	global_load_ubyte v1, v[2:3], off
	s_movk_i32 s6, 0x7f00
	s_brev_b32 s7, 16
	s_waitcnt vmcnt(0)
	v_lshlrev_b16_e32 v4, 8, v1
	v_lshlrev_b32_e32 v1, 25, v1
	v_lshrrev_b32_e32 v5, 4, v1
	v_and_or_b32 v6, v4, s6, 0.5
	v_or_b32_e32 v5, 0x70000000, v5
	v_add_f32_e32 v6, -0.5, v6
	v_mul_f32_e32 v5, 0x7800000, v5
	v_cmp_gt_u32_e32 vcc, s7, v1
	v_bfe_i32 v4, v4, 0, 16
	s_brev_b32 s6, 1
	v_cndmask_b32_e32 v1, v5, v6, vcc
	v_and_or_b32 v1, v4, s6, v1
	v_cvt_i32_f32_e32 v1, v1
.LBB297_889:
	s_mov_b64 s[6:7], 0
	s_mov_b64 s[8:9], -1
.LBB297_890:
	s_andn2_b64 vcc, exec, s[6:7]
	s_mov_b64 s[6:7], 0
	s_cbranch_vccnz .LBB297_901
; %bb.891:
	s_cmp_gt_i32 s12, 14
	s_cbranch_scc0 .LBB297_894
; %bb.892:
	s_cmp_eq_u32 s12, 15
	s_cbranch_scc0 .LBB297_897
; %bb.893:
	global_load_ushort v1, v[2:3], off
	s_mov_b64 s[4:5], 0
	s_mov_b64 s[8:9], -1
	s_waitcnt vmcnt(0)
	v_lshlrev_b32_e32 v1, 16, v1
	v_cvt_i32_f32_e32 v1, v1
	s_branch .LBB297_898
.LBB297_894:
	s_mov_b64 s[10:11], -1
                                        ; implicit-def: $vgpr1
	s_branch .LBB297_899
.LBB297_895:
	s_andn2_saveexec_b64 s[6:7], s[6:7]
	s_cbranch_execz .LBB297_876
.LBB297_896:
	v_cmp_ne_u16_e32 vcc, 0, v4
	s_andn2_b64 s[8:9], s[8:9], exec
	s_and_b64 s[10:11], vcc, exec
	s_or_b64 s[8:9], s[8:9], s[10:11]
	s_or_b64 exec, exec, s[6:7]
	v_mov_b32_e32 v1, 0
	s_and_saveexec_b64 s[6:7], s[8:9]
	s_cbranch_execnz .LBB297_877
	s_branch .LBB297_878
.LBB297_897:
	s_mov_b64 s[4:5], -1
                                        ; implicit-def: $vgpr1
.LBB297_898:
	s_mov_b64 s[10:11], 0
.LBB297_899:
	s_and_b64 vcc, exec, s[10:11]
	s_cbranch_vccz .LBB297_901
; %bb.900:
	s_cmp_lg_u32 s12, 11
	s_cselect_b64 s[10:11], -1, 0
	s_andn2_b64 s[4:5], s[4:5], exec
	s_and_b64 s[10:11], s[10:11], exec
	s_mov_b64 s[6:7], -1
	s_or_b64 s[4:5], s[4:5], s[10:11]
.LBB297_901:
	s_mov_b64 s[10:11], 0
.LBB297_902:
	s_andn2_b64 s[12:13], s[2:3], exec
	s_and_b64 s[4:5], s[4:5], exec
	s_and_b64 s[8:9], s[8:9], exec
	;; [unrolled: 1-line block ×4, first 2 shown]
	s_or_b64 s[12:13], s[12:13], s[4:5]
.LBB297_903:
	s_or_b64 exec, exec, s[72:73]
	s_and_b64 s[4:5], s[6:7], exec
	s_andn2_b64 s[2:3], s[2:3], exec
	s_and_b64 s[6:7], s[12:13], exec
	s_and_b64 s[8:9], s[8:9], exec
	;; [unrolled: 1-line block ×3, first 2 shown]
	s_or_b64 s[2:3], s[2:3], s[6:7]
.LBB297_904:
	s_or_b64 exec, exec, s[68:69]
	s_andn2_b64 s[6:7], s[64:65], exec
	s_and_b64 s[12:13], s[70:71], exec
	s_or_b64 s[64:65], s[6:7], s[12:13]
	s_and_b64 s[6:7], s[10:11], exec
	s_andn2_b64 s[10:11], s[62:63], exec
	s_and_b64 s[2:3], s[2:3], exec
	s_and_b64 s[8:9], s[8:9], exec
	;; [unrolled: 1-line block ×3, first 2 shown]
	s_or_b64 s[62:63], s[10:11], s[2:3]
.LBB297_905:
	s_or_b64 exec, exec, s[66:67]
	s_andn2_b64 s[2:3], s[56:57], exec
	s_and_b64 s[10:11], s[64:65], exec
	s_or_b64 s[56:57], s[2:3], s[10:11]
	s_and_b64 s[2:3], s[8:9], exec
	s_and_b64 s[8:9], s[6:7], exec
	;; [unrolled: 1-line block ×3, first 2 shown]
	s_andn2_b64 s[4:5], s[58:59], exec
	s_and_b64 s[6:7], s[62:63], exec
	s_or_b64 s[58:59], s[4:5], s[6:7]
	s_or_b64 exec, exec, s[60:61]
	s_mov_b64 s[4:5], 0
	s_and_saveexec_b64 s[6:7], s[58:59]
	s_cbranch_execz .LBB297_272
.LBB297_906:
	s_mov_b64 s[4:5], exec
	s_andn2_b64 s[64:65], s[64:65], exec
	s_trap 2
	s_or_b64 exec, exec, s[6:7]
	s_and_saveexec_b64 s[6:7], s[64:65]
	s_xor_b64 s[6:7], exec, s[6:7]
	s_cbranch_execnz .LBB297_273
.LBB297_907:
	s_or_b64 exec, exec, s[6:7]
	s_and_saveexec_b64 s[6:7], s[8:9]
	s_cbranch_execz .LBB297_953
.LBB297_908:
	s_sext_i32_i16 s8, s76
	s_cmp_lt_i32 s8, 5
	s_cbranch_scc1 .LBB297_913
; %bb.909:
	s_cmp_lt_i32 s8, 8
	s_cbranch_scc1 .LBB297_914
; %bb.910:
	;; [unrolled: 3-line block ×3, first 2 shown]
	s_cmp_gt_i32 s8, 9
	s_cbranch_scc0 .LBB297_916
; %bb.912:
	global_load_dwordx2 v[4:5], v[2:3], off
	s_mov_b64 s[8:9], 0
	s_waitcnt vmcnt(0)
	v_cvt_i32_f64_e32 v1, v[4:5]
	s_branch .LBB297_917
.LBB297_913:
                                        ; implicit-def: $vgpr1
	s_branch .LBB297_934
.LBB297_914:
                                        ; implicit-def: $vgpr1
	s_branch .LBB297_923
.LBB297_915:
	s_mov_b64 s[8:9], -1
                                        ; implicit-def: $vgpr1
	s_branch .LBB297_920
.LBB297_916:
	s_mov_b64 s[8:9], -1
                                        ; implicit-def: $vgpr1
.LBB297_917:
	s_andn2_b64 vcc, exec, s[8:9]
	s_cbranch_vccnz .LBB297_919
; %bb.918:
	global_load_dword v1, v[2:3], off
	s_waitcnt vmcnt(0)
	v_cvt_i32_f32_e32 v1, v1
.LBB297_919:
	s_mov_b64 s[8:9], 0
.LBB297_920:
	s_andn2_b64 vcc, exec, s[8:9]
	s_cbranch_vccnz .LBB297_922
; %bb.921:
	global_load_dword v1, v[2:3], off
	s_waitcnt vmcnt(0)
	v_cvt_f32_f16_e32 v1, v1
	v_cvt_i32_f32_e32 v1, v1
.LBB297_922:
	s_cbranch_execnz .LBB297_933
.LBB297_923:
	s_sext_i32_i16 s8, s76
	s_cmp_lt_i32 s8, 6
	s_cbranch_scc1 .LBB297_926
; %bb.924:
	s_cmp_gt_i32 s8, 6
	s_cbranch_scc0 .LBB297_927
; %bb.925:
	global_load_dwordx2 v[4:5], v[2:3], off
	s_mov_b64 s[8:9], 0
	s_waitcnt vmcnt(0)
	v_cvt_i32_f64_e32 v1, v[4:5]
	s_branch .LBB297_928
.LBB297_926:
	s_mov_b64 s[8:9], -1
                                        ; implicit-def: $vgpr1
	s_branch .LBB297_931
.LBB297_927:
	s_mov_b64 s[8:9], -1
                                        ; implicit-def: $vgpr1
.LBB297_928:
	s_andn2_b64 vcc, exec, s[8:9]
	s_cbranch_vccnz .LBB297_930
; %bb.929:
	global_load_dword v1, v[2:3], off
	s_waitcnt vmcnt(0)
	v_cvt_i32_f32_e32 v1, v1
.LBB297_930:
	s_mov_b64 s[8:9], 0
.LBB297_931:
	s_andn2_b64 vcc, exec, s[8:9]
	s_cbranch_vccnz .LBB297_933
; %bb.932:
	global_load_ushort v1, v[2:3], off
	s_waitcnt vmcnt(0)
	v_cvt_f32_f16_e32 v1, v1
	v_cvt_i32_f32_e32 v1, v1
.LBB297_933:
	s_cbranch_execnz .LBB297_952
.LBB297_934:
	s_sext_i32_i16 s8, s76
	s_cmp_lt_i32 s8, 2
	s_cbranch_scc1 .LBB297_938
; %bb.935:
	s_cmp_lt_i32 s8, 3
	s_cbranch_scc1 .LBB297_939
; %bb.936:
	s_cmp_gt_i32 s8, 3
	s_cbranch_scc0 .LBB297_940
; %bb.937:
	global_load_dword v1, v[2:3], off
	s_mov_b64 s[8:9], 0
	s_branch .LBB297_941
.LBB297_938:
                                        ; implicit-def: $vgpr1
	s_branch .LBB297_947
.LBB297_939:
	s_mov_b64 s[8:9], -1
                                        ; implicit-def: $vgpr1
	s_branch .LBB297_944
.LBB297_940:
	s_mov_b64 s[8:9], -1
                                        ; implicit-def: $vgpr1
.LBB297_941:
	s_andn2_b64 vcc, exec, s[8:9]
	s_cbranch_vccnz .LBB297_943
; %bb.942:
	global_load_dword v1, v[2:3], off
.LBB297_943:
	s_mov_b64 s[8:9], 0
.LBB297_944:
	s_andn2_b64 vcc, exec, s[8:9]
	s_cbranch_vccnz .LBB297_946
; %bb.945:
	global_load_sshort v1, v[2:3], off
.LBB297_946:
	s_cbranch_execnz .LBB297_952
.LBB297_947:
	s_sext_i32_i16 s8, s76
	s_cmp_gt_i32 s8, 0
	s_cbranch_scc0 .LBB297_949
; %bb.948:
	global_load_sbyte v1, v[2:3], off
	s_mov_b64 s[8:9], 0
	s_branch .LBB297_950
.LBB297_949:
	s_mov_b64 s[8:9], -1
                                        ; implicit-def: $vgpr1
.LBB297_950:
	s_andn2_b64 vcc, exec, s[8:9]
	s_cbranch_vccnz .LBB297_952
; %bb.951:
	global_load_ubyte v1, v[2:3], off
.LBB297_952:
	s_or_b64 s[2:3], s[2:3], exec
.LBB297_953:
	s_or_b64 exec, exec, s[6:7]
	s_mov_b64 s[10:11], 0
	s_mov_b64 s[8:9], 0
                                        ; implicit-def: $sgpr16
                                        ; implicit-def: $vgpr4_vgpr5
                                        ; implicit-def: $vgpr2
	s_and_saveexec_b64 s[6:7], s[2:3]
	s_cbranch_execz .LBB297_961
; %bb.954:
	s_waitcnt vmcnt(0)
	v_max_i32_e32 v1, s46, v1
	v_min_i32_e32 v2, s47, v1
	v_mov_b32_e32 v1, 0
	s_and_b32 s16, s75, 0xff
	s_cmp_lt_i32 s16, 11
	v_lshl_add_u64 v[4:5], s[20:21], 0, v[0:1]
	s_cbranch_scc1 .LBB297_964
; %bb.955:
	s_and_b32 s17, 0xffff, s16
	s_mov_b64 s[10:11], -1
	s_cmp_gt_i32 s17, 25
	s_mov_b64 s[2:3], s[56:57]
	s_cbranch_scc0 .LBB297_992
; %bb.956:
	s_mov_b64 s[8:9], -1
	s_cmp_gt_i32 s17, 28
	s_mov_b64 s[2:3], s[56:57]
	s_cbranch_scc0 .LBB297_976
; %bb.957:
	s_cmp_gt_i32 s17, 43
	s_mov_b64 s[2:3], s[56:57]
	s_cbranch_scc0 .LBB297_972
; %bb.958:
	;; [unrolled: 4-line block ×3, first 2 shown]
	s_cmp_eq_u32 s17, 46
	s_mov_b64 s[2:3], -1
	s_cbranch_scc0 .LBB297_965
; %bb.960:
	v_cvt_f32_i32_e32 v0, v2
	s_movk_i32 s2, 0x7fff
	s_mov_b64 s[8:9], 0
	v_bfe_u32 v1, v0, 16, 1
	v_add3_u32 v0, v0, v1, s2
	v_lshrrev_b32_e32 v0, 16, v0
	global_store_dword v[4:5], v0, off
	s_mov_b64 s[2:3], 0
	s_branch .LBB297_966
.LBB297_961:
	s_or_b64 exec, exec, s[6:7]
	s_and_saveexec_b64 s[2:3], s[56:57]
	s_cbranch_execnz .LBB297_1034
.LBB297_962:
	s_or_b64 exec, exec, s[2:3]
	s_and_saveexec_b64 s[2:3], s[10:11]
	s_xor_b64 s[2:3], exec, s[2:3]
	s_cbranch_execz .LBB297_1035
.LBB297_963:
	v_cmp_ne_u32_e32 vcc, 0, v2
	s_nop 1
	v_cndmask_b32_e64 v0, 0, 1, vcc
	global_store_byte v[4:5], v0, off
	s_or_b64 exec, exec, s[2:3]
	s_and_saveexec_b64 s[2:3], s[8:9]
	s_xor_b64 s[2:3], exec, s[2:3]
	s_cbranch_execz .LBB297_1073
	s_branch .LBB297_1036
.LBB297_964:
	s_mov_b64 s[8:9], -1
	s_mov_b64 s[2:3], s[56:57]
	s_branch .LBB297_1033
.LBB297_965:
	s_mov_b64 s[8:9], 0
.LBB297_966:
	s_and_b64 vcc, exec, s[8:9]
	s_cbranch_vccz .LBB297_971
; %bb.967:
	s_cmp_eq_u32 s17, 44
	s_mov_b64 s[2:3], -1
	s_cbranch_scc0 .LBB297_971
; %bb.968:
	v_cvt_f32_i32_e32 v0, v2
	s_movk_i32 s2, 0xff
	v_mov_b32_e32 v3, 0xff
	v_bfe_u32 v1, v0, 23, 8
	v_cmp_ne_u32_e32 vcc, s2, v1
	s_and_saveexec_b64 s[8:9], vcc
; %bb.969:
	s_mov_b32 s2, 0x3fffff
	v_lshrrev_b32_e32 v3, 23, v0
	v_and_b32_e32 v6, 0x400000, v0
	v_and_or_b32 v0, v0, s2, v1
	v_cmp_ne_u32_e32 vcc, 0, v6
	v_cmp_ne_u32_e64 s[2:3], 0, v0
	s_and_b64 s[2:3], vcc, s[2:3]
	s_nop 0
	v_cndmask_b32_e64 v0, 0, 1, s[2:3]
	v_add_u32_e32 v3, v3, v0
; %bb.970:
	s_or_b64 exec, exec, s[8:9]
	s_mov_b64 s[2:3], 0
	global_store_byte v[4:5], v3, off
.LBB297_971:
	s_mov_b64 s[8:9], 0
.LBB297_972:
	s_and_b64 vcc, exec, s[8:9]
	s_cbranch_vccz .LBB297_975
; %bb.973:
	s_cmp_eq_u32 s17, 29
	s_mov_b64 s[2:3], -1
	s_cbranch_scc0 .LBB297_975
; %bb.974:
	v_ashrrev_i32_e32 v3, 31, v2
	global_store_dwordx2 v[4:5], v[2:3], off
	s_mov_b64 s[2:3], 0
.LBB297_975:
	s_mov_b64 s[8:9], 0
.LBB297_976:
	s_and_b64 vcc, exec, s[8:9]
	s_cbranch_vccz .LBB297_991
; %bb.977:
	s_cmp_lt_i32 s17, 27
	s_mov_b64 s[8:9], -1
	s_cbranch_scc1 .LBB297_983
; %bb.978:
	s_cmp_gt_i32 s17, 27
	s_cbranch_scc0 .LBB297_980
; %bb.979:
	s_mov_b64 s[8:9], 0
	global_store_dword v[4:5], v2, off
.LBB297_980:
	s_andn2_b64 vcc, exec, s[8:9]
	s_cbranch_vccnz .LBB297_982
; %bb.981:
	global_store_short v[4:5], v2, off
.LBB297_982:
	s_mov_b64 s[8:9], 0
.LBB297_983:
	s_andn2_b64 vcc, exec, s[8:9]
	s_cbranch_vccnz .LBB297_991
; %bb.984:
	v_cvt_f32_i32_e32 v0, v2
	s_mov_b32 s8, 0x43800000
	v_mov_b32_e32 v3, 0x80
	v_and_b32_e32 v1, 0x7fffffff, v0
	v_cmp_gt_u32_e32 vcc, s8, v1
	s_and_saveexec_b64 s[8:9], vcc
	s_cbranch_execz .LBB297_990
; %bb.985:
	s_mov_b32 s10, 0x3bffffff
	v_cmp_lt_u32_e32 vcc, s10, v1
	s_mov_b64 s[10:11], 0
                                        ; implicit-def: $vgpr1
	s_and_saveexec_b64 s[12:13], vcc
	s_xor_b64 s[12:13], exec, s[12:13]
	s_cbranch_execz .LBB297_1144
; %bb.986:
	v_bfe_u32 v1, v0, 20, 1
	s_mov_b32 s14, 0x487ffff
	v_add3_u32 v1, v0, v1, s14
	s_mov_b64 s[10:11], exec
	v_lshrrev_b32_e32 v1, 20, v1
	s_andn2_saveexec_b64 s[12:13], s[12:13]
	s_cbranch_execnz .LBB297_1145
.LBB297_987:
	s_or_b64 exec, exec, s[12:13]
	v_mov_b32_e32 v3, 0
	s_and_saveexec_b64 s[12:13], s[10:11]
.LBB297_988:
	v_lshrrev_b32_e32 v0, 24, v0
	s_movk_i32 s10, 0x80
	v_and_or_b32 v3, v0, s10, v1
.LBB297_989:
	s_or_b64 exec, exec, s[12:13]
.LBB297_990:
	s_or_b64 exec, exec, s[8:9]
	global_store_byte v[4:5], v3, off
.LBB297_991:
	s_mov_b64 s[10:11], 0
.LBB297_992:
	s_mov_b64 s[8:9], 0
	s_and_b64 vcc, exec, s[10:11]
	s_cbranch_vccz .LBB297_1032
; %bb.993:
	s_cmp_gt_i32 s17, 22
	s_mov_b64 s[10:11], -1
	s_cbranch_scc0 .LBB297_1025
; %bb.994:
	s_cmp_lt_i32 s17, 24
	s_cbranch_scc1 .LBB297_1014
; %bb.995:
	s_cmp_gt_i32 s17, 24
	s_cbranch_scc0 .LBB297_1003
; %bb.996:
	v_cvt_f32_i32_e32 v0, v2
	s_mov_b32 s10, 0x47800000
	v_mov_b32_e32 v3, 0x80
	v_and_b32_e32 v1, 0x7fffffff, v0
	v_cmp_gt_u32_e32 vcc, s10, v1
	s_and_saveexec_b64 s[10:11], vcc
	s_cbranch_execz .LBB297_1002
; %bb.997:
	s_mov_b32 s12, 0x37ffffff
	v_cmp_lt_u32_e32 vcc, s12, v1
	s_mov_b64 s[12:13], 0
                                        ; implicit-def: $vgpr1
	s_and_saveexec_b64 s[14:15], vcc
	s_xor_b64 s[14:15], exec, s[14:15]
	s_cbranch_execz .LBB297_1264
; %bb.998:
	v_bfe_u32 v1, v0, 21, 1
	s_mov_b32 s18, 0x88fffff
	v_add3_u32 v1, v0, v1, s18
	s_mov_b64 s[12:13], exec
	v_lshrrev_b32_e32 v1, 21, v1
	s_andn2_saveexec_b64 s[14:15], s[14:15]
	s_cbranch_execnz .LBB297_1265
.LBB297_999:
	s_or_b64 exec, exec, s[14:15]
	v_mov_b32_e32 v3, 0
	s_and_saveexec_b64 s[14:15], s[12:13]
.LBB297_1000:
	v_lshrrev_b32_e32 v0, 24, v0
	s_movk_i32 s12, 0x80
	v_and_or_b32 v3, v0, s12, v1
.LBB297_1001:
	s_or_b64 exec, exec, s[14:15]
.LBB297_1002:
	s_or_b64 exec, exec, s[10:11]
	s_mov_b64 s[10:11], 0
	global_store_byte v[4:5], v3, off
.LBB297_1003:
	s_and_b64 vcc, exec, s[10:11]
	s_cbranch_vccz .LBB297_1013
; %bb.1004:
	v_cvt_f32_i32_e32 v0, v2
	s_mov_b32 s10, 0x43f00000
                                        ; implicit-def: $vgpr1
	v_and_b32_e32 v3, 0x7fffffff, v0
	v_cmp_gt_u32_e32 vcc, s10, v3
	s_and_saveexec_b64 s[10:11], vcc
	s_xor_b64 s[10:11], exec, s[10:11]
	s_cbranch_execz .LBB297_1010
; %bb.1005:
	s_mov_b32 s12, 0x3c7fffff
	v_cmp_lt_u32_e32 vcc, s12, v3
                                        ; implicit-def: $vgpr1
	s_and_saveexec_b64 s[12:13], vcc
	s_xor_b64 s[12:13], exec, s[12:13]
; %bb.1006:
	v_bfe_u32 v1, v0, 20, 1
	s_mov_b32 s14, 0x407ffff
	v_add3_u32 v1, v0, v1, s14
	v_lshrrev_b32_e32 v3, 20, v1
	v_and_b32_e32 v1, 0xff00000, v1
	s_mov_b32 s14, 0x7f00000
	v_mov_b32_e32 v6, 0x7e
	v_cmp_ne_u32_e32 vcc, s14, v1
	s_nop 1
	v_cndmask_b32_e32 v1, v6, v3, vcc
; %bb.1007:
	s_andn2_saveexec_b64 s[12:13], s[12:13]
; %bb.1008:
	s_mov_b32 s14, 0x46800000
	v_add_f32_e64 v1, |v0|, s14
; %bb.1009:
	s_or_b64 exec, exec, s[12:13]
                                        ; implicit-def: $vgpr3
.LBB297_1010:
	s_andn2_saveexec_b64 s[10:11], s[10:11]
; %bb.1011:
	s_mov_b32 s12, 0x7f800000
	v_mov_b32_e32 v1, 0x7e
	v_mov_b32_e32 v6, 0x7f
	v_cmp_lt_u32_e32 vcc, s12, v3
	s_nop 1
	v_cndmask_b32_e32 v1, v1, v6, vcc
; %bb.1012:
	s_or_b64 exec, exec, s[10:11]
	v_lshrrev_b32_e32 v0, 24, v0
	s_movk_i32 s10, 0x80
	v_and_or_b32 v0, v0, s10, v1
	global_store_byte v[4:5], v0, off
.LBB297_1013:
	s_mov_b64 s[10:11], 0
.LBB297_1014:
	s_andn2_b64 vcc, exec, s[10:11]
	s_cbranch_vccnz .LBB297_1024
; %bb.1015:
	v_cvt_f32_i32_e32 v0, v2
	s_mov_b32 s10, 0x47800000
                                        ; implicit-def: $vgpr1
	v_and_b32_e32 v3, 0x7fffffff, v0
	v_cmp_gt_u32_e32 vcc, s10, v3
	s_and_saveexec_b64 s[10:11], vcc
	s_xor_b64 s[10:11], exec, s[10:11]
	s_cbranch_execz .LBB297_1021
; %bb.1016:
	s_mov_b32 s12, 0x387fffff
	v_cmp_lt_u32_e32 vcc, s12, v3
                                        ; implicit-def: $vgpr1
	s_and_saveexec_b64 s[12:13], vcc
	s_xor_b64 s[12:13], exec, s[12:13]
; %bb.1017:
	v_bfe_u32 v1, v0, 21, 1
	s_mov_b32 s14, 0x80fffff
	v_add3_u32 v1, v0, v1, s14
	v_lshrrev_b32_e32 v1, 21, v1
; %bb.1018:
	s_andn2_saveexec_b64 s[12:13], s[12:13]
; %bb.1019:
	s_mov_b32 s14, 0x43000000
	v_add_f32_e64 v1, |v0|, s14
; %bb.1020:
	s_or_b64 exec, exec, s[12:13]
                                        ; implicit-def: $vgpr3
.LBB297_1021:
	s_andn2_saveexec_b64 s[10:11], s[10:11]
; %bb.1022:
	s_mov_b32 s12, 0x7f800000
	v_mov_b32_e32 v1, 0x7c
	v_mov_b32_e32 v6, 0x7f
	v_cmp_lt_u32_e32 vcc, s12, v3
	s_nop 1
	v_cndmask_b32_e32 v1, v1, v6, vcc
; %bb.1023:
	s_or_b64 exec, exec, s[10:11]
	v_lshrrev_b32_e32 v0, 24, v0
	s_movk_i32 s10, 0x80
	v_and_or_b32 v0, v0, s10, v1
	global_store_byte v[4:5], v0, off
.LBB297_1024:
	s_mov_b64 s[10:11], 0
.LBB297_1025:
	s_andn2_b64 vcc, exec, s[10:11]
	s_mov_b64 s[10:11], 0
	s_cbranch_vccnz .LBB297_1033
; %bb.1026:
	s_cmp_gt_i32 s17, 14
	s_mov_b64 s[12:13], -1
	s_cbranch_scc0 .LBB297_1030
; %bb.1027:
	s_cmp_eq_u32 s17, 15
	s_mov_b64 s[2:3], -1
	s_cbranch_scc0 .LBB297_1029
; %bb.1028:
	v_cvt_f32_i32_e32 v0, v2
	s_movk_i32 s2, 0x7fff
	v_bfe_u32 v1, v0, 16, 1
	v_add3_u32 v0, v0, v1, s2
	global_store_short_d16_hi v[4:5], v0, off
	s_mov_b64 s[2:3], 0
.LBB297_1029:
	s_mov_b64 s[12:13], 0
.LBB297_1030:
	s_and_b64 vcc, exec, s[12:13]
	s_cbranch_vccz .LBB297_1033
; %bb.1031:
	s_cmp_lg_u32 s17, 11
	s_cselect_b64 s[12:13], -1, 0
	s_andn2_b64 s[2:3], s[2:3], exec
	s_and_b64 s[12:13], s[12:13], exec
	s_mov_b64 s[10:11], -1
	s_or_b64 s[2:3], s[2:3], s[12:13]
	s_branch .LBB297_1033
.LBB297_1032:
	s_mov_b64 s[10:11], 0
.LBB297_1033:
	s_andn2_b64 s[12:13], s[56:57], exec
	s_and_b64 s[2:3], s[2:3], exec
	s_and_b64 s[8:9], s[8:9], exec
	;; [unrolled: 1-line block ×3, first 2 shown]
	s_or_b64 s[56:57], s[12:13], s[2:3]
	s_or_b64 exec, exec, s[6:7]
	s_and_saveexec_b64 s[2:3], s[56:57]
	s_cbranch_execz .LBB297_962
.LBB297_1034:
	s_or_b64 s[4:5], s[4:5], exec
	s_andn2_b64 s[10:11], s[10:11], exec
	s_trap 2
	s_or_b64 exec, exec, s[2:3]
	s_and_saveexec_b64 s[2:3], s[10:11]
	s_xor_b64 s[2:3], exec, s[2:3]
	s_cbranch_execnz .LBB297_963
.LBB297_1035:
	s_or_b64 exec, exec, s[2:3]
	s_and_saveexec_b64 s[2:3], s[8:9]
	s_xor_b64 s[2:3], exec, s[2:3]
	s_cbranch_execz .LBB297_1073
.LBB297_1036:
	s_sext_i32_i16 s8, s16
	s_cmp_lt_i32 s8, 5
	s_mov_b64 s[6:7], -1
	s_cbranch_scc1 .LBB297_1057
; %bb.1037:
	s_cmp_lt_i32 s8, 8
	s_cbranch_scc1 .LBB297_1047
; %bb.1038:
	s_cmp_lt_i32 s8, 9
	s_cbranch_scc1 .LBB297_1044
; %bb.1039:
	s_cmp_gt_i32 s8, 9
	s_cbranch_scc0 .LBB297_1041
; %bb.1040:
	v_mov_b32_e32 v8, 0
	v_cvt_f64_i32_e32 v[6:7], v2
	v_mov_b32_e32 v9, v8
	s_mov_b64 s[6:7], 0
	global_store_dwordx4 v[4:5], v[6:9], off
.LBB297_1041:
	s_andn2_b64 vcc, exec, s[6:7]
	s_cbranch_vccnz .LBB297_1043
; %bb.1042:
	v_cvt_f32_i32_e32 v0, v2
	s_waitcnt vmcnt(0)
	v_mov_b32_e32 v1, 0
	global_store_dwordx2 v[4:5], v[0:1], off
.LBB297_1043:
	s_mov_b64 s[6:7], 0
.LBB297_1044:
	s_andn2_b64 vcc, exec, s[6:7]
	s_cbranch_vccnz .LBB297_1046
; %bb.1045:
	v_cvt_f32_i32_e32 v0, v2
	v_cvt_f16_f32_e32 v0, v0
	global_store_dword v[4:5], v0, off
.LBB297_1046:
	s_mov_b64 s[6:7], 0
.LBB297_1047:
	s_andn2_b64 vcc, exec, s[6:7]
	s_cbranch_vccnz .LBB297_1056
; %bb.1048:
	s_sext_i32_i16 s8, s16
	s_cmp_lt_i32 s8, 6
	s_mov_b64 s[6:7], -1
	s_cbranch_scc1 .LBB297_1054
; %bb.1049:
	s_cmp_gt_i32 s8, 6
	s_cbranch_scc0 .LBB297_1051
; %bb.1050:
	s_waitcnt vmcnt(0)
	v_cvt_f64_i32_e32 v[0:1], v2
	s_mov_b64 s[6:7], 0
	global_store_dwordx2 v[4:5], v[0:1], off
.LBB297_1051:
	s_andn2_b64 vcc, exec, s[6:7]
	s_cbranch_vccnz .LBB297_1053
; %bb.1052:
	v_cvt_f32_i32_e32 v0, v2
	global_store_dword v[4:5], v0, off
.LBB297_1053:
	s_mov_b64 s[6:7], 0
.LBB297_1054:
	s_andn2_b64 vcc, exec, s[6:7]
	s_cbranch_vccnz .LBB297_1056
; %bb.1055:
	v_cvt_f32_i32_e32 v0, v2
	v_cvt_f16_f32_e32 v0, v0
	global_store_short v[4:5], v0, off
.LBB297_1056:
	s_mov_b64 s[6:7], 0
.LBB297_1057:
	s_andn2_b64 vcc, exec, s[6:7]
	s_cbranch_vccnz .LBB297_1073
; %bb.1058:
	s_sext_i32_i16 s8, s16
	s_cmp_lt_i32 s8, 2
	s_mov_b64 s[6:7], -1
	s_cbranch_scc1 .LBB297_1068
; %bb.1059:
	s_cmp_lt_i32 s8, 3
	s_cbranch_scc1 .LBB297_1065
; %bb.1060:
	s_cmp_gt_i32 s8, 3
	s_cbranch_scc0 .LBB297_1062
; %bb.1061:
	v_ashrrev_i32_e32 v3, 31, v2
	s_mov_b64 s[6:7], 0
	global_store_dwordx2 v[4:5], v[2:3], off
.LBB297_1062:
	s_andn2_b64 vcc, exec, s[6:7]
	s_cbranch_vccnz .LBB297_1064
; %bb.1063:
	global_store_dword v[4:5], v2, off
.LBB297_1064:
	s_mov_b64 s[6:7], 0
.LBB297_1065:
	s_andn2_b64 vcc, exec, s[6:7]
	s_cbranch_vccnz .LBB297_1067
; %bb.1066:
	global_store_short v[4:5], v2, off
.LBB297_1067:
	s_mov_b64 s[6:7], 0
.LBB297_1068:
	s_andn2_b64 vcc, exec, s[6:7]
	s_cbranch_vccnz .LBB297_1073
; %bb.1069:
	s_sext_i32_i16 s6, s16
	s_cmp_gt_i32 s6, 0
	s_mov_b64 s[6:7], -1
	s_cbranch_scc0 .LBB297_1071
; %bb.1070:
	s_mov_b64 s[6:7], 0
	global_store_byte v[4:5], v2, off
.LBB297_1071:
	s_andn2_b64 vcc, exec, s[6:7]
	s_cbranch_vccnz .LBB297_1073
; %bb.1072:
	global_store_byte v[4:5], v2, off
.LBB297_1073:
	s_or_b64 exec, exec, s[2:3]
	s_and_b64 s[24:25], s[4:5], exec
                                        ; implicit-def: $vgpr16
                                        ; implicit-def: $vgpr8
.LBB297_1074:
	s_or_saveexec_b64 s[26:27], s[44:45]
	s_mov_b64 s[6:7], 0
                                        ; implicit-def: $vgpr0_vgpr1
                                        ; implicit-def: $sgpr16
                                        ; implicit-def: $vgpr2
	s_xor_b64 exec, exec, s[26:27]
	s_cbranch_execz .LBB297_2061
; %bb.1075:
	v_cndmask_b32_e64 v0, 0, 1, s[42:43]
	v_cmp_ne_u32_e64 s[2:3], 1, v0
	s_andn2_b64 vcc, exec, s[42:43]
	s_cbranch_vccnz .LBB297_1081
; %bb.1076:
	s_cmp_lg_u32 s33, 0
	s_mov_b32 s36, 0
	s_cbranch_scc0 .LBB297_1082
; %bb.1077:
	s_min_u32 s37, s74, 15
	s_add_i32 s37, s37, 1
	s_cmp_eq_u32 s74, 2
	s_cbranch_scc1 .LBB297_1083
; %bb.1078:
	s_and_b32 s36, s37, 28
	s_add_u32 s28, s34, 0xc4
	s_addc_u32 s29, s35, 0
	s_mov_b32 s38, 0
	v_mov_b32_e32 v6, 0
	v_mov_b32_e32 v14, 0
	s_mov_b64 s[30:31], s[34:35]
	v_mov_b32_e32 v0, v8
.LBB297_1079:                           ; =>This Inner Loop Header: Depth=1
	s_load_dwordx8 s[12:19], s[30:31], 0x4
	s_load_dwordx4 s[20:23], s[30:31], 0x24
	s_load_dwordx8 s[4:11], s[28:29], 0x0
	s_add_u32 s30, s30, 48
	s_addc_u32 s31, s31, 0
	s_waitcnt vmcnt(0) lgkmcnt(0)
	v_mul_hi_u32 v1, s13, v0
	v_add_u32_e32 v1, v0, v1
	v_lshrrev_b32_e32 v1, s14, v1
	v_mul_lo_u32 v2, v1, s12
	v_mul_hi_u32 v3, s16, v1
	v_sub_u32_e32 v0, v0, v2
	v_add_u32_e32 v2, v1, v3
	v_lshrrev_b32_e32 v2, s17, v2
	v_mul_lo_u32 v4, v2, s15
	v_mul_hi_u32 v5, s19, v2
	v_sub_u32_e32 v1, v1, v4
	v_add_u32_e32 v4, v2, v5
	v_mul_lo_u32 v3, v0, s5
	v_mul_lo_u32 v0, v0, s4
	v_mul_lo_u32 v5, v1, s7
	v_mul_lo_u32 v1, v1, s6
	v_lshrrev_b32_e32 v4, s20, v4
	v_add3_u32 v1, v0, v6, v1
	v_add3_u32 v3, v3, v14, v5
	v_mul_lo_u32 v0, v4, s18
	v_mul_hi_u32 v5, s22, v4
	v_sub_u32_e32 v0, v2, v0
	v_add_u32_e32 v2, v4, v5
	v_mul_lo_u32 v5, v0, s8
	v_mul_lo_u32 v6, v0, s9
	v_lshrrev_b32_e32 v0, s23, v2
	s_add_i32 s38, s38, 4
	v_mul_lo_u32 v2, v0, s21
	s_add_u32 s28, s28, 32
	v_sub_u32_e32 v2, v4, v2
	s_addc_u32 s29, s29, 0
	v_mul_lo_u32 v4, v2, s10
	v_mul_lo_u32 v2, v2, s11
	s_cmp_lg_u32 s36, s38
	v_add3_u32 v14, v6, v3, v2
	v_add3_u32 v6, v5, v1, v4
	s_cbranch_scc1 .LBB297_1079
; %bb.1080:
	v_mov_b32_e32 v1, v14
	s_and_b32 s8, s37, 3
	s_cmp_eq_u32 s8, 0
	s_cbranch_scc0 .LBB297_1084
	s_branch .LBB297_1086
.LBB297_1081:
                                        ; implicit-def: $vgpr14
                                        ; implicit-def: $vgpr6
	s_branch .LBB297_1087
.LBB297_1082:
	v_mov_b32_e32 v14, 0
	v_mov_b32_e32 v6, 0
	s_branch .LBB297_1086
.LBB297_1083:
	v_mov_b32_e32 v6, 0
                                        ; implicit-def: $vgpr14
	s_waitcnt vmcnt(0)
	v_mov_b32_e32 v1, v6
	v_mov_b32_e32 v0, v8
	s_and_b32 s8, s37, 3
	s_cmp_eq_u32 s8, 0
	s_cbranch_scc1 .LBB297_1086
.LBB297_1084:
	s_lshl_b32 s4, s36, 3
	s_add_u32 s4, s34, s4
	s_addc_u32 s5, s35, 0
	s_add_u32 s4, s4, 0xc4
	s_addc_u32 s5, s5, 0
	s_mul_i32 s6, s36, 12
	s_add_u32 s6, s34, s6
	s_addc_u32 s7, s35, 0
.LBB297_1085:                           ; =>This Inner Loop Header: Depth=1
	s_load_dwordx2 s[10:11], s[6:7], 0x4
	s_load_dword s9, s[6:7], 0xc
	s_load_dwordx2 s[12:13], s[4:5], 0x0
	v_mov_b32_e32 v2, v1
	s_add_u32 s6, s6, 12
	s_waitcnt lgkmcnt(0)
	v_mul_hi_u32 v1, s11, v0
	v_add_u32_e32 v1, v0, v1
	v_lshrrev_b32_e32 v1, s9, v1
	s_addc_u32 s7, s7, 0
	v_mul_lo_u32 v3, v1, s10
	s_add_u32 s4, s4, 8
	v_sub_u32_e32 v3, v0, v3
	s_addc_u32 s5, s5, 0
	s_add_i32 s8, s8, -1
	v_mad_u64_u32 v[14:15], s[10:11], v3, s13, v[2:3]
	s_cmp_lg_u32 s8, 0
	v_mov_b32_e32 v0, v1
	v_mad_u64_u32 v[6:7], s[10:11], v3, s12, v[6:7]
	v_mov_b32_e32 v1, v14
	s_cbranch_scc1 .LBB297_1085
.LBB297_1086:
	s_cbranch_execnz .LBB297_1089
.LBB297_1087:
	s_load_dwordx4 s[4:7], s[34:35], 0x4
	s_load_dwordx2 s[8:9], s[34:35], 0xc4
	s_cmp_lt_u32 s33, 2
	s_waitcnt lgkmcnt(0)
	v_mul_hi_u32 v0, s5, v8
	v_add_u32_e32 v0, v8, v0
	v_lshrrev_b32_e32 v0, s6, v0
	s_waitcnt vmcnt(0)
	v_mul_lo_u32 v1, v0, s4
	v_sub_u32_e32 v1, v8, v1
	v_mul_lo_u32 v14, v1, s9
	v_mul_lo_u32 v6, v1, s8
	s_cbranch_scc1 .LBB297_1089
; %bb.1088:
	s_load_dwordx4 s[4:7], s[34:35], 0x10
	s_load_dwordx2 s[8:9], s[34:35], 0xcc
	s_waitcnt lgkmcnt(0)
	v_mul_hi_u32 v1, s5, v0
	v_add_u32_e32 v1, v0, v1
	v_lshrrev_b32_e32 v1, s6, v1
	v_mul_lo_u32 v1, v1, s4
	v_sub_u32_e32 v0, v0, v1
	v_mad_u64_u32 v[6:7], s[4:5], v0, s8, v[6:7]
	v_mad_u64_u32 v[14:15], s[4:5], v0, s9, v[14:15]
.LBB297_1089:
	s_and_b64 vcc, exec, s[2:3]
	v_add_u32_e32 v0, 0x80, v8
	s_cbranch_vccnz .LBB297_1095
; %bb.1090:
	s_cmp_lg_u32 s33, 0
	s_mov_b32 s36, 0
	s_cbranch_scc0 .LBB297_1096
; %bb.1091:
	s_min_u32 s37, s74, 15
	s_add_i32 s37, s37, 1
	s_cmp_eq_u32 s74, 2
	s_cbranch_scc1 .LBB297_1097
; %bb.1092:
	s_and_b32 s36, s37, 28
	s_add_u32 s28, s34, 0xc4
	s_addc_u32 s29, s35, 0
	s_mov_b32 s38, 0
	v_mov_b32_e32 v4, 0
	v_mov_b32_e32 v12, 0
	s_mov_b64 s[30:31], s[34:35]
	v_mov_b32_e32 v2, v0
.LBB297_1093:                           ; =>This Inner Loop Header: Depth=1
	s_load_dwordx8 s[12:19], s[30:31], 0x4
	s_load_dwordx4 s[20:23], s[30:31], 0x24
	s_load_dwordx8 s[4:11], s[28:29], 0x0
	s_add_u32 s30, s30, 48
	s_addc_u32 s31, s31, 0
	s_waitcnt vmcnt(0) lgkmcnt(0)
	v_mul_hi_u32 v1, s13, v2
	v_add_u32_e32 v1, v2, v1
	v_lshrrev_b32_e32 v1, s14, v1
	v_mul_lo_u32 v3, v1, s12
	v_mul_hi_u32 v5, s16, v1
	v_sub_u32_e32 v2, v2, v3
	v_add_u32_e32 v3, v1, v5
	v_lshrrev_b32_e32 v3, s17, v3
	v_mul_lo_u32 v7, v3, s15
	v_mul_hi_u32 v9, s19, v3
	v_sub_u32_e32 v1, v1, v7
	v_add_u32_e32 v7, v3, v9
	v_mul_lo_u32 v5, v2, s5
	v_mul_lo_u32 v2, v2, s4
	;; [unrolled: 1-line block ×4, first 2 shown]
	v_lshrrev_b32_e32 v7, s20, v7
	v_add3_u32 v1, v2, v4, v1
	v_add3_u32 v4, v5, v12, v9
	v_mul_lo_u32 v2, v7, s18
	v_mul_hi_u32 v5, s22, v7
	v_sub_u32_e32 v2, v3, v2
	v_add_u32_e32 v3, v7, v5
	v_mul_lo_u32 v5, v2, s8
	v_mul_lo_u32 v9, v2, s9
	v_lshrrev_b32_e32 v2, s23, v3
	s_add_i32 s38, s38, 4
	v_mul_lo_u32 v3, v2, s21
	s_add_u32 s28, s28, 32
	v_sub_u32_e32 v3, v7, v3
	s_addc_u32 s29, s29, 0
	v_mul_lo_u32 v7, v3, s10
	v_mul_lo_u32 v3, v3, s11
	s_cmp_lg_u32 s36, s38
	v_add3_u32 v12, v9, v4, v3
	v_add3_u32 v4, v5, v1, v7
	s_cbranch_scc1 .LBB297_1093
; %bb.1094:
	v_mov_b32_e32 v1, v12
	s_and_b32 s8, s37, 3
	s_cmp_eq_u32 s8, 0
	s_cbranch_scc0 .LBB297_1098
	s_branch .LBB297_1100
.LBB297_1095:
                                        ; implicit-def: $vgpr12
                                        ; implicit-def: $vgpr4
	s_branch .LBB297_1101
.LBB297_1096:
	v_mov_b32_e32 v12, 0
	v_mov_b32_e32 v4, 0
	s_branch .LBB297_1100
.LBB297_1097:
	v_mov_b32_e32 v4, 0
                                        ; implicit-def: $vgpr12
	s_waitcnt vmcnt(0)
	v_mov_b32_e32 v1, v4
	v_mov_b32_e32 v2, v0
	s_and_b32 s8, s37, 3
	s_cmp_eq_u32 s8, 0
	s_cbranch_scc1 .LBB297_1100
.LBB297_1098:
	s_lshl_b32 s4, s36, 3
	s_add_u32 s4, s34, s4
	s_addc_u32 s5, s35, 0
	s_add_u32 s4, s4, 0xc4
	s_addc_u32 s5, s5, 0
	s_mul_i32 s6, s36, 12
	s_add_u32 s6, s34, s6
	s_addc_u32 s7, s35, 0
.LBB297_1099:                           ; =>This Inner Loop Header: Depth=1
	s_load_dwordx2 s[10:11], s[6:7], 0x4
	s_load_dword s9, s[6:7], 0xc
	s_load_dwordx2 s[12:13], s[4:5], 0x0
	v_mov_b32_e32 v10, v1
	s_add_u32 s6, s6, 12
	s_waitcnt lgkmcnt(0)
	v_mul_hi_u32 v1, s11, v2
	v_add_u32_e32 v1, v2, v1
	v_lshrrev_b32_e32 v1, s9, v1
	s_addc_u32 s7, s7, 0
	v_mul_lo_u32 v3, v1, s10
	s_add_u32 s4, s4, 8
	v_sub_u32_e32 v3, v2, v3
	s_addc_u32 s5, s5, 0
	s_add_i32 s8, s8, -1
	v_mad_u64_u32 v[12:13], s[10:11], v3, s13, v[10:11]
	s_cmp_lg_u32 s8, 0
	v_mov_b32_e32 v2, v1
	v_mad_u64_u32 v[4:5], s[10:11], v3, s12, v[4:5]
	v_mov_b32_e32 v1, v12
	s_cbranch_scc1 .LBB297_1099
.LBB297_1100:
	s_cbranch_execnz .LBB297_1103
.LBB297_1101:
	s_load_dwordx4 s[4:7], s[34:35], 0x4
	s_load_dwordx2 s[8:9], s[34:35], 0xc4
	s_cmp_lt_u32 s33, 2
	s_waitcnt vmcnt(0) lgkmcnt(0)
	v_mul_hi_u32 v1, s5, v0
	v_add_u32_e32 v1, v0, v1
	v_lshrrev_b32_e32 v1, s6, v1
	v_mul_lo_u32 v2, v1, s4
	v_sub_u32_e32 v0, v0, v2
	v_mul_lo_u32 v12, v0, s9
	v_mul_lo_u32 v4, v0, s8
	s_cbranch_scc1 .LBB297_1103
; %bb.1102:
	s_load_dwordx4 s[4:7], s[34:35], 0x10
	s_load_dwordx2 s[8:9], s[34:35], 0xcc
	s_waitcnt lgkmcnt(0)
	v_mul_hi_u32 v0, s5, v1
	v_add_u32_e32 v0, v1, v0
	v_lshrrev_b32_e32 v0, s6, v0
	v_mul_lo_u32 v0, v0, s4
	v_sub_u32_e32 v0, v1, v0
	v_mad_u64_u32 v[4:5], s[4:5], v0, s8, v[4:5]
	v_mad_u64_u32 v[12:13], s[4:5], v0, s9, v[12:13]
.LBB297_1103:
	s_and_b64 vcc, exec, s[2:3]
	v_add_u32_e32 v0, 0x100, v8
	s_cbranch_vccnz .LBB297_1109
; %bb.1104:
	s_cmp_lg_u32 s33, 0
	s_mov_b32 s36, 0
	s_cbranch_scc0 .LBB297_1110
; %bb.1105:
	s_min_u32 s37, s74, 15
	s_add_i32 s37, s37, 1
	s_cmp_eq_u32 s74, 2
	s_cbranch_scc1 .LBB297_1111
; %bb.1106:
	s_and_b32 s36, s37, 28
	s_add_u32 s28, s34, 0xc4
	s_addc_u32 s29, s35, 0
	s_mov_b32 s38, 0
	v_mov_b32_e32 v2, 0
	v_mov_b32_e32 v10, 0
	s_mov_b64 s[30:31], s[34:35]
	v_mov_b32_e32 v5, v0
.LBB297_1107:                           ; =>This Inner Loop Header: Depth=1
	s_load_dwordx8 s[12:19], s[30:31], 0x4
	s_load_dwordx4 s[20:23], s[30:31], 0x24
	s_load_dwordx8 s[4:11], s[28:29], 0x0
	s_add_u32 s30, s30, 48
	s_addc_u32 s31, s31, 0
	s_waitcnt vmcnt(0) lgkmcnt(0)
	v_mul_hi_u32 v1, s13, v5
	v_add_u32_e32 v1, v5, v1
	v_lshrrev_b32_e32 v1, s14, v1
	v_mul_lo_u32 v3, v1, s12
	v_mul_hi_u32 v7, s16, v1
	v_sub_u32_e32 v3, v5, v3
	v_add_u32_e32 v5, v1, v7
	v_lshrrev_b32_e32 v5, s17, v5
	v_mul_lo_u32 v8, v5, s15
	v_mul_hi_u32 v9, s19, v5
	v_sub_u32_e32 v1, v1, v8
	v_add_u32_e32 v8, v5, v9
	v_mul_lo_u32 v7, v3, s5
	v_mul_lo_u32 v3, v3, s4
	v_mul_lo_u32 v9, v1, s7
	v_mul_lo_u32 v1, v1, s6
	v_lshrrev_b32_e32 v8, s20, v8
	v_add3_u32 v1, v3, v2, v1
	v_add3_u32 v2, v7, v10, v9
	v_mul_lo_u32 v3, v8, s18
	v_mul_hi_u32 v7, s22, v8
	v_sub_u32_e32 v3, v5, v3
	v_add_u32_e32 v5, v8, v7
	v_lshrrev_b32_e32 v5, s23, v5
	s_add_i32 s38, s38, 4
	v_mul_lo_u32 v9, v5, s21
	s_add_u32 s28, s28, 32
	v_sub_u32_e32 v8, v8, v9
	s_addc_u32 s29, s29, 0
	v_mul_lo_u32 v7, v3, s8
	v_mul_lo_u32 v3, v3, s9
	;; [unrolled: 1-line block ×4, first 2 shown]
	s_cmp_lg_u32 s36, s38
	v_add3_u32 v10, v3, v2, v8
	v_add3_u32 v2, v7, v1, v9
	s_cbranch_scc1 .LBB297_1107
; %bb.1108:
	v_mov_b32_e32 v1, v10
	s_and_b32 s8, s37, 3
	s_cmp_eq_u32 s8, 0
	s_cbranch_scc0 .LBB297_1112
	s_branch .LBB297_1114
.LBB297_1109:
                                        ; implicit-def: $vgpr10
                                        ; implicit-def: $vgpr2
	s_branch .LBB297_1115
.LBB297_1110:
	v_mov_b32_e32 v10, 0
	v_mov_b32_e32 v2, 0
	s_branch .LBB297_1114
.LBB297_1111:
	v_mov_b32_e32 v2, 0
                                        ; implicit-def: $vgpr10
	s_waitcnt vmcnt(0)
	v_mov_b32_e32 v1, v2
	v_mov_b32_e32 v5, v0
	s_and_b32 s8, s37, 3
	s_cmp_eq_u32 s8, 0
	s_cbranch_scc1 .LBB297_1114
.LBB297_1112:
	s_lshl_b32 s4, s36, 3
	s_add_u32 s4, s34, s4
	s_addc_u32 s5, s35, 0
	s_add_u32 s4, s4, 0xc4
	s_addc_u32 s5, s5, 0
	s_mul_i32 s6, s36, 12
	s_add_u32 s6, s34, s6
	s_addc_u32 s7, s35, 0
.LBB297_1113:                           ; =>This Inner Loop Header: Depth=1
	s_load_dwordx2 s[10:11], s[6:7], 0x4
	s_load_dword s9, s[6:7], 0xc
	s_load_dwordx2 s[12:13], s[4:5], 0x0
	v_mov_b32_e32 v8, v1
	s_add_u32 s6, s6, 12
	s_waitcnt lgkmcnt(0)
	v_mul_hi_u32 v1, s11, v5
	v_add_u32_e32 v1, v5, v1
	v_lshrrev_b32_e32 v1, s9, v1
	s_addc_u32 s7, s7, 0
	v_mul_lo_u32 v3, v1, s10
	s_add_u32 s4, s4, 8
	v_sub_u32_e32 v3, v5, v3
	s_addc_u32 s5, s5, 0
	s_add_i32 s8, s8, -1
	v_mad_u64_u32 v[10:11], s[10:11], v3, s13, v[8:9]
	s_cmp_lg_u32 s8, 0
	v_mov_b32_e32 v5, v1
	v_mad_u64_u32 v[2:3], s[10:11], v3, s12, v[2:3]
	v_mov_b32_e32 v1, v10
	s_cbranch_scc1 .LBB297_1113
.LBB297_1114:
	s_cbranch_execnz .LBB297_1117
.LBB297_1115:
	s_load_dwordx4 s[4:7], s[34:35], 0x4
	s_load_dwordx2 s[8:9], s[34:35], 0xc4
	s_cmp_lt_u32 s33, 2
	s_waitcnt vmcnt(0) lgkmcnt(0)
	v_mul_hi_u32 v1, s5, v0
	v_add_u32_e32 v1, v0, v1
	v_lshrrev_b32_e32 v1, s6, v1
	v_mul_lo_u32 v2, v1, s4
	v_sub_u32_e32 v0, v0, v2
	v_mul_lo_u32 v10, v0, s9
	v_mul_lo_u32 v2, v0, s8
	s_cbranch_scc1 .LBB297_1117
; %bb.1116:
	s_load_dwordx4 s[4:7], s[34:35], 0x10
	s_load_dwordx2 s[8:9], s[34:35], 0xcc
	s_waitcnt lgkmcnt(0)
	v_mul_hi_u32 v0, s5, v1
	v_add_u32_e32 v0, v1, v0
	v_lshrrev_b32_e32 v0, s6, v0
	v_mul_lo_u32 v0, v0, s4
	v_sub_u32_e32 v0, v1, v0
	v_mad_u64_u32 v[2:3], s[4:5], v0, s8, v[2:3]
	v_mad_u64_u32 v[10:11], s[4:5], v0, s9, v[10:11]
.LBB297_1117:
	s_and_b64 vcc, exec, s[2:3]
	s_cbranch_vccnz .LBB297_1123
; %bb.1118:
	s_cmp_lg_u32 s33, 0
	s_mov_b32 s30, 0
	s_cbranch_scc0 .LBB297_1124
; %bb.1119:
	s_min_u32 s31, s74, 15
	s_add_i32 s31, s31, 1
	s_cmp_eq_u32 s74, 2
	s_cbranch_scc1 .LBB297_1125
; %bb.1120:
	s_and_b32 s30, s31, 28
	s_add_u32 s2, s34, 0xc4
	s_addc_u32 s3, s35, 0
	s_mov_b32 s36, 0
	v_mov_b32_e32 v0, 0
	v_mov_b32_e32 v8, 0
	s_mov_b64 s[28:29], s[34:35]
	v_mov_b32_e32 v3, v16
.LBB297_1121:                           ; =>This Inner Loop Header: Depth=1
	s_load_dwordx8 s[12:19], s[28:29], 0x4
	s_load_dwordx4 s[20:23], s[28:29], 0x24
	s_load_dwordx8 s[4:11], s[2:3], 0x0
	s_add_u32 s28, s28, 48
	s_addc_u32 s29, s29, 0
	s_waitcnt vmcnt(0) lgkmcnt(0)
	v_mul_hi_u32 v1, s13, v3
	v_add_u32_e32 v1, v3, v1
	v_lshrrev_b32_e32 v1, s14, v1
	v_mul_lo_u32 v5, v1, s12
	v_mul_hi_u32 v7, s16, v1
	v_sub_u32_e32 v3, v3, v5
	v_add_u32_e32 v5, v1, v7
	v_lshrrev_b32_e32 v5, s17, v5
	v_mul_lo_u32 v9, v5, s15
	v_mul_hi_u32 v11, s19, v5
	v_sub_u32_e32 v1, v1, v9
	v_add_u32_e32 v9, v5, v11
	v_mul_lo_u32 v7, v3, s5
	v_mul_lo_u32 v3, v3, s4
	;; [unrolled: 1-line block ×4, first 2 shown]
	v_lshrrev_b32_e32 v9, s20, v9
	v_add3_u32 v0, v3, v0, v1
	v_add3_u32 v1, v7, v8, v11
	v_mul_lo_u32 v3, v9, s18
	v_mul_hi_u32 v7, s22, v9
	v_sub_u32_e32 v3, v5, v3
	v_add_u32_e32 v5, v9, v7
	v_mul_lo_u32 v7, v3, s8
	v_mul_lo_u32 v8, v3, s9
	v_lshrrev_b32_e32 v3, s23, v5
	s_add_i32 s36, s36, 4
	v_mul_lo_u32 v5, v3, s21
	s_add_u32 s2, s2, 32
	v_sub_u32_e32 v5, v9, v5
	s_addc_u32 s3, s3, 0
	v_mul_lo_u32 v9, v5, s10
	v_mul_lo_u32 v5, v5, s11
	s_cmp_lg_u32 s30, s36
	v_add3_u32 v8, v8, v1, v5
	v_add3_u32 v0, v7, v0, v9
	s_cbranch_scc1 .LBB297_1121
; %bb.1122:
	v_mov_b32_e32 v1, v8
	s_and_b32 s6, s31, 3
	s_cmp_eq_u32 s6, 0
	s_cbranch_scc0 .LBB297_1126
	s_branch .LBB297_1128
.LBB297_1123:
                                        ; implicit-def: $vgpr8
                                        ; implicit-def: $vgpr0
	s_branch .LBB297_1129
.LBB297_1124:
	v_mov_b32_e32 v8, 0
	v_mov_b32_e32 v0, 0
	s_branch .LBB297_1128
.LBB297_1125:
	v_mov_b32_e32 v0, 0
                                        ; implicit-def: $vgpr8
	s_waitcnt vmcnt(0)
	v_mov_b32_e32 v1, v0
	v_mov_b32_e32 v3, v16
	s_and_b32 s6, s31, 3
	s_cmp_eq_u32 s6, 0
	s_cbranch_scc1 .LBB297_1128
.LBB297_1126:
	s_lshl_b32 s2, s30, 3
	s_add_u32 s2, s34, s2
	s_addc_u32 s3, s35, 0
	s_add_u32 s2, s2, 0xc4
	s_addc_u32 s3, s3, 0
	s_mul_i32 s4, s30, 12
	s_add_u32 s4, s34, s4
	s_addc_u32 s5, s35, 0
.LBB297_1127:                           ; =>This Inner Loop Header: Depth=1
	s_load_dwordx2 s[8:9], s[4:5], 0x4
	s_load_dword s7, s[4:5], 0xc
	s_load_dwordx2 s[10:11], s[2:3], 0x0
	v_mov_b32_e32 v8, v1
	s_add_u32 s4, s4, 12
	s_waitcnt lgkmcnt(0)
	v_mul_hi_u32 v1, s9, v3
	v_add_u32_e32 v1, v3, v1
	v_lshrrev_b32_e32 v1, s7, v1
	s_addc_u32 s5, s5, 0
	v_mul_lo_u32 v5, v1, s8
	s_add_u32 s2, s2, 8
	v_sub_u32_e32 v5, v3, v5
	s_addc_u32 s3, s3, 0
	s_add_i32 s6, s6, -1
	v_mov_b32_e32 v3, v1
	v_mad_u64_u32 v[8:9], s[8:9], v5, s11, v[8:9]
	v_mad_u64_u32 v[0:1], s[8:9], v5, s10, v[0:1]
	s_cmp_lg_u32 s6, 0
	v_mov_b32_e32 v1, v8
	s_cbranch_scc1 .LBB297_1127
.LBB297_1128:
	s_cbranch_execnz .LBB297_1131
.LBB297_1129:
	s_load_dwordx4 s[4:7], s[34:35], 0x4
	s_load_dwordx2 s[2:3], s[34:35], 0xc4
	s_cmp_lt_u32 s33, 2
	s_waitcnt lgkmcnt(0)
	v_mul_hi_u32 v0, s5, v16
	v_add_u32_e32 v0, v16, v0
	s_waitcnt vmcnt(0)
	v_lshrrev_b32_e32 v1, s6, v0
	v_mul_lo_u32 v0, v1, s4
	v_sub_u32_e32 v0, v16, v0
	v_mul_lo_u32 v8, v0, s3
	v_mul_lo_u32 v0, v0, s2
	s_cbranch_scc1 .LBB297_1131
; %bb.1130:
	s_load_dwordx4 s[4:7], s[34:35], 0x10
	s_load_dwordx2 s[2:3], s[34:35], 0xcc
	s_waitcnt lgkmcnt(0)
	v_mul_hi_u32 v3, s5, v1
	v_add_u32_e32 v3, v1, v3
	v_lshrrev_b32_e32 v3, s6, v3
	v_mul_lo_u32 v3, v3, s4
	v_sub_u32_e32 v3, v1, v3
	v_mad_u64_u32 v[0:1], s[4:5], v3, s2, v[0:1]
	v_mad_u64_u32 v[8:9], s[2:3], v3, s3, v[8:9]
.LBB297_1131:
	s_load_dword s12, s[0:1], 0x168
	s_load_dwordx4 s[4:7], s[34:35], 0x148
	v_mov_b32_e32 v15, 0
	s_waitcnt lgkmcnt(0)
	s_bfe_u32 s13, s12, 0x80008
	s_cmp_lt_i32 s13, 11
	v_lshl_add_u64 v[14:15], s[6:7], 0, v[14:15]
	s_cbranch_scc1 .LBB297_1138
; %bb.1132:
	s_and_b32 s14, 0xffff, s13
	s_cmp_gt_i32 s14, 25
	s_mov_b64 s[8:9], 0
	s_cbranch_scc0 .LBB297_1140
; %bb.1133:
	s_cmp_gt_i32 s14, 28
	s_cbranch_scc0 .LBB297_1141
; %bb.1134:
	s_cmp_gt_i32 s14, 43
	;; [unrolled: 3-line block ×3, first 2 shown]
	s_cbranch_scc0 .LBB297_1143
; %bb.1136:
	s_cmp_eq_u32 s14, 46
	s_mov_b64 s[2:3], 0
	s_cbranch_scc0 .LBB297_1146
; %bb.1137:
	global_load_dword v1, v[14:15], off
	s_mov_b64 s[0:1], 0
	s_mov_b64 s[10:11], -1
	s_waitcnt vmcnt(0)
	v_lshlrev_b32_e32 v1, 16, v1
	v_cvt_i32_f32_e32 v16, v1
	s_branch .LBB297_1147
.LBB297_1138:
	s_mov_b64 s[10:11], 0
                                        ; implicit-def: $vgpr16
	s_mov_b64 s[2:3], s[24:25]
	s_cbranch_execnz .LBB297_1205
.LBB297_1139:
	s_andn2_b64 vcc, exec, s[10:11]
	s_cbranch_vccz .LBB297_1250
	s_branch .LBB297_2059
.LBB297_1140:
	s_mov_b64 s[10:11], 0
	s_mov_b64 s[0:1], 0
                                        ; implicit-def: $vgpr16
	s_cbranch_execnz .LBB297_1172
	s_branch .LBB297_1201
.LBB297_1141:
	s_mov_b64 s[10:11], 0
	s_mov_b64 s[0:1], 0
                                        ; implicit-def: $vgpr16
	s_cbranch_execz .LBB297_1171
	s_branch .LBB297_1156
.LBB297_1142:
	s_mov_b64 s[10:11], 0
	s_mov_b64 s[0:1], 0
                                        ; implicit-def: $vgpr16
	s_cbranch_execnz .LBB297_1152
	s_branch .LBB297_1155
.LBB297_1143:
	s_mov_b64 s[2:3], -1
	s_mov_b64 s[10:11], 0
	s_mov_b64 s[0:1], 0
                                        ; implicit-def: $vgpr16
	s_branch .LBB297_1147
.LBB297_1144:
	s_andn2_saveexec_b64 s[12:13], s[12:13]
	s_cbranch_execz .LBB297_987
.LBB297_1145:
	s_mov_b32 s14, 0x46000000
	v_add_f32_e64 v1, |v0|, s14
	v_and_b32_e32 v1, 0xff, v1
	v_cmp_ne_u32_e32 vcc, 0, v1
	s_andn2_b64 s[10:11], s[10:11], exec
	s_and_b64 s[14:15], vcc, exec
	s_or_b64 s[10:11], s[10:11], s[14:15]
	s_or_b64 exec, exec, s[12:13]
	v_mov_b32_e32 v3, 0
	s_and_saveexec_b64 s[12:13], s[10:11]
	s_cbranch_execnz .LBB297_988
	s_branch .LBB297_989
.LBB297_1146:
	s_mov_b64 s[0:1], -1
                                        ; implicit-def: $vgpr16
	s_mov_b64 s[10:11], 0
.LBB297_1147:
	s_and_b64 vcc, exec, s[2:3]
	s_cbranch_vccz .LBB297_1150
; %bb.1148:
	s_cmp_eq_u32 s14, 44
	s_cbranch_scc0 .LBB297_1151
; %bb.1149:
	global_load_ubyte v1, v[14:15], off
	s_mov_b64 s[0:1], 0
	s_mov_b64 s[10:11], -1
	s_waitcnt vmcnt(0)
	v_lshlrev_b32_e32 v3, 23, v1
	v_cvt_i32_f32_e32 v3, v3
	v_cmp_ne_u32_e32 vcc, 0, v1
	s_nop 1
	v_cndmask_b32_e32 v16, 0, v3, vcc
.LBB297_1150:
	s_branch .LBB297_1155
.LBB297_1151:
	s_mov_b64 s[0:1], -1
                                        ; implicit-def: $vgpr16
	s_branch .LBB297_1155
.LBB297_1152:
	s_cmp_eq_u32 s14, 29
	s_cbranch_scc0 .LBB297_1154
; %bb.1153:
	global_load_dword v16, v[14:15], off
	s_mov_b64 s[0:1], 0
	s_mov_b64 s[10:11], -1
	s_branch .LBB297_1155
.LBB297_1154:
	s_mov_b64 s[0:1], -1
                                        ; implicit-def: $vgpr16
.LBB297_1155:
	s_branch .LBB297_1171
.LBB297_1156:
	s_cmp_lt_i32 s14, 27
	s_cbranch_scc1 .LBB297_1159
; %bb.1157:
	s_cmp_gt_i32 s14, 27
	s_cbranch_scc0 .LBB297_1160
; %bb.1158:
	global_load_dword v16, v[14:15], off
	s_mov_b64 s[2:3], 0
	s_branch .LBB297_1161
.LBB297_1159:
	s_mov_b64 s[2:3], -1
                                        ; implicit-def: $vgpr16
	s_branch .LBB297_1164
.LBB297_1160:
	s_mov_b64 s[2:3], -1
                                        ; implicit-def: $vgpr16
.LBB297_1161:
	s_andn2_b64 vcc, exec, s[2:3]
	s_cbranch_vccnz .LBB297_1163
; %bb.1162:
	global_load_ushort v16, v[14:15], off
.LBB297_1163:
	s_mov_b64 s[2:3], 0
.LBB297_1164:
	s_andn2_b64 vcc, exec, s[2:3]
	s_cbranch_vccnz .LBB297_1170
; %bb.1165:
	global_load_ubyte v1, v[14:15], off
	s_movk_i32 s2, 0x7f
	s_mov_b64 s[10:11], 0
	s_waitcnt vmcnt(0)
	v_cmp_lt_i16_e32 vcc, s2, v1
	s_and_saveexec_b64 s[2:3], vcc
	s_xor_b64 s[2:3], exec, s[2:3]
	s_cbranch_execz .LBB297_1181
; %bb.1166:
	s_movk_i32 s10, 0x80
	v_cmp_ne_u16_e32 vcc, s10, v1
	s_and_b64 s[10:11], vcc, exec
	s_andn2_saveexec_b64 s[2:3], s[2:3]
	s_cbranch_execnz .LBB297_1182
.LBB297_1167:
	s_or_b64 exec, exec, s[2:3]
	v_mov_b32_e32 v16, 0
	s_and_saveexec_b64 s[2:3], s[10:11]
	s_cbranch_execz .LBB297_1169
.LBB297_1168:
	v_lshlrev_b32_e32 v3, 24, v1
	v_and_b32_e32 v1, 0xffff, v1
	v_and_b32_e32 v5, 7, v1
	v_ffbh_u32_e32 v9, v5
	v_min_u32_e32 v9, 32, v9
	v_subrev_u32_e32 v11, 28, v9
	v_bfe_u32 v7, v1, 3, 4
	v_lshlrev_b32_e32 v1, v11, v1
	v_sub_u32_e32 v9, 29, v9
	v_and_b32_e32 v1, 7, v1
	v_cmp_eq_u32_e32 vcc, 0, v7
	v_and_b32_e32 v3, 0x80000000, v3
	s_nop 0
	v_cndmask_b32_e32 v7, v7, v9, vcc
	v_cndmask_b32_e32 v1, v5, v1, vcc
	v_mov_b32_e32 v5, 0x3b800000
	v_lshlrev_b32_e32 v1, 20, v1
	v_lshl_add_u32 v5, v7, 23, v5
	v_or3_b32 v1, v3, v5, v1
	v_cvt_i32_f32_e32 v16, v1
.LBB297_1169:
	s_or_b64 exec, exec, s[2:3]
.LBB297_1170:
	s_mov_b64 s[10:11], -1
.LBB297_1171:
	s_branch .LBB297_1201
.LBB297_1172:
	s_cmp_gt_i32 s14, 22
	s_cbranch_scc0 .LBB297_1180
; %bb.1173:
	s_cmp_lt_i32 s14, 24
	s_cbranch_scc1 .LBB297_1183
; %bb.1174:
	s_cmp_gt_i32 s14, 24
	s_cbranch_scc0 .LBB297_1184
; %bb.1175:
	global_load_ubyte v1, v[14:15], off
	s_movk_i32 s2, 0x7f
	s_waitcnt vmcnt(0)
	v_cmp_lt_i16_e32 vcc, s2, v1
	s_and_saveexec_b64 s[2:3], vcc
	s_xor_b64 s[2:3], exec, s[2:3]
	s_cbranch_execz .LBB297_1195
; %bb.1176:
	s_movk_i32 s8, 0x80
	v_cmp_ne_u16_e32 vcc, s8, v1
	s_and_b64 s[8:9], vcc, exec
	s_andn2_saveexec_b64 s[2:3], s[2:3]
	s_cbranch_execnz .LBB297_1196
.LBB297_1177:
	s_or_b64 exec, exec, s[2:3]
	v_mov_b32_e32 v16, 0
	s_and_saveexec_b64 s[2:3], s[8:9]
	s_cbranch_execz .LBB297_1179
.LBB297_1178:
	v_lshlrev_b32_e32 v3, 24, v1
	v_and_b32_e32 v1, 0xffff, v1
	v_and_b32_e32 v5, 3, v1
	v_ffbh_u32_e32 v9, v5
	v_min_u32_e32 v9, 32, v9
	v_subrev_u32_e32 v11, 29, v9
	v_bfe_u32 v7, v1, 2, 5
	v_lshlrev_b32_e32 v1, v11, v1
	v_sub_u32_e32 v9, 30, v9
	v_and_b32_e32 v1, 3, v1
	v_cmp_eq_u32_e32 vcc, 0, v7
	v_and_b32_e32 v3, 0x80000000, v3
	s_nop 0
	v_cndmask_b32_e32 v7, v7, v9, vcc
	v_cndmask_b32_e32 v1, v5, v1, vcc
	v_mov_b32_e32 v5, 0x37800000
	v_lshlrev_b32_e32 v1, 21, v1
	v_lshl_add_u32 v5, v7, 23, v5
	v_or3_b32 v1, v3, v5, v1
	v_cvt_i32_f32_e32 v16, v1
.LBB297_1179:
	s_or_b64 exec, exec, s[2:3]
	s_mov_b64 s[2:3], 0
	s_branch .LBB297_1185
.LBB297_1180:
                                        ; implicit-def: $vgpr16
	s_mov_b64 s[8:9], 0
	s_branch .LBB297_1191
.LBB297_1181:
	s_andn2_saveexec_b64 s[2:3], s[2:3]
	s_cbranch_execz .LBB297_1167
.LBB297_1182:
	v_cmp_ne_u16_e32 vcc, 0, v1
	s_andn2_b64 s[10:11], s[10:11], exec
	s_and_b64 s[16:17], vcc, exec
	s_or_b64 s[10:11], s[10:11], s[16:17]
	s_or_b64 exec, exec, s[2:3]
	v_mov_b32_e32 v16, 0
	s_and_saveexec_b64 s[2:3], s[10:11]
	s_cbranch_execnz .LBB297_1168
	s_branch .LBB297_1169
.LBB297_1183:
	s_mov_b64 s[2:3], -1
                                        ; implicit-def: $vgpr16
	s_branch .LBB297_1188
.LBB297_1184:
	s_mov_b64 s[2:3], -1
                                        ; implicit-def: $vgpr16
.LBB297_1185:
	s_and_b64 vcc, exec, s[2:3]
	s_cbranch_vccz .LBB297_1187
; %bb.1186:
	global_load_ubyte v1, v[14:15], off
	s_mov_b32 s2, 0x7f800000
	s_waitcnt vmcnt(0)
	v_lshlrev_b32_e32 v1, 24, v1
	v_and_b32_e32 v3, 0x7f000000, v1
	v_ffbh_u32_e32 v5, v3
	v_min_u32_e32 v5, 32, v5
	v_sub_u32_e64 v5, v5, 4 clamp
	v_lshlrev_b32_e32 v9, v5, v3
	v_lshlrev_b32_e32 v5, 23, v5
	v_lshrrev_b32_e32 v9, 4, v9
	v_add_u32_e32 v7, 0x1000000, v3
	v_sub_u32_e32 v5, v9, v5
	v_ashrrev_i32_e32 v7, 8, v7
	v_add_u32_e32 v5, 0x3c000000, v5
	v_and_or_b32 v5, v7, s2, v5
	v_cmp_ne_u32_e32 vcc, 0, v3
	s_brev_b32 s2, 1
	s_nop 0
	v_cndmask_b32_e32 v3, 0, v5, vcc
	v_and_or_b32 v1, v1, s2, v3
	v_cvt_i32_f32_e32 v16, v1
.LBB297_1187:
	s_mov_b64 s[2:3], 0
.LBB297_1188:
	s_andn2_b64 vcc, exec, s[2:3]
	s_cbranch_vccnz .LBB297_1190
; %bb.1189:
	global_load_ubyte v1, v[14:15], off
	s_movk_i32 s2, 0x7f00
	s_brev_b32 s3, 16
	s_waitcnt vmcnt(0)
	v_lshlrev_b16_e32 v3, 8, v1
	v_lshlrev_b32_e32 v1, 25, v1
	v_lshrrev_b32_e32 v5, 4, v1
	v_and_or_b32 v7, v3, s2, 0.5
	v_or_b32_e32 v5, 0x70000000, v5
	v_add_f32_e32 v7, -0.5, v7
	v_mul_f32_e32 v5, 0x7800000, v5
	v_cmp_gt_u32_e32 vcc, s3, v1
	v_bfe_i32 v3, v3, 0, 16
	s_brev_b32 s2, 1
	v_cndmask_b32_e32 v1, v5, v7, vcc
	v_and_or_b32 v1, v3, s2, v1
	v_cvt_i32_f32_e32 v16, v1
.LBB297_1190:
	s_mov_b64 s[10:11], -1
	s_mov_b64 s[8:9], 0
	s_cbranch_execnz .LBB297_1201
.LBB297_1191:
	s_cmp_gt_i32 s14, 14
	s_cbranch_scc0 .LBB297_1194
; %bb.1192:
	s_cmp_eq_u32 s14, 15
	s_cbranch_scc0 .LBB297_1197
; %bb.1193:
	global_load_ushort v1, v[14:15], off
	s_mov_b64 s[0:1], 0
	s_mov_b64 s[10:11], -1
	s_waitcnt vmcnt(0)
	v_lshlrev_b32_e32 v1, 16, v1
	v_cvt_i32_f32_e32 v16, v1
	s_branch .LBB297_1198
.LBB297_1194:
	s_mov_b64 s[2:3], -1
                                        ; implicit-def: $vgpr16
	s_branch .LBB297_1199
.LBB297_1195:
	s_andn2_saveexec_b64 s[2:3], s[2:3]
	s_cbranch_execz .LBB297_1177
.LBB297_1196:
	v_cmp_ne_u16_e32 vcc, 0, v1
	s_andn2_b64 s[8:9], s[8:9], exec
	s_and_b64 s[10:11], vcc, exec
	s_or_b64 s[8:9], s[8:9], s[10:11]
	s_or_b64 exec, exec, s[2:3]
	v_mov_b32_e32 v16, 0
	s_and_saveexec_b64 s[2:3], s[8:9]
	s_cbranch_execnz .LBB297_1178
	s_branch .LBB297_1179
.LBB297_1197:
	s_mov_b64 s[0:1], -1
                                        ; implicit-def: $vgpr16
.LBB297_1198:
	s_mov_b64 s[2:3], 0
.LBB297_1199:
	s_and_b64 vcc, exec, s[2:3]
	s_cbranch_vccz .LBB297_1201
; %bb.1200:
	s_cmp_lg_u32 s14, 11
	s_mov_b64 s[8:9], -1
	s_cselect_b64 s[0:1], -1, 0
.LBB297_1201:
	s_and_b64 vcc, exec, s[0:1]
	s_mov_b64 s[2:3], s[24:25]
	s_cbranch_vccnz .LBB297_1262
; %bb.1202:
	s_andn2_b64 vcc, exec, s[8:9]
	s_cbranch_vccnz .LBB297_1204
.LBB297_1203:
	global_load_ubyte v1, v[14:15], off
	s_mov_b64 s[10:11], -1
	s_waitcnt vmcnt(0)
	v_cmp_ne_u16_e32 vcc, 0, v1
	s_nop 1
	v_cndmask_b32_e64 v16, 0, 1, vcc
.LBB297_1204:
	s_branch .LBB297_1139
.LBB297_1205:
	s_and_b32 s8, 0xffff, s13
	s_cmp_lt_i32 s8, 5
	s_cbranch_scc1 .LBB297_1210
; %bb.1206:
	s_cmp_lt_i32 s8, 8
	s_cbranch_scc1 .LBB297_1211
; %bb.1207:
	;; [unrolled: 3-line block ×3, first 2 shown]
	s_cmp_gt_i32 s8, 9
	s_cbranch_scc0 .LBB297_1213
; %bb.1209:
	global_load_dwordx2 v[16:17], v[14:15], off
	s_mov_b64 s[0:1], 0
	s_waitcnt vmcnt(0)
	v_cvt_i32_f64_e32 v16, v[16:17]
	s_branch .LBB297_1214
.LBB297_1210:
                                        ; implicit-def: $vgpr16
	s_branch .LBB297_1231
.LBB297_1211:
                                        ; implicit-def: $vgpr16
	s_branch .LBB297_1220
.LBB297_1212:
	s_mov_b64 s[0:1], -1
                                        ; implicit-def: $vgpr16
	s_branch .LBB297_1217
.LBB297_1213:
	s_mov_b64 s[0:1], -1
                                        ; implicit-def: $vgpr16
.LBB297_1214:
	s_andn2_b64 vcc, exec, s[0:1]
	s_cbranch_vccnz .LBB297_1216
; %bb.1215:
	global_load_dword v1, v[14:15], off
	s_waitcnt vmcnt(0)
	v_cvt_i32_f32_e32 v16, v1
.LBB297_1216:
	s_mov_b64 s[0:1], 0
.LBB297_1217:
	s_andn2_b64 vcc, exec, s[0:1]
	s_cbranch_vccnz .LBB297_1219
; %bb.1218:
	global_load_dword v1, v[14:15], off
	s_waitcnt vmcnt(0)
	v_cvt_f32_f16_e32 v1, v1
	v_cvt_i32_f32_e32 v16, v1
.LBB297_1219:
	s_cbranch_execnz .LBB297_1230
.LBB297_1220:
	s_cmp_lt_i32 s8, 6
	s_cbranch_scc1 .LBB297_1223
; %bb.1221:
	s_cmp_gt_i32 s8, 6
	s_cbranch_scc0 .LBB297_1224
; %bb.1222:
	global_load_dwordx2 v[16:17], v[14:15], off
	s_mov_b64 s[0:1], 0
	s_waitcnt vmcnt(0)
	v_cvt_i32_f64_e32 v16, v[16:17]
	s_branch .LBB297_1225
.LBB297_1223:
	s_mov_b64 s[0:1], -1
                                        ; implicit-def: $vgpr16
	s_branch .LBB297_1228
.LBB297_1224:
	s_mov_b64 s[0:1], -1
                                        ; implicit-def: $vgpr16
.LBB297_1225:
	s_andn2_b64 vcc, exec, s[0:1]
	s_cbranch_vccnz .LBB297_1227
; %bb.1226:
	global_load_dword v1, v[14:15], off
	s_waitcnt vmcnt(0)
	v_cvt_i32_f32_e32 v16, v1
.LBB297_1227:
	s_mov_b64 s[0:1], 0
.LBB297_1228:
	s_andn2_b64 vcc, exec, s[0:1]
	s_cbranch_vccnz .LBB297_1230
; %bb.1229:
	global_load_ushort v1, v[14:15], off
	s_waitcnt vmcnt(0)
	v_cvt_f32_f16_e32 v1, v1
	v_cvt_i32_f32_e32 v16, v1
.LBB297_1230:
	s_cbranch_execnz .LBB297_1249
.LBB297_1231:
	s_cmp_lt_i32 s8, 2
	s_cbranch_scc1 .LBB297_1235
; %bb.1232:
	s_cmp_lt_i32 s8, 3
	s_cbranch_scc1 .LBB297_1236
; %bb.1233:
	s_cmp_gt_i32 s8, 3
	s_cbranch_scc0 .LBB297_1237
; %bb.1234:
	global_load_dword v16, v[14:15], off
	s_mov_b64 s[0:1], 0
	s_branch .LBB297_1238
.LBB297_1235:
                                        ; implicit-def: $vgpr16
	s_branch .LBB297_1244
.LBB297_1236:
	s_mov_b64 s[0:1], -1
                                        ; implicit-def: $vgpr16
	s_branch .LBB297_1241
.LBB297_1237:
	s_mov_b64 s[0:1], -1
                                        ; implicit-def: $vgpr16
.LBB297_1238:
	s_andn2_b64 vcc, exec, s[0:1]
	s_cbranch_vccnz .LBB297_1240
; %bb.1239:
	global_load_dword v16, v[14:15], off
.LBB297_1240:
	s_mov_b64 s[0:1], 0
.LBB297_1241:
	s_andn2_b64 vcc, exec, s[0:1]
	s_cbranch_vccnz .LBB297_1243
; %bb.1242:
	global_load_sshort v16, v[14:15], off
.LBB297_1243:
	s_cbranch_execnz .LBB297_1249
.LBB297_1244:
	s_cmp_gt_i32 s8, 0
	s_cbranch_scc0 .LBB297_1246
; %bb.1245:
	global_load_sbyte v16, v[14:15], off
	s_mov_b64 s[0:1], 0
	s_branch .LBB297_1247
.LBB297_1246:
	s_mov_b64 s[0:1], -1
                                        ; implicit-def: $vgpr16
.LBB297_1247:
	s_andn2_b64 vcc, exec, s[0:1]
	s_cbranch_vccnz .LBB297_1249
; %bb.1248:
	global_load_ubyte v16, v[14:15], off
.LBB297_1249:
.LBB297_1250:
	s_lshr_b32 s0, s12, 8
	v_mov_b32_e32 v13, 0
	s_and_b32 s14, s0, 0xff
	s_cmp_lt_i32 s14, 11
	v_lshl_add_u64 v[12:13], s[6:7], 0, v[12:13]
	s_cbranch_scc1 .LBB297_1257
; %bb.1251:
	s_and_b32 s15, 0xffff, s14
	s_cmp_gt_i32 s15, 25
	s_mov_b64 s[8:9], 0
	s_cbranch_scc0 .LBB297_1259
; %bb.1252:
	s_cmp_gt_i32 s15, 28
	s_cbranch_scc0 .LBB297_1260
; %bb.1253:
	s_cmp_gt_i32 s15, 43
	;; [unrolled: 3-line block ×3, first 2 shown]
	s_cbranch_scc0 .LBB297_1263
; %bb.1255:
	s_cmp_eq_u32 s15, 46
	s_mov_b64 s[12:13], 0
	s_cbranch_scc0 .LBB297_1266
; %bb.1256:
	global_load_dword v1, v[12:13], off
	s_mov_b64 s[0:1], 0
	s_mov_b64 s[10:11], -1
	s_waitcnt vmcnt(0)
	v_lshlrev_b32_e32 v1, 16, v1
	v_cvt_i32_f32_e32 v5, v1
	s_branch .LBB297_1267
.LBB297_1257:
	s_mov_b64 s[10:11], 0
                                        ; implicit-def: $vgpr5
	s_cbranch_execnz .LBB297_1328
.LBB297_1258:
	s_andn2_b64 vcc, exec, s[10:11]
	s_cbranch_vccnz .LBB297_2059
	s_branch .LBB297_1375
.LBB297_1259:
	s_mov_b64 s[10:11], 0
	s_mov_b64 s[0:1], 0
                                        ; implicit-def: $vgpr5
	s_cbranch_execnz .LBB297_1294
	s_branch .LBB297_1324
.LBB297_1260:
	s_mov_b64 s[12:13], -1
	s_mov_b64 s[10:11], 0
	s_mov_b64 s[0:1], 0
                                        ; implicit-def: $vgpr5
	s_branch .LBB297_1277
.LBB297_1261:
	s_mov_b64 s[12:13], -1
	s_mov_b64 s[10:11], 0
	s_mov_b64 s[0:1], 0
                                        ; implicit-def: $vgpr5
	s_branch .LBB297_1272
.LBB297_1262:
	s_or_b64 s[2:3], s[24:25], exec
	s_trap 2
	s_cbranch_execz .LBB297_1203
	s_branch .LBB297_1204
.LBB297_1263:
	s_mov_b64 s[12:13], -1
	s_mov_b64 s[10:11], 0
	s_mov_b64 s[0:1], 0
                                        ; implicit-def: $vgpr5
	s_branch .LBB297_1267
.LBB297_1264:
	s_andn2_saveexec_b64 s[14:15], s[14:15]
	s_cbranch_execz .LBB297_999
.LBB297_1265:
	s_mov_b32 s18, 0x42800000
	v_add_f32_e64 v1, |v0|, s18
	v_and_b32_e32 v1, 0xff, v1
	v_cmp_ne_u32_e32 vcc, 0, v1
	s_andn2_b64 s[12:13], s[12:13], exec
	s_and_b64 s[18:19], vcc, exec
	s_or_b64 s[12:13], s[12:13], s[18:19]
	s_or_b64 exec, exec, s[14:15]
	v_mov_b32_e32 v3, 0
	s_and_saveexec_b64 s[14:15], s[12:13]
	s_cbranch_execnz .LBB297_1000
	s_branch .LBB297_1001
.LBB297_1266:
	s_mov_b64 s[0:1], -1
                                        ; implicit-def: $vgpr5
	s_mov_b64 s[10:11], 0
.LBB297_1267:
	s_and_b64 vcc, exec, s[12:13]
	s_cbranch_vccz .LBB297_1271
; %bb.1268:
	s_cmp_eq_u32 s15, 44
	s_cbranch_scc0 .LBB297_1270
; %bb.1269:
	global_load_ubyte v1, v[12:13], off
	s_mov_b64 s[0:1], 0
	s_mov_b64 s[10:11], -1
	s_waitcnt vmcnt(0)
	v_lshlrev_b32_e32 v3, 23, v1
	v_cvt_i32_f32_e32 v3, v3
	v_cmp_ne_u32_e32 vcc, 0, v1
	s_nop 1
	v_cndmask_b32_e32 v5, 0, v3, vcc
	s_branch .LBB297_1271
.LBB297_1270:
	s_mov_b64 s[0:1], -1
                                        ; implicit-def: $vgpr5
.LBB297_1271:
	s_mov_b64 s[12:13], 0
.LBB297_1272:
	s_and_b64 vcc, exec, s[12:13]
	s_cbranch_vccz .LBB297_1276
; %bb.1273:
	s_cmp_eq_u32 s15, 29
	s_cbranch_scc0 .LBB297_1275
; %bb.1274:
	global_load_dword v5, v[12:13], off
	s_mov_b64 s[0:1], 0
	s_mov_b64 s[10:11], -1
	s_branch .LBB297_1276
.LBB297_1275:
	s_mov_b64 s[0:1], -1
                                        ; implicit-def: $vgpr5
.LBB297_1276:
	s_mov_b64 s[12:13], 0
.LBB297_1277:
	s_and_b64 vcc, exec, s[12:13]
	s_cbranch_vccz .LBB297_1293
; %bb.1278:
	s_cmp_lt_i32 s15, 27
	s_cbranch_scc1 .LBB297_1281
; %bb.1279:
	s_cmp_gt_i32 s15, 27
	s_cbranch_scc0 .LBB297_1282
; %bb.1280:
	global_load_dword v5, v[12:13], off
	s_mov_b64 s[10:11], 0
	s_branch .LBB297_1283
.LBB297_1281:
	s_mov_b64 s[10:11], -1
                                        ; implicit-def: $vgpr5
	s_branch .LBB297_1286
.LBB297_1282:
	s_mov_b64 s[10:11], -1
                                        ; implicit-def: $vgpr5
.LBB297_1283:
	s_andn2_b64 vcc, exec, s[10:11]
	s_cbranch_vccnz .LBB297_1285
; %bb.1284:
	global_load_ushort v5, v[12:13], off
.LBB297_1285:
	s_mov_b64 s[10:11], 0
.LBB297_1286:
	s_andn2_b64 vcc, exec, s[10:11]
	s_cbranch_vccnz .LBB297_1292
; %bb.1287:
	global_load_ubyte v1, v[12:13], off
	s_movk_i32 s10, 0x7f
	s_mov_b64 s[12:13], 0
	s_waitcnt vmcnt(0)
	v_cmp_lt_i16_e32 vcc, s10, v1
	s_and_saveexec_b64 s[10:11], vcc
	s_xor_b64 s[10:11], exec, s[10:11]
	s_cbranch_execz .LBB297_1303
; %bb.1288:
	s_movk_i32 s12, 0x80
	v_cmp_ne_u16_e32 vcc, s12, v1
	s_and_b64 s[12:13], vcc, exec
	s_andn2_saveexec_b64 s[10:11], s[10:11]
	s_cbranch_execnz .LBB297_1304
.LBB297_1289:
	s_or_b64 exec, exec, s[10:11]
	v_mov_b32_e32 v5, 0
	s_and_saveexec_b64 s[10:11], s[12:13]
	s_cbranch_execz .LBB297_1291
.LBB297_1290:
	v_lshlrev_b32_e32 v3, 24, v1
	v_and_b32_e32 v1, 0xffff, v1
	v_and_b32_e32 v5, 7, v1
	v_ffbh_u32_e32 v9, v5
	v_min_u32_e32 v9, 32, v9
	v_subrev_u32_e32 v11, 28, v9
	v_bfe_u32 v7, v1, 3, 4
	v_lshlrev_b32_e32 v1, v11, v1
	v_sub_u32_e32 v9, 29, v9
	v_and_b32_e32 v1, 7, v1
	v_cmp_eq_u32_e32 vcc, 0, v7
	v_and_b32_e32 v3, 0x80000000, v3
	s_nop 0
	v_cndmask_b32_e32 v7, v7, v9, vcc
	v_cndmask_b32_e32 v1, v5, v1, vcc
	v_mov_b32_e32 v5, 0x3b800000
	v_lshlrev_b32_e32 v1, 20, v1
	v_lshl_add_u32 v5, v7, 23, v5
	v_or3_b32 v1, v3, v5, v1
	v_cvt_i32_f32_e32 v5, v1
.LBB297_1291:
	s_or_b64 exec, exec, s[10:11]
.LBB297_1292:
	s_mov_b64 s[10:11], -1
.LBB297_1293:
	s_branch .LBB297_1324
.LBB297_1294:
	s_cmp_gt_i32 s15, 22
	s_cbranch_scc0 .LBB297_1302
; %bb.1295:
	s_cmp_lt_i32 s15, 24
	s_cbranch_scc1 .LBB297_1305
; %bb.1296:
	s_cmp_gt_i32 s15, 24
	s_cbranch_scc0 .LBB297_1306
; %bb.1297:
	global_load_ubyte v1, v[12:13], off
	s_movk_i32 s8, 0x7f
	s_mov_b64 s[10:11], 0
	s_waitcnt vmcnt(0)
	v_cmp_lt_i16_e32 vcc, s8, v1
	s_and_saveexec_b64 s[8:9], vcc
	s_xor_b64 s[8:9], exec, s[8:9]
	s_cbranch_execz .LBB297_1318
; %bb.1298:
	s_movk_i32 s10, 0x80
	v_cmp_ne_u16_e32 vcc, s10, v1
	s_and_b64 s[10:11], vcc, exec
	s_andn2_saveexec_b64 s[8:9], s[8:9]
	s_cbranch_execnz .LBB297_1319
.LBB297_1299:
	s_or_b64 exec, exec, s[8:9]
	v_mov_b32_e32 v5, 0
	s_and_saveexec_b64 s[8:9], s[10:11]
	s_cbranch_execz .LBB297_1301
.LBB297_1300:
	v_lshlrev_b32_e32 v3, 24, v1
	v_and_b32_e32 v1, 0xffff, v1
	v_and_b32_e32 v5, 3, v1
	v_ffbh_u32_e32 v9, v5
	v_min_u32_e32 v9, 32, v9
	v_subrev_u32_e32 v11, 29, v9
	v_bfe_u32 v7, v1, 2, 5
	v_lshlrev_b32_e32 v1, v11, v1
	v_sub_u32_e32 v9, 30, v9
	v_and_b32_e32 v1, 3, v1
	v_cmp_eq_u32_e32 vcc, 0, v7
	v_and_b32_e32 v3, 0x80000000, v3
	s_nop 0
	v_cndmask_b32_e32 v7, v7, v9, vcc
	v_cndmask_b32_e32 v1, v5, v1, vcc
	v_mov_b32_e32 v5, 0x37800000
	v_lshlrev_b32_e32 v1, 21, v1
	v_lshl_add_u32 v5, v7, 23, v5
	v_or3_b32 v1, v3, v5, v1
	v_cvt_i32_f32_e32 v5, v1
.LBB297_1301:
	s_or_b64 exec, exec, s[8:9]
	s_mov_b64 s[8:9], 0
	s_branch .LBB297_1307
.LBB297_1302:
	s_mov_b64 s[8:9], -1
                                        ; implicit-def: $vgpr5
	s_branch .LBB297_1313
.LBB297_1303:
	s_andn2_saveexec_b64 s[10:11], s[10:11]
	s_cbranch_execz .LBB297_1289
.LBB297_1304:
	v_cmp_ne_u16_e32 vcc, 0, v1
	s_andn2_b64 s[12:13], s[12:13], exec
	s_and_b64 s[16:17], vcc, exec
	s_or_b64 s[12:13], s[12:13], s[16:17]
	s_or_b64 exec, exec, s[10:11]
	v_mov_b32_e32 v5, 0
	s_and_saveexec_b64 s[10:11], s[12:13]
	s_cbranch_execnz .LBB297_1290
	s_branch .LBB297_1291
.LBB297_1305:
	s_mov_b64 s[8:9], -1
                                        ; implicit-def: $vgpr5
	s_branch .LBB297_1310
.LBB297_1306:
	s_mov_b64 s[8:9], -1
                                        ; implicit-def: $vgpr5
.LBB297_1307:
	s_and_b64 vcc, exec, s[8:9]
	s_cbranch_vccz .LBB297_1309
; %bb.1308:
	global_load_ubyte v1, v[12:13], off
	s_mov_b32 s8, 0x7f800000
	s_waitcnt vmcnt(0)
	v_lshlrev_b32_e32 v1, 24, v1
	v_and_b32_e32 v3, 0x7f000000, v1
	v_ffbh_u32_e32 v5, v3
	v_min_u32_e32 v5, 32, v5
	v_sub_u32_e64 v5, v5, 4 clamp
	v_lshlrev_b32_e32 v9, v5, v3
	v_lshlrev_b32_e32 v5, 23, v5
	v_lshrrev_b32_e32 v9, 4, v9
	v_add_u32_e32 v7, 0x1000000, v3
	v_sub_u32_e32 v5, v9, v5
	v_ashrrev_i32_e32 v7, 8, v7
	v_add_u32_e32 v5, 0x3c000000, v5
	v_and_or_b32 v5, v7, s8, v5
	v_cmp_ne_u32_e32 vcc, 0, v3
	s_brev_b32 s8, 1
	s_nop 0
	v_cndmask_b32_e32 v3, 0, v5, vcc
	v_and_or_b32 v1, v1, s8, v3
	v_cvt_i32_f32_e32 v5, v1
.LBB297_1309:
	s_mov_b64 s[8:9], 0
.LBB297_1310:
	s_andn2_b64 vcc, exec, s[8:9]
	s_cbranch_vccnz .LBB297_1312
; %bb.1311:
	global_load_ubyte v1, v[12:13], off
	s_movk_i32 s8, 0x7f00
	s_brev_b32 s9, 16
	s_waitcnt vmcnt(0)
	v_lshlrev_b16_e32 v3, 8, v1
	v_lshlrev_b32_e32 v1, 25, v1
	v_lshrrev_b32_e32 v5, 4, v1
	v_and_or_b32 v7, v3, s8, 0.5
	v_or_b32_e32 v5, 0x70000000, v5
	v_add_f32_e32 v7, -0.5, v7
	v_mul_f32_e32 v5, 0x7800000, v5
	v_cmp_gt_u32_e32 vcc, s9, v1
	v_bfe_i32 v3, v3, 0, 16
	s_brev_b32 s8, 1
	v_cndmask_b32_e32 v1, v5, v7, vcc
	v_and_or_b32 v1, v3, s8, v1
	v_cvt_i32_f32_e32 v5, v1
.LBB297_1312:
	s_mov_b64 s[8:9], 0
	s_mov_b64 s[10:11], -1
.LBB297_1313:
	s_andn2_b64 vcc, exec, s[8:9]
	s_mov_b64 s[8:9], 0
	s_cbranch_vccnz .LBB297_1324
; %bb.1314:
	s_cmp_gt_i32 s15, 14
	s_cbranch_scc0 .LBB297_1317
; %bb.1315:
	s_cmp_eq_u32 s15, 15
	s_cbranch_scc0 .LBB297_1320
; %bb.1316:
	global_load_ushort v1, v[12:13], off
	s_mov_b64 s[0:1], 0
	s_mov_b64 s[10:11], -1
	s_waitcnt vmcnt(0)
	v_lshlrev_b32_e32 v1, 16, v1
	v_cvt_i32_f32_e32 v5, v1
	s_branch .LBB297_1321
.LBB297_1317:
	s_mov_b64 s[12:13], -1
                                        ; implicit-def: $vgpr5
	s_branch .LBB297_1322
.LBB297_1318:
	s_andn2_saveexec_b64 s[8:9], s[8:9]
	s_cbranch_execz .LBB297_1299
.LBB297_1319:
	v_cmp_ne_u16_e32 vcc, 0, v1
	s_andn2_b64 s[10:11], s[10:11], exec
	s_and_b64 s[12:13], vcc, exec
	s_or_b64 s[10:11], s[10:11], s[12:13]
	s_or_b64 exec, exec, s[8:9]
	v_mov_b32_e32 v5, 0
	s_and_saveexec_b64 s[8:9], s[10:11]
	s_cbranch_execnz .LBB297_1300
	s_branch .LBB297_1301
.LBB297_1320:
	s_mov_b64 s[0:1], -1
                                        ; implicit-def: $vgpr5
.LBB297_1321:
	s_mov_b64 s[12:13], 0
.LBB297_1322:
	s_and_b64 vcc, exec, s[12:13]
	s_cbranch_vccz .LBB297_1324
; %bb.1323:
	s_cmp_lg_u32 s15, 11
	s_mov_b64 s[8:9], -1
	s_cselect_b64 s[0:1], -1, 0
.LBB297_1324:
	s_and_b64 vcc, exec, s[0:1]
	s_cbranch_vccnz .LBB297_1387
; %bb.1325:
	s_andn2_b64 vcc, exec, s[8:9]
	s_cbranch_vccnz .LBB297_1327
.LBB297_1326:
	global_load_ubyte v1, v[12:13], off
	s_mov_b64 s[10:11], -1
	s_waitcnt vmcnt(0)
	v_cmp_ne_u16_e32 vcc, 0, v1
	s_nop 1
	v_cndmask_b32_e64 v5, 0, 1, vcc
.LBB297_1327:
	s_branch .LBB297_1258
.LBB297_1328:
	s_and_b32 s8, 0xffff, s14
	s_cmp_lt_i32 s8, 5
	s_cbranch_scc1 .LBB297_1333
; %bb.1329:
	s_cmp_lt_i32 s8, 8
	s_cbranch_scc1 .LBB297_1334
; %bb.1330:
	;; [unrolled: 3-line block ×3, first 2 shown]
	s_cmp_gt_i32 s8, 9
	s_cbranch_scc0 .LBB297_1336
; %bb.1332:
	global_load_dwordx2 v[14:15], v[12:13], off
	s_mov_b64 s[0:1], 0
	s_waitcnt vmcnt(0)
	v_cvt_i32_f64_e32 v5, v[14:15]
	s_branch .LBB297_1337
.LBB297_1333:
                                        ; implicit-def: $vgpr5
	s_branch .LBB297_1355
.LBB297_1334:
	s_mov_b64 s[0:1], -1
                                        ; implicit-def: $vgpr5
	s_branch .LBB297_1343
.LBB297_1335:
	s_mov_b64 s[0:1], -1
                                        ; implicit-def: $vgpr5
	s_branch .LBB297_1340
.LBB297_1336:
	s_mov_b64 s[0:1], -1
                                        ; implicit-def: $vgpr5
.LBB297_1337:
	s_andn2_b64 vcc, exec, s[0:1]
	s_cbranch_vccnz .LBB297_1339
; %bb.1338:
	global_load_dword v1, v[12:13], off
	s_waitcnt vmcnt(0)
	v_cvt_i32_f32_e32 v5, v1
.LBB297_1339:
	s_mov_b64 s[0:1], 0
.LBB297_1340:
	s_andn2_b64 vcc, exec, s[0:1]
	s_cbranch_vccnz .LBB297_1342
; %bb.1341:
	global_load_dword v1, v[12:13], off
	s_waitcnt vmcnt(0)
	v_cvt_f32_f16_e32 v1, v1
	v_cvt_i32_f32_e32 v5, v1
.LBB297_1342:
	s_mov_b64 s[0:1], 0
.LBB297_1343:
	s_andn2_b64 vcc, exec, s[0:1]
	s_cbranch_vccnz .LBB297_1354
; %bb.1344:
	s_cmp_lt_i32 s8, 6
	s_cbranch_scc1 .LBB297_1347
; %bb.1345:
	s_cmp_gt_i32 s8, 6
	s_cbranch_scc0 .LBB297_1348
; %bb.1346:
	global_load_dwordx2 v[14:15], v[12:13], off
	s_mov_b64 s[0:1], 0
	s_waitcnt vmcnt(0)
	v_cvt_i32_f64_e32 v5, v[14:15]
	s_branch .LBB297_1349
.LBB297_1347:
	s_mov_b64 s[0:1], -1
                                        ; implicit-def: $vgpr5
	s_branch .LBB297_1352
.LBB297_1348:
	s_mov_b64 s[0:1], -1
                                        ; implicit-def: $vgpr5
.LBB297_1349:
	s_andn2_b64 vcc, exec, s[0:1]
	s_cbranch_vccnz .LBB297_1351
; %bb.1350:
	global_load_dword v1, v[12:13], off
	s_waitcnt vmcnt(0)
	v_cvt_i32_f32_e32 v5, v1
.LBB297_1351:
	s_mov_b64 s[0:1], 0
.LBB297_1352:
	s_andn2_b64 vcc, exec, s[0:1]
	s_cbranch_vccnz .LBB297_1354
; %bb.1353:
	global_load_ushort v1, v[12:13], off
	s_waitcnt vmcnt(0)
	v_cvt_f32_f16_e32 v1, v1
	v_cvt_i32_f32_e32 v5, v1
.LBB297_1354:
	s_cbranch_execnz .LBB297_1374
.LBB297_1355:
	s_cmp_lt_i32 s8, 2
	s_cbranch_scc1 .LBB297_1359
; %bb.1356:
	s_cmp_lt_i32 s8, 3
	s_cbranch_scc1 .LBB297_1360
; %bb.1357:
	s_cmp_gt_i32 s8, 3
	s_cbranch_scc0 .LBB297_1361
; %bb.1358:
	global_load_dword v5, v[12:13], off
	s_mov_b64 s[0:1], 0
	s_branch .LBB297_1362
.LBB297_1359:
	s_mov_b64 s[0:1], -1
                                        ; implicit-def: $vgpr5
	s_branch .LBB297_1368
.LBB297_1360:
	s_mov_b64 s[0:1], -1
                                        ; implicit-def: $vgpr5
	s_branch .LBB297_1365
.LBB297_1361:
	s_mov_b64 s[0:1], -1
                                        ; implicit-def: $vgpr5
.LBB297_1362:
	s_andn2_b64 vcc, exec, s[0:1]
	s_cbranch_vccnz .LBB297_1364
; %bb.1363:
	global_load_dword v5, v[12:13], off
.LBB297_1364:
	s_mov_b64 s[0:1], 0
.LBB297_1365:
	s_andn2_b64 vcc, exec, s[0:1]
	s_cbranch_vccnz .LBB297_1367
; %bb.1366:
	global_load_sshort v5, v[12:13], off
.LBB297_1367:
	s_mov_b64 s[0:1], 0
.LBB297_1368:
	s_andn2_b64 vcc, exec, s[0:1]
	s_cbranch_vccnz .LBB297_1374
; %bb.1369:
	s_cmp_gt_i32 s8, 0
	s_cbranch_scc0 .LBB297_1371
; %bb.1370:
	global_load_sbyte v5, v[12:13], off
	s_mov_b64 s[0:1], 0
	s_branch .LBB297_1372
.LBB297_1371:
	s_mov_b64 s[0:1], -1
                                        ; implicit-def: $vgpr5
.LBB297_1372:
	s_andn2_b64 vcc, exec, s[0:1]
	s_cbranch_vccnz .LBB297_1374
; %bb.1373:
	global_load_ubyte v5, v[12:13], off
.LBB297_1374:
.LBB297_1375:
	v_mov_b32_e32 v11, 0
	s_cmp_lt_i32 s14, 11
	v_lshl_add_u64 v[10:11], s[6:7], 0, v[10:11]
	s_cbranch_scc1 .LBB297_1382
; %bb.1376:
	s_and_b32 s15, 0xffff, s14
	s_cmp_gt_i32 s15, 25
	s_mov_b64 s[8:9], 0
	s_cbranch_scc0 .LBB297_1384
; %bb.1377:
	s_cmp_gt_i32 s15, 28
	s_cbranch_scc0 .LBB297_1385
; %bb.1378:
	s_cmp_gt_i32 s15, 43
	;; [unrolled: 3-line block ×3, first 2 shown]
	s_cbranch_scc0 .LBB297_1388
; %bb.1380:
	s_cmp_eq_u32 s15, 46
	s_mov_b64 s[12:13], 0
	s_cbranch_scc0 .LBB297_1389
; %bb.1381:
	global_load_dword v1, v[10:11], off
	s_mov_b64 s[0:1], 0
	s_mov_b64 s[10:11], -1
	s_waitcnt vmcnt(0)
	v_lshlrev_b32_e32 v1, 16, v1
	v_cvt_i32_f32_e32 v3, v1
	s_branch .LBB297_1390
.LBB297_1382:
	s_mov_b64 s[10:11], 0
                                        ; implicit-def: $vgpr3
	s_cbranch_execnz .LBB297_1452
.LBB297_1383:
	s_andn2_b64 vcc, exec, s[10:11]
	s_cbranch_vccnz .LBB297_2059
	s_branch .LBB297_1500
.LBB297_1384:
	s_mov_b64 s[12:13], -1
	s_mov_b64 s[10:11], 0
	s_mov_b64 s[0:1], 0
                                        ; implicit-def: $vgpr3
	s_branch .LBB297_1417
.LBB297_1385:
	s_mov_b64 s[12:13], -1
	s_mov_b64 s[10:11], 0
	s_mov_b64 s[0:1], 0
                                        ; implicit-def: $vgpr3
	s_branch .LBB297_1400
.LBB297_1386:
	s_mov_b64 s[12:13], -1
	s_mov_b64 s[10:11], 0
	s_mov_b64 s[0:1], 0
                                        ; implicit-def: $vgpr3
	s_branch .LBB297_1395
.LBB297_1387:
	s_trap 2
	s_or_b64 s[2:3], s[2:3], exec
	s_cbranch_execz .LBB297_1326
	s_branch .LBB297_1327
.LBB297_1388:
	s_mov_b64 s[12:13], -1
	s_mov_b64 s[10:11], 0
	s_mov_b64 s[0:1], 0
                                        ; implicit-def: $vgpr3
	s_branch .LBB297_1390
.LBB297_1389:
	s_mov_b64 s[0:1], -1
                                        ; implicit-def: $vgpr3
	s_mov_b64 s[10:11], 0
.LBB297_1390:
	s_and_b64 vcc, exec, s[12:13]
	s_cbranch_vccz .LBB297_1394
; %bb.1391:
	s_cmp_eq_u32 s15, 44
	s_cbranch_scc0 .LBB297_1393
; %bb.1392:
	global_load_ubyte v1, v[10:11], off
	s_mov_b64 s[0:1], 0
	s_mov_b64 s[10:11], -1
	s_waitcnt vmcnt(0)
	v_lshlrev_b32_e32 v3, 23, v1
	v_cvt_i32_f32_e32 v3, v3
	v_cmp_ne_u32_e32 vcc, 0, v1
	s_nop 1
	v_cndmask_b32_e32 v3, 0, v3, vcc
	s_branch .LBB297_1394
.LBB297_1393:
	s_mov_b64 s[0:1], -1
                                        ; implicit-def: $vgpr3
.LBB297_1394:
	s_mov_b64 s[12:13], 0
.LBB297_1395:
	s_and_b64 vcc, exec, s[12:13]
	s_cbranch_vccz .LBB297_1399
; %bb.1396:
	s_cmp_eq_u32 s15, 29
	s_cbranch_scc0 .LBB297_1398
; %bb.1397:
	global_load_dword v3, v[10:11], off
	s_mov_b64 s[0:1], 0
	s_mov_b64 s[10:11], -1
	s_branch .LBB297_1399
.LBB297_1398:
	s_mov_b64 s[0:1], -1
                                        ; implicit-def: $vgpr3
.LBB297_1399:
	s_mov_b64 s[12:13], 0
.LBB297_1400:
	s_and_b64 vcc, exec, s[12:13]
	s_cbranch_vccz .LBB297_1416
; %bb.1401:
	s_cmp_lt_i32 s15, 27
	s_cbranch_scc1 .LBB297_1404
; %bb.1402:
	s_cmp_gt_i32 s15, 27
	s_cbranch_scc0 .LBB297_1405
; %bb.1403:
	global_load_dword v3, v[10:11], off
	s_mov_b64 s[10:11], 0
	s_branch .LBB297_1406
.LBB297_1404:
	s_mov_b64 s[10:11], -1
                                        ; implicit-def: $vgpr3
	s_branch .LBB297_1409
.LBB297_1405:
	s_mov_b64 s[10:11], -1
                                        ; implicit-def: $vgpr3
.LBB297_1406:
	s_andn2_b64 vcc, exec, s[10:11]
	s_cbranch_vccnz .LBB297_1408
; %bb.1407:
	global_load_ushort v3, v[10:11], off
.LBB297_1408:
	s_mov_b64 s[10:11], 0
.LBB297_1409:
	s_andn2_b64 vcc, exec, s[10:11]
	s_cbranch_vccnz .LBB297_1415
; %bb.1410:
	global_load_ubyte v1, v[10:11], off
	s_movk_i32 s10, 0x7f
	s_mov_b64 s[12:13], 0
	s_waitcnt vmcnt(0)
	v_cmp_lt_i16_e32 vcc, s10, v1
	s_and_saveexec_b64 s[10:11], vcc
	s_xor_b64 s[10:11], exec, s[10:11]
	s_cbranch_execz .LBB297_1427
; %bb.1411:
	s_movk_i32 s12, 0x80
	v_cmp_ne_u16_e32 vcc, s12, v1
	s_and_b64 s[12:13], vcc, exec
	s_andn2_saveexec_b64 s[10:11], s[10:11]
	s_cbranch_execnz .LBB297_1428
.LBB297_1412:
	s_or_b64 exec, exec, s[10:11]
	v_mov_b32_e32 v3, 0
	s_and_saveexec_b64 s[10:11], s[12:13]
	s_cbranch_execz .LBB297_1414
.LBB297_1413:
	v_lshlrev_b32_e32 v3, 24, v1
	v_and_b32_e32 v1, 0xffff, v1
	v_and_b32_e32 v7, 7, v1
	v_ffbh_u32_e32 v12, v7
	v_min_u32_e32 v12, 32, v12
	v_subrev_u32_e32 v13, 28, v12
	v_bfe_u32 v9, v1, 3, 4
	v_lshlrev_b32_e32 v1, v13, v1
	v_sub_u32_e32 v12, 29, v12
	v_and_b32_e32 v1, 7, v1
	v_cmp_eq_u32_e32 vcc, 0, v9
	v_and_b32_e32 v3, 0x80000000, v3
	s_nop 0
	v_cndmask_b32_e32 v9, v9, v12, vcc
	v_cndmask_b32_e32 v1, v7, v1, vcc
	v_mov_b32_e32 v7, 0x3b800000
	v_lshlrev_b32_e32 v1, 20, v1
	v_lshl_add_u32 v7, v9, 23, v7
	v_or3_b32 v1, v3, v7, v1
	v_cvt_i32_f32_e32 v3, v1
.LBB297_1414:
	s_or_b64 exec, exec, s[10:11]
.LBB297_1415:
	s_mov_b64 s[10:11], -1
.LBB297_1416:
	s_mov_b64 s[12:13], 0
.LBB297_1417:
	s_and_b64 vcc, exec, s[12:13]
	s_cbranch_vccz .LBB297_1448
; %bb.1418:
	s_cmp_gt_i32 s15, 22
	s_cbranch_scc0 .LBB297_1426
; %bb.1419:
	s_cmp_lt_i32 s15, 24
	s_cbranch_scc1 .LBB297_1429
; %bb.1420:
	s_cmp_gt_i32 s15, 24
	s_cbranch_scc0 .LBB297_1430
; %bb.1421:
	global_load_ubyte v1, v[10:11], off
	s_movk_i32 s8, 0x7f
	s_mov_b64 s[10:11], 0
	s_waitcnt vmcnt(0)
	v_cmp_lt_i16_e32 vcc, s8, v1
	s_and_saveexec_b64 s[8:9], vcc
	s_xor_b64 s[8:9], exec, s[8:9]
	s_cbranch_execz .LBB297_1442
; %bb.1422:
	s_movk_i32 s10, 0x80
	v_cmp_ne_u16_e32 vcc, s10, v1
	s_and_b64 s[10:11], vcc, exec
	s_andn2_saveexec_b64 s[8:9], s[8:9]
	s_cbranch_execnz .LBB297_1443
.LBB297_1423:
	s_or_b64 exec, exec, s[8:9]
	v_mov_b32_e32 v3, 0
	s_and_saveexec_b64 s[8:9], s[10:11]
	s_cbranch_execz .LBB297_1425
.LBB297_1424:
	v_lshlrev_b32_e32 v3, 24, v1
	v_and_b32_e32 v1, 0xffff, v1
	v_and_b32_e32 v7, 3, v1
	v_ffbh_u32_e32 v12, v7
	v_min_u32_e32 v12, 32, v12
	v_subrev_u32_e32 v13, 29, v12
	v_bfe_u32 v9, v1, 2, 5
	v_lshlrev_b32_e32 v1, v13, v1
	v_sub_u32_e32 v12, 30, v12
	v_and_b32_e32 v1, 3, v1
	v_cmp_eq_u32_e32 vcc, 0, v9
	v_and_b32_e32 v3, 0x80000000, v3
	s_nop 0
	v_cndmask_b32_e32 v9, v9, v12, vcc
	v_cndmask_b32_e32 v1, v7, v1, vcc
	v_mov_b32_e32 v7, 0x37800000
	v_lshlrev_b32_e32 v1, 21, v1
	v_lshl_add_u32 v7, v9, 23, v7
	v_or3_b32 v1, v3, v7, v1
	v_cvt_i32_f32_e32 v3, v1
.LBB297_1425:
	s_or_b64 exec, exec, s[8:9]
	s_mov_b64 s[8:9], 0
	s_branch .LBB297_1431
.LBB297_1426:
	s_mov_b64 s[8:9], -1
                                        ; implicit-def: $vgpr3
	s_branch .LBB297_1437
.LBB297_1427:
	s_andn2_saveexec_b64 s[10:11], s[10:11]
	s_cbranch_execz .LBB297_1412
.LBB297_1428:
	v_cmp_ne_u16_e32 vcc, 0, v1
	s_andn2_b64 s[12:13], s[12:13], exec
	s_and_b64 s[16:17], vcc, exec
	s_or_b64 s[12:13], s[12:13], s[16:17]
	s_or_b64 exec, exec, s[10:11]
	v_mov_b32_e32 v3, 0
	s_and_saveexec_b64 s[10:11], s[12:13]
	s_cbranch_execnz .LBB297_1413
	s_branch .LBB297_1414
.LBB297_1429:
	s_mov_b64 s[8:9], -1
                                        ; implicit-def: $vgpr3
	s_branch .LBB297_1434
.LBB297_1430:
	s_mov_b64 s[8:9], -1
                                        ; implicit-def: $vgpr3
.LBB297_1431:
	s_and_b64 vcc, exec, s[8:9]
	s_cbranch_vccz .LBB297_1433
; %bb.1432:
	global_load_ubyte v1, v[10:11], off
	s_mov_b32 s8, 0x7f800000
	s_waitcnt vmcnt(0)
	v_lshlrev_b32_e32 v1, 24, v1
	v_and_b32_e32 v3, 0x7f000000, v1
	v_ffbh_u32_e32 v7, v3
	v_min_u32_e32 v7, 32, v7
	v_sub_u32_e64 v7, v7, 4 clamp
	v_lshlrev_b32_e32 v12, v7, v3
	v_lshlrev_b32_e32 v7, 23, v7
	v_lshrrev_b32_e32 v12, 4, v12
	v_add_u32_e32 v9, 0x1000000, v3
	v_sub_u32_e32 v7, v12, v7
	v_ashrrev_i32_e32 v9, 8, v9
	v_add_u32_e32 v7, 0x3c000000, v7
	v_and_or_b32 v7, v9, s8, v7
	v_cmp_ne_u32_e32 vcc, 0, v3
	s_brev_b32 s8, 1
	s_nop 0
	v_cndmask_b32_e32 v3, 0, v7, vcc
	v_and_or_b32 v1, v1, s8, v3
	v_cvt_i32_f32_e32 v3, v1
.LBB297_1433:
	s_mov_b64 s[8:9], 0
.LBB297_1434:
	s_andn2_b64 vcc, exec, s[8:9]
	s_cbranch_vccnz .LBB297_1436
; %bb.1435:
	global_load_ubyte v1, v[10:11], off
	s_movk_i32 s8, 0x7f00
	s_brev_b32 s9, 16
	s_waitcnt vmcnt(0)
	v_lshlrev_b16_e32 v3, 8, v1
	v_lshlrev_b32_e32 v1, 25, v1
	v_lshrrev_b32_e32 v7, 4, v1
	v_and_or_b32 v9, v3, s8, 0.5
	v_or_b32_e32 v7, 0x70000000, v7
	v_add_f32_e32 v9, -0.5, v9
	v_mul_f32_e32 v7, 0x7800000, v7
	v_cmp_gt_u32_e32 vcc, s9, v1
	v_bfe_i32 v3, v3, 0, 16
	s_brev_b32 s8, 1
	v_cndmask_b32_e32 v1, v7, v9, vcc
	v_and_or_b32 v1, v3, s8, v1
	v_cvt_i32_f32_e32 v3, v1
.LBB297_1436:
	s_mov_b64 s[8:9], 0
	s_mov_b64 s[10:11], -1
.LBB297_1437:
	s_andn2_b64 vcc, exec, s[8:9]
	s_mov_b64 s[8:9], 0
	s_cbranch_vccnz .LBB297_1448
; %bb.1438:
	s_cmp_gt_i32 s15, 14
	s_cbranch_scc0 .LBB297_1441
; %bb.1439:
	s_cmp_eq_u32 s15, 15
	s_cbranch_scc0 .LBB297_1444
; %bb.1440:
	global_load_ushort v1, v[10:11], off
	s_mov_b64 s[0:1], 0
	s_mov_b64 s[10:11], -1
	s_waitcnt vmcnt(0)
	v_lshlrev_b32_e32 v1, 16, v1
	v_cvt_i32_f32_e32 v3, v1
	s_branch .LBB297_1445
.LBB297_1441:
	s_mov_b64 s[12:13], -1
                                        ; implicit-def: $vgpr3
	s_branch .LBB297_1446
.LBB297_1442:
	s_andn2_saveexec_b64 s[8:9], s[8:9]
	s_cbranch_execz .LBB297_1423
.LBB297_1443:
	v_cmp_ne_u16_e32 vcc, 0, v1
	s_andn2_b64 s[10:11], s[10:11], exec
	s_and_b64 s[12:13], vcc, exec
	s_or_b64 s[10:11], s[10:11], s[12:13]
	s_or_b64 exec, exec, s[8:9]
	v_mov_b32_e32 v3, 0
	s_and_saveexec_b64 s[8:9], s[10:11]
	s_cbranch_execnz .LBB297_1424
	s_branch .LBB297_1425
.LBB297_1444:
	s_mov_b64 s[0:1], -1
                                        ; implicit-def: $vgpr3
.LBB297_1445:
	s_mov_b64 s[12:13], 0
.LBB297_1446:
	s_and_b64 vcc, exec, s[12:13]
	s_cbranch_vccz .LBB297_1448
; %bb.1447:
	s_cmp_lg_u32 s15, 11
	s_mov_b64 s[8:9], -1
	s_cselect_b64 s[0:1], -1, 0
.LBB297_1448:
	s_and_b64 vcc, exec, s[0:1]
	s_cbranch_vccnz .LBB297_1511
; %bb.1449:
	s_andn2_b64 vcc, exec, s[8:9]
	s_cbranch_vccnz .LBB297_1451
.LBB297_1450:
	global_load_ubyte v1, v[10:11], off
	s_mov_b64 s[10:11], -1
	s_waitcnt vmcnt(0)
	v_cmp_ne_u16_e32 vcc, 0, v1
	s_nop 1
	v_cndmask_b32_e64 v3, 0, 1, vcc
.LBB297_1451:
	s_branch .LBB297_1383
.LBB297_1452:
	s_and_b32 s8, 0xffff, s14
	s_cmp_lt_i32 s8, 5
	s_cbranch_scc1 .LBB297_1457
; %bb.1453:
	s_cmp_lt_i32 s8, 8
	s_cbranch_scc1 .LBB297_1458
; %bb.1454:
	;; [unrolled: 3-line block ×3, first 2 shown]
	s_cmp_gt_i32 s8, 9
	s_cbranch_scc0 .LBB297_1460
; %bb.1456:
	global_load_dwordx2 v[12:13], v[10:11], off
	s_mov_b64 s[0:1], 0
	s_waitcnt vmcnt(0)
	v_cvt_i32_f64_e32 v3, v[12:13]
	s_branch .LBB297_1461
.LBB297_1457:
	s_mov_b64 s[0:1], -1
                                        ; implicit-def: $vgpr3
	s_branch .LBB297_1479
.LBB297_1458:
	s_mov_b64 s[0:1], -1
                                        ; implicit-def: $vgpr3
	s_branch .LBB297_1467
.LBB297_1459:
	s_mov_b64 s[0:1], -1
                                        ; implicit-def: $vgpr3
	s_branch .LBB297_1464
.LBB297_1460:
	s_mov_b64 s[0:1], -1
                                        ; implicit-def: $vgpr3
.LBB297_1461:
	s_andn2_b64 vcc, exec, s[0:1]
	s_cbranch_vccnz .LBB297_1463
; %bb.1462:
	global_load_dword v1, v[10:11], off
	s_waitcnt vmcnt(0)
	v_cvt_i32_f32_e32 v3, v1
.LBB297_1463:
	s_mov_b64 s[0:1], 0
.LBB297_1464:
	s_andn2_b64 vcc, exec, s[0:1]
	s_cbranch_vccnz .LBB297_1466
; %bb.1465:
	global_load_dword v1, v[10:11], off
	s_waitcnt vmcnt(0)
	v_cvt_f32_f16_e32 v1, v1
	v_cvt_i32_f32_e32 v3, v1
.LBB297_1466:
	s_mov_b64 s[0:1], 0
.LBB297_1467:
	s_andn2_b64 vcc, exec, s[0:1]
	s_cbranch_vccnz .LBB297_1478
; %bb.1468:
	s_cmp_lt_i32 s8, 6
	s_cbranch_scc1 .LBB297_1471
; %bb.1469:
	s_cmp_gt_i32 s8, 6
	s_cbranch_scc0 .LBB297_1472
; %bb.1470:
	global_load_dwordx2 v[12:13], v[10:11], off
	s_mov_b64 s[0:1], 0
	s_waitcnt vmcnt(0)
	v_cvt_i32_f64_e32 v3, v[12:13]
	s_branch .LBB297_1473
.LBB297_1471:
	s_mov_b64 s[0:1], -1
                                        ; implicit-def: $vgpr3
	s_branch .LBB297_1476
.LBB297_1472:
	s_mov_b64 s[0:1], -1
                                        ; implicit-def: $vgpr3
.LBB297_1473:
	s_andn2_b64 vcc, exec, s[0:1]
	s_cbranch_vccnz .LBB297_1475
; %bb.1474:
	global_load_dword v1, v[10:11], off
	s_waitcnt vmcnt(0)
	v_cvt_i32_f32_e32 v3, v1
.LBB297_1475:
	s_mov_b64 s[0:1], 0
.LBB297_1476:
	s_andn2_b64 vcc, exec, s[0:1]
	s_cbranch_vccnz .LBB297_1478
; %bb.1477:
	global_load_ushort v1, v[10:11], off
	s_waitcnt vmcnt(0)
	v_cvt_f32_f16_e32 v1, v1
	v_cvt_i32_f32_e32 v3, v1
.LBB297_1478:
	s_mov_b64 s[0:1], 0
.LBB297_1479:
	s_andn2_b64 vcc, exec, s[0:1]
	s_cbranch_vccnz .LBB297_1499
; %bb.1480:
	s_cmp_lt_i32 s8, 2
	s_cbranch_scc1 .LBB297_1484
; %bb.1481:
	s_cmp_lt_i32 s8, 3
	s_cbranch_scc1 .LBB297_1485
; %bb.1482:
	s_cmp_gt_i32 s8, 3
	s_cbranch_scc0 .LBB297_1486
; %bb.1483:
	global_load_dword v3, v[10:11], off
	s_mov_b64 s[0:1], 0
	s_branch .LBB297_1487
.LBB297_1484:
	s_mov_b64 s[0:1], -1
                                        ; implicit-def: $vgpr3
	s_branch .LBB297_1493
.LBB297_1485:
	s_mov_b64 s[0:1], -1
                                        ; implicit-def: $vgpr3
	s_branch .LBB297_1490
.LBB297_1486:
	s_mov_b64 s[0:1], -1
                                        ; implicit-def: $vgpr3
.LBB297_1487:
	s_andn2_b64 vcc, exec, s[0:1]
	s_cbranch_vccnz .LBB297_1489
; %bb.1488:
	global_load_dword v3, v[10:11], off
.LBB297_1489:
	s_mov_b64 s[0:1], 0
.LBB297_1490:
	s_andn2_b64 vcc, exec, s[0:1]
	s_cbranch_vccnz .LBB297_1492
; %bb.1491:
	global_load_sshort v3, v[10:11], off
.LBB297_1492:
	s_mov_b64 s[0:1], 0
.LBB297_1493:
	s_andn2_b64 vcc, exec, s[0:1]
	s_cbranch_vccnz .LBB297_1499
; %bb.1494:
	s_cmp_gt_i32 s8, 0
	s_cbranch_scc0 .LBB297_1496
; %bb.1495:
	global_load_sbyte v3, v[10:11], off
	s_mov_b64 s[0:1], 0
	s_branch .LBB297_1497
.LBB297_1496:
	s_mov_b64 s[0:1], -1
                                        ; implicit-def: $vgpr3
.LBB297_1497:
	s_andn2_b64 vcc, exec, s[0:1]
	s_cbranch_vccnz .LBB297_1499
; %bb.1498:
	global_load_ubyte v3, v[10:11], off
.LBB297_1499:
.LBB297_1500:
	v_mov_b32_e32 v9, 0
	s_cmp_lt_i32 s14, 11
	v_lshl_add_u64 v[8:9], s[6:7], 0, v[8:9]
	s_cbranch_scc1 .LBB297_1507
; %bb.1501:
	s_and_b32 s12, 0xffff, s14
	s_cmp_gt_i32 s12, 25
	s_mov_b64 s[6:7], 0
	s_cbranch_scc0 .LBB297_1508
; %bb.1502:
	s_cmp_gt_i32 s12, 28
	s_cbranch_scc0 .LBB297_1509
; %bb.1503:
	s_cmp_gt_i32 s12, 43
	s_cbranch_scc0 .LBB297_1510
; %bb.1504:
	s_cmp_gt_i32 s12, 45
	s_cbranch_scc0 .LBB297_1512
; %bb.1505:
	s_cmp_eq_u32 s12, 46
	s_mov_b64 s[10:11], 0
	s_cbranch_scc0 .LBB297_1513
; %bb.1506:
	global_load_dword v1, v[8:9], off
	s_mov_b64 s[0:1], 0
	s_mov_b64 s[8:9], -1
	s_waitcnt vmcnt(0)
	v_lshlrev_b32_e32 v1, 16, v1
	v_cvt_i32_f32_e32 v1, v1
	s_branch .LBB297_1514
.LBB297_1507:
	s_mov_b64 s[0:1], -1
	s_mov_b64 s[8:9], 0
                                        ; implicit-def: $vgpr1
	s_branch .LBB297_1576
.LBB297_1508:
	s_mov_b64 s[10:11], -1
	s_mov_b64 s[8:9], 0
	s_mov_b64 s[0:1], 0
                                        ; implicit-def: $vgpr1
	s_branch .LBB297_1541
.LBB297_1509:
	s_mov_b64 s[10:11], -1
	s_mov_b64 s[8:9], 0
	s_mov_b64 s[0:1], 0
                                        ; implicit-def: $vgpr1
	s_branch .LBB297_1524
.LBB297_1510:
	s_mov_b64 s[10:11], -1
	s_mov_b64 s[8:9], 0
	s_mov_b64 s[0:1], 0
                                        ; implicit-def: $vgpr1
	s_branch .LBB297_1519
.LBB297_1511:
	s_trap 2
	s_or_b64 s[2:3], s[2:3], exec
	s_cbranch_execz .LBB297_1450
	s_branch .LBB297_1451
.LBB297_1512:
	s_mov_b64 s[10:11], -1
	s_mov_b64 s[8:9], 0
	s_mov_b64 s[0:1], 0
                                        ; implicit-def: $vgpr1
	s_branch .LBB297_1514
.LBB297_1513:
	s_mov_b64 s[0:1], -1
                                        ; implicit-def: $vgpr1
	s_mov_b64 s[8:9], 0
.LBB297_1514:
	s_and_b64 vcc, exec, s[10:11]
	s_cbranch_vccz .LBB297_1518
; %bb.1515:
	s_cmp_eq_u32 s12, 44
	s_cbranch_scc0 .LBB297_1517
; %bb.1516:
	global_load_ubyte v1, v[8:9], off
	s_mov_b64 s[0:1], 0
	s_mov_b64 s[8:9], -1
	s_waitcnt vmcnt(0)
	v_lshlrev_b32_e32 v7, 23, v1
	v_cvt_i32_f32_e32 v7, v7
	v_cmp_ne_u32_e32 vcc, 0, v1
	s_nop 1
	v_cndmask_b32_e32 v1, 0, v7, vcc
	s_branch .LBB297_1518
.LBB297_1517:
	s_mov_b64 s[0:1], -1
                                        ; implicit-def: $vgpr1
.LBB297_1518:
	s_mov_b64 s[10:11], 0
.LBB297_1519:
	s_and_b64 vcc, exec, s[10:11]
	s_cbranch_vccz .LBB297_1523
; %bb.1520:
	s_cmp_eq_u32 s12, 29
	s_cbranch_scc0 .LBB297_1522
; %bb.1521:
	global_load_dword v1, v[8:9], off
	s_mov_b64 s[0:1], 0
	s_mov_b64 s[8:9], -1
	s_branch .LBB297_1523
.LBB297_1522:
	s_mov_b64 s[0:1], -1
                                        ; implicit-def: $vgpr1
.LBB297_1523:
	s_mov_b64 s[10:11], 0
.LBB297_1524:
	s_and_b64 vcc, exec, s[10:11]
	s_cbranch_vccz .LBB297_1540
; %bb.1525:
	s_cmp_lt_i32 s12, 27
	s_cbranch_scc1 .LBB297_1528
; %bb.1526:
	s_cmp_gt_i32 s12, 27
	s_cbranch_scc0 .LBB297_1529
; %bb.1527:
	global_load_dword v1, v[8:9], off
	s_mov_b64 s[8:9], 0
	s_branch .LBB297_1530
.LBB297_1528:
	s_mov_b64 s[8:9], -1
                                        ; implicit-def: $vgpr1
	s_branch .LBB297_1533
.LBB297_1529:
	s_mov_b64 s[8:9], -1
                                        ; implicit-def: $vgpr1
.LBB297_1530:
	s_andn2_b64 vcc, exec, s[8:9]
	s_cbranch_vccnz .LBB297_1532
; %bb.1531:
	global_load_ushort v1, v[8:9], off
.LBB297_1532:
	s_mov_b64 s[8:9], 0
.LBB297_1533:
	s_andn2_b64 vcc, exec, s[8:9]
	s_cbranch_vccnz .LBB297_1539
; %bb.1534:
	global_load_ubyte v7, v[8:9], off
	s_movk_i32 s8, 0x7f
	s_mov_b64 s[10:11], 0
	s_waitcnt vmcnt(0)
	v_cmp_lt_i16_e32 vcc, s8, v7
	s_and_saveexec_b64 s[8:9], vcc
	s_xor_b64 s[8:9], exec, s[8:9]
	s_cbranch_execz .LBB297_1551
; %bb.1535:
	s_movk_i32 s10, 0x80
	v_cmp_ne_u16_e32 vcc, s10, v7
	s_and_b64 s[10:11], vcc, exec
	s_andn2_saveexec_b64 s[8:9], s[8:9]
	s_cbranch_execnz .LBB297_1552
.LBB297_1536:
	s_or_b64 exec, exec, s[8:9]
	v_mov_b32_e32 v1, 0
	s_and_saveexec_b64 s[8:9], s[10:11]
	s_cbranch_execz .LBB297_1538
.LBB297_1537:
	v_lshlrev_b32_e32 v1, 24, v7
	v_and_b32_e32 v7, 0xffff, v7
	v_and_b32_e32 v10, 7, v7
	v_ffbh_u32_e32 v12, v10
	v_min_u32_e32 v12, 32, v12
	v_subrev_u32_e32 v13, 28, v12
	v_bfe_u32 v11, v7, 3, 4
	v_lshlrev_b32_e32 v7, v13, v7
	v_sub_u32_e32 v12, 29, v12
	v_and_b32_e32 v7, 7, v7
	v_cmp_eq_u32_e32 vcc, 0, v11
	v_and_b32_e32 v1, 0x80000000, v1
	s_nop 0
	v_cndmask_b32_e32 v11, v11, v12, vcc
	v_cndmask_b32_e32 v7, v10, v7, vcc
	v_mov_b32_e32 v10, 0x3b800000
	v_lshlrev_b32_e32 v7, 20, v7
	v_lshl_add_u32 v10, v11, 23, v10
	v_or3_b32 v1, v1, v10, v7
	v_cvt_i32_f32_e32 v1, v1
.LBB297_1538:
	s_or_b64 exec, exec, s[8:9]
.LBB297_1539:
	s_mov_b64 s[8:9], -1
.LBB297_1540:
	s_mov_b64 s[10:11], 0
.LBB297_1541:
	s_and_b64 vcc, exec, s[10:11]
	s_cbranch_vccz .LBB297_1572
; %bb.1542:
	s_cmp_gt_i32 s12, 22
	s_cbranch_scc0 .LBB297_1550
; %bb.1543:
	s_cmp_lt_i32 s12, 24
	s_cbranch_scc1 .LBB297_1553
; %bb.1544:
	s_cmp_gt_i32 s12, 24
	s_cbranch_scc0 .LBB297_1554
; %bb.1545:
	global_load_ubyte v7, v[8:9], off
	s_movk_i32 s6, 0x7f
	s_mov_b64 s[8:9], 0
	s_waitcnt vmcnt(0)
	v_cmp_lt_i16_e32 vcc, s6, v7
	s_and_saveexec_b64 s[6:7], vcc
	s_xor_b64 s[6:7], exec, s[6:7]
	s_cbranch_execz .LBB297_1566
; %bb.1546:
	s_movk_i32 s8, 0x80
	v_cmp_ne_u16_e32 vcc, s8, v7
	s_and_b64 s[8:9], vcc, exec
	s_andn2_saveexec_b64 s[6:7], s[6:7]
	s_cbranch_execnz .LBB297_1567
.LBB297_1547:
	s_or_b64 exec, exec, s[6:7]
	v_mov_b32_e32 v1, 0
	s_and_saveexec_b64 s[6:7], s[8:9]
	s_cbranch_execz .LBB297_1549
.LBB297_1548:
	v_lshlrev_b32_e32 v1, 24, v7
	v_and_b32_e32 v7, 0xffff, v7
	v_and_b32_e32 v10, 3, v7
	v_ffbh_u32_e32 v12, v10
	v_min_u32_e32 v12, 32, v12
	v_subrev_u32_e32 v13, 29, v12
	v_bfe_u32 v11, v7, 2, 5
	v_lshlrev_b32_e32 v7, v13, v7
	v_sub_u32_e32 v12, 30, v12
	v_and_b32_e32 v7, 3, v7
	v_cmp_eq_u32_e32 vcc, 0, v11
	v_and_b32_e32 v1, 0x80000000, v1
	s_nop 0
	v_cndmask_b32_e32 v11, v11, v12, vcc
	v_cndmask_b32_e32 v7, v10, v7, vcc
	v_mov_b32_e32 v10, 0x37800000
	v_lshlrev_b32_e32 v7, 21, v7
	v_lshl_add_u32 v10, v11, 23, v10
	v_or3_b32 v1, v1, v10, v7
	v_cvt_i32_f32_e32 v1, v1
.LBB297_1549:
	s_or_b64 exec, exec, s[6:7]
	s_mov_b64 s[6:7], 0
	s_branch .LBB297_1555
.LBB297_1550:
	s_mov_b64 s[6:7], -1
                                        ; implicit-def: $vgpr1
	s_branch .LBB297_1561
.LBB297_1551:
	s_andn2_saveexec_b64 s[8:9], s[8:9]
	s_cbranch_execz .LBB297_1536
.LBB297_1552:
	v_cmp_ne_u16_e32 vcc, 0, v7
	s_andn2_b64 s[10:11], s[10:11], exec
	s_and_b64 s[16:17], vcc, exec
	s_or_b64 s[10:11], s[10:11], s[16:17]
	s_or_b64 exec, exec, s[8:9]
	v_mov_b32_e32 v1, 0
	s_and_saveexec_b64 s[8:9], s[10:11]
	s_cbranch_execnz .LBB297_1537
	s_branch .LBB297_1538
.LBB297_1553:
	s_mov_b64 s[6:7], -1
                                        ; implicit-def: $vgpr1
	s_branch .LBB297_1558
.LBB297_1554:
	s_mov_b64 s[6:7], -1
                                        ; implicit-def: $vgpr1
.LBB297_1555:
	s_and_b64 vcc, exec, s[6:7]
	s_cbranch_vccz .LBB297_1557
; %bb.1556:
	global_load_ubyte v1, v[8:9], off
	s_mov_b32 s6, 0x7f800000
	s_waitcnt vmcnt(0)
	v_lshlrev_b32_e32 v1, 24, v1
	v_and_b32_e32 v7, 0x7f000000, v1
	v_ffbh_u32_e32 v10, v7
	v_min_u32_e32 v10, 32, v10
	v_sub_u32_e64 v10, v10, 4 clamp
	v_lshlrev_b32_e32 v12, v10, v7
	v_lshlrev_b32_e32 v10, 23, v10
	v_lshrrev_b32_e32 v12, 4, v12
	v_add_u32_e32 v11, 0x1000000, v7
	v_sub_u32_e32 v10, v12, v10
	v_ashrrev_i32_e32 v11, 8, v11
	v_add_u32_e32 v10, 0x3c000000, v10
	v_and_or_b32 v10, v11, s6, v10
	v_cmp_ne_u32_e32 vcc, 0, v7
	s_brev_b32 s6, 1
	s_nop 0
	v_cndmask_b32_e32 v7, 0, v10, vcc
	v_and_or_b32 v1, v1, s6, v7
	v_cvt_i32_f32_e32 v1, v1
.LBB297_1557:
	s_mov_b64 s[6:7], 0
.LBB297_1558:
	s_andn2_b64 vcc, exec, s[6:7]
	s_cbranch_vccnz .LBB297_1560
; %bb.1559:
	global_load_ubyte v1, v[8:9], off
	s_movk_i32 s6, 0x7f00
	s_brev_b32 s7, 16
	s_waitcnt vmcnt(0)
	v_lshlrev_b16_e32 v7, 8, v1
	v_lshlrev_b32_e32 v1, 25, v1
	v_lshrrev_b32_e32 v10, 4, v1
	v_and_or_b32 v11, v7, s6, 0.5
	v_or_b32_e32 v10, 0x70000000, v10
	v_add_f32_e32 v11, -0.5, v11
	v_mul_f32_e32 v10, 0x7800000, v10
	v_cmp_gt_u32_e32 vcc, s7, v1
	v_bfe_i32 v7, v7, 0, 16
	s_brev_b32 s6, 1
	v_cndmask_b32_e32 v1, v10, v11, vcc
	v_and_or_b32 v1, v7, s6, v1
	v_cvt_i32_f32_e32 v1, v1
.LBB297_1560:
	s_mov_b64 s[6:7], 0
	s_mov_b64 s[8:9], -1
.LBB297_1561:
	s_andn2_b64 vcc, exec, s[6:7]
	s_mov_b64 s[6:7], 0
	s_cbranch_vccnz .LBB297_1572
; %bb.1562:
	s_cmp_gt_i32 s12, 14
	s_cbranch_scc0 .LBB297_1565
; %bb.1563:
	s_cmp_eq_u32 s12, 15
	s_cbranch_scc0 .LBB297_1568
; %bb.1564:
	global_load_ushort v1, v[8:9], off
	s_mov_b64 s[0:1], 0
	s_mov_b64 s[8:9], -1
	s_waitcnt vmcnt(0)
	v_lshlrev_b32_e32 v1, 16, v1
	v_cvt_i32_f32_e32 v1, v1
	s_branch .LBB297_1569
.LBB297_1565:
	s_mov_b64 s[10:11], -1
                                        ; implicit-def: $vgpr1
	s_branch .LBB297_1570
.LBB297_1566:
	s_andn2_saveexec_b64 s[6:7], s[6:7]
	s_cbranch_execz .LBB297_1547
.LBB297_1567:
	v_cmp_ne_u16_e32 vcc, 0, v7
	s_andn2_b64 s[8:9], s[8:9], exec
	s_and_b64 s[10:11], vcc, exec
	s_or_b64 s[8:9], s[8:9], s[10:11]
	s_or_b64 exec, exec, s[6:7]
	v_mov_b32_e32 v1, 0
	s_and_saveexec_b64 s[6:7], s[8:9]
	s_cbranch_execnz .LBB297_1548
	s_branch .LBB297_1549
.LBB297_1568:
	s_mov_b64 s[0:1], -1
                                        ; implicit-def: $vgpr1
.LBB297_1569:
	s_mov_b64 s[10:11], 0
.LBB297_1570:
	s_and_b64 vcc, exec, s[10:11]
	s_cbranch_vccz .LBB297_1572
; %bb.1571:
	s_cmp_lg_u32 s12, 11
	s_mov_b64 s[6:7], -1
	s_cselect_b64 s[0:1], -1, 0
.LBB297_1572:
	s_and_b64 vcc, exec, s[0:1]
	s_cbranch_vccnz .LBB297_2105
; %bb.1573:
	s_andn2_b64 vcc, exec, s[6:7]
	s_cbranch_vccnz .LBB297_1575
.LBB297_1574:
	global_load_ubyte v1, v[8:9], off
	s_mov_b64 s[8:9], -1
	s_waitcnt vmcnt(0)
	v_cmp_ne_u16_e32 vcc, 0, v1
	s_nop 1
	v_cndmask_b32_e64 v1, 0, 1, vcc
.LBB297_1575:
	s_mov_b64 s[0:1], 0
.LBB297_1576:
	s_and_b64 vcc, exec, s[0:1]
	s_cbranch_vccz .LBB297_1625
; %bb.1577:
	s_and_b32 s6, 0xffff, s14
	s_cmp_lt_i32 s6, 5
	s_cbranch_scc1 .LBB297_1582
; %bb.1578:
	s_cmp_lt_i32 s6, 8
	s_cbranch_scc1 .LBB297_1583
; %bb.1579:
	;; [unrolled: 3-line block ×3, first 2 shown]
	s_cmp_gt_i32 s6, 9
	s_cbranch_scc0 .LBB297_1585
; %bb.1581:
	global_load_dwordx2 v[10:11], v[8:9], off
	s_mov_b64 s[0:1], 0
	s_waitcnt vmcnt(0)
	v_cvt_i32_f64_e32 v1, v[10:11]
	s_branch .LBB297_1586
.LBB297_1582:
	s_mov_b64 s[0:1], -1
                                        ; implicit-def: $vgpr1
	s_branch .LBB297_1604
.LBB297_1583:
	s_mov_b64 s[0:1], -1
                                        ; implicit-def: $vgpr1
	s_branch .LBB297_1592
.LBB297_1584:
	s_mov_b64 s[0:1], -1
                                        ; implicit-def: $vgpr1
	s_branch .LBB297_1589
.LBB297_1585:
	s_mov_b64 s[0:1], -1
                                        ; implicit-def: $vgpr1
.LBB297_1586:
	s_andn2_b64 vcc, exec, s[0:1]
	s_cbranch_vccnz .LBB297_1588
; %bb.1587:
	global_load_dword v1, v[8:9], off
	s_waitcnt vmcnt(0)
	v_cvt_i32_f32_e32 v1, v1
.LBB297_1588:
	s_mov_b64 s[0:1], 0
.LBB297_1589:
	s_andn2_b64 vcc, exec, s[0:1]
	s_cbranch_vccnz .LBB297_1591
; %bb.1590:
	global_load_dword v1, v[8:9], off
	s_waitcnt vmcnt(0)
	v_cvt_f32_f16_e32 v1, v1
	v_cvt_i32_f32_e32 v1, v1
.LBB297_1591:
	s_mov_b64 s[0:1], 0
.LBB297_1592:
	s_andn2_b64 vcc, exec, s[0:1]
	s_cbranch_vccnz .LBB297_1603
; %bb.1593:
	s_cmp_lt_i32 s6, 6
	s_cbranch_scc1 .LBB297_1596
; %bb.1594:
	s_cmp_gt_i32 s6, 6
	s_cbranch_scc0 .LBB297_1597
; %bb.1595:
	global_load_dwordx2 v[10:11], v[8:9], off
	s_mov_b64 s[0:1], 0
	s_waitcnt vmcnt(0)
	v_cvt_i32_f64_e32 v1, v[10:11]
	s_branch .LBB297_1598
.LBB297_1596:
	s_mov_b64 s[0:1], -1
                                        ; implicit-def: $vgpr1
	s_branch .LBB297_1601
.LBB297_1597:
	s_mov_b64 s[0:1], -1
                                        ; implicit-def: $vgpr1
.LBB297_1598:
	s_andn2_b64 vcc, exec, s[0:1]
	s_cbranch_vccnz .LBB297_1600
; %bb.1599:
	global_load_dword v1, v[8:9], off
	s_waitcnt vmcnt(0)
	v_cvt_i32_f32_e32 v1, v1
.LBB297_1600:
	s_mov_b64 s[0:1], 0
.LBB297_1601:
	s_andn2_b64 vcc, exec, s[0:1]
	s_cbranch_vccnz .LBB297_1603
; %bb.1602:
	global_load_ushort v1, v[8:9], off
	s_waitcnt vmcnt(0)
	v_cvt_f32_f16_e32 v1, v1
	v_cvt_i32_f32_e32 v1, v1
.LBB297_1603:
	s_mov_b64 s[0:1], 0
.LBB297_1604:
	s_andn2_b64 vcc, exec, s[0:1]
	s_cbranch_vccnz .LBB297_1624
; %bb.1605:
	s_cmp_lt_i32 s6, 2
	s_cbranch_scc1 .LBB297_1609
; %bb.1606:
	s_cmp_lt_i32 s6, 3
	s_cbranch_scc1 .LBB297_1610
; %bb.1607:
	s_cmp_gt_i32 s6, 3
	s_cbranch_scc0 .LBB297_1611
; %bb.1608:
	global_load_dword v1, v[8:9], off
	s_mov_b64 s[0:1], 0
	s_branch .LBB297_1612
.LBB297_1609:
	s_mov_b64 s[0:1], -1
                                        ; implicit-def: $vgpr1
	s_branch .LBB297_1618
.LBB297_1610:
	s_mov_b64 s[0:1], -1
                                        ; implicit-def: $vgpr1
	s_branch .LBB297_1615
.LBB297_1611:
	s_mov_b64 s[0:1], -1
                                        ; implicit-def: $vgpr1
.LBB297_1612:
	s_andn2_b64 vcc, exec, s[0:1]
	s_cbranch_vccnz .LBB297_1614
; %bb.1613:
	global_load_dword v1, v[8:9], off
.LBB297_1614:
	s_mov_b64 s[0:1], 0
.LBB297_1615:
	s_andn2_b64 vcc, exec, s[0:1]
	s_cbranch_vccnz .LBB297_1617
; %bb.1616:
	global_load_sshort v1, v[8:9], off
.LBB297_1617:
	s_mov_b64 s[0:1], 0
.LBB297_1618:
	s_andn2_b64 vcc, exec, s[0:1]
	s_cbranch_vccnz .LBB297_1624
; %bb.1619:
	s_cmp_gt_i32 s6, 0
	s_cbranch_scc0 .LBB297_1621
; %bb.1620:
	global_load_sbyte v1, v[8:9], off
	s_mov_b64 s[0:1], 0
	s_branch .LBB297_1622
.LBB297_1621:
	s_mov_b64 s[0:1], -1
                                        ; implicit-def: $vgpr1
.LBB297_1622:
	s_andn2_b64 vcc, exec, s[0:1]
	s_cbranch_vccnz .LBB297_1624
; %bb.1623:
	global_load_ubyte v1, v[8:9], off
.LBB297_1624:
	s_mov_b64 s[8:9], -1
.LBB297_1625:
	s_andn2_b64 vcc, exec, s[8:9]
	s_cbranch_vccnz .LBB297_2059
; %bb.1626:
	s_load_dword s0, s[34:35], 0x160
	s_load_dwordx2 s[6:7], s[34:35], 0x158
	v_mov_b32_e32 v7, 0
	v_lshl_add_u64 v[6:7], s[4:5], 0, v[6:7]
	s_waitcnt lgkmcnt(0)
	s_and_b32 s16, s0, 0xff
	s_waitcnt vmcnt(0)
	v_max_i32_e32 v8, s6, v16
	v_min_i32_e32 v8, s7, v8
	s_cmp_lt_i32 s16, 11
	s_cbranch_scc1 .LBB297_1704
; %bb.1627:
	s_and_b32 s17, 0xffff, s16
	s_mov_b64 s[12:13], -1
	s_mov_b64 s[8:9], 0
	s_cmp_gt_i32 s17, 25
	s_mov_b64 s[10:11], 0
	s_mov_b64 s[0:1], 0
	s_cbranch_scc0 .LBB297_1660
; %bb.1628:
	s_cmp_gt_i32 s17, 28
	s_cbranch_scc0 .LBB297_1643
; %bb.1629:
	s_cmp_gt_i32 s17, 43
	;; [unrolled: 3-line block ×3, first 2 shown]
	s_cbranch_scc0 .LBB297_1633
; %bb.1631:
	s_mov_b64 s[0:1], -1
	s_mov_b64 s[12:13], 0
	s_cmp_eq_u32 s17, 46
	s_cbranch_scc0 .LBB297_1633
; %bb.1632:
	v_cvt_f32_i32_e32 v9, v8
	s_movk_i32 s10, 0x7fff
	s_mov_b64 s[0:1], 0
	v_bfe_u32 v10, v9, 16, 1
	v_add3_u32 v9, v9, v10, s10
	v_lshrrev_b32_e32 v9, 16, v9
	global_store_dword v[6:7], v9, off
	s_mov_b64 s[10:11], -1
.LBB297_1633:
	s_and_b64 vcc, exec, s[12:13]
	s_cbranch_vccz .LBB297_1638
; %bb.1634:
	s_cmp_eq_u32 s17, 44
	s_mov_b64 s[0:1], -1
	s_cbranch_scc0 .LBB297_1638
; %bb.1635:
	v_cvt_f32_i32_e32 v9, v8
	s_movk_i32 s0, 0xff
	v_mov_b32_e32 v11, 0xff
	v_bfe_u32 v10, v9, 23, 8
	v_cmp_ne_u32_e32 vcc, s0, v10
	s_and_saveexec_b64 s[10:11], vcc
; %bb.1636:
	s_mov_b32 s0, 0x3fffff
	v_lshrrev_b32_e32 v11, 23, v9
	v_and_b32_e32 v12, 0x400000, v9
	v_and_or_b32 v9, v9, s0, v10
	v_cmp_ne_u32_e32 vcc, 0, v12
	v_cmp_ne_u32_e64 s[0:1], 0, v9
	s_and_b64 s[0:1], vcc, s[0:1]
	s_nop 0
	v_cndmask_b32_e64 v9, 0, 1, s[0:1]
	v_add_u32_e32 v11, v11, v9
; %bb.1637:
	s_or_b64 exec, exec, s[10:11]
	s_mov_b64 s[0:1], 0
	s_mov_b64 s[10:11], -1
	global_store_byte v[6:7], v11, off
.LBB297_1638:
	s_mov_b64 s[12:13], 0
.LBB297_1639:
	s_and_b64 vcc, exec, s[12:13]
	s_cbranch_vccz .LBB297_1642
; %bb.1640:
	s_cmp_eq_u32 s17, 29
	s_mov_b64 s[0:1], -1
	s_cbranch_scc0 .LBB297_1642
; %bb.1641:
	v_ashrrev_i32_e32 v9, 31, v8
	global_store_dwordx2 v[6:7], v[8:9], off
	s_mov_b64 s[0:1], 0
	s_mov_b64 s[10:11], -1
.LBB297_1642:
	s_mov_b64 s[12:13], 0
.LBB297_1643:
	s_and_b64 vcc, exec, s[12:13]
	s_cbranch_vccz .LBB297_1659
; %bb.1644:
	s_cmp_lt_i32 s17, 27
	s_mov_b64 s[10:11], -1
	s_cbranch_scc1 .LBB297_1650
; %bb.1645:
	s_cmp_gt_i32 s17, 27
	s_cbranch_scc0 .LBB297_1647
; %bb.1646:
	s_mov_b64 s[10:11], 0
	global_store_dword v[6:7], v8, off
.LBB297_1647:
	s_andn2_b64 vcc, exec, s[10:11]
	s_cbranch_vccnz .LBB297_1649
; %bb.1648:
	global_store_short v[6:7], v8, off
.LBB297_1649:
	s_mov_b64 s[10:11], 0
.LBB297_1650:
	s_andn2_b64 vcc, exec, s[10:11]
	s_cbranch_vccnz .LBB297_1658
; %bb.1651:
	v_cvt_f32_i32_e32 v9, v8
	s_mov_b32 s10, 0x43800000
	v_mov_b32_e32 v11, 0x80
	v_and_b32_e32 v10, 0x7fffffff, v9
	v_cmp_gt_u32_e32 vcc, s10, v10
	s_and_saveexec_b64 s[10:11], vcc
	s_cbranch_execz .LBB297_1657
; %bb.1652:
	s_mov_b32 s12, 0x3bffffff
	v_cmp_lt_u32_e32 vcc, s12, v10
	s_mov_b64 s[12:13], 0
                                        ; implicit-def: $vgpr10
	s_and_saveexec_b64 s[14:15], vcc
	s_xor_b64 s[14:15], exec, s[14:15]
	s_cbranch_execz .LBB297_2106
; %bb.1653:
	v_bfe_u32 v10, v9, 20, 1
	s_mov_b32 s18, 0x487ffff
	v_add3_u32 v10, v9, v10, s18
	s_mov_b64 s[12:13], exec
	v_lshrrev_b32_e32 v10, 20, v10
	s_andn2_saveexec_b64 s[14:15], s[14:15]
	s_cbranch_execnz .LBB297_2107
.LBB297_1654:
	s_or_b64 exec, exec, s[14:15]
	v_mov_b32_e32 v11, 0
	s_and_saveexec_b64 s[14:15], s[12:13]
.LBB297_1655:
	v_lshrrev_b32_e32 v9, 24, v9
	s_movk_i32 s12, 0x80
	v_and_or_b32 v11, v9, s12, v10
.LBB297_1656:
	s_or_b64 exec, exec, s[14:15]
.LBB297_1657:
	s_or_b64 exec, exec, s[10:11]
	global_store_byte v[6:7], v11, off
.LBB297_1658:
	s_mov_b64 s[10:11], -1
.LBB297_1659:
	s_mov_b64 s[12:13], 0
.LBB297_1660:
	s_and_b64 vcc, exec, s[12:13]
	s_cbranch_vccz .LBB297_1700
; %bb.1661:
	s_cmp_gt_i32 s17, 22
	s_mov_b64 s[8:9], -1
	s_cbranch_scc0 .LBB297_1693
; %bb.1662:
	s_cmp_lt_i32 s17, 24
	s_cbranch_scc1 .LBB297_1682
; %bb.1663:
	s_cmp_gt_i32 s17, 24
	s_cbranch_scc0 .LBB297_1671
; %bb.1664:
	v_cvt_f32_i32_e32 v9, v8
	s_mov_b32 s8, 0x47800000
	v_mov_b32_e32 v11, 0x80
	v_and_b32_e32 v10, 0x7fffffff, v9
	v_cmp_gt_u32_e32 vcc, s8, v10
	s_and_saveexec_b64 s[8:9], vcc
	s_cbranch_execz .LBB297_1670
; %bb.1665:
	s_mov_b32 s10, 0x37ffffff
	v_cmp_lt_u32_e32 vcc, s10, v10
	s_mov_b64 s[10:11], 0
                                        ; implicit-def: $vgpr10
	s_and_saveexec_b64 s[12:13], vcc
	s_xor_b64 s[12:13], exec, s[12:13]
	s_cbranch_execz .LBB297_2109
; %bb.1666:
	v_bfe_u32 v10, v9, 21, 1
	s_mov_b32 s14, 0x88fffff
	v_add3_u32 v10, v9, v10, s14
	s_mov_b64 s[10:11], exec
	v_lshrrev_b32_e32 v10, 21, v10
	s_andn2_saveexec_b64 s[12:13], s[12:13]
	s_cbranch_execnz .LBB297_2110
.LBB297_1667:
	s_or_b64 exec, exec, s[12:13]
	v_mov_b32_e32 v11, 0
	s_and_saveexec_b64 s[12:13], s[10:11]
.LBB297_1668:
	v_lshrrev_b32_e32 v9, 24, v9
	s_movk_i32 s10, 0x80
	v_and_or_b32 v11, v9, s10, v10
.LBB297_1669:
	s_or_b64 exec, exec, s[12:13]
.LBB297_1670:
	s_or_b64 exec, exec, s[8:9]
	s_mov_b64 s[8:9], 0
	global_store_byte v[6:7], v11, off
.LBB297_1671:
	s_and_b64 vcc, exec, s[8:9]
	s_cbranch_vccz .LBB297_1681
; %bb.1672:
	v_cvt_f32_i32_e32 v9, v8
	s_mov_b32 s8, 0x43f00000
                                        ; implicit-def: $vgpr10
	v_and_b32_e32 v11, 0x7fffffff, v9
	v_cmp_gt_u32_e32 vcc, s8, v11
	s_and_saveexec_b64 s[8:9], vcc
	s_xor_b64 s[8:9], exec, s[8:9]
	s_cbranch_execz .LBB297_1678
; %bb.1673:
	s_mov_b32 s10, 0x3c7fffff
	v_cmp_lt_u32_e32 vcc, s10, v11
                                        ; implicit-def: $vgpr10
	s_and_saveexec_b64 s[10:11], vcc
	s_xor_b64 s[10:11], exec, s[10:11]
; %bb.1674:
	v_bfe_u32 v10, v9, 20, 1
	s_mov_b32 s12, 0x407ffff
	v_add3_u32 v10, v9, v10, s12
	v_lshrrev_b32_e32 v11, 20, v10
	v_and_b32_e32 v10, 0xff00000, v10
	s_mov_b32 s12, 0x7f00000
	v_mov_b32_e32 v12, 0x7e
	v_cmp_ne_u32_e32 vcc, s12, v10
	s_nop 1
	v_cndmask_b32_e32 v10, v12, v11, vcc
; %bb.1675:
	s_andn2_saveexec_b64 s[10:11], s[10:11]
; %bb.1676:
	s_mov_b32 s12, 0x46800000
	v_add_f32_e64 v10, |v9|, s12
; %bb.1677:
	s_or_b64 exec, exec, s[10:11]
                                        ; implicit-def: $vgpr11
.LBB297_1678:
	s_andn2_saveexec_b64 s[8:9], s[8:9]
; %bb.1679:
	s_mov_b32 s10, 0x7f800000
	v_mov_b32_e32 v10, 0x7e
	v_mov_b32_e32 v12, 0x7f
	v_cmp_lt_u32_e32 vcc, s10, v11
	s_nop 1
	v_cndmask_b32_e32 v10, v10, v12, vcc
; %bb.1680:
	s_or_b64 exec, exec, s[8:9]
	v_lshrrev_b32_e32 v9, 24, v9
	s_movk_i32 s8, 0x80
	v_and_or_b32 v9, v9, s8, v10
	global_store_byte v[6:7], v9, off
.LBB297_1681:
	s_mov_b64 s[8:9], 0
.LBB297_1682:
	s_andn2_b64 vcc, exec, s[8:9]
	s_cbranch_vccnz .LBB297_1692
; %bb.1683:
	v_cvt_f32_i32_e32 v9, v8
	s_mov_b32 s8, 0x47800000
                                        ; implicit-def: $vgpr10
	v_and_b32_e32 v11, 0x7fffffff, v9
	v_cmp_gt_u32_e32 vcc, s8, v11
	s_and_saveexec_b64 s[8:9], vcc
	s_xor_b64 s[8:9], exec, s[8:9]
	s_cbranch_execz .LBB297_1689
; %bb.1684:
	s_mov_b32 s10, 0x387fffff
	v_cmp_lt_u32_e32 vcc, s10, v11
                                        ; implicit-def: $vgpr10
	s_and_saveexec_b64 s[10:11], vcc
	s_xor_b64 s[10:11], exec, s[10:11]
; %bb.1685:
	v_bfe_u32 v10, v9, 21, 1
	s_mov_b32 s12, 0x80fffff
	v_add3_u32 v10, v9, v10, s12
	v_lshrrev_b32_e32 v10, 21, v10
; %bb.1686:
	s_andn2_saveexec_b64 s[10:11], s[10:11]
; %bb.1687:
	s_mov_b32 s12, 0x43000000
	v_add_f32_e64 v10, |v9|, s12
; %bb.1688:
	s_or_b64 exec, exec, s[10:11]
                                        ; implicit-def: $vgpr11
.LBB297_1689:
	s_andn2_saveexec_b64 s[8:9], s[8:9]
; %bb.1690:
	s_mov_b32 s10, 0x7f800000
	v_mov_b32_e32 v10, 0x7c
	v_mov_b32_e32 v12, 0x7f
	v_cmp_lt_u32_e32 vcc, s10, v11
	s_nop 1
	v_cndmask_b32_e32 v10, v10, v12, vcc
; %bb.1691:
	s_or_b64 exec, exec, s[8:9]
	v_lshrrev_b32_e32 v9, 24, v9
	s_movk_i32 s8, 0x80
	v_and_or_b32 v9, v9, s8, v10
	global_store_byte v[6:7], v9, off
.LBB297_1692:
	s_mov_b64 s[8:9], 0
	s_mov_b64 s[10:11], -1
.LBB297_1693:
	s_andn2_b64 vcc, exec, s[8:9]
	s_mov_b64 s[8:9], 0
	s_cbranch_vccnz .LBB297_1700
; %bb.1694:
	s_cmp_gt_i32 s17, 14
	s_mov_b64 s[12:13], -1
	s_cbranch_scc0 .LBB297_1698
; %bb.1695:
	s_cmp_eq_u32 s17, 15
	s_mov_b64 s[0:1], -1
	s_cbranch_scc0 .LBB297_1697
; %bb.1696:
	v_cvt_f32_i32_e32 v9, v8
	s_movk_i32 s8, 0x7fff
	s_mov_b64 s[0:1], 0
	s_mov_b64 s[10:11], -1
	v_bfe_u32 v10, v9, 16, 1
	v_add3_u32 v9, v9, v10, s8
	global_store_short_d16_hi v[6:7], v9, off
.LBB297_1697:
	s_mov_b64 s[12:13], 0
.LBB297_1698:
	s_mov_b64 s[8:9], 0
	s_and_b64 vcc, exec, s[12:13]
	s_cbranch_vccz .LBB297_1700
; %bb.1699:
	s_cmp_lg_u32 s17, 11
	s_mov_b64 s[8:9], -1
	s_cselect_b64 s[0:1], -1, 0
.LBB297_1700:
	s_and_b64 vcc, exec, s[0:1]
	s_cbranch_vccnz .LBB297_2108
; %bb.1701:
	s_andn2_b64 vcc, exec, s[8:9]
	s_cbranch_vccnz .LBB297_1703
.LBB297_1702:
	v_cmp_ne_u32_e32 vcc, 0, v8
	s_mov_b64 s[10:11], -1
	s_nop 0
	v_cndmask_b32_e64 v9, 0, 1, vcc
	global_store_byte v[6:7], v9, off
.LBB297_1703:
	s_mov_b64 s[0:1], 0
	s_branch .LBB297_1705
.LBB297_1704:
	s_mov_b64 s[0:1], -1
	s_mov_b64 s[10:11], 0
.LBB297_1705:
	s_and_b64 vcc, exec, s[0:1]
	s_cbranch_vccz .LBB297_1744
; %bb.1706:
	s_and_b32 s8, 0xffff, s16
	s_cmp_lt_i32 s8, 5
	s_mov_b64 s[0:1], -1
	s_cbranch_scc1 .LBB297_1727
; %bb.1707:
	s_cmp_lt_i32 s8, 8
	s_cbranch_scc1 .LBB297_1717
; %bb.1708:
	s_cmp_lt_i32 s8, 9
	s_cbranch_scc1 .LBB297_1714
; %bb.1709:
	s_cmp_gt_i32 s8, 9
	s_cbranch_scc0 .LBB297_1711
; %bb.1710:
	v_mov_b32_e32 v12, 0
	v_cvt_f64_i32_e32 v[10:11], v8
	v_mov_b32_e32 v13, v12
	global_store_dwordx4 v[6:7], v[10:13], off
	s_mov_b64 s[0:1], 0
.LBB297_1711:
	s_andn2_b64 vcc, exec, s[0:1]
	s_cbranch_vccnz .LBB297_1713
; %bb.1712:
	v_cvt_f32_i32_e32 v10, v8
	v_mov_b32_e32 v11, 0
	global_store_dwordx2 v[6:7], v[10:11], off
.LBB297_1713:
	s_mov_b64 s[0:1], 0
.LBB297_1714:
	s_andn2_b64 vcc, exec, s[0:1]
	s_cbranch_vccnz .LBB297_1716
; %bb.1715:
	v_cvt_f32_i32_e32 v9, v8
	v_cvt_f16_f32_e32 v9, v9
	global_store_dword v[6:7], v9, off
.LBB297_1716:
	s_mov_b64 s[0:1], 0
.LBB297_1717:
	s_andn2_b64 vcc, exec, s[0:1]
	s_cbranch_vccnz .LBB297_1726
; %bb.1718:
	s_cmp_lt_i32 s8, 6
	s_mov_b64 s[0:1], -1
	s_cbranch_scc1 .LBB297_1724
; %bb.1719:
	s_cmp_gt_i32 s8, 6
	s_cbranch_scc0 .LBB297_1721
; %bb.1720:
	v_cvt_f64_i32_e32 v[10:11], v8
	global_store_dwordx2 v[6:7], v[10:11], off
	s_mov_b64 s[0:1], 0
.LBB297_1721:
	s_andn2_b64 vcc, exec, s[0:1]
	s_cbranch_vccnz .LBB297_1723
; %bb.1722:
	v_cvt_f32_i32_e32 v9, v8
	global_store_dword v[6:7], v9, off
.LBB297_1723:
	s_mov_b64 s[0:1], 0
.LBB297_1724:
	s_andn2_b64 vcc, exec, s[0:1]
	s_cbranch_vccnz .LBB297_1726
; %bb.1725:
	v_cvt_f32_i32_e32 v9, v8
	v_cvt_f16_f32_e32 v9, v9
	global_store_short v[6:7], v9, off
.LBB297_1726:
	s_mov_b64 s[0:1], 0
.LBB297_1727:
	s_andn2_b64 vcc, exec, s[0:1]
	s_cbranch_vccnz .LBB297_1743
; %bb.1728:
	s_cmp_lt_i32 s8, 2
	s_mov_b64 s[0:1], -1
	s_cbranch_scc1 .LBB297_1738
; %bb.1729:
	s_cmp_lt_i32 s8, 3
	s_cbranch_scc1 .LBB297_1735
; %bb.1730:
	s_cmp_gt_i32 s8, 3
	s_cbranch_scc0 .LBB297_1732
; %bb.1731:
	v_ashrrev_i32_e32 v9, 31, v8
	global_store_dwordx2 v[6:7], v[8:9], off
	s_mov_b64 s[0:1], 0
.LBB297_1732:
	s_andn2_b64 vcc, exec, s[0:1]
	s_cbranch_vccnz .LBB297_1734
; %bb.1733:
	global_store_dword v[6:7], v8, off
.LBB297_1734:
	s_mov_b64 s[0:1], 0
.LBB297_1735:
	s_andn2_b64 vcc, exec, s[0:1]
	s_cbranch_vccnz .LBB297_1737
; %bb.1736:
	global_store_short v[6:7], v8, off
.LBB297_1737:
	s_mov_b64 s[0:1], 0
.LBB297_1738:
	s_andn2_b64 vcc, exec, s[0:1]
	s_cbranch_vccnz .LBB297_1743
; %bb.1739:
	s_cmp_gt_i32 s8, 0
	s_mov_b64 s[0:1], -1
	s_cbranch_scc0 .LBB297_1741
; %bb.1740:
	global_store_byte v[6:7], v8, off
	s_mov_b64 s[0:1], 0
.LBB297_1741:
	s_andn2_b64 vcc, exec, s[0:1]
	s_cbranch_vccnz .LBB297_1743
; %bb.1742:
	global_store_byte v[6:7], v8, off
.LBB297_1743:
	s_mov_b64 s[10:11], -1
.LBB297_1744:
	s_andn2_b64 vcc, exec, s[10:11]
	s_cbranch_vccnz .LBB297_2059
; %bb.1745:
	v_max_i32_e32 v5, s6, v5
	v_min_i32_e32 v6, s7, v5
	v_mov_b32_e32 v5, 0
	s_and_b32 s17, 0xffff, s16
	s_cmp_lt_i32 s17, 11
	v_lshl_add_u64 v[4:5], s[4:5], 0, v[4:5]
	s_cbranch_scc1 .LBB297_1823
; %bb.1746:
	s_mov_b64 s[12:13], -1
	s_mov_b64 s[8:9], 0
	s_cmp_gt_i32 s17, 25
	s_mov_b64 s[10:11], 0
	s_mov_b64 s[0:1], 0
	s_cbranch_scc0 .LBB297_1779
; %bb.1747:
	s_cmp_gt_i32 s17, 28
	s_cbranch_scc0 .LBB297_1762
; %bb.1748:
	s_cmp_gt_i32 s17, 43
	;; [unrolled: 3-line block ×3, first 2 shown]
	s_cbranch_scc0 .LBB297_1752
; %bb.1750:
	s_mov_b64 s[0:1], -1
	s_mov_b64 s[12:13], 0
	s_cmp_eq_u32 s17, 46
	s_cbranch_scc0 .LBB297_1752
; %bb.1751:
	v_cvt_f32_i32_e32 v7, v6
	s_movk_i32 s10, 0x7fff
	s_mov_b64 s[0:1], 0
	v_bfe_u32 v8, v7, 16, 1
	v_add3_u32 v7, v7, v8, s10
	v_lshrrev_b32_e32 v7, 16, v7
	global_store_dword v[4:5], v7, off
	s_mov_b64 s[10:11], -1
.LBB297_1752:
	s_and_b64 vcc, exec, s[12:13]
	s_cbranch_vccz .LBB297_1757
; %bb.1753:
	s_cmp_eq_u32 s17, 44
	s_mov_b64 s[0:1], -1
	s_cbranch_scc0 .LBB297_1757
; %bb.1754:
	v_cvt_f32_i32_e32 v7, v6
	s_movk_i32 s0, 0xff
	v_mov_b32_e32 v9, 0xff
	v_bfe_u32 v8, v7, 23, 8
	v_cmp_ne_u32_e32 vcc, s0, v8
	s_and_saveexec_b64 s[10:11], vcc
; %bb.1755:
	s_mov_b32 s0, 0x3fffff
	v_lshrrev_b32_e32 v9, 23, v7
	v_and_b32_e32 v10, 0x400000, v7
	v_and_or_b32 v7, v7, s0, v8
	v_cmp_ne_u32_e32 vcc, 0, v10
	v_cmp_ne_u32_e64 s[0:1], 0, v7
	s_and_b64 s[0:1], vcc, s[0:1]
	s_nop 0
	v_cndmask_b32_e64 v7, 0, 1, s[0:1]
	v_add_u32_e32 v9, v9, v7
; %bb.1756:
	s_or_b64 exec, exec, s[10:11]
	s_mov_b64 s[0:1], 0
	s_mov_b64 s[10:11], -1
	global_store_byte v[4:5], v9, off
.LBB297_1757:
	s_mov_b64 s[12:13], 0
.LBB297_1758:
	s_and_b64 vcc, exec, s[12:13]
	s_cbranch_vccz .LBB297_1761
; %bb.1759:
	s_cmp_eq_u32 s17, 29
	s_mov_b64 s[0:1], -1
	s_cbranch_scc0 .LBB297_1761
; %bb.1760:
	v_ashrrev_i32_e32 v7, 31, v6
	global_store_dwordx2 v[4:5], v[6:7], off
	s_mov_b64 s[0:1], 0
	s_mov_b64 s[10:11], -1
.LBB297_1761:
	s_mov_b64 s[12:13], 0
.LBB297_1762:
	s_and_b64 vcc, exec, s[12:13]
	s_cbranch_vccz .LBB297_1778
; %bb.1763:
	s_cmp_lt_i32 s17, 27
	s_mov_b64 s[10:11], -1
	s_cbranch_scc1 .LBB297_1769
; %bb.1764:
	s_cmp_gt_i32 s17, 27
	s_cbranch_scc0 .LBB297_1766
; %bb.1765:
	s_mov_b64 s[10:11], 0
	global_store_dword v[4:5], v6, off
.LBB297_1766:
	s_andn2_b64 vcc, exec, s[10:11]
	s_cbranch_vccnz .LBB297_1768
; %bb.1767:
	global_store_short v[4:5], v6, off
.LBB297_1768:
	s_mov_b64 s[10:11], 0
.LBB297_1769:
	s_andn2_b64 vcc, exec, s[10:11]
	s_cbranch_vccnz .LBB297_1777
; %bb.1770:
	v_cvt_f32_i32_e32 v7, v6
	s_mov_b32 s10, 0x43800000
	v_mov_b32_e32 v9, 0x80
	v_and_b32_e32 v8, 0x7fffffff, v7
	v_cmp_gt_u32_e32 vcc, s10, v8
	s_and_saveexec_b64 s[10:11], vcc
	s_cbranch_execz .LBB297_1776
; %bb.1771:
	s_mov_b32 s12, 0x3bffffff
	v_cmp_lt_u32_e32 vcc, s12, v8
	s_mov_b64 s[12:13], 0
                                        ; implicit-def: $vgpr8
	s_and_saveexec_b64 s[14:15], vcc
	s_xor_b64 s[14:15], exec, s[14:15]
	s_cbranch_execz .LBB297_2111
; %bb.1772:
	v_bfe_u32 v8, v7, 20, 1
	s_mov_b32 s18, 0x487ffff
	v_add3_u32 v8, v7, v8, s18
	s_mov_b64 s[12:13], exec
	v_lshrrev_b32_e32 v8, 20, v8
	s_andn2_saveexec_b64 s[14:15], s[14:15]
	s_cbranch_execnz .LBB297_2112
.LBB297_1773:
	s_or_b64 exec, exec, s[14:15]
	v_mov_b32_e32 v9, 0
	s_and_saveexec_b64 s[14:15], s[12:13]
.LBB297_1774:
	v_lshrrev_b32_e32 v7, 24, v7
	s_movk_i32 s12, 0x80
	v_and_or_b32 v9, v7, s12, v8
.LBB297_1775:
	s_or_b64 exec, exec, s[14:15]
.LBB297_1776:
	s_or_b64 exec, exec, s[10:11]
	global_store_byte v[4:5], v9, off
.LBB297_1777:
	s_mov_b64 s[10:11], -1
.LBB297_1778:
	s_mov_b64 s[12:13], 0
.LBB297_1779:
	s_and_b64 vcc, exec, s[12:13]
	s_cbranch_vccz .LBB297_1819
; %bb.1780:
	s_cmp_gt_i32 s17, 22
	s_mov_b64 s[8:9], -1
	s_cbranch_scc0 .LBB297_1812
; %bb.1781:
	s_cmp_lt_i32 s17, 24
	s_cbranch_scc1 .LBB297_1801
; %bb.1782:
	s_cmp_gt_i32 s17, 24
	s_cbranch_scc0 .LBB297_1790
; %bb.1783:
	v_cvt_f32_i32_e32 v7, v6
	s_mov_b32 s8, 0x47800000
	v_mov_b32_e32 v9, 0x80
	v_and_b32_e32 v8, 0x7fffffff, v7
	v_cmp_gt_u32_e32 vcc, s8, v8
	s_and_saveexec_b64 s[8:9], vcc
	s_cbranch_execz .LBB297_1789
; %bb.1784:
	s_mov_b32 s10, 0x37ffffff
	v_cmp_lt_u32_e32 vcc, s10, v8
	s_mov_b64 s[10:11], 0
                                        ; implicit-def: $vgpr8
	s_and_saveexec_b64 s[12:13], vcc
	s_xor_b64 s[12:13], exec, s[12:13]
	s_cbranch_execz .LBB297_2114
; %bb.1785:
	v_bfe_u32 v8, v7, 21, 1
	s_mov_b32 s14, 0x88fffff
	v_add3_u32 v8, v7, v8, s14
	s_mov_b64 s[10:11], exec
	v_lshrrev_b32_e32 v8, 21, v8
	s_andn2_saveexec_b64 s[12:13], s[12:13]
	s_cbranch_execnz .LBB297_2115
.LBB297_1786:
	s_or_b64 exec, exec, s[12:13]
	v_mov_b32_e32 v9, 0
	s_and_saveexec_b64 s[12:13], s[10:11]
.LBB297_1787:
	v_lshrrev_b32_e32 v7, 24, v7
	s_movk_i32 s10, 0x80
	v_and_or_b32 v9, v7, s10, v8
.LBB297_1788:
	s_or_b64 exec, exec, s[12:13]
.LBB297_1789:
	s_or_b64 exec, exec, s[8:9]
	s_mov_b64 s[8:9], 0
	global_store_byte v[4:5], v9, off
.LBB297_1790:
	s_and_b64 vcc, exec, s[8:9]
	s_cbranch_vccz .LBB297_1800
; %bb.1791:
	v_cvt_f32_i32_e32 v7, v6
	s_mov_b32 s8, 0x43f00000
                                        ; implicit-def: $vgpr8
	v_and_b32_e32 v9, 0x7fffffff, v7
	v_cmp_gt_u32_e32 vcc, s8, v9
	s_and_saveexec_b64 s[8:9], vcc
	s_xor_b64 s[8:9], exec, s[8:9]
	s_cbranch_execz .LBB297_1797
; %bb.1792:
	s_mov_b32 s10, 0x3c7fffff
	v_cmp_lt_u32_e32 vcc, s10, v9
                                        ; implicit-def: $vgpr8
	s_and_saveexec_b64 s[10:11], vcc
	s_xor_b64 s[10:11], exec, s[10:11]
; %bb.1793:
	v_bfe_u32 v8, v7, 20, 1
	s_mov_b32 s12, 0x407ffff
	v_add3_u32 v8, v7, v8, s12
	v_lshrrev_b32_e32 v9, 20, v8
	v_and_b32_e32 v8, 0xff00000, v8
	s_mov_b32 s12, 0x7f00000
	v_mov_b32_e32 v10, 0x7e
	v_cmp_ne_u32_e32 vcc, s12, v8
	s_nop 1
	v_cndmask_b32_e32 v8, v10, v9, vcc
; %bb.1794:
	s_andn2_saveexec_b64 s[10:11], s[10:11]
; %bb.1795:
	s_mov_b32 s12, 0x46800000
	v_add_f32_e64 v8, |v7|, s12
; %bb.1796:
	s_or_b64 exec, exec, s[10:11]
                                        ; implicit-def: $vgpr9
.LBB297_1797:
	s_andn2_saveexec_b64 s[8:9], s[8:9]
; %bb.1798:
	s_mov_b32 s10, 0x7f800000
	v_mov_b32_e32 v8, 0x7e
	v_mov_b32_e32 v10, 0x7f
	v_cmp_lt_u32_e32 vcc, s10, v9
	s_nop 1
	v_cndmask_b32_e32 v8, v8, v10, vcc
; %bb.1799:
	s_or_b64 exec, exec, s[8:9]
	v_lshrrev_b32_e32 v7, 24, v7
	s_movk_i32 s8, 0x80
	v_and_or_b32 v7, v7, s8, v8
	global_store_byte v[4:5], v7, off
.LBB297_1800:
	s_mov_b64 s[8:9], 0
.LBB297_1801:
	s_andn2_b64 vcc, exec, s[8:9]
	s_cbranch_vccnz .LBB297_1811
; %bb.1802:
	v_cvt_f32_i32_e32 v7, v6
	s_mov_b32 s8, 0x47800000
                                        ; implicit-def: $vgpr8
	v_and_b32_e32 v9, 0x7fffffff, v7
	v_cmp_gt_u32_e32 vcc, s8, v9
	s_and_saveexec_b64 s[8:9], vcc
	s_xor_b64 s[8:9], exec, s[8:9]
	s_cbranch_execz .LBB297_1808
; %bb.1803:
	s_mov_b32 s10, 0x387fffff
	v_cmp_lt_u32_e32 vcc, s10, v9
                                        ; implicit-def: $vgpr8
	s_and_saveexec_b64 s[10:11], vcc
	s_xor_b64 s[10:11], exec, s[10:11]
; %bb.1804:
	v_bfe_u32 v8, v7, 21, 1
	s_mov_b32 s12, 0x80fffff
	v_add3_u32 v8, v7, v8, s12
	v_lshrrev_b32_e32 v8, 21, v8
; %bb.1805:
	s_andn2_saveexec_b64 s[10:11], s[10:11]
; %bb.1806:
	s_mov_b32 s12, 0x43000000
	v_add_f32_e64 v8, |v7|, s12
; %bb.1807:
	s_or_b64 exec, exec, s[10:11]
                                        ; implicit-def: $vgpr9
.LBB297_1808:
	s_andn2_saveexec_b64 s[8:9], s[8:9]
; %bb.1809:
	s_mov_b32 s10, 0x7f800000
	v_mov_b32_e32 v8, 0x7c
	v_mov_b32_e32 v10, 0x7f
	v_cmp_lt_u32_e32 vcc, s10, v9
	s_nop 1
	v_cndmask_b32_e32 v8, v8, v10, vcc
; %bb.1810:
	s_or_b64 exec, exec, s[8:9]
	v_lshrrev_b32_e32 v7, 24, v7
	s_movk_i32 s8, 0x80
	v_and_or_b32 v7, v7, s8, v8
	global_store_byte v[4:5], v7, off
.LBB297_1811:
	s_mov_b64 s[8:9], 0
	s_mov_b64 s[10:11], -1
.LBB297_1812:
	s_andn2_b64 vcc, exec, s[8:9]
	s_mov_b64 s[8:9], 0
	s_cbranch_vccnz .LBB297_1819
; %bb.1813:
	s_cmp_gt_i32 s17, 14
	s_mov_b64 s[12:13], -1
	s_cbranch_scc0 .LBB297_1817
; %bb.1814:
	s_cmp_eq_u32 s17, 15
	s_mov_b64 s[0:1], -1
	s_cbranch_scc0 .LBB297_1816
; %bb.1815:
	v_cvt_f32_i32_e32 v7, v6
	s_movk_i32 s8, 0x7fff
	s_mov_b64 s[0:1], 0
	s_mov_b64 s[10:11], -1
	v_bfe_u32 v8, v7, 16, 1
	v_add3_u32 v7, v7, v8, s8
	global_store_short_d16_hi v[4:5], v7, off
.LBB297_1816:
	s_mov_b64 s[12:13], 0
.LBB297_1817:
	s_mov_b64 s[8:9], 0
	s_and_b64 vcc, exec, s[12:13]
	s_cbranch_vccz .LBB297_1819
; %bb.1818:
	s_cmp_lg_u32 s17, 11
	s_mov_b64 s[8:9], -1
	s_cselect_b64 s[0:1], -1, 0
.LBB297_1819:
	s_and_b64 vcc, exec, s[0:1]
	s_cbranch_vccnz .LBB297_2113
; %bb.1820:
	s_andn2_b64 vcc, exec, s[8:9]
	s_cbranch_vccnz .LBB297_1822
.LBB297_1821:
	v_cmp_ne_u32_e32 vcc, 0, v6
	s_mov_b64 s[10:11], -1
	s_nop 0
	v_cndmask_b32_e64 v7, 0, 1, vcc
	global_store_byte v[4:5], v7, off
.LBB297_1822:
	s_mov_b64 s[0:1], 0
	s_branch .LBB297_1824
.LBB297_1823:
	s_mov_b64 s[0:1], -1
	s_mov_b64 s[10:11], 0
.LBB297_1824:
	s_and_b64 vcc, exec, s[0:1]
	s_cbranch_vccz .LBB297_1863
; %bb.1825:
	s_cmp_lt_i32 s17, 5
	s_mov_b64 s[0:1], -1
	s_cbranch_scc1 .LBB297_1846
; %bb.1826:
	s_cmp_lt_i32 s17, 8
	s_cbranch_scc1 .LBB297_1836
; %bb.1827:
	s_cmp_lt_i32 s17, 9
	s_cbranch_scc1 .LBB297_1833
; %bb.1828:
	s_cmp_gt_i32 s17, 9
	s_cbranch_scc0 .LBB297_1830
; %bb.1829:
	v_mov_b32_e32 v10, 0
	v_cvt_f64_i32_e32 v[8:9], v6
	v_mov_b32_e32 v11, v10
	global_store_dwordx4 v[4:5], v[8:11], off
	s_mov_b64 s[0:1], 0
.LBB297_1830:
	s_andn2_b64 vcc, exec, s[0:1]
	s_cbranch_vccnz .LBB297_1832
; %bb.1831:
	v_cvt_f32_i32_e32 v8, v6
	v_mov_b32_e32 v9, 0
	global_store_dwordx2 v[4:5], v[8:9], off
.LBB297_1832:
	s_mov_b64 s[0:1], 0
.LBB297_1833:
	s_andn2_b64 vcc, exec, s[0:1]
	s_cbranch_vccnz .LBB297_1835
; %bb.1834:
	v_cvt_f32_i32_e32 v7, v6
	v_cvt_f16_f32_e32 v7, v7
	global_store_dword v[4:5], v7, off
.LBB297_1835:
	s_mov_b64 s[0:1], 0
.LBB297_1836:
	s_andn2_b64 vcc, exec, s[0:1]
	s_cbranch_vccnz .LBB297_1845
; %bb.1837:
	s_cmp_lt_i32 s17, 6
	s_mov_b64 s[0:1], -1
	s_cbranch_scc1 .LBB297_1843
; %bb.1838:
	s_cmp_gt_i32 s17, 6
	s_cbranch_scc0 .LBB297_1840
; %bb.1839:
	v_cvt_f64_i32_e32 v[8:9], v6
	global_store_dwordx2 v[4:5], v[8:9], off
	s_mov_b64 s[0:1], 0
.LBB297_1840:
	s_andn2_b64 vcc, exec, s[0:1]
	s_cbranch_vccnz .LBB297_1842
; %bb.1841:
	v_cvt_f32_i32_e32 v7, v6
	global_store_dword v[4:5], v7, off
.LBB297_1842:
	s_mov_b64 s[0:1], 0
.LBB297_1843:
	s_andn2_b64 vcc, exec, s[0:1]
	s_cbranch_vccnz .LBB297_1845
; %bb.1844:
	v_cvt_f32_i32_e32 v7, v6
	v_cvt_f16_f32_e32 v7, v7
	global_store_short v[4:5], v7, off
.LBB297_1845:
	s_mov_b64 s[0:1], 0
.LBB297_1846:
	s_andn2_b64 vcc, exec, s[0:1]
	s_cbranch_vccnz .LBB297_1862
; %bb.1847:
	s_cmp_lt_i32 s17, 2
	s_mov_b64 s[0:1], -1
	s_cbranch_scc1 .LBB297_1857
; %bb.1848:
	s_cmp_lt_i32 s17, 3
	s_cbranch_scc1 .LBB297_1854
; %bb.1849:
	s_cmp_gt_i32 s17, 3
	s_cbranch_scc0 .LBB297_1851
; %bb.1850:
	v_ashrrev_i32_e32 v7, 31, v6
	global_store_dwordx2 v[4:5], v[6:7], off
	s_mov_b64 s[0:1], 0
.LBB297_1851:
	s_andn2_b64 vcc, exec, s[0:1]
	s_cbranch_vccnz .LBB297_1853
; %bb.1852:
	global_store_dword v[4:5], v6, off
.LBB297_1853:
	s_mov_b64 s[0:1], 0
.LBB297_1854:
	s_andn2_b64 vcc, exec, s[0:1]
	s_cbranch_vccnz .LBB297_1856
; %bb.1855:
	global_store_short v[4:5], v6, off
.LBB297_1856:
	s_mov_b64 s[0:1], 0
.LBB297_1857:
	s_andn2_b64 vcc, exec, s[0:1]
	s_cbranch_vccnz .LBB297_1862
; %bb.1858:
	s_cmp_gt_i32 s17, 0
	s_mov_b64 s[0:1], -1
	s_cbranch_scc0 .LBB297_1860
; %bb.1859:
	global_store_byte v[4:5], v6, off
	s_mov_b64 s[0:1], 0
.LBB297_1860:
	s_andn2_b64 vcc, exec, s[0:1]
	s_cbranch_vccnz .LBB297_1862
; %bb.1861:
	global_store_byte v[4:5], v6, off
.LBB297_1862:
	s_mov_b64 s[10:11], -1
.LBB297_1863:
	s_andn2_b64 vcc, exec, s[10:11]
	s_cbranch_vccnz .LBB297_2059
; %bb.1864:
	v_max_i32_e32 v3, s6, v3
	v_min_i32_e32 v4, s7, v3
	v_mov_b32_e32 v3, 0
	s_cmp_lt_i32 s17, 11
	v_lshl_add_u64 v[2:3], s[4:5], 0, v[2:3]
	s_cbranch_scc1 .LBB297_1942
; %bb.1865:
	s_mov_b64 s[12:13], -1
	s_mov_b64 s[8:9], 0
	s_cmp_gt_i32 s17, 25
	s_mov_b64 s[10:11], 0
	s_mov_b64 s[0:1], 0
	s_cbranch_scc0 .LBB297_1898
; %bb.1866:
	s_cmp_gt_i32 s17, 28
	s_cbranch_scc0 .LBB297_1881
; %bb.1867:
	s_cmp_gt_i32 s17, 43
	;; [unrolled: 3-line block ×3, first 2 shown]
	s_cbranch_scc0 .LBB297_1871
; %bb.1869:
	s_mov_b64 s[0:1], -1
	s_mov_b64 s[12:13], 0
	s_cmp_eq_u32 s17, 46
	s_cbranch_scc0 .LBB297_1871
; %bb.1870:
	v_cvt_f32_i32_e32 v5, v4
	s_movk_i32 s10, 0x7fff
	s_mov_b64 s[0:1], 0
	v_bfe_u32 v6, v5, 16, 1
	v_add3_u32 v5, v5, v6, s10
	v_lshrrev_b32_e32 v5, 16, v5
	global_store_dword v[2:3], v5, off
	s_mov_b64 s[10:11], -1
.LBB297_1871:
	s_and_b64 vcc, exec, s[12:13]
	s_cbranch_vccz .LBB297_1876
; %bb.1872:
	s_cmp_eq_u32 s17, 44
	s_mov_b64 s[0:1], -1
	s_cbranch_scc0 .LBB297_1876
; %bb.1873:
	v_cvt_f32_i32_e32 v5, v4
	s_movk_i32 s0, 0xff
	v_mov_b32_e32 v7, 0xff
	v_bfe_u32 v6, v5, 23, 8
	v_cmp_ne_u32_e32 vcc, s0, v6
	s_and_saveexec_b64 s[10:11], vcc
; %bb.1874:
	s_mov_b32 s0, 0x3fffff
	v_lshrrev_b32_e32 v7, 23, v5
	v_and_b32_e32 v8, 0x400000, v5
	v_and_or_b32 v5, v5, s0, v6
	v_cmp_ne_u32_e32 vcc, 0, v8
	v_cmp_ne_u32_e64 s[0:1], 0, v5
	s_and_b64 s[0:1], vcc, s[0:1]
	s_nop 0
	v_cndmask_b32_e64 v5, 0, 1, s[0:1]
	v_add_u32_e32 v7, v7, v5
; %bb.1875:
	s_or_b64 exec, exec, s[10:11]
	s_mov_b64 s[0:1], 0
	s_mov_b64 s[10:11], -1
	global_store_byte v[2:3], v7, off
.LBB297_1876:
	s_mov_b64 s[12:13], 0
.LBB297_1877:
	s_and_b64 vcc, exec, s[12:13]
	s_cbranch_vccz .LBB297_1880
; %bb.1878:
	s_cmp_eq_u32 s17, 29
	s_mov_b64 s[0:1], -1
	s_cbranch_scc0 .LBB297_1880
; %bb.1879:
	v_ashrrev_i32_e32 v5, 31, v4
	global_store_dwordx2 v[2:3], v[4:5], off
	s_mov_b64 s[0:1], 0
	s_mov_b64 s[10:11], -1
.LBB297_1880:
	s_mov_b64 s[12:13], 0
.LBB297_1881:
	s_and_b64 vcc, exec, s[12:13]
	s_cbranch_vccz .LBB297_1897
; %bb.1882:
	s_cmp_lt_i32 s17, 27
	s_mov_b64 s[10:11], -1
	s_cbranch_scc1 .LBB297_1888
; %bb.1883:
	s_cmp_gt_i32 s17, 27
	s_cbranch_scc0 .LBB297_1885
; %bb.1884:
	s_mov_b64 s[10:11], 0
	global_store_dword v[2:3], v4, off
.LBB297_1885:
	s_andn2_b64 vcc, exec, s[10:11]
	s_cbranch_vccnz .LBB297_1887
; %bb.1886:
	global_store_short v[2:3], v4, off
.LBB297_1887:
	s_mov_b64 s[10:11], 0
.LBB297_1888:
	s_andn2_b64 vcc, exec, s[10:11]
	s_cbranch_vccnz .LBB297_1896
; %bb.1889:
	v_cvt_f32_i32_e32 v5, v4
	s_mov_b32 s10, 0x43800000
	v_mov_b32_e32 v7, 0x80
	v_and_b32_e32 v6, 0x7fffffff, v5
	v_cmp_gt_u32_e32 vcc, s10, v6
	s_and_saveexec_b64 s[10:11], vcc
	s_cbranch_execz .LBB297_1895
; %bb.1890:
	s_mov_b32 s12, 0x3bffffff
	v_cmp_lt_u32_e32 vcc, s12, v6
	s_mov_b64 s[12:13], 0
                                        ; implicit-def: $vgpr6
	s_and_saveexec_b64 s[14:15], vcc
	s_xor_b64 s[14:15], exec, s[14:15]
	s_cbranch_execz .LBB297_2116
; %bb.1891:
	v_bfe_u32 v6, v5, 20, 1
	s_mov_b32 s18, 0x487ffff
	v_add3_u32 v6, v5, v6, s18
	s_mov_b64 s[12:13], exec
	v_lshrrev_b32_e32 v6, 20, v6
	s_andn2_saveexec_b64 s[14:15], s[14:15]
	s_cbranch_execnz .LBB297_2117
.LBB297_1892:
	s_or_b64 exec, exec, s[14:15]
	v_mov_b32_e32 v7, 0
	s_and_saveexec_b64 s[14:15], s[12:13]
.LBB297_1893:
	v_lshrrev_b32_e32 v5, 24, v5
	s_movk_i32 s12, 0x80
	v_and_or_b32 v7, v5, s12, v6
.LBB297_1894:
	s_or_b64 exec, exec, s[14:15]
.LBB297_1895:
	s_or_b64 exec, exec, s[10:11]
	global_store_byte v[2:3], v7, off
.LBB297_1896:
	s_mov_b64 s[10:11], -1
.LBB297_1897:
	s_mov_b64 s[12:13], 0
.LBB297_1898:
	s_and_b64 vcc, exec, s[12:13]
	s_cbranch_vccz .LBB297_1938
; %bb.1899:
	s_cmp_gt_i32 s17, 22
	s_mov_b64 s[8:9], -1
	s_cbranch_scc0 .LBB297_1931
; %bb.1900:
	s_cmp_lt_i32 s17, 24
	s_cbranch_scc1 .LBB297_1920
; %bb.1901:
	s_cmp_gt_i32 s17, 24
	s_cbranch_scc0 .LBB297_1909
; %bb.1902:
	v_cvt_f32_i32_e32 v5, v4
	s_mov_b32 s8, 0x47800000
	v_mov_b32_e32 v7, 0x80
	v_and_b32_e32 v6, 0x7fffffff, v5
	v_cmp_gt_u32_e32 vcc, s8, v6
	s_and_saveexec_b64 s[8:9], vcc
	s_cbranch_execz .LBB297_1908
; %bb.1903:
	s_mov_b32 s10, 0x37ffffff
	v_cmp_lt_u32_e32 vcc, s10, v6
	s_mov_b64 s[10:11], 0
                                        ; implicit-def: $vgpr6
	s_and_saveexec_b64 s[12:13], vcc
	s_xor_b64 s[12:13], exec, s[12:13]
	s_cbranch_execz .LBB297_2119
; %bb.1904:
	v_bfe_u32 v6, v5, 21, 1
	s_mov_b32 s14, 0x88fffff
	v_add3_u32 v6, v5, v6, s14
	s_mov_b64 s[10:11], exec
	v_lshrrev_b32_e32 v6, 21, v6
	s_andn2_saveexec_b64 s[12:13], s[12:13]
	s_cbranch_execnz .LBB297_2120
.LBB297_1905:
	s_or_b64 exec, exec, s[12:13]
	v_mov_b32_e32 v7, 0
	s_and_saveexec_b64 s[12:13], s[10:11]
.LBB297_1906:
	v_lshrrev_b32_e32 v5, 24, v5
	s_movk_i32 s10, 0x80
	v_and_or_b32 v7, v5, s10, v6
.LBB297_1907:
	s_or_b64 exec, exec, s[12:13]
.LBB297_1908:
	s_or_b64 exec, exec, s[8:9]
	s_mov_b64 s[8:9], 0
	global_store_byte v[2:3], v7, off
.LBB297_1909:
	s_and_b64 vcc, exec, s[8:9]
	s_cbranch_vccz .LBB297_1919
; %bb.1910:
	v_cvt_f32_i32_e32 v5, v4
	s_mov_b32 s8, 0x43f00000
                                        ; implicit-def: $vgpr6
	v_and_b32_e32 v7, 0x7fffffff, v5
	v_cmp_gt_u32_e32 vcc, s8, v7
	s_and_saveexec_b64 s[8:9], vcc
	s_xor_b64 s[8:9], exec, s[8:9]
	s_cbranch_execz .LBB297_1916
; %bb.1911:
	s_mov_b32 s10, 0x3c7fffff
	v_cmp_lt_u32_e32 vcc, s10, v7
                                        ; implicit-def: $vgpr6
	s_and_saveexec_b64 s[10:11], vcc
	s_xor_b64 s[10:11], exec, s[10:11]
; %bb.1912:
	v_bfe_u32 v6, v5, 20, 1
	s_mov_b32 s12, 0x407ffff
	v_add3_u32 v6, v5, v6, s12
	v_lshrrev_b32_e32 v7, 20, v6
	v_and_b32_e32 v6, 0xff00000, v6
	s_mov_b32 s12, 0x7f00000
	v_mov_b32_e32 v8, 0x7e
	v_cmp_ne_u32_e32 vcc, s12, v6
	s_nop 1
	v_cndmask_b32_e32 v6, v8, v7, vcc
; %bb.1913:
	s_andn2_saveexec_b64 s[10:11], s[10:11]
; %bb.1914:
	s_mov_b32 s12, 0x46800000
	v_add_f32_e64 v6, |v5|, s12
; %bb.1915:
	s_or_b64 exec, exec, s[10:11]
                                        ; implicit-def: $vgpr7
.LBB297_1916:
	s_andn2_saveexec_b64 s[8:9], s[8:9]
; %bb.1917:
	s_mov_b32 s10, 0x7f800000
	v_mov_b32_e32 v6, 0x7e
	v_mov_b32_e32 v8, 0x7f
	v_cmp_lt_u32_e32 vcc, s10, v7
	s_nop 1
	v_cndmask_b32_e32 v6, v6, v8, vcc
; %bb.1918:
	s_or_b64 exec, exec, s[8:9]
	v_lshrrev_b32_e32 v5, 24, v5
	s_movk_i32 s8, 0x80
	v_and_or_b32 v5, v5, s8, v6
	global_store_byte v[2:3], v5, off
.LBB297_1919:
	s_mov_b64 s[8:9], 0
.LBB297_1920:
	s_andn2_b64 vcc, exec, s[8:9]
	s_cbranch_vccnz .LBB297_1930
; %bb.1921:
	v_cvt_f32_i32_e32 v5, v4
	s_mov_b32 s8, 0x47800000
                                        ; implicit-def: $vgpr6
	v_and_b32_e32 v7, 0x7fffffff, v5
	v_cmp_gt_u32_e32 vcc, s8, v7
	s_and_saveexec_b64 s[8:9], vcc
	s_xor_b64 s[8:9], exec, s[8:9]
	s_cbranch_execz .LBB297_1927
; %bb.1922:
	s_mov_b32 s10, 0x387fffff
	v_cmp_lt_u32_e32 vcc, s10, v7
                                        ; implicit-def: $vgpr6
	s_and_saveexec_b64 s[10:11], vcc
	s_xor_b64 s[10:11], exec, s[10:11]
; %bb.1923:
	v_bfe_u32 v6, v5, 21, 1
	s_mov_b32 s12, 0x80fffff
	v_add3_u32 v6, v5, v6, s12
	v_lshrrev_b32_e32 v6, 21, v6
; %bb.1924:
	s_andn2_saveexec_b64 s[10:11], s[10:11]
; %bb.1925:
	s_mov_b32 s12, 0x43000000
	v_add_f32_e64 v6, |v5|, s12
; %bb.1926:
	s_or_b64 exec, exec, s[10:11]
                                        ; implicit-def: $vgpr7
.LBB297_1927:
	s_andn2_saveexec_b64 s[8:9], s[8:9]
; %bb.1928:
	s_mov_b32 s10, 0x7f800000
	v_mov_b32_e32 v6, 0x7c
	v_mov_b32_e32 v8, 0x7f
	v_cmp_lt_u32_e32 vcc, s10, v7
	s_nop 1
	v_cndmask_b32_e32 v6, v6, v8, vcc
; %bb.1929:
	s_or_b64 exec, exec, s[8:9]
	v_lshrrev_b32_e32 v5, 24, v5
	s_movk_i32 s8, 0x80
	v_and_or_b32 v5, v5, s8, v6
	global_store_byte v[2:3], v5, off
.LBB297_1930:
	s_mov_b64 s[8:9], 0
	s_mov_b64 s[10:11], -1
.LBB297_1931:
	s_andn2_b64 vcc, exec, s[8:9]
	s_mov_b64 s[8:9], 0
	s_cbranch_vccnz .LBB297_1938
; %bb.1932:
	s_cmp_gt_i32 s17, 14
	s_mov_b64 s[12:13], -1
	s_cbranch_scc0 .LBB297_1936
; %bb.1933:
	s_cmp_eq_u32 s17, 15
	s_mov_b64 s[0:1], -1
	s_cbranch_scc0 .LBB297_1935
; %bb.1934:
	v_cvt_f32_i32_e32 v5, v4
	s_movk_i32 s8, 0x7fff
	s_mov_b64 s[0:1], 0
	s_mov_b64 s[10:11], -1
	v_bfe_u32 v6, v5, 16, 1
	v_add3_u32 v5, v5, v6, s8
	global_store_short_d16_hi v[2:3], v5, off
.LBB297_1935:
	s_mov_b64 s[12:13], 0
.LBB297_1936:
	s_mov_b64 s[8:9], 0
	s_and_b64 vcc, exec, s[12:13]
	s_cbranch_vccz .LBB297_1938
; %bb.1937:
	s_cmp_lg_u32 s17, 11
	s_mov_b64 s[8:9], -1
	s_cselect_b64 s[0:1], -1, 0
.LBB297_1938:
	s_and_b64 vcc, exec, s[0:1]
	s_cbranch_vccnz .LBB297_2118
; %bb.1939:
	s_andn2_b64 vcc, exec, s[8:9]
	s_cbranch_vccnz .LBB297_1941
.LBB297_1940:
	v_cmp_ne_u32_e32 vcc, 0, v4
	s_mov_b64 s[10:11], -1
	s_nop 0
	v_cndmask_b32_e64 v5, 0, 1, vcc
	global_store_byte v[2:3], v5, off
.LBB297_1941:
	s_mov_b64 s[0:1], 0
	s_branch .LBB297_1943
.LBB297_1942:
	s_mov_b64 s[0:1], -1
	s_mov_b64 s[10:11], 0
.LBB297_1943:
	s_and_b64 vcc, exec, s[0:1]
	s_cbranch_vccz .LBB297_1982
; %bb.1944:
	s_cmp_lt_i32 s17, 5
	s_mov_b64 s[0:1], -1
	s_cbranch_scc1 .LBB297_1965
; %bb.1945:
	s_cmp_lt_i32 s17, 8
	s_cbranch_scc1 .LBB297_1955
; %bb.1946:
	s_cmp_lt_i32 s17, 9
	s_cbranch_scc1 .LBB297_1952
; %bb.1947:
	s_cmp_gt_i32 s17, 9
	s_cbranch_scc0 .LBB297_1949
; %bb.1948:
	v_mov_b32_e32 v8, 0
	v_cvt_f64_i32_e32 v[6:7], v4
	v_mov_b32_e32 v9, v8
	global_store_dwordx4 v[2:3], v[6:9], off
	s_mov_b64 s[0:1], 0
.LBB297_1949:
	s_andn2_b64 vcc, exec, s[0:1]
	s_cbranch_vccnz .LBB297_1951
; %bb.1950:
	v_cvt_f32_i32_e32 v6, v4
	v_mov_b32_e32 v7, 0
	global_store_dwordx2 v[2:3], v[6:7], off
.LBB297_1951:
	s_mov_b64 s[0:1], 0
.LBB297_1952:
	s_andn2_b64 vcc, exec, s[0:1]
	s_cbranch_vccnz .LBB297_1954
; %bb.1953:
	v_cvt_f32_i32_e32 v5, v4
	v_cvt_f16_f32_e32 v5, v5
	global_store_dword v[2:3], v5, off
.LBB297_1954:
	s_mov_b64 s[0:1], 0
.LBB297_1955:
	s_andn2_b64 vcc, exec, s[0:1]
	s_cbranch_vccnz .LBB297_1964
; %bb.1956:
	s_cmp_lt_i32 s17, 6
	s_mov_b64 s[0:1], -1
	s_cbranch_scc1 .LBB297_1962
; %bb.1957:
	s_cmp_gt_i32 s17, 6
	s_cbranch_scc0 .LBB297_1959
; %bb.1958:
	v_cvt_f64_i32_e32 v[6:7], v4
	global_store_dwordx2 v[2:3], v[6:7], off
	s_mov_b64 s[0:1], 0
.LBB297_1959:
	s_andn2_b64 vcc, exec, s[0:1]
	s_cbranch_vccnz .LBB297_1961
; %bb.1960:
	v_cvt_f32_i32_e32 v5, v4
	global_store_dword v[2:3], v5, off
.LBB297_1961:
	s_mov_b64 s[0:1], 0
.LBB297_1962:
	s_andn2_b64 vcc, exec, s[0:1]
	s_cbranch_vccnz .LBB297_1964
; %bb.1963:
	v_cvt_f32_i32_e32 v5, v4
	v_cvt_f16_f32_e32 v5, v5
	global_store_short v[2:3], v5, off
.LBB297_1964:
	s_mov_b64 s[0:1], 0
.LBB297_1965:
	s_andn2_b64 vcc, exec, s[0:1]
	s_cbranch_vccnz .LBB297_1981
; %bb.1966:
	s_cmp_lt_i32 s17, 2
	s_mov_b64 s[0:1], -1
	s_cbranch_scc1 .LBB297_1976
; %bb.1967:
	s_cmp_lt_i32 s17, 3
	s_cbranch_scc1 .LBB297_1973
; %bb.1968:
	s_cmp_gt_i32 s17, 3
	s_cbranch_scc0 .LBB297_1970
; %bb.1969:
	v_ashrrev_i32_e32 v5, 31, v4
	global_store_dwordx2 v[2:3], v[4:5], off
	s_mov_b64 s[0:1], 0
.LBB297_1970:
	s_andn2_b64 vcc, exec, s[0:1]
	s_cbranch_vccnz .LBB297_1972
; %bb.1971:
	global_store_dword v[2:3], v4, off
.LBB297_1972:
	s_mov_b64 s[0:1], 0
.LBB297_1973:
	s_andn2_b64 vcc, exec, s[0:1]
	s_cbranch_vccnz .LBB297_1975
; %bb.1974:
	global_store_short v[2:3], v4, off
.LBB297_1975:
	s_mov_b64 s[0:1], 0
.LBB297_1976:
	s_andn2_b64 vcc, exec, s[0:1]
	s_cbranch_vccnz .LBB297_1981
; %bb.1977:
	s_cmp_gt_i32 s17, 0
	s_mov_b64 s[0:1], -1
	s_cbranch_scc0 .LBB297_1979
; %bb.1978:
	global_store_byte v[2:3], v4, off
	s_mov_b64 s[0:1], 0
.LBB297_1979:
	s_andn2_b64 vcc, exec, s[0:1]
	s_cbranch_vccnz .LBB297_1981
; %bb.1980:
	global_store_byte v[2:3], v4, off
.LBB297_1981:
	s_mov_b64 s[10:11], -1
.LBB297_1982:
	s_andn2_b64 vcc, exec, s[10:11]
	s_cbranch_vccnz .LBB297_2059
; %bb.1983:
	v_max_i32_e32 v1, s6, v1
	v_min_i32_e32 v2, s7, v1
	v_mov_b32_e32 v1, 0
	s_cmp_lt_i32 s17, 11
	v_lshl_add_u64 v[0:1], s[4:5], 0, v[0:1]
	s_cbranch_scc1 .LBB297_2104
; %bb.1984:
	s_mov_b64 s[6:7], -1
	s_mov_b64 s[4:5], 0
	s_cmp_gt_i32 s17, 25
	s_mov_b64 s[0:1], 0
	s_cbranch_scc0 .LBB297_2017
; %bb.1985:
	s_cmp_gt_i32 s17, 28
	s_cbranch_scc0 .LBB297_2001
; %bb.1986:
	s_cmp_gt_i32 s17, 43
	;; [unrolled: 3-line block ×3, first 2 shown]
	s_cbranch_scc0 .LBB297_1991
; %bb.1988:
	s_cmp_eq_u32 s17, 46
	s_mov_b64 s[0:1], -1
	s_cbranch_scc0 .LBB297_1990
; %bb.1989:
	v_cvt_f32_i32_e32 v3, v2
	s_movk_i32 s0, 0x7fff
	v_bfe_u32 v4, v3, 16, 1
	v_add3_u32 v3, v3, v4, s0
	v_lshrrev_b32_e32 v3, 16, v3
	global_store_dword v[0:1], v3, off
	s_mov_b64 s[0:1], 0
.LBB297_1990:
	s_mov_b64 s[6:7], 0
.LBB297_1991:
	s_and_b64 vcc, exec, s[6:7]
	s_cbranch_vccz .LBB297_1996
; %bb.1992:
	s_cmp_eq_u32 s17, 44
	s_mov_b64 s[0:1], -1
	s_cbranch_scc0 .LBB297_1996
; %bb.1993:
	v_cvt_f32_i32_e32 v3, v2
	s_movk_i32 s0, 0xff
	v_mov_b32_e32 v5, 0xff
	v_bfe_u32 v4, v3, 23, 8
	v_cmp_ne_u32_e32 vcc, s0, v4
	s_and_saveexec_b64 s[6:7], vcc
; %bb.1994:
	s_mov_b32 s0, 0x3fffff
	v_lshrrev_b32_e32 v5, 23, v3
	v_and_b32_e32 v6, 0x400000, v3
	v_and_or_b32 v3, v3, s0, v4
	v_cmp_ne_u32_e32 vcc, 0, v6
	v_cmp_ne_u32_e64 s[0:1], 0, v3
	s_and_b64 s[0:1], vcc, s[0:1]
	s_nop 0
	v_cndmask_b32_e64 v3, 0, 1, s[0:1]
	v_add_u32_e32 v5, v5, v3
; %bb.1995:
	s_or_b64 exec, exec, s[6:7]
	s_mov_b64 s[0:1], 0
	global_store_byte v[0:1], v5, off
.LBB297_1996:
	s_mov_b64 s[6:7], 0
.LBB297_1997:
	s_and_b64 vcc, exec, s[6:7]
	s_cbranch_vccz .LBB297_2000
; %bb.1998:
	s_cmp_eq_u32 s17, 29
	s_mov_b64 s[0:1], -1
	s_cbranch_scc0 .LBB297_2000
; %bb.1999:
	v_ashrrev_i32_e32 v3, 31, v2
	global_store_dwordx2 v[0:1], v[2:3], off
	s_mov_b64 s[0:1], 0
.LBB297_2000:
	s_mov_b64 s[6:7], 0
.LBB297_2001:
	s_and_b64 vcc, exec, s[6:7]
	s_cbranch_vccz .LBB297_2016
; %bb.2002:
	s_cmp_lt_i32 s17, 27
	s_mov_b64 s[6:7], -1
	s_cbranch_scc1 .LBB297_2008
; %bb.2003:
	s_cmp_gt_i32 s17, 27
	s_cbranch_scc0 .LBB297_2005
; %bb.2004:
	global_store_dword v[0:1], v2, off
	s_mov_b64 s[6:7], 0
.LBB297_2005:
	s_andn2_b64 vcc, exec, s[6:7]
	s_cbranch_vccnz .LBB297_2007
; %bb.2006:
	global_store_short v[0:1], v2, off
.LBB297_2007:
	s_mov_b64 s[6:7], 0
.LBB297_2008:
	s_andn2_b64 vcc, exec, s[6:7]
	s_cbranch_vccnz .LBB297_2016
; %bb.2009:
	v_cvt_f32_i32_e32 v3, v2
	s_mov_b32 s6, 0x43800000
	v_mov_b32_e32 v5, 0x80
	v_and_b32_e32 v4, 0x7fffffff, v3
	v_cmp_gt_u32_e32 vcc, s6, v4
	s_and_saveexec_b64 s[6:7], vcc
	s_cbranch_execz .LBB297_2015
; %bb.2010:
	s_mov_b32 s8, 0x3bffffff
	v_cmp_lt_u32_e32 vcc, s8, v4
	s_mov_b64 s[8:9], 0
                                        ; implicit-def: $vgpr4
	s_and_saveexec_b64 s[10:11], vcc
	s_xor_b64 s[10:11], exec, s[10:11]
	s_cbranch_execz .LBB297_2121
; %bb.2011:
	v_bfe_u32 v4, v3, 20, 1
	s_mov_b32 s12, 0x487ffff
	v_add3_u32 v4, v3, v4, s12
	s_mov_b64 s[8:9], exec
	v_lshrrev_b32_e32 v4, 20, v4
	s_andn2_saveexec_b64 s[10:11], s[10:11]
	s_cbranch_execnz .LBB297_2122
.LBB297_2012:
	s_or_b64 exec, exec, s[10:11]
	v_mov_b32_e32 v5, 0
	s_and_saveexec_b64 s[10:11], s[8:9]
.LBB297_2013:
	v_lshrrev_b32_e32 v3, 24, v3
	s_movk_i32 s8, 0x80
	v_and_or_b32 v5, v3, s8, v4
.LBB297_2014:
	s_or_b64 exec, exec, s[10:11]
.LBB297_2015:
	s_or_b64 exec, exec, s[6:7]
	global_store_byte v[0:1], v5, off
.LBB297_2016:
	s_mov_b64 s[6:7], 0
.LBB297_2017:
	s_and_b64 vcc, exec, s[6:7]
	s_cbranch_vccz .LBB297_2057
; %bb.2018:
	s_cmp_gt_i32 s17, 22
	s_mov_b64 s[4:5], -1
	s_cbranch_scc0 .LBB297_2050
; %bb.2019:
	s_cmp_lt_i32 s17, 24
	s_cbranch_scc1 .LBB297_2039
; %bb.2020:
	s_cmp_gt_i32 s17, 24
	s_cbranch_scc0 .LBB297_2028
; %bb.2021:
	v_cvt_f32_i32_e32 v3, v2
	s_mov_b32 s4, 0x47800000
	v_mov_b32_e32 v5, 0x80
	v_and_b32_e32 v4, 0x7fffffff, v3
	v_cmp_gt_u32_e32 vcc, s4, v4
	s_and_saveexec_b64 s[4:5], vcc
	s_cbranch_execz .LBB297_2027
; %bb.2022:
	s_mov_b32 s6, 0x37ffffff
	v_cmp_lt_u32_e32 vcc, s6, v4
	s_mov_b64 s[6:7], 0
                                        ; implicit-def: $vgpr4
	s_and_saveexec_b64 s[8:9], vcc
	s_xor_b64 s[8:9], exec, s[8:9]
	s_cbranch_execz .LBB297_2124
; %bb.2023:
	v_bfe_u32 v4, v3, 21, 1
	s_mov_b32 s10, 0x88fffff
	v_add3_u32 v4, v3, v4, s10
	s_mov_b64 s[6:7], exec
	v_lshrrev_b32_e32 v4, 21, v4
	s_andn2_saveexec_b64 s[8:9], s[8:9]
	s_cbranch_execnz .LBB297_2125
.LBB297_2024:
	s_or_b64 exec, exec, s[8:9]
	v_mov_b32_e32 v5, 0
	s_and_saveexec_b64 s[8:9], s[6:7]
.LBB297_2025:
	v_lshrrev_b32_e32 v3, 24, v3
	s_movk_i32 s6, 0x80
	v_and_or_b32 v5, v3, s6, v4
.LBB297_2026:
	s_or_b64 exec, exec, s[8:9]
.LBB297_2027:
	s_or_b64 exec, exec, s[4:5]
	s_mov_b64 s[4:5], 0
	global_store_byte v[0:1], v5, off
.LBB297_2028:
	s_and_b64 vcc, exec, s[4:5]
	s_cbranch_vccz .LBB297_2038
; %bb.2029:
	v_cvt_f32_i32_e32 v3, v2
	s_mov_b32 s4, 0x43f00000
                                        ; implicit-def: $vgpr4
	v_and_b32_e32 v5, 0x7fffffff, v3
	v_cmp_gt_u32_e32 vcc, s4, v5
	s_and_saveexec_b64 s[4:5], vcc
	s_xor_b64 s[4:5], exec, s[4:5]
	s_cbranch_execz .LBB297_2035
; %bb.2030:
	s_mov_b32 s6, 0x3c7fffff
	v_cmp_lt_u32_e32 vcc, s6, v5
                                        ; implicit-def: $vgpr4
	s_and_saveexec_b64 s[6:7], vcc
	s_xor_b64 s[6:7], exec, s[6:7]
; %bb.2031:
	v_bfe_u32 v4, v3, 20, 1
	s_mov_b32 s8, 0x407ffff
	v_add3_u32 v4, v3, v4, s8
	v_lshrrev_b32_e32 v5, 20, v4
	v_and_b32_e32 v4, 0xff00000, v4
	s_mov_b32 s8, 0x7f00000
	v_mov_b32_e32 v6, 0x7e
	v_cmp_ne_u32_e32 vcc, s8, v4
	s_nop 1
	v_cndmask_b32_e32 v4, v6, v5, vcc
; %bb.2032:
	s_andn2_saveexec_b64 s[6:7], s[6:7]
; %bb.2033:
	s_mov_b32 s8, 0x46800000
	v_add_f32_e64 v4, |v3|, s8
; %bb.2034:
	s_or_b64 exec, exec, s[6:7]
                                        ; implicit-def: $vgpr5
.LBB297_2035:
	s_andn2_saveexec_b64 s[4:5], s[4:5]
; %bb.2036:
	s_mov_b32 s6, 0x7f800000
	v_mov_b32_e32 v4, 0x7e
	v_mov_b32_e32 v6, 0x7f
	v_cmp_lt_u32_e32 vcc, s6, v5
	s_nop 1
	v_cndmask_b32_e32 v4, v4, v6, vcc
; %bb.2037:
	s_or_b64 exec, exec, s[4:5]
	v_lshrrev_b32_e32 v3, 24, v3
	s_movk_i32 s4, 0x80
	v_and_or_b32 v3, v3, s4, v4
	global_store_byte v[0:1], v3, off
.LBB297_2038:
	s_mov_b64 s[4:5], 0
.LBB297_2039:
	s_andn2_b64 vcc, exec, s[4:5]
	s_cbranch_vccnz .LBB297_2049
; %bb.2040:
	v_cvt_f32_i32_e32 v3, v2
	s_mov_b32 s4, 0x47800000
                                        ; implicit-def: $vgpr4
	v_and_b32_e32 v5, 0x7fffffff, v3
	v_cmp_gt_u32_e32 vcc, s4, v5
	s_and_saveexec_b64 s[4:5], vcc
	s_xor_b64 s[4:5], exec, s[4:5]
	s_cbranch_execz .LBB297_2046
; %bb.2041:
	s_mov_b32 s6, 0x387fffff
	v_cmp_lt_u32_e32 vcc, s6, v5
                                        ; implicit-def: $vgpr4
	s_and_saveexec_b64 s[6:7], vcc
	s_xor_b64 s[6:7], exec, s[6:7]
; %bb.2042:
	v_bfe_u32 v4, v3, 21, 1
	s_mov_b32 s8, 0x80fffff
	v_add3_u32 v4, v3, v4, s8
	v_lshrrev_b32_e32 v4, 21, v4
; %bb.2043:
	s_andn2_saveexec_b64 s[6:7], s[6:7]
; %bb.2044:
	s_mov_b32 s8, 0x43000000
	v_add_f32_e64 v4, |v3|, s8
; %bb.2045:
	s_or_b64 exec, exec, s[6:7]
                                        ; implicit-def: $vgpr5
.LBB297_2046:
	s_andn2_saveexec_b64 s[4:5], s[4:5]
; %bb.2047:
	s_mov_b32 s6, 0x7f800000
	v_mov_b32_e32 v4, 0x7c
	v_mov_b32_e32 v6, 0x7f
	v_cmp_lt_u32_e32 vcc, s6, v5
	s_nop 1
	v_cndmask_b32_e32 v4, v4, v6, vcc
; %bb.2048:
	s_or_b64 exec, exec, s[4:5]
	v_lshrrev_b32_e32 v3, 24, v3
	s_movk_i32 s4, 0x80
	v_and_or_b32 v3, v3, s4, v4
	global_store_byte v[0:1], v3, off
.LBB297_2049:
	s_mov_b64 s[4:5], 0
.LBB297_2050:
	s_andn2_b64 vcc, exec, s[4:5]
	s_mov_b64 s[4:5], 0
	s_cbranch_vccnz .LBB297_2057
; %bb.2051:
	s_cmp_gt_i32 s17, 14
	s_mov_b64 s[6:7], -1
	s_cbranch_scc0 .LBB297_2055
; %bb.2052:
	s_cmp_eq_u32 s17, 15
	s_mov_b64 s[0:1], -1
	s_cbranch_scc0 .LBB297_2054
; %bb.2053:
	v_cvt_f32_i32_e32 v3, v2
	s_movk_i32 s0, 0x7fff
	v_bfe_u32 v4, v3, 16, 1
	v_add3_u32 v3, v3, v4, s0
	global_store_short_d16_hi v[0:1], v3, off
	s_mov_b64 s[0:1], 0
.LBB297_2054:
	s_mov_b64 s[6:7], 0
.LBB297_2055:
	s_and_b64 vcc, exec, s[6:7]
	s_cbranch_vccz .LBB297_2057
; %bb.2056:
	s_cmp_lg_u32 s17, 11
	s_mov_b64 s[4:5], -1
	s_cselect_b64 s[0:1], -1, 0
.LBB297_2057:
	s_and_b64 vcc, exec, s[0:1]
	s_cbranch_vccnz .LBB297_2123
.LBB297_2058:
	s_mov_b64 s[0:1], 0
	s_branch .LBB297_2060
.LBB297_2059:
	s_mov_b64 s[0:1], 0
	s_mov_b64 s[4:5], 0
                                        ; implicit-def: $vgpr0_vgpr1
                                        ; implicit-def: $sgpr16
                                        ; implicit-def: $vgpr2
.LBB297_2060:
	s_and_b64 s[6:7], s[0:1], exec
	s_andn2_b64 s[0:1], s[24:25], exec
	s_and_b64 s[2:3], s[2:3], exec
	s_and_b64 s[40:41], s[4:5], exec
	s_or_b64 s[24:25], s[0:1], s[2:3]
.LBB297_2061:
	s_or_b64 exec, exec, s[26:27]
	s_and_saveexec_b64 s[0:1], s[24:25]
	s_cbranch_execz .LBB297_2064
; %bb.2062:
	; divergent unreachable
	s_or_b64 exec, exec, s[0:1]
	s_and_saveexec_b64 s[0:1], s[40:41]
	s_xor_b64 s[0:1], exec, s[0:1]
	s_cbranch_execnz .LBB297_2065
.LBB297_2063:
	s_or_b64 exec, exec, s[0:1]
	s_and_saveexec_b64 s[0:1], s[6:7]
	s_cbranch_execnz .LBB297_2066
	s_branch .LBB297_2103
.LBB297_2064:
	s_or_b64 exec, exec, s[0:1]
	s_and_saveexec_b64 s[0:1], s[40:41]
	s_xor_b64 s[0:1], exec, s[0:1]
	s_cbranch_execz .LBB297_2063
.LBB297_2065:
	v_cmp_ne_u32_e32 vcc, 0, v2
	s_waitcnt vmcnt(0)
	s_nop 0
	v_cndmask_b32_e64 v3, 0, 1, vcc
	global_store_byte v[0:1], v3, off
	s_or_b64 exec, exec, s[0:1]
	s_and_saveexec_b64 s[0:1], s[6:7]
	s_cbranch_execz .LBB297_2103
.LBB297_2066:
	s_sext_i32_i16 s2, s16
	s_cmp_lt_i32 s2, 5
	s_mov_b64 s[0:1], -1
	s_cbranch_scc1 .LBB297_2087
; %bb.2067:
	s_cmp_lt_i32 s2, 8
	s_cbranch_scc1 .LBB297_2077
; %bb.2068:
	s_cmp_lt_i32 s2, 9
	s_cbranch_scc1 .LBB297_2074
; %bb.2069:
	s_cmp_gt_i32 s2, 9
	s_cbranch_scc0 .LBB297_2071
; %bb.2070:
	v_mov_b32_e32 v6, 0
	s_waitcnt vmcnt(0)
	v_cvt_f64_i32_e32 v[4:5], v2
	v_mov_b32_e32 v7, v6
	global_store_dwordx4 v[0:1], v[4:7], off
	s_mov_b64 s[0:1], 0
.LBB297_2071:
	s_andn2_b64 vcc, exec, s[0:1]
	s_cbranch_vccnz .LBB297_2073
; %bb.2072:
	v_cvt_f32_i32_e32 v4, v2
	s_waitcnt vmcnt(0)
	v_mov_b32_e32 v5, 0
	global_store_dwordx2 v[0:1], v[4:5], off
.LBB297_2073:
	s_mov_b64 s[0:1], 0
.LBB297_2074:
	s_andn2_b64 vcc, exec, s[0:1]
	s_cbranch_vccnz .LBB297_2076
; %bb.2075:
	s_waitcnt vmcnt(0)
	v_cvt_f32_i32_e32 v3, v2
	v_cvt_f16_f32_e32 v3, v3
	global_store_dword v[0:1], v3, off
.LBB297_2076:
	s_mov_b64 s[0:1], 0
.LBB297_2077:
	s_andn2_b64 vcc, exec, s[0:1]
	s_cbranch_vccnz .LBB297_2086
; %bb.2078:
	s_sext_i32_i16 s2, s16
	s_cmp_lt_i32 s2, 6
	s_mov_b64 s[0:1], -1
	s_cbranch_scc1 .LBB297_2084
; %bb.2079:
	s_cmp_gt_i32 s2, 6
	s_cbranch_scc0 .LBB297_2081
; %bb.2080:
	s_waitcnt vmcnt(0)
	v_cvt_f64_i32_e32 v[4:5], v2
	global_store_dwordx2 v[0:1], v[4:5], off
	s_mov_b64 s[0:1], 0
.LBB297_2081:
	s_andn2_b64 vcc, exec, s[0:1]
	s_cbranch_vccnz .LBB297_2083
; %bb.2082:
	s_waitcnt vmcnt(0)
	v_cvt_f32_i32_e32 v3, v2
	global_store_dword v[0:1], v3, off
.LBB297_2083:
	s_mov_b64 s[0:1], 0
.LBB297_2084:
	s_andn2_b64 vcc, exec, s[0:1]
	s_cbranch_vccnz .LBB297_2086
; %bb.2085:
	s_waitcnt vmcnt(0)
	v_cvt_f32_i32_e32 v3, v2
	v_cvt_f16_f32_e32 v3, v3
	global_store_short v[0:1], v3, off
.LBB297_2086:
	s_mov_b64 s[0:1], 0
.LBB297_2087:
	s_andn2_b64 vcc, exec, s[0:1]
	s_cbranch_vccnz .LBB297_2103
; %bb.2088:
	s_sext_i32_i16 s2, s16
	s_cmp_lt_i32 s2, 2
	s_mov_b64 s[0:1], -1
	s_cbranch_scc1 .LBB297_2098
; %bb.2089:
	s_cmp_lt_i32 s2, 3
	s_cbranch_scc1 .LBB297_2095
; %bb.2090:
	s_cmp_gt_i32 s2, 3
	s_cbranch_scc0 .LBB297_2092
; %bb.2091:
	s_waitcnt vmcnt(0)
	v_ashrrev_i32_e32 v3, 31, v2
	global_store_dwordx2 v[0:1], v[2:3], off
	s_mov_b64 s[0:1], 0
.LBB297_2092:
	s_andn2_b64 vcc, exec, s[0:1]
	s_cbranch_vccnz .LBB297_2094
; %bb.2093:
	s_waitcnt vmcnt(0)
	global_store_dword v[0:1], v2, off
.LBB297_2094:
	s_mov_b64 s[0:1], 0
.LBB297_2095:
	s_andn2_b64 vcc, exec, s[0:1]
	s_cbranch_vccnz .LBB297_2097
; %bb.2096:
	s_waitcnt vmcnt(0)
	global_store_short v[0:1], v2, off
.LBB297_2097:
	s_mov_b64 s[0:1], 0
.LBB297_2098:
	s_andn2_b64 vcc, exec, s[0:1]
	s_cbranch_vccnz .LBB297_2103
; %bb.2099:
	s_sext_i32_i16 s0, s16
	s_cmp_gt_i32 s0, 0
	s_mov_b64 s[0:1], -1
	s_cbranch_scc0 .LBB297_2101
; %bb.2100:
	s_waitcnt vmcnt(0)
	global_store_byte v[0:1], v2, off
	s_mov_b64 s[0:1], 0
.LBB297_2101:
	s_andn2_b64 vcc, exec, s[0:1]
	s_cbranch_vccnz .LBB297_2103
; %bb.2102:
	s_waitcnt vmcnt(0)
	global_store_byte v[0:1], v2, off
	s_endpgm
.LBB297_2103:
	s_endpgm
.LBB297_2104:
	s_mov_b64 s[4:5], 0
	s_mov_b64 s[0:1], -1
	s_branch .LBB297_2060
.LBB297_2105:
	s_trap 2
	s_or_b64 s[2:3], s[2:3], exec
	s_cbranch_execz .LBB297_1574
	s_branch .LBB297_1575
.LBB297_2106:
	s_andn2_saveexec_b64 s[14:15], s[14:15]
	s_cbranch_execz .LBB297_1654
.LBB297_2107:
	s_mov_b32 s18, 0x46000000
	v_add_f32_e64 v10, |v9|, s18
	v_and_b32_e32 v10, 0xff, v10
	v_cmp_ne_u32_e32 vcc, 0, v10
	s_andn2_b64 s[12:13], s[12:13], exec
	s_and_b64 s[18:19], vcc, exec
	s_or_b64 s[12:13], s[12:13], s[18:19]
	s_or_b64 exec, exec, s[14:15]
	v_mov_b32_e32 v11, 0
	s_and_saveexec_b64 s[14:15], s[12:13]
	s_cbranch_execnz .LBB297_1655
	s_branch .LBB297_1656
.LBB297_2108:
	s_trap 2
	s_or_b64 s[2:3], s[2:3], exec
	s_cbranch_execz .LBB297_1702
	s_branch .LBB297_1703
.LBB297_2109:
	s_andn2_saveexec_b64 s[12:13], s[12:13]
	s_cbranch_execz .LBB297_1667
.LBB297_2110:
	s_mov_b32 s14, 0x42800000
	v_add_f32_e64 v10, |v9|, s14
	v_and_b32_e32 v10, 0xff, v10
	v_cmp_ne_u32_e32 vcc, 0, v10
	s_andn2_b64 s[10:11], s[10:11], exec
	s_and_b64 s[14:15], vcc, exec
	s_or_b64 s[10:11], s[10:11], s[14:15]
	s_or_b64 exec, exec, s[12:13]
	v_mov_b32_e32 v11, 0
	s_and_saveexec_b64 s[12:13], s[10:11]
	s_cbranch_execnz .LBB297_1668
	s_branch .LBB297_1669
.LBB297_2111:
	s_andn2_saveexec_b64 s[14:15], s[14:15]
	s_cbranch_execz .LBB297_1773
.LBB297_2112:
	s_mov_b32 s18, 0x46000000
	v_add_f32_e64 v8, |v7|, s18
	v_and_b32_e32 v8, 0xff, v8
	v_cmp_ne_u32_e32 vcc, 0, v8
	s_andn2_b64 s[12:13], s[12:13], exec
	s_and_b64 s[18:19], vcc, exec
	s_or_b64 s[12:13], s[12:13], s[18:19]
	s_or_b64 exec, exec, s[14:15]
	v_mov_b32_e32 v9, 0
	s_and_saveexec_b64 s[14:15], s[12:13]
	s_cbranch_execnz .LBB297_1774
	s_branch .LBB297_1775
.LBB297_2113:
	s_trap 2
	s_or_b64 s[2:3], s[2:3], exec
	s_cbranch_execz .LBB297_1821
	s_branch .LBB297_1822
.LBB297_2114:
	s_andn2_saveexec_b64 s[12:13], s[12:13]
	s_cbranch_execz .LBB297_1786
.LBB297_2115:
	s_mov_b32 s14, 0x42800000
	v_add_f32_e64 v8, |v7|, s14
	v_and_b32_e32 v8, 0xff, v8
	v_cmp_ne_u32_e32 vcc, 0, v8
	s_andn2_b64 s[10:11], s[10:11], exec
	s_and_b64 s[14:15], vcc, exec
	s_or_b64 s[10:11], s[10:11], s[14:15]
	s_or_b64 exec, exec, s[12:13]
	v_mov_b32_e32 v9, 0
	s_and_saveexec_b64 s[12:13], s[10:11]
	s_cbranch_execnz .LBB297_1787
	s_branch .LBB297_1788
.LBB297_2116:
	s_andn2_saveexec_b64 s[14:15], s[14:15]
	s_cbranch_execz .LBB297_1892
.LBB297_2117:
	s_mov_b32 s18, 0x46000000
	v_add_f32_e64 v6, |v5|, s18
	v_and_b32_e32 v6, 0xff, v6
	v_cmp_ne_u32_e32 vcc, 0, v6
	s_andn2_b64 s[12:13], s[12:13], exec
	s_and_b64 s[18:19], vcc, exec
	s_or_b64 s[12:13], s[12:13], s[18:19]
	s_or_b64 exec, exec, s[14:15]
	v_mov_b32_e32 v7, 0
	s_and_saveexec_b64 s[14:15], s[12:13]
	s_cbranch_execnz .LBB297_1893
	s_branch .LBB297_1894
.LBB297_2118:
	s_trap 2
	s_or_b64 s[2:3], s[2:3], exec
	s_cbranch_execz .LBB297_1940
	s_branch .LBB297_1941
.LBB297_2119:
	s_andn2_saveexec_b64 s[12:13], s[12:13]
	s_cbranch_execz .LBB297_1905
.LBB297_2120:
	s_mov_b32 s14, 0x42800000
	v_add_f32_e64 v6, |v5|, s14
	v_and_b32_e32 v6, 0xff, v6
	v_cmp_ne_u32_e32 vcc, 0, v6
	s_andn2_b64 s[10:11], s[10:11], exec
	s_and_b64 s[14:15], vcc, exec
	s_or_b64 s[10:11], s[10:11], s[14:15]
	s_or_b64 exec, exec, s[12:13]
	v_mov_b32_e32 v7, 0
	s_and_saveexec_b64 s[12:13], s[10:11]
	s_cbranch_execnz .LBB297_1906
	s_branch .LBB297_1907
.LBB297_2121:
	s_andn2_saveexec_b64 s[10:11], s[10:11]
	s_cbranch_execz .LBB297_2012
.LBB297_2122:
	s_mov_b32 s12, 0x46000000
	v_add_f32_e64 v4, |v3|, s12
	v_and_b32_e32 v4, 0xff, v4
	v_cmp_ne_u32_e32 vcc, 0, v4
	s_andn2_b64 s[8:9], s[8:9], exec
	s_and_b64 s[12:13], vcc, exec
	s_or_b64 s[8:9], s[8:9], s[12:13]
	s_or_b64 exec, exec, s[10:11]
	v_mov_b32_e32 v5, 0
	s_and_saveexec_b64 s[10:11], s[8:9]
	s_cbranch_execnz .LBB297_2013
	s_branch .LBB297_2014
.LBB297_2123:
	s_mov_b64 s[4:5], 0
	s_or_b64 s[2:3], s[2:3], exec
	s_trap 2
	s_branch .LBB297_2058
.LBB297_2124:
	s_andn2_saveexec_b64 s[8:9], s[8:9]
	s_cbranch_execz .LBB297_2024
.LBB297_2125:
	s_mov_b32 s10, 0x42800000
	v_add_f32_e64 v4, |v3|, s10
	v_and_b32_e32 v4, 0xff, v4
	v_cmp_ne_u32_e32 vcc, 0, v4
	s_andn2_b64 s[6:7], s[6:7], exec
	s_and_b64 s[10:11], vcc, exec
	s_or_b64 s[6:7], s[6:7], s[10:11]
	s_or_b64 exec, exec, s[8:9]
	v_mov_b32_e32 v5, 0
	s_and_saveexec_b64 s[8:9], s[6:7]
	s_cbranch_execnz .LBB297_2025
	s_branch .LBB297_2026
	.section	.rodata,"a",@progbits
	.p2align	6, 0x0
	.amdhsa_kernel _ZN2at6native32elementwise_kernel_manual_unrollILi128ELi4EZNS0_15gpu_kernel_implIZZZNS0_17clamp_kernel_cudaERNS_18TensorIteratorBaseERKN3c106ScalarES8_ENKUlvE_clEvENKUlvE1_clEvEUliE_EEvS4_RKT_EUlibE0_EEviT1_
		.amdhsa_group_segment_fixed_size 0
		.amdhsa_private_segment_fixed_size 0
		.amdhsa_kernarg_size 368
		.amdhsa_user_sgpr_count 2
		.amdhsa_user_sgpr_dispatch_ptr 0
		.amdhsa_user_sgpr_queue_ptr 0
		.amdhsa_user_sgpr_kernarg_segment_ptr 1
		.amdhsa_user_sgpr_dispatch_id 0
		.amdhsa_user_sgpr_kernarg_preload_length 0
		.amdhsa_user_sgpr_kernarg_preload_offset 0
		.amdhsa_user_sgpr_private_segment_size 0
		.amdhsa_uses_dynamic_stack 0
		.amdhsa_enable_private_segment 0
		.amdhsa_system_sgpr_workgroup_id_x 1
		.amdhsa_system_sgpr_workgroup_id_y 0
		.amdhsa_system_sgpr_workgroup_id_z 0
		.amdhsa_system_sgpr_workgroup_info 0
		.amdhsa_system_vgpr_workitem_id 0
		.amdhsa_next_free_vgpr 18
		.amdhsa_next_free_sgpr 80
		.amdhsa_accum_offset 20
		.amdhsa_reserve_vcc 1
		.amdhsa_float_round_mode_32 0
		.amdhsa_float_round_mode_16_64 0
		.amdhsa_float_denorm_mode_32 3
		.amdhsa_float_denorm_mode_16_64 3
		.amdhsa_dx10_clamp 1
		.amdhsa_ieee_mode 1
		.amdhsa_fp16_overflow 0
		.amdhsa_tg_split 0
		.amdhsa_exception_fp_ieee_invalid_op 0
		.amdhsa_exception_fp_denorm_src 0
		.amdhsa_exception_fp_ieee_div_zero 0
		.amdhsa_exception_fp_ieee_overflow 0
		.amdhsa_exception_fp_ieee_underflow 0
		.amdhsa_exception_fp_ieee_inexact 0
		.amdhsa_exception_int_div_zero 0
	.end_amdhsa_kernel
	.section	.text._ZN2at6native32elementwise_kernel_manual_unrollILi128ELi4EZNS0_15gpu_kernel_implIZZZNS0_17clamp_kernel_cudaERNS_18TensorIteratorBaseERKN3c106ScalarES8_ENKUlvE_clEvENKUlvE1_clEvEUliE_EEvS4_RKT_EUlibE0_EEviT1_,"axG",@progbits,_ZN2at6native32elementwise_kernel_manual_unrollILi128ELi4EZNS0_15gpu_kernel_implIZZZNS0_17clamp_kernel_cudaERNS_18TensorIteratorBaseERKN3c106ScalarES8_ENKUlvE_clEvENKUlvE1_clEvEUliE_EEvS4_RKT_EUlibE0_EEviT1_,comdat
.Lfunc_end297:
	.size	_ZN2at6native32elementwise_kernel_manual_unrollILi128ELi4EZNS0_15gpu_kernel_implIZZZNS0_17clamp_kernel_cudaERNS_18TensorIteratorBaseERKN3c106ScalarES8_ENKUlvE_clEvENKUlvE1_clEvEUliE_EEvS4_RKT_EUlibE0_EEviT1_, .Lfunc_end297-_ZN2at6native32elementwise_kernel_manual_unrollILi128ELi4EZNS0_15gpu_kernel_implIZZZNS0_17clamp_kernel_cudaERNS_18TensorIteratorBaseERKN3c106ScalarES8_ENKUlvE_clEvENKUlvE1_clEvEUliE_EEvS4_RKT_EUlibE0_EEviT1_
                                        ; -- End function
	.set _ZN2at6native32elementwise_kernel_manual_unrollILi128ELi4EZNS0_15gpu_kernel_implIZZZNS0_17clamp_kernel_cudaERNS_18TensorIteratorBaseERKN3c106ScalarES8_ENKUlvE_clEvENKUlvE1_clEvEUliE_EEvS4_RKT_EUlibE0_EEviT1_.num_vgpr, 18
	.set _ZN2at6native32elementwise_kernel_manual_unrollILi128ELi4EZNS0_15gpu_kernel_implIZZZNS0_17clamp_kernel_cudaERNS_18TensorIteratorBaseERKN3c106ScalarES8_ENKUlvE_clEvENKUlvE1_clEvEUliE_EEvS4_RKT_EUlibE0_EEviT1_.num_agpr, 0
	.set _ZN2at6native32elementwise_kernel_manual_unrollILi128ELi4EZNS0_15gpu_kernel_implIZZZNS0_17clamp_kernel_cudaERNS_18TensorIteratorBaseERKN3c106ScalarES8_ENKUlvE_clEvENKUlvE1_clEvEUliE_EEvS4_RKT_EUlibE0_EEviT1_.numbered_sgpr, 80
	.set _ZN2at6native32elementwise_kernel_manual_unrollILi128ELi4EZNS0_15gpu_kernel_implIZZZNS0_17clamp_kernel_cudaERNS_18TensorIteratorBaseERKN3c106ScalarES8_ENKUlvE_clEvENKUlvE1_clEvEUliE_EEvS4_RKT_EUlibE0_EEviT1_.num_named_barrier, 0
	.set _ZN2at6native32elementwise_kernel_manual_unrollILi128ELi4EZNS0_15gpu_kernel_implIZZZNS0_17clamp_kernel_cudaERNS_18TensorIteratorBaseERKN3c106ScalarES8_ENKUlvE_clEvENKUlvE1_clEvEUliE_EEvS4_RKT_EUlibE0_EEviT1_.private_seg_size, 0
	.set _ZN2at6native32elementwise_kernel_manual_unrollILi128ELi4EZNS0_15gpu_kernel_implIZZZNS0_17clamp_kernel_cudaERNS_18TensorIteratorBaseERKN3c106ScalarES8_ENKUlvE_clEvENKUlvE1_clEvEUliE_EEvS4_RKT_EUlibE0_EEviT1_.uses_vcc, 1
	.set _ZN2at6native32elementwise_kernel_manual_unrollILi128ELi4EZNS0_15gpu_kernel_implIZZZNS0_17clamp_kernel_cudaERNS_18TensorIteratorBaseERKN3c106ScalarES8_ENKUlvE_clEvENKUlvE1_clEvEUliE_EEvS4_RKT_EUlibE0_EEviT1_.uses_flat_scratch, 0
	.set _ZN2at6native32elementwise_kernel_manual_unrollILi128ELi4EZNS0_15gpu_kernel_implIZZZNS0_17clamp_kernel_cudaERNS_18TensorIteratorBaseERKN3c106ScalarES8_ENKUlvE_clEvENKUlvE1_clEvEUliE_EEvS4_RKT_EUlibE0_EEviT1_.has_dyn_sized_stack, 0
	.set _ZN2at6native32elementwise_kernel_manual_unrollILi128ELi4EZNS0_15gpu_kernel_implIZZZNS0_17clamp_kernel_cudaERNS_18TensorIteratorBaseERKN3c106ScalarES8_ENKUlvE_clEvENKUlvE1_clEvEUliE_EEvS4_RKT_EUlibE0_EEviT1_.has_recursion, 0
	.set _ZN2at6native32elementwise_kernel_manual_unrollILi128ELi4EZNS0_15gpu_kernel_implIZZZNS0_17clamp_kernel_cudaERNS_18TensorIteratorBaseERKN3c106ScalarES8_ENKUlvE_clEvENKUlvE1_clEvEUliE_EEvS4_RKT_EUlibE0_EEviT1_.has_indirect_call, 0
	.section	.AMDGPU.csdata,"",@progbits
; Kernel info:
; codeLenInByte = 34992
; TotalNumSgprs: 86
; NumVgprs: 18
; NumAgprs: 0
; TotalNumVgprs: 18
; ScratchSize: 0
; MemoryBound: 1
; FloatMode: 240
; IeeeMode: 1
; LDSByteSize: 0 bytes/workgroup (compile time only)
; SGPRBlocks: 10
; VGPRBlocks: 2
; NumSGPRsForWavesPerEU: 86
; NumVGPRsForWavesPerEU: 18
; AccumOffset: 20
; Occupancy: 8
; WaveLimiterHint : 1
; COMPUTE_PGM_RSRC2:SCRATCH_EN: 0
; COMPUTE_PGM_RSRC2:USER_SGPR: 2
; COMPUTE_PGM_RSRC2:TRAP_HANDLER: 0
; COMPUTE_PGM_RSRC2:TGID_X_EN: 1
; COMPUTE_PGM_RSRC2:TGID_Y_EN: 0
; COMPUTE_PGM_RSRC2:TGID_Z_EN: 0
; COMPUTE_PGM_RSRC2:TIDIG_COMP_CNT: 0
; COMPUTE_PGM_RSRC3_GFX90A:ACCUM_OFFSET: 4
; COMPUTE_PGM_RSRC3_GFX90A:TG_SPLIT: 0
	.section	.text._ZN2at6native29vectorized_elementwise_kernelILi16EZZZNS0_17clamp_kernel_cudaERNS_18TensorIteratorBaseERKN3c106ScalarES7_ENKUlvE_clEvENKUlvE2_clEvEUllE_St5arrayIPcLm2EEEEviT0_T1_,"axG",@progbits,_ZN2at6native29vectorized_elementwise_kernelILi16EZZZNS0_17clamp_kernel_cudaERNS_18TensorIteratorBaseERKN3c106ScalarES7_ENKUlvE_clEvENKUlvE2_clEvEUllE_St5arrayIPcLm2EEEEviT0_T1_,comdat
	.globl	_ZN2at6native29vectorized_elementwise_kernelILi16EZZZNS0_17clamp_kernel_cudaERNS_18TensorIteratorBaseERKN3c106ScalarES7_ENKUlvE_clEvENKUlvE2_clEvEUllE_St5arrayIPcLm2EEEEviT0_T1_ ; -- Begin function _ZN2at6native29vectorized_elementwise_kernelILi16EZZZNS0_17clamp_kernel_cudaERNS_18TensorIteratorBaseERKN3c106ScalarES7_ENKUlvE_clEvENKUlvE2_clEvEUllE_St5arrayIPcLm2EEEEviT0_T1_
	.p2align	8
	.type	_ZN2at6native29vectorized_elementwise_kernelILi16EZZZNS0_17clamp_kernel_cudaERNS_18TensorIteratorBaseERKN3c106ScalarES7_ENKUlvE_clEvENKUlvE2_clEvEUllE_St5arrayIPcLm2EEEEviT0_T1_,@function
_ZN2at6native29vectorized_elementwise_kernelILi16EZZZNS0_17clamp_kernel_cudaERNS_18TensorIteratorBaseERKN3c106ScalarES7_ENKUlvE_clEvENKUlvE2_clEvEUllE_St5arrayIPcLm2EEEEviT0_T1_: ; @_ZN2at6native29vectorized_elementwise_kernelILi16EZZZNS0_17clamp_kernel_cudaERNS_18TensorIteratorBaseERKN3c106ScalarES7_ENKUlvE_clEvENKUlvE2_clEvEUllE_St5arrayIPcLm2EEEEviT0_T1_
; %bb.0:
	s_load_dword s3, s[0:1], 0x0
	s_load_dwordx8 s[8:15], s[0:1], 0x8
	s_lshl_b32 s6, s2, 10
	s_mov_b64 s[0:1], -1
	s_waitcnt lgkmcnt(0)
	s_sub_i32 s16, s3, s6
	s_cmpk_gt_i32 s16, 0x3ff
	s_cbranch_scc0 .LBB298_2
; %bb.1:
	s_ashr_i32 s7, s6, 31
	s_lshl_b64 s[0:1], s[6:7], 3
	s_add_u32 s2, s14, s0
	s_addc_u32 s3, s15, s1
	v_lshlrev_b32_e32 v1, 5, v0
	global_load_dwordx4 v[2:5], v1, s[2:3]
	global_load_dwordx4 v[6:9], v1, s[2:3] offset:16
	s_add_u32 s18, s12, s0
	v_mov_b32_e32 v10, s9
	v_mov_b32_e32 v11, s8
	s_addc_u32 s19, s13, s1
	v_mov_b32_e32 v12, s11
	v_mov_b32_e32 v13, s10
	s_waitcnt vmcnt(1)
	v_cmp_lt_i64_e32 vcc, s[8:9], v[2:3]
	v_cmp_lt_i64_e64 s[0:1], s[8:9], v[4:5]
	s_nop 0
	v_cndmask_b32_e32 v3, v10, v3, vcc
	s_waitcnt vmcnt(0)
	v_cmp_lt_i64_e64 s[2:3], s[8:9], v[6:7]
	v_cndmask_b32_e64 v5, v10, v5, s[0:1]
	v_cmp_lt_i64_e64 s[4:5], s[8:9], v[8:9]
	v_cndmask_b32_e32 v2, v11, v2, vcc
	v_cndmask_b32_e64 v4, v11, v4, s[0:1]
	v_cndmask_b32_e64 v7, v10, v7, s[2:3]
	;; [unrolled: 1-line block ×5, first 2 shown]
	v_cmp_gt_i64_e32 vcc, s[10:11], v[2:3]
	v_cmp_gt_i64_e64 s[0:1], s[10:11], v[4:5]
	v_cmp_gt_i64_e64 s[2:3], s[10:11], v[6:7]
	v_cndmask_b32_e32 v3, v12, v3, vcc
	v_cndmask_b32_e64 v5, v12, v5, s[0:1]
	v_cmp_gt_i64_e64 s[4:5], s[10:11], v[8:9]
	v_cndmask_b32_e32 v2, v13, v2, vcc
	v_cndmask_b32_e64 v4, v13, v4, s[0:1]
	v_cndmask_b32_e64 v7, v12, v7, s[2:3]
	;; [unrolled: 1-line block ×5, first 2 shown]
	global_store_dwordx4 v1, v[2:5], s[18:19]
	global_store_dwordx4 v1, v[6:9], s[18:19] offset:16
	s_mov_b64 s[0:1], 0
.LBB298_2:
	s_andn2_b64 vcc, exec, s[0:1]
	s_cbranch_vccnz .LBB298_16
; %bb.3:
	v_cmp_gt_i32_e32 vcc, s16, v0
	v_mov_b64_e32 v[4:5], 0
	v_or_b32_e32 v2, s6, v0
	v_mov_b64_e32 v[6:7], 0
	v_mov_b32_e32 v1, v0
	s_and_saveexec_b64 s[0:1], vcc
	s_cbranch_execz .LBB298_5
; %bb.4:
	v_mov_b32_e32 v3, 0
	v_lshl_add_u64 v[6:7], v[2:3], 3, s[14:15]
	global_load_dwordx2 v[6:7], v[6:7], off
	v_or_b32_e32 v1, 0x100, v0
.LBB298_5:
	s_or_b64 exec, exec, s[0:1]
	v_cmp_gt_i32_e64 s[0:1], s16, v1
	s_and_saveexec_b64 s[2:3], s[0:1]
	s_cbranch_execz .LBB298_7
; %bb.6:
	v_add_u32_e32 v4, s6, v1
	v_mov_b32_e32 v5, 0
	v_lshl_add_u64 v[4:5], v[4:5], 3, s[14:15]
	global_load_dwordx2 v[4:5], v[4:5], off
	v_add_u32_e32 v1, 0x100, v1
.LBB298_7:
	s_or_b64 exec, exec, s[2:3]
	v_cmp_gt_i32_e64 s[0:1], s16, v1
	v_mov_b64_e32 v[8:9], 0
	v_mov_b64_e32 v[10:11], 0
	s_and_saveexec_b64 s[2:3], s[0:1]
	s_cbranch_execz .LBB298_9
; %bb.8:
	v_add_u32_e32 v10, s6, v1
	v_mov_b32_e32 v11, 0
	v_lshl_add_u64 v[10:11], v[10:11], 3, s[14:15]
	global_load_dwordx2 v[10:11], v[10:11], off
	v_add_u32_e32 v1, 0x100, v1
.LBB298_9:
	s_or_b64 exec, exec, s[2:3]
	v_cmp_gt_i32_e64 s[0:1], s16, v1
	s_and_saveexec_b64 s[2:3], s[0:1]
	s_cbranch_execz .LBB298_11
; %bb.10:
	v_add_u32_e32 v8, s6, v1
	v_mov_b32_e32 v9, 0
	v_lshl_add_u64 v[8:9], v[8:9], 3, s[14:15]
	global_load_dwordx2 v[8:9], v[8:9], off
.LBB298_11:
	s_or_b64 exec, exec, s[2:3]
	v_mov_b32_e32 v3, s9
	s_waitcnt vmcnt(0)
	v_cmp_lt_i64_e64 s[0:1], s[8:9], v[6:7]
	v_mov_b32_e32 v16, s8
	v_mov_b32_e32 v17, s10
	v_cndmask_b32_e64 v7, v3, v7, s[0:1]
	v_cndmask_b32_e64 v6, v16, v6, s[0:1]
	v_cmp_gt_i64_e64 s[0:1], s[10:11], v[6:7]
	v_mov_b32_e32 v18, s11
	s_nop 0
	v_cndmask_b32_e64 v1, v17, v6, s[0:1]
	v_cndmask_b32_e64 v6, v18, v7, s[0:1]
	v_cmp_lt_i64_e64 s[0:1], s[8:9], v[4:5]
	v_cndmask_b32_e32 v14, 0, v1, vcc
	v_or_b32_e32 v1, 0x100, v0
	v_cndmask_b32_e64 v5, v3, v5, s[0:1]
	v_cndmask_b32_e64 v4, v16, v4, s[0:1]
	v_cmp_gt_i64_e64 s[0:1], s[10:11], v[4:5]
	v_cndmask_b32_e32 v15, 0, v6, vcc
	v_or_b32_e32 v6, 0x200, v0
	v_cndmask_b32_e64 v4, v17, v4, s[0:1]
	v_cndmask_b32_e64 v5, v18, v5, s[0:1]
	v_cmp_gt_i32_e64 s[0:1], s16, v1
	s_nop 1
	v_cndmask_b32_e64 v13, 0, v5, s[0:1]
	v_cndmask_b32_e64 v12, 0, v4, s[0:1]
	v_cmp_lt_i64_e64 s[0:1], s[8:9], v[10:11]
	s_nop 1
	v_cndmask_b32_e64 v5, v3, v11, s[0:1]
	v_cndmask_b32_e64 v4, v16, v10, s[0:1]
	v_cmp_gt_i64_e64 s[0:1], s[10:11], v[4:5]
	v_or_b32_e32 v10, 0x300, v0
	s_nop 0
	v_cndmask_b32_e64 v4, v17, v4, s[0:1]
	v_cndmask_b32_e64 v5, v18, v5, s[0:1]
	v_cmp_gt_i32_e64 s[0:1], s16, v6
	s_nop 1
	v_cndmask_b32_e64 v7, 0, v5, s[0:1]
	v_cndmask_b32_e64 v6, 0, v4, s[0:1]
	v_cmp_lt_i64_e64 s[0:1], s[8:9], v[8:9]
	s_nop 1
	v_cndmask_b32_e64 v5, v3, v9, s[0:1]
	v_cndmask_b32_e64 v4, v16, v8, s[0:1]
	v_cmp_gt_i64_e64 s[0:1], s[10:11], v[4:5]
	s_nop 1
	v_cndmask_b32_e64 v3, v17, v4, s[0:1]
	v_cndmask_b32_e64 v4, v18, v5, s[0:1]
	v_cmp_gt_i32_e64 s[0:1], s16, v10
	s_nop 1
	v_cndmask_b32_e64 v5, 0, v4, s[0:1]
	v_cndmask_b32_e64 v4, 0, v3, s[0:1]
	s_and_saveexec_b64 s[0:1], vcc
	s_cbranch_execnz .LBB298_17
; %bb.12:
	s_or_b64 exec, exec, s[0:1]
	v_cmp_gt_i32_e32 vcc, s16, v0
	s_and_saveexec_b64 s[0:1], vcc
	s_cbranch_execnz .LBB298_18
.LBB298_13:
	s_or_b64 exec, exec, s[0:1]
	v_cmp_gt_i32_e32 vcc, s16, v0
	s_and_saveexec_b64 s[0:1], vcc
	s_cbranch_execnz .LBB298_19
.LBB298_14:
	s_or_b64 exec, exec, s[0:1]
	v_cmp_gt_i32_e32 vcc, s16, v0
	s_and_saveexec_b64 s[0:1], vcc
	s_cbranch_execz .LBB298_16
.LBB298_15:
	v_add_u32_e32 v0, s6, v0
	v_mov_b32_e32 v1, 0
	v_lshl_add_u64 v[0:1], v[0:1], 3, s[12:13]
	global_store_dwordx2 v[0:1], v[4:5], off
.LBB298_16:
	s_endpgm
.LBB298_17:
	v_mov_b32_e32 v3, 0
	v_lshl_add_u64 v[2:3], v[2:3], 3, s[12:13]
	v_mov_b32_e32 v0, v1
	global_store_dwordx2 v[2:3], v[14:15], off
	s_or_b64 exec, exec, s[0:1]
	v_cmp_gt_i32_e32 vcc, s16, v0
	s_and_saveexec_b64 s[0:1], vcc
	s_cbranch_execz .LBB298_13
.LBB298_18:
	v_add_u32_e32 v2, s6, v0
	v_mov_b32_e32 v3, 0
	v_lshl_add_u64 v[2:3], v[2:3], 3, s[12:13]
	v_add_u32_e32 v0, 0x100, v0
	global_store_dwordx2 v[2:3], v[12:13], off
	s_or_b64 exec, exec, s[0:1]
	v_cmp_gt_i32_e32 vcc, s16, v0
	s_and_saveexec_b64 s[0:1], vcc
	s_cbranch_execz .LBB298_14
.LBB298_19:
	v_add_u32_e32 v2, s6, v0
	v_mov_b32_e32 v3, 0
	v_lshl_add_u64 v[2:3], v[2:3], 3, s[12:13]
	v_add_u32_e32 v0, 0x100, v0
	global_store_dwordx2 v[2:3], v[6:7], off
	s_or_b64 exec, exec, s[0:1]
	v_cmp_gt_i32_e32 vcc, s16, v0
	s_and_saveexec_b64 s[0:1], vcc
	s_cbranch_execnz .LBB298_15
	s_branch .LBB298_16
	.section	.rodata,"a",@progbits
	.p2align	6, 0x0
	.amdhsa_kernel _ZN2at6native29vectorized_elementwise_kernelILi16EZZZNS0_17clamp_kernel_cudaERNS_18TensorIteratorBaseERKN3c106ScalarES7_ENKUlvE_clEvENKUlvE2_clEvEUllE_St5arrayIPcLm2EEEEviT0_T1_
		.amdhsa_group_segment_fixed_size 0
		.amdhsa_private_segment_fixed_size 0
		.amdhsa_kernarg_size 40
		.amdhsa_user_sgpr_count 2
		.amdhsa_user_sgpr_dispatch_ptr 0
		.amdhsa_user_sgpr_queue_ptr 0
		.amdhsa_user_sgpr_kernarg_segment_ptr 1
		.amdhsa_user_sgpr_dispatch_id 0
		.amdhsa_user_sgpr_kernarg_preload_length 0
		.amdhsa_user_sgpr_kernarg_preload_offset 0
		.amdhsa_user_sgpr_private_segment_size 0
		.amdhsa_uses_dynamic_stack 0
		.amdhsa_enable_private_segment 0
		.amdhsa_system_sgpr_workgroup_id_x 1
		.amdhsa_system_sgpr_workgroup_id_y 0
		.amdhsa_system_sgpr_workgroup_id_z 0
		.amdhsa_system_sgpr_workgroup_info 0
		.amdhsa_system_vgpr_workitem_id 0
		.amdhsa_next_free_vgpr 19
		.amdhsa_next_free_sgpr 20
		.amdhsa_accum_offset 20
		.amdhsa_reserve_vcc 1
		.amdhsa_float_round_mode_32 0
		.amdhsa_float_round_mode_16_64 0
		.amdhsa_float_denorm_mode_32 3
		.amdhsa_float_denorm_mode_16_64 3
		.amdhsa_dx10_clamp 1
		.amdhsa_ieee_mode 1
		.amdhsa_fp16_overflow 0
		.amdhsa_tg_split 0
		.amdhsa_exception_fp_ieee_invalid_op 0
		.amdhsa_exception_fp_denorm_src 0
		.amdhsa_exception_fp_ieee_div_zero 0
		.amdhsa_exception_fp_ieee_overflow 0
		.amdhsa_exception_fp_ieee_underflow 0
		.amdhsa_exception_fp_ieee_inexact 0
		.amdhsa_exception_int_div_zero 0
	.end_amdhsa_kernel
	.section	.text._ZN2at6native29vectorized_elementwise_kernelILi16EZZZNS0_17clamp_kernel_cudaERNS_18TensorIteratorBaseERKN3c106ScalarES7_ENKUlvE_clEvENKUlvE2_clEvEUllE_St5arrayIPcLm2EEEEviT0_T1_,"axG",@progbits,_ZN2at6native29vectorized_elementwise_kernelILi16EZZZNS0_17clamp_kernel_cudaERNS_18TensorIteratorBaseERKN3c106ScalarES7_ENKUlvE_clEvENKUlvE2_clEvEUllE_St5arrayIPcLm2EEEEviT0_T1_,comdat
.Lfunc_end298:
	.size	_ZN2at6native29vectorized_elementwise_kernelILi16EZZZNS0_17clamp_kernel_cudaERNS_18TensorIteratorBaseERKN3c106ScalarES7_ENKUlvE_clEvENKUlvE2_clEvEUllE_St5arrayIPcLm2EEEEviT0_T1_, .Lfunc_end298-_ZN2at6native29vectorized_elementwise_kernelILi16EZZZNS0_17clamp_kernel_cudaERNS_18TensorIteratorBaseERKN3c106ScalarES7_ENKUlvE_clEvENKUlvE2_clEvEUllE_St5arrayIPcLm2EEEEviT0_T1_
                                        ; -- End function
	.set _ZN2at6native29vectorized_elementwise_kernelILi16EZZZNS0_17clamp_kernel_cudaERNS_18TensorIteratorBaseERKN3c106ScalarES7_ENKUlvE_clEvENKUlvE2_clEvEUllE_St5arrayIPcLm2EEEEviT0_T1_.num_vgpr, 19
	.set _ZN2at6native29vectorized_elementwise_kernelILi16EZZZNS0_17clamp_kernel_cudaERNS_18TensorIteratorBaseERKN3c106ScalarES7_ENKUlvE_clEvENKUlvE2_clEvEUllE_St5arrayIPcLm2EEEEviT0_T1_.num_agpr, 0
	.set _ZN2at6native29vectorized_elementwise_kernelILi16EZZZNS0_17clamp_kernel_cudaERNS_18TensorIteratorBaseERKN3c106ScalarES7_ENKUlvE_clEvENKUlvE2_clEvEUllE_St5arrayIPcLm2EEEEviT0_T1_.numbered_sgpr, 20
	.set _ZN2at6native29vectorized_elementwise_kernelILi16EZZZNS0_17clamp_kernel_cudaERNS_18TensorIteratorBaseERKN3c106ScalarES7_ENKUlvE_clEvENKUlvE2_clEvEUllE_St5arrayIPcLm2EEEEviT0_T1_.num_named_barrier, 0
	.set _ZN2at6native29vectorized_elementwise_kernelILi16EZZZNS0_17clamp_kernel_cudaERNS_18TensorIteratorBaseERKN3c106ScalarES7_ENKUlvE_clEvENKUlvE2_clEvEUllE_St5arrayIPcLm2EEEEviT0_T1_.private_seg_size, 0
	.set _ZN2at6native29vectorized_elementwise_kernelILi16EZZZNS0_17clamp_kernel_cudaERNS_18TensorIteratorBaseERKN3c106ScalarES7_ENKUlvE_clEvENKUlvE2_clEvEUllE_St5arrayIPcLm2EEEEviT0_T1_.uses_vcc, 1
	.set _ZN2at6native29vectorized_elementwise_kernelILi16EZZZNS0_17clamp_kernel_cudaERNS_18TensorIteratorBaseERKN3c106ScalarES7_ENKUlvE_clEvENKUlvE2_clEvEUllE_St5arrayIPcLm2EEEEviT0_T1_.uses_flat_scratch, 0
	.set _ZN2at6native29vectorized_elementwise_kernelILi16EZZZNS0_17clamp_kernel_cudaERNS_18TensorIteratorBaseERKN3c106ScalarES7_ENKUlvE_clEvENKUlvE2_clEvEUllE_St5arrayIPcLm2EEEEviT0_T1_.has_dyn_sized_stack, 0
	.set _ZN2at6native29vectorized_elementwise_kernelILi16EZZZNS0_17clamp_kernel_cudaERNS_18TensorIteratorBaseERKN3c106ScalarES7_ENKUlvE_clEvENKUlvE2_clEvEUllE_St5arrayIPcLm2EEEEviT0_T1_.has_recursion, 0
	.set _ZN2at6native29vectorized_elementwise_kernelILi16EZZZNS0_17clamp_kernel_cudaERNS_18TensorIteratorBaseERKN3c106ScalarES7_ENKUlvE_clEvENKUlvE2_clEvEUllE_St5arrayIPcLm2EEEEviT0_T1_.has_indirect_call, 0
	.section	.AMDGPU.csdata,"",@progbits
; Kernel info:
; codeLenInByte = 1096
; TotalNumSgprs: 26
; NumVgprs: 19
; NumAgprs: 0
; TotalNumVgprs: 19
; ScratchSize: 0
; MemoryBound: 0
; FloatMode: 240
; IeeeMode: 1
; LDSByteSize: 0 bytes/workgroup (compile time only)
; SGPRBlocks: 3
; VGPRBlocks: 2
; NumSGPRsForWavesPerEU: 26
; NumVGPRsForWavesPerEU: 19
; AccumOffset: 20
; Occupancy: 8
; WaveLimiterHint : 0
; COMPUTE_PGM_RSRC2:SCRATCH_EN: 0
; COMPUTE_PGM_RSRC2:USER_SGPR: 2
; COMPUTE_PGM_RSRC2:TRAP_HANDLER: 0
; COMPUTE_PGM_RSRC2:TGID_X_EN: 1
; COMPUTE_PGM_RSRC2:TGID_Y_EN: 0
; COMPUTE_PGM_RSRC2:TGID_Z_EN: 0
; COMPUTE_PGM_RSRC2:TIDIG_COMP_CNT: 0
; COMPUTE_PGM_RSRC3_GFX90A:ACCUM_OFFSET: 4
; COMPUTE_PGM_RSRC3_GFX90A:TG_SPLIT: 0
	.section	.text._ZN2at6native29vectorized_elementwise_kernelILi8EZZZNS0_17clamp_kernel_cudaERNS_18TensorIteratorBaseERKN3c106ScalarES7_ENKUlvE_clEvENKUlvE2_clEvEUllE_St5arrayIPcLm2EEEEviT0_T1_,"axG",@progbits,_ZN2at6native29vectorized_elementwise_kernelILi8EZZZNS0_17clamp_kernel_cudaERNS_18TensorIteratorBaseERKN3c106ScalarES7_ENKUlvE_clEvENKUlvE2_clEvEUllE_St5arrayIPcLm2EEEEviT0_T1_,comdat
	.globl	_ZN2at6native29vectorized_elementwise_kernelILi8EZZZNS0_17clamp_kernel_cudaERNS_18TensorIteratorBaseERKN3c106ScalarES7_ENKUlvE_clEvENKUlvE2_clEvEUllE_St5arrayIPcLm2EEEEviT0_T1_ ; -- Begin function _ZN2at6native29vectorized_elementwise_kernelILi8EZZZNS0_17clamp_kernel_cudaERNS_18TensorIteratorBaseERKN3c106ScalarES7_ENKUlvE_clEvENKUlvE2_clEvEUllE_St5arrayIPcLm2EEEEviT0_T1_
	.p2align	8
	.type	_ZN2at6native29vectorized_elementwise_kernelILi8EZZZNS0_17clamp_kernel_cudaERNS_18TensorIteratorBaseERKN3c106ScalarES7_ENKUlvE_clEvENKUlvE2_clEvEUllE_St5arrayIPcLm2EEEEviT0_T1_,@function
_ZN2at6native29vectorized_elementwise_kernelILi8EZZZNS0_17clamp_kernel_cudaERNS_18TensorIteratorBaseERKN3c106ScalarES7_ENKUlvE_clEvENKUlvE2_clEvEUllE_St5arrayIPcLm2EEEEviT0_T1_: ; @_ZN2at6native29vectorized_elementwise_kernelILi8EZZZNS0_17clamp_kernel_cudaERNS_18TensorIteratorBaseERKN3c106ScalarES7_ENKUlvE_clEvENKUlvE2_clEvEUllE_St5arrayIPcLm2EEEEviT0_T1_
; %bb.0:
	s_load_dword s3, s[0:1], 0x0
	s_load_dwordx8 s[8:15], s[0:1], 0x8
	s_lshl_b32 s6, s2, 10
	s_mov_b64 s[0:1], -1
	s_waitcnt lgkmcnt(0)
	s_sub_i32 s16, s3, s6
	s_cmpk_gt_i32 s16, 0x3ff
	s_cbranch_scc0 .LBB299_2
; %bb.1:
	s_ashr_i32 s7, s6, 31
	s_lshl_b64 s[0:1], s[6:7], 3
	s_add_u32 s2, s14, s0
	s_addc_u32 s3, s15, s1
	v_lshlrev_b32_e32 v1, 5, v0
	global_load_dwordx4 v[2:5], v1, s[2:3]
	global_load_dwordx4 v[6:9], v1, s[2:3] offset:16
	s_add_u32 s18, s12, s0
	v_mov_b32_e32 v10, s9
	v_mov_b32_e32 v11, s8
	s_addc_u32 s19, s13, s1
	v_mov_b32_e32 v12, s11
	v_mov_b32_e32 v13, s10
	s_waitcnt vmcnt(1)
	v_cmp_lt_i64_e32 vcc, s[8:9], v[2:3]
	v_cmp_lt_i64_e64 s[0:1], s[8:9], v[4:5]
	s_nop 0
	v_cndmask_b32_e32 v3, v10, v3, vcc
	s_waitcnt vmcnt(0)
	v_cmp_lt_i64_e64 s[2:3], s[8:9], v[6:7]
	v_cndmask_b32_e64 v5, v10, v5, s[0:1]
	v_cmp_lt_i64_e64 s[4:5], s[8:9], v[8:9]
	v_cndmask_b32_e32 v2, v11, v2, vcc
	v_cndmask_b32_e64 v4, v11, v4, s[0:1]
	v_cndmask_b32_e64 v7, v10, v7, s[2:3]
	;; [unrolled: 1-line block ×5, first 2 shown]
	v_cmp_gt_i64_e32 vcc, s[10:11], v[2:3]
	v_cmp_gt_i64_e64 s[0:1], s[10:11], v[4:5]
	v_cmp_gt_i64_e64 s[2:3], s[10:11], v[6:7]
	v_cndmask_b32_e32 v3, v12, v3, vcc
	v_cndmask_b32_e64 v5, v12, v5, s[0:1]
	v_cmp_gt_i64_e64 s[4:5], s[10:11], v[8:9]
	v_cndmask_b32_e32 v2, v13, v2, vcc
	v_cndmask_b32_e64 v4, v13, v4, s[0:1]
	v_cndmask_b32_e64 v7, v12, v7, s[2:3]
	v_cndmask_b32_e64 v9, v12, v9, s[4:5]
	v_cndmask_b32_e64 v6, v13, v6, s[2:3]
	v_cndmask_b32_e64 v8, v13, v8, s[4:5]
	global_store_dwordx4 v1, v[2:5], s[18:19]
	global_store_dwordx4 v1, v[6:9], s[18:19] offset:16
	s_mov_b64 s[0:1], 0
.LBB299_2:
	s_andn2_b64 vcc, exec, s[0:1]
	s_cbranch_vccnz .LBB299_16
; %bb.3:
	v_cmp_gt_i32_e32 vcc, s16, v0
	v_mov_b64_e32 v[4:5], 0
	v_or_b32_e32 v2, s6, v0
	v_mov_b64_e32 v[6:7], 0
	v_mov_b32_e32 v1, v0
	s_and_saveexec_b64 s[0:1], vcc
	s_cbranch_execz .LBB299_5
; %bb.4:
	v_mov_b32_e32 v3, 0
	v_lshl_add_u64 v[6:7], v[2:3], 3, s[14:15]
	global_load_dwordx2 v[6:7], v[6:7], off
	v_or_b32_e32 v1, 0x100, v0
.LBB299_5:
	s_or_b64 exec, exec, s[0:1]
	v_cmp_gt_i32_e64 s[0:1], s16, v1
	s_and_saveexec_b64 s[2:3], s[0:1]
	s_cbranch_execz .LBB299_7
; %bb.6:
	v_add_u32_e32 v4, s6, v1
	v_mov_b32_e32 v5, 0
	v_lshl_add_u64 v[4:5], v[4:5], 3, s[14:15]
	global_load_dwordx2 v[4:5], v[4:5], off
	v_add_u32_e32 v1, 0x100, v1
.LBB299_7:
	s_or_b64 exec, exec, s[2:3]
	v_cmp_gt_i32_e64 s[0:1], s16, v1
	v_mov_b64_e32 v[8:9], 0
	v_mov_b64_e32 v[10:11], 0
	s_and_saveexec_b64 s[2:3], s[0:1]
	s_cbranch_execz .LBB299_9
; %bb.8:
	v_add_u32_e32 v10, s6, v1
	v_mov_b32_e32 v11, 0
	v_lshl_add_u64 v[10:11], v[10:11], 3, s[14:15]
	global_load_dwordx2 v[10:11], v[10:11], off
	v_add_u32_e32 v1, 0x100, v1
.LBB299_9:
	s_or_b64 exec, exec, s[2:3]
	v_cmp_gt_i32_e64 s[0:1], s16, v1
	s_and_saveexec_b64 s[2:3], s[0:1]
	s_cbranch_execz .LBB299_11
; %bb.10:
	v_add_u32_e32 v8, s6, v1
	v_mov_b32_e32 v9, 0
	v_lshl_add_u64 v[8:9], v[8:9], 3, s[14:15]
	global_load_dwordx2 v[8:9], v[8:9], off
.LBB299_11:
	s_or_b64 exec, exec, s[2:3]
	v_mov_b32_e32 v3, s9
	s_waitcnt vmcnt(0)
	v_cmp_lt_i64_e64 s[0:1], s[8:9], v[6:7]
	v_mov_b32_e32 v16, s8
	v_mov_b32_e32 v17, s10
	v_cndmask_b32_e64 v7, v3, v7, s[0:1]
	v_cndmask_b32_e64 v6, v16, v6, s[0:1]
	v_cmp_gt_i64_e64 s[0:1], s[10:11], v[6:7]
	v_mov_b32_e32 v18, s11
	s_nop 0
	v_cndmask_b32_e64 v1, v17, v6, s[0:1]
	v_cndmask_b32_e64 v6, v18, v7, s[0:1]
	v_cmp_lt_i64_e64 s[0:1], s[8:9], v[4:5]
	v_cndmask_b32_e32 v14, 0, v1, vcc
	v_or_b32_e32 v1, 0x100, v0
	v_cndmask_b32_e64 v5, v3, v5, s[0:1]
	v_cndmask_b32_e64 v4, v16, v4, s[0:1]
	v_cmp_gt_i64_e64 s[0:1], s[10:11], v[4:5]
	v_cndmask_b32_e32 v15, 0, v6, vcc
	v_or_b32_e32 v6, 0x200, v0
	v_cndmask_b32_e64 v4, v17, v4, s[0:1]
	v_cndmask_b32_e64 v5, v18, v5, s[0:1]
	v_cmp_gt_i32_e64 s[0:1], s16, v1
	s_nop 1
	v_cndmask_b32_e64 v13, 0, v5, s[0:1]
	v_cndmask_b32_e64 v12, 0, v4, s[0:1]
	v_cmp_lt_i64_e64 s[0:1], s[8:9], v[10:11]
	s_nop 1
	v_cndmask_b32_e64 v5, v3, v11, s[0:1]
	v_cndmask_b32_e64 v4, v16, v10, s[0:1]
	v_cmp_gt_i64_e64 s[0:1], s[10:11], v[4:5]
	v_or_b32_e32 v10, 0x300, v0
	s_nop 0
	v_cndmask_b32_e64 v4, v17, v4, s[0:1]
	v_cndmask_b32_e64 v5, v18, v5, s[0:1]
	v_cmp_gt_i32_e64 s[0:1], s16, v6
	s_nop 1
	v_cndmask_b32_e64 v7, 0, v5, s[0:1]
	v_cndmask_b32_e64 v6, 0, v4, s[0:1]
	v_cmp_lt_i64_e64 s[0:1], s[8:9], v[8:9]
	s_nop 1
	v_cndmask_b32_e64 v5, v3, v9, s[0:1]
	v_cndmask_b32_e64 v4, v16, v8, s[0:1]
	v_cmp_gt_i64_e64 s[0:1], s[10:11], v[4:5]
	s_nop 1
	v_cndmask_b32_e64 v3, v17, v4, s[0:1]
	v_cndmask_b32_e64 v4, v18, v5, s[0:1]
	v_cmp_gt_i32_e64 s[0:1], s16, v10
	s_nop 1
	v_cndmask_b32_e64 v5, 0, v4, s[0:1]
	v_cndmask_b32_e64 v4, 0, v3, s[0:1]
	s_and_saveexec_b64 s[0:1], vcc
	s_cbranch_execnz .LBB299_17
; %bb.12:
	s_or_b64 exec, exec, s[0:1]
	v_cmp_gt_i32_e32 vcc, s16, v0
	s_and_saveexec_b64 s[0:1], vcc
	s_cbranch_execnz .LBB299_18
.LBB299_13:
	s_or_b64 exec, exec, s[0:1]
	v_cmp_gt_i32_e32 vcc, s16, v0
	s_and_saveexec_b64 s[0:1], vcc
	s_cbranch_execnz .LBB299_19
.LBB299_14:
	s_or_b64 exec, exec, s[0:1]
	v_cmp_gt_i32_e32 vcc, s16, v0
	s_and_saveexec_b64 s[0:1], vcc
	s_cbranch_execz .LBB299_16
.LBB299_15:
	v_add_u32_e32 v0, s6, v0
	v_mov_b32_e32 v1, 0
	v_lshl_add_u64 v[0:1], v[0:1], 3, s[12:13]
	global_store_dwordx2 v[0:1], v[4:5], off
.LBB299_16:
	s_endpgm
.LBB299_17:
	v_mov_b32_e32 v3, 0
	v_lshl_add_u64 v[2:3], v[2:3], 3, s[12:13]
	v_mov_b32_e32 v0, v1
	global_store_dwordx2 v[2:3], v[14:15], off
	s_or_b64 exec, exec, s[0:1]
	v_cmp_gt_i32_e32 vcc, s16, v0
	s_and_saveexec_b64 s[0:1], vcc
	s_cbranch_execz .LBB299_13
.LBB299_18:
	v_add_u32_e32 v2, s6, v0
	v_mov_b32_e32 v3, 0
	v_lshl_add_u64 v[2:3], v[2:3], 3, s[12:13]
	v_add_u32_e32 v0, 0x100, v0
	global_store_dwordx2 v[2:3], v[12:13], off
	s_or_b64 exec, exec, s[0:1]
	v_cmp_gt_i32_e32 vcc, s16, v0
	s_and_saveexec_b64 s[0:1], vcc
	s_cbranch_execz .LBB299_14
.LBB299_19:
	v_add_u32_e32 v2, s6, v0
	v_mov_b32_e32 v3, 0
	v_lshl_add_u64 v[2:3], v[2:3], 3, s[12:13]
	v_add_u32_e32 v0, 0x100, v0
	global_store_dwordx2 v[2:3], v[6:7], off
	s_or_b64 exec, exec, s[0:1]
	v_cmp_gt_i32_e32 vcc, s16, v0
	s_and_saveexec_b64 s[0:1], vcc
	s_cbranch_execnz .LBB299_15
	s_branch .LBB299_16
	.section	.rodata,"a",@progbits
	.p2align	6, 0x0
	.amdhsa_kernel _ZN2at6native29vectorized_elementwise_kernelILi8EZZZNS0_17clamp_kernel_cudaERNS_18TensorIteratorBaseERKN3c106ScalarES7_ENKUlvE_clEvENKUlvE2_clEvEUllE_St5arrayIPcLm2EEEEviT0_T1_
		.amdhsa_group_segment_fixed_size 0
		.amdhsa_private_segment_fixed_size 0
		.amdhsa_kernarg_size 40
		.amdhsa_user_sgpr_count 2
		.amdhsa_user_sgpr_dispatch_ptr 0
		.amdhsa_user_sgpr_queue_ptr 0
		.amdhsa_user_sgpr_kernarg_segment_ptr 1
		.amdhsa_user_sgpr_dispatch_id 0
		.amdhsa_user_sgpr_kernarg_preload_length 0
		.amdhsa_user_sgpr_kernarg_preload_offset 0
		.amdhsa_user_sgpr_private_segment_size 0
		.amdhsa_uses_dynamic_stack 0
		.amdhsa_enable_private_segment 0
		.amdhsa_system_sgpr_workgroup_id_x 1
		.amdhsa_system_sgpr_workgroup_id_y 0
		.amdhsa_system_sgpr_workgroup_id_z 0
		.amdhsa_system_sgpr_workgroup_info 0
		.amdhsa_system_vgpr_workitem_id 0
		.amdhsa_next_free_vgpr 19
		.amdhsa_next_free_sgpr 20
		.amdhsa_accum_offset 20
		.amdhsa_reserve_vcc 1
		.amdhsa_float_round_mode_32 0
		.amdhsa_float_round_mode_16_64 0
		.amdhsa_float_denorm_mode_32 3
		.amdhsa_float_denorm_mode_16_64 3
		.amdhsa_dx10_clamp 1
		.amdhsa_ieee_mode 1
		.amdhsa_fp16_overflow 0
		.amdhsa_tg_split 0
		.amdhsa_exception_fp_ieee_invalid_op 0
		.amdhsa_exception_fp_denorm_src 0
		.amdhsa_exception_fp_ieee_div_zero 0
		.amdhsa_exception_fp_ieee_overflow 0
		.amdhsa_exception_fp_ieee_underflow 0
		.amdhsa_exception_fp_ieee_inexact 0
		.amdhsa_exception_int_div_zero 0
	.end_amdhsa_kernel
	.section	.text._ZN2at6native29vectorized_elementwise_kernelILi8EZZZNS0_17clamp_kernel_cudaERNS_18TensorIteratorBaseERKN3c106ScalarES7_ENKUlvE_clEvENKUlvE2_clEvEUllE_St5arrayIPcLm2EEEEviT0_T1_,"axG",@progbits,_ZN2at6native29vectorized_elementwise_kernelILi8EZZZNS0_17clamp_kernel_cudaERNS_18TensorIteratorBaseERKN3c106ScalarES7_ENKUlvE_clEvENKUlvE2_clEvEUllE_St5arrayIPcLm2EEEEviT0_T1_,comdat
.Lfunc_end299:
	.size	_ZN2at6native29vectorized_elementwise_kernelILi8EZZZNS0_17clamp_kernel_cudaERNS_18TensorIteratorBaseERKN3c106ScalarES7_ENKUlvE_clEvENKUlvE2_clEvEUllE_St5arrayIPcLm2EEEEviT0_T1_, .Lfunc_end299-_ZN2at6native29vectorized_elementwise_kernelILi8EZZZNS0_17clamp_kernel_cudaERNS_18TensorIteratorBaseERKN3c106ScalarES7_ENKUlvE_clEvENKUlvE2_clEvEUllE_St5arrayIPcLm2EEEEviT0_T1_
                                        ; -- End function
	.set _ZN2at6native29vectorized_elementwise_kernelILi8EZZZNS0_17clamp_kernel_cudaERNS_18TensorIteratorBaseERKN3c106ScalarES7_ENKUlvE_clEvENKUlvE2_clEvEUllE_St5arrayIPcLm2EEEEviT0_T1_.num_vgpr, 19
	.set _ZN2at6native29vectorized_elementwise_kernelILi8EZZZNS0_17clamp_kernel_cudaERNS_18TensorIteratorBaseERKN3c106ScalarES7_ENKUlvE_clEvENKUlvE2_clEvEUllE_St5arrayIPcLm2EEEEviT0_T1_.num_agpr, 0
	.set _ZN2at6native29vectorized_elementwise_kernelILi8EZZZNS0_17clamp_kernel_cudaERNS_18TensorIteratorBaseERKN3c106ScalarES7_ENKUlvE_clEvENKUlvE2_clEvEUllE_St5arrayIPcLm2EEEEviT0_T1_.numbered_sgpr, 20
	.set _ZN2at6native29vectorized_elementwise_kernelILi8EZZZNS0_17clamp_kernel_cudaERNS_18TensorIteratorBaseERKN3c106ScalarES7_ENKUlvE_clEvENKUlvE2_clEvEUllE_St5arrayIPcLm2EEEEviT0_T1_.num_named_barrier, 0
	.set _ZN2at6native29vectorized_elementwise_kernelILi8EZZZNS0_17clamp_kernel_cudaERNS_18TensorIteratorBaseERKN3c106ScalarES7_ENKUlvE_clEvENKUlvE2_clEvEUllE_St5arrayIPcLm2EEEEviT0_T1_.private_seg_size, 0
	.set _ZN2at6native29vectorized_elementwise_kernelILi8EZZZNS0_17clamp_kernel_cudaERNS_18TensorIteratorBaseERKN3c106ScalarES7_ENKUlvE_clEvENKUlvE2_clEvEUllE_St5arrayIPcLm2EEEEviT0_T1_.uses_vcc, 1
	.set _ZN2at6native29vectorized_elementwise_kernelILi8EZZZNS0_17clamp_kernel_cudaERNS_18TensorIteratorBaseERKN3c106ScalarES7_ENKUlvE_clEvENKUlvE2_clEvEUllE_St5arrayIPcLm2EEEEviT0_T1_.uses_flat_scratch, 0
	.set _ZN2at6native29vectorized_elementwise_kernelILi8EZZZNS0_17clamp_kernel_cudaERNS_18TensorIteratorBaseERKN3c106ScalarES7_ENKUlvE_clEvENKUlvE2_clEvEUllE_St5arrayIPcLm2EEEEviT0_T1_.has_dyn_sized_stack, 0
	.set _ZN2at6native29vectorized_elementwise_kernelILi8EZZZNS0_17clamp_kernel_cudaERNS_18TensorIteratorBaseERKN3c106ScalarES7_ENKUlvE_clEvENKUlvE2_clEvEUllE_St5arrayIPcLm2EEEEviT0_T1_.has_recursion, 0
	.set _ZN2at6native29vectorized_elementwise_kernelILi8EZZZNS0_17clamp_kernel_cudaERNS_18TensorIteratorBaseERKN3c106ScalarES7_ENKUlvE_clEvENKUlvE2_clEvEUllE_St5arrayIPcLm2EEEEviT0_T1_.has_indirect_call, 0
	.section	.AMDGPU.csdata,"",@progbits
; Kernel info:
; codeLenInByte = 1096
; TotalNumSgprs: 26
; NumVgprs: 19
; NumAgprs: 0
; TotalNumVgprs: 19
; ScratchSize: 0
; MemoryBound: 0
; FloatMode: 240
; IeeeMode: 1
; LDSByteSize: 0 bytes/workgroup (compile time only)
; SGPRBlocks: 3
; VGPRBlocks: 2
; NumSGPRsForWavesPerEU: 26
; NumVGPRsForWavesPerEU: 19
; AccumOffset: 20
; Occupancy: 8
; WaveLimiterHint : 0
; COMPUTE_PGM_RSRC2:SCRATCH_EN: 0
; COMPUTE_PGM_RSRC2:USER_SGPR: 2
; COMPUTE_PGM_RSRC2:TRAP_HANDLER: 0
; COMPUTE_PGM_RSRC2:TGID_X_EN: 1
; COMPUTE_PGM_RSRC2:TGID_Y_EN: 0
; COMPUTE_PGM_RSRC2:TGID_Z_EN: 0
; COMPUTE_PGM_RSRC2:TIDIG_COMP_CNT: 0
; COMPUTE_PGM_RSRC3_GFX90A:ACCUM_OFFSET: 4
; COMPUTE_PGM_RSRC3_GFX90A:TG_SPLIT: 0
	.section	.text._ZN2at6native29vectorized_elementwise_kernelILi4EZZZNS0_17clamp_kernel_cudaERNS_18TensorIteratorBaseERKN3c106ScalarES7_ENKUlvE_clEvENKUlvE2_clEvEUllE_St5arrayIPcLm2EEEEviT0_T1_,"axG",@progbits,_ZN2at6native29vectorized_elementwise_kernelILi4EZZZNS0_17clamp_kernel_cudaERNS_18TensorIteratorBaseERKN3c106ScalarES7_ENKUlvE_clEvENKUlvE2_clEvEUllE_St5arrayIPcLm2EEEEviT0_T1_,comdat
	.globl	_ZN2at6native29vectorized_elementwise_kernelILi4EZZZNS0_17clamp_kernel_cudaERNS_18TensorIteratorBaseERKN3c106ScalarES7_ENKUlvE_clEvENKUlvE2_clEvEUllE_St5arrayIPcLm2EEEEviT0_T1_ ; -- Begin function _ZN2at6native29vectorized_elementwise_kernelILi4EZZZNS0_17clamp_kernel_cudaERNS_18TensorIteratorBaseERKN3c106ScalarES7_ENKUlvE_clEvENKUlvE2_clEvEUllE_St5arrayIPcLm2EEEEviT0_T1_
	.p2align	8
	.type	_ZN2at6native29vectorized_elementwise_kernelILi4EZZZNS0_17clamp_kernel_cudaERNS_18TensorIteratorBaseERKN3c106ScalarES7_ENKUlvE_clEvENKUlvE2_clEvEUllE_St5arrayIPcLm2EEEEviT0_T1_,@function
_ZN2at6native29vectorized_elementwise_kernelILi4EZZZNS0_17clamp_kernel_cudaERNS_18TensorIteratorBaseERKN3c106ScalarES7_ENKUlvE_clEvENKUlvE2_clEvEUllE_St5arrayIPcLm2EEEEviT0_T1_: ; @_ZN2at6native29vectorized_elementwise_kernelILi4EZZZNS0_17clamp_kernel_cudaERNS_18TensorIteratorBaseERKN3c106ScalarES7_ENKUlvE_clEvENKUlvE2_clEvEUllE_St5arrayIPcLm2EEEEviT0_T1_
; %bb.0:
	s_load_dword s3, s[0:1], 0x0
	s_load_dwordx8 s[8:15], s[0:1], 0x8
	s_lshl_b32 s6, s2, 10
	s_mov_b64 s[0:1], -1
	s_waitcnt lgkmcnt(0)
	s_sub_i32 s16, s3, s6
	s_cmpk_gt_i32 s16, 0x3ff
	s_cbranch_scc0 .LBB300_2
; %bb.1:
	s_ashr_i32 s7, s6, 31
	s_lshl_b64 s[0:1], s[6:7], 3
	s_add_u32 s2, s14, s0
	s_addc_u32 s3, s15, s1
	v_lshlrev_b32_e32 v1, 5, v0
	global_load_dwordx4 v[2:5], v1, s[2:3]
	global_load_dwordx4 v[6:9], v1, s[2:3] offset:16
	s_add_u32 s18, s12, s0
	v_mov_b32_e32 v10, s9
	v_mov_b32_e32 v11, s8
	s_addc_u32 s19, s13, s1
	v_mov_b32_e32 v12, s11
	v_mov_b32_e32 v13, s10
	s_waitcnt vmcnt(1)
	v_cmp_lt_i64_e32 vcc, s[8:9], v[2:3]
	v_cmp_lt_i64_e64 s[0:1], s[8:9], v[4:5]
	s_nop 0
	v_cndmask_b32_e32 v3, v10, v3, vcc
	s_waitcnt vmcnt(0)
	v_cmp_lt_i64_e64 s[2:3], s[8:9], v[6:7]
	v_cndmask_b32_e64 v5, v10, v5, s[0:1]
	v_cmp_lt_i64_e64 s[4:5], s[8:9], v[8:9]
	v_cndmask_b32_e32 v2, v11, v2, vcc
	v_cndmask_b32_e64 v4, v11, v4, s[0:1]
	v_cndmask_b32_e64 v7, v10, v7, s[2:3]
	;; [unrolled: 1-line block ×5, first 2 shown]
	v_cmp_gt_i64_e32 vcc, s[10:11], v[2:3]
	v_cmp_gt_i64_e64 s[0:1], s[10:11], v[4:5]
	v_cmp_gt_i64_e64 s[2:3], s[10:11], v[6:7]
	v_cndmask_b32_e32 v3, v12, v3, vcc
	v_cndmask_b32_e64 v5, v12, v5, s[0:1]
	v_cmp_gt_i64_e64 s[4:5], s[10:11], v[8:9]
	v_cndmask_b32_e32 v2, v13, v2, vcc
	v_cndmask_b32_e64 v4, v13, v4, s[0:1]
	v_cndmask_b32_e64 v7, v12, v7, s[2:3]
	;; [unrolled: 1-line block ×5, first 2 shown]
	global_store_dwordx4 v1, v[2:5], s[18:19]
	global_store_dwordx4 v1, v[6:9], s[18:19] offset:16
	s_mov_b64 s[0:1], 0
.LBB300_2:
	s_andn2_b64 vcc, exec, s[0:1]
	s_cbranch_vccnz .LBB300_16
; %bb.3:
	v_cmp_gt_i32_e32 vcc, s16, v0
	v_mov_b64_e32 v[4:5], 0
	v_or_b32_e32 v2, s6, v0
	v_mov_b64_e32 v[6:7], 0
	v_mov_b32_e32 v1, v0
	s_and_saveexec_b64 s[0:1], vcc
	s_cbranch_execz .LBB300_5
; %bb.4:
	v_mov_b32_e32 v3, 0
	v_lshl_add_u64 v[6:7], v[2:3], 3, s[14:15]
	global_load_dwordx2 v[6:7], v[6:7], off
	v_or_b32_e32 v1, 0x100, v0
.LBB300_5:
	s_or_b64 exec, exec, s[0:1]
	v_cmp_gt_i32_e64 s[0:1], s16, v1
	s_and_saveexec_b64 s[2:3], s[0:1]
	s_cbranch_execz .LBB300_7
; %bb.6:
	v_add_u32_e32 v4, s6, v1
	v_mov_b32_e32 v5, 0
	v_lshl_add_u64 v[4:5], v[4:5], 3, s[14:15]
	global_load_dwordx2 v[4:5], v[4:5], off
	v_add_u32_e32 v1, 0x100, v1
.LBB300_7:
	s_or_b64 exec, exec, s[2:3]
	v_cmp_gt_i32_e64 s[0:1], s16, v1
	v_mov_b64_e32 v[8:9], 0
	v_mov_b64_e32 v[10:11], 0
	s_and_saveexec_b64 s[2:3], s[0:1]
	s_cbranch_execz .LBB300_9
; %bb.8:
	v_add_u32_e32 v10, s6, v1
	v_mov_b32_e32 v11, 0
	v_lshl_add_u64 v[10:11], v[10:11], 3, s[14:15]
	global_load_dwordx2 v[10:11], v[10:11], off
	v_add_u32_e32 v1, 0x100, v1
.LBB300_9:
	s_or_b64 exec, exec, s[2:3]
	v_cmp_gt_i32_e64 s[0:1], s16, v1
	s_and_saveexec_b64 s[2:3], s[0:1]
	s_cbranch_execz .LBB300_11
; %bb.10:
	v_add_u32_e32 v8, s6, v1
	v_mov_b32_e32 v9, 0
	v_lshl_add_u64 v[8:9], v[8:9], 3, s[14:15]
	global_load_dwordx2 v[8:9], v[8:9], off
.LBB300_11:
	s_or_b64 exec, exec, s[2:3]
	v_mov_b32_e32 v3, s9
	s_waitcnt vmcnt(0)
	v_cmp_lt_i64_e64 s[0:1], s[8:9], v[6:7]
	v_mov_b32_e32 v16, s8
	v_mov_b32_e32 v17, s10
	v_cndmask_b32_e64 v7, v3, v7, s[0:1]
	v_cndmask_b32_e64 v6, v16, v6, s[0:1]
	v_cmp_gt_i64_e64 s[0:1], s[10:11], v[6:7]
	v_mov_b32_e32 v18, s11
	s_nop 0
	v_cndmask_b32_e64 v1, v17, v6, s[0:1]
	v_cndmask_b32_e64 v6, v18, v7, s[0:1]
	v_cmp_lt_i64_e64 s[0:1], s[8:9], v[4:5]
	v_cndmask_b32_e32 v14, 0, v1, vcc
	v_or_b32_e32 v1, 0x100, v0
	v_cndmask_b32_e64 v5, v3, v5, s[0:1]
	v_cndmask_b32_e64 v4, v16, v4, s[0:1]
	v_cmp_gt_i64_e64 s[0:1], s[10:11], v[4:5]
	v_cndmask_b32_e32 v15, 0, v6, vcc
	v_or_b32_e32 v6, 0x200, v0
	v_cndmask_b32_e64 v4, v17, v4, s[0:1]
	v_cndmask_b32_e64 v5, v18, v5, s[0:1]
	v_cmp_gt_i32_e64 s[0:1], s16, v1
	s_nop 1
	v_cndmask_b32_e64 v13, 0, v5, s[0:1]
	v_cndmask_b32_e64 v12, 0, v4, s[0:1]
	v_cmp_lt_i64_e64 s[0:1], s[8:9], v[10:11]
	s_nop 1
	v_cndmask_b32_e64 v5, v3, v11, s[0:1]
	v_cndmask_b32_e64 v4, v16, v10, s[0:1]
	v_cmp_gt_i64_e64 s[0:1], s[10:11], v[4:5]
	v_or_b32_e32 v10, 0x300, v0
	s_nop 0
	v_cndmask_b32_e64 v4, v17, v4, s[0:1]
	v_cndmask_b32_e64 v5, v18, v5, s[0:1]
	v_cmp_gt_i32_e64 s[0:1], s16, v6
	s_nop 1
	v_cndmask_b32_e64 v7, 0, v5, s[0:1]
	v_cndmask_b32_e64 v6, 0, v4, s[0:1]
	v_cmp_lt_i64_e64 s[0:1], s[8:9], v[8:9]
	s_nop 1
	v_cndmask_b32_e64 v5, v3, v9, s[0:1]
	v_cndmask_b32_e64 v4, v16, v8, s[0:1]
	v_cmp_gt_i64_e64 s[0:1], s[10:11], v[4:5]
	s_nop 1
	v_cndmask_b32_e64 v3, v17, v4, s[0:1]
	v_cndmask_b32_e64 v4, v18, v5, s[0:1]
	v_cmp_gt_i32_e64 s[0:1], s16, v10
	s_nop 1
	v_cndmask_b32_e64 v5, 0, v4, s[0:1]
	v_cndmask_b32_e64 v4, 0, v3, s[0:1]
	s_and_saveexec_b64 s[0:1], vcc
	s_cbranch_execnz .LBB300_17
; %bb.12:
	s_or_b64 exec, exec, s[0:1]
	v_cmp_gt_i32_e32 vcc, s16, v0
	s_and_saveexec_b64 s[0:1], vcc
	s_cbranch_execnz .LBB300_18
.LBB300_13:
	s_or_b64 exec, exec, s[0:1]
	v_cmp_gt_i32_e32 vcc, s16, v0
	s_and_saveexec_b64 s[0:1], vcc
	s_cbranch_execnz .LBB300_19
.LBB300_14:
	s_or_b64 exec, exec, s[0:1]
	v_cmp_gt_i32_e32 vcc, s16, v0
	s_and_saveexec_b64 s[0:1], vcc
	s_cbranch_execz .LBB300_16
.LBB300_15:
	v_add_u32_e32 v0, s6, v0
	v_mov_b32_e32 v1, 0
	v_lshl_add_u64 v[0:1], v[0:1], 3, s[12:13]
	global_store_dwordx2 v[0:1], v[4:5], off
.LBB300_16:
	s_endpgm
.LBB300_17:
	v_mov_b32_e32 v3, 0
	v_lshl_add_u64 v[2:3], v[2:3], 3, s[12:13]
	v_mov_b32_e32 v0, v1
	global_store_dwordx2 v[2:3], v[14:15], off
	s_or_b64 exec, exec, s[0:1]
	v_cmp_gt_i32_e32 vcc, s16, v0
	s_and_saveexec_b64 s[0:1], vcc
	s_cbranch_execz .LBB300_13
.LBB300_18:
	v_add_u32_e32 v2, s6, v0
	v_mov_b32_e32 v3, 0
	v_lshl_add_u64 v[2:3], v[2:3], 3, s[12:13]
	v_add_u32_e32 v0, 0x100, v0
	global_store_dwordx2 v[2:3], v[12:13], off
	s_or_b64 exec, exec, s[0:1]
	v_cmp_gt_i32_e32 vcc, s16, v0
	s_and_saveexec_b64 s[0:1], vcc
	s_cbranch_execz .LBB300_14
.LBB300_19:
	v_add_u32_e32 v2, s6, v0
	v_mov_b32_e32 v3, 0
	v_lshl_add_u64 v[2:3], v[2:3], 3, s[12:13]
	v_add_u32_e32 v0, 0x100, v0
	global_store_dwordx2 v[2:3], v[6:7], off
	s_or_b64 exec, exec, s[0:1]
	v_cmp_gt_i32_e32 vcc, s16, v0
	s_and_saveexec_b64 s[0:1], vcc
	s_cbranch_execnz .LBB300_15
	s_branch .LBB300_16
	.section	.rodata,"a",@progbits
	.p2align	6, 0x0
	.amdhsa_kernel _ZN2at6native29vectorized_elementwise_kernelILi4EZZZNS0_17clamp_kernel_cudaERNS_18TensorIteratorBaseERKN3c106ScalarES7_ENKUlvE_clEvENKUlvE2_clEvEUllE_St5arrayIPcLm2EEEEviT0_T1_
		.amdhsa_group_segment_fixed_size 0
		.amdhsa_private_segment_fixed_size 0
		.amdhsa_kernarg_size 40
		.amdhsa_user_sgpr_count 2
		.amdhsa_user_sgpr_dispatch_ptr 0
		.amdhsa_user_sgpr_queue_ptr 0
		.amdhsa_user_sgpr_kernarg_segment_ptr 1
		.amdhsa_user_sgpr_dispatch_id 0
		.amdhsa_user_sgpr_kernarg_preload_length 0
		.amdhsa_user_sgpr_kernarg_preload_offset 0
		.amdhsa_user_sgpr_private_segment_size 0
		.amdhsa_uses_dynamic_stack 0
		.amdhsa_enable_private_segment 0
		.amdhsa_system_sgpr_workgroup_id_x 1
		.amdhsa_system_sgpr_workgroup_id_y 0
		.amdhsa_system_sgpr_workgroup_id_z 0
		.amdhsa_system_sgpr_workgroup_info 0
		.amdhsa_system_vgpr_workitem_id 0
		.amdhsa_next_free_vgpr 19
		.amdhsa_next_free_sgpr 20
		.amdhsa_accum_offset 20
		.amdhsa_reserve_vcc 1
		.amdhsa_float_round_mode_32 0
		.amdhsa_float_round_mode_16_64 0
		.amdhsa_float_denorm_mode_32 3
		.amdhsa_float_denorm_mode_16_64 3
		.amdhsa_dx10_clamp 1
		.amdhsa_ieee_mode 1
		.amdhsa_fp16_overflow 0
		.amdhsa_tg_split 0
		.amdhsa_exception_fp_ieee_invalid_op 0
		.amdhsa_exception_fp_denorm_src 0
		.amdhsa_exception_fp_ieee_div_zero 0
		.amdhsa_exception_fp_ieee_overflow 0
		.amdhsa_exception_fp_ieee_underflow 0
		.amdhsa_exception_fp_ieee_inexact 0
		.amdhsa_exception_int_div_zero 0
	.end_amdhsa_kernel
	.section	.text._ZN2at6native29vectorized_elementwise_kernelILi4EZZZNS0_17clamp_kernel_cudaERNS_18TensorIteratorBaseERKN3c106ScalarES7_ENKUlvE_clEvENKUlvE2_clEvEUllE_St5arrayIPcLm2EEEEviT0_T1_,"axG",@progbits,_ZN2at6native29vectorized_elementwise_kernelILi4EZZZNS0_17clamp_kernel_cudaERNS_18TensorIteratorBaseERKN3c106ScalarES7_ENKUlvE_clEvENKUlvE2_clEvEUllE_St5arrayIPcLm2EEEEviT0_T1_,comdat
.Lfunc_end300:
	.size	_ZN2at6native29vectorized_elementwise_kernelILi4EZZZNS0_17clamp_kernel_cudaERNS_18TensorIteratorBaseERKN3c106ScalarES7_ENKUlvE_clEvENKUlvE2_clEvEUllE_St5arrayIPcLm2EEEEviT0_T1_, .Lfunc_end300-_ZN2at6native29vectorized_elementwise_kernelILi4EZZZNS0_17clamp_kernel_cudaERNS_18TensorIteratorBaseERKN3c106ScalarES7_ENKUlvE_clEvENKUlvE2_clEvEUllE_St5arrayIPcLm2EEEEviT0_T1_
                                        ; -- End function
	.set _ZN2at6native29vectorized_elementwise_kernelILi4EZZZNS0_17clamp_kernel_cudaERNS_18TensorIteratorBaseERKN3c106ScalarES7_ENKUlvE_clEvENKUlvE2_clEvEUllE_St5arrayIPcLm2EEEEviT0_T1_.num_vgpr, 19
	.set _ZN2at6native29vectorized_elementwise_kernelILi4EZZZNS0_17clamp_kernel_cudaERNS_18TensorIteratorBaseERKN3c106ScalarES7_ENKUlvE_clEvENKUlvE2_clEvEUllE_St5arrayIPcLm2EEEEviT0_T1_.num_agpr, 0
	.set _ZN2at6native29vectorized_elementwise_kernelILi4EZZZNS0_17clamp_kernel_cudaERNS_18TensorIteratorBaseERKN3c106ScalarES7_ENKUlvE_clEvENKUlvE2_clEvEUllE_St5arrayIPcLm2EEEEviT0_T1_.numbered_sgpr, 20
	.set _ZN2at6native29vectorized_elementwise_kernelILi4EZZZNS0_17clamp_kernel_cudaERNS_18TensorIteratorBaseERKN3c106ScalarES7_ENKUlvE_clEvENKUlvE2_clEvEUllE_St5arrayIPcLm2EEEEviT0_T1_.num_named_barrier, 0
	.set _ZN2at6native29vectorized_elementwise_kernelILi4EZZZNS0_17clamp_kernel_cudaERNS_18TensorIteratorBaseERKN3c106ScalarES7_ENKUlvE_clEvENKUlvE2_clEvEUllE_St5arrayIPcLm2EEEEviT0_T1_.private_seg_size, 0
	.set _ZN2at6native29vectorized_elementwise_kernelILi4EZZZNS0_17clamp_kernel_cudaERNS_18TensorIteratorBaseERKN3c106ScalarES7_ENKUlvE_clEvENKUlvE2_clEvEUllE_St5arrayIPcLm2EEEEviT0_T1_.uses_vcc, 1
	.set _ZN2at6native29vectorized_elementwise_kernelILi4EZZZNS0_17clamp_kernel_cudaERNS_18TensorIteratorBaseERKN3c106ScalarES7_ENKUlvE_clEvENKUlvE2_clEvEUllE_St5arrayIPcLm2EEEEviT0_T1_.uses_flat_scratch, 0
	.set _ZN2at6native29vectorized_elementwise_kernelILi4EZZZNS0_17clamp_kernel_cudaERNS_18TensorIteratorBaseERKN3c106ScalarES7_ENKUlvE_clEvENKUlvE2_clEvEUllE_St5arrayIPcLm2EEEEviT0_T1_.has_dyn_sized_stack, 0
	.set _ZN2at6native29vectorized_elementwise_kernelILi4EZZZNS0_17clamp_kernel_cudaERNS_18TensorIteratorBaseERKN3c106ScalarES7_ENKUlvE_clEvENKUlvE2_clEvEUllE_St5arrayIPcLm2EEEEviT0_T1_.has_recursion, 0
	.set _ZN2at6native29vectorized_elementwise_kernelILi4EZZZNS0_17clamp_kernel_cudaERNS_18TensorIteratorBaseERKN3c106ScalarES7_ENKUlvE_clEvENKUlvE2_clEvEUllE_St5arrayIPcLm2EEEEviT0_T1_.has_indirect_call, 0
	.section	.AMDGPU.csdata,"",@progbits
; Kernel info:
; codeLenInByte = 1096
; TotalNumSgprs: 26
; NumVgprs: 19
; NumAgprs: 0
; TotalNumVgprs: 19
; ScratchSize: 0
; MemoryBound: 0
; FloatMode: 240
; IeeeMode: 1
; LDSByteSize: 0 bytes/workgroup (compile time only)
; SGPRBlocks: 3
; VGPRBlocks: 2
; NumSGPRsForWavesPerEU: 26
; NumVGPRsForWavesPerEU: 19
; AccumOffset: 20
; Occupancy: 8
; WaveLimiterHint : 0
; COMPUTE_PGM_RSRC2:SCRATCH_EN: 0
; COMPUTE_PGM_RSRC2:USER_SGPR: 2
; COMPUTE_PGM_RSRC2:TRAP_HANDLER: 0
; COMPUTE_PGM_RSRC2:TGID_X_EN: 1
; COMPUTE_PGM_RSRC2:TGID_Y_EN: 0
; COMPUTE_PGM_RSRC2:TGID_Z_EN: 0
; COMPUTE_PGM_RSRC2:TIDIG_COMP_CNT: 0
; COMPUTE_PGM_RSRC3_GFX90A:ACCUM_OFFSET: 4
; COMPUTE_PGM_RSRC3_GFX90A:TG_SPLIT: 0
	.section	.text._ZN2at6native29vectorized_elementwise_kernelILi2EZZZNS0_17clamp_kernel_cudaERNS_18TensorIteratorBaseERKN3c106ScalarES7_ENKUlvE_clEvENKUlvE2_clEvEUllE_St5arrayIPcLm2EEEEviT0_T1_,"axG",@progbits,_ZN2at6native29vectorized_elementwise_kernelILi2EZZZNS0_17clamp_kernel_cudaERNS_18TensorIteratorBaseERKN3c106ScalarES7_ENKUlvE_clEvENKUlvE2_clEvEUllE_St5arrayIPcLm2EEEEviT0_T1_,comdat
	.globl	_ZN2at6native29vectorized_elementwise_kernelILi2EZZZNS0_17clamp_kernel_cudaERNS_18TensorIteratorBaseERKN3c106ScalarES7_ENKUlvE_clEvENKUlvE2_clEvEUllE_St5arrayIPcLm2EEEEviT0_T1_ ; -- Begin function _ZN2at6native29vectorized_elementwise_kernelILi2EZZZNS0_17clamp_kernel_cudaERNS_18TensorIteratorBaseERKN3c106ScalarES7_ENKUlvE_clEvENKUlvE2_clEvEUllE_St5arrayIPcLm2EEEEviT0_T1_
	.p2align	8
	.type	_ZN2at6native29vectorized_elementwise_kernelILi2EZZZNS0_17clamp_kernel_cudaERNS_18TensorIteratorBaseERKN3c106ScalarES7_ENKUlvE_clEvENKUlvE2_clEvEUllE_St5arrayIPcLm2EEEEviT0_T1_,@function
_ZN2at6native29vectorized_elementwise_kernelILi2EZZZNS0_17clamp_kernel_cudaERNS_18TensorIteratorBaseERKN3c106ScalarES7_ENKUlvE_clEvENKUlvE2_clEvEUllE_St5arrayIPcLm2EEEEviT0_T1_: ; @_ZN2at6native29vectorized_elementwise_kernelILi2EZZZNS0_17clamp_kernel_cudaERNS_18TensorIteratorBaseERKN3c106ScalarES7_ENKUlvE_clEvENKUlvE2_clEvEUllE_St5arrayIPcLm2EEEEviT0_T1_
; %bb.0:
	s_load_dword s3, s[0:1], 0x0
	s_load_dwordx8 s[4:11], s[0:1], 0x8
	s_lshl_b32 s2, s2, 10
	s_mov_b64 s[0:1], -1
	s_waitcnt lgkmcnt(0)
	s_sub_i32 s14, s3, s2
	s_cmpk_gt_i32 s14, 0x3ff
	s_cbranch_scc0 .LBB301_2
; %bb.1:
	s_ashr_i32 s3, s2, 31
	s_lshl_b64 s[0:1], s[2:3], 3
	s_add_u32 s12, s10, s0
	s_addc_u32 s13, s11, s1
	v_lshlrev_b32_e32 v10, 4, v0
	v_mov_b32_e32 v11, 0
	global_load_dwordx4 v[2:5], v10, s[12:13]
	v_lshl_add_u64 v[6:7], s[12:13], 0, v[10:11]
	v_add_co_u32_e32 v6, vcc, 0x1000, v6
	v_mov_b32_e32 v1, s5
	s_nop 0
	v_addc_co_u32_e32 v7, vcc, 0, v7, vcc
	global_load_dwordx4 v[6:9], v[6:7], off
	s_add_u32 s12, s8, s0
	s_addc_u32 s13, s9, s1
	v_lshl_add_u64 v[12:13], s[12:13], 0, v[10:11]
	v_add_co_u32_e32 v12, vcc, 0x1000, v12
	v_mov_b32_e32 v14, s4
	s_nop 0
	v_addc_co_u32_e32 v13, vcc, 0, v13, vcc
	v_mov_b32_e32 v15, s7
	v_mov_b32_e32 v16, s6
	s_waitcnt vmcnt(1)
	v_cmp_lt_i64_e32 vcc, s[4:5], v[2:3]
	v_cmp_lt_i64_e64 s[0:1], s[4:5], v[4:5]
	s_nop 0
	v_cndmask_b32_e32 v3, v1, v3, vcc
	v_cndmask_b32_e32 v2, v14, v2, vcc
	v_cndmask_b32_e64 v5, v1, v5, s[0:1]
	v_cndmask_b32_e64 v4, v14, v4, s[0:1]
	v_cmp_gt_i64_e32 vcc, s[6:7], v[2:3]
	v_cmp_gt_i64_e64 s[0:1], s[6:7], v[4:5]
	s_nop 0
	v_cndmask_b32_e32 v3, v15, v3, vcc
	v_cndmask_b32_e64 v5, v15, v5, s[0:1]
	v_cndmask_b32_e32 v2, v16, v2, vcc
	v_cndmask_b32_e64 v4, v16, v4, s[0:1]
	s_waitcnt vmcnt(0)
	v_cmp_lt_i64_e32 vcc, s[4:5], v[6:7]
	v_cmp_lt_i64_e64 s[0:1], s[4:5], v[8:9]
	global_store_dwordx4 v10, v[2:5], s[12:13]
	v_cndmask_b32_e32 v7, v1, v7, vcc
	v_cndmask_b32_e64 v9, v1, v9, s[0:1]
	v_cndmask_b32_e32 v6, v14, v6, vcc
	v_cndmask_b32_e64 v8, v14, v8, s[0:1]
	v_cmp_gt_i64_e32 vcc, s[6:7], v[6:7]
	v_cmp_gt_i64_e64 s[0:1], s[6:7], v[8:9]
	s_nop 0
	v_cndmask_b32_e32 v3, v15, v7, vcc
	v_cndmask_b32_e64 v5, v15, v9, s[0:1]
	v_cndmask_b32_e32 v2, v16, v6, vcc
	v_cndmask_b32_e64 v4, v16, v8, s[0:1]
	global_store_dwordx4 v[12:13], v[2:5], off
	s_mov_b64 s[0:1], 0
.LBB301_2:
	s_andn2_b64 vcc, exec, s[0:1]
	s_cbranch_vccnz .LBB301_16
; %bb.3:
	v_cmp_gt_i32_e32 vcc, s14, v0
	v_mov_b64_e32 v[4:5], 0
	v_or_b32_e32 v2, s2, v0
	v_mov_b64_e32 v[6:7], 0
	v_mov_b32_e32 v1, v0
	s_and_saveexec_b64 s[0:1], vcc
	s_cbranch_execz .LBB301_5
; %bb.4:
	v_mov_b32_e32 v3, 0
	v_lshl_add_u64 v[6:7], v[2:3], 3, s[10:11]
	global_load_dwordx2 v[6:7], v[6:7], off
	v_or_b32_e32 v1, 0x100, v0
.LBB301_5:
	s_or_b64 exec, exec, s[0:1]
	v_cmp_gt_i32_e64 s[0:1], s14, v1
	s_and_saveexec_b64 s[12:13], s[0:1]
	s_cbranch_execz .LBB301_7
; %bb.6:
	v_add_u32_e32 v4, s2, v1
	v_mov_b32_e32 v5, 0
	v_lshl_add_u64 v[4:5], v[4:5], 3, s[10:11]
	global_load_dwordx2 v[4:5], v[4:5], off
	v_add_u32_e32 v1, 0x100, v1
.LBB301_7:
	s_or_b64 exec, exec, s[12:13]
	v_cmp_gt_i32_e64 s[0:1], s14, v1
	v_mov_b64_e32 v[8:9], 0
	v_mov_b64_e32 v[10:11], 0
	s_and_saveexec_b64 s[12:13], s[0:1]
	s_cbranch_execz .LBB301_9
; %bb.8:
	v_add_u32_e32 v10, s2, v1
	v_mov_b32_e32 v11, 0
	v_lshl_add_u64 v[10:11], v[10:11], 3, s[10:11]
	global_load_dwordx2 v[10:11], v[10:11], off
	v_add_u32_e32 v1, 0x100, v1
.LBB301_9:
	s_or_b64 exec, exec, s[12:13]
	v_cmp_gt_i32_e64 s[0:1], s14, v1
	s_and_saveexec_b64 s[12:13], s[0:1]
	s_cbranch_execz .LBB301_11
; %bb.10:
	v_add_u32_e32 v8, s2, v1
	v_mov_b32_e32 v9, 0
	v_lshl_add_u64 v[8:9], v[8:9], 3, s[10:11]
	global_load_dwordx2 v[8:9], v[8:9], off
.LBB301_11:
	s_or_b64 exec, exec, s[12:13]
	v_mov_b32_e32 v3, s5
	s_waitcnt vmcnt(0)
	v_cmp_lt_i64_e64 s[0:1], s[4:5], v[6:7]
	v_mov_b32_e32 v16, s4
	v_mov_b32_e32 v17, s6
	v_cndmask_b32_e64 v7, v3, v7, s[0:1]
	v_cndmask_b32_e64 v6, v16, v6, s[0:1]
	v_cmp_gt_i64_e64 s[0:1], s[6:7], v[6:7]
	v_mov_b32_e32 v18, s7
	s_nop 0
	v_cndmask_b32_e64 v1, v17, v6, s[0:1]
	v_cndmask_b32_e64 v6, v18, v7, s[0:1]
	v_cmp_lt_i64_e64 s[0:1], s[4:5], v[4:5]
	v_cndmask_b32_e32 v14, 0, v1, vcc
	v_or_b32_e32 v1, 0x100, v0
	v_cndmask_b32_e64 v5, v3, v5, s[0:1]
	v_cndmask_b32_e64 v4, v16, v4, s[0:1]
	v_cmp_gt_i64_e64 s[0:1], s[6:7], v[4:5]
	v_cndmask_b32_e32 v15, 0, v6, vcc
	v_or_b32_e32 v6, 0x200, v0
	v_cndmask_b32_e64 v4, v17, v4, s[0:1]
	v_cndmask_b32_e64 v5, v18, v5, s[0:1]
	v_cmp_gt_i32_e64 s[0:1], s14, v1
	s_nop 1
	v_cndmask_b32_e64 v13, 0, v5, s[0:1]
	v_cndmask_b32_e64 v12, 0, v4, s[0:1]
	v_cmp_lt_i64_e64 s[0:1], s[4:5], v[10:11]
	s_nop 1
	v_cndmask_b32_e64 v5, v3, v11, s[0:1]
	v_cndmask_b32_e64 v4, v16, v10, s[0:1]
	v_cmp_gt_i64_e64 s[0:1], s[6:7], v[4:5]
	v_or_b32_e32 v10, 0x300, v0
	s_nop 0
	v_cndmask_b32_e64 v4, v17, v4, s[0:1]
	v_cndmask_b32_e64 v5, v18, v5, s[0:1]
	v_cmp_gt_i32_e64 s[0:1], s14, v6
	s_nop 1
	v_cndmask_b32_e64 v7, 0, v5, s[0:1]
	v_cndmask_b32_e64 v6, 0, v4, s[0:1]
	v_cmp_lt_i64_e64 s[0:1], s[4:5], v[8:9]
	s_nop 1
	v_cndmask_b32_e64 v5, v3, v9, s[0:1]
	v_cndmask_b32_e64 v4, v16, v8, s[0:1]
	v_cmp_gt_i64_e64 s[0:1], s[6:7], v[4:5]
	s_nop 1
	v_cndmask_b32_e64 v3, v17, v4, s[0:1]
	v_cndmask_b32_e64 v4, v18, v5, s[0:1]
	v_cmp_gt_i32_e64 s[0:1], s14, v10
	s_nop 1
	v_cndmask_b32_e64 v5, 0, v4, s[0:1]
	v_cndmask_b32_e64 v4, 0, v3, s[0:1]
	s_and_saveexec_b64 s[0:1], vcc
	s_cbranch_execnz .LBB301_17
; %bb.12:
	s_or_b64 exec, exec, s[0:1]
	v_cmp_gt_i32_e32 vcc, s14, v0
	s_and_saveexec_b64 s[0:1], vcc
	s_cbranch_execnz .LBB301_18
.LBB301_13:
	s_or_b64 exec, exec, s[0:1]
	v_cmp_gt_i32_e32 vcc, s14, v0
	s_and_saveexec_b64 s[0:1], vcc
	s_cbranch_execnz .LBB301_19
.LBB301_14:
	s_or_b64 exec, exec, s[0:1]
	v_cmp_gt_i32_e32 vcc, s14, v0
	s_and_saveexec_b64 s[0:1], vcc
	s_cbranch_execz .LBB301_16
.LBB301_15:
	v_add_u32_e32 v0, s2, v0
	v_mov_b32_e32 v1, 0
	v_lshl_add_u64 v[0:1], v[0:1], 3, s[8:9]
	global_store_dwordx2 v[0:1], v[4:5], off
.LBB301_16:
	s_endpgm
.LBB301_17:
	v_mov_b32_e32 v3, 0
	v_lshl_add_u64 v[2:3], v[2:3], 3, s[8:9]
	v_mov_b32_e32 v0, v1
	global_store_dwordx2 v[2:3], v[14:15], off
	s_or_b64 exec, exec, s[0:1]
	v_cmp_gt_i32_e32 vcc, s14, v0
	s_and_saveexec_b64 s[0:1], vcc
	s_cbranch_execz .LBB301_13
.LBB301_18:
	v_add_u32_e32 v2, s2, v0
	v_mov_b32_e32 v3, 0
	v_lshl_add_u64 v[2:3], v[2:3], 3, s[8:9]
	v_add_u32_e32 v0, 0x100, v0
	global_store_dwordx2 v[2:3], v[12:13], off
	s_or_b64 exec, exec, s[0:1]
	v_cmp_gt_i32_e32 vcc, s14, v0
	s_and_saveexec_b64 s[0:1], vcc
	s_cbranch_execz .LBB301_14
.LBB301_19:
	v_add_u32_e32 v2, s2, v0
	v_mov_b32_e32 v3, 0
	v_lshl_add_u64 v[2:3], v[2:3], 3, s[8:9]
	v_add_u32_e32 v0, 0x100, v0
	global_store_dwordx2 v[2:3], v[6:7], off
	s_or_b64 exec, exec, s[0:1]
	v_cmp_gt_i32_e32 vcc, s14, v0
	s_and_saveexec_b64 s[0:1], vcc
	s_cbranch_execnz .LBB301_15
	s_branch .LBB301_16
	.section	.rodata,"a",@progbits
	.p2align	6, 0x0
	.amdhsa_kernel _ZN2at6native29vectorized_elementwise_kernelILi2EZZZNS0_17clamp_kernel_cudaERNS_18TensorIteratorBaseERKN3c106ScalarES7_ENKUlvE_clEvENKUlvE2_clEvEUllE_St5arrayIPcLm2EEEEviT0_T1_
		.amdhsa_group_segment_fixed_size 0
		.amdhsa_private_segment_fixed_size 0
		.amdhsa_kernarg_size 40
		.amdhsa_user_sgpr_count 2
		.amdhsa_user_sgpr_dispatch_ptr 0
		.amdhsa_user_sgpr_queue_ptr 0
		.amdhsa_user_sgpr_kernarg_segment_ptr 1
		.amdhsa_user_sgpr_dispatch_id 0
		.amdhsa_user_sgpr_kernarg_preload_length 0
		.amdhsa_user_sgpr_kernarg_preload_offset 0
		.amdhsa_user_sgpr_private_segment_size 0
		.amdhsa_uses_dynamic_stack 0
		.amdhsa_enable_private_segment 0
		.amdhsa_system_sgpr_workgroup_id_x 1
		.amdhsa_system_sgpr_workgroup_id_y 0
		.amdhsa_system_sgpr_workgroup_id_z 0
		.amdhsa_system_sgpr_workgroup_info 0
		.amdhsa_system_vgpr_workitem_id 0
		.amdhsa_next_free_vgpr 19
		.amdhsa_next_free_sgpr 15
		.amdhsa_accum_offset 20
		.amdhsa_reserve_vcc 1
		.amdhsa_float_round_mode_32 0
		.amdhsa_float_round_mode_16_64 0
		.amdhsa_float_denorm_mode_32 3
		.amdhsa_float_denorm_mode_16_64 3
		.amdhsa_dx10_clamp 1
		.amdhsa_ieee_mode 1
		.amdhsa_fp16_overflow 0
		.amdhsa_tg_split 0
		.amdhsa_exception_fp_ieee_invalid_op 0
		.amdhsa_exception_fp_denorm_src 0
		.amdhsa_exception_fp_ieee_div_zero 0
		.amdhsa_exception_fp_ieee_overflow 0
		.amdhsa_exception_fp_ieee_underflow 0
		.amdhsa_exception_fp_ieee_inexact 0
		.amdhsa_exception_int_div_zero 0
	.end_amdhsa_kernel
	.section	.text._ZN2at6native29vectorized_elementwise_kernelILi2EZZZNS0_17clamp_kernel_cudaERNS_18TensorIteratorBaseERKN3c106ScalarES7_ENKUlvE_clEvENKUlvE2_clEvEUllE_St5arrayIPcLm2EEEEviT0_T1_,"axG",@progbits,_ZN2at6native29vectorized_elementwise_kernelILi2EZZZNS0_17clamp_kernel_cudaERNS_18TensorIteratorBaseERKN3c106ScalarES7_ENKUlvE_clEvENKUlvE2_clEvEUllE_St5arrayIPcLm2EEEEviT0_T1_,comdat
.Lfunc_end301:
	.size	_ZN2at6native29vectorized_elementwise_kernelILi2EZZZNS0_17clamp_kernel_cudaERNS_18TensorIteratorBaseERKN3c106ScalarES7_ENKUlvE_clEvENKUlvE2_clEvEUllE_St5arrayIPcLm2EEEEviT0_T1_, .Lfunc_end301-_ZN2at6native29vectorized_elementwise_kernelILi2EZZZNS0_17clamp_kernel_cudaERNS_18TensorIteratorBaseERKN3c106ScalarES7_ENKUlvE_clEvENKUlvE2_clEvEUllE_St5arrayIPcLm2EEEEviT0_T1_
                                        ; -- End function
	.set _ZN2at6native29vectorized_elementwise_kernelILi2EZZZNS0_17clamp_kernel_cudaERNS_18TensorIteratorBaseERKN3c106ScalarES7_ENKUlvE_clEvENKUlvE2_clEvEUllE_St5arrayIPcLm2EEEEviT0_T1_.num_vgpr, 19
	.set _ZN2at6native29vectorized_elementwise_kernelILi2EZZZNS0_17clamp_kernel_cudaERNS_18TensorIteratorBaseERKN3c106ScalarES7_ENKUlvE_clEvENKUlvE2_clEvEUllE_St5arrayIPcLm2EEEEviT0_T1_.num_agpr, 0
	.set _ZN2at6native29vectorized_elementwise_kernelILi2EZZZNS0_17clamp_kernel_cudaERNS_18TensorIteratorBaseERKN3c106ScalarES7_ENKUlvE_clEvENKUlvE2_clEvEUllE_St5arrayIPcLm2EEEEviT0_T1_.numbered_sgpr, 15
	.set _ZN2at6native29vectorized_elementwise_kernelILi2EZZZNS0_17clamp_kernel_cudaERNS_18TensorIteratorBaseERKN3c106ScalarES7_ENKUlvE_clEvENKUlvE2_clEvEUllE_St5arrayIPcLm2EEEEviT0_T1_.num_named_barrier, 0
	.set _ZN2at6native29vectorized_elementwise_kernelILi2EZZZNS0_17clamp_kernel_cudaERNS_18TensorIteratorBaseERKN3c106ScalarES7_ENKUlvE_clEvENKUlvE2_clEvEUllE_St5arrayIPcLm2EEEEviT0_T1_.private_seg_size, 0
	.set _ZN2at6native29vectorized_elementwise_kernelILi2EZZZNS0_17clamp_kernel_cudaERNS_18TensorIteratorBaseERKN3c106ScalarES7_ENKUlvE_clEvENKUlvE2_clEvEUllE_St5arrayIPcLm2EEEEviT0_T1_.uses_vcc, 1
	.set _ZN2at6native29vectorized_elementwise_kernelILi2EZZZNS0_17clamp_kernel_cudaERNS_18TensorIteratorBaseERKN3c106ScalarES7_ENKUlvE_clEvENKUlvE2_clEvEUllE_St5arrayIPcLm2EEEEviT0_T1_.uses_flat_scratch, 0
	.set _ZN2at6native29vectorized_elementwise_kernelILi2EZZZNS0_17clamp_kernel_cudaERNS_18TensorIteratorBaseERKN3c106ScalarES7_ENKUlvE_clEvENKUlvE2_clEvEUllE_St5arrayIPcLm2EEEEviT0_T1_.has_dyn_sized_stack, 0
	.set _ZN2at6native29vectorized_elementwise_kernelILi2EZZZNS0_17clamp_kernel_cudaERNS_18TensorIteratorBaseERKN3c106ScalarES7_ENKUlvE_clEvENKUlvE2_clEvEUllE_St5arrayIPcLm2EEEEviT0_T1_.has_recursion, 0
	.set _ZN2at6native29vectorized_elementwise_kernelILi2EZZZNS0_17clamp_kernel_cudaERNS_18TensorIteratorBaseERKN3c106ScalarES7_ENKUlvE_clEvENKUlvE2_clEvEUllE_St5arrayIPcLm2EEEEviT0_T1_.has_indirect_call, 0
	.section	.AMDGPU.csdata,"",@progbits
; Kernel info:
; codeLenInByte = 1132
; TotalNumSgprs: 21
; NumVgprs: 19
; NumAgprs: 0
; TotalNumVgprs: 19
; ScratchSize: 0
; MemoryBound: 0
; FloatMode: 240
; IeeeMode: 1
; LDSByteSize: 0 bytes/workgroup (compile time only)
; SGPRBlocks: 2
; VGPRBlocks: 2
; NumSGPRsForWavesPerEU: 21
; NumVGPRsForWavesPerEU: 19
; AccumOffset: 20
; Occupancy: 8
; WaveLimiterHint : 1
; COMPUTE_PGM_RSRC2:SCRATCH_EN: 0
; COMPUTE_PGM_RSRC2:USER_SGPR: 2
; COMPUTE_PGM_RSRC2:TRAP_HANDLER: 0
; COMPUTE_PGM_RSRC2:TGID_X_EN: 1
; COMPUTE_PGM_RSRC2:TGID_Y_EN: 0
; COMPUTE_PGM_RSRC2:TGID_Z_EN: 0
; COMPUTE_PGM_RSRC2:TIDIG_COMP_CNT: 0
; COMPUTE_PGM_RSRC3_GFX90A:ACCUM_OFFSET: 4
; COMPUTE_PGM_RSRC3_GFX90A:TG_SPLIT: 0
	.section	.text._ZN2at6native27unrolled_elementwise_kernelIZZZNS0_17clamp_kernel_cudaERNS_18TensorIteratorBaseERKN3c106ScalarES7_ENKUlvE_clEvENKUlvE2_clEvEUllE_St5arrayIPcLm2EELi4E23TrivialOffsetCalculatorILi1EjESF_NS0_6memory15LoadWithoutCastENSG_16StoreWithoutCastEEEviT_T0_T2_T3_T4_T5_,"axG",@progbits,_ZN2at6native27unrolled_elementwise_kernelIZZZNS0_17clamp_kernel_cudaERNS_18TensorIteratorBaseERKN3c106ScalarES7_ENKUlvE_clEvENKUlvE2_clEvEUllE_St5arrayIPcLm2EELi4E23TrivialOffsetCalculatorILi1EjESF_NS0_6memory15LoadWithoutCastENSG_16StoreWithoutCastEEEviT_T0_T2_T3_T4_T5_,comdat
	.globl	_ZN2at6native27unrolled_elementwise_kernelIZZZNS0_17clamp_kernel_cudaERNS_18TensorIteratorBaseERKN3c106ScalarES7_ENKUlvE_clEvENKUlvE2_clEvEUllE_St5arrayIPcLm2EELi4E23TrivialOffsetCalculatorILi1EjESF_NS0_6memory15LoadWithoutCastENSG_16StoreWithoutCastEEEviT_T0_T2_T3_T4_T5_ ; -- Begin function _ZN2at6native27unrolled_elementwise_kernelIZZZNS0_17clamp_kernel_cudaERNS_18TensorIteratorBaseERKN3c106ScalarES7_ENKUlvE_clEvENKUlvE2_clEvEUllE_St5arrayIPcLm2EELi4E23TrivialOffsetCalculatorILi1EjESF_NS0_6memory15LoadWithoutCastENSG_16StoreWithoutCastEEEviT_T0_T2_T3_T4_T5_
	.p2align	8
	.type	_ZN2at6native27unrolled_elementwise_kernelIZZZNS0_17clamp_kernel_cudaERNS_18TensorIteratorBaseERKN3c106ScalarES7_ENKUlvE_clEvENKUlvE2_clEvEUllE_St5arrayIPcLm2EELi4E23TrivialOffsetCalculatorILi1EjESF_NS0_6memory15LoadWithoutCastENSG_16StoreWithoutCastEEEviT_T0_T2_T3_T4_T5_,@function
_ZN2at6native27unrolled_elementwise_kernelIZZZNS0_17clamp_kernel_cudaERNS_18TensorIteratorBaseERKN3c106ScalarES7_ENKUlvE_clEvENKUlvE2_clEvEUllE_St5arrayIPcLm2EELi4E23TrivialOffsetCalculatorILi1EjESF_NS0_6memory15LoadWithoutCastENSG_16StoreWithoutCastEEEviT_T0_T2_T3_T4_T5_: ; @_ZN2at6native27unrolled_elementwise_kernelIZZZNS0_17clamp_kernel_cudaERNS_18TensorIteratorBaseERKN3c106ScalarES7_ENKUlvE_clEvENKUlvE2_clEvEUllE_St5arrayIPcLm2EELi4E23TrivialOffsetCalculatorILi1EjESF_NS0_6memory15LoadWithoutCastENSG_16StoreWithoutCastEEEviT_T0_T2_T3_T4_T5_
; %bb.0:
	s_load_dword s3, s[0:1], 0x0
	s_load_dwordx8 s[4:11], s[0:1], 0x8
	s_lshl_b32 s12, s2, 10
	v_mov_b64_e32 v[4:5], 0
	v_or_b32_e32 v2, s12, v0
	s_waitcnt lgkmcnt(0)
	s_sub_i32 s13, s3, s12
	v_cmp_gt_i32_e32 vcc, s13, v0
	v_mov_b64_e32 v[6:7], 0
	v_mov_b32_e32 v1, v0
	s_and_saveexec_b64 s[0:1], vcc
	s_cbranch_execz .LBB302_2
; %bb.1:
	v_mov_b32_e32 v3, 0
	v_lshl_add_u64 v[6:7], v[2:3], 3, s[10:11]
	global_load_dwordx2 v[6:7], v[6:7], off
	v_or_b32_e32 v1, 0x100, v0
.LBB302_2:
	s_or_b64 exec, exec, s[0:1]
	v_cmp_gt_i32_e64 s[0:1], s13, v1
	s_and_saveexec_b64 s[2:3], s[0:1]
	s_cbranch_execz .LBB302_4
; %bb.3:
	v_add_u32_e32 v4, s12, v1
	v_mov_b32_e32 v5, 0
	v_lshl_add_u64 v[4:5], v[4:5], 3, s[10:11]
	global_load_dwordx2 v[4:5], v[4:5], off
	v_add_u32_e32 v1, 0x100, v1
.LBB302_4:
	s_or_b64 exec, exec, s[2:3]
	v_cmp_gt_i32_e64 s[0:1], s13, v1
	v_mov_b64_e32 v[8:9], 0
	v_mov_b64_e32 v[10:11], 0
	s_and_saveexec_b64 s[2:3], s[0:1]
	s_cbranch_execz .LBB302_6
; %bb.5:
	v_add_u32_e32 v10, s12, v1
	v_mov_b32_e32 v11, 0
	v_lshl_add_u64 v[10:11], v[10:11], 3, s[10:11]
	global_load_dwordx2 v[10:11], v[10:11], off
	v_add_u32_e32 v1, 0x100, v1
.LBB302_6:
	s_or_b64 exec, exec, s[2:3]
	v_cmp_gt_i32_e64 s[0:1], s13, v1
	s_and_saveexec_b64 s[2:3], s[0:1]
	s_cbranch_execz .LBB302_8
; %bb.7:
	v_add_u32_e32 v8, s12, v1
	v_mov_b32_e32 v9, 0
	v_lshl_add_u64 v[8:9], v[8:9], 3, s[10:11]
	global_load_dwordx2 v[8:9], v[8:9], off
.LBB302_8:
	s_or_b64 exec, exec, s[2:3]
	v_mov_b32_e32 v3, s5
	s_waitcnt vmcnt(0)
	v_cmp_lt_i64_e64 s[0:1], s[4:5], v[6:7]
	v_mov_b32_e32 v16, s4
	v_mov_b32_e32 v17, s6
	v_cndmask_b32_e64 v7, v3, v7, s[0:1]
	v_cndmask_b32_e64 v6, v16, v6, s[0:1]
	v_cmp_gt_i64_e64 s[0:1], s[6:7], v[6:7]
	v_mov_b32_e32 v18, s7
	s_nop 0
	v_cndmask_b32_e64 v1, v17, v6, s[0:1]
	v_cndmask_b32_e64 v6, v18, v7, s[0:1]
	v_cmp_lt_i64_e64 s[0:1], s[4:5], v[4:5]
	v_cndmask_b32_e32 v14, 0, v1, vcc
	v_or_b32_e32 v1, 0x100, v0
	v_cndmask_b32_e64 v5, v3, v5, s[0:1]
	v_cndmask_b32_e64 v4, v16, v4, s[0:1]
	v_cmp_gt_i64_e64 s[0:1], s[6:7], v[4:5]
	v_cndmask_b32_e32 v15, 0, v6, vcc
	v_or_b32_e32 v6, 0x200, v0
	v_cndmask_b32_e64 v4, v17, v4, s[0:1]
	v_cndmask_b32_e64 v5, v18, v5, s[0:1]
	v_cmp_gt_i32_e64 s[0:1], s13, v1
	s_nop 1
	v_cndmask_b32_e64 v13, 0, v5, s[0:1]
	v_cndmask_b32_e64 v12, 0, v4, s[0:1]
	v_cmp_lt_i64_e64 s[0:1], s[4:5], v[10:11]
	s_nop 1
	v_cndmask_b32_e64 v5, v3, v11, s[0:1]
	v_cndmask_b32_e64 v4, v16, v10, s[0:1]
	v_cmp_gt_i64_e64 s[0:1], s[6:7], v[4:5]
	v_or_b32_e32 v10, 0x300, v0
	s_nop 0
	v_cndmask_b32_e64 v4, v17, v4, s[0:1]
	v_cndmask_b32_e64 v5, v18, v5, s[0:1]
	v_cmp_gt_i32_e64 s[0:1], s13, v6
	s_nop 1
	v_cndmask_b32_e64 v7, 0, v5, s[0:1]
	v_cndmask_b32_e64 v6, 0, v4, s[0:1]
	v_cmp_lt_i64_e64 s[0:1], s[4:5], v[8:9]
	s_nop 1
	v_cndmask_b32_e64 v5, v3, v9, s[0:1]
	v_cndmask_b32_e64 v4, v16, v8, s[0:1]
	v_cmp_gt_i64_e64 s[0:1], s[6:7], v[4:5]
	s_nop 1
	v_cndmask_b32_e64 v3, v17, v4, s[0:1]
	v_cndmask_b32_e64 v4, v18, v5, s[0:1]
	v_cmp_gt_i32_e64 s[0:1], s13, v10
	s_nop 1
	v_cndmask_b32_e64 v5, 0, v4, s[0:1]
	v_cndmask_b32_e64 v4, 0, v3, s[0:1]
	s_and_saveexec_b64 s[0:1], vcc
	s_cbranch_execnz .LBB302_13
; %bb.9:
	s_or_b64 exec, exec, s[0:1]
	v_cmp_gt_i32_e32 vcc, s13, v0
	s_and_saveexec_b64 s[0:1], vcc
	s_cbranch_execnz .LBB302_14
.LBB302_10:
	s_or_b64 exec, exec, s[0:1]
	v_cmp_gt_i32_e32 vcc, s13, v0
	s_and_saveexec_b64 s[0:1], vcc
	s_cbranch_execnz .LBB302_15
.LBB302_11:
	s_or_b64 exec, exec, s[0:1]
	v_cmp_gt_i32_e32 vcc, s13, v0
	s_and_saveexec_b64 s[0:1], vcc
	s_cbranch_execnz .LBB302_16
.LBB302_12:
	s_endpgm
.LBB302_13:
	v_mov_b32_e32 v3, 0
	v_lshl_add_u64 v[2:3], v[2:3], 3, s[8:9]
	v_mov_b32_e32 v0, v1
	global_store_dwordx2 v[2:3], v[14:15], off
	s_or_b64 exec, exec, s[0:1]
	v_cmp_gt_i32_e32 vcc, s13, v0
	s_and_saveexec_b64 s[0:1], vcc
	s_cbranch_execz .LBB302_10
.LBB302_14:
	v_add_u32_e32 v2, 0x100, v0
	v_add_u32_e32 v0, s12, v0
	v_mov_b32_e32 v1, 0
	v_lshl_add_u64 v[0:1], v[0:1], 3, s[8:9]
	global_store_dwordx2 v[0:1], v[12:13], off
	v_mov_b32_e32 v0, v2
	s_or_b64 exec, exec, s[0:1]
	v_cmp_gt_i32_e32 vcc, s13, v0
	s_and_saveexec_b64 s[0:1], vcc
	s_cbranch_execz .LBB302_11
.LBB302_15:
	v_add_u32_e32 v2, 0x100, v0
	v_add_u32_e32 v0, s12, v0
	v_mov_b32_e32 v1, 0
	v_lshl_add_u64 v[0:1], v[0:1], 3, s[8:9]
	global_store_dwordx2 v[0:1], v[6:7], off
	v_mov_b32_e32 v0, v2
	s_or_b64 exec, exec, s[0:1]
	v_cmp_gt_i32_e32 vcc, s13, v0
	s_and_saveexec_b64 s[0:1], vcc
	s_cbranch_execz .LBB302_12
.LBB302_16:
	v_add_u32_e32 v0, s12, v0
	v_mov_b32_e32 v1, 0
	v_lshl_add_u64 v[0:1], v[0:1], 3, s[8:9]
	global_store_dwordx2 v[0:1], v[4:5], off
	s_endpgm
	.section	.rodata,"a",@progbits
	.p2align	6, 0x0
	.amdhsa_kernel _ZN2at6native27unrolled_elementwise_kernelIZZZNS0_17clamp_kernel_cudaERNS_18TensorIteratorBaseERKN3c106ScalarES7_ENKUlvE_clEvENKUlvE2_clEvEUllE_St5arrayIPcLm2EELi4E23TrivialOffsetCalculatorILi1EjESF_NS0_6memory15LoadWithoutCastENSG_16StoreWithoutCastEEEviT_T0_T2_T3_T4_T5_
		.amdhsa_group_segment_fixed_size 0
		.amdhsa_private_segment_fixed_size 0
		.amdhsa_kernarg_size 44
		.amdhsa_user_sgpr_count 2
		.amdhsa_user_sgpr_dispatch_ptr 0
		.amdhsa_user_sgpr_queue_ptr 0
		.amdhsa_user_sgpr_kernarg_segment_ptr 1
		.amdhsa_user_sgpr_dispatch_id 0
		.amdhsa_user_sgpr_kernarg_preload_length 0
		.amdhsa_user_sgpr_kernarg_preload_offset 0
		.amdhsa_user_sgpr_private_segment_size 0
		.amdhsa_uses_dynamic_stack 0
		.amdhsa_enable_private_segment 0
		.amdhsa_system_sgpr_workgroup_id_x 1
		.amdhsa_system_sgpr_workgroup_id_y 0
		.amdhsa_system_sgpr_workgroup_id_z 0
		.amdhsa_system_sgpr_workgroup_info 0
		.amdhsa_system_vgpr_workitem_id 0
		.amdhsa_next_free_vgpr 19
		.amdhsa_next_free_sgpr 14
		.amdhsa_accum_offset 20
		.amdhsa_reserve_vcc 1
		.amdhsa_float_round_mode_32 0
		.amdhsa_float_round_mode_16_64 0
		.amdhsa_float_denorm_mode_32 3
		.amdhsa_float_denorm_mode_16_64 3
		.amdhsa_dx10_clamp 1
		.amdhsa_ieee_mode 1
		.amdhsa_fp16_overflow 0
		.amdhsa_tg_split 0
		.amdhsa_exception_fp_ieee_invalid_op 0
		.amdhsa_exception_fp_denorm_src 0
		.amdhsa_exception_fp_ieee_div_zero 0
		.amdhsa_exception_fp_ieee_overflow 0
		.amdhsa_exception_fp_ieee_underflow 0
		.amdhsa_exception_fp_ieee_inexact 0
		.amdhsa_exception_int_div_zero 0
	.end_amdhsa_kernel
	.section	.text._ZN2at6native27unrolled_elementwise_kernelIZZZNS0_17clamp_kernel_cudaERNS_18TensorIteratorBaseERKN3c106ScalarES7_ENKUlvE_clEvENKUlvE2_clEvEUllE_St5arrayIPcLm2EELi4E23TrivialOffsetCalculatorILi1EjESF_NS0_6memory15LoadWithoutCastENSG_16StoreWithoutCastEEEviT_T0_T2_T3_T4_T5_,"axG",@progbits,_ZN2at6native27unrolled_elementwise_kernelIZZZNS0_17clamp_kernel_cudaERNS_18TensorIteratorBaseERKN3c106ScalarES7_ENKUlvE_clEvENKUlvE2_clEvEUllE_St5arrayIPcLm2EELi4E23TrivialOffsetCalculatorILi1EjESF_NS0_6memory15LoadWithoutCastENSG_16StoreWithoutCastEEEviT_T0_T2_T3_T4_T5_,comdat
.Lfunc_end302:
	.size	_ZN2at6native27unrolled_elementwise_kernelIZZZNS0_17clamp_kernel_cudaERNS_18TensorIteratorBaseERKN3c106ScalarES7_ENKUlvE_clEvENKUlvE2_clEvEUllE_St5arrayIPcLm2EELi4E23TrivialOffsetCalculatorILi1EjESF_NS0_6memory15LoadWithoutCastENSG_16StoreWithoutCastEEEviT_T0_T2_T3_T4_T5_, .Lfunc_end302-_ZN2at6native27unrolled_elementwise_kernelIZZZNS0_17clamp_kernel_cudaERNS_18TensorIteratorBaseERKN3c106ScalarES7_ENKUlvE_clEvENKUlvE2_clEvEUllE_St5arrayIPcLm2EELi4E23TrivialOffsetCalculatorILi1EjESF_NS0_6memory15LoadWithoutCastENSG_16StoreWithoutCastEEEviT_T0_T2_T3_T4_T5_
                                        ; -- End function
	.set _ZN2at6native27unrolled_elementwise_kernelIZZZNS0_17clamp_kernel_cudaERNS_18TensorIteratorBaseERKN3c106ScalarES7_ENKUlvE_clEvENKUlvE2_clEvEUllE_St5arrayIPcLm2EELi4E23TrivialOffsetCalculatorILi1EjESF_NS0_6memory15LoadWithoutCastENSG_16StoreWithoutCastEEEviT_T0_T2_T3_T4_T5_.num_vgpr, 19
	.set _ZN2at6native27unrolled_elementwise_kernelIZZZNS0_17clamp_kernel_cudaERNS_18TensorIteratorBaseERKN3c106ScalarES7_ENKUlvE_clEvENKUlvE2_clEvEUllE_St5arrayIPcLm2EELi4E23TrivialOffsetCalculatorILi1EjESF_NS0_6memory15LoadWithoutCastENSG_16StoreWithoutCastEEEviT_T0_T2_T3_T4_T5_.num_agpr, 0
	.set _ZN2at6native27unrolled_elementwise_kernelIZZZNS0_17clamp_kernel_cudaERNS_18TensorIteratorBaseERKN3c106ScalarES7_ENKUlvE_clEvENKUlvE2_clEvEUllE_St5arrayIPcLm2EELi4E23TrivialOffsetCalculatorILi1EjESF_NS0_6memory15LoadWithoutCastENSG_16StoreWithoutCastEEEviT_T0_T2_T3_T4_T5_.numbered_sgpr, 14
	.set _ZN2at6native27unrolled_elementwise_kernelIZZZNS0_17clamp_kernel_cudaERNS_18TensorIteratorBaseERKN3c106ScalarES7_ENKUlvE_clEvENKUlvE2_clEvEUllE_St5arrayIPcLm2EELi4E23TrivialOffsetCalculatorILi1EjESF_NS0_6memory15LoadWithoutCastENSG_16StoreWithoutCastEEEviT_T0_T2_T3_T4_T5_.num_named_barrier, 0
	.set _ZN2at6native27unrolled_elementwise_kernelIZZZNS0_17clamp_kernel_cudaERNS_18TensorIteratorBaseERKN3c106ScalarES7_ENKUlvE_clEvENKUlvE2_clEvEUllE_St5arrayIPcLm2EELi4E23TrivialOffsetCalculatorILi1EjESF_NS0_6memory15LoadWithoutCastENSG_16StoreWithoutCastEEEviT_T0_T2_T3_T4_T5_.private_seg_size, 0
	.set _ZN2at6native27unrolled_elementwise_kernelIZZZNS0_17clamp_kernel_cudaERNS_18TensorIteratorBaseERKN3c106ScalarES7_ENKUlvE_clEvENKUlvE2_clEvEUllE_St5arrayIPcLm2EELi4E23TrivialOffsetCalculatorILi1EjESF_NS0_6memory15LoadWithoutCastENSG_16StoreWithoutCastEEEviT_T0_T2_T3_T4_T5_.uses_vcc, 1
	.set _ZN2at6native27unrolled_elementwise_kernelIZZZNS0_17clamp_kernel_cudaERNS_18TensorIteratorBaseERKN3c106ScalarES7_ENKUlvE_clEvENKUlvE2_clEvEUllE_St5arrayIPcLm2EELi4E23TrivialOffsetCalculatorILi1EjESF_NS0_6memory15LoadWithoutCastENSG_16StoreWithoutCastEEEviT_T0_T2_T3_T4_T5_.uses_flat_scratch, 0
	.set _ZN2at6native27unrolled_elementwise_kernelIZZZNS0_17clamp_kernel_cudaERNS_18TensorIteratorBaseERKN3c106ScalarES7_ENKUlvE_clEvENKUlvE2_clEvEUllE_St5arrayIPcLm2EELi4E23TrivialOffsetCalculatorILi1EjESF_NS0_6memory15LoadWithoutCastENSG_16StoreWithoutCastEEEviT_T0_T2_T3_T4_T5_.has_dyn_sized_stack, 0
	.set _ZN2at6native27unrolled_elementwise_kernelIZZZNS0_17clamp_kernel_cudaERNS_18TensorIteratorBaseERKN3c106ScalarES7_ENKUlvE_clEvENKUlvE2_clEvEUllE_St5arrayIPcLm2EELi4E23TrivialOffsetCalculatorILi1EjESF_NS0_6memory15LoadWithoutCastENSG_16StoreWithoutCastEEEviT_T0_T2_T3_T4_T5_.has_recursion, 0
	.set _ZN2at6native27unrolled_elementwise_kernelIZZZNS0_17clamp_kernel_cudaERNS_18TensorIteratorBaseERKN3c106ScalarES7_ENKUlvE_clEvENKUlvE2_clEvEUllE_St5arrayIPcLm2EELi4E23TrivialOffsetCalculatorILi1EjESF_NS0_6memory15LoadWithoutCastENSG_16StoreWithoutCastEEEviT_T0_T2_T3_T4_T5_.has_indirect_call, 0
	.section	.AMDGPU.csdata,"",@progbits
; Kernel info:
; codeLenInByte = 824
; TotalNumSgprs: 20
; NumVgprs: 19
; NumAgprs: 0
; TotalNumVgprs: 19
; ScratchSize: 0
; MemoryBound: 0
; FloatMode: 240
; IeeeMode: 1
; LDSByteSize: 0 bytes/workgroup (compile time only)
; SGPRBlocks: 2
; VGPRBlocks: 2
; NumSGPRsForWavesPerEU: 20
; NumVGPRsForWavesPerEU: 19
; AccumOffset: 20
; Occupancy: 8
; WaveLimiterHint : 0
; COMPUTE_PGM_RSRC2:SCRATCH_EN: 0
; COMPUTE_PGM_RSRC2:USER_SGPR: 2
; COMPUTE_PGM_RSRC2:TRAP_HANDLER: 0
; COMPUTE_PGM_RSRC2:TGID_X_EN: 1
; COMPUTE_PGM_RSRC2:TGID_Y_EN: 0
; COMPUTE_PGM_RSRC2:TGID_Z_EN: 0
; COMPUTE_PGM_RSRC2:TIDIG_COMP_CNT: 0
; COMPUTE_PGM_RSRC3_GFX90A:ACCUM_OFFSET: 4
; COMPUTE_PGM_RSRC3_GFX90A:TG_SPLIT: 0
	.section	.text._ZN2at6native32elementwise_kernel_manual_unrollILi128ELi4EZNS0_22gpu_kernel_impl_nocastIZZZNS0_17clamp_kernel_cudaERNS_18TensorIteratorBaseERKN3c106ScalarES8_ENKUlvE_clEvENKUlvE2_clEvEUllE_EEvS4_RKT_EUlibE_EEviT1_,"axG",@progbits,_ZN2at6native32elementwise_kernel_manual_unrollILi128ELi4EZNS0_22gpu_kernel_impl_nocastIZZZNS0_17clamp_kernel_cudaERNS_18TensorIteratorBaseERKN3c106ScalarES8_ENKUlvE_clEvENKUlvE2_clEvEUllE_EEvS4_RKT_EUlibE_EEviT1_,comdat
	.globl	_ZN2at6native32elementwise_kernel_manual_unrollILi128ELi4EZNS0_22gpu_kernel_impl_nocastIZZZNS0_17clamp_kernel_cudaERNS_18TensorIteratorBaseERKN3c106ScalarES8_ENKUlvE_clEvENKUlvE2_clEvEUllE_EEvS4_RKT_EUlibE_EEviT1_ ; -- Begin function _ZN2at6native32elementwise_kernel_manual_unrollILi128ELi4EZNS0_22gpu_kernel_impl_nocastIZZZNS0_17clamp_kernel_cudaERNS_18TensorIteratorBaseERKN3c106ScalarES8_ENKUlvE_clEvENKUlvE2_clEvEUllE_EEvS4_RKT_EUlibE_EEviT1_
	.p2align	8
	.type	_ZN2at6native32elementwise_kernel_manual_unrollILi128ELi4EZNS0_22gpu_kernel_impl_nocastIZZZNS0_17clamp_kernel_cudaERNS_18TensorIteratorBaseERKN3c106ScalarES8_ENKUlvE_clEvENKUlvE2_clEvEUllE_EEvS4_RKT_EUlibE_EEviT1_,@function
_ZN2at6native32elementwise_kernel_manual_unrollILi128ELi4EZNS0_22gpu_kernel_impl_nocastIZZZNS0_17clamp_kernel_cudaERNS_18TensorIteratorBaseERKN3c106ScalarES8_ENKUlvE_clEvENKUlvE2_clEvEUllE_EEvS4_RKT_EUlibE_EEviT1_: ; @_ZN2at6native32elementwise_kernel_manual_unrollILi128ELi4EZNS0_22gpu_kernel_impl_nocastIZZZNS0_17clamp_kernel_cudaERNS_18TensorIteratorBaseERKN3c106ScalarES8_ENKUlvE_clEvENKUlvE2_clEvEUllE_EEvS4_RKT_EUlibE_EEviT1_
; %bb.0:
	s_load_dword s59, s[0:1], 0x0
	s_load_dword s33, s[0:1], 0x8
	s_add_u32 s34, s0, 8
	s_addc_u32 s35, s1, 0
	v_lshl_or_b32 v8, s2, 9, v0
	v_or_b32_e32 v16, 0x180, v8
	s_waitcnt lgkmcnt(0)
	s_add_i32 s58, s33, -1
	s_cmp_gt_u32 s58, 1
	v_cmp_le_i32_e32 vcc, s59, v16
	s_cselect_b64 s[40:41], -1, 0
	s_and_saveexec_b64 s[0:1], vcc
	s_xor_b64 s[42:43], exec, s[0:1]
	s_cbranch_execz .LBB303_8
; %bb.1:
	s_load_dwordx4 s[28:31], s[34:35], 0x4
	s_load_dwordx2 s[44:45], s[34:35], 0x14
	s_load_dwordx4 s[24:27], s[34:35], 0xc4
	s_load_dwordx8 s[0:7], s[34:35], 0x148
	s_cmp_lg_u32 s33, 0
	s_cselect_b64 s[50:51], -1, 0
	s_add_u32 s48, s34, 0xc4
	s_addc_u32 s49, s35, 0
	s_min_u32 s60, s58, 15
	s_cmp_gt_u32 s33, 1
	s_cselect_b64 s[46:47], -1, 0
	v_cmp_gt_i32_e32 vcc, s59, v8
	s_and_saveexec_b64 s[52:53], vcc
	s_cbranch_execz .LBB303_15
; %bb.2:
	s_andn2_b64 vcc, exec, s[40:41]
	s_cbranch_vccnz .LBB303_23
; %bb.3:
	s_andn2_b64 vcc, exec, s[50:51]
	s_cbranch_vccnz .LBB303_75
; %bb.4:
	s_add_i32 s62, s60, 1
	s_cmp_eq_u32 s58, 2
	s_cbranch_scc1 .LBB303_77
; %bb.5:
	s_and_b32 s61, s62, 28
	s_mov_b32 s63, 0
	v_mov_b32_e32 v0, 0
	v_mov_b32_e32 v2, 0
	s_mov_b64 s[54:55], s[34:35]
	s_mov_b64 s[56:57], s[48:49]
	v_mov_b32_e32 v4, v8
.LBB303_6:                              ; =>This Inner Loop Header: Depth=1
	s_load_dwordx8 s[16:23], s[54:55], 0x4
	s_load_dwordx4 s[36:39], s[54:55], 0x24
	s_load_dwordx8 s[8:15], s[56:57], 0x0
	s_add_u32 s54, s54, 48
	s_addc_u32 s55, s55, 0
	s_waitcnt lgkmcnt(0)
	v_mul_hi_u32 v1, s17, v4
	v_add_u32_e32 v1, v4, v1
	v_lshrrev_b32_e32 v1, s18, v1
	v_mul_lo_u32 v3, v1, s16
	v_mul_hi_u32 v5, s20, v1
	v_sub_u32_e32 v3, v4, v3
	v_add_u32_e32 v4, v1, v5
	v_lshrrev_b32_e32 v4, s21, v4
	v_mul_lo_u32 v6, v4, s19
	v_mul_hi_u32 v7, s23, v4
	v_sub_u32_e32 v1, v1, v6
	v_add_u32_e32 v6, v4, v7
	v_mul_lo_u32 v5, v3, s9
	v_mul_lo_u32 v3, v3, s8
	v_mul_lo_u32 v7, v1, s11
	v_mul_lo_u32 v1, v1, s10
	v_lshrrev_b32_e32 v6, s36, v6
	v_add3_u32 v0, v3, v0, v1
	v_mul_hi_u32 v3, s38, v6
	v_add3_u32 v1, v5, v2, v7
	v_mul_lo_u32 v2, v6, s22
	v_add_u32_e32 v3, v6, v3
	v_sub_u32_e32 v2, v4, v2
	v_lshrrev_b32_e32 v4, s39, v3
	s_add_i32 s63, s63, 4
	v_mul_lo_u32 v3, v4, s37
	s_add_u32 s56, s56, 32
	v_sub_u32_e32 v3, v6, v3
	s_addc_u32 s57, s57, 0
	v_mul_lo_u32 v5, v2, s12
	v_mul_lo_u32 v2, v2, s13
	;; [unrolled: 1-line block ×4, first 2 shown]
	s_cmp_lg_u32 s61, s63
	v_add3_u32 v2, v2, v1, v3
	v_add3_u32 v0, v5, v0, v6
	s_cbranch_scc1 .LBB303_6
; %bb.7:
	v_mov_b32_e32 v1, v2
	s_branch .LBB303_78
.LBB303_8:
	s_andn2_saveexec_b64 s[0:1], s[42:43]
	s_cbranch_execz .LBB303_104
.LBB303_9:
	v_cndmask_b32_e64 v0, 0, 1, s[40:41]
	v_cmp_ne_u32_e64 s[0:1], 1, v0
	s_andn2_b64 vcc, exec, s[40:41]
	s_cbranch_vccnz .LBB303_22
; %bb.10:
	s_cmp_lg_u32 s33, 0
	s_mov_b32 s26, 0
	s_cbranch_scc0 .LBB303_25
; %bb.11:
	s_min_u32 s27, s58, 15
	s_add_i32 s27, s27, 1
	s_cmp_eq_u32 s58, 2
	s_cbranch_scc1 .LBB303_26
; %bb.12:
	s_and_b32 s26, s27, 28
	s_add_u32 s2, s34, 0xc4
	s_addc_u32 s3, s35, 0
	s_mov_b32 s28, 0
	v_mov_b32_e32 v0, 0
	v_mov_b32_e32 v2, 0
	s_mov_b64 s[24:25], s[34:35]
	v_mov_b32_e32 v4, v8
.LBB303_13:                             ; =>This Inner Loop Header: Depth=1
	s_load_dwordx8 s[12:19], s[24:25], 0x4
	s_load_dwordx4 s[20:23], s[24:25], 0x24
	s_load_dwordx8 s[4:11], s[2:3], 0x0
	s_add_u32 s24, s24, 48
	s_addc_u32 s25, s25, 0
	s_waitcnt lgkmcnt(0)
	v_mul_hi_u32 v1, s13, v4
	v_add_u32_e32 v1, v4, v1
	v_lshrrev_b32_e32 v1, s14, v1
	v_mul_lo_u32 v3, v1, s12
	v_mul_hi_u32 v5, s16, v1
	v_sub_u32_e32 v3, v4, v3
	v_add_u32_e32 v4, v1, v5
	v_lshrrev_b32_e32 v4, s17, v4
	v_mul_lo_u32 v6, v4, s15
	v_mul_hi_u32 v7, s19, v4
	v_sub_u32_e32 v1, v1, v6
	v_add_u32_e32 v6, v4, v7
	v_mul_lo_u32 v5, v3, s5
	v_mul_lo_u32 v3, v3, s4
	;; [unrolled: 1-line block ×4, first 2 shown]
	v_lshrrev_b32_e32 v6, s20, v6
	v_add3_u32 v0, v3, v0, v1
	v_mul_hi_u32 v3, s22, v6
	v_add3_u32 v1, v5, v2, v7
	v_mul_lo_u32 v2, v6, s18
	v_add_u32_e32 v3, v6, v3
	v_sub_u32_e32 v2, v4, v2
	v_lshrrev_b32_e32 v4, s23, v3
	s_add_i32 s28, s28, 4
	v_mul_lo_u32 v3, v4, s21
	s_add_u32 s2, s2, 32
	v_sub_u32_e32 v3, v6, v3
	s_addc_u32 s3, s3, 0
	v_mul_lo_u32 v5, v2, s8
	v_mul_lo_u32 v2, v2, s9
	;; [unrolled: 1-line block ×4, first 2 shown]
	s_cmp_lg_u32 s26, s28
	v_add3_u32 v2, v2, v1, v3
	v_add3_u32 v0, v5, v0, v6
	s_cbranch_scc1 .LBB303_13
; %bb.14:
	v_mov_b32_e32 v1, v2
	s_and_b32 s6, s27, 3
	s_cmp_eq_u32 s6, 0
	s_cbranch_scc0 .LBB303_27
	s_branch .LBB303_29
.LBB303_15:
	s_or_b64 exec, exec, s[52:53]
	v_cmp_gt_i32_e32 vcc, s59, v8
	s_and_saveexec_b64 s[52:53], vcc
	s_cbranch_execz .LBB303_85
.LBB303_16:
	s_andn2_b64 vcc, exec, s[40:41]
	s_cbranch_vccnz .LBB303_24
; %bb.17:
	s_andn2_b64 vcc, exec, s[50:51]
	s_cbranch_vccnz .LBB303_76
; %bb.18:
	s_add_i32 s62, s60, 1
	s_cmp_eq_u32 s58, 2
	s_cbranch_scc1 .LBB303_94
; %bb.19:
	s_and_b32 s61, s62, 28
	s_mov_b32 s63, 0
	v_mov_b32_e32 v0, 0
	v_mov_b32_e32 v2, 0
	s_mov_b64 s[54:55], s[34:35]
	s_mov_b64 s[56:57], s[48:49]
	v_mov_b32_e32 v4, v8
.LBB303_20:                             ; =>This Inner Loop Header: Depth=1
	s_load_dwordx8 s[16:23], s[54:55], 0x4
	s_load_dwordx4 s[36:39], s[54:55], 0x24
	s_load_dwordx8 s[8:15], s[56:57], 0x0
	s_add_u32 s54, s54, 48
	s_addc_u32 s55, s55, 0
	s_waitcnt lgkmcnt(0)
	v_mul_hi_u32 v1, s17, v4
	v_add_u32_e32 v1, v4, v1
	v_lshrrev_b32_e32 v1, s18, v1
	v_mul_lo_u32 v3, v1, s16
	v_mul_hi_u32 v5, s20, v1
	v_sub_u32_e32 v3, v4, v3
	v_add_u32_e32 v4, v1, v5
	v_lshrrev_b32_e32 v4, s21, v4
	v_mul_lo_u32 v6, v4, s19
	v_mul_hi_u32 v7, s23, v4
	v_sub_u32_e32 v1, v1, v6
	v_add_u32_e32 v6, v4, v7
	v_mul_lo_u32 v5, v3, s9
	v_mul_lo_u32 v3, v3, s8
	;; [unrolled: 1-line block ×4, first 2 shown]
	v_lshrrev_b32_e32 v6, s36, v6
	v_add3_u32 v0, v3, v0, v1
	v_mul_hi_u32 v3, s38, v6
	v_add3_u32 v1, v5, v2, v7
	v_mul_lo_u32 v2, v6, s22
	v_add_u32_e32 v3, v6, v3
	v_sub_u32_e32 v2, v4, v2
	v_lshrrev_b32_e32 v4, s39, v3
	s_add_i32 s63, s63, 4
	v_mul_lo_u32 v3, v4, s37
	s_add_u32 s56, s56, 32
	v_sub_u32_e32 v3, v6, v3
	s_addc_u32 s57, s57, 0
	v_mul_lo_u32 v5, v2, s12
	v_mul_lo_u32 v2, v2, s13
	;; [unrolled: 1-line block ×4, first 2 shown]
	s_cmp_eq_u32 s61, s63
	v_add3_u32 v2, v2, v1, v3
	v_add3_u32 v0, v5, v0, v6
	s_cbranch_scc0 .LBB303_20
; %bb.21:
	v_mov_b32_e32 v1, v2
	s_branch .LBB303_95
.LBB303_22:
                                        ; implicit-def: $vgpr2
                                        ; implicit-def: $vgpr0
	s_branch .LBB303_30
.LBB303_23:
                                        ; implicit-def: $vgpr2
                                        ; implicit-def: $vgpr0
	s_branch .LBB303_82
.LBB303_24:
                                        ; implicit-def: $vgpr2
                                        ; implicit-def: $vgpr0
	s_branch .LBB303_99
.LBB303_25:
	v_mov_b32_e32 v2, 0
	v_mov_b32_e32 v0, 0
	s_branch .LBB303_29
.LBB303_26:
	v_mov_b32_e32 v0, 0
                                        ; implicit-def: $vgpr2
	v_mov_b32_e32 v1, v0
	v_mov_b32_e32 v4, v8
	s_and_b32 s6, s27, 3
	s_cmp_eq_u32 s6, 0
	s_cbranch_scc1 .LBB303_29
.LBB303_27:
	s_lshl_b32 s2, s26, 3
	s_add_u32 s2, s34, s2
	s_addc_u32 s3, s35, 0
	s_add_u32 s2, s2, 0xc4
	s_addc_u32 s3, s3, 0
	s_mul_i32 s4, s26, 12
	s_add_u32 s4, s34, s4
	s_addc_u32 s5, s35, 0
.LBB303_28:                             ; =>This Inner Loop Header: Depth=1
	s_load_dwordx2 s[8:9], s[4:5], 0x4
	s_load_dword s7, s[4:5], 0xc
	s_load_dwordx2 s[10:11], s[2:3], 0x0
	v_mov_b32_e32 v2, v1
	s_add_u32 s4, s4, 12
	s_waitcnt lgkmcnt(0)
	v_mul_hi_u32 v1, s9, v4
	v_add_u32_e32 v1, v4, v1
	v_lshrrev_b32_e32 v1, s7, v1
	s_addc_u32 s5, s5, 0
	v_mul_lo_u32 v3, v1, s8
	s_add_u32 s2, s2, 8
	v_sub_u32_e32 v5, v4, v3
	s_addc_u32 s3, s3, 0
	s_add_i32 s6, s6, -1
	v_mov_b32_e32 v4, v1
	v_mad_u64_u32 v[2:3], s[8:9], v5, s11, v[2:3]
	v_mad_u64_u32 v[0:1], s[8:9], v5, s10, v[0:1]
	s_cmp_lg_u32 s6, 0
	v_mov_b32_e32 v1, v2
	s_cbranch_scc1 .LBB303_28
.LBB303_29:
	s_cbranch_execnz .LBB303_32
.LBB303_30:
	s_load_dwordx4 s[4:7], s[34:35], 0x4
	s_load_dwordx2 s[2:3], s[34:35], 0xc4
	s_cmp_lt_u32 s33, 2
	s_waitcnt lgkmcnt(0)
	v_mul_hi_u32 v0, s5, v8
	v_add_u32_e32 v0, v8, v0
	v_lshrrev_b32_e32 v1, s6, v0
	v_mul_lo_u32 v0, v1, s4
	v_sub_u32_e32 v0, v8, v0
	v_mul_lo_u32 v2, v0, s3
	v_mul_lo_u32 v0, v0, s2
	s_cbranch_scc1 .LBB303_32
; %bb.31:
	s_load_dwordx4 s[4:7], s[34:35], 0x10
	s_load_dwordx2 s[2:3], s[34:35], 0xcc
	s_waitcnt lgkmcnt(0)
	v_mul_hi_u32 v3, s5, v1
	v_add_u32_e32 v3, v1, v3
	v_lshrrev_b32_e32 v3, s6, v3
	v_mul_lo_u32 v3, v3, s4
	v_sub_u32_e32 v3, v1, v3
	v_mad_u64_u32 v[0:1], s[4:5], v3, s2, v[0:1]
	v_mad_u64_u32 v[2:3], s[2:3], v3, s3, v[2:3]
.LBB303_32:
	s_and_b64 vcc, exec, s[0:1]
	v_add_u32_e32 v3, 0x80, v8
	s_cbranch_vccnz .LBB303_38
; %bb.33:
	s_cmp_lg_u32 s33, 0
	s_mov_b32 s26, 0
	s_cbranch_scc0 .LBB303_39
; %bb.34:
	s_min_u32 s27, s58, 15
	s_add_i32 s27, s27, 1
	s_cmp_eq_u32 s58, 2
	s_cbranch_scc1 .LBB303_40
; %bb.35:
	s_and_b32 s26, s27, 28
	s_add_u32 s2, s34, 0xc4
	s_addc_u32 s3, s35, 0
	s_mov_b32 s28, 0
	v_mov_b32_e32 v4, 0
	v_mov_b32_e32 v6, 0
	s_mov_b64 s[24:25], s[34:35]
	v_mov_b32_e32 v9, v3
.LBB303_36:                             ; =>This Inner Loop Header: Depth=1
	s_load_dwordx8 s[12:19], s[24:25], 0x4
	s_load_dwordx4 s[20:23], s[24:25], 0x24
	s_load_dwordx8 s[4:11], s[2:3], 0x0
	s_add_u32 s24, s24, 48
	s_addc_u32 s25, s25, 0
	s_waitcnt lgkmcnt(0)
	v_mul_hi_u32 v1, s13, v9
	v_add_u32_e32 v1, v9, v1
	v_lshrrev_b32_e32 v1, s14, v1
	v_mul_hi_u32 v7, s16, v1
	v_add_u32_e32 v7, v1, v7
	v_lshrrev_b32_e32 v7, s17, v7
	v_mul_lo_u32 v5, v1, s12
	v_mul_lo_u32 v10, v7, s15
	v_mul_hi_u32 v11, s19, v7
	v_sub_u32_e32 v5, v9, v5
	v_sub_u32_e32 v1, v1, v10
	v_add_u32_e32 v10, v7, v11
	v_mul_lo_u32 v9, v5, s5
	v_mul_lo_u32 v5, v5, s4
	v_mul_lo_u32 v11, v1, s7
	v_mul_lo_u32 v1, v1, s6
	v_lshrrev_b32_e32 v10, s20, v10
	v_add3_u32 v1, v5, v4, v1
	v_add3_u32 v4, v9, v6, v11
	v_mul_hi_u32 v6, s22, v10
	v_add_u32_e32 v6, v10, v6
	v_lshrrev_b32_e32 v9, s23, v6
	s_add_i32 s28, s28, 4
	v_mul_lo_u32 v5, v10, s18
	v_mul_lo_u32 v6, v9, s21
	s_add_u32 s2, s2, 32
	v_sub_u32_e32 v5, v7, v5
	v_sub_u32_e32 v6, v10, v6
	s_addc_u32 s3, s3, 0
	v_mul_lo_u32 v7, v5, s8
	v_mul_lo_u32 v5, v5, s9
	;; [unrolled: 1-line block ×4, first 2 shown]
	s_cmp_lg_u32 s26, s28
	v_add3_u32 v6, v5, v4, v6
	v_add3_u32 v4, v7, v1, v10
	s_cbranch_scc1 .LBB303_36
; %bb.37:
	v_mov_b32_e32 v1, v6
	s_and_b32 s6, s27, 3
	s_cmp_eq_u32 s6, 0
	s_cbranch_scc0 .LBB303_41
	s_branch .LBB303_43
.LBB303_38:
                                        ; implicit-def: $vgpr6
                                        ; implicit-def: $vgpr4
	s_branch .LBB303_44
.LBB303_39:
	v_mov_b32_e32 v6, 0
	v_mov_b32_e32 v4, 0
	s_branch .LBB303_43
.LBB303_40:
	v_mov_b32_e32 v4, 0
                                        ; implicit-def: $vgpr6
	v_mov_b32_e32 v1, v4
	v_mov_b32_e32 v9, v3
	s_and_b32 s6, s27, 3
	s_cmp_eq_u32 s6, 0
	s_cbranch_scc1 .LBB303_43
.LBB303_41:
	s_lshl_b32 s2, s26, 3
	s_add_u32 s2, s34, s2
	s_addc_u32 s3, s35, 0
	s_add_u32 s2, s2, 0xc4
	s_addc_u32 s3, s3, 0
	s_mul_i32 s4, s26, 12
	s_add_u32 s4, s34, s4
	s_addc_u32 s5, s35, 0
.LBB303_42:                             ; =>This Inner Loop Header: Depth=1
	s_load_dwordx2 s[8:9], s[4:5], 0x4
	s_load_dword s7, s[4:5], 0xc
	s_load_dwordx2 s[10:11], s[2:3], 0x0
	v_mov_b32_e32 v6, v1
	s_add_u32 s4, s4, 12
	s_waitcnt lgkmcnt(0)
	v_mul_hi_u32 v1, s9, v9
	v_add_u32_e32 v1, v9, v1
	v_lshrrev_b32_e32 v1, s7, v1
	s_addc_u32 s5, s5, 0
	v_mul_lo_u32 v5, v1, s8
	s_add_u32 s2, s2, 8
	v_sub_u32_e32 v5, v9, v5
	s_addc_u32 s3, s3, 0
	s_add_i32 s6, s6, -1
	v_mad_u64_u32 v[6:7], s[8:9], v5, s11, v[6:7]
	s_cmp_lg_u32 s6, 0
	v_mov_b32_e32 v9, v1
	v_mad_u64_u32 v[4:5], s[8:9], v5, s10, v[4:5]
	v_mov_b32_e32 v1, v6
	s_cbranch_scc1 .LBB303_42
.LBB303_43:
	s_cbranch_execnz .LBB303_46
.LBB303_44:
	s_load_dwordx4 s[4:7], s[34:35], 0x4
	s_load_dwordx2 s[2:3], s[34:35], 0xc4
	s_cmp_lt_u32 s33, 2
	s_waitcnt lgkmcnt(0)
	v_mul_hi_u32 v1, s5, v3
	v_add_u32_e32 v1, v3, v1
	v_lshrrev_b32_e32 v1, s6, v1
	v_mul_lo_u32 v4, v1, s4
	v_sub_u32_e32 v3, v3, v4
	v_mul_lo_u32 v6, v3, s3
	v_mul_lo_u32 v4, v3, s2
	s_cbranch_scc1 .LBB303_46
; %bb.45:
	s_load_dwordx4 s[4:7], s[34:35], 0x10
	s_load_dwordx2 s[2:3], s[34:35], 0xcc
	s_waitcnt lgkmcnt(0)
	v_mul_hi_u32 v3, s5, v1
	v_add_u32_e32 v3, v1, v3
	v_lshrrev_b32_e32 v3, s6, v3
	v_mul_lo_u32 v3, v3, s4
	v_sub_u32_e32 v1, v1, v3
	v_mad_u64_u32 v[4:5], s[4:5], v1, s2, v[4:5]
	v_mad_u64_u32 v[6:7], s[2:3], v1, s3, v[6:7]
.LBB303_46:
	s_and_b64 vcc, exec, s[0:1]
	v_add_u32_e32 v3, 0x100, v8
	s_cbranch_vccnz .LBB303_52
; %bb.47:
	s_cmp_lg_u32 s33, 0
	s_mov_b32 s26, 0
	s_cbranch_scc0 .LBB303_53
; %bb.48:
	s_min_u32 s27, s58, 15
	s_add_i32 s27, s27, 1
	s_cmp_eq_u32 s58, 2
	s_cbranch_scc1 .LBB303_54
; %bb.49:
	s_and_b32 s26, s27, 28
	s_add_u32 s2, s34, 0xc4
	s_addc_u32 s3, s35, 0
	s_mov_b32 s28, 0
	v_mov_b32_e32 v8, 0
	v_mov_b32_e32 v10, 0
	s_mov_b64 s[24:25], s[34:35]
	v_mov_b32_e32 v5, v3
.LBB303_50:                             ; =>This Inner Loop Header: Depth=1
	s_load_dwordx8 s[12:19], s[24:25], 0x4
	s_load_dwordx4 s[20:23], s[24:25], 0x24
	s_load_dwordx8 s[4:11], s[2:3], 0x0
	s_add_u32 s24, s24, 48
	s_addc_u32 s25, s25, 0
	s_waitcnt lgkmcnt(0)
	v_mul_hi_u32 v1, s13, v5
	v_add_u32_e32 v1, v5, v1
	v_lshrrev_b32_e32 v1, s14, v1
	v_mul_lo_u32 v7, v1, s12
	v_mul_hi_u32 v9, s16, v1
	v_sub_u32_e32 v5, v5, v7
	v_add_u32_e32 v7, v1, v9
	v_lshrrev_b32_e32 v7, s17, v7
	v_mul_lo_u32 v11, v7, s15
	v_mul_hi_u32 v12, s19, v7
	v_sub_u32_e32 v1, v1, v11
	v_add_u32_e32 v11, v7, v12
	v_mul_lo_u32 v9, v5, s5
	v_mul_lo_u32 v5, v5, s4
	v_mul_lo_u32 v12, v1, s7
	v_mul_lo_u32 v1, v1, s6
	v_lshrrev_b32_e32 v11, s20, v11
	v_add3_u32 v1, v5, v8, v1
	v_add3_u32 v8, v9, v10, v12
	v_mul_lo_u32 v5, v11, s18
	v_mul_hi_u32 v9, s22, v11
	v_sub_u32_e32 v5, v7, v5
	v_add_u32_e32 v7, v11, v9
	v_mul_lo_u32 v9, v5, s8
	v_mul_lo_u32 v10, v5, s9
	v_lshrrev_b32_e32 v5, s23, v7
	s_add_i32 s28, s28, 4
	v_mul_lo_u32 v7, v5, s21
	s_add_u32 s2, s2, 32
	v_sub_u32_e32 v7, v11, v7
	s_addc_u32 s3, s3, 0
	v_mul_lo_u32 v11, v7, s10
	v_mul_lo_u32 v7, v7, s11
	s_cmp_lg_u32 s26, s28
	v_add3_u32 v10, v10, v8, v7
	v_add3_u32 v8, v9, v1, v11
	s_cbranch_scc1 .LBB303_50
; %bb.51:
	v_mov_b32_e32 v1, v10
	s_and_b32 s6, s27, 3
	s_cmp_eq_u32 s6, 0
	s_cbranch_scc0 .LBB303_55
	s_branch .LBB303_57
.LBB303_52:
                                        ; implicit-def: $vgpr10
                                        ; implicit-def: $vgpr8
	s_branch .LBB303_58
.LBB303_53:
	v_mov_b32_e32 v10, 0
	v_mov_b32_e32 v8, 0
	s_branch .LBB303_57
.LBB303_54:
	v_mov_b32_e32 v8, 0
                                        ; implicit-def: $vgpr10
	v_mov_b32_e32 v1, v8
	v_mov_b32_e32 v5, v3
	s_and_b32 s6, s27, 3
	s_cmp_eq_u32 s6, 0
	s_cbranch_scc1 .LBB303_57
.LBB303_55:
	s_lshl_b32 s2, s26, 3
	s_add_u32 s2, s34, s2
	s_addc_u32 s3, s35, 0
	s_add_u32 s2, s2, 0xc4
	s_addc_u32 s3, s3, 0
	s_mul_i32 s4, s26, 12
	s_add_u32 s4, s34, s4
	s_addc_u32 s5, s35, 0
.LBB303_56:                             ; =>This Inner Loop Header: Depth=1
	s_load_dwordx2 s[8:9], s[4:5], 0x4
	s_load_dword s7, s[4:5], 0xc
	s_load_dwordx2 s[10:11], s[2:3], 0x0
	v_mov_b32_e32 v10, v1
	s_add_u32 s4, s4, 12
	s_waitcnt lgkmcnt(0)
	v_mul_hi_u32 v1, s9, v5
	v_add_u32_e32 v1, v5, v1
	v_lshrrev_b32_e32 v1, s7, v1
	s_addc_u32 s5, s5, 0
	v_mul_lo_u32 v7, v1, s8
	s_add_u32 s2, s2, 8
	v_sub_u32_e32 v7, v5, v7
	s_addc_u32 s3, s3, 0
	s_add_i32 s6, s6, -1
	v_mad_u64_u32 v[10:11], s[8:9], v7, s11, v[10:11]
	s_cmp_lg_u32 s6, 0
	v_mov_b32_e32 v5, v1
	v_mad_u64_u32 v[8:9], s[8:9], v7, s10, v[8:9]
	v_mov_b32_e32 v1, v10
	s_cbranch_scc1 .LBB303_56
.LBB303_57:
	s_cbranch_execnz .LBB303_60
.LBB303_58:
	s_load_dwordx4 s[4:7], s[34:35], 0x4
	s_load_dwordx2 s[2:3], s[34:35], 0xc4
	s_cmp_lt_u32 s33, 2
	s_waitcnt lgkmcnt(0)
	v_mul_hi_u32 v1, s5, v3
	v_add_u32_e32 v1, v3, v1
	v_lshrrev_b32_e32 v1, s6, v1
	v_mul_lo_u32 v5, v1, s4
	v_sub_u32_e32 v3, v3, v5
	v_mul_lo_u32 v10, v3, s3
	v_mul_lo_u32 v8, v3, s2
	s_cbranch_scc1 .LBB303_60
; %bb.59:
	s_load_dwordx4 s[4:7], s[34:35], 0x10
	s_load_dwordx2 s[2:3], s[34:35], 0xcc
	s_waitcnt lgkmcnt(0)
	v_mul_hi_u32 v3, s5, v1
	v_add_u32_e32 v3, v1, v3
	v_lshrrev_b32_e32 v3, s6, v3
	v_mul_lo_u32 v3, v3, s4
	v_sub_u32_e32 v1, v1, v3
	v_mad_u64_u32 v[8:9], s[4:5], v1, s2, v[8:9]
	v_mad_u64_u32 v[10:11], s[2:3], v1, s3, v[10:11]
.LBB303_60:
	s_and_b64 vcc, exec, s[0:1]
	s_cbranch_vccnz .LBB303_66
; %bb.61:
	s_cmp_lg_u32 s33, 0
	s_mov_b32 s24, 0
	s_cbranch_scc0 .LBB303_67
; %bb.62:
	s_min_u32 s25, s58, 15
	s_add_i32 s25, s25, 1
	s_cmp_eq_u32 s58, 2
	s_cbranch_scc1 .LBB303_68
; %bb.63:
	s_and_b32 s24, s25, 28
	s_add_u32 s20, s34, 0xc4
	s_addc_u32 s21, s35, 0
	s_mov_b32 s26, 0
	v_mov_b32_e32 v12, 0
	v_mov_b32_e32 v14, 0
	s_mov_b64 s[22:23], s[34:35]
	v_mov_b32_e32 v3, v16
.LBB303_64:                             ; =>This Inner Loop Header: Depth=1
	s_load_dwordx8 s[8:15], s[22:23], 0x4
	s_load_dwordx4 s[16:19], s[22:23], 0x24
	s_load_dwordx8 s[0:7], s[20:21], 0x0
	s_add_u32 s22, s22, 48
	s_addc_u32 s23, s23, 0
	s_waitcnt lgkmcnt(0)
	v_mul_hi_u32 v1, s9, v3
	v_add_u32_e32 v1, v3, v1
	v_lshrrev_b32_e32 v1, s10, v1
	v_mul_lo_u32 v5, v1, s8
	v_mul_hi_u32 v7, s12, v1
	v_sub_u32_e32 v3, v3, v5
	v_add_u32_e32 v5, v1, v7
	v_lshrrev_b32_e32 v5, s13, v5
	v_mul_lo_u32 v9, v5, s11
	v_mul_hi_u32 v11, s15, v5
	v_sub_u32_e32 v1, v1, v9
	v_add_u32_e32 v9, v5, v11
	v_mul_lo_u32 v7, v3, s1
	v_mul_lo_u32 v3, v3, s0
	;; [unrolled: 1-line block ×4, first 2 shown]
	v_lshrrev_b32_e32 v9, s16, v9
	v_add3_u32 v1, v3, v12, v1
	v_add3_u32 v7, v7, v14, v11
	v_mul_lo_u32 v3, v9, s14
	v_mul_hi_u32 v11, s18, v9
	v_sub_u32_e32 v3, v5, v3
	v_add_u32_e32 v5, v9, v11
	v_mul_lo_u32 v11, v3, s4
	v_mul_lo_u32 v12, v3, s5
	v_lshrrev_b32_e32 v3, s19, v5
	s_add_i32 s26, s26, 4
	v_mul_lo_u32 v5, v3, s17
	s_add_u32 s20, s20, 32
	v_sub_u32_e32 v5, v9, v5
	s_addc_u32 s21, s21, 0
	v_mul_lo_u32 v9, v5, s6
	v_mul_lo_u32 v5, v5, s7
	s_cmp_lg_u32 s24, s26
	v_add3_u32 v14, v12, v7, v5
	v_add3_u32 v12, v11, v1, v9
	s_cbranch_scc1 .LBB303_64
; %bb.65:
	v_mov_b32_e32 v1, v14
	s_and_b32 s4, s25, 3
	s_cmp_eq_u32 s4, 0
	s_cbranch_scc0 .LBB303_69
	s_branch .LBB303_71
.LBB303_66:
                                        ; implicit-def: $vgpr14
                                        ; implicit-def: $vgpr12
	s_branch .LBB303_72
.LBB303_67:
	v_mov_b32_e32 v14, 0
	v_mov_b32_e32 v12, 0
	s_branch .LBB303_71
.LBB303_68:
	v_mov_b32_e32 v12, 0
                                        ; implicit-def: $vgpr14
	v_mov_b32_e32 v1, v12
	v_mov_b32_e32 v3, v16
	s_and_b32 s4, s25, 3
	s_cmp_eq_u32 s4, 0
	s_cbranch_scc1 .LBB303_71
.LBB303_69:
	s_lshl_b32 s0, s24, 3
	s_add_u32 s0, s34, s0
	s_addc_u32 s1, s35, 0
	s_add_u32 s0, s0, 0xc4
	s_addc_u32 s1, s1, 0
	s_mul_i32 s2, s24, 12
	s_add_u32 s2, s34, s2
	s_addc_u32 s3, s35, 0
.LBB303_70:                             ; =>This Inner Loop Header: Depth=1
	s_load_dwordx2 s[6:7], s[2:3], 0x4
	s_load_dword s5, s[2:3], 0xc
	s_load_dwordx2 s[8:9], s[0:1], 0x0
	v_mov_b32_e32 v14, v1
	s_add_u32 s2, s2, 12
	s_waitcnt lgkmcnt(0)
	v_mul_hi_u32 v1, s7, v3
	v_add_u32_e32 v1, v3, v1
	v_lshrrev_b32_e32 v1, s5, v1
	s_addc_u32 s3, s3, 0
	v_mul_lo_u32 v5, v1, s6
	s_add_u32 s0, s0, 8
	v_sub_u32_e32 v5, v3, v5
	s_addc_u32 s1, s1, 0
	s_add_i32 s4, s4, -1
	v_mad_u64_u32 v[14:15], s[6:7], v5, s9, v[14:15]
	s_cmp_lg_u32 s4, 0
	v_mov_b32_e32 v3, v1
	v_mad_u64_u32 v[12:13], s[6:7], v5, s8, v[12:13]
	v_mov_b32_e32 v1, v14
	s_cbranch_scc1 .LBB303_70
.LBB303_71:
	s_cbranch_execnz .LBB303_74
.LBB303_72:
	s_load_dwordx4 s[0:3], s[34:35], 0x4
	s_load_dwordx2 s[4:5], s[34:35], 0xc4
	s_cmp_lt_u32 s33, 2
	s_waitcnt lgkmcnt(0)
	v_mul_hi_u32 v1, s1, v16
	v_add_u32_e32 v1, v16, v1
	v_lshrrev_b32_e32 v1, s2, v1
	v_mul_lo_u32 v3, v1, s0
	v_sub_u32_e32 v3, v16, v3
	v_mul_lo_u32 v14, v3, s5
	v_mul_lo_u32 v12, v3, s4
	s_cbranch_scc1 .LBB303_74
; %bb.73:
	s_load_dwordx4 s[0:3], s[34:35], 0x10
	s_load_dwordx2 s[4:5], s[34:35], 0xcc
	s_waitcnt lgkmcnt(0)
	v_mul_hi_u32 v3, s1, v1
	v_add_u32_e32 v3, v1, v3
	v_lshrrev_b32_e32 v3, s2, v3
	v_mul_lo_u32 v3, v3, s0
	v_sub_u32_e32 v1, v1, v3
	v_mad_u64_u32 v[12:13], s[0:1], v1, s4, v[12:13]
	v_mad_u64_u32 v[14:15], s[0:1], v1, s5, v[14:15]
.LBB303_74:
	s_load_dwordx8 s[8:15], s[34:35], 0x148
	s_waitcnt lgkmcnt(0)
	global_load_dwordx2 v[16:17], v2, s[10:11]
	global_load_dwordx2 v[18:19], v6, s[10:11]
	;; [unrolled: 1-line block ×4, first 2 shown]
	v_mov_b32_e32 v1, s13
	v_mov_b32_e32 v5, s12
	;; [unrolled: 1-line block ×4, first 2 shown]
	s_waitcnt vmcnt(3)
	v_cmp_lt_i64_e32 vcc, s[12:13], v[16:17]
	s_nop 1
	v_cndmask_b32_e32 v3, v1, v17, vcc
	s_waitcnt vmcnt(2)
	v_cmp_lt_i64_e64 s[0:1], s[12:13], v[18:19]
	s_waitcnt vmcnt(1)
	v_cmp_lt_i64_e64 s[2:3], s[12:13], v[20:21]
	;; [unrolled: 2-line block ×3, first 2 shown]
	v_cndmask_b32_e32 v2, v5, v16, vcc
	v_cndmask_b32_e64 v7, v1, v19, s[0:1]
	v_cndmask_b32_e64 v11, v1, v21, s[2:3]
	;; [unrolled: 1-line block ×6, first 2 shown]
	v_cmp_gt_i64_e32 vcc, s[14:15], v[2:3]
	v_cmp_gt_i64_e64 s[0:1], s[14:15], v[6:7]
	v_cmp_gt_i64_e64 s[2:3], s[14:15], v[10:11]
	v_cndmask_b32_e32 v3, v9, v3, vcc
	v_cmp_gt_i64_e64 s[4:5], s[14:15], v[14:15]
	v_cndmask_b32_e32 v2, v13, v2, vcc
	v_cndmask_b32_e64 v7, v9, v7, s[0:1]
	v_cndmask_b32_e64 v11, v9, v11, s[2:3]
	v_cndmask_b32_e64 v15, v9, v15, s[4:5]
	v_cndmask_b32_e64 v6, v13, v6, s[0:1]
	v_cndmask_b32_e64 v10, v13, v10, s[2:3]
	v_cndmask_b32_e64 v14, v13, v14, s[4:5]
	global_store_dwordx2 v0, v[2:3], s[8:9]
	global_store_dwordx2 v4, v[6:7], s[8:9]
	;; [unrolled: 1-line block ×4, first 2 shown]
	s_endpgm
.LBB303_75:
	v_mov_b32_e32 v2, 0
	v_mov_b32_e32 v0, 0
	s_branch .LBB303_81
.LBB303_76:
	v_mov_b32_e32 v2, 0
	v_mov_b32_e32 v0, 0
	s_branch .LBB303_98
.LBB303_77:
	v_mov_b32_e32 v0, 0
	s_mov_b32 s61, 0
	v_mov_b32_e32 v1, v0
                                        ; implicit-def: $vgpr2
	v_mov_b32_e32 v4, v8
.LBB303_78:
	s_and_b32 s12, s62, 3
	s_cmp_eq_u32 s12, 0
	s_cbranch_scc1 .LBB303_81
; %bb.79:
	s_lshl_b32 s8, s61, 3
	s_add_u32 s8, s34, s8
	s_addc_u32 s9, s35, 0
	s_add_u32 s8, s8, 0xc4
	s_addc_u32 s9, s9, 0
	s_mul_i32 s10, s61, 12
	s_add_u32 s10, s34, s10
	s_addc_u32 s11, s35, 0
.LBB303_80:                             ; =>This Inner Loop Header: Depth=1
	s_load_dwordx2 s[14:15], s[10:11], 0x4
	s_load_dword s13, s[10:11], 0xc
	s_load_dwordx2 s[16:17], s[8:9], 0x0
	v_mov_b32_e32 v2, v1
	s_add_u32 s10, s10, 12
	s_waitcnt lgkmcnt(0)
	v_mul_hi_u32 v1, s15, v4
	v_add_u32_e32 v1, v4, v1
	v_lshrrev_b32_e32 v1, s13, v1
	s_addc_u32 s11, s11, 0
	v_mul_lo_u32 v3, v1, s14
	s_add_u32 s8, s8, 8
	v_sub_u32_e32 v5, v4, v3
	s_addc_u32 s9, s9, 0
	s_add_i32 s12, s12, -1
	v_mov_b32_e32 v4, v1
	v_mad_u64_u32 v[2:3], s[14:15], v5, s17, v[2:3]
	v_mad_u64_u32 v[0:1], s[14:15], v5, s16, v[0:1]
	s_cmp_lg_u32 s12, 0
	v_mov_b32_e32 v1, v2
	s_cbranch_scc1 .LBB303_80
.LBB303_81:
	s_cbranch_execnz .LBB303_84
.LBB303_82:
	s_waitcnt lgkmcnt(0)
	v_mul_hi_u32 v0, s29, v8
	v_add_u32_e32 v0, v8, v0
	v_lshrrev_b32_e32 v1, s30, v0
	v_mul_lo_u32 v0, v1, s28
	v_sub_u32_e32 v0, v8, v0
	v_mul_lo_u32 v2, v0, s25
	s_andn2_b64 vcc, exec, s[46:47]
	v_mul_lo_u32 v0, v0, s24
	s_cbranch_vccnz .LBB303_84
; %bb.83:
	v_mul_hi_u32 v3, s44, v1
	v_add_u32_e32 v3, v1, v3
	v_lshrrev_b32_e32 v3, s45, v3
	v_mul_lo_u32 v3, v3, s31
	v_sub_u32_e32 v3, v1, v3
	v_mad_u64_u32 v[0:1], s[8:9], v3, s26, v[0:1]
	v_mad_u64_u32 v[2:3], s[8:9], v3, s27, v[2:3]
.LBB303_84:
	s_waitcnt lgkmcnt(0)
	global_load_dwordx2 v[2:3], v2, s[2:3]
	v_mov_b32_e32 v1, s5
	v_mov_b32_e32 v4, s4
	;; [unrolled: 1-line block ×4, first 2 shown]
	v_add_u32_e32 v8, 0x80, v8
	s_waitcnt vmcnt(0)
	v_cmp_lt_i64_e32 vcc, s[4:5], v[2:3]
	s_nop 1
	v_cndmask_b32_e32 v3, v1, v3, vcc
	v_cndmask_b32_e32 v2, v4, v2, vcc
	v_cmp_gt_i64_e32 vcc, s[6:7], v[2:3]
	s_nop 1
	v_cndmask_b32_e32 v3, v5, v3, vcc
	v_cndmask_b32_e32 v2, v6, v2, vcc
	global_store_dwordx2 v0, v[2:3], s[0:1]
	s_or_b64 exec, exec, s[52:53]
	v_cmp_gt_i32_e32 vcc, s59, v8
	s_and_saveexec_b64 s[52:53], vcc
	s_cbranch_execnz .LBB303_16
.LBB303_85:
	s_or_b64 exec, exec, s[52:53]
	v_cmp_gt_i32_e32 vcc, s59, v8
	s_and_saveexec_b64 s[52:53], vcc
	s_cbranch_execz .LBB303_102
.LBB303_86:
	s_andn2_b64 vcc, exec, s[40:41]
	s_cbranch_vccnz .LBB303_92
; %bb.87:
	s_andn2_b64 vcc, exec, s[50:51]
	s_cbranch_vccnz .LBB303_93
; %bb.88:
	s_add_i32 s62, s60, 1
	s_cmp_eq_u32 s58, 2
	s_cbranch_scc1 .LBB303_105
; %bb.89:
	s_and_b32 s61, s62, 28
	s_mov_b32 s63, 0
	v_mov_b32_e32 v0, 0
	v_mov_b32_e32 v2, 0
	s_mov_b64 s[54:55], s[34:35]
	s_mov_b64 s[56:57], s[48:49]
	v_mov_b32_e32 v4, v8
.LBB303_90:                             ; =>This Inner Loop Header: Depth=1
	s_load_dwordx8 s[16:23], s[54:55], 0x4
	s_load_dwordx4 s[36:39], s[54:55], 0x24
	s_load_dwordx8 s[8:15], s[56:57], 0x0
	s_add_u32 s54, s54, 48
	s_addc_u32 s55, s55, 0
	s_waitcnt lgkmcnt(0)
	v_mul_hi_u32 v1, s17, v4
	v_add_u32_e32 v1, v4, v1
	v_lshrrev_b32_e32 v1, s18, v1
	v_mul_lo_u32 v3, v1, s16
	v_mul_hi_u32 v5, s20, v1
	v_sub_u32_e32 v3, v4, v3
	v_add_u32_e32 v4, v1, v5
	v_lshrrev_b32_e32 v4, s21, v4
	v_mul_lo_u32 v6, v4, s19
	v_mul_hi_u32 v7, s23, v4
	v_sub_u32_e32 v1, v1, v6
	v_add_u32_e32 v6, v4, v7
	v_mul_lo_u32 v5, v3, s9
	v_mul_lo_u32 v3, v3, s8
	;; [unrolled: 1-line block ×4, first 2 shown]
	v_lshrrev_b32_e32 v6, s36, v6
	v_add3_u32 v0, v3, v0, v1
	v_mul_hi_u32 v3, s38, v6
	v_add3_u32 v1, v5, v2, v7
	v_mul_lo_u32 v2, v6, s22
	v_add_u32_e32 v3, v6, v3
	v_sub_u32_e32 v2, v4, v2
	v_lshrrev_b32_e32 v4, s39, v3
	s_add_i32 s63, s63, 4
	v_mul_lo_u32 v3, v4, s37
	s_add_u32 s56, s56, 32
	v_sub_u32_e32 v3, v6, v3
	s_addc_u32 s57, s57, 0
	v_mul_lo_u32 v5, v2, s12
	v_mul_lo_u32 v2, v2, s13
	;; [unrolled: 1-line block ×4, first 2 shown]
	s_cmp_eq_u32 s61, s63
	v_add3_u32 v2, v2, v1, v3
	v_add3_u32 v0, v5, v0, v6
	s_cbranch_scc0 .LBB303_90
; %bb.91:
	v_mov_b32_e32 v1, v2
	s_branch .LBB303_106
.LBB303_92:
                                        ; implicit-def: $vgpr2
                                        ; implicit-def: $vgpr0
	s_branch .LBB303_110
.LBB303_93:
	v_mov_b32_e32 v2, 0
	v_mov_b32_e32 v0, 0
	s_branch .LBB303_109
.LBB303_94:
	v_mov_b32_e32 v0, 0
	s_mov_b32 s61, 0
	v_mov_b32_e32 v1, v0
                                        ; implicit-def: $vgpr2
	v_mov_b32_e32 v4, v8
.LBB303_95:
	s_and_b32 s12, s62, 3
	s_cmp_eq_u32 s12, 0
	s_cbranch_scc1 .LBB303_98
; %bb.96:
	s_lshl_b32 s8, s61, 3
	s_add_u32 s8, s34, s8
	s_addc_u32 s9, s35, 0
	s_add_u32 s8, s8, 0xc4
	s_addc_u32 s9, s9, 0
	s_mul_i32 s10, s61, 12
	s_add_u32 s10, s34, s10
	s_addc_u32 s11, s35, 0
.LBB303_97:                             ; =>This Inner Loop Header: Depth=1
	s_load_dwordx2 s[14:15], s[10:11], 0x4
	s_load_dword s13, s[10:11], 0xc
	s_load_dwordx2 s[16:17], s[8:9], 0x0
	v_mov_b32_e32 v2, v1
	s_add_u32 s10, s10, 12
	s_waitcnt lgkmcnt(0)
	v_mul_hi_u32 v1, s15, v4
	v_add_u32_e32 v1, v4, v1
	v_lshrrev_b32_e32 v1, s13, v1
	s_addc_u32 s11, s11, 0
	v_mul_lo_u32 v3, v1, s14
	s_add_u32 s8, s8, 8
	v_sub_u32_e32 v5, v4, v3
	s_addc_u32 s9, s9, 0
	s_add_i32 s12, s12, -1
	v_mov_b32_e32 v4, v1
	v_mad_u64_u32 v[2:3], s[14:15], v5, s17, v[2:3]
	v_mad_u64_u32 v[0:1], s[14:15], v5, s16, v[0:1]
	s_cmp_lg_u32 s12, 0
	v_mov_b32_e32 v1, v2
	s_cbranch_scc1 .LBB303_97
.LBB303_98:
	s_cbranch_execnz .LBB303_101
.LBB303_99:
	s_waitcnt lgkmcnt(0)
	v_mul_hi_u32 v0, s29, v8
	v_add_u32_e32 v0, v8, v0
	v_lshrrev_b32_e32 v1, s30, v0
	v_mul_lo_u32 v0, v1, s28
	v_sub_u32_e32 v0, v8, v0
	v_mul_lo_u32 v2, v0, s25
	s_andn2_b64 vcc, exec, s[46:47]
	v_mul_lo_u32 v0, v0, s24
	s_cbranch_vccnz .LBB303_101
; %bb.100:
	v_mul_hi_u32 v3, s44, v1
	v_add_u32_e32 v3, v1, v3
	v_lshrrev_b32_e32 v3, s45, v3
	v_mul_lo_u32 v3, v3, s31
	v_sub_u32_e32 v3, v1, v3
	v_mad_u64_u32 v[0:1], s[8:9], v3, s26, v[0:1]
	v_mad_u64_u32 v[2:3], s[8:9], v3, s27, v[2:3]
.LBB303_101:
	s_waitcnt lgkmcnt(0)
	global_load_dwordx2 v[2:3], v2, s[2:3]
	v_mov_b32_e32 v1, s5
	v_mov_b32_e32 v4, s4
	;; [unrolled: 1-line block ×4, first 2 shown]
	v_add_u32_e32 v8, 0x80, v8
	s_waitcnt vmcnt(0)
	v_cmp_lt_i64_e32 vcc, s[4:5], v[2:3]
	s_nop 1
	v_cndmask_b32_e32 v3, v1, v3, vcc
	v_cndmask_b32_e32 v2, v4, v2, vcc
	v_cmp_gt_i64_e32 vcc, s[6:7], v[2:3]
	s_nop 1
	v_cndmask_b32_e32 v3, v5, v3, vcc
	v_cndmask_b32_e32 v2, v6, v2, vcc
	global_store_dwordx2 v0, v[2:3], s[0:1]
	s_or_b64 exec, exec, s[52:53]
	v_cmp_gt_i32_e32 vcc, s59, v8
	s_and_saveexec_b64 s[52:53], vcc
	s_cbranch_execnz .LBB303_86
.LBB303_102:
	s_or_b64 exec, exec, s[52:53]
	v_cmp_gt_i32_e32 vcc, s59, v8
	s_and_saveexec_b64 s[52:53], vcc
	s_cbranch_execnz .LBB303_113
.LBB303_103:
	s_or_b64 exec, exec, s[52:53]
                                        ; implicit-def: $vgpr16
                                        ; implicit-def: $vgpr8
	s_waitcnt lgkmcnt(0)
	s_andn2_saveexec_b64 s[0:1], s[42:43]
	s_cbranch_execnz .LBB303_9
.LBB303_104:
	s_endpgm
.LBB303_105:
	v_mov_b32_e32 v0, 0
	s_mov_b32 s61, 0
	v_mov_b32_e32 v1, v0
                                        ; implicit-def: $vgpr2
	v_mov_b32_e32 v4, v8
.LBB303_106:
	s_and_b32 s12, s62, 3
	s_cmp_eq_u32 s12, 0
	s_cbranch_scc1 .LBB303_109
; %bb.107:
	s_lshl_b32 s8, s61, 3
	s_add_u32 s8, s34, s8
	s_addc_u32 s9, s35, 0
	s_add_u32 s8, s8, 0xc4
	s_addc_u32 s9, s9, 0
	s_mul_i32 s10, s61, 12
	s_add_u32 s10, s34, s10
	s_addc_u32 s11, s35, 0
.LBB303_108:                            ; =>This Inner Loop Header: Depth=1
	s_load_dwordx2 s[14:15], s[10:11], 0x4
	s_load_dword s13, s[10:11], 0xc
	s_load_dwordx2 s[16:17], s[8:9], 0x0
	v_mov_b32_e32 v2, v1
	s_add_u32 s10, s10, 12
	s_waitcnt lgkmcnt(0)
	v_mul_hi_u32 v1, s15, v4
	v_add_u32_e32 v1, v4, v1
	v_lshrrev_b32_e32 v1, s13, v1
	s_addc_u32 s11, s11, 0
	v_mul_lo_u32 v3, v1, s14
	s_add_u32 s8, s8, 8
	v_sub_u32_e32 v5, v4, v3
	s_addc_u32 s9, s9, 0
	s_add_i32 s12, s12, -1
	v_mov_b32_e32 v4, v1
	v_mad_u64_u32 v[2:3], s[14:15], v5, s17, v[2:3]
	v_mad_u64_u32 v[0:1], s[14:15], v5, s16, v[0:1]
	s_cmp_lg_u32 s12, 0
	v_mov_b32_e32 v1, v2
	s_cbranch_scc1 .LBB303_108
.LBB303_109:
	s_cbranch_execnz .LBB303_112
.LBB303_110:
	s_waitcnt lgkmcnt(0)
	v_mul_hi_u32 v0, s29, v8
	v_add_u32_e32 v0, v8, v0
	v_lshrrev_b32_e32 v1, s30, v0
	v_mul_lo_u32 v0, v1, s28
	v_sub_u32_e32 v0, v8, v0
	v_mul_lo_u32 v2, v0, s25
	s_andn2_b64 vcc, exec, s[46:47]
	v_mul_lo_u32 v0, v0, s24
	s_cbranch_vccnz .LBB303_112
; %bb.111:
	v_mul_hi_u32 v3, s44, v1
	v_add_u32_e32 v3, v1, v3
	v_lshrrev_b32_e32 v3, s45, v3
	v_mul_lo_u32 v3, v3, s31
	v_sub_u32_e32 v3, v1, v3
	v_mad_u64_u32 v[0:1], s[8:9], v3, s26, v[0:1]
	v_mad_u64_u32 v[2:3], s[8:9], v3, s27, v[2:3]
.LBB303_112:
	s_waitcnt lgkmcnt(0)
	global_load_dwordx2 v[2:3], v2, s[2:3]
	v_mov_b32_e32 v1, s5
	v_mov_b32_e32 v4, s4
	;; [unrolled: 1-line block ×4, first 2 shown]
	v_add_u32_e32 v8, 0x80, v8
	s_waitcnt vmcnt(0)
	v_cmp_lt_i64_e32 vcc, s[4:5], v[2:3]
	s_nop 1
	v_cndmask_b32_e32 v3, v1, v3, vcc
	v_cndmask_b32_e32 v2, v4, v2, vcc
	v_cmp_gt_i64_e32 vcc, s[6:7], v[2:3]
	s_nop 1
	v_cndmask_b32_e32 v3, v5, v3, vcc
	v_cndmask_b32_e32 v2, v6, v2, vcc
	global_store_dwordx2 v0, v[2:3], s[0:1]
	s_or_b64 exec, exec, s[52:53]
	v_cmp_gt_i32_e32 vcc, s59, v8
	s_and_saveexec_b64 s[52:53], vcc
	s_cbranch_execz .LBB303_103
.LBB303_113:
	s_andn2_b64 vcc, exec, s[40:41]
	s_cbranch_vccnz .LBB303_119
; %bb.114:
	s_andn2_b64 vcc, exec, s[50:51]
	s_cbranch_vccnz .LBB303_120
; %bb.115:
	s_add_i32 s60, s60, 1
	s_cmp_eq_u32 s58, 2
	s_cbranch_scc1 .LBB303_121
; %bb.116:
	s_and_b32 s54, s60, 28
	s_mov_b32 s55, 0
	v_mov_b32_e32 v0, 0
	v_mov_b32_e32 v2, 0
	s_mov_b64 s[50:51], s[34:35]
	v_mov_b32_e32 v4, v8
.LBB303_117:                            ; =>This Inner Loop Header: Depth=1
	s_load_dwordx8 s[16:23], s[50:51], 0x4
	s_load_dwordx4 s[36:39], s[50:51], 0x24
	s_load_dwordx8 s[8:15], s[48:49], 0x0
	s_add_u32 s50, s50, 48
	s_addc_u32 s51, s51, 0
	s_waitcnt lgkmcnt(0)
	v_mul_hi_u32 v1, s17, v4
	v_add_u32_e32 v1, v4, v1
	v_lshrrev_b32_e32 v1, s18, v1
	v_mul_lo_u32 v3, v1, s16
	v_mul_hi_u32 v5, s20, v1
	v_sub_u32_e32 v3, v4, v3
	v_add_u32_e32 v4, v1, v5
	v_lshrrev_b32_e32 v4, s21, v4
	v_mul_lo_u32 v6, v4, s19
	v_mul_hi_u32 v7, s23, v4
	v_sub_u32_e32 v1, v1, v6
	v_add_u32_e32 v6, v4, v7
	v_mul_lo_u32 v5, v3, s9
	v_mul_lo_u32 v3, v3, s8
	;; [unrolled: 1-line block ×4, first 2 shown]
	v_lshrrev_b32_e32 v6, s36, v6
	v_add3_u32 v0, v3, v0, v1
	v_mul_hi_u32 v3, s38, v6
	v_add3_u32 v1, v5, v2, v7
	v_mul_lo_u32 v2, v6, s22
	v_add_u32_e32 v3, v6, v3
	v_sub_u32_e32 v2, v4, v2
	v_lshrrev_b32_e32 v4, s39, v3
	s_add_i32 s55, s55, 4
	v_mul_lo_u32 v3, v4, s37
	s_add_u32 s48, s48, 32
	v_sub_u32_e32 v3, v6, v3
	s_addc_u32 s49, s49, 0
	v_mul_lo_u32 v5, v2, s12
	v_mul_lo_u32 v2, v2, s13
	;; [unrolled: 1-line block ×4, first 2 shown]
	s_cmp_eq_u32 s54, s55
	v_add3_u32 v2, v2, v1, v3
	v_add3_u32 v0, v5, v0, v6
	s_cbranch_scc0 .LBB303_117
; %bb.118:
	v_mov_b32_e32 v1, v2
	s_branch .LBB303_122
.LBB303_119:
                                        ; implicit-def: $vgpr2
                                        ; implicit-def: $vgpr0
	s_branch .LBB303_126
.LBB303_120:
	v_mov_b32_e32 v2, 0
	v_mov_b32_e32 v0, 0
	s_branch .LBB303_125
.LBB303_121:
	v_mov_b32_e32 v0, 0
	s_mov_b32 s54, 0
	v_mov_b32_e32 v1, v0
                                        ; implicit-def: $vgpr2
	v_mov_b32_e32 v4, v8
.LBB303_122:
	s_and_b32 s12, s60, 3
	s_cmp_eq_u32 s12, 0
	s_cbranch_scc1 .LBB303_125
; %bb.123:
	s_lshl_b32 s8, s54, 3
	s_add_u32 s8, s34, s8
	s_addc_u32 s9, s35, 0
	s_add_u32 s8, s8, 0xc4
	s_addc_u32 s9, s9, 0
	s_mul_i32 s10, s54, 12
	s_add_u32 s10, s34, s10
	s_addc_u32 s11, s35, 0
.LBB303_124:                            ; =>This Inner Loop Header: Depth=1
	s_load_dwordx2 s[14:15], s[10:11], 0x4
	s_load_dword s13, s[10:11], 0xc
	s_load_dwordx2 s[16:17], s[8:9], 0x0
	v_mov_b32_e32 v2, v1
	s_add_u32 s10, s10, 12
	s_waitcnt lgkmcnt(0)
	v_mul_hi_u32 v1, s15, v4
	v_add_u32_e32 v1, v4, v1
	v_lshrrev_b32_e32 v1, s13, v1
	s_addc_u32 s11, s11, 0
	v_mul_lo_u32 v3, v1, s14
	s_add_u32 s8, s8, 8
	v_sub_u32_e32 v5, v4, v3
	s_addc_u32 s9, s9, 0
	s_add_i32 s12, s12, -1
	v_mov_b32_e32 v4, v1
	v_mad_u64_u32 v[2:3], s[14:15], v5, s17, v[2:3]
	v_mad_u64_u32 v[0:1], s[14:15], v5, s16, v[0:1]
	s_cmp_lg_u32 s12, 0
	v_mov_b32_e32 v1, v2
	s_cbranch_scc1 .LBB303_124
.LBB303_125:
	s_cbranch_execnz .LBB303_128
.LBB303_126:
	s_waitcnt lgkmcnt(0)
	v_mul_hi_u32 v0, s29, v8
	v_add_u32_e32 v0, v8, v0
	v_lshrrev_b32_e32 v1, s30, v0
	v_mul_lo_u32 v0, v1, s28
	v_sub_u32_e32 v0, v8, v0
	v_mul_lo_u32 v2, v0, s25
	s_andn2_b64 vcc, exec, s[46:47]
	v_mul_lo_u32 v0, v0, s24
	s_cbranch_vccnz .LBB303_128
; %bb.127:
	v_mul_hi_u32 v3, s44, v1
	v_add_u32_e32 v3, v1, v3
	v_lshrrev_b32_e32 v3, s45, v3
	v_mul_lo_u32 v3, v3, s31
	v_sub_u32_e32 v3, v1, v3
	v_mad_u64_u32 v[0:1], s[8:9], v3, s26, v[0:1]
	v_mad_u64_u32 v[2:3], s[8:9], v3, s27, v[2:3]
.LBB303_128:
	s_waitcnt lgkmcnt(0)
	global_load_dwordx2 v[2:3], v2, s[2:3]
	v_mov_b32_e32 v1, s5
	v_mov_b32_e32 v4, s4
	;; [unrolled: 1-line block ×3, first 2 shown]
	s_waitcnt vmcnt(0)
	v_cmp_lt_i64_e32 vcc, s[4:5], v[2:3]
	s_nop 1
	v_cndmask_b32_e32 v3, v1, v3, vcc
	v_cndmask_b32_e32 v2, v4, v2, vcc
	v_cmp_gt_i64_e32 vcc, s[6:7], v[2:3]
	v_mov_b32_e32 v1, s6
	s_nop 0
	v_cndmask_b32_e32 v3, v5, v3, vcc
	v_cndmask_b32_e32 v2, v1, v2, vcc
	global_store_dwordx2 v0, v[2:3], s[0:1]
	s_or_b64 exec, exec, s[52:53]
                                        ; implicit-def: $vgpr16
                                        ; implicit-def: $vgpr8
	s_andn2_saveexec_b64 s[0:1], s[42:43]
	s_cbranch_execz .LBB303_104
	s_branch .LBB303_9
	.section	.rodata,"a",@progbits
	.p2align	6, 0x0
	.amdhsa_kernel _ZN2at6native32elementwise_kernel_manual_unrollILi128ELi4EZNS0_22gpu_kernel_impl_nocastIZZZNS0_17clamp_kernel_cudaERNS_18TensorIteratorBaseERKN3c106ScalarES8_ENKUlvE_clEvENKUlvE2_clEvEUllE_EEvS4_RKT_EUlibE_EEviT1_
		.amdhsa_group_segment_fixed_size 0
		.amdhsa_private_segment_fixed_size 0
		.amdhsa_kernarg_size 368
		.amdhsa_user_sgpr_count 2
		.amdhsa_user_sgpr_dispatch_ptr 0
		.amdhsa_user_sgpr_queue_ptr 0
		.amdhsa_user_sgpr_kernarg_segment_ptr 1
		.amdhsa_user_sgpr_dispatch_id 0
		.amdhsa_user_sgpr_kernarg_preload_length 0
		.amdhsa_user_sgpr_kernarg_preload_offset 0
		.amdhsa_user_sgpr_private_segment_size 0
		.amdhsa_uses_dynamic_stack 0
		.amdhsa_enable_private_segment 0
		.amdhsa_system_sgpr_workgroup_id_x 1
		.amdhsa_system_sgpr_workgroup_id_y 0
		.amdhsa_system_sgpr_workgroup_id_z 0
		.amdhsa_system_sgpr_workgroup_info 0
		.amdhsa_system_vgpr_workitem_id 0
		.amdhsa_next_free_vgpr 24
		.amdhsa_next_free_sgpr 64
		.amdhsa_accum_offset 24
		.amdhsa_reserve_vcc 1
		.amdhsa_float_round_mode_32 0
		.amdhsa_float_round_mode_16_64 0
		.amdhsa_float_denorm_mode_32 3
		.amdhsa_float_denorm_mode_16_64 3
		.amdhsa_dx10_clamp 1
		.amdhsa_ieee_mode 1
		.amdhsa_fp16_overflow 0
		.amdhsa_tg_split 0
		.amdhsa_exception_fp_ieee_invalid_op 0
		.amdhsa_exception_fp_denorm_src 0
		.amdhsa_exception_fp_ieee_div_zero 0
		.amdhsa_exception_fp_ieee_overflow 0
		.amdhsa_exception_fp_ieee_underflow 0
		.amdhsa_exception_fp_ieee_inexact 0
		.amdhsa_exception_int_div_zero 0
	.end_amdhsa_kernel
	.section	.text._ZN2at6native32elementwise_kernel_manual_unrollILi128ELi4EZNS0_22gpu_kernel_impl_nocastIZZZNS0_17clamp_kernel_cudaERNS_18TensorIteratorBaseERKN3c106ScalarES8_ENKUlvE_clEvENKUlvE2_clEvEUllE_EEvS4_RKT_EUlibE_EEviT1_,"axG",@progbits,_ZN2at6native32elementwise_kernel_manual_unrollILi128ELi4EZNS0_22gpu_kernel_impl_nocastIZZZNS0_17clamp_kernel_cudaERNS_18TensorIteratorBaseERKN3c106ScalarES8_ENKUlvE_clEvENKUlvE2_clEvEUllE_EEvS4_RKT_EUlibE_EEviT1_,comdat
.Lfunc_end303:
	.size	_ZN2at6native32elementwise_kernel_manual_unrollILi128ELi4EZNS0_22gpu_kernel_impl_nocastIZZZNS0_17clamp_kernel_cudaERNS_18TensorIteratorBaseERKN3c106ScalarES8_ENKUlvE_clEvENKUlvE2_clEvEUllE_EEvS4_RKT_EUlibE_EEviT1_, .Lfunc_end303-_ZN2at6native32elementwise_kernel_manual_unrollILi128ELi4EZNS0_22gpu_kernel_impl_nocastIZZZNS0_17clamp_kernel_cudaERNS_18TensorIteratorBaseERKN3c106ScalarES8_ENKUlvE_clEvENKUlvE2_clEvEUllE_EEvS4_RKT_EUlibE_EEviT1_
                                        ; -- End function
	.set _ZN2at6native32elementwise_kernel_manual_unrollILi128ELi4EZNS0_22gpu_kernel_impl_nocastIZZZNS0_17clamp_kernel_cudaERNS_18TensorIteratorBaseERKN3c106ScalarES8_ENKUlvE_clEvENKUlvE2_clEvEUllE_EEvS4_RKT_EUlibE_EEviT1_.num_vgpr, 24
	.set _ZN2at6native32elementwise_kernel_manual_unrollILi128ELi4EZNS0_22gpu_kernel_impl_nocastIZZZNS0_17clamp_kernel_cudaERNS_18TensorIteratorBaseERKN3c106ScalarES8_ENKUlvE_clEvENKUlvE2_clEvEUllE_EEvS4_RKT_EUlibE_EEviT1_.num_agpr, 0
	.set _ZN2at6native32elementwise_kernel_manual_unrollILi128ELi4EZNS0_22gpu_kernel_impl_nocastIZZZNS0_17clamp_kernel_cudaERNS_18TensorIteratorBaseERKN3c106ScalarES8_ENKUlvE_clEvENKUlvE2_clEvEUllE_EEvS4_RKT_EUlibE_EEviT1_.numbered_sgpr, 64
	.set _ZN2at6native32elementwise_kernel_manual_unrollILi128ELi4EZNS0_22gpu_kernel_impl_nocastIZZZNS0_17clamp_kernel_cudaERNS_18TensorIteratorBaseERKN3c106ScalarES8_ENKUlvE_clEvENKUlvE2_clEvEUllE_EEvS4_RKT_EUlibE_EEviT1_.num_named_barrier, 0
	.set _ZN2at6native32elementwise_kernel_manual_unrollILi128ELi4EZNS0_22gpu_kernel_impl_nocastIZZZNS0_17clamp_kernel_cudaERNS_18TensorIteratorBaseERKN3c106ScalarES8_ENKUlvE_clEvENKUlvE2_clEvEUllE_EEvS4_RKT_EUlibE_EEviT1_.private_seg_size, 0
	.set _ZN2at6native32elementwise_kernel_manual_unrollILi128ELi4EZNS0_22gpu_kernel_impl_nocastIZZZNS0_17clamp_kernel_cudaERNS_18TensorIteratorBaseERKN3c106ScalarES8_ENKUlvE_clEvENKUlvE2_clEvEUllE_EEvS4_RKT_EUlibE_EEviT1_.uses_vcc, 1
	.set _ZN2at6native32elementwise_kernel_manual_unrollILi128ELi4EZNS0_22gpu_kernel_impl_nocastIZZZNS0_17clamp_kernel_cudaERNS_18TensorIteratorBaseERKN3c106ScalarES8_ENKUlvE_clEvENKUlvE2_clEvEUllE_EEvS4_RKT_EUlibE_EEviT1_.uses_flat_scratch, 0
	.set _ZN2at6native32elementwise_kernel_manual_unrollILi128ELi4EZNS0_22gpu_kernel_impl_nocastIZZZNS0_17clamp_kernel_cudaERNS_18TensorIteratorBaseERKN3c106ScalarES8_ENKUlvE_clEvENKUlvE2_clEvEUllE_EEvS4_RKT_EUlibE_EEviT1_.has_dyn_sized_stack, 0
	.set _ZN2at6native32elementwise_kernel_manual_unrollILi128ELi4EZNS0_22gpu_kernel_impl_nocastIZZZNS0_17clamp_kernel_cudaERNS_18TensorIteratorBaseERKN3c106ScalarES8_ENKUlvE_clEvENKUlvE2_clEvEUllE_EEvS4_RKT_EUlibE_EEviT1_.has_recursion, 0
	.set _ZN2at6native32elementwise_kernel_manual_unrollILi128ELi4EZNS0_22gpu_kernel_impl_nocastIZZZNS0_17clamp_kernel_cudaERNS_18TensorIteratorBaseERKN3c106ScalarES8_ENKUlvE_clEvENKUlvE2_clEvEUllE_EEvS4_RKT_EUlibE_EEviT1_.has_indirect_call, 0
	.section	.AMDGPU.csdata,"",@progbits
; Kernel info:
; codeLenInByte = 6144
; TotalNumSgprs: 70
; NumVgprs: 24
; NumAgprs: 0
; TotalNumVgprs: 24
; ScratchSize: 0
; MemoryBound: 0
; FloatMode: 240
; IeeeMode: 1
; LDSByteSize: 0 bytes/workgroup (compile time only)
; SGPRBlocks: 8
; VGPRBlocks: 2
; NumSGPRsForWavesPerEU: 70
; NumVGPRsForWavesPerEU: 24
; AccumOffset: 24
; Occupancy: 8
; WaveLimiterHint : 1
; COMPUTE_PGM_RSRC2:SCRATCH_EN: 0
; COMPUTE_PGM_RSRC2:USER_SGPR: 2
; COMPUTE_PGM_RSRC2:TRAP_HANDLER: 0
; COMPUTE_PGM_RSRC2:TGID_X_EN: 1
; COMPUTE_PGM_RSRC2:TGID_Y_EN: 0
; COMPUTE_PGM_RSRC2:TGID_Z_EN: 0
; COMPUTE_PGM_RSRC2:TIDIG_COMP_CNT: 0
; COMPUTE_PGM_RSRC3_GFX90A:ACCUM_OFFSET: 5
; COMPUTE_PGM_RSRC3_GFX90A:TG_SPLIT: 0
	.section	.text._ZN2at6native32elementwise_kernel_manual_unrollILi128ELi4EZNS0_15gpu_kernel_implIZZZNS0_17clamp_kernel_cudaERNS_18TensorIteratorBaseERKN3c106ScalarES8_ENKUlvE_clEvENKUlvE2_clEvEUllE_EEvS4_RKT_EUlibE_EEviT1_,"axG",@progbits,_ZN2at6native32elementwise_kernel_manual_unrollILi128ELi4EZNS0_15gpu_kernel_implIZZZNS0_17clamp_kernel_cudaERNS_18TensorIteratorBaseERKN3c106ScalarES8_ENKUlvE_clEvENKUlvE2_clEvEUllE_EEvS4_RKT_EUlibE_EEviT1_,comdat
	.globl	_ZN2at6native32elementwise_kernel_manual_unrollILi128ELi4EZNS0_15gpu_kernel_implIZZZNS0_17clamp_kernel_cudaERNS_18TensorIteratorBaseERKN3c106ScalarES8_ENKUlvE_clEvENKUlvE2_clEvEUllE_EEvS4_RKT_EUlibE_EEviT1_ ; -- Begin function _ZN2at6native32elementwise_kernel_manual_unrollILi128ELi4EZNS0_15gpu_kernel_implIZZZNS0_17clamp_kernel_cudaERNS_18TensorIteratorBaseERKN3c106ScalarES8_ENKUlvE_clEvENKUlvE2_clEvEUllE_EEvS4_RKT_EUlibE_EEviT1_
	.p2align	8
	.type	_ZN2at6native32elementwise_kernel_manual_unrollILi128ELi4EZNS0_15gpu_kernel_implIZZZNS0_17clamp_kernel_cudaERNS_18TensorIteratorBaseERKN3c106ScalarES8_ENKUlvE_clEvENKUlvE2_clEvEUllE_EEvS4_RKT_EUlibE_EEviT1_,@function
_ZN2at6native32elementwise_kernel_manual_unrollILi128ELi4EZNS0_15gpu_kernel_implIZZZNS0_17clamp_kernel_cudaERNS_18TensorIteratorBaseERKN3c106ScalarES8_ENKUlvE_clEvENKUlvE2_clEvEUllE_EEvS4_RKT_EUlibE_EEviT1_: ; @_ZN2at6native32elementwise_kernel_manual_unrollILi128ELi4EZNS0_15gpu_kernel_implIZZZNS0_17clamp_kernel_cudaERNS_18TensorIteratorBaseERKN3c106ScalarES8_ENKUlvE_clEvENKUlvE2_clEvEUllE_EEvS4_RKT_EUlibE_EEviT1_
; %bb.0:
	s_load_dword s33, s[0:1], 0x30
	s_load_dword s42, s[0:1], 0x0
	s_load_dwordx4 s[4:7], s[0:1], 0x8
	s_load_dwordx2 s[12:13], s[0:1], 0x18
	s_load_dwordx4 s[8:11], s[0:1], 0x20
	v_lshl_or_b32 v10, s2, 9, v0
	v_or_b32_e32 v0, 0x180, v10
	s_waitcnt lgkmcnt(0)
	s_bfe_u32 s46, s33, 0x80008
	v_cmp_le_i32_e32 vcc, s42, v0
	s_mov_b64 s[2:3], 0
	s_mov_b64 s[16:17], 0
	s_and_saveexec_b64 s[0:1], vcc
	s_xor_b64 s[14:15], exec, s[0:1]
	s_cbranch_execz .LBB304_1011
; %bb.1:
	v_cmp_gt_i32_e32 vcc, s42, v10
	s_mov_b64 s[22:23], -1
	s_mov_b64 s[24:25], 0
	s_mov_b64 s[18:19], 0
	s_and_saveexec_b64 s[20:21], vcc
	s_cbranch_execz .LBB304_248
; %bb.2:
	v_mul_lo_u32 v0, v10, s13
	v_ashrrev_i32_e32 v1, 31, v0
	s_and_b32 s22, 0xffff, s46
	s_cmp_lt_i32 s22, 11
	v_lshl_add_u64 v[0:1], s[6:7], 0, v[0:1]
	s_cbranch_scc1 .LBB304_9
; %bb.3:
	s_cmp_gt_i32 s22, 25
	s_cbranch_scc0 .LBB304_18
; %bb.4:
	s_cmp_gt_i32 s22, 28
	s_cbranch_scc0 .LBB304_22
	;; [unrolled: 3-line block ×4, first 2 shown]
; %bb.7:
	s_cmp_eq_u32 s22, 46
	s_cbranch_scc0 .LBB304_28
; %bb.8:
	global_load_dword v2, v[0:1], off
	s_mov_b32 s0, 0x2f800000
	s_mov_b32 s1, 0xcf800000
	s_waitcnt vmcnt(0)
	v_lshlrev_b32_e32 v2, 16, v2
	v_trunc_f32_e32 v2, v2
	v_mul_f32_e64 v3, |v2|, s0
	v_floor_f32_e32 v3, v3
	v_fma_f32 v4, v3, s1, |v2|
	v_cvt_u32_f32_e32 v4, v4
	v_cvt_u32_f32_e32 v3, v3
	v_ashrrev_i32_e32 v5, 31, v2
	s_mov_b64 s[0:1], -1
	v_xor_b32_e32 v2, v4, v5
	v_xor_b32_e32 v3, v3, v5
	v_sub_co_u32_e32 v2, vcc, v2, v5
	s_nop 1
	v_subb_co_u32_e32 v3, vcc, v3, v5, vcc
	s_branch .LBB304_30
.LBB304_9:
                                        ; implicit-def: $vgpr2_vgpr3
	s_mov_b64 s[0:1], 0
	s_cbranch_execnz .LBB304_199
.LBB304_10:
	s_andn2_b64 vcc, exec, s[0:1]
	s_cbranch_vccnz .LBB304_246
.LBB304_11:
	v_mov_b32_e32 v0, s9
	s_waitcnt vmcnt(0)
	v_cmp_lt_i64_e32 vcc, s[8:9], v[2:3]
	s_and_b32 s28, s33, 0xff
	s_cmp_lt_i32 s28, 11
	v_cndmask_b32_e32 v1, v0, v3, vcc
	v_mov_b32_e32 v0, s8
	v_cndmask_b32_e32 v0, v0, v2, vcc
	v_mov_b32_e32 v2, s11
	v_cmp_gt_i64_e32 vcc, s[10:11], v[0:1]
	s_nop 1
	v_cndmask_b32_e32 v1, v2, v1, vcc
	v_mov_b32_e32 v2, s10
	v_cndmask_b32_e32 v0, v2, v0, vcc
	v_mul_lo_u32 v2, v10, s12
	v_ashrrev_i32_e32 v3, 31, v2
	v_lshl_add_u64 v[2:3], s[4:5], 0, v[2:3]
	s_cbranch_scc1 .LBB304_19
; %bb.12:
	s_and_b32 s29, 0xffff, s28
	s_cmp_gt_i32 s29, 25
	s_cbranch_scc0 .LBB304_23
; %bb.13:
	s_cmp_gt_i32 s29, 28
	s_cbranch_scc0 .LBB304_25
; %bb.14:
	;; [unrolled: 3-line block ×4, first 2 shown]
	s_mov_b64 s[22:23], 0
	s_mov_b64 s[0:1], -1
	s_cmp_eq_u32 s29, 46
	s_mov_b64 s[16:17], 0
	s_cbranch_scc0 .LBB304_34
; %bb.17:
	v_xor_b32_e32 v5, v0, v1
	v_ffbh_i32_e32 v4, v1
	v_ashrrev_i32_e32 v5, 31, v5
	v_add_u32_e32 v4, -1, v4
	v_add_u32_e32 v5, 32, v5
	v_min_u32_e32 v6, v4, v5
	v_lshlrev_b64 v[4:5], v6, v[0:1]
	v_min_u32_e32 v4, 1, v4
	v_or_b32_e32 v4, v5, v4
	v_cvt_f32_i32_e32 v4, v4
	v_sub_u32_e32 v5, 32, v6
	s_movk_i32 s0, 0x7fff
	s_mov_b64 s[16:17], -1
	v_ldexp_f32 v4, v4, v5
	v_bfe_u32 v5, v4, 16, 1
	v_add3_u32 v4, v4, v5, s0
	v_lshrrev_b32_e32 v4, 16, v4
	global_store_dword v[2:3], v4, off
	s_mov_b64 s[0:1], 0
	s_branch .LBB304_34
.LBB304_18:
	s_mov_b64 s[0:1], 0
                                        ; implicit-def: $vgpr2_vgpr3
	s_cbranch_execnz .LBB304_166
	s_branch .LBB304_198
.LBB304_19:
	s_mov_b64 s[0:1], 0
	s_mov_b64 s[16:17], 0
	s_cbranch_execnz .LBB304_103
.LBB304_20:
	s_andn2_b64 vcc, exec, s[16:17]
	s_cbranch_vccnz .LBB304_141
.LBB304_21:
	v_add_u32_e32 v10, 0x80, v10
	s_mov_b64 s[22:23], -1
	s_branch .LBB304_247
.LBB304_22:
	s_mov_b64 s[16:17], -1
	s_mov_b64 s[0:1], 0
                                        ; implicit-def: $vgpr2_vgpr3
	s_branch .LBB304_149
.LBB304_23:
	s_mov_b64 s[22:23], -1
	s_mov_b64 s[0:1], 0
	s_mov_b64 s[16:17], 0
	s_branch .LBB304_61
.LBB304_24:
	s_mov_b64 s[16:17], -1
	s_mov_b64 s[0:1], 0
                                        ; implicit-def: $vgpr2_vgpr3
	s_branch .LBB304_144
.LBB304_25:
	s_mov_b64 s[22:23], -1
	s_mov_b64 s[0:1], 0
	s_mov_b64 s[16:17], 0
	s_branch .LBB304_44
.LBB304_26:
	s_mov_b64 s[16:17], -1
	s_branch .LBB304_29
.LBB304_27:
	s_mov_b64 s[22:23], -1
	s_mov_b64 s[0:1], 0
	s_mov_b64 s[16:17], 0
	s_branch .LBB304_40
.LBB304_28:
	s_mov_b64 s[18:19], -1
.LBB304_29:
	s_mov_b64 s[0:1], 0
                                        ; implicit-def: $vgpr2_vgpr3
.LBB304_30:
	s_and_b64 vcc, exec, s[16:17]
	s_cbranch_vccz .LBB304_143
; %bb.31:
	s_cmp_eq_u32 s22, 44
	s_cbranch_scc0 .LBB304_142
; %bb.32:
	global_load_ubyte v2, v[0:1], off
	s_mov_b32 s0, 0x2f800000
	s_mov_b32 s1, 0xcf800000
	s_mov_b64 s[18:19], 0
	s_waitcnt vmcnt(0)
	v_lshlrev_b32_e32 v3, 23, v2
	v_trunc_f32_e32 v3, v3
	v_mul_f32_e64 v4, |v3|, s0
	v_floor_f32_e32 v4, v4
	v_fma_f32 v5, v4, s1, |v3|
	v_cvt_u32_f32_e32 v5, v5
	v_cvt_u32_f32_e32 v4, v4
	v_ashrrev_i32_e32 v3, 31, v3
	s_mov_b64 s[0:1], -1
	v_xor_b32_e32 v5, v5, v3
	v_xor_b32_e32 v4, v4, v3
	v_sub_co_u32_e32 v5, vcc, v5, v3
	s_nop 1
	v_subb_co_u32_e32 v3, vcc, v4, v3, vcc
	v_cmp_ne_u32_e32 vcc, 0, v2
	s_nop 1
	v_cndmask_b32_e32 v3, 0, v3, vcc
	v_cndmask_b32_e32 v2, 0, v5, vcc
	s_branch .LBB304_143
.LBB304_33:
	s_mov_b64 s[22:23], -1
	s_mov_b64 s[0:1], 0
	s_mov_b64 s[16:17], 0
.LBB304_34:
	s_and_b64 vcc, exec, s[22:23]
	s_cbranch_vccz .LBB304_39
; %bb.35:
	s_cmp_eq_u32 s29, 44
	s_mov_b64 s[0:1], -1
	s_cbranch_scc0 .LBB304_39
; %bb.36:
	v_xor_b32_e32 v5, v0, v1
	v_ffbh_i32_e32 v4, v1
	v_ashrrev_i32_e32 v5, 31, v5
	v_add_u32_e32 v4, -1, v4
	v_add_u32_e32 v5, 32, v5
	v_min_u32_e32 v6, v4, v5
	v_lshlrev_b64 v[4:5], v6, v[0:1]
	v_min_u32_e32 v4, 1, v4
	v_or_b32_e32 v4, v5, v4
	v_cvt_f32_i32_e32 v4, v4
	v_sub_u32_e32 v5, 32, v6
	s_movk_i32 s0, 0xff
	v_mov_b32_e32 v6, 0xff
	v_ldexp_f32 v4, v4, v5
	v_bfe_u32 v5, v4, 23, 8
	v_cmp_ne_u32_e32 vcc, s0, v5
	s_and_saveexec_b64 s[16:17], vcc
; %bb.37:
	s_mov_b32 s0, 0x3fffff
	v_lshrrev_b32_e32 v6, 23, v4
	v_and_b32_e32 v7, 0x400000, v4
	v_and_or_b32 v4, v4, s0, v5
	v_cmp_ne_u32_e32 vcc, 0, v7
	v_cmp_ne_u32_e64 s[0:1], 0, v4
	s_and_b64 s[0:1], vcc, s[0:1]
	s_nop 0
	v_cndmask_b32_e64 v4, 0, 1, s[0:1]
	v_add_u32_e32 v6, v6, v4
; %bb.38:
	s_or_b64 exec, exec, s[16:17]
	s_mov_b64 s[16:17], -1
	s_mov_b64 s[0:1], 0
	global_store_byte v[2:3], v6, off
.LBB304_39:
	s_mov_b64 s[22:23], 0
.LBB304_40:
	s_and_b64 vcc, exec, s[22:23]
	s_cbranch_vccz .LBB304_43
; %bb.41:
	s_cmp_eq_u32 s29, 29
	s_mov_b64 s[0:1], -1
	s_cbranch_scc0 .LBB304_43
; %bb.42:
	global_store_dwordx2 v[2:3], v[0:1], off
	s_mov_b64 s[16:17], -1
	s_mov_b64 s[0:1], 0
.LBB304_43:
	s_mov_b64 s[22:23], 0
.LBB304_44:
	s_and_b64 vcc, exec, s[22:23]
	s_cbranch_vccz .LBB304_60
; %bb.45:
	s_cmp_lt_i32 s29, 27
	s_mov_b64 s[16:17], -1
	s_cbranch_scc1 .LBB304_51
; %bb.46:
	s_cmp_gt_i32 s29, 27
	s_cbranch_scc0 .LBB304_48
; %bb.47:
	s_mov_b64 s[16:17], 0
	global_store_dword v[2:3], v0, off
.LBB304_48:
	s_andn2_b64 vcc, exec, s[16:17]
	s_cbranch_vccnz .LBB304_50
; %bb.49:
	global_store_short v[2:3], v0, off
.LBB304_50:
	s_mov_b64 s[16:17], 0
.LBB304_51:
	s_andn2_b64 vcc, exec, s[16:17]
	s_cbranch_vccnz .LBB304_59
; %bb.52:
	v_xor_b32_e32 v5, v0, v1
	v_ffbh_i32_e32 v4, v1
	v_ashrrev_i32_e32 v5, 31, v5
	v_add_u32_e32 v4, -1, v4
	v_add_u32_e32 v5, 32, v5
	v_min_u32_e32 v6, v4, v5
	v_lshlrev_b64 v[4:5], v6, v[0:1]
	v_min_u32_e32 v4, 1, v4
	v_or_b32_e32 v4, v5, v4
	v_cvt_f32_i32_e32 v4, v4
	v_sub_u32_e32 v5, 32, v6
	s_mov_b32 s16, 0x43800000
	v_mov_b32_e32 v6, 0x80
	v_ldexp_f32 v4, v4, v5
	v_and_b32_e32 v5, 0x7fffffff, v4
	v_cmp_gt_u32_e32 vcc, s16, v5
	s_and_saveexec_b64 s[16:17], vcc
	s_cbranch_execz .LBB304_58
; %bb.53:
	s_mov_b32 s22, 0x3bffffff
	v_cmp_lt_u32_e32 vcc, s22, v5
	s_mov_b64 s[22:23], 0
                                        ; implicit-def: $vgpr5
	s_and_saveexec_b64 s[26:27], vcc
	s_xor_b64 s[26:27], exec, s[26:27]
	s_cbranch_execz .LBB304_275
; %bb.54:
	v_bfe_u32 v5, v4, 20, 1
	s_mov_b32 s30, 0x487ffff
	v_add3_u32 v5, v4, v5, s30
	s_mov_b64 s[22:23], exec
	v_lshrrev_b32_e32 v5, 20, v5
	s_andn2_saveexec_b64 s[26:27], s[26:27]
	s_cbranch_execnz .LBB304_276
.LBB304_55:
	s_or_b64 exec, exec, s[26:27]
	v_mov_b32_e32 v6, 0
	s_and_saveexec_b64 s[26:27], s[22:23]
.LBB304_56:
	v_lshrrev_b32_e32 v4, 24, v4
	s_movk_i32 s22, 0x80
	v_and_or_b32 v6, v4, s22, v5
.LBB304_57:
	s_or_b64 exec, exec, s[26:27]
.LBB304_58:
	s_or_b64 exec, exec, s[16:17]
	global_store_byte v[2:3], v6, off
.LBB304_59:
	s_mov_b64 s[16:17], -1
.LBB304_60:
	s_mov_b64 s[22:23], 0
.LBB304_61:
	s_and_b64 vcc, exec, s[22:23]
	s_cbranch_vccz .LBB304_102
; %bb.62:
	s_cmp_gt_i32 s29, 22
	s_mov_b64 s[22:23], -1
	s_cbranch_scc0 .LBB304_94
; %bb.63:
	s_cmp_lt_i32 s29, 24
	s_mov_b64 s[16:17], -1
	s_cbranch_scc1 .LBB304_83
; %bb.64:
	s_cmp_gt_i32 s29, 24
	s_cbranch_scc0 .LBB304_72
; %bb.65:
	v_xor_b32_e32 v5, v0, v1
	v_ffbh_i32_e32 v4, v1
	v_ashrrev_i32_e32 v5, 31, v5
	v_add_u32_e32 v4, -1, v4
	v_add_u32_e32 v5, 32, v5
	v_min_u32_e32 v6, v4, v5
	v_lshlrev_b64 v[4:5], v6, v[0:1]
	v_min_u32_e32 v4, 1, v4
	v_or_b32_e32 v4, v5, v4
	v_cvt_f32_i32_e32 v4, v4
	v_sub_u32_e32 v5, 32, v6
	s_mov_b32 s16, 0x47800000
	v_mov_b32_e32 v6, 0x80
	v_ldexp_f32 v4, v4, v5
	v_and_b32_e32 v5, 0x7fffffff, v4
	v_cmp_gt_u32_e32 vcc, s16, v5
	s_and_saveexec_b64 s[16:17], vcc
	s_cbranch_execz .LBB304_71
; %bb.66:
	s_mov_b32 s22, 0x37ffffff
	v_cmp_lt_u32_e32 vcc, s22, v5
	s_mov_b64 s[22:23], 0
                                        ; implicit-def: $vgpr5
	s_and_saveexec_b64 s[26:27], vcc
	s_xor_b64 s[26:27], exec, s[26:27]
	s_cbranch_execz .LBB304_279
; %bb.67:
	v_bfe_u32 v5, v4, 21, 1
	s_mov_b32 s30, 0x88fffff
	v_add3_u32 v5, v4, v5, s30
	s_mov_b64 s[22:23], exec
	v_lshrrev_b32_e32 v5, 21, v5
	s_andn2_saveexec_b64 s[26:27], s[26:27]
	s_cbranch_execnz .LBB304_280
.LBB304_68:
	s_or_b64 exec, exec, s[26:27]
	v_mov_b32_e32 v6, 0
	s_and_saveexec_b64 s[26:27], s[22:23]
.LBB304_69:
	v_lshrrev_b32_e32 v4, 24, v4
	s_movk_i32 s22, 0x80
	v_and_or_b32 v6, v4, s22, v5
.LBB304_70:
	s_or_b64 exec, exec, s[26:27]
.LBB304_71:
	s_or_b64 exec, exec, s[16:17]
	s_mov_b64 s[16:17], 0
	global_store_byte v[2:3], v6, off
.LBB304_72:
	s_and_b64 vcc, exec, s[16:17]
	s_cbranch_vccz .LBB304_82
; %bb.73:
	v_xor_b32_e32 v5, v0, v1
	v_ffbh_i32_e32 v4, v1
	v_ashrrev_i32_e32 v5, 31, v5
	v_add_u32_e32 v4, -1, v4
	v_add_u32_e32 v5, 32, v5
	v_min_u32_e32 v6, v4, v5
	v_lshlrev_b64 v[4:5], v6, v[0:1]
	v_min_u32_e32 v4, 1, v4
	v_or_b32_e32 v4, v5, v4
	v_cvt_f32_i32_e32 v4, v4
	v_sub_u32_e32 v5, 32, v6
	s_mov_b32 s16, 0x43f00000
	v_ldexp_f32 v4, v4, v5
	v_and_b32_e32 v6, 0x7fffffff, v4
	v_cmp_gt_u32_e32 vcc, s16, v6
                                        ; implicit-def: $vgpr5
	s_and_saveexec_b64 s[16:17], vcc
	s_xor_b64 s[16:17], exec, s[16:17]
	s_cbranch_execz .LBB304_79
; %bb.74:
	s_mov_b32 s22, 0x3c7fffff
	v_cmp_lt_u32_e32 vcc, s22, v6
                                        ; implicit-def: $vgpr5
	s_and_saveexec_b64 s[22:23], vcc
	s_xor_b64 s[22:23], exec, s[22:23]
; %bb.75:
	v_bfe_u32 v5, v4, 20, 1
	s_mov_b32 s26, 0x407ffff
	v_add3_u32 v5, v4, v5, s26
	v_lshrrev_b32_e32 v6, 20, v5
	v_and_b32_e32 v5, 0xff00000, v5
	s_mov_b32 s26, 0x7f00000
	v_mov_b32_e32 v7, 0x7e
	v_cmp_ne_u32_e32 vcc, s26, v5
	s_nop 1
	v_cndmask_b32_e32 v5, v7, v6, vcc
; %bb.76:
	s_andn2_saveexec_b64 s[22:23], s[22:23]
; %bb.77:
	s_mov_b32 s26, 0x46800000
	v_add_f32_e64 v5, |v4|, s26
; %bb.78:
	s_or_b64 exec, exec, s[22:23]
                                        ; implicit-def: $vgpr6
.LBB304_79:
	s_andn2_saveexec_b64 s[16:17], s[16:17]
; %bb.80:
	s_mov_b32 s22, 0x7f800000
	v_mov_b32_e32 v5, 0x7e
	v_mov_b32_e32 v7, 0x7f
	v_cmp_lt_u32_e32 vcc, s22, v6
	s_nop 1
	v_cndmask_b32_e32 v5, v5, v7, vcc
; %bb.81:
	s_or_b64 exec, exec, s[16:17]
	v_lshrrev_b32_e32 v4, 24, v4
	s_movk_i32 s16, 0x80
	v_and_or_b32 v4, v4, s16, v5
	global_store_byte v[2:3], v4, off
.LBB304_82:
	s_mov_b64 s[16:17], 0
.LBB304_83:
	s_andn2_b64 vcc, exec, s[16:17]
	s_cbranch_vccnz .LBB304_93
; %bb.84:
	v_xor_b32_e32 v5, v0, v1
	v_ffbh_i32_e32 v4, v1
	v_ashrrev_i32_e32 v5, 31, v5
	v_add_u32_e32 v4, -1, v4
	v_add_u32_e32 v5, 32, v5
	v_min_u32_e32 v6, v4, v5
	v_lshlrev_b64 v[4:5], v6, v[0:1]
	v_min_u32_e32 v4, 1, v4
	v_or_b32_e32 v4, v5, v4
	v_cvt_f32_i32_e32 v4, v4
	v_sub_u32_e32 v5, 32, v6
	s_mov_b32 s16, 0x47800000
	v_ldexp_f32 v4, v4, v5
	v_and_b32_e32 v6, 0x7fffffff, v4
	v_cmp_gt_u32_e32 vcc, s16, v6
                                        ; implicit-def: $vgpr5
	s_and_saveexec_b64 s[16:17], vcc
	s_xor_b64 s[16:17], exec, s[16:17]
	s_cbranch_execz .LBB304_90
; %bb.85:
	s_mov_b32 s22, 0x387fffff
	v_cmp_lt_u32_e32 vcc, s22, v6
                                        ; implicit-def: $vgpr5
	s_and_saveexec_b64 s[22:23], vcc
	s_xor_b64 s[22:23], exec, s[22:23]
; %bb.86:
	v_bfe_u32 v5, v4, 21, 1
	s_mov_b32 s26, 0x80fffff
	v_add3_u32 v5, v4, v5, s26
	v_lshrrev_b32_e32 v5, 21, v5
; %bb.87:
	s_andn2_saveexec_b64 s[22:23], s[22:23]
; %bb.88:
	s_mov_b32 s26, 0x43000000
	v_add_f32_e64 v5, |v4|, s26
; %bb.89:
	s_or_b64 exec, exec, s[22:23]
                                        ; implicit-def: $vgpr6
.LBB304_90:
	s_andn2_saveexec_b64 s[16:17], s[16:17]
; %bb.91:
	s_mov_b32 s22, 0x7f800000
	v_mov_b32_e32 v5, 0x7c
	v_mov_b32_e32 v7, 0x7f
	v_cmp_lt_u32_e32 vcc, s22, v6
	s_nop 1
	v_cndmask_b32_e32 v5, v5, v7, vcc
; %bb.92:
	s_or_b64 exec, exec, s[16:17]
	v_lshrrev_b32_e32 v4, 24, v4
	s_movk_i32 s16, 0x80
	v_and_or_b32 v4, v4, s16, v5
	global_store_byte v[2:3], v4, off
.LBB304_93:
	s_mov_b64 s[22:23], 0
	s_mov_b64 s[16:17], -1
.LBB304_94:
	s_andn2_b64 vcc, exec, s[22:23]
	s_cbranch_vccnz .LBB304_102
; %bb.95:
	s_cmp_gt_i32 s29, 14
	s_mov_b64 s[22:23], -1
	s_cbranch_scc0 .LBB304_99
; %bb.96:
	s_cmp_eq_u32 s29, 15
	s_mov_b64 s[0:1], -1
	s_cbranch_scc0 .LBB304_98
; %bb.97:
	v_xor_b32_e32 v5, v0, v1
	v_ffbh_i32_e32 v4, v1
	v_ashrrev_i32_e32 v5, 31, v5
	v_add_u32_e32 v4, -1, v4
	v_add_u32_e32 v5, 32, v5
	v_min_u32_e32 v6, v4, v5
	v_lshlrev_b64 v[4:5], v6, v[0:1]
	v_min_u32_e32 v4, 1, v4
	v_or_b32_e32 v4, v5, v4
	v_cvt_f32_i32_e32 v4, v4
	v_sub_u32_e32 v5, 32, v6
	s_movk_i32 s0, 0x7fff
	s_mov_b64 s[16:17], -1
	v_ldexp_f32 v4, v4, v5
	v_bfe_u32 v5, v4, 16, 1
	v_add3_u32 v4, v4, v5, s0
	global_store_short_d16_hi v[2:3], v4, off
	s_mov_b64 s[0:1], 0
.LBB304_98:
	s_mov_b64 s[22:23], 0
.LBB304_99:
	s_and_b64 vcc, exec, s[22:23]
	s_cbranch_vccz .LBB304_102
; %bb.100:
	s_cmp_eq_u32 s29, 11
	s_mov_b64 s[0:1], -1
	s_cbranch_scc0 .LBB304_102
; %bb.101:
	v_cmp_ne_u64_e32 vcc, 0, v[0:1]
	s_mov_b64 s[0:1], 0
	s_mov_b64 s[16:17], -1
	v_cndmask_b32_e64 v4, 0, 1, vcc
	global_store_byte v[2:3], v4, off
.LBB304_102:
	s_branch .LBB304_20
.LBB304_103:
	s_and_b32 s22, 0xffff, s28
	s_cmp_lt_i32 s22, 5
	s_mov_b64 s[16:17], -1
	s_cbranch_scc1 .LBB304_124
; %bb.104:
	s_cmp_lt_i32 s22, 8
	s_cbranch_scc1 .LBB304_114
; %bb.105:
	s_cmp_lt_i32 s22, 9
	s_cbranch_scc1 .LBB304_111
; %bb.106:
	s_cmp_gt_i32 s22, 9
	s_cbranch_scc0 .LBB304_108
; %bb.107:
	v_cvt_f64_i32_e32 v[4:5], v1
	v_ldexp_f64 v[4:5], v[4:5], 32
	v_cvt_f64_u32_e32 v[6:7], v0
	v_add_f64 v[4:5], v[4:5], v[6:7]
	v_mov_b32_e32 v6, 0
	v_mov_b32_e32 v7, v6
	global_store_dwordx4 v[2:3], v[4:7], off
	s_mov_b64 s[16:17], 0
.LBB304_108:
	s_andn2_b64 vcc, exec, s[16:17]
	s_cbranch_vccnz .LBB304_110
; %bb.109:
	v_xor_b32_e32 v5, v0, v1
	v_ffbh_i32_e32 v4, v1
	v_ashrrev_i32_e32 v5, 31, v5
	v_add_u32_e32 v4, -1, v4
	v_add_u32_e32 v5, 32, v5
	v_min_u32_e32 v6, v4, v5
	v_lshlrev_b64 v[4:5], v6, v[0:1]
	v_min_u32_e32 v4, 1, v4
	v_or_b32_e32 v4, v5, v4
	v_cvt_f32_i32_e32 v4, v4
	v_sub_u32_e32 v5, 32, v6
	v_ldexp_f32 v4, v4, v5
	v_mov_b32_e32 v5, 0
	global_store_dwordx2 v[2:3], v[4:5], off
.LBB304_110:
	s_mov_b64 s[16:17], 0
.LBB304_111:
	s_andn2_b64 vcc, exec, s[16:17]
	s_cbranch_vccnz .LBB304_113
; %bb.112:
	v_xor_b32_e32 v5, v0, v1
	v_ffbh_i32_e32 v4, v1
	v_ashrrev_i32_e32 v5, 31, v5
	v_add_u32_e32 v4, -1, v4
	v_add_u32_e32 v5, 32, v5
	v_min_u32_e32 v6, v4, v5
	v_lshlrev_b64 v[4:5], v6, v[0:1]
	v_min_u32_e32 v4, 1, v4
	v_or_b32_e32 v4, v5, v4
	v_cvt_f32_i32_e32 v4, v4
	v_sub_u32_e32 v5, 32, v6
	v_ldexp_f32 v4, v4, v5
	v_cvt_f16_f32_e32 v4, v4
	global_store_dword v[2:3], v4, off
.LBB304_113:
	s_mov_b64 s[16:17], 0
.LBB304_114:
	s_andn2_b64 vcc, exec, s[16:17]
	s_cbranch_vccnz .LBB304_123
; %bb.115:
	s_cmp_lt_i32 s22, 6
	s_mov_b64 s[16:17], -1
	s_cbranch_scc1 .LBB304_121
; %bb.116:
	s_cmp_gt_i32 s22, 6
	s_cbranch_scc0 .LBB304_118
; %bb.117:
	v_cvt_f64_i32_e32 v[4:5], v1
	v_ldexp_f64 v[4:5], v[4:5], 32
	v_cvt_f64_u32_e32 v[6:7], v0
	v_add_f64 v[4:5], v[4:5], v[6:7]
	global_store_dwordx2 v[2:3], v[4:5], off
	s_mov_b64 s[16:17], 0
.LBB304_118:
	s_andn2_b64 vcc, exec, s[16:17]
	s_cbranch_vccnz .LBB304_120
; %bb.119:
	v_xor_b32_e32 v5, v0, v1
	v_ffbh_i32_e32 v4, v1
	v_ashrrev_i32_e32 v5, 31, v5
	v_add_u32_e32 v4, -1, v4
	v_add_u32_e32 v5, 32, v5
	v_min_u32_e32 v6, v4, v5
	v_lshlrev_b64 v[4:5], v6, v[0:1]
	v_min_u32_e32 v4, 1, v4
	v_or_b32_e32 v4, v5, v4
	v_cvt_f32_i32_e32 v4, v4
	v_sub_u32_e32 v5, 32, v6
	v_ldexp_f32 v4, v4, v5
	global_store_dword v[2:3], v4, off
.LBB304_120:
	s_mov_b64 s[16:17], 0
.LBB304_121:
	s_andn2_b64 vcc, exec, s[16:17]
	s_cbranch_vccnz .LBB304_123
; %bb.122:
	v_xor_b32_e32 v5, v0, v1
	v_ffbh_i32_e32 v4, v1
	v_ashrrev_i32_e32 v5, 31, v5
	v_add_u32_e32 v4, -1, v4
	v_add_u32_e32 v5, 32, v5
	v_min_u32_e32 v6, v4, v5
	v_lshlrev_b64 v[4:5], v6, v[0:1]
	v_min_u32_e32 v4, 1, v4
	v_or_b32_e32 v4, v5, v4
	v_cvt_f32_i32_e32 v4, v4
	v_sub_u32_e32 v5, 32, v6
	v_ldexp_f32 v4, v4, v5
	v_cvt_f16_f32_e32 v4, v4
	global_store_short v[2:3], v4, off
.LBB304_123:
	s_mov_b64 s[16:17], 0
.LBB304_124:
	s_andn2_b64 vcc, exec, s[16:17]
	s_cbranch_vccnz .LBB304_140
; %bb.125:
	s_cmp_lt_i32 s22, 2
	s_mov_b64 s[16:17], -1
	s_cbranch_scc1 .LBB304_135
; %bb.126:
	s_cmp_lt_i32 s22, 3
	s_cbranch_scc1 .LBB304_132
; %bb.127:
	s_cmp_gt_i32 s22, 3
	s_cbranch_scc0 .LBB304_129
; %bb.128:
	global_store_dwordx2 v[2:3], v[0:1], off
	s_mov_b64 s[16:17], 0
.LBB304_129:
	s_andn2_b64 vcc, exec, s[16:17]
	s_cbranch_vccnz .LBB304_131
; %bb.130:
	global_store_dword v[2:3], v0, off
.LBB304_131:
	s_mov_b64 s[16:17], 0
.LBB304_132:
	s_andn2_b64 vcc, exec, s[16:17]
	s_cbranch_vccnz .LBB304_134
; %bb.133:
	global_store_short v[2:3], v0, off
.LBB304_134:
	s_mov_b64 s[16:17], 0
.LBB304_135:
	s_andn2_b64 vcc, exec, s[16:17]
	s_cbranch_vccnz .LBB304_140
; %bb.136:
	s_cmp_gt_i32 s22, 0
	s_mov_b64 s[16:17], -1
	s_cbranch_scc0 .LBB304_138
; %bb.137:
	global_store_byte v[2:3], v0, off
	s_mov_b64 s[16:17], 0
.LBB304_138:
	s_andn2_b64 vcc, exec, s[16:17]
	s_cbranch_vccnz .LBB304_140
; %bb.139:
	global_store_byte v[2:3], v0, off
.LBB304_140:
	s_branch .LBB304_21
.LBB304_141:
	s_mov_b64 s[22:23], 0
                                        ; implicit-def: $vgpr10
	s_branch .LBB304_247
.LBB304_142:
	s_mov_b64 s[18:19], -1
                                        ; implicit-def: $vgpr2_vgpr3
.LBB304_143:
	s_mov_b64 s[16:17], 0
.LBB304_144:
	s_and_b64 vcc, exec, s[16:17]
	s_cbranch_vccz .LBB304_148
; %bb.145:
	s_cmp_eq_u32 s22, 29
	s_cbranch_scc0 .LBB304_147
; %bb.146:
	global_load_dwordx2 v[2:3], v[0:1], off
	s_mov_b64 s[0:1], -1
	s_mov_b64 s[18:19], 0
	s_branch .LBB304_148
.LBB304_147:
	s_mov_b64 s[18:19], -1
                                        ; implicit-def: $vgpr2_vgpr3
.LBB304_148:
	s_mov_b64 s[16:17], 0
.LBB304_149:
	s_and_b64 vcc, exec, s[16:17]
	s_cbranch_vccz .LBB304_165
; %bb.150:
	s_cmp_lt_i32 s22, 27
	s_cbranch_scc1 .LBB304_153
; %bb.151:
	s_cmp_gt_i32 s22, 27
	s_cbranch_scc0 .LBB304_154
; %bb.152:
	global_load_dword v2, v[0:1], off
	s_waitcnt vmcnt(1)
	v_mov_b32_e32 v3, 0
	s_mov_b64 s[0:1], 0
	s_branch .LBB304_155
.LBB304_153:
	s_mov_b64 s[0:1], -1
                                        ; implicit-def: $vgpr2_vgpr3
	s_branch .LBB304_158
.LBB304_154:
	s_mov_b64 s[0:1], -1
                                        ; implicit-def: $vgpr2_vgpr3
.LBB304_155:
	s_andn2_b64 vcc, exec, s[0:1]
	s_cbranch_vccnz .LBB304_157
; %bb.156:
	global_load_ushort v2, v[0:1], off
	s_mov_b32 s0, 0
	s_waitcnt vmcnt(1)
	v_mov_b32_e32 v3, s0
	s_waitcnt vmcnt(0)
	v_and_b32_e32 v2, 0xffff, v2
.LBB304_157:
	s_mov_b64 s[0:1], 0
.LBB304_158:
	s_andn2_b64 vcc, exec, s[0:1]
	s_cbranch_vccnz .LBB304_164
; %bb.159:
	global_load_ubyte v4, v[0:1], off
	s_movk_i32 s0, 0x7f
	s_mov_b64 s[16:17], 0
	s_waitcnt vmcnt(0)
	v_cmp_lt_i16_e32 vcc, s0, v4
	s_and_saveexec_b64 s[0:1], vcc
	s_xor_b64 s[0:1], exec, s[0:1]
	s_cbranch_execz .LBB304_175
; %bb.160:
	s_movk_i32 s16, 0x80
	v_cmp_ne_u16_e32 vcc, s16, v4
	s_and_b64 s[16:17], vcc, exec
	s_andn2_saveexec_b64 s[0:1], s[0:1]
	s_cbranch_execnz .LBB304_176
.LBB304_161:
	s_or_b64 exec, exec, s[0:1]
	v_mov_b64_e32 v[2:3], 0
	s_and_saveexec_b64 s[0:1], s[16:17]
	s_cbranch_execz .LBB304_163
.LBB304_162:
	v_and_b32_e32 v3, 0xffff, v4
	v_lshlrev_b32_e32 v2, 24, v4
	v_and_b32_e32 v4, 7, v3
	v_ffbh_u32_e32 v6, v4
	v_min_u32_e32 v6, 32, v6
	v_subrev_u32_e32 v7, 28, v6
	v_bfe_u32 v5, v3, 3, 4
	v_lshlrev_b32_e32 v3, v7, v3
	v_sub_u32_e32 v6, 29, v6
	v_and_b32_e32 v3, 7, v3
	v_cmp_eq_u32_e32 vcc, 0, v5
	v_and_b32_e32 v2, 0x80000000, v2
	s_mov_b32 s16, 0x2f800000
	v_cndmask_b32_e32 v5, v5, v6, vcc
	v_cndmask_b32_e32 v3, v4, v3, vcc
	v_mov_b32_e32 v4, 0x3b800000
	v_lshlrev_b32_e32 v3, 20, v3
	v_lshl_add_u32 v4, v5, 23, v4
	v_or3_b32 v2, v2, v4, v3
	v_trunc_f32_e32 v2, v2
	v_mul_f32_e64 v3, |v2|, s16
	v_floor_f32_e32 v3, v3
	s_mov_b32 s16, 0xcf800000
	v_fma_f32 v4, v3, s16, |v2|
	v_cvt_u32_f32_e32 v4, v4
	v_cvt_u32_f32_e32 v3, v3
	v_ashrrev_i32_e32 v5, 31, v2
	v_xor_b32_e32 v2, v4, v5
	v_xor_b32_e32 v3, v3, v5
	v_sub_co_u32_e32 v2, vcc, v2, v5
	s_nop 1
	v_subb_co_u32_e32 v3, vcc, v3, v5, vcc
.LBB304_163:
	s_or_b64 exec, exec, s[0:1]
.LBB304_164:
	s_mov_b64 s[0:1], -1
.LBB304_165:
	s_branch .LBB304_198
.LBB304_166:
	s_cmp_gt_i32 s22, 22
	s_cbranch_scc0 .LBB304_174
; %bb.167:
	s_cmp_lt_i32 s22, 24
	s_cbranch_scc1 .LBB304_177
; %bb.168:
	s_cmp_gt_i32 s22, 24
	s_cbranch_scc0 .LBB304_178
; %bb.169:
	global_load_ubyte v4, v[0:1], off
	s_movk_i32 s0, 0x7f
	s_mov_b64 s[16:17], 0
	s_waitcnt vmcnt(0)
	v_cmp_lt_i16_e32 vcc, s0, v4
	s_and_saveexec_b64 s[0:1], vcc
	s_xor_b64 s[0:1], exec, s[0:1]
	s_cbranch_execz .LBB304_190
; %bb.170:
	s_movk_i32 s16, 0x80
	v_cmp_ne_u16_e32 vcc, s16, v4
	s_and_b64 s[16:17], vcc, exec
	s_andn2_saveexec_b64 s[0:1], s[0:1]
	s_cbranch_execnz .LBB304_191
.LBB304_171:
	s_or_b64 exec, exec, s[0:1]
	v_mov_b64_e32 v[2:3], 0
	s_and_saveexec_b64 s[0:1], s[16:17]
	s_cbranch_execz .LBB304_173
.LBB304_172:
	v_and_b32_e32 v3, 0xffff, v4
	v_lshlrev_b32_e32 v2, 24, v4
	v_and_b32_e32 v4, 3, v3
	v_ffbh_u32_e32 v6, v4
	v_min_u32_e32 v6, 32, v6
	v_subrev_u32_e32 v7, 29, v6
	v_bfe_u32 v5, v3, 2, 5
	v_lshlrev_b32_e32 v3, v7, v3
	v_sub_u32_e32 v6, 30, v6
	v_and_b32_e32 v3, 3, v3
	v_cmp_eq_u32_e32 vcc, 0, v5
	v_and_b32_e32 v2, 0x80000000, v2
	s_mov_b32 s16, 0x2f800000
	v_cndmask_b32_e32 v5, v5, v6, vcc
	v_cndmask_b32_e32 v3, v4, v3, vcc
	v_mov_b32_e32 v4, 0x37800000
	v_lshlrev_b32_e32 v3, 21, v3
	v_lshl_add_u32 v4, v5, 23, v4
	v_or3_b32 v2, v2, v4, v3
	v_trunc_f32_e32 v2, v2
	v_mul_f32_e64 v3, |v2|, s16
	v_floor_f32_e32 v3, v3
	s_mov_b32 s16, 0xcf800000
	v_fma_f32 v4, v3, s16, |v2|
	v_cvt_u32_f32_e32 v4, v4
	v_cvt_u32_f32_e32 v3, v3
	v_ashrrev_i32_e32 v5, 31, v2
	v_xor_b32_e32 v2, v4, v5
	v_xor_b32_e32 v3, v3, v5
	v_sub_co_u32_e32 v2, vcc, v2, v5
	s_nop 1
	v_subb_co_u32_e32 v3, vcc, v3, v5, vcc
.LBB304_173:
	s_or_b64 exec, exec, s[0:1]
	s_mov_b64 s[0:1], 0
	s_branch .LBB304_179
.LBB304_174:
	s_mov_b64 s[16:17], -1
                                        ; implicit-def: $vgpr2_vgpr3
	s_branch .LBB304_185
.LBB304_175:
	s_andn2_saveexec_b64 s[0:1], s[0:1]
	s_cbranch_execz .LBB304_161
.LBB304_176:
	v_cmp_ne_u16_e32 vcc, 0, v4
	s_andn2_b64 s[16:17], s[16:17], exec
	s_and_b64 s[26:27], vcc, exec
	s_or_b64 s[16:17], s[16:17], s[26:27]
	s_or_b64 exec, exec, s[0:1]
	v_mov_b64_e32 v[2:3], 0
	s_and_saveexec_b64 s[0:1], s[16:17]
	s_cbranch_execnz .LBB304_162
	s_branch .LBB304_163
.LBB304_177:
	s_mov_b64 s[0:1], -1
                                        ; implicit-def: $vgpr2_vgpr3
	s_branch .LBB304_182
.LBB304_178:
	s_mov_b64 s[0:1], -1
                                        ; implicit-def: $vgpr2_vgpr3
.LBB304_179:
	s_and_b64 vcc, exec, s[0:1]
	s_cbranch_vccz .LBB304_181
; %bb.180:
	global_load_ubyte v2, v[0:1], off
	s_mov_b32 s0, 0x7f800000
	s_brev_b32 s1, 1
	s_mov_b32 s16, 0x2f800000
	s_mov_b32 s17, 0xcf800000
	s_waitcnt vmcnt(0)
	v_lshlrev_b32_e32 v2, 24, v2
	v_and_b32_e32 v3, 0x7f000000, v2
	v_ffbh_u32_e32 v4, v3
	v_min_u32_e32 v4, 32, v4
	v_sub_u32_e64 v4, v4, 4 clamp
	v_lshlrev_b32_e32 v6, v4, v3
	v_lshlrev_b32_e32 v4, 23, v4
	v_lshrrev_b32_e32 v6, 4, v6
	v_add_u32_e32 v5, 0x1000000, v3
	v_sub_u32_e32 v4, v6, v4
	v_ashrrev_i32_e32 v5, 8, v5
	v_add_u32_e32 v4, 0x3c000000, v4
	v_and_or_b32 v4, v5, s0, v4
	v_cmp_ne_u32_e32 vcc, 0, v3
	s_nop 1
	v_cndmask_b32_e32 v3, 0, v4, vcc
	v_and_or_b32 v2, v2, s1, v3
	v_trunc_f32_e32 v2, v2
	v_mul_f32_e64 v3, |v2|, s16
	v_floor_f32_e32 v3, v3
	v_fma_f32 v4, v3, s17, |v2|
	v_cvt_u32_f32_e32 v4, v4
	v_cvt_u32_f32_e32 v3, v3
	v_ashrrev_i32_e32 v5, 31, v2
	v_xor_b32_e32 v2, v4, v5
	v_xor_b32_e32 v3, v3, v5
	v_sub_co_u32_e32 v2, vcc, v2, v5
	s_nop 1
	v_subb_co_u32_e32 v3, vcc, v3, v5, vcc
.LBB304_181:
	s_mov_b64 s[0:1], 0
.LBB304_182:
	s_andn2_b64 vcc, exec, s[0:1]
	s_cbranch_vccnz .LBB304_184
; %bb.183:
	global_load_ubyte v2, v[0:1], off
	s_movk_i32 s0, 0x7f00
	s_brev_b32 s1, 16
	s_brev_b32 s16, 1
	s_mov_b32 s17, 0x2f800000
	s_mov_b32 s23, 0xcf800000
	s_waitcnt vmcnt(0)
	v_lshlrev_b16_e32 v3, 8, v2
	v_lshlrev_b32_e32 v2, 25, v2
	v_lshrrev_b32_e32 v4, 4, v2
	v_and_or_b32 v5, v3, s0, 0.5
	v_or_b32_e32 v4, 0x70000000, v4
	v_add_f32_e32 v5, -0.5, v5
	v_mul_f32_e32 v4, 0x7800000, v4
	v_cmp_gt_u32_e32 vcc, s1, v2
	v_bfe_i32 v3, v3, 0, 16
	s_nop 0
	v_cndmask_b32_e32 v2, v4, v5, vcc
	v_and_or_b32 v2, v3, s16, v2
	v_trunc_f32_e32 v2, v2
	v_mul_f32_e64 v3, |v2|, s17
	v_floor_f32_e32 v3, v3
	v_fma_f32 v4, v3, s23, |v2|
	v_cvt_u32_f32_e32 v4, v4
	v_cvt_u32_f32_e32 v3, v3
	v_ashrrev_i32_e32 v5, 31, v2
	v_xor_b32_e32 v2, v4, v5
	v_xor_b32_e32 v3, v3, v5
	v_sub_co_u32_e32 v2, vcc, v2, v5
	s_nop 1
	v_subb_co_u32_e32 v3, vcc, v3, v5, vcc
.LBB304_184:
	s_mov_b64 s[16:17], 0
	s_mov_b64 s[0:1], -1
.LBB304_185:
	s_andn2_b64 vcc, exec, s[16:17]
	s_cbranch_vccnz .LBB304_198
; %bb.186:
	s_cmp_gt_i32 s22, 14
	s_cbranch_scc0 .LBB304_189
; %bb.187:
	s_cmp_eq_u32 s22, 15
	s_cbranch_scc0 .LBB304_192
; %bb.188:
	global_load_ushort v2, v[0:1], off
	s_mov_b32 s0, 0x2f800000
	s_mov_b32 s1, 0xcf800000
	s_mov_b64 s[18:19], 0
	s_waitcnt vmcnt(0)
	v_lshlrev_b32_e32 v2, 16, v2
	v_trunc_f32_e32 v2, v2
	v_mul_f32_e64 v3, |v2|, s0
	v_floor_f32_e32 v3, v3
	v_fma_f32 v4, v3, s1, |v2|
	v_cvt_u32_f32_e32 v4, v4
	v_cvt_u32_f32_e32 v3, v3
	v_ashrrev_i32_e32 v5, 31, v2
	s_mov_b64 s[0:1], -1
	v_xor_b32_e32 v2, v4, v5
	v_xor_b32_e32 v3, v3, v5
	v_sub_co_u32_e32 v2, vcc, v2, v5
	s_nop 1
	v_subb_co_u32_e32 v3, vcc, v3, v5, vcc
	s_branch .LBB304_193
.LBB304_189:
	s_mov_b64 s[16:17], -1
                                        ; implicit-def: $vgpr2_vgpr3
	s_branch .LBB304_194
.LBB304_190:
	s_andn2_saveexec_b64 s[0:1], s[0:1]
	s_cbranch_execz .LBB304_171
.LBB304_191:
	v_cmp_ne_u16_e32 vcc, 0, v4
	s_andn2_b64 s[16:17], s[16:17], exec
	s_and_b64 s[26:27], vcc, exec
	s_or_b64 s[16:17], s[16:17], s[26:27]
	s_or_b64 exec, exec, s[0:1]
	v_mov_b64_e32 v[2:3], 0
	s_and_saveexec_b64 s[0:1], s[16:17]
	s_cbranch_execnz .LBB304_172
	s_branch .LBB304_173
.LBB304_192:
	s_mov_b64 s[18:19], -1
                                        ; implicit-def: $vgpr2_vgpr3
.LBB304_193:
	s_mov_b64 s[16:17], 0
.LBB304_194:
	s_and_b64 vcc, exec, s[16:17]
	s_cbranch_vccz .LBB304_198
; %bb.195:
	s_cmp_eq_u32 s22, 11
	s_cbranch_scc0 .LBB304_197
; %bb.196:
	global_load_ubyte v2, v[0:1], off
	s_mov_b32 s16, 0
	s_mov_b64 s[0:1], -1
	s_waitcnt vmcnt(1)
	v_mov_b32_e32 v3, s16
	s_mov_b64 s[18:19], 0
	s_waitcnt vmcnt(0)
	v_cmp_ne_u16_e32 vcc, 0, v2
	s_nop 1
	v_cndmask_b32_e64 v2, 0, 1, vcc
	s_branch .LBB304_198
.LBB304_197:
	s_mov_b64 s[18:19], -1
                                        ; implicit-def: $vgpr2_vgpr3
.LBB304_198:
	s_branch .LBB304_10
.LBB304_199:
	s_cmp_lt_i32 s22, 5
	s_cbranch_scc1 .LBB304_204
; %bb.200:
	s_cmp_lt_i32 s22, 8
	s_cbranch_scc1 .LBB304_205
; %bb.201:
	;; [unrolled: 3-line block ×3, first 2 shown]
	s_cmp_gt_i32 s22, 9
	s_cbranch_scc0 .LBB304_207
; %bb.203:
	global_load_dwordx2 v[2:3], v[0:1], off
	s_movk_i32 s0, 0xffe0
	s_waitcnt vmcnt(0)
	v_trunc_f64_e32 v[4:5], v[2:3]
	v_ldexp_f64 v[2:3], v[4:5], s0
	v_floor_f64_e32 v[6:7], v[2:3]
	v_fmac_f64_e32 v[4:5], 0xc1f00000, v[6:7]
	v_cvt_i32_f64_e32 v3, v[6:7]
	v_cvt_u32_f64_e32 v2, v[4:5]
	s_mov_b64 s[0:1], 0
	s_branch .LBB304_208
.LBB304_204:
                                        ; implicit-def: $vgpr2_vgpr3
	s_branch .LBB304_226
.LBB304_205:
	s_mov_b64 s[0:1], -1
                                        ; implicit-def: $vgpr2_vgpr3
	s_branch .LBB304_214
.LBB304_206:
	s_mov_b64 s[0:1], -1
                                        ; implicit-def: $vgpr2_vgpr3
	s_branch .LBB304_211
.LBB304_207:
	s_mov_b64 s[0:1], -1
                                        ; implicit-def: $vgpr2_vgpr3
.LBB304_208:
	s_andn2_b64 vcc, exec, s[0:1]
	s_cbranch_vccnz .LBB304_210
; %bb.209:
	global_load_dword v2, v[0:1], off
	s_mov_b32 s0, 0x2f800000
	s_mov_b32 s1, 0xcf800000
	s_waitcnt vmcnt(0)
	v_trunc_f32_e32 v2, v2
	v_mul_f32_e64 v3, |v2|, s0
	v_floor_f32_e32 v3, v3
	v_cvt_u32_f32_e32 v4, v3
	v_fma_f32 v3, v3, s1, |v2|
	v_cvt_u32_f32_e32 v3, v3
	v_ashrrev_i32_e32 v5, 31, v2
	v_xor_b32_e32 v4, v4, v5
	v_xor_b32_e32 v2, v3, v5
	v_sub_co_u32_e32 v2, vcc, v2, v5
	s_nop 1
	v_subb_co_u32_e32 v3, vcc, v4, v5, vcc
.LBB304_210:
	s_mov_b64 s[0:1], 0
.LBB304_211:
	s_andn2_b64 vcc, exec, s[0:1]
	s_cbranch_vccnz .LBB304_213
; %bb.212:
	global_load_dword v2, v[0:1], off
	s_waitcnt vmcnt(0)
	v_cvt_f32_f16_e32 v2, v2
	v_cvt_i32_f32_e32 v2, v2
	v_ashrrev_i32_e32 v3, 31, v2
.LBB304_213:
	s_mov_b64 s[0:1], 0
.LBB304_214:
	s_andn2_b64 vcc, exec, s[0:1]
	s_cbranch_vccnz .LBB304_225
; %bb.215:
	s_cmp_lt_i32 s22, 6
	s_cbranch_scc1 .LBB304_218
; %bb.216:
	s_cmp_gt_i32 s22, 6
	s_cbranch_scc0 .LBB304_219
; %bb.217:
	global_load_dwordx2 v[2:3], v[0:1], off
	s_movk_i32 s0, 0xffe0
	s_waitcnt vmcnt(0)
	v_trunc_f64_e32 v[4:5], v[2:3]
	v_ldexp_f64 v[2:3], v[4:5], s0
	v_floor_f64_e32 v[6:7], v[2:3]
	v_fmac_f64_e32 v[4:5], 0xc1f00000, v[6:7]
	v_cvt_i32_f64_e32 v3, v[6:7]
	v_cvt_u32_f64_e32 v2, v[4:5]
	s_mov_b64 s[0:1], 0
	s_branch .LBB304_220
.LBB304_218:
	s_mov_b64 s[0:1], -1
                                        ; implicit-def: $vgpr2_vgpr3
	s_branch .LBB304_223
.LBB304_219:
	s_mov_b64 s[0:1], -1
                                        ; implicit-def: $vgpr2_vgpr3
.LBB304_220:
	s_andn2_b64 vcc, exec, s[0:1]
	s_cbranch_vccnz .LBB304_222
; %bb.221:
	global_load_dword v2, v[0:1], off
	s_mov_b32 s0, 0x2f800000
	s_mov_b32 s1, 0xcf800000
	s_waitcnt vmcnt(0)
	v_trunc_f32_e32 v2, v2
	v_mul_f32_e64 v3, |v2|, s0
	v_floor_f32_e32 v3, v3
	v_cvt_u32_f32_e32 v4, v3
	v_fma_f32 v3, v3, s1, |v2|
	v_cvt_u32_f32_e32 v3, v3
	v_ashrrev_i32_e32 v5, 31, v2
	v_xor_b32_e32 v4, v4, v5
	v_xor_b32_e32 v2, v3, v5
	v_sub_co_u32_e32 v2, vcc, v2, v5
	s_nop 1
	v_subb_co_u32_e32 v3, vcc, v4, v5, vcc
.LBB304_222:
	s_mov_b64 s[0:1], 0
.LBB304_223:
	s_andn2_b64 vcc, exec, s[0:1]
	s_cbranch_vccnz .LBB304_225
; %bb.224:
	global_load_ushort v2, v[0:1], off
	s_waitcnt vmcnt(0)
	v_cvt_f32_f16_e32 v2, v2
	v_cvt_i32_f32_e32 v2, v2
	v_ashrrev_i32_e32 v3, 31, v2
.LBB304_225:
	s_cbranch_execnz .LBB304_245
.LBB304_226:
	s_cmp_lt_i32 s22, 2
	s_cbranch_scc1 .LBB304_230
; %bb.227:
	s_cmp_lt_i32 s22, 3
	s_cbranch_scc1 .LBB304_231
; %bb.228:
	s_cmp_gt_i32 s22, 3
	s_cbranch_scc0 .LBB304_232
; %bb.229:
	global_load_dwordx2 v[2:3], v[0:1], off
	s_mov_b64 s[0:1], 0
	s_branch .LBB304_233
.LBB304_230:
	s_mov_b64 s[0:1], -1
                                        ; implicit-def: $vgpr2_vgpr3
	s_branch .LBB304_239
.LBB304_231:
	s_mov_b64 s[0:1], -1
                                        ; implicit-def: $vgpr2_vgpr3
	s_branch .LBB304_236
.LBB304_232:
	s_mov_b64 s[0:1], -1
                                        ; implicit-def: $vgpr2_vgpr3
.LBB304_233:
	s_andn2_b64 vcc, exec, s[0:1]
	s_cbranch_vccnz .LBB304_235
; %bb.234:
	global_load_dword v2, v[0:1], off
	s_waitcnt vmcnt(0)
	v_ashrrev_i32_e32 v3, 31, v2
.LBB304_235:
	s_mov_b64 s[0:1], 0
.LBB304_236:
	s_andn2_b64 vcc, exec, s[0:1]
	s_cbranch_vccnz .LBB304_238
; %bb.237:
	global_load_ushort v2, v[0:1], off
	s_waitcnt vmcnt(0)
	v_bfe_i32 v2, v2, 0, 16
	v_ashrrev_i32_e32 v3, 31, v2
.LBB304_238:
	s_mov_b64 s[0:1], 0
.LBB304_239:
	s_andn2_b64 vcc, exec, s[0:1]
	s_cbranch_vccnz .LBB304_245
; %bb.240:
	s_cmp_gt_i32 s22, 0
	s_cbranch_scc0 .LBB304_242
; %bb.241:
	global_load_sbyte v2, v[0:1], off
	s_mov_b64 s[0:1], 0
	s_waitcnt vmcnt(0)
	v_bfe_i32 v2, v2, 0, 16
	v_ashrrev_i32_e32 v3, 31, v2
	s_branch .LBB304_243
.LBB304_242:
	s_mov_b64 s[0:1], -1
                                        ; implicit-def: $vgpr2_vgpr3
.LBB304_243:
	s_andn2_b64 vcc, exec, s[0:1]
	s_cbranch_vccnz .LBB304_245
; %bb.244:
	global_load_ubyte v0, v[0:1], off
	s_mov_b32 s0, 0
	s_waitcnt vmcnt(1)
	v_mov_b32_e32 v3, s0
	s_waitcnt vmcnt(0)
	v_and_b32_e32 v2, 0xffff, v0
.LBB304_245:
	s_branch .LBB304_11
.LBB304_246:
	s_mov_b64 s[0:1], 0
                                        ; implicit-def: $vgpr10
	s_mov_b64 s[22:23], 0
.LBB304_247:
	s_and_b64 s[16:17], s[0:1], exec
	s_and_b64 s[18:19], s[18:19], exec
	s_orn2_b64 s[22:23], s[22:23], exec
.LBB304_248:
	s_or_b64 exec, exec, s[20:21]
	s_mov_b64 s[26:27], 0
	s_mov_b64 s[0:1], 0
                                        ; implicit-def: $vgpr0_vgpr1
                                        ; implicit-def: $vgpr4_vgpr5
	s_and_saveexec_b64 s[20:21], s[22:23]
	s_cbranch_execz .LBB304_257
; %bb.249:
	v_cmp_gt_i32_e32 vcc, s42, v10
	s_mov_b64 s[0:1], -1
	s_mov_b64 s[22:23], s[18:19]
	s_mov_b64 s[24:25], s[16:17]
	s_and_saveexec_b64 s[26:27], vcc
	s_cbranch_execz .LBB304_505
; %bb.250:
	v_mul_lo_u32 v0, v10, s13
	v_ashrrev_i32_e32 v1, 31, v0
	s_and_b32 s28, 0xffff, s46
	s_cmp_lt_i32 s28, 11
	v_lshl_add_u64 v[0:1], s[6:7], 0, v[0:1]
	s_cbranch_scc1 .LBB304_260
; %bb.251:
	s_cmp_gt_i32 s28, 25
	s_cbranch_scc0 .LBB304_269
; %bb.252:
	s_cmp_gt_i32 s28, 28
	s_cbranch_scc0 .LBB304_271
	;; [unrolled: 3-line block ×4, first 2 shown]
; %bb.255:
	s_cmp_eq_u32 s28, 46
	s_mov_b64 s[24:25], 0
	s_cbranch_scc0 .LBB304_281
; %bb.256:
	global_load_dword v2, v[0:1], off
	s_mov_b32 s0, 0x2f800000
	s_mov_b32 s1, 0xcf800000
	s_mov_b64 s[22:23], 0
	s_waitcnt vmcnt(0)
	v_lshlrev_b32_e32 v2, 16, v2
	v_trunc_f32_e32 v2, v2
	v_mul_f32_e64 v3, |v2|, s0
	v_floor_f32_e32 v3, v3
	v_fma_f32 v4, v3, s1, |v2|
	v_cvt_u32_f32_e32 v4, v4
	v_cvt_u32_f32_e32 v3, v3
	v_ashrrev_i32_e32 v5, 31, v2
	s_mov_b64 s[0:1], -1
	v_xor_b32_e32 v2, v4, v5
	v_xor_b32_e32 v3, v3, v5
	v_sub_co_u32_e32 v2, vcc, v2, v5
	s_nop 1
	v_subb_co_u32_e32 v3, vcc, v3, v5, vcc
	s_branch .LBB304_282
.LBB304_257:
	s_or_b64 exec, exec, s[20:21]
	s_mov_b64 s[20:21], 0
	s_and_saveexec_b64 s[22:23], s[18:19]
	s_cbranch_execnz .LBB304_843
.LBB304_258:
	s_or_b64 exec, exec, s[22:23]
	s_and_saveexec_b64 s[18:19], s[24:25]
	s_xor_b64 s[18:19], exec, s[18:19]
	s_cbranch_execz .LBB304_844
.LBB304_259:
	global_load_ubyte v2, v[0:1], off
	s_mov_b32 s22, 0
	s_waitcnt vmcnt(1)
	v_mov_b32_e32 v5, s22
	s_or_b64 s[0:1], s[0:1], exec
	s_waitcnt vmcnt(0)
	v_cmp_ne_u16_e32 vcc, 0, v2
	s_nop 1
	v_cndmask_b32_e64 v4, 0, 1, vcc
	s_or_b64 exec, exec, s[18:19]
	s_and_saveexec_b64 s[18:19], s[26:27]
	s_cbranch_execz .LBB304_890
	s_branch .LBB304_845
.LBB304_260:
	s_mov_b64 s[0:1], 0
                                        ; implicit-def: $vgpr2_vgpr3
	s_mov_b64 s[22:23], s[18:19]
	s_cbranch_execnz .LBB304_455
.LBB304_261:
	s_andn2_b64 vcc, exec, s[0:1]
	s_cbranch_vccnz .LBB304_503
.LBB304_262:
	v_mov_b32_e32 v0, s9
	s_waitcnt vmcnt(0)
	v_cmp_lt_i64_e32 vcc, s[8:9], v[2:3]
	s_and_b32 s34, s33, 0xff
	s_cmp_lt_i32 s34, 11
	v_cndmask_b32_e32 v1, v0, v3, vcc
	v_mov_b32_e32 v0, s8
	v_cndmask_b32_e32 v0, v0, v2, vcc
	v_mov_b32_e32 v2, s11
	v_cmp_gt_i64_e32 vcc, s[10:11], v[0:1]
	s_nop 1
	v_cndmask_b32_e32 v1, v2, v1, vcc
	v_mov_b32_e32 v2, s10
	v_cndmask_b32_e32 v0, v2, v0, vcc
	v_mul_lo_u32 v2, v10, s12
	v_ashrrev_i32_e32 v3, 31, v2
	v_lshl_add_u64 v[2:3], s[4:5], 0, v[2:3]
	s_cbranch_scc1 .LBB304_270
; %bb.263:
	s_and_b32 s35, 0xffff, s34
	s_cmp_gt_i32 s35, 25
	s_cbranch_scc0 .LBB304_272
; %bb.264:
	s_cmp_gt_i32 s35, 28
	s_cbranch_scc0 .LBB304_274
; %bb.265:
	;; [unrolled: 3-line block ×4, first 2 shown]
	s_mov_b64 s[28:29], 0
	s_mov_b64 s[0:1], -1
	s_cmp_eq_u32 s35, 46
	s_mov_b64 s[24:25], 0
	s_cbranch_scc0 .LBB304_286
; %bb.268:
	v_xor_b32_e32 v5, v0, v1
	v_ffbh_i32_e32 v4, v1
	v_ashrrev_i32_e32 v5, 31, v5
	v_add_u32_e32 v4, -1, v4
	v_add_u32_e32 v5, 32, v5
	v_min_u32_e32 v6, v4, v5
	v_lshlrev_b64 v[4:5], v6, v[0:1]
	v_min_u32_e32 v4, 1, v4
	v_or_b32_e32 v4, v5, v4
	v_cvt_f32_i32_e32 v4, v4
	v_sub_u32_e32 v5, 32, v6
	s_movk_i32 s0, 0x7fff
	s_mov_b64 s[24:25], -1
	v_ldexp_f32 v4, v4, v5
	v_bfe_u32 v5, v4, 16, 1
	v_add3_u32 v4, v4, v5, s0
	v_lshrrev_b32_e32 v4, 16, v4
	global_store_dword v[2:3], v4, off
	s_mov_b64 s[0:1], 0
	s_branch .LBB304_286
.LBB304_269:
	s_mov_b64 s[24:25], -1
	s_mov_b64 s[0:1], 0
	s_mov_b64 s[22:23], s[18:19]
                                        ; implicit-def: $vgpr2_vgpr3
	s_branch .LBB304_421
.LBB304_270:
	s_mov_b64 s[28:29], -1
	s_mov_b64 s[24:25], 0
	s_mov_b64 s[0:1], s[16:17]
	s_branch .LBB304_355
.LBB304_271:
	s_mov_b64 s[24:25], -1
	s_mov_b64 s[0:1], 0
	s_mov_b64 s[22:23], s[18:19]
                                        ; implicit-def: $vgpr2_vgpr3
	s_branch .LBB304_404
.LBB304_272:
	s_mov_b64 s[28:29], -1
	s_mov_b64 s[24:25], 0
	s_mov_b64 s[0:1], s[16:17]
	s_branch .LBB304_313
.LBB304_273:
	s_mov_b64 s[24:25], -1
	s_mov_b64 s[0:1], 0
	s_mov_b64 s[22:23], s[18:19]
                                        ; implicit-def: $vgpr2_vgpr3
	s_branch .LBB304_399
.LBB304_274:
	s_mov_b64 s[28:29], -1
	s_mov_b64 s[24:25], 0
	s_mov_b64 s[0:1], s[16:17]
	s_branch .LBB304_296
.LBB304_275:
	s_andn2_saveexec_b64 s[26:27], s[26:27]
	s_cbranch_execz .LBB304_55
.LBB304_276:
	s_mov_b32 s30, 0x46000000
	v_add_f32_e64 v5, |v4|, s30
	v_and_b32_e32 v5, 0xff, v5
	v_cmp_ne_u32_e32 vcc, 0, v5
	s_andn2_b64 s[22:23], s[22:23], exec
	s_and_b64 s[30:31], vcc, exec
	s_or_b64 s[22:23], s[22:23], s[30:31]
	s_or_b64 exec, exec, s[26:27]
	v_mov_b32_e32 v6, 0
	s_and_saveexec_b64 s[26:27], s[22:23]
	s_cbranch_execnz .LBB304_56
	s_branch .LBB304_57
.LBB304_277:
	s_mov_b64 s[24:25], -1
	s_mov_b64 s[0:1], 0
	s_mov_b64 s[22:23], s[18:19]
                                        ; implicit-def: $vgpr2_vgpr3
	s_branch .LBB304_282
.LBB304_278:
	s_mov_b64 s[28:29], -1
	s_mov_b64 s[24:25], 0
	s_mov_b64 s[0:1], s[16:17]
	s_branch .LBB304_292
.LBB304_279:
	s_andn2_saveexec_b64 s[26:27], s[26:27]
	s_cbranch_execz .LBB304_68
.LBB304_280:
	s_mov_b32 s30, 0x42800000
	v_add_f32_e64 v5, |v4|, s30
	v_and_b32_e32 v5, 0xff, v5
	v_cmp_ne_u32_e32 vcc, 0, v5
	s_andn2_b64 s[22:23], s[22:23], exec
	s_and_b64 s[30:31], vcc, exec
	s_or_b64 s[22:23], s[22:23], s[30:31]
	s_or_b64 exec, exec, s[26:27]
	v_mov_b32_e32 v6, 0
	s_and_saveexec_b64 s[26:27], s[22:23]
	s_cbranch_execnz .LBB304_69
	s_branch .LBB304_70
.LBB304_281:
	s_mov_b64 s[22:23], -1
                                        ; implicit-def: $vgpr2_vgpr3
	s_mov_b64 s[0:1], 0
.LBB304_282:
	s_and_b64 vcc, exec, s[24:25]
	s_cbranch_vccz .LBB304_398
; %bb.283:
	s_cmp_eq_u32 s28, 44
	s_cbranch_scc0 .LBB304_397
; %bb.284:
	global_load_ubyte v2, v[0:1], off
	s_mov_b32 s0, 0x2f800000
	s_mov_b32 s1, 0xcf800000
	s_mov_b64 s[22:23], 0
	s_waitcnt vmcnt(0)
	v_lshlrev_b32_e32 v3, 23, v2
	v_trunc_f32_e32 v3, v3
	v_mul_f32_e64 v4, |v3|, s0
	v_floor_f32_e32 v4, v4
	v_fma_f32 v5, v4, s1, |v3|
	v_cvt_u32_f32_e32 v5, v5
	v_cvt_u32_f32_e32 v4, v4
	v_ashrrev_i32_e32 v3, 31, v3
	s_mov_b64 s[0:1], -1
	v_xor_b32_e32 v5, v5, v3
	v_xor_b32_e32 v4, v4, v3
	v_sub_co_u32_e32 v5, vcc, v5, v3
	s_nop 1
	v_subb_co_u32_e32 v3, vcc, v4, v3, vcc
	v_cmp_ne_u32_e32 vcc, 0, v2
	s_nop 1
	v_cndmask_b32_e32 v3, 0, v3, vcc
	v_cndmask_b32_e32 v2, 0, v5, vcc
	s_branch .LBB304_398
.LBB304_285:
	s_mov_b64 s[28:29], -1
	s_mov_b64 s[24:25], 0
	s_mov_b64 s[0:1], s[16:17]
.LBB304_286:
	s_and_b64 vcc, exec, s[28:29]
	s_cbranch_vccz .LBB304_291
; %bb.287:
	s_cmp_eq_u32 s35, 44
	s_mov_b64 s[0:1], -1
	s_cbranch_scc0 .LBB304_291
; %bb.288:
	v_xor_b32_e32 v5, v0, v1
	v_ffbh_i32_e32 v4, v1
	v_ashrrev_i32_e32 v5, 31, v5
	v_add_u32_e32 v4, -1, v4
	v_add_u32_e32 v5, 32, v5
	v_min_u32_e32 v6, v4, v5
	v_lshlrev_b64 v[4:5], v6, v[0:1]
	v_min_u32_e32 v4, 1, v4
	v_or_b32_e32 v4, v5, v4
	v_cvt_f32_i32_e32 v4, v4
	v_sub_u32_e32 v5, 32, v6
	s_movk_i32 s0, 0xff
	v_mov_b32_e32 v6, 0xff
	v_ldexp_f32 v4, v4, v5
	v_bfe_u32 v5, v4, 23, 8
	v_cmp_ne_u32_e32 vcc, s0, v5
	s_and_saveexec_b64 s[24:25], vcc
; %bb.289:
	s_mov_b32 s0, 0x3fffff
	v_lshrrev_b32_e32 v6, 23, v4
	v_and_b32_e32 v7, 0x400000, v4
	v_and_or_b32 v4, v4, s0, v5
	v_cmp_ne_u32_e32 vcc, 0, v7
	v_cmp_ne_u32_e64 s[0:1], 0, v4
	s_and_b64 s[0:1], vcc, s[0:1]
	s_nop 0
	v_cndmask_b32_e64 v4, 0, 1, s[0:1]
	v_add_u32_e32 v6, v6, v4
; %bb.290:
	s_or_b64 exec, exec, s[24:25]
	s_mov_b64 s[24:25], -1
	s_mov_b64 s[0:1], 0
	global_store_byte v[2:3], v6, off
.LBB304_291:
	s_mov_b64 s[28:29], 0
.LBB304_292:
	s_and_b64 vcc, exec, s[28:29]
	s_cbranch_vccz .LBB304_295
; %bb.293:
	s_cmp_eq_u32 s35, 29
	s_mov_b64 s[0:1], -1
	s_cbranch_scc0 .LBB304_295
; %bb.294:
	global_store_dwordx2 v[2:3], v[0:1], off
	s_mov_b64 s[24:25], -1
	s_mov_b64 s[0:1], 0
.LBB304_295:
	s_mov_b64 s[28:29], 0
.LBB304_296:
	s_and_b64 vcc, exec, s[28:29]
	s_cbranch_vccz .LBB304_312
; %bb.297:
	s_cmp_lt_i32 s35, 27
	s_mov_b64 s[24:25], -1
	s_cbranch_scc1 .LBB304_303
; %bb.298:
	s_cmp_gt_i32 s35, 27
	s_cbranch_scc0 .LBB304_300
; %bb.299:
	s_mov_b64 s[24:25], 0
	global_store_dword v[2:3], v0, off
.LBB304_300:
	s_andn2_b64 vcc, exec, s[24:25]
	s_cbranch_vccnz .LBB304_302
; %bb.301:
	global_store_short v[2:3], v0, off
.LBB304_302:
	s_mov_b64 s[24:25], 0
.LBB304_303:
	s_andn2_b64 vcc, exec, s[24:25]
	s_cbranch_vccnz .LBB304_311
; %bb.304:
	v_xor_b32_e32 v5, v0, v1
	v_ffbh_i32_e32 v4, v1
	v_ashrrev_i32_e32 v5, 31, v5
	v_add_u32_e32 v4, -1, v4
	v_add_u32_e32 v5, 32, v5
	v_min_u32_e32 v6, v4, v5
	v_lshlrev_b64 v[4:5], v6, v[0:1]
	v_min_u32_e32 v4, 1, v4
	v_or_b32_e32 v4, v5, v4
	v_cvt_f32_i32_e32 v4, v4
	v_sub_u32_e32 v5, 32, v6
	s_mov_b32 s24, 0x43800000
	v_mov_b32_e32 v6, 0x80
	v_ldexp_f32 v4, v4, v5
	v_and_b32_e32 v5, 0x7fffffff, v4
	v_cmp_gt_u32_e32 vcc, s24, v5
	s_and_saveexec_b64 s[24:25], vcc
	s_cbranch_execz .LBB304_310
; %bb.305:
	s_mov_b32 s28, 0x3bffffff
	v_cmp_lt_u32_e32 vcc, s28, v5
	s_mov_b64 s[28:29], 0
                                        ; implicit-def: $vgpr5
	s_and_saveexec_b64 s[30:31], vcc
	s_xor_b64 s[30:31], exec, s[30:31]
	s_cbranch_execz .LBB304_518
; %bb.306:
	v_bfe_u32 v5, v4, 20, 1
	s_mov_b32 s36, 0x487ffff
	v_add3_u32 v5, v4, v5, s36
	s_mov_b64 s[28:29], exec
	v_lshrrev_b32_e32 v5, 20, v5
	s_andn2_saveexec_b64 s[30:31], s[30:31]
	s_cbranch_execnz .LBB304_519
.LBB304_307:
	s_or_b64 exec, exec, s[30:31]
	v_mov_b32_e32 v6, 0
	s_and_saveexec_b64 s[30:31], s[28:29]
.LBB304_308:
	v_lshrrev_b32_e32 v4, 24, v4
	s_movk_i32 s28, 0x80
	v_and_or_b32 v6, v4, s28, v5
.LBB304_309:
	s_or_b64 exec, exec, s[30:31]
.LBB304_310:
	s_or_b64 exec, exec, s[24:25]
	global_store_byte v[2:3], v6, off
.LBB304_311:
	s_mov_b64 s[24:25], -1
.LBB304_312:
	s_mov_b64 s[28:29], 0
.LBB304_313:
	s_and_b64 vcc, exec, s[28:29]
	s_cbranch_vccz .LBB304_354
; %bb.314:
	s_cmp_gt_i32 s35, 22
	s_mov_b64 s[28:29], -1
	s_cbranch_scc0 .LBB304_346
; %bb.315:
	s_cmp_lt_i32 s35, 24
	s_mov_b64 s[24:25], -1
	s_cbranch_scc1 .LBB304_335
; %bb.316:
	s_cmp_gt_i32 s35, 24
	s_cbranch_scc0 .LBB304_324
; %bb.317:
	v_xor_b32_e32 v5, v0, v1
	v_ffbh_i32_e32 v4, v1
	v_ashrrev_i32_e32 v5, 31, v5
	v_add_u32_e32 v4, -1, v4
	v_add_u32_e32 v5, 32, v5
	v_min_u32_e32 v6, v4, v5
	v_lshlrev_b64 v[4:5], v6, v[0:1]
	v_min_u32_e32 v4, 1, v4
	v_or_b32_e32 v4, v5, v4
	v_cvt_f32_i32_e32 v4, v4
	v_sub_u32_e32 v5, 32, v6
	s_mov_b32 s24, 0x47800000
	v_mov_b32_e32 v6, 0x80
	v_ldexp_f32 v4, v4, v5
	v_and_b32_e32 v5, 0x7fffffff, v4
	v_cmp_gt_u32_e32 vcc, s24, v5
	s_and_saveexec_b64 s[24:25], vcc
	s_cbranch_execz .LBB304_323
; %bb.318:
	s_mov_b32 s28, 0x37ffffff
	v_cmp_lt_u32_e32 vcc, s28, v5
	s_mov_b64 s[28:29], 0
                                        ; implicit-def: $vgpr5
	s_and_saveexec_b64 s[30:31], vcc
	s_xor_b64 s[30:31], exec, s[30:31]
	s_cbranch_execz .LBB304_521
; %bb.319:
	v_bfe_u32 v5, v4, 21, 1
	s_mov_b32 s36, 0x88fffff
	v_add3_u32 v5, v4, v5, s36
	s_mov_b64 s[28:29], exec
	v_lshrrev_b32_e32 v5, 21, v5
	s_andn2_saveexec_b64 s[30:31], s[30:31]
	s_cbranch_execnz .LBB304_522
.LBB304_320:
	s_or_b64 exec, exec, s[30:31]
	v_mov_b32_e32 v6, 0
	s_and_saveexec_b64 s[30:31], s[28:29]
.LBB304_321:
	v_lshrrev_b32_e32 v4, 24, v4
	s_movk_i32 s28, 0x80
	v_and_or_b32 v6, v4, s28, v5
.LBB304_322:
	s_or_b64 exec, exec, s[30:31]
.LBB304_323:
	s_or_b64 exec, exec, s[24:25]
	s_mov_b64 s[24:25], 0
	global_store_byte v[2:3], v6, off
.LBB304_324:
	s_and_b64 vcc, exec, s[24:25]
	s_cbranch_vccz .LBB304_334
; %bb.325:
	v_xor_b32_e32 v5, v0, v1
	v_ffbh_i32_e32 v4, v1
	v_ashrrev_i32_e32 v5, 31, v5
	v_add_u32_e32 v4, -1, v4
	v_add_u32_e32 v5, 32, v5
	v_min_u32_e32 v6, v4, v5
	v_lshlrev_b64 v[4:5], v6, v[0:1]
	v_min_u32_e32 v4, 1, v4
	v_or_b32_e32 v4, v5, v4
	v_cvt_f32_i32_e32 v4, v4
	v_sub_u32_e32 v5, 32, v6
	s_mov_b32 s24, 0x43f00000
	v_ldexp_f32 v4, v4, v5
	v_and_b32_e32 v6, 0x7fffffff, v4
	v_cmp_gt_u32_e32 vcc, s24, v6
                                        ; implicit-def: $vgpr5
	s_and_saveexec_b64 s[24:25], vcc
	s_xor_b64 s[24:25], exec, s[24:25]
	s_cbranch_execz .LBB304_331
; %bb.326:
	s_mov_b32 s28, 0x3c7fffff
	v_cmp_lt_u32_e32 vcc, s28, v6
                                        ; implicit-def: $vgpr5
	s_and_saveexec_b64 s[28:29], vcc
	s_xor_b64 s[28:29], exec, s[28:29]
; %bb.327:
	v_bfe_u32 v5, v4, 20, 1
	s_mov_b32 s30, 0x407ffff
	v_add3_u32 v5, v4, v5, s30
	v_lshrrev_b32_e32 v6, 20, v5
	v_and_b32_e32 v5, 0xff00000, v5
	s_mov_b32 s30, 0x7f00000
	v_mov_b32_e32 v7, 0x7e
	v_cmp_ne_u32_e32 vcc, s30, v5
	s_nop 1
	v_cndmask_b32_e32 v5, v7, v6, vcc
; %bb.328:
	s_andn2_saveexec_b64 s[28:29], s[28:29]
; %bb.329:
	s_mov_b32 s30, 0x46800000
	v_add_f32_e64 v5, |v4|, s30
; %bb.330:
	s_or_b64 exec, exec, s[28:29]
                                        ; implicit-def: $vgpr6
.LBB304_331:
	s_andn2_saveexec_b64 s[24:25], s[24:25]
; %bb.332:
	s_mov_b32 s28, 0x7f800000
	v_mov_b32_e32 v5, 0x7e
	v_mov_b32_e32 v7, 0x7f
	v_cmp_lt_u32_e32 vcc, s28, v6
	s_nop 1
	v_cndmask_b32_e32 v5, v5, v7, vcc
; %bb.333:
	s_or_b64 exec, exec, s[24:25]
	v_lshrrev_b32_e32 v4, 24, v4
	s_movk_i32 s24, 0x80
	v_and_or_b32 v4, v4, s24, v5
	global_store_byte v[2:3], v4, off
.LBB304_334:
	s_mov_b64 s[24:25], 0
.LBB304_335:
	s_andn2_b64 vcc, exec, s[24:25]
	s_cbranch_vccnz .LBB304_345
; %bb.336:
	v_xor_b32_e32 v5, v0, v1
	v_ffbh_i32_e32 v4, v1
	v_ashrrev_i32_e32 v5, 31, v5
	v_add_u32_e32 v4, -1, v4
	v_add_u32_e32 v5, 32, v5
	v_min_u32_e32 v6, v4, v5
	v_lshlrev_b64 v[4:5], v6, v[0:1]
	v_min_u32_e32 v4, 1, v4
	v_or_b32_e32 v4, v5, v4
	v_cvt_f32_i32_e32 v4, v4
	v_sub_u32_e32 v5, 32, v6
	s_mov_b32 s24, 0x47800000
	v_ldexp_f32 v4, v4, v5
	v_and_b32_e32 v6, 0x7fffffff, v4
	v_cmp_gt_u32_e32 vcc, s24, v6
                                        ; implicit-def: $vgpr5
	s_and_saveexec_b64 s[24:25], vcc
	s_xor_b64 s[24:25], exec, s[24:25]
	s_cbranch_execz .LBB304_342
; %bb.337:
	s_mov_b32 s28, 0x387fffff
	v_cmp_lt_u32_e32 vcc, s28, v6
                                        ; implicit-def: $vgpr5
	s_and_saveexec_b64 s[28:29], vcc
	s_xor_b64 s[28:29], exec, s[28:29]
; %bb.338:
	v_bfe_u32 v5, v4, 21, 1
	s_mov_b32 s30, 0x80fffff
	v_add3_u32 v5, v4, v5, s30
	v_lshrrev_b32_e32 v5, 21, v5
; %bb.339:
	s_andn2_saveexec_b64 s[28:29], s[28:29]
; %bb.340:
	s_mov_b32 s30, 0x43000000
	v_add_f32_e64 v5, |v4|, s30
; %bb.341:
	s_or_b64 exec, exec, s[28:29]
                                        ; implicit-def: $vgpr6
.LBB304_342:
	s_andn2_saveexec_b64 s[24:25], s[24:25]
; %bb.343:
	s_mov_b32 s28, 0x7f800000
	v_mov_b32_e32 v5, 0x7c
	v_mov_b32_e32 v7, 0x7f
	v_cmp_lt_u32_e32 vcc, s28, v6
	s_nop 1
	v_cndmask_b32_e32 v5, v5, v7, vcc
; %bb.344:
	s_or_b64 exec, exec, s[24:25]
	v_lshrrev_b32_e32 v4, 24, v4
	s_movk_i32 s24, 0x80
	v_and_or_b32 v4, v4, s24, v5
	global_store_byte v[2:3], v4, off
.LBB304_345:
	s_mov_b64 s[28:29], 0
	s_mov_b64 s[24:25], -1
.LBB304_346:
	s_andn2_b64 vcc, exec, s[28:29]
	s_cbranch_vccnz .LBB304_354
; %bb.347:
	s_cmp_gt_i32 s35, 14
	s_mov_b64 s[28:29], -1
	s_cbranch_scc0 .LBB304_351
; %bb.348:
	s_cmp_eq_u32 s35, 15
	s_mov_b64 s[0:1], -1
	s_cbranch_scc0 .LBB304_350
; %bb.349:
	v_xor_b32_e32 v5, v0, v1
	v_ffbh_i32_e32 v4, v1
	v_ashrrev_i32_e32 v5, 31, v5
	v_add_u32_e32 v4, -1, v4
	v_add_u32_e32 v5, 32, v5
	v_min_u32_e32 v6, v4, v5
	v_lshlrev_b64 v[4:5], v6, v[0:1]
	v_min_u32_e32 v4, 1, v4
	v_or_b32_e32 v4, v5, v4
	v_cvt_f32_i32_e32 v4, v4
	v_sub_u32_e32 v5, 32, v6
	s_movk_i32 s0, 0x7fff
	s_mov_b64 s[24:25], -1
	v_ldexp_f32 v4, v4, v5
	v_bfe_u32 v5, v4, 16, 1
	v_add3_u32 v4, v4, v5, s0
	global_store_short_d16_hi v[2:3], v4, off
	s_mov_b64 s[0:1], 0
.LBB304_350:
	s_mov_b64 s[28:29], 0
.LBB304_351:
	s_and_b64 vcc, exec, s[28:29]
	s_cbranch_vccz .LBB304_354
; %bb.352:
	s_cmp_eq_u32 s35, 11
	s_mov_b64 s[0:1], -1
	s_cbranch_scc0 .LBB304_354
; %bb.353:
	v_cmp_ne_u64_e32 vcc, 0, v[0:1]
	s_mov_b64 s[0:1], 0
	s_mov_b64 s[24:25], -1
	v_cndmask_b32_e64 v4, 0, 1, vcc
	global_store_byte v[2:3], v4, off
.LBB304_354:
	s_mov_b64 s[28:29], 0
.LBB304_355:
	s_and_b64 vcc, exec, s[28:29]
	s_cbranch_vccz .LBB304_394
; %bb.356:
	s_and_b32 s28, 0xffff, s34
	s_cmp_lt_i32 s28, 5
	s_mov_b64 s[24:25], -1
	s_cbranch_scc1 .LBB304_377
; %bb.357:
	s_cmp_lt_i32 s28, 8
	s_cbranch_scc1 .LBB304_367
; %bb.358:
	s_cmp_lt_i32 s28, 9
	s_cbranch_scc1 .LBB304_364
; %bb.359:
	s_cmp_gt_i32 s28, 9
	s_cbranch_scc0 .LBB304_361
; %bb.360:
	v_cvt_f64_i32_e32 v[4:5], v1
	v_ldexp_f64 v[4:5], v[4:5], 32
	v_cvt_f64_u32_e32 v[6:7], v0
	v_add_f64 v[4:5], v[4:5], v[6:7]
	v_mov_b32_e32 v6, 0
	v_mov_b32_e32 v7, v6
	s_mov_b64 s[24:25], 0
	global_store_dwordx4 v[2:3], v[4:7], off
.LBB304_361:
	s_andn2_b64 vcc, exec, s[24:25]
	s_cbranch_vccnz .LBB304_363
; %bb.362:
	v_xor_b32_e32 v5, v0, v1
	v_ffbh_i32_e32 v4, v1
	v_ashrrev_i32_e32 v5, 31, v5
	v_add_u32_e32 v4, -1, v4
	v_add_u32_e32 v5, 32, v5
	v_min_u32_e32 v6, v4, v5
	v_lshlrev_b64 v[4:5], v6, v[0:1]
	v_min_u32_e32 v4, 1, v4
	v_or_b32_e32 v4, v5, v4
	v_cvt_f32_i32_e32 v4, v4
	v_sub_u32_e32 v5, 32, v6
	v_ldexp_f32 v4, v4, v5
	v_mov_b32_e32 v5, 0
	global_store_dwordx2 v[2:3], v[4:5], off
.LBB304_363:
	s_mov_b64 s[24:25], 0
.LBB304_364:
	s_andn2_b64 vcc, exec, s[24:25]
	s_cbranch_vccnz .LBB304_366
; %bb.365:
	v_xor_b32_e32 v5, v0, v1
	v_ffbh_i32_e32 v4, v1
	v_ashrrev_i32_e32 v5, 31, v5
	v_add_u32_e32 v4, -1, v4
	v_add_u32_e32 v5, 32, v5
	v_min_u32_e32 v6, v4, v5
	v_lshlrev_b64 v[4:5], v6, v[0:1]
	v_min_u32_e32 v4, 1, v4
	v_or_b32_e32 v4, v5, v4
	v_cvt_f32_i32_e32 v4, v4
	v_sub_u32_e32 v5, 32, v6
	v_ldexp_f32 v4, v4, v5
	v_cvt_f16_f32_e32 v4, v4
	global_store_dword v[2:3], v4, off
.LBB304_366:
	s_mov_b64 s[24:25], 0
.LBB304_367:
	s_andn2_b64 vcc, exec, s[24:25]
	s_cbranch_vccnz .LBB304_376
; %bb.368:
	s_cmp_lt_i32 s28, 6
	s_mov_b64 s[24:25], -1
	s_cbranch_scc1 .LBB304_374
; %bb.369:
	s_cmp_gt_i32 s28, 6
	s_cbranch_scc0 .LBB304_371
; %bb.370:
	v_cvt_f64_i32_e32 v[4:5], v1
	v_ldexp_f64 v[4:5], v[4:5], 32
	v_cvt_f64_u32_e32 v[6:7], v0
	v_add_f64 v[4:5], v[4:5], v[6:7]
	s_mov_b64 s[24:25], 0
	global_store_dwordx2 v[2:3], v[4:5], off
.LBB304_371:
	s_andn2_b64 vcc, exec, s[24:25]
	s_cbranch_vccnz .LBB304_373
; %bb.372:
	v_xor_b32_e32 v5, v0, v1
	v_ffbh_i32_e32 v4, v1
	v_ashrrev_i32_e32 v5, 31, v5
	v_add_u32_e32 v4, -1, v4
	v_add_u32_e32 v5, 32, v5
	v_min_u32_e32 v6, v4, v5
	v_lshlrev_b64 v[4:5], v6, v[0:1]
	v_min_u32_e32 v4, 1, v4
	v_or_b32_e32 v4, v5, v4
	v_cvt_f32_i32_e32 v4, v4
	v_sub_u32_e32 v5, 32, v6
	v_ldexp_f32 v4, v4, v5
	global_store_dword v[2:3], v4, off
.LBB304_373:
	s_mov_b64 s[24:25], 0
.LBB304_374:
	s_andn2_b64 vcc, exec, s[24:25]
	s_cbranch_vccnz .LBB304_376
; %bb.375:
	v_xor_b32_e32 v5, v0, v1
	v_ffbh_i32_e32 v4, v1
	v_ashrrev_i32_e32 v5, 31, v5
	v_add_u32_e32 v4, -1, v4
	v_add_u32_e32 v5, 32, v5
	v_min_u32_e32 v6, v4, v5
	v_lshlrev_b64 v[4:5], v6, v[0:1]
	v_min_u32_e32 v4, 1, v4
	v_or_b32_e32 v4, v5, v4
	v_cvt_f32_i32_e32 v4, v4
	v_sub_u32_e32 v5, 32, v6
	v_ldexp_f32 v4, v4, v5
	v_cvt_f16_f32_e32 v4, v4
	global_store_short v[2:3], v4, off
.LBB304_376:
	s_mov_b64 s[24:25], 0
.LBB304_377:
	s_andn2_b64 vcc, exec, s[24:25]
	s_cbranch_vccnz .LBB304_393
; %bb.378:
	s_cmp_lt_i32 s28, 2
	s_mov_b64 s[24:25], -1
	s_cbranch_scc1 .LBB304_388
; %bb.379:
	s_cmp_lt_i32 s28, 3
	s_cbranch_scc1 .LBB304_385
; %bb.380:
	s_cmp_gt_i32 s28, 3
	s_cbranch_scc0 .LBB304_382
; %bb.381:
	s_mov_b64 s[24:25], 0
	global_store_dwordx2 v[2:3], v[0:1], off
.LBB304_382:
	s_andn2_b64 vcc, exec, s[24:25]
	s_cbranch_vccnz .LBB304_384
; %bb.383:
	global_store_dword v[2:3], v0, off
.LBB304_384:
	s_mov_b64 s[24:25], 0
.LBB304_385:
	s_andn2_b64 vcc, exec, s[24:25]
	s_cbranch_vccnz .LBB304_387
; %bb.386:
	global_store_short v[2:3], v0, off
.LBB304_387:
	s_mov_b64 s[24:25], 0
.LBB304_388:
	s_andn2_b64 vcc, exec, s[24:25]
	s_cbranch_vccnz .LBB304_393
; %bb.389:
	s_cmp_gt_i32 s28, 0
	s_mov_b64 s[24:25], -1
	s_cbranch_scc0 .LBB304_391
; %bb.390:
	s_mov_b64 s[24:25], 0
	global_store_byte v[2:3], v0, off
.LBB304_391:
	s_andn2_b64 vcc, exec, s[24:25]
	s_cbranch_vccnz .LBB304_393
; %bb.392:
	global_store_byte v[2:3], v0, off
.LBB304_393:
	s_mov_b64 s[24:25], -1
.LBB304_394:
	s_andn2_b64 vcc, exec, s[24:25]
	s_cbranch_vccnz .LBB304_396
; %bb.395:
	v_add_u32_e32 v10, 0x80, v10
	s_mov_b64 s[28:29], -1
	s_branch .LBB304_504
.LBB304_396:
	s_mov_b64 s[28:29], 0
                                        ; implicit-def: $vgpr10
	s_branch .LBB304_504
.LBB304_397:
	s_mov_b64 s[22:23], -1
                                        ; implicit-def: $vgpr2_vgpr3
.LBB304_398:
	s_mov_b64 s[24:25], 0
.LBB304_399:
	s_and_b64 vcc, exec, s[24:25]
	s_cbranch_vccz .LBB304_403
; %bb.400:
	s_cmp_eq_u32 s28, 29
	s_cbranch_scc0 .LBB304_402
; %bb.401:
	global_load_dwordx2 v[2:3], v[0:1], off
	s_mov_b64 s[0:1], -1
	s_mov_b64 s[22:23], 0
	s_branch .LBB304_403
.LBB304_402:
	s_mov_b64 s[22:23], -1
                                        ; implicit-def: $vgpr2_vgpr3
.LBB304_403:
	s_mov_b64 s[24:25], 0
.LBB304_404:
	s_and_b64 vcc, exec, s[24:25]
	s_cbranch_vccz .LBB304_420
; %bb.405:
	s_cmp_lt_i32 s28, 27
	s_cbranch_scc1 .LBB304_408
; %bb.406:
	s_cmp_gt_i32 s28, 27
	s_cbranch_scc0 .LBB304_409
; %bb.407:
	global_load_dword v2, v[0:1], off
	s_waitcnt vmcnt(1)
	v_mov_b32_e32 v3, 0
	s_mov_b64 s[0:1], 0
	s_branch .LBB304_410
.LBB304_408:
	s_mov_b64 s[0:1], -1
                                        ; implicit-def: $vgpr2_vgpr3
	s_branch .LBB304_413
.LBB304_409:
	s_mov_b64 s[0:1], -1
                                        ; implicit-def: $vgpr2_vgpr3
.LBB304_410:
	s_andn2_b64 vcc, exec, s[0:1]
	s_cbranch_vccnz .LBB304_412
; %bb.411:
	global_load_ushort v2, v[0:1], off
	s_mov_b32 s0, 0
	s_waitcnt vmcnt(1)
	v_mov_b32_e32 v3, s0
	s_waitcnt vmcnt(0)
	v_and_b32_e32 v2, 0xffff, v2
.LBB304_412:
	s_mov_b64 s[0:1], 0
.LBB304_413:
	s_andn2_b64 vcc, exec, s[0:1]
	s_cbranch_vccnz .LBB304_419
; %bb.414:
	global_load_ubyte v4, v[0:1], off
	s_movk_i32 s0, 0x7f
	s_mov_b64 s[24:25], 0
	s_waitcnt vmcnt(0)
	v_cmp_lt_i16_e32 vcc, s0, v4
	s_and_saveexec_b64 s[0:1], vcc
	s_xor_b64 s[0:1], exec, s[0:1]
	s_cbranch_execz .LBB304_431
; %bb.415:
	s_movk_i32 s24, 0x80
	v_cmp_ne_u16_e32 vcc, s24, v4
	s_and_b64 s[24:25], vcc, exec
	s_andn2_saveexec_b64 s[0:1], s[0:1]
	s_cbranch_execnz .LBB304_432
.LBB304_416:
	s_or_b64 exec, exec, s[0:1]
	v_mov_b64_e32 v[2:3], 0
	s_and_saveexec_b64 s[0:1], s[24:25]
	s_cbranch_execz .LBB304_418
.LBB304_417:
	v_and_b32_e32 v3, 0xffff, v4
	v_lshlrev_b32_e32 v2, 24, v4
	v_and_b32_e32 v4, 7, v3
	v_ffbh_u32_e32 v6, v4
	v_min_u32_e32 v6, 32, v6
	v_subrev_u32_e32 v7, 28, v6
	v_bfe_u32 v5, v3, 3, 4
	v_lshlrev_b32_e32 v3, v7, v3
	v_sub_u32_e32 v6, 29, v6
	v_and_b32_e32 v3, 7, v3
	v_cmp_eq_u32_e32 vcc, 0, v5
	v_and_b32_e32 v2, 0x80000000, v2
	s_mov_b32 s24, 0x2f800000
	v_cndmask_b32_e32 v5, v5, v6, vcc
	v_cndmask_b32_e32 v3, v4, v3, vcc
	v_mov_b32_e32 v4, 0x3b800000
	v_lshlrev_b32_e32 v3, 20, v3
	v_lshl_add_u32 v4, v5, 23, v4
	v_or3_b32 v2, v2, v4, v3
	v_trunc_f32_e32 v2, v2
	v_mul_f32_e64 v3, |v2|, s24
	v_floor_f32_e32 v3, v3
	s_mov_b32 s24, 0xcf800000
	v_fma_f32 v4, v3, s24, |v2|
	v_cvt_u32_f32_e32 v4, v4
	v_cvt_u32_f32_e32 v3, v3
	v_ashrrev_i32_e32 v5, 31, v2
	v_xor_b32_e32 v2, v4, v5
	v_xor_b32_e32 v3, v3, v5
	v_sub_co_u32_e32 v2, vcc, v2, v5
	s_nop 1
	v_subb_co_u32_e32 v3, vcc, v3, v5, vcc
.LBB304_418:
	s_or_b64 exec, exec, s[0:1]
.LBB304_419:
	s_mov_b64 s[0:1], -1
.LBB304_420:
	s_mov_b64 s[24:25], 0
.LBB304_421:
	s_and_b64 vcc, exec, s[24:25]
	s_cbranch_vccz .LBB304_454
; %bb.422:
	s_cmp_gt_i32 s28, 22
	s_cbranch_scc0 .LBB304_430
; %bb.423:
	s_cmp_lt_i32 s28, 24
	s_cbranch_scc1 .LBB304_433
; %bb.424:
	s_cmp_gt_i32 s28, 24
	s_cbranch_scc0 .LBB304_434
; %bb.425:
	global_load_ubyte v4, v[0:1], off
	s_movk_i32 s0, 0x7f
	s_mov_b64 s[24:25], 0
	s_waitcnt vmcnt(0)
	v_cmp_lt_i16_e32 vcc, s0, v4
	s_and_saveexec_b64 s[0:1], vcc
	s_xor_b64 s[0:1], exec, s[0:1]
	s_cbranch_execz .LBB304_446
; %bb.426:
	s_movk_i32 s24, 0x80
	v_cmp_ne_u16_e32 vcc, s24, v4
	s_and_b64 s[24:25], vcc, exec
	s_andn2_saveexec_b64 s[0:1], s[0:1]
	s_cbranch_execnz .LBB304_447
.LBB304_427:
	s_or_b64 exec, exec, s[0:1]
	v_mov_b64_e32 v[2:3], 0
	s_and_saveexec_b64 s[0:1], s[24:25]
	s_cbranch_execz .LBB304_429
.LBB304_428:
	v_and_b32_e32 v3, 0xffff, v4
	v_lshlrev_b32_e32 v2, 24, v4
	v_and_b32_e32 v4, 3, v3
	v_ffbh_u32_e32 v6, v4
	v_min_u32_e32 v6, 32, v6
	v_subrev_u32_e32 v7, 29, v6
	v_bfe_u32 v5, v3, 2, 5
	v_lshlrev_b32_e32 v3, v7, v3
	v_sub_u32_e32 v6, 30, v6
	v_and_b32_e32 v3, 3, v3
	v_cmp_eq_u32_e32 vcc, 0, v5
	v_and_b32_e32 v2, 0x80000000, v2
	s_mov_b32 s24, 0x2f800000
	v_cndmask_b32_e32 v5, v5, v6, vcc
	v_cndmask_b32_e32 v3, v4, v3, vcc
	v_mov_b32_e32 v4, 0x37800000
	v_lshlrev_b32_e32 v3, 21, v3
	v_lshl_add_u32 v4, v5, 23, v4
	v_or3_b32 v2, v2, v4, v3
	v_trunc_f32_e32 v2, v2
	v_mul_f32_e64 v3, |v2|, s24
	v_floor_f32_e32 v3, v3
	s_mov_b32 s24, 0xcf800000
	v_fma_f32 v4, v3, s24, |v2|
	v_cvt_u32_f32_e32 v4, v4
	v_cvt_u32_f32_e32 v3, v3
	v_ashrrev_i32_e32 v5, 31, v2
	v_xor_b32_e32 v2, v4, v5
	v_xor_b32_e32 v3, v3, v5
	v_sub_co_u32_e32 v2, vcc, v2, v5
	s_nop 1
	v_subb_co_u32_e32 v3, vcc, v3, v5, vcc
.LBB304_429:
	s_or_b64 exec, exec, s[0:1]
	s_mov_b64 s[0:1], 0
	s_branch .LBB304_435
.LBB304_430:
	s_mov_b64 s[24:25], -1
                                        ; implicit-def: $vgpr2_vgpr3
	s_branch .LBB304_441
.LBB304_431:
	s_andn2_saveexec_b64 s[0:1], s[0:1]
	s_cbranch_execz .LBB304_416
.LBB304_432:
	v_cmp_ne_u16_e32 vcc, 0, v4
	s_andn2_b64 s[24:25], s[24:25], exec
	s_and_b64 s[30:31], vcc, exec
	s_or_b64 s[24:25], s[24:25], s[30:31]
	s_or_b64 exec, exec, s[0:1]
	v_mov_b64_e32 v[2:3], 0
	s_and_saveexec_b64 s[0:1], s[24:25]
	s_cbranch_execnz .LBB304_417
	s_branch .LBB304_418
.LBB304_433:
	s_mov_b64 s[0:1], -1
                                        ; implicit-def: $vgpr2_vgpr3
	s_branch .LBB304_438
.LBB304_434:
	s_mov_b64 s[0:1], -1
                                        ; implicit-def: $vgpr2_vgpr3
.LBB304_435:
	s_and_b64 vcc, exec, s[0:1]
	s_cbranch_vccz .LBB304_437
; %bb.436:
	global_load_ubyte v2, v[0:1], off
	s_mov_b32 s0, 0x7f800000
	s_brev_b32 s1, 1
	s_mov_b32 s24, 0x2f800000
	s_mov_b32 s25, 0xcf800000
	s_waitcnt vmcnt(0)
	v_lshlrev_b32_e32 v2, 24, v2
	v_and_b32_e32 v3, 0x7f000000, v2
	v_ffbh_u32_e32 v4, v3
	v_min_u32_e32 v4, 32, v4
	v_sub_u32_e64 v4, v4, 4 clamp
	v_lshlrev_b32_e32 v6, v4, v3
	v_lshlrev_b32_e32 v4, 23, v4
	v_lshrrev_b32_e32 v6, 4, v6
	v_add_u32_e32 v5, 0x1000000, v3
	v_sub_u32_e32 v4, v6, v4
	v_ashrrev_i32_e32 v5, 8, v5
	v_add_u32_e32 v4, 0x3c000000, v4
	v_and_or_b32 v4, v5, s0, v4
	v_cmp_ne_u32_e32 vcc, 0, v3
	s_nop 1
	v_cndmask_b32_e32 v3, 0, v4, vcc
	v_and_or_b32 v2, v2, s1, v3
	v_trunc_f32_e32 v2, v2
	v_mul_f32_e64 v3, |v2|, s24
	v_floor_f32_e32 v3, v3
	v_fma_f32 v4, v3, s25, |v2|
	v_cvt_u32_f32_e32 v4, v4
	v_cvt_u32_f32_e32 v3, v3
	v_ashrrev_i32_e32 v5, 31, v2
	v_xor_b32_e32 v2, v4, v5
	v_xor_b32_e32 v3, v3, v5
	v_sub_co_u32_e32 v2, vcc, v2, v5
	s_nop 1
	v_subb_co_u32_e32 v3, vcc, v3, v5, vcc
.LBB304_437:
	s_mov_b64 s[0:1], 0
.LBB304_438:
	s_andn2_b64 vcc, exec, s[0:1]
	s_cbranch_vccnz .LBB304_440
; %bb.439:
	global_load_ubyte v2, v[0:1], off
	s_movk_i32 s0, 0x7f00
	s_brev_b32 s1, 16
	s_brev_b32 s24, 1
	s_mov_b32 s25, 0x2f800000
	s_mov_b32 s29, 0xcf800000
	s_waitcnt vmcnt(0)
	v_lshlrev_b16_e32 v3, 8, v2
	v_lshlrev_b32_e32 v2, 25, v2
	v_lshrrev_b32_e32 v4, 4, v2
	v_and_or_b32 v5, v3, s0, 0.5
	v_or_b32_e32 v4, 0x70000000, v4
	v_add_f32_e32 v5, -0.5, v5
	v_mul_f32_e32 v4, 0x7800000, v4
	v_cmp_gt_u32_e32 vcc, s1, v2
	v_bfe_i32 v3, v3, 0, 16
	s_nop 0
	v_cndmask_b32_e32 v2, v4, v5, vcc
	v_and_or_b32 v2, v3, s24, v2
	v_trunc_f32_e32 v2, v2
	v_mul_f32_e64 v3, |v2|, s25
	v_floor_f32_e32 v3, v3
	v_fma_f32 v4, v3, s29, |v2|
	v_cvt_u32_f32_e32 v4, v4
	v_cvt_u32_f32_e32 v3, v3
	v_ashrrev_i32_e32 v5, 31, v2
	v_xor_b32_e32 v2, v4, v5
	v_xor_b32_e32 v3, v3, v5
	v_sub_co_u32_e32 v2, vcc, v2, v5
	s_nop 1
	v_subb_co_u32_e32 v3, vcc, v3, v5, vcc
.LBB304_440:
	s_mov_b64 s[24:25], 0
	s_mov_b64 s[0:1], -1
.LBB304_441:
	s_andn2_b64 vcc, exec, s[24:25]
	s_cbranch_vccnz .LBB304_454
; %bb.442:
	s_cmp_gt_i32 s28, 14
	s_cbranch_scc0 .LBB304_445
; %bb.443:
	s_cmp_eq_u32 s28, 15
	s_cbranch_scc0 .LBB304_448
; %bb.444:
	global_load_ushort v2, v[0:1], off
	s_mov_b32 s0, 0x2f800000
	s_mov_b32 s1, 0xcf800000
	s_mov_b64 s[22:23], 0
	s_waitcnt vmcnt(0)
	v_lshlrev_b32_e32 v2, 16, v2
	v_trunc_f32_e32 v2, v2
	v_mul_f32_e64 v3, |v2|, s0
	v_floor_f32_e32 v3, v3
	v_fma_f32 v4, v3, s1, |v2|
	v_cvt_u32_f32_e32 v4, v4
	v_cvt_u32_f32_e32 v3, v3
	v_ashrrev_i32_e32 v5, 31, v2
	s_mov_b64 s[0:1], -1
	v_xor_b32_e32 v2, v4, v5
	v_xor_b32_e32 v3, v3, v5
	v_sub_co_u32_e32 v2, vcc, v2, v5
	s_nop 1
	v_subb_co_u32_e32 v3, vcc, v3, v5, vcc
	s_branch .LBB304_449
.LBB304_445:
	s_mov_b64 s[24:25], -1
                                        ; implicit-def: $vgpr2_vgpr3
	s_branch .LBB304_450
.LBB304_446:
	s_andn2_saveexec_b64 s[0:1], s[0:1]
	s_cbranch_execz .LBB304_427
.LBB304_447:
	v_cmp_ne_u16_e32 vcc, 0, v4
	s_andn2_b64 s[24:25], s[24:25], exec
	s_and_b64 s[30:31], vcc, exec
	s_or_b64 s[24:25], s[24:25], s[30:31]
	s_or_b64 exec, exec, s[0:1]
	v_mov_b64_e32 v[2:3], 0
	s_and_saveexec_b64 s[0:1], s[24:25]
	s_cbranch_execnz .LBB304_428
	s_branch .LBB304_429
.LBB304_448:
	s_mov_b64 s[22:23], -1
                                        ; implicit-def: $vgpr2_vgpr3
.LBB304_449:
	s_mov_b64 s[24:25], 0
.LBB304_450:
	s_and_b64 vcc, exec, s[24:25]
	s_cbranch_vccz .LBB304_454
; %bb.451:
	s_cmp_eq_u32 s28, 11
	s_cbranch_scc0 .LBB304_453
; %bb.452:
	global_load_ubyte v2, v[0:1], off
	s_mov_b32 s22, 0
	s_mov_b64 s[0:1], -1
	s_waitcnt vmcnt(1)
	v_mov_b32_e32 v3, s22
	s_mov_b64 s[22:23], 0
	s_waitcnt vmcnt(0)
	v_cmp_ne_u16_e32 vcc, 0, v2
	s_nop 1
	v_cndmask_b32_e64 v2, 0, 1, vcc
	s_branch .LBB304_454
.LBB304_453:
	s_mov_b64 s[22:23], -1
                                        ; implicit-def: $vgpr2_vgpr3
.LBB304_454:
	s_branch .LBB304_261
.LBB304_455:
	s_cmp_lt_i32 s28, 5
	s_cbranch_scc1 .LBB304_460
; %bb.456:
	s_cmp_lt_i32 s28, 8
	s_cbranch_scc1 .LBB304_461
; %bb.457:
	;; [unrolled: 3-line block ×3, first 2 shown]
	s_cmp_gt_i32 s28, 9
	s_cbranch_scc0 .LBB304_463
; %bb.459:
	global_load_dwordx2 v[2:3], v[0:1], off
	s_movk_i32 s0, 0xffe0
	s_waitcnt vmcnt(0)
	v_trunc_f64_e32 v[4:5], v[2:3]
	v_ldexp_f64 v[2:3], v[4:5], s0
	v_floor_f64_e32 v[6:7], v[2:3]
	v_fmac_f64_e32 v[4:5], 0xc1f00000, v[6:7]
	v_cvt_i32_f64_e32 v3, v[6:7]
	v_cvt_u32_f64_e32 v2, v[4:5]
	s_mov_b64 s[0:1], 0
	s_branch .LBB304_464
.LBB304_460:
	s_mov_b64 s[0:1], -1
                                        ; implicit-def: $vgpr2_vgpr3
	s_branch .LBB304_482
.LBB304_461:
	s_mov_b64 s[0:1], -1
                                        ; implicit-def: $vgpr2_vgpr3
	s_branch .LBB304_470
.LBB304_462:
	s_mov_b64 s[0:1], -1
                                        ; implicit-def: $vgpr2_vgpr3
	s_branch .LBB304_467
.LBB304_463:
	s_mov_b64 s[0:1], -1
                                        ; implicit-def: $vgpr2_vgpr3
.LBB304_464:
	s_andn2_b64 vcc, exec, s[0:1]
	s_cbranch_vccnz .LBB304_466
; %bb.465:
	global_load_dword v2, v[0:1], off
	s_mov_b32 s0, 0x2f800000
	s_mov_b32 s1, 0xcf800000
	s_waitcnt vmcnt(0)
	v_trunc_f32_e32 v2, v2
	v_mul_f32_e64 v3, |v2|, s0
	v_floor_f32_e32 v3, v3
	v_cvt_u32_f32_e32 v4, v3
	v_fma_f32 v3, v3, s1, |v2|
	v_cvt_u32_f32_e32 v3, v3
	v_ashrrev_i32_e32 v5, 31, v2
	v_xor_b32_e32 v4, v4, v5
	v_xor_b32_e32 v2, v3, v5
	v_sub_co_u32_e32 v2, vcc, v2, v5
	s_nop 1
	v_subb_co_u32_e32 v3, vcc, v4, v5, vcc
.LBB304_466:
	s_mov_b64 s[0:1], 0
.LBB304_467:
	s_andn2_b64 vcc, exec, s[0:1]
	s_cbranch_vccnz .LBB304_469
; %bb.468:
	global_load_dword v2, v[0:1], off
	s_waitcnt vmcnt(0)
	v_cvt_f32_f16_e32 v2, v2
	v_cvt_i32_f32_e32 v2, v2
	v_ashrrev_i32_e32 v3, 31, v2
.LBB304_469:
	s_mov_b64 s[0:1], 0
.LBB304_470:
	s_andn2_b64 vcc, exec, s[0:1]
	s_cbranch_vccnz .LBB304_481
; %bb.471:
	s_cmp_lt_i32 s28, 6
	s_cbranch_scc1 .LBB304_474
; %bb.472:
	s_cmp_gt_i32 s28, 6
	s_cbranch_scc0 .LBB304_475
; %bb.473:
	global_load_dwordx2 v[2:3], v[0:1], off
	s_movk_i32 s0, 0xffe0
	s_waitcnt vmcnt(0)
	v_trunc_f64_e32 v[4:5], v[2:3]
	v_ldexp_f64 v[2:3], v[4:5], s0
	v_floor_f64_e32 v[6:7], v[2:3]
	v_fmac_f64_e32 v[4:5], 0xc1f00000, v[6:7]
	v_cvt_i32_f64_e32 v3, v[6:7]
	v_cvt_u32_f64_e32 v2, v[4:5]
	s_mov_b64 s[0:1], 0
	s_branch .LBB304_476
.LBB304_474:
	s_mov_b64 s[0:1], -1
                                        ; implicit-def: $vgpr2_vgpr3
	s_branch .LBB304_479
.LBB304_475:
	s_mov_b64 s[0:1], -1
                                        ; implicit-def: $vgpr2_vgpr3
.LBB304_476:
	s_andn2_b64 vcc, exec, s[0:1]
	s_cbranch_vccnz .LBB304_478
; %bb.477:
	global_load_dword v2, v[0:1], off
	s_mov_b32 s0, 0x2f800000
	s_mov_b32 s1, 0xcf800000
	s_waitcnt vmcnt(0)
	v_trunc_f32_e32 v2, v2
	v_mul_f32_e64 v3, |v2|, s0
	v_floor_f32_e32 v3, v3
	v_cvt_u32_f32_e32 v4, v3
	v_fma_f32 v3, v3, s1, |v2|
	v_cvt_u32_f32_e32 v3, v3
	v_ashrrev_i32_e32 v5, 31, v2
	v_xor_b32_e32 v4, v4, v5
	v_xor_b32_e32 v2, v3, v5
	v_sub_co_u32_e32 v2, vcc, v2, v5
	s_nop 1
	v_subb_co_u32_e32 v3, vcc, v4, v5, vcc
.LBB304_478:
	s_mov_b64 s[0:1], 0
.LBB304_479:
	s_andn2_b64 vcc, exec, s[0:1]
	s_cbranch_vccnz .LBB304_481
; %bb.480:
	global_load_ushort v2, v[0:1], off
	s_waitcnt vmcnt(0)
	v_cvt_f32_f16_e32 v2, v2
	v_cvt_i32_f32_e32 v2, v2
	v_ashrrev_i32_e32 v3, 31, v2
.LBB304_481:
	s_mov_b64 s[0:1], 0
.LBB304_482:
	s_andn2_b64 vcc, exec, s[0:1]
	s_cbranch_vccnz .LBB304_502
; %bb.483:
	s_cmp_lt_i32 s28, 2
	s_cbranch_scc1 .LBB304_487
; %bb.484:
	s_cmp_lt_i32 s28, 3
	s_cbranch_scc1 .LBB304_488
; %bb.485:
	s_cmp_gt_i32 s28, 3
	s_cbranch_scc0 .LBB304_489
; %bb.486:
	global_load_dwordx2 v[2:3], v[0:1], off
	s_mov_b64 s[0:1], 0
	s_branch .LBB304_490
.LBB304_487:
	s_mov_b64 s[0:1], -1
                                        ; implicit-def: $vgpr2_vgpr3
	s_branch .LBB304_496
.LBB304_488:
	s_mov_b64 s[0:1], -1
                                        ; implicit-def: $vgpr2_vgpr3
	s_branch .LBB304_493
.LBB304_489:
	s_mov_b64 s[0:1], -1
                                        ; implicit-def: $vgpr2_vgpr3
.LBB304_490:
	s_andn2_b64 vcc, exec, s[0:1]
	s_cbranch_vccnz .LBB304_492
; %bb.491:
	global_load_dword v2, v[0:1], off
	s_waitcnt vmcnt(0)
	v_ashrrev_i32_e32 v3, 31, v2
.LBB304_492:
	s_mov_b64 s[0:1], 0
.LBB304_493:
	s_andn2_b64 vcc, exec, s[0:1]
	s_cbranch_vccnz .LBB304_495
; %bb.494:
	global_load_ushort v2, v[0:1], off
	s_waitcnt vmcnt(0)
	v_bfe_i32 v2, v2, 0, 16
	v_ashrrev_i32_e32 v3, 31, v2
.LBB304_495:
	s_mov_b64 s[0:1], 0
.LBB304_496:
	s_andn2_b64 vcc, exec, s[0:1]
	s_cbranch_vccnz .LBB304_502
; %bb.497:
	s_cmp_gt_i32 s28, 0
	s_cbranch_scc0 .LBB304_499
; %bb.498:
	global_load_sbyte v2, v[0:1], off
	s_mov_b64 s[0:1], 0
	s_waitcnt vmcnt(0)
	v_bfe_i32 v2, v2, 0, 16
	v_ashrrev_i32_e32 v3, 31, v2
	s_branch .LBB304_500
.LBB304_499:
	s_mov_b64 s[0:1], -1
                                        ; implicit-def: $vgpr2_vgpr3
.LBB304_500:
	s_andn2_b64 vcc, exec, s[0:1]
	s_cbranch_vccnz .LBB304_502
; %bb.501:
	global_load_ubyte v0, v[0:1], off
	s_mov_b32 s0, 0
	s_waitcnt vmcnt(1)
	v_mov_b32_e32 v3, s0
	s_waitcnt vmcnt(0)
	v_and_b32_e32 v2, 0xffff, v0
.LBB304_502:
	s_branch .LBB304_262
.LBB304_503:
	s_mov_b64 s[28:29], 0
                                        ; implicit-def: $vgpr10
	s_mov_b64 s[0:1], s[16:17]
.LBB304_504:
	s_andn2_b64 s[24:25], s[16:17], exec
	s_and_b64 s[0:1], s[0:1], exec
	s_or_b64 s[24:25], s[24:25], s[0:1]
	s_andn2_b64 s[0:1], s[18:19], exec
	s_and_b64 s[22:23], s[22:23], exec
	s_or_b64 s[22:23], s[0:1], s[22:23]
	s_orn2_b64 s[0:1], s[28:29], exec
.LBB304_505:
	s_or_b64 exec, exec, s[26:27]
	s_mov_b64 s[28:29], 0
	s_mov_b64 s[30:31], 0
	;; [unrolled: 1-line block ×3, first 2 shown]
                                        ; implicit-def: $vgpr0_vgpr1
                                        ; implicit-def: $vgpr4_vgpr5
	s_and_saveexec_b64 s[26:27], s[0:1]
	s_cbranch_execz .LBB304_842
; %bb.506:
	v_cmp_gt_i32_e32 vcc, s42, v10
	s_mov_b64 s[38:39], -1
	s_mov_b64 s[0:1], s[22:23]
	s_mov_b64 s[34:35], s[24:25]
	s_and_saveexec_b64 s[28:29], vcc
	s_cbranch_execz .LBB304_760
; %bb.507:
	v_mul_lo_u32 v0, v10, s13
	v_ashrrev_i32_e32 v1, 31, v0
	s_and_b32 s36, 0xffff, s46
	s_cmp_lt_i32 s36, 11
	v_lshl_add_u64 v[0:1], s[6:7], 0, v[0:1]
	s_cbranch_scc1 .LBB304_514
; %bb.508:
	s_cmp_gt_i32 s36, 25
	s_cbranch_scc0 .LBB304_515
; %bb.509:
	s_cmp_gt_i32 s36, 28
	s_cbranch_scc0 .LBB304_516
	;; [unrolled: 3-line block ×4, first 2 shown]
; %bb.512:
	s_cmp_eq_u32 s36, 46
	s_mov_b64 s[34:35], 0
	s_cbranch_scc0 .LBB304_523
; %bb.513:
	global_load_dword v2, v[0:1], off
	s_mov_b32 s0, 0x2f800000
	s_mov_b32 s1, 0xcf800000
	s_waitcnt vmcnt(0)
	v_lshlrev_b32_e32 v2, 16, v2
	v_trunc_f32_e32 v2, v2
	v_mul_f32_e64 v3, |v2|, s0
	v_floor_f32_e32 v3, v3
	v_fma_f32 v4, v3, s1, |v2|
	v_cvt_u32_f32_e32 v4, v4
	v_cvt_u32_f32_e32 v3, v3
	v_ashrrev_i32_e32 v5, 31, v2
	s_mov_b64 s[0:1], -1
	v_xor_b32_e32 v2, v4, v5
	v_xor_b32_e32 v3, v3, v5
	v_sub_co_u32_e32 v2, vcc, v2, v5
	s_nop 1
	v_subb_co_u32_e32 v3, vcc, v3, v5, vcc
	s_branch .LBB304_524
.LBB304_514:
	s_mov_b64 s[34:35], -1
	s_mov_b64 s[0:1], 0
                                        ; implicit-def: $vgpr2_vgpr3
	s_mov_b64 s[30:31], s[22:23]
	s_branch .LBB304_585
.LBB304_515:
	s_mov_b64 s[34:35], -1
	s_mov_b64 s[0:1], 0
	s_mov_b64 s[30:31], s[22:23]
                                        ; implicit-def: $vgpr2_vgpr3
	s_branch .LBB304_551
.LBB304_516:
	s_mov_b64 s[34:35], -1
	s_mov_b64 s[0:1], 0
	s_mov_b64 s[30:31], s[22:23]
                                        ; implicit-def: $vgpr2_vgpr3
	s_branch .LBB304_534
.LBB304_517:
	s_mov_b64 s[34:35], -1
	s_mov_b64 s[0:1], 0
	s_mov_b64 s[30:31], s[22:23]
                                        ; implicit-def: $vgpr2_vgpr3
	s_branch .LBB304_529
.LBB304_518:
	s_andn2_saveexec_b64 s[30:31], s[30:31]
	s_cbranch_execz .LBB304_307
.LBB304_519:
	s_mov_b32 s36, 0x46000000
	v_add_f32_e64 v5, |v4|, s36
	v_and_b32_e32 v5, 0xff, v5
	v_cmp_ne_u32_e32 vcc, 0, v5
	s_andn2_b64 s[28:29], s[28:29], exec
	s_and_b64 s[36:37], vcc, exec
	s_or_b64 s[28:29], s[28:29], s[36:37]
	s_or_b64 exec, exec, s[30:31]
	v_mov_b32_e32 v6, 0
	s_and_saveexec_b64 s[30:31], s[28:29]
	s_cbranch_execnz .LBB304_308
	s_branch .LBB304_309
.LBB304_520:
	s_mov_b64 s[34:35], -1
	s_mov_b64 s[0:1], 0
	s_mov_b64 s[30:31], s[22:23]
                                        ; implicit-def: $vgpr2_vgpr3
	s_branch .LBB304_524
.LBB304_521:
	s_andn2_saveexec_b64 s[30:31], s[30:31]
	s_cbranch_execz .LBB304_320
.LBB304_522:
	s_mov_b32 s36, 0x42800000
	v_add_f32_e64 v5, |v4|, s36
	v_and_b32_e32 v5, 0xff, v5
	v_cmp_ne_u32_e32 vcc, 0, v5
	s_andn2_b64 s[28:29], s[28:29], exec
	s_and_b64 s[36:37], vcc, exec
	s_or_b64 s[28:29], s[28:29], s[36:37]
	s_or_b64 exec, exec, s[30:31]
	v_mov_b32_e32 v6, 0
	s_and_saveexec_b64 s[30:31], s[28:29]
	s_cbranch_execnz .LBB304_321
	s_branch .LBB304_322
.LBB304_523:
	s_mov_b64 s[30:31], -1
                                        ; implicit-def: $vgpr2_vgpr3
	s_mov_b64 s[0:1], 0
.LBB304_524:
	s_and_b64 vcc, exec, s[34:35]
	s_cbranch_vccz .LBB304_528
; %bb.525:
	s_cmp_eq_u32 s36, 44
	s_cbranch_scc0 .LBB304_527
; %bb.526:
	global_load_ubyte v2, v[0:1], off
	s_mov_b32 s0, 0x2f800000
	s_mov_b32 s1, 0xcf800000
	s_mov_b64 s[30:31], 0
	s_waitcnt vmcnt(0)
	v_lshlrev_b32_e32 v3, 23, v2
	v_trunc_f32_e32 v3, v3
	v_mul_f32_e64 v4, |v3|, s0
	v_floor_f32_e32 v4, v4
	v_fma_f32 v5, v4, s1, |v3|
	v_cvt_u32_f32_e32 v5, v5
	v_cvt_u32_f32_e32 v4, v4
	v_ashrrev_i32_e32 v3, 31, v3
	s_mov_b64 s[0:1], -1
	v_xor_b32_e32 v5, v5, v3
	v_xor_b32_e32 v4, v4, v3
	v_sub_co_u32_e32 v5, vcc, v5, v3
	s_nop 1
	v_subb_co_u32_e32 v3, vcc, v4, v3, vcc
	v_cmp_ne_u32_e32 vcc, 0, v2
	s_nop 1
	v_cndmask_b32_e32 v3, 0, v3, vcc
	v_cndmask_b32_e32 v2, 0, v5, vcc
	s_branch .LBB304_528
.LBB304_527:
	s_mov_b64 s[30:31], -1
                                        ; implicit-def: $vgpr2_vgpr3
.LBB304_528:
	s_mov_b64 s[34:35], 0
.LBB304_529:
	s_and_b64 vcc, exec, s[34:35]
	s_cbranch_vccz .LBB304_533
; %bb.530:
	s_cmp_eq_u32 s36, 29
	s_cbranch_scc0 .LBB304_532
; %bb.531:
	global_load_dwordx2 v[2:3], v[0:1], off
	s_mov_b64 s[0:1], -1
	s_mov_b64 s[30:31], 0
	s_branch .LBB304_533
.LBB304_532:
	s_mov_b64 s[30:31], -1
                                        ; implicit-def: $vgpr2_vgpr3
.LBB304_533:
	s_mov_b64 s[34:35], 0
.LBB304_534:
	s_and_b64 vcc, exec, s[34:35]
	s_cbranch_vccz .LBB304_550
; %bb.535:
	s_cmp_lt_i32 s36, 27
	s_cbranch_scc1 .LBB304_538
; %bb.536:
	s_cmp_gt_i32 s36, 27
	s_cbranch_scc0 .LBB304_539
; %bb.537:
	global_load_dword v2, v[0:1], off
	s_waitcnt vmcnt(1)
	v_mov_b32_e32 v3, 0
	s_mov_b64 s[0:1], 0
	s_branch .LBB304_540
.LBB304_538:
	s_mov_b64 s[0:1], -1
                                        ; implicit-def: $vgpr2_vgpr3
	s_branch .LBB304_543
.LBB304_539:
	s_mov_b64 s[0:1], -1
                                        ; implicit-def: $vgpr2_vgpr3
.LBB304_540:
	s_andn2_b64 vcc, exec, s[0:1]
	s_cbranch_vccnz .LBB304_542
; %bb.541:
	global_load_ushort v2, v[0:1], off
	s_mov_b32 s0, 0
	s_waitcnt vmcnt(1)
	v_mov_b32_e32 v3, s0
	s_waitcnt vmcnt(0)
	v_and_b32_e32 v2, 0xffff, v2
.LBB304_542:
	s_mov_b64 s[0:1], 0
.LBB304_543:
	s_andn2_b64 vcc, exec, s[0:1]
	s_cbranch_vccnz .LBB304_549
; %bb.544:
	global_load_ubyte v4, v[0:1], off
	s_movk_i32 s0, 0x7f
	s_mov_b64 s[34:35], 0
	s_waitcnt vmcnt(0)
	v_cmp_lt_i16_e32 vcc, s0, v4
	s_and_saveexec_b64 s[0:1], vcc
	s_xor_b64 s[0:1], exec, s[0:1]
	s_cbranch_execz .LBB304_561
; %bb.545:
	s_movk_i32 s34, 0x80
	v_cmp_ne_u16_e32 vcc, s34, v4
	s_and_b64 s[34:35], vcc, exec
	s_andn2_saveexec_b64 s[0:1], s[0:1]
	s_cbranch_execnz .LBB304_562
.LBB304_546:
	s_or_b64 exec, exec, s[0:1]
	v_mov_b64_e32 v[2:3], 0
	s_and_saveexec_b64 s[0:1], s[34:35]
	s_cbranch_execz .LBB304_548
.LBB304_547:
	v_and_b32_e32 v3, 0xffff, v4
	v_lshlrev_b32_e32 v2, 24, v4
	v_and_b32_e32 v4, 7, v3
	v_ffbh_u32_e32 v6, v4
	v_min_u32_e32 v6, 32, v6
	v_subrev_u32_e32 v7, 28, v6
	v_bfe_u32 v5, v3, 3, 4
	v_lshlrev_b32_e32 v3, v7, v3
	v_sub_u32_e32 v6, 29, v6
	v_and_b32_e32 v3, 7, v3
	v_cmp_eq_u32_e32 vcc, 0, v5
	v_and_b32_e32 v2, 0x80000000, v2
	s_mov_b32 s34, 0x2f800000
	v_cndmask_b32_e32 v5, v5, v6, vcc
	v_cndmask_b32_e32 v3, v4, v3, vcc
	v_mov_b32_e32 v4, 0x3b800000
	v_lshlrev_b32_e32 v3, 20, v3
	v_lshl_add_u32 v4, v5, 23, v4
	v_or3_b32 v2, v2, v4, v3
	v_trunc_f32_e32 v2, v2
	v_mul_f32_e64 v3, |v2|, s34
	v_floor_f32_e32 v3, v3
	s_mov_b32 s34, 0xcf800000
	v_fma_f32 v4, v3, s34, |v2|
	v_cvt_u32_f32_e32 v4, v4
	v_cvt_u32_f32_e32 v3, v3
	v_ashrrev_i32_e32 v5, 31, v2
	v_xor_b32_e32 v2, v4, v5
	v_xor_b32_e32 v3, v3, v5
	v_sub_co_u32_e32 v2, vcc, v2, v5
	s_nop 1
	v_subb_co_u32_e32 v3, vcc, v3, v5, vcc
.LBB304_548:
	s_or_b64 exec, exec, s[0:1]
.LBB304_549:
	s_mov_b64 s[0:1], -1
.LBB304_550:
	s_mov_b64 s[34:35], 0
.LBB304_551:
	s_and_b64 vcc, exec, s[34:35]
	s_cbranch_vccz .LBB304_584
; %bb.552:
	s_cmp_gt_i32 s36, 22
	s_cbranch_scc0 .LBB304_560
; %bb.553:
	s_cmp_lt_i32 s36, 24
	s_cbranch_scc1 .LBB304_563
; %bb.554:
	s_cmp_gt_i32 s36, 24
	s_cbranch_scc0 .LBB304_564
; %bb.555:
	global_load_ubyte v4, v[0:1], off
	s_movk_i32 s0, 0x7f
	s_mov_b64 s[34:35], 0
	s_waitcnt vmcnt(0)
	v_cmp_lt_i16_e32 vcc, s0, v4
	s_and_saveexec_b64 s[0:1], vcc
	s_xor_b64 s[0:1], exec, s[0:1]
	s_cbranch_execz .LBB304_576
; %bb.556:
	s_movk_i32 s34, 0x80
	v_cmp_ne_u16_e32 vcc, s34, v4
	s_and_b64 s[34:35], vcc, exec
	s_andn2_saveexec_b64 s[0:1], s[0:1]
	s_cbranch_execnz .LBB304_577
.LBB304_557:
	s_or_b64 exec, exec, s[0:1]
	v_mov_b64_e32 v[2:3], 0
	s_and_saveexec_b64 s[0:1], s[34:35]
	s_cbranch_execz .LBB304_559
.LBB304_558:
	v_and_b32_e32 v3, 0xffff, v4
	v_lshlrev_b32_e32 v2, 24, v4
	v_and_b32_e32 v4, 3, v3
	v_ffbh_u32_e32 v6, v4
	v_min_u32_e32 v6, 32, v6
	v_subrev_u32_e32 v7, 29, v6
	v_bfe_u32 v5, v3, 2, 5
	v_lshlrev_b32_e32 v3, v7, v3
	v_sub_u32_e32 v6, 30, v6
	v_and_b32_e32 v3, 3, v3
	v_cmp_eq_u32_e32 vcc, 0, v5
	v_and_b32_e32 v2, 0x80000000, v2
	s_mov_b32 s34, 0x2f800000
	v_cndmask_b32_e32 v5, v5, v6, vcc
	v_cndmask_b32_e32 v3, v4, v3, vcc
	v_mov_b32_e32 v4, 0x37800000
	v_lshlrev_b32_e32 v3, 21, v3
	v_lshl_add_u32 v4, v5, 23, v4
	v_or3_b32 v2, v2, v4, v3
	v_trunc_f32_e32 v2, v2
	v_mul_f32_e64 v3, |v2|, s34
	v_floor_f32_e32 v3, v3
	s_mov_b32 s34, 0xcf800000
	v_fma_f32 v4, v3, s34, |v2|
	v_cvt_u32_f32_e32 v4, v4
	v_cvt_u32_f32_e32 v3, v3
	v_ashrrev_i32_e32 v5, 31, v2
	v_xor_b32_e32 v2, v4, v5
	v_xor_b32_e32 v3, v3, v5
	v_sub_co_u32_e32 v2, vcc, v2, v5
	s_nop 1
	v_subb_co_u32_e32 v3, vcc, v3, v5, vcc
.LBB304_559:
	s_or_b64 exec, exec, s[0:1]
	s_mov_b64 s[0:1], 0
	s_branch .LBB304_565
.LBB304_560:
	s_mov_b64 s[34:35], -1
                                        ; implicit-def: $vgpr2_vgpr3
	s_branch .LBB304_571
.LBB304_561:
	s_andn2_saveexec_b64 s[0:1], s[0:1]
	s_cbranch_execz .LBB304_546
.LBB304_562:
	v_cmp_ne_u16_e32 vcc, 0, v4
	s_andn2_b64 s[34:35], s[34:35], exec
	s_and_b64 s[38:39], vcc, exec
	s_or_b64 s[34:35], s[34:35], s[38:39]
	s_or_b64 exec, exec, s[0:1]
	v_mov_b64_e32 v[2:3], 0
	s_and_saveexec_b64 s[0:1], s[34:35]
	s_cbranch_execnz .LBB304_547
	s_branch .LBB304_548
.LBB304_563:
	s_mov_b64 s[0:1], -1
                                        ; implicit-def: $vgpr2_vgpr3
	s_branch .LBB304_568
.LBB304_564:
	s_mov_b64 s[0:1], -1
                                        ; implicit-def: $vgpr2_vgpr3
.LBB304_565:
	s_and_b64 vcc, exec, s[0:1]
	s_cbranch_vccz .LBB304_567
; %bb.566:
	global_load_ubyte v2, v[0:1], off
	s_mov_b32 s0, 0x7f800000
	s_brev_b32 s1, 1
	s_mov_b32 s34, 0x2f800000
	s_mov_b32 s35, 0xcf800000
	s_waitcnt vmcnt(0)
	v_lshlrev_b32_e32 v2, 24, v2
	v_and_b32_e32 v3, 0x7f000000, v2
	v_ffbh_u32_e32 v4, v3
	v_min_u32_e32 v4, 32, v4
	v_sub_u32_e64 v4, v4, 4 clamp
	v_lshlrev_b32_e32 v6, v4, v3
	v_lshlrev_b32_e32 v4, 23, v4
	v_lshrrev_b32_e32 v6, 4, v6
	v_add_u32_e32 v5, 0x1000000, v3
	v_sub_u32_e32 v4, v6, v4
	v_ashrrev_i32_e32 v5, 8, v5
	v_add_u32_e32 v4, 0x3c000000, v4
	v_and_or_b32 v4, v5, s0, v4
	v_cmp_ne_u32_e32 vcc, 0, v3
	s_nop 1
	v_cndmask_b32_e32 v3, 0, v4, vcc
	v_and_or_b32 v2, v2, s1, v3
	v_trunc_f32_e32 v2, v2
	v_mul_f32_e64 v3, |v2|, s34
	v_floor_f32_e32 v3, v3
	v_fma_f32 v4, v3, s35, |v2|
	v_cvt_u32_f32_e32 v4, v4
	v_cvt_u32_f32_e32 v3, v3
	v_ashrrev_i32_e32 v5, 31, v2
	v_xor_b32_e32 v2, v4, v5
	v_xor_b32_e32 v3, v3, v5
	v_sub_co_u32_e32 v2, vcc, v2, v5
	s_nop 1
	v_subb_co_u32_e32 v3, vcc, v3, v5, vcc
.LBB304_567:
	s_mov_b64 s[0:1], 0
.LBB304_568:
	s_andn2_b64 vcc, exec, s[0:1]
	s_cbranch_vccnz .LBB304_570
; %bb.569:
	global_load_ubyte v2, v[0:1], off
	s_movk_i32 s0, 0x7f00
	s_brev_b32 s1, 16
	s_brev_b32 s34, 1
	s_mov_b32 s35, 0x2f800000
	s_mov_b32 s37, 0xcf800000
	s_waitcnt vmcnt(0)
	v_lshlrev_b16_e32 v3, 8, v2
	v_lshlrev_b32_e32 v2, 25, v2
	v_lshrrev_b32_e32 v4, 4, v2
	v_and_or_b32 v5, v3, s0, 0.5
	v_or_b32_e32 v4, 0x70000000, v4
	v_add_f32_e32 v5, -0.5, v5
	v_mul_f32_e32 v4, 0x7800000, v4
	v_cmp_gt_u32_e32 vcc, s1, v2
	v_bfe_i32 v3, v3, 0, 16
	s_nop 0
	v_cndmask_b32_e32 v2, v4, v5, vcc
	v_and_or_b32 v2, v3, s34, v2
	v_trunc_f32_e32 v2, v2
	v_mul_f32_e64 v3, |v2|, s35
	v_floor_f32_e32 v3, v3
	v_fma_f32 v4, v3, s37, |v2|
	v_cvt_u32_f32_e32 v4, v4
	v_cvt_u32_f32_e32 v3, v3
	v_ashrrev_i32_e32 v5, 31, v2
	v_xor_b32_e32 v2, v4, v5
	v_xor_b32_e32 v3, v3, v5
	v_sub_co_u32_e32 v2, vcc, v2, v5
	s_nop 1
	v_subb_co_u32_e32 v3, vcc, v3, v5, vcc
.LBB304_570:
	s_mov_b64 s[34:35], 0
	s_mov_b64 s[0:1], -1
.LBB304_571:
	s_andn2_b64 vcc, exec, s[34:35]
	s_cbranch_vccnz .LBB304_584
; %bb.572:
	s_cmp_gt_i32 s36, 14
	s_cbranch_scc0 .LBB304_575
; %bb.573:
	s_cmp_eq_u32 s36, 15
	s_cbranch_scc0 .LBB304_578
; %bb.574:
	global_load_ushort v2, v[0:1], off
	s_mov_b32 s0, 0x2f800000
	s_mov_b32 s1, 0xcf800000
	s_mov_b64 s[30:31], 0
	s_waitcnt vmcnt(0)
	v_lshlrev_b32_e32 v2, 16, v2
	v_trunc_f32_e32 v2, v2
	v_mul_f32_e64 v3, |v2|, s0
	v_floor_f32_e32 v3, v3
	v_fma_f32 v4, v3, s1, |v2|
	v_cvt_u32_f32_e32 v4, v4
	v_cvt_u32_f32_e32 v3, v3
	v_ashrrev_i32_e32 v5, 31, v2
	s_mov_b64 s[0:1], -1
	v_xor_b32_e32 v2, v4, v5
	v_xor_b32_e32 v3, v3, v5
	v_sub_co_u32_e32 v2, vcc, v2, v5
	s_nop 1
	v_subb_co_u32_e32 v3, vcc, v3, v5, vcc
	s_branch .LBB304_579
.LBB304_575:
	s_mov_b64 s[34:35], -1
                                        ; implicit-def: $vgpr2_vgpr3
	s_branch .LBB304_580
.LBB304_576:
	s_andn2_saveexec_b64 s[0:1], s[0:1]
	s_cbranch_execz .LBB304_557
.LBB304_577:
	v_cmp_ne_u16_e32 vcc, 0, v4
	s_andn2_b64 s[34:35], s[34:35], exec
	s_and_b64 s[38:39], vcc, exec
	s_or_b64 s[34:35], s[34:35], s[38:39]
	s_or_b64 exec, exec, s[0:1]
	v_mov_b64_e32 v[2:3], 0
	s_and_saveexec_b64 s[0:1], s[34:35]
	s_cbranch_execnz .LBB304_558
	s_branch .LBB304_559
.LBB304_578:
	s_mov_b64 s[30:31], -1
                                        ; implicit-def: $vgpr2_vgpr3
.LBB304_579:
	s_mov_b64 s[34:35], 0
.LBB304_580:
	s_and_b64 vcc, exec, s[34:35]
	s_cbranch_vccz .LBB304_584
; %bb.581:
	s_cmp_eq_u32 s36, 11
	s_cbranch_scc0 .LBB304_583
; %bb.582:
	global_load_ubyte v2, v[0:1], off
	s_mov_b32 s30, 0
	s_mov_b64 s[0:1], -1
	s_waitcnt vmcnt(1)
	v_mov_b32_e32 v3, s30
	s_mov_b64 s[30:31], 0
	s_waitcnt vmcnt(0)
	v_cmp_ne_u16_e32 vcc, 0, v2
	s_nop 1
	v_cndmask_b32_e64 v2, 0, 1, vcc
	s_branch .LBB304_584
.LBB304_583:
	s_mov_b64 s[30:31], -1
                                        ; implicit-def: $vgpr2_vgpr3
.LBB304_584:
	s_mov_b64 s[34:35], 0
.LBB304_585:
	s_and_b64 vcc, exec, s[34:35]
	s_cbranch_vccz .LBB304_634
; %bb.586:
	s_cmp_lt_i32 s36, 5
	s_cbranch_scc1 .LBB304_591
; %bb.587:
	s_cmp_lt_i32 s36, 8
	s_cbranch_scc1 .LBB304_592
; %bb.588:
	s_cmp_lt_i32 s36, 9
	s_cbranch_scc1 .LBB304_593
; %bb.589:
	s_cmp_gt_i32 s36, 9
	s_cbranch_scc0 .LBB304_594
; %bb.590:
	global_load_dwordx2 v[2:3], v[0:1], off
	s_movk_i32 s0, 0xffe0
	s_waitcnt vmcnt(0)
	v_trunc_f64_e32 v[4:5], v[2:3]
	v_ldexp_f64 v[2:3], v[4:5], s0
	v_floor_f64_e32 v[6:7], v[2:3]
	v_fmac_f64_e32 v[4:5], 0xc1f00000, v[6:7]
	v_cvt_i32_f64_e32 v3, v[6:7]
	v_cvt_u32_f64_e32 v2, v[4:5]
	s_mov_b64 s[0:1], 0
	s_branch .LBB304_595
.LBB304_591:
	s_mov_b64 s[0:1], -1
                                        ; implicit-def: $vgpr2_vgpr3
	s_branch .LBB304_613
.LBB304_592:
	s_mov_b64 s[0:1], -1
                                        ; implicit-def: $vgpr2_vgpr3
	s_branch .LBB304_601
.LBB304_593:
	s_mov_b64 s[0:1], -1
                                        ; implicit-def: $vgpr2_vgpr3
	s_branch .LBB304_598
.LBB304_594:
	s_mov_b64 s[0:1], -1
                                        ; implicit-def: $vgpr2_vgpr3
.LBB304_595:
	s_andn2_b64 vcc, exec, s[0:1]
	s_cbranch_vccnz .LBB304_597
; %bb.596:
	global_load_dword v2, v[0:1], off
	s_mov_b32 s0, 0x2f800000
	s_mov_b32 s1, 0xcf800000
	s_waitcnt vmcnt(0)
	v_trunc_f32_e32 v2, v2
	v_mul_f32_e64 v3, |v2|, s0
	v_floor_f32_e32 v3, v3
	v_cvt_u32_f32_e32 v4, v3
	v_fma_f32 v3, v3, s1, |v2|
	v_cvt_u32_f32_e32 v3, v3
	v_ashrrev_i32_e32 v5, 31, v2
	v_xor_b32_e32 v4, v4, v5
	v_xor_b32_e32 v2, v3, v5
	v_sub_co_u32_e32 v2, vcc, v2, v5
	s_nop 1
	v_subb_co_u32_e32 v3, vcc, v4, v5, vcc
.LBB304_597:
	s_mov_b64 s[0:1], 0
.LBB304_598:
	s_andn2_b64 vcc, exec, s[0:1]
	s_cbranch_vccnz .LBB304_600
; %bb.599:
	global_load_dword v2, v[0:1], off
	s_waitcnt vmcnt(0)
	v_cvt_f32_f16_e32 v2, v2
	v_cvt_i32_f32_e32 v2, v2
	v_ashrrev_i32_e32 v3, 31, v2
.LBB304_600:
	s_mov_b64 s[0:1], 0
.LBB304_601:
	s_andn2_b64 vcc, exec, s[0:1]
	s_cbranch_vccnz .LBB304_612
; %bb.602:
	s_cmp_lt_i32 s36, 6
	s_cbranch_scc1 .LBB304_605
; %bb.603:
	s_cmp_gt_i32 s36, 6
	s_cbranch_scc0 .LBB304_606
; %bb.604:
	global_load_dwordx2 v[2:3], v[0:1], off
	s_movk_i32 s0, 0xffe0
	s_waitcnt vmcnt(0)
	v_trunc_f64_e32 v[4:5], v[2:3]
	v_ldexp_f64 v[2:3], v[4:5], s0
	v_floor_f64_e32 v[6:7], v[2:3]
	v_fmac_f64_e32 v[4:5], 0xc1f00000, v[6:7]
	v_cvt_i32_f64_e32 v3, v[6:7]
	v_cvt_u32_f64_e32 v2, v[4:5]
	s_mov_b64 s[0:1], 0
	s_branch .LBB304_607
.LBB304_605:
	s_mov_b64 s[0:1], -1
                                        ; implicit-def: $vgpr2_vgpr3
	s_branch .LBB304_610
.LBB304_606:
	s_mov_b64 s[0:1], -1
                                        ; implicit-def: $vgpr2_vgpr3
.LBB304_607:
	s_andn2_b64 vcc, exec, s[0:1]
	s_cbranch_vccnz .LBB304_609
; %bb.608:
	global_load_dword v2, v[0:1], off
	s_mov_b32 s0, 0x2f800000
	s_mov_b32 s1, 0xcf800000
	s_waitcnt vmcnt(0)
	v_trunc_f32_e32 v2, v2
	v_mul_f32_e64 v3, |v2|, s0
	v_floor_f32_e32 v3, v3
	v_cvt_u32_f32_e32 v4, v3
	v_fma_f32 v3, v3, s1, |v2|
	v_cvt_u32_f32_e32 v3, v3
	v_ashrrev_i32_e32 v5, 31, v2
	v_xor_b32_e32 v4, v4, v5
	v_xor_b32_e32 v2, v3, v5
	v_sub_co_u32_e32 v2, vcc, v2, v5
	s_nop 1
	v_subb_co_u32_e32 v3, vcc, v4, v5, vcc
.LBB304_609:
	s_mov_b64 s[0:1], 0
.LBB304_610:
	s_andn2_b64 vcc, exec, s[0:1]
	s_cbranch_vccnz .LBB304_612
; %bb.611:
	global_load_ushort v2, v[0:1], off
	s_waitcnt vmcnt(0)
	v_cvt_f32_f16_e32 v2, v2
	v_cvt_i32_f32_e32 v2, v2
	v_ashrrev_i32_e32 v3, 31, v2
.LBB304_612:
	s_mov_b64 s[0:1], 0
.LBB304_613:
	s_andn2_b64 vcc, exec, s[0:1]
	s_cbranch_vccnz .LBB304_633
; %bb.614:
	s_cmp_lt_i32 s36, 2
	s_cbranch_scc1 .LBB304_618
; %bb.615:
	s_cmp_lt_i32 s36, 3
	s_cbranch_scc1 .LBB304_619
; %bb.616:
	s_cmp_gt_i32 s36, 3
	s_cbranch_scc0 .LBB304_620
; %bb.617:
	global_load_dwordx2 v[2:3], v[0:1], off
	s_mov_b64 s[0:1], 0
	s_branch .LBB304_621
.LBB304_618:
	s_mov_b64 s[0:1], -1
                                        ; implicit-def: $vgpr2_vgpr3
	s_branch .LBB304_627
.LBB304_619:
	s_mov_b64 s[0:1], -1
                                        ; implicit-def: $vgpr2_vgpr3
	s_branch .LBB304_624
.LBB304_620:
	s_mov_b64 s[0:1], -1
                                        ; implicit-def: $vgpr2_vgpr3
.LBB304_621:
	s_andn2_b64 vcc, exec, s[0:1]
	s_cbranch_vccnz .LBB304_623
; %bb.622:
	global_load_dword v2, v[0:1], off
	s_waitcnt vmcnt(0)
	v_ashrrev_i32_e32 v3, 31, v2
.LBB304_623:
	s_mov_b64 s[0:1], 0
.LBB304_624:
	s_andn2_b64 vcc, exec, s[0:1]
	s_cbranch_vccnz .LBB304_626
; %bb.625:
	global_load_ushort v2, v[0:1], off
	s_waitcnt vmcnt(0)
	v_bfe_i32 v2, v2, 0, 16
	v_ashrrev_i32_e32 v3, 31, v2
.LBB304_626:
	s_mov_b64 s[0:1], 0
.LBB304_627:
	s_andn2_b64 vcc, exec, s[0:1]
	s_cbranch_vccnz .LBB304_633
; %bb.628:
	s_cmp_gt_i32 s36, 0
	s_cbranch_scc0 .LBB304_630
; %bb.629:
	global_load_sbyte v2, v[0:1], off
	s_mov_b64 s[0:1], 0
	s_waitcnt vmcnt(0)
	v_bfe_i32 v2, v2, 0, 16
	v_ashrrev_i32_e32 v3, 31, v2
	s_branch .LBB304_631
.LBB304_630:
	s_mov_b64 s[0:1], -1
                                        ; implicit-def: $vgpr2_vgpr3
.LBB304_631:
	s_andn2_b64 vcc, exec, s[0:1]
	s_cbranch_vccnz .LBB304_633
; %bb.632:
	global_load_ubyte v0, v[0:1], off
	s_mov_b32 s0, 0
	s_waitcnt vmcnt(1)
	v_mov_b32_e32 v3, s0
	s_waitcnt vmcnt(0)
	v_and_b32_e32 v2, 0xffff, v0
.LBB304_633:
	s_mov_b64 s[0:1], -1
.LBB304_634:
	s_andn2_b64 vcc, exec, s[0:1]
	s_cbranch_vccnz .LBB304_642
; %bb.635:
	v_mov_b32_e32 v0, s9
	s_waitcnt vmcnt(0)
	v_cmp_lt_i64_e32 vcc, s[8:9], v[2:3]
	s_and_b32 s40, s33, 0xff
	s_cmp_lt_i32 s40, 11
	v_cndmask_b32_e32 v1, v0, v3, vcc
	v_mov_b32_e32 v0, s8
	v_cndmask_b32_e32 v0, v0, v2, vcc
	v_mov_b32_e32 v2, s11
	v_cmp_gt_i64_e32 vcc, s[10:11], v[0:1]
	s_nop 1
	v_cndmask_b32_e32 v1, v2, v1, vcc
	v_mov_b32_e32 v2, s10
	v_cndmask_b32_e32 v0, v2, v0, vcc
	v_mul_lo_u32 v2, v10, s12
	v_ashrrev_i32_e32 v3, 31, v2
	v_lshl_add_u64 v[2:3], s[4:5], 0, v[2:3]
	s_cbranch_scc1 .LBB304_643
; %bb.636:
	s_and_b32 s41, 0xffff, s40
	s_cmp_gt_i32 s41, 25
	s_cbranch_scc0 .LBB304_644
; %bb.637:
	s_cmp_gt_i32 s41, 28
	s_cbranch_scc0 .LBB304_645
; %bb.638:
	;; [unrolled: 3-line block ×4, first 2 shown]
	s_mov_b64 s[36:37], 0
	s_mov_b64 s[0:1], -1
	s_cmp_eq_u32 s41, 46
	s_mov_b64 s[34:35], 0
	s_cbranch_scc0 .LBB304_648
; %bb.641:
	v_xor_b32_e32 v5, v0, v1
	v_ffbh_i32_e32 v4, v1
	v_ashrrev_i32_e32 v5, 31, v5
	v_add_u32_e32 v4, -1, v4
	v_add_u32_e32 v5, 32, v5
	v_min_u32_e32 v6, v4, v5
	v_lshlrev_b64 v[4:5], v6, v[0:1]
	v_min_u32_e32 v4, 1, v4
	v_or_b32_e32 v4, v5, v4
	v_cvt_f32_i32_e32 v4, v4
	v_sub_u32_e32 v5, 32, v6
	s_movk_i32 s0, 0x7fff
	s_mov_b64 s[34:35], -1
	v_ldexp_f32 v4, v4, v5
	v_bfe_u32 v5, v4, 16, 1
	v_add3_u32 v4, v4, v5, s0
	v_lshrrev_b32_e32 v4, 16, v4
	global_store_dword v[2:3], v4, off
	s_mov_b64 s[0:1], 0
	s_branch .LBB304_648
.LBB304_642:
	s_mov_b64 s[36:37], 0
                                        ; implicit-def: $vgpr10
	s_mov_b64 s[0:1], s[24:25]
	s_branch .LBB304_759
.LBB304_643:
	s_mov_b64 s[36:37], -1
	s_mov_b64 s[34:35], 0
	s_mov_b64 s[0:1], s[24:25]
	s_branch .LBB304_717
.LBB304_644:
	s_mov_b64 s[36:37], -1
	s_mov_b64 s[34:35], 0
	s_mov_b64 s[0:1], s[24:25]
	s_branch .LBB304_675
.LBB304_645:
	s_mov_b64 s[36:37], -1
	s_mov_b64 s[34:35], 0
	s_mov_b64 s[0:1], s[24:25]
	s_branch .LBB304_658
.LBB304_646:
	s_mov_b64 s[36:37], -1
	s_mov_b64 s[34:35], 0
	s_mov_b64 s[0:1], s[24:25]
	s_branch .LBB304_654
.LBB304_647:
	s_mov_b64 s[36:37], -1
	s_mov_b64 s[34:35], 0
	s_mov_b64 s[0:1], s[24:25]
.LBB304_648:
	s_and_b64 vcc, exec, s[36:37]
	s_cbranch_vccz .LBB304_653
; %bb.649:
	s_cmp_eq_u32 s41, 44
	s_mov_b64 s[0:1], -1
	s_cbranch_scc0 .LBB304_653
; %bb.650:
	v_xor_b32_e32 v5, v0, v1
	v_ffbh_i32_e32 v4, v1
	v_ashrrev_i32_e32 v5, 31, v5
	v_add_u32_e32 v4, -1, v4
	v_add_u32_e32 v5, 32, v5
	v_min_u32_e32 v6, v4, v5
	v_lshlrev_b64 v[4:5], v6, v[0:1]
	v_min_u32_e32 v4, 1, v4
	v_or_b32_e32 v4, v5, v4
	v_cvt_f32_i32_e32 v4, v4
	v_sub_u32_e32 v5, 32, v6
	s_movk_i32 s0, 0xff
	v_mov_b32_e32 v6, 0xff
	v_ldexp_f32 v4, v4, v5
	v_bfe_u32 v5, v4, 23, 8
	v_cmp_ne_u32_e32 vcc, s0, v5
	s_and_saveexec_b64 s[34:35], vcc
; %bb.651:
	s_mov_b32 s0, 0x3fffff
	v_lshrrev_b32_e32 v6, 23, v4
	v_and_b32_e32 v7, 0x400000, v4
	v_and_or_b32 v4, v4, s0, v5
	v_cmp_ne_u32_e32 vcc, 0, v7
	v_cmp_ne_u32_e64 s[0:1], 0, v4
	s_and_b64 s[0:1], vcc, s[0:1]
	s_nop 0
	v_cndmask_b32_e64 v4, 0, 1, s[0:1]
	v_add_u32_e32 v6, v6, v4
; %bb.652:
	s_or_b64 exec, exec, s[34:35]
	s_mov_b64 s[34:35], -1
	s_mov_b64 s[0:1], 0
	global_store_byte v[2:3], v6, off
.LBB304_653:
	s_mov_b64 s[36:37], 0
.LBB304_654:
	s_and_b64 vcc, exec, s[36:37]
	s_cbranch_vccz .LBB304_657
; %bb.655:
	s_cmp_eq_u32 s41, 29
	s_mov_b64 s[0:1], -1
	s_cbranch_scc0 .LBB304_657
; %bb.656:
	global_store_dwordx2 v[2:3], v[0:1], off
	s_mov_b64 s[34:35], -1
	s_mov_b64 s[0:1], 0
.LBB304_657:
	s_mov_b64 s[36:37], 0
.LBB304_658:
	s_and_b64 vcc, exec, s[36:37]
	s_cbranch_vccz .LBB304_674
; %bb.659:
	s_cmp_lt_i32 s41, 27
	s_mov_b64 s[34:35], -1
	s_cbranch_scc1 .LBB304_665
; %bb.660:
	s_cmp_gt_i32 s41, 27
	s_cbranch_scc0 .LBB304_662
; %bb.661:
	s_mov_b64 s[34:35], 0
	global_store_dword v[2:3], v0, off
.LBB304_662:
	s_andn2_b64 vcc, exec, s[34:35]
	s_cbranch_vccnz .LBB304_664
; %bb.663:
	global_store_short v[2:3], v0, off
.LBB304_664:
	s_mov_b64 s[34:35], 0
.LBB304_665:
	s_andn2_b64 vcc, exec, s[34:35]
	s_cbranch_vccnz .LBB304_673
; %bb.666:
	v_xor_b32_e32 v5, v0, v1
	v_ffbh_i32_e32 v4, v1
	v_ashrrev_i32_e32 v5, 31, v5
	v_add_u32_e32 v4, -1, v4
	v_add_u32_e32 v5, 32, v5
	v_min_u32_e32 v6, v4, v5
	v_lshlrev_b64 v[4:5], v6, v[0:1]
	v_min_u32_e32 v4, 1, v4
	v_or_b32_e32 v4, v5, v4
	v_cvt_f32_i32_e32 v4, v4
	v_sub_u32_e32 v5, 32, v6
	s_mov_b32 s34, 0x43800000
	v_mov_b32_e32 v6, 0x80
	v_ldexp_f32 v4, v4, v5
	v_and_b32_e32 v5, 0x7fffffff, v4
	v_cmp_gt_u32_e32 vcc, s34, v5
	s_and_saveexec_b64 s[34:35], vcc
	s_cbranch_execz .LBB304_672
; %bb.667:
	s_mov_b32 s36, 0x3bffffff
	v_cmp_lt_u32_e32 vcc, s36, v5
	s_mov_b64 s[36:37], 0
                                        ; implicit-def: $vgpr5
	s_and_saveexec_b64 s[38:39], vcc
	s_xor_b64 s[38:39], exec, s[38:39]
	s_cbranch_execz .LBB304_773
; %bb.668:
	v_bfe_u32 v5, v4, 20, 1
	s_mov_b32 s43, 0x487ffff
	v_add3_u32 v5, v4, v5, s43
	s_mov_b64 s[36:37], exec
	v_lshrrev_b32_e32 v5, 20, v5
	s_andn2_saveexec_b64 s[38:39], s[38:39]
	s_cbranch_execnz .LBB304_774
.LBB304_669:
	s_or_b64 exec, exec, s[38:39]
	v_mov_b32_e32 v6, 0
	s_and_saveexec_b64 s[38:39], s[36:37]
.LBB304_670:
	v_lshrrev_b32_e32 v4, 24, v4
	s_movk_i32 s36, 0x80
	v_and_or_b32 v6, v4, s36, v5
.LBB304_671:
	s_or_b64 exec, exec, s[38:39]
.LBB304_672:
	s_or_b64 exec, exec, s[34:35]
	global_store_byte v[2:3], v6, off
.LBB304_673:
	s_mov_b64 s[34:35], -1
.LBB304_674:
	s_mov_b64 s[36:37], 0
.LBB304_675:
	s_and_b64 vcc, exec, s[36:37]
	s_cbranch_vccz .LBB304_716
; %bb.676:
	s_cmp_gt_i32 s41, 22
	s_mov_b64 s[36:37], -1
	s_cbranch_scc0 .LBB304_708
; %bb.677:
	s_cmp_lt_i32 s41, 24
	s_mov_b64 s[34:35], -1
	s_cbranch_scc1 .LBB304_697
; %bb.678:
	s_cmp_gt_i32 s41, 24
	s_cbranch_scc0 .LBB304_686
; %bb.679:
	v_xor_b32_e32 v5, v0, v1
	v_ffbh_i32_e32 v4, v1
	v_ashrrev_i32_e32 v5, 31, v5
	v_add_u32_e32 v4, -1, v4
	v_add_u32_e32 v5, 32, v5
	v_min_u32_e32 v6, v4, v5
	v_lshlrev_b64 v[4:5], v6, v[0:1]
	v_min_u32_e32 v4, 1, v4
	v_or_b32_e32 v4, v5, v4
	v_cvt_f32_i32_e32 v4, v4
	v_sub_u32_e32 v5, 32, v6
	s_mov_b32 s34, 0x47800000
	v_mov_b32_e32 v6, 0x80
	v_ldexp_f32 v4, v4, v5
	v_and_b32_e32 v5, 0x7fffffff, v4
	v_cmp_gt_u32_e32 vcc, s34, v5
	s_and_saveexec_b64 s[34:35], vcc
	s_cbranch_execz .LBB304_685
; %bb.680:
	s_mov_b32 s36, 0x37ffffff
	v_cmp_lt_u32_e32 vcc, s36, v5
	s_mov_b64 s[36:37], 0
                                        ; implicit-def: $vgpr5
	s_and_saveexec_b64 s[38:39], vcc
	s_xor_b64 s[38:39], exec, s[38:39]
	s_cbranch_execz .LBB304_776
; %bb.681:
	v_bfe_u32 v5, v4, 21, 1
	s_mov_b32 s43, 0x88fffff
	v_add3_u32 v5, v4, v5, s43
	s_mov_b64 s[36:37], exec
	v_lshrrev_b32_e32 v5, 21, v5
	s_andn2_saveexec_b64 s[38:39], s[38:39]
	s_cbranch_execnz .LBB304_777
.LBB304_682:
	s_or_b64 exec, exec, s[38:39]
	v_mov_b32_e32 v6, 0
	s_and_saveexec_b64 s[38:39], s[36:37]
.LBB304_683:
	v_lshrrev_b32_e32 v4, 24, v4
	s_movk_i32 s36, 0x80
	v_and_or_b32 v6, v4, s36, v5
.LBB304_684:
	s_or_b64 exec, exec, s[38:39]
.LBB304_685:
	s_or_b64 exec, exec, s[34:35]
	s_mov_b64 s[34:35], 0
	global_store_byte v[2:3], v6, off
.LBB304_686:
	s_and_b64 vcc, exec, s[34:35]
	s_cbranch_vccz .LBB304_696
; %bb.687:
	v_xor_b32_e32 v5, v0, v1
	v_ffbh_i32_e32 v4, v1
	v_ashrrev_i32_e32 v5, 31, v5
	v_add_u32_e32 v4, -1, v4
	v_add_u32_e32 v5, 32, v5
	v_min_u32_e32 v6, v4, v5
	v_lshlrev_b64 v[4:5], v6, v[0:1]
	v_min_u32_e32 v4, 1, v4
	v_or_b32_e32 v4, v5, v4
	v_cvt_f32_i32_e32 v4, v4
	v_sub_u32_e32 v5, 32, v6
	s_mov_b32 s34, 0x43f00000
	v_ldexp_f32 v4, v4, v5
	v_and_b32_e32 v6, 0x7fffffff, v4
	v_cmp_gt_u32_e32 vcc, s34, v6
                                        ; implicit-def: $vgpr5
	s_and_saveexec_b64 s[34:35], vcc
	s_xor_b64 s[34:35], exec, s[34:35]
	s_cbranch_execz .LBB304_693
; %bb.688:
	s_mov_b32 s36, 0x3c7fffff
	v_cmp_lt_u32_e32 vcc, s36, v6
                                        ; implicit-def: $vgpr5
	s_and_saveexec_b64 s[36:37], vcc
	s_xor_b64 s[36:37], exec, s[36:37]
; %bb.689:
	v_bfe_u32 v5, v4, 20, 1
	s_mov_b32 s38, 0x407ffff
	v_add3_u32 v5, v4, v5, s38
	v_lshrrev_b32_e32 v6, 20, v5
	v_and_b32_e32 v5, 0xff00000, v5
	s_mov_b32 s38, 0x7f00000
	v_mov_b32_e32 v7, 0x7e
	v_cmp_ne_u32_e32 vcc, s38, v5
	s_nop 1
	v_cndmask_b32_e32 v5, v7, v6, vcc
; %bb.690:
	s_andn2_saveexec_b64 s[36:37], s[36:37]
; %bb.691:
	s_mov_b32 s38, 0x46800000
	v_add_f32_e64 v5, |v4|, s38
; %bb.692:
	s_or_b64 exec, exec, s[36:37]
                                        ; implicit-def: $vgpr6
.LBB304_693:
	s_andn2_saveexec_b64 s[34:35], s[34:35]
; %bb.694:
	s_mov_b32 s36, 0x7f800000
	v_mov_b32_e32 v5, 0x7e
	v_mov_b32_e32 v7, 0x7f
	v_cmp_lt_u32_e32 vcc, s36, v6
	s_nop 1
	v_cndmask_b32_e32 v5, v5, v7, vcc
; %bb.695:
	s_or_b64 exec, exec, s[34:35]
	v_lshrrev_b32_e32 v4, 24, v4
	s_movk_i32 s34, 0x80
	v_and_or_b32 v4, v4, s34, v5
	global_store_byte v[2:3], v4, off
.LBB304_696:
	s_mov_b64 s[34:35], 0
.LBB304_697:
	s_andn2_b64 vcc, exec, s[34:35]
	s_cbranch_vccnz .LBB304_707
; %bb.698:
	v_xor_b32_e32 v5, v0, v1
	v_ffbh_i32_e32 v4, v1
	v_ashrrev_i32_e32 v5, 31, v5
	v_add_u32_e32 v4, -1, v4
	v_add_u32_e32 v5, 32, v5
	v_min_u32_e32 v6, v4, v5
	v_lshlrev_b64 v[4:5], v6, v[0:1]
	v_min_u32_e32 v4, 1, v4
	v_or_b32_e32 v4, v5, v4
	v_cvt_f32_i32_e32 v4, v4
	v_sub_u32_e32 v5, 32, v6
	s_mov_b32 s34, 0x47800000
	v_ldexp_f32 v4, v4, v5
	v_and_b32_e32 v6, 0x7fffffff, v4
	v_cmp_gt_u32_e32 vcc, s34, v6
                                        ; implicit-def: $vgpr5
	s_and_saveexec_b64 s[34:35], vcc
	s_xor_b64 s[34:35], exec, s[34:35]
	s_cbranch_execz .LBB304_704
; %bb.699:
	s_mov_b32 s36, 0x387fffff
	v_cmp_lt_u32_e32 vcc, s36, v6
                                        ; implicit-def: $vgpr5
	s_and_saveexec_b64 s[36:37], vcc
	s_xor_b64 s[36:37], exec, s[36:37]
; %bb.700:
	v_bfe_u32 v5, v4, 21, 1
	s_mov_b32 s38, 0x80fffff
	v_add3_u32 v5, v4, v5, s38
	v_lshrrev_b32_e32 v5, 21, v5
; %bb.701:
	s_andn2_saveexec_b64 s[36:37], s[36:37]
; %bb.702:
	s_mov_b32 s38, 0x43000000
	v_add_f32_e64 v5, |v4|, s38
; %bb.703:
	s_or_b64 exec, exec, s[36:37]
                                        ; implicit-def: $vgpr6
.LBB304_704:
	s_andn2_saveexec_b64 s[34:35], s[34:35]
; %bb.705:
	s_mov_b32 s36, 0x7f800000
	v_mov_b32_e32 v5, 0x7c
	v_mov_b32_e32 v7, 0x7f
	v_cmp_lt_u32_e32 vcc, s36, v6
	s_nop 1
	v_cndmask_b32_e32 v5, v5, v7, vcc
; %bb.706:
	s_or_b64 exec, exec, s[34:35]
	v_lshrrev_b32_e32 v4, 24, v4
	s_movk_i32 s34, 0x80
	v_and_or_b32 v4, v4, s34, v5
	global_store_byte v[2:3], v4, off
.LBB304_707:
	s_mov_b64 s[36:37], 0
	s_mov_b64 s[34:35], -1
.LBB304_708:
	s_andn2_b64 vcc, exec, s[36:37]
	s_cbranch_vccnz .LBB304_716
; %bb.709:
	s_cmp_gt_i32 s41, 14
	s_mov_b64 s[36:37], -1
	s_cbranch_scc0 .LBB304_713
; %bb.710:
	s_cmp_eq_u32 s41, 15
	s_mov_b64 s[0:1], -1
	s_cbranch_scc0 .LBB304_712
; %bb.711:
	v_xor_b32_e32 v5, v0, v1
	v_ffbh_i32_e32 v4, v1
	v_ashrrev_i32_e32 v5, 31, v5
	v_add_u32_e32 v4, -1, v4
	v_add_u32_e32 v5, 32, v5
	v_min_u32_e32 v6, v4, v5
	v_lshlrev_b64 v[4:5], v6, v[0:1]
	v_min_u32_e32 v4, 1, v4
	v_or_b32_e32 v4, v5, v4
	v_cvt_f32_i32_e32 v4, v4
	v_sub_u32_e32 v5, 32, v6
	s_movk_i32 s0, 0x7fff
	s_mov_b64 s[34:35], -1
	v_ldexp_f32 v4, v4, v5
	v_bfe_u32 v5, v4, 16, 1
	v_add3_u32 v4, v4, v5, s0
	global_store_short_d16_hi v[2:3], v4, off
	s_mov_b64 s[0:1], 0
.LBB304_712:
	s_mov_b64 s[36:37], 0
.LBB304_713:
	s_and_b64 vcc, exec, s[36:37]
	s_cbranch_vccz .LBB304_716
; %bb.714:
	s_cmp_eq_u32 s41, 11
	s_mov_b64 s[0:1], -1
	s_cbranch_scc0 .LBB304_716
; %bb.715:
	v_cmp_ne_u64_e32 vcc, 0, v[0:1]
	s_mov_b64 s[0:1], 0
	s_mov_b64 s[34:35], -1
	v_cndmask_b32_e64 v4, 0, 1, vcc
	global_store_byte v[2:3], v4, off
.LBB304_716:
	s_mov_b64 s[36:37], 0
.LBB304_717:
	s_and_b64 vcc, exec, s[36:37]
	s_cbranch_vccz .LBB304_756
; %bb.718:
	s_and_b32 s36, 0xffff, s40
	s_cmp_lt_i32 s36, 5
	s_mov_b64 s[34:35], -1
	s_cbranch_scc1 .LBB304_739
; %bb.719:
	s_cmp_lt_i32 s36, 8
	s_cbranch_scc1 .LBB304_729
; %bb.720:
	s_cmp_lt_i32 s36, 9
	s_cbranch_scc1 .LBB304_726
; %bb.721:
	s_cmp_gt_i32 s36, 9
	s_cbranch_scc0 .LBB304_723
; %bb.722:
	v_cvt_f64_i32_e32 v[4:5], v1
	v_ldexp_f64 v[4:5], v[4:5], 32
	v_cvt_f64_u32_e32 v[6:7], v0
	v_add_f64 v[4:5], v[4:5], v[6:7]
	v_mov_b32_e32 v6, 0
	v_mov_b32_e32 v7, v6
	s_mov_b64 s[34:35], 0
	global_store_dwordx4 v[2:3], v[4:7], off
.LBB304_723:
	s_andn2_b64 vcc, exec, s[34:35]
	s_cbranch_vccnz .LBB304_725
; %bb.724:
	v_xor_b32_e32 v5, v0, v1
	v_ffbh_i32_e32 v4, v1
	v_ashrrev_i32_e32 v5, 31, v5
	v_add_u32_e32 v4, -1, v4
	v_add_u32_e32 v5, 32, v5
	v_min_u32_e32 v6, v4, v5
	v_lshlrev_b64 v[4:5], v6, v[0:1]
	v_min_u32_e32 v4, 1, v4
	v_or_b32_e32 v4, v5, v4
	v_cvt_f32_i32_e32 v4, v4
	v_sub_u32_e32 v5, 32, v6
	v_ldexp_f32 v4, v4, v5
	v_mov_b32_e32 v5, 0
	global_store_dwordx2 v[2:3], v[4:5], off
.LBB304_725:
	s_mov_b64 s[34:35], 0
.LBB304_726:
	s_andn2_b64 vcc, exec, s[34:35]
	s_cbranch_vccnz .LBB304_728
; %bb.727:
	v_xor_b32_e32 v5, v0, v1
	v_ffbh_i32_e32 v4, v1
	v_ashrrev_i32_e32 v5, 31, v5
	v_add_u32_e32 v4, -1, v4
	v_add_u32_e32 v5, 32, v5
	v_min_u32_e32 v6, v4, v5
	v_lshlrev_b64 v[4:5], v6, v[0:1]
	v_min_u32_e32 v4, 1, v4
	v_or_b32_e32 v4, v5, v4
	v_cvt_f32_i32_e32 v4, v4
	v_sub_u32_e32 v5, 32, v6
	v_ldexp_f32 v4, v4, v5
	v_cvt_f16_f32_e32 v4, v4
	global_store_dword v[2:3], v4, off
.LBB304_728:
	s_mov_b64 s[34:35], 0
.LBB304_729:
	s_andn2_b64 vcc, exec, s[34:35]
	s_cbranch_vccnz .LBB304_738
; %bb.730:
	s_cmp_lt_i32 s36, 6
	s_mov_b64 s[34:35], -1
	s_cbranch_scc1 .LBB304_736
; %bb.731:
	s_cmp_gt_i32 s36, 6
	s_cbranch_scc0 .LBB304_733
; %bb.732:
	v_cvt_f64_i32_e32 v[4:5], v1
	v_ldexp_f64 v[4:5], v[4:5], 32
	v_cvt_f64_u32_e32 v[6:7], v0
	v_add_f64 v[4:5], v[4:5], v[6:7]
	s_mov_b64 s[34:35], 0
	global_store_dwordx2 v[2:3], v[4:5], off
.LBB304_733:
	s_andn2_b64 vcc, exec, s[34:35]
	s_cbranch_vccnz .LBB304_735
; %bb.734:
	v_xor_b32_e32 v5, v0, v1
	v_ffbh_i32_e32 v4, v1
	v_ashrrev_i32_e32 v5, 31, v5
	v_add_u32_e32 v4, -1, v4
	v_add_u32_e32 v5, 32, v5
	v_min_u32_e32 v6, v4, v5
	v_lshlrev_b64 v[4:5], v6, v[0:1]
	v_min_u32_e32 v4, 1, v4
	v_or_b32_e32 v4, v5, v4
	v_cvt_f32_i32_e32 v4, v4
	v_sub_u32_e32 v5, 32, v6
	v_ldexp_f32 v4, v4, v5
	global_store_dword v[2:3], v4, off
.LBB304_735:
	s_mov_b64 s[34:35], 0
.LBB304_736:
	s_andn2_b64 vcc, exec, s[34:35]
	s_cbranch_vccnz .LBB304_738
; %bb.737:
	v_xor_b32_e32 v5, v0, v1
	v_ffbh_i32_e32 v4, v1
	v_ashrrev_i32_e32 v5, 31, v5
	v_add_u32_e32 v4, -1, v4
	v_add_u32_e32 v5, 32, v5
	v_min_u32_e32 v6, v4, v5
	v_lshlrev_b64 v[4:5], v6, v[0:1]
	v_min_u32_e32 v4, 1, v4
	v_or_b32_e32 v4, v5, v4
	v_cvt_f32_i32_e32 v4, v4
	v_sub_u32_e32 v5, 32, v6
	v_ldexp_f32 v4, v4, v5
	v_cvt_f16_f32_e32 v4, v4
	global_store_short v[2:3], v4, off
.LBB304_738:
	s_mov_b64 s[34:35], 0
.LBB304_739:
	s_andn2_b64 vcc, exec, s[34:35]
	s_cbranch_vccnz .LBB304_755
; %bb.740:
	s_cmp_lt_i32 s36, 2
	s_mov_b64 s[34:35], -1
	s_cbranch_scc1 .LBB304_750
; %bb.741:
	s_cmp_lt_i32 s36, 3
	s_cbranch_scc1 .LBB304_747
; %bb.742:
	s_cmp_gt_i32 s36, 3
	s_cbranch_scc0 .LBB304_744
; %bb.743:
	s_mov_b64 s[34:35], 0
	global_store_dwordx2 v[2:3], v[0:1], off
.LBB304_744:
	s_andn2_b64 vcc, exec, s[34:35]
	s_cbranch_vccnz .LBB304_746
; %bb.745:
	global_store_dword v[2:3], v0, off
.LBB304_746:
	s_mov_b64 s[34:35], 0
.LBB304_747:
	s_andn2_b64 vcc, exec, s[34:35]
	s_cbranch_vccnz .LBB304_749
; %bb.748:
	global_store_short v[2:3], v0, off
.LBB304_749:
	s_mov_b64 s[34:35], 0
.LBB304_750:
	s_andn2_b64 vcc, exec, s[34:35]
	s_cbranch_vccnz .LBB304_755
; %bb.751:
	s_cmp_gt_i32 s36, 0
	s_mov_b64 s[34:35], -1
	s_cbranch_scc0 .LBB304_753
; %bb.752:
	s_mov_b64 s[34:35], 0
	global_store_byte v[2:3], v0, off
.LBB304_753:
	s_andn2_b64 vcc, exec, s[34:35]
	s_cbranch_vccnz .LBB304_755
; %bb.754:
	global_store_byte v[2:3], v0, off
.LBB304_755:
	s_mov_b64 s[34:35], -1
.LBB304_756:
	s_andn2_b64 vcc, exec, s[34:35]
	s_cbranch_vccnz .LBB304_758
; %bb.757:
	v_add_u32_e32 v10, 0x80, v10
	s_mov_b64 s[36:37], -1
	s_branch .LBB304_759
.LBB304_758:
	s_mov_b64 s[36:37], 0
                                        ; implicit-def: $vgpr10
.LBB304_759:
	s_andn2_b64 s[34:35], s[24:25], exec
	s_and_b64 s[0:1], s[0:1], exec
	s_or_b64 s[34:35], s[34:35], s[0:1]
	s_andn2_b64 s[0:1], s[22:23], exec
	s_and_b64 s[30:31], s[30:31], exec
	s_or_b64 s[0:1], s[0:1], s[30:31]
	s_orn2_b64 s[38:39], s[36:37], exec
.LBB304_760:
	s_or_b64 exec, exec, s[28:29]
	s_mov_b64 s[36:37], 0
	s_mov_b64 s[30:31], 0
	;; [unrolled: 1-line block ×3, first 2 shown]
                                        ; implicit-def: $vgpr0_vgpr1
                                        ; implicit-def: $vgpr4_vgpr5
	s_and_saveexec_b64 s[28:29], s[38:39]
	s_cbranch_execz .LBB304_841
; %bb.761:
	v_cmp_gt_i32_e32 vcc, s42, v10
	s_mov_b64 s[38:39], 0
	s_mov_b64 s[42:43], s[0:1]
	;; [unrolled: 1-line block ×3, first 2 shown]
                                        ; implicit-def: $vgpr0_vgpr1
                                        ; implicit-def: $vgpr4_vgpr5
	s_and_saveexec_b64 s[30:31], vcc
	s_cbranch_execz .LBB304_840
; %bb.762:
	v_mul_lo_u32 v0, v10, s13
	v_ashrrev_i32_e32 v1, 31, v0
	s_and_b32 s44, 0xffff, s46
	s_cmp_lt_i32 s44, 11
	v_lshl_add_u64 v[0:1], s[6:7], 0, v[0:1]
	s_cbranch_scc1 .LBB304_769
; %bb.763:
	s_cmp_gt_i32 s44, 25
	s_cbranch_scc0 .LBB304_770
; %bb.764:
	s_cmp_gt_i32 s44, 28
	s_cbranch_scc0 .LBB304_771
	;; [unrolled: 3-line block ×4, first 2 shown]
; %bb.767:
	s_cmp_eq_u32 s44, 46
	s_mov_b64 s[42:43], 0
	s_cbranch_scc0 .LBB304_778
; %bb.768:
	global_load_dword v2, v[0:1], off
	s_mov_b32 s36, 0x2f800000
	s_mov_b32 s37, 0xcf800000
	s_mov_b64 s[40:41], -1
	s_waitcnt vmcnt(0)
	v_lshlrev_b32_e32 v2, 16, v2
	v_trunc_f32_e32 v2, v2
	v_mul_f32_e64 v3, |v2|, s36
	v_floor_f32_e32 v3, v3
	v_fma_f32 v4, v3, s37, |v2|
	v_cvt_u32_f32_e32 v4, v4
	v_cvt_u32_f32_e32 v3, v3
	v_ashrrev_i32_e32 v2, 31, v2
	s_mov_b64 s[36:37], 0
	v_xor_b32_e32 v4, v4, v2
	v_xor_b32_e32 v3, v3, v2
	v_sub_co_u32_e32 v4, vcc, v4, v2
	s_nop 1
	v_subb_co_u32_e32 v5, vcc, v3, v2, vcc
	s_branch .LBB304_780
.LBB304_769:
	s_mov_b64 s[42:43], -1
                                        ; implicit-def: $vgpr4_vgpr5
	s_mov_b64 s[36:37], s[0:1]
	s_branch .LBB304_839
.LBB304_770:
	s_mov_b64 s[42:43], -1
	s_mov_b64 s[36:37], s[0:1]
                                        ; implicit-def: $vgpr4_vgpr5
	s_branch .LBB304_807
.LBB304_771:
	s_mov_b64 s[42:43], -1
	s_mov_b64 s[36:37], s[0:1]
                                        ; implicit-def: $vgpr4_vgpr5
	s_branch .LBB304_790
.LBB304_772:
	s_mov_b64 s[42:43], -1
	s_mov_b64 s[36:37], s[0:1]
                                        ; implicit-def: $vgpr4_vgpr5
	s_branch .LBB304_785
.LBB304_773:
	s_andn2_saveexec_b64 s[38:39], s[38:39]
	s_cbranch_execz .LBB304_669
.LBB304_774:
	s_mov_b32 s43, 0x46000000
	v_add_f32_e64 v5, |v4|, s43
	v_and_b32_e32 v5, 0xff, v5
	v_cmp_ne_u32_e32 vcc, 0, v5
	s_andn2_b64 s[36:37], s[36:37], exec
	s_and_b64 s[44:45], vcc, exec
	s_or_b64 s[36:37], s[36:37], s[44:45]
	s_or_b64 exec, exec, s[38:39]
	v_mov_b32_e32 v6, 0
	s_and_saveexec_b64 s[38:39], s[36:37]
	s_cbranch_execnz .LBB304_670
	s_branch .LBB304_671
.LBB304_775:
	s_mov_b64 s[42:43], -1
	s_mov_b64 s[36:37], s[0:1]
	s_branch .LBB304_779
.LBB304_776:
	s_andn2_saveexec_b64 s[38:39], s[38:39]
	s_cbranch_execz .LBB304_682
.LBB304_777:
	s_mov_b32 s43, 0x42800000
	v_add_f32_e64 v5, |v4|, s43
	v_and_b32_e32 v5, 0xff, v5
	v_cmp_ne_u32_e32 vcc, 0, v5
	s_andn2_b64 s[36:37], s[36:37], exec
	s_and_b64 s[44:45], vcc, exec
	s_or_b64 s[36:37], s[36:37], s[44:45]
	s_or_b64 exec, exec, s[38:39]
	v_mov_b32_e32 v6, 0
	s_and_saveexec_b64 s[38:39], s[36:37]
	s_cbranch_execnz .LBB304_683
	s_branch .LBB304_684
.LBB304_778:
	s_mov_b64 s[36:37], -1
.LBB304_779:
                                        ; implicit-def: $vgpr4_vgpr5
.LBB304_780:
	s_and_b64 vcc, exec, s[42:43]
	s_cbranch_vccz .LBB304_784
; %bb.781:
	s_cmp_eq_u32 s44, 44
	s_cbranch_scc0 .LBB304_783
; %bb.782:
	global_load_ubyte v2, v[0:1], off
	s_mov_b32 s36, 0x2f800000
	s_mov_b32 s37, 0xcf800000
	s_mov_b64 s[40:41], -1
	s_waitcnt vmcnt(0)
	v_lshlrev_b32_e32 v3, 23, v2
	v_trunc_f32_e32 v3, v3
	v_mul_f32_e64 v4, |v3|, s36
	v_floor_f32_e32 v4, v4
	v_fma_f32 v5, v4, s37, |v3|
	v_cvt_u32_f32_e32 v5, v5
	v_cvt_u32_f32_e32 v4, v4
	v_ashrrev_i32_e32 v3, 31, v3
	s_mov_b64 s[36:37], 0
	v_xor_b32_e32 v5, v5, v3
	v_xor_b32_e32 v4, v4, v3
	v_sub_co_u32_e32 v6, vcc, v5, v3
	s_nop 1
	v_subb_co_u32_e32 v3, vcc, v4, v3, vcc
	v_cmp_ne_u32_e32 vcc, 0, v2
	s_nop 1
	v_cndmask_b32_e32 v5, 0, v3, vcc
	v_cndmask_b32_e32 v4, 0, v6, vcc
	s_branch .LBB304_784
.LBB304_783:
	s_mov_b64 s[36:37], -1
                                        ; implicit-def: $vgpr4_vgpr5
.LBB304_784:
	s_mov_b64 s[42:43], 0
.LBB304_785:
	s_and_b64 vcc, exec, s[42:43]
	s_cbranch_vccz .LBB304_789
; %bb.786:
	s_cmp_eq_u32 s44, 29
	s_cbranch_scc0 .LBB304_788
; %bb.787:
	global_load_dwordx2 v[4:5], v[0:1], off
	s_mov_b64 s[36:37], 0
	s_mov_b64 s[40:41], -1
	s_branch .LBB304_789
.LBB304_788:
	s_mov_b64 s[36:37], -1
                                        ; implicit-def: $vgpr4_vgpr5
.LBB304_789:
	s_mov_b64 s[42:43], 0
.LBB304_790:
	s_and_b64 vcc, exec, s[42:43]
	s_cbranch_vccz .LBB304_806
; %bb.791:
	s_cmp_lt_i32 s44, 27
	s_cbranch_scc1 .LBB304_794
; %bb.792:
	s_cmp_gt_i32 s44, 27
	s_cbranch_scc0 .LBB304_795
; %bb.793:
	global_load_dword v4, v[0:1], off
	s_waitcnt vmcnt(1)
	v_mov_b32_e32 v5, 0
	s_mov_b64 s[40:41], 0
	s_branch .LBB304_796
.LBB304_794:
	s_mov_b64 s[40:41], -1
                                        ; implicit-def: $vgpr4_vgpr5
	s_branch .LBB304_799
.LBB304_795:
	s_mov_b64 s[40:41], -1
                                        ; implicit-def: $vgpr4_vgpr5
.LBB304_796:
	s_andn2_b64 vcc, exec, s[40:41]
	s_cbranch_vccnz .LBB304_798
; %bb.797:
	global_load_ushort v2, v[0:1], off
	s_mov_b32 s40, 0
	s_waitcnt vmcnt(1)
	v_mov_b32_e32 v5, s40
	s_waitcnt vmcnt(0)
	v_and_b32_e32 v4, 0xffff, v2
.LBB304_798:
	s_mov_b64 s[40:41], 0
.LBB304_799:
	s_andn2_b64 vcc, exec, s[40:41]
	s_cbranch_vccnz .LBB304_805
; %bb.800:
	global_load_ubyte v2, v[0:1], off
	s_movk_i32 s40, 0x7f
	s_mov_b64 s[42:43], 0
	s_waitcnt vmcnt(0)
	v_cmp_lt_i16_e32 vcc, s40, v2
	s_and_saveexec_b64 s[40:41], vcc
	s_xor_b64 s[40:41], exec, s[40:41]
	s_cbranch_execz .LBB304_817
; %bb.801:
	s_movk_i32 s42, 0x80
	v_cmp_ne_u16_e32 vcc, s42, v2
	s_and_b64 s[42:43], vcc, exec
	s_andn2_saveexec_b64 s[40:41], s[40:41]
	s_cbranch_execnz .LBB304_818
.LBB304_802:
	s_or_b64 exec, exec, s[40:41]
	v_mov_b64_e32 v[4:5], 0
	s_and_saveexec_b64 s[40:41], s[42:43]
	s_cbranch_execz .LBB304_804
.LBB304_803:
	v_lshlrev_b32_e32 v3, 24, v2
	v_and_b32_e32 v2, 0xffff, v2
	v_and_b32_e32 v4, 7, v2
	v_ffbh_u32_e32 v6, v4
	v_min_u32_e32 v6, 32, v6
	v_subrev_u32_e32 v7, 28, v6
	v_bfe_u32 v5, v2, 3, 4
	v_lshlrev_b32_e32 v2, v7, v2
	v_sub_u32_e32 v6, 29, v6
	v_and_b32_e32 v2, 7, v2
	v_cmp_eq_u32_e32 vcc, 0, v5
	v_and_b32_e32 v3, 0x80000000, v3
	s_mov_b32 s42, 0x2f800000
	v_cndmask_b32_e32 v5, v5, v6, vcc
	v_cndmask_b32_e32 v2, v4, v2, vcc
	v_mov_b32_e32 v4, 0x3b800000
	v_lshlrev_b32_e32 v2, 20, v2
	v_lshl_add_u32 v4, v5, 23, v4
	v_or3_b32 v2, v3, v4, v2
	v_trunc_f32_e32 v2, v2
	v_mul_f32_e64 v3, |v2|, s42
	v_floor_f32_e32 v3, v3
	s_mov_b32 s42, 0xcf800000
	v_fma_f32 v4, v3, s42, |v2|
	v_cvt_u32_f32_e32 v4, v4
	v_cvt_u32_f32_e32 v3, v3
	v_ashrrev_i32_e32 v2, 31, v2
	v_xor_b32_e32 v4, v4, v2
	v_xor_b32_e32 v3, v3, v2
	v_sub_co_u32_e32 v4, vcc, v4, v2
	s_nop 1
	v_subb_co_u32_e32 v5, vcc, v3, v2, vcc
.LBB304_804:
	s_or_b64 exec, exec, s[40:41]
.LBB304_805:
	s_mov_b64 s[40:41], -1
.LBB304_806:
	s_mov_b64 s[42:43], 0
.LBB304_807:
	s_and_b64 vcc, exec, s[42:43]
	s_cbranch_vccz .LBB304_838
; %bb.808:
	s_cmp_gt_i32 s44, 22
	s_cbranch_scc0 .LBB304_816
; %bb.809:
	s_cmp_lt_i32 s44, 24
	s_cbranch_scc1 .LBB304_819
; %bb.810:
	s_cmp_gt_i32 s44, 24
	s_cbranch_scc0 .LBB304_820
; %bb.811:
	global_load_ubyte v2, v[0:1], off
	s_movk_i32 s38, 0x7f
	s_mov_b64 s[40:41], 0
	s_waitcnt vmcnt(0)
	v_cmp_lt_i16_e32 vcc, s38, v2
	s_and_saveexec_b64 s[38:39], vcc
	s_xor_b64 s[38:39], exec, s[38:39]
	s_cbranch_execz .LBB304_832
; %bb.812:
	s_movk_i32 s40, 0x80
	v_cmp_ne_u16_e32 vcc, s40, v2
	s_and_b64 s[40:41], vcc, exec
	s_andn2_saveexec_b64 s[38:39], s[38:39]
	s_cbranch_execnz .LBB304_833
.LBB304_813:
	s_or_b64 exec, exec, s[38:39]
	v_mov_b64_e32 v[4:5], 0
	s_and_saveexec_b64 s[38:39], s[40:41]
	s_cbranch_execz .LBB304_815
.LBB304_814:
	v_lshlrev_b32_e32 v3, 24, v2
	v_and_b32_e32 v2, 0xffff, v2
	v_and_b32_e32 v4, 3, v2
	v_ffbh_u32_e32 v6, v4
	v_min_u32_e32 v6, 32, v6
	v_subrev_u32_e32 v7, 29, v6
	v_bfe_u32 v5, v2, 2, 5
	v_lshlrev_b32_e32 v2, v7, v2
	v_sub_u32_e32 v6, 30, v6
	v_and_b32_e32 v2, 3, v2
	v_cmp_eq_u32_e32 vcc, 0, v5
	v_and_b32_e32 v3, 0x80000000, v3
	s_mov_b32 s40, 0x2f800000
	v_cndmask_b32_e32 v5, v5, v6, vcc
	v_cndmask_b32_e32 v2, v4, v2, vcc
	v_mov_b32_e32 v4, 0x37800000
	v_lshlrev_b32_e32 v2, 21, v2
	v_lshl_add_u32 v4, v5, 23, v4
	v_or3_b32 v2, v3, v4, v2
	v_trunc_f32_e32 v2, v2
	v_mul_f32_e64 v3, |v2|, s40
	v_floor_f32_e32 v3, v3
	s_mov_b32 s40, 0xcf800000
	v_fma_f32 v4, v3, s40, |v2|
	v_cvt_u32_f32_e32 v4, v4
	v_cvt_u32_f32_e32 v3, v3
	v_ashrrev_i32_e32 v2, 31, v2
	v_xor_b32_e32 v4, v4, v2
	v_xor_b32_e32 v3, v3, v2
	v_sub_co_u32_e32 v4, vcc, v4, v2
	s_nop 1
	v_subb_co_u32_e32 v5, vcc, v3, v2, vcc
.LBB304_815:
	s_or_b64 exec, exec, s[38:39]
	s_mov_b64 s[38:39], 0
	s_branch .LBB304_821
.LBB304_816:
	s_mov_b64 s[38:39], -1
                                        ; implicit-def: $vgpr4_vgpr5
	s_branch .LBB304_827
.LBB304_817:
	s_andn2_saveexec_b64 s[40:41], s[40:41]
	s_cbranch_execz .LBB304_802
.LBB304_818:
	v_cmp_ne_u16_e32 vcc, 0, v2
	s_andn2_b64 s[42:43], s[42:43], exec
	s_and_b64 s[48:49], vcc, exec
	s_or_b64 s[42:43], s[42:43], s[48:49]
	s_or_b64 exec, exec, s[40:41]
	v_mov_b64_e32 v[4:5], 0
	s_and_saveexec_b64 s[40:41], s[42:43]
	s_cbranch_execnz .LBB304_803
	s_branch .LBB304_804
.LBB304_819:
	s_mov_b64 s[38:39], -1
                                        ; implicit-def: $vgpr4_vgpr5
	s_branch .LBB304_824
.LBB304_820:
	s_mov_b64 s[38:39], -1
                                        ; implicit-def: $vgpr4_vgpr5
.LBB304_821:
	s_and_b64 vcc, exec, s[38:39]
	s_cbranch_vccz .LBB304_823
; %bb.822:
	global_load_ubyte v2, v[0:1], off
	s_mov_b32 s38, 0x7f800000
	s_brev_b32 s39, 1
	s_mov_b32 s40, 0x2f800000
	s_mov_b32 s41, 0xcf800000
	s_waitcnt vmcnt(0)
	v_lshlrev_b32_e32 v2, 24, v2
	v_and_b32_e32 v3, 0x7f000000, v2
	v_ffbh_u32_e32 v4, v3
	v_min_u32_e32 v4, 32, v4
	v_sub_u32_e64 v4, v4, 4 clamp
	v_lshlrev_b32_e32 v6, v4, v3
	v_lshlrev_b32_e32 v4, 23, v4
	v_lshrrev_b32_e32 v6, 4, v6
	v_add_u32_e32 v5, 0x1000000, v3
	v_sub_u32_e32 v4, v6, v4
	v_ashrrev_i32_e32 v5, 8, v5
	v_add_u32_e32 v4, 0x3c000000, v4
	v_and_or_b32 v4, v5, s38, v4
	v_cmp_ne_u32_e32 vcc, 0, v3
	s_nop 1
	v_cndmask_b32_e32 v3, 0, v4, vcc
	v_and_or_b32 v2, v2, s39, v3
	v_trunc_f32_e32 v2, v2
	v_mul_f32_e64 v3, |v2|, s40
	v_floor_f32_e32 v3, v3
	v_fma_f32 v4, v3, s41, |v2|
	v_cvt_u32_f32_e32 v4, v4
	v_cvt_u32_f32_e32 v3, v3
	v_ashrrev_i32_e32 v2, 31, v2
	v_xor_b32_e32 v4, v4, v2
	v_xor_b32_e32 v3, v3, v2
	v_sub_co_u32_e32 v4, vcc, v4, v2
	s_nop 1
	v_subb_co_u32_e32 v5, vcc, v3, v2, vcc
.LBB304_823:
	s_mov_b64 s[38:39], 0
.LBB304_824:
	s_andn2_b64 vcc, exec, s[38:39]
	s_cbranch_vccnz .LBB304_826
; %bb.825:
	global_load_ubyte v2, v[0:1], off
	s_movk_i32 s38, 0x7f00
	s_brev_b32 s39, 16
	s_brev_b32 s40, 1
	s_mov_b32 s41, 0x2f800000
	s_mov_b32 s42, 0xcf800000
	s_waitcnt vmcnt(0)
	v_lshlrev_b16_e32 v3, 8, v2
	v_lshlrev_b32_e32 v2, 25, v2
	v_lshrrev_b32_e32 v4, 4, v2
	v_and_or_b32 v5, v3, s38, 0.5
	v_or_b32_e32 v4, 0x70000000, v4
	v_add_f32_e32 v5, -0.5, v5
	v_mul_f32_e32 v4, 0x7800000, v4
	v_cmp_gt_u32_e32 vcc, s39, v2
	v_bfe_i32 v3, v3, 0, 16
	s_nop 0
	v_cndmask_b32_e32 v2, v4, v5, vcc
	v_and_or_b32 v2, v3, s40, v2
	v_trunc_f32_e32 v2, v2
	v_mul_f32_e64 v3, |v2|, s41
	v_floor_f32_e32 v3, v3
	v_fma_f32 v4, v3, s42, |v2|
	v_cvt_u32_f32_e32 v4, v4
	v_cvt_u32_f32_e32 v3, v3
	v_ashrrev_i32_e32 v2, 31, v2
	v_xor_b32_e32 v4, v4, v2
	v_xor_b32_e32 v3, v3, v2
	v_sub_co_u32_e32 v4, vcc, v4, v2
	s_nop 1
	v_subb_co_u32_e32 v5, vcc, v3, v2, vcc
.LBB304_826:
	s_mov_b64 s[38:39], 0
	s_mov_b64 s[40:41], -1
.LBB304_827:
	s_andn2_b64 vcc, exec, s[38:39]
	s_mov_b64 s[38:39], 0
	s_cbranch_vccnz .LBB304_838
; %bb.828:
	s_cmp_gt_i32 s44, 14
	s_cbranch_scc0 .LBB304_831
; %bb.829:
	s_cmp_eq_u32 s44, 15
	s_cbranch_scc0 .LBB304_834
; %bb.830:
	global_load_ushort v2, v[0:1], off
	s_mov_b32 s36, 0x2f800000
	s_mov_b32 s37, 0xcf800000
	s_mov_b64 s[40:41], -1
	s_waitcnt vmcnt(0)
	v_lshlrev_b32_e32 v2, 16, v2
	v_trunc_f32_e32 v2, v2
	v_mul_f32_e64 v3, |v2|, s36
	v_floor_f32_e32 v3, v3
	v_fma_f32 v4, v3, s37, |v2|
	v_cvt_u32_f32_e32 v4, v4
	v_cvt_u32_f32_e32 v3, v3
	v_ashrrev_i32_e32 v2, 31, v2
	s_mov_b64 s[36:37], 0
	v_xor_b32_e32 v4, v4, v2
	v_xor_b32_e32 v3, v3, v2
	v_sub_co_u32_e32 v4, vcc, v4, v2
	s_nop 1
	v_subb_co_u32_e32 v5, vcc, v3, v2, vcc
	s_branch .LBB304_835
.LBB304_831:
	s_mov_b64 s[42:43], -1
                                        ; implicit-def: $vgpr4_vgpr5
	s_branch .LBB304_836
.LBB304_832:
	s_andn2_saveexec_b64 s[38:39], s[38:39]
	s_cbranch_execz .LBB304_813
.LBB304_833:
	v_cmp_ne_u16_e32 vcc, 0, v2
	s_andn2_b64 s[40:41], s[40:41], exec
	s_and_b64 s[42:43], vcc, exec
	s_or_b64 s[40:41], s[40:41], s[42:43]
	s_or_b64 exec, exec, s[38:39]
	v_mov_b64_e32 v[4:5], 0
	s_and_saveexec_b64 s[38:39], s[40:41]
	s_cbranch_execnz .LBB304_814
	s_branch .LBB304_815
.LBB304_834:
	s_mov_b64 s[36:37], -1
                                        ; implicit-def: $vgpr4_vgpr5
.LBB304_835:
	s_mov_b64 s[42:43], 0
.LBB304_836:
	s_and_b64 vcc, exec, s[42:43]
	s_cbranch_vccz .LBB304_838
; %bb.837:
	s_cmp_lg_u32 s44, 11
	s_cselect_b64 s[42:43], -1, 0
	s_andn2_b64 s[36:37], s[36:37], exec
	s_and_b64 s[42:43], s[42:43], exec
	s_mov_b64 s[38:39], -1
	s_or_b64 s[36:37], s[36:37], s[42:43]
.LBB304_838:
	s_mov_b64 s[42:43], 0
.LBB304_839:
	s_and_b64 s[44:45], s[42:43], exec
	s_andn2_b64 s[42:43], s[0:1], exec
	s_and_b64 s[36:37], s[36:37], exec
	s_and_b64 s[40:41], s[40:41], exec
	;; [unrolled: 1-line block ×3, first 2 shown]
	s_or_b64 s[42:43], s[42:43], s[36:37]
.LBB304_840:
	s_or_b64 exec, exec, s[30:31]
	s_and_b64 s[36:37], s[38:39], exec
	s_andn2_b64 s[0:1], s[0:1], exec
	s_and_b64 s[38:39], s[42:43], exec
	s_and_b64 s[40:41], s[40:41], exec
	;; [unrolled: 1-line block ×3, first 2 shown]
	s_or_b64 s[0:1], s[0:1], s[38:39]
.LBB304_841:
	s_or_b64 exec, exec, s[28:29]
	s_andn2_b64 s[24:25], s[24:25], exec
	s_and_b64 s[28:29], s[34:35], exec
	s_andn2_b64 s[22:23], s[22:23], exec
	s_and_b64 s[0:1], s[0:1], exec
	s_or_b64 s[24:25], s[24:25], s[28:29]
	s_and_b64 s[34:35], s[40:41], exec
	s_and_b64 s[30:31], s[30:31], exec
	s_and_b64 s[28:29], s[36:37], exec
	s_or_b64 s[22:23], s[22:23], s[0:1]
.LBB304_842:
	s_or_b64 exec, exec, s[26:27]
	s_andn2_b64 s[0:1], s[16:17], exec
	s_and_b64 s[16:17], s[24:25], exec
	s_andn2_b64 s[18:19], s[18:19], exec
	s_and_b64 s[22:23], s[22:23], exec
	s_or_b64 s[16:17], s[0:1], s[16:17]
	s_and_b64 s[0:1], s[34:35], exec
	s_and_b64 s[26:27], s[30:31], exec
	;; [unrolled: 1-line block ×3, first 2 shown]
	s_or_b64 s[18:19], s[18:19], s[22:23]
	s_or_b64 exec, exec, s[20:21]
	s_mov_b64 s[20:21], 0
	s_and_saveexec_b64 s[22:23], s[18:19]
	s_cbranch_execz .LBB304_258
.LBB304_843:
	s_mov_b64 s[20:21], exec
	s_andn2_b64 s[24:25], s[24:25], exec
	s_trap 2
	s_or_b64 exec, exec, s[22:23]
	s_and_saveexec_b64 s[18:19], s[24:25]
	s_xor_b64 s[18:19], exec, s[18:19]
	s_cbranch_execnz .LBB304_259
.LBB304_844:
	s_or_b64 exec, exec, s[18:19]
	s_and_saveexec_b64 s[18:19], s[26:27]
	s_cbranch_execz .LBB304_890
.LBB304_845:
	s_sext_i32_i16 s22, s46
	s_cmp_lt_i32 s22, 5
	s_cbranch_scc1 .LBB304_850
; %bb.846:
	s_cmp_lt_i32 s22, 8
	s_cbranch_scc1 .LBB304_851
; %bb.847:
	s_cmp_lt_i32 s22, 9
	s_cbranch_scc1 .LBB304_852
; %bb.848:
	s_cmp_gt_i32 s22, 9
	s_cbranch_scc0 .LBB304_853
; %bb.849:
	global_load_dwordx2 v[2:3], v[0:1], off
	s_movk_i32 s22, 0xffe0
	s_waitcnt vmcnt(0)
	v_trunc_f64_e32 v[2:3], v[2:3]
	v_ldexp_f64 v[4:5], v[2:3], s22
	v_floor_f64_e32 v[6:7], v[4:5]
	v_fmac_f64_e32 v[2:3], 0xc1f00000, v[6:7]
	v_cvt_i32_f64_e32 v5, v[6:7]
	v_cvt_u32_f64_e32 v4, v[2:3]
	s_mov_b64 s[22:23], 0
	s_branch .LBB304_854
.LBB304_850:
                                        ; implicit-def: $vgpr4_vgpr5
	s_branch .LBB304_871
.LBB304_851:
                                        ; implicit-def: $vgpr4_vgpr5
	s_branch .LBB304_860
.LBB304_852:
	s_mov_b64 s[22:23], -1
                                        ; implicit-def: $vgpr4_vgpr5
	s_branch .LBB304_857
.LBB304_853:
	s_mov_b64 s[22:23], -1
                                        ; implicit-def: $vgpr4_vgpr5
.LBB304_854:
	s_andn2_b64 vcc, exec, s[22:23]
	s_cbranch_vccnz .LBB304_856
; %bb.855:
	global_load_dword v2, v[0:1], off
	s_mov_b32 s22, 0x2f800000
	s_mov_b32 s23, 0xcf800000
	s_waitcnt vmcnt(0)
	v_trunc_f32_e32 v2, v2
	v_mul_f32_e64 v3, |v2|, s22
	v_floor_f32_e32 v3, v3
	v_cvt_u32_f32_e32 v4, v3
	v_fma_f32 v3, v3, s23, |v2|
	v_cvt_u32_f32_e32 v3, v3
	v_ashrrev_i32_e32 v2, 31, v2
	v_xor_b32_e32 v5, v4, v2
	v_xor_b32_e32 v3, v3, v2
	v_sub_co_u32_e32 v4, vcc, v3, v2
	s_nop 1
	v_subb_co_u32_e32 v5, vcc, v5, v2, vcc
.LBB304_856:
	s_mov_b64 s[22:23], 0
.LBB304_857:
	s_andn2_b64 vcc, exec, s[22:23]
	s_cbranch_vccnz .LBB304_859
; %bb.858:
	global_load_dword v2, v[0:1], off
	s_waitcnt vmcnt(0)
	v_cvt_f32_f16_e32 v2, v2
	v_cvt_i32_f32_e32 v4, v2
	v_ashrrev_i32_e32 v5, 31, v4
.LBB304_859:
	s_cbranch_execnz .LBB304_870
.LBB304_860:
	s_sext_i32_i16 s22, s46
	s_cmp_lt_i32 s22, 6
	s_cbranch_scc1 .LBB304_863
; %bb.861:
	s_cmp_gt_i32 s22, 6
	s_cbranch_scc0 .LBB304_864
; %bb.862:
	global_load_dwordx2 v[2:3], v[0:1], off
	s_movk_i32 s22, 0xffe0
	s_waitcnt vmcnt(0)
	v_trunc_f64_e32 v[2:3], v[2:3]
	v_ldexp_f64 v[4:5], v[2:3], s22
	v_floor_f64_e32 v[6:7], v[4:5]
	v_fmac_f64_e32 v[2:3], 0xc1f00000, v[6:7]
	v_cvt_i32_f64_e32 v5, v[6:7]
	v_cvt_u32_f64_e32 v4, v[2:3]
	s_mov_b64 s[22:23], 0
	s_branch .LBB304_865
.LBB304_863:
	s_mov_b64 s[22:23], -1
                                        ; implicit-def: $vgpr4_vgpr5
	s_branch .LBB304_868
.LBB304_864:
	s_mov_b64 s[22:23], -1
                                        ; implicit-def: $vgpr4_vgpr5
.LBB304_865:
	s_andn2_b64 vcc, exec, s[22:23]
	s_cbranch_vccnz .LBB304_867
; %bb.866:
	global_load_dword v2, v[0:1], off
	s_mov_b32 s22, 0x2f800000
	s_mov_b32 s23, 0xcf800000
	s_waitcnt vmcnt(0)
	v_trunc_f32_e32 v2, v2
	v_mul_f32_e64 v3, |v2|, s22
	v_floor_f32_e32 v3, v3
	v_cvt_u32_f32_e32 v4, v3
	v_fma_f32 v3, v3, s23, |v2|
	v_cvt_u32_f32_e32 v3, v3
	v_ashrrev_i32_e32 v2, 31, v2
	v_xor_b32_e32 v5, v4, v2
	v_xor_b32_e32 v3, v3, v2
	v_sub_co_u32_e32 v4, vcc, v3, v2
	s_nop 1
	v_subb_co_u32_e32 v5, vcc, v5, v2, vcc
.LBB304_867:
	s_mov_b64 s[22:23], 0
.LBB304_868:
	s_andn2_b64 vcc, exec, s[22:23]
	s_cbranch_vccnz .LBB304_870
; %bb.869:
	global_load_ushort v2, v[0:1], off
	s_waitcnt vmcnt(0)
	v_cvt_f32_f16_e32 v2, v2
	v_cvt_i32_f32_e32 v4, v2
	v_ashrrev_i32_e32 v5, 31, v4
.LBB304_870:
	s_cbranch_execnz .LBB304_889
.LBB304_871:
	s_sext_i32_i16 s22, s46
	s_cmp_lt_i32 s22, 2
	s_cbranch_scc1 .LBB304_875
; %bb.872:
	s_cmp_lt_i32 s22, 3
	s_cbranch_scc1 .LBB304_876
; %bb.873:
	s_cmp_gt_i32 s22, 3
	s_cbranch_scc0 .LBB304_877
; %bb.874:
	global_load_dwordx2 v[4:5], v[0:1], off
	s_mov_b64 s[22:23], 0
	s_branch .LBB304_878
.LBB304_875:
                                        ; implicit-def: $vgpr4_vgpr5
	s_branch .LBB304_884
.LBB304_876:
	s_mov_b64 s[22:23], -1
                                        ; implicit-def: $vgpr4_vgpr5
	s_branch .LBB304_881
.LBB304_877:
	s_mov_b64 s[22:23], -1
                                        ; implicit-def: $vgpr4_vgpr5
.LBB304_878:
	s_andn2_b64 vcc, exec, s[22:23]
	s_cbranch_vccnz .LBB304_880
; %bb.879:
	global_load_dword v4, v[0:1], off
	s_waitcnt vmcnt(0)
	v_ashrrev_i32_e32 v5, 31, v4
.LBB304_880:
	s_mov_b64 s[22:23], 0
.LBB304_881:
	s_andn2_b64 vcc, exec, s[22:23]
	s_cbranch_vccnz .LBB304_883
; %bb.882:
	global_load_ushort v2, v[0:1], off
	s_waitcnt vmcnt(0)
	v_bfe_i32 v4, v2, 0, 16
	v_ashrrev_i32_e32 v5, 31, v4
.LBB304_883:
	s_cbranch_execnz .LBB304_889
.LBB304_884:
	s_sext_i32_i16 s22, s46
	s_cmp_gt_i32 s22, 0
	s_cbranch_scc0 .LBB304_886
; %bb.885:
	global_load_sbyte v2, v[0:1], off
	s_mov_b64 s[22:23], 0
	s_waitcnt vmcnt(0)
	v_bfe_i32 v4, v2, 0, 16
	v_ashrrev_i32_e32 v5, 31, v4
	s_branch .LBB304_887
.LBB304_886:
	s_mov_b64 s[22:23], -1
                                        ; implicit-def: $vgpr4_vgpr5
.LBB304_887:
	s_andn2_b64 vcc, exec, s[22:23]
	s_cbranch_vccnz .LBB304_889
; %bb.888:
	global_load_ubyte v0, v[0:1], off
	s_mov_b32 s22, 0
	s_waitcnt vmcnt(1)
	v_mov_b32_e32 v5, s22
	s_waitcnt vmcnt(0)
	v_and_b32_e32 v4, 0xffff, v0
.LBB304_889:
	s_or_b64 s[0:1], s[0:1], exec
.LBB304_890:
	s_or_b64 exec, exec, s[18:19]
	s_mov_b64 s[24:25], 0
	s_mov_b64 s[22:23], 0
                                        ; implicit-def: $sgpr30
                                        ; implicit-def: $vgpr2_vgpr3
                                        ; implicit-def: $vgpr0_vgpr1
	s_and_saveexec_b64 s[18:19], s[0:1]
	s_cbranch_execz .LBB304_898
; %bb.891:
	v_mov_b32_e32 v0, s9
	s_waitcnt vmcnt(0)
	v_cmp_lt_i64_e32 vcc, s[8:9], v[4:5]
	v_mov_b32_e32 v2, s11
	s_and_b32 s30, s33, 0xff
	v_cndmask_b32_e32 v1, v0, v5, vcc
	v_mov_b32_e32 v0, s8
	v_cndmask_b32_e32 v0, v0, v4, vcc
	v_cmp_gt_i64_e32 vcc, s[10:11], v[0:1]
	s_cmp_lt_i32 s30, 11
	s_nop 0
	v_cndmask_b32_e32 v1, v2, v1, vcc
	v_mov_b32_e32 v2, s10
	v_cndmask_b32_e32 v0, v2, v0, vcc
	v_mul_lo_u32 v2, v10, s12
	v_ashrrev_i32_e32 v3, 31, v2
	v_lshl_add_u64 v[2:3], s[4:5], 0, v[2:3]
	s_cbranch_scc1 .LBB304_901
; %bb.892:
	s_and_b32 s31, 0xffff, s30
	s_mov_b64 s[24:25], -1
	s_cmp_gt_i32 s31, 25
	s_mov_b64 s[0:1], s[16:17]
	s_cbranch_scc0 .LBB304_929
; %bb.893:
	s_mov_b64 s[22:23], -1
	s_cmp_gt_i32 s31, 28
	s_mov_b64 s[0:1], s[16:17]
	s_cbranch_scc0 .LBB304_913
; %bb.894:
	s_cmp_gt_i32 s31, 43
	s_mov_b64 s[0:1], s[16:17]
	s_cbranch_scc0 .LBB304_909
; %bb.895:
	s_cmp_gt_i32 s31, 45
	s_mov_b64 s[0:1], s[16:17]
	s_cbranch_scc0 .LBB304_903
; %bb.896:
	s_cmp_eq_u32 s31, 46
	s_mov_b64 s[0:1], -1
	s_cbranch_scc0 .LBB304_902
; %bb.897:
	v_xor_b32_e32 v5, v0, v1
	v_ffbh_i32_e32 v4, v1
	v_ashrrev_i32_e32 v5, 31, v5
	v_add_u32_e32 v4, -1, v4
	v_add_u32_e32 v5, 32, v5
	v_min_u32_e32 v6, v4, v5
	v_lshlrev_b64 v[4:5], v6, v[0:1]
	v_min_u32_e32 v4, 1, v4
	v_or_b32_e32 v4, v5, v4
	v_cvt_f32_i32_e32 v4, v4
	v_sub_u32_e32 v5, 32, v6
	s_movk_i32 s0, 0x7fff
	s_mov_b64 s[22:23], 0
	v_ldexp_f32 v4, v4, v5
	v_bfe_u32 v5, v4, 16, 1
	v_add3_u32 v4, v4, v5, s0
	v_lshrrev_b32_e32 v4, 16, v4
	global_store_dword v[2:3], v4, off
	s_mov_b64 s[0:1], 0
	s_branch .LBB304_903
.LBB304_898:
	s_or_b64 exec, exec, s[18:19]
	s_and_saveexec_b64 s[0:1], s[16:17]
	s_cbranch_execnz .LBB304_971
.LBB304_899:
	s_or_b64 exec, exec, s[0:1]
	s_and_saveexec_b64 s[0:1], s[24:25]
	s_xor_b64 s[0:1], exec, s[0:1]
	s_cbranch_execz .LBB304_972
.LBB304_900:
	v_cmp_ne_u64_e32 vcc, 0, v[0:1]
	s_waitcnt vmcnt(0)
	s_nop 0
	v_cndmask_b32_e64 v4, 0, 1, vcc
	global_store_byte v[2:3], v4, off
	s_or_b64 exec, exec, s[0:1]
	s_and_saveexec_b64 s[0:1], s[22:23]
	s_xor_b64 s[0:1], exec, s[0:1]
	s_cbranch_execz .LBB304_1010
	s_branch .LBB304_973
.LBB304_901:
	s_mov_b64 s[22:23], -1
	s_mov_b64 s[0:1], s[16:17]
	s_branch .LBB304_970
.LBB304_902:
	s_mov_b64 s[22:23], 0
.LBB304_903:
	s_and_b64 vcc, exec, s[22:23]
	s_cbranch_vccz .LBB304_908
; %bb.904:
	s_cmp_eq_u32 s31, 44
	s_mov_b64 s[0:1], -1
	s_cbranch_scc0 .LBB304_908
; %bb.905:
	v_xor_b32_e32 v5, v0, v1
	v_ffbh_i32_e32 v4, v1
	v_ashrrev_i32_e32 v5, 31, v5
	v_add_u32_e32 v4, -1, v4
	v_add_u32_e32 v5, 32, v5
	v_min_u32_e32 v6, v4, v5
	v_lshlrev_b64 v[4:5], v6, v[0:1]
	v_min_u32_e32 v4, 1, v4
	v_or_b32_e32 v4, v5, v4
	v_cvt_f32_i32_e32 v4, v4
	v_sub_u32_e32 v5, 32, v6
	s_movk_i32 s0, 0xff
	v_mov_b32_e32 v6, 0xff
	v_ldexp_f32 v4, v4, v5
	v_bfe_u32 v5, v4, 23, 8
	v_cmp_ne_u32_e32 vcc, s0, v5
	s_and_saveexec_b64 s[22:23], vcc
; %bb.906:
	s_mov_b32 s0, 0x3fffff
	v_lshrrev_b32_e32 v6, 23, v4
	v_and_b32_e32 v7, 0x400000, v4
	v_and_or_b32 v4, v4, s0, v5
	v_cmp_ne_u32_e32 vcc, 0, v7
	v_cmp_ne_u32_e64 s[0:1], 0, v4
	s_and_b64 s[0:1], vcc, s[0:1]
	s_nop 0
	v_cndmask_b32_e64 v4, 0, 1, s[0:1]
	v_add_u32_e32 v6, v6, v4
; %bb.907:
	s_or_b64 exec, exec, s[22:23]
	s_mov_b64 s[0:1], 0
	global_store_byte v[2:3], v6, off
.LBB304_908:
	s_mov_b64 s[22:23], 0
.LBB304_909:
	s_and_b64 vcc, exec, s[22:23]
	s_cbranch_vccz .LBB304_912
; %bb.910:
	s_cmp_eq_u32 s31, 29
	s_mov_b64 s[0:1], -1
	s_cbranch_scc0 .LBB304_912
; %bb.911:
	global_store_dwordx2 v[2:3], v[0:1], off
	s_mov_b64 s[0:1], 0
.LBB304_912:
	s_mov_b64 s[22:23], 0
.LBB304_913:
	s_and_b64 vcc, exec, s[22:23]
	s_cbranch_vccz .LBB304_928
; %bb.914:
	s_cmp_lt_i32 s31, 27
	s_mov_b64 s[22:23], -1
	s_cbranch_scc1 .LBB304_920
; %bb.915:
	s_cmp_gt_i32 s31, 27
	s_cbranch_scc0 .LBB304_917
; %bb.916:
	s_mov_b64 s[22:23], 0
	global_store_dword v[2:3], v0, off
.LBB304_917:
	s_andn2_b64 vcc, exec, s[22:23]
	s_cbranch_vccnz .LBB304_919
; %bb.918:
	global_store_short v[2:3], v0, off
.LBB304_919:
	s_mov_b64 s[22:23], 0
.LBB304_920:
	s_andn2_b64 vcc, exec, s[22:23]
	s_cbranch_vccnz .LBB304_928
; %bb.921:
	v_xor_b32_e32 v5, v0, v1
	v_ffbh_i32_e32 v4, v1
	v_ashrrev_i32_e32 v5, 31, v5
	v_add_u32_e32 v4, -1, v4
	v_add_u32_e32 v5, 32, v5
	v_min_u32_e32 v6, v4, v5
	v_lshlrev_b64 v[4:5], v6, v[0:1]
	v_min_u32_e32 v4, 1, v4
	v_or_b32_e32 v4, v5, v4
	v_cvt_f32_i32_e32 v4, v4
	v_sub_u32_e32 v5, 32, v6
	s_mov_b32 s22, 0x43800000
	v_mov_b32_e32 v6, 0x80
	v_ldexp_f32 v4, v4, v5
	v_and_b32_e32 v5, 0x7fffffff, v4
	v_cmp_gt_u32_e32 vcc, s22, v5
	s_and_saveexec_b64 s[22:23], vcc
	s_cbranch_execz .LBB304_927
; %bb.922:
	s_mov_b32 s24, 0x3bffffff
	v_cmp_lt_u32_e32 vcc, s24, v5
	s_mov_b64 s[24:25], 0
                                        ; implicit-def: $vgpr5
	s_and_saveexec_b64 s[26:27], vcc
	s_xor_b64 s[26:27], exec, s[26:27]
	s_cbranch_execz .LBB304_1025
; %bb.923:
	v_bfe_u32 v5, v4, 20, 1
	s_mov_b32 s28, 0x487ffff
	v_add3_u32 v5, v4, v5, s28
	s_mov_b64 s[24:25], exec
	v_lshrrev_b32_e32 v5, 20, v5
	s_andn2_saveexec_b64 s[26:27], s[26:27]
	s_cbranch_execnz .LBB304_1026
.LBB304_924:
	s_or_b64 exec, exec, s[26:27]
	v_mov_b32_e32 v6, 0
	s_and_saveexec_b64 s[26:27], s[24:25]
.LBB304_925:
	v_lshrrev_b32_e32 v4, 24, v4
	s_movk_i32 s24, 0x80
	v_and_or_b32 v6, v4, s24, v5
.LBB304_926:
	s_or_b64 exec, exec, s[26:27]
.LBB304_927:
	s_or_b64 exec, exec, s[22:23]
	global_store_byte v[2:3], v6, off
.LBB304_928:
	s_mov_b64 s[24:25], 0
.LBB304_929:
	s_mov_b64 s[22:23], 0
	s_and_b64 vcc, exec, s[24:25]
	s_cbranch_vccz .LBB304_969
; %bb.930:
	s_cmp_gt_i32 s31, 22
	s_mov_b64 s[24:25], -1
	s_cbranch_scc0 .LBB304_962
; %bb.931:
	s_cmp_lt_i32 s31, 24
	s_cbranch_scc1 .LBB304_951
; %bb.932:
	s_cmp_gt_i32 s31, 24
	s_cbranch_scc0 .LBB304_940
; %bb.933:
	v_xor_b32_e32 v5, v0, v1
	v_ffbh_i32_e32 v4, v1
	v_ashrrev_i32_e32 v5, 31, v5
	v_add_u32_e32 v4, -1, v4
	v_add_u32_e32 v5, 32, v5
	v_min_u32_e32 v6, v4, v5
	v_lshlrev_b64 v[4:5], v6, v[0:1]
	v_min_u32_e32 v4, 1, v4
	v_or_b32_e32 v4, v5, v4
	v_cvt_f32_i32_e32 v4, v4
	v_sub_u32_e32 v5, 32, v6
	s_mov_b32 s24, 0x47800000
	v_mov_b32_e32 v6, 0x80
	v_ldexp_f32 v4, v4, v5
	v_and_b32_e32 v5, 0x7fffffff, v4
	v_cmp_gt_u32_e32 vcc, s24, v5
	s_and_saveexec_b64 s[24:25], vcc
	s_cbranch_execz .LBB304_939
; %bb.934:
	s_mov_b32 s26, 0x37ffffff
	v_cmp_lt_u32_e32 vcc, s26, v5
	s_mov_b64 s[26:27], 0
                                        ; implicit-def: $vgpr5
	s_and_saveexec_b64 s[28:29], vcc
	s_xor_b64 s[28:29], exec, s[28:29]
	s_cbranch_execz .LBB304_1145
; %bb.935:
	v_bfe_u32 v5, v4, 21, 1
	s_mov_b32 s34, 0x88fffff
	v_add3_u32 v5, v4, v5, s34
	s_mov_b64 s[26:27], exec
	v_lshrrev_b32_e32 v5, 21, v5
	s_andn2_saveexec_b64 s[28:29], s[28:29]
	s_cbranch_execnz .LBB304_1146
.LBB304_936:
	s_or_b64 exec, exec, s[28:29]
	v_mov_b32_e32 v6, 0
	s_and_saveexec_b64 s[28:29], s[26:27]
.LBB304_937:
	v_lshrrev_b32_e32 v4, 24, v4
	s_movk_i32 s26, 0x80
	v_and_or_b32 v6, v4, s26, v5
.LBB304_938:
	s_or_b64 exec, exec, s[28:29]
.LBB304_939:
	s_or_b64 exec, exec, s[24:25]
	s_mov_b64 s[24:25], 0
	global_store_byte v[2:3], v6, off
.LBB304_940:
	s_and_b64 vcc, exec, s[24:25]
	s_cbranch_vccz .LBB304_950
; %bb.941:
	v_xor_b32_e32 v5, v0, v1
	v_ffbh_i32_e32 v4, v1
	v_ashrrev_i32_e32 v5, 31, v5
	v_add_u32_e32 v4, -1, v4
	v_add_u32_e32 v5, 32, v5
	v_min_u32_e32 v6, v4, v5
	v_lshlrev_b64 v[4:5], v6, v[0:1]
	v_min_u32_e32 v4, 1, v4
	v_or_b32_e32 v4, v5, v4
	v_cvt_f32_i32_e32 v4, v4
	v_sub_u32_e32 v5, 32, v6
	s_mov_b32 s24, 0x43f00000
	v_ldexp_f32 v4, v4, v5
	v_and_b32_e32 v6, 0x7fffffff, v4
	v_cmp_gt_u32_e32 vcc, s24, v6
                                        ; implicit-def: $vgpr5
	s_and_saveexec_b64 s[24:25], vcc
	s_xor_b64 s[24:25], exec, s[24:25]
	s_cbranch_execz .LBB304_947
; %bb.942:
	s_mov_b32 s26, 0x3c7fffff
	v_cmp_lt_u32_e32 vcc, s26, v6
                                        ; implicit-def: $vgpr5
	s_and_saveexec_b64 s[26:27], vcc
	s_xor_b64 s[26:27], exec, s[26:27]
; %bb.943:
	v_bfe_u32 v5, v4, 20, 1
	s_mov_b32 s28, 0x407ffff
	v_add3_u32 v5, v4, v5, s28
	v_lshrrev_b32_e32 v6, 20, v5
	v_and_b32_e32 v5, 0xff00000, v5
	s_mov_b32 s28, 0x7f00000
	v_mov_b32_e32 v7, 0x7e
	v_cmp_ne_u32_e32 vcc, s28, v5
	s_nop 1
	v_cndmask_b32_e32 v5, v7, v6, vcc
; %bb.944:
	s_andn2_saveexec_b64 s[26:27], s[26:27]
; %bb.945:
	s_mov_b32 s28, 0x46800000
	v_add_f32_e64 v5, |v4|, s28
; %bb.946:
	s_or_b64 exec, exec, s[26:27]
                                        ; implicit-def: $vgpr6
.LBB304_947:
	s_andn2_saveexec_b64 s[24:25], s[24:25]
; %bb.948:
	s_mov_b32 s26, 0x7f800000
	v_mov_b32_e32 v5, 0x7e
	v_mov_b32_e32 v7, 0x7f
	v_cmp_lt_u32_e32 vcc, s26, v6
	s_nop 1
	v_cndmask_b32_e32 v5, v5, v7, vcc
; %bb.949:
	s_or_b64 exec, exec, s[24:25]
	v_lshrrev_b32_e32 v4, 24, v4
	s_movk_i32 s24, 0x80
	v_and_or_b32 v4, v4, s24, v5
	global_store_byte v[2:3], v4, off
.LBB304_950:
	s_mov_b64 s[24:25], 0
.LBB304_951:
	s_andn2_b64 vcc, exec, s[24:25]
	s_cbranch_vccnz .LBB304_961
; %bb.952:
	v_xor_b32_e32 v5, v0, v1
	v_ffbh_i32_e32 v4, v1
	v_ashrrev_i32_e32 v5, 31, v5
	v_add_u32_e32 v4, -1, v4
	v_add_u32_e32 v5, 32, v5
	v_min_u32_e32 v6, v4, v5
	v_lshlrev_b64 v[4:5], v6, v[0:1]
	v_min_u32_e32 v4, 1, v4
	v_or_b32_e32 v4, v5, v4
	v_cvt_f32_i32_e32 v4, v4
	v_sub_u32_e32 v5, 32, v6
	s_mov_b32 s24, 0x47800000
	v_ldexp_f32 v4, v4, v5
	v_and_b32_e32 v6, 0x7fffffff, v4
	v_cmp_gt_u32_e32 vcc, s24, v6
                                        ; implicit-def: $vgpr5
	s_and_saveexec_b64 s[24:25], vcc
	s_xor_b64 s[24:25], exec, s[24:25]
	s_cbranch_execz .LBB304_958
; %bb.953:
	s_mov_b32 s26, 0x387fffff
	v_cmp_lt_u32_e32 vcc, s26, v6
                                        ; implicit-def: $vgpr5
	s_and_saveexec_b64 s[26:27], vcc
	s_xor_b64 s[26:27], exec, s[26:27]
; %bb.954:
	v_bfe_u32 v5, v4, 21, 1
	s_mov_b32 s28, 0x80fffff
	v_add3_u32 v5, v4, v5, s28
	v_lshrrev_b32_e32 v5, 21, v5
; %bb.955:
	s_andn2_saveexec_b64 s[26:27], s[26:27]
; %bb.956:
	s_mov_b32 s28, 0x43000000
	v_add_f32_e64 v5, |v4|, s28
; %bb.957:
	s_or_b64 exec, exec, s[26:27]
                                        ; implicit-def: $vgpr6
.LBB304_958:
	s_andn2_saveexec_b64 s[24:25], s[24:25]
; %bb.959:
	s_mov_b32 s26, 0x7f800000
	v_mov_b32_e32 v5, 0x7c
	v_mov_b32_e32 v7, 0x7f
	v_cmp_lt_u32_e32 vcc, s26, v6
	s_nop 1
	v_cndmask_b32_e32 v5, v5, v7, vcc
; %bb.960:
	s_or_b64 exec, exec, s[24:25]
	v_lshrrev_b32_e32 v4, 24, v4
	s_movk_i32 s24, 0x80
	v_and_or_b32 v4, v4, s24, v5
	global_store_byte v[2:3], v4, off
.LBB304_961:
	s_mov_b64 s[24:25], 0
.LBB304_962:
	s_andn2_b64 vcc, exec, s[24:25]
	s_mov_b64 s[24:25], 0
	s_cbranch_vccnz .LBB304_970
; %bb.963:
	s_cmp_gt_i32 s31, 14
	s_mov_b64 s[26:27], -1
	s_cbranch_scc0 .LBB304_967
; %bb.964:
	s_cmp_eq_u32 s31, 15
	s_mov_b64 s[0:1], -1
	s_cbranch_scc0 .LBB304_966
; %bb.965:
	v_xor_b32_e32 v5, v0, v1
	v_ffbh_i32_e32 v4, v1
	v_ashrrev_i32_e32 v5, 31, v5
	v_add_u32_e32 v4, -1, v4
	v_add_u32_e32 v5, 32, v5
	v_min_u32_e32 v6, v4, v5
	v_lshlrev_b64 v[4:5], v6, v[0:1]
	v_min_u32_e32 v4, 1, v4
	v_or_b32_e32 v4, v5, v4
	v_cvt_f32_i32_e32 v4, v4
	v_sub_u32_e32 v5, 32, v6
	s_movk_i32 s0, 0x7fff
	v_ldexp_f32 v4, v4, v5
	v_bfe_u32 v5, v4, 16, 1
	v_add3_u32 v4, v4, v5, s0
	global_store_short_d16_hi v[2:3], v4, off
	s_mov_b64 s[0:1], 0
.LBB304_966:
	s_mov_b64 s[26:27], 0
.LBB304_967:
	s_and_b64 vcc, exec, s[26:27]
	s_cbranch_vccz .LBB304_970
; %bb.968:
	s_cmp_lg_u32 s31, 11
	s_cselect_b64 s[26:27], -1, 0
	s_andn2_b64 s[0:1], s[0:1], exec
	s_and_b64 s[26:27], s[26:27], exec
	s_mov_b64 s[24:25], -1
	s_or_b64 s[0:1], s[0:1], s[26:27]
	s_branch .LBB304_970
.LBB304_969:
	s_mov_b64 s[24:25], 0
.LBB304_970:
	s_andn2_b64 s[16:17], s[16:17], exec
	s_and_b64 s[0:1], s[0:1], exec
	s_and_b64 s[22:23], s[22:23], exec
	;; [unrolled: 1-line block ×3, first 2 shown]
	s_or_b64 s[16:17], s[16:17], s[0:1]
	s_or_b64 exec, exec, s[18:19]
	s_and_saveexec_b64 s[0:1], s[16:17]
	s_cbranch_execz .LBB304_899
.LBB304_971:
	s_or_b64 s[20:21], s[20:21], exec
	s_andn2_b64 s[24:25], s[24:25], exec
	s_trap 2
	s_or_b64 exec, exec, s[0:1]
	s_and_saveexec_b64 s[0:1], s[24:25]
	s_xor_b64 s[0:1], exec, s[0:1]
	s_cbranch_execnz .LBB304_900
.LBB304_972:
	s_or_b64 exec, exec, s[0:1]
	s_and_saveexec_b64 s[0:1], s[22:23]
	s_xor_b64 s[0:1], exec, s[0:1]
	s_cbranch_execz .LBB304_1010
.LBB304_973:
	s_sext_i32_i16 s18, s30
	s_cmp_lt_i32 s18, 5
	s_mov_b64 s[16:17], -1
	s_cbranch_scc1 .LBB304_994
; %bb.974:
	s_cmp_lt_i32 s18, 8
	s_cbranch_scc1 .LBB304_984
; %bb.975:
	s_cmp_lt_i32 s18, 9
	s_cbranch_scc1 .LBB304_981
; %bb.976:
	s_cmp_gt_i32 s18, 9
	s_cbranch_scc0 .LBB304_978
; %bb.977:
	s_waitcnt vmcnt(0)
	v_cvt_f64_i32_e32 v[4:5], v1
	v_ldexp_f64 v[4:5], v[4:5], 32
	v_cvt_f64_u32_e32 v[6:7], v0
	v_add_f64 v[4:5], v[4:5], v[6:7]
	v_mov_b32_e32 v6, 0
	v_mov_b32_e32 v7, v6
	s_mov_b64 s[16:17], 0
	global_store_dwordx4 v[2:3], v[4:7], off
.LBB304_978:
	s_andn2_b64 vcc, exec, s[16:17]
	s_cbranch_vccnz .LBB304_980
; %bb.979:
	s_waitcnt vmcnt(0)
	v_xor_b32_e32 v5, v0, v1
	v_ffbh_i32_e32 v4, v1
	v_ashrrev_i32_e32 v5, 31, v5
	v_add_u32_e32 v4, -1, v4
	v_add_u32_e32 v5, 32, v5
	v_min_u32_e32 v6, v4, v5
	v_lshlrev_b64 v[4:5], v6, v[0:1]
	v_min_u32_e32 v4, 1, v4
	v_or_b32_e32 v4, v5, v4
	v_cvt_f32_i32_e32 v4, v4
	v_sub_u32_e32 v5, 32, v6
	v_ldexp_f32 v4, v4, v5
	v_mov_b32_e32 v5, 0
	global_store_dwordx2 v[2:3], v[4:5], off
.LBB304_980:
	s_mov_b64 s[16:17], 0
.LBB304_981:
	s_andn2_b64 vcc, exec, s[16:17]
	s_cbranch_vccnz .LBB304_983
; %bb.982:
	s_waitcnt vmcnt(0)
	v_xor_b32_e32 v5, v0, v1
	v_ffbh_i32_e32 v4, v1
	v_ashrrev_i32_e32 v5, 31, v5
	v_add_u32_e32 v4, -1, v4
	v_add_u32_e32 v5, 32, v5
	v_min_u32_e32 v6, v4, v5
	v_lshlrev_b64 v[4:5], v6, v[0:1]
	v_min_u32_e32 v4, 1, v4
	v_or_b32_e32 v4, v5, v4
	v_cvt_f32_i32_e32 v4, v4
	v_sub_u32_e32 v5, 32, v6
	v_ldexp_f32 v4, v4, v5
	v_cvt_f16_f32_e32 v4, v4
	global_store_dword v[2:3], v4, off
.LBB304_983:
	s_mov_b64 s[16:17], 0
.LBB304_984:
	s_andn2_b64 vcc, exec, s[16:17]
	s_cbranch_vccnz .LBB304_993
; %bb.985:
	s_sext_i32_i16 s18, s30
	s_cmp_lt_i32 s18, 6
	s_mov_b64 s[16:17], -1
	s_cbranch_scc1 .LBB304_991
; %bb.986:
	s_cmp_gt_i32 s18, 6
	s_cbranch_scc0 .LBB304_988
; %bb.987:
	s_waitcnt vmcnt(0)
	v_cvt_f64_i32_e32 v[4:5], v1
	v_ldexp_f64 v[4:5], v[4:5], 32
	v_cvt_f64_u32_e32 v[6:7], v0
	v_add_f64 v[4:5], v[4:5], v[6:7]
	s_mov_b64 s[16:17], 0
	global_store_dwordx2 v[2:3], v[4:5], off
.LBB304_988:
	s_andn2_b64 vcc, exec, s[16:17]
	s_cbranch_vccnz .LBB304_990
; %bb.989:
	s_waitcnt vmcnt(0)
	v_xor_b32_e32 v5, v0, v1
	v_ffbh_i32_e32 v4, v1
	v_ashrrev_i32_e32 v5, 31, v5
	v_add_u32_e32 v4, -1, v4
	v_add_u32_e32 v5, 32, v5
	v_min_u32_e32 v6, v4, v5
	v_lshlrev_b64 v[4:5], v6, v[0:1]
	v_min_u32_e32 v4, 1, v4
	v_or_b32_e32 v4, v5, v4
	v_cvt_f32_i32_e32 v4, v4
	v_sub_u32_e32 v5, 32, v6
	v_ldexp_f32 v4, v4, v5
	global_store_dword v[2:3], v4, off
.LBB304_990:
	s_mov_b64 s[16:17], 0
.LBB304_991:
	s_andn2_b64 vcc, exec, s[16:17]
	s_cbranch_vccnz .LBB304_993
; %bb.992:
	s_waitcnt vmcnt(0)
	v_xor_b32_e32 v5, v0, v1
	v_ffbh_i32_e32 v4, v1
	v_ashrrev_i32_e32 v5, 31, v5
	v_add_u32_e32 v4, -1, v4
	v_add_u32_e32 v5, 32, v5
	v_min_u32_e32 v6, v4, v5
	v_lshlrev_b64 v[4:5], v6, v[0:1]
	v_min_u32_e32 v4, 1, v4
	v_or_b32_e32 v4, v5, v4
	v_cvt_f32_i32_e32 v4, v4
	v_sub_u32_e32 v5, 32, v6
	v_ldexp_f32 v4, v4, v5
	v_cvt_f16_f32_e32 v4, v4
	global_store_short v[2:3], v4, off
.LBB304_993:
	s_mov_b64 s[16:17], 0
.LBB304_994:
	s_andn2_b64 vcc, exec, s[16:17]
	s_cbranch_vccnz .LBB304_1010
; %bb.995:
	s_sext_i32_i16 s18, s30
	s_cmp_lt_i32 s18, 2
	s_mov_b64 s[16:17], -1
	s_cbranch_scc1 .LBB304_1005
; %bb.996:
	s_cmp_lt_i32 s18, 3
	s_cbranch_scc1 .LBB304_1002
; %bb.997:
	s_cmp_gt_i32 s18, 3
	s_cbranch_scc0 .LBB304_999
; %bb.998:
	s_mov_b64 s[16:17], 0
	s_waitcnt vmcnt(0)
	global_store_dwordx2 v[2:3], v[0:1], off
.LBB304_999:
	s_andn2_b64 vcc, exec, s[16:17]
	s_cbranch_vccnz .LBB304_1001
; %bb.1000:
	s_waitcnt vmcnt(0)
	global_store_dword v[2:3], v0, off
.LBB304_1001:
	s_mov_b64 s[16:17], 0
.LBB304_1002:
	s_andn2_b64 vcc, exec, s[16:17]
	s_cbranch_vccnz .LBB304_1004
; %bb.1003:
	s_waitcnt vmcnt(0)
	global_store_short v[2:3], v0, off
.LBB304_1004:
	s_mov_b64 s[16:17], 0
.LBB304_1005:
	s_andn2_b64 vcc, exec, s[16:17]
	s_cbranch_vccnz .LBB304_1010
; %bb.1006:
	s_sext_i32_i16 s16, s30
	s_cmp_gt_i32 s16, 0
	s_mov_b64 s[16:17], -1
	s_cbranch_scc0 .LBB304_1008
; %bb.1007:
	s_mov_b64 s[16:17], 0
	s_waitcnt vmcnt(0)
	global_store_byte v[2:3], v0, off
.LBB304_1008:
	s_andn2_b64 vcc, exec, s[16:17]
	s_cbranch_vccnz .LBB304_1010
; %bb.1009:
	s_waitcnt vmcnt(0)
	global_store_byte v[2:3], v0, off
.LBB304_1010:
	s_or_b64 exec, exec, s[0:1]
	s_and_b64 s[16:17], s[20:21], exec
                                        ; implicit-def: $vgpr10
.LBB304_1011:
	s_or_saveexec_b64 s[14:15], s[14:15]
	s_mov_b64 s[0:1], 0
                                        ; implicit-def: $sgpr24
                                        ; implicit-def: $vgpr2_vgpr3
                                        ; implicit-def: $vgpr0_vgpr1
	s_xor_b64 exec, exec, s[14:15]
	s_cbranch_execz .LBB304_1942
; %bb.1012:
	s_waitcnt vmcnt(0)
	v_mul_lo_u32 v2, s13, v10
	v_ashrrev_i32_e32 v3, 31, v2
	s_and_b32 s24, 0xffff, s46
	s_cmp_lt_i32 s24, 11
	v_lshl_add_u64 v[4:5], s[6:7], 0, v[2:3]
	s_cbranch_scc1 .LBB304_1019
; %bb.1013:
	s_cmp_gt_i32 s24, 25
	s_cbranch_scc0 .LBB304_1021
; %bb.1014:
	s_cmp_gt_i32 s24, 28
	s_cbranch_scc0 .LBB304_1022
	;; [unrolled: 3-line block ×4, first 2 shown]
; %bb.1017:
	s_cmp_eq_u32 s24, 46
	s_mov_b64 s[18:19], 0
	s_cbranch_scc0 .LBB304_1027
; %bb.1018:
	global_load_dword v0, v[4:5], off
	s_mov_b32 s0, 0x2f800000
	s_mov_b32 s1, 0xcf800000
	s_mov_b64 s[20:21], -1
	s_waitcnt vmcnt(0)
	v_lshlrev_b32_e32 v0, 16, v0
	v_trunc_f32_e32 v0, v0
	v_mul_f32_e64 v1, |v0|, s0
	v_floor_f32_e32 v1, v1
	v_fma_f32 v3, v1, s1, |v0|
	v_cvt_u32_f32_e32 v3, v3
	v_cvt_u32_f32_e32 v1, v1
	v_ashrrev_i32_e32 v6, 31, v0
	s_mov_b64 s[0:1], 0
	v_xor_b32_e32 v0, v3, v6
	v_xor_b32_e32 v1, v1, v6
	v_sub_co_u32_e32 v0, vcc, v0, v6
	s_nop 1
	v_subb_co_u32_e32 v1, vcc, v1, v6, vcc
	s_branch .LBB304_1028
.LBB304_1019:
	s_mov_b64 s[20:21], 0
                                        ; implicit-def: $vgpr0_vgpr1
	s_mov_b64 s[18:19], s[16:17]
	s_cbranch_execnz .LBB304_1086
.LBB304_1020:
	s_andn2_b64 vcc, exec, s[20:21]
	s_cbranch_vccz .LBB304_1131
	s_branch .LBB304_1940
.LBB304_1021:
	s_mov_b64 s[20:21], 0
                                        ; implicit-def: $vgpr0_vgpr1
	s_cbranch_execnz .LBB304_1053
	s_branch .LBB304_1082
.LBB304_1022:
	s_mov_b64 s[20:21], 0
                                        ; implicit-def: $vgpr0_vgpr1
	s_cbranch_execz .LBB304_1052
	s_branch .LBB304_1037
.LBB304_1023:
	s_mov_b64 s[20:21], 0
                                        ; implicit-def: $vgpr0_vgpr1
	s_cbranch_execnz .LBB304_1033
	s_branch .LBB304_1036
.LBB304_1024:
	s_mov_b64 s[18:19], -1
	s_mov_b64 s[20:21], 0
                                        ; implicit-def: $vgpr0_vgpr1
	s_branch .LBB304_1028
.LBB304_1025:
	s_andn2_saveexec_b64 s[26:27], s[26:27]
	s_cbranch_execz .LBB304_924
.LBB304_1026:
	s_mov_b32 s28, 0x46000000
	v_add_f32_e64 v5, |v4|, s28
	v_and_b32_e32 v5, 0xff, v5
	v_cmp_ne_u32_e32 vcc, 0, v5
	s_andn2_b64 s[24:25], s[24:25], exec
	s_and_b64 s[28:29], vcc, exec
	s_or_b64 s[24:25], s[24:25], s[28:29]
	s_or_b64 exec, exec, s[26:27]
	v_mov_b32_e32 v6, 0
	s_and_saveexec_b64 s[26:27], s[24:25]
	s_cbranch_execnz .LBB304_925
	s_branch .LBB304_926
.LBB304_1027:
	s_mov_b64 s[0:1], -1
                                        ; implicit-def: $vgpr0_vgpr1
	s_mov_b64 s[20:21], 0
.LBB304_1028:
	s_and_b64 vcc, exec, s[18:19]
	s_cbranch_vccz .LBB304_1031
; %bb.1029:
	s_cmp_eq_u32 s24, 44
	s_cbranch_scc0 .LBB304_1032
; %bb.1030:
	global_load_ubyte v0, v[4:5], off
	s_mov_b32 s0, 0x2f800000
	s_mov_b32 s1, 0xcf800000
	s_mov_b64 s[20:21], -1
	s_waitcnt vmcnt(0)
	v_lshlrev_b32_e32 v1, 23, v0
	v_trunc_f32_e32 v1, v1
	v_mul_f32_e64 v3, |v1|, s0
	v_floor_f32_e32 v3, v3
	v_fma_f32 v6, v3, s1, |v1|
	v_cvt_u32_f32_e32 v6, v6
	v_cvt_u32_f32_e32 v3, v3
	v_ashrrev_i32_e32 v1, 31, v1
	s_mov_b64 s[0:1], 0
	v_xor_b32_e32 v6, v6, v1
	v_xor_b32_e32 v3, v3, v1
	v_sub_co_u32_e32 v6, vcc, v6, v1
	s_nop 1
	v_subb_co_u32_e32 v1, vcc, v3, v1, vcc
	v_cmp_ne_u32_e32 vcc, 0, v0
	s_nop 1
	v_cndmask_b32_e32 v1, 0, v1, vcc
	v_cndmask_b32_e32 v0, 0, v6, vcc
.LBB304_1031:
	s_branch .LBB304_1036
.LBB304_1032:
	s_mov_b64 s[0:1], -1
                                        ; implicit-def: $vgpr0_vgpr1
	s_branch .LBB304_1036
.LBB304_1033:
	s_cmp_eq_u32 s24, 29
	s_cbranch_scc0 .LBB304_1035
; %bb.1034:
	global_load_dwordx2 v[0:1], v[4:5], off
	s_mov_b64 s[0:1], 0
	s_mov_b64 s[20:21], -1
	s_branch .LBB304_1036
.LBB304_1035:
	s_mov_b64 s[0:1], -1
                                        ; implicit-def: $vgpr0_vgpr1
.LBB304_1036:
	s_branch .LBB304_1052
.LBB304_1037:
	s_cmp_lt_i32 s24, 27
	s_cbranch_scc1 .LBB304_1040
; %bb.1038:
	s_cmp_gt_i32 s24, 27
	s_cbranch_scc0 .LBB304_1041
; %bb.1039:
	global_load_dword v0, v[4:5], off
	s_waitcnt vmcnt(1)
	v_mov_b32_e32 v1, 0
	s_mov_b64 s[18:19], 0
	s_branch .LBB304_1042
.LBB304_1040:
	s_mov_b64 s[18:19], -1
                                        ; implicit-def: $vgpr0_vgpr1
	s_branch .LBB304_1045
.LBB304_1041:
	s_mov_b64 s[18:19], -1
                                        ; implicit-def: $vgpr0_vgpr1
.LBB304_1042:
	s_andn2_b64 vcc, exec, s[18:19]
	s_cbranch_vccnz .LBB304_1044
; %bb.1043:
	global_load_ushort v0, v[4:5], off
	s_mov_b32 s18, 0
	s_waitcnt vmcnt(1)
	v_mov_b32_e32 v1, s18
	s_waitcnt vmcnt(0)
	v_and_b32_e32 v0, 0xffff, v0
.LBB304_1044:
	s_mov_b64 s[18:19], 0
.LBB304_1045:
	s_andn2_b64 vcc, exec, s[18:19]
	s_cbranch_vccnz .LBB304_1051
; %bb.1046:
	global_load_ubyte v3, v[4:5], off
	s_movk_i32 s18, 0x7f
	s_mov_b64 s[20:21], 0
	s_waitcnt vmcnt(0)
	v_cmp_lt_i16_e32 vcc, s18, v3
	s_and_saveexec_b64 s[18:19], vcc
	s_xor_b64 s[18:19], exec, s[18:19]
	s_cbranch_execz .LBB304_1062
; %bb.1047:
	s_movk_i32 s20, 0x80
	v_cmp_ne_u16_e32 vcc, s20, v3
	s_and_b64 s[20:21], vcc, exec
	s_andn2_saveexec_b64 s[18:19], s[18:19]
	s_cbranch_execnz .LBB304_1063
.LBB304_1048:
	s_or_b64 exec, exec, s[18:19]
	v_mov_b64_e32 v[0:1], 0
	s_and_saveexec_b64 s[18:19], s[20:21]
	s_cbranch_execz .LBB304_1050
.LBB304_1049:
	v_and_b32_e32 v1, 0xffff, v3
	v_lshlrev_b32_e32 v0, 24, v3
	v_and_b32_e32 v3, 7, v1
	v_ffbh_u32_e32 v7, v3
	v_min_u32_e32 v7, 32, v7
	v_subrev_u32_e32 v8, 28, v7
	v_bfe_u32 v6, v1, 3, 4
	v_lshlrev_b32_e32 v1, v8, v1
	v_sub_u32_e32 v7, 29, v7
	v_and_b32_e32 v1, 7, v1
	v_cmp_eq_u32_e32 vcc, 0, v6
	v_and_b32_e32 v0, 0x80000000, v0
	s_mov_b32 s20, 0x2f800000
	v_cndmask_b32_e32 v6, v6, v7, vcc
	v_cndmask_b32_e32 v1, v3, v1, vcc
	v_mov_b32_e32 v3, 0x3b800000
	v_lshlrev_b32_e32 v1, 20, v1
	v_lshl_add_u32 v3, v6, 23, v3
	v_or3_b32 v0, v0, v3, v1
	v_trunc_f32_e32 v0, v0
	v_mul_f32_e64 v1, |v0|, s20
	v_floor_f32_e32 v1, v1
	s_mov_b32 s20, 0xcf800000
	v_fma_f32 v3, v1, s20, |v0|
	v_cvt_u32_f32_e32 v3, v3
	v_cvt_u32_f32_e32 v1, v1
	v_ashrrev_i32_e32 v6, 31, v0
	v_xor_b32_e32 v0, v3, v6
	v_xor_b32_e32 v1, v1, v6
	v_sub_co_u32_e32 v0, vcc, v0, v6
	s_nop 1
	v_subb_co_u32_e32 v1, vcc, v1, v6, vcc
.LBB304_1050:
	s_or_b64 exec, exec, s[18:19]
.LBB304_1051:
	s_mov_b64 s[20:21], -1
.LBB304_1052:
	s_branch .LBB304_1082
.LBB304_1053:
	s_cmp_gt_i32 s24, 22
	s_cbranch_scc0 .LBB304_1061
; %bb.1054:
	s_cmp_lt_i32 s24, 24
	s_cbranch_scc1 .LBB304_1064
; %bb.1055:
	s_cmp_gt_i32 s24, 24
	s_cbranch_scc0 .LBB304_1065
; %bb.1056:
	global_load_ubyte v3, v[4:5], off
	s_movk_i32 s2, 0x7f
	s_mov_b64 s[18:19], 0
	s_waitcnt vmcnt(0)
	v_cmp_lt_i16_e32 vcc, s2, v3
	s_and_saveexec_b64 s[2:3], vcc
	s_xor_b64 s[2:3], exec, s[2:3]
	s_cbranch_execz .LBB304_1076
; %bb.1057:
	s_movk_i32 s18, 0x80
	v_cmp_ne_u16_e32 vcc, s18, v3
	s_and_b64 s[18:19], vcc, exec
	s_andn2_saveexec_b64 s[2:3], s[2:3]
	s_cbranch_execnz .LBB304_1077
.LBB304_1058:
	s_or_b64 exec, exec, s[2:3]
	v_mov_b64_e32 v[0:1], 0
	s_and_saveexec_b64 s[2:3], s[18:19]
	s_cbranch_execz .LBB304_1060
.LBB304_1059:
	v_and_b32_e32 v1, 0xffff, v3
	v_lshlrev_b32_e32 v0, 24, v3
	v_and_b32_e32 v3, 3, v1
	v_ffbh_u32_e32 v7, v3
	v_min_u32_e32 v7, 32, v7
	v_subrev_u32_e32 v8, 29, v7
	v_bfe_u32 v6, v1, 2, 5
	v_lshlrev_b32_e32 v1, v8, v1
	v_sub_u32_e32 v7, 30, v7
	v_and_b32_e32 v1, 3, v1
	v_cmp_eq_u32_e32 vcc, 0, v6
	v_and_b32_e32 v0, 0x80000000, v0
	s_mov_b32 s18, 0x2f800000
	v_cndmask_b32_e32 v6, v6, v7, vcc
	v_cndmask_b32_e32 v1, v3, v1, vcc
	v_mov_b32_e32 v3, 0x37800000
	v_lshlrev_b32_e32 v1, 21, v1
	v_lshl_add_u32 v3, v6, 23, v3
	v_or3_b32 v0, v0, v3, v1
	v_trunc_f32_e32 v0, v0
	v_mul_f32_e64 v1, |v0|, s18
	v_floor_f32_e32 v1, v1
	s_mov_b32 s18, 0xcf800000
	v_fma_f32 v3, v1, s18, |v0|
	v_cvt_u32_f32_e32 v3, v3
	v_cvt_u32_f32_e32 v1, v1
	v_ashrrev_i32_e32 v6, 31, v0
	v_xor_b32_e32 v0, v3, v6
	v_xor_b32_e32 v1, v1, v6
	v_sub_co_u32_e32 v0, vcc, v0, v6
	s_nop 1
	v_subb_co_u32_e32 v1, vcc, v1, v6, vcc
.LBB304_1060:
	s_or_b64 exec, exec, s[2:3]
	s_mov_b64 s[2:3], 0
	s_branch .LBB304_1066
.LBB304_1061:
                                        ; implicit-def: $vgpr0_vgpr1
	s_mov_b64 s[2:3], 0
	s_branch .LBB304_1072
.LBB304_1062:
	s_andn2_saveexec_b64 s[18:19], s[18:19]
	s_cbranch_execz .LBB304_1048
.LBB304_1063:
	v_cmp_ne_u16_e32 vcc, 0, v3
	s_andn2_b64 s[20:21], s[20:21], exec
	s_and_b64 s[22:23], vcc, exec
	s_or_b64 s[20:21], s[20:21], s[22:23]
	s_or_b64 exec, exec, s[18:19]
	v_mov_b64_e32 v[0:1], 0
	s_and_saveexec_b64 s[18:19], s[20:21]
	s_cbranch_execnz .LBB304_1049
	s_branch .LBB304_1050
.LBB304_1064:
	s_mov_b64 s[2:3], -1
                                        ; implicit-def: $vgpr0_vgpr1
	s_branch .LBB304_1069
.LBB304_1065:
	s_mov_b64 s[2:3], -1
                                        ; implicit-def: $vgpr0_vgpr1
.LBB304_1066:
	s_and_b64 vcc, exec, s[2:3]
	s_cbranch_vccz .LBB304_1068
; %bb.1067:
	global_load_ubyte v0, v[4:5], off
	s_mov_b32 s2, 0x7f800000
	s_brev_b32 s3, 1
	s_mov_b32 s18, 0x2f800000
	s_mov_b32 s19, 0xcf800000
	s_waitcnt vmcnt(0)
	v_lshlrev_b32_e32 v0, 24, v0
	v_and_b32_e32 v1, 0x7f000000, v0
	v_ffbh_u32_e32 v3, v1
	v_min_u32_e32 v3, 32, v3
	v_sub_u32_e64 v3, v3, 4 clamp
	v_lshlrev_b32_e32 v7, v3, v1
	v_lshlrev_b32_e32 v3, 23, v3
	v_lshrrev_b32_e32 v7, 4, v7
	v_add_u32_e32 v6, 0x1000000, v1
	v_sub_u32_e32 v3, v7, v3
	v_ashrrev_i32_e32 v6, 8, v6
	v_add_u32_e32 v3, 0x3c000000, v3
	v_and_or_b32 v3, v6, s2, v3
	v_cmp_ne_u32_e32 vcc, 0, v1
	s_nop 1
	v_cndmask_b32_e32 v1, 0, v3, vcc
	v_and_or_b32 v0, v0, s3, v1
	v_trunc_f32_e32 v0, v0
	v_mul_f32_e64 v1, |v0|, s18
	v_floor_f32_e32 v1, v1
	v_fma_f32 v3, v1, s19, |v0|
	v_cvt_u32_f32_e32 v3, v3
	v_cvt_u32_f32_e32 v1, v1
	v_ashrrev_i32_e32 v6, 31, v0
	v_xor_b32_e32 v0, v3, v6
	v_xor_b32_e32 v1, v1, v6
	v_sub_co_u32_e32 v0, vcc, v0, v6
	s_nop 1
	v_subb_co_u32_e32 v1, vcc, v1, v6, vcc
.LBB304_1068:
	s_mov_b64 s[2:3], 0
.LBB304_1069:
	s_andn2_b64 vcc, exec, s[2:3]
	s_cbranch_vccnz .LBB304_1071
; %bb.1070:
	global_load_ubyte v0, v[4:5], off
	s_movk_i32 s2, 0x7f00
	s_brev_b32 s3, 16
	s_brev_b32 s18, 1
	s_mov_b32 s19, 0x2f800000
	s_mov_b32 s20, 0xcf800000
	s_waitcnt vmcnt(0)
	v_lshlrev_b16_e32 v1, 8, v0
	v_lshlrev_b32_e32 v0, 25, v0
	v_lshrrev_b32_e32 v3, 4, v0
	v_and_or_b32 v6, v1, s2, 0.5
	v_or_b32_e32 v3, 0x70000000, v3
	v_add_f32_e32 v6, -0.5, v6
	v_mul_f32_e32 v3, 0x7800000, v3
	v_cmp_gt_u32_e32 vcc, s3, v0
	v_bfe_i32 v1, v1, 0, 16
	s_nop 0
	v_cndmask_b32_e32 v0, v3, v6, vcc
	v_and_or_b32 v0, v1, s18, v0
	v_trunc_f32_e32 v0, v0
	v_mul_f32_e64 v1, |v0|, s19
	v_floor_f32_e32 v1, v1
	v_fma_f32 v3, v1, s20, |v0|
	v_cvt_u32_f32_e32 v3, v3
	v_cvt_u32_f32_e32 v1, v1
	v_ashrrev_i32_e32 v6, 31, v0
	v_xor_b32_e32 v0, v3, v6
	v_xor_b32_e32 v1, v1, v6
	v_sub_co_u32_e32 v0, vcc, v0, v6
	s_nop 1
	v_subb_co_u32_e32 v1, vcc, v1, v6, vcc
.LBB304_1071:
	s_mov_b64 s[20:21], -1
	s_mov_b64 s[2:3], 0
	s_cbranch_execnz .LBB304_1082
.LBB304_1072:
	s_cmp_gt_i32 s24, 14
	s_cbranch_scc0 .LBB304_1075
; %bb.1073:
	s_cmp_eq_u32 s24, 15
	s_cbranch_scc0 .LBB304_1078
; %bb.1074:
	global_load_ushort v0, v[4:5], off
	s_mov_b32 s0, 0x2f800000
	s_mov_b32 s1, 0xcf800000
	s_mov_b64 s[20:21], -1
	s_waitcnt vmcnt(0)
	v_lshlrev_b32_e32 v0, 16, v0
	v_trunc_f32_e32 v0, v0
	v_mul_f32_e64 v1, |v0|, s0
	v_floor_f32_e32 v1, v1
	v_fma_f32 v3, v1, s1, |v0|
	v_cvt_u32_f32_e32 v3, v3
	v_cvt_u32_f32_e32 v1, v1
	v_ashrrev_i32_e32 v6, 31, v0
	s_mov_b64 s[0:1], 0
	v_xor_b32_e32 v0, v3, v6
	v_xor_b32_e32 v1, v1, v6
	v_sub_co_u32_e32 v0, vcc, v0, v6
	s_nop 1
	v_subb_co_u32_e32 v1, vcc, v1, v6, vcc
	s_branch .LBB304_1079
.LBB304_1075:
	s_mov_b64 s[18:19], -1
                                        ; implicit-def: $vgpr0_vgpr1
	s_branch .LBB304_1080
.LBB304_1076:
	s_andn2_saveexec_b64 s[2:3], s[2:3]
	s_cbranch_execz .LBB304_1058
.LBB304_1077:
	v_cmp_ne_u16_e32 vcc, 0, v3
	s_andn2_b64 s[18:19], s[18:19], exec
	s_and_b64 s[20:21], vcc, exec
	s_or_b64 s[18:19], s[18:19], s[20:21]
	s_or_b64 exec, exec, s[2:3]
	v_mov_b64_e32 v[0:1], 0
	s_and_saveexec_b64 s[2:3], s[18:19]
	s_cbranch_execnz .LBB304_1059
	s_branch .LBB304_1060
.LBB304_1078:
	s_mov_b64 s[0:1], -1
                                        ; implicit-def: $vgpr0_vgpr1
.LBB304_1079:
	s_mov_b64 s[18:19], 0
.LBB304_1080:
	s_and_b64 vcc, exec, s[18:19]
	s_cbranch_vccz .LBB304_1082
; %bb.1081:
	s_cmp_lg_u32 s24, 11
	s_mov_b64 s[2:3], -1
	s_cselect_b64 s[0:1], -1, 0
.LBB304_1082:
	s_and_b64 vcc, exec, s[0:1]
	s_mov_b64 s[18:19], s[16:17]
	s_cbranch_vccnz .LBB304_1143
; %bb.1083:
	s_andn2_b64 vcc, exec, s[2:3]
	s_cbranch_vccnz .LBB304_1085
.LBB304_1084:
	global_load_ubyte v0, v[4:5], off
	s_mov_b32 s0, 0
	s_waitcnt vmcnt(1)
	v_mov_b32_e32 v1, s0
	s_mov_b64 s[20:21], -1
	s_waitcnt vmcnt(0)
	v_cmp_ne_u16_e32 vcc, 0, v0
	s_nop 1
	v_cndmask_b32_e64 v0, 0, 1, vcc
.LBB304_1085:
	s_branch .LBB304_1020
.LBB304_1086:
	s_cmp_lt_i32 s24, 5
	s_cbranch_scc1 .LBB304_1091
; %bb.1087:
	s_cmp_lt_i32 s24, 8
	s_cbranch_scc1 .LBB304_1092
; %bb.1088:
	;; [unrolled: 3-line block ×3, first 2 shown]
	s_cmp_gt_i32 s24, 9
	s_cbranch_scc0 .LBB304_1094
; %bb.1090:
	global_load_dwordx2 v[0:1], v[4:5], off
	s_movk_i32 s0, 0xffe0
	s_waitcnt vmcnt(0)
	v_trunc_f64_e32 v[6:7], v[0:1]
	v_ldexp_f64 v[0:1], v[6:7], s0
	v_floor_f64_e32 v[8:9], v[0:1]
	v_fmac_f64_e32 v[6:7], 0xc1f00000, v[8:9]
	v_cvt_i32_f64_e32 v1, v[8:9]
	v_cvt_u32_f64_e32 v0, v[6:7]
	s_mov_b64 s[0:1], 0
	s_branch .LBB304_1095
.LBB304_1091:
                                        ; implicit-def: $vgpr0_vgpr1
	s_branch .LBB304_1112
.LBB304_1092:
                                        ; implicit-def: $vgpr0_vgpr1
	s_branch .LBB304_1101
.LBB304_1093:
	s_mov_b64 s[0:1], -1
                                        ; implicit-def: $vgpr0_vgpr1
	s_branch .LBB304_1098
.LBB304_1094:
	s_mov_b64 s[0:1], -1
                                        ; implicit-def: $vgpr0_vgpr1
.LBB304_1095:
	s_andn2_b64 vcc, exec, s[0:1]
	s_cbranch_vccnz .LBB304_1097
; %bb.1096:
	global_load_dword v0, v[4:5], off
	s_mov_b32 s0, 0x2f800000
	s_mov_b32 s1, 0xcf800000
	s_waitcnt vmcnt(0)
	v_trunc_f32_e32 v0, v0
	v_mul_f32_e64 v1, |v0|, s0
	v_floor_f32_e32 v1, v1
	v_cvt_u32_f32_e32 v3, v1
	v_fma_f32 v1, v1, s1, |v0|
	v_cvt_u32_f32_e32 v1, v1
	v_ashrrev_i32_e32 v6, 31, v0
	v_xor_b32_e32 v3, v3, v6
	v_xor_b32_e32 v0, v1, v6
	v_sub_co_u32_e32 v0, vcc, v0, v6
	s_nop 1
	v_subb_co_u32_e32 v1, vcc, v3, v6, vcc
.LBB304_1097:
	s_mov_b64 s[0:1], 0
.LBB304_1098:
	s_andn2_b64 vcc, exec, s[0:1]
	s_cbranch_vccnz .LBB304_1100
; %bb.1099:
	global_load_dword v0, v[4:5], off
	s_waitcnt vmcnt(0)
	v_cvt_f32_f16_e32 v0, v0
	v_cvt_i32_f32_e32 v0, v0
	v_ashrrev_i32_e32 v1, 31, v0
.LBB304_1100:
	s_cbranch_execnz .LBB304_1111
.LBB304_1101:
	s_cmp_lt_i32 s24, 6
	s_cbranch_scc1 .LBB304_1104
; %bb.1102:
	s_cmp_gt_i32 s24, 6
	s_cbranch_scc0 .LBB304_1105
; %bb.1103:
	global_load_dwordx2 v[0:1], v[4:5], off
	s_movk_i32 s0, 0xffe0
	s_waitcnt vmcnt(0)
	v_trunc_f64_e32 v[6:7], v[0:1]
	v_ldexp_f64 v[0:1], v[6:7], s0
	v_floor_f64_e32 v[8:9], v[0:1]
	v_fmac_f64_e32 v[6:7], 0xc1f00000, v[8:9]
	v_cvt_i32_f64_e32 v1, v[8:9]
	v_cvt_u32_f64_e32 v0, v[6:7]
	s_mov_b64 s[0:1], 0
	s_branch .LBB304_1106
.LBB304_1104:
	s_mov_b64 s[0:1], -1
                                        ; implicit-def: $vgpr0_vgpr1
	s_branch .LBB304_1109
.LBB304_1105:
	s_mov_b64 s[0:1], -1
                                        ; implicit-def: $vgpr0_vgpr1
.LBB304_1106:
	s_andn2_b64 vcc, exec, s[0:1]
	s_cbranch_vccnz .LBB304_1108
; %bb.1107:
	global_load_dword v0, v[4:5], off
	s_mov_b32 s0, 0x2f800000
	s_mov_b32 s1, 0xcf800000
	s_waitcnt vmcnt(0)
	v_trunc_f32_e32 v0, v0
	v_mul_f32_e64 v1, |v0|, s0
	v_floor_f32_e32 v1, v1
	v_cvt_u32_f32_e32 v3, v1
	v_fma_f32 v1, v1, s1, |v0|
	v_cvt_u32_f32_e32 v1, v1
	v_ashrrev_i32_e32 v6, 31, v0
	v_xor_b32_e32 v3, v3, v6
	v_xor_b32_e32 v0, v1, v6
	v_sub_co_u32_e32 v0, vcc, v0, v6
	s_nop 1
	v_subb_co_u32_e32 v1, vcc, v3, v6, vcc
.LBB304_1108:
	s_mov_b64 s[0:1], 0
.LBB304_1109:
	s_andn2_b64 vcc, exec, s[0:1]
	s_cbranch_vccnz .LBB304_1111
; %bb.1110:
	global_load_ushort v0, v[4:5], off
	s_waitcnt vmcnt(0)
	v_cvt_f32_f16_e32 v0, v0
	v_cvt_i32_f32_e32 v0, v0
	v_ashrrev_i32_e32 v1, 31, v0
.LBB304_1111:
	s_cbranch_execnz .LBB304_1130
.LBB304_1112:
	s_cmp_lt_i32 s24, 2
	s_cbranch_scc1 .LBB304_1116
; %bb.1113:
	s_cmp_lt_i32 s24, 3
	s_cbranch_scc1 .LBB304_1117
; %bb.1114:
	s_cmp_gt_i32 s24, 3
	s_cbranch_scc0 .LBB304_1118
; %bb.1115:
	global_load_dwordx2 v[0:1], v[4:5], off
	s_mov_b64 s[0:1], 0
	s_branch .LBB304_1119
.LBB304_1116:
                                        ; implicit-def: $vgpr0_vgpr1
	s_branch .LBB304_1125
.LBB304_1117:
	s_mov_b64 s[0:1], -1
                                        ; implicit-def: $vgpr0_vgpr1
	s_branch .LBB304_1122
.LBB304_1118:
	s_mov_b64 s[0:1], -1
                                        ; implicit-def: $vgpr0_vgpr1
.LBB304_1119:
	s_andn2_b64 vcc, exec, s[0:1]
	s_cbranch_vccnz .LBB304_1121
; %bb.1120:
	global_load_dword v0, v[4:5], off
	s_waitcnt vmcnt(0)
	v_ashrrev_i32_e32 v1, 31, v0
.LBB304_1121:
	s_mov_b64 s[0:1], 0
.LBB304_1122:
	s_andn2_b64 vcc, exec, s[0:1]
	s_cbranch_vccnz .LBB304_1124
; %bb.1123:
	global_load_ushort v0, v[4:5], off
	s_waitcnt vmcnt(0)
	v_bfe_i32 v0, v0, 0, 16
	v_ashrrev_i32_e32 v1, 31, v0
.LBB304_1124:
	s_cbranch_execnz .LBB304_1130
.LBB304_1125:
	s_cmp_gt_i32 s24, 0
	s_cbranch_scc0 .LBB304_1127
; %bb.1126:
	global_load_sbyte v0, v[4:5], off
	s_mov_b64 s[0:1], 0
	s_waitcnt vmcnt(0)
	v_bfe_i32 v0, v0, 0, 16
	v_ashrrev_i32_e32 v1, 31, v0
	s_branch .LBB304_1128
.LBB304_1127:
	s_mov_b64 s[0:1], -1
                                        ; implicit-def: $vgpr0_vgpr1
.LBB304_1128:
	s_andn2_b64 vcc, exec, s[0:1]
	s_cbranch_vccnz .LBB304_1130
; %bb.1129:
	global_load_ubyte v0, v[4:5], off
	s_mov_b32 s0, 0
	s_waitcnt vmcnt(1)
	v_mov_b32_e32 v1, s0
	s_waitcnt vmcnt(0)
	v_and_b32_e32 v0, 0xffff, v0
.LBB304_1130:
.LBB304_1131:
	s_lshl_b32 s13, s13, 7
	v_add_u32_e32 v4, s13, v2
	v_ashrrev_i32_e32 v5, 31, v4
	s_cmp_lt_i32 s24, 11
	v_lshl_add_u64 v[6:7], s[6:7], 0, v[4:5]
	s_cbranch_scc1 .LBB304_1138
; %bb.1132:
	s_cmp_gt_i32 s24, 25
	s_mov_b64 s[2:3], 0
	s_cbranch_scc0 .LBB304_1140
; %bb.1133:
	s_cmp_gt_i32 s24, 28
	s_cbranch_scc0 .LBB304_1141
; %bb.1134:
	s_cmp_gt_i32 s24, 43
	;; [unrolled: 3-line block ×3, first 2 shown]
	s_cbranch_scc0 .LBB304_1144
; %bb.1136:
	s_cmp_eq_u32 s24, 46
	s_mov_b64 s[22:23], 0
	s_cbranch_scc0 .LBB304_1147
; %bb.1137:
	global_load_dword v2, v[6:7], off
	s_mov_b32 s0, 0x2f800000
	s_mov_b32 s1, 0xcf800000
	s_mov_b64 s[20:21], -1
	s_waitcnt vmcnt(0)
	v_lshlrev_b32_e32 v2, 16, v2
	v_trunc_f32_e32 v2, v2
	v_mul_f32_e64 v3, |v2|, s0
	v_floor_f32_e32 v3, v3
	v_fma_f32 v5, v3, s1, |v2|
	v_cvt_u32_f32_e32 v5, v5
	v_cvt_u32_f32_e32 v3, v3
	v_ashrrev_i32_e32 v8, 31, v2
	s_mov_b64 s[0:1], 0
	v_xor_b32_e32 v2, v5, v8
	v_xor_b32_e32 v3, v3, v8
	v_sub_co_u32_e32 v2, vcc, v2, v8
	s_nop 1
	v_subb_co_u32_e32 v3, vcc, v3, v8, vcc
	s_branch .LBB304_1148
.LBB304_1138:
	s_mov_b64 s[20:21], 0
                                        ; implicit-def: $vgpr2_vgpr3
	s_cbranch_execnz .LBB304_1209
.LBB304_1139:
	s_andn2_b64 vcc, exec, s[20:21]
	s_cbranch_vccnz .LBB304_1940
	s_branch .LBB304_1256
.LBB304_1140:
	s_mov_b64 s[20:21], 0
	s_mov_b64 s[0:1], 0
                                        ; implicit-def: $vgpr2_vgpr3
	s_cbranch_execnz .LBB304_1175
	s_branch .LBB304_1205
.LBB304_1141:
	s_mov_b64 s[22:23], -1
	s_mov_b64 s[20:21], 0
	s_mov_b64 s[0:1], 0
                                        ; implicit-def: $vgpr2_vgpr3
	s_branch .LBB304_1158
.LBB304_1142:
	s_mov_b64 s[22:23], -1
	s_mov_b64 s[20:21], 0
	s_mov_b64 s[0:1], 0
                                        ; implicit-def: $vgpr2_vgpr3
	s_branch .LBB304_1153
.LBB304_1143:
	s_or_b64 s[18:19], s[16:17], exec
	s_trap 2
	s_cbranch_execz .LBB304_1084
	s_branch .LBB304_1085
.LBB304_1144:
	s_mov_b64 s[22:23], -1
	s_mov_b64 s[20:21], 0
	s_mov_b64 s[0:1], 0
                                        ; implicit-def: $vgpr2_vgpr3
	s_branch .LBB304_1148
.LBB304_1145:
	s_andn2_saveexec_b64 s[28:29], s[28:29]
	s_cbranch_execz .LBB304_936
.LBB304_1146:
	s_mov_b32 s34, 0x42800000
	v_add_f32_e64 v5, |v4|, s34
	v_and_b32_e32 v5, 0xff, v5
	v_cmp_ne_u32_e32 vcc, 0, v5
	s_andn2_b64 s[26:27], s[26:27], exec
	s_and_b64 s[34:35], vcc, exec
	s_or_b64 s[26:27], s[26:27], s[34:35]
	s_or_b64 exec, exec, s[28:29]
	v_mov_b32_e32 v6, 0
	s_and_saveexec_b64 s[28:29], s[26:27]
	s_cbranch_execnz .LBB304_937
	s_branch .LBB304_938
.LBB304_1147:
	s_mov_b64 s[0:1], -1
                                        ; implicit-def: $vgpr2_vgpr3
	s_mov_b64 s[20:21], 0
.LBB304_1148:
	s_and_b64 vcc, exec, s[22:23]
	s_cbranch_vccz .LBB304_1152
; %bb.1149:
	s_cmp_eq_u32 s24, 44
	s_cbranch_scc0 .LBB304_1151
; %bb.1150:
	global_load_ubyte v2, v[6:7], off
	s_mov_b32 s0, 0x2f800000
	s_mov_b32 s1, 0xcf800000
	s_mov_b64 s[20:21], -1
	s_waitcnt vmcnt(0)
	v_lshlrev_b32_e32 v3, 23, v2
	v_trunc_f32_e32 v3, v3
	v_mul_f32_e64 v5, |v3|, s0
	v_floor_f32_e32 v5, v5
	v_fma_f32 v8, v5, s1, |v3|
	v_cvt_u32_f32_e32 v8, v8
	v_cvt_u32_f32_e32 v5, v5
	v_ashrrev_i32_e32 v3, 31, v3
	s_mov_b64 s[0:1], 0
	v_xor_b32_e32 v8, v8, v3
	v_xor_b32_e32 v5, v5, v3
	v_sub_co_u32_e32 v8, vcc, v8, v3
	s_nop 1
	v_subb_co_u32_e32 v3, vcc, v5, v3, vcc
	v_cmp_ne_u32_e32 vcc, 0, v2
	s_nop 1
	v_cndmask_b32_e32 v3, 0, v3, vcc
	v_cndmask_b32_e32 v2, 0, v8, vcc
	s_branch .LBB304_1152
.LBB304_1151:
	s_mov_b64 s[0:1], -1
                                        ; implicit-def: $vgpr2_vgpr3
.LBB304_1152:
	s_mov_b64 s[22:23], 0
.LBB304_1153:
	s_and_b64 vcc, exec, s[22:23]
	s_cbranch_vccz .LBB304_1157
; %bb.1154:
	s_cmp_eq_u32 s24, 29
	s_cbranch_scc0 .LBB304_1156
; %bb.1155:
	global_load_dwordx2 v[2:3], v[6:7], off
	s_mov_b64 s[0:1], 0
	s_mov_b64 s[20:21], -1
	s_branch .LBB304_1157
.LBB304_1156:
	s_mov_b64 s[0:1], -1
                                        ; implicit-def: $vgpr2_vgpr3
.LBB304_1157:
	s_mov_b64 s[22:23], 0
.LBB304_1158:
	s_and_b64 vcc, exec, s[22:23]
	s_cbranch_vccz .LBB304_1174
; %bb.1159:
	s_cmp_lt_i32 s24, 27
	s_cbranch_scc1 .LBB304_1162
; %bb.1160:
	s_cmp_gt_i32 s24, 27
	s_cbranch_scc0 .LBB304_1163
; %bb.1161:
	global_load_dword v2, v[6:7], off
	s_waitcnt vmcnt(1)
	v_mov_b32_e32 v3, 0
	s_mov_b64 s[20:21], 0
	s_branch .LBB304_1164
.LBB304_1162:
	s_mov_b64 s[20:21], -1
                                        ; implicit-def: $vgpr2_vgpr3
	s_branch .LBB304_1167
.LBB304_1163:
	s_mov_b64 s[20:21], -1
                                        ; implicit-def: $vgpr2_vgpr3
.LBB304_1164:
	s_andn2_b64 vcc, exec, s[20:21]
	s_cbranch_vccnz .LBB304_1166
; %bb.1165:
	global_load_ushort v2, v[6:7], off
	s_mov_b32 s20, 0
	s_waitcnt vmcnt(1)
	v_mov_b32_e32 v3, s20
	s_waitcnt vmcnt(0)
	v_and_b32_e32 v2, 0xffff, v2
.LBB304_1166:
	s_mov_b64 s[20:21], 0
.LBB304_1167:
	s_andn2_b64 vcc, exec, s[20:21]
	s_cbranch_vccnz .LBB304_1173
; %bb.1168:
	global_load_ubyte v5, v[6:7], off
	s_movk_i32 s20, 0x7f
	s_mov_b64 s[22:23], 0
	s_waitcnt vmcnt(0)
	v_cmp_lt_i16_e32 vcc, s20, v5
	s_and_saveexec_b64 s[20:21], vcc
	s_xor_b64 s[20:21], exec, s[20:21]
	s_cbranch_execz .LBB304_1184
; %bb.1169:
	s_movk_i32 s22, 0x80
	v_cmp_ne_u16_e32 vcc, s22, v5
	s_and_b64 s[22:23], vcc, exec
	s_andn2_saveexec_b64 s[20:21], s[20:21]
	s_cbranch_execnz .LBB304_1185
.LBB304_1170:
	s_or_b64 exec, exec, s[20:21]
	v_mov_b64_e32 v[2:3], 0
	s_and_saveexec_b64 s[20:21], s[22:23]
	s_cbranch_execz .LBB304_1172
.LBB304_1171:
	v_and_b32_e32 v3, 0xffff, v5
	v_lshlrev_b32_e32 v2, 24, v5
	v_and_b32_e32 v5, 7, v3
	v_ffbh_u32_e32 v9, v5
	v_min_u32_e32 v9, 32, v9
	v_subrev_u32_e32 v11, 28, v9
	v_bfe_u32 v8, v3, 3, 4
	v_lshlrev_b32_e32 v3, v11, v3
	v_sub_u32_e32 v9, 29, v9
	v_and_b32_e32 v3, 7, v3
	v_cmp_eq_u32_e32 vcc, 0, v8
	v_and_b32_e32 v2, 0x80000000, v2
	s_mov_b32 s22, 0x2f800000
	v_cndmask_b32_e32 v8, v8, v9, vcc
	v_cndmask_b32_e32 v3, v5, v3, vcc
	v_mov_b32_e32 v5, 0x3b800000
	v_lshlrev_b32_e32 v3, 20, v3
	v_lshl_add_u32 v5, v8, 23, v5
	v_or3_b32 v2, v2, v5, v3
	v_trunc_f32_e32 v2, v2
	v_mul_f32_e64 v3, |v2|, s22
	v_floor_f32_e32 v3, v3
	s_mov_b32 s22, 0xcf800000
	v_fma_f32 v5, v3, s22, |v2|
	v_cvt_u32_f32_e32 v5, v5
	v_cvt_u32_f32_e32 v3, v3
	v_ashrrev_i32_e32 v8, 31, v2
	v_xor_b32_e32 v2, v5, v8
	v_xor_b32_e32 v3, v3, v8
	v_sub_co_u32_e32 v2, vcc, v2, v8
	s_nop 1
	v_subb_co_u32_e32 v3, vcc, v3, v8, vcc
.LBB304_1172:
	s_or_b64 exec, exec, s[20:21]
.LBB304_1173:
	s_mov_b64 s[20:21], -1
.LBB304_1174:
	s_branch .LBB304_1205
.LBB304_1175:
	s_cmp_gt_i32 s24, 22
	s_cbranch_scc0 .LBB304_1183
; %bb.1176:
	s_cmp_lt_i32 s24, 24
	s_cbranch_scc1 .LBB304_1186
; %bb.1177:
	s_cmp_gt_i32 s24, 24
	s_cbranch_scc0 .LBB304_1187
; %bb.1178:
	global_load_ubyte v5, v[6:7], off
	s_movk_i32 s2, 0x7f
	s_mov_b64 s[20:21], 0
	s_waitcnt vmcnt(0)
	v_cmp_lt_i16_e32 vcc, s2, v5
	s_and_saveexec_b64 s[2:3], vcc
	s_xor_b64 s[2:3], exec, s[2:3]
	s_cbranch_execz .LBB304_1199
; %bb.1179:
	s_movk_i32 s20, 0x80
	v_cmp_ne_u16_e32 vcc, s20, v5
	s_and_b64 s[20:21], vcc, exec
	s_andn2_saveexec_b64 s[2:3], s[2:3]
	s_cbranch_execnz .LBB304_1200
.LBB304_1180:
	s_or_b64 exec, exec, s[2:3]
	v_mov_b64_e32 v[2:3], 0
	s_and_saveexec_b64 s[2:3], s[20:21]
	s_cbranch_execz .LBB304_1182
.LBB304_1181:
	v_and_b32_e32 v3, 0xffff, v5
	v_lshlrev_b32_e32 v2, 24, v5
	v_and_b32_e32 v5, 3, v3
	v_ffbh_u32_e32 v9, v5
	v_min_u32_e32 v9, 32, v9
	v_subrev_u32_e32 v11, 29, v9
	v_bfe_u32 v8, v3, 2, 5
	v_lshlrev_b32_e32 v3, v11, v3
	v_sub_u32_e32 v9, 30, v9
	v_and_b32_e32 v3, 3, v3
	v_cmp_eq_u32_e32 vcc, 0, v8
	v_and_b32_e32 v2, 0x80000000, v2
	s_mov_b32 s20, 0x2f800000
	v_cndmask_b32_e32 v8, v8, v9, vcc
	v_cndmask_b32_e32 v3, v5, v3, vcc
	v_mov_b32_e32 v5, 0x37800000
	v_lshlrev_b32_e32 v3, 21, v3
	v_lshl_add_u32 v5, v8, 23, v5
	v_or3_b32 v2, v2, v5, v3
	v_trunc_f32_e32 v2, v2
	v_mul_f32_e64 v3, |v2|, s20
	v_floor_f32_e32 v3, v3
	s_mov_b32 s20, 0xcf800000
	v_fma_f32 v5, v3, s20, |v2|
	v_cvt_u32_f32_e32 v5, v5
	v_cvt_u32_f32_e32 v3, v3
	v_ashrrev_i32_e32 v8, 31, v2
	v_xor_b32_e32 v2, v5, v8
	v_xor_b32_e32 v3, v3, v8
	v_sub_co_u32_e32 v2, vcc, v2, v8
	s_nop 1
	v_subb_co_u32_e32 v3, vcc, v3, v8, vcc
.LBB304_1182:
	s_or_b64 exec, exec, s[2:3]
	s_mov_b64 s[2:3], 0
	s_branch .LBB304_1188
.LBB304_1183:
	s_mov_b64 s[2:3], -1
                                        ; implicit-def: $vgpr2_vgpr3
	s_branch .LBB304_1194
.LBB304_1184:
	s_andn2_saveexec_b64 s[20:21], s[20:21]
	s_cbranch_execz .LBB304_1170
.LBB304_1185:
	v_cmp_ne_u16_e32 vcc, 0, v5
	s_andn2_b64 s[22:23], s[22:23], exec
	s_and_b64 s[26:27], vcc, exec
	s_or_b64 s[22:23], s[22:23], s[26:27]
	s_or_b64 exec, exec, s[20:21]
	v_mov_b64_e32 v[2:3], 0
	s_and_saveexec_b64 s[20:21], s[22:23]
	s_cbranch_execnz .LBB304_1171
	s_branch .LBB304_1172
.LBB304_1186:
	s_mov_b64 s[2:3], -1
                                        ; implicit-def: $vgpr2_vgpr3
	s_branch .LBB304_1191
.LBB304_1187:
	s_mov_b64 s[2:3], -1
                                        ; implicit-def: $vgpr2_vgpr3
.LBB304_1188:
	s_and_b64 vcc, exec, s[2:3]
	s_cbranch_vccz .LBB304_1190
; %bb.1189:
	global_load_ubyte v2, v[6:7], off
	s_mov_b32 s2, 0x7f800000
	s_brev_b32 s3, 1
	s_mov_b32 s20, 0x2f800000
	s_mov_b32 s21, 0xcf800000
	s_waitcnt vmcnt(0)
	v_lshlrev_b32_e32 v2, 24, v2
	v_and_b32_e32 v3, 0x7f000000, v2
	v_ffbh_u32_e32 v5, v3
	v_min_u32_e32 v5, 32, v5
	v_sub_u32_e64 v5, v5, 4 clamp
	v_lshlrev_b32_e32 v9, v5, v3
	v_lshlrev_b32_e32 v5, 23, v5
	v_lshrrev_b32_e32 v9, 4, v9
	v_add_u32_e32 v8, 0x1000000, v3
	v_sub_u32_e32 v5, v9, v5
	v_ashrrev_i32_e32 v8, 8, v8
	v_add_u32_e32 v5, 0x3c000000, v5
	v_and_or_b32 v5, v8, s2, v5
	v_cmp_ne_u32_e32 vcc, 0, v3
	s_nop 1
	v_cndmask_b32_e32 v3, 0, v5, vcc
	v_and_or_b32 v2, v2, s3, v3
	v_trunc_f32_e32 v2, v2
	v_mul_f32_e64 v3, |v2|, s20
	v_floor_f32_e32 v3, v3
	v_fma_f32 v5, v3, s21, |v2|
	v_cvt_u32_f32_e32 v5, v5
	v_cvt_u32_f32_e32 v3, v3
	v_ashrrev_i32_e32 v8, 31, v2
	v_xor_b32_e32 v2, v5, v8
	v_xor_b32_e32 v3, v3, v8
	v_sub_co_u32_e32 v2, vcc, v2, v8
	s_nop 1
	v_subb_co_u32_e32 v3, vcc, v3, v8, vcc
.LBB304_1190:
	s_mov_b64 s[2:3], 0
.LBB304_1191:
	s_andn2_b64 vcc, exec, s[2:3]
	s_cbranch_vccnz .LBB304_1193
; %bb.1192:
	global_load_ubyte v2, v[6:7], off
	s_movk_i32 s2, 0x7f00
	s_brev_b32 s3, 16
	s_brev_b32 s20, 1
	s_mov_b32 s21, 0x2f800000
	s_mov_b32 s22, 0xcf800000
	s_waitcnt vmcnt(0)
	v_lshlrev_b16_e32 v3, 8, v2
	v_lshlrev_b32_e32 v2, 25, v2
	v_lshrrev_b32_e32 v5, 4, v2
	v_and_or_b32 v8, v3, s2, 0.5
	v_or_b32_e32 v5, 0x70000000, v5
	v_add_f32_e32 v8, -0.5, v8
	v_mul_f32_e32 v5, 0x7800000, v5
	v_cmp_gt_u32_e32 vcc, s3, v2
	v_bfe_i32 v3, v3, 0, 16
	s_nop 0
	v_cndmask_b32_e32 v2, v5, v8, vcc
	v_and_or_b32 v2, v3, s20, v2
	v_trunc_f32_e32 v2, v2
	v_mul_f32_e64 v3, |v2|, s21
	v_floor_f32_e32 v3, v3
	v_fma_f32 v5, v3, s22, |v2|
	v_cvt_u32_f32_e32 v5, v5
	v_cvt_u32_f32_e32 v3, v3
	v_ashrrev_i32_e32 v8, 31, v2
	v_xor_b32_e32 v2, v5, v8
	v_xor_b32_e32 v3, v3, v8
	v_sub_co_u32_e32 v2, vcc, v2, v8
	s_nop 1
	v_subb_co_u32_e32 v3, vcc, v3, v8, vcc
.LBB304_1193:
	s_mov_b64 s[2:3], 0
	s_mov_b64 s[20:21], -1
.LBB304_1194:
	s_andn2_b64 vcc, exec, s[2:3]
	s_mov_b64 s[2:3], 0
	s_cbranch_vccnz .LBB304_1205
; %bb.1195:
	s_cmp_gt_i32 s24, 14
	s_cbranch_scc0 .LBB304_1198
; %bb.1196:
	s_cmp_eq_u32 s24, 15
	s_cbranch_scc0 .LBB304_1201
; %bb.1197:
	global_load_ushort v2, v[6:7], off
	s_mov_b32 s0, 0x2f800000
	s_mov_b32 s1, 0xcf800000
	s_mov_b64 s[20:21], -1
	s_waitcnt vmcnt(0)
	v_lshlrev_b32_e32 v2, 16, v2
	v_trunc_f32_e32 v2, v2
	v_mul_f32_e64 v3, |v2|, s0
	v_floor_f32_e32 v3, v3
	v_fma_f32 v5, v3, s1, |v2|
	v_cvt_u32_f32_e32 v5, v5
	v_cvt_u32_f32_e32 v3, v3
	v_ashrrev_i32_e32 v8, 31, v2
	s_mov_b64 s[0:1], 0
	v_xor_b32_e32 v2, v5, v8
	v_xor_b32_e32 v3, v3, v8
	v_sub_co_u32_e32 v2, vcc, v2, v8
	s_nop 1
	v_subb_co_u32_e32 v3, vcc, v3, v8, vcc
	s_branch .LBB304_1202
.LBB304_1198:
	s_mov_b64 s[22:23], -1
                                        ; implicit-def: $vgpr2_vgpr3
	s_branch .LBB304_1203
.LBB304_1199:
	s_andn2_saveexec_b64 s[2:3], s[2:3]
	s_cbranch_execz .LBB304_1180
.LBB304_1200:
	v_cmp_ne_u16_e32 vcc, 0, v5
	s_andn2_b64 s[20:21], s[20:21], exec
	s_and_b64 s[22:23], vcc, exec
	s_or_b64 s[20:21], s[20:21], s[22:23]
	s_or_b64 exec, exec, s[2:3]
	v_mov_b64_e32 v[2:3], 0
	s_and_saveexec_b64 s[2:3], s[20:21]
	s_cbranch_execnz .LBB304_1181
	s_branch .LBB304_1182
.LBB304_1201:
	s_mov_b64 s[0:1], -1
                                        ; implicit-def: $vgpr2_vgpr3
.LBB304_1202:
	s_mov_b64 s[22:23], 0
.LBB304_1203:
	s_and_b64 vcc, exec, s[22:23]
	s_cbranch_vccz .LBB304_1205
; %bb.1204:
	s_cmp_lg_u32 s24, 11
	s_mov_b64 s[2:3], -1
	s_cselect_b64 s[0:1], -1, 0
.LBB304_1205:
	s_and_b64 vcc, exec, s[0:1]
	s_cbranch_vccnz .LBB304_1268
; %bb.1206:
	s_andn2_b64 vcc, exec, s[2:3]
	s_cbranch_vccnz .LBB304_1208
.LBB304_1207:
	global_load_ubyte v2, v[6:7], off
	s_mov_b32 s0, 0
	s_waitcnt vmcnt(1)
	v_mov_b32_e32 v3, s0
	s_mov_b64 s[20:21], -1
	s_waitcnt vmcnt(0)
	v_cmp_ne_u16_e32 vcc, 0, v2
	s_nop 1
	v_cndmask_b32_e64 v2, 0, 1, vcc
.LBB304_1208:
	s_branch .LBB304_1139
.LBB304_1209:
	s_cmp_lt_i32 s24, 5
	s_cbranch_scc1 .LBB304_1214
; %bb.1210:
	s_cmp_lt_i32 s24, 8
	s_cbranch_scc1 .LBB304_1215
; %bb.1211:
	;; [unrolled: 3-line block ×3, first 2 shown]
	s_cmp_gt_i32 s24, 9
	s_cbranch_scc0 .LBB304_1217
; %bb.1213:
	global_load_dwordx2 v[2:3], v[6:7], off
	s_movk_i32 s0, 0xffe0
	s_waitcnt vmcnt(0)
	v_trunc_f64_e32 v[8:9], v[2:3]
	v_ldexp_f64 v[2:3], v[8:9], s0
	v_floor_f64_e32 v[12:13], v[2:3]
	v_fmac_f64_e32 v[8:9], 0xc1f00000, v[12:13]
	v_cvt_i32_f64_e32 v3, v[12:13]
	v_cvt_u32_f64_e32 v2, v[8:9]
	s_mov_b64 s[0:1], 0
	s_branch .LBB304_1218
.LBB304_1214:
                                        ; implicit-def: $vgpr2_vgpr3
	s_branch .LBB304_1236
.LBB304_1215:
	s_mov_b64 s[0:1], -1
                                        ; implicit-def: $vgpr2_vgpr3
	s_branch .LBB304_1224
.LBB304_1216:
	s_mov_b64 s[0:1], -1
                                        ; implicit-def: $vgpr2_vgpr3
	s_branch .LBB304_1221
.LBB304_1217:
	s_mov_b64 s[0:1], -1
                                        ; implicit-def: $vgpr2_vgpr3
.LBB304_1218:
	s_andn2_b64 vcc, exec, s[0:1]
	s_cbranch_vccnz .LBB304_1220
; %bb.1219:
	global_load_dword v2, v[6:7], off
	s_mov_b32 s0, 0x2f800000
	s_mov_b32 s1, 0xcf800000
	s_waitcnt vmcnt(0)
	v_trunc_f32_e32 v2, v2
	v_mul_f32_e64 v3, |v2|, s0
	v_floor_f32_e32 v3, v3
	v_cvt_u32_f32_e32 v5, v3
	v_fma_f32 v3, v3, s1, |v2|
	v_cvt_u32_f32_e32 v3, v3
	v_ashrrev_i32_e32 v8, 31, v2
	v_xor_b32_e32 v5, v5, v8
	v_xor_b32_e32 v2, v3, v8
	v_sub_co_u32_e32 v2, vcc, v2, v8
	s_nop 1
	v_subb_co_u32_e32 v3, vcc, v5, v8, vcc
.LBB304_1220:
	s_mov_b64 s[0:1], 0
.LBB304_1221:
	s_andn2_b64 vcc, exec, s[0:1]
	s_cbranch_vccnz .LBB304_1223
; %bb.1222:
	global_load_dword v2, v[6:7], off
	s_waitcnt vmcnt(0)
	v_cvt_f32_f16_e32 v2, v2
	v_cvt_i32_f32_e32 v2, v2
	v_ashrrev_i32_e32 v3, 31, v2
.LBB304_1223:
	s_mov_b64 s[0:1], 0
.LBB304_1224:
	s_andn2_b64 vcc, exec, s[0:1]
	s_cbranch_vccnz .LBB304_1235
; %bb.1225:
	s_cmp_lt_i32 s24, 6
	s_cbranch_scc1 .LBB304_1228
; %bb.1226:
	s_cmp_gt_i32 s24, 6
	s_cbranch_scc0 .LBB304_1229
; %bb.1227:
	global_load_dwordx2 v[2:3], v[6:7], off
	s_movk_i32 s0, 0xffe0
	s_waitcnt vmcnt(0)
	v_trunc_f64_e32 v[8:9], v[2:3]
	v_ldexp_f64 v[2:3], v[8:9], s0
	v_floor_f64_e32 v[12:13], v[2:3]
	v_fmac_f64_e32 v[8:9], 0xc1f00000, v[12:13]
	v_cvt_i32_f64_e32 v3, v[12:13]
	v_cvt_u32_f64_e32 v2, v[8:9]
	s_mov_b64 s[0:1], 0
	s_branch .LBB304_1230
.LBB304_1228:
	s_mov_b64 s[0:1], -1
                                        ; implicit-def: $vgpr2_vgpr3
	s_branch .LBB304_1233
.LBB304_1229:
	s_mov_b64 s[0:1], -1
                                        ; implicit-def: $vgpr2_vgpr3
.LBB304_1230:
	s_andn2_b64 vcc, exec, s[0:1]
	s_cbranch_vccnz .LBB304_1232
; %bb.1231:
	global_load_dword v2, v[6:7], off
	s_mov_b32 s0, 0x2f800000
	s_mov_b32 s1, 0xcf800000
	s_waitcnt vmcnt(0)
	v_trunc_f32_e32 v2, v2
	v_mul_f32_e64 v3, |v2|, s0
	v_floor_f32_e32 v3, v3
	v_cvt_u32_f32_e32 v5, v3
	v_fma_f32 v3, v3, s1, |v2|
	v_cvt_u32_f32_e32 v3, v3
	v_ashrrev_i32_e32 v8, 31, v2
	v_xor_b32_e32 v5, v5, v8
	v_xor_b32_e32 v2, v3, v8
	v_sub_co_u32_e32 v2, vcc, v2, v8
	s_nop 1
	v_subb_co_u32_e32 v3, vcc, v5, v8, vcc
.LBB304_1232:
	s_mov_b64 s[0:1], 0
.LBB304_1233:
	s_andn2_b64 vcc, exec, s[0:1]
	s_cbranch_vccnz .LBB304_1235
; %bb.1234:
	global_load_ushort v2, v[6:7], off
	s_waitcnt vmcnt(0)
	v_cvt_f32_f16_e32 v2, v2
	v_cvt_i32_f32_e32 v2, v2
	v_ashrrev_i32_e32 v3, 31, v2
.LBB304_1235:
	s_cbranch_execnz .LBB304_1255
.LBB304_1236:
	s_cmp_lt_i32 s24, 2
	s_cbranch_scc1 .LBB304_1240
; %bb.1237:
	s_cmp_lt_i32 s24, 3
	s_cbranch_scc1 .LBB304_1241
; %bb.1238:
	s_cmp_gt_i32 s24, 3
	s_cbranch_scc0 .LBB304_1242
; %bb.1239:
	global_load_dwordx2 v[2:3], v[6:7], off
	s_mov_b64 s[0:1], 0
	s_branch .LBB304_1243
.LBB304_1240:
	s_mov_b64 s[0:1], -1
                                        ; implicit-def: $vgpr2_vgpr3
	s_branch .LBB304_1249
.LBB304_1241:
	s_mov_b64 s[0:1], -1
                                        ; implicit-def: $vgpr2_vgpr3
	s_branch .LBB304_1246
.LBB304_1242:
	s_mov_b64 s[0:1], -1
                                        ; implicit-def: $vgpr2_vgpr3
.LBB304_1243:
	s_andn2_b64 vcc, exec, s[0:1]
	s_cbranch_vccnz .LBB304_1245
; %bb.1244:
	global_load_dword v2, v[6:7], off
	s_waitcnt vmcnt(0)
	v_ashrrev_i32_e32 v3, 31, v2
.LBB304_1245:
	s_mov_b64 s[0:1], 0
.LBB304_1246:
	s_andn2_b64 vcc, exec, s[0:1]
	s_cbranch_vccnz .LBB304_1248
; %bb.1247:
	global_load_ushort v2, v[6:7], off
	s_waitcnt vmcnt(0)
	v_bfe_i32 v2, v2, 0, 16
	v_ashrrev_i32_e32 v3, 31, v2
.LBB304_1248:
	s_mov_b64 s[0:1], 0
.LBB304_1249:
	s_andn2_b64 vcc, exec, s[0:1]
	s_cbranch_vccnz .LBB304_1255
; %bb.1250:
	s_cmp_gt_i32 s24, 0
	s_cbranch_scc0 .LBB304_1252
; %bb.1251:
	global_load_sbyte v2, v[6:7], off
	s_mov_b64 s[0:1], 0
	s_waitcnt vmcnt(0)
	v_bfe_i32 v2, v2, 0, 16
	v_ashrrev_i32_e32 v3, 31, v2
	s_branch .LBB304_1253
.LBB304_1252:
	s_mov_b64 s[0:1], -1
                                        ; implicit-def: $vgpr2_vgpr3
.LBB304_1253:
	s_andn2_b64 vcc, exec, s[0:1]
	s_cbranch_vccnz .LBB304_1255
; %bb.1254:
	global_load_ubyte v2, v[6:7], off
	s_mov_b32 s0, 0
	s_waitcnt vmcnt(1)
	v_mov_b32_e32 v3, s0
	s_waitcnt vmcnt(0)
	v_and_b32_e32 v2, 0xffff, v2
.LBB304_1255:
.LBB304_1256:
	v_add_u32_e32 v6, s13, v4
	v_ashrrev_i32_e32 v7, 31, v6
	s_cmp_lt_i32 s24, 11
	v_lshl_add_u64 v[8:9], s[6:7], 0, v[6:7]
	s_cbranch_scc1 .LBB304_1263
; %bb.1257:
	s_cmp_gt_i32 s24, 25
	s_mov_b64 s[2:3], 0
	s_cbranch_scc0 .LBB304_1265
; %bb.1258:
	s_cmp_gt_i32 s24, 28
	s_cbranch_scc0 .LBB304_1266
; %bb.1259:
	s_cmp_gt_i32 s24, 43
	s_cbranch_scc0 .LBB304_1267
; %bb.1260:
	s_cmp_gt_i32 s24, 45
	s_cbranch_scc0 .LBB304_1269
; %bb.1261:
	s_cmp_eq_u32 s24, 46
	s_mov_b64 s[22:23], 0
	s_cbranch_scc0 .LBB304_1270
; %bb.1262:
	global_load_dword v4, v[8:9], off
	s_mov_b32 s0, 0x2f800000
	s_mov_b32 s1, 0xcf800000
	s_mov_b64 s[20:21], -1
	s_waitcnt vmcnt(0)
	v_lshlrev_b32_e32 v4, 16, v4
	v_trunc_f32_e32 v4, v4
	v_mul_f32_e64 v5, |v4|, s0
	v_floor_f32_e32 v5, v5
	v_fma_f32 v7, v5, s1, |v4|
	v_cvt_u32_f32_e32 v7, v7
	v_cvt_u32_f32_e32 v5, v5
	v_ashrrev_i32_e32 v11, 31, v4
	s_mov_b64 s[0:1], 0
	v_xor_b32_e32 v4, v7, v11
	v_xor_b32_e32 v5, v5, v11
	v_sub_co_u32_e32 v4, vcc, v4, v11
	s_nop 1
	v_subb_co_u32_e32 v5, vcc, v5, v11, vcc
	s_branch .LBB304_1271
.LBB304_1263:
	s_mov_b64 s[20:21], 0
                                        ; implicit-def: $vgpr4_vgpr5
	s_cbranch_execnz .LBB304_1333
.LBB304_1264:
	s_andn2_b64 vcc, exec, s[20:21]
	s_cbranch_vccnz .LBB304_1940
	s_branch .LBB304_1381
.LBB304_1265:
	s_mov_b64 s[22:23], -1
	s_mov_b64 s[20:21], 0
	s_mov_b64 s[0:1], 0
                                        ; implicit-def: $vgpr4_vgpr5
	s_branch .LBB304_1298
.LBB304_1266:
	s_mov_b64 s[22:23], -1
	s_mov_b64 s[20:21], 0
	s_mov_b64 s[0:1], 0
                                        ; implicit-def: $vgpr4_vgpr5
	s_branch .LBB304_1281
.LBB304_1267:
	s_mov_b64 s[22:23], -1
	s_mov_b64 s[20:21], 0
	s_mov_b64 s[0:1], 0
                                        ; implicit-def: $vgpr4_vgpr5
	s_branch .LBB304_1276
.LBB304_1268:
	s_trap 2
	s_or_b64 s[18:19], s[18:19], exec
	s_cbranch_execz .LBB304_1207
	s_branch .LBB304_1208
.LBB304_1269:
	s_mov_b64 s[22:23], -1
	s_mov_b64 s[20:21], 0
	s_mov_b64 s[0:1], 0
                                        ; implicit-def: $vgpr4_vgpr5
	s_branch .LBB304_1271
.LBB304_1270:
	s_mov_b64 s[0:1], -1
                                        ; implicit-def: $vgpr4_vgpr5
	s_mov_b64 s[20:21], 0
.LBB304_1271:
	s_and_b64 vcc, exec, s[22:23]
	s_cbranch_vccz .LBB304_1275
; %bb.1272:
	s_cmp_eq_u32 s24, 44
	s_cbranch_scc0 .LBB304_1274
; %bb.1273:
	global_load_ubyte v4, v[8:9], off
	s_mov_b32 s0, 0x2f800000
	s_mov_b32 s1, 0xcf800000
	s_mov_b64 s[20:21], -1
	s_waitcnt vmcnt(0)
	v_lshlrev_b32_e32 v5, 23, v4
	v_trunc_f32_e32 v5, v5
	v_mul_f32_e64 v7, |v5|, s0
	v_floor_f32_e32 v7, v7
	v_fma_f32 v11, v7, s1, |v5|
	v_cvt_u32_f32_e32 v11, v11
	v_cvt_u32_f32_e32 v7, v7
	v_ashrrev_i32_e32 v5, 31, v5
	s_mov_b64 s[0:1], 0
	v_xor_b32_e32 v11, v11, v5
	v_xor_b32_e32 v7, v7, v5
	v_sub_co_u32_e32 v11, vcc, v11, v5
	s_nop 1
	v_subb_co_u32_e32 v5, vcc, v7, v5, vcc
	v_cmp_ne_u32_e32 vcc, 0, v4
	s_nop 1
	v_cndmask_b32_e32 v5, 0, v5, vcc
	v_cndmask_b32_e32 v4, 0, v11, vcc
	s_branch .LBB304_1275
.LBB304_1274:
	s_mov_b64 s[0:1], -1
                                        ; implicit-def: $vgpr4_vgpr5
.LBB304_1275:
	s_mov_b64 s[22:23], 0
.LBB304_1276:
	s_and_b64 vcc, exec, s[22:23]
	s_cbranch_vccz .LBB304_1280
; %bb.1277:
	s_cmp_eq_u32 s24, 29
	s_cbranch_scc0 .LBB304_1279
; %bb.1278:
	global_load_dwordx2 v[4:5], v[8:9], off
	s_mov_b64 s[0:1], 0
	s_mov_b64 s[20:21], -1
	s_branch .LBB304_1280
.LBB304_1279:
	s_mov_b64 s[0:1], -1
                                        ; implicit-def: $vgpr4_vgpr5
.LBB304_1280:
	s_mov_b64 s[22:23], 0
.LBB304_1281:
	s_and_b64 vcc, exec, s[22:23]
	s_cbranch_vccz .LBB304_1297
; %bb.1282:
	s_cmp_lt_i32 s24, 27
	s_cbranch_scc1 .LBB304_1285
; %bb.1283:
	s_cmp_gt_i32 s24, 27
	s_cbranch_scc0 .LBB304_1286
; %bb.1284:
	global_load_dword v4, v[8:9], off
	s_waitcnt vmcnt(1)
	v_mov_b32_e32 v5, 0
	s_mov_b64 s[20:21], 0
	s_branch .LBB304_1287
.LBB304_1285:
	s_mov_b64 s[20:21], -1
                                        ; implicit-def: $vgpr4_vgpr5
	s_branch .LBB304_1290
.LBB304_1286:
	s_mov_b64 s[20:21], -1
                                        ; implicit-def: $vgpr4_vgpr5
.LBB304_1287:
	s_andn2_b64 vcc, exec, s[20:21]
	s_cbranch_vccnz .LBB304_1289
; %bb.1288:
	global_load_ushort v4, v[8:9], off
	s_mov_b32 s20, 0
	s_waitcnt vmcnt(1)
	v_mov_b32_e32 v5, s20
	s_waitcnt vmcnt(0)
	v_and_b32_e32 v4, 0xffff, v4
.LBB304_1289:
	s_mov_b64 s[20:21], 0
.LBB304_1290:
	s_andn2_b64 vcc, exec, s[20:21]
	s_cbranch_vccnz .LBB304_1296
; %bb.1291:
	global_load_ubyte v7, v[8:9], off
	s_movk_i32 s20, 0x7f
	s_mov_b64 s[22:23], 0
	s_waitcnt vmcnt(0)
	v_cmp_lt_i16_e32 vcc, s20, v7
	s_and_saveexec_b64 s[20:21], vcc
	s_xor_b64 s[20:21], exec, s[20:21]
	s_cbranch_execz .LBB304_1308
; %bb.1292:
	s_movk_i32 s22, 0x80
	v_cmp_ne_u16_e32 vcc, s22, v7
	s_and_b64 s[22:23], vcc, exec
	s_andn2_saveexec_b64 s[20:21], s[20:21]
	s_cbranch_execnz .LBB304_1309
.LBB304_1293:
	s_or_b64 exec, exec, s[20:21]
	v_mov_b64_e32 v[4:5], 0
	s_and_saveexec_b64 s[20:21], s[22:23]
	s_cbranch_execz .LBB304_1295
.LBB304_1294:
	v_and_b32_e32 v5, 0xffff, v7
	v_lshlrev_b32_e32 v4, 24, v7
	v_and_b32_e32 v7, 7, v5
	v_ffbh_u32_e32 v12, v7
	v_min_u32_e32 v12, 32, v12
	v_subrev_u32_e32 v13, 28, v12
	v_bfe_u32 v11, v5, 3, 4
	v_lshlrev_b32_e32 v5, v13, v5
	v_sub_u32_e32 v12, 29, v12
	v_and_b32_e32 v5, 7, v5
	v_cmp_eq_u32_e32 vcc, 0, v11
	v_and_b32_e32 v4, 0x80000000, v4
	s_mov_b32 s22, 0x2f800000
	v_cndmask_b32_e32 v11, v11, v12, vcc
	v_cndmask_b32_e32 v5, v7, v5, vcc
	v_mov_b32_e32 v7, 0x3b800000
	v_lshlrev_b32_e32 v5, 20, v5
	v_lshl_add_u32 v7, v11, 23, v7
	v_or3_b32 v4, v4, v7, v5
	v_trunc_f32_e32 v4, v4
	v_mul_f32_e64 v5, |v4|, s22
	v_floor_f32_e32 v5, v5
	s_mov_b32 s22, 0xcf800000
	v_fma_f32 v7, v5, s22, |v4|
	v_cvt_u32_f32_e32 v7, v7
	v_cvt_u32_f32_e32 v5, v5
	v_ashrrev_i32_e32 v11, 31, v4
	v_xor_b32_e32 v4, v7, v11
	v_xor_b32_e32 v5, v5, v11
	v_sub_co_u32_e32 v4, vcc, v4, v11
	s_nop 1
	v_subb_co_u32_e32 v5, vcc, v5, v11, vcc
.LBB304_1295:
	s_or_b64 exec, exec, s[20:21]
.LBB304_1296:
	s_mov_b64 s[20:21], -1
.LBB304_1297:
	s_mov_b64 s[22:23], 0
.LBB304_1298:
	s_and_b64 vcc, exec, s[22:23]
	s_cbranch_vccz .LBB304_1329
; %bb.1299:
	s_cmp_gt_i32 s24, 22
	s_cbranch_scc0 .LBB304_1307
; %bb.1300:
	s_cmp_lt_i32 s24, 24
	s_cbranch_scc1 .LBB304_1310
; %bb.1301:
	s_cmp_gt_i32 s24, 24
	s_cbranch_scc0 .LBB304_1311
; %bb.1302:
	global_load_ubyte v7, v[8:9], off
	s_movk_i32 s2, 0x7f
	s_mov_b64 s[20:21], 0
	s_waitcnt vmcnt(0)
	v_cmp_lt_i16_e32 vcc, s2, v7
	s_and_saveexec_b64 s[2:3], vcc
	s_xor_b64 s[2:3], exec, s[2:3]
	s_cbranch_execz .LBB304_1323
; %bb.1303:
	s_movk_i32 s20, 0x80
	v_cmp_ne_u16_e32 vcc, s20, v7
	s_and_b64 s[20:21], vcc, exec
	s_andn2_saveexec_b64 s[2:3], s[2:3]
	s_cbranch_execnz .LBB304_1324
.LBB304_1304:
	s_or_b64 exec, exec, s[2:3]
	v_mov_b64_e32 v[4:5], 0
	s_and_saveexec_b64 s[2:3], s[20:21]
	s_cbranch_execz .LBB304_1306
.LBB304_1305:
	v_and_b32_e32 v5, 0xffff, v7
	v_lshlrev_b32_e32 v4, 24, v7
	v_and_b32_e32 v7, 3, v5
	v_ffbh_u32_e32 v12, v7
	v_min_u32_e32 v12, 32, v12
	v_subrev_u32_e32 v13, 29, v12
	v_bfe_u32 v11, v5, 2, 5
	v_lshlrev_b32_e32 v5, v13, v5
	v_sub_u32_e32 v12, 30, v12
	v_and_b32_e32 v5, 3, v5
	v_cmp_eq_u32_e32 vcc, 0, v11
	v_and_b32_e32 v4, 0x80000000, v4
	s_mov_b32 s20, 0x2f800000
	v_cndmask_b32_e32 v11, v11, v12, vcc
	v_cndmask_b32_e32 v5, v7, v5, vcc
	v_mov_b32_e32 v7, 0x37800000
	v_lshlrev_b32_e32 v5, 21, v5
	v_lshl_add_u32 v7, v11, 23, v7
	v_or3_b32 v4, v4, v7, v5
	v_trunc_f32_e32 v4, v4
	v_mul_f32_e64 v5, |v4|, s20
	v_floor_f32_e32 v5, v5
	s_mov_b32 s20, 0xcf800000
	v_fma_f32 v7, v5, s20, |v4|
	v_cvt_u32_f32_e32 v7, v7
	v_cvt_u32_f32_e32 v5, v5
	v_ashrrev_i32_e32 v11, 31, v4
	v_xor_b32_e32 v4, v7, v11
	v_xor_b32_e32 v5, v5, v11
	v_sub_co_u32_e32 v4, vcc, v4, v11
	s_nop 1
	v_subb_co_u32_e32 v5, vcc, v5, v11, vcc
.LBB304_1306:
	s_or_b64 exec, exec, s[2:3]
	s_mov_b64 s[2:3], 0
	s_branch .LBB304_1312
.LBB304_1307:
	s_mov_b64 s[2:3], -1
                                        ; implicit-def: $vgpr4_vgpr5
	s_branch .LBB304_1318
.LBB304_1308:
	s_andn2_saveexec_b64 s[20:21], s[20:21]
	s_cbranch_execz .LBB304_1293
.LBB304_1309:
	v_cmp_ne_u16_e32 vcc, 0, v7
	s_andn2_b64 s[22:23], s[22:23], exec
	s_and_b64 s[26:27], vcc, exec
	s_or_b64 s[22:23], s[22:23], s[26:27]
	s_or_b64 exec, exec, s[20:21]
	v_mov_b64_e32 v[4:5], 0
	s_and_saveexec_b64 s[20:21], s[22:23]
	s_cbranch_execnz .LBB304_1294
	s_branch .LBB304_1295
.LBB304_1310:
	s_mov_b64 s[2:3], -1
                                        ; implicit-def: $vgpr4_vgpr5
	s_branch .LBB304_1315
.LBB304_1311:
	s_mov_b64 s[2:3], -1
                                        ; implicit-def: $vgpr4_vgpr5
.LBB304_1312:
	s_and_b64 vcc, exec, s[2:3]
	s_cbranch_vccz .LBB304_1314
; %bb.1313:
	global_load_ubyte v4, v[8:9], off
	s_mov_b32 s2, 0x7f800000
	s_brev_b32 s3, 1
	s_mov_b32 s20, 0x2f800000
	s_mov_b32 s21, 0xcf800000
	s_waitcnt vmcnt(0)
	v_lshlrev_b32_e32 v4, 24, v4
	v_and_b32_e32 v5, 0x7f000000, v4
	v_ffbh_u32_e32 v7, v5
	v_min_u32_e32 v7, 32, v7
	v_sub_u32_e64 v7, v7, 4 clamp
	v_lshlrev_b32_e32 v12, v7, v5
	v_lshlrev_b32_e32 v7, 23, v7
	v_lshrrev_b32_e32 v12, 4, v12
	v_add_u32_e32 v11, 0x1000000, v5
	v_sub_u32_e32 v7, v12, v7
	v_ashrrev_i32_e32 v11, 8, v11
	v_add_u32_e32 v7, 0x3c000000, v7
	v_and_or_b32 v7, v11, s2, v7
	v_cmp_ne_u32_e32 vcc, 0, v5
	s_nop 1
	v_cndmask_b32_e32 v5, 0, v7, vcc
	v_and_or_b32 v4, v4, s3, v5
	v_trunc_f32_e32 v4, v4
	v_mul_f32_e64 v5, |v4|, s20
	v_floor_f32_e32 v5, v5
	v_fma_f32 v7, v5, s21, |v4|
	v_cvt_u32_f32_e32 v7, v7
	v_cvt_u32_f32_e32 v5, v5
	v_ashrrev_i32_e32 v11, 31, v4
	v_xor_b32_e32 v4, v7, v11
	v_xor_b32_e32 v5, v5, v11
	v_sub_co_u32_e32 v4, vcc, v4, v11
	s_nop 1
	v_subb_co_u32_e32 v5, vcc, v5, v11, vcc
.LBB304_1314:
	s_mov_b64 s[2:3], 0
.LBB304_1315:
	s_andn2_b64 vcc, exec, s[2:3]
	s_cbranch_vccnz .LBB304_1317
; %bb.1316:
	global_load_ubyte v4, v[8:9], off
	s_movk_i32 s2, 0x7f00
	s_brev_b32 s3, 16
	s_brev_b32 s20, 1
	s_mov_b32 s21, 0x2f800000
	s_mov_b32 s22, 0xcf800000
	s_waitcnt vmcnt(0)
	v_lshlrev_b16_e32 v5, 8, v4
	v_lshlrev_b32_e32 v4, 25, v4
	v_lshrrev_b32_e32 v7, 4, v4
	v_and_or_b32 v11, v5, s2, 0.5
	v_or_b32_e32 v7, 0x70000000, v7
	v_add_f32_e32 v11, -0.5, v11
	v_mul_f32_e32 v7, 0x7800000, v7
	v_cmp_gt_u32_e32 vcc, s3, v4
	v_bfe_i32 v5, v5, 0, 16
	s_nop 0
	v_cndmask_b32_e32 v4, v7, v11, vcc
	v_and_or_b32 v4, v5, s20, v4
	v_trunc_f32_e32 v4, v4
	v_mul_f32_e64 v5, |v4|, s21
	v_floor_f32_e32 v5, v5
	v_fma_f32 v7, v5, s22, |v4|
	v_cvt_u32_f32_e32 v7, v7
	v_cvt_u32_f32_e32 v5, v5
	v_ashrrev_i32_e32 v11, 31, v4
	v_xor_b32_e32 v4, v7, v11
	v_xor_b32_e32 v5, v5, v11
	v_sub_co_u32_e32 v4, vcc, v4, v11
	s_nop 1
	v_subb_co_u32_e32 v5, vcc, v5, v11, vcc
.LBB304_1317:
	s_mov_b64 s[2:3], 0
	s_mov_b64 s[20:21], -1
.LBB304_1318:
	s_andn2_b64 vcc, exec, s[2:3]
	s_mov_b64 s[2:3], 0
	s_cbranch_vccnz .LBB304_1329
; %bb.1319:
	s_cmp_gt_i32 s24, 14
	s_cbranch_scc0 .LBB304_1322
; %bb.1320:
	s_cmp_eq_u32 s24, 15
	s_cbranch_scc0 .LBB304_1325
; %bb.1321:
	global_load_ushort v4, v[8:9], off
	s_mov_b32 s0, 0x2f800000
	s_mov_b32 s1, 0xcf800000
	s_mov_b64 s[20:21], -1
	s_waitcnt vmcnt(0)
	v_lshlrev_b32_e32 v4, 16, v4
	v_trunc_f32_e32 v4, v4
	v_mul_f32_e64 v5, |v4|, s0
	v_floor_f32_e32 v5, v5
	v_fma_f32 v7, v5, s1, |v4|
	v_cvt_u32_f32_e32 v7, v7
	v_cvt_u32_f32_e32 v5, v5
	v_ashrrev_i32_e32 v11, 31, v4
	s_mov_b64 s[0:1], 0
	v_xor_b32_e32 v4, v7, v11
	v_xor_b32_e32 v5, v5, v11
	v_sub_co_u32_e32 v4, vcc, v4, v11
	s_nop 1
	v_subb_co_u32_e32 v5, vcc, v5, v11, vcc
	s_branch .LBB304_1326
.LBB304_1322:
	s_mov_b64 s[22:23], -1
                                        ; implicit-def: $vgpr4_vgpr5
	s_branch .LBB304_1327
.LBB304_1323:
	s_andn2_saveexec_b64 s[2:3], s[2:3]
	s_cbranch_execz .LBB304_1304
.LBB304_1324:
	v_cmp_ne_u16_e32 vcc, 0, v7
	s_andn2_b64 s[20:21], s[20:21], exec
	s_and_b64 s[22:23], vcc, exec
	s_or_b64 s[20:21], s[20:21], s[22:23]
	s_or_b64 exec, exec, s[2:3]
	v_mov_b64_e32 v[4:5], 0
	s_and_saveexec_b64 s[2:3], s[20:21]
	s_cbranch_execnz .LBB304_1305
	s_branch .LBB304_1306
.LBB304_1325:
	s_mov_b64 s[0:1], -1
                                        ; implicit-def: $vgpr4_vgpr5
.LBB304_1326:
	s_mov_b64 s[22:23], 0
.LBB304_1327:
	s_and_b64 vcc, exec, s[22:23]
	s_cbranch_vccz .LBB304_1329
; %bb.1328:
	s_cmp_lg_u32 s24, 11
	s_mov_b64 s[2:3], -1
	s_cselect_b64 s[0:1], -1, 0
.LBB304_1329:
	s_and_b64 vcc, exec, s[0:1]
	s_cbranch_vccnz .LBB304_1392
; %bb.1330:
	s_andn2_b64 vcc, exec, s[2:3]
	s_cbranch_vccnz .LBB304_1332
.LBB304_1331:
	global_load_ubyte v4, v[8:9], off
	s_mov_b32 s0, 0
	s_waitcnt vmcnt(1)
	v_mov_b32_e32 v5, s0
	s_mov_b64 s[20:21], -1
	s_waitcnt vmcnt(0)
	v_cmp_ne_u16_e32 vcc, 0, v4
	s_nop 1
	v_cndmask_b32_e64 v4, 0, 1, vcc
.LBB304_1332:
	s_branch .LBB304_1264
.LBB304_1333:
	s_cmp_lt_i32 s24, 5
	s_cbranch_scc1 .LBB304_1338
; %bb.1334:
	s_cmp_lt_i32 s24, 8
	s_cbranch_scc1 .LBB304_1339
; %bb.1335:
	;; [unrolled: 3-line block ×3, first 2 shown]
	s_cmp_gt_i32 s24, 9
	s_cbranch_scc0 .LBB304_1341
; %bb.1337:
	global_load_dwordx2 v[4:5], v[8:9], off
	s_movk_i32 s0, 0xffe0
	s_waitcnt vmcnt(0)
	v_trunc_f64_e32 v[12:13], v[4:5]
	v_ldexp_f64 v[4:5], v[12:13], s0
	v_floor_f64_e32 v[14:15], v[4:5]
	v_fmac_f64_e32 v[12:13], 0xc1f00000, v[14:15]
	v_cvt_i32_f64_e32 v5, v[14:15]
	v_cvt_u32_f64_e32 v4, v[12:13]
	s_mov_b64 s[0:1], 0
	s_branch .LBB304_1342
.LBB304_1338:
	s_mov_b64 s[0:1], -1
                                        ; implicit-def: $vgpr4_vgpr5
	s_branch .LBB304_1360
.LBB304_1339:
	s_mov_b64 s[0:1], -1
                                        ; implicit-def: $vgpr4_vgpr5
	s_branch .LBB304_1348
.LBB304_1340:
	s_mov_b64 s[0:1], -1
                                        ; implicit-def: $vgpr4_vgpr5
	s_branch .LBB304_1345
.LBB304_1341:
	s_mov_b64 s[0:1], -1
                                        ; implicit-def: $vgpr4_vgpr5
.LBB304_1342:
	s_andn2_b64 vcc, exec, s[0:1]
	s_cbranch_vccnz .LBB304_1344
; %bb.1343:
	global_load_dword v4, v[8:9], off
	s_mov_b32 s0, 0x2f800000
	s_mov_b32 s1, 0xcf800000
	s_waitcnt vmcnt(0)
	v_trunc_f32_e32 v4, v4
	v_mul_f32_e64 v5, |v4|, s0
	v_floor_f32_e32 v5, v5
	v_cvt_u32_f32_e32 v7, v5
	v_fma_f32 v5, v5, s1, |v4|
	v_cvt_u32_f32_e32 v5, v5
	v_ashrrev_i32_e32 v11, 31, v4
	v_xor_b32_e32 v7, v7, v11
	v_xor_b32_e32 v4, v5, v11
	v_sub_co_u32_e32 v4, vcc, v4, v11
	s_nop 1
	v_subb_co_u32_e32 v5, vcc, v7, v11, vcc
.LBB304_1344:
	s_mov_b64 s[0:1], 0
.LBB304_1345:
	s_andn2_b64 vcc, exec, s[0:1]
	s_cbranch_vccnz .LBB304_1347
; %bb.1346:
	global_load_dword v4, v[8:9], off
	s_waitcnt vmcnt(0)
	v_cvt_f32_f16_e32 v4, v4
	v_cvt_i32_f32_e32 v4, v4
	v_ashrrev_i32_e32 v5, 31, v4
.LBB304_1347:
	s_mov_b64 s[0:1], 0
.LBB304_1348:
	s_andn2_b64 vcc, exec, s[0:1]
	s_cbranch_vccnz .LBB304_1359
; %bb.1349:
	s_cmp_lt_i32 s24, 6
	s_cbranch_scc1 .LBB304_1352
; %bb.1350:
	s_cmp_gt_i32 s24, 6
	s_cbranch_scc0 .LBB304_1353
; %bb.1351:
	global_load_dwordx2 v[4:5], v[8:9], off
	s_movk_i32 s0, 0xffe0
	s_waitcnt vmcnt(0)
	v_trunc_f64_e32 v[12:13], v[4:5]
	v_ldexp_f64 v[4:5], v[12:13], s0
	v_floor_f64_e32 v[14:15], v[4:5]
	v_fmac_f64_e32 v[12:13], 0xc1f00000, v[14:15]
	v_cvt_i32_f64_e32 v5, v[14:15]
	v_cvt_u32_f64_e32 v4, v[12:13]
	s_mov_b64 s[0:1], 0
	s_branch .LBB304_1354
.LBB304_1352:
	s_mov_b64 s[0:1], -1
                                        ; implicit-def: $vgpr4_vgpr5
	s_branch .LBB304_1357
.LBB304_1353:
	s_mov_b64 s[0:1], -1
                                        ; implicit-def: $vgpr4_vgpr5
.LBB304_1354:
	s_andn2_b64 vcc, exec, s[0:1]
	s_cbranch_vccnz .LBB304_1356
; %bb.1355:
	global_load_dword v4, v[8:9], off
	s_mov_b32 s0, 0x2f800000
	s_mov_b32 s1, 0xcf800000
	s_waitcnt vmcnt(0)
	v_trunc_f32_e32 v4, v4
	v_mul_f32_e64 v5, |v4|, s0
	v_floor_f32_e32 v5, v5
	v_cvt_u32_f32_e32 v7, v5
	v_fma_f32 v5, v5, s1, |v4|
	v_cvt_u32_f32_e32 v5, v5
	v_ashrrev_i32_e32 v11, 31, v4
	v_xor_b32_e32 v7, v7, v11
	v_xor_b32_e32 v4, v5, v11
	v_sub_co_u32_e32 v4, vcc, v4, v11
	s_nop 1
	v_subb_co_u32_e32 v5, vcc, v7, v11, vcc
.LBB304_1356:
	s_mov_b64 s[0:1], 0
.LBB304_1357:
	s_andn2_b64 vcc, exec, s[0:1]
	s_cbranch_vccnz .LBB304_1359
; %bb.1358:
	global_load_ushort v4, v[8:9], off
	s_waitcnt vmcnt(0)
	v_cvt_f32_f16_e32 v4, v4
	v_cvt_i32_f32_e32 v4, v4
	v_ashrrev_i32_e32 v5, 31, v4
.LBB304_1359:
	s_mov_b64 s[0:1], 0
.LBB304_1360:
	s_andn2_b64 vcc, exec, s[0:1]
	s_cbranch_vccnz .LBB304_1380
; %bb.1361:
	s_cmp_lt_i32 s24, 2
	s_cbranch_scc1 .LBB304_1365
; %bb.1362:
	s_cmp_lt_i32 s24, 3
	s_cbranch_scc1 .LBB304_1366
; %bb.1363:
	s_cmp_gt_i32 s24, 3
	s_cbranch_scc0 .LBB304_1367
; %bb.1364:
	global_load_dwordx2 v[4:5], v[8:9], off
	s_mov_b64 s[0:1], 0
	s_branch .LBB304_1368
.LBB304_1365:
	s_mov_b64 s[0:1], -1
                                        ; implicit-def: $vgpr4_vgpr5
	s_branch .LBB304_1374
.LBB304_1366:
	s_mov_b64 s[0:1], -1
                                        ; implicit-def: $vgpr4_vgpr5
	s_branch .LBB304_1371
.LBB304_1367:
	s_mov_b64 s[0:1], -1
                                        ; implicit-def: $vgpr4_vgpr5
.LBB304_1368:
	s_andn2_b64 vcc, exec, s[0:1]
	s_cbranch_vccnz .LBB304_1370
; %bb.1369:
	global_load_dword v4, v[8:9], off
	s_waitcnt vmcnt(0)
	v_ashrrev_i32_e32 v5, 31, v4
.LBB304_1370:
	s_mov_b64 s[0:1], 0
.LBB304_1371:
	s_andn2_b64 vcc, exec, s[0:1]
	s_cbranch_vccnz .LBB304_1373
; %bb.1372:
	global_load_ushort v4, v[8:9], off
	s_waitcnt vmcnt(0)
	v_bfe_i32 v4, v4, 0, 16
	v_ashrrev_i32_e32 v5, 31, v4
.LBB304_1373:
	s_mov_b64 s[0:1], 0
.LBB304_1374:
	s_andn2_b64 vcc, exec, s[0:1]
	s_cbranch_vccnz .LBB304_1380
; %bb.1375:
	s_cmp_gt_i32 s24, 0
	s_cbranch_scc0 .LBB304_1377
; %bb.1376:
	global_load_sbyte v4, v[8:9], off
	s_mov_b64 s[0:1], 0
	s_waitcnt vmcnt(0)
	v_bfe_i32 v4, v4, 0, 16
	v_ashrrev_i32_e32 v5, 31, v4
	s_branch .LBB304_1378
.LBB304_1377:
	s_mov_b64 s[0:1], -1
                                        ; implicit-def: $vgpr4_vgpr5
.LBB304_1378:
	s_andn2_b64 vcc, exec, s[0:1]
	s_cbranch_vccnz .LBB304_1380
; %bb.1379:
	global_load_ubyte v4, v[8:9], off
	s_mov_b32 s0, 0
	s_waitcnt vmcnt(1)
	v_mov_b32_e32 v5, s0
	s_waitcnt vmcnt(0)
	v_and_b32_e32 v4, 0xffff, v4
.LBB304_1380:
.LBB304_1381:
	v_add_u32_e32 v6, s13, v6
	v_ashrrev_i32_e32 v7, 31, v6
	s_cmp_lt_i32 s24, 11
	v_lshl_add_u64 v[8:9], s[6:7], 0, v[6:7]
	s_cbranch_scc1 .LBB304_1388
; %bb.1382:
	s_cmp_gt_i32 s24, 25
	s_mov_b64 s[2:3], 0
	s_cbranch_scc0 .LBB304_1389
; %bb.1383:
	s_cmp_gt_i32 s24, 28
	s_cbranch_scc0 .LBB304_1390
; %bb.1384:
	s_cmp_gt_i32 s24, 43
	;; [unrolled: 3-line block ×3, first 2 shown]
	s_cbranch_scc0 .LBB304_1393
; %bb.1386:
	s_cmp_eq_u32 s24, 46
	s_mov_b64 s[20:21], 0
	s_cbranch_scc0 .LBB304_1394
; %bb.1387:
	global_load_dword v6, v[8:9], off
	s_mov_b32 s0, 0x2f800000
	s_mov_b32 s1, 0xcf800000
	s_mov_b64 s[6:7], -1
	s_waitcnt vmcnt(0)
	v_lshlrev_b32_e32 v6, 16, v6
	v_trunc_f32_e32 v6, v6
	v_mul_f32_e64 v7, |v6|, s0
	v_floor_f32_e32 v7, v7
	v_fma_f32 v11, v7, s1, |v6|
	v_cvt_u32_f32_e32 v11, v11
	v_cvt_u32_f32_e32 v7, v7
	v_ashrrev_i32_e32 v12, 31, v6
	s_mov_b64 s[0:1], 0
	v_xor_b32_e32 v6, v11, v12
	v_xor_b32_e32 v7, v7, v12
	v_sub_co_u32_e32 v6, vcc, v6, v12
	s_nop 1
	v_subb_co_u32_e32 v7, vcc, v7, v12, vcc
	s_branch .LBB304_1395
.LBB304_1388:
	s_mov_b64 s[0:1], -1
	s_mov_b64 s[6:7], 0
                                        ; implicit-def: $vgpr6_vgpr7
	s_branch .LBB304_1457
.LBB304_1389:
	s_mov_b64 s[20:21], -1
	s_mov_b64 s[6:7], 0
	s_mov_b64 s[0:1], 0
                                        ; implicit-def: $vgpr6_vgpr7
	s_branch .LBB304_1422
.LBB304_1390:
	s_mov_b64 s[20:21], -1
	s_mov_b64 s[6:7], 0
	s_mov_b64 s[0:1], 0
                                        ; implicit-def: $vgpr6_vgpr7
	s_branch .LBB304_1405
.LBB304_1391:
	s_mov_b64 s[20:21], -1
	s_mov_b64 s[6:7], 0
	s_mov_b64 s[0:1], 0
                                        ; implicit-def: $vgpr6_vgpr7
	s_branch .LBB304_1400
.LBB304_1392:
	s_trap 2
	s_or_b64 s[18:19], s[18:19], exec
	s_cbranch_execz .LBB304_1331
	s_branch .LBB304_1332
.LBB304_1393:
	s_mov_b64 s[20:21], -1
	s_mov_b64 s[6:7], 0
	s_mov_b64 s[0:1], 0
                                        ; implicit-def: $vgpr6_vgpr7
	s_branch .LBB304_1395
.LBB304_1394:
	s_mov_b64 s[0:1], -1
                                        ; implicit-def: $vgpr6_vgpr7
	s_mov_b64 s[6:7], 0
.LBB304_1395:
	s_and_b64 vcc, exec, s[20:21]
	s_cbranch_vccz .LBB304_1399
; %bb.1396:
	s_cmp_eq_u32 s24, 44
	s_cbranch_scc0 .LBB304_1398
; %bb.1397:
	global_load_ubyte v6, v[8:9], off
	s_mov_b32 s0, 0x2f800000
	s_mov_b32 s1, 0xcf800000
	s_mov_b64 s[6:7], -1
	s_waitcnt vmcnt(0)
	v_lshlrev_b32_e32 v7, 23, v6
	v_trunc_f32_e32 v7, v7
	v_mul_f32_e64 v11, |v7|, s0
	v_floor_f32_e32 v11, v11
	v_fma_f32 v12, v11, s1, |v7|
	v_cvt_u32_f32_e32 v12, v12
	v_cvt_u32_f32_e32 v11, v11
	v_ashrrev_i32_e32 v7, 31, v7
	s_mov_b64 s[0:1], 0
	v_xor_b32_e32 v12, v12, v7
	v_xor_b32_e32 v11, v11, v7
	v_sub_co_u32_e32 v12, vcc, v12, v7
	s_nop 1
	v_subb_co_u32_e32 v7, vcc, v11, v7, vcc
	v_cmp_ne_u32_e32 vcc, 0, v6
	s_nop 1
	v_cndmask_b32_e32 v7, 0, v7, vcc
	v_cndmask_b32_e32 v6, 0, v12, vcc
	s_branch .LBB304_1399
.LBB304_1398:
	s_mov_b64 s[0:1], -1
                                        ; implicit-def: $vgpr6_vgpr7
.LBB304_1399:
	s_mov_b64 s[20:21], 0
.LBB304_1400:
	s_and_b64 vcc, exec, s[20:21]
	s_cbranch_vccz .LBB304_1404
; %bb.1401:
	s_cmp_eq_u32 s24, 29
	s_cbranch_scc0 .LBB304_1403
; %bb.1402:
	global_load_dwordx2 v[6:7], v[8:9], off
	s_mov_b64 s[0:1], 0
	s_mov_b64 s[6:7], -1
	s_branch .LBB304_1404
.LBB304_1403:
	s_mov_b64 s[0:1], -1
                                        ; implicit-def: $vgpr6_vgpr7
.LBB304_1404:
	s_mov_b64 s[20:21], 0
.LBB304_1405:
	s_and_b64 vcc, exec, s[20:21]
	s_cbranch_vccz .LBB304_1421
; %bb.1406:
	s_cmp_lt_i32 s24, 27
	s_cbranch_scc1 .LBB304_1409
; %bb.1407:
	s_cmp_gt_i32 s24, 27
	s_cbranch_scc0 .LBB304_1410
; %bb.1408:
	global_load_dword v6, v[8:9], off
	s_waitcnt vmcnt(1)
	v_mov_b32_e32 v7, 0
	s_mov_b64 s[6:7], 0
	s_branch .LBB304_1411
.LBB304_1409:
	s_mov_b64 s[6:7], -1
                                        ; implicit-def: $vgpr6_vgpr7
	s_branch .LBB304_1414
.LBB304_1410:
	s_mov_b64 s[6:7], -1
                                        ; implicit-def: $vgpr6_vgpr7
.LBB304_1411:
	s_andn2_b64 vcc, exec, s[6:7]
	s_cbranch_vccnz .LBB304_1413
; %bb.1412:
	global_load_ushort v6, v[8:9], off
	s_mov_b32 s6, 0
	s_waitcnt vmcnt(1)
	v_mov_b32_e32 v7, s6
	s_waitcnt vmcnt(0)
	v_and_b32_e32 v6, 0xffff, v6
.LBB304_1413:
	s_mov_b64 s[6:7], 0
.LBB304_1414:
	s_andn2_b64 vcc, exec, s[6:7]
	s_cbranch_vccnz .LBB304_1420
; %bb.1415:
	global_load_ubyte v11, v[8:9], off
	s_movk_i32 s6, 0x7f
	s_mov_b64 s[20:21], 0
	s_waitcnt vmcnt(0)
	v_cmp_lt_i16_e32 vcc, s6, v11
	s_and_saveexec_b64 s[6:7], vcc
	s_xor_b64 s[6:7], exec, s[6:7]
	s_cbranch_execz .LBB304_1432
; %bb.1416:
	s_movk_i32 s13, 0x80
	v_cmp_ne_u16_e32 vcc, s13, v11
	s_and_b64 s[20:21], vcc, exec
	s_andn2_saveexec_b64 s[6:7], s[6:7]
	s_cbranch_execnz .LBB304_1433
.LBB304_1417:
	s_or_b64 exec, exec, s[6:7]
	v_mov_b64_e32 v[6:7], 0
	s_and_saveexec_b64 s[6:7], s[20:21]
	s_cbranch_execz .LBB304_1419
.LBB304_1418:
	v_and_b32_e32 v7, 0xffff, v11
	v_lshlrev_b32_e32 v6, 24, v11
	v_and_b32_e32 v11, 7, v7
	v_ffbh_u32_e32 v13, v11
	v_min_u32_e32 v13, 32, v13
	v_subrev_u32_e32 v14, 28, v13
	v_bfe_u32 v12, v7, 3, 4
	v_lshlrev_b32_e32 v7, v14, v7
	v_sub_u32_e32 v13, 29, v13
	v_and_b32_e32 v7, 7, v7
	v_cmp_eq_u32_e32 vcc, 0, v12
	v_and_b32_e32 v6, 0x80000000, v6
	s_mov_b32 s13, 0x2f800000
	v_cndmask_b32_e32 v12, v12, v13, vcc
	v_cndmask_b32_e32 v7, v11, v7, vcc
	v_mov_b32_e32 v11, 0x3b800000
	v_lshlrev_b32_e32 v7, 20, v7
	v_lshl_add_u32 v11, v12, 23, v11
	v_or3_b32 v6, v6, v11, v7
	v_trunc_f32_e32 v6, v6
	v_mul_f32_e64 v7, |v6|, s13
	v_floor_f32_e32 v7, v7
	s_mov_b32 s13, 0xcf800000
	v_fma_f32 v11, v7, s13, |v6|
	v_cvt_u32_f32_e32 v11, v11
	v_cvt_u32_f32_e32 v7, v7
	v_ashrrev_i32_e32 v12, 31, v6
	v_xor_b32_e32 v6, v11, v12
	v_xor_b32_e32 v7, v7, v12
	v_sub_co_u32_e32 v6, vcc, v6, v12
	s_nop 1
	v_subb_co_u32_e32 v7, vcc, v7, v12, vcc
.LBB304_1419:
	s_or_b64 exec, exec, s[6:7]
.LBB304_1420:
	s_mov_b64 s[6:7], -1
.LBB304_1421:
	s_mov_b64 s[20:21], 0
.LBB304_1422:
	s_and_b64 vcc, exec, s[20:21]
	s_cbranch_vccz .LBB304_1453
; %bb.1423:
	s_cmp_gt_i32 s24, 22
	s_cbranch_scc0 .LBB304_1431
; %bb.1424:
	s_cmp_lt_i32 s24, 24
	s_cbranch_scc1 .LBB304_1434
; %bb.1425:
	s_cmp_gt_i32 s24, 24
	s_cbranch_scc0 .LBB304_1435
; %bb.1426:
	global_load_ubyte v11, v[8:9], off
	s_movk_i32 s2, 0x7f
	s_mov_b64 s[6:7], 0
	s_waitcnt vmcnt(0)
	v_cmp_lt_i16_e32 vcc, s2, v11
	s_and_saveexec_b64 s[2:3], vcc
	s_xor_b64 s[2:3], exec, s[2:3]
	s_cbranch_execz .LBB304_1447
; %bb.1427:
	s_movk_i32 s6, 0x80
	v_cmp_ne_u16_e32 vcc, s6, v11
	s_and_b64 s[6:7], vcc, exec
	s_andn2_saveexec_b64 s[2:3], s[2:3]
	s_cbranch_execnz .LBB304_1448
.LBB304_1428:
	s_or_b64 exec, exec, s[2:3]
	v_mov_b64_e32 v[6:7], 0
	s_and_saveexec_b64 s[2:3], s[6:7]
	s_cbranch_execz .LBB304_1430
.LBB304_1429:
	v_and_b32_e32 v7, 0xffff, v11
	v_lshlrev_b32_e32 v6, 24, v11
	v_and_b32_e32 v11, 3, v7
	v_ffbh_u32_e32 v13, v11
	v_min_u32_e32 v13, 32, v13
	v_subrev_u32_e32 v14, 29, v13
	v_bfe_u32 v12, v7, 2, 5
	v_lshlrev_b32_e32 v7, v14, v7
	v_sub_u32_e32 v13, 30, v13
	v_and_b32_e32 v7, 3, v7
	v_cmp_eq_u32_e32 vcc, 0, v12
	v_and_b32_e32 v6, 0x80000000, v6
	s_mov_b32 s6, 0x2f800000
	v_cndmask_b32_e32 v12, v12, v13, vcc
	v_cndmask_b32_e32 v7, v11, v7, vcc
	v_mov_b32_e32 v11, 0x37800000
	v_lshlrev_b32_e32 v7, 21, v7
	v_lshl_add_u32 v11, v12, 23, v11
	v_or3_b32 v6, v6, v11, v7
	v_trunc_f32_e32 v6, v6
	v_mul_f32_e64 v7, |v6|, s6
	v_floor_f32_e32 v7, v7
	s_mov_b32 s6, 0xcf800000
	v_fma_f32 v11, v7, s6, |v6|
	v_cvt_u32_f32_e32 v11, v11
	v_cvt_u32_f32_e32 v7, v7
	v_ashrrev_i32_e32 v12, 31, v6
	v_xor_b32_e32 v6, v11, v12
	v_xor_b32_e32 v7, v7, v12
	v_sub_co_u32_e32 v6, vcc, v6, v12
	s_nop 1
	v_subb_co_u32_e32 v7, vcc, v7, v12, vcc
.LBB304_1430:
	s_or_b64 exec, exec, s[2:3]
	s_mov_b64 s[2:3], 0
	s_branch .LBB304_1436
.LBB304_1431:
	s_mov_b64 s[2:3], -1
                                        ; implicit-def: $vgpr6_vgpr7
	s_branch .LBB304_1442
.LBB304_1432:
	s_andn2_saveexec_b64 s[6:7], s[6:7]
	s_cbranch_execz .LBB304_1417
.LBB304_1433:
	v_cmp_ne_u16_e32 vcc, 0, v11
	s_andn2_b64 s[20:21], s[20:21], exec
	s_and_b64 s[22:23], vcc, exec
	s_or_b64 s[20:21], s[20:21], s[22:23]
	s_or_b64 exec, exec, s[6:7]
	v_mov_b64_e32 v[6:7], 0
	s_and_saveexec_b64 s[6:7], s[20:21]
	s_cbranch_execnz .LBB304_1418
	s_branch .LBB304_1419
.LBB304_1434:
	s_mov_b64 s[2:3], -1
                                        ; implicit-def: $vgpr6_vgpr7
	s_branch .LBB304_1439
.LBB304_1435:
	s_mov_b64 s[2:3], -1
                                        ; implicit-def: $vgpr6_vgpr7
.LBB304_1436:
	s_and_b64 vcc, exec, s[2:3]
	s_cbranch_vccz .LBB304_1438
; %bb.1437:
	global_load_ubyte v6, v[8:9], off
	s_mov_b32 s2, 0x7f800000
	s_brev_b32 s3, 1
	s_mov_b32 s6, 0x2f800000
	s_mov_b32 s7, 0xcf800000
	s_waitcnt vmcnt(0)
	v_lshlrev_b32_e32 v6, 24, v6
	v_and_b32_e32 v7, 0x7f000000, v6
	v_ffbh_u32_e32 v11, v7
	v_min_u32_e32 v11, 32, v11
	v_sub_u32_e64 v11, v11, 4 clamp
	v_lshlrev_b32_e32 v13, v11, v7
	v_lshlrev_b32_e32 v11, 23, v11
	v_lshrrev_b32_e32 v13, 4, v13
	v_add_u32_e32 v12, 0x1000000, v7
	v_sub_u32_e32 v11, v13, v11
	v_ashrrev_i32_e32 v12, 8, v12
	v_add_u32_e32 v11, 0x3c000000, v11
	v_and_or_b32 v11, v12, s2, v11
	v_cmp_ne_u32_e32 vcc, 0, v7
	s_nop 1
	v_cndmask_b32_e32 v7, 0, v11, vcc
	v_and_or_b32 v6, v6, s3, v7
	v_trunc_f32_e32 v6, v6
	v_mul_f32_e64 v7, |v6|, s6
	v_floor_f32_e32 v7, v7
	v_fma_f32 v11, v7, s7, |v6|
	v_cvt_u32_f32_e32 v11, v11
	v_cvt_u32_f32_e32 v7, v7
	v_ashrrev_i32_e32 v12, 31, v6
	v_xor_b32_e32 v6, v11, v12
	v_xor_b32_e32 v7, v7, v12
	v_sub_co_u32_e32 v6, vcc, v6, v12
	s_nop 1
	v_subb_co_u32_e32 v7, vcc, v7, v12, vcc
.LBB304_1438:
	s_mov_b64 s[2:3], 0
.LBB304_1439:
	s_andn2_b64 vcc, exec, s[2:3]
	s_cbranch_vccnz .LBB304_1441
; %bb.1440:
	global_load_ubyte v6, v[8:9], off
	s_movk_i32 s2, 0x7f00
	s_brev_b32 s3, 16
	s_brev_b32 s6, 1
	s_mov_b32 s7, 0x2f800000
	s_mov_b32 s13, 0xcf800000
	s_waitcnt vmcnt(0)
	v_lshlrev_b16_e32 v7, 8, v6
	v_lshlrev_b32_e32 v6, 25, v6
	v_lshrrev_b32_e32 v11, 4, v6
	v_and_or_b32 v12, v7, s2, 0.5
	v_or_b32_e32 v11, 0x70000000, v11
	v_add_f32_e32 v12, -0.5, v12
	v_mul_f32_e32 v11, 0x7800000, v11
	v_cmp_gt_u32_e32 vcc, s3, v6
	v_bfe_i32 v7, v7, 0, 16
	s_nop 0
	v_cndmask_b32_e32 v6, v11, v12, vcc
	v_and_or_b32 v6, v7, s6, v6
	v_trunc_f32_e32 v6, v6
	v_mul_f32_e64 v7, |v6|, s7
	v_floor_f32_e32 v7, v7
	v_fma_f32 v11, v7, s13, |v6|
	v_cvt_u32_f32_e32 v11, v11
	v_cvt_u32_f32_e32 v7, v7
	v_ashrrev_i32_e32 v12, 31, v6
	v_xor_b32_e32 v6, v11, v12
	v_xor_b32_e32 v7, v7, v12
	v_sub_co_u32_e32 v6, vcc, v6, v12
	s_nop 1
	v_subb_co_u32_e32 v7, vcc, v7, v12, vcc
.LBB304_1441:
	s_mov_b64 s[2:3], 0
	s_mov_b64 s[6:7], -1
.LBB304_1442:
	s_andn2_b64 vcc, exec, s[2:3]
	s_mov_b64 s[2:3], 0
	s_cbranch_vccnz .LBB304_1453
; %bb.1443:
	s_cmp_gt_i32 s24, 14
	s_cbranch_scc0 .LBB304_1446
; %bb.1444:
	s_cmp_eq_u32 s24, 15
	s_cbranch_scc0 .LBB304_1449
; %bb.1445:
	global_load_ushort v6, v[8:9], off
	s_mov_b32 s0, 0x2f800000
	s_mov_b32 s1, 0xcf800000
	s_mov_b64 s[6:7], -1
	s_waitcnt vmcnt(0)
	v_lshlrev_b32_e32 v6, 16, v6
	v_trunc_f32_e32 v6, v6
	v_mul_f32_e64 v7, |v6|, s0
	v_floor_f32_e32 v7, v7
	v_fma_f32 v11, v7, s1, |v6|
	v_cvt_u32_f32_e32 v11, v11
	v_cvt_u32_f32_e32 v7, v7
	v_ashrrev_i32_e32 v12, 31, v6
	s_mov_b64 s[0:1], 0
	v_xor_b32_e32 v6, v11, v12
	v_xor_b32_e32 v7, v7, v12
	v_sub_co_u32_e32 v6, vcc, v6, v12
	s_nop 1
	v_subb_co_u32_e32 v7, vcc, v7, v12, vcc
	s_branch .LBB304_1450
.LBB304_1446:
	s_mov_b64 s[20:21], -1
                                        ; implicit-def: $vgpr6_vgpr7
	s_branch .LBB304_1451
.LBB304_1447:
	s_andn2_saveexec_b64 s[2:3], s[2:3]
	s_cbranch_execz .LBB304_1428
.LBB304_1448:
	v_cmp_ne_u16_e32 vcc, 0, v11
	s_andn2_b64 s[6:7], s[6:7], exec
	s_and_b64 s[20:21], vcc, exec
	s_or_b64 s[6:7], s[6:7], s[20:21]
	s_or_b64 exec, exec, s[2:3]
	v_mov_b64_e32 v[6:7], 0
	s_and_saveexec_b64 s[2:3], s[6:7]
	s_cbranch_execnz .LBB304_1429
	s_branch .LBB304_1430
.LBB304_1449:
	s_mov_b64 s[0:1], -1
                                        ; implicit-def: $vgpr6_vgpr7
.LBB304_1450:
	s_mov_b64 s[20:21], 0
.LBB304_1451:
	s_and_b64 vcc, exec, s[20:21]
	s_cbranch_vccz .LBB304_1453
; %bb.1452:
	s_cmp_lg_u32 s24, 11
	s_mov_b64 s[2:3], -1
	s_cselect_b64 s[0:1], -1, 0
.LBB304_1453:
	s_and_b64 vcc, exec, s[0:1]
	s_cbranch_vccnz .LBB304_1986
; %bb.1454:
	s_andn2_b64 vcc, exec, s[2:3]
	s_cbranch_vccnz .LBB304_1456
.LBB304_1455:
	global_load_ubyte v6, v[8:9], off
	s_mov_b32 s0, 0
	s_waitcnt vmcnt(1)
	v_mov_b32_e32 v7, s0
	s_mov_b64 s[6:7], -1
	s_waitcnt vmcnt(0)
	v_cmp_ne_u16_e32 vcc, 0, v6
	s_nop 1
	v_cndmask_b32_e64 v6, 0, 1, vcc
.LBB304_1456:
	s_mov_b64 s[0:1], 0
.LBB304_1457:
	s_and_b64 vcc, exec, s[0:1]
	s_cbranch_vccz .LBB304_1506
; %bb.1458:
	s_cmp_lt_i32 s24, 5
	s_cbranch_scc1 .LBB304_1463
; %bb.1459:
	s_cmp_lt_i32 s24, 8
	s_cbranch_scc1 .LBB304_1464
	;; [unrolled: 3-line block ×3, first 2 shown]
; %bb.1461:
	s_cmp_gt_i32 s24, 9
	s_cbranch_scc0 .LBB304_1466
; %bb.1462:
	global_load_dwordx2 v[6:7], v[8:9], off
	s_movk_i32 s0, 0xffe0
	s_waitcnt vmcnt(0)
	v_trunc_f64_e32 v[12:13], v[6:7]
	v_ldexp_f64 v[6:7], v[12:13], s0
	v_floor_f64_e32 v[14:15], v[6:7]
	v_fmac_f64_e32 v[12:13], 0xc1f00000, v[14:15]
	v_cvt_i32_f64_e32 v7, v[14:15]
	v_cvt_u32_f64_e32 v6, v[12:13]
	s_mov_b64 s[0:1], 0
	s_branch .LBB304_1467
.LBB304_1463:
	s_mov_b64 s[0:1], -1
                                        ; implicit-def: $vgpr6_vgpr7
	s_branch .LBB304_1485
.LBB304_1464:
	s_mov_b64 s[0:1], -1
                                        ; implicit-def: $vgpr6_vgpr7
	s_branch .LBB304_1473
.LBB304_1465:
	s_mov_b64 s[0:1], -1
                                        ; implicit-def: $vgpr6_vgpr7
	s_branch .LBB304_1470
.LBB304_1466:
	s_mov_b64 s[0:1], -1
                                        ; implicit-def: $vgpr6_vgpr7
.LBB304_1467:
	s_andn2_b64 vcc, exec, s[0:1]
	s_cbranch_vccnz .LBB304_1469
; %bb.1468:
	global_load_dword v6, v[8:9], off
	s_mov_b32 s0, 0x2f800000
	s_mov_b32 s1, 0xcf800000
	s_waitcnt vmcnt(0)
	v_trunc_f32_e32 v6, v6
	v_mul_f32_e64 v7, |v6|, s0
	v_floor_f32_e32 v7, v7
	v_cvt_u32_f32_e32 v11, v7
	v_fma_f32 v7, v7, s1, |v6|
	v_cvt_u32_f32_e32 v7, v7
	v_ashrrev_i32_e32 v12, 31, v6
	v_xor_b32_e32 v11, v11, v12
	v_xor_b32_e32 v6, v7, v12
	v_sub_co_u32_e32 v6, vcc, v6, v12
	s_nop 1
	v_subb_co_u32_e32 v7, vcc, v11, v12, vcc
.LBB304_1469:
	s_mov_b64 s[0:1], 0
.LBB304_1470:
	s_andn2_b64 vcc, exec, s[0:1]
	s_cbranch_vccnz .LBB304_1472
; %bb.1471:
	global_load_dword v6, v[8:9], off
	s_waitcnt vmcnt(0)
	v_cvt_f32_f16_e32 v6, v6
	v_cvt_i32_f32_e32 v6, v6
	v_ashrrev_i32_e32 v7, 31, v6
.LBB304_1472:
	s_mov_b64 s[0:1], 0
.LBB304_1473:
	s_andn2_b64 vcc, exec, s[0:1]
	s_cbranch_vccnz .LBB304_1484
; %bb.1474:
	s_cmp_lt_i32 s24, 6
	s_cbranch_scc1 .LBB304_1477
; %bb.1475:
	s_cmp_gt_i32 s24, 6
	s_cbranch_scc0 .LBB304_1478
; %bb.1476:
	global_load_dwordx2 v[6:7], v[8:9], off
	s_movk_i32 s0, 0xffe0
	s_waitcnt vmcnt(0)
	v_trunc_f64_e32 v[12:13], v[6:7]
	v_ldexp_f64 v[6:7], v[12:13], s0
	v_floor_f64_e32 v[14:15], v[6:7]
	v_fmac_f64_e32 v[12:13], 0xc1f00000, v[14:15]
	v_cvt_i32_f64_e32 v7, v[14:15]
	v_cvt_u32_f64_e32 v6, v[12:13]
	s_mov_b64 s[0:1], 0
	s_branch .LBB304_1479
.LBB304_1477:
	s_mov_b64 s[0:1], -1
                                        ; implicit-def: $vgpr6_vgpr7
	s_branch .LBB304_1482
.LBB304_1478:
	s_mov_b64 s[0:1], -1
                                        ; implicit-def: $vgpr6_vgpr7
.LBB304_1479:
	s_andn2_b64 vcc, exec, s[0:1]
	s_cbranch_vccnz .LBB304_1481
; %bb.1480:
	global_load_dword v6, v[8:9], off
	s_mov_b32 s0, 0x2f800000
	s_mov_b32 s1, 0xcf800000
	s_waitcnt vmcnt(0)
	v_trunc_f32_e32 v6, v6
	v_mul_f32_e64 v7, |v6|, s0
	v_floor_f32_e32 v7, v7
	v_cvt_u32_f32_e32 v11, v7
	v_fma_f32 v7, v7, s1, |v6|
	v_cvt_u32_f32_e32 v7, v7
	v_ashrrev_i32_e32 v12, 31, v6
	v_xor_b32_e32 v11, v11, v12
	v_xor_b32_e32 v6, v7, v12
	v_sub_co_u32_e32 v6, vcc, v6, v12
	s_nop 1
	v_subb_co_u32_e32 v7, vcc, v11, v12, vcc
.LBB304_1481:
	s_mov_b64 s[0:1], 0
.LBB304_1482:
	s_andn2_b64 vcc, exec, s[0:1]
	s_cbranch_vccnz .LBB304_1484
; %bb.1483:
	global_load_ushort v6, v[8:9], off
	s_waitcnt vmcnt(0)
	v_cvt_f32_f16_e32 v6, v6
	v_cvt_i32_f32_e32 v6, v6
	v_ashrrev_i32_e32 v7, 31, v6
.LBB304_1484:
	s_mov_b64 s[0:1], 0
.LBB304_1485:
	s_andn2_b64 vcc, exec, s[0:1]
	s_cbranch_vccnz .LBB304_1505
; %bb.1486:
	s_cmp_lt_i32 s24, 2
	s_cbranch_scc1 .LBB304_1490
; %bb.1487:
	s_cmp_lt_i32 s24, 3
	s_cbranch_scc1 .LBB304_1491
; %bb.1488:
	s_cmp_gt_i32 s24, 3
	s_cbranch_scc0 .LBB304_1492
; %bb.1489:
	global_load_dwordx2 v[6:7], v[8:9], off
	s_mov_b64 s[0:1], 0
	s_branch .LBB304_1493
.LBB304_1490:
	s_mov_b64 s[0:1], -1
                                        ; implicit-def: $vgpr6_vgpr7
	s_branch .LBB304_1499
.LBB304_1491:
	s_mov_b64 s[0:1], -1
                                        ; implicit-def: $vgpr6_vgpr7
	s_branch .LBB304_1496
.LBB304_1492:
	s_mov_b64 s[0:1], -1
                                        ; implicit-def: $vgpr6_vgpr7
.LBB304_1493:
	s_andn2_b64 vcc, exec, s[0:1]
	s_cbranch_vccnz .LBB304_1495
; %bb.1494:
	global_load_dword v6, v[8:9], off
	s_waitcnt vmcnt(0)
	v_ashrrev_i32_e32 v7, 31, v6
.LBB304_1495:
	s_mov_b64 s[0:1], 0
.LBB304_1496:
	s_andn2_b64 vcc, exec, s[0:1]
	s_cbranch_vccnz .LBB304_1498
; %bb.1497:
	global_load_ushort v6, v[8:9], off
	s_waitcnt vmcnt(0)
	v_bfe_i32 v6, v6, 0, 16
	v_ashrrev_i32_e32 v7, 31, v6
.LBB304_1498:
	s_mov_b64 s[0:1], 0
.LBB304_1499:
	s_andn2_b64 vcc, exec, s[0:1]
	s_cbranch_vccnz .LBB304_1505
; %bb.1500:
	s_cmp_gt_i32 s24, 0
	s_cbranch_scc0 .LBB304_1502
; %bb.1501:
	global_load_sbyte v6, v[8:9], off
	s_mov_b64 s[0:1], 0
	s_waitcnt vmcnt(0)
	v_bfe_i32 v6, v6, 0, 16
	v_ashrrev_i32_e32 v7, 31, v6
	s_branch .LBB304_1503
.LBB304_1502:
	s_mov_b64 s[0:1], -1
                                        ; implicit-def: $vgpr6_vgpr7
.LBB304_1503:
	s_andn2_b64 vcc, exec, s[0:1]
	s_cbranch_vccnz .LBB304_1505
; %bb.1504:
	global_load_ubyte v6, v[8:9], off
	s_mov_b32 s0, 0
	s_waitcnt vmcnt(1)
	v_mov_b32_e32 v7, s0
	s_waitcnt vmcnt(0)
	v_and_b32_e32 v6, 0xffff, v6
.LBB304_1505:
	s_mov_b64 s[6:7], -1
.LBB304_1506:
	s_andn2_b64 vcc, exec, s[6:7]
	s_cbranch_vccnz .LBB304_1940
; %bb.1507:
	v_mov_b32_e32 v8, s9
	s_waitcnt vmcnt(0)
	v_cmp_lt_i64_e32 vcc, s[8:9], v[0:1]
	s_and_b32 s24, s33, 0xff
	s_cmp_lt_i32 s24, 11
	v_cndmask_b32_e32 v1, v8, v1, vcc
	v_mov_b32_e32 v8, s8
	v_cndmask_b32_e32 v0, v8, v0, vcc
	v_mov_b32_e32 v8, s11
	v_cmp_gt_i64_e32 vcc, s[10:11], v[0:1]
	s_nop 1
	v_cndmask_b32_e32 v9, v8, v1, vcc
	v_mov_b32_e32 v1, s10
	v_cndmask_b32_e32 v8, v1, v0, vcc
	v_mul_lo_u32 v0, s12, v10
	v_ashrrev_i32_e32 v1, 31, v0
	v_lshl_add_u64 v[10:11], s[4:5], 0, v[0:1]
	s_cbranch_scc1 .LBB304_1585
; %bb.1508:
	s_and_b32 s13, 0xffff, s24
	s_mov_b64 s[20:21], -1
	s_mov_b64 s[2:3], 0
	s_cmp_gt_i32 s13, 25
	s_mov_b64 s[6:7], 0
	s_mov_b64 s[0:1], 0
	s_cbranch_scc0 .LBB304_1541
; %bb.1509:
	s_cmp_gt_i32 s13, 28
	s_cbranch_scc0 .LBB304_1524
; %bb.1510:
	s_cmp_gt_i32 s13, 43
	s_cbranch_scc0 .LBB304_1520
; %bb.1511:
	s_cmp_gt_i32 s13, 45
	s_cbranch_scc0 .LBB304_1514
; %bb.1512:
	s_mov_b64 s[0:1], -1
	s_mov_b64 s[20:21], 0
	s_cmp_eq_u32 s13, 46
	s_cbranch_scc0 .LBB304_1514
; %bb.1513:
	v_xor_b32_e32 v12, v8, v9
	v_ffbh_i32_e32 v1, v9
	v_ashrrev_i32_e32 v12, 31, v12
	v_add_u32_e32 v1, -1, v1
	v_add_u32_e32 v12, 32, v12
	v_min_u32_e32 v1, v1, v12
	v_lshlrev_b64 v[12:13], v1, v[8:9]
	v_min_u32_e32 v12, 1, v12
	v_or_b32_e32 v12, v13, v12
	v_cvt_f32_i32_e32 v12, v12
	v_sub_u32_e32 v1, 32, v1
	s_movk_i32 s0, 0x7fff
	s_mov_b64 s[6:7], -1
	v_ldexp_f32 v1, v12, v1
	v_bfe_u32 v12, v1, 16, 1
	v_add3_u32 v1, v1, v12, s0
	v_lshrrev_b32_e32 v1, 16, v1
	global_store_dword v[10:11], v1, off
	s_mov_b64 s[0:1], 0
.LBB304_1514:
	s_and_b64 vcc, exec, s[20:21]
	s_cbranch_vccz .LBB304_1519
; %bb.1515:
	s_cmp_eq_u32 s13, 44
	s_mov_b64 s[0:1], -1
	s_cbranch_scc0 .LBB304_1519
; %bb.1516:
	v_xor_b32_e32 v12, v8, v9
	v_ffbh_i32_e32 v1, v9
	v_ashrrev_i32_e32 v12, 31, v12
	v_add_u32_e32 v1, -1, v1
	v_add_u32_e32 v12, 32, v12
	v_min_u32_e32 v1, v1, v12
	v_lshlrev_b64 v[12:13], v1, v[8:9]
	v_min_u32_e32 v12, 1, v12
	v_or_b32_e32 v12, v13, v12
	v_cvt_f32_i32_e32 v12, v12
	v_sub_u32_e32 v1, 32, v1
	s_movk_i32 s0, 0xff
	v_mov_b32_e32 v13, 0xff
	v_ldexp_f32 v1, v12, v1
	v_bfe_u32 v12, v1, 23, 8
	v_cmp_ne_u32_e32 vcc, s0, v12
	s_and_saveexec_b64 s[6:7], vcc
; %bb.1517:
	s_mov_b32 s0, 0x3fffff
	v_lshrrev_b32_e32 v13, 23, v1
	v_and_b32_e32 v14, 0x400000, v1
	v_and_or_b32 v1, v1, s0, v12
	v_cmp_ne_u32_e32 vcc, 0, v14
	v_cmp_ne_u32_e64 s[0:1], 0, v1
	s_and_b64 s[0:1], vcc, s[0:1]
	s_nop 0
	v_cndmask_b32_e64 v1, 0, 1, s[0:1]
	v_add_u32_e32 v13, v13, v1
; %bb.1518:
	s_or_b64 exec, exec, s[6:7]
	s_mov_b64 s[0:1], 0
	s_mov_b64 s[6:7], -1
	global_store_byte v[10:11], v13, off
.LBB304_1519:
	s_mov_b64 s[20:21], 0
.LBB304_1520:
	s_and_b64 vcc, exec, s[20:21]
	s_cbranch_vccz .LBB304_1523
; %bb.1521:
	s_cmp_eq_u32 s13, 29
	s_mov_b64 s[0:1], -1
	s_cbranch_scc0 .LBB304_1523
; %bb.1522:
	global_store_dwordx2 v[10:11], v[8:9], off
	s_mov_b64 s[0:1], 0
	s_mov_b64 s[6:7], -1
.LBB304_1523:
	s_mov_b64 s[20:21], 0
.LBB304_1524:
	s_and_b64 vcc, exec, s[20:21]
	s_cbranch_vccz .LBB304_1540
; %bb.1525:
	s_cmp_lt_i32 s13, 27
	s_mov_b64 s[6:7], -1
	s_cbranch_scc1 .LBB304_1531
; %bb.1526:
	s_cmp_gt_i32 s13, 27
	s_cbranch_scc0 .LBB304_1528
; %bb.1527:
	s_mov_b64 s[6:7], 0
	global_store_dword v[10:11], v8, off
.LBB304_1528:
	s_andn2_b64 vcc, exec, s[6:7]
	s_cbranch_vccnz .LBB304_1530
; %bb.1529:
	global_store_short v[10:11], v8, off
.LBB304_1530:
	s_mov_b64 s[6:7], 0
.LBB304_1531:
	s_andn2_b64 vcc, exec, s[6:7]
	s_cbranch_vccnz .LBB304_1539
; %bb.1532:
	v_xor_b32_e32 v12, v8, v9
	v_ffbh_i32_e32 v1, v9
	v_ashrrev_i32_e32 v12, 31, v12
	v_add_u32_e32 v1, -1, v1
	v_add_u32_e32 v12, 32, v12
	v_min_u32_e32 v1, v1, v12
	v_lshlrev_b64 v[12:13], v1, v[8:9]
	v_min_u32_e32 v12, 1, v12
	v_or_b32_e32 v12, v13, v12
	v_cvt_f32_i32_e32 v12, v12
	v_sub_u32_e32 v1, 32, v1
	s_mov_b32 s6, 0x43800000
	v_mov_b32_e32 v13, 0x80
	v_ldexp_f32 v1, v12, v1
	v_and_b32_e32 v12, 0x7fffffff, v1
	v_cmp_gt_u32_e32 vcc, s6, v12
	s_and_saveexec_b64 s[6:7], vcc
	s_cbranch_execz .LBB304_1538
; %bb.1533:
	s_mov_b32 s20, 0x3bffffff
	v_cmp_lt_u32_e32 vcc, s20, v12
	s_mov_b64 s[20:21], 0
                                        ; implicit-def: $vgpr12
	s_and_saveexec_b64 s[22:23], vcc
	s_xor_b64 s[22:23], exec, s[22:23]
	s_cbranch_execz .LBB304_1987
; %bb.1534:
	v_bfe_u32 v12, v1, 20, 1
	s_mov_b32 s25, 0x487ffff
	v_add3_u32 v12, v1, v12, s25
	s_mov_b64 s[20:21], exec
	v_lshrrev_b32_e32 v12, 20, v12
	s_andn2_saveexec_b64 s[22:23], s[22:23]
	s_cbranch_execnz .LBB304_1988
.LBB304_1535:
	s_or_b64 exec, exec, s[22:23]
	v_mov_b32_e32 v13, 0
	s_and_saveexec_b64 s[22:23], s[20:21]
.LBB304_1536:
	v_lshrrev_b32_e32 v1, 24, v1
	s_movk_i32 s20, 0x80
	v_and_or_b32 v13, v1, s20, v12
.LBB304_1537:
	s_or_b64 exec, exec, s[22:23]
.LBB304_1538:
	s_or_b64 exec, exec, s[6:7]
	global_store_byte v[10:11], v13, off
.LBB304_1539:
	s_mov_b64 s[6:7], -1
.LBB304_1540:
	s_mov_b64 s[20:21], 0
.LBB304_1541:
	s_and_b64 vcc, exec, s[20:21]
	s_cbranch_vccz .LBB304_1581
; %bb.1542:
	s_cmp_gt_i32 s13, 22
	s_mov_b64 s[2:3], -1
	s_cbranch_scc0 .LBB304_1574
; %bb.1543:
	s_cmp_lt_i32 s13, 24
	s_cbranch_scc1 .LBB304_1563
; %bb.1544:
	s_cmp_gt_i32 s13, 24
	s_cbranch_scc0 .LBB304_1552
; %bb.1545:
	v_xor_b32_e32 v12, v8, v9
	v_ffbh_i32_e32 v1, v9
	v_ashrrev_i32_e32 v12, 31, v12
	v_add_u32_e32 v1, -1, v1
	v_add_u32_e32 v12, 32, v12
	v_min_u32_e32 v1, v1, v12
	v_lshlrev_b64 v[12:13], v1, v[8:9]
	v_min_u32_e32 v12, 1, v12
	v_or_b32_e32 v12, v13, v12
	v_cvt_f32_i32_e32 v12, v12
	v_sub_u32_e32 v1, 32, v1
	s_mov_b32 s2, 0x47800000
	v_mov_b32_e32 v13, 0x80
	v_ldexp_f32 v1, v12, v1
	v_and_b32_e32 v12, 0x7fffffff, v1
	v_cmp_gt_u32_e32 vcc, s2, v12
	s_and_saveexec_b64 s[2:3], vcc
	s_cbranch_execz .LBB304_1551
; %bb.1546:
	s_mov_b32 s6, 0x37ffffff
	v_cmp_lt_u32_e32 vcc, s6, v12
	s_mov_b64 s[6:7], 0
                                        ; implicit-def: $vgpr12
	s_and_saveexec_b64 s[20:21], vcc
	s_xor_b64 s[20:21], exec, s[20:21]
	s_cbranch_execz .LBB304_1990
; %bb.1547:
	v_bfe_u32 v12, v1, 21, 1
	s_mov_b32 s22, 0x88fffff
	v_add3_u32 v12, v1, v12, s22
	s_mov_b64 s[6:7], exec
	v_lshrrev_b32_e32 v12, 21, v12
	s_andn2_saveexec_b64 s[20:21], s[20:21]
	s_cbranch_execnz .LBB304_1991
.LBB304_1548:
	s_or_b64 exec, exec, s[20:21]
	v_mov_b32_e32 v13, 0
	s_and_saveexec_b64 s[20:21], s[6:7]
.LBB304_1549:
	v_lshrrev_b32_e32 v1, 24, v1
	s_movk_i32 s6, 0x80
	v_and_or_b32 v13, v1, s6, v12
.LBB304_1550:
	s_or_b64 exec, exec, s[20:21]
.LBB304_1551:
	s_or_b64 exec, exec, s[2:3]
	s_mov_b64 s[2:3], 0
	global_store_byte v[10:11], v13, off
.LBB304_1552:
	s_and_b64 vcc, exec, s[2:3]
	s_cbranch_vccz .LBB304_1562
; %bb.1553:
	v_xor_b32_e32 v12, v8, v9
	v_ffbh_i32_e32 v1, v9
	v_ashrrev_i32_e32 v12, 31, v12
	v_add_u32_e32 v1, -1, v1
	v_add_u32_e32 v12, 32, v12
	v_min_u32_e32 v1, v1, v12
	v_lshlrev_b64 v[12:13], v1, v[8:9]
	v_min_u32_e32 v12, 1, v12
	v_or_b32_e32 v12, v13, v12
	v_cvt_f32_i32_e32 v12, v12
	v_sub_u32_e32 v1, 32, v1
	s_mov_b32 s2, 0x43f00000
	v_ldexp_f32 v1, v12, v1
	v_and_b32_e32 v13, 0x7fffffff, v1
	v_cmp_gt_u32_e32 vcc, s2, v13
                                        ; implicit-def: $vgpr12
	s_and_saveexec_b64 s[2:3], vcc
	s_xor_b64 s[2:3], exec, s[2:3]
	s_cbranch_execz .LBB304_1559
; %bb.1554:
	s_mov_b32 s6, 0x3c7fffff
	v_cmp_lt_u32_e32 vcc, s6, v13
                                        ; implicit-def: $vgpr12
	s_and_saveexec_b64 s[6:7], vcc
	s_xor_b64 s[6:7], exec, s[6:7]
; %bb.1555:
	v_bfe_u32 v12, v1, 20, 1
	s_mov_b32 s20, 0x407ffff
	v_add3_u32 v12, v1, v12, s20
	v_lshrrev_b32_e32 v13, 20, v12
	v_and_b32_e32 v12, 0xff00000, v12
	s_mov_b32 s20, 0x7f00000
	v_mov_b32_e32 v14, 0x7e
	v_cmp_ne_u32_e32 vcc, s20, v12
	s_nop 1
	v_cndmask_b32_e32 v12, v14, v13, vcc
; %bb.1556:
	s_andn2_saveexec_b64 s[6:7], s[6:7]
; %bb.1557:
	s_mov_b32 s20, 0x46800000
	v_add_f32_e64 v12, |v1|, s20
; %bb.1558:
	s_or_b64 exec, exec, s[6:7]
                                        ; implicit-def: $vgpr13
.LBB304_1559:
	s_andn2_saveexec_b64 s[2:3], s[2:3]
; %bb.1560:
	s_mov_b32 s6, 0x7f800000
	v_mov_b32_e32 v12, 0x7e
	v_mov_b32_e32 v14, 0x7f
	v_cmp_lt_u32_e32 vcc, s6, v13
	s_nop 1
	v_cndmask_b32_e32 v12, v12, v14, vcc
; %bb.1561:
	s_or_b64 exec, exec, s[2:3]
	v_lshrrev_b32_e32 v1, 24, v1
	s_movk_i32 s2, 0x80
	v_and_or_b32 v1, v1, s2, v12
	global_store_byte v[10:11], v1, off
.LBB304_1562:
	s_mov_b64 s[2:3], 0
.LBB304_1563:
	s_andn2_b64 vcc, exec, s[2:3]
	s_cbranch_vccnz .LBB304_1573
; %bb.1564:
	v_xor_b32_e32 v12, v8, v9
	v_ffbh_i32_e32 v1, v9
	v_ashrrev_i32_e32 v12, 31, v12
	v_add_u32_e32 v1, -1, v1
	v_add_u32_e32 v12, 32, v12
	v_min_u32_e32 v1, v1, v12
	v_lshlrev_b64 v[12:13], v1, v[8:9]
	v_min_u32_e32 v12, 1, v12
	v_or_b32_e32 v12, v13, v12
	v_cvt_f32_i32_e32 v12, v12
	v_sub_u32_e32 v1, 32, v1
	s_mov_b32 s2, 0x47800000
	v_ldexp_f32 v1, v12, v1
	v_and_b32_e32 v13, 0x7fffffff, v1
	v_cmp_gt_u32_e32 vcc, s2, v13
                                        ; implicit-def: $vgpr12
	s_and_saveexec_b64 s[2:3], vcc
	s_xor_b64 s[2:3], exec, s[2:3]
	s_cbranch_execz .LBB304_1570
; %bb.1565:
	s_mov_b32 s6, 0x387fffff
	v_cmp_lt_u32_e32 vcc, s6, v13
                                        ; implicit-def: $vgpr12
	s_and_saveexec_b64 s[6:7], vcc
	s_xor_b64 s[6:7], exec, s[6:7]
; %bb.1566:
	v_bfe_u32 v12, v1, 21, 1
	s_mov_b32 s20, 0x80fffff
	v_add3_u32 v12, v1, v12, s20
	v_lshrrev_b32_e32 v12, 21, v12
; %bb.1567:
	s_andn2_saveexec_b64 s[6:7], s[6:7]
; %bb.1568:
	s_mov_b32 s20, 0x43000000
	v_add_f32_e64 v12, |v1|, s20
; %bb.1569:
	s_or_b64 exec, exec, s[6:7]
                                        ; implicit-def: $vgpr13
.LBB304_1570:
	s_andn2_saveexec_b64 s[2:3], s[2:3]
; %bb.1571:
	s_mov_b32 s6, 0x7f800000
	v_mov_b32_e32 v12, 0x7c
	v_mov_b32_e32 v14, 0x7f
	v_cmp_lt_u32_e32 vcc, s6, v13
	s_nop 1
	v_cndmask_b32_e32 v12, v12, v14, vcc
; %bb.1572:
	s_or_b64 exec, exec, s[2:3]
	v_lshrrev_b32_e32 v1, 24, v1
	s_movk_i32 s2, 0x80
	v_and_or_b32 v1, v1, s2, v12
	global_store_byte v[10:11], v1, off
.LBB304_1573:
	s_mov_b64 s[2:3], 0
	s_mov_b64 s[6:7], -1
.LBB304_1574:
	s_andn2_b64 vcc, exec, s[2:3]
	s_mov_b64 s[2:3], 0
	s_cbranch_vccnz .LBB304_1581
; %bb.1575:
	s_cmp_gt_i32 s13, 14
	s_mov_b64 s[20:21], -1
	s_cbranch_scc0 .LBB304_1579
; %bb.1576:
	s_cmp_eq_u32 s13, 15
	s_mov_b64 s[0:1], -1
	s_cbranch_scc0 .LBB304_1578
; %bb.1577:
	v_xor_b32_e32 v12, v8, v9
	v_ffbh_i32_e32 v1, v9
	v_ashrrev_i32_e32 v12, 31, v12
	v_add_u32_e32 v1, -1, v1
	v_add_u32_e32 v12, 32, v12
	v_min_u32_e32 v1, v1, v12
	v_lshlrev_b64 v[12:13], v1, v[8:9]
	v_min_u32_e32 v12, 1, v12
	v_or_b32_e32 v12, v13, v12
	v_cvt_f32_i32_e32 v12, v12
	v_sub_u32_e32 v1, 32, v1
	s_movk_i32 s0, 0x7fff
	s_mov_b64 s[6:7], -1
	v_ldexp_f32 v1, v12, v1
	v_bfe_u32 v12, v1, 16, 1
	v_add3_u32 v1, v1, v12, s0
	global_store_short_d16_hi v[10:11], v1, off
	s_mov_b64 s[0:1], 0
.LBB304_1578:
	s_mov_b64 s[20:21], 0
.LBB304_1579:
	s_and_b64 vcc, exec, s[20:21]
	s_cbranch_vccz .LBB304_1581
; %bb.1580:
	s_cmp_lg_u32 s13, 11
	s_mov_b64 s[2:3], -1
	s_cselect_b64 s[0:1], -1, 0
.LBB304_1581:
	s_and_b64 vcc, exec, s[0:1]
	s_cbranch_vccnz .LBB304_1989
; %bb.1582:
	s_andn2_b64 vcc, exec, s[2:3]
	s_cbranch_vccnz .LBB304_1584
.LBB304_1583:
	v_cmp_ne_u64_e32 vcc, 0, v[8:9]
	s_mov_b64 s[6:7], -1
	s_nop 0
	v_cndmask_b32_e64 v1, 0, 1, vcc
	global_store_byte v[10:11], v1, off
.LBB304_1584:
	s_mov_b64 s[0:1], 0
	s_branch .LBB304_1586
.LBB304_1585:
	s_mov_b64 s[0:1], -1
	s_mov_b64 s[6:7], 0
.LBB304_1586:
	s_and_b64 vcc, exec, s[0:1]
	s_cbranch_vccz .LBB304_1625
; %bb.1587:
	s_and_b32 s2, 0xffff, s24
	s_cmp_lt_i32 s2, 5
	s_mov_b64 s[0:1], -1
	s_cbranch_scc1 .LBB304_1608
; %bb.1588:
	s_cmp_lt_i32 s2, 8
	s_cbranch_scc1 .LBB304_1598
; %bb.1589:
	s_cmp_lt_i32 s2, 9
	s_cbranch_scc1 .LBB304_1595
; %bb.1590:
	s_cmp_gt_i32 s2, 9
	s_cbranch_scc0 .LBB304_1592
; %bb.1591:
	v_cvt_f64_i32_e32 v[12:13], v9
	v_ldexp_f64 v[12:13], v[12:13], 32
	v_cvt_f64_u32_e32 v[14:15], v8
	v_add_f64 v[12:13], v[12:13], v[14:15]
	v_mov_b32_e32 v14, 0
	v_mov_b32_e32 v15, v14
	global_store_dwordx4 v[10:11], v[12:15], off
	s_mov_b64 s[0:1], 0
.LBB304_1592:
	s_andn2_b64 vcc, exec, s[0:1]
	s_cbranch_vccnz .LBB304_1594
; %bb.1593:
	v_xor_b32_e32 v12, v8, v9
	v_ffbh_i32_e32 v1, v9
	v_ashrrev_i32_e32 v12, 31, v12
	v_add_u32_e32 v1, -1, v1
	v_add_u32_e32 v12, 32, v12
	v_min_u32_e32 v1, v1, v12
	v_lshlrev_b64 v[12:13], v1, v[8:9]
	v_min_u32_e32 v12, 1, v12
	v_or_b32_e32 v12, v13, v12
	v_cvt_f32_i32_e32 v12, v12
	v_sub_u32_e32 v1, 32, v1
	v_mov_b32_e32 v13, 0
	v_ldexp_f32 v12, v12, v1
	global_store_dwordx2 v[10:11], v[12:13], off
.LBB304_1594:
	s_mov_b64 s[0:1], 0
.LBB304_1595:
	s_andn2_b64 vcc, exec, s[0:1]
	s_cbranch_vccnz .LBB304_1597
; %bb.1596:
	v_xor_b32_e32 v12, v8, v9
	v_ffbh_i32_e32 v1, v9
	v_ashrrev_i32_e32 v12, 31, v12
	v_add_u32_e32 v1, -1, v1
	v_add_u32_e32 v12, 32, v12
	v_min_u32_e32 v1, v1, v12
	v_lshlrev_b64 v[12:13], v1, v[8:9]
	v_min_u32_e32 v12, 1, v12
	v_or_b32_e32 v12, v13, v12
	v_cvt_f32_i32_e32 v12, v12
	v_sub_u32_e32 v1, 32, v1
	v_ldexp_f32 v1, v12, v1
	v_cvt_f16_f32_e32 v1, v1
	global_store_dword v[10:11], v1, off
.LBB304_1597:
	s_mov_b64 s[0:1], 0
.LBB304_1598:
	s_andn2_b64 vcc, exec, s[0:1]
	s_cbranch_vccnz .LBB304_1607
; %bb.1599:
	s_cmp_lt_i32 s2, 6
	s_mov_b64 s[0:1], -1
	s_cbranch_scc1 .LBB304_1605
; %bb.1600:
	s_cmp_gt_i32 s2, 6
	s_cbranch_scc0 .LBB304_1602
; %bb.1601:
	v_cvt_f64_i32_e32 v[12:13], v9
	v_ldexp_f64 v[12:13], v[12:13], 32
	v_cvt_f64_u32_e32 v[14:15], v8
	v_add_f64 v[12:13], v[12:13], v[14:15]
	global_store_dwordx2 v[10:11], v[12:13], off
	s_mov_b64 s[0:1], 0
.LBB304_1602:
	s_andn2_b64 vcc, exec, s[0:1]
	s_cbranch_vccnz .LBB304_1604
; %bb.1603:
	v_xor_b32_e32 v12, v8, v9
	v_ffbh_i32_e32 v1, v9
	v_ashrrev_i32_e32 v12, 31, v12
	v_add_u32_e32 v1, -1, v1
	v_add_u32_e32 v12, 32, v12
	v_min_u32_e32 v1, v1, v12
	v_lshlrev_b64 v[12:13], v1, v[8:9]
	v_min_u32_e32 v12, 1, v12
	v_or_b32_e32 v12, v13, v12
	v_cvt_f32_i32_e32 v12, v12
	v_sub_u32_e32 v1, 32, v1
	v_ldexp_f32 v1, v12, v1
	global_store_dword v[10:11], v1, off
.LBB304_1604:
	s_mov_b64 s[0:1], 0
.LBB304_1605:
	s_andn2_b64 vcc, exec, s[0:1]
	s_cbranch_vccnz .LBB304_1607
; %bb.1606:
	v_xor_b32_e32 v12, v8, v9
	v_ffbh_i32_e32 v1, v9
	v_ashrrev_i32_e32 v12, 31, v12
	v_add_u32_e32 v1, -1, v1
	v_add_u32_e32 v12, 32, v12
	v_min_u32_e32 v1, v1, v12
	v_lshlrev_b64 v[12:13], v1, v[8:9]
	v_min_u32_e32 v12, 1, v12
	v_or_b32_e32 v12, v13, v12
	v_cvt_f32_i32_e32 v12, v12
	v_sub_u32_e32 v1, 32, v1
	v_ldexp_f32 v1, v12, v1
	v_cvt_f16_f32_e32 v1, v1
	global_store_short v[10:11], v1, off
.LBB304_1607:
	s_mov_b64 s[0:1], 0
.LBB304_1608:
	s_andn2_b64 vcc, exec, s[0:1]
	s_cbranch_vccnz .LBB304_1624
; %bb.1609:
	s_cmp_lt_i32 s2, 2
	s_mov_b64 s[0:1], -1
	s_cbranch_scc1 .LBB304_1619
; %bb.1610:
	s_cmp_lt_i32 s2, 3
	s_cbranch_scc1 .LBB304_1616
; %bb.1611:
	s_cmp_gt_i32 s2, 3
	s_cbranch_scc0 .LBB304_1613
; %bb.1612:
	global_store_dwordx2 v[10:11], v[8:9], off
	s_mov_b64 s[0:1], 0
.LBB304_1613:
	s_andn2_b64 vcc, exec, s[0:1]
	s_cbranch_vccnz .LBB304_1615
; %bb.1614:
	global_store_dword v[10:11], v8, off
.LBB304_1615:
	s_mov_b64 s[0:1], 0
.LBB304_1616:
	s_andn2_b64 vcc, exec, s[0:1]
	s_cbranch_vccnz .LBB304_1618
; %bb.1617:
	global_store_short v[10:11], v8, off
.LBB304_1618:
	s_mov_b64 s[0:1], 0
.LBB304_1619:
	s_andn2_b64 vcc, exec, s[0:1]
	s_cbranch_vccnz .LBB304_1624
; %bb.1620:
	s_cmp_gt_i32 s2, 0
	s_mov_b64 s[0:1], -1
	s_cbranch_scc0 .LBB304_1622
; %bb.1621:
	global_store_byte v[10:11], v8, off
	s_mov_b64 s[0:1], 0
.LBB304_1622:
	s_andn2_b64 vcc, exec, s[0:1]
	s_cbranch_vccnz .LBB304_1624
; %bb.1623:
	global_store_byte v[10:11], v8, off
.LBB304_1624:
	s_mov_b64 s[6:7], -1
.LBB304_1625:
	s_andn2_b64 vcc, exec, s[6:7]
	s_cbranch_vccnz .LBB304_1940
; %bb.1626:
	v_mov_b32_e32 v1, s9
	v_cmp_lt_i64_e32 vcc, s[8:9], v[2:3]
	s_lshl_b32 s22, s12, 7
	v_add_u32_e32 v0, s22, v0
	v_cndmask_b32_e32 v3, v1, v3, vcc
	v_mov_b32_e32 v1, s8
	v_cndmask_b32_e32 v2, v1, v2, vcc
	v_mov_b32_e32 v1, s11
	v_cmp_gt_i64_e32 vcc, s[10:11], v[2:3]
	s_cmp_lt_i32 s24, 11
	s_nop 0
	v_cndmask_b32_e32 v3, v1, v3, vcc
	v_mov_b32_e32 v1, s10
	v_cndmask_b32_e32 v2, v1, v2, vcc
	v_ashrrev_i32_e32 v1, 31, v0
	v_lshl_add_u64 v[8:9], s[4:5], 0, v[0:1]
	s_cbranch_scc1 .LBB304_1704
; %bb.1627:
	s_and_b32 s23, 0xffff, s24
	s_mov_b64 s[12:13], -1
	s_mov_b64 s[2:3], 0
	s_cmp_gt_i32 s23, 25
	s_mov_b64 s[6:7], 0
	s_mov_b64 s[0:1], 0
	s_cbranch_scc0 .LBB304_1660
; %bb.1628:
	s_cmp_gt_i32 s23, 28
	s_cbranch_scc0 .LBB304_1643
; %bb.1629:
	s_cmp_gt_i32 s23, 43
	s_cbranch_scc0 .LBB304_1639
; %bb.1630:
	s_cmp_gt_i32 s23, 45
	s_cbranch_scc0 .LBB304_1633
; %bb.1631:
	s_mov_b64 s[0:1], -1
	s_mov_b64 s[12:13], 0
	s_cmp_eq_u32 s23, 46
	s_cbranch_scc0 .LBB304_1633
; %bb.1632:
	v_xor_b32_e32 v10, v2, v3
	v_ffbh_i32_e32 v1, v3
	v_ashrrev_i32_e32 v10, 31, v10
	v_add_u32_e32 v1, -1, v1
	v_add_u32_e32 v10, 32, v10
	v_min_u32_e32 v1, v1, v10
	v_lshlrev_b64 v[10:11], v1, v[2:3]
	v_min_u32_e32 v10, 1, v10
	v_or_b32_e32 v10, v11, v10
	v_cvt_f32_i32_e32 v10, v10
	v_sub_u32_e32 v1, 32, v1
	s_movk_i32 s0, 0x7fff
	s_mov_b64 s[6:7], -1
	v_ldexp_f32 v1, v10, v1
	v_bfe_u32 v10, v1, 16, 1
	v_add3_u32 v1, v1, v10, s0
	v_lshrrev_b32_e32 v1, 16, v1
	global_store_dword v[8:9], v1, off
	s_mov_b64 s[0:1], 0
.LBB304_1633:
	s_and_b64 vcc, exec, s[12:13]
	s_cbranch_vccz .LBB304_1638
; %bb.1634:
	s_cmp_eq_u32 s23, 44
	s_mov_b64 s[0:1], -1
	s_cbranch_scc0 .LBB304_1638
; %bb.1635:
	v_xor_b32_e32 v10, v2, v3
	v_ffbh_i32_e32 v1, v3
	v_ashrrev_i32_e32 v10, 31, v10
	v_add_u32_e32 v1, -1, v1
	v_add_u32_e32 v10, 32, v10
	v_min_u32_e32 v1, v1, v10
	v_lshlrev_b64 v[10:11], v1, v[2:3]
	v_min_u32_e32 v10, 1, v10
	v_or_b32_e32 v10, v11, v10
	v_cvt_f32_i32_e32 v10, v10
	v_sub_u32_e32 v1, 32, v1
	s_movk_i32 s0, 0xff
	v_mov_b32_e32 v11, 0xff
	v_ldexp_f32 v1, v10, v1
	v_bfe_u32 v10, v1, 23, 8
	v_cmp_ne_u32_e32 vcc, s0, v10
	s_and_saveexec_b64 s[6:7], vcc
; %bb.1636:
	s_mov_b32 s0, 0x3fffff
	v_lshrrev_b32_e32 v11, 23, v1
	v_and_b32_e32 v12, 0x400000, v1
	v_and_or_b32 v1, v1, s0, v10
	v_cmp_ne_u32_e32 vcc, 0, v12
	v_cmp_ne_u32_e64 s[0:1], 0, v1
	s_and_b64 s[0:1], vcc, s[0:1]
	s_nop 0
	v_cndmask_b32_e64 v1, 0, 1, s[0:1]
	v_add_u32_e32 v11, v11, v1
; %bb.1637:
	s_or_b64 exec, exec, s[6:7]
	s_mov_b64 s[0:1], 0
	s_mov_b64 s[6:7], -1
	global_store_byte v[8:9], v11, off
.LBB304_1638:
	s_mov_b64 s[12:13], 0
.LBB304_1639:
	s_and_b64 vcc, exec, s[12:13]
	s_cbranch_vccz .LBB304_1642
; %bb.1640:
	s_cmp_eq_u32 s23, 29
	s_mov_b64 s[0:1], -1
	s_cbranch_scc0 .LBB304_1642
; %bb.1641:
	global_store_dwordx2 v[8:9], v[2:3], off
	s_mov_b64 s[0:1], 0
	s_mov_b64 s[6:7], -1
.LBB304_1642:
	s_mov_b64 s[12:13], 0
.LBB304_1643:
	s_and_b64 vcc, exec, s[12:13]
	s_cbranch_vccz .LBB304_1659
; %bb.1644:
	s_cmp_lt_i32 s23, 27
	s_mov_b64 s[6:7], -1
	s_cbranch_scc1 .LBB304_1650
; %bb.1645:
	s_cmp_gt_i32 s23, 27
	s_cbranch_scc0 .LBB304_1647
; %bb.1646:
	s_mov_b64 s[6:7], 0
	global_store_dword v[8:9], v2, off
.LBB304_1647:
	s_andn2_b64 vcc, exec, s[6:7]
	s_cbranch_vccnz .LBB304_1649
; %bb.1648:
	global_store_short v[8:9], v2, off
.LBB304_1649:
	s_mov_b64 s[6:7], 0
.LBB304_1650:
	s_andn2_b64 vcc, exec, s[6:7]
	s_cbranch_vccnz .LBB304_1658
; %bb.1651:
	v_xor_b32_e32 v10, v2, v3
	v_ffbh_i32_e32 v1, v3
	v_ashrrev_i32_e32 v10, 31, v10
	v_add_u32_e32 v1, -1, v1
	v_add_u32_e32 v10, 32, v10
	v_min_u32_e32 v1, v1, v10
	v_lshlrev_b64 v[10:11], v1, v[2:3]
	v_min_u32_e32 v10, 1, v10
	v_or_b32_e32 v10, v11, v10
	v_cvt_f32_i32_e32 v10, v10
	v_sub_u32_e32 v1, 32, v1
	s_mov_b32 s6, 0x43800000
	v_mov_b32_e32 v11, 0x80
	v_ldexp_f32 v1, v10, v1
	v_and_b32_e32 v10, 0x7fffffff, v1
	v_cmp_gt_u32_e32 vcc, s6, v10
	s_and_saveexec_b64 s[6:7], vcc
	s_cbranch_execz .LBB304_1657
; %bb.1652:
	s_mov_b32 s12, 0x3bffffff
	v_cmp_lt_u32_e32 vcc, s12, v10
	s_mov_b64 s[12:13], 0
                                        ; implicit-def: $vgpr10
	s_and_saveexec_b64 s[20:21], vcc
	s_xor_b64 s[20:21], exec, s[20:21]
	s_cbranch_execz .LBB304_1992
; %bb.1653:
	v_bfe_u32 v10, v1, 20, 1
	s_mov_b32 s25, 0x487ffff
	v_add3_u32 v10, v1, v10, s25
	s_mov_b64 s[12:13], exec
	v_lshrrev_b32_e32 v10, 20, v10
	s_andn2_saveexec_b64 s[20:21], s[20:21]
	s_cbranch_execnz .LBB304_1993
.LBB304_1654:
	s_or_b64 exec, exec, s[20:21]
	v_mov_b32_e32 v11, 0
	s_and_saveexec_b64 s[20:21], s[12:13]
.LBB304_1655:
	v_lshrrev_b32_e32 v1, 24, v1
	s_movk_i32 s12, 0x80
	v_and_or_b32 v11, v1, s12, v10
.LBB304_1656:
	s_or_b64 exec, exec, s[20:21]
.LBB304_1657:
	s_or_b64 exec, exec, s[6:7]
	global_store_byte v[8:9], v11, off
.LBB304_1658:
	s_mov_b64 s[6:7], -1
.LBB304_1659:
	s_mov_b64 s[12:13], 0
.LBB304_1660:
	s_and_b64 vcc, exec, s[12:13]
	s_cbranch_vccz .LBB304_1700
; %bb.1661:
	s_cmp_gt_i32 s23, 22
	s_mov_b64 s[2:3], -1
	s_cbranch_scc0 .LBB304_1693
; %bb.1662:
	s_cmp_lt_i32 s23, 24
	s_cbranch_scc1 .LBB304_1682
; %bb.1663:
	s_cmp_gt_i32 s23, 24
	s_cbranch_scc0 .LBB304_1671
; %bb.1664:
	v_xor_b32_e32 v10, v2, v3
	v_ffbh_i32_e32 v1, v3
	v_ashrrev_i32_e32 v10, 31, v10
	v_add_u32_e32 v1, -1, v1
	v_add_u32_e32 v10, 32, v10
	v_min_u32_e32 v1, v1, v10
	v_lshlrev_b64 v[10:11], v1, v[2:3]
	v_min_u32_e32 v10, 1, v10
	v_or_b32_e32 v10, v11, v10
	v_cvt_f32_i32_e32 v10, v10
	v_sub_u32_e32 v1, 32, v1
	s_mov_b32 s2, 0x47800000
	v_mov_b32_e32 v11, 0x80
	v_ldexp_f32 v1, v10, v1
	v_and_b32_e32 v10, 0x7fffffff, v1
	v_cmp_gt_u32_e32 vcc, s2, v10
	s_and_saveexec_b64 s[2:3], vcc
	s_cbranch_execz .LBB304_1670
; %bb.1665:
	s_mov_b32 s6, 0x37ffffff
	v_cmp_lt_u32_e32 vcc, s6, v10
	s_mov_b64 s[6:7], 0
                                        ; implicit-def: $vgpr10
	s_and_saveexec_b64 s[12:13], vcc
	s_xor_b64 s[12:13], exec, s[12:13]
	s_cbranch_execz .LBB304_1995
; %bb.1666:
	v_bfe_u32 v10, v1, 21, 1
	s_mov_b32 s20, 0x88fffff
	v_add3_u32 v10, v1, v10, s20
	s_mov_b64 s[6:7], exec
	v_lshrrev_b32_e32 v10, 21, v10
	s_andn2_saveexec_b64 s[12:13], s[12:13]
	s_cbranch_execnz .LBB304_1996
.LBB304_1667:
	s_or_b64 exec, exec, s[12:13]
	v_mov_b32_e32 v11, 0
	s_and_saveexec_b64 s[12:13], s[6:7]
.LBB304_1668:
	v_lshrrev_b32_e32 v1, 24, v1
	s_movk_i32 s6, 0x80
	v_and_or_b32 v11, v1, s6, v10
.LBB304_1669:
	s_or_b64 exec, exec, s[12:13]
.LBB304_1670:
	s_or_b64 exec, exec, s[2:3]
	s_mov_b64 s[2:3], 0
	global_store_byte v[8:9], v11, off
.LBB304_1671:
	s_and_b64 vcc, exec, s[2:3]
	s_cbranch_vccz .LBB304_1681
; %bb.1672:
	v_xor_b32_e32 v10, v2, v3
	v_ffbh_i32_e32 v1, v3
	v_ashrrev_i32_e32 v10, 31, v10
	v_add_u32_e32 v1, -1, v1
	v_add_u32_e32 v10, 32, v10
	v_min_u32_e32 v1, v1, v10
	v_lshlrev_b64 v[10:11], v1, v[2:3]
	v_min_u32_e32 v10, 1, v10
	v_or_b32_e32 v10, v11, v10
	v_cvt_f32_i32_e32 v10, v10
	v_sub_u32_e32 v1, 32, v1
	s_mov_b32 s2, 0x43f00000
	v_ldexp_f32 v1, v10, v1
	v_and_b32_e32 v11, 0x7fffffff, v1
	v_cmp_gt_u32_e32 vcc, s2, v11
                                        ; implicit-def: $vgpr10
	s_and_saveexec_b64 s[2:3], vcc
	s_xor_b64 s[2:3], exec, s[2:3]
	s_cbranch_execz .LBB304_1678
; %bb.1673:
	s_mov_b32 s6, 0x3c7fffff
	v_cmp_lt_u32_e32 vcc, s6, v11
                                        ; implicit-def: $vgpr10
	s_and_saveexec_b64 s[6:7], vcc
	s_xor_b64 s[6:7], exec, s[6:7]
; %bb.1674:
	v_bfe_u32 v10, v1, 20, 1
	s_mov_b32 s12, 0x407ffff
	v_add3_u32 v10, v1, v10, s12
	v_lshrrev_b32_e32 v11, 20, v10
	v_and_b32_e32 v10, 0xff00000, v10
	s_mov_b32 s12, 0x7f00000
	v_mov_b32_e32 v12, 0x7e
	v_cmp_ne_u32_e32 vcc, s12, v10
	s_nop 1
	v_cndmask_b32_e32 v10, v12, v11, vcc
; %bb.1675:
	s_andn2_saveexec_b64 s[6:7], s[6:7]
; %bb.1676:
	s_mov_b32 s12, 0x46800000
	v_add_f32_e64 v10, |v1|, s12
; %bb.1677:
	s_or_b64 exec, exec, s[6:7]
                                        ; implicit-def: $vgpr11
.LBB304_1678:
	s_andn2_saveexec_b64 s[2:3], s[2:3]
; %bb.1679:
	s_mov_b32 s6, 0x7f800000
	v_mov_b32_e32 v10, 0x7e
	v_mov_b32_e32 v12, 0x7f
	v_cmp_lt_u32_e32 vcc, s6, v11
	s_nop 1
	v_cndmask_b32_e32 v10, v10, v12, vcc
; %bb.1680:
	s_or_b64 exec, exec, s[2:3]
	v_lshrrev_b32_e32 v1, 24, v1
	s_movk_i32 s2, 0x80
	v_and_or_b32 v1, v1, s2, v10
	global_store_byte v[8:9], v1, off
.LBB304_1681:
	s_mov_b64 s[2:3], 0
.LBB304_1682:
	s_andn2_b64 vcc, exec, s[2:3]
	s_cbranch_vccnz .LBB304_1692
; %bb.1683:
	v_xor_b32_e32 v10, v2, v3
	v_ffbh_i32_e32 v1, v3
	v_ashrrev_i32_e32 v10, 31, v10
	v_add_u32_e32 v1, -1, v1
	v_add_u32_e32 v10, 32, v10
	v_min_u32_e32 v1, v1, v10
	v_lshlrev_b64 v[10:11], v1, v[2:3]
	v_min_u32_e32 v10, 1, v10
	v_or_b32_e32 v10, v11, v10
	v_cvt_f32_i32_e32 v10, v10
	v_sub_u32_e32 v1, 32, v1
	s_mov_b32 s2, 0x47800000
	v_ldexp_f32 v1, v10, v1
	v_and_b32_e32 v11, 0x7fffffff, v1
	v_cmp_gt_u32_e32 vcc, s2, v11
                                        ; implicit-def: $vgpr10
	s_and_saveexec_b64 s[2:3], vcc
	s_xor_b64 s[2:3], exec, s[2:3]
	s_cbranch_execz .LBB304_1689
; %bb.1684:
	s_mov_b32 s6, 0x387fffff
	v_cmp_lt_u32_e32 vcc, s6, v11
                                        ; implicit-def: $vgpr10
	s_and_saveexec_b64 s[6:7], vcc
	s_xor_b64 s[6:7], exec, s[6:7]
; %bb.1685:
	v_bfe_u32 v10, v1, 21, 1
	s_mov_b32 s12, 0x80fffff
	v_add3_u32 v10, v1, v10, s12
	v_lshrrev_b32_e32 v10, 21, v10
; %bb.1686:
	s_andn2_saveexec_b64 s[6:7], s[6:7]
; %bb.1687:
	s_mov_b32 s12, 0x43000000
	v_add_f32_e64 v10, |v1|, s12
; %bb.1688:
	s_or_b64 exec, exec, s[6:7]
                                        ; implicit-def: $vgpr11
.LBB304_1689:
	s_andn2_saveexec_b64 s[2:3], s[2:3]
; %bb.1690:
	s_mov_b32 s6, 0x7f800000
	v_mov_b32_e32 v10, 0x7c
	v_mov_b32_e32 v12, 0x7f
	v_cmp_lt_u32_e32 vcc, s6, v11
	s_nop 1
	v_cndmask_b32_e32 v10, v10, v12, vcc
; %bb.1691:
	s_or_b64 exec, exec, s[2:3]
	v_lshrrev_b32_e32 v1, 24, v1
	s_movk_i32 s2, 0x80
	v_and_or_b32 v1, v1, s2, v10
	global_store_byte v[8:9], v1, off
.LBB304_1692:
	s_mov_b64 s[2:3], 0
	s_mov_b64 s[6:7], -1
.LBB304_1693:
	s_andn2_b64 vcc, exec, s[2:3]
	s_mov_b64 s[2:3], 0
	s_cbranch_vccnz .LBB304_1700
; %bb.1694:
	s_cmp_gt_i32 s23, 14
	s_mov_b64 s[12:13], -1
	s_cbranch_scc0 .LBB304_1698
; %bb.1695:
	s_cmp_eq_u32 s23, 15
	s_mov_b64 s[0:1], -1
	s_cbranch_scc0 .LBB304_1697
; %bb.1696:
	v_xor_b32_e32 v10, v2, v3
	v_ffbh_i32_e32 v1, v3
	v_ashrrev_i32_e32 v10, 31, v10
	v_add_u32_e32 v1, -1, v1
	v_add_u32_e32 v10, 32, v10
	v_min_u32_e32 v1, v1, v10
	v_lshlrev_b64 v[10:11], v1, v[2:3]
	v_min_u32_e32 v10, 1, v10
	v_or_b32_e32 v10, v11, v10
	v_cvt_f32_i32_e32 v10, v10
	v_sub_u32_e32 v1, 32, v1
	s_movk_i32 s0, 0x7fff
	s_mov_b64 s[6:7], -1
	v_ldexp_f32 v1, v10, v1
	v_bfe_u32 v10, v1, 16, 1
	v_add3_u32 v1, v1, v10, s0
	global_store_short_d16_hi v[8:9], v1, off
	s_mov_b64 s[0:1], 0
.LBB304_1697:
	s_mov_b64 s[12:13], 0
.LBB304_1698:
	s_and_b64 vcc, exec, s[12:13]
	s_cbranch_vccz .LBB304_1700
; %bb.1699:
	s_cmp_lg_u32 s23, 11
	s_mov_b64 s[2:3], -1
	s_cselect_b64 s[0:1], -1, 0
.LBB304_1700:
	s_and_b64 vcc, exec, s[0:1]
	s_cbranch_vccnz .LBB304_1994
; %bb.1701:
	s_andn2_b64 vcc, exec, s[2:3]
	s_cbranch_vccnz .LBB304_1703
.LBB304_1702:
	v_cmp_ne_u64_e32 vcc, 0, v[2:3]
	s_mov_b64 s[6:7], -1
	s_nop 0
	v_cndmask_b32_e64 v1, 0, 1, vcc
	global_store_byte v[8:9], v1, off
.LBB304_1703:
	s_mov_b64 s[0:1], 0
	s_branch .LBB304_1705
.LBB304_1704:
	s_mov_b64 s[0:1], -1
	s_mov_b64 s[6:7], 0
.LBB304_1705:
	s_and_b64 vcc, exec, s[0:1]
	s_cbranch_vccz .LBB304_1744
; %bb.1706:
	s_and_b32 s2, 0xffff, s24
	s_cmp_lt_i32 s2, 5
	s_mov_b64 s[0:1], -1
	s_cbranch_scc1 .LBB304_1727
; %bb.1707:
	s_cmp_lt_i32 s2, 8
	s_cbranch_scc1 .LBB304_1717
; %bb.1708:
	s_cmp_lt_i32 s2, 9
	s_cbranch_scc1 .LBB304_1714
; %bb.1709:
	s_cmp_gt_i32 s2, 9
	s_cbranch_scc0 .LBB304_1711
; %bb.1710:
	v_cvt_f64_i32_e32 v[10:11], v3
	v_ldexp_f64 v[10:11], v[10:11], 32
	v_cvt_f64_u32_e32 v[12:13], v2
	v_add_f64 v[10:11], v[10:11], v[12:13]
	v_mov_b32_e32 v12, 0
	v_mov_b32_e32 v13, v12
	global_store_dwordx4 v[8:9], v[10:13], off
	s_mov_b64 s[0:1], 0
.LBB304_1711:
	s_andn2_b64 vcc, exec, s[0:1]
	s_cbranch_vccnz .LBB304_1713
; %bb.1712:
	v_xor_b32_e32 v10, v2, v3
	v_ffbh_i32_e32 v1, v3
	v_ashrrev_i32_e32 v10, 31, v10
	v_add_u32_e32 v1, -1, v1
	v_add_u32_e32 v10, 32, v10
	v_min_u32_e32 v1, v1, v10
	v_lshlrev_b64 v[10:11], v1, v[2:3]
	v_min_u32_e32 v10, 1, v10
	v_or_b32_e32 v10, v11, v10
	v_cvt_f32_i32_e32 v10, v10
	v_sub_u32_e32 v1, 32, v1
	v_mov_b32_e32 v11, 0
	v_ldexp_f32 v10, v10, v1
	global_store_dwordx2 v[8:9], v[10:11], off
.LBB304_1713:
	s_mov_b64 s[0:1], 0
.LBB304_1714:
	s_andn2_b64 vcc, exec, s[0:1]
	s_cbranch_vccnz .LBB304_1716
; %bb.1715:
	v_xor_b32_e32 v10, v2, v3
	v_ffbh_i32_e32 v1, v3
	v_ashrrev_i32_e32 v10, 31, v10
	v_add_u32_e32 v1, -1, v1
	v_add_u32_e32 v10, 32, v10
	v_min_u32_e32 v1, v1, v10
	v_lshlrev_b64 v[10:11], v1, v[2:3]
	v_min_u32_e32 v10, 1, v10
	v_or_b32_e32 v10, v11, v10
	v_cvt_f32_i32_e32 v10, v10
	v_sub_u32_e32 v1, 32, v1
	v_ldexp_f32 v1, v10, v1
	v_cvt_f16_f32_e32 v1, v1
	global_store_dword v[8:9], v1, off
.LBB304_1716:
	s_mov_b64 s[0:1], 0
.LBB304_1717:
	s_andn2_b64 vcc, exec, s[0:1]
	s_cbranch_vccnz .LBB304_1726
; %bb.1718:
	s_cmp_lt_i32 s2, 6
	s_mov_b64 s[0:1], -1
	s_cbranch_scc1 .LBB304_1724
; %bb.1719:
	s_cmp_gt_i32 s2, 6
	s_cbranch_scc0 .LBB304_1721
; %bb.1720:
	v_cvt_f64_i32_e32 v[10:11], v3
	v_ldexp_f64 v[10:11], v[10:11], 32
	v_cvt_f64_u32_e32 v[12:13], v2
	v_add_f64 v[10:11], v[10:11], v[12:13]
	global_store_dwordx2 v[8:9], v[10:11], off
	s_mov_b64 s[0:1], 0
.LBB304_1721:
	s_andn2_b64 vcc, exec, s[0:1]
	s_cbranch_vccnz .LBB304_1723
; %bb.1722:
	v_xor_b32_e32 v10, v2, v3
	v_ffbh_i32_e32 v1, v3
	v_ashrrev_i32_e32 v10, 31, v10
	v_add_u32_e32 v1, -1, v1
	v_add_u32_e32 v10, 32, v10
	v_min_u32_e32 v1, v1, v10
	v_lshlrev_b64 v[10:11], v1, v[2:3]
	v_min_u32_e32 v10, 1, v10
	v_or_b32_e32 v10, v11, v10
	v_cvt_f32_i32_e32 v10, v10
	v_sub_u32_e32 v1, 32, v1
	v_ldexp_f32 v1, v10, v1
	global_store_dword v[8:9], v1, off
.LBB304_1723:
	s_mov_b64 s[0:1], 0
.LBB304_1724:
	s_andn2_b64 vcc, exec, s[0:1]
	s_cbranch_vccnz .LBB304_1726
; %bb.1725:
	v_xor_b32_e32 v10, v2, v3
	v_ffbh_i32_e32 v1, v3
	v_ashrrev_i32_e32 v10, 31, v10
	v_add_u32_e32 v1, -1, v1
	v_add_u32_e32 v10, 32, v10
	v_min_u32_e32 v1, v1, v10
	v_lshlrev_b64 v[10:11], v1, v[2:3]
	v_min_u32_e32 v10, 1, v10
	v_or_b32_e32 v10, v11, v10
	v_cvt_f32_i32_e32 v10, v10
	v_sub_u32_e32 v1, 32, v1
	v_ldexp_f32 v1, v10, v1
	v_cvt_f16_f32_e32 v1, v1
	global_store_short v[8:9], v1, off
.LBB304_1726:
	s_mov_b64 s[0:1], 0
.LBB304_1727:
	s_andn2_b64 vcc, exec, s[0:1]
	s_cbranch_vccnz .LBB304_1743
; %bb.1728:
	s_cmp_lt_i32 s2, 2
	s_mov_b64 s[0:1], -1
	s_cbranch_scc1 .LBB304_1738
; %bb.1729:
	s_cmp_lt_i32 s2, 3
	s_cbranch_scc1 .LBB304_1735
; %bb.1730:
	s_cmp_gt_i32 s2, 3
	s_cbranch_scc0 .LBB304_1732
; %bb.1731:
	global_store_dwordx2 v[8:9], v[2:3], off
	s_mov_b64 s[0:1], 0
.LBB304_1732:
	s_andn2_b64 vcc, exec, s[0:1]
	s_cbranch_vccnz .LBB304_1734
; %bb.1733:
	global_store_dword v[8:9], v2, off
.LBB304_1734:
	s_mov_b64 s[0:1], 0
.LBB304_1735:
	s_andn2_b64 vcc, exec, s[0:1]
	s_cbranch_vccnz .LBB304_1737
; %bb.1736:
	global_store_short v[8:9], v2, off
.LBB304_1737:
	s_mov_b64 s[0:1], 0
.LBB304_1738:
	s_andn2_b64 vcc, exec, s[0:1]
	s_cbranch_vccnz .LBB304_1743
; %bb.1739:
	s_cmp_gt_i32 s2, 0
	s_mov_b64 s[0:1], -1
	s_cbranch_scc0 .LBB304_1741
; %bb.1740:
	global_store_byte v[8:9], v2, off
	s_mov_b64 s[0:1], 0
.LBB304_1741:
	s_andn2_b64 vcc, exec, s[0:1]
	s_cbranch_vccnz .LBB304_1743
; %bb.1742:
	global_store_byte v[8:9], v2, off
.LBB304_1743:
	s_mov_b64 s[6:7], -1
.LBB304_1744:
	s_andn2_b64 vcc, exec, s[6:7]
	s_cbranch_vccnz .LBB304_1940
; %bb.1745:
	v_mov_b32_e32 v1, s9
	v_cmp_lt_i64_e32 vcc, s[8:9], v[4:5]
	s_cmp_lt_i32 s24, 11
	s_nop 0
	v_cndmask_b32_e32 v3, v1, v5, vcc
	v_mov_b32_e32 v1, s8
	v_cndmask_b32_e32 v2, v1, v4, vcc
	v_mov_b32_e32 v1, s11
	v_cmp_gt_i64_e32 vcc, s[10:11], v[2:3]
	s_nop 1
	v_cndmask_b32_e32 v5, v1, v3, vcc
	v_mov_b32_e32 v1, s10
	v_cndmask_b32_e32 v4, v1, v2, vcc
	v_add_u32_e32 v2, s22, v0
	v_ashrrev_i32_e32 v3, 31, v2
	v_lshl_add_u64 v[0:1], s[4:5], 0, v[2:3]
	s_cbranch_scc1 .LBB304_1823
; %bb.1746:
	s_and_b32 s23, 0xffff, s24
	s_mov_b64 s[12:13], -1
	s_mov_b64 s[2:3], 0
	s_cmp_gt_i32 s23, 25
	s_mov_b64 s[6:7], 0
	s_mov_b64 s[0:1], 0
	s_cbranch_scc0 .LBB304_1779
; %bb.1747:
	s_cmp_gt_i32 s23, 28
	s_cbranch_scc0 .LBB304_1762
; %bb.1748:
	s_cmp_gt_i32 s23, 43
	;; [unrolled: 3-line block ×3, first 2 shown]
	s_cbranch_scc0 .LBB304_1752
; %bb.1750:
	s_mov_b64 s[0:1], -1
	s_mov_b64 s[12:13], 0
	s_cmp_eq_u32 s23, 46
	s_cbranch_scc0 .LBB304_1752
; %bb.1751:
	v_xor_b32_e32 v8, v4, v5
	v_ffbh_i32_e32 v3, v5
	v_ashrrev_i32_e32 v8, 31, v8
	v_add_u32_e32 v3, -1, v3
	v_add_u32_e32 v8, 32, v8
	v_min_u32_e32 v3, v3, v8
	v_lshlrev_b64 v[8:9], v3, v[4:5]
	v_min_u32_e32 v8, 1, v8
	v_or_b32_e32 v8, v9, v8
	v_cvt_f32_i32_e32 v8, v8
	v_sub_u32_e32 v3, 32, v3
	s_movk_i32 s0, 0x7fff
	s_mov_b64 s[6:7], -1
	v_ldexp_f32 v3, v8, v3
	v_bfe_u32 v8, v3, 16, 1
	v_add3_u32 v3, v3, v8, s0
	v_lshrrev_b32_e32 v3, 16, v3
	global_store_dword v[0:1], v3, off
	s_mov_b64 s[0:1], 0
.LBB304_1752:
	s_and_b64 vcc, exec, s[12:13]
	s_cbranch_vccz .LBB304_1757
; %bb.1753:
	s_cmp_eq_u32 s23, 44
	s_mov_b64 s[0:1], -1
	s_cbranch_scc0 .LBB304_1757
; %bb.1754:
	v_xor_b32_e32 v8, v4, v5
	v_ffbh_i32_e32 v3, v5
	v_ashrrev_i32_e32 v8, 31, v8
	v_add_u32_e32 v3, -1, v3
	v_add_u32_e32 v8, 32, v8
	v_min_u32_e32 v3, v3, v8
	v_lshlrev_b64 v[8:9], v3, v[4:5]
	v_min_u32_e32 v8, 1, v8
	v_or_b32_e32 v8, v9, v8
	v_cvt_f32_i32_e32 v8, v8
	v_sub_u32_e32 v3, 32, v3
	s_movk_i32 s0, 0xff
	v_mov_b32_e32 v9, 0xff
	v_ldexp_f32 v3, v8, v3
	v_bfe_u32 v8, v3, 23, 8
	v_cmp_ne_u32_e32 vcc, s0, v8
	s_and_saveexec_b64 s[6:7], vcc
; %bb.1755:
	s_mov_b32 s0, 0x3fffff
	v_lshrrev_b32_e32 v9, 23, v3
	v_and_b32_e32 v10, 0x400000, v3
	v_and_or_b32 v3, v3, s0, v8
	v_cmp_ne_u32_e32 vcc, 0, v10
	v_cmp_ne_u32_e64 s[0:1], 0, v3
	s_and_b64 s[0:1], vcc, s[0:1]
	s_nop 0
	v_cndmask_b32_e64 v3, 0, 1, s[0:1]
	v_add_u32_e32 v9, v9, v3
; %bb.1756:
	s_or_b64 exec, exec, s[6:7]
	s_mov_b64 s[0:1], 0
	s_mov_b64 s[6:7], -1
	global_store_byte v[0:1], v9, off
.LBB304_1757:
	s_mov_b64 s[12:13], 0
.LBB304_1758:
	s_and_b64 vcc, exec, s[12:13]
	s_cbranch_vccz .LBB304_1761
; %bb.1759:
	s_cmp_eq_u32 s23, 29
	s_mov_b64 s[0:1], -1
	s_cbranch_scc0 .LBB304_1761
; %bb.1760:
	global_store_dwordx2 v[0:1], v[4:5], off
	s_mov_b64 s[0:1], 0
	s_mov_b64 s[6:7], -1
.LBB304_1761:
	s_mov_b64 s[12:13], 0
.LBB304_1762:
	s_and_b64 vcc, exec, s[12:13]
	s_cbranch_vccz .LBB304_1778
; %bb.1763:
	s_cmp_lt_i32 s23, 27
	s_mov_b64 s[6:7], -1
	s_cbranch_scc1 .LBB304_1769
; %bb.1764:
	s_cmp_gt_i32 s23, 27
	s_cbranch_scc0 .LBB304_1766
; %bb.1765:
	s_mov_b64 s[6:7], 0
	global_store_dword v[0:1], v4, off
.LBB304_1766:
	s_andn2_b64 vcc, exec, s[6:7]
	s_cbranch_vccnz .LBB304_1768
; %bb.1767:
	global_store_short v[0:1], v4, off
.LBB304_1768:
	s_mov_b64 s[6:7], 0
.LBB304_1769:
	s_andn2_b64 vcc, exec, s[6:7]
	s_cbranch_vccnz .LBB304_1777
; %bb.1770:
	v_xor_b32_e32 v8, v4, v5
	v_ffbh_i32_e32 v3, v5
	v_ashrrev_i32_e32 v8, 31, v8
	v_add_u32_e32 v3, -1, v3
	v_add_u32_e32 v8, 32, v8
	v_min_u32_e32 v3, v3, v8
	v_lshlrev_b64 v[8:9], v3, v[4:5]
	v_min_u32_e32 v8, 1, v8
	v_or_b32_e32 v8, v9, v8
	v_cvt_f32_i32_e32 v8, v8
	v_sub_u32_e32 v3, 32, v3
	s_mov_b32 s6, 0x43800000
	v_mov_b32_e32 v9, 0x80
	v_ldexp_f32 v3, v8, v3
	v_and_b32_e32 v8, 0x7fffffff, v3
	v_cmp_gt_u32_e32 vcc, s6, v8
	s_and_saveexec_b64 s[6:7], vcc
	s_cbranch_execz .LBB304_1776
; %bb.1771:
	s_mov_b32 s12, 0x3bffffff
	v_cmp_lt_u32_e32 vcc, s12, v8
	s_mov_b64 s[12:13], 0
                                        ; implicit-def: $vgpr8
	s_and_saveexec_b64 s[20:21], vcc
	s_xor_b64 s[20:21], exec, s[20:21]
	s_cbranch_execz .LBB304_1997
; %bb.1772:
	v_bfe_u32 v8, v3, 20, 1
	s_mov_b32 s25, 0x487ffff
	v_add3_u32 v8, v3, v8, s25
	s_mov_b64 s[12:13], exec
	v_lshrrev_b32_e32 v8, 20, v8
	s_andn2_saveexec_b64 s[20:21], s[20:21]
	s_cbranch_execnz .LBB304_1998
.LBB304_1773:
	s_or_b64 exec, exec, s[20:21]
	v_mov_b32_e32 v9, 0
	s_and_saveexec_b64 s[20:21], s[12:13]
.LBB304_1774:
	v_lshrrev_b32_e32 v3, 24, v3
	s_movk_i32 s12, 0x80
	v_and_or_b32 v9, v3, s12, v8
.LBB304_1775:
	s_or_b64 exec, exec, s[20:21]
.LBB304_1776:
	s_or_b64 exec, exec, s[6:7]
	global_store_byte v[0:1], v9, off
.LBB304_1777:
	s_mov_b64 s[6:7], -1
.LBB304_1778:
	s_mov_b64 s[12:13], 0
.LBB304_1779:
	s_and_b64 vcc, exec, s[12:13]
	s_cbranch_vccz .LBB304_1819
; %bb.1780:
	s_cmp_gt_i32 s23, 22
	s_mov_b64 s[2:3], -1
	s_cbranch_scc0 .LBB304_1812
; %bb.1781:
	s_cmp_lt_i32 s23, 24
	s_cbranch_scc1 .LBB304_1801
; %bb.1782:
	s_cmp_gt_i32 s23, 24
	s_cbranch_scc0 .LBB304_1790
; %bb.1783:
	v_xor_b32_e32 v8, v4, v5
	v_ffbh_i32_e32 v3, v5
	v_ashrrev_i32_e32 v8, 31, v8
	v_add_u32_e32 v3, -1, v3
	v_add_u32_e32 v8, 32, v8
	v_min_u32_e32 v3, v3, v8
	v_lshlrev_b64 v[8:9], v3, v[4:5]
	v_min_u32_e32 v8, 1, v8
	v_or_b32_e32 v8, v9, v8
	v_cvt_f32_i32_e32 v8, v8
	v_sub_u32_e32 v3, 32, v3
	s_mov_b32 s2, 0x47800000
	v_mov_b32_e32 v9, 0x80
	v_ldexp_f32 v3, v8, v3
	v_and_b32_e32 v8, 0x7fffffff, v3
	v_cmp_gt_u32_e32 vcc, s2, v8
	s_and_saveexec_b64 s[2:3], vcc
	s_cbranch_execz .LBB304_1789
; %bb.1784:
	s_mov_b32 s6, 0x37ffffff
	v_cmp_lt_u32_e32 vcc, s6, v8
	s_mov_b64 s[6:7], 0
                                        ; implicit-def: $vgpr8
	s_and_saveexec_b64 s[12:13], vcc
	s_xor_b64 s[12:13], exec, s[12:13]
	s_cbranch_execz .LBB304_2000
; %bb.1785:
	v_bfe_u32 v8, v3, 21, 1
	s_mov_b32 s20, 0x88fffff
	v_add3_u32 v8, v3, v8, s20
	s_mov_b64 s[6:7], exec
	v_lshrrev_b32_e32 v8, 21, v8
	s_andn2_saveexec_b64 s[12:13], s[12:13]
	s_cbranch_execnz .LBB304_2001
.LBB304_1786:
	s_or_b64 exec, exec, s[12:13]
	v_mov_b32_e32 v9, 0
	s_and_saveexec_b64 s[12:13], s[6:7]
.LBB304_1787:
	v_lshrrev_b32_e32 v3, 24, v3
	s_movk_i32 s6, 0x80
	v_and_or_b32 v9, v3, s6, v8
.LBB304_1788:
	s_or_b64 exec, exec, s[12:13]
.LBB304_1789:
	s_or_b64 exec, exec, s[2:3]
	s_mov_b64 s[2:3], 0
	global_store_byte v[0:1], v9, off
.LBB304_1790:
	s_and_b64 vcc, exec, s[2:3]
	s_cbranch_vccz .LBB304_1800
; %bb.1791:
	v_xor_b32_e32 v8, v4, v5
	v_ffbh_i32_e32 v3, v5
	v_ashrrev_i32_e32 v8, 31, v8
	v_add_u32_e32 v3, -1, v3
	v_add_u32_e32 v8, 32, v8
	v_min_u32_e32 v3, v3, v8
	v_lshlrev_b64 v[8:9], v3, v[4:5]
	v_min_u32_e32 v8, 1, v8
	v_or_b32_e32 v8, v9, v8
	v_cvt_f32_i32_e32 v8, v8
	v_sub_u32_e32 v3, 32, v3
	s_mov_b32 s2, 0x43f00000
	v_ldexp_f32 v3, v8, v3
	v_and_b32_e32 v9, 0x7fffffff, v3
	v_cmp_gt_u32_e32 vcc, s2, v9
                                        ; implicit-def: $vgpr8
	s_and_saveexec_b64 s[2:3], vcc
	s_xor_b64 s[2:3], exec, s[2:3]
	s_cbranch_execz .LBB304_1797
; %bb.1792:
	s_mov_b32 s6, 0x3c7fffff
	v_cmp_lt_u32_e32 vcc, s6, v9
                                        ; implicit-def: $vgpr8
	s_and_saveexec_b64 s[6:7], vcc
	s_xor_b64 s[6:7], exec, s[6:7]
; %bb.1793:
	v_bfe_u32 v8, v3, 20, 1
	s_mov_b32 s12, 0x407ffff
	v_add3_u32 v8, v3, v8, s12
	v_lshrrev_b32_e32 v9, 20, v8
	v_and_b32_e32 v8, 0xff00000, v8
	s_mov_b32 s12, 0x7f00000
	v_mov_b32_e32 v10, 0x7e
	v_cmp_ne_u32_e32 vcc, s12, v8
	s_nop 1
	v_cndmask_b32_e32 v8, v10, v9, vcc
; %bb.1794:
	s_andn2_saveexec_b64 s[6:7], s[6:7]
; %bb.1795:
	s_mov_b32 s12, 0x46800000
	v_add_f32_e64 v8, |v3|, s12
; %bb.1796:
	s_or_b64 exec, exec, s[6:7]
                                        ; implicit-def: $vgpr9
.LBB304_1797:
	s_andn2_saveexec_b64 s[2:3], s[2:3]
; %bb.1798:
	s_mov_b32 s6, 0x7f800000
	v_mov_b32_e32 v8, 0x7e
	v_mov_b32_e32 v10, 0x7f
	v_cmp_lt_u32_e32 vcc, s6, v9
	s_nop 1
	v_cndmask_b32_e32 v8, v8, v10, vcc
; %bb.1799:
	s_or_b64 exec, exec, s[2:3]
	v_lshrrev_b32_e32 v3, 24, v3
	s_movk_i32 s2, 0x80
	v_and_or_b32 v3, v3, s2, v8
	global_store_byte v[0:1], v3, off
.LBB304_1800:
	s_mov_b64 s[2:3], 0
.LBB304_1801:
	s_andn2_b64 vcc, exec, s[2:3]
	s_cbranch_vccnz .LBB304_1811
; %bb.1802:
	v_xor_b32_e32 v8, v4, v5
	v_ffbh_i32_e32 v3, v5
	v_ashrrev_i32_e32 v8, 31, v8
	v_add_u32_e32 v3, -1, v3
	v_add_u32_e32 v8, 32, v8
	v_min_u32_e32 v3, v3, v8
	v_lshlrev_b64 v[8:9], v3, v[4:5]
	v_min_u32_e32 v8, 1, v8
	v_or_b32_e32 v8, v9, v8
	v_cvt_f32_i32_e32 v8, v8
	v_sub_u32_e32 v3, 32, v3
	s_mov_b32 s2, 0x47800000
	v_ldexp_f32 v3, v8, v3
	v_and_b32_e32 v9, 0x7fffffff, v3
	v_cmp_gt_u32_e32 vcc, s2, v9
                                        ; implicit-def: $vgpr8
	s_and_saveexec_b64 s[2:3], vcc
	s_xor_b64 s[2:3], exec, s[2:3]
	s_cbranch_execz .LBB304_1808
; %bb.1803:
	s_mov_b32 s6, 0x387fffff
	v_cmp_lt_u32_e32 vcc, s6, v9
                                        ; implicit-def: $vgpr8
	s_and_saveexec_b64 s[6:7], vcc
	s_xor_b64 s[6:7], exec, s[6:7]
; %bb.1804:
	v_bfe_u32 v8, v3, 21, 1
	s_mov_b32 s12, 0x80fffff
	v_add3_u32 v8, v3, v8, s12
	v_lshrrev_b32_e32 v8, 21, v8
; %bb.1805:
	s_andn2_saveexec_b64 s[6:7], s[6:7]
; %bb.1806:
	s_mov_b32 s12, 0x43000000
	v_add_f32_e64 v8, |v3|, s12
; %bb.1807:
	s_or_b64 exec, exec, s[6:7]
                                        ; implicit-def: $vgpr9
.LBB304_1808:
	s_andn2_saveexec_b64 s[2:3], s[2:3]
; %bb.1809:
	s_mov_b32 s6, 0x7f800000
	v_mov_b32_e32 v8, 0x7c
	v_mov_b32_e32 v10, 0x7f
	v_cmp_lt_u32_e32 vcc, s6, v9
	s_nop 1
	v_cndmask_b32_e32 v8, v8, v10, vcc
; %bb.1810:
	s_or_b64 exec, exec, s[2:3]
	v_lshrrev_b32_e32 v3, 24, v3
	s_movk_i32 s2, 0x80
	v_and_or_b32 v3, v3, s2, v8
	global_store_byte v[0:1], v3, off
.LBB304_1811:
	s_mov_b64 s[2:3], 0
	s_mov_b64 s[6:7], -1
.LBB304_1812:
	s_andn2_b64 vcc, exec, s[2:3]
	s_mov_b64 s[2:3], 0
	s_cbranch_vccnz .LBB304_1819
; %bb.1813:
	s_cmp_gt_i32 s23, 14
	s_mov_b64 s[12:13], -1
	s_cbranch_scc0 .LBB304_1817
; %bb.1814:
	s_cmp_eq_u32 s23, 15
	s_mov_b64 s[0:1], -1
	s_cbranch_scc0 .LBB304_1816
; %bb.1815:
	v_xor_b32_e32 v8, v4, v5
	v_ffbh_i32_e32 v3, v5
	v_ashrrev_i32_e32 v8, 31, v8
	v_add_u32_e32 v3, -1, v3
	v_add_u32_e32 v8, 32, v8
	v_min_u32_e32 v3, v3, v8
	v_lshlrev_b64 v[8:9], v3, v[4:5]
	v_min_u32_e32 v8, 1, v8
	v_or_b32_e32 v8, v9, v8
	v_cvt_f32_i32_e32 v8, v8
	v_sub_u32_e32 v3, 32, v3
	s_movk_i32 s0, 0x7fff
	s_mov_b64 s[6:7], -1
	v_ldexp_f32 v3, v8, v3
	v_bfe_u32 v8, v3, 16, 1
	v_add3_u32 v3, v3, v8, s0
	global_store_short_d16_hi v[0:1], v3, off
	s_mov_b64 s[0:1], 0
.LBB304_1816:
	s_mov_b64 s[12:13], 0
.LBB304_1817:
	s_and_b64 vcc, exec, s[12:13]
	s_cbranch_vccz .LBB304_1819
; %bb.1818:
	s_cmp_lg_u32 s23, 11
	s_mov_b64 s[2:3], -1
	s_cselect_b64 s[0:1], -1, 0
.LBB304_1819:
	s_and_b64 vcc, exec, s[0:1]
	s_cbranch_vccnz .LBB304_1999
; %bb.1820:
	s_andn2_b64 vcc, exec, s[2:3]
	s_cbranch_vccnz .LBB304_1822
.LBB304_1821:
	v_cmp_ne_u64_e32 vcc, 0, v[4:5]
	s_mov_b64 s[6:7], -1
	s_nop 0
	v_cndmask_b32_e64 v3, 0, 1, vcc
	global_store_byte v[0:1], v3, off
.LBB304_1822:
	s_mov_b64 s[0:1], 0
	s_branch .LBB304_1824
.LBB304_1823:
	s_mov_b64 s[0:1], -1
	s_mov_b64 s[6:7], 0
.LBB304_1824:
	s_and_b64 vcc, exec, s[0:1]
	s_cbranch_vccz .LBB304_1863
; %bb.1825:
	s_and_b32 s2, 0xffff, s24
	s_cmp_lt_i32 s2, 5
	s_mov_b64 s[0:1], -1
	s_cbranch_scc1 .LBB304_1846
; %bb.1826:
	s_cmp_lt_i32 s2, 8
	s_cbranch_scc1 .LBB304_1836
; %bb.1827:
	s_cmp_lt_i32 s2, 9
	s_cbranch_scc1 .LBB304_1833
; %bb.1828:
	s_cmp_gt_i32 s2, 9
	s_cbranch_scc0 .LBB304_1830
; %bb.1829:
	v_cvt_f64_i32_e32 v[8:9], v5
	v_ldexp_f64 v[8:9], v[8:9], 32
	v_cvt_f64_u32_e32 v[10:11], v4
	v_add_f64 v[8:9], v[8:9], v[10:11]
	v_mov_b32_e32 v10, 0
	v_mov_b32_e32 v11, v10
	global_store_dwordx4 v[0:1], v[8:11], off
	s_mov_b64 s[0:1], 0
.LBB304_1830:
	s_andn2_b64 vcc, exec, s[0:1]
	s_cbranch_vccnz .LBB304_1832
; %bb.1831:
	v_xor_b32_e32 v8, v4, v5
	v_ffbh_i32_e32 v3, v5
	v_ashrrev_i32_e32 v8, 31, v8
	v_add_u32_e32 v3, -1, v3
	v_add_u32_e32 v8, 32, v8
	v_min_u32_e32 v3, v3, v8
	v_lshlrev_b64 v[8:9], v3, v[4:5]
	v_min_u32_e32 v8, 1, v8
	v_or_b32_e32 v8, v9, v8
	v_cvt_f32_i32_e32 v8, v8
	v_sub_u32_e32 v3, 32, v3
	v_mov_b32_e32 v9, 0
	v_ldexp_f32 v8, v8, v3
	global_store_dwordx2 v[0:1], v[8:9], off
.LBB304_1832:
	s_mov_b64 s[0:1], 0
.LBB304_1833:
	s_andn2_b64 vcc, exec, s[0:1]
	s_cbranch_vccnz .LBB304_1835
; %bb.1834:
	v_xor_b32_e32 v8, v4, v5
	v_ffbh_i32_e32 v3, v5
	v_ashrrev_i32_e32 v8, 31, v8
	v_add_u32_e32 v3, -1, v3
	v_add_u32_e32 v8, 32, v8
	v_min_u32_e32 v3, v3, v8
	v_lshlrev_b64 v[8:9], v3, v[4:5]
	v_min_u32_e32 v8, 1, v8
	v_or_b32_e32 v8, v9, v8
	v_cvt_f32_i32_e32 v8, v8
	v_sub_u32_e32 v3, 32, v3
	v_ldexp_f32 v3, v8, v3
	v_cvt_f16_f32_e32 v3, v3
	global_store_dword v[0:1], v3, off
.LBB304_1835:
	s_mov_b64 s[0:1], 0
.LBB304_1836:
	s_andn2_b64 vcc, exec, s[0:1]
	s_cbranch_vccnz .LBB304_1845
; %bb.1837:
	s_cmp_lt_i32 s2, 6
	s_mov_b64 s[0:1], -1
	s_cbranch_scc1 .LBB304_1843
; %bb.1838:
	s_cmp_gt_i32 s2, 6
	s_cbranch_scc0 .LBB304_1840
; %bb.1839:
	v_cvt_f64_i32_e32 v[8:9], v5
	v_ldexp_f64 v[8:9], v[8:9], 32
	v_cvt_f64_u32_e32 v[10:11], v4
	v_add_f64 v[8:9], v[8:9], v[10:11]
	global_store_dwordx2 v[0:1], v[8:9], off
	s_mov_b64 s[0:1], 0
.LBB304_1840:
	s_andn2_b64 vcc, exec, s[0:1]
	s_cbranch_vccnz .LBB304_1842
; %bb.1841:
	v_xor_b32_e32 v8, v4, v5
	v_ffbh_i32_e32 v3, v5
	v_ashrrev_i32_e32 v8, 31, v8
	v_add_u32_e32 v3, -1, v3
	v_add_u32_e32 v8, 32, v8
	v_min_u32_e32 v3, v3, v8
	v_lshlrev_b64 v[8:9], v3, v[4:5]
	v_min_u32_e32 v8, 1, v8
	v_or_b32_e32 v8, v9, v8
	v_cvt_f32_i32_e32 v8, v8
	v_sub_u32_e32 v3, 32, v3
	v_ldexp_f32 v3, v8, v3
	global_store_dword v[0:1], v3, off
.LBB304_1842:
	s_mov_b64 s[0:1], 0
.LBB304_1843:
	s_andn2_b64 vcc, exec, s[0:1]
	s_cbranch_vccnz .LBB304_1845
; %bb.1844:
	v_xor_b32_e32 v8, v4, v5
	v_ffbh_i32_e32 v3, v5
	v_ashrrev_i32_e32 v8, 31, v8
	v_add_u32_e32 v3, -1, v3
	v_add_u32_e32 v8, 32, v8
	v_min_u32_e32 v3, v3, v8
	v_lshlrev_b64 v[8:9], v3, v[4:5]
	v_min_u32_e32 v8, 1, v8
	v_or_b32_e32 v8, v9, v8
	v_cvt_f32_i32_e32 v8, v8
	v_sub_u32_e32 v3, 32, v3
	v_ldexp_f32 v3, v8, v3
	v_cvt_f16_f32_e32 v3, v3
	global_store_short v[0:1], v3, off
.LBB304_1845:
	s_mov_b64 s[0:1], 0
.LBB304_1846:
	s_andn2_b64 vcc, exec, s[0:1]
	s_cbranch_vccnz .LBB304_1862
; %bb.1847:
	s_cmp_lt_i32 s2, 2
	s_mov_b64 s[0:1], -1
	s_cbranch_scc1 .LBB304_1857
; %bb.1848:
	s_cmp_lt_i32 s2, 3
	s_cbranch_scc1 .LBB304_1854
; %bb.1849:
	s_cmp_gt_i32 s2, 3
	s_cbranch_scc0 .LBB304_1851
; %bb.1850:
	global_store_dwordx2 v[0:1], v[4:5], off
	s_mov_b64 s[0:1], 0
.LBB304_1851:
	s_andn2_b64 vcc, exec, s[0:1]
	s_cbranch_vccnz .LBB304_1853
; %bb.1852:
	global_store_dword v[0:1], v4, off
.LBB304_1853:
	s_mov_b64 s[0:1], 0
.LBB304_1854:
	s_andn2_b64 vcc, exec, s[0:1]
	s_cbranch_vccnz .LBB304_1856
; %bb.1855:
	global_store_short v[0:1], v4, off
.LBB304_1856:
	s_mov_b64 s[0:1], 0
.LBB304_1857:
	s_andn2_b64 vcc, exec, s[0:1]
	s_cbranch_vccnz .LBB304_1862
; %bb.1858:
	s_cmp_gt_i32 s2, 0
	s_mov_b64 s[0:1], -1
	s_cbranch_scc0 .LBB304_1860
; %bb.1859:
	global_store_byte v[0:1], v4, off
	s_mov_b64 s[0:1], 0
.LBB304_1860:
	s_andn2_b64 vcc, exec, s[0:1]
	s_cbranch_vccnz .LBB304_1862
; %bb.1861:
	global_store_byte v[0:1], v4, off
.LBB304_1862:
	s_mov_b64 s[6:7], -1
.LBB304_1863:
	s_andn2_b64 vcc, exec, s[6:7]
	s_cbranch_vccnz .LBB304_1940
; %bb.1864:
	v_mov_b32_e32 v0, s9
	v_cmp_lt_i64_e32 vcc, s[8:9], v[6:7]
	v_mov_b32_e32 v3, s11
	v_add_u32_e32 v2, s22, v2
	v_cndmask_b32_e32 v1, v0, v7, vcc
	v_mov_b32_e32 v0, s8
	v_cndmask_b32_e32 v0, v0, v6, vcc
	v_cmp_gt_i64_e32 vcc, s[10:11], v[0:1]
	s_cmp_lt_i32 s24, 11
	s_nop 0
	v_cndmask_b32_e32 v1, v3, v1, vcc
	v_mov_b32_e32 v3, s10
	v_cndmask_b32_e32 v0, v3, v0, vcc
	v_ashrrev_i32_e32 v3, 31, v2
	v_lshl_add_u64 v[2:3], s[4:5], 0, v[2:3]
	s_cbranch_scc1 .LBB304_1985
; %bb.1865:
	s_and_b32 s10, 0xffff, s24
	s_mov_b64 s[4:5], -1
	s_mov_b64 s[2:3], 0
	s_cmp_gt_i32 s10, 25
	s_mov_b64 s[0:1], 0
	s_cbranch_scc0 .LBB304_1898
; %bb.1866:
	s_cmp_gt_i32 s10, 28
	s_cbranch_scc0 .LBB304_1882
; %bb.1867:
	s_cmp_gt_i32 s10, 43
	;; [unrolled: 3-line block ×3, first 2 shown]
	s_cbranch_scc0 .LBB304_1872
; %bb.1869:
	s_cmp_eq_u32 s10, 46
	s_mov_b64 s[0:1], -1
	s_cbranch_scc0 .LBB304_1871
; %bb.1870:
	v_xor_b32_e32 v5, v0, v1
	v_ffbh_i32_e32 v4, v1
	v_ashrrev_i32_e32 v5, 31, v5
	v_add_u32_e32 v4, -1, v4
	v_add_u32_e32 v5, 32, v5
	v_min_u32_e32 v6, v4, v5
	v_lshlrev_b64 v[4:5], v6, v[0:1]
	v_min_u32_e32 v4, 1, v4
	v_or_b32_e32 v4, v5, v4
	v_cvt_f32_i32_e32 v4, v4
	v_sub_u32_e32 v5, 32, v6
	s_movk_i32 s0, 0x7fff
	v_ldexp_f32 v4, v4, v5
	v_bfe_u32 v5, v4, 16, 1
	v_add3_u32 v4, v4, v5, s0
	v_lshrrev_b32_e32 v4, 16, v4
	global_store_dword v[2:3], v4, off
	s_mov_b64 s[0:1], 0
.LBB304_1871:
	s_mov_b64 s[4:5], 0
.LBB304_1872:
	s_and_b64 vcc, exec, s[4:5]
	s_cbranch_vccz .LBB304_1877
; %bb.1873:
	s_cmp_eq_u32 s10, 44
	s_mov_b64 s[0:1], -1
	s_cbranch_scc0 .LBB304_1877
; %bb.1874:
	v_xor_b32_e32 v5, v0, v1
	v_ffbh_i32_e32 v4, v1
	v_ashrrev_i32_e32 v5, 31, v5
	v_add_u32_e32 v4, -1, v4
	v_add_u32_e32 v5, 32, v5
	v_min_u32_e32 v6, v4, v5
	v_lshlrev_b64 v[4:5], v6, v[0:1]
	v_min_u32_e32 v4, 1, v4
	v_or_b32_e32 v4, v5, v4
	v_cvt_f32_i32_e32 v4, v4
	v_sub_u32_e32 v5, 32, v6
	s_movk_i32 s0, 0xff
	v_mov_b32_e32 v6, 0xff
	v_ldexp_f32 v4, v4, v5
	v_bfe_u32 v5, v4, 23, 8
	v_cmp_ne_u32_e32 vcc, s0, v5
	s_and_saveexec_b64 s[4:5], vcc
; %bb.1875:
	s_mov_b32 s0, 0x3fffff
	v_lshrrev_b32_e32 v6, 23, v4
	v_and_b32_e32 v7, 0x400000, v4
	v_and_or_b32 v4, v4, s0, v5
	v_cmp_ne_u32_e32 vcc, 0, v7
	v_cmp_ne_u32_e64 s[0:1], 0, v4
	s_and_b64 s[0:1], vcc, s[0:1]
	s_nop 0
	v_cndmask_b32_e64 v4, 0, 1, s[0:1]
	v_add_u32_e32 v6, v6, v4
; %bb.1876:
	s_or_b64 exec, exec, s[4:5]
	s_mov_b64 s[0:1], 0
	global_store_byte v[2:3], v6, off
.LBB304_1877:
	s_mov_b64 s[4:5], 0
.LBB304_1878:
	s_and_b64 vcc, exec, s[4:5]
	s_cbranch_vccz .LBB304_1881
; %bb.1879:
	s_cmp_eq_u32 s10, 29
	s_mov_b64 s[0:1], -1
	s_cbranch_scc0 .LBB304_1881
; %bb.1880:
	global_store_dwordx2 v[2:3], v[0:1], off
	s_mov_b64 s[0:1], 0
.LBB304_1881:
	s_mov_b64 s[4:5], 0
.LBB304_1882:
	s_and_b64 vcc, exec, s[4:5]
	s_cbranch_vccz .LBB304_1897
; %bb.1883:
	s_cmp_lt_i32 s10, 27
	s_mov_b64 s[4:5], -1
	s_cbranch_scc1 .LBB304_1889
; %bb.1884:
	s_cmp_gt_i32 s10, 27
	s_cbranch_scc0 .LBB304_1886
; %bb.1885:
	global_store_dword v[2:3], v0, off
	s_mov_b64 s[4:5], 0
.LBB304_1886:
	s_andn2_b64 vcc, exec, s[4:5]
	s_cbranch_vccnz .LBB304_1888
; %bb.1887:
	global_store_short v[2:3], v0, off
.LBB304_1888:
	s_mov_b64 s[4:5], 0
.LBB304_1889:
	s_andn2_b64 vcc, exec, s[4:5]
	s_cbranch_vccnz .LBB304_1897
; %bb.1890:
	v_xor_b32_e32 v5, v0, v1
	v_ffbh_i32_e32 v4, v1
	v_ashrrev_i32_e32 v5, 31, v5
	v_add_u32_e32 v4, -1, v4
	v_add_u32_e32 v5, 32, v5
	v_min_u32_e32 v6, v4, v5
	v_lshlrev_b64 v[4:5], v6, v[0:1]
	v_min_u32_e32 v4, 1, v4
	v_or_b32_e32 v4, v5, v4
	v_cvt_f32_i32_e32 v4, v4
	v_sub_u32_e32 v5, 32, v6
	s_mov_b32 s4, 0x43800000
	v_mov_b32_e32 v6, 0x80
	v_ldexp_f32 v4, v4, v5
	v_and_b32_e32 v5, 0x7fffffff, v4
	v_cmp_gt_u32_e32 vcc, s4, v5
	s_and_saveexec_b64 s[4:5], vcc
	s_cbranch_execz .LBB304_1896
; %bb.1891:
	s_mov_b32 s6, 0x3bffffff
	v_cmp_lt_u32_e32 vcc, s6, v5
	s_mov_b64 s[6:7], 0
                                        ; implicit-def: $vgpr5
	s_and_saveexec_b64 s[8:9], vcc
	s_xor_b64 s[8:9], exec, s[8:9]
	s_cbranch_execz .LBB304_2002
; %bb.1892:
	v_bfe_u32 v5, v4, 20, 1
	s_mov_b32 s11, 0x487ffff
	v_add3_u32 v5, v4, v5, s11
	s_mov_b64 s[6:7], exec
	v_lshrrev_b32_e32 v5, 20, v5
	s_andn2_saveexec_b64 s[8:9], s[8:9]
	s_cbranch_execnz .LBB304_2003
.LBB304_1893:
	s_or_b64 exec, exec, s[8:9]
	v_mov_b32_e32 v6, 0
	s_and_saveexec_b64 s[8:9], s[6:7]
.LBB304_1894:
	v_lshrrev_b32_e32 v4, 24, v4
	s_movk_i32 s6, 0x80
	v_and_or_b32 v6, v4, s6, v5
.LBB304_1895:
	s_or_b64 exec, exec, s[8:9]
.LBB304_1896:
	s_or_b64 exec, exec, s[4:5]
	global_store_byte v[2:3], v6, off
.LBB304_1897:
	s_mov_b64 s[4:5], 0
.LBB304_1898:
	s_and_b64 vcc, exec, s[4:5]
	s_cbranch_vccz .LBB304_1938
; %bb.1899:
	s_cmp_gt_i32 s10, 22
	s_mov_b64 s[2:3], -1
	s_cbranch_scc0 .LBB304_1931
; %bb.1900:
	s_cmp_lt_i32 s10, 24
	s_cbranch_scc1 .LBB304_1920
; %bb.1901:
	s_cmp_gt_i32 s10, 24
	s_cbranch_scc0 .LBB304_1909
; %bb.1902:
	v_xor_b32_e32 v5, v0, v1
	v_ffbh_i32_e32 v4, v1
	v_ashrrev_i32_e32 v5, 31, v5
	v_add_u32_e32 v4, -1, v4
	v_add_u32_e32 v5, 32, v5
	v_min_u32_e32 v6, v4, v5
	v_lshlrev_b64 v[4:5], v6, v[0:1]
	v_min_u32_e32 v4, 1, v4
	v_or_b32_e32 v4, v5, v4
	v_cvt_f32_i32_e32 v4, v4
	v_sub_u32_e32 v5, 32, v6
	s_mov_b32 s2, 0x47800000
	v_mov_b32_e32 v6, 0x80
	v_ldexp_f32 v4, v4, v5
	v_and_b32_e32 v5, 0x7fffffff, v4
	v_cmp_gt_u32_e32 vcc, s2, v5
	s_and_saveexec_b64 s[2:3], vcc
	s_cbranch_execz .LBB304_1908
; %bb.1903:
	s_mov_b32 s4, 0x37ffffff
	v_cmp_lt_u32_e32 vcc, s4, v5
	s_mov_b64 s[4:5], 0
                                        ; implicit-def: $vgpr5
	s_and_saveexec_b64 s[6:7], vcc
	s_xor_b64 s[6:7], exec, s[6:7]
	s_cbranch_execz .LBB304_2005
; %bb.1904:
	v_bfe_u32 v5, v4, 21, 1
	s_mov_b32 s8, 0x88fffff
	v_add3_u32 v5, v4, v5, s8
	s_mov_b64 s[4:5], exec
	v_lshrrev_b32_e32 v5, 21, v5
	s_andn2_saveexec_b64 s[6:7], s[6:7]
	s_cbranch_execnz .LBB304_2006
.LBB304_1905:
	s_or_b64 exec, exec, s[6:7]
	v_mov_b32_e32 v6, 0
	s_and_saveexec_b64 s[6:7], s[4:5]
.LBB304_1906:
	v_lshrrev_b32_e32 v4, 24, v4
	s_movk_i32 s4, 0x80
	v_and_or_b32 v6, v4, s4, v5
.LBB304_1907:
	s_or_b64 exec, exec, s[6:7]
.LBB304_1908:
	s_or_b64 exec, exec, s[2:3]
	s_mov_b64 s[2:3], 0
	global_store_byte v[2:3], v6, off
.LBB304_1909:
	s_and_b64 vcc, exec, s[2:3]
	s_cbranch_vccz .LBB304_1919
; %bb.1910:
	v_xor_b32_e32 v5, v0, v1
	v_ffbh_i32_e32 v4, v1
	v_ashrrev_i32_e32 v5, 31, v5
	v_add_u32_e32 v4, -1, v4
	v_add_u32_e32 v5, 32, v5
	v_min_u32_e32 v6, v4, v5
	v_lshlrev_b64 v[4:5], v6, v[0:1]
	v_min_u32_e32 v4, 1, v4
	v_or_b32_e32 v4, v5, v4
	v_cvt_f32_i32_e32 v4, v4
	v_sub_u32_e32 v5, 32, v6
	s_mov_b32 s2, 0x43f00000
	v_ldexp_f32 v4, v4, v5
	v_and_b32_e32 v6, 0x7fffffff, v4
	v_cmp_gt_u32_e32 vcc, s2, v6
                                        ; implicit-def: $vgpr5
	s_and_saveexec_b64 s[2:3], vcc
	s_xor_b64 s[2:3], exec, s[2:3]
	s_cbranch_execz .LBB304_1916
; %bb.1911:
	s_mov_b32 s4, 0x3c7fffff
	v_cmp_lt_u32_e32 vcc, s4, v6
                                        ; implicit-def: $vgpr5
	s_and_saveexec_b64 s[4:5], vcc
	s_xor_b64 s[4:5], exec, s[4:5]
; %bb.1912:
	v_bfe_u32 v5, v4, 20, 1
	s_mov_b32 s6, 0x407ffff
	v_add3_u32 v5, v4, v5, s6
	v_lshrrev_b32_e32 v6, 20, v5
	v_and_b32_e32 v5, 0xff00000, v5
	s_mov_b32 s6, 0x7f00000
	v_mov_b32_e32 v7, 0x7e
	v_cmp_ne_u32_e32 vcc, s6, v5
	s_nop 1
	v_cndmask_b32_e32 v5, v7, v6, vcc
; %bb.1913:
	s_andn2_saveexec_b64 s[4:5], s[4:5]
; %bb.1914:
	s_mov_b32 s6, 0x46800000
	v_add_f32_e64 v5, |v4|, s6
; %bb.1915:
	s_or_b64 exec, exec, s[4:5]
                                        ; implicit-def: $vgpr6
.LBB304_1916:
	s_andn2_saveexec_b64 s[2:3], s[2:3]
; %bb.1917:
	s_mov_b32 s4, 0x7f800000
	v_mov_b32_e32 v5, 0x7e
	v_mov_b32_e32 v7, 0x7f
	v_cmp_lt_u32_e32 vcc, s4, v6
	s_nop 1
	v_cndmask_b32_e32 v5, v5, v7, vcc
; %bb.1918:
	s_or_b64 exec, exec, s[2:3]
	v_lshrrev_b32_e32 v4, 24, v4
	s_movk_i32 s2, 0x80
	v_and_or_b32 v4, v4, s2, v5
	global_store_byte v[2:3], v4, off
.LBB304_1919:
	s_mov_b64 s[2:3], 0
.LBB304_1920:
	s_andn2_b64 vcc, exec, s[2:3]
	s_cbranch_vccnz .LBB304_1930
; %bb.1921:
	v_xor_b32_e32 v5, v0, v1
	v_ffbh_i32_e32 v4, v1
	v_ashrrev_i32_e32 v5, 31, v5
	v_add_u32_e32 v4, -1, v4
	v_add_u32_e32 v5, 32, v5
	v_min_u32_e32 v6, v4, v5
	v_lshlrev_b64 v[4:5], v6, v[0:1]
	v_min_u32_e32 v4, 1, v4
	v_or_b32_e32 v4, v5, v4
	v_cvt_f32_i32_e32 v4, v4
	v_sub_u32_e32 v5, 32, v6
	s_mov_b32 s2, 0x47800000
	v_ldexp_f32 v4, v4, v5
	v_and_b32_e32 v6, 0x7fffffff, v4
	v_cmp_gt_u32_e32 vcc, s2, v6
                                        ; implicit-def: $vgpr5
	s_and_saveexec_b64 s[2:3], vcc
	s_xor_b64 s[2:3], exec, s[2:3]
	s_cbranch_execz .LBB304_1927
; %bb.1922:
	s_mov_b32 s4, 0x387fffff
	v_cmp_lt_u32_e32 vcc, s4, v6
                                        ; implicit-def: $vgpr5
	s_and_saveexec_b64 s[4:5], vcc
	s_xor_b64 s[4:5], exec, s[4:5]
; %bb.1923:
	v_bfe_u32 v5, v4, 21, 1
	s_mov_b32 s6, 0x80fffff
	v_add3_u32 v5, v4, v5, s6
	v_lshrrev_b32_e32 v5, 21, v5
; %bb.1924:
	s_andn2_saveexec_b64 s[4:5], s[4:5]
; %bb.1925:
	s_mov_b32 s6, 0x43000000
	v_add_f32_e64 v5, |v4|, s6
; %bb.1926:
	s_or_b64 exec, exec, s[4:5]
                                        ; implicit-def: $vgpr6
.LBB304_1927:
	s_andn2_saveexec_b64 s[2:3], s[2:3]
; %bb.1928:
	s_mov_b32 s4, 0x7f800000
	v_mov_b32_e32 v5, 0x7c
	v_mov_b32_e32 v7, 0x7f
	v_cmp_lt_u32_e32 vcc, s4, v6
	s_nop 1
	v_cndmask_b32_e32 v5, v5, v7, vcc
; %bb.1929:
	s_or_b64 exec, exec, s[2:3]
	v_lshrrev_b32_e32 v4, 24, v4
	s_movk_i32 s2, 0x80
	v_and_or_b32 v4, v4, s2, v5
	global_store_byte v[2:3], v4, off
.LBB304_1930:
	s_mov_b64 s[2:3], 0
.LBB304_1931:
	s_andn2_b64 vcc, exec, s[2:3]
	s_mov_b64 s[2:3], 0
	s_cbranch_vccnz .LBB304_1938
; %bb.1932:
	s_cmp_gt_i32 s10, 14
	s_mov_b64 s[4:5], -1
	s_cbranch_scc0 .LBB304_1936
; %bb.1933:
	s_cmp_eq_u32 s10, 15
	s_mov_b64 s[0:1], -1
	s_cbranch_scc0 .LBB304_1935
; %bb.1934:
	v_xor_b32_e32 v5, v0, v1
	v_ffbh_i32_e32 v4, v1
	v_ashrrev_i32_e32 v5, 31, v5
	v_add_u32_e32 v4, -1, v4
	v_add_u32_e32 v5, 32, v5
	v_min_u32_e32 v6, v4, v5
	v_lshlrev_b64 v[4:5], v6, v[0:1]
	v_min_u32_e32 v4, 1, v4
	v_or_b32_e32 v4, v5, v4
	v_cvt_f32_i32_e32 v4, v4
	v_sub_u32_e32 v5, 32, v6
	s_movk_i32 s0, 0x7fff
	v_ldexp_f32 v4, v4, v5
	v_bfe_u32 v5, v4, 16, 1
	v_add3_u32 v4, v4, v5, s0
	global_store_short_d16_hi v[2:3], v4, off
	s_mov_b64 s[0:1], 0
.LBB304_1935:
	s_mov_b64 s[4:5], 0
.LBB304_1936:
	s_and_b64 vcc, exec, s[4:5]
	s_cbranch_vccz .LBB304_1938
; %bb.1937:
	s_cmp_lg_u32 s10, 11
	s_mov_b64 s[2:3], -1
	s_cselect_b64 s[0:1], -1, 0
.LBB304_1938:
	s_and_b64 vcc, exec, s[0:1]
	s_cbranch_vccnz .LBB304_2004
.LBB304_1939:
	s_mov_b64 s[0:1], 0
	s_branch .LBB304_1941
.LBB304_1940:
	s_mov_b64 s[0:1], 0
	s_mov_b64 s[2:3], 0
                                        ; implicit-def: $sgpr24
                                        ; implicit-def: $vgpr2_vgpr3
                                        ; implicit-def: $vgpr0_vgpr1
.LBB304_1941:
	s_andn2_b64 s[4:5], s[16:17], exec
	s_and_b64 s[6:7], s[18:19], exec
	s_and_b64 s[0:1], s[0:1], exec
	;; [unrolled: 1-line block ×3, first 2 shown]
	s_or_b64 s[16:17], s[4:5], s[6:7]
.LBB304_1942:
	s_or_b64 exec, exec, s[14:15]
	s_and_saveexec_b64 s[4:5], s[16:17]
	s_cbranch_execz .LBB304_1945
; %bb.1943:
	; divergent unreachable
	s_or_b64 exec, exec, s[4:5]
	s_and_saveexec_b64 s[4:5], s[2:3]
	s_xor_b64 s[2:3], exec, s[4:5]
	s_cbranch_execnz .LBB304_1946
.LBB304_1944:
	s_or_b64 exec, exec, s[2:3]
	s_and_saveexec_b64 s[2:3], s[0:1]
	s_cbranch_execnz .LBB304_1947
	s_branch .LBB304_1984
.LBB304_1945:
	s_or_b64 exec, exec, s[4:5]
	s_and_saveexec_b64 s[4:5], s[2:3]
	s_xor_b64 s[2:3], exec, s[4:5]
	s_cbranch_execz .LBB304_1944
.LBB304_1946:
	s_waitcnt vmcnt(0)
	v_cmp_ne_u64_e32 vcc, 0, v[0:1]
	s_nop 1
	v_cndmask_b32_e64 v4, 0, 1, vcc
	global_store_byte v[2:3], v4, off
	s_or_b64 exec, exec, s[2:3]
	s_and_saveexec_b64 s[2:3], s[0:1]
	s_cbranch_execz .LBB304_1984
.LBB304_1947:
	s_sext_i32_i16 s2, s24
	s_cmp_lt_i32 s2, 5
	s_mov_b64 s[0:1], -1
	s_cbranch_scc1 .LBB304_1968
; %bb.1948:
	s_cmp_lt_i32 s2, 8
	s_cbranch_scc1 .LBB304_1958
; %bb.1949:
	s_cmp_lt_i32 s2, 9
	s_cbranch_scc1 .LBB304_1955
; %bb.1950:
	s_cmp_gt_i32 s2, 9
	s_cbranch_scc0 .LBB304_1952
; %bb.1951:
	s_waitcnt vmcnt(0)
	v_cvt_f64_i32_e32 v[4:5], v1
	v_ldexp_f64 v[4:5], v[4:5], 32
	v_cvt_f64_u32_e32 v[6:7], v0
	v_add_f64 v[4:5], v[4:5], v[6:7]
	v_mov_b32_e32 v6, 0
	v_mov_b32_e32 v7, v6
	global_store_dwordx4 v[2:3], v[4:7], off
	s_mov_b64 s[0:1], 0
.LBB304_1952:
	s_andn2_b64 vcc, exec, s[0:1]
	s_cbranch_vccnz .LBB304_1954
; %bb.1953:
	s_waitcnt vmcnt(0)
	v_xor_b32_e32 v5, v0, v1
	v_ffbh_i32_e32 v4, v1
	v_ashrrev_i32_e32 v5, 31, v5
	v_add_u32_e32 v4, -1, v4
	v_add_u32_e32 v5, 32, v5
	v_min_u32_e32 v6, v4, v5
	v_lshlrev_b64 v[4:5], v6, v[0:1]
	v_min_u32_e32 v4, 1, v4
	v_or_b32_e32 v4, v5, v4
	v_cvt_f32_i32_e32 v4, v4
	v_sub_u32_e32 v5, 32, v6
	v_ldexp_f32 v4, v4, v5
	v_mov_b32_e32 v5, 0
	global_store_dwordx2 v[2:3], v[4:5], off
.LBB304_1954:
	s_mov_b64 s[0:1], 0
.LBB304_1955:
	s_andn2_b64 vcc, exec, s[0:1]
	s_cbranch_vccnz .LBB304_1957
; %bb.1956:
	s_waitcnt vmcnt(0)
	v_xor_b32_e32 v5, v0, v1
	v_ffbh_i32_e32 v4, v1
	v_ashrrev_i32_e32 v5, 31, v5
	v_add_u32_e32 v4, -1, v4
	v_add_u32_e32 v5, 32, v5
	v_min_u32_e32 v6, v4, v5
	v_lshlrev_b64 v[4:5], v6, v[0:1]
	v_min_u32_e32 v4, 1, v4
	v_or_b32_e32 v4, v5, v4
	v_cvt_f32_i32_e32 v4, v4
	v_sub_u32_e32 v5, 32, v6
	v_ldexp_f32 v4, v4, v5
	v_cvt_f16_f32_e32 v4, v4
	global_store_dword v[2:3], v4, off
.LBB304_1957:
	s_mov_b64 s[0:1], 0
.LBB304_1958:
	s_andn2_b64 vcc, exec, s[0:1]
	s_cbranch_vccnz .LBB304_1967
; %bb.1959:
	s_sext_i32_i16 s2, s24
	s_cmp_lt_i32 s2, 6
	s_mov_b64 s[0:1], -1
	s_cbranch_scc1 .LBB304_1965
; %bb.1960:
	s_cmp_gt_i32 s2, 6
	s_cbranch_scc0 .LBB304_1962
; %bb.1961:
	s_waitcnt vmcnt(0)
	v_cvt_f64_i32_e32 v[4:5], v1
	v_ldexp_f64 v[4:5], v[4:5], 32
	v_cvt_f64_u32_e32 v[6:7], v0
	v_add_f64 v[4:5], v[4:5], v[6:7]
	global_store_dwordx2 v[2:3], v[4:5], off
	s_mov_b64 s[0:1], 0
.LBB304_1962:
	s_andn2_b64 vcc, exec, s[0:1]
	s_cbranch_vccnz .LBB304_1964
; %bb.1963:
	s_waitcnt vmcnt(0)
	v_xor_b32_e32 v5, v0, v1
	v_ffbh_i32_e32 v4, v1
	v_ashrrev_i32_e32 v5, 31, v5
	v_add_u32_e32 v4, -1, v4
	v_add_u32_e32 v5, 32, v5
	v_min_u32_e32 v6, v4, v5
	v_lshlrev_b64 v[4:5], v6, v[0:1]
	v_min_u32_e32 v4, 1, v4
	v_or_b32_e32 v4, v5, v4
	v_cvt_f32_i32_e32 v4, v4
	v_sub_u32_e32 v5, 32, v6
	v_ldexp_f32 v4, v4, v5
	global_store_dword v[2:3], v4, off
.LBB304_1964:
	s_mov_b64 s[0:1], 0
.LBB304_1965:
	s_andn2_b64 vcc, exec, s[0:1]
	s_cbranch_vccnz .LBB304_1967
; %bb.1966:
	s_waitcnt vmcnt(0)
	v_xor_b32_e32 v5, v0, v1
	v_ffbh_i32_e32 v4, v1
	v_ashrrev_i32_e32 v5, 31, v5
	v_add_u32_e32 v4, -1, v4
	v_add_u32_e32 v5, 32, v5
	v_min_u32_e32 v6, v4, v5
	v_lshlrev_b64 v[4:5], v6, v[0:1]
	v_min_u32_e32 v4, 1, v4
	v_or_b32_e32 v4, v5, v4
	v_cvt_f32_i32_e32 v4, v4
	v_sub_u32_e32 v5, 32, v6
	v_ldexp_f32 v4, v4, v5
	v_cvt_f16_f32_e32 v4, v4
	global_store_short v[2:3], v4, off
.LBB304_1967:
	s_mov_b64 s[0:1], 0
.LBB304_1968:
	s_andn2_b64 vcc, exec, s[0:1]
	s_cbranch_vccnz .LBB304_1984
; %bb.1969:
	s_sext_i32_i16 s2, s24
	s_cmp_lt_i32 s2, 2
	s_mov_b64 s[0:1], -1
	s_cbranch_scc1 .LBB304_1979
; %bb.1970:
	s_cmp_lt_i32 s2, 3
	s_cbranch_scc1 .LBB304_1976
; %bb.1971:
	s_cmp_gt_i32 s2, 3
	s_cbranch_scc0 .LBB304_1973
; %bb.1972:
	s_waitcnt vmcnt(0)
	global_store_dwordx2 v[2:3], v[0:1], off
	s_mov_b64 s[0:1], 0
.LBB304_1973:
	s_andn2_b64 vcc, exec, s[0:1]
	s_cbranch_vccnz .LBB304_1975
; %bb.1974:
	s_waitcnt vmcnt(0)
	global_store_dword v[2:3], v0, off
.LBB304_1975:
	s_mov_b64 s[0:1], 0
.LBB304_1976:
	s_andn2_b64 vcc, exec, s[0:1]
	s_cbranch_vccnz .LBB304_1978
; %bb.1977:
	s_waitcnt vmcnt(0)
	global_store_short v[2:3], v0, off
.LBB304_1978:
	s_mov_b64 s[0:1], 0
.LBB304_1979:
	s_andn2_b64 vcc, exec, s[0:1]
	s_cbranch_vccnz .LBB304_1984
; %bb.1980:
	s_sext_i32_i16 s0, s24
	s_cmp_gt_i32 s0, 0
	s_mov_b64 s[0:1], -1
	s_cbranch_scc0 .LBB304_1982
; %bb.1981:
	s_waitcnt vmcnt(0)
	global_store_byte v[2:3], v0, off
	s_mov_b64 s[0:1], 0
.LBB304_1982:
	s_andn2_b64 vcc, exec, s[0:1]
	s_cbranch_vccnz .LBB304_1984
; %bb.1983:
	s_waitcnt vmcnt(0)
	global_store_byte v[2:3], v0, off
	s_endpgm
.LBB304_1984:
	s_endpgm
.LBB304_1985:
	s_mov_b64 s[2:3], 0
	s_mov_b64 s[0:1], -1
	s_branch .LBB304_1941
.LBB304_1986:
	s_trap 2
	s_or_b64 s[18:19], s[18:19], exec
	s_cbranch_execz .LBB304_1455
	s_branch .LBB304_1456
.LBB304_1987:
	s_andn2_saveexec_b64 s[22:23], s[22:23]
	s_cbranch_execz .LBB304_1535
.LBB304_1988:
	s_mov_b32 s25, 0x46000000
	v_add_f32_e64 v12, |v1|, s25
	v_and_b32_e32 v12, 0xff, v12
	v_cmp_ne_u32_e32 vcc, 0, v12
	s_andn2_b64 s[20:21], s[20:21], exec
	s_and_b64 s[26:27], vcc, exec
	s_or_b64 s[20:21], s[20:21], s[26:27]
	s_or_b64 exec, exec, s[22:23]
	v_mov_b32_e32 v13, 0
	s_and_saveexec_b64 s[22:23], s[20:21]
	s_cbranch_execnz .LBB304_1536
	s_branch .LBB304_1537
.LBB304_1989:
	s_trap 2
	s_or_b64 s[18:19], s[18:19], exec
	s_cbranch_execz .LBB304_1583
	s_branch .LBB304_1584
.LBB304_1990:
	s_andn2_saveexec_b64 s[20:21], s[20:21]
	s_cbranch_execz .LBB304_1548
.LBB304_1991:
	s_mov_b32 s22, 0x42800000
	v_add_f32_e64 v12, |v1|, s22
	v_and_b32_e32 v12, 0xff, v12
	v_cmp_ne_u32_e32 vcc, 0, v12
	s_andn2_b64 s[6:7], s[6:7], exec
	s_and_b64 s[22:23], vcc, exec
	s_or_b64 s[6:7], s[6:7], s[22:23]
	s_or_b64 exec, exec, s[20:21]
	v_mov_b32_e32 v13, 0
	s_and_saveexec_b64 s[20:21], s[6:7]
	s_cbranch_execnz .LBB304_1549
	s_branch .LBB304_1550
.LBB304_1992:
	s_andn2_saveexec_b64 s[20:21], s[20:21]
	s_cbranch_execz .LBB304_1654
.LBB304_1993:
	s_mov_b32 s25, 0x46000000
	v_add_f32_e64 v10, |v1|, s25
	v_and_b32_e32 v10, 0xff, v10
	v_cmp_ne_u32_e32 vcc, 0, v10
	s_andn2_b64 s[12:13], s[12:13], exec
	s_and_b64 s[26:27], vcc, exec
	s_or_b64 s[12:13], s[12:13], s[26:27]
	s_or_b64 exec, exec, s[20:21]
	v_mov_b32_e32 v11, 0
	s_and_saveexec_b64 s[20:21], s[12:13]
	s_cbranch_execnz .LBB304_1655
	s_branch .LBB304_1656
.LBB304_1994:
	s_trap 2
	s_or_b64 s[18:19], s[18:19], exec
	s_cbranch_execz .LBB304_1702
	s_branch .LBB304_1703
.LBB304_1995:
	s_andn2_saveexec_b64 s[12:13], s[12:13]
	s_cbranch_execz .LBB304_1667
.LBB304_1996:
	s_mov_b32 s20, 0x42800000
	v_add_f32_e64 v10, |v1|, s20
	v_and_b32_e32 v10, 0xff, v10
	v_cmp_ne_u32_e32 vcc, 0, v10
	s_andn2_b64 s[6:7], s[6:7], exec
	s_and_b64 s[20:21], vcc, exec
	s_or_b64 s[6:7], s[6:7], s[20:21]
	s_or_b64 exec, exec, s[12:13]
	v_mov_b32_e32 v11, 0
	s_and_saveexec_b64 s[12:13], s[6:7]
	s_cbranch_execnz .LBB304_1668
	s_branch .LBB304_1669
.LBB304_1997:
	s_andn2_saveexec_b64 s[20:21], s[20:21]
	s_cbranch_execz .LBB304_1773
.LBB304_1998:
	s_mov_b32 s25, 0x46000000
	v_add_f32_e64 v8, |v3|, s25
	v_and_b32_e32 v8, 0xff, v8
	v_cmp_ne_u32_e32 vcc, 0, v8
	s_andn2_b64 s[12:13], s[12:13], exec
	s_and_b64 s[26:27], vcc, exec
	s_or_b64 s[12:13], s[12:13], s[26:27]
	s_or_b64 exec, exec, s[20:21]
	v_mov_b32_e32 v9, 0
	s_and_saveexec_b64 s[20:21], s[12:13]
	s_cbranch_execnz .LBB304_1774
	s_branch .LBB304_1775
.LBB304_1999:
	s_trap 2
	s_or_b64 s[18:19], s[18:19], exec
	s_cbranch_execz .LBB304_1821
	s_branch .LBB304_1822
.LBB304_2000:
	s_andn2_saveexec_b64 s[12:13], s[12:13]
	s_cbranch_execz .LBB304_1786
.LBB304_2001:
	s_mov_b32 s20, 0x42800000
	v_add_f32_e64 v8, |v3|, s20
	v_and_b32_e32 v8, 0xff, v8
	v_cmp_ne_u32_e32 vcc, 0, v8
	s_andn2_b64 s[6:7], s[6:7], exec
	s_and_b64 s[20:21], vcc, exec
	s_or_b64 s[6:7], s[6:7], s[20:21]
	s_or_b64 exec, exec, s[12:13]
	v_mov_b32_e32 v9, 0
	s_and_saveexec_b64 s[12:13], s[6:7]
	s_cbranch_execnz .LBB304_1787
	s_branch .LBB304_1788
.LBB304_2002:
	s_andn2_saveexec_b64 s[8:9], s[8:9]
	s_cbranch_execz .LBB304_1893
.LBB304_2003:
	s_mov_b32 s11, 0x46000000
	v_add_f32_e64 v5, |v4|, s11
	v_and_b32_e32 v5, 0xff, v5
	v_cmp_ne_u32_e32 vcc, 0, v5
	s_andn2_b64 s[6:7], s[6:7], exec
	s_and_b64 s[12:13], vcc, exec
	s_or_b64 s[6:7], s[6:7], s[12:13]
	s_or_b64 exec, exec, s[8:9]
	v_mov_b32_e32 v6, 0
	s_and_saveexec_b64 s[8:9], s[6:7]
	s_cbranch_execnz .LBB304_1894
	s_branch .LBB304_1895
.LBB304_2004:
	s_mov_b64 s[2:3], 0
	s_or_b64 s[18:19], s[18:19], exec
	s_trap 2
	s_branch .LBB304_1939
.LBB304_2005:
	s_andn2_saveexec_b64 s[6:7], s[6:7]
	s_cbranch_execz .LBB304_1905
.LBB304_2006:
	s_mov_b32 s8, 0x42800000
	v_add_f32_e64 v5, |v4|, s8
	v_and_b32_e32 v5, 0xff, v5
	v_cmp_ne_u32_e32 vcc, 0, v5
	s_andn2_b64 s[4:5], s[4:5], exec
	s_and_b64 s[8:9], vcc, exec
	s_or_b64 s[4:5], s[4:5], s[8:9]
	s_or_b64 exec, exec, s[6:7]
	v_mov_b32_e32 v6, 0
	s_and_saveexec_b64 s[6:7], s[4:5]
	s_cbranch_execnz .LBB304_1906
	s_branch .LBB304_1907
	.section	.rodata,"a",@progbits
	.p2align	6, 0x0
	.amdhsa_kernel _ZN2at6native32elementwise_kernel_manual_unrollILi128ELi4EZNS0_15gpu_kernel_implIZZZNS0_17clamp_kernel_cudaERNS_18TensorIteratorBaseERKN3c106ScalarES8_ENKUlvE_clEvENKUlvE2_clEvEUllE_EEvS4_RKT_EUlibE_EEviT1_
		.amdhsa_group_segment_fixed_size 0
		.amdhsa_private_segment_fixed_size 0
		.amdhsa_kernarg_size 56
		.amdhsa_user_sgpr_count 2
		.amdhsa_user_sgpr_dispatch_ptr 0
		.amdhsa_user_sgpr_queue_ptr 0
		.amdhsa_user_sgpr_kernarg_segment_ptr 1
		.amdhsa_user_sgpr_dispatch_id 0
		.amdhsa_user_sgpr_kernarg_preload_length 0
		.amdhsa_user_sgpr_kernarg_preload_offset 0
		.amdhsa_user_sgpr_private_segment_size 0
		.amdhsa_uses_dynamic_stack 0
		.amdhsa_enable_private_segment 0
		.amdhsa_system_sgpr_workgroup_id_x 1
		.amdhsa_system_sgpr_workgroup_id_y 0
		.amdhsa_system_sgpr_workgroup_id_z 0
		.amdhsa_system_sgpr_workgroup_info 0
		.amdhsa_system_vgpr_workitem_id 0
		.amdhsa_next_free_vgpr 16
		.amdhsa_next_free_sgpr 50
		.amdhsa_accum_offset 16
		.amdhsa_reserve_vcc 1
		.amdhsa_float_round_mode_32 0
		.amdhsa_float_round_mode_16_64 0
		.amdhsa_float_denorm_mode_32 3
		.amdhsa_float_denorm_mode_16_64 3
		.amdhsa_dx10_clamp 1
		.amdhsa_ieee_mode 1
		.amdhsa_fp16_overflow 0
		.amdhsa_tg_split 0
		.amdhsa_exception_fp_ieee_invalid_op 0
		.amdhsa_exception_fp_denorm_src 0
		.amdhsa_exception_fp_ieee_div_zero 0
		.amdhsa_exception_fp_ieee_overflow 0
		.amdhsa_exception_fp_ieee_underflow 0
		.amdhsa_exception_fp_ieee_inexact 0
		.amdhsa_exception_int_div_zero 0
	.end_amdhsa_kernel
	.section	.text._ZN2at6native32elementwise_kernel_manual_unrollILi128ELi4EZNS0_15gpu_kernel_implIZZZNS0_17clamp_kernel_cudaERNS_18TensorIteratorBaseERKN3c106ScalarES8_ENKUlvE_clEvENKUlvE2_clEvEUllE_EEvS4_RKT_EUlibE_EEviT1_,"axG",@progbits,_ZN2at6native32elementwise_kernel_manual_unrollILi128ELi4EZNS0_15gpu_kernel_implIZZZNS0_17clamp_kernel_cudaERNS_18TensorIteratorBaseERKN3c106ScalarES8_ENKUlvE_clEvENKUlvE2_clEvEUllE_EEvS4_RKT_EUlibE_EEviT1_,comdat
.Lfunc_end304:
	.size	_ZN2at6native32elementwise_kernel_manual_unrollILi128ELi4EZNS0_15gpu_kernel_implIZZZNS0_17clamp_kernel_cudaERNS_18TensorIteratorBaseERKN3c106ScalarES8_ENKUlvE_clEvENKUlvE2_clEvEUllE_EEvS4_RKT_EUlibE_EEviT1_, .Lfunc_end304-_ZN2at6native32elementwise_kernel_manual_unrollILi128ELi4EZNS0_15gpu_kernel_implIZZZNS0_17clamp_kernel_cudaERNS_18TensorIteratorBaseERKN3c106ScalarES8_ENKUlvE_clEvENKUlvE2_clEvEUllE_EEvS4_RKT_EUlibE_EEviT1_
                                        ; -- End function
	.set _ZN2at6native32elementwise_kernel_manual_unrollILi128ELi4EZNS0_15gpu_kernel_implIZZZNS0_17clamp_kernel_cudaERNS_18TensorIteratorBaseERKN3c106ScalarES8_ENKUlvE_clEvENKUlvE2_clEvEUllE_EEvS4_RKT_EUlibE_EEviT1_.num_vgpr, 16
	.set _ZN2at6native32elementwise_kernel_manual_unrollILi128ELi4EZNS0_15gpu_kernel_implIZZZNS0_17clamp_kernel_cudaERNS_18TensorIteratorBaseERKN3c106ScalarES8_ENKUlvE_clEvENKUlvE2_clEvEUllE_EEvS4_RKT_EUlibE_EEviT1_.num_agpr, 0
	.set _ZN2at6native32elementwise_kernel_manual_unrollILi128ELi4EZNS0_15gpu_kernel_implIZZZNS0_17clamp_kernel_cudaERNS_18TensorIteratorBaseERKN3c106ScalarES8_ENKUlvE_clEvENKUlvE2_clEvEUllE_EEvS4_RKT_EUlibE_EEviT1_.numbered_sgpr, 50
	.set _ZN2at6native32elementwise_kernel_manual_unrollILi128ELi4EZNS0_15gpu_kernel_implIZZZNS0_17clamp_kernel_cudaERNS_18TensorIteratorBaseERKN3c106ScalarES8_ENKUlvE_clEvENKUlvE2_clEvEUllE_EEvS4_RKT_EUlibE_EEviT1_.num_named_barrier, 0
	.set _ZN2at6native32elementwise_kernel_manual_unrollILi128ELi4EZNS0_15gpu_kernel_implIZZZNS0_17clamp_kernel_cudaERNS_18TensorIteratorBaseERKN3c106ScalarES8_ENKUlvE_clEvENKUlvE2_clEvEUllE_EEvS4_RKT_EUlibE_EEviT1_.private_seg_size, 0
	.set _ZN2at6native32elementwise_kernel_manual_unrollILi128ELi4EZNS0_15gpu_kernel_implIZZZNS0_17clamp_kernel_cudaERNS_18TensorIteratorBaseERKN3c106ScalarES8_ENKUlvE_clEvENKUlvE2_clEvEUllE_EEvS4_RKT_EUlibE_EEviT1_.uses_vcc, 1
	.set _ZN2at6native32elementwise_kernel_manual_unrollILi128ELi4EZNS0_15gpu_kernel_implIZZZNS0_17clamp_kernel_cudaERNS_18TensorIteratorBaseERKN3c106ScalarES8_ENKUlvE_clEvENKUlvE2_clEvEUllE_EEvS4_RKT_EUlibE_EEviT1_.uses_flat_scratch, 0
	.set _ZN2at6native32elementwise_kernel_manual_unrollILi128ELi4EZNS0_15gpu_kernel_implIZZZNS0_17clamp_kernel_cudaERNS_18TensorIteratorBaseERKN3c106ScalarES8_ENKUlvE_clEvENKUlvE2_clEvEUllE_EEvS4_RKT_EUlibE_EEviT1_.has_dyn_sized_stack, 0
	.set _ZN2at6native32elementwise_kernel_manual_unrollILi128ELi4EZNS0_15gpu_kernel_implIZZZNS0_17clamp_kernel_cudaERNS_18TensorIteratorBaseERKN3c106ScalarES8_ENKUlvE_clEvENKUlvE2_clEvEUllE_EEvS4_RKT_EUlibE_EEviT1_.has_recursion, 0
	.set _ZN2at6native32elementwise_kernel_manual_unrollILi128ELi4EZNS0_15gpu_kernel_implIZZZNS0_17clamp_kernel_cudaERNS_18TensorIteratorBaseERKN3c106ScalarES8_ENKUlvE_clEvENKUlvE2_clEvEUllE_EEvS4_RKT_EUlibE_EEviT1_.has_indirect_call, 0
	.section	.AMDGPU.csdata,"",@progbits
; Kernel info:
; codeLenInByte = 41036
; TotalNumSgprs: 56
; NumVgprs: 16
; NumAgprs: 0
; TotalNumVgprs: 16
; ScratchSize: 0
; MemoryBound: 1
; FloatMode: 240
; IeeeMode: 1
; LDSByteSize: 0 bytes/workgroup (compile time only)
; SGPRBlocks: 6
; VGPRBlocks: 1
; NumSGPRsForWavesPerEU: 56
; NumVGPRsForWavesPerEU: 16
; AccumOffset: 16
; Occupancy: 8
; WaveLimiterHint : 0
; COMPUTE_PGM_RSRC2:SCRATCH_EN: 0
; COMPUTE_PGM_RSRC2:USER_SGPR: 2
; COMPUTE_PGM_RSRC2:TRAP_HANDLER: 0
; COMPUTE_PGM_RSRC2:TGID_X_EN: 1
; COMPUTE_PGM_RSRC2:TGID_Y_EN: 0
; COMPUTE_PGM_RSRC2:TGID_Z_EN: 0
; COMPUTE_PGM_RSRC2:TIDIG_COMP_CNT: 0
; COMPUTE_PGM_RSRC3_GFX90A:ACCUM_OFFSET: 3
; COMPUTE_PGM_RSRC3_GFX90A:TG_SPLIT: 0
	.section	.text._ZN2at6native32elementwise_kernel_manual_unrollILi128ELi4EZNS0_15gpu_kernel_implIZZZNS0_17clamp_kernel_cudaERNS_18TensorIteratorBaseERKN3c106ScalarES8_ENKUlvE_clEvENKUlvE2_clEvEUllE_EEvS4_RKT_EUlibE0_EEviT1_,"axG",@progbits,_ZN2at6native32elementwise_kernel_manual_unrollILi128ELi4EZNS0_15gpu_kernel_implIZZZNS0_17clamp_kernel_cudaERNS_18TensorIteratorBaseERKN3c106ScalarES8_ENKUlvE_clEvENKUlvE2_clEvEUllE_EEvS4_RKT_EUlibE0_EEviT1_,comdat
	.globl	_ZN2at6native32elementwise_kernel_manual_unrollILi128ELi4EZNS0_15gpu_kernel_implIZZZNS0_17clamp_kernel_cudaERNS_18TensorIteratorBaseERKN3c106ScalarES8_ENKUlvE_clEvENKUlvE2_clEvEUllE_EEvS4_RKT_EUlibE0_EEviT1_ ; -- Begin function _ZN2at6native32elementwise_kernel_manual_unrollILi128ELi4EZNS0_15gpu_kernel_implIZZZNS0_17clamp_kernel_cudaERNS_18TensorIteratorBaseERKN3c106ScalarES8_ENKUlvE_clEvENKUlvE2_clEvEUllE_EEvS4_RKT_EUlibE0_EEviT1_
	.p2align	8
	.type	_ZN2at6native32elementwise_kernel_manual_unrollILi128ELi4EZNS0_15gpu_kernel_implIZZZNS0_17clamp_kernel_cudaERNS_18TensorIteratorBaseERKN3c106ScalarES8_ENKUlvE_clEvENKUlvE2_clEvEUllE_EEvS4_RKT_EUlibE0_EEviT1_,@function
_ZN2at6native32elementwise_kernel_manual_unrollILi128ELi4EZNS0_15gpu_kernel_implIZZZNS0_17clamp_kernel_cudaERNS_18TensorIteratorBaseERKN3c106ScalarES8_ENKUlvE_clEvENKUlvE2_clEvEUllE_EEvS4_RKT_EUlibE0_EEviT1_: ; @_ZN2at6native32elementwise_kernel_manual_unrollILi128ELi4EZNS0_15gpu_kernel_implIZZZNS0_17clamp_kernel_cudaERNS_18TensorIteratorBaseERKN3c106ScalarES8_ENKUlvE_clEvENKUlvE2_clEvEUllE_EEvS4_RKT_EUlibE0_EEviT1_
; %bb.0:
	s_load_dword s74, s[0:1], 0x0
	s_load_dword s33, s[0:1], 0x8
	s_add_u32 s34, s0, 8
	s_addc_u32 s35, s1, 0
	v_lshl_or_b32 v12, s2, 9, v0
	v_or_b32_e32 v16, 0x180, v12
	s_waitcnt lgkmcnt(0)
	s_add_i32 s76, s33, -1
	s_cmp_gt_u32 s76, 1
	v_cmp_le_i32_e32 vcc, s74, v16
	s_cselect_b64 s[46:47], -1, 0
	s_mov_b64 s[44:45], 0
	s_mov_b64 s[24:25], 0
	s_and_saveexec_b64 s[2:3], vcc
	s_xor_b64 s[48:49], exec, s[2:3]
	s_cbranch_execz .LBB305_1074
; %bb.1:
	s_load_dwordx4 s[28:31], s[34:35], 0x4
	s_load_dwordx2 s[50:51], s[34:35], 0x14
	s_load_dword s77, s[34:35], 0x168
	s_cmp_lg_u32 s33, 0
	s_load_dwordx4 s[36:39], s[34:35], 0xc4
	s_load_dwordx8 s[4:11], s[34:35], 0x148
	s_cselect_b64 s[56:57], -1, 0
	s_add_u32 s54, s34, 0xc4
	s_addc_u32 s55, s35, 0
	s_min_u32 s79, s76, 15
	s_cmp_gt_u32 s33, 1
	s_cselect_b64 s[52:53], -1, 0
	s_waitcnt lgkmcnt(0)
	s_bfe_u32 s78, s77, 0x80008
	v_cmp_gt_i32_e32 vcc, s74, v12
	s_mov_b64 s[12:13], -1
	s_mov_b64 s[66:67], 0
	s_mov_b64 s[60:61], 0
	;; [unrolled: 1-line block ×3, first 2 shown]
	s_and_saveexec_b64 s[62:63], vcc
	s_cbranch_execz .LBB305_263
; %bb.2:
	s_andn2_b64 vcc, exec, s[46:47]
	s_cbranch_vccnz .LBB305_8
; %bb.3:
	s_andn2_b64 vcc, exec, s[56:57]
	s_cbranch_vccnz .LBB305_9
; %bb.4:
	s_add_i32 s61, s79, 1
	s_cmp_eq_u32 s76, 2
	s_cbranch_scc1 .LBB305_10
; %bb.5:
	s_and_b32 s60, s61, 28
	s_mov_b32 s64, 0
	v_mov_b32_e32 v0, 0
	v_mov_b32_e32 v2, 0
	s_mov_b64 s[2:3], s[34:35]
	s_mov_b64 s[58:59], s[54:55]
	v_mov_b32_e32 v4, v12
.LBB305_6:                              ; =>This Inner Loop Header: Depth=1
	s_load_dwordx8 s[20:27], s[2:3], 0x4
	s_load_dwordx4 s[40:43], s[2:3], 0x24
	s_load_dwordx8 s[12:19], s[58:59], 0x0
	s_add_u32 s2, s2, 48
	s_addc_u32 s3, s3, 0
	s_waitcnt lgkmcnt(0)
	v_mul_hi_u32 v1, s21, v4
	v_add_u32_e32 v1, v4, v1
	v_lshrrev_b32_e32 v1, s22, v1
	v_mul_lo_u32 v3, v1, s20
	v_mul_hi_u32 v5, s24, v1
	v_sub_u32_e32 v3, v4, v3
	v_add_u32_e32 v4, v1, v5
	v_lshrrev_b32_e32 v4, s25, v4
	v_mul_lo_u32 v6, v4, s23
	v_mul_hi_u32 v7, s27, v4
	v_sub_u32_e32 v1, v1, v6
	v_add_u32_e32 v6, v4, v7
	v_mul_lo_u32 v5, v3, s13
	v_mul_lo_u32 v3, v3, s12
	;; [unrolled: 1-line block ×4, first 2 shown]
	v_lshrrev_b32_e32 v6, s40, v6
	v_add3_u32 v0, v3, v0, v1
	v_mul_hi_u32 v3, s42, v6
	v_add3_u32 v1, v5, v2, v7
	v_mul_lo_u32 v2, v6, s26
	v_add_u32_e32 v3, v6, v3
	v_sub_u32_e32 v2, v4, v2
	v_lshrrev_b32_e32 v4, s43, v3
	s_add_i32 s64, s64, 4
	v_mul_lo_u32 v3, v4, s41
	s_add_u32 s58, s58, 32
	v_sub_u32_e32 v3, v6, v3
	s_addc_u32 s59, s59, 0
	v_mul_lo_u32 v5, v2, s16
	v_mul_lo_u32 v2, v2, s17
	;; [unrolled: 1-line block ×4, first 2 shown]
	s_cmp_lg_u32 s60, s64
	v_add3_u32 v2, v2, v1, v3
	v_add3_u32 v0, v5, v0, v6
	s_cbranch_scc1 .LBB305_6
; %bb.7:
	v_mov_b32_e32 v1, v2
	s_branch .LBB305_11
.LBB305_8:
                                        ; implicit-def: $vgpr2
                                        ; implicit-def: $vgpr0
	s_branch .LBB305_15
.LBB305_9:
	v_mov_b32_e32 v2, 0
	v_mov_b32_e32 v0, 0
	s_branch .LBB305_14
.LBB305_10:
	v_mov_b32_e32 v0, 0
	s_mov_b32 s60, 0
	v_mov_b32_e32 v1, v0
                                        ; implicit-def: $vgpr2
	v_mov_b32_e32 v4, v12
.LBB305_11:
	s_and_b32 s14, s61, 3
	s_cmp_eq_u32 s14, 0
	s_cbranch_scc1 .LBB305_14
; %bb.12:
	s_lshl_b32 s2, s60, 3
	s_add_u32 s2, s34, s2
	s_addc_u32 s3, s35, 0
	s_add_u32 s2, s2, 0xc4
	s_addc_u32 s3, s3, 0
	s_mul_i32 s12, s60, 12
	s_add_u32 s12, s34, s12
	s_addc_u32 s13, s35, 0
.LBB305_13:                             ; =>This Inner Loop Header: Depth=1
	s_load_dwordx2 s[16:17], s[12:13], 0x4
	s_load_dword s15, s[12:13], 0xc
	s_load_dwordx2 s[18:19], s[2:3], 0x0
	v_mov_b32_e32 v2, v1
	s_add_u32 s12, s12, 12
	s_waitcnt lgkmcnt(0)
	v_mul_hi_u32 v1, s17, v4
	v_add_u32_e32 v1, v4, v1
	v_lshrrev_b32_e32 v1, s15, v1
	s_addc_u32 s13, s13, 0
	v_mul_lo_u32 v3, v1, s16
	s_add_u32 s2, s2, 8
	v_sub_u32_e32 v5, v4, v3
	s_addc_u32 s3, s3, 0
	s_add_i32 s14, s14, -1
	v_mov_b32_e32 v4, v1
	v_mad_u64_u32 v[2:3], s[16:17], v5, s19, v[2:3]
	v_mad_u64_u32 v[0:1], s[16:17], v5, s18, v[0:1]
	s_cmp_lg_u32 s14, 0
	v_mov_b32_e32 v1, v2
	s_cbranch_scc1 .LBB305_13
.LBB305_14:
	s_cbranch_execnz .LBB305_17
.LBB305_15:
	v_mul_hi_u32 v0, s29, v12
	v_add_u32_e32 v0, v12, v0
	v_lshrrev_b32_e32 v1, s30, v0
	v_mul_lo_u32 v0, v1, s28
	v_sub_u32_e32 v0, v12, v0
	v_mul_lo_u32 v2, v0, s37
	s_andn2_b64 vcc, exec, s[52:53]
	v_mul_lo_u32 v0, v0, s36
	s_cbranch_vccnz .LBB305_17
; %bb.16:
	v_mul_hi_u32 v3, s50, v1
	v_add_u32_e32 v3, v1, v3
	v_lshrrev_b32_e32 v3, s51, v3
	v_mul_lo_u32 v3, v3, s31
	v_sub_u32_e32 v3, v1, v3
	v_mad_u64_u32 v[0:1], s[2:3], v3, s38, v[0:1]
	v_mad_u64_u32 v[2:3], s[2:3], v3, s39, v[2:3]
.LBB305_17:
	v_mov_b32_e32 v3, 0
	s_and_b32 s16, 0xffff, s78
	s_cmp_lt_i32 s16, 11
	v_lshl_add_u64 v[2:3], s[6:7], 0, v[2:3]
	s_cbranch_scc1 .LBB305_24
; %bb.18:
	s_cmp_gt_i32 s16, 25
	s_cbranch_scc0 .LBB305_33
; %bb.19:
	s_cmp_gt_i32 s16, 28
	s_cbranch_scc0 .LBB305_36
	;; [unrolled: 3-line block ×4, first 2 shown]
; %bb.22:
	s_cmp_eq_u32 s16, 46
	s_mov_b64 s[14:15], 0
	s_cbranch_scc0 .LBB305_42
; %bb.23:
	global_load_dword v1, v[2:3], off
	s_mov_b32 s2, 0x2f800000
	s_mov_b32 s3, 0xcf800000
	s_mov_b64 s[12:13], 0
	s_waitcnt vmcnt(0)
	v_lshlrev_b32_e32 v1, 16, v1
	v_trunc_f32_e32 v1, v1
	v_mul_f32_e64 v4, |v1|, s2
	v_floor_f32_e32 v4, v4
	v_fma_f32 v5, v4, s3, |v1|
	v_cvt_u32_f32_e32 v4, v4
	v_cvt_u32_f32_e32 v5, v5
	v_ashrrev_i32_e32 v1, 31, v1
	s_mov_b64 s[2:3], -1
	v_xor_b32_e32 v6, v4, v1
	v_xor_b32_e32 v4, v5, v1
	v_sub_co_u32_e32 v4, vcc, v4, v1
	s_nop 1
	v_subb_co_u32_e32 v5, vcc, v6, v1, vcc
	s_branch .LBB305_44
.LBB305_24:
	s_mov_b64 s[12:13], 0
                                        ; implicit-def: $vgpr4_vgpr5
	s_mov_b64 s[2:3], 0
	s_cbranch_execnz .LBB305_213
.LBB305_25:
	s_andn2_b64 vcc, exec, s[2:3]
	s_cbranch_vccnz .LBB305_260
.LBB305_26:
	v_mov_b32_e32 v1, s9
	s_waitcnt vmcnt(0)
	v_cmp_lt_i64_e32 vcc, s[8:9], v[4:5]
	s_and_b32 s20, s77, 0xff
	s_cmp_lt_i32 s20, 11
	v_cndmask_b32_e32 v3, v1, v5, vcc
	v_mov_b32_e32 v1, s8
	v_cndmask_b32_e32 v2, v1, v4, vcc
	v_mov_b32_e32 v1, s11
	v_cmp_gt_i64_e32 vcc, s[10:11], v[2:3]
	s_nop 1
	v_cndmask_b32_e32 v3, v1, v3, vcc
	v_mov_b32_e32 v1, s10
	v_cndmask_b32_e32 v2, v1, v2, vcc
	v_mov_b32_e32 v1, 0
	v_lshl_add_u64 v[0:1], s[4:5], 0, v[0:1]
	s_cbranch_scc1 .LBB305_34
; %bb.27:
	s_and_b32 s21, 0xffff, s20
	s_cmp_gt_i32 s21, 25
	s_cbranch_scc0 .LBB305_37
; %bb.28:
	s_cmp_gt_i32 s21, 28
	s_cbranch_scc0 .LBB305_39
; %bb.29:
	;; [unrolled: 3-line block ×4, first 2 shown]
	s_mov_b64 s[16:17], 0
	s_mov_b64 s[2:3], -1
	s_cmp_eq_u32 s21, 46
	s_mov_b64 s[14:15], 0
	s_cbranch_scc0 .LBB305_48
; %bb.32:
	v_xor_b32_e32 v5, v2, v3
	v_ffbh_i32_e32 v4, v3
	v_ashrrev_i32_e32 v5, 31, v5
	v_add_u32_e32 v4, -1, v4
	v_add_u32_e32 v5, 32, v5
	v_min_u32_e32 v6, v4, v5
	v_lshlrev_b64 v[4:5], v6, v[2:3]
	v_min_u32_e32 v4, 1, v4
	v_or_b32_e32 v4, v5, v4
	v_cvt_f32_i32_e32 v4, v4
	v_sub_u32_e32 v5, 32, v6
	s_movk_i32 s2, 0x7fff
	s_mov_b64 s[14:15], -1
	v_ldexp_f32 v4, v4, v5
	v_bfe_u32 v5, v4, 16, 1
	v_add3_u32 v4, v4, v5, s2
	v_lshrrev_b32_e32 v4, 16, v4
	global_store_dword v[0:1], v4, off
	s_mov_b64 s[2:3], 0
	s_branch .LBB305_48
.LBB305_33:
	s_mov_b64 s[12:13], 0
	s_mov_b64 s[2:3], 0
                                        ; implicit-def: $vgpr4_vgpr5
	s_cbranch_execnz .LBB305_180
	s_branch .LBB305_212
.LBB305_34:
	s_mov_b64 s[2:3], 0
	s_mov_b64 s[14:15], 0
	s_cbranch_execnz .LBB305_117
.LBB305_35:
	s_andn2_b64 vcc, exec, s[14:15]
	s_cbranch_vccnz .LBB305_261
	s_branch .LBB305_155
.LBB305_36:
	s_mov_b64 s[14:15], -1
	s_mov_b64 s[12:13], 0
	s_mov_b64 s[2:3], 0
                                        ; implicit-def: $vgpr4_vgpr5
	s_branch .LBB305_163
.LBB305_37:
	s_mov_b64 s[16:17], -1
	s_mov_b64 s[2:3], 0
	s_mov_b64 s[14:15], 0
	s_branch .LBB305_75
.LBB305_38:
	s_mov_b64 s[14:15], -1
	s_mov_b64 s[12:13], 0
	s_mov_b64 s[2:3], 0
                                        ; implicit-def: $vgpr4_vgpr5
	s_branch .LBB305_158
.LBB305_39:
	s_mov_b64 s[16:17], -1
	s_mov_b64 s[2:3], 0
	s_mov_b64 s[14:15], 0
	s_branch .LBB305_58
.LBB305_40:
	s_mov_b64 s[14:15], -1
	s_mov_b64 s[12:13], 0
	s_branch .LBB305_43
.LBB305_41:
	s_mov_b64 s[16:17], -1
	s_mov_b64 s[2:3], 0
	s_mov_b64 s[14:15], 0
	s_branch .LBB305_54
.LBB305_42:
	s_mov_b64 s[12:13], -1
.LBB305_43:
	s_mov_b64 s[2:3], 0
                                        ; implicit-def: $vgpr4_vgpr5
.LBB305_44:
	s_and_b64 vcc, exec, s[14:15]
	s_cbranch_vccz .LBB305_157
; %bb.45:
	s_cmp_eq_u32 s16, 44
	s_cbranch_scc0 .LBB305_156
; %bb.46:
	global_load_ubyte v1, v[2:3], off
	s_mov_b32 s2, 0x2f800000
	s_mov_b32 s3, 0xcf800000
	s_mov_b64 s[12:13], 0
	s_waitcnt vmcnt(0)
	v_lshlrev_b32_e32 v4, 23, v1
	v_trunc_f32_e32 v4, v4
	v_mul_f32_e64 v5, |v4|, s2
	v_floor_f32_e32 v5, v5
	v_fma_f32 v6, v5, s3, |v4|
	v_cvt_u32_f32_e32 v6, v6
	v_cvt_u32_f32_e32 v5, v5
	v_ashrrev_i32_e32 v4, 31, v4
	s_mov_b64 s[2:3], -1
	v_xor_b32_e32 v6, v6, v4
	v_xor_b32_e32 v5, v5, v4
	v_sub_co_u32_e32 v6, vcc, v6, v4
	s_nop 1
	v_subb_co_u32_e32 v4, vcc, v5, v4, vcc
	v_cmp_ne_u32_e32 vcc, 0, v1
	s_nop 1
	v_cndmask_b32_e32 v5, 0, v4, vcc
	v_cndmask_b32_e32 v4, 0, v6, vcc
	s_branch .LBB305_157
.LBB305_47:
	s_mov_b64 s[16:17], -1
	s_mov_b64 s[2:3], 0
	s_mov_b64 s[14:15], 0
.LBB305_48:
	s_and_b64 vcc, exec, s[16:17]
	s_cbranch_vccz .LBB305_53
; %bb.49:
	s_cmp_eq_u32 s21, 44
	s_mov_b64 s[2:3], -1
	s_cbranch_scc0 .LBB305_53
; %bb.50:
	v_xor_b32_e32 v5, v2, v3
	v_ffbh_i32_e32 v4, v3
	v_ashrrev_i32_e32 v5, 31, v5
	v_add_u32_e32 v4, -1, v4
	v_add_u32_e32 v5, 32, v5
	v_min_u32_e32 v6, v4, v5
	v_lshlrev_b64 v[4:5], v6, v[2:3]
	v_min_u32_e32 v4, 1, v4
	v_or_b32_e32 v4, v5, v4
	v_cvt_f32_i32_e32 v4, v4
	v_sub_u32_e32 v5, 32, v6
	s_movk_i32 s2, 0xff
	v_mov_b32_e32 v6, 0xff
	v_ldexp_f32 v4, v4, v5
	v_bfe_u32 v5, v4, 23, 8
	v_cmp_ne_u32_e32 vcc, s2, v5
	s_and_saveexec_b64 s[14:15], vcc
; %bb.51:
	s_mov_b32 s2, 0x3fffff
	v_lshrrev_b32_e32 v6, 23, v4
	v_and_b32_e32 v7, 0x400000, v4
	v_and_or_b32 v4, v4, s2, v5
	v_cmp_ne_u32_e32 vcc, 0, v7
	v_cmp_ne_u32_e64 s[2:3], 0, v4
	s_and_b64 s[2:3], vcc, s[2:3]
	s_nop 0
	v_cndmask_b32_e64 v4, 0, 1, s[2:3]
	v_add_u32_e32 v6, v6, v4
; %bb.52:
	s_or_b64 exec, exec, s[14:15]
	s_mov_b64 s[14:15], -1
	s_mov_b64 s[2:3], 0
	global_store_byte v[0:1], v6, off
.LBB305_53:
	s_mov_b64 s[16:17], 0
.LBB305_54:
	s_and_b64 vcc, exec, s[16:17]
	s_cbranch_vccz .LBB305_57
; %bb.55:
	s_cmp_eq_u32 s21, 29
	s_mov_b64 s[2:3], -1
	s_cbranch_scc0 .LBB305_57
; %bb.56:
	global_store_dwordx2 v[0:1], v[2:3], off
	s_mov_b64 s[14:15], -1
	s_mov_b64 s[2:3], 0
.LBB305_57:
	s_mov_b64 s[16:17], 0
.LBB305_58:
	s_and_b64 vcc, exec, s[16:17]
	s_cbranch_vccz .LBB305_74
; %bb.59:
	s_cmp_lt_i32 s21, 27
	s_mov_b64 s[14:15], -1
	s_cbranch_scc1 .LBB305_65
; %bb.60:
	s_cmp_gt_i32 s21, 27
	s_cbranch_scc0 .LBB305_62
; %bb.61:
	s_mov_b64 s[14:15], 0
	global_store_dword v[0:1], v2, off
.LBB305_62:
	s_andn2_b64 vcc, exec, s[14:15]
	s_cbranch_vccnz .LBB305_64
; %bb.63:
	global_store_short v[0:1], v2, off
.LBB305_64:
	s_mov_b64 s[14:15], 0
.LBB305_65:
	s_andn2_b64 vcc, exec, s[14:15]
	s_cbranch_vccnz .LBB305_73
; %bb.66:
	v_xor_b32_e32 v5, v2, v3
	v_ffbh_i32_e32 v4, v3
	v_ashrrev_i32_e32 v5, 31, v5
	v_add_u32_e32 v4, -1, v4
	v_add_u32_e32 v5, 32, v5
	v_min_u32_e32 v6, v4, v5
	v_lshlrev_b64 v[4:5], v6, v[2:3]
	v_min_u32_e32 v4, 1, v4
	v_or_b32_e32 v4, v5, v4
	v_cvt_f32_i32_e32 v4, v4
	v_sub_u32_e32 v5, 32, v6
	s_mov_b32 s14, 0x43800000
	v_mov_b32_e32 v6, 0x80
	v_ldexp_f32 v4, v4, v5
	v_and_b32_e32 v5, 0x7fffffff, v4
	v_cmp_gt_u32_e32 vcc, s14, v5
	s_and_saveexec_b64 s[14:15], vcc
	s_cbranch_execz .LBB305_72
; %bb.67:
	s_mov_b32 s16, 0x3bffffff
	v_cmp_lt_u32_e32 vcc, s16, v5
	s_mov_b64 s[16:17], 0
                                        ; implicit-def: $vgpr5
	s_and_saveexec_b64 s[18:19], vcc
	s_xor_b64 s[18:19], exec, s[18:19]
	s_cbranch_execz .LBB305_305
; %bb.68:
	v_bfe_u32 v5, v4, 20, 1
	s_mov_b32 s22, 0x487ffff
	v_add3_u32 v5, v4, v5, s22
	s_mov_b64 s[16:17], exec
	v_lshrrev_b32_e32 v5, 20, v5
	s_andn2_saveexec_b64 s[18:19], s[18:19]
	s_cbranch_execnz .LBB305_306
.LBB305_69:
	s_or_b64 exec, exec, s[18:19]
	v_mov_b32_e32 v6, 0
	s_and_saveexec_b64 s[18:19], s[16:17]
.LBB305_70:
	v_lshrrev_b32_e32 v4, 24, v4
	s_movk_i32 s16, 0x80
	v_and_or_b32 v6, v4, s16, v5
.LBB305_71:
	s_or_b64 exec, exec, s[18:19]
.LBB305_72:
	s_or_b64 exec, exec, s[14:15]
	global_store_byte v[0:1], v6, off
.LBB305_73:
	s_mov_b64 s[14:15], -1
.LBB305_74:
	s_mov_b64 s[16:17], 0
.LBB305_75:
	s_and_b64 vcc, exec, s[16:17]
	s_cbranch_vccz .LBB305_116
; %bb.76:
	s_cmp_gt_i32 s21, 22
	s_mov_b64 s[16:17], -1
	s_cbranch_scc0 .LBB305_108
; %bb.77:
	s_cmp_lt_i32 s21, 24
	s_mov_b64 s[14:15], -1
	s_cbranch_scc1 .LBB305_97
; %bb.78:
	s_cmp_gt_i32 s21, 24
	s_cbranch_scc0 .LBB305_86
; %bb.79:
	v_xor_b32_e32 v5, v2, v3
	v_ffbh_i32_e32 v4, v3
	v_ashrrev_i32_e32 v5, 31, v5
	v_add_u32_e32 v4, -1, v4
	v_add_u32_e32 v5, 32, v5
	v_min_u32_e32 v6, v4, v5
	v_lshlrev_b64 v[4:5], v6, v[2:3]
	v_min_u32_e32 v4, 1, v4
	v_or_b32_e32 v4, v5, v4
	v_cvt_f32_i32_e32 v4, v4
	v_sub_u32_e32 v5, 32, v6
	s_mov_b32 s14, 0x47800000
	v_mov_b32_e32 v6, 0x80
	v_ldexp_f32 v4, v4, v5
	v_and_b32_e32 v5, 0x7fffffff, v4
	v_cmp_gt_u32_e32 vcc, s14, v5
	s_and_saveexec_b64 s[14:15], vcc
	s_cbranch_execz .LBB305_85
; %bb.80:
	s_mov_b32 s16, 0x37ffffff
	v_cmp_lt_u32_e32 vcc, s16, v5
	s_mov_b64 s[16:17], 0
                                        ; implicit-def: $vgpr5
	s_and_saveexec_b64 s[18:19], vcc
	s_xor_b64 s[18:19], exec, s[18:19]
	s_cbranch_execz .LBB305_309
; %bb.81:
	v_bfe_u32 v5, v4, 21, 1
	s_mov_b32 s22, 0x88fffff
	v_add3_u32 v5, v4, v5, s22
	s_mov_b64 s[16:17], exec
	v_lshrrev_b32_e32 v5, 21, v5
	s_andn2_saveexec_b64 s[18:19], s[18:19]
	s_cbranch_execnz .LBB305_310
.LBB305_82:
	s_or_b64 exec, exec, s[18:19]
	v_mov_b32_e32 v6, 0
	s_and_saveexec_b64 s[18:19], s[16:17]
.LBB305_83:
	v_lshrrev_b32_e32 v4, 24, v4
	s_movk_i32 s16, 0x80
	v_and_or_b32 v6, v4, s16, v5
.LBB305_84:
	s_or_b64 exec, exec, s[18:19]
.LBB305_85:
	s_or_b64 exec, exec, s[14:15]
	s_mov_b64 s[14:15], 0
	global_store_byte v[0:1], v6, off
.LBB305_86:
	s_and_b64 vcc, exec, s[14:15]
	s_cbranch_vccz .LBB305_96
; %bb.87:
	v_xor_b32_e32 v5, v2, v3
	v_ffbh_i32_e32 v4, v3
	v_ashrrev_i32_e32 v5, 31, v5
	v_add_u32_e32 v4, -1, v4
	v_add_u32_e32 v5, 32, v5
	v_min_u32_e32 v6, v4, v5
	v_lshlrev_b64 v[4:5], v6, v[2:3]
	v_min_u32_e32 v4, 1, v4
	v_or_b32_e32 v4, v5, v4
	v_cvt_f32_i32_e32 v4, v4
	v_sub_u32_e32 v5, 32, v6
	s_mov_b32 s14, 0x43f00000
	v_ldexp_f32 v4, v4, v5
	v_and_b32_e32 v6, 0x7fffffff, v4
	v_cmp_gt_u32_e32 vcc, s14, v6
                                        ; implicit-def: $vgpr5
	s_and_saveexec_b64 s[14:15], vcc
	s_xor_b64 s[14:15], exec, s[14:15]
	s_cbranch_execz .LBB305_93
; %bb.88:
	s_mov_b32 s16, 0x3c7fffff
	v_cmp_lt_u32_e32 vcc, s16, v6
                                        ; implicit-def: $vgpr5
	s_and_saveexec_b64 s[16:17], vcc
	s_xor_b64 s[16:17], exec, s[16:17]
; %bb.89:
	v_bfe_u32 v5, v4, 20, 1
	s_mov_b32 s18, 0x407ffff
	v_add3_u32 v5, v4, v5, s18
	v_lshrrev_b32_e32 v6, 20, v5
	v_and_b32_e32 v5, 0xff00000, v5
	s_mov_b32 s18, 0x7f00000
	v_mov_b32_e32 v7, 0x7e
	v_cmp_ne_u32_e32 vcc, s18, v5
	s_nop 1
	v_cndmask_b32_e32 v5, v7, v6, vcc
; %bb.90:
	s_andn2_saveexec_b64 s[16:17], s[16:17]
; %bb.91:
	s_mov_b32 s18, 0x46800000
	v_add_f32_e64 v5, |v4|, s18
; %bb.92:
	s_or_b64 exec, exec, s[16:17]
                                        ; implicit-def: $vgpr6
.LBB305_93:
	s_andn2_saveexec_b64 s[14:15], s[14:15]
; %bb.94:
	s_mov_b32 s16, 0x7f800000
	v_mov_b32_e32 v5, 0x7e
	v_mov_b32_e32 v7, 0x7f
	v_cmp_lt_u32_e32 vcc, s16, v6
	s_nop 1
	v_cndmask_b32_e32 v5, v5, v7, vcc
; %bb.95:
	s_or_b64 exec, exec, s[14:15]
	v_lshrrev_b32_e32 v4, 24, v4
	s_movk_i32 s14, 0x80
	v_and_or_b32 v4, v4, s14, v5
	global_store_byte v[0:1], v4, off
.LBB305_96:
	s_mov_b64 s[14:15], 0
.LBB305_97:
	s_andn2_b64 vcc, exec, s[14:15]
	s_cbranch_vccnz .LBB305_107
; %bb.98:
	v_xor_b32_e32 v5, v2, v3
	v_ffbh_i32_e32 v4, v3
	v_ashrrev_i32_e32 v5, 31, v5
	v_add_u32_e32 v4, -1, v4
	v_add_u32_e32 v5, 32, v5
	v_min_u32_e32 v6, v4, v5
	v_lshlrev_b64 v[4:5], v6, v[2:3]
	v_min_u32_e32 v4, 1, v4
	v_or_b32_e32 v4, v5, v4
	v_cvt_f32_i32_e32 v4, v4
	v_sub_u32_e32 v5, 32, v6
	s_mov_b32 s14, 0x47800000
	v_ldexp_f32 v4, v4, v5
	v_and_b32_e32 v6, 0x7fffffff, v4
	v_cmp_gt_u32_e32 vcc, s14, v6
                                        ; implicit-def: $vgpr5
	s_and_saveexec_b64 s[14:15], vcc
	s_xor_b64 s[14:15], exec, s[14:15]
	s_cbranch_execz .LBB305_104
; %bb.99:
	s_mov_b32 s16, 0x387fffff
	v_cmp_lt_u32_e32 vcc, s16, v6
                                        ; implicit-def: $vgpr5
	s_and_saveexec_b64 s[16:17], vcc
	s_xor_b64 s[16:17], exec, s[16:17]
; %bb.100:
	v_bfe_u32 v5, v4, 21, 1
	s_mov_b32 s18, 0x80fffff
	v_add3_u32 v5, v4, v5, s18
	v_lshrrev_b32_e32 v5, 21, v5
; %bb.101:
	s_andn2_saveexec_b64 s[16:17], s[16:17]
; %bb.102:
	s_mov_b32 s18, 0x43000000
	v_add_f32_e64 v5, |v4|, s18
; %bb.103:
	s_or_b64 exec, exec, s[16:17]
                                        ; implicit-def: $vgpr6
.LBB305_104:
	s_andn2_saveexec_b64 s[14:15], s[14:15]
; %bb.105:
	s_mov_b32 s16, 0x7f800000
	v_mov_b32_e32 v5, 0x7c
	v_mov_b32_e32 v7, 0x7f
	v_cmp_lt_u32_e32 vcc, s16, v6
	s_nop 1
	v_cndmask_b32_e32 v5, v5, v7, vcc
; %bb.106:
	s_or_b64 exec, exec, s[14:15]
	v_lshrrev_b32_e32 v4, 24, v4
	s_movk_i32 s14, 0x80
	v_and_or_b32 v4, v4, s14, v5
	global_store_byte v[0:1], v4, off
.LBB305_107:
	s_mov_b64 s[16:17], 0
	s_mov_b64 s[14:15], -1
.LBB305_108:
	s_andn2_b64 vcc, exec, s[16:17]
	s_cbranch_vccnz .LBB305_116
; %bb.109:
	s_cmp_gt_i32 s21, 14
	s_mov_b64 s[16:17], -1
	s_cbranch_scc0 .LBB305_113
; %bb.110:
	s_cmp_eq_u32 s21, 15
	s_mov_b64 s[2:3], -1
	s_cbranch_scc0 .LBB305_112
; %bb.111:
	v_xor_b32_e32 v5, v2, v3
	v_ffbh_i32_e32 v4, v3
	v_ashrrev_i32_e32 v5, 31, v5
	v_add_u32_e32 v4, -1, v4
	v_add_u32_e32 v5, 32, v5
	v_min_u32_e32 v6, v4, v5
	v_lshlrev_b64 v[4:5], v6, v[2:3]
	v_min_u32_e32 v4, 1, v4
	v_or_b32_e32 v4, v5, v4
	v_cvt_f32_i32_e32 v4, v4
	v_sub_u32_e32 v5, 32, v6
	s_movk_i32 s2, 0x7fff
	s_mov_b64 s[14:15], -1
	v_ldexp_f32 v4, v4, v5
	v_bfe_u32 v5, v4, 16, 1
	v_add3_u32 v4, v4, v5, s2
	global_store_short_d16_hi v[0:1], v4, off
	s_mov_b64 s[2:3], 0
.LBB305_112:
	s_mov_b64 s[16:17], 0
.LBB305_113:
	s_and_b64 vcc, exec, s[16:17]
	s_cbranch_vccz .LBB305_116
; %bb.114:
	s_cmp_eq_u32 s21, 11
	s_mov_b64 s[2:3], -1
	s_cbranch_scc0 .LBB305_116
; %bb.115:
	v_cmp_ne_u64_e32 vcc, 0, v[2:3]
	s_mov_b64 s[2:3], 0
	s_mov_b64 s[14:15], -1
	v_cndmask_b32_e64 v4, 0, 1, vcc
	global_store_byte v[0:1], v4, off
.LBB305_116:
	s_branch .LBB305_35
.LBB305_117:
	s_and_b32 s16, 0xffff, s20
	s_cmp_lt_i32 s16, 5
	s_mov_b64 s[14:15], -1
	s_cbranch_scc1 .LBB305_138
; %bb.118:
	s_cmp_lt_i32 s16, 8
	s_cbranch_scc1 .LBB305_128
; %bb.119:
	s_cmp_lt_i32 s16, 9
	s_cbranch_scc1 .LBB305_125
; %bb.120:
	s_cmp_gt_i32 s16, 9
	s_cbranch_scc0 .LBB305_122
; %bb.121:
	v_cvt_f64_i32_e32 v[4:5], v3
	v_ldexp_f64 v[4:5], v[4:5], 32
	v_cvt_f64_u32_e32 v[6:7], v2
	v_add_f64 v[4:5], v[4:5], v[6:7]
	v_mov_b32_e32 v6, 0
	v_mov_b32_e32 v7, v6
	global_store_dwordx4 v[0:1], v[4:7], off
	s_mov_b64 s[14:15], 0
.LBB305_122:
	s_andn2_b64 vcc, exec, s[14:15]
	s_cbranch_vccnz .LBB305_124
; %bb.123:
	v_xor_b32_e32 v5, v2, v3
	v_ffbh_i32_e32 v4, v3
	v_ashrrev_i32_e32 v5, 31, v5
	v_add_u32_e32 v4, -1, v4
	v_add_u32_e32 v5, 32, v5
	v_min_u32_e32 v6, v4, v5
	v_lshlrev_b64 v[4:5], v6, v[2:3]
	v_min_u32_e32 v4, 1, v4
	v_or_b32_e32 v4, v5, v4
	v_cvt_f32_i32_e32 v4, v4
	v_sub_u32_e32 v5, 32, v6
	v_ldexp_f32 v4, v4, v5
	v_mov_b32_e32 v5, 0
	global_store_dwordx2 v[0:1], v[4:5], off
.LBB305_124:
	s_mov_b64 s[14:15], 0
.LBB305_125:
	s_andn2_b64 vcc, exec, s[14:15]
	s_cbranch_vccnz .LBB305_127
; %bb.126:
	v_xor_b32_e32 v5, v2, v3
	v_ffbh_i32_e32 v4, v3
	v_ashrrev_i32_e32 v5, 31, v5
	v_add_u32_e32 v4, -1, v4
	v_add_u32_e32 v5, 32, v5
	v_min_u32_e32 v6, v4, v5
	v_lshlrev_b64 v[4:5], v6, v[2:3]
	v_min_u32_e32 v4, 1, v4
	v_or_b32_e32 v4, v5, v4
	v_cvt_f32_i32_e32 v4, v4
	v_sub_u32_e32 v5, 32, v6
	v_ldexp_f32 v4, v4, v5
	v_cvt_f16_f32_e32 v4, v4
	global_store_dword v[0:1], v4, off
.LBB305_127:
	s_mov_b64 s[14:15], 0
.LBB305_128:
	s_andn2_b64 vcc, exec, s[14:15]
	s_cbranch_vccnz .LBB305_137
; %bb.129:
	s_cmp_lt_i32 s16, 6
	s_mov_b64 s[14:15], -1
	s_cbranch_scc1 .LBB305_135
; %bb.130:
	s_cmp_gt_i32 s16, 6
	s_cbranch_scc0 .LBB305_132
; %bb.131:
	v_cvt_f64_i32_e32 v[4:5], v3
	v_ldexp_f64 v[4:5], v[4:5], 32
	v_cvt_f64_u32_e32 v[6:7], v2
	v_add_f64 v[4:5], v[4:5], v[6:7]
	global_store_dwordx2 v[0:1], v[4:5], off
	s_mov_b64 s[14:15], 0
.LBB305_132:
	s_andn2_b64 vcc, exec, s[14:15]
	s_cbranch_vccnz .LBB305_134
; %bb.133:
	v_xor_b32_e32 v5, v2, v3
	v_ffbh_i32_e32 v4, v3
	v_ashrrev_i32_e32 v5, 31, v5
	v_add_u32_e32 v4, -1, v4
	v_add_u32_e32 v5, 32, v5
	v_min_u32_e32 v6, v4, v5
	v_lshlrev_b64 v[4:5], v6, v[2:3]
	v_min_u32_e32 v4, 1, v4
	v_or_b32_e32 v4, v5, v4
	v_cvt_f32_i32_e32 v4, v4
	v_sub_u32_e32 v5, 32, v6
	v_ldexp_f32 v4, v4, v5
	global_store_dword v[0:1], v4, off
.LBB305_134:
	s_mov_b64 s[14:15], 0
.LBB305_135:
	s_andn2_b64 vcc, exec, s[14:15]
	s_cbranch_vccnz .LBB305_137
; %bb.136:
	v_xor_b32_e32 v5, v2, v3
	v_ffbh_i32_e32 v4, v3
	v_ashrrev_i32_e32 v5, 31, v5
	v_add_u32_e32 v4, -1, v4
	v_add_u32_e32 v5, 32, v5
	v_min_u32_e32 v6, v4, v5
	v_lshlrev_b64 v[4:5], v6, v[2:3]
	v_min_u32_e32 v4, 1, v4
	v_or_b32_e32 v4, v5, v4
	v_cvt_f32_i32_e32 v4, v4
	v_sub_u32_e32 v5, 32, v6
	v_ldexp_f32 v4, v4, v5
	v_cvt_f16_f32_e32 v4, v4
	global_store_short v[0:1], v4, off
.LBB305_137:
	s_mov_b64 s[14:15], 0
.LBB305_138:
	s_andn2_b64 vcc, exec, s[14:15]
	s_cbranch_vccnz .LBB305_154
; %bb.139:
	s_cmp_lt_i32 s16, 2
	s_mov_b64 s[14:15], -1
	s_cbranch_scc1 .LBB305_149
; %bb.140:
	s_cmp_lt_i32 s16, 3
	s_cbranch_scc1 .LBB305_146
; %bb.141:
	s_cmp_gt_i32 s16, 3
	s_cbranch_scc0 .LBB305_143
; %bb.142:
	global_store_dwordx2 v[0:1], v[2:3], off
	s_mov_b64 s[14:15], 0
.LBB305_143:
	s_andn2_b64 vcc, exec, s[14:15]
	s_cbranch_vccnz .LBB305_145
; %bb.144:
	global_store_dword v[0:1], v2, off
.LBB305_145:
	s_mov_b64 s[14:15], 0
.LBB305_146:
	s_andn2_b64 vcc, exec, s[14:15]
	s_cbranch_vccnz .LBB305_148
; %bb.147:
	global_store_short v[0:1], v2, off
.LBB305_148:
	s_mov_b64 s[14:15], 0
.LBB305_149:
	s_andn2_b64 vcc, exec, s[14:15]
	s_cbranch_vccnz .LBB305_154
; %bb.150:
	s_cmp_gt_i32 s16, 0
	s_mov_b64 s[14:15], -1
	s_cbranch_scc0 .LBB305_152
; %bb.151:
	global_store_byte v[0:1], v2, off
	s_mov_b64 s[14:15], 0
.LBB305_152:
	s_andn2_b64 vcc, exec, s[14:15]
	s_cbranch_vccnz .LBB305_154
; %bb.153:
	global_store_byte v[0:1], v2, off
.LBB305_154:
.LBB305_155:
	v_add_u32_e32 v12, 0x80, v12
	s_mov_b64 s[14:15], -1
	s_branch .LBB305_262
.LBB305_156:
	s_mov_b64 s[12:13], -1
                                        ; implicit-def: $vgpr4_vgpr5
.LBB305_157:
	s_mov_b64 s[14:15], 0
.LBB305_158:
	s_and_b64 vcc, exec, s[14:15]
	s_cbranch_vccz .LBB305_162
; %bb.159:
	s_cmp_eq_u32 s16, 29
	s_cbranch_scc0 .LBB305_161
; %bb.160:
	global_load_dwordx2 v[4:5], v[2:3], off
	s_mov_b64 s[2:3], -1
	s_mov_b64 s[12:13], 0
	s_branch .LBB305_162
.LBB305_161:
	s_mov_b64 s[12:13], -1
                                        ; implicit-def: $vgpr4_vgpr5
.LBB305_162:
	s_mov_b64 s[14:15], 0
.LBB305_163:
	s_and_b64 vcc, exec, s[14:15]
	s_cbranch_vccz .LBB305_179
; %bb.164:
	s_cmp_lt_i32 s16, 27
	s_cbranch_scc1 .LBB305_167
; %bb.165:
	s_cmp_gt_i32 s16, 27
	s_cbranch_scc0 .LBB305_168
; %bb.166:
	global_load_dword v4, v[2:3], off
	s_waitcnt vmcnt(1)
	v_mov_b32_e32 v5, 0
	s_mov_b64 s[2:3], 0
	s_branch .LBB305_169
.LBB305_167:
	s_mov_b64 s[2:3], -1
                                        ; implicit-def: $vgpr4_vgpr5
	s_branch .LBB305_172
.LBB305_168:
	s_mov_b64 s[2:3], -1
                                        ; implicit-def: $vgpr4_vgpr5
.LBB305_169:
	s_andn2_b64 vcc, exec, s[2:3]
	s_cbranch_vccnz .LBB305_171
; %bb.170:
	global_load_ushort v1, v[2:3], off
	s_mov_b32 s2, 0
	s_waitcnt vmcnt(1)
	v_mov_b32_e32 v5, s2
	s_waitcnt vmcnt(0)
	v_and_b32_e32 v4, 0xffff, v1
.LBB305_171:
	s_mov_b64 s[2:3], 0
.LBB305_172:
	s_andn2_b64 vcc, exec, s[2:3]
	s_cbranch_vccnz .LBB305_178
; %bb.173:
	global_load_ubyte v1, v[2:3], off
	s_movk_i32 s2, 0x7f
	s_mov_b64 s[14:15], 0
	s_waitcnt vmcnt(0)
	v_cmp_lt_i16_e32 vcc, s2, v1
	s_and_saveexec_b64 s[2:3], vcc
	s_xor_b64 s[2:3], exec, s[2:3]
	s_cbranch_execz .LBB305_189
; %bb.174:
	s_movk_i32 s14, 0x80
	v_cmp_ne_u16_e32 vcc, s14, v1
	s_and_b64 s[14:15], vcc, exec
	s_andn2_saveexec_b64 s[2:3], s[2:3]
	s_cbranch_execnz .LBB305_190
.LBB305_175:
	s_or_b64 exec, exec, s[2:3]
	v_mov_b64_e32 v[4:5], 0
	s_and_saveexec_b64 s[2:3], s[14:15]
	s_cbranch_execz .LBB305_177
.LBB305_176:
	v_lshlrev_b32_e32 v4, 24, v1
	v_and_b32_e32 v1, 0xffff, v1
	v_and_b32_e32 v5, 7, v1
	v_ffbh_u32_e32 v7, v5
	v_min_u32_e32 v7, 32, v7
	v_subrev_u32_e32 v8, 28, v7
	v_bfe_u32 v6, v1, 3, 4
	v_lshlrev_b32_e32 v1, v8, v1
	v_sub_u32_e32 v7, 29, v7
	v_and_b32_e32 v1, 7, v1
	v_cmp_eq_u32_e32 vcc, 0, v6
	v_and_b32_e32 v4, 0x80000000, v4
	s_mov_b32 s14, 0x2f800000
	v_cndmask_b32_e32 v6, v6, v7, vcc
	v_cndmask_b32_e32 v1, v5, v1, vcc
	v_mov_b32_e32 v5, 0x3b800000
	v_lshlrev_b32_e32 v1, 20, v1
	v_lshl_add_u32 v5, v6, 23, v5
	v_or3_b32 v1, v4, v5, v1
	v_trunc_f32_e32 v1, v1
	v_mul_f32_e64 v4, |v1|, s14
	v_floor_f32_e32 v4, v4
	s_mov_b32 s14, 0xcf800000
	v_fma_f32 v5, v4, s14, |v1|
	v_cvt_u32_f32_e32 v4, v4
	v_cvt_u32_f32_e32 v5, v5
	v_ashrrev_i32_e32 v1, 31, v1
	v_xor_b32_e32 v6, v4, v1
	v_xor_b32_e32 v4, v5, v1
	v_sub_co_u32_e32 v4, vcc, v4, v1
	s_nop 1
	v_subb_co_u32_e32 v5, vcc, v6, v1, vcc
.LBB305_177:
	s_or_b64 exec, exec, s[2:3]
.LBB305_178:
	s_mov_b64 s[2:3], -1
.LBB305_179:
	s_branch .LBB305_212
.LBB305_180:
	s_cmp_gt_i32 s16, 22
	s_cbranch_scc0 .LBB305_188
; %bb.181:
	s_cmp_lt_i32 s16, 24
	s_cbranch_scc1 .LBB305_191
; %bb.182:
	s_cmp_gt_i32 s16, 24
	s_cbranch_scc0 .LBB305_192
; %bb.183:
	global_load_ubyte v1, v[2:3], off
	s_movk_i32 s2, 0x7f
	s_mov_b64 s[14:15], 0
	s_waitcnt vmcnt(0)
	v_cmp_lt_i16_e32 vcc, s2, v1
	s_and_saveexec_b64 s[2:3], vcc
	s_xor_b64 s[2:3], exec, s[2:3]
	s_cbranch_execz .LBB305_204
; %bb.184:
	s_movk_i32 s14, 0x80
	v_cmp_ne_u16_e32 vcc, s14, v1
	s_and_b64 s[14:15], vcc, exec
	s_andn2_saveexec_b64 s[2:3], s[2:3]
	s_cbranch_execnz .LBB305_205
.LBB305_185:
	s_or_b64 exec, exec, s[2:3]
	v_mov_b64_e32 v[4:5], 0
	s_and_saveexec_b64 s[2:3], s[14:15]
	s_cbranch_execz .LBB305_187
.LBB305_186:
	v_lshlrev_b32_e32 v4, 24, v1
	v_and_b32_e32 v1, 0xffff, v1
	v_and_b32_e32 v5, 3, v1
	v_ffbh_u32_e32 v7, v5
	v_min_u32_e32 v7, 32, v7
	v_subrev_u32_e32 v8, 29, v7
	v_bfe_u32 v6, v1, 2, 5
	v_lshlrev_b32_e32 v1, v8, v1
	v_sub_u32_e32 v7, 30, v7
	v_and_b32_e32 v1, 3, v1
	v_cmp_eq_u32_e32 vcc, 0, v6
	v_and_b32_e32 v4, 0x80000000, v4
	s_mov_b32 s14, 0x2f800000
	v_cndmask_b32_e32 v6, v6, v7, vcc
	v_cndmask_b32_e32 v1, v5, v1, vcc
	v_mov_b32_e32 v5, 0x37800000
	v_lshlrev_b32_e32 v1, 21, v1
	v_lshl_add_u32 v5, v6, 23, v5
	v_or3_b32 v1, v4, v5, v1
	v_trunc_f32_e32 v1, v1
	v_mul_f32_e64 v4, |v1|, s14
	v_floor_f32_e32 v4, v4
	s_mov_b32 s14, 0xcf800000
	v_fma_f32 v5, v4, s14, |v1|
	v_cvt_u32_f32_e32 v4, v4
	v_cvt_u32_f32_e32 v5, v5
	v_ashrrev_i32_e32 v1, 31, v1
	v_xor_b32_e32 v6, v4, v1
	v_xor_b32_e32 v4, v5, v1
	v_sub_co_u32_e32 v4, vcc, v4, v1
	s_nop 1
	v_subb_co_u32_e32 v5, vcc, v6, v1, vcc
.LBB305_187:
	s_or_b64 exec, exec, s[2:3]
	s_mov_b64 s[2:3], 0
	s_branch .LBB305_193
.LBB305_188:
	s_mov_b64 s[14:15], -1
                                        ; implicit-def: $vgpr4_vgpr5
	s_branch .LBB305_199
.LBB305_189:
	s_andn2_saveexec_b64 s[2:3], s[2:3]
	s_cbranch_execz .LBB305_175
.LBB305_190:
	v_cmp_ne_u16_e32 vcc, 0, v1
	s_andn2_b64 s[14:15], s[14:15], exec
	s_and_b64 s[18:19], vcc, exec
	s_or_b64 s[14:15], s[14:15], s[18:19]
	s_or_b64 exec, exec, s[2:3]
	v_mov_b64_e32 v[4:5], 0
	s_and_saveexec_b64 s[2:3], s[14:15]
	s_cbranch_execnz .LBB305_176
	s_branch .LBB305_177
.LBB305_191:
	s_mov_b64 s[2:3], -1
                                        ; implicit-def: $vgpr4_vgpr5
	s_branch .LBB305_196
.LBB305_192:
	s_mov_b64 s[2:3], -1
                                        ; implicit-def: $vgpr4_vgpr5
.LBB305_193:
	s_and_b64 vcc, exec, s[2:3]
	s_cbranch_vccz .LBB305_195
; %bb.194:
	global_load_ubyte v1, v[2:3], off
	s_mov_b32 s2, 0x7f800000
	s_brev_b32 s3, 1
	s_mov_b32 s14, 0x2f800000
	s_mov_b32 s15, 0xcf800000
	s_waitcnt vmcnt(0)
	v_lshlrev_b32_e32 v1, 24, v1
	v_and_b32_e32 v4, 0x7f000000, v1
	v_ffbh_u32_e32 v5, v4
	v_min_u32_e32 v5, 32, v5
	v_sub_u32_e64 v5, v5, 4 clamp
	v_lshlrev_b32_e32 v7, v5, v4
	v_lshlrev_b32_e32 v5, 23, v5
	v_lshrrev_b32_e32 v7, 4, v7
	v_add_u32_e32 v6, 0x1000000, v4
	v_sub_u32_e32 v5, v7, v5
	v_ashrrev_i32_e32 v6, 8, v6
	v_add_u32_e32 v5, 0x3c000000, v5
	v_and_or_b32 v5, v6, s2, v5
	v_cmp_ne_u32_e32 vcc, 0, v4
	s_nop 1
	v_cndmask_b32_e32 v4, 0, v5, vcc
	v_and_or_b32 v1, v1, s3, v4
	v_trunc_f32_e32 v1, v1
	v_mul_f32_e64 v4, |v1|, s14
	v_floor_f32_e32 v4, v4
	v_fma_f32 v5, v4, s15, |v1|
	v_cvt_u32_f32_e32 v4, v4
	v_cvt_u32_f32_e32 v5, v5
	v_ashrrev_i32_e32 v1, 31, v1
	v_xor_b32_e32 v6, v4, v1
	v_xor_b32_e32 v4, v5, v1
	v_sub_co_u32_e32 v4, vcc, v4, v1
	s_nop 1
	v_subb_co_u32_e32 v5, vcc, v6, v1, vcc
.LBB305_195:
	s_mov_b64 s[2:3], 0
.LBB305_196:
	s_andn2_b64 vcc, exec, s[2:3]
	s_cbranch_vccnz .LBB305_198
; %bb.197:
	global_load_ubyte v1, v[2:3], off
	s_movk_i32 s2, 0x7f00
	s_brev_b32 s3, 16
	s_brev_b32 s14, 1
	s_mov_b32 s15, 0x2f800000
	s_mov_b32 s17, 0xcf800000
	s_waitcnt vmcnt(0)
	v_lshlrev_b16_e32 v4, 8, v1
	v_lshlrev_b32_e32 v1, 25, v1
	v_lshrrev_b32_e32 v5, 4, v1
	v_and_or_b32 v6, v4, s2, 0.5
	v_or_b32_e32 v5, 0x70000000, v5
	v_add_f32_e32 v6, -0.5, v6
	v_mul_f32_e32 v5, 0x7800000, v5
	v_cmp_gt_u32_e32 vcc, s3, v1
	v_bfe_i32 v4, v4, 0, 16
	s_nop 0
	v_cndmask_b32_e32 v1, v5, v6, vcc
	v_and_or_b32 v1, v4, s14, v1
	v_trunc_f32_e32 v1, v1
	v_mul_f32_e64 v4, |v1|, s15
	v_floor_f32_e32 v4, v4
	v_fma_f32 v5, v4, s17, |v1|
	v_cvt_u32_f32_e32 v4, v4
	v_cvt_u32_f32_e32 v5, v5
	v_ashrrev_i32_e32 v1, 31, v1
	v_xor_b32_e32 v6, v4, v1
	v_xor_b32_e32 v4, v5, v1
	v_sub_co_u32_e32 v4, vcc, v4, v1
	s_nop 1
	v_subb_co_u32_e32 v5, vcc, v6, v1, vcc
.LBB305_198:
	s_mov_b64 s[14:15], 0
	s_mov_b64 s[2:3], -1
.LBB305_199:
	s_andn2_b64 vcc, exec, s[14:15]
	s_cbranch_vccnz .LBB305_212
; %bb.200:
	s_cmp_gt_i32 s16, 14
	s_cbranch_scc0 .LBB305_203
; %bb.201:
	s_cmp_eq_u32 s16, 15
	s_cbranch_scc0 .LBB305_206
; %bb.202:
	global_load_ushort v1, v[2:3], off
	s_mov_b32 s2, 0x2f800000
	s_mov_b32 s3, 0xcf800000
	s_mov_b64 s[12:13], 0
	s_waitcnt vmcnt(0)
	v_lshlrev_b32_e32 v1, 16, v1
	v_trunc_f32_e32 v1, v1
	v_mul_f32_e64 v4, |v1|, s2
	v_floor_f32_e32 v4, v4
	v_fma_f32 v5, v4, s3, |v1|
	v_cvt_u32_f32_e32 v4, v4
	v_cvt_u32_f32_e32 v5, v5
	v_ashrrev_i32_e32 v1, 31, v1
	s_mov_b64 s[2:3], -1
	v_xor_b32_e32 v6, v4, v1
	v_xor_b32_e32 v4, v5, v1
	v_sub_co_u32_e32 v4, vcc, v4, v1
	s_nop 1
	v_subb_co_u32_e32 v5, vcc, v6, v1, vcc
	s_branch .LBB305_207
.LBB305_203:
	s_mov_b64 s[14:15], -1
                                        ; implicit-def: $vgpr4_vgpr5
	s_branch .LBB305_208
.LBB305_204:
	s_andn2_saveexec_b64 s[2:3], s[2:3]
	s_cbranch_execz .LBB305_185
.LBB305_205:
	v_cmp_ne_u16_e32 vcc, 0, v1
	s_andn2_b64 s[14:15], s[14:15], exec
	s_and_b64 s[18:19], vcc, exec
	s_or_b64 s[14:15], s[14:15], s[18:19]
	s_or_b64 exec, exec, s[2:3]
	v_mov_b64_e32 v[4:5], 0
	s_and_saveexec_b64 s[2:3], s[14:15]
	s_cbranch_execnz .LBB305_186
	s_branch .LBB305_187
.LBB305_206:
	s_mov_b64 s[12:13], -1
                                        ; implicit-def: $vgpr4_vgpr5
.LBB305_207:
	s_mov_b64 s[14:15], 0
.LBB305_208:
	s_and_b64 vcc, exec, s[14:15]
	s_cbranch_vccz .LBB305_212
; %bb.209:
	s_cmp_eq_u32 s16, 11
	s_cbranch_scc0 .LBB305_211
; %bb.210:
	global_load_ubyte v1, v[2:3], off
	s_mov_b32 s12, 0
	s_mov_b64 s[2:3], -1
	s_waitcnt vmcnt(1)
	v_mov_b32_e32 v5, s12
	s_mov_b64 s[12:13], 0
	s_waitcnt vmcnt(0)
	v_cmp_ne_u16_e32 vcc, 0, v1
	s_nop 1
	v_cndmask_b32_e64 v4, 0, 1, vcc
	s_branch .LBB305_212
.LBB305_211:
	s_mov_b64 s[12:13], -1
                                        ; implicit-def: $vgpr4_vgpr5
.LBB305_212:
	s_branch .LBB305_25
.LBB305_213:
	s_cmp_lt_i32 s16, 5
	s_cbranch_scc1 .LBB305_218
; %bb.214:
	s_cmp_lt_i32 s16, 8
	s_cbranch_scc1 .LBB305_219
; %bb.215:
	;; [unrolled: 3-line block ×3, first 2 shown]
	s_cmp_gt_i32 s16, 9
	s_cbranch_scc0 .LBB305_221
; %bb.217:
	global_load_dwordx2 v[4:5], v[2:3], off
	s_movk_i32 s2, 0xffe0
	s_waitcnt vmcnt(0)
	v_trunc_f64_e32 v[6:7], v[4:5]
	v_ldexp_f64 v[4:5], v[6:7], s2
	v_floor_f64_e32 v[8:9], v[4:5]
	v_fmac_f64_e32 v[6:7], 0xc1f00000, v[8:9]
	v_cvt_i32_f64_e32 v5, v[8:9]
	v_cvt_u32_f64_e32 v4, v[6:7]
	s_mov_b64 s[2:3], 0
	s_branch .LBB305_222
.LBB305_218:
                                        ; implicit-def: $vgpr4_vgpr5
	s_branch .LBB305_240
.LBB305_219:
	s_mov_b64 s[2:3], -1
                                        ; implicit-def: $vgpr4_vgpr5
	s_branch .LBB305_228
.LBB305_220:
	s_mov_b64 s[2:3], -1
                                        ; implicit-def: $vgpr4_vgpr5
	s_branch .LBB305_225
.LBB305_221:
	s_mov_b64 s[2:3], -1
                                        ; implicit-def: $vgpr4_vgpr5
.LBB305_222:
	s_andn2_b64 vcc, exec, s[2:3]
	s_cbranch_vccnz .LBB305_224
; %bb.223:
	global_load_dword v1, v[2:3], off
	s_mov_b32 s2, 0x2f800000
	s_mov_b32 s3, 0xcf800000
	s_waitcnt vmcnt(0)
	v_trunc_f32_e32 v1, v1
	v_mul_f32_e64 v4, |v1|, s2
	v_floor_f32_e32 v4, v4
	v_cvt_u32_f32_e32 v5, v4
	v_fma_f32 v4, v4, s3, |v1|
	v_cvt_u32_f32_e32 v4, v4
	v_ashrrev_i32_e32 v1, 31, v1
	v_xor_b32_e32 v5, v5, v1
	v_xor_b32_e32 v4, v4, v1
	v_sub_co_u32_e32 v4, vcc, v4, v1
	s_nop 1
	v_subb_co_u32_e32 v5, vcc, v5, v1, vcc
.LBB305_224:
	s_mov_b64 s[2:3], 0
.LBB305_225:
	s_andn2_b64 vcc, exec, s[2:3]
	s_cbranch_vccnz .LBB305_227
; %bb.226:
	global_load_dword v1, v[2:3], off
	s_waitcnt vmcnt(0)
	v_cvt_f32_f16_e32 v1, v1
	v_cvt_i32_f32_e32 v4, v1
	v_ashrrev_i32_e32 v5, 31, v4
.LBB305_227:
	s_mov_b64 s[2:3], 0
.LBB305_228:
	s_andn2_b64 vcc, exec, s[2:3]
	s_cbranch_vccnz .LBB305_239
; %bb.229:
	s_cmp_lt_i32 s16, 6
	s_cbranch_scc1 .LBB305_232
; %bb.230:
	s_cmp_gt_i32 s16, 6
	s_cbranch_scc0 .LBB305_233
; %bb.231:
	global_load_dwordx2 v[4:5], v[2:3], off
	s_movk_i32 s2, 0xffe0
	s_waitcnt vmcnt(0)
	v_trunc_f64_e32 v[6:7], v[4:5]
	v_ldexp_f64 v[4:5], v[6:7], s2
	v_floor_f64_e32 v[8:9], v[4:5]
	v_fmac_f64_e32 v[6:7], 0xc1f00000, v[8:9]
	v_cvt_i32_f64_e32 v5, v[8:9]
	v_cvt_u32_f64_e32 v4, v[6:7]
	s_mov_b64 s[2:3], 0
	s_branch .LBB305_234
.LBB305_232:
	s_mov_b64 s[2:3], -1
                                        ; implicit-def: $vgpr4_vgpr5
	s_branch .LBB305_237
.LBB305_233:
	s_mov_b64 s[2:3], -1
                                        ; implicit-def: $vgpr4_vgpr5
.LBB305_234:
	s_andn2_b64 vcc, exec, s[2:3]
	s_cbranch_vccnz .LBB305_236
; %bb.235:
	global_load_dword v1, v[2:3], off
	s_mov_b32 s2, 0x2f800000
	s_mov_b32 s3, 0xcf800000
	s_waitcnt vmcnt(0)
	v_trunc_f32_e32 v1, v1
	v_mul_f32_e64 v4, |v1|, s2
	v_floor_f32_e32 v4, v4
	v_cvt_u32_f32_e32 v5, v4
	v_fma_f32 v4, v4, s3, |v1|
	v_cvt_u32_f32_e32 v4, v4
	v_ashrrev_i32_e32 v1, 31, v1
	v_xor_b32_e32 v5, v5, v1
	v_xor_b32_e32 v4, v4, v1
	v_sub_co_u32_e32 v4, vcc, v4, v1
	s_nop 1
	v_subb_co_u32_e32 v5, vcc, v5, v1, vcc
.LBB305_236:
	s_mov_b64 s[2:3], 0
.LBB305_237:
	s_andn2_b64 vcc, exec, s[2:3]
	s_cbranch_vccnz .LBB305_239
; %bb.238:
	global_load_ushort v1, v[2:3], off
	s_waitcnt vmcnt(0)
	v_cvt_f32_f16_e32 v1, v1
	v_cvt_i32_f32_e32 v4, v1
	v_ashrrev_i32_e32 v5, 31, v4
.LBB305_239:
	s_cbranch_execnz .LBB305_259
.LBB305_240:
	s_cmp_lt_i32 s16, 2
	s_cbranch_scc1 .LBB305_244
; %bb.241:
	s_cmp_lt_i32 s16, 3
	s_cbranch_scc1 .LBB305_245
; %bb.242:
	s_cmp_gt_i32 s16, 3
	s_cbranch_scc0 .LBB305_246
; %bb.243:
	global_load_dwordx2 v[4:5], v[2:3], off
	s_mov_b64 s[2:3], 0
	s_branch .LBB305_247
.LBB305_244:
	s_mov_b64 s[2:3], -1
                                        ; implicit-def: $vgpr4_vgpr5
	s_branch .LBB305_253
.LBB305_245:
	s_mov_b64 s[2:3], -1
                                        ; implicit-def: $vgpr4_vgpr5
	s_branch .LBB305_250
.LBB305_246:
	s_mov_b64 s[2:3], -1
                                        ; implicit-def: $vgpr4_vgpr5
.LBB305_247:
	s_andn2_b64 vcc, exec, s[2:3]
	s_cbranch_vccnz .LBB305_249
; %bb.248:
	global_load_dword v4, v[2:3], off
	s_waitcnt vmcnt(0)
	v_ashrrev_i32_e32 v5, 31, v4
.LBB305_249:
	s_mov_b64 s[2:3], 0
.LBB305_250:
	s_andn2_b64 vcc, exec, s[2:3]
	s_cbranch_vccnz .LBB305_252
; %bb.251:
	global_load_ushort v1, v[2:3], off
	s_waitcnt vmcnt(0)
	v_bfe_i32 v4, v1, 0, 16
	v_ashrrev_i32_e32 v5, 31, v4
.LBB305_252:
	s_mov_b64 s[2:3], 0
.LBB305_253:
	s_andn2_b64 vcc, exec, s[2:3]
	s_cbranch_vccnz .LBB305_259
; %bb.254:
	s_cmp_gt_i32 s16, 0
	s_cbranch_scc0 .LBB305_256
; %bb.255:
	global_load_sbyte v1, v[2:3], off
	s_mov_b64 s[2:3], 0
	s_waitcnt vmcnt(0)
	v_bfe_i32 v4, v1, 0, 16
	v_ashrrev_i32_e32 v5, 31, v4
	s_branch .LBB305_257
.LBB305_256:
	s_mov_b64 s[2:3], -1
                                        ; implicit-def: $vgpr4_vgpr5
.LBB305_257:
	s_andn2_b64 vcc, exec, s[2:3]
	s_cbranch_vccnz .LBB305_259
; %bb.258:
	global_load_ubyte v1, v[2:3], off
	s_mov_b32 s2, 0
	s_waitcnt vmcnt(1)
	v_mov_b32_e32 v5, s2
	s_waitcnt vmcnt(0)
	v_and_b32_e32 v4, 0xffff, v1
.LBB305_259:
	s_branch .LBB305_26
.LBB305_260:
	s_mov_b64 s[2:3], 0
.LBB305_261:
	s_mov_b64 s[14:15], 0
                                        ; implicit-def: $vgpr12
.LBB305_262:
	s_and_b64 s[58:59], s[2:3], exec
	s_and_b64 s[60:61], s[12:13], exec
	s_orn2_b64 s[12:13], s[14:15], exec
.LBB305_263:
	s_or_b64 exec, exec, s[62:63]
	s_mov_b64 s[14:15], 0
	s_mov_b64 s[2:3], 0
                                        ; implicit-def: $vgpr2_vgpr3
                                        ; implicit-def: $vgpr0
                                        ; implicit-def: $vgpr6_vgpr7
	s_and_saveexec_b64 s[62:63], s[12:13]
	s_cbranch_execz .LBB305_271
; %bb.264:
	v_cmp_gt_i32_e32 vcc, s74, v12
	s_mov_b64 s[2:3], -1
	s_mov_b64 s[64:65], s[60:61]
	s_mov_b64 s[66:67], s[58:59]
	s_and_saveexec_b64 s[68:69], vcc
	s_cbranch_execz .LBB305_536
; %bb.265:
	s_andn2_b64 vcc, exec, s[46:47]
	s_cbranch_vccnz .LBB305_274
; %bb.266:
	s_andn2_b64 vcc, exec, s[56:57]
	s_cbranch_vccnz .LBB305_275
; %bb.267:
	s_add_i32 s67, s79, 1
	s_cmp_eq_u32 s76, 2
	s_cbranch_scc1 .LBB305_276
; %bb.268:
	s_and_b32 s66, s67, 28
	s_mov_b32 s70, 0
	v_mov_b32_e32 v0, 0
	v_mov_b32_e32 v2, 0
	s_mov_b64 s[2:3], s[34:35]
	s_mov_b64 s[64:65], s[54:55]
	s_waitcnt vmcnt(0)
	v_mov_b32_e32 v4, v12
.LBB305_269:                            ; =>This Inner Loop Header: Depth=1
	s_load_dwordx8 s[20:27], s[2:3], 0x4
	s_load_dwordx4 s[40:43], s[2:3], 0x24
	s_load_dwordx8 s[12:19], s[64:65], 0x0
	s_add_u32 s2, s2, 48
	s_addc_u32 s3, s3, 0
	s_waitcnt lgkmcnt(0)
	v_mul_hi_u32 v1, s21, v4
	v_add_u32_e32 v1, v4, v1
	v_lshrrev_b32_e32 v1, s22, v1
	v_mul_lo_u32 v3, v1, s20
	v_mul_hi_u32 v5, s24, v1
	v_sub_u32_e32 v3, v4, v3
	v_add_u32_e32 v4, v1, v5
	v_lshrrev_b32_e32 v4, s25, v4
	v_mul_lo_u32 v6, v4, s23
	v_mul_hi_u32 v7, s27, v4
	v_sub_u32_e32 v1, v1, v6
	v_add_u32_e32 v6, v4, v7
	v_mul_lo_u32 v5, v3, s13
	v_mul_lo_u32 v3, v3, s12
	;; [unrolled: 1-line block ×4, first 2 shown]
	v_lshrrev_b32_e32 v6, s40, v6
	v_add3_u32 v0, v3, v0, v1
	v_mul_hi_u32 v3, s42, v6
	v_add3_u32 v1, v5, v2, v7
	v_mul_lo_u32 v2, v6, s26
	v_add_u32_e32 v3, v6, v3
	v_sub_u32_e32 v2, v4, v2
	v_lshrrev_b32_e32 v4, s43, v3
	s_add_i32 s70, s70, 4
	v_mul_lo_u32 v3, v4, s41
	s_add_u32 s64, s64, 32
	v_sub_u32_e32 v3, v6, v3
	s_addc_u32 s65, s65, 0
	v_mul_lo_u32 v5, v2, s16
	v_mul_lo_u32 v2, v2, s17
	;; [unrolled: 1-line block ×4, first 2 shown]
	s_cmp_eq_u32 s66, s70
	v_add3_u32 v2, v2, v1, v3
	v_add3_u32 v0, v5, v0, v6
	s_cbranch_scc0 .LBB305_269
; %bb.270:
	v_mov_b32_e32 v1, v2
	s_branch .LBB305_277
.LBB305_271:
	s_or_b64 exec, exec, s[62:63]
	s_mov_b64 s[6:7], 0
	s_and_saveexec_b64 s[12:13], s[60:61]
	s_cbranch_execnz .LBB305_906
.LBB305_272:
	s_or_b64 exec, exec, s[12:13]
	s_and_saveexec_b64 s[12:13], s[66:67]
	s_xor_b64 s[12:13], exec, s[12:13]
	s_cbranch_execz .LBB305_907
.LBB305_273:
	global_load_ubyte v1, v[2:3], off
	s_mov_b32 s16, 0
	s_waitcnt vmcnt(1)
	v_mov_b32_e32 v7, s16
	s_or_b64 s[2:3], s[2:3], exec
	s_waitcnt vmcnt(0)
	v_cmp_ne_u16_e32 vcc, 0, v1
	s_nop 1
	v_cndmask_b32_e64 v6, 0, 1, vcc
	s_or_b64 exec, exec, s[12:13]
	s_and_saveexec_b64 s[12:13], s[14:15]
	s_cbranch_execz .LBB305_953
	s_branch .LBB305_908
.LBB305_274:
                                        ; implicit-def: $vgpr2
                                        ; implicit-def: $vgpr0
	s_andn2_b64 vcc, exec, s[2:3]
	s_cbranch_vccz .LBB305_281
	s_branch .LBB305_283
.LBB305_275:
	v_mov_b32_e32 v2, 0
	v_mov_b32_e32 v0, 0
	s_branch .LBB305_280
.LBB305_276:
	v_mov_b32_e32 v0, 0
	s_mov_b32 s66, 0
	v_mov_b32_e32 v1, v0
                                        ; implicit-def: $vgpr2
	s_waitcnt vmcnt(0)
	v_mov_b32_e32 v4, v12
.LBB305_277:
	s_and_b32 s14, s67, 3
	s_cmp_eq_u32 s14, 0
	s_cbranch_scc1 .LBB305_280
; %bb.278:
	s_lshl_b32 s2, s66, 3
	s_add_u32 s2, s34, s2
	s_addc_u32 s3, s35, 0
	s_add_u32 s2, s2, 0xc4
	s_addc_u32 s3, s3, 0
	s_mul_i32 s12, s66, 12
	s_add_u32 s12, s34, s12
	s_addc_u32 s13, s35, 0
.LBB305_279:                            ; =>This Inner Loop Header: Depth=1
	s_load_dwordx2 s[16:17], s[12:13], 0x4
	s_load_dword s15, s[12:13], 0xc
	s_load_dwordx2 s[18:19], s[2:3], 0x0
	v_mov_b32_e32 v2, v1
	s_add_u32 s12, s12, 12
	s_waitcnt lgkmcnt(0)
	v_mul_hi_u32 v1, s17, v4
	v_add_u32_e32 v1, v4, v1
	v_lshrrev_b32_e32 v1, s15, v1
	s_addc_u32 s13, s13, 0
	v_mul_lo_u32 v3, v1, s16
	s_add_u32 s2, s2, 8
	v_sub_u32_e32 v5, v4, v3
	s_addc_u32 s3, s3, 0
	s_add_i32 s14, s14, -1
	v_mov_b32_e32 v4, v1
	v_mad_u64_u32 v[2:3], s[16:17], v5, s19, v[2:3]
	v_mad_u64_u32 v[0:1], s[16:17], v5, s18, v[0:1]
	s_cmp_lg_u32 s14, 0
	v_mov_b32_e32 v1, v2
	s_cbranch_scc1 .LBB305_279
.LBB305_280:
	s_cbranch_execnz .LBB305_283
.LBB305_281:
	v_mul_hi_u32 v0, s29, v12
	v_add_u32_e32 v0, v12, v0
	v_lshrrev_b32_e32 v1, s30, v0
	v_mul_lo_u32 v0, v1, s28
	v_sub_u32_e32 v0, v12, v0
	v_mul_lo_u32 v2, v0, s37
	s_andn2_b64 vcc, exec, s[52:53]
	v_mul_lo_u32 v0, v0, s36
	s_cbranch_vccnz .LBB305_283
; %bb.282:
	v_mul_hi_u32 v3, s50, v1
	v_add_u32_e32 v3, v1, v3
	v_lshrrev_b32_e32 v3, s51, v3
	v_mul_lo_u32 v3, v3, s31
	v_sub_u32_e32 v3, v1, v3
	v_mad_u64_u32 v[0:1], s[2:3], v3, s38, v[0:1]
	v_mad_u64_u32 v[2:3], s[2:3], v3, s39, v[2:3]
.LBB305_283:
	v_mov_b32_e32 v3, 0
	s_and_b32 s16, 0xffff, s78
	s_cmp_lt_i32 s16, 11
	v_lshl_add_u64 v[2:3], s[6:7], 0, v[2:3]
	s_cbranch_scc1 .LBB305_290
; %bb.284:
	s_cmp_gt_i32 s16, 25
	s_cbranch_scc0 .LBB305_299
; %bb.285:
	s_cmp_gt_i32 s16, 28
	s_cbranch_scc0 .LBB305_301
	;; [unrolled: 3-line block ×4, first 2 shown]
; %bb.288:
	s_cmp_eq_u32 s16, 46
	s_mov_b64 s[14:15], 0
	s_cbranch_scc0 .LBB305_311
; %bb.289:
	global_load_dword v1, v[2:3], off
	s_mov_b32 s2, 0x2f800000
	s_mov_b32 s3, 0xcf800000
	s_mov_b64 s[12:13], 0
	s_waitcnt vmcnt(0)
	v_lshlrev_b32_e32 v1, 16, v1
	v_trunc_f32_e32 v1, v1
	v_mul_f32_e64 v4, |v1|, s2
	v_floor_f32_e32 v4, v4
	v_fma_f32 v5, v4, s3, |v1|
	v_cvt_u32_f32_e32 v4, v4
	v_cvt_u32_f32_e32 v5, v5
	v_ashrrev_i32_e32 v1, 31, v1
	s_mov_b64 s[2:3], -1
	v_xor_b32_e32 v6, v4, v1
	v_xor_b32_e32 v4, v5, v1
	v_sub_co_u32_e32 v4, vcc, v4, v1
	s_nop 1
	v_subb_co_u32_e32 v5, vcc, v6, v1, vcc
	s_branch .LBB305_312
.LBB305_290:
	s_mov_b64 s[2:3], 0
                                        ; implicit-def: $vgpr4_vgpr5
	s_mov_b64 s[12:13], s[60:61]
	s_cbranch_execnz .LBB305_485
.LBB305_291:
	s_andn2_b64 vcc, exec, s[2:3]
	s_cbranch_vccnz .LBB305_533
.LBB305_292:
	v_mov_b32_e32 v1, s9
	s_waitcnt vmcnt(0)
	v_cmp_lt_i64_e32 vcc, s[8:9], v[4:5]
	s_and_b32 s20, s77, 0xff
	s_cmp_lt_i32 s20, 11
	v_cndmask_b32_e32 v3, v1, v5, vcc
	v_mov_b32_e32 v1, s8
	v_cndmask_b32_e32 v2, v1, v4, vcc
	v_mov_b32_e32 v1, s11
	v_cmp_gt_i64_e32 vcc, s[10:11], v[2:3]
	s_nop 1
	v_cndmask_b32_e32 v3, v1, v3, vcc
	v_mov_b32_e32 v1, s10
	v_cndmask_b32_e32 v2, v1, v2, vcc
	v_mov_b32_e32 v1, 0
	v_lshl_add_u64 v[0:1], s[4:5], 0, v[0:1]
	s_cbranch_scc1 .LBB305_300
; %bb.293:
	s_and_b32 s21, 0xffff, s20
	s_cmp_gt_i32 s21, 25
	s_cbranch_scc0 .LBB305_302
; %bb.294:
	s_cmp_gt_i32 s21, 28
	s_cbranch_scc0 .LBB305_304
; %bb.295:
	s_cmp_gt_i32 s21, 43
	s_cbranch_scc0 .LBB305_308
; %bb.296:
	s_cmp_gt_i32 s21, 45
	s_cbranch_scc0 .LBB305_315
; %bb.297:
	s_mov_b64 s[16:17], 0
	s_mov_b64 s[2:3], -1
	s_cmp_eq_u32 s21, 46
	s_mov_b64 s[14:15], 0
	s_cbranch_scc0 .LBB305_316
; %bb.298:
	v_xor_b32_e32 v5, v2, v3
	v_ffbh_i32_e32 v4, v3
	v_ashrrev_i32_e32 v5, 31, v5
	v_add_u32_e32 v4, -1, v4
	v_add_u32_e32 v5, 32, v5
	v_min_u32_e32 v6, v4, v5
	v_lshlrev_b64 v[4:5], v6, v[2:3]
	v_min_u32_e32 v4, 1, v4
	v_or_b32_e32 v4, v5, v4
	v_cvt_f32_i32_e32 v4, v4
	v_sub_u32_e32 v5, 32, v6
	s_movk_i32 s2, 0x7fff
	s_mov_b64 s[14:15], -1
	v_ldexp_f32 v4, v4, v5
	v_bfe_u32 v5, v4, 16, 1
	v_add3_u32 v4, v4, v5, s2
	v_lshrrev_b32_e32 v4, 16, v4
	global_store_dword v[0:1], v4, off
	s_mov_b64 s[2:3], 0
	s_branch .LBB305_316
.LBB305_299:
	s_mov_b64 s[14:15], -1
	s_mov_b64 s[2:3], 0
	s_mov_b64 s[12:13], s[60:61]
                                        ; implicit-def: $vgpr4_vgpr5
	s_branch .LBB305_451
.LBB305_300:
	s_mov_b64 s[16:17], -1
	s_mov_b64 s[14:15], 0
	s_mov_b64 s[2:3], s[58:59]
	s_branch .LBB305_385
.LBB305_301:
	s_mov_b64 s[14:15], -1
	s_mov_b64 s[2:3], 0
	s_mov_b64 s[12:13], s[60:61]
                                        ; implicit-def: $vgpr4_vgpr5
	s_branch .LBB305_434
.LBB305_302:
	s_mov_b64 s[16:17], -1
	s_mov_b64 s[14:15], 0
	s_mov_b64 s[2:3], s[58:59]
	s_branch .LBB305_343
.LBB305_303:
	s_mov_b64 s[14:15], -1
	s_mov_b64 s[2:3], 0
	s_mov_b64 s[12:13], s[60:61]
                                        ; implicit-def: $vgpr4_vgpr5
	s_branch .LBB305_429
.LBB305_304:
	s_mov_b64 s[16:17], -1
	s_mov_b64 s[14:15], 0
	s_mov_b64 s[2:3], s[58:59]
	s_branch .LBB305_326
.LBB305_305:
	s_andn2_saveexec_b64 s[18:19], s[18:19]
	s_cbranch_execz .LBB305_69
.LBB305_306:
	s_mov_b32 s22, 0x46000000
	v_add_f32_e64 v5, |v4|, s22
	v_and_b32_e32 v5, 0xff, v5
	v_cmp_ne_u32_e32 vcc, 0, v5
	s_andn2_b64 s[16:17], s[16:17], exec
	s_and_b64 s[22:23], vcc, exec
	s_or_b64 s[16:17], s[16:17], s[22:23]
	s_or_b64 exec, exec, s[18:19]
	v_mov_b32_e32 v6, 0
	s_and_saveexec_b64 s[18:19], s[16:17]
	s_cbranch_execnz .LBB305_70
	s_branch .LBB305_71
.LBB305_307:
	s_mov_b64 s[14:15], -1
	s_mov_b64 s[2:3], 0
	s_mov_b64 s[12:13], s[60:61]
                                        ; implicit-def: $vgpr4_vgpr5
	s_branch .LBB305_312
.LBB305_308:
	s_mov_b64 s[16:17], -1
	s_mov_b64 s[14:15], 0
	s_mov_b64 s[2:3], s[58:59]
	s_branch .LBB305_322
.LBB305_309:
	s_andn2_saveexec_b64 s[18:19], s[18:19]
	s_cbranch_execz .LBB305_82
.LBB305_310:
	s_mov_b32 s22, 0x42800000
	v_add_f32_e64 v5, |v4|, s22
	v_and_b32_e32 v5, 0xff, v5
	v_cmp_ne_u32_e32 vcc, 0, v5
	s_andn2_b64 s[16:17], s[16:17], exec
	s_and_b64 s[22:23], vcc, exec
	s_or_b64 s[16:17], s[16:17], s[22:23]
	s_or_b64 exec, exec, s[18:19]
	v_mov_b32_e32 v6, 0
	s_and_saveexec_b64 s[18:19], s[16:17]
	s_cbranch_execnz .LBB305_83
	s_branch .LBB305_84
.LBB305_311:
	s_mov_b64 s[12:13], -1
                                        ; implicit-def: $vgpr4_vgpr5
	s_mov_b64 s[2:3], 0
.LBB305_312:
	s_and_b64 vcc, exec, s[14:15]
	s_cbranch_vccz .LBB305_428
; %bb.313:
	s_cmp_eq_u32 s16, 44
	s_cbranch_scc0 .LBB305_427
; %bb.314:
	global_load_ubyte v1, v[2:3], off
	s_mov_b32 s2, 0x2f800000
	s_mov_b32 s3, 0xcf800000
	s_mov_b64 s[12:13], 0
	s_waitcnt vmcnt(0)
	v_lshlrev_b32_e32 v4, 23, v1
	v_trunc_f32_e32 v4, v4
	v_mul_f32_e64 v5, |v4|, s2
	v_floor_f32_e32 v5, v5
	v_fma_f32 v6, v5, s3, |v4|
	v_cvt_u32_f32_e32 v6, v6
	v_cvt_u32_f32_e32 v5, v5
	v_ashrrev_i32_e32 v4, 31, v4
	s_mov_b64 s[2:3], -1
	v_xor_b32_e32 v6, v6, v4
	v_xor_b32_e32 v5, v5, v4
	v_sub_co_u32_e32 v6, vcc, v6, v4
	s_nop 1
	v_subb_co_u32_e32 v4, vcc, v5, v4, vcc
	v_cmp_ne_u32_e32 vcc, 0, v1
	s_nop 1
	v_cndmask_b32_e32 v5, 0, v4, vcc
	v_cndmask_b32_e32 v4, 0, v6, vcc
	s_branch .LBB305_428
.LBB305_315:
	s_mov_b64 s[16:17], -1
	s_mov_b64 s[14:15], 0
	s_mov_b64 s[2:3], s[58:59]
.LBB305_316:
	s_and_b64 vcc, exec, s[16:17]
	s_cbranch_vccz .LBB305_321
; %bb.317:
	s_cmp_eq_u32 s21, 44
	s_mov_b64 s[2:3], -1
	s_cbranch_scc0 .LBB305_321
; %bb.318:
	v_xor_b32_e32 v5, v2, v3
	v_ffbh_i32_e32 v4, v3
	v_ashrrev_i32_e32 v5, 31, v5
	v_add_u32_e32 v4, -1, v4
	v_add_u32_e32 v5, 32, v5
	v_min_u32_e32 v6, v4, v5
	v_lshlrev_b64 v[4:5], v6, v[2:3]
	v_min_u32_e32 v4, 1, v4
	v_or_b32_e32 v4, v5, v4
	v_cvt_f32_i32_e32 v4, v4
	v_sub_u32_e32 v5, 32, v6
	s_movk_i32 s2, 0xff
	v_mov_b32_e32 v6, 0xff
	v_ldexp_f32 v4, v4, v5
	v_bfe_u32 v5, v4, 23, 8
	v_cmp_ne_u32_e32 vcc, s2, v5
	s_and_saveexec_b64 s[14:15], vcc
; %bb.319:
	s_mov_b32 s2, 0x3fffff
	v_lshrrev_b32_e32 v6, 23, v4
	v_and_b32_e32 v7, 0x400000, v4
	v_and_or_b32 v4, v4, s2, v5
	v_cmp_ne_u32_e32 vcc, 0, v7
	v_cmp_ne_u32_e64 s[2:3], 0, v4
	s_and_b64 s[2:3], vcc, s[2:3]
	s_nop 0
	v_cndmask_b32_e64 v4, 0, 1, s[2:3]
	v_add_u32_e32 v6, v6, v4
; %bb.320:
	s_or_b64 exec, exec, s[14:15]
	s_mov_b64 s[14:15], -1
	s_mov_b64 s[2:3], 0
	global_store_byte v[0:1], v6, off
.LBB305_321:
	s_mov_b64 s[16:17], 0
.LBB305_322:
	s_and_b64 vcc, exec, s[16:17]
	s_cbranch_vccz .LBB305_325
; %bb.323:
	s_cmp_eq_u32 s21, 29
	s_mov_b64 s[2:3], -1
	s_cbranch_scc0 .LBB305_325
; %bb.324:
	global_store_dwordx2 v[0:1], v[2:3], off
	s_mov_b64 s[14:15], -1
	s_mov_b64 s[2:3], 0
.LBB305_325:
	s_mov_b64 s[16:17], 0
.LBB305_326:
	s_and_b64 vcc, exec, s[16:17]
	s_cbranch_vccz .LBB305_342
; %bb.327:
	s_cmp_lt_i32 s21, 27
	s_mov_b64 s[14:15], -1
	s_cbranch_scc1 .LBB305_333
; %bb.328:
	s_cmp_gt_i32 s21, 27
	s_cbranch_scc0 .LBB305_330
; %bb.329:
	s_mov_b64 s[14:15], 0
	global_store_dword v[0:1], v2, off
.LBB305_330:
	s_andn2_b64 vcc, exec, s[14:15]
	s_cbranch_vccnz .LBB305_332
; %bb.331:
	global_store_short v[0:1], v2, off
.LBB305_332:
	s_mov_b64 s[14:15], 0
.LBB305_333:
	s_andn2_b64 vcc, exec, s[14:15]
	s_cbranch_vccnz .LBB305_341
; %bb.334:
	v_xor_b32_e32 v5, v2, v3
	v_ffbh_i32_e32 v4, v3
	v_ashrrev_i32_e32 v5, 31, v5
	v_add_u32_e32 v4, -1, v4
	v_add_u32_e32 v5, 32, v5
	v_min_u32_e32 v6, v4, v5
	v_lshlrev_b64 v[4:5], v6, v[2:3]
	v_min_u32_e32 v4, 1, v4
	v_or_b32_e32 v4, v5, v4
	v_cvt_f32_i32_e32 v4, v4
	v_sub_u32_e32 v5, 32, v6
	s_mov_b32 s14, 0x43800000
	v_mov_b32_e32 v6, 0x80
	v_ldexp_f32 v4, v4, v5
	v_and_b32_e32 v5, 0x7fffffff, v4
	v_cmp_gt_u32_e32 vcc, s14, v5
	s_and_saveexec_b64 s[14:15], vcc
	s_cbranch_execz .LBB305_340
; %bb.335:
	s_mov_b32 s16, 0x3bffffff
	v_cmp_lt_u32_e32 vcc, s16, v5
	s_mov_b64 s[16:17], 0
                                        ; implicit-def: $vgpr5
	s_and_saveexec_b64 s[18:19], vcc
	s_xor_b64 s[18:19], exec, s[18:19]
	s_cbranch_execz .LBB305_565
; %bb.336:
	v_bfe_u32 v5, v4, 20, 1
	s_mov_b32 s22, 0x487ffff
	v_add3_u32 v5, v4, v5, s22
	s_mov_b64 s[16:17], exec
	v_lshrrev_b32_e32 v5, 20, v5
	s_andn2_saveexec_b64 s[18:19], s[18:19]
	s_cbranch_execnz .LBB305_566
.LBB305_337:
	s_or_b64 exec, exec, s[18:19]
	v_mov_b32_e32 v6, 0
	s_and_saveexec_b64 s[18:19], s[16:17]
.LBB305_338:
	v_lshrrev_b32_e32 v4, 24, v4
	s_movk_i32 s16, 0x80
	v_and_or_b32 v6, v4, s16, v5
.LBB305_339:
	s_or_b64 exec, exec, s[18:19]
.LBB305_340:
	s_or_b64 exec, exec, s[14:15]
	global_store_byte v[0:1], v6, off
.LBB305_341:
	s_mov_b64 s[14:15], -1
.LBB305_342:
	s_mov_b64 s[16:17], 0
.LBB305_343:
	s_and_b64 vcc, exec, s[16:17]
	s_cbranch_vccz .LBB305_384
; %bb.344:
	s_cmp_gt_i32 s21, 22
	s_mov_b64 s[16:17], -1
	s_cbranch_scc0 .LBB305_376
; %bb.345:
	s_cmp_lt_i32 s21, 24
	s_mov_b64 s[14:15], -1
	s_cbranch_scc1 .LBB305_365
; %bb.346:
	s_cmp_gt_i32 s21, 24
	s_cbranch_scc0 .LBB305_354
; %bb.347:
	v_xor_b32_e32 v5, v2, v3
	v_ffbh_i32_e32 v4, v3
	v_ashrrev_i32_e32 v5, 31, v5
	v_add_u32_e32 v4, -1, v4
	v_add_u32_e32 v5, 32, v5
	v_min_u32_e32 v6, v4, v5
	v_lshlrev_b64 v[4:5], v6, v[2:3]
	v_min_u32_e32 v4, 1, v4
	v_or_b32_e32 v4, v5, v4
	v_cvt_f32_i32_e32 v4, v4
	v_sub_u32_e32 v5, 32, v6
	s_mov_b32 s14, 0x47800000
	v_mov_b32_e32 v6, 0x80
	v_ldexp_f32 v4, v4, v5
	v_and_b32_e32 v5, 0x7fffffff, v4
	v_cmp_gt_u32_e32 vcc, s14, v5
	s_and_saveexec_b64 s[14:15], vcc
	s_cbranch_execz .LBB305_353
; %bb.348:
	s_mov_b32 s16, 0x37ffffff
	v_cmp_lt_u32_e32 vcc, s16, v5
	s_mov_b64 s[16:17], 0
                                        ; implicit-def: $vgpr5
	s_and_saveexec_b64 s[18:19], vcc
	s_xor_b64 s[18:19], exec, s[18:19]
	s_cbranch_execz .LBB305_568
; %bb.349:
	v_bfe_u32 v5, v4, 21, 1
	s_mov_b32 s22, 0x88fffff
	v_add3_u32 v5, v4, v5, s22
	s_mov_b64 s[16:17], exec
	v_lshrrev_b32_e32 v5, 21, v5
	s_andn2_saveexec_b64 s[18:19], s[18:19]
	s_cbranch_execnz .LBB305_569
.LBB305_350:
	s_or_b64 exec, exec, s[18:19]
	v_mov_b32_e32 v6, 0
	s_and_saveexec_b64 s[18:19], s[16:17]
.LBB305_351:
	v_lshrrev_b32_e32 v4, 24, v4
	s_movk_i32 s16, 0x80
	v_and_or_b32 v6, v4, s16, v5
.LBB305_352:
	s_or_b64 exec, exec, s[18:19]
.LBB305_353:
	s_or_b64 exec, exec, s[14:15]
	s_mov_b64 s[14:15], 0
	global_store_byte v[0:1], v6, off
.LBB305_354:
	s_and_b64 vcc, exec, s[14:15]
	s_cbranch_vccz .LBB305_364
; %bb.355:
	v_xor_b32_e32 v5, v2, v3
	v_ffbh_i32_e32 v4, v3
	v_ashrrev_i32_e32 v5, 31, v5
	v_add_u32_e32 v4, -1, v4
	v_add_u32_e32 v5, 32, v5
	v_min_u32_e32 v6, v4, v5
	v_lshlrev_b64 v[4:5], v6, v[2:3]
	v_min_u32_e32 v4, 1, v4
	v_or_b32_e32 v4, v5, v4
	v_cvt_f32_i32_e32 v4, v4
	v_sub_u32_e32 v5, 32, v6
	s_mov_b32 s14, 0x43f00000
	v_ldexp_f32 v4, v4, v5
	v_and_b32_e32 v6, 0x7fffffff, v4
	v_cmp_gt_u32_e32 vcc, s14, v6
                                        ; implicit-def: $vgpr5
	s_and_saveexec_b64 s[14:15], vcc
	s_xor_b64 s[14:15], exec, s[14:15]
	s_cbranch_execz .LBB305_361
; %bb.356:
	s_mov_b32 s16, 0x3c7fffff
	v_cmp_lt_u32_e32 vcc, s16, v6
                                        ; implicit-def: $vgpr5
	s_and_saveexec_b64 s[16:17], vcc
	s_xor_b64 s[16:17], exec, s[16:17]
; %bb.357:
	v_bfe_u32 v5, v4, 20, 1
	s_mov_b32 s18, 0x407ffff
	v_add3_u32 v5, v4, v5, s18
	v_lshrrev_b32_e32 v6, 20, v5
	v_and_b32_e32 v5, 0xff00000, v5
	s_mov_b32 s18, 0x7f00000
	v_mov_b32_e32 v7, 0x7e
	v_cmp_ne_u32_e32 vcc, s18, v5
	s_nop 1
	v_cndmask_b32_e32 v5, v7, v6, vcc
; %bb.358:
	s_andn2_saveexec_b64 s[16:17], s[16:17]
; %bb.359:
	s_mov_b32 s18, 0x46800000
	v_add_f32_e64 v5, |v4|, s18
; %bb.360:
	s_or_b64 exec, exec, s[16:17]
                                        ; implicit-def: $vgpr6
.LBB305_361:
	s_andn2_saveexec_b64 s[14:15], s[14:15]
; %bb.362:
	s_mov_b32 s16, 0x7f800000
	v_mov_b32_e32 v5, 0x7e
	v_mov_b32_e32 v7, 0x7f
	v_cmp_lt_u32_e32 vcc, s16, v6
	s_nop 1
	v_cndmask_b32_e32 v5, v5, v7, vcc
; %bb.363:
	s_or_b64 exec, exec, s[14:15]
	v_lshrrev_b32_e32 v4, 24, v4
	s_movk_i32 s14, 0x80
	v_and_or_b32 v4, v4, s14, v5
	global_store_byte v[0:1], v4, off
.LBB305_364:
	s_mov_b64 s[14:15], 0
.LBB305_365:
	s_andn2_b64 vcc, exec, s[14:15]
	s_cbranch_vccnz .LBB305_375
; %bb.366:
	v_xor_b32_e32 v5, v2, v3
	v_ffbh_i32_e32 v4, v3
	v_ashrrev_i32_e32 v5, 31, v5
	v_add_u32_e32 v4, -1, v4
	v_add_u32_e32 v5, 32, v5
	v_min_u32_e32 v6, v4, v5
	v_lshlrev_b64 v[4:5], v6, v[2:3]
	v_min_u32_e32 v4, 1, v4
	v_or_b32_e32 v4, v5, v4
	v_cvt_f32_i32_e32 v4, v4
	v_sub_u32_e32 v5, 32, v6
	s_mov_b32 s14, 0x47800000
	v_ldexp_f32 v4, v4, v5
	v_and_b32_e32 v6, 0x7fffffff, v4
	v_cmp_gt_u32_e32 vcc, s14, v6
                                        ; implicit-def: $vgpr5
	s_and_saveexec_b64 s[14:15], vcc
	s_xor_b64 s[14:15], exec, s[14:15]
	s_cbranch_execz .LBB305_372
; %bb.367:
	s_mov_b32 s16, 0x387fffff
	v_cmp_lt_u32_e32 vcc, s16, v6
                                        ; implicit-def: $vgpr5
	s_and_saveexec_b64 s[16:17], vcc
	s_xor_b64 s[16:17], exec, s[16:17]
; %bb.368:
	v_bfe_u32 v5, v4, 21, 1
	s_mov_b32 s18, 0x80fffff
	v_add3_u32 v5, v4, v5, s18
	v_lshrrev_b32_e32 v5, 21, v5
; %bb.369:
	s_andn2_saveexec_b64 s[16:17], s[16:17]
; %bb.370:
	s_mov_b32 s18, 0x43000000
	v_add_f32_e64 v5, |v4|, s18
; %bb.371:
	s_or_b64 exec, exec, s[16:17]
                                        ; implicit-def: $vgpr6
.LBB305_372:
	s_andn2_saveexec_b64 s[14:15], s[14:15]
; %bb.373:
	s_mov_b32 s16, 0x7f800000
	v_mov_b32_e32 v5, 0x7c
	v_mov_b32_e32 v7, 0x7f
	v_cmp_lt_u32_e32 vcc, s16, v6
	s_nop 1
	v_cndmask_b32_e32 v5, v5, v7, vcc
; %bb.374:
	s_or_b64 exec, exec, s[14:15]
	v_lshrrev_b32_e32 v4, 24, v4
	s_movk_i32 s14, 0x80
	v_and_or_b32 v4, v4, s14, v5
	global_store_byte v[0:1], v4, off
.LBB305_375:
	s_mov_b64 s[16:17], 0
	s_mov_b64 s[14:15], -1
.LBB305_376:
	s_andn2_b64 vcc, exec, s[16:17]
	s_cbranch_vccnz .LBB305_384
; %bb.377:
	s_cmp_gt_i32 s21, 14
	s_mov_b64 s[16:17], -1
	s_cbranch_scc0 .LBB305_381
; %bb.378:
	s_cmp_eq_u32 s21, 15
	s_mov_b64 s[2:3], -1
	s_cbranch_scc0 .LBB305_380
; %bb.379:
	v_xor_b32_e32 v5, v2, v3
	v_ffbh_i32_e32 v4, v3
	v_ashrrev_i32_e32 v5, 31, v5
	v_add_u32_e32 v4, -1, v4
	v_add_u32_e32 v5, 32, v5
	v_min_u32_e32 v6, v4, v5
	v_lshlrev_b64 v[4:5], v6, v[2:3]
	v_min_u32_e32 v4, 1, v4
	v_or_b32_e32 v4, v5, v4
	v_cvt_f32_i32_e32 v4, v4
	v_sub_u32_e32 v5, 32, v6
	s_movk_i32 s2, 0x7fff
	s_mov_b64 s[14:15], -1
	v_ldexp_f32 v4, v4, v5
	v_bfe_u32 v5, v4, 16, 1
	v_add3_u32 v4, v4, v5, s2
	global_store_short_d16_hi v[0:1], v4, off
	s_mov_b64 s[2:3], 0
.LBB305_380:
	s_mov_b64 s[16:17], 0
.LBB305_381:
	s_and_b64 vcc, exec, s[16:17]
	s_cbranch_vccz .LBB305_384
; %bb.382:
	s_cmp_eq_u32 s21, 11
	s_mov_b64 s[2:3], -1
	s_cbranch_scc0 .LBB305_384
; %bb.383:
	v_cmp_ne_u64_e32 vcc, 0, v[2:3]
	s_mov_b64 s[2:3], 0
	s_mov_b64 s[14:15], -1
	v_cndmask_b32_e64 v4, 0, 1, vcc
	global_store_byte v[0:1], v4, off
.LBB305_384:
	s_mov_b64 s[16:17], 0
.LBB305_385:
	s_and_b64 vcc, exec, s[16:17]
	s_cbranch_vccz .LBB305_424
; %bb.386:
	s_and_b32 s16, 0xffff, s20
	s_cmp_lt_i32 s16, 5
	s_mov_b64 s[14:15], -1
	s_cbranch_scc1 .LBB305_407
; %bb.387:
	s_cmp_lt_i32 s16, 8
	s_cbranch_scc1 .LBB305_397
; %bb.388:
	s_cmp_lt_i32 s16, 9
	s_cbranch_scc1 .LBB305_394
; %bb.389:
	s_cmp_gt_i32 s16, 9
	s_cbranch_scc0 .LBB305_391
; %bb.390:
	v_cvt_f64_i32_e32 v[4:5], v3
	v_ldexp_f64 v[4:5], v[4:5], 32
	v_cvt_f64_u32_e32 v[6:7], v2
	v_add_f64 v[4:5], v[4:5], v[6:7]
	v_mov_b32_e32 v6, 0
	v_mov_b32_e32 v7, v6
	s_mov_b64 s[14:15], 0
	global_store_dwordx4 v[0:1], v[4:7], off
.LBB305_391:
	s_andn2_b64 vcc, exec, s[14:15]
	s_cbranch_vccnz .LBB305_393
; %bb.392:
	v_xor_b32_e32 v5, v2, v3
	v_ffbh_i32_e32 v4, v3
	v_ashrrev_i32_e32 v5, 31, v5
	v_add_u32_e32 v4, -1, v4
	v_add_u32_e32 v5, 32, v5
	v_min_u32_e32 v6, v4, v5
	v_lshlrev_b64 v[4:5], v6, v[2:3]
	v_min_u32_e32 v4, 1, v4
	v_or_b32_e32 v4, v5, v4
	v_cvt_f32_i32_e32 v4, v4
	v_sub_u32_e32 v5, 32, v6
	v_ldexp_f32 v4, v4, v5
	v_mov_b32_e32 v5, 0
	global_store_dwordx2 v[0:1], v[4:5], off
.LBB305_393:
	s_mov_b64 s[14:15], 0
.LBB305_394:
	s_andn2_b64 vcc, exec, s[14:15]
	s_cbranch_vccnz .LBB305_396
; %bb.395:
	v_xor_b32_e32 v5, v2, v3
	v_ffbh_i32_e32 v4, v3
	v_ashrrev_i32_e32 v5, 31, v5
	v_add_u32_e32 v4, -1, v4
	v_add_u32_e32 v5, 32, v5
	v_min_u32_e32 v6, v4, v5
	v_lshlrev_b64 v[4:5], v6, v[2:3]
	v_min_u32_e32 v4, 1, v4
	v_or_b32_e32 v4, v5, v4
	v_cvt_f32_i32_e32 v4, v4
	v_sub_u32_e32 v5, 32, v6
	v_ldexp_f32 v4, v4, v5
	v_cvt_f16_f32_e32 v4, v4
	global_store_dword v[0:1], v4, off
.LBB305_396:
	s_mov_b64 s[14:15], 0
.LBB305_397:
	s_andn2_b64 vcc, exec, s[14:15]
	s_cbranch_vccnz .LBB305_406
; %bb.398:
	s_cmp_lt_i32 s16, 6
	s_mov_b64 s[14:15], -1
	s_cbranch_scc1 .LBB305_404
; %bb.399:
	s_cmp_gt_i32 s16, 6
	s_cbranch_scc0 .LBB305_401
; %bb.400:
	v_cvt_f64_i32_e32 v[4:5], v3
	v_ldexp_f64 v[4:5], v[4:5], 32
	v_cvt_f64_u32_e32 v[6:7], v2
	v_add_f64 v[4:5], v[4:5], v[6:7]
	s_mov_b64 s[14:15], 0
	global_store_dwordx2 v[0:1], v[4:5], off
.LBB305_401:
	s_andn2_b64 vcc, exec, s[14:15]
	s_cbranch_vccnz .LBB305_403
; %bb.402:
	v_xor_b32_e32 v5, v2, v3
	v_ffbh_i32_e32 v4, v3
	v_ashrrev_i32_e32 v5, 31, v5
	v_add_u32_e32 v4, -1, v4
	v_add_u32_e32 v5, 32, v5
	v_min_u32_e32 v6, v4, v5
	v_lshlrev_b64 v[4:5], v6, v[2:3]
	v_min_u32_e32 v4, 1, v4
	v_or_b32_e32 v4, v5, v4
	v_cvt_f32_i32_e32 v4, v4
	v_sub_u32_e32 v5, 32, v6
	v_ldexp_f32 v4, v4, v5
	global_store_dword v[0:1], v4, off
.LBB305_403:
	s_mov_b64 s[14:15], 0
.LBB305_404:
	s_andn2_b64 vcc, exec, s[14:15]
	s_cbranch_vccnz .LBB305_406
; %bb.405:
	v_xor_b32_e32 v5, v2, v3
	v_ffbh_i32_e32 v4, v3
	v_ashrrev_i32_e32 v5, 31, v5
	v_add_u32_e32 v4, -1, v4
	v_add_u32_e32 v5, 32, v5
	v_min_u32_e32 v6, v4, v5
	v_lshlrev_b64 v[4:5], v6, v[2:3]
	v_min_u32_e32 v4, 1, v4
	v_or_b32_e32 v4, v5, v4
	v_cvt_f32_i32_e32 v4, v4
	v_sub_u32_e32 v5, 32, v6
	v_ldexp_f32 v4, v4, v5
	v_cvt_f16_f32_e32 v4, v4
	global_store_short v[0:1], v4, off
.LBB305_406:
	s_mov_b64 s[14:15], 0
.LBB305_407:
	s_andn2_b64 vcc, exec, s[14:15]
	s_cbranch_vccnz .LBB305_423
; %bb.408:
	s_cmp_lt_i32 s16, 2
	s_mov_b64 s[14:15], -1
	s_cbranch_scc1 .LBB305_418
; %bb.409:
	s_cmp_lt_i32 s16, 3
	s_cbranch_scc1 .LBB305_415
; %bb.410:
	s_cmp_gt_i32 s16, 3
	s_cbranch_scc0 .LBB305_412
; %bb.411:
	s_mov_b64 s[14:15], 0
	global_store_dwordx2 v[0:1], v[2:3], off
.LBB305_412:
	s_andn2_b64 vcc, exec, s[14:15]
	s_cbranch_vccnz .LBB305_414
; %bb.413:
	global_store_dword v[0:1], v2, off
.LBB305_414:
	s_mov_b64 s[14:15], 0
.LBB305_415:
	s_andn2_b64 vcc, exec, s[14:15]
	s_cbranch_vccnz .LBB305_417
; %bb.416:
	global_store_short v[0:1], v2, off
.LBB305_417:
	s_mov_b64 s[14:15], 0
.LBB305_418:
	s_andn2_b64 vcc, exec, s[14:15]
	s_cbranch_vccnz .LBB305_423
; %bb.419:
	s_cmp_gt_i32 s16, 0
	s_mov_b64 s[14:15], -1
	s_cbranch_scc0 .LBB305_421
; %bb.420:
	s_mov_b64 s[14:15], 0
	global_store_byte v[0:1], v2, off
.LBB305_421:
	s_andn2_b64 vcc, exec, s[14:15]
	s_cbranch_vccnz .LBB305_423
; %bb.422:
	global_store_byte v[0:1], v2, off
.LBB305_423:
	s_mov_b64 s[14:15], -1
.LBB305_424:
	s_andn2_b64 vcc, exec, s[14:15]
	s_cbranch_vccnz .LBB305_426
; %bb.425:
	v_add_u32_e32 v12, 0x80, v12
	s_mov_b64 s[14:15], -1
	s_branch .LBB305_535
.LBB305_426:
	s_mov_b64 s[14:15], 0
	s_branch .LBB305_534
.LBB305_427:
	s_mov_b64 s[12:13], -1
                                        ; implicit-def: $vgpr4_vgpr5
.LBB305_428:
	s_mov_b64 s[14:15], 0
.LBB305_429:
	s_and_b64 vcc, exec, s[14:15]
	s_cbranch_vccz .LBB305_433
; %bb.430:
	s_cmp_eq_u32 s16, 29
	s_cbranch_scc0 .LBB305_432
; %bb.431:
	global_load_dwordx2 v[4:5], v[2:3], off
	s_mov_b64 s[2:3], -1
	s_mov_b64 s[12:13], 0
	s_branch .LBB305_433
.LBB305_432:
	s_mov_b64 s[12:13], -1
                                        ; implicit-def: $vgpr4_vgpr5
.LBB305_433:
	s_mov_b64 s[14:15], 0
.LBB305_434:
	s_and_b64 vcc, exec, s[14:15]
	s_cbranch_vccz .LBB305_450
; %bb.435:
	s_cmp_lt_i32 s16, 27
	s_cbranch_scc1 .LBB305_438
; %bb.436:
	s_cmp_gt_i32 s16, 27
	s_cbranch_scc0 .LBB305_439
; %bb.437:
	global_load_dword v4, v[2:3], off
	s_waitcnt vmcnt(1)
	v_mov_b32_e32 v5, 0
	s_mov_b64 s[2:3], 0
	s_branch .LBB305_440
.LBB305_438:
	s_mov_b64 s[2:3], -1
                                        ; implicit-def: $vgpr4_vgpr5
	s_branch .LBB305_443
.LBB305_439:
	s_mov_b64 s[2:3], -1
                                        ; implicit-def: $vgpr4_vgpr5
.LBB305_440:
	s_andn2_b64 vcc, exec, s[2:3]
	s_cbranch_vccnz .LBB305_442
; %bb.441:
	global_load_ushort v1, v[2:3], off
	s_mov_b32 s2, 0
	s_waitcnt vmcnt(1)
	v_mov_b32_e32 v5, s2
	s_waitcnt vmcnt(0)
	v_and_b32_e32 v4, 0xffff, v1
.LBB305_442:
	s_mov_b64 s[2:3], 0
.LBB305_443:
	s_andn2_b64 vcc, exec, s[2:3]
	s_cbranch_vccnz .LBB305_449
; %bb.444:
	global_load_ubyte v1, v[2:3], off
	s_movk_i32 s2, 0x7f
	s_mov_b64 s[14:15], 0
	s_waitcnt vmcnt(0)
	v_cmp_lt_i16_e32 vcc, s2, v1
	s_and_saveexec_b64 s[2:3], vcc
	s_xor_b64 s[2:3], exec, s[2:3]
	s_cbranch_execz .LBB305_461
; %bb.445:
	s_movk_i32 s14, 0x80
	v_cmp_ne_u16_e32 vcc, s14, v1
	s_and_b64 s[14:15], vcc, exec
	s_andn2_saveexec_b64 s[2:3], s[2:3]
	s_cbranch_execnz .LBB305_462
.LBB305_446:
	s_or_b64 exec, exec, s[2:3]
	v_mov_b64_e32 v[4:5], 0
	s_and_saveexec_b64 s[2:3], s[14:15]
	s_cbranch_execz .LBB305_448
.LBB305_447:
	v_lshlrev_b32_e32 v4, 24, v1
	v_and_b32_e32 v1, 0xffff, v1
	v_and_b32_e32 v5, 7, v1
	v_ffbh_u32_e32 v7, v5
	v_min_u32_e32 v7, 32, v7
	v_subrev_u32_e32 v8, 28, v7
	v_bfe_u32 v6, v1, 3, 4
	v_lshlrev_b32_e32 v1, v8, v1
	v_sub_u32_e32 v7, 29, v7
	v_and_b32_e32 v1, 7, v1
	v_cmp_eq_u32_e32 vcc, 0, v6
	v_and_b32_e32 v4, 0x80000000, v4
	s_mov_b32 s14, 0x2f800000
	v_cndmask_b32_e32 v6, v6, v7, vcc
	v_cndmask_b32_e32 v1, v5, v1, vcc
	v_mov_b32_e32 v5, 0x3b800000
	v_lshlrev_b32_e32 v1, 20, v1
	v_lshl_add_u32 v5, v6, 23, v5
	v_or3_b32 v1, v4, v5, v1
	v_trunc_f32_e32 v1, v1
	v_mul_f32_e64 v4, |v1|, s14
	v_floor_f32_e32 v4, v4
	s_mov_b32 s14, 0xcf800000
	v_fma_f32 v5, v4, s14, |v1|
	v_cvt_u32_f32_e32 v4, v4
	v_cvt_u32_f32_e32 v5, v5
	v_ashrrev_i32_e32 v1, 31, v1
	v_xor_b32_e32 v6, v4, v1
	v_xor_b32_e32 v4, v5, v1
	v_sub_co_u32_e32 v4, vcc, v4, v1
	s_nop 1
	v_subb_co_u32_e32 v5, vcc, v6, v1, vcc
.LBB305_448:
	s_or_b64 exec, exec, s[2:3]
.LBB305_449:
	s_mov_b64 s[2:3], -1
.LBB305_450:
	s_mov_b64 s[14:15], 0
.LBB305_451:
	s_and_b64 vcc, exec, s[14:15]
	s_cbranch_vccz .LBB305_484
; %bb.452:
	s_cmp_gt_i32 s16, 22
	s_cbranch_scc0 .LBB305_460
; %bb.453:
	s_cmp_lt_i32 s16, 24
	s_cbranch_scc1 .LBB305_463
; %bb.454:
	s_cmp_gt_i32 s16, 24
	s_cbranch_scc0 .LBB305_464
; %bb.455:
	global_load_ubyte v1, v[2:3], off
	s_movk_i32 s2, 0x7f
	s_mov_b64 s[14:15], 0
	s_waitcnt vmcnt(0)
	v_cmp_lt_i16_e32 vcc, s2, v1
	s_and_saveexec_b64 s[2:3], vcc
	s_xor_b64 s[2:3], exec, s[2:3]
	s_cbranch_execz .LBB305_476
; %bb.456:
	s_movk_i32 s14, 0x80
	v_cmp_ne_u16_e32 vcc, s14, v1
	s_and_b64 s[14:15], vcc, exec
	s_andn2_saveexec_b64 s[2:3], s[2:3]
	s_cbranch_execnz .LBB305_477
.LBB305_457:
	s_or_b64 exec, exec, s[2:3]
	v_mov_b64_e32 v[4:5], 0
	s_and_saveexec_b64 s[2:3], s[14:15]
	s_cbranch_execz .LBB305_459
.LBB305_458:
	v_lshlrev_b32_e32 v4, 24, v1
	v_and_b32_e32 v1, 0xffff, v1
	v_and_b32_e32 v5, 3, v1
	v_ffbh_u32_e32 v7, v5
	v_min_u32_e32 v7, 32, v7
	v_subrev_u32_e32 v8, 29, v7
	v_bfe_u32 v6, v1, 2, 5
	v_lshlrev_b32_e32 v1, v8, v1
	v_sub_u32_e32 v7, 30, v7
	v_and_b32_e32 v1, 3, v1
	v_cmp_eq_u32_e32 vcc, 0, v6
	v_and_b32_e32 v4, 0x80000000, v4
	s_mov_b32 s14, 0x2f800000
	v_cndmask_b32_e32 v6, v6, v7, vcc
	v_cndmask_b32_e32 v1, v5, v1, vcc
	v_mov_b32_e32 v5, 0x37800000
	v_lshlrev_b32_e32 v1, 21, v1
	v_lshl_add_u32 v5, v6, 23, v5
	v_or3_b32 v1, v4, v5, v1
	v_trunc_f32_e32 v1, v1
	v_mul_f32_e64 v4, |v1|, s14
	v_floor_f32_e32 v4, v4
	s_mov_b32 s14, 0xcf800000
	v_fma_f32 v5, v4, s14, |v1|
	v_cvt_u32_f32_e32 v4, v4
	v_cvt_u32_f32_e32 v5, v5
	v_ashrrev_i32_e32 v1, 31, v1
	v_xor_b32_e32 v6, v4, v1
	v_xor_b32_e32 v4, v5, v1
	v_sub_co_u32_e32 v4, vcc, v4, v1
	s_nop 1
	v_subb_co_u32_e32 v5, vcc, v6, v1, vcc
.LBB305_459:
	s_or_b64 exec, exec, s[2:3]
	s_mov_b64 s[2:3], 0
	s_branch .LBB305_465
.LBB305_460:
	s_mov_b64 s[14:15], -1
                                        ; implicit-def: $vgpr4_vgpr5
	s_branch .LBB305_471
.LBB305_461:
	s_andn2_saveexec_b64 s[2:3], s[2:3]
	s_cbranch_execz .LBB305_446
.LBB305_462:
	v_cmp_ne_u16_e32 vcc, 0, v1
	s_andn2_b64 s[14:15], s[14:15], exec
	s_and_b64 s[18:19], vcc, exec
	s_or_b64 s[14:15], s[14:15], s[18:19]
	s_or_b64 exec, exec, s[2:3]
	v_mov_b64_e32 v[4:5], 0
	s_and_saveexec_b64 s[2:3], s[14:15]
	s_cbranch_execnz .LBB305_447
	s_branch .LBB305_448
.LBB305_463:
	s_mov_b64 s[2:3], -1
                                        ; implicit-def: $vgpr4_vgpr5
	s_branch .LBB305_468
.LBB305_464:
	s_mov_b64 s[2:3], -1
                                        ; implicit-def: $vgpr4_vgpr5
.LBB305_465:
	s_and_b64 vcc, exec, s[2:3]
	s_cbranch_vccz .LBB305_467
; %bb.466:
	global_load_ubyte v1, v[2:3], off
	s_mov_b32 s2, 0x7f800000
	s_brev_b32 s3, 1
	s_mov_b32 s14, 0x2f800000
	s_mov_b32 s15, 0xcf800000
	s_waitcnt vmcnt(0)
	v_lshlrev_b32_e32 v1, 24, v1
	v_and_b32_e32 v4, 0x7f000000, v1
	v_ffbh_u32_e32 v5, v4
	v_min_u32_e32 v5, 32, v5
	v_sub_u32_e64 v5, v5, 4 clamp
	v_lshlrev_b32_e32 v7, v5, v4
	v_lshlrev_b32_e32 v5, 23, v5
	v_lshrrev_b32_e32 v7, 4, v7
	v_add_u32_e32 v6, 0x1000000, v4
	v_sub_u32_e32 v5, v7, v5
	v_ashrrev_i32_e32 v6, 8, v6
	v_add_u32_e32 v5, 0x3c000000, v5
	v_and_or_b32 v5, v6, s2, v5
	v_cmp_ne_u32_e32 vcc, 0, v4
	s_nop 1
	v_cndmask_b32_e32 v4, 0, v5, vcc
	v_and_or_b32 v1, v1, s3, v4
	v_trunc_f32_e32 v1, v1
	v_mul_f32_e64 v4, |v1|, s14
	v_floor_f32_e32 v4, v4
	v_fma_f32 v5, v4, s15, |v1|
	v_cvt_u32_f32_e32 v4, v4
	v_cvt_u32_f32_e32 v5, v5
	v_ashrrev_i32_e32 v1, 31, v1
	v_xor_b32_e32 v6, v4, v1
	v_xor_b32_e32 v4, v5, v1
	v_sub_co_u32_e32 v4, vcc, v4, v1
	s_nop 1
	v_subb_co_u32_e32 v5, vcc, v6, v1, vcc
.LBB305_467:
	s_mov_b64 s[2:3], 0
.LBB305_468:
	s_andn2_b64 vcc, exec, s[2:3]
	s_cbranch_vccnz .LBB305_470
; %bb.469:
	global_load_ubyte v1, v[2:3], off
	s_movk_i32 s2, 0x7f00
	s_brev_b32 s3, 16
	s_brev_b32 s14, 1
	s_mov_b32 s15, 0x2f800000
	s_mov_b32 s17, 0xcf800000
	s_waitcnt vmcnt(0)
	v_lshlrev_b16_e32 v4, 8, v1
	v_lshlrev_b32_e32 v1, 25, v1
	v_lshrrev_b32_e32 v5, 4, v1
	v_and_or_b32 v6, v4, s2, 0.5
	v_or_b32_e32 v5, 0x70000000, v5
	v_add_f32_e32 v6, -0.5, v6
	v_mul_f32_e32 v5, 0x7800000, v5
	v_cmp_gt_u32_e32 vcc, s3, v1
	v_bfe_i32 v4, v4, 0, 16
	s_nop 0
	v_cndmask_b32_e32 v1, v5, v6, vcc
	v_and_or_b32 v1, v4, s14, v1
	v_trunc_f32_e32 v1, v1
	v_mul_f32_e64 v4, |v1|, s15
	v_floor_f32_e32 v4, v4
	v_fma_f32 v5, v4, s17, |v1|
	v_cvt_u32_f32_e32 v4, v4
	v_cvt_u32_f32_e32 v5, v5
	v_ashrrev_i32_e32 v1, 31, v1
	v_xor_b32_e32 v6, v4, v1
	v_xor_b32_e32 v4, v5, v1
	v_sub_co_u32_e32 v4, vcc, v4, v1
	s_nop 1
	v_subb_co_u32_e32 v5, vcc, v6, v1, vcc
.LBB305_470:
	s_mov_b64 s[14:15], 0
	s_mov_b64 s[2:3], -1
.LBB305_471:
	s_andn2_b64 vcc, exec, s[14:15]
	s_cbranch_vccnz .LBB305_484
; %bb.472:
	s_cmp_gt_i32 s16, 14
	s_cbranch_scc0 .LBB305_475
; %bb.473:
	s_cmp_eq_u32 s16, 15
	s_cbranch_scc0 .LBB305_478
; %bb.474:
	global_load_ushort v1, v[2:3], off
	s_mov_b32 s2, 0x2f800000
	s_mov_b32 s3, 0xcf800000
	s_mov_b64 s[12:13], 0
	s_waitcnt vmcnt(0)
	v_lshlrev_b32_e32 v1, 16, v1
	v_trunc_f32_e32 v1, v1
	v_mul_f32_e64 v4, |v1|, s2
	v_floor_f32_e32 v4, v4
	v_fma_f32 v5, v4, s3, |v1|
	v_cvt_u32_f32_e32 v4, v4
	v_cvt_u32_f32_e32 v5, v5
	v_ashrrev_i32_e32 v1, 31, v1
	s_mov_b64 s[2:3], -1
	v_xor_b32_e32 v6, v4, v1
	v_xor_b32_e32 v4, v5, v1
	v_sub_co_u32_e32 v4, vcc, v4, v1
	s_nop 1
	v_subb_co_u32_e32 v5, vcc, v6, v1, vcc
	s_branch .LBB305_479
.LBB305_475:
	s_mov_b64 s[14:15], -1
                                        ; implicit-def: $vgpr4_vgpr5
	s_branch .LBB305_480
.LBB305_476:
	s_andn2_saveexec_b64 s[2:3], s[2:3]
	s_cbranch_execz .LBB305_457
.LBB305_477:
	v_cmp_ne_u16_e32 vcc, 0, v1
	s_andn2_b64 s[14:15], s[14:15], exec
	s_and_b64 s[18:19], vcc, exec
	s_or_b64 s[14:15], s[14:15], s[18:19]
	s_or_b64 exec, exec, s[2:3]
	v_mov_b64_e32 v[4:5], 0
	s_and_saveexec_b64 s[2:3], s[14:15]
	s_cbranch_execnz .LBB305_458
	s_branch .LBB305_459
.LBB305_478:
	s_mov_b64 s[12:13], -1
                                        ; implicit-def: $vgpr4_vgpr5
.LBB305_479:
	s_mov_b64 s[14:15], 0
.LBB305_480:
	s_and_b64 vcc, exec, s[14:15]
	s_cbranch_vccz .LBB305_484
; %bb.481:
	s_cmp_eq_u32 s16, 11
	s_cbranch_scc0 .LBB305_483
; %bb.482:
	global_load_ubyte v1, v[2:3], off
	s_mov_b32 s12, 0
	s_mov_b64 s[2:3], -1
	s_waitcnt vmcnt(1)
	v_mov_b32_e32 v5, s12
	s_mov_b64 s[12:13], 0
	s_waitcnt vmcnt(0)
	v_cmp_ne_u16_e32 vcc, 0, v1
	s_nop 1
	v_cndmask_b32_e64 v4, 0, 1, vcc
	s_branch .LBB305_484
.LBB305_483:
	s_mov_b64 s[12:13], -1
                                        ; implicit-def: $vgpr4_vgpr5
.LBB305_484:
	s_branch .LBB305_291
.LBB305_485:
	s_cmp_lt_i32 s16, 5
	s_cbranch_scc1 .LBB305_490
; %bb.486:
	s_cmp_lt_i32 s16, 8
	s_cbranch_scc1 .LBB305_491
; %bb.487:
	;; [unrolled: 3-line block ×3, first 2 shown]
	s_cmp_gt_i32 s16, 9
	s_cbranch_scc0 .LBB305_493
; %bb.489:
	global_load_dwordx2 v[4:5], v[2:3], off
	s_movk_i32 s2, 0xffe0
	s_waitcnt vmcnt(0)
	v_trunc_f64_e32 v[6:7], v[4:5]
	v_ldexp_f64 v[4:5], v[6:7], s2
	v_floor_f64_e32 v[8:9], v[4:5]
	v_fmac_f64_e32 v[6:7], 0xc1f00000, v[8:9]
	v_cvt_i32_f64_e32 v5, v[8:9]
	v_cvt_u32_f64_e32 v4, v[6:7]
	s_mov_b64 s[2:3], 0
	s_branch .LBB305_494
.LBB305_490:
	s_mov_b64 s[2:3], -1
                                        ; implicit-def: $vgpr4_vgpr5
	s_branch .LBB305_512
.LBB305_491:
	s_mov_b64 s[2:3], -1
                                        ; implicit-def: $vgpr4_vgpr5
	s_branch .LBB305_500
.LBB305_492:
	s_mov_b64 s[2:3], -1
                                        ; implicit-def: $vgpr4_vgpr5
	s_branch .LBB305_497
.LBB305_493:
	s_mov_b64 s[2:3], -1
                                        ; implicit-def: $vgpr4_vgpr5
.LBB305_494:
	s_andn2_b64 vcc, exec, s[2:3]
	s_cbranch_vccnz .LBB305_496
; %bb.495:
	global_load_dword v1, v[2:3], off
	s_mov_b32 s2, 0x2f800000
	s_mov_b32 s3, 0xcf800000
	s_waitcnt vmcnt(0)
	v_trunc_f32_e32 v1, v1
	v_mul_f32_e64 v4, |v1|, s2
	v_floor_f32_e32 v4, v4
	v_cvt_u32_f32_e32 v5, v4
	v_fma_f32 v4, v4, s3, |v1|
	v_cvt_u32_f32_e32 v4, v4
	v_ashrrev_i32_e32 v1, 31, v1
	v_xor_b32_e32 v5, v5, v1
	v_xor_b32_e32 v4, v4, v1
	v_sub_co_u32_e32 v4, vcc, v4, v1
	s_nop 1
	v_subb_co_u32_e32 v5, vcc, v5, v1, vcc
.LBB305_496:
	s_mov_b64 s[2:3], 0
.LBB305_497:
	s_andn2_b64 vcc, exec, s[2:3]
	s_cbranch_vccnz .LBB305_499
; %bb.498:
	global_load_dword v1, v[2:3], off
	s_waitcnt vmcnt(0)
	v_cvt_f32_f16_e32 v1, v1
	v_cvt_i32_f32_e32 v4, v1
	v_ashrrev_i32_e32 v5, 31, v4
.LBB305_499:
	s_mov_b64 s[2:3], 0
.LBB305_500:
	s_andn2_b64 vcc, exec, s[2:3]
	s_cbranch_vccnz .LBB305_511
; %bb.501:
	s_cmp_lt_i32 s16, 6
	s_cbranch_scc1 .LBB305_504
; %bb.502:
	s_cmp_gt_i32 s16, 6
	s_cbranch_scc0 .LBB305_505
; %bb.503:
	global_load_dwordx2 v[4:5], v[2:3], off
	s_movk_i32 s2, 0xffe0
	s_waitcnt vmcnt(0)
	v_trunc_f64_e32 v[6:7], v[4:5]
	v_ldexp_f64 v[4:5], v[6:7], s2
	v_floor_f64_e32 v[8:9], v[4:5]
	v_fmac_f64_e32 v[6:7], 0xc1f00000, v[8:9]
	v_cvt_i32_f64_e32 v5, v[8:9]
	v_cvt_u32_f64_e32 v4, v[6:7]
	s_mov_b64 s[2:3], 0
	s_branch .LBB305_506
.LBB305_504:
	s_mov_b64 s[2:3], -1
                                        ; implicit-def: $vgpr4_vgpr5
	s_branch .LBB305_509
.LBB305_505:
	s_mov_b64 s[2:3], -1
                                        ; implicit-def: $vgpr4_vgpr5
.LBB305_506:
	s_andn2_b64 vcc, exec, s[2:3]
	s_cbranch_vccnz .LBB305_508
; %bb.507:
	global_load_dword v1, v[2:3], off
	s_mov_b32 s2, 0x2f800000
	s_mov_b32 s3, 0xcf800000
	s_waitcnt vmcnt(0)
	v_trunc_f32_e32 v1, v1
	v_mul_f32_e64 v4, |v1|, s2
	v_floor_f32_e32 v4, v4
	v_cvt_u32_f32_e32 v5, v4
	v_fma_f32 v4, v4, s3, |v1|
	v_cvt_u32_f32_e32 v4, v4
	v_ashrrev_i32_e32 v1, 31, v1
	v_xor_b32_e32 v5, v5, v1
	v_xor_b32_e32 v4, v4, v1
	v_sub_co_u32_e32 v4, vcc, v4, v1
	s_nop 1
	v_subb_co_u32_e32 v5, vcc, v5, v1, vcc
.LBB305_508:
	s_mov_b64 s[2:3], 0
.LBB305_509:
	s_andn2_b64 vcc, exec, s[2:3]
	s_cbranch_vccnz .LBB305_511
; %bb.510:
	global_load_ushort v1, v[2:3], off
	s_waitcnt vmcnt(0)
	v_cvt_f32_f16_e32 v1, v1
	v_cvt_i32_f32_e32 v4, v1
	v_ashrrev_i32_e32 v5, 31, v4
.LBB305_511:
	s_mov_b64 s[2:3], 0
.LBB305_512:
	s_andn2_b64 vcc, exec, s[2:3]
	s_cbranch_vccnz .LBB305_532
; %bb.513:
	s_cmp_lt_i32 s16, 2
	s_cbranch_scc1 .LBB305_517
; %bb.514:
	s_cmp_lt_i32 s16, 3
	s_cbranch_scc1 .LBB305_518
; %bb.515:
	s_cmp_gt_i32 s16, 3
	s_cbranch_scc0 .LBB305_519
; %bb.516:
	global_load_dwordx2 v[4:5], v[2:3], off
	s_mov_b64 s[2:3], 0
	s_branch .LBB305_520
.LBB305_517:
	s_mov_b64 s[2:3], -1
                                        ; implicit-def: $vgpr4_vgpr5
	s_branch .LBB305_526
.LBB305_518:
	s_mov_b64 s[2:3], -1
                                        ; implicit-def: $vgpr4_vgpr5
	s_branch .LBB305_523
.LBB305_519:
	s_mov_b64 s[2:3], -1
                                        ; implicit-def: $vgpr4_vgpr5
.LBB305_520:
	s_andn2_b64 vcc, exec, s[2:3]
	s_cbranch_vccnz .LBB305_522
; %bb.521:
	global_load_dword v4, v[2:3], off
	s_waitcnt vmcnt(0)
	v_ashrrev_i32_e32 v5, 31, v4
.LBB305_522:
	s_mov_b64 s[2:3], 0
.LBB305_523:
	s_andn2_b64 vcc, exec, s[2:3]
	s_cbranch_vccnz .LBB305_525
; %bb.524:
	global_load_ushort v1, v[2:3], off
	s_waitcnt vmcnt(0)
	v_bfe_i32 v4, v1, 0, 16
	v_ashrrev_i32_e32 v5, 31, v4
.LBB305_525:
	s_mov_b64 s[2:3], 0
.LBB305_526:
	s_andn2_b64 vcc, exec, s[2:3]
	s_cbranch_vccnz .LBB305_532
; %bb.527:
	s_cmp_gt_i32 s16, 0
	s_cbranch_scc0 .LBB305_529
; %bb.528:
	global_load_sbyte v1, v[2:3], off
	s_mov_b64 s[2:3], 0
	s_waitcnt vmcnt(0)
	v_bfe_i32 v4, v1, 0, 16
	v_ashrrev_i32_e32 v5, 31, v4
	s_branch .LBB305_530
.LBB305_529:
	s_mov_b64 s[2:3], -1
                                        ; implicit-def: $vgpr4_vgpr5
.LBB305_530:
	s_andn2_b64 vcc, exec, s[2:3]
	s_cbranch_vccnz .LBB305_532
; %bb.531:
	global_load_ubyte v1, v[2:3], off
	s_mov_b32 s2, 0
	s_waitcnt vmcnt(1)
	v_mov_b32_e32 v5, s2
	s_waitcnt vmcnt(0)
	v_and_b32_e32 v4, 0xffff, v1
.LBB305_532:
	s_branch .LBB305_292
.LBB305_533:
	s_mov_b64 s[14:15], 0
	s_mov_b64 s[2:3], s[58:59]
.LBB305_534:
                                        ; implicit-def: $vgpr12
.LBB305_535:
	s_andn2_b64 s[16:17], s[58:59], exec
	s_and_b64 s[2:3], s[2:3], exec
	s_or_b64 s[66:67], s[16:17], s[2:3]
	s_andn2_b64 s[2:3], s[60:61], exec
	s_and_b64 s[12:13], s[12:13], exec
	s_or_b64 s[64:65], s[2:3], s[12:13]
	s_orn2_b64 s[2:3], s[14:15], exec
.LBB305_536:
	s_or_b64 exec, exec, s[68:69]
	s_mov_b64 s[12:13], 0
	s_mov_b64 s[14:15], 0
	;; [unrolled: 1-line block ×3, first 2 shown]
                                        ; implicit-def: $vgpr2_vgpr3
                                        ; implicit-def: $vgpr0
                                        ; implicit-def: $vgpr6_vgpr7
	s_and_saveexec_b64 s[68:69], s[2:3]
	s_cbranch_execz .LBB305_905
; %bb.537:
	v_cmp_gt_i32_e32 vcc, s74, v12
	s_mov_b64 s[18:19], -1
	s_mov_b64 s[2:3], s[64:65]
	s_mov_b64 s[72:73], s[66:67]
	s_and_saveexec_b64 s[70:71], vcc
	s_cbranch_execz .LBB305_808
; %bb.538:
	s_andn2_b64 vcc, exec, s[46:47]
	s_cbranch_vccnz .LBB305_544
; %bb.539:
	s_andn2_b64 vcc, exec, s[56:57]
	s_cbranch_vccnz .LBB305_545
; %bb.540:
	s_add_i32 s80, s79, 1
	s_cmp_eq_u32 s76, 2
	s_cbranch_scc1 .LBB305_546
; %bb.541:
	s_and_b32 s75, s80, 28
	s_mov_b32 s81, 0
	v_mov_b32_e32 v0, 0
	v_mov_b32_e32 v2, 0
	s_mov_b64 s[2:3], s[34:35]
	s_mov_b64 s[72:73], s[54:55]
	s_waitcnt vmcnt(0)
	v_mov_b32_e32 v4, v12
.LBB305_542:                            ; =>This Inner Loop Header: Depth=1
	s_load_dwordx8 s[20:27], s[2:3], 0x4
	s_load_dwordx4 s[40:43], s[2:3], 0x24
	s_load_dwordx8 s[12:19], s[72:73], 0x0
	s_add_u32 s2, s2, 48
	s_addc_u32 s3, s3, 0
	s_waitcnt lgkmcnt(0)
	v_mul_hi_u32 v1, s21, v4
	v_add_u32_e32 v1, v4, v1
	v_lshrrev_b32_e32 v1, s22, v1
	v_mul_lo_u32 v3, v1, s20
	v_mul_hi_u32 v5, s24, v1
	v_sub_u32_e32 v3, v4, v3
	v_add_u32_e32 v4, v1, v5
	v_lshrrev_b32_e32 v4, s25, v4
	v_mul_lo_u32 v6, v4, s23
	v_mul_hi_u32 v7, s27, v4
	v_sub_u32_e32 v1, v1, v6
	v_add_u32_e32 v6, v4, v7
	v_mul_lo_u32 v5, v3, s13
	v_mul_lo_u32 v3, v3, s12
	;; [unrolled: 1-line block ×4, first 2 shown]
	v_lshrrev_b32_e32 v6, s40, v6
	v_add3_u32 v0, v3, v0, v1
	v_mul_hi_u32 v3, s42, v6
	v_add3_u32 v1, v5, v2, v7
	v_mul_lo_u32 v2, v6, s26
	v_add_u32_e32 v3, v6, v3
	v_sub_u32_e32 v2, v4, v2
	v_lshrrev_b32_e32 v4, s43, v3
	s_add_i32 s81, s81, 4
	v_mul_lo_u32 v3, v4, s41
	s_add_u32 s72, s72, 32
	v_sub_u32_e32 v3, v6, v3
	s_addc_u32 s73, s73, 0
	v_mul_lo_u32 v5, v2, s16
	v_mul_lo_u32 v2, v2, s17
	v_mul_lo_u32 v6, v3, s18
	v_mul_lo_u32 v3, v3, s19
	s_cmp_eq_u32 s75, s81
	v_add3_u32 v2, v2, v1, v3
	v_add3_u32 v0, v5, v0, v6
	s_cbranch_scc0 .LBB305_542
; %bb.543:
	v_mov_b32_e32 v1, v2
	s_branch .LBB305_547
.LBB305_544:
	s_mov_b64 s[2:3], -1
                                        ; implicit-def: $vgpr2
                                        ; implicit-def: $vgpr0
	s_branch .LBB305_551
.LBB305_545:
	v_mov_b32_e32 v2, 0
	v_mov_b32_e32 v0, 0
	s_branch .LBB305_550
.LBB305_546:
	v_mov_b32_e32 v0, 0
	s_mov_b32 s75, 0
	v_mov_b32_e32 v1, v0
                                        ; implicit-def: $vgpr2
	s_waitcnt vmcnt(0)
	v_mov_b32_e32 v4, v12
.LBB305_547:
	s_and_b32 s14, s80, 3
	s_cmp_eq_u32 s14, 0
	s_cbranch_scc1 .LBB305_550
; %bb.548:
	s_lshl_b32 s2, s75, 3
	s_add_u32 s2, s34, s2
	s_addc_u32 s3, s35, 0
	s_add_u32 s2, s2, 0xc4
	s_addc_u32 s3, s3, 0
	s_mul_i32 s12, s75, 12
	s_add_u32 s12, s34, s12
	s_addc_u32 s13, s35, 0
.LBB305_549:                            ; =>This Inner Loop Header: Depth=1
	s_load_dwordx2 s[16:17], s[12:13], 0x4
	s_load_dword s15, s[12:13], 0xc
	s_load_dwordx2 s[18:19], s[2:3], 0x0
	v_mov_b32_e32 v2, v1
	s_add_u32 s12, s12, 12
	s_waitcnt lgkmcnt(0)
	v_mul_hi_u32 v1, s17, v4
	v_add_u32_e32 v1, v4, v1
	v_lshrrev_b32_e32 v1, s15, v1
	s_addc_u32 s13, s13, 0
	v_mul_lo_u32 v3, v1, s16
	s_add_u32 s2, s2, 8
	v_sub_u32_e32 v5, v4, v3
	s_addc_u32 s3, s3, 0
	s_add_i32 s14, s14, -1
	v_mov_b32_e32 v4, v1
	v_mad_u64_u32 v[2:3], s[16:17], v5, s19, v[2:3]
	v_mad_u64_u32 v[0:1], s[16:17], v5, s18, v[0:1]
	s_cmp_lg_u32 s14, 0
	v_mov_b32_e32 v1, v2
	s_cbranch_scc1 .LBB305_549
.LBB305_550:
	s_mov_b64 s[2:3], 0
.LBB305_551:
	s_andn2_b64 vcc, exec, s[2:3]
	s_cbranch_vccnz .LBB305_554
; %bb.552:
	v_mul_hi_u32 v0, s29, v12
	v_add_u32_e32 v0, v12, v0
	v_lshrrev_b32_e32 v1, s30, v0
	v_mul_lo_u32 v0, v1, s28
	v_sub_u32_e32 v0, v12, v0
	v_mul_lo_u32 v2, v0, s37
	s_andn2_b64 vcc, exec, s[52:53]
	v_mul_lo_u32 v0, v0, s36
	s_cbranch_vccnz .LBB305_554
; %bb.553:
	v_mul_hi_u32 v3, s50, v1
	v_add_u32_e32 v3, v1, v3
	v_lshrrev_b32_e32 v3, s51, v3
	v_mul_lo_u32 v3, v3, s31
	v_sub_u32_e32 v3, v1, v3
	v_mad_u64_u32 v[0:1], s[2:3], v3, s38, v[0:1]
	v_mad_u64_u32 v[2:3], s[2:3], v3, s39, v[2:3]
.LBB305_554:
	v_mov_b32_e32 v3, 0
	s_and_b32 s16, 0xffff, s78
	s_cmp_lt_i32 s16, 11
	v_lshl_add_u64 v[2:3], s[6:7], 0, v[2:3]
	s_cbranch_scc1 .LBB305_561
; %bb.555:
	s_cmp_gt_i32 s16, 25
	s_cbranch_scc0 .LBB305_562
; %bb.556:
	s_cmp_gt_i32 s16, 28
	s_cbranch_scc0 .LBB305_563
	;; [unrolled: 3-line block ×4, first 2 shown]
; %bb.559:
	s_cmp_eq_u32 s16, 46
	s_mov_b64 s[14:15], 0
	s_cbranch_scc0 .LBB305_570
; %bb.560:
	global_load_dword v1, v[2:3], off
	s_mov_b32 s2, 0x2f800000
	s_mov_b32 s3, 0xcf800000
	s_mov_b64 s[12:13], 0
	s_waitcnt vmcnt(0)
	v_lshlrev_b32_e32 v1, 16, v1
	v_trunc_f32_e32 v1, v1
	v_mul_f32_e64 v4, |v1|, s2
	v_floor_f32_e32 v4, v4
	v_fma_f32 v5, v4, s3, |v1|
	v_cvt_u32_f32_e32 v4, v4
	v_cvt_u32_f32_e32 v5, v5
	v_ashrrev_i32_e32 v1, 31, v1
	s_mov_b64 s[2:3], -1
	v_xor_b32_e32 v6, v4, v1
	v_xor_b32_e32 v4, v5, v1
	v_sub_co_u32_e32 v4, vcc, v4, v1
	s_nop 1
	v_subb_co_u32_e32 v5, vcc, v6, v1, vcc
	s_branch .LBB305_571
.LBB305_561:
	s_mov_b64 s[14:15], -1
	s_mov_b64 s[2:3], 0
                                        ; implicit-def: $vgpr4_vgpr5
	s_mov_b64 s[12:13], s[64:65]
	s_branch .LBB305_632
.LBB305_562:
	s_mov_b64 s[14:15], -1
	s_mov_b64 s[2:3], 0
	s_mov_b64 s[12:13], s[64:65]
                                        ; implicit-def: $vgpr4_vgpr5
	s_branch .LBB305_598
.LBB305_563:
	s_mov_b64 s[14:15], -1
	s_mov_b64 s[2:3], 0
	s_mov_b64 s[12:13], s[64:65]
                                        ; implicit-def: $vgpr4_vgpr5
	s_branch .LBB305_581
.LBB305_564:
	s_mov_b64 s[14:15], -1
	s_mov_b64 s[2:3], 0
	s_mov_b64 s[12:13], s[64:65]
                                        ; implicit-def: $vgpr4_vgpr5
	s_branch .LBB305_576
.LBB305_565:
	s_andn2_saveexec_b64 s[18:19], s[18:19]
	s_cbranch_execz .LBB305_337
.LBB305_566:
	s_mov_b32 s22, 0x46000000
	v_add_f32_e64 v5, |v4|, s22
	v_and_b32_e32 v5, 0xff, v5
	v_cmp_ne_u32_e32 vcc, 0, v5
	s_andn2_b64 s[16:17], s[16:17], exec
	s_and_b64 s[22:23], vcc, exec
	s_or_b64 s[16:17], s[16:17], s[22:23]
	s_or_b64 exec, exec, s[18:19]
	v_mov_b32_e32 v6, 0
	s_and_saveexec_b64 s[18:19], s[16:17]
	s_cbranch_execnz .LBB305_338
	s_branch .LBB305_339
.LBB305_567:
	s_mov_b64 s[14:15], -1
	s_mov_b64 s[2:3], 0
	s_mov_b64 s[12:13], s[64:65]
                                        ; implicit-def: $vgpr4_vgpr5
	s_branch .LBB305_571
.LBB305_568:
	s_andn2_saveexec_b64 s[18:19], s[18:19]
	s_cbranch_execz .LBB305_350
.LBB305_569:
	s_mov_b32 s22, 0x42800000
	v_add_f32_e64 v5, |v4|, s22
	v_and_b32_e32 v5, 0xff, v5
	v_cmp_ne_u32_e32 vcc, 0, v5
	s_andn2_b64 s[16:17], s[16:17], exec
	s_and_b64 s[22:23], vcc, exec
	s_or_b64 s[16:17], s[16:17], s[22:23]
	s_or_b64 exec, exec, s[18:19]
	v_mov_b32_e32 v6, 0
	s_and_saveexec_b64 s[18:19], s[16:17]
	s_cbranch_execnz .LBB305_351
	s_branch .LBB305_352
.LBB305_570:
	s_mov_b64 s[12:13], -1
                                        ; implicit-def: $vgpr4_vgpr5
	s_mov_b64 s[2:3], 0
.LBB305_571:
	s_and_b64 vcc, exec, s[14:15]
	s_cbranch_vccz .LBB305_575
; %bb.572:
	s_cmp_eq_u32 s16, 44
	s_cbranch_scc0 .LBB305_574
; %bb.573:
	global_load_ubyte v1, v[2:3], off
	s_mov_b32 s2, 0x2f800000
	s_mov_b32 s3, 0xcf800000
	s_mov_b64 s[12:13], 0
	s_waitcnt vmcnt(0)
	v_lshlrev_b32_e32 v4, 23, v1
	v_trunc_f32_e32 v4, v4
	v_mul_f32_e64 v5, |v4|, s2
	v_floor_f32_e32 v5, v5
	v_fma_f32 v6, v5, s3, |v4|
	v_cvt_u32_f32_e32 v6, v6
	v_cvt_u32_f32_e32 v5, v5
	v_ashrrev_i32_e32 v4, 31, v4
	s_mov_b64 s[2:3], -1
	v_xor_b32_e32 v6, v6, v4
	v_xor_b32_e32 v5, v5, v4
	v_sub_co_u32_e32 v6, vcc, v6, v4
	s_nop 1
	v_subb_co_u32_e32 v4, vcc, v5, v4, vcc
	v_cmp_ne_u32_e32 vcc, 0, v1
	s_nop 1
	v_cndmask_b32_e32 v5, 0, v4, vcc
	v_cndmask_b32_e32 v4, 0, v6, vcc
	s_branch .LBB305_575
.LBB305_574:
	s_mov_b64 s[12:13], -1
                                        ; implicit-def: $vgpr4_vgpr5
.LBB305_575:
	s_mov_b64 s[14:15], 0
.LBB305_576:
	s_and_b64 vcc, exec, s[14:15]
	s_cbranch_vccz .LBB305_580
; %bb.577:
	s_cmp_eq_u32 s16, 29
	s_cbranch_scc0 .LBB305_579
; %bb.578:
	global_load_dwordx2 v[4:5], v[2:3], off
	s_mov_b64 s[2:3], -1
	s_mov_b64 s[12:13], 0
	s_branch .LBB305_580
.LBB305_579:
	s_mov_b64 s[12:13], -1
                                        ; implicit-def: $vgpr4_vgpr5
.LBB305_580:
	s_mov_b64 s[14:15], 0
.LBB305_581:
	s_and_b64 vcc, exec, s[14:15]
	s_cbranch_vccz .LBB305_597
; %bb.582:
	s_cmp_lt_i32 s16, 27
	s_cbranch_scc1 .LBB305_585
; %bb.583:
	s_cmp_gt_i32 s16, 27
	s_cbranch_scc0 .LBB305_586
; %bb.584:
	global_load_dword v4, v[2:3], off
	s_waitcnt vmcnt(1)
	v_mov_b32_e32 v5, 0
	s_mov_b64 s[2:3], 0
	s_branch .LBB305_587
.LBB305_585:
	s_mov_b64 s[2:3], -1
                                        ; implicit-def: $vgpr4_vgpr5
	s_branch .LBB305_590
.LBB305_586:
	s_mov_b64 s[2:3], -1
                                        ; implicit-def: $vgpr4_vgpr5
.LBB305_587:
	s_andn2_b64 vcc, exec, s[2:3]
	s_cbranch_vccnz .LBB305_589
; %bb.588:
	global_load_ushort v1, v[2:3], off
	s_mov_b32 s2, 0
	s_waitcnt vmcnt(1)
	v_mov_b32_e32 v5, s2
	s_waitcnt vmcnt(0)
	v_and_b32_e32 v4, 0xffff, v1
.LBB305_589:
	s_mov_b64 s[2:3], 0
.LBB305_590:
	s_andn2_b64 vcc, exec, s[2:3]
	s_cbranch_vccnz .LBB305_596
; %bb.591:
	global_load_ubyte v1, v[2:3], off
	s_movk_i32 s2, 0x7f
	s_mov_b64 s[14:15], 0
	s_waitcnt vmcnt(0)
	v_cmp_lt_i16_e32 vcc, s2, v1
	s_and_saveexec_b64 s[2:3], vcc
	s_xor_b64 s[2:3], exec, s[2:3]
	s_cbranch_execz .LBB305_608
; %bb.592:
	s_movk_i32 s14, 0x80
	v_cmp_ne_u16_e32 vcc, s14, v1
	s_and_b64 s[14:15], vcc, exec
	s_andn2_saveexec_b64 s[2:3], s[2:3]
	s_cbranch_execnz .LBB305_609
.LBB305_593:
	s_or_b64 exec, exec, s[2:3]
	v_mov_b64_e32 v[4:5], 0
	s_and_saveexec_b64 s[2:3], s[14:15]
	s_cbranch_execz .LBB305_595
.LBB305_594:
	v_lshlrev_b32_e32 v4, 24, v1
	v_and_b32_e32 v1, 0xffff, v1
	v_and_b32_e32 v5, 7, v1
	v_ffbh_u32_e32 v7, v5
	v_min_u32_e32 v7, 32, v7
	v_subrev_u32_e32 v8, 28, v7
	v_bfe_u32 v6, v1, 3, 4
	v_lshlrev_b32_e32 v1, v8, v1
	v_sub_u32_e32 v7, 29, v7
	v_and_b32_e32 v1, 7, v1
	v_cmp_eq_u32_e32 vcc, 0, v6
	v_and_b32_e32 v4, 0x80000000, v4
	s_mov_b32 s14, 0x2f800000
	v_cndmask_b32_e32 v6, v6, v7, vcc
	v_cndmask_b32_e32 v1, v5, v1, vcc
	v_mov_b32_e32 v5, 0x3b800000
	v_lshlrev_b32_e32 v1, 20, v1
	v_lshl_add_u32 v5, v6, 23, v5
	v_or3_b32 v1, v4, v5, v1
	v_trunc_f32_e32 v1, v1
	v_mul_f32_e64 v4, |v1|, s14
	v_floor_f32_e32 v4, v4
	s_mov_b32 s14, 0xcf800000
	v_fma_f32 v5, v4, s14, |v1|
	v_cvt_u32_f32_e32 v4, v4
	v_cvt_u32_f32_e32 v5, v5
	v_ashrrev_i32_e32 v1, 31, v1
	v_xor_b32_e32 v6, v4, v1
	v_xor_b32_e32 v4, v5, v1
	v_sub_co_u32_e32 v4, vcc, v4, v1
	s_nop 1
	v_subb_co_u32_e32 v5, vcc, v6, v1, vcc
.LBB305_595:
	s_or_b64 exec, exec, s[2:3]
.LBB305_596:
	s_mov_b64 s[2:3], -1
.LBB305_597:
	s_mov_b64 s[14:15], 0
.LBB305_598:
	s_and_b64 vcc, exec, s[14:15]
	s_cbranch_vccz .LBB305_631
; %bb.599:
	s_cmp_gt_i32 s16, 22
	s_cbranch_scc0 .LBB305_607
; %bb.600:
	s_cmp_lt_i32 s16, 24
	s_cbranch_scc1 .LBB305_610
; %bb.601:
	s_cmp_gt_i32 s16, 24
	s_cbranch_scc0 .LBB305_611
; %bb.602:
	global_load_ubyte v1, v[2:3], off
	s_movk_i32 s2, 0x7f
	s_mov_b64 s[14:15], 0
	s_waitcnt vmcnt(0)
	v_cmp_lt_i16_e32 vcc, s2, v1
	s_and_saveexec_b64 s[2:3], vcc
	s_xor_b64 s[2:3], exec, s[2:3]
	s_cbranch_execz .LBB305_623
; %bb.603:
	s_movk_i32 s14, 0x80
	v_cmp_ne_u16_e32 vcc, s14, v1
	s_and_b64 s[14:15], vcc, exec
	s_andn2_saveexec_b64 s[2:3], s[2:3]
	s_cbranch_execnz .LBB305_624
.LBB305_604:
	s_or_b64 exec, exec, s[2:3]
	v_mov_b64_e32 v[4:5], 0
	s_and_saveexec_b64 s[2:3], s[14:15]
	s_cbranch_execz .LBB305_606
.LBB305_605:
	v_lshlrev_b32_e32 v4, 24, v1
	v_and_b32_e32 v1, 0xffff, v1
	v_and_b32_e32 v5, 3, v1
	v_ffbh_u32_e32 v7, v5
	v_min_u32_e32 v7, 32, v7
	v_subrev_u32_e32 v8, 29, v7
	v_bfe_u32 v6, v1, 2, 5
	v_lshlrev_b32_e32 v1, v8, v1
	v_sub_u32_e32 v7, 30, v7
	v_and_b32_e32 v1, 3, v1
	v_cmp_eq_u32_e32 vcc, 0, v6
	v_and_b32_e32 v4, 0x80000000, v4
	s_mov_b32 s14, 0x2f800000
	v_cndmask_b32_e32 v6, v6, v7, vcc
	v_cndmask_b32_e32 v1, v5, v1, vcc
	v_mov_b32_e32 v5, 0x37800000
	v_lshlrev_b32_e32 v1, 21, v1
	v_lshl_add_u32 v5, v6, 23, v5
	v_or3_b32 v1, v4, v5, v1
	v_trunc_f32_e32 v1, v1
	v_mul_f32_e64 v4, |v1|, s14
	v_floor_f32_e32 v4, v4
	s_mov_b32 s14, 0xcf800000
	v_fma_f32 v5, v4, s14, |v1|
	v_cvt_u32_f32_e32 v4, v4
	v_cvt_u32_f32_e32 v5, v5
	v_ashrrev_i32_e32 v1, 31, v1
	v_xor_b32_e32 v6, v4, v1
	v_xor_b32_e32 v4, v5, v1
	v_sub_co_u32_e32 v4, vcc, v4, v1
	s_nop 1
	v_subb_co_u32_e32 v5, vcc, v6, v1, vcc
.LBB305_606:
	s_or_b64 exec, exec, s[2:3]
	s_mov_b64 s[2:3], 0
	s_branch .LBB305_612
.LBB305_607:
	s_mov_b64 s[14:15], -1
                                        ; implicit-def: $vgpr4_vgpr5
	s_branch .LBB305_618
.LBB305_608:
	s_andn2_saveexec_b64 s[2:3], s[2:3]
	s_cbranch_execz .LBB305_593
.LBB305_609:
	v_cmp_ne_u16_e32 vcc, 0, v1
	s_andn2_b64 s[14:15], s[14:15], exec
	s_and_b64 s[18:19], vcc, exec
	s_or_b64 s[14:15], s[14:15], s[18:19]
	s_or_b64 exec, exec, s[2:3]
	v_mov_b64_e32 v[4:5], 0
	s_and_saveexec_b64 s[2:3], s[14:15]
	s_cbranch_execnz .LBB305_594
	s_branch .LBB305_595
.LBB305_610:
	s_mov_b64 s[2:3], -1
                                        ; implicit-def: $vgpr4_vgpr5
	s_branch .LBB305_615
.LBB305_611:
	s_mov_b64 s[2:3], -1
                                        ; implicit-def: $vgpr4_vgpr5
.LBB305_612:
	s_and_b64 vcc, exec, s[2:3]
	s_cbranch_vccz .LBB305_614
; %bb.613:
	global_load_ubyte v1, v[2:3], off
	s_mov_b32 s2, 0x7f800000
	s_brev_b32 s3, 1
	s_mov_b32 s14, 0x2f800000
	s_mov_b32 s15, 0xcf800000
	s_waitcnt vmcnt(0)
	v_lshlrev_b32_e32 v1, 24, v1
	v_and_b32_e32 v4, 0x7f000000, v1
	v_ffbh_u32_e32 v5, v4
	v_min_u32_e32 v5, 32, v5
	v_sub_u32_e64 v5, v5, 4 clamp
	v_lshlrev_b32_e32 v7, v5, v4
	v_lshlrev_b32_e32 v5, 23, v5
	v_lshrrev_b32_e32 v7, 4, v7
	v_add_u32_e32 v6, 0x1000000, v4
	v_sub_u32_e32 v5, v7, v5
	v_ashrrev_i32_e32 v6, 8, v6
	v_add_u32_e32 v5, 0x3c000000, v5
	v_and_or_b32 v5, v6, s2, v5
	v_cmp_ne_u32_e32 vcc, 0, v4
	s_nop 1
	v_cndmask_b32_e32 v4, 0, v5, vcc
	v_and_or_b32 v1, v1, s3, v4
	v_trunc_f32_e32 v1, v1
	v_mul_f32_e64 v4, |v1|, s14
	v_floor_f32_e32 v4, v4
	v_fma_f32 v5, v4, s15, |v1|
	v_cvt_u32_f32_e32 v4, v4
	v_cvt_u32_f32_e32 v5, v5
	v_ashrrev_i32_e32 v1, 31, v1
	v_xor_b32_e32 v6, v4, v1
	v_xor_b32_e32 v4, v5, v1
	v_sub_co_u32_e32 v4, vcc, v4, v1
	s_nop 1
	v_subb_co_u32_e32 v5, vcc, v6, v1, vcc
.LBB305_614:
	s_mov_b64 s[2:3], 0
.LBB305_615:
	s_andn2_b64 vcc, exec, s[2:3]
	s_cbranch_vccnz .LBB305_617
; %bb.616:
	global_load_ubyte v1, v[2:3], off
	s_movk_i32 s2, 0x7f00
	s_brev_b32 s3, 16
	s_brev_b32 s14, 1
	s_mov_b32 s15, 0x2f800000
	s_mov_b32 s17, 0xcf800000
	s_waitcnt vmcnt(0)
	v_lshlrev_b16_e32 v4, 8, v1
	v_lshlrev_b32_e32 v1, 25, v1
	v_lshrrev_b32_e32 v5, 4, v1
	v_and_or_b32 v6, v4, s2, 0.5
	v_or_b32_e32 v5, 0x70000000, v5
	v_add_f32_e32 v6, -0.5, v6
	v_mul_f32_e32 v5, 0x7800000, v5
	v_cmp_gt_u32_e32 vcc, s3, v1
	v_bfe_i32 v4, v4, 0, 16
	s_nop 0
	v_cndmask_b32_e32 v1, v5, v6, vcc
	v_and_or_b32 v1, v4, s14, v1
	v_trunc_f32_e32 v1, v1
	v_mul_f32_e64 v4, |v1|, s15
	v_floor_f32_e32 v4, v4
	v_fma_f32 v5, v4, s17, |v1|
	v_cvt_u32_f32_e32 v4, v4
	v_cvt_u32_f32_e32 v5, v5
	v_ashrrev_i32_e32 v1, 31, v1
	v_xor_b32_e32 v6, v4, v1
	v_xor_b32_e32 v4, v5, v1
	v_sub_co_u32_e32 v4, vcc, v4, v1
	s_nop 1
	v_subb_co_u32_e32 v5, vcc, v6, v1, vcc
.LBB305_617:
	s_mov_b64 s[14:15], 0
	s_mov_b64 s[2:3], -1
.LBB305_618:
	s_andn2_b64 vcc, exec, s[14:15]
	s_cbranch_vccnz .LBB305_631
; %bb.619:
	s_cmp_gt_i32 s16, 14
	s_cbranch_scc0 .LBB305_622
; %bb.620:
	s_cmp_eq_u32 s16, 15
	s_cbranch_scc0 .LBB305_625
; %bb.621:
	global_load_ushort v1, v[2:3], off
	s_mov_b32 s2, 0x2f800000
	s_mov_b32 s3, 0xcf800000
	s_mov_b64 s[12:13], 0
	s_waitcnt vmcnt(0)
	v_lshlrev_b32_e32 v1, 16, v1
	v_trunc_f32_e32 v1, v1
	v_mul_f32_e64 v4, |v1|, s2
	v_floor_f32_e32 v4, v4
	v_fma_f32 v5, v4, s3, |v1|
	v_cvt_u32_f32_e32 v4, v4
	v_cvt_u32_f32_e32 v5, v5
	v_ashrrev_i32_e32 v1, 31, v1
	s_mov_b64 s[2:3], -1
	v_xor_b32_e32 v6, v4, v1
	v_xor_b32_e32 v4, v5, v1
	v_sub_co_u32_e32 v4, vcc, v4, v1
	s_nop 1
	v_subb_co_u32_e32 v5, vcc, v6, v1, vcc
	s_branch .LBB305_626
.LBB305_622:
	s_mov_b64 s[14:15], -1
                                        ; implicit-def: $vgpr4_vgpr5
	s_branch .LBB305_627
.LBB305_623:
	s_andn2_saveexec_b64 s[2:3], s[2:3]
	s_cbranch_execz .LBB305_604
.LBB305_624:
	v_cmp_ne_u16_e32 vcc, 0, v1
	s_andn2_b64 s[14:15], s[14:15], exec
	s_and_b64 s[18:19], vcc, exec
	s_or_b64 s[14:15], s[14:15], s[18:19]
	s_or_b64 exec, exec, s[2:3]
	v_mov_b64_e32 v[4:5], 0
	s_and_saveexec_b64 s[2:3], s[14:15]
	s_cbranch_execnz .LBB305_605
	s_branch .LBB305_606
.LBB305_625:
	s_mov_b64 s[12:13], -1
                                        ; implicit-def: $vgpr4_vgpr5
.LBB305_626:
	s_mov_b64 s[14:15], 0
.LBB305_627:
	s_and_b64 vcc, exec, s[14:15]
	s_cbranch_vccz .LBB305_631
; %bb.628:
	s_cmp_eq_u32 s16, 11
	s_cbranch_scc0 .LBB305_630
; %bb.629:
	global_load_ubyte v1, v[2:3], off
	s_mov_b32 s12, 0
	s_mov_b64 s[2:3], -1
	s_waitcnt vmcnt(1)
	v_mov_b32_e32 v5, s12
	s_mov_b64 s[12:13], 0
	s_waitcnt vmcnt(0)
	v_cmp_ne_u16_e32 vcc, 0, v1
	s_nop 1
	v_cndmask_b32_e64 v4, 0, 1, vcc
	s_branch .LBB305_631
.LBB305_630:
	s_mov_b64 s[12:13], -1
                                        ; implicit-def: $vgpr4_vgpr5
.LBB305_631:
	s_mov_b64 s[14:15], 0
.LBB305_632:
	s_and_b64 vcc, exec, s[14:15]
	s_cbranch_vccz .LBB305_681
; %bb.633:
	s_cmp_lt_i32 s16, 5
	s_cbranch_scc1 .LBB305_638
; %bb.634:
	s_cmp_lt_i32 s16, 8
	s_cbranch_scc1 .LBB305_639
; %bb.635:
	s_cmp_lt_i32 s16, 9
	s_cbranch_scc1 .LBB305_640
; %bb.636:
	s_cmp_gt_i32 s16, 9
	s_cbranch_scc0 .LBB305_641
; %bb.637:
	global_load_dwordx2 v[4:5], v[2:3], off
	s_movk_i32 s2, 0xffe0
	s_waitcnt vmcnt(0)
	v_trunc_f64_e32 v[6:7], v[4:5]
	v_ldexp_f64 v[4:5], v[6:7], s2
	v_floor_f64_e32 v[8:9], v[4:5]
	v_fmac_f64_e32 v[6:7], 0xc1f00000, v[8:9]
	v_cvt_i32_f64_e32 v5, v[8:9]
	v_cvt_u32_f64_e32 v4, v[6:7]
	s_mov_b64 s[2:3], 0
	s_branch .LBB305_642
.LBB305_638:
	s_mov_b64 s[2:3], -1
                                        ; implicit-def: $vgpr4_vgpr5
	s_branch .LBB305_660
.LBB305_639:
	s_mov_b64 s[2:3], -1
                                        ; implicit-def: $vgpr4_vgpr5
	s_branch .LBB305_648
.LBB305_640:
	s_mov_b64 s[2:3], -1
                                        ; implicit-def: $vgpr4_vgpr5
	s_branch .LBB305_645
.LBB305_641:
	s_mov_b64 s[2:3], -1
                                        ; implicit-def: $vgpr4_vgpr5
.LBB305_642:
	s_andn2_b64 vcc, exec, s[2:3]
	s_cbranch_vccnz .LBB305_644
; %bb.643:
	global_load_dword v1, v[2:3], off
	s_mov_b32 s2, 0x2f800000
	s_mov_b32 s3, 0xcf800000
	s_waitcnt vmcnt(0)
	v_trunc_f32_e32 v1, v1
	v_mul_f32_e64 v4, |v1|, s2
	v_floor_f32_e32 v4, v4
	v_cvt_u32_f32_e32 v5, v4
	v_fma_f32 v4, v4, s3, |v1|
	v_cvt_u32_f32_e32 v4, v4
	v_ashrrev_i32_e32 v1, 31, v1
	v_xor_b32_e32 v5, v5, v1
	v_xor_b32_e32 v4, v4, v1
	v_sub_co_u32_e32 v4, vcc, v4, v1
	s_nop 1
	v_subb_co_u32_e32 v5, vcc, v5, v1, vcc
.LBB305_644:
	s_mov_b64 s[2:3], 0
.LBB305_645:
	s_andn2_b64 vcc, exec, s[2:3]
	s_cbranch_vccnz .LBB305_647
; %bb.646:
	global_load_dword v1, v[2:3], off
	s_waitcnt vmcnt(0)
	v_cvt_f32_f16_e32 v1, v1
	v_cvt_i32_f32_e32 v4, v1
	v_ashrrev_i32_e32 v5, 31, v4
.LBB305_647:
	s_mov_b64 s[2:3], 0
.LBB305_648:
	s_andn2_b64 vcc, exec, s[2:3]
	s_cbranch_vccnz .LBB305_659
; %bb.649:
	s_cmp_lt_i32 s16, 6
	s_cbranch_scc1 .LBB305_652
; %bb.650:
	s_cmp_gt_i32 s16, 6
	s_cbranch_scc0 .LBB305_653
; %bb.651:
	global_load_dwordx2 v[4:5], v[2:3], off
	s_movk_i32 s2, 0xffe0
	s_waitcnt vmcnt(0)
	v_trunc_f64_e32 v[6:7], v[4:5]
	v_ldexp_f64 v[4:5], v[6:7], s2
	v_floor_f64_e32 v[8:9], v[4:5]
	v_fmac_f64_e32 v[6:7], 0xc1f00000, v[8:9]
	v_cvt_i32_f64_e32 v5, v[8:9]
	v_cvt_u32_f64_e32 v4, v[6:7]
	s_mov_b64 s[2:3], 0
	s_branch .LBB305_654
.LBB305_652:
	s_mov_b64 s[2:3], -1
                                        ; implicit-def: $vgpr4_vgpr5
	s_branch .LBB305_657
.LBB305_653:
	s_mov_b64 s[2:3], -1
                                        ; implicit-def: $vgpr4_vgpr5
.LBB305_654:
	s_andn2_b64 vcc, exec, s[2:3]
	s_cbranch_vccnz .LBB305_656
; %bb.655:
	global_load_dword v1, v[2:3], off
	s_mov_b32 s2, 0x2f800000
	s_mov_b32 s3, 0xcf800000
	s_waitcnt vmcnt(0)
	v_trunc_f32_e32 v1, v1
	v_mul_f32_e64 v4, |v1|, s2
	v_floor_f32_e32 v4, v4
	v_cvt_u32_f32_e32 v5, v4
	v_fma_f32 v4, v4, s3, |v1|
	v_cvt_u32_f32_e32 v4, v4
	v_ashrrev_i32_e32 v1, 31, v1
	v_xor_b32_e32 v5, v5, v1
	v_xor_b32_e32 v4, v4, v1
	v_sub_co_u32_e32 v4, vcc, v4, v1
	s_nop 1
	v_subb_co_u32_e32 v5, vcc, v5, v1, vcc
.LBB305_656:
	s_mov_b64 s[2:3], 0
.LBB305_657:
	s_andn2_b64 vcc, exec, s[2:3]
	s_cbranch_vccnz .LBB305_659
; %bb.658:
	global_load_ushort v1, v[2:3], off
	s_waitcnt vmcnt(0)
	v_cvt_f32_f16_e32 v1, v1
	v_cvt_i32_f32_e32 v4, v1
	v_ashrrev_i32_e32 v5, 31, v4
.LBB305_659:
	s_mov_b64 s[2:3], 0
.LBB305_660:
	s_andn2_b64 vcc, exec, s[2:3]
	s_cbranch_vccnz .LBB305_680
; %bb.661:
	s_cmp_lt_i32 s16, 2
	s_cbranch_scc1 .LBB305_665
; %bb.662:
	s_cmp_lt_i32 s16, 3
	s_cbranch_scc1 .LBB305_666
; %bb.663:
	s_cmp_gt_i32 s16, 3
	s_cbranch_scc0 .LBB305_667
; %bb.664:
	global_load_dwordx2 v[4:5], v[2:3], off
	s_mov_b64 s[2:3], 0
	s_branch .LBB305_668
.LBB305_665:
	s_mov_b64 s[2:3], -1
                                        ; implicit-def: $vgpr4_vgpr5
	s_branch .LBB305_674
.LBB305_666:
	s_mov_b64 s[2:3], -1
                                        ; implicit-def: $vgpr4_vgpr5
	s_branch .LBB305_671
.LBB305_667:
	s_mov_b64 s[2:3], -1
                                        ; implicit-def: $vgpr4_vgpr5
.LBB305_668:
	s_andn2_b64 vcc, exec, s[2:3]
	s_cbranch_vccnz .LBB305_670
; %bb.669:
	global_load_dword v4, v[2:3], off
	s_waitcnt vmcnt(0)
	v_ashrrev_i32_e32 v5, 31, v4
.LBB305_670:
	s_mov_b64 s[2:3], 0
.LBB305_671:
	s_andn2_b64 vcc, exec, s[2:3]
	s_cbranch_vccnz .LBB305_673
; %bb.672:
	global_load_ushort v1, v[2:3], off
	s_waitcnt vmcnt(0)
	v_bfe_i32 v4, v1, 0, 16
	v_ashrrev_i32_e32 v5, 31, v4
.LBB305_673:
	s_mov_b64 s[2:3], 0
.LBB305_674:
	s_andn2_b64 vcc, exec, s[2:3]
	s_cbranch_vccnz .LBB305_680
; %bb.675:
	s_cmp_gt_i32 s16, 0
	s_cbranch_scc0 .LBB305_677
; %bb.676:
	global_load_sbyte v1, v[2:3], off
	s_mov_b64 s[2:3], 0
	s_waitcnt vmcnt(0)
	v_bfe_i32 v4, v1, 0, 16
	v_ashrrev_i32_e32 v5, 31, v4
	s_branch .LBB305_678
.LBB305_677:
	s_mov_b64 s[2:3], -1
                                        ; implicit-def: $vgpr4_vgpr5
.LBB305_678:
	s_andn2_b64 vcc, exec, s[2:3]
	s_cbranch_vccnz .LBB305_680
; %bb.679:
	global_load_ubyte v1, v[2:3], off
	s_mov_b32 s2, 0
	s_waitcnt vmcnt(1)
	v_mov_b32_e32 v5, s2
	s_waitcnt vmcnt(0)
	v_and_b32_e32 v4, 0xffff, v1
.LBB305_680:
	s_mov_b64 s[2:3], -1
.LBB305_681:
	s_andn2_b64 vcc, exec, s[2:3]
	s_cbranch_vccnz .LBB305_689
; %bb.682:
	v_mov_b32_e32 v1, s9
	s_waitcnt vmcnt(0)
	v_cmp_lt_i64_e32 vcc, s[8:9], v[4:5]
	s_and_b32 s20, s77, 0xff
	s_cmp_lt_i32 s20, 11
	v_cndmask_b32_e32 v3, v1, v5, vcc
	v_mov_b32_e32 v1, s8
	v_cndmask_b32_e32 v2, v1, v4, vcc
	v_mov_b32_e32 v1, s11
	v_cmp_gt_i64_e32 vcc, s[10:11], v[2:3]
	s_nop 1
	v_cndmask_b32_e32 v3, v1, v3, vcc
	v_mov_b32_e32 v1, s10
	v_cndmask_b32_e32 v2, v1, v2, vcc
	v_mov_b32_e32 v1, 0
	v_lshl_add_u64 v[0:1], s[4:5], 0, v[0:1]
	s_cbranch_scc1 .LBB305_690
; %bb.683:
	s_and_b32 s21, 0xffff, s20
	s_cmp_gt_i32 s21, 25
	s_cbranch_scc0 .LBB305_691
; %bb.684:
	s_cmp_gt_i32 s21, 28
	s_cbranch_scc0 .LBB305_692
; %bb.685:
	;; [unrolled: 3-line block ×4, first 2 shown]
	s_mov_b64 s[16:17], 0
	s_mov_b64 s[2:3], -1
	s_cmp_eq_u32 s21, 46
	s_mov_b64 s[14:15], 0
	s_cbranch_scc0 .LBB305_695
; %bb.688:
	v_xor_b32_e32 v5, v2, v3
	v_ffbh_i32_e32 v4, v3
	v_ashrrev_i32_e32 v5, 31, v5
	v_add_u32_e32 v4, -1, v4
	v_add_u32_e32 v5, 32, v5
	v_min_u32_e32 v6, v4, v5
	v_lshlrev_b64 v[4:5], v6, v[2:3]
	v_min_u32_e32 v4, 1, v4
	v_or_b32_e32 v4, v5, v4
	v_cvt_f32_i32_e32 v4, v4
	v_sub_u32_e32 v5, 32, v6
	s_movk_i32 s2, 0x7fff
	s_mov_b64 s[14:15], -1
	v_ldexp_f32 v4, v4, v5
	v_bfe_u32 v5, v4, 16, 1
	v_add3_u32 v4, v4, v5, s2
	v_lshrrev_b32_e32 v4, 16, v4
	global_store_dword v[0:1], v4, off
	s_mov_b64 s[2:3], 0
	s_branch .LBB305_695
.LBB305_689:
	s_mov_b64 s[14:15], 0
	s_mov_b64 s[2:3], s[66:67]
	s_branch .LBB305_806
.LBB305_690:
	s_mov_b64 s[16:17], -1
	s_mov_b64 s[14:15], 0
	s_mov_b64 s[2:3], s[66:67]
	s_branch .LBB305_764
.LBB305_691:
	s_mov_b64 s[16:17], -1
	s_mov_b64 s[14:15], 0
	s_mov_b64 s[2:3], s[66:67]
	s_branch .LBB305_722
.LBB305_692:
	s_mov_b64 s[16:17], -1
	s_mov_b64 s[14:15], 0
	s_mov_b64 s[2:3], s[66:67]
	s_branch .LBB305_705
.LBB305_693:
	s_mov_b64 s[16:17], -1
	s_mov_b64 s[14:15], 0
	s_mov_b64 s[2:3], s[66:67]
	s_branch .LBB305_701
.LBB305_694:
	s_mov_b64 s[16:17], -1
	s_mov_b64 s[14:15], 0
	s_mov_b64 s[2:3], s[66:67]
.LBB305_695:
	s_and_b64 vcc, exec, s[16:17]
	s_cbranch_vccz .LBB305_700
; %bb.696:
	s_cmp_eq_u32 s21, 44
	s_mov_b64 s[2:3], -1
	s_cbranch_scc0 .LBB305_700
; %bb.697:
	v_xor_b32_e32 v5, v2, v3
	v_ffbh_i32_e32 v4, v3
	v_ashrrev_i32_e32 v5, 31, v5
	v_add_u32_e32 v4, -1, v4
	v_add_u32_e32 v5, 32, v5
	v_min_u32_e32 v6, v4, v5
	v_lshlrev_b64 v[4:5], v6, v[2:3]
	v_min_u32_e32 v4, 1, v4
	v_or_b32_e32 v4, v5, v4
	v_cvt_f32_i32_e32 v4, v4
	v_sub_u32_e32 v5, 32, v6
	s_movk_i32 s2, 0xff
	v_mov_b32_e32 v6, 0xff
	v_ldexp_f32 v4, v4, v5
	v_bfe_u32 v5, v4, 23, 8
	v_cmp_ne_u32_e32 vcc, s2, v5
	s_and_saveexec_b64 s[14:15], vcc
; %bb.698:
	s_mov_b32 s2, 0x3fffff
	v_lshrrev_b32_e32 v6, 23, v4
	v_and_b32_e32 v7, 0x400000, v4
	v_and_or_b32 v4, v4, s2, v5
	v_cmp_ne_u32_e32 vcc, 0, v7
	v_cmp_ne_u32_e64 s[2:3], 0, v4
	s_and_b64 s[2:3], vcc, s[2:3]
	s_nop 0
	v_cndmask_b32_e64 v4, 0, 1, s[2:3]
	v_add_u32_e32 v6, v6, v4
; %bb.699:
	s_or_b64 exec, exec, s[14:15]
	s_mov_b64 s[14:15], -1
	s_mov_b64 s[2:3], 0
	global_store_byte v[0:1], v6, off
.LBB305_700:
	s_mov_b64 s[16:17], 0
.LBB305_701:
	s_and_b64 vcc, exec, s[16:17]
	s_cbranch_vccz .LBB305_704
; %bb.702:
	s_cmp_eq_u32 s21, 29
	s_mov_b64 s[2:3], -1
	s_cbranch_scc0 .LBB305_704
; %bb.703:
	global_store_dwordx2 v[0:1], v[2:3], off
	s_mov_b64 s[14:15], -1
	s_mov_b64 s[2:3], 0
.LBB305_704:
	s_mov_b64 s[16:17], 0
.LBB305_705:
	s_and_b64 vcc, exec, s[16:17]
	s_cbranch_vccz .LBB305_721
; %bb.706:
	s_cmp_lt_i32 s21, 27
	s_mov_b64 s[14:15], -1
	s_cbranch_scc1 .LBB305_712
; %bb.707:
	s_cmp_gt_i32 s21, 27
	s_cbranch_scc0 .LBB305_709
; %bb.708:
	s_mov_b64 s[14:15], 0
	global_store_dword v[0:1], v2, off
.LBB305_709:
	s_andn2_b64 vcc, exec, s[14:15]
	s_cbranch_vccnz .LBB305_711
; %bb.710:
	global_store_short v[0:1], v2, off
.LBB305_711:
	s_mov_b64 s[14:15], 0
.LBB305_712:
	s_andn2_b64 vcc, exec, s[14:15]
	s_cbranch_vccnz .LBB305_720
; %bb.713:
	v_xor_b32_e32 v5, v2, v3
	v_ffbh_i32_e32 v4, v3
	v_ashrrev_i32_e32 v5, 31, v5
	v_add_u32_e32 v4, -1, v4
	v_add_u32_e32 v5, 32, v5
	v_min_u32_e32 v6, v4, v5
	v_lshlrev_b64 v[4:5], v6, v[2:3]
	v_min_u32_e32 v4, 1, v4
	v_or_b32_e32 v4, v5, v4
	v_cvt_f32_i32_e32 v4, v4
	v_sub_u32_e32 v5, 32, v6
	s_mov_b32 s14, 0x43800000
	v_mov_b32_e32 v6, 0x80
	v_ldexp_f32 v4, v4, v5
	v_and_b32_e32 v5, 0x7fffffff, v4
	v_cmp_gt_u32_e32 vcc, s14, v5
	s_and_saveexec_b64 s[14:15], vcc
	s_cbranch_execz .LBB305_719
; %bb.714:
	s_mov_b32 s16, 0x3bffffff
	v_cmp_lt_u32_e32 vcc, s16, v5
	s_mov_b64 s[16:17], 0
                                        ; implicit-def: $vgpr5
	s_and_saveexec_b64 s[18:19], vcc
	s_xor_b64 s[18:19], exec, s[18:19]
	s_cbranch_execz .LBB305_837
; %bb.715:
	v_bfe_u32 v5, v4, 20, 1
	s_mov_b32 s22, 0x487ffff
	v_add3_u32 v5, v4, v5, s22
	s_mov_b64 s[16:17], exec
	v_lshrrev_b32_e32 v5, 20, v5
	s_andn2_saveexec_b64 s[18:19], s[18:19]
	s_cbranch_execnz .LBB305_838
.LBB305_716:
	s_or_b64 exec, exec, s[18:19]
	v_mov_b32_e32 v6, 0
	s_and_saveexec_b64 s[18:19], s[16:17]
.LBB305_717:
	v_lshrrev_b32_e32 v4, 24, v4
	s_movk_i32 s16, 0x80
	v_and_or_b32 v6, v4, s16, v5
.LBB305_718:
	s_or_b64 exec, exec, s[18:19]
.LBB305_719:
	s_or_b64 exec, exec, s[14:15]
	global_store_byte v[0:1], v6, off
.LBB305_720:
	s_mov_b64 s[14:15], -1
.LBB305_721:
	s_mov_b64 s[16:17], 0
.LBB305_722:
	s_and_b64 vcc, exec, s[16:17]
	s_cbranch_vccz .LBB305_763
; %bb.723:
	s_cmp_gt_i32 s21, 22
	s_mov_b64 s[16:17], -1
	s_cbranch_scc0 .LBB305_755
; %bb.724:
	s_cmp_lt_i32 s21, 24
	s_mov_b64 s[14:15], -1
	s_cbranch_scc1 .LBB305_744
; %bb.725:
	s_cmp_gt_i32 s21, 24
	s_cbranch_scc0 .LBB305_733
; %bb.726:
	v_xor_b32_e32 v5, v2, v3
	v_ffbh_i32_e32 v4, v3
	v_ashrrev_i32_e32 v5, 31, v5
	v_add_u32_e32 v4, -1, v4
	v_add_u32_e32 v5, 32, v5
	v_min_u32_e32 v6, v4, v5
	v_lshlrev_b64 v[4:5], v6, v[2:3]
	v_min_u32_e32 v4, 1, v4
	v_or_b32_e32 v4, v5, v4
	v_cvt_f32_i32_e32 v4, v4
	v_sub_u32_e32 v5, 32, v6
	s_mov_b32 s14, 0x47800000
	v_mov_b32_e32 v6, 0x80
	v_ldexp_f32 v4, v4, v5
	v_and_b32_e32 v5, 0x7fffffff, v4
	v_cmp_gt_u32_e32 vcc, s14, v5
	s_and_saveexec_b64 s[14:15], vcc
	s_cbranch_execz .LBB305_732
; %bb.727:
	s_mov_b32 s16, 0x37ffffff
	v_cmp_lt_u32_e32 vcc, s16, v5
	s_mov_b64 s[16:17], 0
                                        ; implicit-def: $vgpr5
	s_and_saveexec_b64 s[18:19], vcc
	s_xor_b64 s[18:19], exec, s[18:19]
	s_cbranch_execz .LBB305_840
; %bb.728:
	v_bfe_u32 v5, v4, 21, 1
	s_mov_b32 s22, 0x88fffff
	v_add3_u32 v5, v4, v5, s22
	s_mov_b64 s[16:17], exec
	v_lshrrev_b32_e32 v5, 21, v5
	s_andn2_saveexec_b64 s[18:19], s[18:19]
	s_cbranch_execnz .LBB305_841
.LBB305_729:
	s_or_b64 exec, exec, s[18:19]
	v_mov_b32_e32 v6, 0
	s_and_saveexec_b64 s[18:19], s[16:17]
.LBB305_730:
	v_lshrrev_b32_e32 v4, 24, v4
	s_movk_i32 s16, 0x80
	v_and_or_b32 v6, v4, s16, v5
.LBB305_731:
	s_or_b64 exec, exec, s[18:19]
.LBB305_732:
	s_or_b64 exec, exec, s[14:15]
	s_mov_b64 s[14:15], 0
	global_store_byte v[0:1], v6, off
.LBB305_733:
	s_and_b64 vcc, exec, s[14:15]
	s_cbranch_vccz .LBB305_743
; %bb.734:
	v_xor_b32_e32 v5, v2, v3
	v_ffbh_i32_e32 v4, v3
	v_ashrrev_i32_e32 v5, 31, v5
	v_add_u32_e32 v4, -1, v4
	v_add_u32_e32 v5, 32, v5
	v_min_u32_e32 v6, v4, v5
	v_lshlrev_b64 v[4:5], v6, v[2:3]
	v_min_u32_e32 v4, 1, v4
	v_or_b32_e32 v4, v5, v4
	v_cvt_f32_i32_e32 v4, v4
	v_sub_u32_e32 v5, 32, v6
	s_mov_b32 s14, 0x43f00000
	v_ldexp_f32 v4, v4, v5
	v_and_b32_e32 v6, 0x7fffffff, v4
	v_cmp_gt_u32_e32 vcc, s14, v6
                                        ; implicit-def: $vgpr5
	s_and_saveexec_b64 s[14:15], vcc
	s_xor_b64 s[14:15], exec, s[14:15]
	s_cbranch_execz .LBB305_740
; %bb.735:
	s_mov_b32 s16, 0x3c7fffff
	v_cmp_lt_u32_e32 vcc, s16, v6
                                        ; implicit-def: $vgpr5
	s_and_saveexec_b64 s[16:17], vcc
	s_xor_b64 s[16:17], exec, s[16:17]
; %bb.736:
	v_bfe_u32 v5, v4, 20, 1
	s_mov_b32 s18, 0x407ffff
	v_add3_u32 v5, v4, v5, s18
	v_lshrrev_b32_e32 v6, 20, v5
	v_and_b32_e32 v5, 0xff00000, v5
	s_mov_b32 s18, 0x7f00000
	v_mov_b32_e32 v7, 0x7e
	v_cmp_ne_u32_e32 vcc, s18, v5
	s_nop 1
	v_cndmask_b32_e32 v5, v7, v6, vcc
; %bb.737:
	s_andn2_saveexec_b64 s[16:17], s[16:17]
; %bb.738:
	s_mov_b32 s18, 0x46800000
	v_add_f32_e64 v5, |v4|, s18
; %bb.739:
	s_or_b64 exec, exec, s[16:17]
                                        ; implicit-def: $vgpr6
.LBB305_740:
	s_andn2_saveexec_b64 s[14:15], s[14:15]
; %bb.741:
	s_mov_b32 s16, 0x7f800000
	v_mov_b32_e32 v5, 0x7e
	v_mov_b32_e32 v7, 0x7f
	v_cmp_lt_u32_e32 vcc, s16, v6
	s_nop 1
	v_cndmask_b32_e32 v5, v5, v7, vcc
; %bb.742:
	s_or_b64 exec, exec, s[14:15]
	v_lshrrev_b32_e32 v4, 24, v4
	s_movk_i32 s14, 0x80
	v_and_or_b32 v4, v4, s14, v5
	global_store_byte v[0:1], v4, off
.LBB305_743:
	s_mov_b64 s[14:15], 0
.LBB305_744:
	s_andn2_b64 vcc, exec, s[14:15]
	s_cbranch_vccnz .LBB305_754
; %bb.745:
	v_xor_b32_e32 v5, v2, v3
	v_ffbh_i32_e32 v4, v3
	v_ashrrev_i32_e32 v5, 31, v5
	v_add_u32_e32 v4, -1, v4
	v_add_u32_e32 v5, 32, v5
	v_min_u32_e32 v6, v4, v5
	v_lshlrev_b64 v[4:5], v6, v[2:3]
	v_min_u32_e32 v4, 1, v4
	v_or_b32_e32 v4, v5, v4
	v_cvt_f32_i32_e32 v4, v4
	v_sub_u32_e32 v5, 32, v6
	s_mov_b32 s14, 0x47800000
	v_ldexp_f32 v4, v4, v5
	v_and_b32_e32 v6, 0x7fffffff, v4
	v_cmp_gt_u32_e32 vcc, s14, v6
                                        ; implicit-def: $vgpr5
	s_and_saveexec_b64 s[14:15], vcc
	s_xor_b64 s[14:15], exec, s[14:15]
	s_cbranch_execz .LBB305_751
; %bb.746:
	s_mov_b32 s16, 0x387fffff
	v_cmp_lt_u32_e32 vcc, s16, v6
                                        ; implicit-def: $vgpr5
	s_and_saveexec_b64 s[16:17], vcc
	s_xor_b64 s[16:17], exec, s[16:17]
; %bb.747:
	v_bfe_u32 v5, v4, 21, 1
	s_mov_b32 s18, 0x80fffff
	v_add3_u32 v5, v4, v5, s18
	v_lshrrev_b32_e32 v5, 21, v5
; %bb.748:
	s_andn2_saveexec_b64 s[16:17], s[16:17]
; %bb.749:
	s_mov_b32 s18, 0x43000000
	v_add_f32_e64 v5, |v4|, s18
; %bb.750:
	s_or_b64 exec, exec, s[16:17]
                                        ; implicit-def: $vgpr6
.LBB305_751:
	s_andn2_saveexec_b64 s[14:15], s[14:15]
; %bb.752:
	s_mov_b32 s16, 0x7f800000
	v_mov_b32_e32 v5, 0x7c
	v_mov_b32_e32 v7, 0x7f
	v_cmp_lt_u32_e32 vcc, s16, v6
	s_nop 1
	v_cndmask_b32_e32 v5, v5, v7, vcc
; %bb.753:
	s_or_b64 exec, exec, s[14:15]
	v_lshrrev_b32_e32 v4, 24, v4
	s_movk_i32 s14, 0x80
	v_and_or_b32 v4, v4, s14, v5
	global_store_byte v[0:1], v4, off
.LBB305_754:
	s_mov_b64 s[16:17], 0
	s_mov_b64 s[14:15], -1
.LBB305_755:
	s_andn2_b64 vcc, exec, s[16:17]
	s_cbranch_vccnz .LBB305_763
; %bb.756:
	s_cmp_gt_i32 s21, 14
	s_mov_b64 s[16:17], -1
	s_cbranch_scc0 .LBB305_760
; %bb.757:
	s_cmp_eq_u32 s21, 15
	s_mov_b64 s[2:3], -1
	s_cbranch_scc0 .LBB305_759
; %bb.758:
	v_xor_b32_e32 v5, v2, v3
	v_ffbh_i32_e32 v4, v3
	v_ashrrev_i32_e32 v5, 31, v5
	v_add_u32_e32 v4, -1, v4
	v_add_u32_e32 v5, 32, v5
	v_min_u32_e32 v6, v4, v5
	v_lshlrev_b64 v[4:5], v6, v[2:3]
	v_min_u32_e32 v4, 1, v4
	v_or_b32_e32 v4, v5, v4
	v_cvt_f32_i32_e32 v4, v4
	v_sub_u32_e32 v5, 32, v6
	s_movk_i32 s2, 0x7fff
	s_mov_b64 s[14:15], -1
	v_ldexp_f32 v4, v4, v5
	v_bfe_u32 v5, v4, 16, 1
	v_add3_u32 v4, v4, v5, s2
	global_store_short_d16_hi v[0:1], v4, off
	s_mov_b64 s[2:3], 0
.LBB305_759:
	s_mov_b64 s[16:17], 0
.LBB305_760:
	s_and_b64 vcc, exec, s[16:17]
	s_cbranch_vccz .LBB305_763
; %bb.761:
	s_cmp_eq_u32 s21, 11
	s_mov_b64 s[2:3], -1
	s_cbranch_scc0 .LBB305_763
; %bb.762:
	v_cmp_ne_u64_e32 vcc, 0, v[2:3]
	s_mov_b64 s[2:3], 0
	s_mov_b64 s[14:15], -1
	v_cndmask_b32_e64 v4, 0, 1, vcc
	global_store_byte v[0:1], v4, off
.LBB305_763:
	s_mov_b64 s[16:17], 0
.LBB305_764:
	s_and_b64 vcc, exec, s[16:17]
	s_cbranch_vccz .LBB305_803
; %bb.765:
	s_and_b32 s16, 0xffff, s20
	s_cmp_lt_i32 s16, 5
	s_mov_b64 s[14:15], -1
	s_cbranch_scc1 .LBB305_786
; %bb.766:
	s_cmp_lt_i32 s16, 8
	s_cbranch_scc1 .LBB305_776
; %bb.767:
	s_cmp_lt_i32 s16, 9
	s_cbranch_scc1 .LBB305_773
; %bb.768:
	s_cmp_gt_i32 s16, 9
	s_cbranch_scc0 .LBB305_770
; %bb.769:
	v_cvt_f64_i32_e32 v[4:5], v3
	v_ldexp_f64 v[4:5], v[4:5], 32
	v_cvt_f64_u32_e32 v[6:7], v2
	v_add_f64 v[4:5], v[4:5], v[6:7]
	v_mov_b32_e32 v6, 0
	v_mov_b32_e32 v7, v6
	s_mov_b64 s[14:15], 0
	global_store_dwordx4 v[0:1], v[4:7], off
.LBB305_770:
	s_andn2_b64 vcc, exec, s[14:15]
	s_cbranch_vccnz .LBB305_772
; %bb.771:
	v_xor_b32_e32 v5, v2, v3
	v_ffbh_i32_e32 v4, v3
	v_ashrrev_i32_e32 v5, 31, v5
	v_add_u32_e32 v4, -1, v4
	v_add_u32_e32 v5, 32, v5
	v_min_u32_e32 v6, v4, v5
	v_lshlrev_b64 v[4:5], v6, v[2:3]
	v_min_u32_e32 v4, 1, v4
	v_or_b32_e32 v4, v5, v4
	v_cvt_f32_i32_e32 v4, v4
	v_sub_u32_e32 v5, 32, v6
	v_ldexp_f32 v4, v4, v5
	v_mov_b32_e32 v5, 0
	global_store_dwordx2 v[0:1], v[4:5], off
.LBB305_772:
	s_mov_b64 s[14:15], 0
.LBB305_773:
	s_andn2_b64 vcc, exec, s[14:15]
	s_cbranch_vccnz .LBB305_775
; %bb.774:
	v_xor_b32_e32 v5, v2, v3
	v_ffbh_i32_e32 v4, v3
	v_ashrrev_i32_e32 v5, 31, v5
	v_add_u32_e32 v4, -1, v4
	v_add_u32_e32 v5, 32, v5
	v_min_u32_e32 v6, v4, v5
	v_lshlrev_b64 v[4:5], v6, v[2:3]
	v_min_u32_e32 v4, 1, v4
	v_or_b32_e32 v4, v5, v4
	v_cvt_f32_i32_e32 v4, v4
	v_sub_u32_e32 v5, 32, v6
	v_ldexp_f32 v4, v4, v5
	v_cvt_f16_f32_e32 v4, v4
	global_store_dword v[0:1], v4, off
.LBB305_775:
	s_mov_b64 s[14:15], 0
.LBB305_776:
	s_andn2_b64 vcc, exec, s[14:15]
	s_cbranch_vccnz .LBB305_785
; %bb.777:
	s_cmp_lt_i32 s16, 6
	s_mov_b64 s[14:15], -1
	s_cbranch_scc1 .LBB305_783
; %bb.778:
	s_cmp_gt_i32 s16, 6
	s_cbranch_scc0 .LBB305_780
; %bb.779:
	v_cvt_f64_i32_e32 v[4:5], v3
	v_ldexp_f64 v[4:5], v[4:5], 32
	v_cvt_f64_u32_e32 v[6:7], v2
	v_add_f64 v[4:5], v[4:5], v[6:7]
	s_mov_b64 s[14:15], 0
	global_store_dwordx2 v[0:1], v[4:5], off
.LBB305_780:
	s_andn2_b64 vcc, exec, s[14:15]
	s_cbranch_vccnz .LBB305_782
; %bb.781:
	v_xor_b32_e32 v5, v2, v3
	v_ffbh_i32_e32 v4, v3
	v_ashrrev_i32_e32 v5, 31, v5
	v_add_u32_e32 v4, -1, v4
	v_add_u32_e32 v5, 32, v5
	v_min_u32_e32 v6, v4, v5
	v_lshlrev_b64 v[4:5], v6, v[2:3]
	v_min_u32_e32 v4, 1, v4
	v_or_b32_e32 v4, v5, v4
	v_cvt_f32_i32_e32 v4, v4
	v_sub_u32_e32 v5, 32, v6
	v_ldexp_f32 v4, v4, v5
	global_store_dword v[0:1], v4, off
.LBB305_782:
	s_mov_b64 s[14:15], 0
.LBB305_783:
	s_andn2_b64 vcc, exec, s[14:15]
	s_cbranch_vccnz .LBB305_785
; %bb.784:
	v_xor_b32_e32 v5, v2, v3
	v_ffbh_i32_e32 v4, v3
	v_ashrrev_i32_e32 v5, 31, v5
	v_add_u32_e32 v4, -1, v4
	v_add_u32_e32 v5, 32, v5
	v_min_u32_e32 v6, v4, v5
	v_lshlrev_b64 v[4:5], v6, v[2:3]
	v_min_u32_e32 v4, 1, v4
	v_or_b32_e32 v4, v5, v4
	v_cvt_f32_i32_e32 v4, v4
	v_sub_u32_e32 v5, 32, v6
	v_ldexp_f32 v4, v4, v5
	v_cvt_f16_f32_e32 v4, v4
	global_store_short v[0:1], v4, off
.LBB305_785:
	s_mov_b64 s[14:15], 0
.LBB305_786:
	s_andn2_b64 vcc, exec, s[14:15]
	s_cbranch_vccnz .LBB305_802
; %bb.787:
	s_cmp_lt_i32 s16, 2
	s_mov_b64 s[14:15], -1
	s_cbranch_scc1 .LBB305_797
; %bb.788:
	s_cmp_lt_i32 s16, 3
	s_cbranch_scc1 .LBB305_794
; %bb.789:
	s_cmp_gt_i32 s16, 3
	s_cbranch_scc0 .LBB305_791
; %bb.790:
	s_mov_b64 s[14:15], 0
	global_store_dwordx2 v[0:1], v[2:3], off
.LBB305_791:
	s_andn2_b64 vcc, exec, s[14:15]
	s_cbranch_vccnz .LBB305_793
; %bb.792:
	global_store_dword v[0:1], v2, off
.LBB305_793:
	s_mov_b64 s[14:15], 0
.LBB305_794:
	s_andn2_b64 vcc, exec, s[14:15]
	s_cbranch_vccnz .LBB305_796
; %bb.795:
	global_store_short v[0:1], v2, off
.LBB305_796:
	s_mov_b64 s[14:15], 0
.LBB305_797:
	s_andn2_b64 vcc, exec, s[14:15]
	s_cbranch_vccnz .LBB305_802
; %bb.798:
	s_cmp_gt_i32 s16, 0
	s_mov_b64 s[14:15], -1
	s_cbranch_scc0 .LBB305_800
; %bb.799:
	s_mov_b64 s[14:15], 0
	global_store_byte v[0:1], v2, off
.LBB305_800:
	s_andn2_b64 vcc, exec, s[14:15]
	s_cbranch_vccnz .LBB305_802
; %bb.801:
	global_store_byte v[0:1], v2, off
.LBB305_802:
	s_mov_b64 s[14:15], -1
.LBB305_803:
	s_andn2_b64 vcc, exec, s[14:15]
	s_cbranch_vccnz .LBB305_805
; %bb.804:
	v_add_u32_e32 v12, 0x80, v12
	s_mov_b64 s[14:15], -1
	s_branch .LBB305_807
.LBB305_805:
	s_mov_b64 s[14:15], 0
.LBB305_806:
                                        ; implicit-def: $vgpr12
.LBB305_807:
	s_andn2_b64 s[16:17], s[66:67], exec
	s_and_b64 s[2:3], s[2:3], exec
	s_or_b64 s[72:73], s[16:17], s[2:3]
	s_andn2_b64 s[2:3], s[64:65], exec
	s_and_b64 s[12:13], s[12:13], exec
	s_or_b64 s[2:3], s[2:3], s[12:13]
	s_orn2_b64 s[18:19], s[14:15], exec
.LBB305_808:
	s_or_b64 exec, exec, s[70:71]
	s_mov_b64 s[12:13], 0
	s_mov_b64 s[14:15], 0
	;; [unrolled: 1-line block ×3, first 2 shown]
                                        ; implicit-def: $vgpr2_vgpr3
                                        ; implicit-def: $vgpr0
                                        ; implicit-def: $vgpr6_vgpr7
	s_and_saveexec_b64 s[70:71], s[18:19]
	s_cbranch_execz .LBB305_904
; %bb.809:
	v_cmp_gt_i32_e32 vcc, s74, v12
	s_mov_b64 s[18:19], s[2:3]
                                        ; implicit-def: $vgpr2_vgpr3
                                        ; implicit-def: $vgpr0
                                        ; implicit-def: $vgpr6_vgpr7
	s_and_saveexec_b64 s[74:75], vcc
	s_cbranch_execz .LBB305_903
; %bb.810:
	s_andn2_b64 vcc, exec, s[46:47]
	s_cbranch_vccnz .LBB305_816
; %bb.811:
	s_andn2_b64 vcc, exec, s[56:57]
	s_cbranch_vccnz .LBB305_817
; %bb.812:
	s_add_i32 s80, s79, 1
	s_cmp_eq_u32 s76, 2
	s_cbranch_scc1 .LBB305_818
; %bb.813:
	s_and_b32 s79, s80, 28
	s_mov_b32 s81, 0
	v_mov_b32_e32 v0, 0
	v_mov_b32_e32 v2, 0
	s_mov_b64 s[56:57], s[34:35]
	s_waitcnt vmcnt(0)
	v_mov_b32_e32 v4, v12
.LBB305_814:                            ; =>This Inner Loop Header: Depth=1
	s_load_dwordx8 s[20:27], s[56:57], 0x4
	s_load_dwordx4 s[40:43], s[56:57], 0x24
	s_load_dwordx8 s[12:19], s[54:55], 0x0
	s_add_u32 s56, s56, 48
	s_addc_u32 s57, s57, 0
	s_waitcnt lgkmcnt(0)
	v_mul_hi_u32 v1, s21, v4
	v_add_u32_e32 v1, v4, v1
	v_lshrrev_b32_e32 v1, s22, v1
	v_mul_lo_u32 v3, v1, s20
	v_mul_hi_u32 v5, s24, v1
	v_sub_u32_e32 v3, v4, v3
	v_add_u32_e32 v4, v1, v5
	v_lshrrev_b32_e32 v4, s25, v4
	v_mul_lo_u32 v6, v4, s23
	v_mul_hi_u32 v7, s27, v4
	v_sub_u32_e32 v1, v1, v6
	v_add_u32_e32 v6, v4, v7
	v_mul_lo_u32 v5, v3, s13
	v_mul_lo_u32 v3, v3, s12
	;; [unrolled: 1-line block ×4, first 2 shown]
	v_lshrrev_b32_e32 v6, s40, v6
	v_add3_u32 v0, v3, v0, v1
	v_mul_hi_u32 v3, s42, v6
	v_add3_u32 v1, v5, v2, v7
	v_mul_lo_u32 v2, v6, s26
	v_add_u32_e32 v3, v6, v3
	v_sub_u32_e32 v2, v4, v2
	v_lshrrev_b32_e32 v4, s43, v3
	s_add_i32 s81, s81, 4
	v_mul_lo_u32 v3, v4, s41
	s_add_u32 s54, s54, 32
	v_sub_u32_e32 v3, v6, v3
	s_addc_u32 s55, s55, 0
	v_mul_lo_u32 v5, v2, s16
	v_mul_lo_u32 v2, v2, s17
	;; [unrolled: 1-line block ×4, first 2 shown]
	s_cmp_eq_u32 s79, s81
	v_add3_u32 v2, v2, v1, v3
	v_add3_u32 v0, v5, v0, v6
	s_cbranch_scc0 .LBB305_814
; %bb.815:
	v_mov_b32_e32 v1, v2
	s_branch .LBB305_819
.LBB305_816:
	s_mov_b64 s[12:13], -1
                                        ; implicit-def: $vgpr2
                                        ; implicit-def: $vgpr0
	s_branch .LBB305_823
.LBB305_817:
	v_mov_b32_e32 v2, 0
	v_mov_b32_e32 v0, 0
	s_branch .LBB305_822
.LBB305_818:
	v_mov_b32_e32 v0, 0
	s_mov_b32 s79, 0
	v_mov_b32_e32 v1, v0
                                        ; implicit-def: $vgpr2
	s_waitcnt vmcnt(0)
	v_mov_b32_e32 v4, v12
.LBB305_819:
	s_and_b32 s16, s80, 3
	s_cmp_eq_u32 s16, 0
	s_cbranch_scc1 .LBB305_822
; %bb.820:
	s_lshl_b32 s12, s79, 3
	s_add_u32 s12, s34, s12
	s_addc_u32 s13, s35, 0
	s_add_u32 s12, s12, 0xc4
	s_addc_u32 s13, s13, 0
	s_mul_i32 s14, s79, 12
	s_add_u32 s14, s34, s14
	s_addc_u32 s15, s35, 0
.LBB305_821:                            ; =>This Inner Loop Header: Depth=1
	s_load_dwordx2 s[18:19], s[14:15], 0x4
	s_load_dword s17, s[14:15], 0xc
	s_load_dwordx2 s[20:21], s[12:13], 0x0
	v_mov_b32_e32 v2, v1
	s_add_u32 s14, s14, 12
	s_waitcnt lgkmcnt(0)
	v_mul_hi_u32 v1, s19, v4
	v_add_u32_e32 v1, v4, v1
	v_lshrrev_b32_e32 v1, s17, v1
	s_addc_u32 s15, s15, 0
	v_mul_lo_u32 v3, v1, s18
	s_add_u32 s12, s12, 8
	v_sub_u32_e32 v5, v4, v3
	s_addc_u32 s13, s13, 0
	s_add_i32 s16, s16, -1
	v_mov_b32_e32 v4, v1
	v_mad_u64_u32 v[2:3], s[18:19], v5, s21, v[2:3]
	v_mad_u64_u32 v[0:1], s[18:19], v5, s20, v[0:1]
	s_cmp_lg_u32 s16, 0
	v_mov_b32_e32 v1, v2
	s_cbranch_scc1 .LBB305_821
.LBB305_822:
	s_mov_b64 s[12:13], 0
.LBB305_823:
	s_andn2_b64 vcc, exec, s[12:13]
	s_cbranch_vccnz .LBB305_826
; %bb.824:
	v_mul_hi_u32 v0, s29, v12
	v_add_u32_e32 v0, v12, v0
	v_lshrrev_b32_e32 v1, s30, v0
	v_mul_lo_u32 v0, v1, s28
	v_sub_u32_e32 v0, v12, v0
	v_mul_lo_u32 v2, v0, s37
	s_andn2_b64 vcc, exec, s[52:53]
	v_mul_lo_u32 v0, v0, s36
	s_cbranch_vccnz .LBB305_826
; %bb.825:
	v_mul_hi_u32 v3, s50, v1
	v_add_u32_e32 v3, v1, v3
	v_lshrrev_b32_e32 v3, s51, v3
	v_mul_lo_u32 v3, v3, s31
	v_sub_u32_e32 v3, v1, v3
	v_mad_u64_u32 v[0:1], s[12:13], v3, s38, v[0:1]
	v_mad_u64_u32 v[2:3], s[12:13], v3, s39, v[2:3]
.LBB305_826:
	v_mov_b32_e32 v3, 0
	s_and_b32 s18, 0xffff, s78
	s_cmp_lt_i32 s18, 11
	v_lshl_add_u64 v[2:3], s[6:7], 0, v[2:3]
	s_cbranch_scc1 .LBB305_833
; %bb.827:
	s_cmp_gt_i32 s18, 25
	s_mov_b64 s[12:13], 0
	s_cbranch_scc0 .LBB305_834
; %bb.828:
	s_cmp_gt_i32 s18, 28
	s_cbranch_scc0 .LBB305_835
; %bb.829:
	s_cmp_gt_i32 s18, 43
	;; [unrolled: 3-line block ×3, first 2 shown]
	s_cbranch_scc0 .LBB305_839
; %bb.831:
	s_cmp_eq_u32 s18, 46
	s_mov_b64 s[16:17], 0
	s_cbranch_scc0 .LBB305_842
; %bb.832:
	global_load_dword v1, v[2:3], off
	s_mov_b32 s6, 0x2f800000
	s_mov_b32 s7, 0xcf800000
	s_mov_b64 s[14:15], -1
	s_waitcnt vmcnt(0)
	v_lshlrev_b32_e32 v1, 16, v1
	v_trunc_f32_e32 v1, v1
	v_mul_f32_e64 v4, |v1|, s6
	v_floor_f32_e32 v4, v4
	v_fma_f32 v5, v4, s7, |v1|
	v_cvt_u32_f32_e32 v5, v5
	v_cvt_u32_f32_e32 v4, v4
	v_ashrrev_i32_e32 v1, 31, v1
	s_mov_b64 s[6:7], 0
	v_xor_b32_e32 v5, v5, v1
	v_xor_b32_e32 v4, v4, v1
	v_sub_co_u32_e32 v6, vcc, v5, v1
	s_nop 1
	v_subb_co_u32_e32 v7, vcc, v4, v1, vcc
	s_branch .LBB305_843
.LBB305_833:
	s_mov_b64 s[18:19], -1
	s_mov_b64 s[14:15], 0
	s_mov_b64 s[12:13], 0
	;; [unrolled: 1-line block ×3, first 2 shown]
                                        ; implicit-def: $vgpr6_vgpr7
	s_branch .LBB305_902
.LBB305_834:
	s_mov_b64 s[16:17], -1
	s_mov_b64 s[14:15], 0
	s_mov_b64 s[6:7], s[2:3]
                                        ; implicit-def: $vgpr6_vgpr7
	s_branch .LBB305_870
.LBB305_835:
	s_mov_b64 s[16:17], -1
	s_mov_b64 s[14:15], 0
	s_mov_b64 s[6:7], s[2:3]
                                        ; implicit-def: $vgpr6_vgpr7
	s_branch .LBB305_853
.LBB305_836:
	s_mov_b64 s[16:17], -1
	s_mov_b64 s[14:15], 0
	s_mov_b64 s[6:7], s[2:3]
                                        ; implicit-def: $vgpr6_vgpr7
	s_branch .LBB305_848
.LBB305_837:
	s_andn2_saveexec_b64 s[18:19], s[18:19]
	s_cbranch_execz .LBB305_716
.LBB305_838:
	s_mov_b32 s22, 0x46000000
	v_add_f32_e64 v5, |v4|, s22
	v_and_b32_e32 v5, 0xff, v5
	v_cmp_ne_u32_e32 vcc, 0, v5
	s_andn2_b64 s[16:17], s[16:17], exec
	s_and_b64 s[22:23], vcc, exec
	s_or_b64 s[16:17], s[16:17], s[22:23]
	s_or_b64 exec, exec, s[18:19]
	v_mov_b32_e32 v6, 0
	s_and_saveexec_b64 s[18:19], s[16:17]
	s_cbranch_execnz .LBB305_717
	s_branch .LBB305_718
.LBB305_839:
	s_mov_b64 s[16:17], -1
	s_mov_b64 s[14:15], 0
	s_mov_b64 s[6:7], s[2:3]
                                        ; implicit-def: $vgpr6_vgpr7
	s_branch .LBB305_843
.LBB305_840:
	s_andn2_saveexec_b64 s[18:19], s[18:19]
	s_cbranch_execz .LBB305_729
.LBB305_841:
	s_mov_b32 s22, 0x42800000
	v_add_f32_e64 v5, |v4|, s22
	v_and_b32_e32 v5, 0xff, v5
	v_cmp_ne_u32_e32 vcc, 0, v5
	s_andn2_b64 s[16:17], s[16:17], exec
	s_and_b64 s[22:23], vcc, exec
	s_or_b64 s[16:17], s[16:17], s[22:23]
	s_or_b64 exec, exec, s[18:19]
	v_mov_b32_e32 v6, 0
	s_and_saveexec_b64 s[18:19], s[16:17]
	s_cbranch_execnz .LBB305_730
	s_branch .LBB305_731
.LBB305_842:
	s_mov_b64 s[6:7], -1
                                        ; implicit-def: $vgpr6_vgpr7
	s_mov_b64 s[14:15], 0
.LBB305_843:
	s_and_b64 vcc, exec, s[16:17]
	s_cbranch_vccz .LBB305_847
; %bb.844:
	s_cmp_eq_u32 s18, 44
	s_cbranch_scc0 .LBB305_846
; %bb.845:
	global_load_ubyte v1, v[2:3], off
	s_mov_b32 s6, 0x2f800000
	s_mov_b32 s7, 0xcf800000
	s_mov_b64 s[14:15], -1
	s_waitcnt vmcnt(0)
	v_lshlrev_b32_e32 v4, 23, v1
	v_trunc_f32_e32 v4, v4
	v_mul_f32_e64 v5, |v4|, s6
	v_floor_f32_e32 v5, v5
	v_fma_f32 v6, v5, s7, |v4|
	v_cvt_u32_f32_e32 v6, v6
	v_cvt_u32_f32_e32 v5, v5
	v_ashrrev_i32_e32 v4, 31, v4
	s_mov_b64 s[6:7], 0
	v_xor_b32_e32 v6, v6, v4
	v_xor_b32_e32 v5, v5, v4
	v_sub_co_u32_e32 v6, vcc, v6, v4
	s_nop 1
	v_subb_co_u32_e32 v4, vcc, v5, v4, vcc
	v_cmp_ne_u32_e32 vcc, 0, v1
	s_nop 1
	v_cndmask_b32_e32 v7, 0, v4, vcc
	v_cndmask_b32_e32 v6, 0, v6, vcc
	s_branch .LBB305_847
.LBB305_846:
	s_mov_b64 s[6:7], -1
                                        ; implicit-def: $vgpr6_vgpr7
.LBB305_847:
	s_mov_b64 s[16:17], 0
.LBB305_848:
	s_and_b64 vcc, exec, s[16:17]
	s_cbranch_vccz .LBB305_852
; %bb.849:
	s_cmp_eq_u32 s18, 29
	s_cbranch_scc0 .LBB305_851
; %bb.850:
	global_load_dwordx2 v[6:7], v[2:3], off
	s_mov_b64 s[6:7], 0
	s_mov_b64 s[14:15], -1
	s_branch .LBB305_852
.LBB305_851:
	s_mov_b64 s[6:7], -1
                                        ; implicit-def: $vgpr6_vgpr7
.LBB305_852:
	s_mov_b64 s[16:17], 0
.LBB305_853:
	s_and_b64 vcc, exec, s[16:17]
	s_cbranch_vccz .LBB305_869
; %bb.854:
	s_cmp_lt_i32 s18, 27
	s_cbranch_scc1 .LBB305_857
; %bb.855:
	s_cmp_gt_i32 s18, 27
	s_cbranch_scc0 .LBB305_858
; %bb.856:
	global_load_dword v6, v[2:3], off
	s_waitcnt vmcnt(1)
	v_mov_b32_e32 v7, 0
	s_mov_b64 s[14:15], 0
	s_branch .LBB305_859
.LBB305_857:
	s_mov_b64 s[14:15], -1
                                        ; implicit-def: $vgpr6_vgpr7
	s_branch .LBB305_862
.LBB305_858:
	s_mov_b64 s[14:15], -1
                                        ; implicit-def: $vgpr6_vgpr7
.LBB305_859:
	s_andn2_b64 vcc, exec, s[14:15]
	s_cbranch_vccnz .LBB305_861
; %bb.860:
	global_load_ushort v1, v[2:3], off
	s_mov_b32 s14, 0
	s_waitcnt vmcnt(1)
	v_mov_b32_e32 v7, s14
	s_waitcnt vmcnt(0)
	v_and_b32_e32 v6, 0xffff, v1
.LBB305_861:
	s_mov_b64 s[14:15], 0
.LBB305_862:
	s_andn2_b64 vcc, exec, s[14:15]
	s_cbranch_vccnz .LBB305_868
; %bb.863:
	global_load_ubyte v1, v[2:3], off
	s_movk_i32 s14, 0x7f
	s_mov_b64 s[16:17], 0
	s_waitcnt vmcnt(0)
	v_cmp_lt_i16_e32 vcc, s14, v1
	s_and_saveexec_b64 s[14:15], vcc
	s_xor_b64 s[14:15], exec, s[14:15]
	s_cbranch_execz .LBB305_880
; %bb.864:
	s_movk_i32 s16, 0x80
	v_cmp_ne_u16_e32 vcc, s16, v1
	s_and_b64 s[16:17], vcc, exec
	s_andn2_saveexec_b64 s[14:15], s[14:15]
	s_cbranch_execnz .LBB305_881
.LBB305_865:
	s_or_b64 exec, exec, s[14:15]
	v_mov_b64_e32 v[6:7], 0
	s_and_saveexec_b64 s[14:15], s[16:17]
	s_cbranch_execz .LBB305_867
.LBB305_866:
	v_lshlrev_b32_e32 v4, 24, v1
	v_and_b32_e32 v1, 0xffff, v1
	v_and_b32_e32 v5, 7, v1
	v_ffbh_u32_e32 v7, v5
	v_min_u32_e32 v7, 32, v7
	v_subrev_u32_e32 v8, 28, v7
	v_bfe_u32 v6, v1, 3, 4
	v_lshlrev_b32_e32 v1, v8, v1
	v_sub_u32_e32 v7, 29, v7
	v_and_b32_e32 v1, 7, v1
	v_cmp_eq_u32_e32 vcc, 0, v6
	v_and_b32_e32 v4, 0x80000000, v4
	s_mov_b32 s16, 0x2f800000
	v_cndmask_b32_e32 v6, v6, v7, vcc
	v_cndmask_b32_e32 v1, v5, v1, vcc
	v_mov_b32_e32 v5, 0x3b800000
	v_lshlrev_b32_e32 v1, 20, v1
	v_lshl_add_u32 v5, v6, 23, v5
	v_or3_b32 v1, v4, v5, v1
	v_trunc_f32_e32 v1, v1
	v_mul_f32_e64 v4, |v1|, s16
	v_floor_f32_e32 v4, v4
	s_mov_b32 s16, 0xcf800000
	v_fma_f32 v5, v4, s16, |v1|
	v_cvt_u32_f32_e32 v5, v5
	v_cvt_u32_f32_e32 v4, v4
	v_ashrrev_i32_e32 v1, 31, v1
	v_xor_b32_e32 v5, v5, v1
	v_xor_b32_e32 v4, v4, v1
	v_sub_co_u32_e32 v6, vcc, v5, v1
	s_nop 1
	v_subb_co_u32_e32 v7, vcc, v4, v1, vcc
.LBB305_867:
	s_or_b64 exec, exec, s[14:15]
.LBB305_868:
	s_mov_b64 s[14:15], -1
.LBB305_869:
	s_mov_b64 s[16:17], 0
.LBB305_870:
	s_and_b64 vcc, exec, s[16:17]
	s_cbranch_vccz .LBB305_901
; %bb.871:
	s_cmp_gt_i32 s18, 22
	s_cbranch_scc0 .LBB305_879
; %bb.872:
	s_cmp_lt_i32 s18, 24
	s_cbranch_scc1 .LBB305_882
; %bb.873:
	s_cmp_gt_i32 s18, 24
	s_cbranch_scc0 .LBB305_883
; %bb.874:
	global_load_ubyte v1, v[2:3], off
	s_movk_i32 s12, 0x7f
	s_mov_b64 s[14:15], 0
	s_waitcnt vmcnt(0)
	v_cmp_lt_i16_e32 vcc, s12, v1
	s_and_saveexec_b64 s[12:13], vcc
	s_xor_b64 s[12:13], exec, s[12:13]
	s_cbranch_execz .LBB305_895
; %bb.875:
	s_movk_i32 s14, 0x80
	v_cmp_ne_u16_e32 vcc, s14, v1
	s_and_b64 s[14:15], vcc, exec
	s_andn2_saveexec_b64 s[12:13], s[12:13]
	s_cbranch_execnz .LBB305_896
.LBB305_876:
	s_or_b64 exec, exec, s[12:13]
	v_mov_b64_e32 v[6:7], 0
	s_and_saveexec_b64 s[12:13], s[14:15]
	s_cbranch_execz .LBB305_878
.LBB305_877:
	v_lshlrev_b32_e32 v4, 24, v1
	v_and_b32_e32 v1, 0xffff, v1
	v_and_b32_e32 v5, 3, v1
	v_ffbh_u32_e32 v7, v5
	v_min_u32_e32 v7, 32, v7
	v_subrev_u32_e32 v8, 29, v7
	v_bfe_u32 v6, v1, 2, 5
	v_lshlrev_b32_e32 v1, v8, v1
	v_sub_u32_e32 v7, 30, v7
	v_and_b32_e32 v1, 3, v1
	v_cmp_eq_u32_e32 vcc, 0, v6
	v_and_b32_e32 v4, 0x80000000, v4
	s_mov_b32 s14, 0x2f800000
	v_cndmask_b32_e32 v6, v6, v7, vcc
	v_cndmask_b32_e32 v1, v5, v1, vcc
	v_mov_b32_e32 v5, 0x37800000
	v_lshlrev_b32_e32 v1, 21, v1
	v_lshl_add_u32 v5, v6, 23, v5
	v_or3_b32 v1, v4, v5, v1
	v_trunc_f32_e32 v1, v1
	v_mul_f32_e64 v4, |v1|, s14
	v_floor_f32_e32 v4, v4
	s_mov_b32 s14, 0xcf800000
	v_fma_f32 v5, v4, s14, |v1|
	v_cvt_u32_f32_e32 v5, v5
	v_cvt_u32_f32_e32 v4, v4
	v_ashrrev_i32_e32 v1, 31, v1
	v_xor_b32_e32 v5, v5, v1
	v_xor_b32_e32 v4, v4, v1
	v_sub_co_u32_e32 v6, vcc, v5, v1
	s_nop 1
	v_subb_co_u32_e32 v7, vcc, v4, v1, vcc
.LBB305_878:
	s_or_b64 exec, exec, s[12:13]
	s_mov_b64 s[12:13], 0
	s_branch .LBB305_884
.LBB305_879:
	s_mov_b64 s[12:13], -1
                                        ; implicit-def: $vgpr6_vgpr7
	s_branch .LBB305_890
.LBB305_880:
	s_andn2_saveexec_b64 s[14:15], s[14:15]
	s_cbranch_execz .LBB305_865
.LBB305_881:
	v_cmp_ne_u16_e32 vcc, 0, v1
	s_andn2_b64 s[16:17], s[16:17], exec
	s_and_b64 s[20:21], vcc, exec
	s_or_b64 s[16:17], s[16:17], s[20:21]
	s_or_b64 exec, exec, s[14:15]
	v_mov_b64_e32 v[6:7], 0
	s_and_saveexec_b64 s[14:15], s[16:17]
	s_cbranch_execnz .LBB305_866
	s_branch .LBB305_867
.LBB305_882:
	s_mov_b64 s[12:13], -1
                                        ; implicit-def: $vgpr6_vgpr7
	s_branch .LBB305_887
.LBB305_883:
	s_mov_b64 s[12:13], -1
                                        ; implicit-def: $vgpr6_vgpr7
.LBB305_884:
	s_and_b64 vcc, exec, s[12:13]
	s_cbranch_vccz .LBB305_886
; %bb.885:
	global_load_ubyte v1, v[2:3], off
	s_mov_b32 s12, 0x7f800000
	s_brev_b32 s13, 1
	s_mov_b32 s14, 0x2f800000
	s_mov_b32 s15, 0xcf800000
	s_waitcnt vmcnt(0)
	v_lshlrev_b32_e32 v1, 24, v1
	v_and_b32_e32 v4, 0x7f000000, v1
	v_ffbh_u32_e32 v5, v4
	v_min_u32_e32 v5, 32, v5
	v_sub_u32_e64 v5, v5, 4 clamp
	v_lshlrev_b32_e32 v7, v5, v4
	v_lshlrev_b32_e32 v5, 23, v5
	v_lshrrev_b32_e32 v7, 4, v7
	v_add_u32_e32 v6, 0x1000000, v4
	v_sub_u32_e32 v5, v7, v5
	v_ashrrev_i32_e32 v6, 8, v6
	v_add_u32_e32 v5, 0x3c000000, v5
	v_and_or_b32 v5, v6, s12, v5
	v_cmp_ne_u32_e32 vcc, 0, v4
	s_nop 1
	v_cndmask_b32_e32 v4, 0, v5, vcc
	v_and_or_b32 v1, v1, s13, v4
	v_trunc_f32_e32 v1, v1
	v_mul_f32_e64 v4, |v1|, s14
	v_floor_f32_e32 v4, v4
	v_fma_f32 v5, v4, s15, |v1|
	v_cvt_u32_f32_e32 v5, v5
	v_cvt_u32_f32_e32 v4, v4
	v_ashrrev_i32_e32 v1, 31, v1
	v_xor_b32_e32 v5, v5, v1
	v_xor_b32_e32 v4, v4, v1
	v_sub_co_u32_e32 v6, vcc, v5, v1
	s_nop 1
	v_subb_co_u32_e32 v7, vcc, v4, v1, vcc
.LBB305_886:
	s_mov_b64 s[12:13], 0
.LBB305_887:
	s_andn2_b64 vcc, exec, s[12:13]
	s_cbranch_vccnz .LBB305_889
; %bb.888:
	global_load_ubyte v1, v[2:3], off
	s_movk_i32 s12, 0x7f00
	s_brev_b32 s13, 16
	s_brev_b32 s14, 1
	s_mov_b32 s15, 0x2f800000
	s_mov_b32 s16, 0xcf800000
	s_waitcnt vmcnt(0)
	v_lshlrev_b16_e32 v4, 8, v1
	v_lshlrev_b32_e32 v1, 25, v1
	v_lshrrev_b32_e32 v5, 4, v1
	v_and_or_b32 v6, v4, s12, 0.5
	v_or_b32_e32 v5, 0x70000000, v5
	v_add_f32_e32 v6, -0.5, v6
	v_mul_f32_e32 v5, 0x7800000, v5
	v_cmp_gt_u32_e32 vcc, s13, v1
	v_bfe_i32 v4, v4, 0, 16
	s_nop 0
	v_cndmask_b32_e32 v1, v5, v6, vcc
	v_and_or_b32 v1, v4, s14, v1
	v_trunc_f32_e32 v1, v1
	v_mul_f32_e64 v4, |v1|, s15
	v_floor_f32_e32 v4, v4
	v_fma_f32 v5, v4, s16, |v1|
	v_cvt_u32_f32_e32 v5, v5
	v_cvt_u32_f32_e32 v4, v4
	v_ashrrev_i32_e32 v1, 31, v1
	v_xor_b32_e32 v5, v5, v1
	v_xor_b32_e32 v4, v4, v1
	v_sub_co_u32_e32 v6, vcc, v5, v1
	s_nop 1
	v_subb_co_u32_e32 v7, vcc, v4, v1, vcc
.LBB305_889:
	s_mov_b64 s[12:13], 0
	s_mov_b64 s[14:15], -1
.LBB305_890:
	s_andn2_b64 vcc, exec, s[12:13]
	s_mov_b64 s[12:13], 0
	s_cbranch_vccnz .LBB305_901
; %bb.891:
	s_cmp_gt_i32 s18, 14
	s_cbranch_scc0 .LBB305_894
; %bb.892:
	s_cmp_eq_u32 s18, 15
	s_cbranch_scc0 .LBB305_897
; %bb.893:
	global_load_ushort v1, v[2:3], off
	s_mov_b32 s6, 0x2f800000
	s_mov_b32 s7, 0xcf800000
	s_mov_b64 s[14:15], -1
	s_waitcnt vmcnt(0)
	v_lshlrev_b32_e32 v1, 16, v1
	v_trunc_f32_e32 v1, v1
	v_mul_f32_e64 v4, |v1|, s6
	v_floor_f32_e32 v4, v4
	v_fma_f32 v5, v4, s7, |v1|
	v_cvt_u32_f32_e32 v5, v5
	v_cvt_u32_f32_e32 v4, v4
	v_ashrrev_i32_e32 v1, 31, v1
	s_mov_b64 s[6:7], 0
	v_xor_b32_e32 v5, v5, v1
	v_xor_b32_e32 v4, v4, v1
	v_sub_co_u32_e32 v6, vcc, v5, v1
	s_nop 1
	v_subb_co_u32_e32 v7, vcc, v4, v1, vcc
	s_branch .LBB305_898
.LBB305_894:
	s_mov_b64 s[16:17], -1
                                        ; implicit-def: $vgpr6_vgpr7
	s_branch .LBB305_899
.LBB305_895:
	s_andn2_saveexec_b64 s[12:13], s[12:13]
	s_cbranch_execz .LBB305_876
.LBB305_896:
	v_cmp_ne_u16_e32 vcc, 0, v1
	s_andn2_b64 s[14:15], s[14:15], exec
	s_and_b64 s[16:17], vcc, exec
	s_or_b64 s[14:15], s[14:15], s[16:17]
	s_or_b64 exec, exec, s[12:13]
	v_mov_b64_e32 v[6:7], 0
	s_and_saveexec_b64 s[12:13], s[14:15]
	s_cbranch_execnz .LBB305_877
	s_branch .LBB305_878
.LBB305_897:
	s_mov_b64 s[6:7], -1
                                        ; implicit-def: $vgpr6_vgpr7
.LBB305_898:
	s_mov_b64 s[16:17], 0
.LBB305_899:
	s_and_b64 vcc, exec, s[16:17]
	s_cbranch_vccz .LBB305_901
; %bb.900:
	s_cmp_lg_u32 s18, 11
	s_cselect_b64 s[16:17], -1, 0
	s_andn2_b64 s[6:7], s[6:7], exec
	s_and_b64 s[16:17], s[16:17], exec
	s_mov_b64 s[12:13], -1
	s_or_b64 s[6:7], s[6:7], s[16:17]
.LBB305_901:
	s_mov_b64 s[18:19], 0
.LBB305_902:
	s_and_b64 s[16:17], s[14:15], exec
	s_and_b64 s[14:15], s[18:19], exec
	s_andn2_b64 s[18:19], s[2:3], exec
	s_and_b64 s[6:7], s[6:7], exec
	s_and_b64 s[12:13], s[12:13], exec
	s_or_b64 s[18:19], s[18:19], s[6:7]
.LBB305_903:
	s_or_b64 exec, exec, s[74:75]
	s_andn2_b64 s[2:3], s[2:3], exec
	s_and_b64 s[6:7], s[18:19], exec
	s_and_b64 s[16:17], s[16:17], exec
	;; [unrolled: 1-line block ×4, first 2 shown]
	s_or_b64 s[2:3], s[2:3], s[6:7]
.LBB305_904:
	s_or_b64 exec, exec, s[70:71]
	s_andn2_b64 s[6:7], s[66:67], exec
	s_and_b64 s[18:19], s[72:73], exec
	s_or_b64 s[66:67], s[6:7], s[18:19]
	s_andn2_b64 s[6:7], s[64:65], exec
	s_and_b64 s[2:3], s[2:3], exec
	s_and_b64 s[16:17], s[16:17], exec
	;; [unrolled: 1-line block ×4, first 2 shown]
	s_or_b64 s[64:65], s[6:7], s[2:3]
.LBB305_905:
	s_or_b64 exec, exec, s[68:69]
	s_andn2_b64 s[2:3], s[58:59], exec
	s_and_b64 s[6:7], s[66:67], exec
	s_or_b64 s[58:59], s[2:3], s[6:7]
	s_and_b64 s[66:67], s[12:13], exec
	s_andn2_b64 s[6:7], s[60:61], exec
	s_and_b64 s[12:13], s[64:65], exec
	s_and_b64 s[2:3], s[16:17], exec
	;; [unrolled: 1-line block ×3, first 2 shown]
	s_or_b64 s[60:61], s[6:7], s[12:13]
	s_or_b64 exec, exec, s[62:63]
	s_mov_b64 s[6:7], 0
	s_and_saveexec_b64 s[12:13], s[60:61]
	s_cbranch_execz .LBB305_272
.LBB305_906:
	s_mov_b64 s[6:7], exec
	s_andn2_b64 s[66:67], s[66:67], exec
	s_trap 2
	s_or_b64 exec, exec, s[12:13]
	s_and_saveexec_b64 s[12:13], s[66:67]
	s_xor_b64 s[12:13], exec, s[12:13]
	s_cbranch_execnz .LBB305_273
.LBB305_907:
	s_or_b64 exec, exec, s[12:13]
	s_and_saveexec_b64 s[12:13], s[14:15]
	s_cbranch_execz .LBB305_953
.LBB305_908:
	s_sext_i32_i16 s14, s78
	s_cmp_lt_i32 s14, 5
	s_cbranch_scc1 .LBB305_913
; %bb.909:
	s_cmp_lt_i32 s14, 8
	s_cbranch_scc1 .LBB305_914
; %bb.910:
	;; [unrolled: 3-line block ×3, first 2 shown]
	s_cmp_gt_i32 s14, 9
	s_cbranch_scc0 .LBB305_916
; %bb.912:
	global_load_dwordx2 v[4:5], v[2:3], off
	s_movk_i32 s14, 0xffe0
	s_waitcnt vmcnt(0)
	v_trunc_f64_e32 v[4:5], v[4:5]
	v_ldexp_f64 v[6:7], v[4:5], s14
	v_floor_f64_e32 v[8:9], v[6:7]
	v_fmac_f64_e32 v[4:5], 0xc1f00000, v[8:9]
	v_cvt_i32_f64_e32 v7, v[8:9]
	v_cvt_u32_f64_e32 v6, v[4:5]
	s_mov_b64 s[14:15], 0
	s_branch .LBB305_917
.LBB305_913:
                                        ; implicit-def: $vgpr6_vgpr7
	s_branch .LBB305_934
.LBB305_914:
                                        ; implicit-def: $vgpr6_vgpr7
	s_branch .LBB305_923
.LBB305_915:
	s_mov_b64 s[14:15], -1
                                        ; implicit-def: $vgpr6_vgpr7
	s_branch .LBB305_920
.LBB305_916:
	s_mov_b64 s[14:15], -1
                                        ; implicit-def: $vgpr6_vgpr7
.LBB305_917:
	s_andn2_b64 vcc, exec, s[14:15]
	s_cbranch_vccnz .LBB305_919
; %bb.918:
	global_load_dword v1, v[2:3], off
	s_mov_b32 s14, 0x2f800000
	s_mov_b32 s15, 0xcf800000
	s_waitcnt vmcnt(0)
	v_trunc_f32_e32 v1, v1
	v_mul_f32_e64 v4, |v1|, s14
	v_floor_f32_e32 v4, v4
	v_cvt_u32_f32_e32 v5, v4
	v_fma_f32 v4, v4, s15, |v1|
	v_cvt_u32_f32_e32 v4, v4
	v_ashrrev_i32_e32 v1, 31, v1
	v_xor_b32_e32 v5, v5, v1
	v_xor_b32_e32 v4, v4, v1
	v_sub_co_u32_e32 v6, vcc, v4, v1
	s_nop 1
	v_subb_co_u32_e32 v7, vcc, v5, v1, vcc
.LBB305_919:
	s_mov_b64 s[14:15], 0
.LBB305_920:
	s_andn2_b64 vcc, exec, s[14:15]
	s_cbranch_vccnz .LBB305_922
; %bb.921:
	global_load_dword v1, v[2:3], off
	s_waitcnt vmcnt(0)
	v_cvt_f32_f16_e32 v1, v1
	v_cvt_i32_f32_e32 v6, v1
	v_ashrrev_i32_e32 v7, 31, v6
.LBB305_922:
	s_cbranch_execnz .LBB305_933
.LBB305_923:
	s_sext_i32_i16 s14, s78
	s_cmp_lt_i32 s14, 6
	s_cbranch_scc1 .LBB305_926
; %bb.924:
	s_cmp_gt_i32 s14, 6
	s_cbranch_scc0 .LBB305_927
; %bb.925:
	global_load_dwordx2 v[4:5], v[2:3], off
	s_movk_i32 s14, 0xffe0
	s_waitcnt vmcnt(0)
	v_trunc_f64_e32 v[4:5], v[4:5]
	v_ldexp_f64 v[6:7], v[4:5], s14
	v_floor_f64_e32 v[8:9], v[6:7]
	v_fmac_f64_e32 v[4:5], 0xc1f00000, v[8:9]
	v_cvt_i32_f64_e32 v7, v[8:9]
	v_cvt_u32_f64_e32 v6, v[4:5]
	s_mov_b64 s[14:15], 0
	s_branch .LBB305_928
.LBB305_926:
	s_mov_b64 s[14:15], -1
                                        ; implicit-def: $vgpr6_vgpr7
	s_branch .LBB305_931
.LBB305_927:
	s_mov_b64 s[14:15], -1
                                        ; implicit-def: $vgpr6_vgpr7
.LBB305_928:
	s_andn2_b64 vcc, exec, s[14:15]
	s_cbranch_vccnz .LBB305_930
; %bb.929:
	global_load_dword v1, v[2:3], off
	s_mov_b32 s14, 0x2f800000
	s_mov_b32 s15, 0xcf800000
	s_waitcnt vmcnt(0)
	v_trunc_f32_e32 v1, v1
	v_mul_f32_e64 v4, |v1|, s14
	v_floor_f32_e32 v4, v4
	v_cvt_u32_f32_e32 v5, v4
	v_fma_f32 v4, v4, s15, |v1|
	v_cvt_u32_f32_e32 v4, v4
	v_ashrrev_i32_e32 v1, 31, v1
	v_xor_b32_e32 v5, v5, v1
	v_xor_b32_e32 v4, v4, v1
	v_sub_co_u32_e32 v6, vcc, v4, v1
	s_nop 1
	v_subb_co_u32_e32 v7, vcc, v5, v1, vcc
.LBB305_930:
	s_mov_b64 s[14:15], 0
.LBB305_931:
	s_andn2_b64 vcc, exec, s[14:15]
	s_cbranch_vccnz .LBB305_933
; %bb.932:
	global_load_ushort v1, v[2:3], off
	s_waitcnt vmcnt(0)
	v_cvt_f32_f16_e32 v1, v1
	v_cvt_i32_f32_e32 v6, v1
	v_ashrrev_i32_e32 v7, 31, v6
.LBB305_933:
	s_cbranch_execnz .LBB305_952
.LBB305_934:
	s_sext_i32_i16 s14, s78
	s_cmp_lt_i32 s14, 2
	s_cbranch_scc1 .LBB305_938
; %bb.935:
	s_cmp_lt_i32 s14, 3
	s_cbranch_scc1 .LBB305_939
; %bb.936:
	s_cmp_gt_i32 s14, 3
	s_cbranch_scc0 .LBB305_940
; %bb.937:
	global_load_dwordx2 v[6:7], v[2:3], off
	s_mov_b64 s[14:15], 0
	s_branch .LBB305_941
.LBB305_938:
                                        ; implicit-def: $vgpr6_vgpr7
	s_branch .LBB305_947
.LBB305_939:
	s_mov_b64 s[14:15], -1
                                        ; implicit-def: $vgpr6_vgpr7
	s_branch .LBB305_944
.LBB305_940:
	s_mov_b64 s[14:15], -1
                                        ; implicit-def: $vgpr6_vgpr7
.LBB305_941:
	s_andn2_b64 vcc, exec, s[14:15]
	s_cbranch_vccnz .LBB305_943
; %bb.942:
	global_load_dword v6, v[2:3], off
	s_waitcnt vmcnt(0)
	v_ashrrev_i32_e32 v7, 31, v6
.LBB305_943:
	s_mov_b64 s[14:15], 0
.LBB305_944:
	s_andn2_b64 vcc, exec, s[14:15]
	s_cbranch_vccnz .LBB305_946
; %bb.945:
	global_load_ushort v1, v[2:3], off
	s_waitcnt vmcnt(0)
	v_bfe_i32 v6, v1, 0, 16
	v_ashrrev_i32_e32 v7, 31, v6
.LBB305_946:
	s_cbranch_execnz .LBB305_952
.LBB305_947:
	s_sext_i32_i16 s14, s78
	s_cmp_gt_i32 s14, 0
	s_cbranch_scc0 .LBB305_949
; %bb.948:
	global_load_sbyte v1, v[2:3], off
	s_mov_b64 s[14:15], 0
	s_waitcnt vmcnt(0)
	v_bfe_i32 v6, v1, 0, 16
	v_ashrrev_i32_e32 v7, 31, v6
	s_branch .LBB305_950
.LBB305_949:
	s_mov_b64 s[14:15], -1
                                        ; implicit-def: $vgpr6_vgpr7
.LBB305_950:
	s_andn2_b64 vcc, exec, s[14:15]
	s_cbranch_vccnz .LBB305_952
; %bb.951:
	global_load_ubyte v1, v[2:3], off
	s_mov_b32 s14, 0
	s_waitcnt vmcnt(1)
	v_mov_b32_e32 v7, s14
	s_waitcnt vmcnt(0)
	v_and_b32_e32 v6, 0xffff, v1
.LBB305_952:
	s_or_b64 s[2:3], s[2:3], exec
.LBB305_953:
	s_or_b64 exec, exec, s[12:13]
	s_mov_b64 s[16:17], 0
	s_mov_b64 s[14:15], 0
                                        ; implicit-def: $sgpr18
                                        ; implicit-def: $vgpr4_vgpr5
                                        ; implicit-def: $vgpr2_vgpr3
	s_and_saveexec_b64 s[12:13], s[2:3]
	s_cbranch_execz .LBB305_961
; %bb.954:
	v_mov_b32_e32 v1, s9
	s_waitcnt vmcnt(0)
	v_cmp_lt_i64_e32 vcc, s[8:9], v[6:7]
	s_and_b32 s18, s77, 0xff
	s_cmp_lt_i32 s18, 11
	v_cndmask_b32_e32 v3, v1, v7, vcc
	v_mov_b32_e32 v1, s8
	v_cndmask_b32_e32 v2, v1, v6, vcc
	v_mov_b32_e32 v1, s11
	v_cmp_gt_i64_e32 vcc, s[10:11], v[2:3]
	s_nop 1
	v_cndmask_b32_e32 v3, v1, v3, vcc
	v_mov_b32_e32 v1, s10
	v_cndmask_b32_e32 v2, v1, v2, vcc
	v_mov_b32_e32 v1, 0
	v_lshl_add_u64 v[4:5], s[4:5], 0, v[0:1]
	s_cbranch_scc1 .LBB305_964
; %bb.955:
	s_and_b32 s16, 0xffff, s18
	s_mov_b64 s[8:9], -1
	s_cmp_gt_i32 s16, 25
	s_mov_b64 s[2:3], s[58:59]
	s_cbranch_scc0 .LBB305_992
; %bb.956:
	s_mov_b64 s[4:5], -1
	s_cmp_gt_i32 s16, 28
	s_mov_b64 s[2:3], s[58:59]
	s_cbranch_scc0 .LBB305_976
; %bb.957:
	s_cmp_gt_i32 s16, 43
	s_mov_b64 s[2:3], s[58:59]
	s_cbranch_scc0 .LBB305_972
; %bb.958:
	;; [unrolled: 4-line block ×3, first 2 shown]
	s_cmp_eq_u32 s16, 46
	s_mov_b64 s[2:3], -1
	s_cbranch_scc0 .LBB305_965
; %bb.960:
	v_xor_b32_e32 v1, v2, v3
	v_ffbh_i32_e32 v0, v3
	v_ashrrev_i32_e32 v1, 31, v1
	v_add_u32_e32 v0, -1, v0
	v_add_u32_e32 v1, 32, v1
	v_min_u32_e32 v6, v0, v1
	v_lshlrev_b64 v[0:1], v6, v[2:3]
	v_min_u32_e32 v0, 1, v0
	v_or_b32_e32 v0, v1, v0
	v_cvt_f32_i32_e32 v0, v0
	v_sub_u32_e32 v1, 32, v6
	s_movk_i32 s2, 0x7fff
	s_mov_b64 s[4:5], 0
	v_ldexp_f32 v0, v0, v1
	v_bfe_u32 v1, v0, 16, 1
	v_add3_u32 v0, v0, v1, s2
	v_lshrrev_b32_e32 v0, 16, v0
	global_store_dword v[4:5], v0, off
	s_mov_b64 s[2:3], 0
	s_branch .LBB305_966
.LBB305_961:
	s_or_b64 exec, exec, s[12:13]
	s_and_saveexec_b64 s[2:3], s[58:59]
	s_cbranch_execnz .LBB305_1034
.LBB305_962:
	s_or_b64 exec, exec, s[2:3]
	s_and_saveexec_b64 s[2:3], s[16:17]
	s_xor_b64 s[2:3], exec, s[2:3]
	s_cbranch_execz .LBB305_1035
.LBB305_963:
	v_cmp_ne_u64_e32 vcc, 0, v[2:3]
	s_nop 1
	v_cndmask_b32_e64 v0, 0, 1, vcc
	s_waitcnt vmcnt(0)
	global_store_byte v[4:5], v0, off
	s_or_b64 exec, exec, s[2:3]
	s_and_saveexec_b64 s[2:3], s[14:15]
	s_xor_b64 s[2:3], exec, s[2:3]
	s_cbranch_execz .LBB305_1073
	s_branch .LBB305_1036
.LBB305_964:
	s_mov_b64 s[8:9], 0
	s_mov_b64 s[4:5], -1
	s_mov_b64 s[2:3], s[58:59]
	s_branch .LBB305_1033
.LBB305_965:
	s_mov_b64 s[4:5], 0
.LBB305_966:
	s_and_b64 vcc, exec, s[4:5]
	s_cbranch_vccz .LBB305_971
; %bb.967:
	s_cmp_eq_u32 s16, 44
	s_mov_b64 s[2:3], -1
	s_cbranch_scc0 .LBB305_971
; %bb.968:
	v_xor_b32_e32 v1, v2, v3
	v_ffbh_i32_e32 v0, v3
	v_ashrrev_i32_e32 v1, 31, v1
	v_add_u32_e32 v0, -1, v0
	v_add_u32_e32 v1, 32, v1
	v_min_u32_e32 v6, v0, v1
	v_lshlrev_b64 v[0:1], v6, v[2:3]
	v_min_u32_e32 v0, 1, v0
	v_or_b32_e32 v0, v1, v0
	v_cvt_f32_i32_e32 v0, v0
	v_sub_u32_e32 v1, 32, v6
	s_movk_i32 s2, 0xff
	v_mov_b32_e32 v6, 0xff
	v_ldexp_f32 v0, v0, v1
	v_bfe_u32 v1, v0, 23, 8
	v_cmp_ne_u32_e32 vcc, s2, v1
	s_and_saveexec_b64 s[4:5], vcc
; %bb.969:
	s_mov_b32 s2, 0x3fffff
	v_lshrrev_b32_e32 v6, 23, v0
	v_and_b32_e32 v7, 0x400000, v0
	v_and_or_b32 v0, v0, s2, v1
	v_cmp_ne_u32_e32 vcc, 0, v7
	v_cmp_ne_u32_e64 s[2:3], 0, v0
	s_and_b64 s[2:3], vcc, s[2:3]
	s_nop 0
	v_cndmask_b32_e64 v0, 0, 1, s[2:3]
	v_add_u32_e32 v6, v6, v0
; %bb.970:
	s_or_b64 exec, exec, s[4:5]
	s_mov_b64 s[2:3], 0
	global_store_byte v[4:5], v6, off
.LBB305_971:
	s_mov_b64 s[4:5], 0
.LBB305_972:
	s_and_b64 vcc, exec, s[4:5]
	s_cbranch_vccz .LBB305_975
; %bb.973:
	s_cmp_eq_u32 s16, 29
	s_mov_b64 s[2:3], -1
	s_cbranch_scc0 .LBB305_975
; %bb.974:
	global_store_dwordx2 v[4:5], v[2:3], off
	s_mov_b64 s[2:3], 0
.LBB305_975:
	s_mov_b64 s[4:5], 0
.LBB305_976:
	s_and_b64 vcc, exec, s[4:5]
	s_cbranch_vccz .LBB305_991
; %bb.977:
	s_cmp_lt_i32 s16, 27
	s_mov_b64 s[4:5], -1
	s_cbranch_scc1 .LBB305_983
; %bb.978:
	s_cmp_gt_i32 s16, 27
	s_cbranch_scc0 .LBB305_980
; %bb.979:
	s_mov_b64 s[4:5], 0
	global_store_dword v[4:5], v2, off
.LBB305_980:
	s_andn2_b64 vcc, exec, s[4:5]
	s_cbranch_vccnz .LBB305_982
; %bb.981:
	global_store_short v[4:5], v2, off
.LBB305_982:
	s_mov_b64 s[4:5], 0
.LBB305_983:
	s_andn2_b64 vcc, exec, s[4:5]
	s_cbranch_vccnz .LBB305_991
; %bb.984:
	v_xor_b32_e32 v1, v2, v3
	v_ffbh_i32_e32 v0, v3
	v_ashrrev_i32_e32 v1, 31, v1
	v_add_u32_e32 v0, -1, v0
	v_add_u32_e32 v1, 32, v1
	v_min_u32_e32 v6, v0, v1
	v_lshlrev_b64 v[0:1], v6, v[2:3]
	v_min_u32_e32 v0, 1, v0
	v_or_b32_e32 v0, v1, v0
	v_cvt_f32_i32_e32 v0, v0
	v_sub_u32_e32 v1, 32, v6
	s_mov_b32 s4, 0x43800000
	v_mov_b32_e32 v6, 0x80
	v_ldexp_f32 v0, v0, v1
	v_and_b32_e32 v1, 0x7fffffff, v0
	v_cmp_gt_u32_e32 vcc, s4, v1
	s_and_saveexec_b64 s[4:5], vcc
	s_cbranch_execz .LBB305_990
; %bb.985:
	s_mov_b32 s8, 0x3bffffff
	v_cmp_lt_u32_e32 vcc, s8, v1
	s_mov_b64 s[8:9], 0
                                        ; implicit-def: $vgpr1
	s_and_saveexec_b64 s[10:11], vcc
	s_xor_b64 s[10:11], exec, s[10:11]
	s_cbranch_execz .LBB305_1144
; %bb.986:
	v_bfe_u32 v1, v0, 20, 1
	s_mov_b32 s14, 0x487ffff
	v_add3_u32 v1, v0, v1, s14
	s_mov_b64 s[8:9], exec
	v_lshrrev_b32_e32 v1, 20, v1
	s_andn2_saveexec_b64 s[10:11], s[10:11]
	s_cbranch_execnz .LBB305_1145
.LBB305_987:
	s_or_b64 exec, exec, s[10:11]
	v_mov_b32_e32 v6, 0
	s_and_saveexec_b64 s[10:11], s[8:9]
.LBB305_988:
	v_lshrrev_b32_e32 v0, 24, v0
	s_movk_i32 s8, 0x80
	v_and_or_b32 v6, v0, s8, v1
.LBB305_989:
	s_or_b64 exec, exec, s[10:11]
.LBB305_990:
	s_or_b64 exec, exec, s[4:5]
	global_store_byte v[4:5], v6, off
.LBB305_991:
	s_mov_b64 s[8:9], 0
.LBB305_992:
	s_mov_b64 s[4:5], 0
	s_and_b64 vcc, exec, s[8:9]
	s_cbranch_vccz .LBB305_1032
; %bb.993:
	s_cmp_gt_i32 s16, 22
	s_mov_b64 s[8:9], -1
	s_cbranch_scc0 .LBB305_1025
; %bb.994:
	s_cmp_lt_i32 s16, 24
	s_cbranch_scc1 .LBB305_1014
; %bb.995:
	s_cmp_gt_i32 s16, 24
	s_cbranch_scc0 .LBB305_1003
; %bb.996:
	v_xor_b32_e32 v1, v2, v3
	v_ffbh_i32_e32 v0, v3
	v_ashrrev_i32_e32 v1, 31, v1
	v_add_u32_e32 v0, -1, v0
	v_add_u32_e32 v1, 32, v1
	v_min_u32_e32 v6, v0, v1
	v_lshlrev_b64 v[0:1], v6, v[2:3]
	v_min_u32_e32 v0, 1, v0
	v_or_b32_e32 v0, v1, v0
	v_cvt_f32_i32_e32 v0, v0
	v_sub_u32_e32 v1, 32, v6
	s_mov_b32 s8, 0x47800000
	v_mov_b32_e32 v6, 0x80
	v_ldexp_f32 v0, v0, v1
	v_and_b32_e32 v1, 0x7fffffff, v0
	v_cmp_gt_u32_e32 vcc, s8, v1
	s_and_saveexec_b64 s[8:9], vcc
	s_cbranch_execz .LBB305_1002
; %bb.997:
	s_mov_b32 s10, 0x37ffffff
	v_cmp_lt_u32_e32 vcc, s10, v1
	s_mov_b64 s[10:11], 0
                                        ; implicit-def: $vgpr1
	s_and_saveexec_b64 s[14:15], vcc
	s_xor_b64 s[14:15], exec, s[14:15]
	s_cbranch_execz .LBB305_1264
; %bb.998:
	v_bfe_u32 v1, v0, 21, 1
	s_mov_b32 s17, 0x88fffff
	v_add3_u32 v1, v0, v1, s17
	s_mov_b64 s[10:11], exec
	v_lshrrev_b32_e32 v1, 21, v1
	s_andn2_saveexec_b64 s[14:15], s[14:15]
	s_cbranch_execnz .LBB305_1265
.LBB305_999:
	s_or_b64 exec, exec, s[14:15]
	v_mov_b32_e32 v6, 0
	s_and_saveexec_b64 s[14:15], s[10:11]
.LBB305_1000:
	v_lshrrev_b32_e32 v0, 24, v0
	s_movk_i32 s10, 0x80
	v_and_or_b32 v6, v0, s10, v1
.LBB305_1001:
	s_or_b64 exec, exec, s[14:15]
.LBB305_1002:
	s_or_b64 exec, exec, s[8:9]
	s_mov_b64 s[8:9], 0
	global_store_byte v[4:5], v6, off
.LBB305_1003:
	s_and_b64 vcc, exec, s[8:9]
	s_cbranch_vccz .LBB305_1013
; %bb.1004:
	v_xor_b32_e32 v1, v2, v3
	v_ffbh_i32_e32 v0, v3
	v_ashrrev_i32_e32 v1, 31, v1
	v_add_u32_e32 v0, -1, v0
	v_add_u32_e32 v1, 32, v1
	v_min_u32_e32 v6, v0, v1
	v_lshlrev_b64 v[0:1], v6, v[2:3]
	v_min_u32_e32 v0, 1, v0
	v_or_b32_e32 v0, v1, v0
	v_cvt_f32_i32_e32 v0, v0
	v_sub_u32_e32 v1, 32, v6
	s_mov_b32 s8, 0x43f00000
	v_ldexp_f32 v0, v0, v1
	v_and_b32_e32 v6, 0x7fffffff, v0
	v_cmp_gt_u32_e32 vcc, s8, v6
                                        ; implicit-def: $vgpr1
	s_and_saveexec_b64 s[8:9], vcc
	s_xor_b64 s[8:9], exec, s[8:9]
	s_cbranch_execz .LBB305_1010
; %bb.1005:
	s_mov_b32 s10, 0x3c7fffff
	v_cmp_lt_u32_e32 vcc, s10, v6
                                        ; implicit-def: $vgpr1
	s_and_saveexec_b64 s[10:11], vcc
	s_xor_b64 s[10:11], exec, s[10:11]
; %bb.1006:
	v_bfe_u32 v1, v0, 20, 1
	s_mov_b32 s14, 0x407ffff
	v_add3_u32 v1, v0, v1, s14
	v_lshrrev_b32_e32 v6, 20, v1
	v_and_b32_e32 v1, 0xff00000, v1
	s_mov_b32 s14, 0x7f00000
	v_mov_b32_e32 v7, 0x7e
	v_cmp_ne_u32_e32 vcc, s14, v1
	s_nop 1
	v_cndmask_b32_e32 v1, v7, v6, vcc
; %bb.1007:
	s_andn2_saveexec_b64 s[10:11], s[10:11]
; %bb.1008:
	s_mov_b32 s14, 0x46800000
	v_add_f32_e64 v1, |v0|, s14
; %bb.1009:
	s_or_b64 exec, exec, s[10:11]
                                        ; implicit-def: $vgpr6
.LBB305_1010:
	s_andn2_saveexec_b64 s[8:9], s[8:9]
; %bb.1011:
	s_mov_b32 s10, 0x7f800000
	v_mov_b32_e32 v1, 0x7e
	v_mov_b32_e32 v7, 0x7f
	v_cmp_lt_u32_e32 vcc, s10, v6
	s_nop 1
	v_cndmask_b32_e32 v1, v1, v7, vcc
; %bb.1012:
	s_or_b64 exec, exec, s[8:9]
	v_lshrrev_b32_e32 v0, 24, v0
	s_movk_i32 s8, 0x80
	v_and_or_b32 v0, v0, s8, v1
	global_store_byte v[4:5], v0, off
.LBB305_1013:
	s_mov_b64 s[8:9], 0
.LBB305_1014:
	s_andn2_b64 vcc, exec, s[8:9]
	s_cbranch_vccnz .LBB305_1024
; %bb.1015:
	v_xor_b32_e32 v1, v2, v3
	v_ffbh_i32_e32 v0, v3
	v_ashrrev_i32_e32 v1, 31, v1
	v_add_u32_e32 v0, -1, v0
	v_add_u32_e32 v1, 32, v1
	v_min_u32_e32 v6, v0, v1
	v_lshlrev_b64 v[0:1], v6, v[2:3]
	v_min_u32_e32 v0, 1, v0
	v_or_b32_e32 v0, v1, v0
	v_cvt_f32_i32_e32 v0, v0
	v_sub_u32_e32 v1, 32, v6
	s_mov_b32 s8, 0x47800000
	v_ldexp_f32 v0, v0, v1
	v_and_b32_e32 v6, 0x7fffffff, v0
	v_cmp_gt_u32_e32 vcc, s8, v6
                                        ; implicit-def: $vgpr1
	s_and_saveexec_b64 s[8:9], vcc
	s_xor_b64 s[8:9], exec, s[8:9]
	s_cbranch_execz .LBB305_1021
; %bb.1016:
	s_mov_b32 s10, 0x387fffff
	v_cmp_lt_u32_e32 vcc, s10, v6
                                        ; implicit-def: $vgpr1
	s_and_saveexec_b64 s[10:11], vcc
	s_xor_b64 s[10:11], exec, s[10:11]
; %bb.1017:
	v_bfe_u32 v1, v0, 21, 1
	s_mov_b32 s14, 0x80fffff
	v_add3_u32 v1, v0, v1, s14
	v_lshrrev_b32_e32 v1, 21, v1
; %bb.1018:
	s_andn2_saveexec_b64 s[10:11], s[10:11]
; %bb.1019:
	s_mov_b32 s14, 0x43000000
	v_add_f32_e64 v1, |v0|, s14
; %bb.1020:
	s_or_b64 exec, exec, s[10:11]
                                        ; implicit-def: $vgpr6
.LBB305_1021:
	s_andn2_saveexec_b64 s[8:9], s[8:9]
; %bb.1022:
	s_mov_b32 s10, 0x7f800000
	v_mov_b32_e32 v1, 0x7c
	v_mov_b32_e32 v7, 0x7f
	v_cmp_lt_u32_e32 vcc, s10, v6
	s_nop 1
	v_cndmask_b32_e32 v1, v1, v7, vcc
; %bb.1023:
	s_or_b64 exec, exec, s[8:9]
	v_lshrrev_b32_e32 v0, 24, v0
	s_movk_i32 s8, 0x80
	v_and_or_b32 v0, v0, s8, v1
	global_store_byte v[4:5], v0, off
.LBB305_1024:
	s_mov_b64 s[8:9], 0
.LBB305_1025:
	s_andn2_b64 vcc, exec, s[8:9]
	s_mov_b64 s[8:9], 0
	s_cbranch_vccnz .LBB305_1033
; %bb.1026:
	s_cmp_gt_i32 s16, 14
	s_mov_b64 s[10:11], -1
	s_cbranch_scc0 .LBB305_1030
; %bb.1027:
	s_cmp_eq_u32 s16, 15
	s_mov_b64 s[2:3], -1
	s_cbranch_scc0 .LBB305_1029
; %bb.1028:
	v_xor_b32_e32 v1, v2, v3
	v_ffbh_i32_e32 v0, v3
	v_ashrrev_i32_e32 v1, 31, v1
	v_add_u32_e32 v0, -1, v0
	v_add_u32_e32 v1, 32, v1
	v_min_u32_e32 v6, v0, v1
	v_lshlrev_b64 v[0:1], v6, v[2:3]
	v_min_u32_e32 v0, 1, v0
	v_or_b32_e32 v0, v1, v0
	v_cvt_f32_i32_e32 v0, v0
	v_sub_u32_e32 v1, 32, v6
	s_movk_i32 s2, 0x7fff
	v_ldexp_f32 v0, v0, v1
	v_bfe_u32 v1, v0, 16, 1
	v_add3_u32 v0, v0, v1, s2
	global_store_short_d16_hi v[4:5], v0, off
	s_mov_b64 s[2:3], 0
.LBB305_1029:
	s_mov_b64 s[10:11], 0
.LBB305_1030:
	s_and_b64 vcc, exec, s[10:11]
	s_cbranch_vccz .LBB305_1033
; %bb.1031:
	s_cmp_lg_u32 s16, 11
	s_cselect_b64 s[10:11], -1, 0
	s_andn2_b64 s[2:3], s[2:3], exec
	s_and_b64 s[10:11], s[10:11], exec
	s_mov_b64 s[8:9], -1
	s_or_b64 s[2:3], s[2:3], s[10:11]
	s_branch .LBB305_1033
.LBB305_1032:
	s_mov_b64 s[8:9], 0
.LBB305_1033:
	s_and_b64 s[14:15], s[4:5], exec
	s_andn2_b64 s[4:5], s[58:59], exec
	s_and_b64 s[2:3], s[2:3], exec
	s_and_b64 s[16:17], s[8:9], exec
	s_or_b64 s[58:59], s[4:5], s[2:3]
	s_or_b64 exec, exec, s[12:13]
	s_and_saveexec_b64 s[2:3], s[58:59]
	s_cbranch_execz .LBB305_962
.LBB305_1034:
	s_or_b64 s[6:7], s[6:7], exec
	s_andn2_b64 s[16:17], s[16:17], exec
	s_trap 2
	s_or_b64 exec, exec, s[2:3]
	s_and_saveexec_b64 s[2:3], s[16:17]
	s_xor_b64 s[2:3], exec, s[2:3]
	s_cbranch_execnz .LBB305_963
.LBB305_1035:
	s_or_b64 exec, exec, s[2:3]
	s_and_saveexec_b64 s[2:3], s[14:15]
	s_xor_b64 s[2:3], exec, s[2:3]
	s_cbranch_execz .LBB305_1073
.LBB305_1036:
	s_sext_i32_i16 s8, s18
	s_cmp_lt_i32 s8, 5
	s_mov_b64 s[4:5], -1
	s_cbranch_scc1 .LBB305_1057
; %bb.1037:
	s_cmp_lt_i32 s8, 8
	s_cbranch_scc1 .LBB305_1047
; %bb.1038:
	s_cmp_lt_i32 s8, 9
	s_cbranch_scc1 .LBB305_1044
; %bb.1039:
	s_cmp_gt_i32 s8, 9
	s_cbranch_scc0 .LBB305_1041
; %bb.1040:
	v_cvt_f64_i32_e32 v[0:1], v3
	v_ldexp_f64 v[0:1], v[0:1], 32
	s_waitcnt vmcnt(0)
	v_cvt_f64_u32_e32 v[6:7], v2
	v_mov_b32_e32 v8, 0
	v_add_f64 v[6:7], v[0:1], v[6:7]
	v_mov_b32_e32 v9, v8
	s_mov_b64 s[4:5], 0
	global_store_dwordx4 v[4:5], v[6:9], off
.LBB305_1041:
	s_andn2_b64 vcc, exec, s[4:5]
	s_cbranch_vccnz .LBB305_1043
; %bb.1042:
	v_xor_b32_e32 v1, v2, v3
	v_ffbh_i32_e32 v0, v3
	v_ashrrev_i32_e32 v1, 31, v1
	v_add_u32_e32 v0, -1, v0
	v_add_u32_e32 v1, 32, v1
	s_waitcnt vmcnt(0)
	v_min_u32_e32 v6, v0, v1
	v_lshlrev_b64 v[0:1], v6, v[2:3]
	v_min_u32_e32 v0, 1, v0
	v_or_b32_e32 v0, v1, v0
	v_cvt_f32_i32_e32 v0, v0
	v_sub_u32_e32 v1, 32, v6
	v_ldexp_f32 v0, v0, v1
	v_mov_b32_e32 v1, 0
	global_store_dwordx2 v[4:5], v[0:1], off
.LBB305_1043:
	s_mov_b64 s[4:5], 0
.LBB305_1044:
	s_andn2_b64 vcc, exec, s[4:5]
	s_cbranch_vccnz .LBB305_1046
; %bb.1045:
	v_xor_b32_e32 v1, v2, v3
	v_ffbh_i32_e32 v0, v3
	v_ashrrev_i32_e32 v1, 31, v1
	v_add_u32_e32 v0, -1, v0
	v_add_u32_e32 v1, 32, v1
	s_waitcnt vmcnt(0)
	v_min_u32_e32 v6, v0, v1
	v_lshlrev_b64 v[0:1], v6, v[2:3]
	v_min_u32_e32 v0, 1, v0
	v_or_b32_e32 v0, v1, v0
	v_cvt_f32_i32_e32 v0, v0
	v_sub_u32_e32 v1, 32, v6
	v_ldexp_f32 v0, v0, v1
	v_cvt_f16_f32_e32 v0, v0
	global_store_dword v[4:5], v0, off
.LBB305_1046:
	s_mov_b64 s[4:5], 0
.LBB305_1047:
	s_andn2_b64 vcc, exec, s[4:5]
	s_cbranch_vccnz .LBB305_1056
; %bb.1048:
	s_sext_i32_i16 s8, s18
	s_cmp_lt_i32 s8, 6
	s_mov_b64 s[4:5], -1
	s_cbranch_scc1 .LBB305_1054
; %bb.1049:
	s_cmp_gt_i32 s8, 6
	s_cbranch_scc0 .LBB305_1051
; %bb.1050:
	v_cvt_f64_i32_e32 v[0:1], v3
	v_ldexp_f64 v[0:1], v[0:1], 32
	s_waitcnt vmcnt(0)
	v_cvt_f64_u32_e32 v[6:7], v2
	v_add_f64 v[0:1], v[0:1], v[6:7]
	s_mov_b64 s[4:5], 0
	global_store_dwordx2 v[4:5], v[0:1], off
.LBB305_1051:
	s_andn2_b64 vcc, exec, s[4:5]
	s_cbranch_vccnz .LBB305_1053
; %bb.1052:
	v_xor_b32_e32 v1, v2, v3
	v_ffbh_i32_e32 v0, v3
	v_ashrrev_i32_e32 v1, 31, v1
	v_add_u32_e32 v0, -1, v0
	v_add_u32_e32 v1, 32, v1
	s_waitcnt vmcnt(0)
	v_min_u32_e32 v6, v0, v1
	v_lshlrev_b64 v[0:1], v6, v[2:3]
	v_min_u32_e32 v0, 1, v0
	v_or_b32_e32 v0, v1, v0
	v_cvt_f32_i32_e32 v0, v0
	v_sub_u32_e32 v1, 32, v6
	v_ldexp_f32 v0, v0, v1
	global_store_dword v[4:5], v0, off
.LBB305_1053:
	s_mov_b64 s[4:5], 0
.LBB305_1054:
	s_andn2_b64 vcc, exec, s[4:5]
	s_cbranch_vccnz .LBB305_1056
; %bb.1055:
	v_xor_b32_e32 v1, v2, v3
	v_ffbh_i32_e32 v0, v3
	v_ashrrev_i32_e32 v1, 31, v1
	v_add_u32_e32 v0, -1, v0
	v_add_u32_e32 v1, 32, v1
	s_waitcnt vmcnt(0)
	v_min_u32_e32 v6, v0, v1
	v_lshlrev_b64 v[0:1], v6, v[2:3]
	v_min_u32_e32 v0, 1, v0
	v_or_b32_e32 v0, v1, v0
	v_cvt_f32_i32_e32 v0, v0
	v_sub_u32_e32 v1, 32, v6
	v_ldexp_f32 v0, v0, v1
	v_cvt_f16_f32_e32 v0, v0
	global_store_short v[4:5], v0, off
.LBB305_1056:
	s_mov_b64 s[4:5], 0
.LBB305_1057:
	s_andn2_b64 vcc, exec, s[4:5]
	s_cbranch_vccnz .LBB305_1073
; %bb.1058:
	s_sext_i32_i16 s8, s18
	s_cmp_lt_i32 s8, 2
	s_mov_b64 s[4:5], -1
	s_cbranch_scc1 .LBB305_1068
; %bb.1059:
	s_cmp_lt_i32 s8, 3
	s_cbranch_scc1 .LBB305_1065
; %bb.1060:
	s_cmp_gt_i32 s8, 3
	s_cbranch_scc0 .LBB305_1062
; %bb.1061:
	s_mov_b64 s[4:5], 0
	s_waitcnt vmcnt(0)
	global_store_dwordx2 v[4:5], v[2:3], off
.LBB305_1062:
	s_andn2_b64 vcc, exec, s[4:5]
	s_cbranch_vccnz .LBB305_1064
; %bb.1063:
	s_waitcnt vmcnt(0)
	global_store_dword v[4:5], v2, off
.LBB305_1064:
	s_mov_b64 s[4:5], 0
.LBB305_1065:
	s_andn2_b64 vcc, exec, s[4:5]
	s_cbranch_vccnz .LBB305_1067
; %bb.1066:
	s_waitcnt vmcnt(0)
	global_store_short v[4:5], v2, off
.LBB305_1067:
	s_mov_b64 s[4:5], 0
.LBB305_1068:
	s_andn2_b64 vcc, exec, s[4:5]
	s_cbranch_vccnz .LBB305_1073
; %bb.1069:
	s_sext_i32_i16 s4, s18
	s_cmp_gt_i32 s4, 0
	s_mov_b64 s[4:5], -1
	s_cbranch_scc0 .LBB305_1071
; %bb.1070:
	s_mov_b64 s[4:5], 0
	s_waitcnt vmcnt(0)
	global_store_byte v[4:5], v2, off
.LBB305_1071:
	s_andn2_b64 vcc, exec, s[4:5]
	s_cbranch_vccnz .LBB305_1073
; %bb.1072:
	s_waitcnt vmcnt(0)
	global_store_byte v[4:5], v2, off
.LBB305_1073:
	s_or_b64 exec, exec, s[2:3]
	s_and_b64 s[24:25], s[6:7], exec
                                        ; implicit-def: $vgpr16
                                        ; implicit-def: $vgpr12
.LBB305_1074:
	s_or_saveexec_b64 s[26:27], s[48:49]
	s_mov_b64 s[6:7], 0
                                        ; implicit-def: $vgpr0_vgpr1
                                        ; implicit-def: $sgpr18
                                        ; implicit-def: $vgpr2_vgpr3
	s_xor_b64 exec, exec, s[26:27]
	s_cbranch_execz .LBB305_2061
; %bb.1075:
	v_cndmask_b32_e64 v0, 0, 1, s[46:47]
	v_cmp_ne_u32_e64 s[2:3], 1, v0
	s_andn2_b64 vcc, exec, s[46:47]
	s_cbranch_vccnz .LBB305_1081
; %bb.1076:
	s_cmp_lg_u32 s33, 0
	s_mov_b32 s36, 0
	s_cbranch_scc0 .LBB305_1082
; %bb.1077:
	s_min_u32 s37, s76, 15
	s_add_i32 s37, s37, 1
	s_cmp_eq_u32 s76, 2
	s_cbranch_scc1 .LBB305_1083
; %bb.1078:
	s_and_b32 s36, s37, 28
	s_add_u32 s28, s34, 0xc4
	s_addc_u32 s29, s35, 0
	s_mov_b32 s38, 0
	s_waitcnt vmcnt(0)
	v_mov_b32_e32 v6, 0
	v_mov_b32_e32 v8, 0
	s_mov_b64 s[30:31], s[34:35]
	v_mov_b32_e32 v0, v12
.LBB305_1079:                           ; =>This Inner Loop Header: Depth=1
	s_load_dwordx8 s[12:19], s[30:31], 0x4
	s_load_dwordx4 s[20:23], s[30:31], 0x24
	s_load_dwordx8 s[4:11], s[28:29], 0x0
	s_add_u32 s30, s30, 48
	s_addc_u32 s31, s31, 0
	s_waitcnt lgkmcnt(0)
	v_mul_hi_u32 v1, s13, v0
	v_add_u32_e32 v1, v0, v1
	v_lshrrev_b32_e32 v1, s14, v1
	v_mul_lo_u32 v2, v1, s12
	v_mul_hi_u32 v3, s16, v1
	v_sub_u32_e32 v0, v0, v2
	v_add_u32_e32 v2, v1, v3
	v_lshrrev_b32_e32 v2, s17, v2
	v_mul_lo_u32 v4, v2, s15
	v_mul_hi_u32 v5, s19, v2
	v_sub_u32_e32 v1, v1, v4
	v_add_u32_e32 v4, v2, v5
	v_mul_lo_u32 v3, v0, s5
	v_mul_lo_u32 v0, v0, s4
	;; [unrolled: 1-line block ×4, first 2 shown]
	v_lshrrev_b32_e32 v4, s20, v4
	v_add3_u32 v1, v0, v6, v1
	v_add3_u32 v3, v3, v8, v5
	v_mul_lo_u32 v0, v4, s18
	v_mul_hi_u32 v5, s22, v4
	v_sub_u32_e32 v0, v2, v0
	v_add_u32_e32 v2, v4, v5
	v_mul_lo_u32 v5, v0, s8
	v_mul_lo_u32 v6, v0, s9
	v_lshrrev_b32_e32 v0, s23, v2
	s_add_i32 s38, s38, 4
	v_mul_lo_u32 v2, v0, s21
	s_add_u32 s28, s28, 32
	v_sub_u32_e32 v2, v4, v2
	s_addc_u32 s29, s29, 0
	v_mul_lo_u32 v4, v2, s10
	v_mul_lo_u32 v2, v2, s11
	s_cmp_lg_u32 s36, s38
	v_add3_u32 v8, v6, v3, v2
	v_add3_u32 v6, v5, v1, v4
	s_cbranch_scc1 .LBB305_1079
; %bb.1080:
	v_mov_b32_e32 v1, v8
	s_and_b32 s8, s37, 3
	s_cmp_eq_u32 s8, 0
	s_cbranch_scc0 .LBB305_1084
	s_branch .LBB305_1086
.LBB305_1081:
                                        ; implicit-def: $vgpr8
                                        ; implicit-def: $vgpr6
	s_branch .LBB305_1087
.LBB305_1082:
	v_mov_b32_e32 v8, 0
	s_waitcnt vmcnt(0)
	v_mov_b32_e32 v6, 0
	s_branch .LBB305_1086
.LBB305_1083:
	s_waitcnt vmcnt(0)
	v_mov_b32_e32 v6, 0
                                        ; implicit-def: $vgpr8
	v_mov_b32_e32 v1, v6
	v_mov_b32_e32 v0, v12
	s_and_b32 s8, s37, 3
	s_cmp_eq_u32 s8, 0
	s_cbranch_scc1 .LBB305_1086
.LBB305_1084:
	s_lshl_b32 s4, s36, 3
	s_add_u32 s4, s34, s4
	s_addc_u32 s5, s35, 0
	s_add_u32 s4, s4, 0xc4
	s_addc_u32 s5, s5, 0
	s_mul_i32 s6, s36, 12
	s_add_u32 s6, s34, s6
	s_addc_u32 s7, s35, 0
.LBB305_1085:                           ; =>This Inner Loop Header: Depth=1
	s_load_dwordx2 s[10:11], s[6:7], 0x4
	s_load_dword s9, s[6:7], 0xc
	s_load_dwordx2 s[12:13], s[4:5], 0x0
	v_mov_b32_e32 v2, v1
	s_add_u32 s6, s6, 12
	s_waitcnt lgkmcnt(0)
	v_mul_hi_u32 v1, s11, v0
	v_add_u32_e32 v1, v0, v1
	v_lshrrev_b32_e32 v1, s9, v1
	s_addc_u32 s7, s7, 0
	v_mul_lo_u32 v3, v1, s10
	s_add_u32 s4, s4, 8
	v_sub_u32_e32 v3, v0, v3
	s_addc_u32 s5, s5, 0
	s_add_i32 s8, s8, -1
	v_mad_u64_u32 v[8:9], s[10:11], v3, s13, v[2:3]
	s_cmp_lg_u32 s8, 0
	v_mov_b32_e32 v0, v1
	v_mad_u64_u32 v[6:7], s[10:11], v3, s12, v[6:7]
	v_mov_b32_e32 v1, v8
	s_cbranch_scc1 .LBB305_1085
.LBB305_1086:
	s_cbranch_execnz .LBB305_1089
.LBB305_1087:
	s_load_dwordx4 s[4:7], s[34:35], 0x4
	s_load_dwordx2 s[8:9], s[34:35], 0xc4
	s_cmp_lt_u32 s33, 2
	s_waitcnt lgkmcnt(0)
	v_mul_hi_u32 v0, s5, v12
	v_add_u32_e32 v0, v12, v0
	v_lshrrev_b32_e32 v0, s6, v0
	v_mul_lo_u32 v1, v0, s4
	v_sub_u32_e32 v1, v12, v1
	v_mul_lo_u32 v8, v1, s9
	s_waitcnt vmcnt(0)
	v_mul_lo_u32 v6, v1, s8
	s_cbranch_scc1 .LBB305_1089
; %bb.1088:
	s_load_dwordx4 s[4:7], s[34:35], 0x10
	s_load_dwordx2 s[8:9], s[34:35], 0xcc
	s_waitcnt lgkmcnt(0)
	v_mul_hi_u32 v1, s5, v0
	v_add_u32_e32 v1, v0, v1
	v_lshrrev_b32_e32 v1, s6, v1
	v_mul_lo_u32 v1, v1, s4
	v_sub_u32_e32 v0, v0, v1
	v_mad_u64_u32 v[6:7], s[4:5], v0, s8, v[6:7]
	v_mad_u64_u32 v[8:9], s[4:5], v0, s9, v[8:9]
.LBB305_1089:
	s_and_b64 vcc, exec, s[2:3]
	v_add_u32_e32 v0, 0x80, v12
	s_cbranch_vccnz .LBB305_1095
; %bb.1090:
	s_cmp_lg_u32 s33, 0
	s_mov_b32 s36, 0
	s_cbranch_scc0 .LBB305_1096
; %bb.1091:
	s_min_u32 s37, s76, 15
	s_add_i32 s37, s37, 1
	s_cmp_eq_u32 s76, 2
	s_cbranch_scc1 .LBB305_1097
; %bb.1092:
	s_and_b32 s36, s37, 28
	s_add_u32 s28, s34, 0xc4
	s_addc_u32 s29, s35, 0
	s_mov_b32 s38, 0
	s_waitcnt vmcnt(0)
	v_mov_b32_e32 v4, 0
	v_mov_b32_e32 v10, 0
	s_mov_b64 s[30:31], s[34:35]
	v_mov_b32_e32 v2, v0
.LBB305_1093:                           ; =>This Inner Loop Header: Depth=1
	s_load_dwordx8 s[12:19], s[30:31], 0x4
	s_load_dwordx4 s[20:23], s[30:31], 0x24
	s_load_dwordx8 s[4:11], s[28:29], 0x0
	s_add_u32 s30, s30, 48
	s_addc_u32 s31, s31, 0
	s_waitcnt lgkmcnt(0)
	v_mul_hi_u32 v1, s13, v2
	v_add_u32_e32 v1, v2, v1
	v_lshrrev_b32_e32 v1, s14, v1
	v_mul_lo_u32 v3, v1, s12
	v_mul_hi_u32 v5, s16, v1
	v_sub_u32_e32 v2, v2, v3
	v_add_u32_e32 v3, v1, v5
	v_lshrrev_b32_e32 v3, s17, v3
	v_mul_lo_u32 v7, v3, s15
	v_mul_hi_u32 v9, s19, v3
	v_sub_u32_e32 v1, v1, v7
	v_add_u32_e32 v7, v3, v9
	v_mul_lo_u32 v5, v2, s5
	v_mul_lo_u32 v2, v2, s4
	;; [unrolled: 1-line block ×4, first 2 shown]
	v_lshrrev_b32_e32 v7, s20, v7
	v_add3_u32 v1, v2, v4, v1
	v_add3_u32 v4, v5, v10, v9
	v_mul_lo_u32 v2, v7, s18
	v_mul_hi_u32 v5, s22, v7
	v_sub_u32_e32 v2, v3, v2
	v_add_u32_e32 v3, v7, v5
	v_mul_lo_u32 v5, v2, s8
	v_mul_lo_u32 v9, v2, s9
	v_lshrrev_b32_e32 v2, s23, v3
	s_add_i32 s38, s38, 4
	v_mul_lo_u32 v3, v2, s21
	s_add_u32 s28, s28, 32
	v_sub_u32_e32 v3, v7, v3
	s_addc_u32 s29, s29, 0
	v_mul_lo_u32 v7, v3, s10
	v_mul_lo_u32 v3, v3, s11
	s_cmp_lg_u32 s36, s38
	v_add3_u32 v10, v9, v4, v3
	v_add3_u32 v4, v5, v1, v7
	s_cbranch_scc1 .LBB305_1093
; %bb.1094:
	v_mov_b32_e32 v1, v10
	s_and_b32 s8, s37, 3
	s_cmp_eq_u32 s8, 0
	s_cbranch_scc0 .LBB305_1098
	s_branch .LBB305_1100
.LBB305_1095:
                                        ; implicit-def: $vgpr10
                                        ; implicit-def: $vgpr4
	s_branch .LBB305_1101
.LBB305_1096:
	v_mov_b32_e32 v10, 0
	s_waitcnt vmcnt(0)
	v_mov_b32_e32 v4, 0
	s_branch .LBB305_1100
.LBB305_1097:
	s_waitcnt vmcnt(0)
	v_mov_b32_e32 v4, 0
                                        ; implicit-def: $vgpr10
	v_mov_b32_e32 v1, v4
	v_mov_b32_e32 v2, v0
	s_and_b32 s8, s37, 3
	s_cmp_eq_u32 s8, 0
	s_cbranch_scc1 .LBB305_1100
.LBB305_1098:
	s_lshl_b32 s4, s36, 3
	s_add_u32 s4, s34, s4
	s_addc_u32 s5, s35, 0
	s_add_u32 s4, s4, 0xc4
	s_addc_u32 s5, s5, 0
	s_mul_i32 s6, s36, 12
	s_add_u32 s6, s34, s6
	s_addc_u32 s7, s35, 0
.LBB305_1099:                           ; =>This Inner Loop Header: Depth=1
	s_load_dwordx2 s[10:11], s[6:7], 0x4
	s_load_dword s9, s[6:7], 0xc
	s_load_dwordx2 s[12:13], s[4:5], 0x0
	v_mov_b32_e32 v10, v1
	s_add_u32 s6, s6, 12
	s_waitcnt lgkmcnt(0)
	v_mul_hi_u32 v1, s11, v2
	v_add_u32_e32 v1, v2, v1
	v_lshrrev_b32_e32 v1, s9, v1
	s_addc_u32 s7, s7, 0
	v_mul_lo_u32 v3, v1, s10
	s_add_u32 s4, s4, 8
	v_sub_u32_e32 v3, v2, v3
	s_addc_u32 s5, s5, 0
	s_add_i32 s8, s8, -1
	v_mad_u64_u32 v[10:11], s[10:11], v3, s13, v[10:11]
	s_cmp_lg_u32 s8, 0
	v_mov_b32_e32 v2, v1
	v_mad_u64_u32 v[4:5], s[10:11], v3, s12, v[4:5]
	v_mov_b32_e32 v1, v10
	s_cbranch_scc1 .LBB305_1099
.LBB305_1100:
	s_cbranch_execnz .LBB305_1103
.LBB305_1101:
	s_load_dwordx4 s[4:7], s[34:35], 0x4
	s_load_dwordx2 s[8:9], s[34:35], 0xc4
	s_cmp_lt_u32 s33, 2
	s_waitcnt lgkmcnt(0)
	v_mul_hi_u32 v1, s5, v0
	v_add_u32_e32 v1, v0, v1
	v_lshrrev_b32_e32 v1, s6, v1
	v_mul_lo_u32 v2, v1, s4
	v_sub_u32_e32 v0, v0, v2
	v_mul_lo_u32 v10, v0, s9
	s_waitcnt vmcnt(0)
	v_mul_lo_u32 v4, v0, s8
	s_cbranch_scc1 .LBB305_1103
; %bb.1102:
	s_load_dwordx4 s[4:7], s[34:35], 0x10
	s_load_dwordx2 s[8:9], s[34:35], 0xcc
	s_waitcnt lgkmcnt(0)
	v_mul_hi_u32 v0, s5, v1
	v_add_u32_e32 v0, v1, v0
	v_lshrrev_b32_e32 v0, s6, v0
	v_mul_lo_u32 v0, v0, s4
	v_sub_u32_e32 v0, v1, v0
	v_mad_u64_u32 v[4:5], s[4:5], v0, s8, v[4:5]
	v_mad_u64_u32 v[10:11], s[4:5], v0, s9, v[10:11]
.LBB305_1103:
	s_and_b64 vcc, exec, s[2:3]
	v_add_u32_e32 v0, 0x100, v12
	s_cbranch_vccnz .LBB305_1109
; %bb.1104:
	s_cmp_lg_u32 s33, 0
	s_mov_b32 s36, 0
	s_cbranch_scc0 .LBB305_1110
; %bb.1105:
	s_min_u32 s37, s76, 15
	s_add_i32 s37, s37, 1
	s_cmp_eq_u32 s76, 2
	s_cbranch_scc1 .LBB305_1111
; %bb.1106:
	s_and_b32 s36, s37, 28
	s_add_u32 s28, s34, 0xc4
	s_addc_u32 s29, s35, 0
	s_mov_b32 s38, 0
	v_mov_b32_e32 v2, 0
	v_mov_b32_e32 v12, 0
	s_mov_b64 s[30:31], s[34:35]
	s_waitcnt vmcnt(0)
	v_mov_b32_e32 v5, v0
.LBB305_1107:                           ; =>This Inner Loop Header: Depth=1
	s_load_dwordx8 s[12:19], s[30:31], 0x4
	s_load_dwordx4 s[20:23], s[30:31], 0x24
	s_load_dwordx8 s[4:11], s[28:29], 0x0
	s_add_u32 s30, s30, 48
	s_addc_u32 s31, s31, 0
	s_waitcnt lgkmcnt(0)
	v_mul_hi_u32 v1, s13, v5
	v_add_u32_e32 v1, v5, v1
	v_lshrrev_b32_e32 v1, s14, v1
	v_mul_lo_u32 v3, v1, s12
	v_mul_hi_u32 v7, s16, v1
	v_sub_u32_e32 v3, v5, v3
	v_add_u32_e32 v5, v1, v7
	v_lshrrev_b32_e32 v5, s17, v5
	v_mul_lo_u32 v9, v5, s15
	v_mul_hi_u32 v11, s19, v5
	v_sub_u32_e32 v1, v1, v9
	v_add_u32_e32 v9, v5, v11
	v_mul_lo_u32 v7, v3, s5
	v_mul_lo_u32 v3, v3, s4
	;; [unrolled: 1-line block ×4, first 2 shown]
	v_lshrrev_b32_e32 v9, s20, v9
	v_add3_u32 v1, v3, v2, v1
	v_add3_u32 v2, v7, v12, v11
	v_mul_lo_u32 v3, v9, s18
	v_mul_hi_u32 v7, s22, v9
	v_sub_u32_e32 v3, v5, v3
	v_add_u32_e32 v5, v9, v7
	v_lshrrev_b32_e32 v5, s23, v5
	s_add_i32 s38, s38, 4
	v_mul_lo_u32 v11, v5, s21
	s_add_u32 s28, s28, 32
	v_sub_u32_e32 v9, v9, v11
	s_addc_u32 s29, s29, 0
	v_mul_lo_u32 v7, v3, s8
	v_mul_lo_u32 v3, v3, s9
	;; [unrolled: 1-line block ×4, first 2 shown]
	s_cmp_lg_u32 s36, s38
	v_add3_u32 v12, v3, v2, v9
	v_add3_u32 v2, v7, v1, v11
	s_cbranch_scc1 .LBB305_1107
; %bb.1108:
	v_mov_b32_e32 v1, v12
	s_and_b32 s8, s37, 3
	s_cmp_eq_u32 s8, 0
	s_cbranch_scc0 .LBB305_1112
	s_branch .LBB305_1114
.LBB305_1109:
                                        ; implicit-def: $vgpr12
                                        ; implicit-def: $vgpr2
	s_branch .LBB305_1115
.LBB305_1110:
	v_mov_b32_e32 v12, 0
	v_mov_b32_e32 v2, 0
	s_branch .LBB305_1114
.LBB305_1111:
	v_mov_b32_e32 v2, 0
                                        ; implicit-def: $vgpr12
	v_mov_b32_e32 v1, v2
	s_waitcnt vmcnt(0)
	v_mov_b32_e32 v5, v0
	s_and_b32 s8, s37, 3
	s_cmp_eq_u32 s8, 0
	s_cbranch_scc1 .LBB305_1114
.LBB305_1112:
	s_lshl_b32 s4, s36, 3
	s_add_u32 s4, s34, s4
	s_addc_u32 s5, s35, 0
	s_add_u32 s4, s4, 0xc4
	s_addc_u32 s5, s5, 0
	s_mul_i32 s6, s36, 12
	s_add_u32 s6, s34, s6
	s_addc_u32 s7, s35, 0
.LBB305_1113:                           ; =>This Inner Loop Header: Depth=1
	s_load_dwordx2 s[10:11], s[6:7], 0x4
	s_load_dword s9, s[6:7], 0xc
	s_load_dwordx2 s[12:13], s[4:5], 0x0
	v_mov_b32_e32 v12, v1
	s_add_u32 s6, s6, 12
	s_waitcnt lgkmcnt(0)
	v_mul_hi_u32 v1, s11, v5
	v_add_u32_e32 v1, v5, v1
	v_lshrrev_b32_e32 v1, s9, v1
	s_addc_u32 s7, s7, 0
	v_mul_lo_u32 v3, v1, s10
	s_add_u32 s4, s4, 8
	v_sub_u32_e32 v3, v5, v3
	s_addc_u32 s5, s5, 0
	s_add_i32 s8, s8, -1
	v_mad_u64_u32 v[12:13], s[10:11], v3, s13, v[12:13]
	s_cmp_lg_u32 s8, 0
	v_mov_b32_e32 v5, v1
	v_mad_u64_u32 v[2:3], s[10:11], v3, s12, v[2:3]
	v_mov_b32_e32 v1, v12
	s_cbranch_scc1 .LBB305_1113
.LBB305_1114:
	s_cbranch_execnz .LBB305_1117
.LBB305_1115:
	s_load_dwordx4 s[4:7], s[34:35], 0x4
	s_load_dwordx2 s[8:9], s[34:35], 0xc4
	s_cmp_lt_u32 s33, 2
	s_waitcnt lgkmcnt(0)
	v_mul_hi_u32 v1, s5, v0
	v_add_u32_e32 v1, v0, v1
	v_lshrrev_b32_e32 v1, s6, v1
	v_mul_lo_u32 v2, v1, s4
	v_sub_u32_e32 v0, v0, v2
	v_mul_lo_u32 v12, v0, s9
	v_mul_lo_u32 v2, v0, s8
	s_cbranch_scc1 .LBB305_1117
; %bb.1116:
	s_load_dwordx4 s[4:7], s[34:35], 0x10
	s_load_dwordx2 s[8:9], s[34:35], 0xcc
	s_waitcnt lgkmcnt(0)
	v_mul_hi_u32 v0, s5, v1
	v_add_u32_e32 v0, v1, v0
	v_lshrrev_b32_e32 v0, s6, v0
	v_mul_lo_u32 v0, v0, s4
	v_sub_u32_e32 v0, v1, v0
	v_mad_u64_u32 v[2:3], s[4:5], v0, s8, v[2:3]
	v_mad_u64_u32 v[12:13], s[4:5], v0, s9, v[12:13]
.LBB305_1117:
	s_and_b64 vcc, exec, s[2:3]
	s_cbranch_vccnz .LBB305_1123
; %bb.1118:
	s_cmp_lg_u32 s33, 0
	s_mov_b32 s30, 0
	s_cbranch_scc0 .LBB305_1124
; %bb.1119:
	s_min_u32 s31, s76, 15
	s_add_i32 s31, s31, 1
	s_cmp_eq_u32 s76, 2
	s_cbranch_scc1 .LBB305_1125
; %bb.1120:
	s_and_b32 s30, s31, 28
	s_add_u32 s2, s34, 0xc4
	s_addc_u32 s3, s35, 0
	s_mov_b32 s36, 0
	v_mov_b32_e32 v0, 0
	v_mov_b32_e32 v14, 0
	s_mov_b64 s[28:29], s[34:35]
	v_mov_b32_e32 v3, v16
.LBB305_1121:                           ; =>This Inner Loop Header: Depth=1
	s_load_dwordx8 s[12:19], s[28:29], 0x4
	s_load_dwordx4 s[20:23], s[28:29], 0x24
	s_load_dwordx8 s[4:11], s[2:3], 0x0
	s_add_u32 s28, s28, 48
	s_addc_u32 s29, s29, 0
	s_waitcnt lgkmcnt(0)
	v_mul_hi_u32 v1, s13, v3
	v_add_u32_e32 v1, v3, v1
	v_lshrrev_b32_e32 v1, s14, v1
	s_waitcnt vmcnt(0)
	v_mul_lo_u32 v5, v1, s12
	v_mul_hi_u32 v7, s16, v1
	v_sub_u32_e32 v3, v3, v5
	v_add_u32_e32 v5, v1, v7
	v_lshrrev_b32_e32 v5, s17, v5
	v_mul_lo_u32 v9, v5, s15
	v_mul_hi_u32 v11, s19, v5
	v_sub_u32_e32 v1, v1, v9
	v_add_u32_e32 v9, v5, v11
	v_mul_lo_u32 v7, v3, s5
	v_mul_lo_u32 v3, v3, s4
	;; [unrolled: 1-line block ×4, first 2 shown]
	v_lshrrev_b32_e32 v9, s20, v9
	v_add3_u32 v0, v3, v0, v1
	v_add3_u32 v1, v7, v14, v11
	v_mul_lo_u32 v3, v9, s18
	v_mul_hi_u32 v7, s22, v9
	v_sub_u32_e32 v3, v5, v3
	v_add_u32_e32 v5, v9, v7
	v_mul_lo_u32 v7, v3, s8
	v_mul_lo_u32 v11, v3, s9
	v_lshrrev_b32_e32 v3, s23, v5
	s_add_i32 s36, s36, 4
	v_mul_lo_u32 v5, v3, s21
	s_add_u32 s2, s2, 32
	v_sub_u32_e32 v5, v9, v5
	s_addc_u32 s3, s3, 0
	v_mul_lo_u32 v9, v5, s10
	v_mul_lo_u32 v5, v5, s11
	s_cmp_lg_u32 s30, s36
	v_add3_u32 v14, v11, v1, v5
	v_add3_u32 v0, v7, v0, v9
	s_cbranch_scc1 .LBB305_1121
; %bb.1122:
	v_mov_b32_e32 v1, v14
	s_and_b32 s6, s31, 3
	s_cmp_eq_u32 s6, 0
	s_cbranch_scc0 .LBB305_1126
	s_branch .LBB305_1128
.LBB305_1123:
                                        ; implicit-def: $vgpr14
                                        ; implicit-def: $vgpr0
	s_branch .LBB305_1129
.LBB305_1124:
	v_mov_b32_e32 v14, 0
	v_mov_b32_e32 v0, 0
	s_branch .LBB305_1128
.LBB305_1125:
	v_mov_b32_e32 v0, 0
                                        ; implicit-def: $vgpr14
	v_mov_b32_e32 v1, v0
	v_mov_b32_e32 v3, v16
	s_and_b32 s6, s31, 3
	s_cmp_eq_u32 s6, 0
	s_cbranch_scc1 .LBB305_1128
.LBB305_1126:
	s_lshl_b32 s2, s30, 3
	s_add_u32 s2, s34, s2
	s_addc_u32 s3, s35, 0
	s_add_u32 s2, s2, 0xc4
	s_addc_u32 s3, s3, 0
	s_mul_i32 s4, s30, 12
	s_add_u32 s4, s34, s4
	s_addc_u32 s5, s35, 0
.LBB305_1127:                           ; =>This Inner Loop Header: Depth=1
	s_load_dwordx2 s[8:9], s[4:5], 0x4
	s_load_dword s7, s[4:5], 0xc
	s_load_dwordx2 s[10:11], s[2:3], 0x0
	v_mov_b32_e32 v14, v1
	s_add_u32 s4, s4, 12
	s_waitcnt lgkmcnt(0)
	v_mul_hi_u32 v1, s9, v3
	v_add_u32_e32 v1, v3, v1
	v_lshrrev_b32_e32 v1, s7, v1
	s_addc_u32 s5, s5, 0
	s_waitcnt vmcnt(0)
	v_mul_lo_u32 v5, v1, s8
	s_add_u32 s2, s2, 8
	v_sub_u32_e32 v5, v3, v5
	s_addc_u32 s3, s3, 0
	s_add_i32 s6, s6, -1
	v_mov_b32_e32 v3, v1
	v_mad_u64_u32 v[14:15], s[8:9], v5, s11, v[14:15]
	v_mad_u64_u32 v[0:1], s[8:9], v5, s10, v[0:1]
	s_cmp_lg_u32 s6, 0
	v_mov_b32_e32 v1, v14
	s_cbranch_scc1 .LBB305_1127
.LBB305_1128:
	s_cbranch_execnz .LBB305_1131
.LBB305_1129:
	s_load_dwordx4 s[4:7], s[34:35], 0x4
	s_load_dwordx2 s[2:3], s[34:35], 0xc4
	s_cmp_lt_u32 s33, 2
	s_waitcnt lgkmcnt(0)
	v_mul_hi_u32 v0, s5, v16
	v_add_u32_e32 v0, v16, v0
	v_lshrrev_b32_e32 v1, s6, v0
	v_mul_lo_u32 v0, v1, s4
	v_sub_u32_e32 v0, v16, v0
	v_mul_lo_u32 v14, v0, s3
	v_mul_lo_u32 v0, v0, s2
	s_cbranch_scc1 .LBB305_1131
; %bb.1130:
	s_load_dwordx4 s[4:7], s[34:35], 0x10
	s_load_dwordx2 s[2:3], s[34:35], 0xcc
	s_waitcnt lgkmcnt(0)
	v_mul_hi_u32 v3, s5, v1
	v_add_u32_e32 v3, v1, v3
	v_lshrrev_b32_e32 v3, s6, v3
	v_mul_lo_u32 v3, v3, s4
	v_sub_u32_e32 v3, v1, v3
	v_mad_u64_u32 v[0:1], s[4:5], v3, s2, v[0:1]
	v_mad_u64_u32 v[14:15], s[2:3], v3, s3, v[14:15]
.LBB305_1131:
	s_load_dword s16, s[0:1], 0x170
	s_load_dwordx8 s[4:11], s[34:35], 0x148
	v_mov_b32_e32 v9, 0
	s_waitcnt lgkmcnt(0)
	s_bfe_u32 s17, s16, 0x80008
	s_cmp_lt_i32 s17, 11
	v_lshl_add_u64 v[16:17], s[6:7], 0, v[8:9]
	s_cbranch_scc1 .LBB305_1138
; %bb.1132:
	s_and_b32 s18, 0xffff, s17
	s_cmp_gt_i32 s18, 25
	s_mov_b64 s[12:13], 0
	s_cbranch_scc0 .LBB305_1140
; %bb.1133:
	s_cmp_gt_i32 s18, 28
	s_cbranch_scc0 .LBB305_1141
; %bb.1134:
	s_cmp_gt_i32 s18, 43
	;; [unrolled: 3-line block ×3, first 2 shown]
	s_cbranch_scc0 .LBB305_1143
; %bb.1136:
	s_cmp_eq_u32 s18, 46
	s_mov_b64 s[2:3], 0
	s_cbranch_scc0 .LBB305_1146
; %bb.1137:
	global_load_dword v1, v[16:17], off
	s_mov_b32 s0, 0x2f800000
	s_mov_b32 s1, 0xcf800000
	s_mov_b64 s[14:15], -1
	s_waitcnt vmcnt(0)
	v_lshlrev_b32_e32 v1, 16, v1
	v_trunc_f32_e32 v1, v1
	v_mul_f32_e64 v3, |v1|, s0
	v_floor_f32_e32 v3, v3
	v_fma_f32 v5, v3, s1, |v1|
	v_cvt_u32_f32_e32 v5, v5
	v_cvt_u32_f32_e32 v3, v3
	v_ashrrev_i32_e32 v1, 31, v1
	s_mov_b64 s[0:1], 0
	v_xor_b32_e32 v5, v5, v1
	v_xor_b32_e32 v3, v3, v1
	v_sub_co_u32_e32 v8, vcc, v5, v1
	s_nop 1
	v_subb_co_u32_e32 v9, vcc, v3, v1, vcc
	s_branch .LBB305_1147
.LBB305_1138:
	s_mov_b64 s[14:15], 0
                                        ; implicit-def: $vgpr8_vgpr9
	s_mov_b64 s[2:3], s[24:25]
	s_cbranch_execnz .LBB305_1205
.LBB305_1139:
	s_andn2_b64 vcc, exec, s[14:15]
	s_cbranch_vccz .LBB305_1250
	s_branch .LBB305_2059
.LBB305_1140:
	s_mov_b64 s[14:15], 0
	s_mov_b64 s[0:1], 0
                                        ; implicit-def: $vgpr8_vgpr9
	s_cbranch_execnz .LBB305_1172
	s_branch .LBB305_1201
.LBB305_1141:
	s_mov_b64 s[14:15], 0
	s_mov_b64 s[0:1], 0
                                        ; implicit-def: $vgpr8_vgpr9
	s_cbranch_execz .LBB305_1171
	s_branch .LBB305_1156
.LBB305_1142:
	s_mov_b64 s[14:15], 0
	s_mov_b64 s[0:1], 0
                                        ; implicit-def: $vgpr8_vgpr9
	s_cbranch_execnz .LBB305_1152
	s_branch .LBB305_1155
.LBB305_1143:
	s_mov_b64 s[2:3], -1
	s_mov_b64 s[14:15], 0
	s_mov_b64 s[0:1], 0
                                        ; implicit-def: $vgpr8_vgpr9
	s_branch .LBB305_1147
.LBB305_1144:
	s_andn2_saveexec_b64 s[10:11], s[10:11]
	s_cbranch_execz .LBB305_987
.LBB305_1145:
	s_mov_b32 s14, 0x46000000
	v_add_f32_e64 v1, |v0|, s14
	v_and_b32_e32 v1, 0xff, v1
	v_cmp_ne_u32_e32 vcc, 0, v1
	s_andn2_b64 s[8:9], s[8:9], exec
	s_and_b64 s[14:15], vcc, exec
	s_or_b64 s[8:9], s[8:9], s[14:15]
	s_or_b64 exec, exec, s[10:11]
	v_mov_b32_e32 v6, 0
	s_and_saveexec_b64 s[10:11], s[8:9]
	s_cbranch_execnz .LBB305_988
	s_branch .LBB305_989
.LBB305_1146:
	s_mov_b64 s[0:1], -1
                                        ; implicit-def: $vgpr8_vgpr9
	s_mov_b64 s[14:15], 0
.LBB305_1147:
	s_and_b64 vcc, exec, s[2:3]
	s_cbranch_vccz .LBB305_1150
; %bb.1148:
	s_cmp_eq_u32 s18, 44
	s_cbranch_scc0 .LBB305_1151
; %bb.1149:
	global_load_ubyte v1, v[16:17], off
	s_mov_b32 s0, 0x2f800000
	s_mov_b32 s1, 0xcf800000
	s_mov_b64 s[14:15], -1
	s_waitcnt vmcnt(0)
	v_lshlrev_b32_e32 v3, 23, v1
	v_trunc_f32_e32 v3, v3
	v_mul_f32_e64 v5, |v3|, s0
	v_floor_f32_e32 v5, v5
	v_fma_f32 v7, v5, s1, |v3|
	v_cvt_u32_f32_e32 v7, v7
	v_cvt_u32_f32_e32 v5, v5
	v_ashrrev_i32_e32 v3, 31, v3
	s_mov_b64 s[0:1], 0
	v_xor_b32_e32 v7, v7, v3
	v_xor_b32_e32 v5, v5, v3
	v_sub_co_u32_e32 v7, vcc, v7, v3
	s_nop 1
	v_subb_co_u32_e32 v3, vcc, v5, v3, vcc
	v_cmp_ne_u32_e32 vcc, 0, v1
	s_nop 1
	v_cndmask_b32_e32 v9, 0, v3, vcc
	v_cndmask_b32_e32 v8, 0, v7, vcc
.LBB305_1150:
	s_branch .LBB305_1155
.LBB305_1151:
	s_mov_b64 s[0:1], -1
                                        ; implicit-def: $vgpr8_vgpr9
	s_branch .LBB305_1155
.LBB305_1152:
	s_cmp_eq_u32 s18, 29
	s_cbranch_scc0 .LBB305_1154
; %bb.1153:
	global_load_dwordx2 v[8:9], v[16:17], off
	s_mov_b64 s[0:1], 0
	s_mov_b64 s[14:15], -1
	s_branch .LBB305_1155
.LBB305_1154:
	s_mov_b64 s[0:1], -1
                                        ; implicit-def: $vgpr8_vgpr9
.LBB305_1155:
	s_branch .LBB305_1171
.LBB305_1156:
	s_cmp_lt_i32 s18, 27
	s_cbranch_scc1 .LBB305_1159
; %bb.1157:
	s_cmp_gt_i32 s18, 27
	s_cbranch_scc0 .LBB305_1160
; %bb.1158:
	global_load_dword v8, v[16:17], off
	s_waitcnt vmcnt(1)
	v_mov_b32_e32 v9, 0
	s_mov_b64 s[2:3], 0
	s_branch .LBB305_1161
.LBB305_1159:
	s_mov_b64 s[2:3], -1
                                        ; implicit-def: $vgpr8_vgpr9
	s_branch .LBB305_1164
.LBB305_1160:
	s_mov_b64 s[2:3], -1
                                        ; implicit-def: $vgpr8_vgpr9
.LBB305_1161:
	s_andn2_b64 vcc, exec, s[2:3]
	s_cbranch_vccnz .LBB305_1163
; %bb.1162:
	global_load_ushort v1, v[16:17], off
	s_mov_b32 s2, 0
	s_waitcnt vmcnt(1)
	v_mov_b32_e32 v9, s2
	s_waitcnt vmcnt(0)
	v_and_b32_e32 v8, 0xffff, v1
.LBB305_1163:
	s_mov_b64 s[2:3], 0
.LBB305_1164:
	s_andn2_b64 vcc, exec, s[2:3]
	s_cbranch_vccnz .LBB305_1170
; %bb.1165:
	global_load_ubyte v1, v[16:17], off
	s_movk_i32 s2, 0x7f
	s_mov_b64 s[14:15], 0
	s_waitcnt vmcnt(0)
	v_cmp_lt_i16_e32 vcc, s2, v1
	s_and_saveexec_b64 s[2:3], vcc
	s_xor_b64 s[2:3], exec, s[2:3]
	s_cbranch_execz .LBB305_1181
; %bb.1166:
	s_movk_i32 s14, 0x80
	v_cmp_ne_u16_e32 vcc, s14, v1
	s_and_b64 s[14:15], vcc, exec
	s_andn2_saveexec_b64 s[2:3], s[2:3]
	s_cbranch_execnz .LBB305_1182
.LBB305_1167:
	s_or_b64 exec, exec, s[2:3]
	v_mov_b64_e32 v[8:9], 0
	s_and_saveexec_b64 s[2:3], s[14:15]
	s_cbranch_execz .LBB305_1169
.LBB305_1168:
	v_lshlrev_b32_e32 v3, 24, v1
	v_and_b32_e32 v1, 0xffff, v1
	v_and_b32_e32 v5, 7, v1
	v_ffbh_u32_e32 v8, v5
	v_min_u32_e32 v8, 32, v8
	v_subrev_u32_e32 v9, 28, v8
	v_bfe_u32 v7, v1, 3, 4
	v_lshlrev_b32_e32 v1, v9, v1
	v_sub_u32_e32 v8, 29, v8
	v_and_b32_e32 v1, 7, v1
	v_cmp_eq_u32_e32 vcc, 0, v7
	v_and_b32_e32 v3, 0x80000000, v3
	s_mov_b32 s14, 0x2f800000
	v_cndmask_b32_e32 v7, v7, v8, vcc
	v_cndmask_b32_e32 v1, v5, v1, vcc
	v_mov_b32_e32 v5, 0x3b800000
	v_lshlrev_b32_e32 v1, 20, v1
	v_lshl_add_u32 v5, v7, 23, v5
	v_or3_b32 v1, v3, v5, v1
	v_trunc_f32_e32 v1, v1
	v_mul_f32_e64 v3, |v1|, s14
	v_floor_f32_e32 v3, v3
	s_mov_b32 s14, 0xcf800000
	v_fma_f32 v5, v3, s14, |v1|
	v_cvt_u32_f32_e32 v5, v5
	v_cvt_u32_f32_e32 v3, v3
	v_ashrrev_i32_e32 v1, 31, v1
	v_xor_b32_e32 v5, v5, v1
	v_xor_b32_e32 v3, v3, v1
	v_sub_co_u32_e32 v8, vcc, v5, v1
	s_nop 1
	v_subb_co_u32_e32 v9, vcc, v3, v1, vcc
.LBB305_1169:
	s_or_b64 exec, exec, s[2:3]
.LBB305_1170:
	s_mov_b64 s[14:15], -1
.LBB305_1171:
	s_branch .LBB305_1201
.LBB305_1172:
	s_cmp_gt_i32 s18, 22
	s_cbranch_scc0 .LBB305_1180
; %bb.1173:
	s_cmp_lt_i32 s18, 24
	s_cbranch_scc1 .LBB305_1183
; %bb.1174:
	s_cmp_gt_i32 s18, 24
	s_cbranch_scc0 .LBB305_1184
; %bb.1175:
	global_load_ubyte v1, v[16:17], off
	s_movk_i32 s2, 0x7f
	s_waitcnt vmcnt(0)
	v_cmp_lt_i16_e32 vcc, s2, v1
	s_and_saveexec_b64 s[2:3], vcc
	s_xor_b64 s[2:3], exec, s[2:3]
	s_cbranch_execz .LBB305_1195
; %bb.1176:
	s_movk_i32 s12, 0x80
	v_cmp_ne_u16_e32 vcc, s12, v1
	s_and_b64 s[12:13], vcc, exec
	s_andn2_saveexec_b64 s[2:3], s[2:3]
	s_cbranch_execnz .LBB305_1196
.LBB305_1177:
	s_or_b64 exec, exec, s[2:3]
	v_mov_b64_e32 v[8:9], 0
	s_and_saveexec_b64 s[2:3], s[12:13]
	s_cbranch_execz .LBB305_1179
.LBB305_1178:
	v_lshlrev_b32_e32 v3, 24, v1
	v_and_b32_e32 v1, 0xffff, v1
	v_and_b32_e32 v5, 3, v1
	v_ffbh_u32_e32 v8, v5
	v_min_u32_e32 v8, 32, v8
	v_subrev_u32_e32 v9, 29, v8
	v_bfe_u32 v7, v1, 2, 5
	v_lshlrev_b32_e32 v1, v9, v1
	v_sub_u32_e32 v8, 30, v8
	v_and_b32_e32 v1, 3, v1
	v_cmp_eq_u32_e32 vcc, 0, v7
	v_and_b32_e32 v3, 0x80000000, v3
	s_mov_b32 s12, 0x2f800000
	v_cndmask_b32_e32 v7, v7, v8, vcc
	v_cndmask_b32_e32 v1, v5, v1, vcc
	v_mov_b32_e32 v5, 0x37800000
	v_lshlrev_b32_e32 v1, 21, v1
	v_lshl_add_u32 v5, v7, 23, v5
	v_or3_b32 v1, v3, v5, v1
	v_trunc_f32_e32 v1, v1
	v_mul_f32_e64 v3, |v1|, s12
	v_floor_f32_e32 v3, v3
	s_mov_b32 s12, 0xcf800000
	v_fma_f32 v5, v3, s12, |v1|
	v_cvt_u32_f32_e32 v5, v5
	v_cvt_u32_f32_e32 v3, v3
	v_ashrrev_i32_e32 v1, 31, v1
	v_xor_b32_e32 v5, v5, v1
	v_xor_b32_e32 v3, v3, v1
	v_sub_co_u32_e32 v8, vcc, v5, v1
	s_nop 1
	v_subb_co_u32_e32 v9, vcc, v3, v1, vcc
.LBB305_1179:
	s_or_b64 exec, exec, s[2:3]
	s_mov_b64 s[2:3], 0
	s_branch .LBB305_1185
.LBB305_1180:
                                        ; implicit-def: $vgpr8_vgpr9
	s_mov_b64 s[12:13], 0
	s_branch .LBB305_1191
.LBB305_1181:
	s_andn2_saveexec_b64 s[2:3], s[2:3]
	s_cbranch_execz .LBB305_1167
.LBB305_1182:
	v_cmp_ne_u16_e32 vcc, 0, v1
	s_andn2_b64 s[14:15], s[14:15], exec
	s_and_b64 s[20:21], vcc, exec
	s_or_b64 s[14:15], s[14:15], s[20:21]
	s_or_b64 exec, exec, s[2:3]
	v_mov_b64_e32 v[8:9], 0
	s_and_saveexec_b64 s[2:3], s[14:15]
	s_cbranch_execnz .LBB305_1168
	s_branch .LBB305_1169
.LBB305_1183:
	s_mov_b64 s[2:3], -1
                                        ; implicit-def: $vgpr8_vgpr9
	s_branch .LBB305_1188
.LBB305_1184:
	s_mov_b64 s[2:3], -1
                                        ; implicit-def: $vgpr8_vgpr9
.LBB305_1185:
	s_and_b64 vcc, exec, s[2:3]
	s_cbranch_vccz .LBB305_1187
; %bb.1186:
	global_load_ubyte v1, v[16:17], off
	s_mov_b32 s2, 0x7f800000
	s_brev_b32 s3, 1
	s_mov_b32 s12, 0x2f800000
	s_mov_b32 s13, 0xcf800000
	s_waitcnt vmcnt(0)
	v_lshlrev_b32_e32 v1, 24, v1
	v_and_b32_e32 v3, 0x7f000000, v1
	v_ffbh_u32_e32 v5, v3
	v_min_u32_e32 v5, 32, v5
	v_sub_u32_e64 v5, v5, 4 clamp
	v_lshlrev_b32_e32 v8, v5, v3
	v_lshlrev_b32_e32 v5, 23, v5
	v_lshrrev_b32_e32 v8, 4, v8
	v_add_u32_e32 v7, 0x1000000, v3
	v_sub_u32_e32 v5, v8, v5
	v_ashrrev_i32_e32 v7, 8, v7
	v_add_u32_e32 v5, 0x3c000000, v5
	v_and_or_b32 v5, v7, s2, v5
	v_cmp_ne_u32_e32 vcc, 0, v3
	s_nop 1
	v_cndmask_b32_e32 v3, 0, v5, vcc
	v_and_or_b32 v1, v1, s3, v3
	v_trunc_f32_e32 v1, v1
	v_mul_f32_e64 v3, |v1|, s12
	v_floor_f32_e32 v3, v3
	v_fma_f32 v5, v3, s13, |v1|
	v_cvt_u32_f32_e32 v5, v5
	v_cvt_u32_f32_e32 v3, v3
	v_ashrrev_i32_e32 v1, 31, v1
	v_xor_b32_e32 v5, v5, v1
	v_xor_b32_e32 v3, v3, v1
	v_sub_co_u32_e32 v8, vcc, v5, v1
	s_nop 1
	v_subb_co_u32_e32 v9, vcc, v3, v1, vcc
.LBB305_1187:
	s_mov_b64 s[2:3], 0
.LBB305_1188:
	s_andn2_b64 vcc, exec, s[2:3]
	s_cbranch_vccnz .LBB305_1190
; %bb.1189:
	global_load_ubyte v1, v[16:17], off
	s_movk_i32 s2, 0x7f00
	s_brev_b32 s3, 16
	s_brev_b32 s12, 1
	s_mov_b32 s13, 0x2f800000
	s_mov_b32 s14, 0xcf800000
	s_waitcnt vmcnt(0)
	v_lshlrev_b16_e32 v3, 8, v1
	v_lshlrev_b32_e32 v1, 25, v1
	v_lshrrev_b32_e32 v5, 4, v1
	v_and_or_b32 v7, v3, s2, 0.5
	v_or_b32_e32 v5, 0x70000000, v5
	v_add_f32_e32 v7, -0.5, v7
	v_mul_f32_e32 v5, 0x7800000, v5
	v_cmp_gt_u32_e32 vcc, s3, v1
	v_bfe_i32 v3, v3, 0, 16
	s_nop 0
	v_cndmask_b32_e32 v1, v5, v7, vcc
	v_and_or_b32 v1, v3, s12, v1
	v_trunc_f32_e32 v1, v1
	v_mul_f32_e64 v3, |v1|, s13
	v_floor_f32_e32 v3, v3
	v_fma_f32 v5, v3, s14, |v1|
	v_cvt_u32_f32_e32 v5, v5
	v_cvt_u32_f32_e32 v3, v3
	v_ashrrev_i32_e32 v1, 31, v1
	v_xor_b32_e32 v5, v5, v1
	v_xor_b32_e32 v3, v3, v1
	v_sub_co_u32_e32 v8, vcc, v5, v1
	s_nop 1
	v_subb_co_u32_e32 v9, vcc, v3, v1, vcc
.LBB305_1190:
	s_mov_b64 s[14:15], -1
	s_mov_b64 s[12:13], 0
	s_cbranch_execnz .LBB305_1201
.LBB305_1191:
	s_cmp_gt_i32 s18, 14
	s_cbranch_scc0 .LBB305_1194
; %bb.1192:
	s_cmp_eq_u32 s18, 15
	s_cbranch_scc0 .LBB305_1197
; %bb.1193:
	global_load_ushort v1, v[16:17], off
	s_mov_b32 s0, 0x2f800000
	s_mov_b32 s1, 0xcf800000
	s_mov_b64 s[14:15], -1
	s_waitcnt vmcnt(0)
	v_lshlrev_b32_e32 v1, 16, v1
	v_trunc_f32_e32 v1, v1
	v_mul_f32_e64 v3, |v1|, s0
	v_floor_f32_e32 v3, v3
	v_fma_f32 v5, v3, s1, |v1|
	v_cvt_u32_f32_e32 v5, v5
	v_cvt_u32_f32_e32 v3, v3
	v_ashrrev_i32_e32 v1, 31, v1
	s_mov_b64 s[0:1], 0
	v_xor_b32_e32 v5, v5, v1
	v_xor_b32_e32 v3, v3, v1
	v_sub_co_u32_e32 v8, vcc, v5, v1
	s_nop 1
	v_subb_co_u32_e32 v9, vcc, v3, v1, vcc
	s_branch .LBB305_1198
.LBB305_1194:
	s_mov_b64 s[2:3], -1
                                        ; implicit-def: $vgpr8_vgpr9
	s_branch .LBB305_1199
.LBB305_1195:
	s_andn2_saveexec_b64 s[2:3], s[2:3]
	s_cbranch_execz .LBB305_1177
.LBB305_1196:
	v_cmp_ne_u16_e32 vcc, 0, v1
	s_andn2_b64 s[12:13], s[12:13], exec
	s_and_b64 s[14:15], vcc, exec
	s_or_b64 s[12:13], s[12:13], s[14:15]
	s_or_b64 exec, exec, s[2:3]
	v_mov_b64_e32 v[8:9], 0
	s_and_saveexec_b64 s[2:3], s[12:13]
	s_cbranch_execnz .LBB305_1178
	s_branch .LBB305_1179
.LBB305_1197:
	s_mov_b64 s[0:1], -1
                                        ; implicit-def: $vgpr8_vgpr9
.LBB305_1198:
	s_mov_b64 s[2:3], 0
.LBB305_1199:
	s_and_b64 vcc, exec, s[2:3]
	s_cbranch_vccz .LBB305_1201
; %bb.1200:
	s_cmp_lg_u32 s18, 11
	s_mov_b64 s[12:13], -1
	s_cselect_b64 s[0:1], -1, 0
.LBB305_1201:
	s_and_b64 vcc, exec, s[0:1]
	s_mov_b64 s[2:3], s[24:25]
	s_cbranch_vccnz .LBB305_1262
; %bb.1202:
	s_andn2_b64 vcc, exec, s[12:13]
	s_cbranch_vccnz .LBB305_1204
.LBB305_1203:
	global_load_ubyte v1, v[16:17], off
	s_mov_b32 s0, 0
	s_waitcnt vmcnt(1)
	v_mov_b32_e32 v9, s0
	s_mov_b64 s[14:15], -1
	s_waitcnt vmcnt(0)
	v_cmp_ne_u16_e32 vcc, 0, v1
	s_nop 1
	v_cndmask_b32_e64 v8, 0, 1, vcc
.LBB305_1204:
	s_branch .LBB305_1139
.LBB305_1205:
	s_and_b32 s12, 0xffff, s17
	s_cmp_lt_i32 s12, 5
	s_cbranch_scc1 .LBB305_1210
; %bb.1206:
	s_cmp_lt_i32 s12, 8
	s_cbranch_scc1 .LBB305_1211
; %bb.1207:
	;; [unrolled: 3-line block ×3, first 2 shown]
	s_cmp_gt_i32 s12, 9
	s_cbranch_scc0 .LBB305_1213
; %bb.1209:
	global_load_dwordx2 v[8:9], v[16:17], off
	s_movk_i32 s0, 0xffe0
	s_waitcnt vmcnt(0)
	v_trunc_f64_e32 v[18:19], v[8:9]
	v_ldexp_f64 v[8:9], v[18:19], s0
	v_floor_f64_e32 v[20:21], v[8:9]
	v_fmac_f64_e32 v[18:19], 0xc1f00000, v[20:21]
	v_cvt_i32_f64_e32 v9, v[20:21]
	v_cvt_u32_f64_e32 v8, v[18:19]
	s_mov_b64 s[0:1], 0
	s_branch .LBB305_1214
.LBB305_1210:
                                        ; implicit-def: $vgpr8_vgpr9
	s_branch .LBB305_1231
.LBB305_1211:
                                        ; implicit-def: $vgpr8_vgpr9
	s_branch .LBB305_1220
.LBB305_1212:
	s_mov_b64 s[0:1], -1
                                        ; implicit-def: $vgpr8_vgpr9
	s_branch .LBB305_1217
.LBB305_1213:
	s_mov_b64 s[0:1], -1
                                        ; implicit-def: $vgpr8_vgpr9
.LBB305_1214:
	s_andn2_b64 vcc, exec, s[0:1]
	s_cbranch_vccnz .LBB305_1216
; %bb.1215:
	global_load_dword v1, v[16:17], off
	s_mov_b32 s0, 0x2f800000
	s_mov_b32 s1, 0xcf800000
	s_waitcnt vmcnt(0)
	v_trunc_f32_e32 v1, v1
	v_mul_f32_e64 v3, |v1|, s0
	v_floor_f32_e32 v3, v3
	v_cvt_u32_f32_e32 v5, v3
	v_fma_f32 v3, v3, s1, |v1|
	v_cvt_u32_f32_e32 v3, v3
	v_ashrrev_i32_e32 v1, 31, v1
	v_xor_b32_e32 v5, v5, v1
	v_xor_b32_e32 v3, v3, v1
	v_sub_co_u32_e32 v8, vcc, v3, v1
	s_nop 1
	v_subb_co_u32_e32 v9, vcc, v5, v1, vcc
.LBB305_1216:
	s_mov_b64 s[0:1], 0
.LBB305_1217:
	s_andn2_b64 vcc, exec, s[0:1]
	s_cbranch_vccnz .LBB305_1219
; %bb.1218:
	global_load_dword v1, v[16:17], off
	s_waitcnt vmcnt(0)
	v_cvt_f32_f16_e32 v1, v1
	v_cvt_i32_f32_e32 v8, v1
	v_ashrrev_i32_e32 v9, 31, v8
.LBB305_1219:
	s_cbranch_execnz .LBB305_1230
.LBB305_1220:
	s_cmp_lt_i32 s12, 6
	s_cbranch_scc1 .LBB305_1223
; %bb.1221:
	s_cmp_gt_i32 s12, 6
	s_cbranch_scc0 .LBB305_1224
; %bb.1222:
	global_load_dwordx2 v[8:9], v[16:17], off
	s_movk_i32 s0, 0xffe0
	s_waitcnt vmcnt(0)
	v_trunc_f64_e32 v[18:19], v[8:9]
	v_ldexp_f64 v[8:9], v[18:19], s0
	v_floor_f64_e32 v[20:21], v[8:9]
	v_fmac_f64_e32 v[18:19], 0xc1f00000, v[20:21]
	v_cvt_i32_f64_e32 v9, v[20:21]
	v_cvt_u32_f64_e32 v8, v[18:19]
	s_mov_b64 s[0:1], 0
	s_branch .LBB305_1225
.LBB305_1223:
	s_mov_b64 s[0:1], -1
                                        ; implicit-def: $vgpr8_vgpr9
	s_branch .LBB305_1228
.LBB305_1224:
	s_mov_b64 s[0:1], -1
                                        ; implicit-def: $vgpr8_vgpr9
.LBB305_1225:
	s_andn2_b64 vcc, exec, s[0:1]
	s_cbranch_vccnz .LBB305_1227
; %bb.1226:
	global_load_dword v1, v[16:17], off
	s_mov_b32 s0, 0x2f800000
	s_mov_b32 s1, 0xcf800000
	s_waitcnt vmcnt(0)
	v_trunc_f32_e32 v1, v1
	v_mul_f32_e64 v3, |v1|, s0
	v_floor_f32_e32 v3, v3
	v_cvt_u32_f32_e32 v5, v3
	v_fma_f32 v3, v3, s1, |v1|
	v_cvt_u32_f32_e32 v3, v3
	v_ashrrev_i32_e32 v1, 31, v1
	v_xor_b32_e32 v5, v5, v1
	v_xor_b32_e32 v3, v3, v1
	v_sub_co_u32_e32 v8, vcc, v3, v1
	s_nop 1
	v_subb_co_u32_e32 v9, vcc, v5, v1, vcc
.LBB305_1227:
	s_mov_b64 s[0:1], 0
.LBB305_1228:
	s_andn2_b64 vcc, exec, s[0:1]
	s_cbranch_vccnz .LBB305_1230
; %bb.1229:
	global_load_ushort v1, v[16:17], off
	s_waitcnt vmcnt(0)
	v_cvt_f32_f16_e32 v1, v1
	v_cvt_i32_f32_e32 v8, v1
	v_ashrrev_i32_e32 v9, 31, v8
.LBB305_1230:
	s_cbranch_execnz .LBB305_1249
.LBB305_1231:
	s_cmp_lt_i32 s12, 2
	s_cbranch_scc1 .LBB305_1235
; %bb.1232:
	s_cmp_lt_i32 s12, 3
	s_cbranch_scc1 .LBB305_1236
; %bb.1233:
	s_cmp_gt_i32 s12, 3
	s_cbranch_scc0 .LBB305_1237
; %bb.1234:
	global_load_dwordx2 v[8:9], v[16:17], off
	s_mov_b64 s[0:1], 0
	s_branch .LBB305_1238
.LBB305_1235:
                                        ; implicit-def: $vgpr8_vgpr9
	s_branch .LBB305_1244
.LBB305_1236:
	s_mov_b64 s[0:1], -1
                                        ; implicit-def: $vgpr8_vgpr9
	s_branch .LBB305_1241
.LBB305_1237:
	s_mov_b64 s[0:1], -1
                                        ; implicit-def: $vgpr8_vgpr9
.LBB305_1238:
	s_andn2_b64 vcc, exec, s[0:1]
	s_cbranch_vccnz .LBB305_1240
; %bb.1239:
	global_load_dword v8, v[16:17], off
	s_waitcnt vmcnt(0)
	v_ashrrev_i32_e32 v9, 31, v8
.LBB305_1240:
	s_mov_b64 s[0:1], 0
.LBB305_1241:
	s_andn2_b64 vcc, exec, s[0:1]
	s_cbranch_vccnz .LBB305_1243
; %bb.1242:
	global_load_ushort v1, v[16:17], off
	s_waitcnt vmcnt(0)
	v_bfe_i32 v8, v1, 0, 16
	v_ashrrev_i32_e32 v9, 31, v8
.LBB305_1243:
	s_cbranch_execnz .LBB305_1249
.LBB305_1244:
	s_cmp_gt_i32 s12, 0
	s_cbranch_scc0 .LBB305_1246
; %bb.1245:
	global_load_sbyte v1, v[16:17], off
	s_mov_b64 s[0:1], 0
	s_waitcnt vmcnt(0)
	v_bfe_i32 v8, v1, 0, 16
	v_ashrrev_i32_e32 v9, 31, v8
	s_branch .LBB305_1247
.LBB305_1246:
	s_mov_b64 s[0:1], -1
                                        ; implicit-def: $vgpr8_vgpr9
.LBB305_1247:
	s_andn2_b64 vcc, exec, s[0:1]
	s_cbranch_vccnz .LBB305_1249
; %bb.1248:
	global_load_ubyte v1, v[16:17], off
	s_mov_b32 s0, 0
	s_waitcnt vmcnt(1)
	v_mov_b32_e32 v9, s0
	s_waitcnt vmcnt(0)
	v_and_b32_e32 v8, 0xffff, v1
.LBB305_1249:
.LBB305_1250:
	s_lshr_b32 s0, s16, 8
	v_mov_b32_e32 v11, 0
	s_and_b32 s18, s0, 0xff
	s_cmp_lt_i32 s18, 11
	v_lshl_add_u64 v[16:17], s[6:7], 0, v[10:11]
	s_cbranch_scc1 .LBB305_1257
; %bb.1251:
	s_and_b32 s19, 0xffff, s18
	s_cmp_gt_i32 s19, 25
	s_mov_b64 s[12:13], 0
	s_cbranch_scc0 .LBB305_1259
; %bb.1252:
	s_cmp_gt_i32 s19, 28
	s_cbranch_scc0 .LBB305_1260
; %bb.1253:
	s_cmp_gt_i32 s19, 43
	;; [unrolled: 3-line block ×3, first 2 shown]
	s_cbranch_scc0 .LBB305_1263
; %bb.1255:
	s_cmp_eq_u32 s19, 46
	s_mov_b64 s[16:17], 0
	s_cbranch_scc0 .LBB305_1266
; %bb.1256:
	global_load_dword v1, v[16:17], off
	s_mov_b32 s0, 0x2f800000
	s_mov_b32 s1, 0xcf800000
	s_mov_b64 s[14:15], -1
	s_waitcnt vmcnt(0)
	v_lshlrev_b32_e32 v1, 16, v1
	v_trunc_f32_e32 v1, v1
	v_mul_f32_e64 v3, |v1|, s0
	v_floor_f32_e32 v3, v3
	v_fma_f32 v5, v3, s1, |v1|
	v_cvt_u32_f32_e32 v5, v5
	v_cvt_u32_f32_e32 v3, v3
	v_ashrrev_i32_e32 v1, 31, v1
	s_mov_b64 s[0:1], 0
	v_xor_b32_e32 v5, v5, v1
	v_xor_b32_e32 v3, v3, v1
	v_sub_co_u32_e32 v10, vcc, v5, v1
	s_nop 1
	v_subb_co_u32_e32 v11, vcc, v3, v1, vcc
	s_branch .LBB305_1267
.LBB305_1257:
	s_mov_b64 s[14:15], 0
                                        ; implicit-def: $vgpr10_vgpr11
	s_cbranch_execnz .LBB305_1328
.LBB305_1258:
	s_andn2_b64 vcc, exec, s[14:15]
	s_cbranch_vccnz .LBB305_2059
	s_branch .LBB305_1375
.LBB305_1259:
	s_mov_b64 s[14:15], 0
	s_mov_b64 s[0:1], 0
                                        ; implicit-def: $vgpr10_vgpr11
	s_cbranch_execnz .LBB305_1294
	s_branch .LBB305_1324
.LBB305_1260:
	s_mov_b64 s[16:17], -1
	s_mov_b64 s[14:15], 0
	s_mov_b64 s[0:1], 0
                                        ; implicit-def: $vgpr10_vgpr11
	s_branch .LBB305_1277
.LBB305_1261:
	s_mov_b64 s[16:17], -1
	s_mov_b64 s[14:15], 0
	s_mov_b64 s[0:1], 0
                                        ; implicit-def: $vgpr10_vgpr11
	s_branch .LBB305_1272
.LBB305_1262:
	s_or_b64 s[2:3], s[24:25], exec
	s_trap 2
	s_cbranch_execz .LBB305_1203
	s_branch .LBB305_1204
.LBB305_1263:
	s_mov_b64 s[16:17], -1
	s_mov_b64 s[14:15], 0
	s_mov_b64 s[0:1], 0
                                        ; implicit-def: $vgpr10_vgpr11
	s_branch .LBB305_1267
.LBB305_1264:
	s_andn2_saveexec_b64 s[14:15], s[14:15]
	s_cbranch_execz .LBB305_999
.LBB305_1265:
	s_mov_b32 s17, 0x42800000
	v_add_f32_e64 v1, |v0|, s17
	v_and_b32_e32 v1, 0xff, v1
	v_cmp_ne_u32_e32 vcc, 0, v1
	s_andn2_b64 s[10:11], s[10:11], exec
	s_and_b64 s[20:21], vcc, exec
	s_or_b64 s[10:11], s[10:11], s[20:21]
	s_or_b64 exec, exec, s[14:15]
	v_mov_b32_e32 v6, 0
	s_and_saveexec_b64 s[14:15], s[10:11]
	s_cbranch_execnz .LBB305_1000
	s_branch .LBB305_1001
.LBB305_1266:
	s_mov_b64 s[0:1], -1
                                        ; implicit-def: $vgpr10_vgpr11
	s_mov_b64 s[14:15], 0
.LBB305_1267:
	s_and_b64 vcc, exec, s[16:17]
	s_cbranch_vccz .LBB305_1271
; %bb.1268:
	s_cmp_eq_u32 s19, 44
	s_cbranch_scc0 .LBB305_1270
; %bb.1269:
	global_load_ubyte v1, v[16:17], off
	s_mov_b32 s0, 0x2f800000
	s_mov_b32 s1, 0xcf800000
	s_mov_b64 s[14:15], -1
	s_waitcnt vmcnt(0)
	v_lshlrev_b32_e32 v3, 23, v1
	v_trunc_f32_e32 v3, v3
	v_mul_f32_e64 v5, |v3|, s0
	v_floor_f32_e32 v5, v5
	v_fma_f32 v7, v5, s1, |v3|
	v_cvt_u32_f32_e32 v7, v7
	v_cvt_u32_f32_e32 v5, v5
	v_ashrrev_i32_e32 v3, 31, v3
	s_mov_b64 s[0:1], 0
	v_xor_b32_e32 v7, v7, v3
	v_xor_b32_e32 v5, v5, v3
	v_sub_co_u32_e32 v7, vcc, v7, v3
	s_nop 1
	v_subb_co_u32_e32 v3, vcc, v5, v3, vcc
	v_cmp_ne_u32_e32 vcc, 0, v1
	s_nop 1
	v_cndmask_b32_e32 v11, 0, v3, vcc
	v_cndmask_b32_e32 v10, 0, v7, vcc
	s_branch .LBB305_1271
.LBB305_1270:
	s_mov_b64 s[0:1], -1
                                        ; implicit-def: $vgpr10_vgpr11
.LBB305_1271:
	s_mov_b64 s[16:17], 0
.LBB305_1272:
	s_and_b64 vcc, exec, s[16:17]
	s_cbranch_vccz .LBB305_1276
; %bb.1273:
	s_cmp_eq_u32 s19, 29
	s_cbranch_scc0 .LBB305_1275
; %bb.1274:
	global_load_dwordx2 v[10:11], v[16:17], off
	s_mov_b64 s[0:1], 0
	s_mov_b64 s[14:15], -1
	s_branch .LBB305_1276
.LBB305_1275:
	s_mov_b64 s[0:1], -1
                                        ; implicit-def: $vgpr10_vgpr11
.LBB305_1276:
	s_mov_b64 s[16:17], 0
.LBB305_1277:
	s_and_b64 vcc, exec, s[16:17]
	s_cbranch_vccz .LBB305_1293
; %bb.1278:
	s_cmp_lt_i32 s19, 27
	s_cbranch_scc1 .LBB305_1281
; %bb.1279:
	s_cmp_gt_i32 s19, 27
	s_cbranch_scc0 .LBB305_1282
; %bb.1280:
	global_load_dword v10, v[16:17], off
	s_waitcnt vmcnt(1)
	v_mov_b32_e32 v11, 0
	s_mov_b64 s[14:15], 0
	s_branch .LBB305_1283
.LBB305_1281:
	s_mov_b64 s[14:15], -1
                                        ; implicit-def: $vgpr10_vgpr11
	s_branch .LBB305_1286
.LBB305_1282:
	s_mov_b64 s[14:15], -1
                                        ; implicit-def: $vgpr10_vgpr11
.LBB305_1283:
	s_andn2_b64 vcc, exec, s[14:15]
	s_cbranch_vccnz .LBB305_1285
; %bb.1284:
	global_load_ushort v1, v[16:17], off
	s_mov_b32 s14, 0
	s_waitcnt vmcnt(1)
	v_mov_b32_e32 v11, s14
	s_waitcnt vmcnt(0)
	v_and_b32_e32 v10, 0xffff, v1
.LBB305_1285:
	s_mov_b64 s[14:15], 0
.LBB305_1286:
	s_andn2_b64 vcc, exec, s[14:15]
	s_cbranch_vccnz .LBB305_1292
; %bb.1287:
	global_load_ubyte v1, v[16:17], off
	s_movk_i32 s14, 0x7f
	s_mov_b64 s[16:17], 0
	s_waitcnt vmcnt(0)
	v_cmp_lt_i16_e32 vcc, s14, v1
	s_and_saveexec_b64 s[14:15], vcc
	s_xor_b64 s[14:15], exec, s[14:15]
	s_cbranch_execz .LBB305_1303
; %bb.1288:
	s_movk_i32 s16, 0x80
	v_cmp_ne_u16_e32 vcc, s16, v1
	s_and_b64 s[16:17], vcc, exec
	s_andn2_saveexec_b64 s[14:15], s[14:15]
	s_cbranch_execnz .LBB305_1304
.LBB305_1289:
	s_or_b64 exec, exec, s[14:15]
	v_mov_b64_e32 v[10:11], 0
	s_and_saveexec_b64 s[14:15], s[16:17]
	s_cbranch_execz .LBB305_1291
.LBB305_1290:
	v_lshlrev_b32_e32 v3, 24, v1
	v_and_b32_e32 v1, 0xffff, v1
	v_and_b32_e32 v5, 7, v1
	v_ffbh_u32_e32 v10, v5
	v_min_u32_e32 v10, 32, v10
	v_subrev_u32_e32 v11, 28, v10
	v_bfe_u32 v7, v1, 3, 4
	v_lshlrev_b32_e32 v1, v11, v1
	v_sub_u32_e32 v10, 29, v10
	v_and_b32_e32 v1, 7, v1
	v_cmp_eq_u32_e32 vcc, 0, v7
	v_and_b32_e32 v3, 0x80000000, v3
	s_mov_b32 s16, 0x2f800000
	v_cndmask_b32_e32 v7, v7, v10, vcc
	v_cndmask_b32_e32 v1, v5, v1, vcc
	v_mov_b32_e32 v5, 0x3b800000
	v_lshlrev_b32_e32 v1, 20, v1
	v_lshl_add_u32 v5, v7, 23, v5
	v_or3_b32 v1, v3, v5, v1
	v_trunc_f32_e32 v1, v1
	v_mul_f32_e64 v3, |v1|, s16
	v_floor_f32_e32 v3, v3
	s_mov_b32 s16, 0xcf800000
	v_fma_f32 v5, v3, s16, |v1|
	v_cvt_u32_f32_e32 v5, v5
	v_cvt_u32_f32_e32 v3, v3
	v_ashrrev_i32_e32 v1, 31, v1
	v_xor_b32_e32 v5, v5, v1
	v_xor_b32_e32 v3, v3, v1
	v_sub_co_u32_e32 v10, vcc, v5, v1
	s_nop 1
	v_subb_co_u32_e32 v11, vcc, v3, v1, vcc
.LBB305_1291:
	s_or_b64 exec, exec, s[14:15]
.LBB305_1292:
	s_mov_b64 s[14:15], -1
.LBB305_1293:
	s_branch .LBB305_1324
.LBB305_1294:
	s_cmp_gt_i32 s19, 22
	s_cbranch_scc0 .LBB305_1302
; %bb.1295:
	s_cmp_lt_i32 s19, 24
	s_cbranch_scc1 .LBB305_1305
; %bb.1296:
	s_cmp_gt_i32 s19, 24
	s_cbranch_scc0 .LBB305_1306
; %bb.1297:
	global_load_ubyte v1, v[16:17], off
	s_movk_i32 s12, 0x7f
	s_mov_b64 s[14:15], 0
	s_waitcnt vmcnt(0)
	v_cmp_lt_i16_e32 vcc, s12, v1
	s_and_saveexec_b64 s[12:13], vcc
	s_xor_b64 s[12:13], exec, s[12:13]
	s_cbranch_execz .LBB305_1318
; %bb.1298:
	s_movk_i32 s14, 0x80
	v_cmp_ne_u16_e32 vcc, s14, v1
	s_and_b64 s[14:15], vcc, exec
	s_andn2_saveexec_b64 s[12:13], s[12:13]
	s_cbranch_execnz .LBB305_1319
.LBB305_1299:
	s_or_b64 exec, exec, s[12:13]
	v_mov_b64_e32 v[10:11], 0
	s_and_saveexec_b64 s[12:13], s[14:15]
	s_cbranch_execz .LBB305_1301
.LBB305_1300:
	v_lshlrev_b32_e32 v3, 24, v1
	v_and_b32_e32 v1, 0xffff, v1
	v_and_b32_e32 v5, 3, v1
	v_ffbh_u32_e32 v10, v5
	v_min_u32_e32 v10, 32, v10
	v_subrev_u32_e32 v11, 29, v10
	v_bfe_u32 v7, v1, 2, 5
	v_lshlrev_b32_e32 v1, v11, v1
	v_sub_u32_e32 v10, 30, v10
	v_and_b32_e32 v1, 3, v1
	v_cmp_eq_u32_e32 vcc, 0, v7
	v_and_b32_e32 v3, 0x80000000, v3
	s_mov_b32 s14, 0x2f800000
	v_cndmask_b32_e32 v7, v7, v10, vcc
	v_cndmask_b32_e32 v1, v5, v1, vcc
	v_mov_b32_e32 v5, 0x37800000
	v_lshlrev_b32_e32 v1, 21, v1
	v_lshl_add_u32 v5, v7, 23, v5
	v_or3_b32 v1, v3, v5, v1
	v_trunc_f32_e32 v1, v1
	v_mul_f32_e64 v3, |v1|, s14
	v_floor_f32_e32 v3, v3
	s_mov_b32 s14, 0xcf800000
	v_fma_f32 v5, v3, s14, |v1|
	v_cvt_u32_f32_e32 v5, v5
	v_cvt_u32_f32_e32 v3, v3
	v_ashrrev_i32_e32 v1, 31, v1
	v_xor_b32_e32 v5, v5, v1
	v_xor_b32_e32 v3, v3, v1
	v_sub_co_u32_e32 v10, vcc, v5, v1
	s_nop 1
	v_subb_co_u32_e32 v11, vcc, v3, v1, vcc
.LBB305_1301:
	s_or_b64 exec, exec, s[12:13]
	s_mov_b64 s[12:13], 0
	s_branch .LBB305_1307
.LBB305_1302:
	s_mov_b64 s[12:13], -1
                                        ; implicit-def: $vgpr10_vgpr11
	s_branch .LBB305_1313
.LBB305_1303:
	s_andn2_saveexec_b64 s[14:15], s[14:15]
	s_cbranch_execz .LBB305_1289
.LBB305_1304:
	v_cmp_ne_u16_e32 vcc, 0, v1
	s_andn2_b64 s[16:17], s[16:17], exec
	s_and_b64 s[20:21], vcc, exec
	s_or_b64 s[16:17], s[16:17], s[20:21]
	s_or_b64 exec, exec, s[14:15]
	v_mov_b64_e32 v[10:11], 0
	s_and_saveexec_b64 s[14:15], s[16:17]
	s_cbranch_execnz .LBB305_1290
	s_branch .LBB305_1291
.LBB305_1305:
	s_mov_b64 s[12:13], -1
                                        ; implicit-def: $vgpr10_vgpr11
	s_branch .LBB305_1310
.LBB305_1306:
	s_mov_b64 s[12:13], -1
                                        ; implicit-def: $vgpr10_vgpr11
.LBB305_1307:
	s_and_b64 vcc, exec, s[12:13]
	s_cbranch_vccz .LBB305_1309
; %bb.1308:
	global_load_ubyte v1, v[16:17], off
	s_mov_b32 s12, 0x7f800000
	s_brev_b32 s13, 1
	s_mov_b32 s14, 0x2f800000
	s_mov_b32 s15, 0xcf800000
	s_waitcnt vmcnt(0)
	v_lshlrev_b32_e32 v1, 24, v1
	v_and_b32_e32 v3, 0x7f000000, v1
	v_ffbh_u32_e32 v5, v3
	v_min_u32_e32 v5, 32, v5
	v_sub_u32_e64 v5, v5, 4 clamp
	v_lshlrev_b32_e32 v10, v5, v3
	v_lshlrev_b32_e32 v5, 23, v5
	v_lshrrev_b32_e32 v10, 4, v10
	v_add_u32_e32 v7, 0x1000000, v3
	v_sub_u32_e32 v5, v10, v5
	v_ashrrev_i32_e32 v7, 8, v7
	v_add_u32_e32 v5, 0x3c000000, v5
	v_and_or_b32 v5, v7, s12, v5
	v_cmp_ne_u32_e32 vcc, 0, v3
	s_nop 1
	v_cndmask_b32_e32 v3, 0, v5, vcc
	v_and_or_b32 v1, v1, s13, v3
	v_trunc_f32_e32 v1, v1
	v_mul_f32_e64 v3, |v1|, s14
	v_floor_f32_e32 v3, v3
	v_fma_f32 v5, v3, s15, |v1|
	v_cvt_u32_f32_e32 v5, v5
	v_cvt_u32_f32_e32 v3, v3
	v_ashrrev_i32_e32 v1, 31, v1
	v_xor_b32_e32 v5, v5, v1
	v_xor_b32_e32 v3, v3, v1
	v_sub_co_u32_e32 v10, vcc, v5, v1
	s_nop 1
	v_subb_co_u32_e32 v11, vcc, v3, v1, vcc
.LBB305_1309:
	s_mov_b64 s[12:13], 0
.LBB305_1310:
	s_andn2_b64 vcc, exec, s[12:13]
	s_cbranch_vccnz .LBB305_1312
; %bb.1311:
	global_load_ubyte v1, v[16:17], off
	s_movk_i32 s12, 0x7f00
	s_brev_b32 s13, 16
	s_brev_b32 s14, 1
	s_mov_b32 s15, 0x2f800000
	s_mov_b32 s16, 0xcf800000
	s_waitcnt vmcnt(0)
	v_lshlrev_b16_e32 v3, 8, v1
	v_lshlrev_b32_e32 v1, 25, v1
	v_lshrrev_b32_e32 v5, 4, v1
	v_and_or_b32 v7, v3, s12, 0.5
	v_or_b32_e32 v5, 0x70000000, v5
	v_add_f32_e32 v7, -0.5, v7
	v_mul_f32_e32 v5, 0x7800000, v5
	v_cmp_gt_u32_e32 vcc, s13, v1
	v_bfe_i32 v3, v3, 0, 16
	s_nop 0
	v_cndmask_b32_e32 v1, v5, v7, vcc
	v_and_or_b32 v1, v3, s14, v1
	v_trunc_f32_e32 v1, v1
	v_mul_f32_e64 v3, |v1|, s15
	v_floor_f32_e32 v3, v3
	v_fma_f32 v5, v3, s16, |v1|
	v_cvt_u32_f32_e32 v5, v5
	v_cvt_u32_f32_e32 v3, v3
	v_ashrrev_i32_e32 v1, 31, v1
	v_xor_b32_e32 v5, v5, v1
	v_xor_b32_e32 v3, v3, v1
	v_sub_co_u32_e32 v10, vcc, v5, v1
	s_nop 1
	v_subb_co_u32_e32 v11, vcc, v3, v1, vcc
.LBB305_1312:
	s_mov_b64 s[12:13], 0
	s_mov_b64 s[14:15], -1
.LBB305_1313:
	s_andn2_b64 vcc, exec, s[12:13]
	s_mov_b64 s[12:13], 0
	s_cbranch_vccnz .LBB305_1324
; %bb.1314:
	s_cmp_gt_i32 s19, 14
	s_cbranch_scc0 .LBB305_1317
; %bb.1315:
	s_cmp_eq_u32 s19, 15
	s_cbranch_scc0 .LBB305_1320
; %bb.1316:
	global_load_ushort v1, v[16:17], off
	s_mov_b32 s0, 0x2f800000
	s_mov_b32 s1, 0xcf800000
	s_mov_b64 s[14:15], -1
	s_waitcnt vmcnt(0)
	v_lshlrev_b32_e32 v1, 16, v1
	v_trunc_f32_e32 v1, v1
	v_mul_f32_e64 v3, |v1|, s0
	v_floor_f32_e32 v3, v3
	v_fma_f32 v5, v3, s1, |v1|
	v_cvt_u32_f32_e32 v5, v5
	v_cvt_u32_f32_e32 v3, v3
	v_ashrrev_i32_e32 v1, 31, v1
	s_mov_b64 s[0:1], 0
	v_xor_b32_e32 v5, v5, v1
	v_xor_b32_e32 v3, v3, v1
	v_sub_co_u32_e32 v10, vcc, v5, v1
	s_nop 1
	v_subb_co_u32_e32 v11, vcc, v3, v1, vcc
	s_branch .LBB305_1321
.LBB305_1317:
	s_mov_b64 s[16:17], -1
                                        ; implicit-def: $vgpr10_vgpr11
	s_branch .LBB305_1322
.LBB305_1318:
	s_andn2_saveexec_b64 s[12:13], s[12:13]
	s_cbranch_execz .LBB305_1299
.LBB305_1319:
	v_cmp_ne_u16_e32 vcc, 0, v1
	s_andn2_b64 s[14:15], s[14:15], exec
	s_and_b64 s[16:17], vcc, exec
	s_or_b64 s[14:15], s[14:15], s[16:17]
	s_or_b64 exec, exec, s[12:13]
	v_mov_b64_e32 v[10:11], 0
	s_and_saveexec_b64 s[12:13], s[14:15]
	s_cbranch_execnz .LBB305_1300
	s_branch .LBB305_1301
.LBB305_1320:
	s_mov_b64 s[0:1], -1
                                        ; implicit-def: $vgpr10_vgpr11
.LBB305_1321:
	s_mov_b64 s[16:17], 0
.LBB305_1322:
	s_and_b64 vcc, exec, s[16:17]
	s_cbranch_vccz .LBB305_1324
; %bb.1323:
	s_cmp_lg_u32 s19, 11
	s_mov_b64 s[12:13], -1
	s_cselect_b64 s[0:1], -1, 0
.LBB305_1324:
	s_and_b64 vcc, exec, s[0:1]
	s_cbranch_vccnz .LBB305_1387
; %bb.1325:
	s_andn2_b64 vcc, exec, s[12:13]
	s_cbranch_vccnz .LBB305_1327
.LBB305_1326:
	global_load_ubyte v1, v[16:17], off
	s_mov_b32 s0, 0
	s_waitcnt vmcnt(1)
	v_mov_b32_e32 v11, s0
	s_mov_b64 s[14:15], -1
	s_waitcnt vmcnt(0)
	v_cmp_ne_u16_e32 vcc, 0, v1
	s_nop 1
	v_cndmask_b32_e64 v10, 0, 1, vcc
.LBB305_1327:
	s_branch .LBB305_1258
.LBB305_1328:
	s_and_b32 s12, 0xffff, s18
	s_cmp_lt_i32 s12, 5
	s_cbranch_scc1 .LBB305_1333
; %bb.1329:
	s_cmp_lt_i32 s12, 8
	s_cbranch_scc1 .LBB305_1334
; %bb.1330:
	;; [unrolled: 3-line block ×3, first 2 shown]
	s_cmp_gt_i32 s12, 9
	s_cbranch_scc0 .LBB305_1336
; %bb.1332:
	global_load_dwordx2 v[10:11], v[16:17], off
	s_movk_i32 s0, 0xffe0
	s_waitcnt vmcnt(0)
	v_trunc_f64_e32 v[18:19], v[10:11]
	v_ldexp_f64 v[10:11], v[18:19], s0
	v_floor_f64_e32 v[20:21], v[10:11]
	v_fmac_f64_e32 v[18:19], 0xc1f00000, v[20:21]
	v_cvt_i32_f64_e32 v11, v[20:21]
	v_cvt_u32_f64_e32 v10, v[18:19]
	s_mov_b64 s[0:1], 0
	s_branch .LBB305_1337
.LBB305_1333:
                                        ; implicit-def: $vgpr10_vgpr11
	s_branch .LBB305_1355
.LBB305_1334:
	s_mov_b64 s[0:1], -1
                                        ; implicit-def: $vgpr10_vgpr11
	s_branch .LBB305_1343
.LBB305_1335:
	s_mov_b64 s[0:1], -1
                                        ; implicit-def: $vgpr10_vgpr11
	s_branch .LBB305_1340
.LBB305_1336:
	s_mov_b64 s[0:1], -1
                                        ; implicit-def: $vgpr10_vgpr11
.LBB305_1337:
	s_andn2_b64 vcc, exec, s[0:1]
	s_cbranch_vccnz .LBB305_1339
; %bb.1338:
	global_load_dword v1, v[16:17], off
	s_mov_b32 s0, 0x2f800000
	s_mov_b32 s1, 0xcf800000
	s_waitcnt vmcnt(0)
	v_trunc_f32_e32 v1, v1
	v_mul_f32_e64 v3, |v1|, s0
	v_floor_f32_e32 v3, v3
	v_cvt_u32_f32_e32 v5, v3
	v_fma_f32 v3, v3, s1, |v1|
	v_cvt_u32_f32_e32 v3, v3
	v_ashrrev_i32_e32 v1, 31, v1
	v_xor_b32_e32 v5, v5, v1
	v_xor_b32_e32 v3, v3, v1
	v_sub_co_u32_e32 v10, vcc, v3, v1
	s_nop 1
	v_subb_co_u32_e32 v11, vcc, v5, v1, vcc
.LBB305_1339:
	s_mov_b64 s[0:1], 0
.LBB305_1340:
	s_andn2_b64 vcc, exec, s[0:1]
	s_cbranch_vccnz .LBB305_1342
; %bb.1341:
	global_load_dword v1, v[16:17], off
	s_waitcnt vmcnt(0)
	v_cvt_f32_f16_e32 v1, v1
	v_cvt_i32_f32_e32 v10, v1
	v_ashrrev_i32_e32 v11, 31, v10
.LBB305_1342:
	s_mov_b64 s[0:1], 0
.LBB305_1343:
	s_andn2_b64 vcc, exec, s[0:1]
	s_cbranch_vccnz .LBB305_1354
; %bb.1344:
	s_cmp_lt_i32 s12, 6
	s_cbranch_scc1 .LBB305_1347
; %bb.1345:
	s_cmp_gt_i32 s12, 6
	s_cbranch_scc0 .LBB305_1348
; %bb.1346:
	global_load_dwordx2 v[10:11], v[16:17], off
	s_movk_i32 s0, 0xffe0
	s_waitcnt vmcnt(0)
	v_trunc_f64_e32 v[18:19], v[10:11]
	v_ldexp_f64 v[10:11], v[18:19], s0
	v_floor_f64_e32 v[20:21], v[10:11]
	v_fmac_f64_e32 v[18:19], 0xc1f00000, v[20:21]
	v_cvt_i32_f64_e32 v11, v[20:21]
	v_cvt_u32_f64_e32 v10, v[18:19]
	s_mov_b64 s[0:1], 0
	s_branch .LBB305_1349
.LBB305_1347:
	s_mov_b64 s[0:1], -1
                                        ; implicit-def: $vgpr10_vgpr11
	s_branch .LBB305_1352
.LBB305_1348:
	s_mov_b64 s[0:1], -1
                                        ; implicit-def: $vgpr10_vgpr11
.LBB305_1349:
	s_andn2_b64 vcc, exec, s[0:1]
	s_cbranch_vccnz .LBB305_1351
; %bb.1350:
	global_load_dword v1, v[16:17], off
	s_mov_b32 s0, 0x2f800000
	s_mov_b32 s1, 0xcf800000
	s_waitcnt vmcnt(0)
	v_trunc_f32_e32 v1, v1
	v_mul_f32_e64 v3, |v1|, s0
	v_floor_f32_e32 v3, v3
	v_cvt_u32_f32_e32 v5, v3
	v_fma_f32 v3, v3, s1, |v1|
	v_cvt_u32_f32_e32 v3, v3
	v_ashrrev_i32_e32 v1, 31, v1
	v_xor_b32_e32 v5, v5, v1
	v_xor_b32_e32 v3, v3, v1
	v_sub_co_u32_e32 v10, vcc, v3, v1
	s_nop 1
	v_subb_co_u32_e32 v11, vcc, v5, v1, vcc
.LBB305_1351:
	s_mov_b64 s[0:1], 0
.LBB305_1352:
	s_andn2_b64 vcc, exec, s[0:1]
	s_cbranch_vccnz .LBB305_1354
; %bb.1353:
	global_load_ushort v1, v[16:17], off
	s_waitcnt vmcnt(0)
	v_cvt_f32_f16_e32 v1, v1
	v_cvt_i32_f32_e32 v10, v1
	v_ashrrev_i32_e32 v11, 31, v10
.LBB305_1354:
	s_cbranch_execnz .LBB305_1374
.LBB305_1355:
	s_cmp_lt_i32 s12, 2
	s_cbranch_scc1 .LBB305_1359
; %bb.1356:
	s_cmp_lt_i32 s12, 3
	s_cbranch_scc1 .LBB305_1360
; %bb.1357:
	s_cmp_gt_i32 s12, 3
	s_cbranch_scc0 .LBB305_1361
; %bb.1358:
	global_load_dwordx2 v[10:11], v[16:17], off
	s_mov_b64 s[0:1], 0
	s_branch .LBB305_1362
.LBB305_1359:
	s_mov_b64 s[0:1], -1
                                        ; implicit-def: $vgpr10_vgpr11
	s_branch .LBB305_1368
.LBB305_1360:
	s_mov_b64 s[0:1], -1
                                        ; implicit-def: $vgpr10_vgpr11
	s_branch .LBB305_1365
.LBB305_1361:
	s_mov_b64 s[0:1], -1
                                        ; implicit-def: $vgpr10_vgpr11
.LBB305_1362:
	s_andn2_b64 vcc, exec, s[0:1]
	s_cbranch_vccnz .LBB305_1364
; %bb.1363:
	global_load_dword v10, v[16:17], off
	s_waitcnt vmcnt(0)
	v_ashrrev_i32_e32 v11, 31, v10
.LBB305_1364:
	s_mov_b64 s[0:1], 0
.LBB305_1365:
	s_andn2_b64 vcc, exec, s[0:1]
	s_cbranch_vccnz .LBB305_1367
; %bb.1366:
	global_load_ushort v1, v[16:17], off
	s_waitcnt vmcnt(0)
	v_bfe_i32 v10, v1, 0, 16
	v_ashrrev_i32_e32 v11, 31, v10
.LBB305_1367:
	s_mov_b64 s[0:1], 0
.LBB305_1368:
	s_andn2_b64 vcc, exec, s[0:1]
	s_cbranch_vccnz .LBB305_1374
; %bb.1369:
	s_cmp_gt_i32 s12, 0
	s_cbranch_scc0 .LBB305_1371
; %bb.1370:
	global_load_sbyte v1, v[16:17], off
	s_mov_b64 s[0:1], 0
	s_waitcnt vmcnt(0)
	v_bfe_i32 v10, v1, 0, 16
	v_ashrrev_i32_e32 v11, 31, v10
	s_branch .LBB305_1372
.LBB305_1371:
	s_mov_b64 s[0:1], -1
                                        ; implicit-def: $vgpr10_vgpr11
.LBB305_1372:
	s_andn2_b64 vcc, exec, s[0:1]
	s_cbranch_vccnz .LBB305_1374
; %bb.1373:
	global_load_ubyte v1, v[16:17], off
	s_mov_b32 s0, 0
	s_waitcnt vmcnt(1)
	v_mov_b32_e32 v11, s0
	s_waitcnt vmcnt(0)
	v_and_b32_e32 v10, 0xffff, v1
.LBB305_1374:
.LBB305_1375:
	v_mov_b32_e32 v13, 0
	s_cmp_lt_i32 s18, 11
	v_lshl_add_u64 v[16:17], s[6:7], 0, v[12:13]
	s_cbranch_scc1 .LBB305_1382
; %bb.1376:
	s_and_b32 s19, 0xffff, s18
	s_cmp_gt_i32 s19, 25
	s_mov_b64 s[12:13], 0
	s_cbranch_scc0 .LBB305_1384
; %bb.1377:
	s_cmp_gt_i32 s19, 28
	s_cbranch_scc0 .LBB305_1385
; %bb.1378:
	s_cmp_gt_i32 s19, 43
	;; [unrolled: 3-line block ×3, first 2 shown]
	s_cbranch_scc0 .LBB305_1388
; %bb.1380:
	s_cmp_eq_u32 s19, 46
	s_mov_b64 s[16:17], 0
	s_cbranch_scc0 .LBB305_1389
; %bb.1381:
	global_load_dword v1, v[16:17], off
	s_mov_b32 s0, 0x2f800000
	s_mov_b32 s1, 0xcf800000
	s_mov_b64 s[14:15], -1
	s_waitcnt vmcnt(0)
	v_lshlrev_b32_e32 v1, 16, v1
	v_trunc_f32_e32 v1, v1
	v_mul_f32_e64 v3, |v1|, s0
	v_floor_f32_e32 v3, v3
	v_fma_f32 v5, v3, s1, |v1|
	v_cvt_u32_f32_e32 v5, v5
	v_cvt_u32_f32_e32 v3, v3
	v_ashrrev_i32_e32 v1, 31, v1
	s_mov_b64 s[0:1], 0
	v_xor_b32_e32 v5, v5, v1
	v_xor_b32_e32 v3, v3, v1
	v_sub_co_u32_e32 v12, vcc, v5, v1
	s_nop 1
	v_subb_co_u32_e32 v13, vcc, v3, v1, vcc
	s_branch .LBB305_1390
.LBB305_1382:
	s_mov_b64 s[14:15], 0
                                        ; implicit-def: $vgpr12_vgpr13
	s_cbranch_execnz .LBB305_1452
.LBB305_1383:
	s_andn2_b64 vcc, exec, s[14:15]
	s_cbranch_vccnz .LBB305_2059
	s_branch .LBB305_1500
.LBB305_1384:
	s_mov_b64 s[16:17], -1
	s_mov_b64 s[14:15], 0
	s_mov_b64 s[0:1], 0
                                        ; implicit-def: $vgpr12_vgpr13
	s_branch .LBB305_1417
.LBB305_1385:
	s_mov_b64 s[16:17], -1
	s_mov_b64 s[14:15], 0
	s_mov_b64 s[0:1], 0
                                        ; implicit-def: $vgpr12_vgpr13
	s_branch .LBB305_1400
.LBB305_1386:
	s_mov_b64 s[16:17], -1
	s_mov_b64 s[14:15], 0
	s_mov_b64 s[0:1], 0
                                        ; implicit-def: $vgpr12_vgpr13
	s_branch .LBB305_1395
.LBB305_1387:
	s_trap 2
	s_or_b64 s[2:3], s[2:3], exec
	s_cbranch_execz .LBB305_1326
	s_branch .LBB305_1327
.LBB305_1388:
	s_mov_b64 s[16:17], -1
	s_mov_b64 s[14:15], 0
	s_mov_b64 s[0:1], 0
                                        ; implicit-def: $vgpr12_vgpr13
	s_branch .LBB305_1390
.LBB305_1389:
	s_mov_b64 s[0:1], -1
                                        ; implicit-def: $vgpr12_vgpr13
	s_mov_b64 s[14:15], 0
.LBB305_1390:
	s_and_b64 vcc, exec, s[16:17]
	s_cbranch_vccz .LBB305_1394
; %bb.1391:
	s_cmp_eq_u32 s19, 44
	s_cbranch_scc0 .LBB305_1393
; %bb.1392:
	global_load_ubyte v1, v[16:17], off
	s_mov_b32 s0, 0x2f800000
	s_mov_b32 s1, 0xcf800000
	s_mov_b64 s[14:15], -1
	s_waitcnt vmcnt(0)
	v_lshlrev_b32_e32 v3, 23, v1
	v_trunc_f32_e32 v3, v3
	v_mul_f32_e64 v5, |v3|, s0
	v_floor_f32_e32 v5, v5
	v_fma_f32 v7, v5, s1, |v3|
	v_cvt_u32_f32_e32 v7, v7
	v_cvt_u32_f32_e32 v5, v5
	v_ashrrev_i32_e32 v3, 31, v3
	s_mov_b64 s[0:1], 0
	v_xor_b32_e32 v7, v7, v3
	v_xor_b32_e32 v5, v5, v3
	v_sub_co_u32_e32 v7, vcc, v7, v3
	s_nop 1
	v_subb_co_u32_e32 v3, vcc, v5, v3, vcc
	v_cmp_ne_u32_e32 vcc, 0, v1
	s_nop 1
	v_cndmask_b32_e32 v13, 0, v3, vcc
	v_cndmask_b32_e32 v12, 0, v7, vcc
	s_branch .LBB305_1394
.LBB305_1393:
	s_mov_b64 s[0:1], -1
                                        ; implicit-def: $vgpr12_vgpr13
.LBB305_1394:
	s_mov_b64 s[16:17], 0
.LBB305_1395:
	s_and_b64 vcc, exec, s[16:17]
	s_cbranch_vccz .LBB305_1399
; %bb.1396:
	s_cmp_eq_u32 s19, 29
	s_cbranch_scc0 .LBB305_1398
; %bb.1397:
	global_load_dwordx2 v[12:13], v[16:17], off
	s_mov_b64 s[0:1], 0
	s_mov_b64 s[14:15], -1
	s_branch .LBB305_1399
.LBB305_1398:
	s_mov_b64 s[0:1], -1
                                        ; implicit-def: $vgpr12_vgpr13
.LBB305_1399:
	s_mov_b64 s[16:17], 0
.LBB305_1400:
	s_and_b64 vcc, exec, s[16:17]
	s_cbranch_vccz .LBB305_1416
; %bb.1401:
	s_cmp_lt_i32 s19, 27
	s_cbranch_scc1 .LBB305_1404
; %bb.1402:
	s_cmp_gt_i32 s19, 27
	s_cbranch_scc0 .LBB305_1405
; %bb.1403:
	global_load_dword v12, v[16:17], off
	s_waitcnt vmcnt(1)
	v_mov_b32_e32 v13, 0
	s_mov_b64 s[14:15], 0
	s_branch .LBB305_1406
.LBB305_1404:
	s_mov_b64 s[14:15], -1
                                        ; implicit-def: $vgpr12_vgpr13
	s_branch .LBB305_1409
.LBB305_1405:
	s_mov_b64 s[14:15], -1
                                        ; implicit-def: $vgpr12_vgpr13
.LBB305_1406:
	s_andn2_b64 vcc, exec, s[14:15]
	s_cbranch_vccnz .LBB305_1408
; %bb.1407:
	global_load_ushort v1, v[16:17], off
	s_mov_b32 s14, 0
	s_waitcnt vmcnt(1)
	v_mov_b32_e32 v13, s14
	s_waitcnt vmcnt(0)
	v_and_b32_e32 v12, 0xffff, v1
.LBB305_1408:
	s_mov_b64 s[14:15], 0
.LBB305_1409:
	s_andn2_b64 vcc, exec, s[14:15]
	s_cbranch_vccnz .LBB305_1415
; %bb.1410:
	global_load_ubyte v1, v[16:17], off
	s_movk_i32 s14, 0x7f
	s_mov_b64 s[16:17], 0
	s_waitcnt vmcnt(0)
	v_cmp_lt_i16_e32 vcc, s14, v1
	s_and_saveexec_b64 s[14:15], vcc
	s_xor_b64 s[14:15], exec, s[14:15]
	s_cbranch_execz .LBB305_1427
; %bb.1411:
	s_movk_i32 s16, 0x80
	v_cmp_ne_u16_e32 vcc, s16, v1
	s_and_b64 s[16:17], vcc, exec
	s_andn2_saveexec_b64 s[14:15], s[14:15]
	s_cbranch_execnz .LBB305_1428
.LBB305_1412:
	s_or_b64 exec, exec, s[14:15]
	v_mov_b64_e32 v[12:13], 0
	s_and_saveexec_b64 s[14:15], s[16:17]
	s_cbranch_execz .LBB305_1414
.LBB305_1413:
	v_lshlrev_b32_e32 v3, 24, v1
	v_and_b32_e32 v1, 0xffff, v1
	v_and_b32_e32 v5, 7, v1
	v_ffbh_u32_e32 v12, v5
	v_min_u32_e32 v12, 32, v12
	v_subrev_u32_e32 v13, 28, v12
	v_bfe_u32 v7, v1, 3, 4
	v_lshlrev_b32_e32 v1, v13, v1
	v_sub_u32_e32 v12, 29, v12
	v_and_b32_e32 v1, 7, v1
	v_cmp_eq_u32_e32 vcc, 0, v7
	v_and_b32_e32 v3, 0x80000000, v3
	s_mov_b32 s16, 0x2f800000
	v_cndmask_b32_e32 v7, v7, v12, vcc
	v_cndmask_b32_e32 v1, v5, v1, vcc
	v_mov_b32_e32 v5, 0x3b800000
	v_lshlrev_b32_e32 v1, 20, v1
	v_lshl_add_u32 v5, v7, 23, v5
	v_or3_b32 v1, v3, v5, v1
	v_trunc_f32_e32 v1, v1
	v_mul_f32_e64 v3, |v1|, s16
	v_floor_f32_e32 v3, v3
	s_mov_b32 s16, 0xcf800000
	v_fma_f32 v5, v3, s16, |v1|
	v_cvt_u32_f32_e32 v5, v5
	v_cvt_u32_f32_e32 v3, v3
	v_ashrrev_i32_e32 v1, 31, v1
	v_xor_b32_e32 v5, v5, v1
	v_xor_b32_e32 v3, v3, v1
	v_sub_co_u32_e32 v12, vcc, v5, v1
	s_nop 1
	v_subb_co_u32_e32 v13, vcc, v3, v1, vcc
.LBB305_1414:
	s_or_b64 exec, exec, s[14:15]
.LBB305_1415:
	s_mov_b64 s[14:15], -1
.LBB305_1416:
	s_mov_b64 s[16:17], 0
.LBB305_1417:
	s_and_b64 vcc, exec, s[16:17]
	s_cbranch_vccz .LBB305_1448
; %bb.1418:
	s_cmp_gt_i32 s19, 22
	s_cbranch_scc0 .LBB305_1426
; %bb.1419:
	s_cmp_lt_i32 s19, 24
	s_cbranch_scc1 .LBB305_1429
; %bb.1420:
	s_cmp_gt_i32 s19, 24
	s_cbranch_scc0 .LBB305_1430
; %bb.1421:
	global_load_ubyte v1, v[16:17], off
	s_movk_i32 s12, 0x7f
	s_mov_b64 s[14:15], 0
	s_waitcnt vmcnt(0)
	v_cmp_lt_i16_e32 vcc, s12, v1
	s_and_saveexec_b64 s[12:13], vcc
	s_xor_b64 s[12:13], exec, s[12:13]
	s_cbranch_execz .LBB305_1442
; %bb.1422:
	s_movk_i32 s14, 0x80
	v_cmp_ne_u16_e32 vcc, s14, v1
	s_and_b64 s[14:15], vcc, exec
	s_andn2_saveexec_b64 s[12:13], s[12:13]
	s_cbranch_execnz .LBB305_1443
.LBB305_1423:
	s_or_b64 exec, exec, s[12:13]
	v_mov_b64_e32 v[12:13], 0
	s_and_saveexec_b64 s[12:13], s[14:15]
	s_cbranch_execz .LBB305_1425
.LBB305_1424:
	v_lshlrev_b32_e32 v3, 24, v1
	v_and_b32_e32 v1, 0xffff, v1
	v_and_b32_e32 v5, 3, v1
	v_ffbh_u32_e32 v12, v5
	v_min_u32_e32 v12, 32, v12
	v_subrev_u32_e32 v13, 29, v12
	v_bfe_u32 v7, v1, 2, 5
	v_lshlrev_b32_e32 v1, v13, v1
	v_sub_u32_e32 v12, 30, v12
	v_and_b32_e32 v1, 3, v1
	v_cmp_eq_u32_e32 vcc, 0, v7
	v_and_b32_e32 v3, 0x80000000, v3
	s_mov_b32 s14, 0x2f800000
	v_cndmask_b32_e32 v7, v7, v12, vcc
	v_cndmask_b32_e32 v1, v5, v1, vcc
	v_mov_b32_e32 v5, 0x37800000
	v_lshlrev_b32_e32 v1, 21, v1
	v_lshl_add_u32 v5, v7, 23, v5
	v_or3_b32 v1, v3, v5, v1
	v_trunc_f32_e32 v1, v1
	v_mul_f32_e64 v3, |v1|, s14
	v_floor_f32_e32 v3, v3
	s_mov_b32 s14, 0xcf800000
	v_fma_f32 v5, v3, s14, |v1|
	v_cvt_u32_f32_e32 v5, v5
	v_cvt_u32_f32_e32 v3, v3
	v_ashrrev_i32_e32 v1, 31, v1
	v_xor_b32_e32 v5, v5, v1
	v_xor_b32_e32 v3, v3, v1
	v_sub_co_u32_e32 v12, vcc, v5, v1
	s_nop 1
	v_subb_co_u32_e32 v13, vcc, v3, v1, vcc
.LBB305_1425:
	s_or_b64 exec, exec, s[12:13]
	s_mov_b64 s[12:13], 0
	s_branch .LBB305_1431
.LBB305_1426:
	s_mov_b64 s[12:13], -1
                                        ; implicit-def: $vgpr12_vgpr13
	s_branch .LBB305_1437
.LBB305_1427:
	s_andn2_saveexec_b64 s[14:15], s[14:15]
	s_cbranch_execz .LBB305_1412
.LBB305_1428:
	v_cmp_ne_u16_e32 vcc, 0, v1
	s_andn2_b64 s[16:17], s[16:17], exec
	s_and_b64 s[20:21], vcc, exec
	s_or_b64 s[16:17], s[16:17], s[20:21]
	s_or_b64 exec, exec, s[14:15]
	v_mov_b64_e32 v[12:13], 0
	s_and_saveexec_b64 s[14:15], s[16:17]
	s_cbranch_execnz .LBB305_1413
	s_branch .LBB305_1414
.LBB305_1429:
	s_mov_b64 s[12:13], -1
                                        ; implicit-def: $vgpr12_vgpr13
	s_branch .LBB305_1434
.LBB305_1430:
	s_mov_b64 s[12:13], -1
                                        ; implicit-def: $vgpr12_vgpr13
.LBB305_1431:
	s_and_b64 vcc, exec, s[12:13]
	s_cbranch_vccz .LBB305_1433
; %bb.1432:
	global_load_ubyte v1, v[16:17], off
	s_mov_b32 s12, 0x7f800000
	s_brev_b32 s13, 1
	s_mov_b32 s14, 0x2f800000
	s_mov_b32 s15, 0xcf800000
	s_waitcnt vmcnt(0)
	v_lshlrev_b32_e32 v1, 24, v1
	v_and_b32_e32 v3, 0x7f000000, v1
	v_ffbh_u32_e32 v5, v3
	v_min_u32_e32 v5, 32, v5
	v_sub_u32_e64 v5, v5, 4 clamp
	v_lshlrev_b32_e32 v12, v5, v3
	v_lshlrev_b32_e32 v5, 23, v5
	v_lshrrev_b32_e32 v12, 4, v12
	v_add_u32_e32 v7, 0x1000000, v3
	v_sub_u32_e32 v5, v12, v5
	v_ashrrev_i32_e32 v7, 8, v7
	v_add_u32_e32 v5, 0x3c000000, v5
	v_and_or_b32 v5, v7, s12, v5
	v_cmp_ne_u32_e32 vcc, 0, v3
	s_nop 1
	v_cndmask_b32_e32 v3, 0, v5, vcc
	v_and_or_b32 v1, v1, s13, v3
	v_trunc_f32_e32 v1, v1
	v_mul_f32_e64 v3, |v1|, s14
	v_floor_f32_e32 v3, v3
	v_fma_f32 v5, v3, s15, |v1|
	v_cvt_u32_f32_e32 v5, v5
	v_cvt_u32_f32_e32 v3, v3
	v_ashrrev_i32_e32 v1, 31, v1
	v_xor_b32_e32 v5, v5, v1
	v_xor_b32_e32 v3, v3, v1
	v_sub_co_u32_e32 v12, vcc, v5, v1
	s_nop 1
	v_subb_co_u32_e32 v13, vcc, v3, v1, vcc
.LBB305_1433:
	s_mov_b64 s[12:13], 0
.LBB305_1434:
	s_andn2_b64 vcc, exec, s[12:13]
	s_cbranch_vccnz .LBB305_1436
; %bb.1435:
	global_load_ubyte v1, v[16:17], off
	s_movk_i32 s12, 0x7f00
	s_brev_b32 s13, 16
	s_brev_b32 s14, 1
	s_mov_b32 s15, 0x2f800000
	s_mov_b32 s16, 0xcf800000
	s_waitcnt vmcnt(0)
	v_lshlrev_b16_e32 v3, 8, v1
	v_lshlrev_b32_e32 v1, 25, v1
	v_lshrrev_b32_e32 v5, 4, v1
	v_and_or_b32 v7, v3, s12, 0.5
	v_or_b32_e32 v5, 0x70000000, v5
	v_add_f32_e32 v7, -0.5, v7
	v_mul_f32_e32 v5, 0x7800000, v5
	v_cmp_gt_u32_e32 vcc, s13, v1
	v_bfe_i32 v3, v3, 0, 16
	s_nop 0
	v_cndmask_b32_e32 v1, v5, v7, vcc
	v_and_or_b32 v1, v3, s14, v1
	v_trunc_f32_e32 v1, v1
	v_mul_f32_e64 v3, |v1|, s15
	v_floor_f32_e32 v3, v3
	v_fma_f32 v5, v3, s16, |v1|
	v_cvt_u32_f32_e32 v5, v5
	v_cvt_u32_f32_e32 v3, v3
	v_ashrrev_i32_e32 v1, 31, v1
	v_xor_b32_e32 v5, v5, v1
	v_xor_b32_e32 v3, v3, v1
	v_sub_co_u32_e32 v12, vcc, v5, v1
	s_nop 1
	v_subb_co_u32_e32 v13, vcc, v3, v1, vcc
.LBB305_1436:
	s_mov_b64 s[12:13], 0
	s_mov_b64 s[14:15], -1
.LBB305_1437:
	s_andn2_b64 vcc, exec, s[12:13]
	s_mov_b64 s[12:13], 0
	s_cbranch_vccnz .LBB305_1448
; %bb.1438:
	s_cmp_gt_i32 s19, 14
	s_cbranch_scc0 .LBB305_1441
; %bb.1439:
	s_cmp_eq_u32 s19, 15
	s_cbranch_scc0 .LBB305_1444
; %bb.1440:
	global_load_ushort v1, v[16:17], off
	s_mov_b32 s0, 0x2f800000
	s_mov_b32 s1, 0xcf800000
	s_mov_b64 s[14:15], -1
	s_waitcnt vmcnt(0)
	v_lshlrev_b32_e32 v1, 16, v1
	v_trunc_f32_e32 v1, v1
	v_mul_f32_e64 v3, |v1|, s0
	v_floor_f32_e32 v3, v3
	v_fma_f32 v5, v3, s1, |v1|
	v_cvt_u32_f32_e32 v5, v5
	v_cvt_u32_f32_e32 v3, v3
	v_ashrrev_i32_e32 v1, 31, v1
	s_mov_b64 s[0:1], 0
	v_xor_b32_e32 v5, v5, v1
	v_xor_b32_e32 v3, v3, v1
	v_sub_co_u32_e32 v12, vcc, v5, v1
	s_nop 1
	v_subb_co_u32_e32 v13, vcc, v3, v1, vcc
	s_branch .LBB305_1445
.LBB305_1441:
	s_mov_b64 s[16:17], -1
                                        ; implicit-def: $vgpr12_vgpr13
	s_branch .LBB305_1446
.LBB305_1442:
	s_andn2_saveexec_b64 s[12:13], s[12:13]
	s_cbranch_execz .LBB305_1423
.LBB305_1443:
	v_cmp_ne_u16_e32 vcc, 0, v1
	s_andn2_b64 s[14:15], s[14:15], exec
	s_and_b64 s[16:17], vcc, exec
	s_or_b64 s[14:15], s[14:15], s[16:17]
	s_or_b64 exec, exec, s[12:13]
	v_mov_b64_e32 v[12:13], 0
	s_and_saveexec_b64 s[12:13], s[14:15]
	s_cbranch_execnz .LBB305_1424
	s_branch .LBB305_1425
.LBB305_1444:
	s_mov_b64 s[0:1], -1
                                        ; implicit-def: $vgpr12_vgpr13
.LBB305_1445:
	s_mov_b64 s[16:17], 0
.LBB305_1446:
	s_and_b64 vcc, exec, s[16:17]
	s_cbranch_vccz .LBB305_1448
; %bb.1447:
	s_cmp_lg_u32 s19, 11
	s_mov_b64 s[12:13], -1
	s_cselect_b64 s[0:1], -1, 0
.LBB305_1448:
	s_and_b64 vcc, exec, s[0:1]
	s_cbranch_vccnz .LBB305_1511
; %bb.1449:
	s_andn2_b64 vcc, exec, s[12:13]
	s_cbranch_vccnz .LBB305_1451
.LBB305_1450:
	global_load_ubyte v1, v[16:17], off
	s_mov_b32 s0, 0
	s_waitcnt vmcnt(1)
	v_mov_b32_e32 v13, s0
	s_mov_b64 s[14:15], -1
	s_waitcnt vmcnt(0)
	v_cmp_ne_u16_e32 vcc, 0, v1
	s_nop 1
	v_cndmask_b32_e64 v12, 0, 1, vcc
.LBB305_1451:
	s_branch .LBB305_1383
.LBB305_1452:
	s_and_b32 s12, 0xffff, s18
	s_cmp_lt_i32 s12, 5
	s_cbranch_scc1 .LBB305_1457
; %bb.1453:
	s_cmp_lt_i32 s12, 8
	s_cbranch_scc1 .LBB305_1458
; %bb.1454:
	;; [unrolled: 3-line block ×3, first 2 shown]
	s_cmp_gt_i32 s12, 9
	s_cbranch_scc0 .LBB305_1460
; %bb.1456:
	global_load_dwordx2 v[12:13], v[16:17], off
	s_movk_i32 s0, 0xffe0
	s_waitcnt vmcnt(0)
	v_trunc_f64_e32 v[18:19], v[12:13]
	v_ldexp_f64 v[12:13], v[18:19], s0
	v_floor_f64_e32 v[20:21], v[12:13]
	v_fmac_f64_e32 v[18:19], 0xc1f00000, v[20:21]
	v_cvt_i32_f64_e32 v13, v[20:21]
	v_cvt_u32_f64_e32 v12, v[18:19]
	s_mov_b64 s[0:1], 0
	s_branch .LBB305_1461
.LBB305_1457:
	s_mov_b64 s[0:1], -1
                                        ; implicit-def: $vgpr12_vgpr13
	s_branch .LBB305_1479
.LBB305_1458:
	s_mov_b64 s[0:1], -1
                                        ; implicit-def: $vgpr12_vgpr13
	s_branch .LBB305_1467
.LBB305_1459:
	s_mov_b64 s[0:1], -1
                                        ; implicit-def: $vgpr12_vgpr13
	s_branch .LBB305_1464
.LBB305_1460:
	s_mov_b64 s[0:1], -1
                                        ; implicit-def: $vgpr12_vgpr13
.LBB305_1461:
	s_andn2_b64 vcc, exec, s[0:1]
	s_cbranch_vccnz .LBB305_1463
; %bb.1462:
	global_load_dword v1, v[16:17], off
	s_mov_b32 s0, 0x2f800000
	s_mov_b32 s1, 0xcf800000
	s_waitcnt vmcnt(0)
	v_trunc_f32_e32 v1, v1
	v_mul_f32_e64 v3, |v1|, s0
	v_floor_f32_e32 v3, v3
	v_cvt_u32_f32_e32 v5, v3
	v_fma_f32 v3, v3, s1, |v1|
	v_cvt_u32_f32_e32 v3, v3
	v_ashrrev_i32_e32 v1, 31, v1
	v_xor_b32_e32 v5, v5, v1
	v_xor_b32_e32 v3, v3, v1
	v_sub_co_u32_e32 v12, vcc, v3, v1
	s_nop 1
	v_subb_co_u32_e32 v13, vcc, v5, v1, vcc
.LBB305_1463:
	s_mov_b64 s[0:1], 0
.LBB305_1464:
	s_andn2_b64 vcc, exec, s[0:1]
	s_cbranch_vccnz .LBB305_1466
; %bb.1465:
	global_load_dword v1, v[16:17], off
	s_waitcnt vmcnt(0)
	v_cvt_f32_f16_e32 v1, v1
	v_cvt_i32_f32_e32 v12, v1
	v_ashrrev_i32_e32 v13, 31, v12
.LBB305_1466:
	s_mov_b64 s[0:1], 0
.LBB305_1467:
	s_andn2_b64 vcc, exec, s[0:1]
	s_cbranch_vccnz .LBB305_1478
; %bb.1468:
	s_cmp_lt_i32 s12, 6
	s_cbranch_scc1 .LBB305_1471
; %bb.1469:
	s_cmp_gt_i32 s12, 6
	s_cbranch_scc0 .LBB305_1472
; %bb.1470:
	global_load_dwordx2 v[12:13], v[16:17], off
	s_movk_i32 s0, 0xffe0
	s_waitcnt vmcnt(0)
	v_trunc_f64_e32 v[18:19], v[12:13]
	v_ldexp_f64 v[12:13], v[18:19], s0
	v_floor_f64_e32 v[20:21], v[12:13]
	v_fmac_f64_e32 v[18:19], 0xc1f00000, v[20:21]
	v_cvt_i32_f64_e32 v13, v[20:21]
	v_cvt_u32_f64_e32 v12, v[18:19]
	s_mov_b64 s[0:1], 0
	s_branch .LBB305_1473
.LBB305_1471:
	s_mov_b64 s[0:1], -1
                                        ; implicit-def: $vgpr12_vgpr13
	s_branch .LBB305_1476
.LBB305_1472:
	s_mov_b64 s[0:1], -1
                                        ; implicit-def: $vgpr12_vgpr13
.LBB305_1473:
	s_andn2_b64 vcc, exec, s[0:1]
	s_cbranch_vccnz .LBB305_1475
; %bb.1474:
	global_load_dword v1, v[16:17], off
	s_mov_b32 s0, 0x2f800000
	s_mov_b32 s1, 0xcf800000
	s_waitcnt vmcnt(0)
	v_trunc_f32_e32 v1, v1
	v_mul_f32_e64 v3, |v1|, s0
	v_floor_f32_e32 v3, v3
	v_cvt_u32_f32_e32 v5, v3
	v_fma_f32 v3, v3, s1, |v1|
	v_cvt_u32_f32_e32 v3, v3
	v_ashrrev_i32_e32 v1, 31, v1
	v_xor_b32_e32 v5, v5, v1
	v_xor_b32_e32 v3, v3, v1
	v_sub_co_u32_e32 v12, vcc, v3, v1
	s_nop 1
	v_subb_co_u32_e32 v13, vcc, v5, v1, vcc
.LBB305_1475:
	s_mov_b64 s[0:1], 0
.LBB305_1476:
	s_andn2_b64 vcc, exec, s[0:1]
	s_cbranch_vccnz .LBB305_1478
; %bb.1477:
	global_load_ushort v1, v[16:17], off
	s_waitcnt vmcnt(0)
	v_cvt_f32_f16_e32 v1, v1
	v_cvt_i32_f32_e32 v12, v1
	v_ashrrev_i32_e32 v13, 31, v12
.LBB305_1478:
	s_mov_b64 s[0:1], 0
.LBB305_1479:
	s_andn2_b64 vcc, exec, s[0:1]
	s_cbranch_vccnz .LBB305_1499
; %bb.1480:
	s_cmp_lt_i32 s12, 2
	s_cbranch_scc1 .LBB305_1484
; %bb.1481:
	s_cmp_lt_i32 s12, 3
	s_cbranch_scc1 .LBB305_1485
; %bb.1482:
	s_cmp_gt_i32 s12, 3
	s_cbranch_scc0 .LBB305_1486
; %bb.1483:
	global_load_dwordx2 v[12:13], v[16:17], off
	s_mov_b64 s[0:1], 0
	s_branch .LBB305_1487
.LBB305_1484:
	s_mov_b64 s[0:1], -1
                                        ; implicit-def: $vgpr12_vgpr13
	s_branch .LBB305_1493
.LBB305_1485:
	s_mov_b64 s[0:1], -1
                                        ; implicit-def: $vgpr12_vgpr13
	s_branch .LBB305_1490
.LBB305_1486:
	s_mov_b64 s[0:1], -1
                                        ; implicit-def: $vgpr12_vgpr13
.LBB305_1487:
	s_andn2_b64 vcc, exec, s[0:1]
	s_cbranch_vccnz .LBB305_1489
; %bb.1488:
	global_load_dword v12, v[16:17], off
	s_waitcnt vmcnt(0)
	v_ashrrev_i32_e32 v13, 31, v12
.LBB305_1489:
	s_mov_b64 s[0:1], 0
.LBB305_1490:
	s_andn2_b64 vcc, exec, s[0:1]
	s_cbranch_vccnz .LBB305_1492
; %bb.1491:
	global_load_ushort v1, v[16:17], off
	s_waitcnt vmcnt(0)
	v_bfe_i32 v12, v1, 0, 16
	v_ashrrev_i32_e32 v13, 31, v12
.LBB305_1492:
	s_mov_b64 s[0:1], 0
.LBB305_1493:
	s_andn2_b64 vcc, exec, s[0:1]
	s_cbranch_vccnz .LBB305_1499
; %bb.1494:
	s_cmp_gt_i32 s12, 0
	s_cbranch_scc0 .LBB305_1496
; %bb.1495:
	global_load_sbyte v1, v[16:17], off
	s_mov_b64 s[0:1], 0
	s_waitcnt vmcnt(0)
	v_bfe_i32 v12, v1, 0, 16
	v_ashrrev_i32_e32 v13, 31, v12
	s_branch .LBB305_1497
.LBB305_1496:
	s_mov_b64 s[0:1], -1
                                        ; implicit-def: $vgpr12_vgpr13
.LBB305_1497:
	s_andn2_b64 vcc, exec, s[0:1]
	s_cbranch_vccnz .LBB305_1499
; %bb.1498:
	global_load_ubyte v1, v[16:17], off
	s_mov_b32 s0, 0
	s_waitcnt vmcnt(1)
	v_mov_b32_e32 v13, s0
	s_waitcnt vmcnt(0)
	v_and_b32_e32 v12, 0xffff, v1
.LBB305_1499:
.LBB305_1500:
	v_mov_b32_e32 v15, 0
	s_cmp_lt_i32 s18, 11
	v_lshl_add_u64 v[16:17], s[6:7], 0, v[14:15]
	s_cbranch_scc1 .LBB305_1507
; %bb.1501:
	s_and_b32 s16, 0xffff, s18
	s_cmp_gt_i32 s16, 25
	s_mov_b64 s[6:7], 0
	s_cbranch_scc0 .LBB305_1508
; %bb.1502:
	s_cmp_gt_i32 s16, 28
	s_cbranch_scc0 .LBB305_1509
; %bb.1503:
	s_cmp_gt_i32 s16, 43
	;; [unrolled: 3-line block ×3, first 2 shown]
	s_cbranch_scc0 .LBB305_1512
; %bb.1505:
	s_cmp_eq_u32 s16, 46
	s_mov_b64 s[14:15], 0
	s_cbranch_scc0 .LBB305_1513
; %bb.1506:
	global_load_dword v1, v[16:17], off
	s_mov_b32 s0, 0x2f800000
	s_mov_b32 s1, 0xcf800000
	s_mov_b64 s[12:13], -1
	s_waitcnt vmcnt(0)
	v_lshlrev_b32_e32 v1, 16, v1
	v_trunc_f32_e32 v1, v1
	v_mul_f32_e64 v3, |v1|, s0
	v_floor_f32_e32 v3, v3
	v_fma_f32 v5, v3, s1, |v1|
	v_cvt_u32_f32_e32 v5, v5
	v_cvt_u32_f32_e32 v3, v3
	v_ashrrev_i32_e32 v1, 31, v1
	s_mov_b64 s[0:1], 0
	v_xor_b32_e32 v5, v5, v1
	v_xor_b32_e32 v3, v3, v1
	v_sub_co_u32_e32 v14, vcc, v5, v1
	s_nop 1
	v_subb_co_u32_e32 v15, vcc, v3, v1, vcc
	s_branch .LBB305_1514
.LBB305_1507:
	s_mov_b64 s[0:1], -1
	s_mov_b64 s[12:13], 0
                                        ; implicit-def: $vgpr14_vgpr15
	s_branch .LBB305_1576
.LBB305_1508:
	s_mov_b64 s[14:15], -1
	s_mov_b64 s[12:13], 0
	s_mov_b64 s[0:1], 0
                                        ; implicit-def: $vgpr14_vgpr15
	s_branch .LBB305_1541
.LBB305_1509:
	s_mov_b64 s[14:15], -1
	s_mov_b64 s[12:13], 0
	s_mov_b64 s[0:1], 0
                                        ; implicit-def: $vgpr14_vgpr15
	s_branch .LBB305_1524
.LBB305_1510:
	s_mov_b64 s[14:15], -1
	s_mov_b64 s[12:13], 0
	s_mov_b64 s[0:1], 0
                                        ; implicit-def: $vgpr14_vgpr15
	s_branch .LBB305_1519
.LBB305_1511:
	s_trap 2
	s_or_b64 s[2:3], s[2:3], exec
	s_cbranch_execz .LBB305_1450
	s_branch .LBB305_1451
.LBB305_1512:
	s_mov_b64 s[14:15], -1
	s_mov_b64 s[12:13], 0
	s_mov_b64 s[0:1], 0
                                        ; implicit-def: $vgpr14_vgpr15
	s_branch .LBB305_1514
.LBB305_1513:
	s_mov_b64 s[0:1], -1
                                        ; implicit-def: $vgpr14_vgpr15
	s_mov_b64 s[12:13], 0
.LBB305_1514:
	s_and_b64 vcc, exec, s[14:15]
	s_cbranch_vccz .LBB305_1518
; %bb.1515:
	s_cmp_eq_u32 s16, 44
	s_cbranch_scc0 .LBB305_1517
; %bb.1516:
	global_load_ubyte v1, v[16:17], off
	s_mov_b32 s0, 0x2f800000
	s_mov_b32 s1, 0xcf800000
	s_mov_b64 s[12:13], -1
	s_waitcnt vmcnt(0)
	v_lshlrev_b32_e32 v3, 23, v1
	v_trunc_f32_e32 v3, v3
	v_mul_f32_e64 v5, |v3|, s0
	v_floor_f32_e32 v5, v5
	v_fma_f32 v7, v5, s1, |v3|
	v_cvt_u32_f32_e32 v7, v7
	v_cvt_u32_f32_e32 v5, v5
	v_ashrrev_i32_e32 v3, 31, v3
	s_mov_b64 s[0:1], 0
	v_xor_b32_e32 v7, v7, v3
	v_xor_b32_e32 v5, v5, v3
	v_sub_co_u32_e32 v7, vcc, v7, v3
	s_nop 1
	v_subb_co_u32_e32 v3, vcc, v5, v3, vcc
	v_cmp_ne_u32_e32 vcc, 0, v1
	s_nop 1
	v_cndmask_b32_e32 v15, 0, v3, vcc
	v_cndmask_b32_e32 v14, 0, v7, vcc
	s_branch .LBB305_1518
.LBB305_1517:
	s_mov_b64 s[0:1], -1
                                        ; implicit-def: $vgpr14_vgpr15
.LBB305_1518:
	s_mov_b64 s[14:15], 0
.LBB305_1519:
	s_and_b64 vcc, exec, s[14:15]
	s_cbranch_vccz .LBB305_1523
; %bb.1520:
	s_cmp_eq_u32 s16, 29
	s_cbranch_scc0 .LBB305_1522
; %bb.1521:
	global_load_dwordx2 v[14:15], v[16:17], off
	s_mov_b64 s[0:1], 0
	s_mov_b64 s[12:13], -1
	s_branch .LBB305_1523
.LBB305_1522:
	s_mov_b64 s[0:1], -1
                                        ; implicit-def: $vgpr14_vgpr15
.LBB305_1523:
	s_mov_b64 s[14:15], 0
.LBB305_1524:
	s_and_b64 vcc, exec, s[14:15]
	s_cbranch_vccz .LBB305_1540
; %bb.1525:
	s_cmp_lt_i32 s16, 27
	s_cbranch_scc1 .LBB305_1528
; %bb.1526:
	s_cmp_gt_i32 s16, 27
	s_cbranch_scc0 .LBB305_1529
; %bb.1527:
	global_load_dword v14, v[16:17], off
	s_waitcnt vmcnt(1)
	v_mov_b32_e32 v15, 0
	s_mov_b64 s[12:13], 0
	s_branch .LBB305_1530
.LBB305_1528:
	s_mov_b64 s[12:13], -1
                                        ; implicit-def: $vgpr14_vgpr15
	s_branch .LBB305_1533
.LBB305_1529:
	s_mov_b64 s[12:13], -1
                                        ; implicit-def: $vgpr14_vgpr15
.LBB305_1530:
	s_andn2_b64 vcc, exec, s[12:13]
	s_cbranch_vccnz .LBB305_1532
; %bb.1531:
	global_load_ushort v1, v[16:17], off
	s_mov_b32 s12, 0
	s_waitcnt vmcnt(1)
	v_mov_b32_e32 v15, s12
	s_waitcnt vmcnt(0)
	v_and_b32_e32 v14, 0xffff, v1
.LBB305_1532:
	s_mov_b64 s[12:13], 0
.LBB305_1533:
	s_andn2_b64 vcc, exec, s[12:13]
	s_cbranch_vccnz .LBB305_1539
; %bb.1534:
	global_load_ubyte v1, v[16:17], off
	s_movk_i32 s12, 0x7f
	s_mov_b64 s[14:15], 0
	s_waitcnt vmcnt(0)
	v_cmp_lt_i16_e32 vcc, s12, v1
	s_and_saveexec_b64 s[12:13], vcc
	s_xor_b64 s[12:13], exec, s[12:13]
	s_cbranch_execz .LBB305_1551
; %bb.1535:
	s_movk_i32 s14, 0x80
	v_cmp_ne_u16_e32 vcc, s14, v1
	s_and_b64 s[14:15], vcc, exec
	s_andn2_saveexec_b64 s[12:13], s[12:13]
	s_cbranch_execnz .LBB305_1552
.LBB305_1536:
	s_or_b64 exec, exec, s[12:13]
	v_mov_b64_e32 v[14:15], 0
	s_and_saveexec_b64 s[12:13], s[14:15]
	s_cbranch_execz .LBB305_1538
.LBB305_1537:
	v_lshlrev_b32_e32 v3, 24, v1
	v_and_b32_e32 v1, 0xffff, v1
	v_and_b32_e32 v5, 7, v1
	v_ffbh_u32_e32 v14, v5
	v_min_u32_e32 v14, 32, v14
	v_subrev_u32_e32 v15, 28, v14
	v_bfe_u32 v7, v1, 3, 4
	v_lshlrev_b32_e32 v1, v15, v1
	v_sub_u32_e32 v14, 29, v14
	v_and_b32_e32 v1, 7, v1
	v_cmp_eq_u32_e32 vcc, 0, v7
	v_and_b32_e32 v3, 0x80000000, v3
	s_mov_b32 s14, 0x2f800000
	v_cndmask_b32_e32 v7, v7, v14, vcc
	v_cndmask_b32_e32 v1, v5, v1, vcc
	v_mov_b32_e32 v5, 0x3b800000
	v_lshlrev_b32_e32 v1, 20, v1
	v_lshl_add_u32 v5, v7, 23, v5
	v_or3_b32 v1, v3, v5, v1
	v_trunc_f32_e32 v1, v1
	v_mul_f32_e64 v3, |v1|, s14
	v_floor_f32_e32 v3, v3
	s_mov_b32 s14, 0xcf800000
	v_fma_f32 v5, v3, s14, |v1|
	v_cvt_u32_f32_e32 v5, v5
	v_cvt_u32_f32_e32 v3, v3
	v_ashrrev_i32_e32 v1, 31, v1
	v_xor_b32_e32 v5, v5, v1
	v_xor_b32_e32 v3, v3, v1
	v_sub_co_u32_e32 v14, vcc, v5, v1
	s_nop 1
	v_subb_co_u32_e32 v15, vcc, v3, v1, vcc
.LBB305_1538:
	s_or_b64 exec, exec, s[12:13]
.LBB305_1539:
	s_mov_b64 s[12:13], -1
.LBB305_1540:
	s_mov_b64 s[14:15], 0
.LBB305_1541:
	s_and_b64 vcc, exec, s[14:15]
	s_cbranch_vccz .LBB305_1572
; %bb.1542:
	s_cmp_gt_i32 s16, 22
	s_cbranch_scc0 .LBB305_1550
; %bb.1543:
	s_cmp_lt_i32 s16, 24
	s_cbranch_scc1 .LBB305_1553
; %bb.1544:
	s_cmp_gt_i32 s16, 24
	s_cbranch_scc0 .LBB305_1554
; %bb.1545:
	global_load_ubyte v1, v[16:17], off
	s_movk_i32 s6, 0x7f
	s_mov_b64 s[12:13], 0
	s_waitcnt vmcnt(0)
	v_cmp_lt_i16_e32 vcc, s6, v1
	s_and_saveexec_b64 s[6:7], vcc
	s_xor_b64 s[6:7], exec, s[6:7]
	s_cbranch_execz .LBB305_1566
; %bb.1546:
	s_movk_i32 s12, 0x80
	v_cmp_ne_u16_e32 vcc, s12, v1
	s_and_b64 s[12:13], vcc, exec
	s_andn2_saveexec_b64 s[6:7], s[6:7]
	s_cbranch_execnz .LBB305_1567
.LBB305_1547:
	s_or_b64 exec, exec, s[6:7]
	v_mov_b64_e32 v[14:15], 0
	s_and_saveexec_b64 s[6:7], s[12:13]
	s_cbranch_execz .LBB305_1549
.LBB305_1548:
	v_lshlrev_b32_e32 v3, 24, v1
	v_and_b32_e32 v1, 0xffff, v1
	v_and_b32_e32 v5, 3, v1
	v_ffbh_u32_e32 v14, v5
	v_min_u32_e32 v14, 32, v14
	v_subrev_u32_e32 v15, 29, v14
	v_bfe_u32 v7, v1, 2, 5
	v_lshlrev_b32_e32 v1, v15, v1
	v_sub_u32_e32 v14, 30, v14
	v_and_b32_e32 v1, 3, v1
	v_cmp_eq_u32_e32 vcc, 0, v7
	v_and_b32_e32 v3, 0x80000000, v3
	s_mov_b32 s12, 0x2f800000
	v_cndmask_b32_e32 v7, v7, v14, vcc
	v_cndmask_b32_e32 v1, v5, v1, vcc
	v_mov_b32_e32 v5, 0x37800000
	v_lshlrev_b32_e32 v1, 21, v1
	v_lshl_add_u32 v5, v7, 23, v5
	v_or3_b32 v1, v3, v5, v1
	v_trunc_f32_e32 v1, v1
	v_mul_f32_e64 v3, |v1|, s12
	v_floor_f32_e32 v3, v3
	s_mov_b32 s12, 0xcf800000
	v_fma_f32 v5, v3, s12, |v1|
	v_cvt_u32_f32_e32 v5, v5
	v_cvt_u32_f32_e32 v3, v3
	v_ashrrev_i32_e32 v1, 31, v1
	v_xor_b32_e32 v5, v5, v1
	v_xor_b32_e32 v3, v3, v1
	v_sub_co_u32_e32 v14, vcc, v5, v1
	s_nop 1
	v_subb_co_u32_e32 v15, vcc, v3, v1, vcc
.LBB305_1549:
	s_or_b64 exec, exec, s[6:7]
	s_mov_b64 s[6:7], 0
	s_branch .LBB305_1555
.LBB305_1550:
	s_mov_b64 s[6:7], -1
                                        ; implicit-def: $vgpr14_vgpr15
	s_branch .LBB305_1561
.LBB305_1551:
	s_andn2_saveexec_b64 s[12:13], s[12:13]
	s_cbranch_execz .LBB305_1536
.LBB305_1552:
	v_cmp_ne_u16_e32 vcc, 0, v1
	s_andn2_b64 s[14:15], s[14:15], exec
	s_and_b64 s[20:21], vcc, exec
	s_or_b64 s[14:15], s[14:15], s[20:21]
	s_or_b64 exec, exec, s[12:13]
	v_mov_b64_e32 v[14:15], 0
	s_and_saveexec_b64 s[12:13], s[14:15]
	s_cbranch_execnz .LBB305_1537
	s_branch .LBB305_1538
.LBB305_1553:
	s_mov_b64 s[6:7], -1
                                        ; implicit-def: $vgpr14_vgpr15
	s_branch .LBB305_1558
.LBB305_1554:
	s_mov_b64 s[6:7], -1
                                        ; implicit-def: $vgpr14_vgpr15
.LBB305_1555:
	s_and_b64 vcc, exec, s[6:7]
	s_cbranch_vccz .LBB305_1557
; %bb.1556:
	global_load_ubyte v1, v[16:17], off
	s_mov_b32 s6, 0x7f800000
	s_brev_b32 s7, 1
	s_mov_b32 s12, 0x2f800000
	s_mov_b32 s13, 0xcf800000
	s_waitcnt vmcnt(0)
	v_lshlrev_b32_e32 v1, 24, v1
	v_and_b32_e32 v3, 0x7f000000, v1
	v_ffbh_u32_e32 v5, v3
	v_min_u32_e32 v5, 32, v5
	v_sub_u32_e64 v5, v5, 4 clamp
	v_lshlrev_b32_e32 v14, v5, v3
	v_lshlrev_b32_e32 v5, 23, v5
	v_lshrrev_b32_e32 v14, 4, v14
	v_add_u32_e32 v7, 0x1000000, v3
	v_sub_u32_e32 v5, v14, v5
	v_ashrrev_i32_e32 v7, 8, v7
	v_add_u32_e32 v5, 0x3c000000, v5
	v_and_or_b32 v5, v7, s6, v5
	v_cmp_ne_u32_e32 vcc, 0, v3
	s_nop 1
	v_cndmask_b32_e32 v3, 0, v5, vcc
	v_and_or_b32 v1, v1, s7, v3
	v_trunc_f32_e32 v1, v1
	v_mul_f32_e64 v3, |v1|, s12
	v_floor_f32_e32 v3, v3
	v_fma_f32 v5, v3, s13, |v1|
	v_cvt_u32_f32_e32 v5, v5
	v_cvt_u32_f32_e32 v3, v3
	v_ashrrev_i32_e32 v1, 31, v1
	v_xor_b32_e32 v5, v5, v1
	v_xor_b32_e32 v3, v3, v1
	v_sub_co_u32_e32 v14, vcc, v5, v1
	s_nop 1
	v_subb_co_u32_e32 v15, vcc, v3, v1, vcc
.LBB305_1557:
	s_mov_b64 s[6:7], 0
.LBB305_1558:
	s_andn2_b64 vcc, exec, s[6:7]
	s_cbranch_vccnz .LBB305_1560
; %bb.1559:
	global_load_ubyte v1, v[16:17], off
	s_movk_i32 s6, 0x7f00
	s_brev_b32 s7, 16
	s_brev_b32 s12, 1
	s_mov_b32 s13, 0x2f800000
	s_mov_b32 s14, 0xcf800000
	s_waitcnt vmcnt(0)
	v_lshlrev_b16_e32 v3, 8, v1
	v_lshlrev_b32_e32 v1, 25, v1
	v_lshrrev_b32_e32 v5, 4, v1
	v_and_or_b32 v7, v3, s6, 0.5
	v_or_b32_e32 v5, 0x70000000, v5
	v_add_f32_e32 v7, -0.5, v7
	v_mul_f32_e32 v5, 0x7800000, v5
	v_cmp_gt_u32_e32 vcc, s7, v1
	v_bfe_i32 v3, v3, 0, 16
	s_nop 0
	v_cndmask_b32_e32 v1, v5, v7, vcc
	v_and_or_b32 v1, v3, s12, v1
	v_trunc_f32_e32 v1, v1
	v_mul_f32_e64 v3, |v1|, s13
	v_floor_f32_e32 v3, v3
	v_fma_f32 v5, v3, s14, |v1|
	v_cvt_u32_f32_e32 v5, v5
	v_cvt_u32_f32_e32 v3, v3
	v_ashrrev_i32_e32 v1, 31, v1
	v_xor_b32_e32 v5, v5, v1
	v_xor_b32_e32 v3, v3, v1
	v_sub_co_u32_e32 v14, vcc, v5, v1
	s_nop 1
	v_subb_co_u32_e32 v15, vcc, v3, v1, vcc
.LBB305_1560:
	s_mov_b64 s[6:7], 0
	s_mov_b64 s[12:13], -1
.LBB305_1561:
	s_andn2_b64 vcc, exec, s[6:7]
	s_mov_b64 s[6:7], 0
	s_cbranch_vccnz .LBB305_1572
; %bb.1562:
	s_cmp_gt_i32 s16, 14
	s_cbranch_scc0 .LBB305_1565
; %bb.1563:
	s_cmp_eq_u32 s16, 15
	s_cbranch_scc0 .LBB305_1568
; %bb.1564:
	global_load_ushort v1, v[16:17], off
	s_mov_b32 s0, 0x2f800000
	s_mov_b32 s1, 0xcf800000
	s_mov_b64 s[12:13], -1
	s_waitcnt vmcnt(0)
	v_lshlrev_b32_e32 v1, 16, v1
	v_trunc_f32_e32 v1, v1
	v_mul_f32_e64 v3, |v1|, s0
	v_floor_f32_e32 v3, v3
	v_fma_f32 v5, v3, s1, |v1|
	v_cvt_u32_f32_e32 v5, v5
	v_cvt_u32_f32_e32 v3, v3
	v_ashrrev_i32_e32 v1, 31, v1
	s_mov_b64 s[0:1], 0
	v_xor_b32_e32 v5, v5, v1
	v_xor_b32_e32 v3, v3, v1
	v_sub_co_u32_e32 v14, vcc, v5, v1
	s_nop 1
	v_subb_co_u32_e32 v15, vcc, v3, v1, vcc
	s_branch .LBB305_1569
.LBB305_1565:
	s_mov_b64 s[14:15], -1
                                        ; implicit-def: $vgpr14_vgpr15
	s_branch .LBB305_1570
.LBB305_1566:
	s_andn2_saveexec_b64 s[6:7], s[6:7]
	s_cbranch_execz .LBB305_1547
.LBB305_1567:
	v_cmp_ne_u16_e32 vcc, 0, v1
	s_andn2_b64 s[12:13], s[12:13], exec
	s_and_b64 s[14:15], vcc, exec
	s_or_b64 s[12:13], s[12:13], s[14:15]
	s_or_b64 exec, exec, s[6:7]
	v_mov_b64_e32 v[14:15], 0
	s_and_saveexec_b64 s[6:7], s[12:13]
	s_cbranch_execnz .LBB305_1548
	s_branch .LBB305_1549
.LBB305_1568:
	s_mov_b64 s[0:1], -1
                                        ; implicit-def: $vgpr14_vgpr15
.LBB305_1569:
	s_mov_b64 s[14:15], 0
.LBB305_1570:
	s_and_b64 vcc, exec, s[14:15]
	s_cbranch_vccz .LBB305_1572
; %bb.1571:
	s_cmp_lg_u32 s16, 11
	s_mov_b64 s[6:7], -1
	s_cselect_b64 s[0:1], -1, 0
.LBB305_1572:
	s_and_b64 vcc, exec, s[0:1]
	s_cbranch_vccnz .LBB305_2105
; %bb.1573:
	s_andn2_b64 vcc, exec, s[6:7]
	s_cbranch_vccnz .LBB305_1575
.LBB305_1574:
	global_load_ubyte v1, v[16:17], off
	s_mov_b32 s0, 0
	s_waitcnt vmcnt(1)
	v_mov_b32_e32 v15, s0
	s_mov_b64 s[12:13], -1
	s_waitcnt vmcnt(0)
	v_cmp_ne_u16_e32 vcc, 0, v1
	s_nop 1
	v_cndmask_b32_e64 v14, 0, 1, vcc
.LBB305_1575:
	s_mov_b64 s[0:1], 0
.LBB305_1576:
	s_and_b64 vcc, exec, s[0:1]
	s_cbranch_vccz .LBB305_1625
; %bb.1577:
	s_and_b32 s6, 0xffff, s18
	s_cmp_lt_i32 s6, 5
	s_cbranch_scc1 .LBB305_1582
; %bb.1578:
	s_cmp_lt_i32 s6, 8
	s_cbranch_scc1 .LBB305_1583
; %bb.1579:
	s_cmp_lt_i32 s6, 9
	s_cbranch_scc1 .LBB305_1584
; %bb.1580:
	s_cmp_gt_i32 s6, 9
	s_cbranch_scc0 .LBB305_1585
; %bb.1581:
	global_load_dwordx2 v[14:15], v[16:17], off
	s_movk_i32 s0, 0xffe0
	s_waitcnt vmcnt(0)
	v_trunc_f64_e32 v[18:19], v[14:15]
	v_ldexp_f64 v[14:15], v[18:19], s0
	v_floor_f64_e32 v[20:21], v[14:15]
	v_fmac_f64_e32 v[18:19], 0xc1f00000, v[20:21]
	v_cvt_i32_f64_e32 v15, v[20:21]
	v_cvt_u32_f64_e32 v14, v[18:19]
	s_mov_b64 s[0:1], 0
	s_branch .LBB305_1586
.LBB305_1582:
	s_mov_b64 s[0:1], -1
                                        ; implicit-def: $vgpr14_vgpr15
	s_branch .LBB305_1604
.LBB305_1583:
	s_mov_b64 s[0:1], -1
                                        ; implicit-def: $vgpr14_vgpr15
	s_branch .LBB305_1592
.LBB305_1584:
	s_mov_b64 s[0:1], -1
                                        ; implicit-def: $vgpr14_vgpr15
	s_branch .LBB305_1589
.LBB305_1585:
	s_mov_b64 s[0:1], -1
                                        ; implicit-def: $vgpr14_vgpr15
.LBB305_1586:
	s_andn2_b64 vcc, exec, s[0:1]
	s_cbranch_vccnz .LBB305_1588
; %bb.1587:
	global_load_dword v1, v[16:17], off
	s_mov_b32 s0, 0x2f800000
	s_mov_b32 s1, 0xcf800000
	s_waitcnt vmcnt(0)
	v_trunc_f32_e32 v1, v1
	v_mul_f32_e64 v3, |v1|, s0
	v_floor_f32_e32 v3, v3
	v_cvt_u32_f32_e32 v5, v3
	v_fma_f32 v3, v3, s1, |v1|
	v_cvt_u32_f32_e32 v3, v3
	v_ashrrev_i32_e32 v1, 31, v1
	v_xor_b32_e32 v5, v5, v1
	v_xor_b32_e32 v3, v3, v1
	v_sub_co_u32_e32 v14, vcc, v3, v1
	s_nop 1
	v_subb_co_u32_e32 v15, vcc, v5, v1, vcc
.LBB305_1588:
	s_mov_b64 s[0:1], 0
.LBB305_1589:
	s_andn2_b64 vcc, exec, s[0:1]
	s_cbranch_vccnz .LBB305_1591
; %bb.1590:
	global_load_dword v1, v[16:17], off
	s_waitcnt vmcnt(0)
	v_cvt_f32_f16_e32 v1, v1
	v_cvt_i32_f32_e32 v14, v1
	v_ashrrev_i32_e32 v15, 31, v14
.LBB305_1591:
	s_mov_b64 s[0:1], 0
.LBB305_1592:
	s_andn2_b64 vcc, exec, s[0:1]
	s_cbranch_vccnz .LBB305_1603
; %bb.1593:
	s_cmp_lt_i32 s6, 6
	s_cbranch_scc1 .LBB305_1596
; %bb.1594:
	s_cmp_gt_i32 s6, 6
	s_cbranch_scc0 .LBB305_1597
; %bb.1595:
	global_load_dwordx2 v[14:15], v[16:17], off
	s_movk_i32 s0, 0xffe0
	s_waitcnt vmcnt(0)
	v_trunc_f64_e32 v[18:19], v[14:15]
	v_ldexp_f64 v[14:15], v[18:19], s0
	v_floor_f64_e32 v[20:21], v[14:15]
	v_fmac_f64_e32 v[18:19], 0xc1f00000, v[20:21]
	v_cvt_i32_f64_e32 v15, v[20:21]
	v_cvt_u32_f64_e32 v14, v[18:19]
	s_mov_b64 s[0:1], 0
	s_branch .LBB305_1598
.LBB305_1596:
	s_mov_b64 s[0:1], -1
                                        ; implicit-def: $vgpr14_vgpr15
	s_branch .LBB305_1601
.LBB305_1597:
	s_mov_b64 s[0:1], -1
                                        ; implicit-def: $vgpr14_vgpr15
.LBB305_1598:
	s_andn2_b64 vcc, exec, s[0:1]
	s_cbranch_vccnz .LBB305_1600
; %bb.1599:
	global_load_dword v1, v[16:17], off
	s_mov_b32 s0, 0x2f800000
	s_mov_b32 s1, 0xcf800000
	s_waitcnt vmcnt(0)
	v_trunc_f32_e32 v1, v1
	v_mul_f32_e64 v3, |v1|, s0
	v_floor_f32_e32 v3, v3
	v_cvt_u32_f32_e32 v5, v3
	v_fma_f32 v3, v3, s1, |v1|
	v_cvt_u32_f32_e32 v3, v3
	v_ashrrev_i32_e32 v1, 31, v1
	v_xor_b32_e32 v5, v5, v1
	v_xor_b32_e32 v3, v3, v1
	v_sub_co_u32_e32 v14, vcc, v3, v1
	s_nop 1
	v_subb_co_u32_e32 v15, vcc, v5, v1, vcc
.LBB305_1600:
	s_mov_b64 s[0:1], 0
.LBB305_1601:
	s_andn2_b64 vcc, exec, s[0:1]
	s_cbranch_vccnz .LBB305_1603
; %bb.1602:
	global_load_ushort v1, v[16:17], off
	s_waitcnt vmcnt(0)
	v_cvt_f32_f16_e32 v1, v1
	v_cvt_i32_f32_e32 v14, v1
	v_ashrrev_i32_e32 v15, 31, v14
.LBB305_1603:
	s_mov_b64 s[0:1], 0
.LBB305_1604:
	s_andn2_b64 vcc, exec, s[0:1]
	s_cbranch_vccnz .LBB305_1624
; %bb.1605:
	s_cmp_lt_i32 s6, 2
	s_cbranch_scc1 .LBB305_1609
; %bb.1606:
	s_cmp_lt_i32 s6, 3
	s_cbranch_scc1 .LBB305_1610
; %bb.1607:
	s_cmp_gt_i32 s6, 3
	s_cbranch_scc0 .LBB305_1611
; %bb.1608:
	global_load_dwordx2 v[14:15], v[16:17], off
	s_mov_b64 s[0:1], 0
	s_branch .LBB305_1612
.LBB305_1609:
	s_mov_b64 s[0:1], -1
                                        ; implicit-def: $vgpr14_vgpr15
	s_branch .LBB305_1618
.LBB305_1610:
	s_mov_b64 s[0:1], -1
                                        ; implicit-def: $vgpr14_vgpr15
	s_branch .LBB305_1615
.LBB305_1611:
	s_mov_b64 s[0:1], -1
                                        ; implicit-def: $vgpr14_vgpr15
.LBB305_1612:
	s_andn2_b64 vcc, exec, s[0:1]
	s_cbranch_vccnz .LBB305_1614
; %bb.1613:
	global_load_dword v14, v[16:17], off
	s_waitcnt vmcnt(0)
	v_ashrrev_i32_e32 v15, 31, v14
.LBB305_1614:
	s_mov_b64 s[0:1], 0
.LBB305_1615:
	s_andn2_b64 vcc, exec, s[0:1]
	s_cbranch_vccnz .LBB305_1617
; %bb.1616:
	global_load_ushort v1, v[16:17], off
	s_waitcnt vmcnt(0)
	v_bfe_i32 v14, v1, 0, 16
	v_ashrrev_i32_e32 v15, 31, v14
.LBB305_1617:
	s_mov_b64 s[0:1], 0
.LBB305_1618:
	s_andn2_b64 vcc, exec, s[0:1]
	s_cbranch_vccnz .LBB305_1624
; %bb.1619:
	s_cmp_gt_i32 s6, 0
	s_cbranch_scc0 .LBB305_1621
; %bb.1620:
	global_load_sbyte v1, v[16:17], off
	s_mov_b64 s[0:1], 0
	s_waitcnt vmcnt(0)
	v_bfe_i32 v14, v1, 0, 16
	v_ashrrev_i32_e32 v15, 31, v14
	s_branch .LBB305_1622
.LBB305_1621:
	s_mov_b64 s[0:1], -1
                                        ; implicit-def: $vgpr14_vgpr15
.LBB305_1622:
	s_andn2_b64 vcc, exec, s[0:1]
	s_cbranch_vccnz .LBB305_1624
; %bb.1623:
	global_load_ubyte v1, v[16:17], off
	s_mov_b32 s0, 0
	s_waitcnt vmcnt(1)
	v_mov_b32_e32 v15, s0
	s_waitcnt vmcnt(0)
	v_and_b32_e32 v14, 0xffff, v1
.LBB305_1624:
	s_mov_b64 s[12:13], -1
.LBB305_1625:
	s_andn2_b64 vcc, exec, s[12:13]
	s_cbranch_vccnz .LBB305_2059
; %bb.1626:
	s_load_dword s0, s[34:35], 0x168
	v_mov_b32_e32 v1, s9
	v_mov_b32_e32 v3, s8
	s_waitcnt vmcnt(0)
	v_cmp_lt_i64_e32 vcc, s[8:9], v[8:9]
	v_mov_b32_e32 v7, 0
	s_waitcnt lgkmcnt(0)
	s_and_b32 s18, s0, 0xff
	v_cndmask_b32_e32 v9, v1, v9, vcc
	v_cndmask_b32_e32 v8, v3, v8, vcc
	v_mov_b32_e32 v1, s11
	v_cmp_gt_i64_e32 vcc, s[10:11], v[8:9]
	s_cmp_lt_i32 s18, 11
	v_lshl_add_u64 v[6:7], s[4:5], 0, v[6:7]
	v_cndmask_b32_e32 v9, v1, v9, vcc
	v_mov_b32_e32 v1, s10
	v_cndmask_b32_e32 v8, v1, v8, vcc
	s_cbranch_scc1 .LBB305_1704
; %bb.1627:
	s_and_b32 s19, 0xffff, s18
	s_mov_b64 s[14:15], -1
	s_mov_b64 s[6:7], 0
	s_cmp_gt_i32 s19, 25
	s_mov_b64 s[12:13], 0
	s_mov_b64 s[0:1], 0
	s_cbranch_scc0 .LBB305_1660
; %bb.1628:
	s_cmp_gt_i32 s19, 28
	s_cbranch_scc0 .LBB305_1643
; %bb.1629:
	s_cmp_gt_i32 s19, 43
	;; [unrolled: 3-line block ×3, first 2 shown]
	s_cbranch_scc0 .LBB305_1633
; %bb.1631:
	s_mov_b64 s[0:1], -1
	s_mov_b64 s[14:15], 0
	s_cmp_eq_u32 s19, 46
	s_cbranch_scc0 .LBB305_1633
; %bb.1632:
	v_xor_b32_e32 v3, v8, v9
	v_ffbh_i32_e32 v1, v9
	v_ashrrev_i32_e32 v3, 31, v3
	v_add_u32_e32 v1, -1, v1
	v_add_u32_e32 v3, 32, v3
	v_min_u32_e32 v1, v1, v3
	v_lshlrev_b64 v[16:17], v1, v[8:9]
	v_min_u32_e32 v3, 1, v16
	v_or_b32_e32 v3, v17, v3
	v_cvt_f32_i32_e32 v3, v3
	v_sub_u32_e32 v1, 32, v1
	s_movk_i32 s0, 0x7fff
	s_mov_b64 s[12:13], -1
	v_ldexp_f32 v1, v3, v1
	v_bfe_u32 v3, v1, 16, 1
	v_add3_u32 v1, v1, v3, s0
	v_lshrrev_b32_e32 v1, 16, v1
	global_store_dword v[6:7], v1, off
	s_mov_b64 s[0:1], 0
.LBB305_1633:
	s_and_b64 vcc, exec, s[14:15]
	s_cbranch_vccz .LBB305_1638
; %bb.1634:
	s_cmp_eq_u32 s19, 44
	s_mov_b64 s[0:1], -1
	s_cbranch_scc0 .LBB305_1638
; %bb.1635:
	v_xor_b32_e32 v3, v8, v9
	v_ffbh_i32_e32 v1, v9
	v_ashrrev_i32_e32 v3, 31, v3
	v_add_u32_e32 v1, -1, v1
	v_add_u32_e32 v3, 32, v3
	v_min_u32_e32 v1, v1, v3
	v_lshlrev_b64 v[16:17], v1, v[8:9]
	v_min_u32_e32 v3, 1, v16
	v_or_b32_e32 v3, v17, v3
	v_cvt_f32_i32_e32 v3, v3
	v_sub_u32_e32 v1, 32, v1
	s_movk_i32 s0, 0xff
	v_mov_b32_e32 v5, 0xff
	v_ldexp_f32 v1, v3, v1
	v_bfe_u32 v3, v1, 23, 8
	v_cmp_ne_u32_e32 vcc, s0, v3
	s_and_saveexec_b64 s[12:13], vcc
; %bb.1636:
	s_mov_b32 s0, 0x3fffff
	v_lshrrev_b32_e32 v5, 23, v1
	v_and_b32_e32 v16, 0x400000, v1
	v_and_or_b32 v1, v1, s0, v3
	v_cmp_ne_u32_e32 vcc, 0, v16
	v_cmp_ne_u32_e64 s[0:1], 0, v1
	s_and_b64 s[0:1], vcc, s[0:1]
	s_nop 0
	v_cndmask_b32_e64 v1, 0, 1, s[0:1]
	v_add_u32_e32 v5, v5, v1
; %bb.1637:
	s_or_b64 exec, exec, s[12:13]
	s_mov_b64 s[0:1], 0
	s_mov_b64 s[12:13], -1
	global_store_byte v[6:7], v5, off
.LBB305_1638:
	s_mov_b64 s[14:15], 0
.LBB305_1639:
	s_and_b64 vcc, exec, s[14:15]
	s_cbranch_vccz .LBB305_1642
; %bb.1640:
	s_cmp_eq_u32 s19, 29
	s_mov_b64 s[0:1], -1
	s_cbranch_scc0 .LBB305_1642
; %bb.1641:
	global_store_dwordx2 v[6:7], v[8:9], off
	s_mov_b64 s[0:1], 0
	s_mov_b64 s[12:13], -1
.LBB305_1642:
	s_mov_b64 s[14:15], 0
.LBB305_1643:
	s_and_b64 vcc, exec, s[14:15]
	s_cbranch_vccz .LBB305_1659
; %bb.1644:
	s_cmp_lt_i32 s19, 27
	s_mov_b64 s[12:13], -1
	s_cbranch_scc1 .LBB305_1650
; %bb.1645:
	s_cmp_gt_i32 s19, 27
	s_cbranch_scc0 .LBB305_1647
; %bb.1646:
	s_mov_b64 s[12:13], 0
	global_store_dword v[6:7], v8, off
.LBB305_1647:
	s_andn2_b64 vcc, exec, s[12:13]
	s_cbranch_vccnz .LBB305_1649
; %bb.1648:
	global_store_short v[6:7], v8, off
.LBB305_1649:
	s_mov_b64 s[12:13], 0
.LBB305_1650:
	s_andn2_b64 vcc, exec, s[12:13]
	s_cbranch_vccnz .LBB305_1658
; %bb.1651:
	v_xor_b32_e32 v3, v8, v9
	v_ffbh_i32_e32 v1, v9
	v_ashrrev_i32_e32 v3, 31, v3
	v_add_u32_e32 v1, -1, v1
	v_add_u32_e32 v3, 32, v3
	v_min_u32_e32 v1, v1, v3
	v_lshlrev_b64 v[16:17], v1, v[8:9]
	v_min_u32_e32 v3, 1, v16
	v_or_b32_e32 v3, v17, v3
	v_cvt_f32_i32_e32 v3, v3
	v_sub_u32_e32 v1, 32, v1
	s_mov_b32 s12, 0x43800000
	v_mov_b32_e32 v5, 0x80
	v_ldexp_f32 v1, v3, v1
	v_and_b32_e32 v3, 0x7fffffff, v1
	v_cmp_gt_u32_e32 vcc, s12, v3
	s_and_saveexec_b64 s[12:13], vcc
	s_cbranch_execz .LBB305_1657
; %bb.1652:
	s_mov_b32 s14, 0x3bffffff
	v_cmp_lt_u32_e32 vcc, s14, v3
	s_mov_b64 s[14:15], 0
                                        ; implicit-def: $vgpr3
	s_and_saveexec_b64 s[16:17], vcc
	s_xor_b64 s[16:17], exec, s[16:17]
	s_cbranch_execz .LBB305_2106
; %bb.1653:
	v_bfe_u32 v3, v1, 20, 1
	s_mov_b32 s20, 0x487ffff
	v_add3_u32 v3, v1, v3, s20
	s_mov_b64 s[14:15], exec
	v_lshrrev_b32_e32 v3, 20, v3
	s_andn2_saveexec_b64 s[16:17], s[16:17]
	s_cbranch_execnz .LBB305_2107
.LBB305_1654:
	s_or_b64 exec, exec, s[16:17]
	v_mov_b32_e32 v5, 0
	s_and_saveexec_b64 s[16:17], s[14:15]
.LBB305_1655:
	v_lshrrev_b32_e32 v1, 24, v1
	s_movk_i32 s14, 0x80
	v_and_or_b32 v5, v1, s14, v3
.LBB305_1656:
	s_or_b64 exec, exec, s[16:17]
.LBB305_1657:
	s_or_b64 exec, exec, s[12:13]
	global_store_byte v[6:7], v5, off
.LBB305_1658:
	s_mov_b64 s[12:13], -1
.LBB305_1659:
	s_mov_b64 s[14:15], 0
.LBB305_1660:
	s_and_b64 vcc, exec, s[14:15]
	s_cbranch_vccz .LBB305_1700
; %bb.1661:
	s_cmp_gt_i32 s19, 22
	s_mov_b64 s[6:7], -1
	s_cbranch_scc0 .LBB305_1693
; %bb.1662:
	s_cmp_lt_i32 s19, 24
	s_cbranch_scc1 .LBB305_1682
; %bb.1663:
	s_cmp_gt_i32 s19, 24
	s_cbranch_scc0 .LBB305_1671
; %bb.1664:
	v_xor_b32_e32 v3, v8, v9
	v_ffbh_i32_e32 v1, v9
	v_ashrrev_i32_e32 v3, 31, v3
	v_add_u32_e32 v1, -1, v1
	v_add_u32_e32 v3, 32, v3
	v_min_u32_e32 v1, v1, v3
	v_lshlrev_b64 v[16:17], v1, v[8:9]
	v_min_u32_e32 v3, 1, v16
	v_or_b32_e32 v3, v17, v3
	v_cvt_f32_i32_e32 v3, v3
	v_sub_u32_e32 v1, 32, v1
	s_mov_b32 s6, 0x47800000
	v_mov_b32_e32 v5, 0x80
	v_ldexp_f32 v1, v3, v1
	v_and_b32_e32 v3, 0x7fffffff, v1
	v_cmp_gt_u32_e32 vcc, s6, v3
	s_and_saveexec_b64 s[6:7], vcc
	s_cbranch_execz .LBB305_1670
; %bb.1665:
	s_mov_b32 s12, 0x37ffffff
	v_cmp_lt_u32_e32 vcc, s12, v3
	s_mov_b64 s[12:13], 0
                                        ; implicit-def: $vgpr3
	s_and_saveexec_b64 s[14:15], vcc
	s_xor_b64 s[14:15], exec, s[14:15]
	s_cbranch_execz .LBB305_2109
; %bb.1666:
	v_bfe_u32 v3, v1, 21, 1
	s_mov_b32 s16, 0x88fffff
	v_add3_u32 v3, v1, v3, s16
	s_mov_b64 s[12:13], exec
	v_lshrrev_b32_e32 v3, 21, v3
	s_andn2_saveexec_b64 s[14:15], s[14:15]
	s_cbranch_execnz .LBB305_2110
.LBB305_1667:
	s_or_b64 exec, exec, s[14:15]
	v_mov_b32_e32 v5, 0
	s_and_saveexec_b64 s[14:15], s[12:13]
.LBB305_1668:
	v_lshrrev_b32_e32 v1, 24, v1
	s_movk_i32 s12, 0x80
	v_and_or_b32 v5, v1, s12, v3
.LBB305_1669:
	s_or_b64 exec, exec, s[14:15]
.LBB305_1670:
	s_or_b64 exec, exec, s[6:7]
	s_mov_b64 s[6:7], 0
	global_store_byte v[6:7], v5, off
.LBB305_1671:
	s_and_b64 vcc, exec, s[6:7]
	s_cbranch_vccz .LBB305_1681
; %bb.1672:
	v_xor_b32_e32 v3, v8, v9
	v_ffbh_i32_e32 v1, v9
	v_ashrrev_i32_e32 v3, 31, v3
	v_add_u32_e32 v1, -1, v1
	v_add_u32_e32 v3, 32, v3
	v_min_u32_e32 v1, v1, v3
	v_lshlrev_b64 v[16:17], v1, v[8:9]
	v_min_u32_e32 v3, 1, v16
	v_or_b32_e32 v3, v17, v3
	v_cvt_f32_i32_e32 v3, v3
	v_sub_u32_e32 v1, 32, v1
	s_mov_b32 s6, 0x43f00000
	v_ldexp_f32 v1, v3, v1
	v_and_b32_e32 v5, 0x7fffffff, v1
	v_cmp_gt_u32_e32 vcc, s6, v5
                                        ; implicit-def: $vgpr3
	s_and_saveexec_b64 s[6:7], vcc
	s_xor_b64 s[6:7], exec, s[6:7]
	s_cbranch_execz .LBB305_1678
; %bb.1673:
	s_mov_b32 s12, 0x3c7fffff
	v_cmp_lt_u32_e32 vcc, s12, v5
                                        ; implicit-def: $vgpr3
	s_and_saveexec_b64 s[12:13], vcc
	s_xor_b64 s[12:13], exec, s[12:13]
; %bb.1674:
	v_bfe_u32 v3, v1, 20, 1
	s_mov_b32 s14, 0x407ffff
	v_add3_u32 v3, v1, v3, s14
	v_lshrrev_b32_e32 v5, 20, v3
	v_and_b32_e32 v3, 0xff00000, v3
	s_mov_b32 s14, 0x7f00000
	v_mov_b32_e32 v16, 0x7e
	v_cmp_ne_u32_e32 vcc, s14, v3
	s_nop 1
	v_cndmask_b32_e32 v3, v16, v5, vcc
; %bb.1675:
	s_andn2_saveexec_b64 s[12:13], s[12:13]
; %bb.1676:
	s_mov_b32 s14, 0x46800000
	v_add_f32_e64 v3, |v1|, s14
; %bb.1677:
	s_or_b64 exec, exec, s[12:13]
                                        ; implicit-def: $vgpr5
.LBB305_1678:
	s_andn2_saveexec_b64 s[6:7], s[6:7]
; %bb.1679:
	s_mov_b32 s12, 0x7f800000
	v_mov_b32_e32 v3, 0x7e
	v_mov_b32_e32 v16, 0x7f
	v_cmp_lt_u32_e32 vcc, s12, v5
	s_nop 1
	v_cndmask_b32_e32 v3, v3, v16, vcc
; %bb.1680:
	s_or_b64 exec, exec, s[6:7]
	v_lshrrev_b32_e32 v1, 24, v1
	s_movk_i32 s6, 0x80
	v_and_or_b32 v1, v1, s6, v3
	global_store_byte v[6:7], v1, off
.LBB305_1681:
	s_mov_b64 s[6:7], 0
.LBB305_1682:
	s_andn2_b64 vcc, exec, s[6:7]
	s_cbranch_vccnz .LBB305_1692
; %bb.1683:
	v_xor_b32_e32 v3, v8, v9
	v_ffbh_i32_e32 v1, v9
	v_ashrrev_i32_e32 v3, 31, v3
	v_add_u32_e32 v1, -1, v1
	v_add_u32_e32 v3, 32, v3
	v_min_u32_e32 v1, v1, v3
	v_lshlrev_b64 v[16:17], v1, v[8:9]
	v_min_u32_e32 v3, 1, v16
	v_or_b32_e32 v3, v17, v3
	v_cvt_f32_i32_e32 v3, v3
	v_sub_u32_e32 v1, 32, v1
	s_mov_b32 s6, 0x47800000
	v_ldexp_f32 v1, v3, v1
	v_and_b32_e32 v5, 0x7fffffff, v1
	v_cmp_gt_u32_e32 vcc, s6, v5
                                        ; implicit-def: $vgpr3
	s_and_saveexec_b64 s[6:7], vcc
	s_xor_b64 s[6:7], exec, s[6:7]
	s_cbranch_execz .LBB305_1689
; %bb.1684:
	s_mov_b32 s12, 0x387fffff
	v_cmp_lt_u32_e32 vcc, s12, v5
                                        ; implicit-def: $vgpr3
	s_and_saveexec_b64 s[12:13], vcc
	s_xor_b64 s[12:13], exec, s[12:13]
; %bb.1685:
	v_bfe_u32 v3, v1, 21, 1
	s_mov_b32 s14, 0x80fffff
	v_add3_u32 v3, v1, v3, s14
	v_lshrrev_b32_e32 v3, 21, v3
; %bb.1686:
	s_andn2_saveexec_b64 s[12:13], s[12:13]
; %bb.1687:
	s_mov_b32 s14, 0x43000000
	v_add_f32_e64 v3, |v1|, s14
; %bb.1688:
	s_or_b64 exec, exec, s[12:13]
                                        ; implicit-def: $vgpr5
.LBB305_1689:
	s_andn2_saveexec_b64 s[6:7], s[6:7]
; %bb.1690:
	s_mov_b32 s12, 0x7f800000
	v_mov_b32_e32 v3, 0x7c
	v_mov_b32_e32 v16, 0x7f
	v_cmp_lt_u32_e32 vcc, s12, v5
	s_nop 1
	v_cndmask_b32_e32 v3, v3, v16, vcc
; %bb.1691:
	s_or_b64 exec, exec, s[6:7]
	v_lshrrev_b32_e32 v1, 24, v1
	s_movk_i32 s6, 0x80
	v_and_or_b32 v1, v1, s6, v3
	global_store_byte v[6:7], v1, off
.LBB305_1692:
	s_mov_b64 s[6:7], 0
	s_mov_b64 s[12:13], -1
.LBB305_1693:
	s_andn2_b64 vcc, exec, s[6:7]
	s_mov_b64 s[6:7], 0
	s_cbranch_vccnz .LBB305_1700
; %bb.1694:
	s_cmp_gt_i32 s19, 14
	s_mov_b64 s[14:15], -1
	s_cbranch_scc0 .LBB305_1698
; %bb.1695:
	s_cmp_eq_u32 s19, 15
	s_mov_b64 s[0:1], -1
	s_cbranch_scc0 .LBB305_1697
; %bb.1696:
	v_xor_b32_e32 v3, v8, v9
	v_ffbh_i32_e32 v1, v9
	v_ashrrev_i32_e32 v3, 31, v3
	v_add_u32_e32 v1, -1, v1
	v_add_u32_e32 v3, 32, v3
	v_min_u32_e32 v1, v1, v3
	v_lshlrev_b64 v[16:17], v1, v[8:9]
	v_min_u32_e32 v3, 1, v16
	v_or_b32_e32 v3, v17, v3
	v_cvt_f32_i32_e32 v3, v3
	v_sub_u32_e32 v1, 32, v1
	s_movk_i32 s0, 0x7fff
	s_mov_b64 s[12:13], -1
	v_ldexp_f32 v1, v3, v1
	v_bfe_u32 v3, v1, 16, 1
	v_add3_u32 v1, v1, v3, s0
	global_store_short_d16_hi v[6:7], v1, off
	s_mov_b64 s[0:1], 0
.LBB305_1697:
	s_mov_b64 s[14:15], 0
.LBB305_1698:
	s_and_b64 vcc, exec, s[14:15]
	s_cbranch_vccz .LBB305_1700
; %bb.1699:
	s_cmp_lg_u32 s19, 11
	s_mov_b64 s[6:7], -1
	s_cselect_b64 s[0:1], -1, 0
.LBB305_1700:
	s_and_b64 vcc, exec, s[0:1]
	s_cbranch_vccnz .LBB305_2108
; %bb.1701:
	s_andn2_b64 vcc, exec, s[6:7]
	s_cbranch_vccnz .LBB305_1703
.LBB305_1702:
	v_cmp_ne_u64_e32 vcc, 0, v[8:9]
	s_mov_b64 s[12:13], -1
	s_nop 0
	v_cndmask_b32_e64 v1, 0, 1, vcc
	global_store_byte v[6:7], v1, off
.LBB305_1703:
	s_mov_b64 s[0:1], 0
	s_branch .LBB305_1705
.LBB305_1704:
	s_mov_b64 s[0:1], -1
	s_mov_b64 s[12:13], 0
.LBB305_1705:
	s_and_b64 vcc, exec, s[0:1]
	s_cbranch_vccz .LBB305_1744
; %bb.1706:
	s_and_b32 s6, 0xffff, s18
	s_cmp_lt_i32 s6, 5
	s_mov_b64 s[0:1], -1
	s_cbranch_scc1 .LBB305_1727
; %bb.1707:
	s_cmp_lt_i32 s6, 8
	s_cbranch_scc1 .LBB305_1717
; %bb.1708:
	s_cmp_lt_i32 s6, 9
	s_cbranch_scc1 .LBB305_1714
; %bb.1709:
	s_cmp_gt_i32 s6, 9
	s_cbranch_scc0 .LBB305_1711
; %bb.1710:
	v_cvt_f64_i32_e32 v[16:17], v9
	v_ldexp_f64 v[16:17], v[16:17], 32
	v_cvt_f64_u32_e32 v[18:19], v8
	v_add_f64 v[16:17], v[16:17], v[18:19]
	v_mov_b32_e32 v18, 0
	v_mov_b32_e32 v19, v18
	global_store_dwordx4 v[6:7], v[16:19], off
	s_mov_b64 s[0:1], 0
.LBB305_1711:
	s_andn2_b64 vcc, exec, s[0:1]
	s_cbranch_vccnz .LBB305_1713
; %bb.1712:
	v_xor_b32_e32 v3, v8, v9
	v_ffbh_i32_e32 v1, v9
	v_ashrrev_i32_e32 v3, 31, v3
	v_add_u32_e32 v1, -1, v1
	v_add_u32_e32 v3, 32, v3
	v_min_u32_e32 v1, v1, v3
	v_lshlrev_b64 v[16:17], v1, v[8:9]
	v_min_u32_e32 v3, 1, v16
	v_or_b32_e32 v3, v17, v3
	v_cvt_f32_i32_e32 v3, v3
	v_sub_u32_e32 v1, 32, v1
	v_mov_b32_e32 v17, 0
	v_ldexp_f32 v16, v3, v1
	global_store_dwordx2 v[6:7], v[16:17], off
.LBB305_1713:
	s_mov_b64 s[0:1], 0
.LBB305_1714:
	s_andn2_b64 vcc, exec, s[0:1]
	s_cbranch_vccnz .LBB305_1716
; %bb.1715:
	v_xor_b32_e32 v3, v8, v9
	v_ffbh_i32_e32 v1, v9
	v_ashrrev_i32_e32 v3, 31, v3
	v_add_u32_e32 v1, -1, v1
	v_add_u32_e32 v3, 32, v3
	v_min_u32_e32 v1, v1, v3
	v_lshlrev_b64 v[16:17], v1, v[8:9]
	v_min_u32_e32 v3, 1, v16
	v_or_b32_e32 v3, v17, v3
	v_cvt_f32_i32_e32 v3, v3
	v_sub_u32_e32 v1, 32, v1
	v_ldexp_f32 v1, v3, v1
	v_cvt_f16_f32_e32 v1, v1
	global_store_dword v[6:7], v1, off
.LBB305_1716:
	s_mov_b64 s[0:1], 0
.LBB305_1717:
	s_andn2_b64 vcc, exec, s[0:1]
	s_cbranch_vccnz .LBB305_1726
; %bb.1718:
	s_cmp_lt_i32 s6, 6
	s_mov_b64 s[0:1], -1
	s_cbranch_scc1 .LBB305_1724
; %bb.1719:
	s_cmp_gt_i32 s6, 6
	s_cbranch_scc0 .LBB305_1721
; %bb.1720:
	v_cvt_f64_i32_e32 v[16:17], v9
	v_ldexp_f64 v[16:17], v[16:17], 32
	v_cvt_f64_u32_e32 v[18:19], v8
	v_add_f64 v[16:17], v[16:17], v[18:19]
	global_store_dwordx2 v[6:7], v[16:17], off
	s_mov_b64 s[0:1], 0
.LBB305_1721:
	s_andn2_b64 vcc, exec, s[0:1]
	s_cbranch_vccnz .LBB305_1723
; %bb.1722:
	v_xor_b32_e32 v3, v8, v9
	v_ffbh_i32_e32 v1, v9
	v_ashrrev_i32_e32 v3, 31, v3
	v_add_u32_e32 v1, -1, v1
	v_add_u32_e32 v3, 32, v3
	v_min_u32_e32 v1, v1, v3
	v_lshlrev_b64 v[16:17], v1, v[8:9]
	v_min_u32_e32 v3, 1, v16
	v_or_b32_e32 v3, v17, v3
	v_cvt_f32_i32_e32 v3, v3
	v_sub_u32_e32 v1, 32, v1
	v_ldexp_f32 v1, v3, v1
	global_store_dword v[6:7], v1, off
.LBB305_1723:
	s_mov_b64 s[0:1], 0
.LBB305_1724:
	s_andn2_b64 vcc, exec, s[0:1]
	s_cbranch_vccnz .LBB305_1726
; %bb.1725:
	v_xor_b32_e32 v3, v8, v9
	v_ffbh_i32_e32 v1, v9
	v_ashrrev_i32_e32 v3, 31, v3
	v_add_u32_e32 v1, -1, v1
	v_add_u32_e32 v3, 32, v3
	v_min_u32_e32 v1, v1, v3
	v_lshlrev_b64 v[16:17], v1, v[8:9]
	v_min_u32_e32 v3, 1, v16
	v_or_b32_e32 v3, v17, v3
	v_cvt_f32_i32_e32 v3, v3
	v_sub_u32_e32 v1, 32, v1
	v_ldexp_f32 v1, v3, v1
	v_cvt_f16_f32_e32 v1, v1
	global_store_short v[6:7], v1, off
.LBB305_1726:
	s_mov_b64 s[0:1], 0
.LBB305_1727:
	s_andn2_b64 vcc, exec, s[0:1]
	s_cbranch_vccnz .LBB305_1743
; %bb.1728:
	s_cmp_lt_i32 s6, 2
	s_mov_b64 s[0:1], -1
	s_cbranch_scc1 .LBB305_1738
; %bb.1729:
	s_cmp_lt_i32 s6, 3
	s_cbranch_scc1 .LBB305_1735
; %bb.1730:
	s_cmp_gt_i32 s6, 3
	s_cbranch_scc0 .LBB305_1732
; %bb.1731:
	global_store_dwordx2 v[6:7], v[8:9], off
	s_mov_b64 s[0:1], 0
.LBB305_1732:
	s_andn2_b64 vcc, exec, s[0:1]
	s_cbranch_vccnz .LBB305_1734
; %bb.1733:
	global_store_dword v[6:7], v8, off
.LBB305_1734:
	s_mov_b64 s[0:1], 0
.LBB305_1735:
	s_andn2_b64 vcc, exec, s[0:1]
	s_cbranch_vccnz .LBB305_1737
; %bb.1736:
	global_store_short v[6:7], v8, off
.LBB305_1737:
	s_mov_b64 s[0:1], 0
.LBB305_1738:
	s_andn2_b64 vcc, exec, s[0:1]
	s_cbranch_vccnz .LBB305_1743
; %bb.1739:
	s_cmp_gt_i32 s6, 0
	s_mov_b64 s[0:1], -1
	s_cbranch_scc0 .LBB305_1741
; %bb.1740:
	global_store_byte v[6:7], v8, off
	s_mov_b64 s[0:1], 0
.LBB305_1741:
	s_andn2_b64 vcc, exec, s[0:1]
	s_cbranch_vccnz .LBB305_1743
; %bb.1742:
	global_store_byte v[6:7], v8, off
.LBB305_1743:
	s_mov_b64 s[12:13], -1
.LBB305_1744:
	s_andn2_b64 vcc, exec, s[12:13]
	s_cbranch_vccnz .LBB305_2059
; %bb.1745:
	v_mov_b32_e32 v1, s9
	v_cmp_lt_i64_e32 vcc, s[8:9], v[10:11]
	v_mov_b32_e32 v5, 0
	s_and_b32 s19, 0xffff, s18
	v_cndmask_b32_e32 v7, v1, v11, vcc
	v_mov_b32_e32 v1, s8
	v_cndmask_b32_e32 v6, v1, v10, vcc
	v_mov_b32_e32 v1, s11
	v_cmp_gt_i64_e32 vcc, s[10:11], v[6:7]
	s_cmp_lt_i32 s19, 11
	v_lshl_add_u64 v[4:5], s[4:5], 0, v[4:5]
	v_cndmask_b32_e32 v7, v1, v7, vcc
	v_mov_b32_e32 v1, s10
	v_cndmask_b32_e32 v6, v1, v6, vcc
	s_cbranch_scc1 .LBB305_1823
; %bb.1746:
	s_mov_b64 s[14:15], -1
	s_mov_b64 s[6:7], 0
	s_cmp_gt_i32 s19, 25
	s_mov_b64 s[12:13], 0
	s_mov_b64 s[0:1], 0
	s_cbranch_scc0 .LBB305_1779
; %bb.1747:
	s_cmp_gt_i32 s19, 28
	s_cbranch_scc0 .LBB305_1762
; %bb.1748:
	s_cmp_gt_i32 s19, 43
	;; [unrolled: 3-line block ×3, first 2 shown]
	s_cbranch_scc0 .LBB305_1752
; %bb.1750:
	s_mov_b64 s[0:1], -1
	s_mov_b64 s[14:15], 0
	s_cmp_eq_u32 s19, 46
	s_cbranch_scc0 .LBB305_1752
; %bb.1751:
	v_xor_b32_e32 v3, v6, v7
	v_ffbh_i32_e32 v1, v7
	v_ashrrev_i32_e32 v3, 31, v3
	v_add_u32_e32 v1, -1, v1
	v_add_u32_e32 v3, 32, v3
	v_min_u32_e32 v1, v1, v3
	v_lshlrev_b64 v[8:9], v1, v[6:7]
	v_min_u32_e32 v3, 1, v8
	v_or_b32_e32 v3, v9, v3
	v_cvt_f32_i32_e32 v3, v3
	v_sub_u32_e32 v1, 32, v1
	s_movk_i32 s0, 0x7fff
	s_mov_b64 s[12:13], -1
	v_ldexp_f32 v1, v3, v1
	v_bfe_u32 v3, v1, 16, 1
	v_add3_u32 v1, v1, v3, s0
	v_lshrrev_b32_e32 v1, 16, v1
	global_store_dword v[4:5], v1, off
	s_mov_b64 s[0:1], 0
.LBB305_1752:
	s_and_b64 vcc, exec, s[14:15]
	s_cbranch_vccz .LBB305_1757
; %bb.1753:
	s_cmp_eq_u32 s19, 44
	s_mov_b64 s[0:1], -1
	s_cbranch_scc0 .LBB305_1757
; %bb.1754:
	v_xor_b32_e32 v3, v6, v7
	v_ffbh_i32_e32 v1, v7
	v_ashrrev_i32_e32 v3, 31, v3
	v_add_u32_e32 v1, -1, v1
	v_add_u32_e32 v3, 32, v3
	v_min_u32_e32 v1, v1, v3
	v_lshlrev_b64 v[8:9], v1, v[6:7]
	v_min_u32_e32 v3, 1, v8
	v_or_b32_e32 v3, v9, v3
	v_cvt_f32_i32_e32 v3, v3
	v_sub_u32_e32 v1, 32, v1
	s_movk_i32 s0, 0xff
	v_mov_b32_e32 v8, 0xff
	v_ldexp_f32 v1, v3, v1
	v_bfe_u32 v3, v1, 23, 8
	v_cmp_ne_u32_e32 vcc, s0, v3
	s_and_saveexec_b64 s[12:13], vcc
; %bb.1755:
	s_mov_b32 s0, 0x3fffff
	v_lshrrev_b32_e32 v8, 23, v1
	v_and_b32_e32 v9, 0x400000, v1
	v_and_or_b32 v1, v1, s0, v3
	v_cmp_ne_u32_e32 vcc, 0, v9
	v_cmp_ne_u32_e64 s[0:1], 0, v1
	s_and_b64 s[0:1], vcc, s[0:1]
	s_nop 0
	v_cndmask_b32_e64 v1, 0, 1, s[0:1]
	v_add_u32_e32 v8, v8, v1
; %bb.1756:
	s_or_b64 exec, exec, s[12:13]
	s_mov_b64 s[0:1], 0
	s_mov_b64 s[12:13], -1
	global_store_byte v[4:5], v8, off
.LBB305_1757:
	s_mov_b64 s[14:15], 0
.LBB305_1758:
	s_and_b64 vcc, exec, s[14:15]
	s_cbranch_vccz .LBB305_1761
; %bb.1759:
	s_cmp_eq_u32 s19, 29
	s_mov_b64 s[0:1], -1
	s_cbranch_scc0 .LBB305_1761
; %bb.1760:
	global_store_dwordx2 v[4:5], v[6:7], off
	s_mov_b64 s[0:1], 0
	s_mov_b64 s[12:13], -1
.LBB305_1761:
	s_mov_b64 s[14:15], 0
.LBB305_1762:
	s_and_b64 vcc, exec, s[14:15]
	s_cbranch_vccz .LBB305_1778
; %bb.1763:
	s_cmp_lt_i32 s19, 27
	s_mov_b64 s[12:13], -1
	s_cbranch_scc1 .LBB305_1769
; %bb.1764:
	s_cmp_gt_i32 s19, 27
	s_cbranch_scc0 .LBB305_1766
; %bb.1765:
	s_mov_b64 s[12:13], 0
	global_store_dword v[4:5], v6, off
.LBB305_1766:
	s_andn2_b64 vcc, exec, s[12:13]
	s_cbranch_vccnz .LBB305_1768
; %bb.1767:
	global_store_short v[4:5], v6, off
.LBB305_1768:
	s_mov_b64 s[12:13], 0
.LBB305_1769:
	s_andn2_b64 vcc, exec, s[12:13]
	s_cbranch_vccnz .LBB305_1777
; %bb.1770:
	v_xor_b32_e32 v3, v6, v7
	v_ffbh_i32_e32 v1, v7
	v_ashrrev_i32_e32 v3, 31, v3
	v_add_u32_e32 v1, -1, v1
	v_add_u32_e32 v3, 32, v3
	v_min_u32_e32 v1, v1, v3
	v_lshlrev_b64 v[8:9], v1, v[6:7]
	v_min_u32_e32 v3, 1, v8
	v_or_b32_e32 v3, v9, v3
	v_cvt_f32_i32_e32 v3, v3
	v_sub_u32_e32 v1, 32, v1
	s_mov_b32 s12, 0x43800000
	v_mov_b32_e32 v8, 0x80
	v_ldexp_f32 v1, v3, v1
	v_and_b32_e32 v3, 0x7fffffff, v1
	v_cmp_gt_u32_e32 vcc, s12, v3
	s_and_saveexec_b64 s[12:13], vcc
	s_cbranch_execz .LBB305_1776
; %bb.1771:
	s_mov_b32 s14, 0x3bffffff
	v_cmp_lt_u32_e32 vcc, s14, v3
	s_mov_b64 s[14:15], 0
                                        ; implicit-def: $vgpr3
	s_and_saveexec_b64 s[16:17], vcc
	s_xor_b64 s[16:17], exec, s[16:17]
	s_cbranch_execz .LBB305_2111
; %bb.1772:
	v_bfe_u32 v3, v1, 20, 1
	s_mov_b32 s20, 0x487ffff
	v_add3_u32 v3, v1, v3, s20
	s_mov_b64 s[14:15], exec
	v_lshrrev_b32_e32 v3, 20, v3
	s_andn2_saveexec_b64 s[16:17], s[16:17]
	s_cbranch_execnz .LBB305_2112
.LBB305_1773:
	s_or_b64 exec, exec, s[16:17]
	v_mov_b32_e32 v8, 0
	s_and_saveexec_b64 s[16:17], s[14:15]
.LBB305_1774:
	v_lshrrev_b32_e32 v1, 24, v1
	s_movk_i32 s14, 0x80
	v_and_or_b32 v8, v1, s14, v3
.LBB305_1775:
	s_or_b64 exec, exec, s[16:17]
.LBB305_1776:
	s_or_b64 exec, exec, s[12:13]
	global_store_byte v[4:5], v8, off
.LBB305_1777:
	s_mov_b64 s[12:13], -1
.LBB305_1778:
	s_mov_b64 s[14:15], 0
.LBB305_1779:
	s_and_b64 vcc, exec, s[14:15]
	s_cbranch_vccz .LBB305_1819
; %bb.1780:
	s_cmp_gt_i32 s19, 22
	s_mov_b64 s[6:7], -1
	s_cbranch_scc0 .LBB305_1812
; %bb.1781:
	s_cmp_lt_i32 s19, 24
	s_cbranch_scc1 .LBB305_1801
; %bb.1782:
	s_cmp_gt_i32 s19, 24
	s_cbranch_scc0 .LBB305_1790
; %bb.1783:
	v_xor_b32_e32 v3, v6, v7
	v_ffbh_i32_e32 v1, v7
	v_ashrrev_i32_e32 v3, 31, v3
	v_add_u32_e32 v1, -1, v1
	v_add_u32_e32 v3, 32, v3
	v_min_u32_e32 v1, v1, v3
	v_lshlrev_b64 v[8:9], v1, v[6:7]
	v_min_u32_e32 v3, 1, v8
	v_or_b32_e32 v3, v9, v3
	v_cvt_f32_i32_e32 v3, v3
	v_sub_u32_e32 v1, 32, v1
	s_mov_b32 s6, 0x47800000
	v_mov_b32_e32 v8, 0x80
	v_ldexp_f32 v1, v3, v1
	v_and_b32_e32 v3, 0x7fffffff, v1
	v_cmp_gt_u32_e32 vcc, s6, v3
	s_and_saveexec_b64 s[6:7], vcc
	s_cbranch_execz .LBB305_1789
; %bb.1784:
	s_mov_b32 s12, 0x37ffffff
	v_cmp_lt_u32_e32 vcc, s12, v3
	s_mov_b64 s[12:13], 0
                                        ; implicit-def: $vgpr3
	s_and_saveexec_b64 s[14:15], vcc
	s_xor_b64 s[14:15], exec, s[14:15]
	s_cbranch_execz .LBB305_2114
; %bb.1785:
	v_bfe_u32 v3, v1, 21, 1
	s_mov_b32 s16, 0x88fffff
	v_add3_u32 v3, v1, v3, s16
	s_mov_b64 s[12:13], exec
	v_lshrrev_b32_e32 v3, 21, v3
	s_andn2_saveexec_b64 s[14:15], s[14:15]
	s_cbranch_execnz .LBB305_2115
.LBB305_1786:
	s_or_b64 exec, exec, s[14:15]
	v_mov_b32_e32 v8, 0
	s_and_saveexec_b64 s[14:15], s[12:13]
.LBB305_1787:
	v_lshrrev_b32_e32 v1, 24, v1
	s_movk_i32 s12, 0x80
	v_and_or_b32 v8, v1, s12, v3
.LBB305_1788:
	s_or_b64 exec, exec, s[14:15]
.LBB305_1789:
	s_or_b64 exec, exec, s[6:7]
	s_mov_b64 s[6:7], 0
	global_store_byte v[4:5], v8, off
.LBB305_1790:
	s_and_b64 vcc, exec, s[6:7]
	s_cbranch_vccz .LBB305_1800
; %bb.1791:
	v_xor_b32_e32 v3, v6, v7
	v_ffbh_i32_e32 v1, v7
	v_ashrrev_i32_e32 v3, 31, v3
	v_add_u32_e32 v1, -1, v1
	v_add_u32_e32 v3, 32, v3
	v_min_u32_e32 v1, v1, v3
	v_lshlrev_b64 v[8:9], v1, v[6:7]
	v_min_u32_e32 v3, 1, v8
	v_or_b32_e32 v3, v9, v3
	v_cvt_f32_i32_e32 v3, v3
	v_sub_u32_e32 v1, 32, v1
	s_mov_b32 s6, 0x43f00000
	v_ldexp_f32 v1, v3, v1
	v_and_b32_e32 v8, 0x7fffffff, v1
	v_cmp_gt_u32_e32 vcc, s6, v8
                                        ; implicit-def: $vgpr3
	s_and_saveexec_b64 s[6:7], vcc
	s_xor_b64 s[6:7], exec, s[6:7]
	s_cbranch_execz .LBB305_1797
; %bb.1792:
	s_mov_b32 s12, 0x3c7fffff
	v_cmp_lt_u32_e32 vcc, s12, v8
                                        ; implicit-def: $vgpr3
	s_and_saveexec_b64 s[12:13], vcc
	s_xor_b64 s[12:13], exec, s[12:13]
; %bb.1793:
	v_bfe_u32 v3, v1, 20, 1
	s_mov_b32 s14, 0x407ffff
	v_add3_u32 v3, v1, v3, s14
	v_lshrrev_b32_e32 v8, 20, v3
	v_and_b32_e32 v3, 0xff00000, v3
	s_mov_b32 s14, 0x7f00000
	v_mov_b32_e32 v9, 0x7e
	v_cmp_ne_u32_e32 vcc, s14, v3
	s_nop 1
	v_cndmask_b32_e32 v3, v9, v8, vcc
; %bb.1794:
	s_andn2_saveexec_b64 s[12:13], s[12:13]
; %bb.1795:
	s_mov_b32 s14, 0x46800000
	v_add_f32_e64 v3, |v1|, s14
; %bb.1796:
	s_or_b64 exec, exec, s[12:13]
                                        ; implicit-def: $vgpr8
.LBB305_1797:
	s_andn2_saveexec_b64 s[6:7], s[6:7]
; %bb.1798:
	s_mov_b32 s12, 0x7f800000
	v_mov_b32_e32 v3, 0x7e
	v_mov_b32_e32 v9, 0x7f
	v_cmp_lt_u32_e32 vcc, s12, v8
	s_nop 1
	v_cndmask_b32_e32 v3, v3, v9, vcc
; %bb.1799:
	s_or_b64 exec, exec, s[6:7]
	v_lshrrev_b32_e32 v1, 24, v1
	s_movk_i32 s6, 0x80
	v_and_or_b32 v1, v1, s6, v3
	global_store_byte v[4:5], v1, off
.LBB305_1800:
	s_mov_b64 s[6:7], 0
.LBB305_1801:
	s_andn2_b64 vcc, exec, s[6:7]
	s_cbranch_vccnz .LBB305_1811
; %bb.1802:
	v_xor_b32_e32 v3, v6, v7
	v_ffbh_i32_e32 v1, v7
	v_ashrrev_i32_e32 v3, 31, v3
	v_add_u32_e32 v1, -1, v1
	v_add_u32_e32 v3, 32, v3
	v_min_u32_e32 v1, v1, v3
	v_lshlrev_b64 v[8:9], v1, v[6:7]
	v_min_u32_e32 v3, 1, v8
	v_or_b32_e32 v3, v9, v3
	v_cvt_f32_i32_e32 v3, v3
	v_sub_u32_e32 v1, 32, v1
	s_mov_b32 s6, 0x47800000
	v_ldexp_f32 v1, v3, v1
	v_and_b32_e32 v8, 0x7fffffff, v1
	v_cmp_gt_u32_e32 vcc, s6, v8
                                        ; implicit-def: $vgpr3
	s_and_saveexec_b64 s[6:7], vcc
	s_xor_b64 s[6:7], exec, s[6:7]
	s_cbranch_execz .LBB305_1808
; %bb.1803:
	s_mov_b32 s12, 0x387fffff
	v_cmp_lt_u32_e32 vcc, s12, v8
                                        ; implicit-def: $vgpr3
	s_and_saveexec_b64 s[12:13], vcc
	s_xor_b64 s[12:13], exec, s[12:13]
; %bb.1804:
	v_bfe_u32 v3, v1, 21, 1
	s_mov_b32 s14, 0x80fffff
	v_add3_u32 v3, v1, v3, s14
	v_lshrrev_b32_e32 v3, 21, v3
; %bb.1805:
	s_andn2_saveexec_b64 s[12:13], s[12:13]
; %bb.1806:
	s_mov_b32 s14, 0x43000000
	v_add_f32_e64 v3, |v1|, s14
; %bb.1807:
	s_or_b64 exec, exec, s[12:13]
                                        ; implicit-def: $vgpr8
.LBB305_1808:
	s_andn2_saveexec_b64 s[6:7], s[6:7]
; %bb.1809:
	s_mov_b32 s12, 0x7f800000
	v_mov_b32_e32 v3, 0x7c
	v_mov_b32_e32 v9, 0x7f
	v_cmp_lt_u32_e32 vcc, s12, v8
	s_nop 1
	v_cndmask_b32_e32 v3, v3, v9, vcc
; %bb.1810:
	s_or_b64 exec, exec, s[6:7]
	v_lshrrev_b32_e32 v1, 24, v1
	s_movk_i32 s6, 0x80
	v_and_or_b32 v1, v1, s6, v3
	global_store_byte v[4:5], v1, off
.LBB305_1811:
	s_mov_b64 s[6:7], 0
	s_mov_b64 s[12:13], -1
.LBB305_1812:
	s_andn2_b64 vcc, exec, s[6:7]
	s_mov_b64 s[6:7], 0
	s_cbranch_vccnz .LBB305_1819
; %bb.1813:
	s_cmp_gt_i32 s19, 14
	s_mov_b64 s[14:15], -1
	s_cbranch_scc0 .LBB305_1817
; %bb.1814:
	s_cmp_eq_u32 s19, 15
	s_mov_b64 s[0:1], -1
	s_cbranch_scc0 .LBB305_1816
; %bb.1815:
	v_xor_b32_e32 v3, v6, v7
	v_ffbh_i32_e32 v1, v7
	v_ashrrev_i32_e32 v3, 31, v3
	v_add_u32_e32 v1, -1, v1
	v_add_u32_e32 v3, 32, v3
	v_min_u32_e32 v1, v1, v3
	v_lshlrev_b64 v[8:9], v1, v[6:7]
	v_min_u32_e32 v3, 1, v8
	v_or_b32_e32 v3, v9, v3
	v_cvt_f32_i32_e32 v3, v3
	v_sub_u32_e32 v1, 32, v1
	s_movk_i32 s0, 0x7fff
	s_mov_b64 s[12:13], -1
	v_ldexp_f32 v1, v3, v1
	v_bfe_u32 v3, v1, 16, 1
	v_add3_u32 v1, v1, v3, s0
	global_store_short_d16_hi v[4:5], v1, off
	s_mov_b64 s[0:1], 0
.LBB305_1816:
	s_mov_b64 s[14:15], 0
.LBB305_1817:
	s_and_b64 vcc, exec, s[14:15]
	s_cbranch_vccz .LBB305_1819
; %bb.1818:
	s_cmp_lg_u32 s19, 11
	s_mov_b64 s[6:7], -1
	s_cselect_b64 s[0:1], -1, 0
.LBB305_1819:
	s_and_b64 vcc, exec, s[0:1]
	s_cbranch_vccnz .LBB305_2113
; %bb.1820:
	s_andn2_b64 vcc, exec, s[6:7]
	s_cbranch_vccnz .LBB305_1822
.LBB305_1821:
	v_cmp_ne_u64_e32 vcc, 0, v[6:7]
	s_mov_b64 s[12:13], -1
	s_nop 0
	v_cndmask_b32_e64 v1, 0, 1, vcc
	global_store_byte v[4:5], v1, off
.LBB305_1822:
	s_mov_b64 s[0:1], 0
	s_branch .LBB305_1824
.LBB305_1823:
	s_mov_b64 s[0:1], -1
	s_mov_b64 s[12:13], 0
.LBB305_1824:
	s_and_b64 vcc, exec, s[0:1]
	s_cbranch_vccz .LBB305_1863
; %bb.1825:
	s_cmp_lt_i32 s19, 5
	s_mov_b64 s[0:1], -1
	s_cbranch_scc1 .LBB305_1846
; %bb.1826:
	s_cmp_lt_i32 s19, 8
	s_cbranch_scc1 .LBB305_1836
; %bb.1827:
	s_cmp_lt_i32 s19, 9
	s_cbranch_scc1 .LBB305_1833
; %bb.1828:
	s_cmp_gt_i32 s19, 9
	s_cbranch_scc0 .LBB305_1830
; %bb.1829:
	v_cvt_f64_i32_e32 v[8:9], v7
	v_ldexp_f64 v[8:9], v[8:9], 32
	v_cvt_f64_u32_e32 v[10:11], v6
	v_add_f64 v[8:9], v[8:9], v[10:11]
	v_mov_b32_e32 v10, 0
	v_mov_b32_e32 v11, v10
	global_store_dwordx4 v[4:5], v[8:11], off
	s_mov_b64 s[0:1], 0
.LBB305_1830:
	s_andn2_b64 vcc, exec, s[0:1]
	s_cbranch_vccnz .LBB305_1832
; %bb.1831:
	v_xor_b32_e32 v3, v6, v7
	v_ffbh_i32_e32 v1, v7
	v_ashrrev_i32_e32 v3, 31, v3
	v_add_u32_e32 v1, -1, v1
	v_add_u32_e32 v3, 32, v3
	v_min_u32_e32 v1, v1, v3
	v_lshlrev_b64 v[8:9], v1, v[6:7]
	v_min_u32_e32 v3, 1, v8
	v_or_b32_e32 v3, v9, v3
	v_cvt_f32_i32_e32 v3, v3
	v_sub_u32_e32 v1, 32, v1
	v_mov_b32_e32 v9, 0
	v_ldexp_f32 v8, v3, v1
	global_store_dwordx2 v[4:5], v[8:9], off
.LBB305_1832:
	s_mov_b64 s[0:1], 0
.LBB305_1833:
	s_andn2_b64 vcc, exec, s[0:1]
	s_cbranch_vccnz .LBB305_1835
; %bb.1834:
	v_xor_b32_e32 v3, v6, v7
	v_ffbh_i32_e32 v1, v7
	v_ashrrev_i32_e32 v3, 31, v3
	v_add_u32_e32 v1, -1, v1
	v_add_u32_e32 v3, 32, v3
	v_min_u32_e32 v1, v1, v3
	v_lshlrev_b64 v[8:9], v1, v[6:7]
	v_min_u32_e32 v3, 1, v8
	v_or_b32_e32 v3, v9, v3
	v_cvt_f32_i32_e32 v3, v3
	v_sub_u32_e32 v1, 32, v1
	v_ldexp_f32 v1, v3, v1
	v_cvt_f16_f32_e32 v1, v1
	global_store_dword v[4:5], v1, off
.LBB305_1835:
	s_mov_b64 s[0:1], 0
.LBB305_1836:
	s_andn2_b64 vcc, exec, s[0:1]
	s_cbranch_vccnz .LBB305_1845
; %bb.1837:
	s_cmp_lt_i32 s19, 6
	s_mov_b64 s[0:1], -1
	s_cbranch_scc1 .LBB305_1843
; %bb.1838:
	s_cmp_gt_i32 s19, 6
	s_cbranch_scc0 .LBB305_1840
; %bb.1839:
	v_cvt_f64_i32_e32 v[8:9], v7
	v_ldexp_f64 v[8:9], v[8:9], 32
	v_cvt_f64_u32_e32 v[10:11], v6
	v_add_f64 v[8:9], v[8:9], v[10:11]
	global_store_dwordx2 v[4:5], v[8:9], off
	s_mov_b64 s[0:1], 0
.LBB305_1840:
	s_andn2_b64 vcc, exec, s[0:1]
	s_cbranch_vccnz .LBB305_1842
; %bb.1841:
	v_xor_b32_e32 v3, v6, v7
	v_ffbh_i32_e32 v1, v7
	v_ashrrev_i32_e32 v3, 31, v3
	v_add_u32_e32 v1, -1, v1
	v_add_u32_e32 v3, 32, v3
	v_min_u32_e32 v1, v1, v3
	v_lshlrev_b64 v[8:9], v1, v[6:7]
	v_min_u32_e32 v3, 1, v8
	v_or_b32_e32 v3, v9, v3
	v_cvt_f32_i32_e32 v3, v3
	v_sub_u32_e32 v1, 32, v1
	v_ldexp_f32 v1, v3, v1
	global_store_dword v[4:5], v1, off
.LBB305_1842:
	s_mov_b64 s[0:1], 0
.LBB305_1843:
	s_andn2_b64 vcc, exec, s[0:1]
	s_cbranch_vccnz .LBB305_1845
; %bb.1844:
	v_xor_b32_e32 v3, v6, v7
	v_ffbh_i32_e32 v1, v7
	v_ashrrev_i32_e32 v3, 31, v3
	v_add_u32_e32 v1, -1, v1
	v_add_u32_e32 v3, 32, v3
	v_min_u32_e32 v1, v1, v3
	v_lshlrev_b64 v[8:9], v1, v[6:7]
	v_min_u32_e32 v3, 1, v8
	v_or_b32_e32 v3, v9, v3
	v_cvt_f32_i32_e32 v3, v3
	v_sub_u32_e32 v1, 32, v1
	v_ldexp_f32 v1, v3, v1
	v_cvt_f16_f32_e32 v1, v1
	global_store_short v[4:5], v1, off
.LBB305_1845:
	s_mov_b64 s[0:1], 0
.LBB305_1846:
	s_andn2_b64 vcc, exec, s[0:1]
	s_cbranch_vccnz .LBB305_1862
; %bb.1847:
	s_cmp_lt_i32 s19, 2
	s_mov_b64 s[0:1], -1
	s_cbranch_scc1 .LBB305_1857
; %bb.1848:
	s_cmp_lt_i32 s19, 3
	s_cbranch_scc1 .LBB305_1854
; %bb.1849:
	s_cmp_gt_i32 s19, 3
	s_cbranch_scc0 .LBB305_1851
; %bb.1850:
	global_store_dwordx2 v[4:5], v[6:7], off
	s_mov_b64 s[0:1], 0
.LBB305_1851:
	s_andn2_b64 vcc, exec, s[0:1]
	s_cbranch_vccnz .LBB305_1853
; %bb.1852:
	global_store_dword v[4:5], v6, off
.LBB305_1853:
	s_mov_b64 s[0:1], 0
.LBB305_1854:
	s_andn2_b64 vcc, exec, s[0:1]
	s_cbranch_vccnz .LBB305_1856
; %bb.1855:
	global_store_short v[4:5], v6, off
.LBB305_1856:
	s_mov_b64 s[0:1], 0
.LBB305_1857:
	s_andn2_b64 vcc, exec, s[0:1]
	s_cbranch_vccnz .LBB305_1862
; %bb.1858:
	s_cmp_gt_i32 s19, 0
	s_mov_b64 s[0:1], -1
	s_cbranch_scc0 .LBB305_1860
; %bb.1859:
	global_store_byte v[4:5], v6, off
	s_mov_b64 s[0:1], 0
.LBB305_1860:
	s_andn2_b64 vcc, exec, s[0:1]
	s_cbranch_vccnz .LBB305_1862
; %bb.1861:
	global_store_byte v[4:5], v6, off
.LBB305_1862:
	s_mov_b64 s[12:13], -1
.LBB305_1863:
	s_andn2_b64 vcc, exec, s[12:13]
	s_cbranch_vccnz .LBB305_2059
; %bb.1864:
	v_mov_b32_e32 v1, s9
	v_cmp_lt_i64_e32 vcc, s[8:9], v[12:13]
	v_mov_b32_e32 v3, 0
	s_cmp_lt_i32 s19, 11
	v_cndmask_b32_e32 v5, v1, v13, vcc
	v_mov_b32_e32 v1, s8
	v_cndmask_b32_e32 v4, v1, v12, vcc
	v_mov_b32_e32 v1, s11
	v_cmp_gt_i64_e32 vcc, s[10:11], v[4:5]
	v_lshl_add_u64 v[2:3], s[4:5], 0, v[2:3]
	s_nop 0
	v_cndmask_b32_e32 v5, v1, v5, vcc
	v_mov_b32_e32 v1, s10
	v_cndmask_b32_e32 v4, v1, v4, vcc
	s_cbranch_scc1 .LBB305_1942
; %bb.1865:
	s_mov_b64 s[14:15], -1
	s_mov_b64 s[6:7], 0
	s_cmp_gt_i32 s19, 25
	s_mov_b64 s[12:13], 0
	s_mov_b64 s[0:1], 0
	s_cbranch_scc0 .LBB305_1898
; %bb.1866:
	s_cmp_gt_i32 s19, 28
	s_cbranch_scc0 .LBB305_1881
; %bb.1867:
	s_cmp_gt_i32 s19, 43
	;; [unrolled: 3-line block ×3, first 2 shown]
	s_cbranch_scc0 .LBB305_1871
; %bb.1869:
	s_mov_b64 s[0:1], -1
	s_mov_b64 s[14:15], 0
	s_cmp_eq_u32 s19, 46
	s_cbranch_scc0 .LBB305_1871
; %bb.1870:
	v_xor_b32_e32 v6, v4, v5
	v_ffbh_i32_e32 v1, v5
	v_ashrrev_i32_e32 v6, 31, v6
	v_add_u32_e32 v1, -1, v1
	v_add_u32_e32 v6, 32, v6
	v_min_u32_e32 v1, v1, v6
	v_lshlrev_b64 v[6:7], v1, v[4:5]
	v_min_u32_e32 v6, 1, v6
	v_or_b32_e32 v6, v7, v6
	v_cvt_f32_i32_e32 v6, v6
	v_sub_u32_e32 v1, 32, v1
	s_movk_i32 s0, 0x7fff
	s_mov_b64 s[12:13], -1
	v_ldexp_f32 v1, v6, v1
	v_bfe_u32 v6, v1, 16, 1
	v_add3_u32 v1, v1, v6, s0
	v_lshrrev_b32_e32 v1, 16, v1
	global_store_dword v[2:3], v1, off
	s_mov_b64 s[0:1], 0
.LBB305_1871:
	s_and_b64 vcc, exec, s[14:15]
	s_cbranch_vccz .LBB305_1876
; %bb.1872:
	s_cmp_eq_u32 s19, 44
	s_mov_b64 s[0:1], -1
	s_cbranch_scc0 .LBB305_1876
; %bb.1873:
	v_xor_b32_e32 v6, v4, v5
	v_ffbh_i32_e32 v1, v5
	v_ashrrev_i32_e32 v6, 31, v6
	v_add_u32_e32 v1, -1, v1
	v_add_u32_e32 v6, 32, v6
	v_min_u32_e32 v1, v1, v6
	v_lshlrev_b64 v[6:7], v1, v[4:5]
	v_min_u32_e32 v6, 1, v6
	v_or_b32_e32 v6, v7, v6
	v_cvt_f32_i32_e32 v6, v6
	v_sub_u32_e32 v1, 32, v1
	s_movk_i32 s0, 0xff
	v_mov_b32_e32 v7, 0xff
	v_ldexp_f32 v1, v6, v1
	v_bfe_u32 v6, v1, 23, 8
	v_cmp_ne_u32_e32 vcc, s0, v6
	s_and_saveexec_b64 s[12:13], vcc
; %bb.1874:
	s_mov_b32 s0, 0x3fffff
	v_lshrrev_b32_e32 v7, 23, v1
	v_and_b32_e32 v8, 0x400000, v1
	v_and_or_b32 v1, v1, s0, v6
	v_cmp_ne_u32_e32 vcc, 0, v8
	v_cmp_ne_u32_e64 s[0:1], 0, v1
	s_and_b64 s[0:1], vcc, s[0:1]
	s_nop 0
	v_cndmask_b32_e64 v1, 0, 1, s[0:1]
	v_add_u32_e32 v7, v7, v1
; %bb.1875:
	s_or_b64 exec, exec, s[12:13]
	s_mov_b64 s[0:1], 0
	s_mov_b64 s[12:13], -1
	global_store_byte v[2:3], v7, off
.LBB305_1876:
	s_mov_b64 s[14:15], 0
.LBB305_1877:
	s_and_b64 vcc, exec, s[14:15]
	s_cbranch_vccz .LBB305_1880
; %bb.1878:
	s_cmp_eq_u32 s19, 29
	s_mov_b64 s[0:1], -1
	s_cbranch_scc0 .LBB305_1880
; %bb.1879:
	global_store_dwordx2 v[2:3], v[4:5], off
	s_mov_b64 s[0:1], 0
	s_mov_b64 s[12:13], -1
.LBB305_1880:
	s_mov_b64 s[14:15], 0
.LBB305_1881:
	s_and_b64 vcc, exec, s[14:15]
	s_cbranch_vccz .LBB305_1897
; %bb.1882:
	s_cmp_lt_i32 s19, 27
	s_mov_b64 s[12:13], -1
	s_cbranch_scc1 .LBB305_1888
; %bb.1883:
	s_cmp_gt_i32 s19, 27
	s_cbranch_scc0 .LBB305_1885
; %bb.1884:
	s_mov_b64 s[12:13], 0
	global_store_dword v[2:3], v4, off
.LBB305_1885:
	s_andn2_b64 vcc, exec, s[12:13]
	s_cbranch_vccnz .LBB305_1887
; %bb.1886:
	global_store_short v[2:3], v4, off
.LBB305_1887:
	s_mov_b64 s[12:13], 0
.LBB305_1888:
	s_andn2_b64 vcc, exec, s[12:13]
	s_cbranch_vccnz .LBB305_1896
; %bb.1889:
	v_xor_b32_e32 v6, v4, v5
	v_ffbh_i32_e32 v1, v5
	v_ashrrev_i32_e32 v6, 31, v6
	v_add_u32_e32 v1, -1, v1
	v_add_u32_e32 v6, 32, v6
	v_min_u32_e32 v1, v1, v6
	v_lshlrev_b64 v[6:7], v1, v[4:5]
	v_min_u32_e32 v6, 1, v6
	v_or_b32_e32 v6, v7, v6
	v_cvt_f32_i32_e32 v6, v6
	v_sub_u32_e32 v1, 32, v1
	s_mov_b32 s12, 0x43800000
	v_mov_b32_e32 v7, 0x80
	v_ldexp_f32 v1, v6, v1
	v_and_b32_e32 v6, 0x7fffffff, v1
	v_cmp_gt_u32_e32 vcc, s12, v6
	s_and_saveexec_b64 s[12:13], vcc
	s_cbranch_execz .LBB305_1895
; %bb.1890:
	s_mov_b32 s14, 0x3bffffff
	v_cmp_lt_u32_e32 vcc, s14, v6
	s_mov_b64 s[14:15], 0
                                        ; implicit-def: $vgpr6
	s_and_saveexec_b64 s[16:17], vcc
	s_xor_b64 s[16:17], exec, s[16:17]
	s_cbranch_execz .LBB305_2116
; %bb.1891:
	v_bfe_u32 v6, v1, 20, 1
	s_mov_b32 s20, 0x487ffff
	v_add3_u32 v6, v1, v6, s20
	s_mov_b64 s[14:15], exec
	v_lshrrev_b32_e32 v6, 20, v6
	s_andn2_saveexec_b64 s[16:17], s[16:17]
	s_cbranch_execnz .LBB305_2117
.LBB305_1892:
	s_or_b64 exec, exec, s[16:17]
	v_mov_b32_e32 v7, 0
	s_and_saveexec_b64 s[16:17], s[14:15]
.LBB305_1893:
	v_lshrrev_b32_e32 v1, 24, v1
	s_movk_i32 s14, 0x80
	v_and_or_b32 v7, v1, s14, v6
.LBB305_1894:
	s_or_b64 exec, exec, s[16:17]
.LBB305_1895:
	s_or_b64 exec, exec, s[12:13]
	global_store_byte v[2:3], v7, off
.LBB305_1896:
	s_mov_b64 s[12:13], -1
.LBB305_1897:
	s_mov_b64 s[14:15], 0
.LBB305_1898:
	s_and_b64 vcc, exec, s[14:15]
	s_cbranch_vccz .LBB305_1938
; %bb.1899:
	s_cmp_gt_i32 s19, 22
	s_mov_b64 s[6:7], -1
	s_cbranch_scc0 .LBB305_1931
; %bb.1900:
	s_cmp_lt_i32 s19, 24
	s_cbranch_scc1 .LBB305_1920
; %bb.1901:
	s_cmp_gt_i32 s19, 24
	s_cbranch_scc0 .LBB305_1909
; %bb.1902:
	v_xor_b32_e32 v6, v4, v5
	v_ffbh_i32_e32 v1, v5
	v_ashrrev_i32_e32 v6, 31, v6
	v_add_u32_e32 v1, -1, v1
	v_add_u32_e32 v6, 32, v6
	v_min_u32_e32 v1, v1, v6
	v_lshlrev_b64 v[6:7], v1, v[4:5]
	v_min_u32_e32 v6, 1, v6
	v_or_b32_e32 v6, v7, v6
	v_cvt_f32_i32_e32 v6, v6
	v_sub_u32_e32 v1, 32, v1
	s_mov_b32 s6, 0x47800000
	v_mov_b32_e32 v7, 0x80
	v_ldexp_f32 v1, v6, v1
	v_and_b32_e32 v6, 0x7fffffff, v1
	v_cmp_gt_u32_e32 vcc, s6, v6
	s_and_saveexec_b64 s[6:7], vcc
	s_cbranch_execz .LBB305_1908
; %bb.1903:
	s_mov_b32 s12, 0x37ffffff
	v_cmp_lt_u32_e32 vcc, s12, v6
	s_mov_b64 s[12:13], 0
                                        ; implicit-def: $vgpr6
	s_and_saveexec_b64 s[14:15], vcc
	s_xor_b64 s[14:15], exec, s[14:15]
	s_cbranch_execz .LBB305_2119
; %bb.1904:
	v_bfe_u32 v6, v1, 21, 1
	s_mov_b32 s16, 0x88fffff
	v_add3_u32 v6, v1, v6, s16
	s_mov_b64 s[12:13], exec
	v_lshrrev_b32_e32 v6, 21, v6
	s_andn2_saveexec_b64 s[14:15], s[14:15]
	s_cbranch_execnz .LBB305_2120
.LBB305_1905:
	s_or_b64 exec, exec, s[14:15]
	v_mov_b32_e32 v7, 0
	s_and_saveexec_b64 s[14:15], s[12:13]
.LBB305_1906:
	v_lshrrev_b32_e32 v1, 24, v1
	s_movk_i32 s12, 0x80
	v_and_or_b32 v7, v1, s12, v6
.LBB305_1907:
	s_or_b64 exec, exec, s[14:15]
.LBB305_1908:
	s_or_b64 exec, exec, s[6:7]
	s_mov_b64 s[6:7], 0
	global_store_byte v[2:3], v7, off
.LBB305_1909:
	s_and_b64 vcc, exec, s[6:7]
	s_cbranch_vccz .LBB305_1919
; %bb.1910:
	v_xor_b32_e32 v6, v4, v5
	v_ffbh_i32_e32 v1, v5
	v_ashrrev_i32_e32 v6, 31, v6
	v_add_u32_e32 v1, -1, v1
	v_add_u32_e32 v6, 32, v6
	v_min_u32_e32 v1, v1, v6
	v_lshlrev_b64 v[6:7], v1, v[4:5]
	v_min_u32_e32 v6, 1, v6
	v_or_b32_e32 v6, v7, v6
	v_cvt_f32_i32_e32 v6, v6
	v_sub_u32_e32 v1, 32, v1
	s_mov_b32 s6, 0x43f00000
	v_ldexp_f32 v1, v6, v1
	v_and_b32_e32 v7, 0x7fffffff, v1
	v_cmp_gt_u32_e32 vcc, s6, v7
                                        ; implicit-def: $vgpr6
	s_and_saveexec_b64 s[6:7], vcc
	s_xor_b64 s[6:7], exec, s[6:7]
	s_cbranch_execz .LBB305_1916
; %bb.1911:
	s_mov_b32 s12, 0x3c7fffff
	v_cmp_lt_u32_e32 vcc, s12, v7
                                        ; implicit-def: $vgpr6
	s_and_saveexec_b64 s[12:13], vcc
	s_xor_b64 s[12:13], exec, s[12:13]
; %bb.1912:
	v_bfe_u32 v6, v1, 20, 1
	s_mov_b32 s14, 0x407ffff
	v_add3_u32 v6, v1, v6, s14
	v_lshrrev_b32_e32 v7, 20, v6
	v_and_b32_e32 v6, 0xff00000, v6
	s_mov_b32 s14, 0x7f00000
	v_mov_b32_e32 v8, 0x7e
	v_cmp_ne_u32_e32 vcc, s14, v6
	s_nop 1
	v_cndmask_b32_e32 v6, v8, v7, vcc
; %bb.1913:
	s_andn2_saveexec_b64 s[12:13], s[12:13]
; %bb.1914:
	s_mov_b32 s14, 0x46800000
	v_add_f32_e64 v6, |v1|, s14
; %bb.1915:
	s_or_b64 exec, exec, s[12:13]
                                        ; implicit-def: $vgpr7
.LBB305_1916:
	s_andn2_saveexec_b64 s[6:7], s[6:7]
; %bb.1917:
	s_mov_b32 s12, 0x7f800000
	v_mov_b32_e32 v6, 0x7e
	v_mov_b32_e32 v8, 0x7f
	v_cmp_lt_u32_e32 vcc, s12, v7
	s_nop 1
	v_cndmask_b32_e32 v6, v6, v8, vcc
; %bb.1918:
	s_or_b64 exec, exec, s[6:7]
	v_lshrrev_b32_e32 v1, 24, v1
	s_movk_i32 s6, 0x80
	v_and_or_b32 v1, v1, s6, v6
	global_store_byte v[2:3], v1, off
.LBB305_1919:
	s_mov_b64 s[6:7], 0
.LBB305_1920:
	s_andn2_b64 vcc, exec, s[6:7]
	s_cbranch_vccnz .LBB305_1930
; %bb.1921:
	v_xor_b32_e32 v6, v4, v5
	v_ffbh_i32_e32 v1, v5
	v_ashrrev_i32_e32 v6, 31, v6
	v_add_u32_e32 v1, -1, v1
	v_add_u32_e32 v6, 32, v6
	v_min_u32_e32 v1, v1, v6
	v_lshlrev_b64 v[6:7], v1, v[4:5]
	v_min_u32_e32 v6, 1, v6
	v_or_b32_e32 v6, v7, v6
	v_cvt_f32_i32_e32 v6, v6
	v_sub_u32_e32 v1, 32, v1
	s_mov_b32 s6, 0x47800000
	v_ldexp_f32 v1, v6, v1
	v_and_b32_e32 v7, 0x7fffffff, v1
	v_cmp_gt_u32_e32 vcc, s6, v7
                                        ; implicit-def: $vgpr6
	s_and_saveexec_b64 s[6:7], vcc
	s_xor_b64 s[6:7], exec, s[6:7]
	s_cbranch_execz .LBB305_1927
; %bb.1922:
	s_mov_b32 s12, 0x387fffff
	v_cmp_lt_u32_e32 vcc, s12, v7
                                        ; implicit-def: $vgpr6
	s_and_saveexec_b64 s[12:13], vcc
	s_xor_b64 s[12:13], exec, s[12:13]
; %bb.1923:
	v_bfe_u32 v6, v1, 21, 1
	s_mov_b32 s14, 0x80fffff
	v_add3_u32 v6, v1, v6, s14
	v_lshrrev_b32_e32 v6, 21, v6
; %bb.1924:
	s_andn2_saveexec_b64 s[12:13], s[12:13]
; %bb.1925:
	s_mov_b32 s14, 0x43000000
	v_add_f32_e64 v6, |v1|, s14
; %bb.1926:
	s_or_b64 exec, exec, s[12:13]
                                        ; implicit-def: $vgpr7
.LBB305_1927:
	s_andn2_saveexec_b64 s[6:7], s[6:7]
; %bb.1928:
	s_mov_b32 s12, 0x7f800000
	v_mov_b32_e32 v6, 0x7c
	v_mov_b32_e32 v8, 0x7f
	v_cmp_lt_u32_e32 vcc, s12, v7
	s_nop 1
	v_cndmask_b32_e32 v6, v6, v8, vcc
; %bb.1929:
	s_or_b64 exec, exec, s[6:7]
	v_lshrrev_b32_e32 v1, 24, v1
	s_movk_i32 s6, 0x80
	v_and_or_b32 v1, v1, s6, v6
	global_store_byte v[2:3], v1, off
.LBB305_1930:
	s_mov_b64 s[6:7], 0
	s_mov_b64 s[12:13], -1
.LBB305_1931:
	s_andn2_b64 vcc, exec, s[6:7]
	s_mov_b64 s[6:7], 0
	s_cbranch_vccnz .LBB305_1938
; %bb.1932:
	s_cmp_gt_i32 s19, 14
	s_mov_b64 s[14:15], -1
	s_cbranch_scc0 .LBB305_1936
; %bb.1933:
	s_cmp_eq_u32 s19, 15
	s_mov_b64 s[0:1], -1
	s_cbranch_scc0 .LBB305_1935
; %bb.1934:
	v_xor_b32_e32 v6, v4, v5
	v_ffbh_i32_e32 v1, v5
	v_ashrrev_i32_e32 v6, 31, v6
	v_add_u32_e32 v1, -1, v1
	v_add_u32_e32 v6, 32, v6
	v_min_u32_e32 v1, v1, v6
	v_lshlrev_b64 v[6:7], v1, v[4:5]
	v_min_u32_e32 v6, 1, v6
	v_or_b32_e32 v6, v7, v6
	v_cvt_f32_i32_e32 v6, v6
	v_sub_u32_e32 v1, 32, v1
	s_movk_i32 s0, 0x7fff
	s_mov_b64 s[12:13], -1
	v_ldexp_f32 v1, v6, v1
	v_bfe_u32 v6, v1, 16, 1
	v_add3_u32 v1, v1, v6, s0
	global_store_short_d16_hi v[2:3], v1, off
	s_mov_b64 s[0:1], 0
.LBB305_1935:
	s_mov_b64 s[14:15], 0
.LBB305_1936:
	s_and_b64 vcc, exec, s[14:15]
	s_cbranch_vccz .LBB305_1938
; %bb.1937:
	s_cmp_lg_u32 s19, 11
	s_mov_b64 s[6:7], -1
	s_cselect_b64 s[0:1], -1, 0
.LBB305_1938:
	s_and_b64 vcc, exec, s[0:1]
	s_cbranch_vccnz .LBB305_2118
; %bb.1939:
	s_andn2_b64 vcc, exec, s[6:7]
	s_cbranch_vccnz .LBB305_1941
.LBB305_1940:
	v_cmp_ne_u64_e32 vcc, 0, v[4:5]
	s_mov_b64 s[12:13], -1
	s_nop 0
	v_cndmask_b32_e64 v1, 0, 1, vcc
	global_store_byte v[2:3], v1, off
.LBB305_1941:
	s_mov_b64 s[0:1], 0
	s_branch .LBB305_1943
.LBB305_1942:
	s_mov_b64 s[0:1], -1
	s_mov_b64 s[12:13], 0
.LBB305_1943:
	s_and_b64 vcc, exec, s[0:1]
	s_cbranch_vccz .LBB305_1982
; %bb.1944:
	s_cmp_lt_i32 s19, 5
	s_mov_b64 s[0:1], -1
	s_cbranch_scc1 .LBB305_1965
; %bb.1945:
	s_cmp_lt_i32 s19, 8
	s_cbranch_scc1 .LBB305_1955
; %bb.1946:
	s_cmp_lt_i32 s19, 9
	s_cbranch_scc1 .LBB305_1952
; %bb.1947:
	s_cmp_gt_i32 s19, 9
	s_cbranch_scc0 .LBB305_1949
; %bb.1948:
	v_cvt_f64_i32_e32 v[6:7], v5
	v_ldexp_f64 v[6:7], v[6:7], 32
	v_cvt_f64_u32_e32 v[8:9], v4
	v_add_f64 v[6:7], v[6:7], v[8:9]
	v_mov_b32_e32 v8, 0
	v_mov_b32_e32 v9, v8
	global_store_dwordx4 v[2:3], v[6:9], off
	s_mov_b64 s[0:1], 0
.LBB305_1949:
	s_andn2_b64 vcc, exec, s[0:1]
	s_cbranch_vccnz .LBB305_1951
; %bb.1950:
	v_xor_b32_e32 v6, v4, v5
	v_ffbh_i32_e32 v1, v5
	v_ashrrev_i32_e32 v6, 31, v6
	v_add_u32_e32 v1, -1, v1
	v_add_u32_e32 v6, 32, v6
	v_min_u32_e32 v1, v1, v6
	v_lshlrev_b64 v[6:7], v1, v[4:5]
	v_min_u32_e32 v6, 1, v6
	v_or_b32_e32 v6, v7, v6
	v_cvt_f32_i32_e32 v6, v6
	v_sub_u32_e32 v1, 32, v1
	v_mov_b32_e32 v7, 0
	v_ldexp_f32 v6, v6, v1
	global_store_dwordx2 v[2:3], v[6:7], off
.LBB305_1951:
	s_mov_b64 s[0:1], 0
.LBB305_1952:
	s_andn2_b64 vcc, exec, s[0:1]
	s_cbranch_vccnz .LBB305_1954
; %bb.1953:
	v_xor_b32_e32 v6, v4, v5
	v_ffbh_i32_e32 v1, v5
	v_ashrrev_i32_e32 v6, 31, v6
	v_add_u32_e32 v1, -1, v1
	v_add_u32_e32 v6, 32, v6
	v_min_u32_e32 v1, v1, v6
	v_lshlrev_b64 v[6:7], v1, v[4:5]
	v_min_u32_e32 v6, 1, v6
	v_or_b32_e32 v6, v7, v6
	v_cvt_f32_i32_e32 v6, v6
	v_sub_u32_e32 v1, 32, v1
	v_ldexp_f32 v1, v6, v1
	v_cvt_f16_f32_e32 v1, v1
	global_store_dword v[2:3], v1, off
.LBB305_1954:
	s_mov_b64 s[0:1], 0
.LBB305_1955:
	s_andn2_b64 vcc, exec, s[0:1]
	s_cbranch_vccnz .LBB305_1964
; %bb.1956:
	s_cmp_lt_i32 s19, 6
	s_mov_b64 s[0:1], -1
	s_cbranch_scc1 .LBB305_1962
; %bb.1957:
	s_cmp_gt_i32 s19, 6
	s_cbranch_scc0 .LBB305_1959
; %bb.1958:
	v_cvt_f64_i32_e32 v[6:7], v5
	v_ldexp_f64 v[6:7], v[6:7], 32
	v_cvt_f64_u32_e32 v[8:9], v4
	v_add_f64 v[6:7], v[6:7], v[8:9]
	global_store_dwordx2 v[2:3], v[6:7], off
	s_mov_b64 s[0:1], 0
.LBB305_1959:
	s_andn2_b64 vcc, exec, s[0:1]
	s_cbranch_vccnz .LBB305_1961
; %bb.1960:
	v_xor_b32_e32 v6, v4, v5
	v_ffbh_i32_e32 v1, v5
	v_ashrrev_i32_e32 v6, 31, v6
	v_add_u32_e32 v1, -1, v1
	v_add_u32_e32 v6, 32, v6
	v_min_u32_e32 v1, v1, v6
	v_lshlrev_b64 v[6:7], v1, v[4:5]
	v_min_u32_e32 v6, 1, v6
	v_or_b32_e32 v6, v7, v6
	v_cvt_f32_i32_e32 v6, v6
	v_sub_u32_e32 v1, 32, v1
	v_ldexp_f32 v1, v6, v1
	global_store_dword v[2:3], v1, off
.LBB305_1961:
	s_mov_b64 s[0:1], 0
.LBB305_1962:
	s_andn2_b64 vcc, exec, s[0:1]
	s_cbranch_vccnz .LBB305_1964
; %bb.1963:
	v_xor_b32_e32 v6, v4, v5
	v_ffbh_i32_e32 v1, v5
	v_ashrrev_i32_e32 v6, 31, v6
	v_add_u32_e32 v1, -1, v1
	v_add_u32_e32 v6, 32, v6
	v_min_u32_e32 v1, v1, v6
	v_lshlrev_b64 v[6:7], v1, v[4:5]
	v_min_u32_e32 v6, 1, v6
	v_or_b32_e32 v6, v7, v6
	v_cvt_f32_i32_e32 v6, v6
	v_sub_u32_e32 v1, 32, v1
	v_ldexp_f32 v1, v6, v1
	v_cvt_f16_f32_e32 v1, v1
	global_store_short v[2:3], v1, off
.LBB305_1964:
	s_mov_b64 s[0:1], 0
.LBB305_1965:
	s_andn2_b64 vcc, exec, s[0:1]
	s_cbranch_vccnz .LBB305_1981
; %bb.1966:
	s_cmp_lt_i32 s19, 2
	s_mov_b64 s[0:1], -1
	s_cbranch_scc1 .LBB305_1976
; %bb.1967:
	s_cmp_lt_i32 s19, 3
	s_cbranch_scc1 .LBB305_1973
; %bb.1968:
	s_cmp_gt_i32 s19, 3
	s_cbranch_scc0 .LBB305_1970
; %bb.1969:
	global_store_dwordx2 v[2:3], v[4:5], off
	s_mov_b64 s[0:1], 0
.LBB305_1970:
	s_andn2_b64 vcc, exec, s[0:1]
	s_cbranch_vccnz .LBB305_1972
; %bb.1971:
	global_store_dword v[2:3], v4, off
.LBB305_1972:
	s_mov_b64 s[0:1], 0
.LBB305_1973:
	s_andn2_b64 vcc, exec, s[0:1]
	s_cbranch_vccnz .LBB305_1975
; %bb.1974:
	global_store_short v[2:3], v4, off
.LBB305_1975:
	s_mov_b64 s[0:1], 0
.LBB305_1976:
	s_andn2_b64 vcc, exec, s[0:1]
	s_cbranch_vccnz .LBB305_1981
; %bb.1977:
	s_cmp_gt_i32 s19, 0
	s_mov_b64 s[0:1], -1
	s_cbranch_scc0 .LBB305_1979
; %bb.1978:
	global_store_byte v[2:3], v4, off
	s_mov_b64 s[0:1], 0
.LBB305_1979:
	s_andn2_b64 vcc, exec, s[0:1]
	s_cbranch_vccnz .LBB305_1981
; %bb.1980:
	global_store_byte v[2:3], v4, off
.LBB305_1981:
	s_mov_b64 s[12:13], -1
.LBB305_1982:
	s_andn2_b64 vcc, exec, s[12:13]
	s_cbranch_vccnz .LBB305_2059
; %bb.1983:
	v_mov_b32_e32 v1, s9
	v_cmp_lt_i64_e32 vcc, s[8:9], v[14:15]
	s_cmp_lt_i32 s19, 11
	s_nop 0
	v_cndmask_b32_e32 v3, v1, v15, vcc
	v_mov_b32_e32 v1, s8
	v_cndmask_b32_e32 v2, v1, v14, vcc
	v_mov_b32_e32 v1, s11
	v_cmp_gt_i64_e32 vcc, s[10:11], v[2:3]
	s_nop 1
	v_cndmask_b32_e32 v3, v1, v3, vcc
	v_mov_b32_e32 v1, s10
	v_cndmask_b32_e32 v2, v1, v2, vcc
	v_mov_b32_e32 v1, 0
	v_lshl_add_u64 v[0:1], s[4:5], 0, v[0:1]
	s_cbranch_scc1 .LBB305_2104
; %bb.1984:
	s_mov_b64 s[6:7], -1
	s_mov_b64 s[4:5], 0
	s_cmp_gt_i32 s19, 25
	s_mov_b64 s[0:1], 0
	s_cbranch_scc0 .LBB305_2017
; %bb.1985:
	s_cmp_gt_i32 s19, 28
	s_cbranch_scc0 .LBB305_2001
; %bb.1986:
	s_cmp_gt_i32 s19, 43
	;; [unrolled: 3-line block ×3, first 2 shown]
	s_cbranch_scc0 .LBB305_1991
; %bb.1988:
	s_cmp_eq_u32 s19, 46
	s_mov_b64 s[0:1], -1
	s_cbranch_scc0 .LBB305_1990
; %bb.1989:
	v_xor_b32_e32 v5, v2, v3
	v_ffbh_i32_e32 v4, v3
	v_ashrrev_i32_e32 v5, 31, v5
	v_add_u32_e32 v4, -1, v4
	v_add_u32_e32 v5, 32, v5
	v_min_u32_e32 v6, v4, v5
	v_lshlrev_b64 v[4:5], v6, v[2:3]
	v_min_u32_e32 v4, 1, v4
	v_or_b32_e32 v4, v5, v4
	v_cvt_f32_i32_e32 v4, v4
	v_sub_u32_e32 v5, 32, v6
	s_movk_i32 s0, 0x7fff
	v_ldexp_f32 v4, v4, v5
	v_bfe_u32 v5, v4, 16, 1
	v_add3_u32 v4, v4, v5, s0
	v_lshrrev_b32_e32 v4, 16, v4
	global_store_dword v[0:1], v4, off
	s_mov_b64 s[0:1], 0
.LBB305_1990:
	s_mov_b64 s[6:7], 0
.LBB305_1991:
	s_and_b64 vcc, exec, s[6:7]
	s_cbranch_vccz .LBB305_1996
; %bb.1992:
	s_cmp_eq_u32 s19, 44
	s_mov_b64 s[0:1], -1
	s_cbranch_scc0 .LBB305_1996
; %bb.1993:
	v_xor_b32_e32 v5, v2, v3
	v_ffbh_i32_e32 v4, v3
	v_ashrrev_i32_e32 v5, 31, v5
	v_add_u32_e32 v4, -1, v4
	v_add_u32_e32 v5, 32, v5
	v_min_u32_e32 v6, v4, v5
	v_lshlrev_b64 v[4:5], v6, v[2:3]
	v_min_u32_e32 v4, 1, v4
	v_or_b32_e32 v4, v5, v4
	v_cvt_f32_i32_e32 v4, v4
	v_sub_u32_e32 v5, 32, v6
	s_movk_i32 s0, 0xff
	v_mov_b32_e32 v6, 0xff
	v_ldexp_f32 v4, v4, v5
	v_bfe_u32 v5, v4, 23, 8
	v_cmp_ne_u32_e32 vcc, s0, v5
	s_and_saveexec_b64 s[6:7], vcc
; %bb.1994:
	s_mov_b32 s0, 0x3fffff
	v_lshrrev_b32_e32 v6, 23, v4
	v_and_b32_e32 v7, 0x400000, v4
	v_and_or_b32 v4, v4, s0, v5
	v_cmp_ne_u32_e32 vcc, 0, v7
	v_cmp_ne_u32_e64 s[0:1], 0, v4
	s_and_b64 s[0:1], vcc, s[0:1]
	s_nop 0
	v_cndmask_b32_e64 v4, 0, 1, s[0:1]
	v_add_u32_e32 v6, v6, v4
; %bb.1995:
	s_or_b64 exec, exec, s[6:7]
	s_mov_b64 s[0:1], 0
	global_store_byte v[0:1], v6, off
.LBB305_1996:
	s_mov_b64 s[6:7], 0
.LBB305_1997:
	s_and_b64 vcc, exec, s[6:7]
	s_cbranch_vccz .LBB305_2000
; %bb.1998:
	s_cmp_eq_u32 s19, 29
	s_mov_b64 s[0:1], -1
	s_cbranch_scc0 .LBB305_2000
; %bb.1999:
	global_store_dwordx2 v[0:1], v[2:3], off
	s_mov_b64 s[0:1], 0
.LBB305_2000:
	s_mov_b64 s[6:7], 0
.LBB305_2001:
	s_and_b64 vcc, exec, s[6:7]
	s_cbranch_vccz .LBB305_2016
; %bb.2002:
	s_cmp_lt_i32 s19, 27
	s_mov_b64 s[6:7], -1
	s_cbranch_scc1 .LBB305_2008
; %bb.2003:
	s_cmp_gt_i32 s19, 27
	s_cbranch_scc0 .LBB305_2005
; %bb.2004:
	global_store_dword v[0:1], v2, off
	s_mov_b64 s[6:7], 0
.LBB305_2005:
	s_andn2_b64 vcc, exec, s[6:7]
	s_cbranch_vccnz .LBB305_2007
; %bb.2006:
	global_store_short v[0:1], v2, off
.LBB305_2007:
	s_mov_b64 s[6:7], 0
.LBB305_2008:
	s_andn2_b64 vcc, exec, s[6:7]
	s_cbranch_vccnz .LBB305_2016
; %bb.2009:
	v_xor_b32_e32 v5, v2, v3
	v_ffbh_i32_e32 v4, v3
	v_ashrrev_i32_e32 v5, 31, v5
	v_add_u32_e32 v4, -1, v4
	v_add_u32_e32 v5, 32, v5
	v_min_u32_e32 v6, v4, v5
	v_lshlrev_b64 v[4:5], v6, v[2:3]
	v_min_u32_e32 v4, 1, v4
	v_or_b32_e32 v4, v5, v4
	v_cvt_f32_i32_e32 v4, v4
	v_sub_u32_e32 v5, 32, v6
	s_mov_b32 s6, 0x43800000
	v_mov_b32_e32 v6, 0x80
	v_ldexp_f32 v4, v4, v5
	v_and_b32_e32 v5, 0x7fffffff, v4
	v_cmp_gt_u32_e32 vcc, s6, v5
	s_and_saveexec_b64 s[6:7], vcc
	s_cbranch_execz .LBB305_2015
; %bb.2010:
	s_mov_b32 s8, 0x3bffffff
	v_cmp_lt_u32_e32 vcc, s8, v5
	s_mov_b64 s[8:9], 0
                                        ; implicit-def: $vgpr5
	s_and_saveexec_b64 s[10:11], vcc
	s_xor_b64 s[10:11], exec, s[10:11]
	s_cbranch_execz .LBB305_2121
; %bb.2011:
	v_bfe_u32 v5, v4, 20, 1
	s_mov_b32 s12, 0x487ffff
	v_add3_u32 v5, v4, v5, s12
	s_mov_b64 s[8:9], exec
	v_lshrrev_b32_e32 v5, 20, v5
	s_andn2_saveexec_b64 s[10:11], s[10:11]
	s_cbranch_execnz .LBB305_2122
.LBB305_2012:
	s_or_b64 exec, exec, s[10:11]
	v_mov_b32_e32 v6, 0
	s_and_saveexec_b64 s[10:11], s[8:9]
.LBB305_2013:
	v_lshrrev_b32_e32 v4, 24, v4
	s_movk_i32 s8, 0x80
	v_and_or_b32 v6, v4, s8, v5
.LBB305_2014:
	s_or_b64 exec, exec, s[10:11]
.LBB305_2015:
	s_or_b64 exec, exec, s[6:7]
	global_store_byte v[0:1], v6, off
.LBB305_2016:
	s_mov_b64 s[6:7], 0
.LBB305_2017:
	s_and_b64 vcc, exec, s[6:7]
	s_cbranch_vccz .LBB305_2057
; %bb.2018:
	s_cmp_gt_i32 s19, 22
	s_mov_b64 s[4:5], -1
	s_cbranch_scc0 .LBB305_2050
; %bb.2019:
	s_cmp_lt_i32 s19, 24
	s_cbranch_scc1 .LBB305_2039
; %bb.2020:
	s_cmp_gt_i32 s19, 24
	s_cbranch_scc0 .LBB305_2028
; %bb.2021:
	v_xor_b32_e32 v5, v2, v3
	v_ffbh_i32_e32 v4, v3
	v_ashrrev_i32_e32 v5, 31, v5
	v_add_u32_e32 v4, -1, v4
	v_add_u32_e32 v5, 32, v5
	v_min_u32_e32 v6, v4, v5
	v_lshlrev_b64 v[4:5], v6, v[2:3]
	v_min_u32_e32 v4, 1, v4
	v_or_b32_e32 v4, v5, v4
	v_cvt_f32_i32_e32 v4, v4
	v_sub_u32_e32 v5, 32, v6
	s_mov_b32 s4, 0x47800000
	v_mov_b32_e32 v6, 0x80
	v_ldexp_f32 v4, v4, v5
	v_and_b32_e32 v5, 0x7fffffff, v4
	v_cmp_gt_u32_e32 vcc, s4, v5
	s_and_saveexec_b64 s[4:5], vcc
	s_cbranch_execz .LBB305_2027
; %bb.2022:
	s_mov_b32 s6, 0x37ffffff
	v_cmp_lt_u32_e32 vcc, s6, v5
	s_mov_b64 s[6:7], 0
                                        ; implicit-def: $vgpr5
	s_and_saveexec_b64 s[8:9], vcc
	s_xor_b64 s[8:9], exec, s[8:9]
	s_cbranch_execz .LBB305_2124
; %bb.2023:
	v_bfe_u32 v5, v4, 21, 1
	s_mov_b32 s10, 0x88fffff
	v_add3_u32 v5, v4, v5, s10
	s_mov_b64 s[6:7], exec
	v_lshrrev_b32_e32 v5, 21, v5
	s_andn2_saveexec_b64 s[8:9], s[8:9]
	s_cbranch_execnz .LBB305_2125
.LBB305_2024:
	s_or_b64 exec, exec, s[8:9]
	v_mov_b32_e32 v6, 0
	s_and_saveexec_b64 s[8:9], s[6:7]
.LBB305_2025:
	v_lshrrev_b32_e32 v4, 24, v4
	s_movk_i32 s6, 0x80
	v_and_or_b32 v6, v4, s6, v5
.LBB305_2026:
	s_or_b64 exec, exec, s[8:9]
.LBB305_2027:
	s_or_b64 exec, exec, s[4:5]
	s_mov_b64 s[4:5], 0
	global_store_byte v[0:1], v6, off
.LBB305_2028:
	s_and_b64 vcc, exec, s[4:5]
	s_cbranch_vccz .LBB305_2038
; %bb.2029:
	v_xor_b32_e32 v5, v2, v3
	v_ffbh_i32_e32 v4, v3
	v_ashrrev_i32_e32 v5, 31, v5
	v_add_u32_e32 v4, -1, v4
	v_add_u32_e32 v5, 32, v5
	v_min_u32_e32 v6, v4, v5
	v_lshlrev_b64 v[4:5], v6, v[2:3]
	v_min_u32_e32 v4, 1, v4
	v_or_b32_e32 v4, v5, v4
	v_cvt_f32_i32_e32 v4, v4
	v_sub_u32_e32 v5, 32, v6
	s_mov_b32 s4, 0x43f00000
	v_ldexp_f32 v4, v4, v5
	v_and_b32_e32 v6, 0x7fffffff, v4
	v_cmp_gt_u32_e32 vcc, s4, v6
                                        ; implicit-def: $vgpr5
	s_and_saveexec_b64 s[4:5], vcc
	s_xor_b64 s[4:5], exec, s[4:5]
	s_cbranch_execz .LBB305_2035
; %bb.2030:
	s_mov_b32 s6, 0x3c7fffff
	v_cmp_lt_u32_e32 vcc, s6, v6
                                        ; implicit-def: $vgpr5
	s_and_saveexec_b64 s[6:7], vcc
	s_xor_b64 s[6:7], exec, s[6:7]
; %bb.2031:
	v_bfe_u32 v5, v4, 20, 1
	s_mov_b32 s8, 0x407ffff
	v_add3_u32 v5, v4, v5, s8
	v_lshrrev_b32_e32 v6, 20, v5
	v_and_b32_e32 v5, 0xff00000, v5
	s_mov_b32 s8, 0x7f00000
	v_mov_b32_e32 v7, 0x7e
	v_cmp_ne_u32_e32 vcc, s8, v5
	s_nop 1
	v_cndmask_b32_e32 v5, v7, v6, vcc
; %bb.2032:
	s_andn2_saveexec_b64 s[6:7], s[6:7]
; %bb.2033:
	s_mov_b32 s8, 0x46800000
	v_add_f32_e64 v5, |v4|, s8
; %bb.2034:
	s_or_b64 exec, exec, s[6:7]
                                        ; implicit-def: $vgpr6
.LBB305_2035:
	s_andn2_saveexec_b64 s[4:5], s[4:5]
; %bb.2036:
	s_mov_b32 s6, 0x7f800000
	v_mov_b32_e32 v5, 0x7e
	v_mov_b32_e32 v7, 0x7f
	v_cmp_lt_u32_e32 vcc, s6, v6
	s_nop 1
	v_cndmask_b32_e32 v5, v5, v7, vcc
; %bb.2037:
	s_or_b64 exec, exec, s[4:5]
	v_lshrrev_b32_e32 v4, 24, v4
	s_movk_i32 s4, 0x80
	v_and_or_b32 v4, v4, s4, v5
	global_store_byte v[0:1], v4, off
.LBB305_2038:
	s_mov_b64 s[4:5], 0
.LBB305_2039:
	s_andn2_b64 vcc, exec, s[4:5]
	s_cbranch_vccnz .LBB305_2049
; %bb.2040:
	v_xor_b32_e32 v5, v2, v3
	v_ffbh_i32_e32 v4, v3
	v_ashrrev_i32_e32 v5, 31, v5
	v_add_u32_e32 v4, -1, v4
	v_add_u32_e32 v5, 32, v5
	v_min_u32_e32 v6, v4, v5
	v_lshlrev_b64 v[4:5], v6, v[2:3]
	v_min_u32_e32 v4, 1, v4
	v_or_b32_e32 v4, v5, v4
	v_cvt_f32_i32_e32 v4, v4
	v_sub_u32_e32 v5, 32, v6
	s_mov_b32 s4, 0x47800000
	v_ldexp_f32 v4, v4, v5
	v_and_b32_e32 v6, 0x7fffffff, v4
	v_cmp_gt_u32_e32 vcc, s4, v6
                                        ; implicit-def: $vgpr5
	s_and_saveexec_b64 s[4:5], vcc
	s_xor_b64 s[4:5], exec, s[4:5]
	s_cbranch_execz .LBB305_2046
; %bb.2041:
	s_mov_b32 s6, 0x387fffff
	v_cmp_lt_u32_e32 vcc, s6, v6
                                        ; implicit-def: $vgpr5
	s_and_saveexec_b64 s[6:7], vcc
	s_xor_b64 s[6:7], exec, s[6:7]
; %bb.2042:
	v_bfe_u32 v5, v4, 21, 1
	s_mov_b32 s8, 0x80fffff
	v_add3_u32 v5, v4, v5, s8
	v_lshrrev_b32_e32 v5, 21, v5
; %bb.2043:
	s_andn2_saveexec_b64 s[6:7], s[6:7]
; %bb.2044:
	s_mov_b32 s8, 0x43000000
	v_add_f32_e64 v5, |v4|, s8
; %bb.2045:
	s_or_b64 exec, exec, s[6:7]
                                        ; implicit-def: $vgpr6
.LBB305_2046:
	s_andn2_saveexec_b64 s[4:5], s[4:5]
; %bb.2047:
	s_mov_b32 s6, 0x7f800000
	v_mov_b32_e32 v5, 0x7c
	v_mov_b32_e32 v7, 0x7f
	v_cmp_lt_u32_e32 vcc, s6, v6
	s_nop 1
	v_cndmask_b32_e32 v5, v5, v7, vcc
; %bb.2048:
	s_or_b64 exec, exec, s[4:5]
	v_lshrrev_b32_e32 v4, 24, v4
	s_movk_i32 s4, 0x80
	v_and_or_b32 v4, v4, s4, v5
	global_store_byte v[0:1], v4, off
.LBB305_2049:
	s_mov_b64 s[4:5], 0
.LBB305_2050:
	s_andn2_b64 vcc, exec, s[4:5]
	s_mov_b64 s[4:5], 0
	s_cbranch_vccnz .LBB305_2057
; %bb.2051:
	s_cmp_gt_i32 s19, 14
	s_mov_b64 s[6:7], -1
	s_cbranch_scc0 .LBB305_2055
; %bb.2052:
	s_cmp_eq_u32 s19, 15
	s_mov_b64 s[0:1], -1
	s_cbranch_scc0 .LBB305_2054
; %bb.2053:
	v_xor_b32_e32 v5, v2, v3
	v_ffbh_i32_e32 v4, v3
	v_ashrrev_i32_e32 v5, 31, v5
	v_add_u32_e32 v4, -1, v4
	v_add_u32_e32 v5, 32, v5
	v_min_u32_e32 v6, v4, v5
	v_lshlrev_b64 v[4:5], v6, v[2:3]
	v_min_u32_e32 v4, 1, v4
	v_or_b32_e32 v4, v5, v4
	v_cvt_f32_i32_e32 v4, v4
	v_sub_u32_e32 v5, 32, v6
	s_movk_i32 s0, 0x7fff
	v_ldexp_f32 v4, v4, v5
	v_bfe_u32 v5, v4, 16, 1
	v_add3_u32 v4, v4, v5, s0
	global_store_short_d16_hi v[0:1], v4, off
	s_mov_b64 s[0:1], 0
.LBB305_2054:
	s_mov_b64 s[6:7], 0
.LBB305_2055:
	s_and_b64 vcc, exec, s[6:7]
	s_cbranch_vccz .LBB305_2057
; %bb.2056:
	s_cmp_lg_u32 s19, 11
	s_mov_b64 s[4:5], -1
	s_cselect_b64 s[0:1], -1, 0
.LBB305_2057:
	s_and_b64 vcc, exec, s[0:1]
	s_cbranch_vccnz .LBB305_2123
.LBB305_2058:
	s_mov_b64 s[0:1], 0
	s_branch .LBB305_2060
.LBB305_2059:
	s_mov_b64 s[0:1], 0
	s_mov_b64 s[4:5], 0
                                        ; implicit-def: $vgpr0_vgpr1
                                        ; implicit-def: $sgpr18
                                        ; implicit-def: $vgpr2_vgpr3
.LBB305_2060:
	s_and_b64 s[6:7], s[0:1], exec
	s_andn2_b64 s[0:1], s[24:25], exec
	s_and_b64 s[2:3], s[2:3], exec
	s_and_b64 s[44:45], s[4:5], exec
	s_or_b64 s[24:25], s[0:1], s[2:3]
.LBB305_2061:
	s_or_b64 exec, exec, s[26:27]
	s_and_saveexec_b64 s[0:1], s[24:25]
	s_cbranch_execz .LBB305_2064
; %bb.2062:
	; divergent unreachable
	s_or_b64 exec, exec, s[0:1]
	s_and_saveexec_b64 s[0:1], s[44:45]
	s_xor_b64 s[0:1], exec, s[0:1]
	s_cbranch_execnz .LBB305_2065
.LBB305_2063:
	s_or_b64 exec, exec, s[0:1]
	s_and_saveexec_b64 s[0:1], s[6:7]
	s_cbranch_execnz .LBB305_2066
	s_branch .LBB305_2103
.LBB305_2064:
	s_or_b64 exec, exec, s[0:1]
	s_and_saveexec_b64 s[0:1], s[44:45]
	s_xor_b64 s[0:1], exec, s[0:1]
	s_cbranch_execz .LBB305_2063
.LBB305_2065:
	v_cmp_ne_u64_e32 vcc, 0, v[2:3]
	s_waitcnt vmcnt(0)
	s_nop 0
	v_cndmask_b32_e64 v4, 0, 1, vcc
	global_store_byte v[0:1], v4, off
	s_or_b64 exec, exec, s[0:1]
	s_and_saveexec_b64 s[0:1], s[6:7]
	s_cbranch_execz .LBB305_2103
.LBB305_2066:
	s_sext_i32_i16 s2, s18
	s_cmp_lt_i32 s2, 5
	s_mov_b64 s[0:1], -1
	s_cbranch_scc1 .LBB305_2087
; %bb.2067:
	s_cmp_lt_i32 s2, 8
	s_cbranch_scc1 .LBB305_2077
; %bb.2068:
	s_cmp_lt_i32 s2, 9
	s_cbranch_scc1 .LBB305_2074
; %bb.2069:
	s_cmp_gt_i32 s2, 9
	s_cbranch_scc0 .LBB305_2071
; %bb.2070:
	s_waitcnt vmcnt(0)
	v_cvt_f64_i32_e32 v[4:5], v3
	v_ldexp_f64 v[4:5], v[4:5], 32
	v_cvt_f64_u32_e32 v[6:7], v2
	v_add_f64 v[4:5], v[4:5], v[6:7]
	v_mov_b32_e32 v6, 0
	v_mov_b32_e32 v7, v6
	global_store_dwordx4 v[0:1], v[4:7], off
	s_mov_b64 s[0:1], 0
.LBB305_2071:
	s_andn2_b64 vcc, exec, s[0:1]
	s_cbranch_vccnz .LBB305_2073
; %bb.2072:
	s_waitcnt vmcnt(0)
	v_xor_b32_e32 v5, v2, v3
	v_ffbh_i32_e32 v4, v3
	v_ashrrev_i32_e32 v5, 31, v5
	v_add_u32_e32 v4, -1, v4
	v_add_u32_e32 v5, 32, v5
	v_min_u32_e32 v6, v4, v5
	v_lshlrev_b64 v[4:5], v6, v[2:3]
	v_min_u32_e32 v4, 1, v4
	v_or_b32_e32 v4, v5, v4
	v_cvt_f32_i32_e32 v4, v4
	v_sub_u32_e32 v5, 32, v6
	v_ldexp_f32 v4, v4, v5
	v_mov_b32_e32 v5, 0
	global_store_dwordx2 v[0:1], v[4:5], off
.LBB305_2073:
	s_mov_b64 s[0:1], 0
.LBB305_2074:
	s_andn2_b64 vcc, exec, s[0:1]
	s_cbranch_vccnz .LBB305_2076
; %bb.2075:
	s_waitcnt vmcnt(0)
	v_xor_b32_e32 v5, v2, v3
	v_ffbh_i32_e32 v4, v3
	v_ashrrev_i32_e32 v5, 31, v5
	v_add_u32_e32 v4, -1, v4
	v_add_u32_e32 v5, 32, v5
	v_min_u32_e32 v6, v4, v5
	v_lshlrev_b64 v[4:5], v6, v[2:3]
	v_min_u32_e32 v4, 1, v4
	v_or_b32_e32 v4, v5, v4
	v_cvt_f32_i32_e32 v4, v4
	v_sub_u32_e32 v5, 32, v6
	v_ldexp_f32 v4, v4, v5
	v_cvt_f16_f32_e32 v4, v4
	global_store_dword v[0:1], v4, off
.LBB305_2076:
	s_mov_b64 s[0:1], 0
.LBB305_2077:
	s_andn2_b64 vcc, exec, s[0:1]
	s_cbranch_vccnz .LBB305_2086
; %bb.2078:
	s_sext_i32_i16 s2, s18
	s_cmp_lt_i32 s2, 6
	s_mov_b64 s[0:1], -1
	s_cbranch_scc1 .LBB305_2084
; %bb.2079:
	s_cmp_gt_i32 s2, 6
	s_cbranch_scc0 .LBB305_2081
; %bb.2080:
	s_waitcnt vmcnt(0)
	v_cvt_f64_i32_e32 v[4:5], v3
	v_ldexp_f64 v[4:5], v[4:5], 32
	v_cvt_f64_u32_e32 v[6:7], v2
	v_add_f64 v[4:5], v[4:5], v[6:7]
	global_store_dwordx2 v[0:1], v[4:5], off
	s_mov_b64 s[0:1], 0
.LBB305_2081:
	s_andn2_b64 vcc, exec, s[0:1]
	s_cbranch_vccnz .LBB305_2083
; %bb.2082:
	s_waitcnt vmcnt(0)
	v_xor_b32_e32 v5, v2, v3
	v_ffbh_i32_e32 v4, v3
	v_ashrrev_i32_e32 v5, 31, v5
	v_add_u32_e32 v4, -1, v4
	v_add_u32_e32 v5, 32, v5
	v_min_u32_e32 v6, v4, v5
	v_lshlrev_b64 v[4:5], v6, v[2:3]
	v_min_u32_e32 v4, 1, v4
	v_or_b32_e32 v4, v5, v4
	v_cvt_f32_i32_e32 v4, v4
	v_sub_u32_e32 v5, 32, v6
	v_ldexp_f32 v4, v4, v5
	global_store_dword v[0:1], v4, off
.LBB305_2083:
	s_mov_b64 s[0:1], 0
.LBB305_2084:
	s_andn2_b64 vcc, exec, s[0:1]
	s_cbranch_vccnz .LBB305_2086
; %bb.2085:
	s_waitcnt vmcnt(0)
	v_xor_b32_e32 v5, v2, v3
	v_ffbh_i32_e32 v4, v3
	v_ashrrev_i32_e32 v5, 31, v5
	v_add_u32_e32 v4, -1, v4
	v_add_u32_e32 v5, 32, v5
	v_min_u32_e32 v6, v4, v5
	v_lshlrev_b64 v[4:5], v6, v[2:3]
	v_min_u32_e32 v4, 1, v4
	v_or_b32_e32 v4, v5, v4
	v_cvt_f32_i32_e32 v4, v4
	v_sub_u32_e32 v5, 32, v6
	v_ldexp_f32 v4, v4, v5
	v_cvt_f16_f32_e32 v4, v4
	global_store_short v[0:1], v4, off
.LBB305_2086:
	s_mov_b64 s[0:1], 0
.LBB305_2087:
	s_andn2_b64 vcc, exec, s[0:1]
	s_cbranch_vccnz .LBB305_2103
; %bb.2088:
	s_sext_i32_i16 s2, s18
	s_cmp_lt_i32 s2, 2
	s_mov_b64 s[0:1], -1
	s_cbranch_scc1 .LBB305_2098
; %bb.2089:
	s_cmp_lt_i32 s2, 3
	s_cbranch_scc1 .LBB305_2095
; %bb.2090:
	s_cmp_gt_i32 s2, 3
	s_cbranch_scc0 .LBB305_2092
; %bb.2091:
	global_store_dwordx2 v[0:1], v[2:3], off
	s_mov_b64 s[0:1], 0
.LBB305_2092:
	s_andn2_b64 vcc, exec, s[0:1]
	s_cbranch_vccnz .LBB305_2094
; %bb.2093:
	global_store_dword v[0:1], v2, off
.LBB305_2094:
	s_mov_b64 s[0:1], 0
.LBB305_2095:
	s_andn2_b64 vcc, exec, s[0:1]
	s_cbranch_vccnz .LBB305_2097
; %bb.2096:
	global_store_short v[0:1], v2, off
.LBB305_2097:
	s_mov_b64 s[0:1], 0
.LBB305_2098:
	s_andn2_b64 vcc, exec, s[0:1]
	s_cbranch_vccnz .LBB305_2103
; %bb.2099:
	s_sext_i32_i16 s0, s18
	s_cmp_gt_i32 s0, 0
	s_mov_b64 s[0:1], -1
	s_cbranch_scc0 .LBB305_2101
; %bb.2100:
	global_store_byte v[0:1], v2, off
	s_mov_b64 s[0:1], 0
.LBB305_2101:
	s_andn2_b64 vcc, exec, s[0:1]
	s_cbranch_vccnz .LBB305_2103
; %bb.2102:
	global_store_byte v[0:1], v2, off
	s_endpgm
.LBB305_2103:
	s_endpgm
.LBB305_2104:
	s_mov_b64 s[4:5], 0
	s_mov_b64 s[0:1], -1
	s_branch .LBB305_2060
.LBB305_2105:
	s_trap 2
	s_or_b64 s[2:3], s[2:3], exec
	s_cbranch_execz .LBB305_1574
	s_branch .LBB305_1575
.LBB305_2106:
	s_andn2_saveexec_b64 s[16:17], s[16:17]
	s_cbranch_execz .LBB305_1654
.LBB305_2107:
	s_mov_b32 s20, 0x46000000
	v_add_f32_e64 v3, |v1|, s20
	v_and_b32_e32 v3, 0xff, v3
	v_cmp_ne_u32_e32 vcc, 0, v3
	s_andn2_b64 s[14:15], s[14:15], exec
	s_and_b64 s[20:21], vcc, exec
	s_or_b64 s[14:15], s[14:15], s[20:21]
	s_or_b64 exec, exec, s[16:17]
	v_mov_b32_e32 v5, 0
	s_and_saveexec_b64 s[16:17], s[14:15]
	s_cbranch_execnz .LBB305_1655
	s_branch .LBB305_1656
.LBB305_2108:
	s_trap 2
	s_or_b64 s[2:3], s[2:3], exec
	s_cbranch_execz .LBB305_1702
	s_branch .LBB305_1703
.LBB305_2109:
	s_andn2_saveexec_b64 s[14:15], s[14:15]
	s_cbranch_execz .LBB305_1667
.LBB305_2110:
	s_mov_b32 s16, 0x42800000
	v_add_f32_e64 v3, |v1|, s16
	v_and_b32_e32 v3, 0xff, v3
	v_cmp_ne_u32_e32 vcc, 0, v3
	s_andn2_b64 s[12:13], s[12:13], exec
	s_and_b64 s[16:17], vcc, exec
	s_or_b64 s[12:13], s[12:13], s[16:17]
	s_or_b64 exec, exec, s[14:15]
	v_mov_b32_e32 v5, 0
	s_and_saveexec_b64 s[14:15], s[12:13]
	s_cbranch_execnz .LBB305_1668
	s_branch .LBB305_1669
.LBB305_2111:
	s_andn2_saveexec_b64 s[16:17], s[16:17]
	s_cbranch_execz .LBB305_1773
.LBB305_2112:
	s_mov_b32 s20, 0x46000000
	v_add_f32_e64 v3, |v1|, s20
	v_and_b32_e32 v3, 0xff, v3
	v_cmp_ne_u32_e32 vcc, 0, v3
	s_andn2_b64 s[14:15], s[14:15], exec
	s_and_b64 s[20:21], vcc, exec
	s_or_b64 s[14:15], s[14:15], s[20:21]
	s_or_b64 exec, exec, s[16:17]
	v_mov_b32_e32 v8, 0
	s_and_saveexec_b64 s[16:17], s[14:15]
	s_cbranch_execnz .LBB305_1774
	s_branch .LBB305_1775
.LBB305_2113:
	s_trap 2
	s_or_b64 s[2:3], s[2:3], exec
	s_cbranch_execz .LBB305_1821
	s_branch .LBB305_1822
.LBB305_2114:
	s_andn2_saveexec_b64 s[14:15], s[14:15]
	s_cbranch_execz .LBB305_1786
.LBB305_2115:
	s_mov_b32 s16, 0x42800000
	v_add_f32_e64 v3, |v1|, s16
	v_and_b32_e32 v3, 0xff, v3
	v_cmp_ne_u32_e32 vcc, 0, v3
	s_andn2_b64 s[12:13], s[12:13], exec
	s_and_b64 s[16:17], vcc, exec
	s_or_b64 s[12:13], s[12:13], s[16:17]
	s_or_b64 exec, exec, s[14:15]
	v_mov_b32_e32 v8, 0
	s_and_saveexec_b64 s[14:15], s[12:13]
	s_cbranch_execnz .LBB305_1787
	s_branch .LBB305_1788
.LBB305_2116:
	s_andn2_saveexec_b64 s[16:17], s[16:17]
	s_cbranch_execz .LBB305_1892
.LBB305_2117:
	s_mov_b32 s20, 0x46000000
	v_add_f32_e64 v6, |v1|, s20
	v_and_b32_e32 v6, 0xff, v6
	v_cmp_ne_u32_e32 vcc, 0, v6
	s_andn2_b64 s[14:15], s[14:15], exec
	s_and_b64 s[20:21], vcc, exec
	s_or_b64 s[14:15], s[14:15], s[20:21]
	s_or_b64 exec, exec, s[16:17]
	v_mov_b32_e32 v7, 0
	s_and_saveexec_b64 s[16:17], s[14:15]
	s_cbranch_execnz .LBB305_1893
	s_branch .LBB305_1894
.LBB305_2118:
	s_trap 2
	s_or_b64 s[2:3], s[2:3], exec
	s_cbranch_execz .LBB305_1940
	s_branch .LBB305_1941
.LBB305_2119:
	s_andn2_saveexec_b64 s[14:15], s[14:15]
	s_cbranch_execz .LBB305_1905
.LBB305_2120:
	s_mov_b32 s16, 0x42800000
	v_add_f32_e64 v6, |v1|, s16
	v_and_b32_e32 v6, 0xff, v6
	v_cmp_ne_u32_e32 vcc, 0, v6
	s_andn2_b64 s[12:13], s[12:13], exec
	s_and_b64 s[16:17], vcc, exec
	s_or_b64 s[12:13], s[12:13], s[16:17]
	s_or_b64 exec, exec, s[14:15]
	v_mov_b32_e32 v7, 0
	s_and_saveexec_b64 s[14:15], s[12:13]
	s_cbranch_execnz .LBB305_1906
	s_branch .LBB305_1907
.LBB305_2121:
	s_andn2_saveexec_b64 s[10:11], s[10:11]
	s_cbranch_execz .LBB305_2012
.LBB305_2122:
	s_mov_b32 s12, 0x46000000
	v_add_f32_e64 v5, |v4|, s12
	v_and_b32_e32 v5, 0xff, v5
	v_cmp_ne_u32_e32 vcc, 0, v5
	s_andn2_b64 s[8:9], s[8:9], exec
	s_and_b64 s[12:13], vcc, exec
	s_or_b64 s[8:9], s[8:9], s[12:13]
	s_or_b64 exec, exec, s[10:11]
	v_mov_b32_e32 v6, 0
	s_and_saveexec_b64 s[10:11], s[8:9]
	s_cbranch_execnz .LBB305_2013
	s_branch .LBB305_2014
.LBB305_2123:
	s_mov_b64 s[4:5], 0
	s_or_b64 s[2:3], s[2:3], exec
	s_trap 2
	s_branch .LBB305_2058
.LBB305_2124:
	s_andn2_saveexec_b64 s[8:9], s[8:9]
	s_cbranch_execz .LBB305_2024
.LBB305_2125:
	s_mov_b32 s10, 0x42800000
	v_add_f32_e64 v5, |v4|, s10
	v_and_b32_e32 v5, 0xff, v5
	v_cmp_ne_u32_e32 vcc, 0, v5
	s_andn2_b64 s[6:7], s[6:7], exec
	s_and_b64 s[10:11], vcc, exec
	s_or_b64 s[6:7], s[6:7], s[10:11]
	s_or_b64 exec, exec, s[8:9]
	v_mov_b32_e32 v6, 0
	s_and_saveexec_b64 s[8:9], s[6:7]
	s_cbranch_execnz .LBB305_2025
	s_branch .LBB305_2026
	.section	.rodata,"a",@progbits
	.p2align	6, 0x0
	.amdhsa_kernel _ZN2at6native32elementwise_kernel_manual_unrollILi128ELi4EZNS0_15gpu_kernel_implIZZZNS0_17clamp_kernel_cudaERNS_18TensorIteratorBaseERKN3c106ScalarES8_ENKUlvE_clEvENKUlvE2_clEvEUllE_EEvS4_RKT_EUlibE0_EEviT1_
		.amdhsa_group_segment_fixed_size 0
		.amdhsa_private_segment_fixed_size 0
		.amdhsa_kernarg_size 376
		.amdhsa_user_sgpr_count 2
		.amdhsa_user_sgpr_dispatch_ptr 0
		.amdhsa_user_sgpr_queue_ptr 0
		.amdhsa_user_sgpr_kernarg_segment_ptr 1
		.amdhsa_user_sgpr_dispatch_id 0
		.amdhsa_user_sgpr_kernarg_preload_length 0
		.amdhsa_user_sgpr_kernarg_preload_offset 0
		.amdhsa_user_sgpr_private_segment_size 0
		.amdhsa_uses_dynamic_stack 0
		.amdhsa_enable_private_segment 0
		.amdhsa_system_sgpr_workgroup_id_x 1
		.amdhsa_system_sgpr_workgroup_id_y 0
		.amdhsa_system_sgpr_workgroup_id_z 0
		.amdhsa_system_sgpr_workgroup_info 0
		.amdhsa_system_vgpr_workitem_id 0
		.amdhsa_next_free_vgpr 22
		.amdhsa_next_free_sgpr 82
		.amdhsa_accum_offset 24
		.amdhsa_reserve_vcc 1
		.amdhsa_float_round_mode_32 0
		.amdhsa_float_round_mode_16_64 0
		.amdhsa_float_denorm_mode_32 3
		.amdhsa_float_denorm_mode_16_64 3
		.amdhsa_dx10_clamp 1
		.amdhsa_ieee_mode 1
		.amdhsa_fp16_overflow 0
		.amdhsa_tg_split 0
		.amdhsa_exception_fp_ieee_invalid_op 0
		.amdhsa_exception_fp_denorm_src 0
		.amdhsa_exception_fp_ieee_div_zero 0
		.amdhsa_exception_fp_ieee_overflow 0
		.amdhsa_exception_fp_ieee_underflow 0
		.amdhsa_exception_fp_ieee_inexact 0
		.amdhsa_exception_int_div_zero 0
	.end_amdhsa_kernel
	.section	.text._ZN2at6native32elementwise_kernel_manual_unrollILi128ELi4EZNS0_15gpu_kernel_implIZZZNS0_17clamp_kernel_cudaERNS_18TensorIteratorBaseERKN3c106ScalarES8_ENKUlvE_clEvENKUlvE2_clEvEUllE_EEvS4_RKT_EUlibE0_EEviT1_,"axG",@progbits,_ZN2at6native32elementwise_kernel_manual_unrollILi128ELi4EZNS0_15gpu_kernel_implIZZZNS0_17clamp_kernel_cudaERNS_18TensorIteratorBaseERKN3c106ScalarES8_ENKUlvE_clEvENKUlvE2_clEvEUllE_EEvS4_RKT_EUlibE0_EEviT1_,comdat
.Lfunc_end305:
	.size	_ZN2at6native32elementwise_kernel_manual_unrollILi128ELi4EZNS0_15gpu_kernel_implIZZZNS0_17clamp_kernel_cudaERNS_18TensorIteratorBaseERKN3c106ScalarES8_ENKUlvE_clEvENKUlvE2_clEvEUllE_EEvS4_RKT_EUlibE0_EEviT1_, .Lfunc_end305-_ZN2at6native32elementwise_kernel_manual_unrollILi128ELi4EZNS0_15gpu_kernel_implIZZZNS0_17clamp_kernel_cudaERNS_18TensorIteratorBaseERKN3c106ScalarES8_ENKUlvE_clEvENKUlvE2_clEvEUllE_EEvS4_RKT_EUlibE0_EEviT1_
                                        ; -- End function
	.set _ZN2at6native32elementwise_kernel_manual_unrollILi128ELi4EZNS0_15gpu_kernel_implIZZZNS0_17clamp_kernel_cudaERNS_18TensorIteratorBaseERKN3c106ScalarES8_ENKUlvE_clEvENKUlvE2_clEvEUllE_EEvS4_RKT_EUlibE0_EEviT1_.num_vgpr, 22
	.set _ZN2at6native32elementwise_kernel_manual_unrollILi128ELi4EZNS0_15gpu_kernel_implIZZZNS0_17clamp_kernel_cudaERNS_18TensorIteratorBaseERKN3c106ScalarES8_ENKUlvE_clEvENKUlvE2_clEvEUllE_EEvS4_RKT_EUlibE0_EEviT1_.num_agpr, 0
	.set _ZN2at6native32elementwise_kernel_manual_unrollILi128ELi4EZNS0_15gpu_kernel_implIZZZNS0_17clamp_kernel_cudaERNS_18TensorIteratorBaseERKN3c106ScalarES8_ENKUlvE_clEvENKUlvE2_clEvEUllE_EEvS4_RKT_EUlibE0_EEviT1_.numbered_sgpr, 82
	.set _ZN2at6native32elementwise_kernel_manual_unrollILi128ELi4EZNS0_15gpu_kernel_implIZZZNS0_17clamp_kernel_cudaERNS_18TensorIteratorBaseERKN3c106ScalarES8_ENKUlvE_clEvENKUlvE2_clEvEUllE_EEvS4_RKT_EUlibE0_EEviT1_.num_named_barrier, 0
	.set _ZN2at6native32elementwise_kernel_manual_unrollILi128ELi4EZNS0_15gpu_kernel_implIZZZNS0_17clamp_kernel_cudaERNS_18TensorIteratorBaseERKN3c106ScalarES8_ENKUlvE_clEvENKUlvE2_clEvEUllE_EEvS4_RKT_EUlibE0_EEviT1_.private_seg_size, 0
	.set _ZN2at6native32elementwise_kernel_manual_unrollILi128ELi4EZNS0_15gpu_kernel_implIZZZNS0_17clamp_kernel_cudaERNS_18TensorIteratorBaseERKN3c106ScalarES8_ENKUlvE_clEvENKUlvE2_clEvEUllE_EEvS4_RKT_EUlibE0_EEviT1_.uses_vcc, 1
	.set _ZN2at6native32elementwise_kernel_manual_unrollILi128ELi4EZNS0_15gpu_kernel_implIZZZNS0_17clamp_kernel_cudaERNS_18TensorIteratorBaseERKN3c106ScalarES8_ENKUlvE_clEvENKUlvE2_clEvEUllE_EEvS4_RKT_EUlibE0_EEviT1_.uses_flat_scratch, 0
	.set _ZN2at6native32elementwise_kernel_manual_unrollILi128ELi4EZNS0_15gpu_kernel_implIZZZNS0_17clamp_kernel_cudaERNS_18TensorIteratorBaseERKN3c106ScalarES8_ENKUlvE_clEvENKUlvE2_clEvEUllE_EEvS4_RKT_EUlibE0_EEviT1_.has_dyn_sized_stack, 0
	.set _ZN2at6native32elementwise_kernel_manual_unrollILi128ELi4EZNS0_15gpu_kernel_implIZZZNS0_17clamp_kernel_cudaERNS_18TensorIteratorBaseERKN3c106ScalarES8_ENKUlvE_clEvENKUlvE2_clEvEUllE_EEvS4_RKT_EUlibE0_EEviT1_.has_recursion, 0
	.set _ZN2at6native32elementwise_kernel_manual_unrollILi128ELi4EZNS0_15gpu_kernel_implIZZZNS0_17clamp_kernel_cudaERNS_18TensorIteratorBaseERKN3c106ScalarES8_ENKUlvE_clEvENKUlvE2_clEvEUllE_EEvS4_RKT_EUlibE0_EEviT1_.has_indirect_call, 0
	.section	.AMDGPU.csdata,"",@progbits
; Kernel info:
; codeLenInByte = 46460
; TotalNumSgprs: 88
; NumVgprs: 22
; NumAgprs: 0
; TotalNumVgprs: 22
; ScratchSize: 0
; MemoryBound: 1
; FloatMode: 240
; IeeeMode: 1
; LDSByteSize: 0 bytes/workgroup (compile time only)
; SGPRBlocks: 10
; VGPRBlocks: 2
; NumSGPRsForWavesPerEU: 88
; NumVGPRsForWavesPerEU: 22
; AccumOffset: 24
; Occupancy: 8
; WaveLimiterHint : 1
; COMPUTE_PGM_RSRC2:SCRATCH_EN: 0
; COMPUTE_PGM_RSRC2:USER_SGPR: 2
; COMPUTE_PGM_RSRC2:TRAP_HANDLER: 0
; COMPUTE_PGM_RSRC2:TGID_X_EN: 1
; COMPUTE_PGM_RSRC2:TGID_Y_EN: 0
; COMPUTE_PGM_RSRC2:TGID_Z_EN: 0
; COMPUTE_PGM_RSRC2:TIDIG_COMP_CNT: 0
; COMPUTE_PGM_RSRC3_GFX90A:ACCUM_OFFSET: 5
; COMPUTE_PGM_RSRC3_GFX90A:TG_SPLIT: 0
	.section	.text._ZN2at6native29vectorized_elementwise_kernelILi16EZZZNS0_17clamp_kernel_cudaERNS_18TensorIteratorBaseERKN3c106ScalarES7_ENKUlvE_clEvENKUlvE3_clEvEUlsE_St5arrayIPcLm2EEEEviT0_T1_,"axG",@progbits,_ZN2at6native29vectorized_elementwise_kernelILi16EZZZNS0_17clamp_kernel_cudaERNS_18TensorIteratorBaseERKN3c106ScalarES7_ENKUlvE_clEvENKUlvE3_clEvEUlsE_St5arrayIPcLm2EEEEviT0_T1_,comdat
	.globl	_ZN2at6native29vectorized_elementwise_kernelILi16EZZZNS0_17clamp_kernel_cudaERNS_18TensorIteratorBaseERKN3c106ScalarES7_ENKUlvE_clEvENKUlvE3_clEvEUlsE_St5arrayIPcLm2EEEEviT0_T1_ ; -- Begin function _ZN2at6native29vectorized_elementwise_kernelILi16EZZZNS0_17clamp_kernel_cudaERNS_18TensorIteratorBaseERKN3c106ScalarES7_ENKUlvE_clEvENKUlvE3_clEvEUlsE_St5arrayIPcLm2EEEEviT0_T1_
	.p2align	8
	.type	_ZN2at6native29vectorized_elementwise_kernelILi16EZZZNS0_17clamp_kernel_cudaERNS_18TensorIteratorBaseERKN3c106ScalarES7_ENKUlvE_clEvENKUlvE3_clEvEUlsE_St5arrayIPcLm2EEEEviT0_T1_,@function
_ZN2at6native29vectorized_elementwise_kernelILi16EZZZNS0_17clamp_kernel_cudaERNS_18TensorIteratorBaseERKN3c106ScalarES7_ENKUlvE_clEvENKUlvE3_clEvEUlsE_St5arrayIPcLm2EEEEviT0_T1_: ; @_ZN2at6native29vectorized_elementwise_kernelILi16EZZZNS0_17clamp_kernel_cudaERNS_18TensorIteratorBaseERKN3c106ScalarES7_ENKUlvE_clEvENKUlvE3_clEvEUlsE_St5arrayIPcLm2EEEEviT0_T1_
; %bb.0:
	s_load_dwordx2 s[8:9], s[0:1], 0x0
	s_load_dwordx4 s[4:7], s[0:1], 0x8
	s_lshl_b32 s2, s2, 11
	s_mov_b64 s[0:1], -1
	s_waitcnt lgkmcnt(0)
	s_sub_i32 s8, s8, s2
	s_cmpk_gt_i32 s8, 0x7ff
	s_cbranch_scc0 .LBB306_2
; %bb.1:
	s_ashr_i32 s3, s2, 31
	s_lshl_b64 s[0:1], s[2:3], 1
	s_add_u32 s10, s6, s0
	s_addc_u32 s11, s7, s1
	v_lshlrev_b32_e32 v1, 4, v0
	global_load_dwordx4 v[2:5], v1, s[10:11]
	s_add_u32 s0, s4, s0
	s_addc_u32 s1, s5, s1
	s_waitcnt vmcnt(0)
	v_pk_max_i16 v2, v2, s9 op_sel_hi:[1,0]
	v_pk_max_i16 v3, v3, s9 op_sel_hi:[1,0]
	;; [unrolled: 1-line block ×4, first 2 shown]
	v_pk_min_i16 v3, v3, s9 op_sel:[0,1]
	v_pk_min_i16 v2, v2, s9 op_sel:[0,1]
	;; [unrolled: 1-line block ×4, first 2 shown]
	global_store_dwordx4 v1, v[2:5], s[0:1]
	s_mov_b64 s[0:1], 0
.LBB306_2:
	s_andn2_b64 vcc, exec, s[0:1]
	s_cbranch_vccnz .LBB306_28
; %bb.3:
	v_cmp_gt_i32_e32 vcc, s8, v0
	v_mov_b32_e32 v1, 0
	v_or_b32_e32 v2, s2, v0
	v_mov_b32_e32 v3, 0
	v_mov_b32_e32 v4, v0
	s_and_saveexec_b64 s[0:1], vcc
	s_cbranch_execz .LBB306_5
; %bb.4:
	v_mov_b32_e32 v3, 0
	v_lshl_add_u64 v[4:5], v[2:3], 1, s[6:7]
	global_load_ushort v3, v[4:5], off
	v_or_b32_e32 v4, 0x100, v0
.LBB306_5:
	s_or_b64 exec, exec, s[0:1]
	v_cmp_gt_i32_e64 s[0:1], s8, v4
	s_and_saveexec_b64 s[10:11], s[0:1]
	s_cbranch_execz .LBB306_7
; %bb.6:
	v_add_u32_e32 v6, s2, v4
	v_mov_b32_e32 v7, 0
	v_lshl_add_u64 v[6:7], v[6:7], 1, s[6:7]
	global_load_ushort v1, v[6:7], off
	v_add_u32_e32 v4, 0x100, v4
.LBB306_7:
	s_or_b64 exec, exec, s[10:11]
	v_cmp_gt_i32_e64 s[0:1], s8, v4
	v_mov_b32_e32 v5, 0
	v_mov_b32_e32 v6, 0
	s_and_saveexec_b64 s[10:11], s[0:1]
	s_cbranch_execz .LBB306_9
; %bb.8:
	v_add_u32_e32 v6, s2, v4
	v_mov_b32_e32 v7, 0
	v_lshl_add_u64 v[6:7], v[6:7], 1, s[6:7]
	global_load_ushort v6, v[6:7], off
	v_add_u32_e32 v4, 0x100, v4
.LBB306_9:
	s_or_b64 exec, exec, s[10:11]
	v_cmp_gt_i32_e64 s[0:1], s8, v4
	s_and_saveexec_b64 s[10:11], s[0:1]
	s_cbranch_execz .LBB306_11
; %bb.10:
	v_add_u32_e32 v8, s2, v4
	v_mov_b32_e32 v9, 0
	v_lshl_add_u64 v[8:9], v[8:9], 1, s[6:7]
	global_load_ushort v5, v[8:9], off
	v_add_u32_e32 v4, 0x100, v4
.LBB306_11:
	s_or_b64 exec, exec, s[10:11]
	v_cmp_gt_i32_e64 s[0:1], s8, v4
	v_mov_b32_e32 v7, 0
	v_mov_b32_e32 v8, 0
	s_and_saveexec_b64 s[10:11], s[0:1]
	s_cbranch_execz .LBB306_13
; %bb.12:
	v_add_u32_e32 v8, s2, v4
	v_mov_b32_e32 v9, 0
	v_lshl_add_u64 v[8:9], v[8:9], 1, s[6:7]
	global_load_ushort v8, v[8:9], off
	v_add_u32_e32 v4, 0x100, v4
.LBB306_13:
	;; [unrolled: 24-line block ×3, first 2 shown]
	s_or_b64 exec, exec, s[10:11]
	v_cmp_gt_i32_e64 s[0:1], s8, v4
	s_and_saveexec_b64 s[10:11], s[0:1]
	s_cbranch_execz .LBB306_19
; %bb.18:
	v_add_u32_e32 v12, s2, v4
	v_mov_b32_e32 v13, 0
	v_lshl_add_u64 v[12:13], v[12:13], 1, s[6:7]
	global_load_ushort v9, v[12:13], off
.LBB306_19:
	s_or_b64 exec, exec, s[10:11]
	s_lshr_b32 s3, s9, 16
	s_waitcnt vmcnt(0)
	v_max_i16_e32 v3, s9, v3
	v_min_i16_e32 v3, s3, v3
	v_max_i16_e32 v1, s9, v1
	v_cndmask_b32_e32 v3, 0, v3, vcc
	v_or_b32_e32 v12, 0x100, v0
	v_min_i16_e32 v1, s3, v1
	s_mov_b32 s6, 0x5040100
	v_perm_b32 v1, v1, v3, s6
	v_cmp_gt_i32_e64 s[0:1], s8, v12
	v_max_i16_e32 v4, s9, v5
	v_min_i16_e32 v4, s3, v4
	v_cndmask_b32_e64 v11, v3, v1, s[0:1]
	v_or_b32_e32 v1, 0x200, v0
	v_max_i16_e32 v3, s9, v6
	v_min_i16_e32 v3, s3, v3
	v_cmp_gt_i32_e64 s[0:1], s8, v1
	v_max_i16_e32 v6, s9, v9
	v_min_i16_e32 v6, s3, v6
	v_cndmask_b32_e64 v1, 0, v3, s[0:1]
	v_or_b32_e32 v3, 0x300, v0
	v_perm_b32 v4, v4, v1, s6
	v_cmp_gt_i32_e64 s[0:1], s8, v3
	v_max_i16_e32 v3, s9, v8
	v_min_i16_e32 v3, s3, v3
	v_cndmask_b32_e64 v5, v1, v4, s[0:1]
	v_or_b32_e32 v1, 0x400, v0
	v_cmp_gt_i32_e64 s[0:1], s8, v1
	v_max_i16_e32 v4, s9, v7
	v_min_i16_e32 v4, s3, v4
	v_cndmask_b32_e64 v1, 0, v3, s[0:1]
	v_or_b32_e32 v3, 0x500, v0
	v_perm_b32 v4, v4, v1, s6
	v_cmp_gt_i32_e64 s[0:1], s8, v3
	v_max_i16_e32 v3, s9, v10
	v_min_i16_e32 v3, s3, v3
	v_cndmask_b32_e64 v4, v1, v4, s[0:1]
	v_or_b32_e32 v1, 0x600, v0
	v_cmp_gt_i32_e64 s[0:1], s8, v1
	s_nop 1
	v_cndmask_b32_e64 v1, 0, v3, s[0:1]
	v_or_b32_e32 v3, 0x700, v0
	v_perm_b32 v6, v6, v1, s6
	v_cmp_gt_i32_e64 s[0:1], s8, v3
	s_nop 1
	v_cndmask_b32_e64 v1, v1, v6, s[0:1]
	s_and_saveexec_b64 s[0:1], vcc
	s_cbranch_execnz .LBB306_29
; %bb.20:
	s_or_b64 exec, exec, s[0:1]
	v_cmp_gt_i32_e32 vcc, s8, v0
	s_and_saveexec_b64 s[0:1], vcc
	s_cbranch_execnz .LBB306_30
.LBB306_21:
	s_or_b64 exec, exec, s[0:1]
	v_cmp_gt_i32_e32 vcc, s8, v0
	s_and_saveexec_b64 s[0:1], vcc
	s_cbranch_execnz .LBB306_31
.LBB306_22:
	s_or_b64 exec, exec, s[0:1]
	v_cmp_gt_i32_e32 vcc, s8, v0
	s_and_saveexec_b64 s[0:1], vcc
	s_cbranch_execnz .LBB306_32
.LBB306_23:
	s_or_b64 exec, exec, s[0:1]
	v_cmp_gt_i32_e32 vcc, s8, v0
	s_and_saveexec_b64 s[0:1], vcc
	s_cbranch_execnz .LBB306_33
.LBB306_24:
	s_or_b64 exec, exec, s[0:1]
	v_cmp_gt_i32_e32 vcc, s8, v0
	s_and_saveexec_b64 s[0:1], vcc
	s_cbranch_execnz .LBB306_34
.LBB306_25:
	s_or_b64 exec, exec, s[0:1]
	v_cmp_gt_i32_e32 vcc, s8, v0
	s_and_saveexec_b64 s[0:1], vcc
	s_cbranch_execnz .LBB306_35
.LBB306_26:
	s_or_b64 exec, exec, s[0:1]
	v_cmp_gt_i32_e32 vcc, s8, v0
	s_and_saveexec_b64 s[0:1], vcc
	s_cbranch_execz .LBB306_28
.LBB306_27:
	v_add_u32_e32 v2, s2, v0
	v_mov_b32_e32 v3, 0
	v_lshl_add_u64 v[2:3], v[2:3], 1, s[4:5]
	global_store_short_d16_hi v[2:3], v1, off
.LBB306_28:
	s_endpgm
.LBB306_29:
	v_mov_b32_e32 v3, 0
	v_lshl_add_u64 v[2:3], v[2:3], 1, s[4:5]
	v_mov_b32_e32 v0, v12
	global_store_short v[2:3], v11, off
	s_or_b64 exec, exec, s[0:1]
	v_cmp_gt_i32_e32 vcc, s8, v0
	s_and_saveexec_b64 s[0:1], vcc
	s_cbranch_execz .LBB306_21
.LBB306_30:
	v_add_u32_e32 v2, s2, v0
	v_mov_b32_e32 v3, 0
	v_lshl_add_u64 v[2:3], v[2:3], 1, s[4:5]
	v_add_u32_e32 v0, 0x100, v0
	global_store_short_d16_hi v[2:3], v11, off
	s_or_b64 exec, exec, s[0:1]
	v_cmp_gt_i32_e32 vcc, s8, v0
	s_and_saveexec_b64 s[0:1], vcc
	s_cbranch_execz .LBB306_22
.LBB306_31:
	v_add_u32_e32 v2, s2, v0
	v_mov_b32_e32 v3, 0
	v_lshl_add_u64 v[2:3], v[2:3], 1, s[4:5]
	v_add_u32_e32 v0, 0x100, v0
	global_store_short v[2:3], v5, off
	s_or_b64 exec, exec, s[0:1]
	v_cmp_gt_i32_e32 vcc, s8, v0
	s_and_saveexec_b64 s[0:1], vcc
	s_cbranch_execz .LBB306_23
.LBB306_32:
	v_add_u32_e32 v2, s2, v0
	v_mov_b32_e32 v3, 0
	v_lshl_add_u64 v[2:3], v[2:3], 1, s[4:5]
	v_add_u32_e32 v0, 0x100, v0
	global_store_short_d16_hi v[2:3], v5, off
	s_or_b64 exec, exec, s[0:1]
	v_cmp_gt_i32_e32 vcc, s8, v0
	s_and_saveexec_b64 s[0:1], vcc
	s_cbranch_execz .LBB306_24
.LBB306_33:
	v_add_u32_e32 v2, s2, v0
	v_mov_b32_e32 v3, 0
	v_lshl_add_u64 v[2:3], v[2:3], 1, s[4:5]
	v_add_u32_e32 v0, 0x100, v0
	global_store_short v[2:3], v4, off
	s_or_b64 exec, exec, s[0:1]
	v_cmp_gt_i32_e32 vcc, s8, v0
	s_and_saveexec_b64 s[0:1], vcc
	s_cbranch_execz .LBB306_25
.LBB306_34:
	v_add_u32_e32 v2, s2, v0
	v_mov_b32_e32 v3, 0
	v_lshl_add_u64 v[2:3], v[2:3], 1, s[4:5]
	v_add_u32_e32 v0, 0x100, v0
	global_store_short_d16_hi v[2:3], v4, off
	s_or_b64 exec, exec, s[0:1]
	v_cmp_gt_i32_e32 vcc, s8, v0
	s_and_saveexec_b64 s[0:1], vcc
	s_cbranch_execz .LBB306_26
.LBB306_35:
	v_add_u32_e32 v2, s2, v0
	v_mov_b32_e32 v3, 0
	v_lshl_add_u64 v[2:3], v[2:3], 1, s[4:5]
	v_add_u32_e32 v0, 0x100, v0
	global_store_short v[2:3], v1, off
	s_or_b64 exec, exec, s[0:1]
	v_cmp_gt_i32_e32 vcc, s8, v0
	s_and_saveexec_b64 s[0:1], vcc
	s_cbranch_execnz .LBB306_27
	s_branch .LBB306_28
	.section	.rodata,"a",@progbits
	.p2align	6, 0x0
	.amdhsa_kernel _ZN2at6native29vectorized_elementwise_kernelILi16EZZZNS0_17clamp_kernel_cudaERNS_18TensorIteratorBaseERKN3c106ScalarES7_ENKUlvE_clEvENKUlvE3_clEvEUlsE_St5arrayIPcLm2EEEEviT0_T1_
		.amdhsa_group_segment_fixed_size 0
		.amdhsa_private_segment_fixed_size 0
		.amdhsa_kernarg_size 24
		.amdhsa_user_sgpr_count 2
		.amdhsa_user_sgpr_dispatch_ptr 0
		.amdhsa_user_sgpr_queue_ptr 0
		.amdhsa_user_sgpr_kernarg_segment_ptr 1
		.amdhsa_user_sgpr_dispatch_id 0
		.amdhsa_user_sgpr_kernarg_preload_length 0
		.amdhsa_user_sgpr_kernarg_preload_offset 0
		.amdhsa_user_sgpr_private_segment_size 0
		.amdhsa_uses_dynamic_stack 0
		.amdhsa_enable_private_segment 0
		.amdhsa_system_sgpr_workgroup_id_x 1
		.amdhsa_system_sgpr_workgroup_id_y 0
		.amdhsa_system_sgpr_workgroup_id_z 0
		.amdhsa_system_sgpr_workgroup_info 0
		.amdhsa_system_vgpr_workitem_id 0
		.amdhsa_next_free_vgpr 14
		.amdhsa_next_free_sgpr 12
		.amdhsa_accum_offset 16
		.amdhsa_reserve_vcc 1
		.amdhsa_float_round_mode_32 0
		.amdhsa_float_round_mode_16_64 0
		.amdhsa_float_denorm_mode_32 3
		.amdhsa_float_denorm_mode_16_64 3
		.amdhsa_dx10_clamp 1
		.amdhsa_ieee_mode 1
		.amdhsa_fp16_overflow 0
		.amdhsa_tg_split 0
		.amdhsa_exception_fp_ieee_invalid_op 0
		.amdhsa_exception_fp_denorm_src 0
		.amdhsa_exception_fp_ieee_div_zero 0
		.amdhsa_exception_fp_ieee_overflow 0
		.amdhsa_exception_fp_ieee_underflow 0
		.amdhsa_exception_fp_ieee_inexact 0
		.amdhsa_exception_int_div_zero 0
	.end_amdhsa_kernel
	.section	.text._ZN2at6native29vectorized_elementwise_kernelILi16EZZZNS0_17clamp_kernel_cudaERNS_18TensorIteratorBaseERKN3c106ScalarES7_ENKUlvE_clEvENKUlvE3_clEvEUlsE_St5arrayIPcLm2EEEEviT0_T1_,"axG",@progbits,_ZN2at6native29vectorized_elementwise_kernelILi16EZZZNS0_17clamp_kernel_cudaERNS_18TensorIteratorBaseERKN3c106ScalarES7_ENKUlvE_clEvENKUlvE3_clEvEUlsE_St5arrayIPcLm2EEEEviT0_T1_,comdat
.Lfunc_end306:
	.size	_ZN2at6native29vectorized_elementwise_kernelILi16EZZZNS0_17clamp_kernel_cudaERNS_18TensorIteratorBaseERKN3c106ScalarES7_ENKUlvE_clEvENKUlvE3_clEvEUlsE_St5arrayIPcLm2EEEEviT0_T1_, .Lfunc_end306-_ZN2at6native29vectorized_elementwise_kernelILi16EZZZNS0_17clamp_kernel_cudaERNS_18TensorIteratorBaseERKN3c106ScalarES7_ENKUlvE_clEvENKUlvE3_clEvEUlsE_St5arrayIPcLm2EEEEviT0_T1_
                                        ; -- End function
	.set _ZN2at6native29vectorized_elementwise_kernelILi16EZZZNS0_17clamp_kernel_cudaERNS_18TensorIteratorBaseERKN3c106ScalarES7_ENKUlvE_clEvENKUlvE3_clEvEUlsE_St5arrayIPcLm2EEEEviT0_T1_.num_vgpr, 14
	.set _ZN2at6native29vectorized_elementwise_kernelILi16EZZZNS0_17clamp_kernel_cudaERNS_18TensorIteratorBaseERKN3c106ScalarES7_ENKUlvE_clEvENKUlvE3_clEvEUlsE_St5arrayIPcLm2EEEEviT0_T1_.num_agpr, 0
	.set _ZN2at6native29vectorized_elementwise_kernelILi16EZZZNS0_17clamp_kernel_cudaERNS_18TensorIteratorBaseERKN3c106ScalarES7_ENKUlvE_clEvENKUlvE3_clEvEUlsE_St5arrayIPcLm2EEEEviT0_T1_.numbered_sgpr, 12
	.set _ZN2at6native29vectorized_elementwise_kernelILi16EZZZNS0_17clamp_kernel_cudaERNS_18TensorIteratorBaseERKN3c106ScalarES7_ENKUlvE_clEvENKUlvE3_clEvEUlsE_St5arrayIPcLm2EEEEviT0_T1_.num_named_barrier, 0
	.set _ZN2at6native29vectorized_elementwise_kernelILi16EZZZNS0_17clamp_kernel_cudaERNS_18TensorIteratorBaseERKN3c106ScalarES7_ENKUlvE_clEvENKUlvE3_clEvEUlsE_St5arrayIPcLm2EEEEviT0_T1_.private_seg_size, 0
	.set _ZN2at6native29vectorized_elementwise_kernelILi16EZZZNS0_17clamp_kernel_cudaERNS_18TensorIteratorBaseERKN3c106ScalarES7_ENKUlvE_clEvENKUlvE3_clEvEUlsE_St5arrayIPcLm2EEEEviT0_T1_.uses_vcc, 1
	.set _ZN2at6native29vectorized_elementwise_kernelILi16EZZZNS0_17clamp_kernel_cudaERNS_18TensorIteratorBaseERKN3c106ScalarES7_ENKUlvE_clEvENKUlvE3_clEvEUlsE_St5arrayIPcLm2EEEEviT0_T1_.uses_flat_scratch, 0
	.set _ZN2at6native29vectorized_elementwise_kernelILi16EZZZNS0_17clamp_kernel_cudaERNS_18TensorIteratorBaseERKN3c106ScalarES7_ENKUlvE_clEvENKUlvE3_clEvEUlsE_St5arrayIPcLm2EEEEviT0_T1_.has_dyn_sized_stack, 0
	.set _ZN2at6native29vectorized_elementwise_kernelILi16EZZZNS0_17clamp_kernel_cudaERNS_18TensorIteratorBaseERKN3c106ScalarES7_ENKUlvE_clEvENKUlvE3_clEvEUlsE_St5arrayIPcLm2EEEEviT0_T1_.has_recursion, 0
	.set _ZN2at6native29vectorized_elementwise_kernelILi16EZZZNS0_17clamp_kernel_cudaERNS_18TensorIteratorBaseERKN3c106ScalarES7_ENKUlvE_clEvENKUlvE3_clEvEUlsE_St5arrayIPcLm2EEEEviT0_T1_.has_indirect_call, 0
	.section	.AMDGPU.csdata,"",@progbits
; Kernel info:
; codeLenInByte = 1376
; TotalNumSgprs: 18
; NumVgprs: 14
; NumAgprs: 0
; TotalNumVgprs: 14
; ScratchSize: 0
; MemoryBound: 0
; FloatMode: 240
; IeeeMode: 1
; LDSByteSize: 0 bytes/workgroup (compile time only)
; SGPRBlocks: 2
; VGPRBlocks: 1
; NumSGPRsForWavesPerEU: 18
; NumVGPRsForWavesPerEU: 14
; AccumOffset: 16
; Occupancy: 8
; WaveLimiterHint : 0
; COMPUTE_PGM_RSRC2:SCRATCH_EN: 0
; COMPUTE_PGM_RSRC2:USER_SGPR: 2
; COMPUTE_PGM_RSRC2:TRAP_HANDLER: 0
; COMPUTE_PGM_RSRC2:TGID_X_EN: 1
; COMPUTE_PGM_RSRC2:TGID_Y_EN: 0
; COMPUTE_PGM_RSRC2:TGID_Z_EN: 0
; COMPUTE_PGM_RSRC2:TIDIG_COMP_CNT: 0
; COMPUTE_PGM_RSRC3_GFX90A:ACCUM_OFFSET: 3
; COMPUTE_PGM_RSRC3_GFX90A:TG_SPLIT: 0
	.section	.text._ZN2at6native29vectorized_elementwise_kernelILi8EZZZNS0_17clamp_kernel_cudaERNS_18TensorIteratorBaseERKN3c106ScalarES7_ENKUlvE_clEvENKUlvE3_clEvEUlsE_St5arrayIPcLm2EEEEviT0_T1_,"axG",@progbits,_ZN2at6native29vectorized_elementwise_kernelILi8EZZZNS0_17clamp_kernel_cudaERNS_18TensorIteratorBaseERKN3c106ScalarES7_ENKUlvE_clEvENKUlvE3_clEvEUlsE_St5arrayIPcLm2EEEEviT0_T1_,comdat
	.globl	_ZN2at6native29vectorized_elementwise_kernelILi8EZZZNS0_17clamp_kernel_cudaERNS_18TensorIteratorBaseERKN3c106ScalarES7_ENKUlvE_clEvENKUlvE3_clEvEUlsE_St5arrayIPcLm2EEEEviT0_T1_ ; -- Begin function _ZN2at6native29vectorized_elementwise_kernelILi8EZZZNS0_17clamp_kernel_cudaERNS_18TensorIteratorBaseERKN3c106ScalarES7_ENKUlvE_clEvENKUlvE3_clEvEUlsE_St5arrayIPcLm2EEEEviT0_T1_
	.p2align	8
	.type	_ZN2at6native29vectorized_elementwise_kernelILi8EZZZNS0_17clamp_kernel_cudaERNS_18TensorIteratorBaseERKN3c106ScalarES7_ENKUlvE_clEvENKUlvE3_clEvEUlsE_St5arrayIPcLm2EEEEviT0_T1_,@function
_ZN2at6native29vectorized_elementwise_kernelILi8EZZZNS0_17clamp_kernel_cudaERNS_18TensorIteratorBaseERKN3c106ScalarES7_ENKUlvE_clEvENKUlvE3_clEvEUlsE_St5arrayIPcLm2EEEEviT0_T1_: ; @_ZN2at6native29vectorized_elementwise_kernelILi8EZZZNS0_17clamp_kernel_cudaERNS_18TensorIteratorBaseERKN3c106ScalarES7_ENKUlvE_clEvENKUlvE3_clEvEUlsE_St5arrayIPcLm2EEEEviT0_T1_
; %bb.0:
	s_load_dwordx2 s[8:9], s[0:1], 0x0
	s_load_dwordx4 s[4:7], s[0:1], 0x8
	s_lshl_b32 s2, s2, 11
	s_mov_b64 s[0:1], -1
	s_waitcnt lgkmcnt(0)
	s_sub_i32 s8, s8, s2
	s_cmpk_gt_i32 s8, 0x7ff
	s_cbranch_scc0 .LBB307_2
; %bb.1:
	s_ashr_i32 s3, s2, 31
	s_lshl_b64 s[0:1], s[2:3], 1
	s_add_u32 s10, s6, s0
	s_addc_u32 s11, s7, s1
	v_lshlrev_b32_e32 v1, 4, v0
	global_load_dwordx4 v[2:5], v1, s[10:11]
	s_add_u32 s0, s4, s0
	s_addc_u32 s1, s5, s1
	s_waitcnt vmcnt(0)
	v_pk_max_i16 v2, v2, s9 op_sel_hi:[1,0]
	v_pk_max_i16 v3, v3, s9 op_sel_hi:[1,0]
	;; [unrolled: 1-line block ×4, first 2 shown]
	v_pk_min_i16 v3, v3, s9 op_sel:[0,1]
	v_pk_min_i16 v2, v2, s9 op_sel:[0,1]
	;; [unrolled: 1-line block ×4, first 2 shown]
	global_store_dwordx4 v1, v[2:5], s[0:1]
	s_mov_b64 s[0:1], 0
.LBB307_2:
	s_andn2_b64 vcc, exec, s[0:1]
	s_cbranch_vccnz .LBB307_28
; %bb.3:
	v_cmp_gt_i32_e32 vcc, s8, v0
	v_mov_b32_e32 v1, 0
	v_or_b32_e32 v2, s2, v0
	v_mov_b32_e32 v3, 0
	v_mov_b32_e32 v4, v0
	s_and_saveexec_b64 s[0:1], vcc
	s_cbranch_execz .LBB307_5
; %bb.4:
	v_mov_b32_e32 v3, 0
	v_lshl_add_u64 v[4:5], v[2:3], 1, s[6:7]
	global_load_ushort v3, v[4:5], off
	v_or_b32_e32 v4, 0x100, v0
.LBB307_5:
	s_or_b64 exec, exec, s[0:1]
	v_cmp_gt_i32_e64 s[0:1], s8, v4
	s_and_saveexec_b64 s[10:11], s[0:1]
	s_cbranch_execz .LBB307_7
; %bb.6:
	v_add_u32_e32 v6, s2, v4
	v_mov_b32_e32 v7, 0
	v_lshl_add_u64 v[6:7], v[6:7], 1, s[6:7]
	global_load_ushort v1, v[6:7], off
	v_add_u32_e32 v4, 0x100, v4
.LBB307_7:
	s_or_b64 exec, exec, s[10:11]
	v_cmp_gt_i32_e64 s[0:1], s8, v4
	v_mov_b32_e32 v5, 0
	v_mov_b32_e32 v6, 0
	s_and_saveexec_b64 s[10:11], s[0:1]
	s_cbranch_execz .LBB307_9
; %bb.8:
	v_add_u32_e32 v6, s2, v4
	v_mov_b32_e32 v7, 0
	v_lshl_add_u64 v[6:7], v[6:7], 1, s[6:7]
	global_load_ushort v6, v[6:7], off
	v_add_u32_e32 v4, 0x100, v4
.LBB307_9:
	s_or_b64 exec, exec, s[10:11]
	v_cmp_gt_i32_e64 s[0:1], s8, v4
	s_and_saveexec_b64 s[10:11], s[0:1]
	s_cbranch_execz .LBB307_11
; %bb.10:
	v_add_u32_e32 v8, s2, v4
	v_mov_b32_e32 v9, 0
	v_lshl_add_u64 v[8:9], v[8:9], 1, s[6:7]
	global_load_ushort v5, v[8:9], off
	v_add_u32_e32 v4, 0x100, v4
.LBB307_11:
	s_or_b64 exec, exec, s[10:11]
	v_cmp_gt_i32_e64 s[0:1], s8, v4
	v_mov_b32_e32 v7, 0
	v_mov_b32_e32 v8, 0
	s_and_saveexec_b64 s[10:11], s[0:1]
	s_cbranch_execz .LBB307_13
; %bb.12:
	v_add_u32_e32 v8, s2, v4
	v_mov_b32_e32 v9, 0
	v_lshl_add_u64 v[8:9], v[8:9], 1, s[6:7]
	global_load_ushort v8, v[8:9], off
	v_add_u32_e32 v4, 0x100, v4
.LBB307_13:
	;; [unrolled: 24-line block ×3, first 2 shown]
	s_or_b64 exec, exec, s[10:11]
	v_cmp_gt_i32_e64 s[0:1], s8, v4
	s_and_saveexec_b64 s[10:11], s[0:1]
	s_cbranch_execz .LBB307_19
; %bb.18:
	v_add_u32_e32 v12, s2, v4
	v_mov_b32_e32 v13, 0
	v_lshl_add_u64 v[12:13], v[12:13], 1, s[6:7]
	global_load_ushort v9, v[12:13], off
.LBB307_19:
	s_or_b64 exec, exec, s[10:11]
	s_lshr_b32 s3, s9, 16
	s_waitcnt vmcnt(0)
	v_max_i16_e32 v3, s9, v3
	v_min_i16_e32 v3, s3, v3
	v_max_i16_e32 v1, s9, v1
	v_cndmask_b32_e32 v3, 0, v3, vcc
	v_or_b32_e32 v12, 0x100, v0
	v_min_i16_e32 v1, s3, v1
	s_mov_b32 s6, 0x5040100
	v_perm_b32 v1, v1, v3, s6
	v_cmp_gt_i32_e64 s[0:1], s8, v12
	v_max_i16_e32 v4, s9, v5
	v_min_i16_e32 v4, s3, v4
	v_cndmask_b32_e64 v11, v3, v1, s[0:1]
	v_or_b32_e32 v1, 0x200, v0
	v_max_i16_e32 v3, s9, v6
	v_min_i16_e32 v3, s3, v3
	v_cmp_gt_i32_e64 s[0:1], s8, v1
	v_max_i16_e32 v6, s9, v9
	v_min_i16_e32 v6, s3, v6
	v_cndmask_b32_e64 v1, 0, v3, s[0:1]
	v_or_b32_e32 v3, 0x300, v0
	v_perm_b32 v4, v4, v1, s6
	v_cmp_gt_i32_e64 s[0:1], s8, v3
	v_max_i16_e32 v3, s9, v8
	v_min_i16_e32 v3, s3, v3
	v_cndmask_b32_e64 v5, v1, v4, s[0:1]
	v_or_b32_e32 v1, 0x400, v0
	v_cmp_gt_i32_e64 s[0:1], s8, v1
	v_max_i16_e32 v4, s9, v7
	v_min_i16_e32 v4, s3, v4
	v_cndmask_b32_e64 v1, 0, v3, s[0:1]
	v_or_b32_e32 v3, 0x500, v0
	v_perm_b32 v4, v4, v1, s6
	v_cmp_gt_i32_e64 s[0:1], s8, v3
	v_max_i16_e32 v3, s9, v10
	v_min_i16_e32 v3, s3, v3
	v_cndmask_b32_e64 v4, v1, v4, s[0:1]
	v_or_b32_e32 v1, 0x600, v0
	v_cmp_gt_i32_e64 s[0:1], s8, v1
	s_nop 1
	v_cndmask_b32_e64 v1, 0, v3, s[0:1]
	v_or_b32_e32 v3, 0x700, v0
	v_perm_b32 v6, v6, v1, s6
	v_cmp_gt_i32_e64 s[0:1], s8, v3
	s_nop 1
	v_cndmask_b32_e64 v1, v1, v6, s[0:1]
	s_and_saveexec_b64 s[0:1], vcc
	s_cbranch_execnz .LBB307_29
; %bb.20:
	s_or_b64 exec, exec, s[0:1]
	v_cmp_gt_i32_e32 vcc, s8, v0
	s_and_saveexec_b64 s[0:1], vcc
	s_cbranch_execnz .LBB307_30
.LBB307_21:
	s_or_b64 exec, exec, s[0:1]
	v_cmp_gt_i32_e32 vcc, s8, v0
	s_and_saveexec_b64 s[0:1], vcc
	s_cbranch_execnz .LBB307_31
.LBB307_22:
	s_or_b64 exec, exec, s[0:1]
	v_cmp_gt_i32_e32 vcc, s8, v0
	s_and_saveexec_b64 s[0:1], vcc
	s_cbranch_execnz .LBB307_32
.LBB307_23:
	s_or_b64 exec, exec, s[0:1]
	v_cmp_gt_i32_e32 vcc, s8, v0
	s_and_saveexec_b64 s[0:1], vcc
	s_cbranch_execnz .LBB307_33
.LBB307_24:
	s_or_b64 exec, exec, s[0:1]
	v_cmp_gt_i32_e32 vcc, s8, v0
	s_and_saveexec_b64 s[0:1], vcc
	s_cbranch_execnz .LBB307_34
.LBB307_25:
	s_or_b64 exec, exec, s[0:1]
	v_cmp_gt_i32_e32 vcc, s8, v0
	s_and_saveexec_b64 s[0:1], vcc
	s_cbranch_execnz .LBB307_35
.LBB307_26:
	s_or_b64 exec, exec, s[0:1]
	v_cmp_gt_i32_e32 vcc, s8, v0
	s_and_saveexec_b64 s[0:1], vcc
	s_cbranch_execz .LBB307_28
.LBB307_27:
	v_add_u32_e32 v2, s2, v0
	v_mov_b32_e32 v3, 0
	v_lshl_add_u64 v[2:3], v[2:3], 1, s[4:5]
	global_store_short_d16_hi v[2:3], v1, off
.LBB307_28:
	s_endpgm
.LBB307_29:
	v_mov_b32_e32 v3, 0
	v_lshl_add_u64 v[2:3], v[2:3], 1, s[4:5]
	v_mov_b32_e32 v0, v12
	global_store_short v[2:3], v11, off
	s_or_b64 exec, exec, s[0:1]
	v_cmp_gt_i32_e32 vcc, s8, v0
	s_and_saveexec_b64 s[0:1], vcc
	s_cbranch_execz .LBB307_21
.LBB307_30:
	v_add_u32_e32 v2, s2, v0
	v_mov_b32_e32 v3, 0
	v_lshl_add_u64 v[2:3], v[2:3], 1, s[4:5]
	v_add_u32_e32 v0, 0x100, v0
	global_store_short_d16_hi v[2:3], v11, off
	s_or_b64 exec, exec, s[0:1]
	v_cmp_gt_i32_e32 vcc, s8, v0
	s_and_saveexec_b64 s[0:1], vcc
	s_cbranch_execz .LBB307_22
.LBB307_31:
	v_add_u32_e32 v2, s2, v0
	v_mov_b32_e32 v3, 0
	v_lshl_add_u64 v[2:3], v[2:3], 1, s[4:5]
	v_add_u32_e32 v0, 0x100, v0
	global_store_short v[2:3], v5, off
	s_or_b64 exec, exec, s[0:1]
	v_cmp_gt_i32_e32 vcc, s8, v0
	s_and_saveexec_b64 s[0:1], vcc
	s_cbranch_execz .LBB307_23
.LBB307_32:
	v_add_u32_e32 v2, s2, v0
	v_mov_b32_e32 v3, 0
	v_lshl_add_u64 v[2:3], v[2:3], 1, s[4:5]
	v_add_u32_e32 v0, 0x100, v0
	global_store_short_d16_hi v[2:3], v5, off
	s_or_b64 exec, exec, s[0:1]
	v_cmp_gt_i32_e32 vcc, s8, v0
	s_and_saveexec_b64 s[0:1], vcc
	s_cbranch_execz .LBB307_24
.LBB307_33:
	v_add_u32_e32 v2, s2, v0
	v_mov_b32_e32 v3, 0
	v_lshl_add_u64 v[2:3], v[2:3], 1, s[4:5]
	v_add_u32_e32 v0, 0x100, v0
	global_store_short v[2:3], v4, off
	s_or_b64 exec, exec, s[0:1]
	v_cmp_gt_i32_e32 vcc, s8, v0
	s_and_saveexec_b64 s[0:1], vcc
	s_cbranch_execz .LBB307_25
.LBB307_34:
	v_add_u32_e32 v2, s2, v0
	v_mov_b32_e32 v3, 0
	v_lshl_add_u64 v[2:3], v[2:3], 1, s[4:5]
	v_add_u32_e32 v0, 0x100, v0
	global_store_short_d16_hi v[2:3], v4, off
	s_or_b64 exec, exec, s[0:1]
	v_cmp_gt_i32_e32 vcc, s8, v0
	s_and_saveexec_b64 s[0:1], vcc
	s_cbranch_execz .LBB307_26
.LBB307_35:
	v_add_u32_e32 v2, s2, v0
	v_mov_b32_e32 v3, 0
	v_lshl_add_u64 v[2:3], v[2:3], 1, s[4:5]
	v_add_u32_e32 v0, 0x100, v0
	global_store_short v[2:3], v1, off
	s_or_b64 exec, exec, s[0:1]
	v_cmp_gt_i32_e32 vcc, s8, v0
	s_and_saveexec_b64 s[0:1], vcc
	s_cbranch_execnz .LBB307_27
	s_branch .LBB307_28
	.section	.rodata,"a",@progbits
	.p2align	6, 0x0
	.amdhsa_kernel _ZN2at6native29vectorized_elementwise_kernelILi8EZZZNS0_17clamp_kernel_cudaERNS_18TensorIteratorBaseERKN3c106ScalarES7_ENKUlvE_clEvENKUlvE3_clEvEUlsE_St5arrayIPcLm2EEEEviT0_T1_
		.amdhsa_group_segment_fixed_size 0
		.amdhsa_private_segment_fixed_size 0
		.amdhsa_kernarg_size 24
		.amdhsa_user_sgpr_count 2
		.amdhsa_user_sgpr_dispatch_ptr 0
		.amdhsa_user_sgpr_queue_ptr 0
		.amdhsa_user_sgpr_kernarg_segment_ptr 1
		.amdhsa_user_sgpr_dispatch_id 0
		.amdhsa_user_sgpr_kernarg_preload_length 0
		.amdhsa_user_sgpr_kernarg_preload_offset 0
		.amdhsa_user_sgpr_private_segment_size 0
		.amdhsa_uses_dynamic_stack 0
		.amdhsa_enable_private_segment 0
		.amdhsa_system_sgpr_workgroup_id_x 1
		.amdhsa_system_sgpr_workgroup_id_y 0
		.amdhsa_system_sgpr_workgroup_id_z 0
		.amdhsa_system_sgpr_workgroup_info 0
		.amdhsa_system_vgpr_workitem_id 0
		.amdhsa_next_free_vgpr 14
		.amdhsa_next_free_sgpr 12
		.amdhsa_accum_offset 16
		.amdhsa_reserve_vcc 1
		.amdhsa_float_round_mode_32 0
		.amdhsa_float_round_mode_16_64 0
		.amdhsa_float_denorm_mode_32 3
		.amdhsa_float_denorm_mode_16_64 3
		.amdhsa_dx10_clamp 1
		.amdhsa_ieee_mode 1
		.amdhsa_fp16_overflow 0
		.amdhsa_tg_split 0
		.amdhsa_exception_fp_ieee_invalid_op 0
		.amdhsa_exception_fp_denorm_src 0
		.amdhsa_exception_fp_ieee_div_zero 0
		.amdhsa_exception_fp_ieee_overflow 0
		.amdhsa_exception_fp_ieee_underflow 0
		.amdhsa_exception_fp_ieee_inexact 0
		.amdhsa_exception_int_div_zero 0
	.end_amdhsa_kernel
	.section	.text._ZN2at6native29vectorized_elementwise_kernelILi8EZZZNS0_17clamp_kernel_cudaERNS_18TensorIteratorBaseERKN3c106ScalarES7_ENKUlvE_clEvENKUlvE3_clEvEUlsE_St5arrayIPcLm2EEEEviT0_T1_,"axG",@progbits,_ZN2at6native29vectorized_elementwise_kernelILi8EZZZNS0_17clamp_kernel_cudaERNS_18TensorIteratorBaseERKN3c106ScalarES7_ENKUlvE_clEvENKUlvE3_clEvEUlsE_St5arrayIPcLm2EEEEviT0_T1_,comdat
.Lfunc_end307:
	.size	_ZN2at6native29vectorized_elementwise_kernelILi8EZZZNS0_17clamp_kernel_cudaERNS_18TensorIteratorBaseERKN3c106ScalarES7_ENKUlvE_clEvENKUlvE3_clEvEUlsE_St5arrayIPcLm2EEEEviT0_T1_, .Lfunc_end307-_ZN2at6native29vectorized_elementwise_kernelILi8EZZZNS0_17clamp_kernel_cudaERNS_18TensorIteratorBaseERKN3c106ScalarES7_ENKUlvE_clEvENKUlvE3_clEvEUlsE_St5arrayIPcLm2EEEEviT0_T1_
                                        ; -- End function
	.set _ZN2at6native29vectorized_elementwise_kernelILi8EZZZNS0_17clamp_kernel_cudaERNS_18TensorIteratorBaseERKN3c106ScalarES7_ENKUlvE_clEvENKUlvE3_clEvEUlsE_St5arrayIPcLm2EEEEviT0_T1_.num_vgpr, 14
	.set _ZN2at6native29vectorized_elementwise_kernelILi8EZZZNS0_17clamp_kernel_cudaERNS_18TensorIteratorBaseERKN3c106ScalarES7_ENKUlvE_clEvENKUlvE3_clEvEUlsE_St5arrayIPcLm2EEEEviT0_T1_.num_agpr, 0
	.set _ZN2at6native29vectorized_elementwise_kernelILi8EZZZNS0_17clamp_kernel_cudaERNS_18TensorIteratorBaseERKN3c106ScalarES7_ENKUlvE_clEvENKUlvE3_clEvEUlsE_St5arrayIPcLm2EEEEviT0_T1_.numbered_sgpr, 12
	.set _ZN2at6native29vectorized_elementwise_kernelILi8EZZZNS0_17clamp_kernel_cudaERNS_18TensorIteratorBaseERKN3c106ScalarES7_ENKUlvE_clEvENKUlvE3_clEvEUlsE_St5arrayIPcLm2EEEEviT0_T1_.num_named_barrier, 0
	.set _ZN2at6native29vectorized_elementwise_kernelILi8EZZZNS0_17clamp_kernel_cudaERNS_18TensorIteratorBaseERKN3c106ScalarES7_ENKUlvE_clEvENKUlvE3_clEvEUlsE_St5arrayIPcLm2EEEEviT0_T1_.private_seg_size, 0
	.set _ZN2at6native29vectorized_elementwise_kernelILi8EZZZNS0_17clamp_kernel_cudaERNS_18TensorIteratorBaseERKN3c106ScalarES7_ENKUlvE_clEvENKUlvE3_clEvEUlsE_St5arrayIPcLm2EEEEviT0_T1_.uses_vcc, 1
	.set _ZN2at6native29vectorized_elementwise_kernelILi8EZZZNS0_17clamp_kernel_cudaERNS_18TensorIteratorBaseERKN3c106ScalarES7_ENKUlvE_clEvENKUlvE3_clEvEUlsE_St5arrayIPcLm2EEEEviT0_T1_.uses_flat_scratch, 0
	.set _ZN2at6native29vectorized_elementwise_kernelILi8EZZZNS0_17clamp_kernel_cudaERNS_18TensorIteratorBaseERKN3c106ScalarES7_ENKUlvE_clEvENKUlvE3_clEvEUlsE_St5arrayIPcLm2EEEEviT0_T1_.has_dyn_sized_stack, 0
	.set _ZN2at6native29vectorized_elementwise_kernelILi8EZZZNS0_17clamp_kernel_cudaERNS_18TensorIteratorBaseERKN3c106ScalarES7_ENKUlvE_clEvENKUlvE3_clEvEUlsE_St5arrayIPcLm2EEEEviT0_T1_.has_recursion, 0
	.set _ZN2at6native29vectorized_elementwise_kernelILi8EZZZNS0_17clamp_kernel_cudaERNS_18TensorIteratorBaseERKN3c106ScalarES7_ENKUlvE_clEvENKUlvE3_clEvEUlsE_St5arrayIPcLm2EEEEviT0_T1_.has_indirect_call, 0
	.section	.AMDGPU.csdata,"",@progbits
; Kernel info:
; codeLenInByte = 1376
; TotalNumSgprs: 18
; NumVgprs: 14
; NumAgprs: 0
; TotalNumVgprs: 14
; ScratchSize: 0
; MemoryBound: 0
; FloatMode: 240
; IeeeMode: 1
; LDSByteSize: 0 bytes/workgroup (compile time only)
; SGPRBlocks: 2
; VGPRBlocks: 1
; NumSGPRsForWavesPerEU: 18
; NumVGPRsForWavesPerEU: 14
; AccumOffset: 16
; Occupancy: 8
; WaveLimiterHint : 0
; COMPUTE_PGM_RSRC2:SCRATCH_EN: 0
; COMPUTE_PGM_RSRC2:USER_SGPR: 2
; COMPUTE_PGM_RSRC2:TRAP_HANDLER: 0
; COMPUTE_PGM_RSRC2:TGID_X_EN: 1
; COMPUTE_PGM_RSRC2:TGID_Y_EN: 0
; COMPUTE_PGM_RSRC2:TGID_Z_EN: 0
; COMPUTE_PGM_RSRC2:TIDIG_COMP_CNT: 0
; COMPUTE_PGM_RSRC3_GFX90A:ACCUM_OFFSET: 3
; COMPUTE_PGM_RSRC3_GFX90A:TG_SPLIT: 0
	.section	.text._ZN2at6native29vectorized_elementwise_kernelILi4EZZZNS0_17clamp_kernel_cudaERNS_18TensorIteratorBaseERKN3c106ScalarES7_ENKUlvE_clEvENKUlvE3_clEvEUlsE_St5arrayIPcLm2EEEEviT0_T1_,"axG",@progbits,_ZN2at6native29vectorized_elementwise_kernelILi4EZZZNS0_17clamp_kernel_cudaERNS_18TensorIteratorBaseERKN3c106ScalarES7_ENKUlvE_clEvENKUlvE3_clEvEUlsE_St5arrayIPcLm2EEEEviT0_T1_,comdat
	.globl	_ZN2at6native29vectorized_elementwise_kernelILi4EZZZNS0_17clamp_kernel_cudaERNS_18TensorIteratorBaseERKN3c106ScalarES7_ENKUlvE_clEvENKUlvE3_clEvEUlsE_St5arrayIPcLm2EEEEviT0_T1_ ; -- Begin function _ZN2at6native29vectorized_elementwise_kernelILi4EZZZNS0_17clamp_kernel_cudaERNS_18TensorIteratorBaseERKN3c106ScalarES7_ENKUlvE_clEvENKUlvE3_clEvEUlsE_St5arrayIPcLm2EEEEviT0_T1_
	.p2align	8
	.type	_ZN2at6native29vectorized_elementwise_kernelILi4EZZZNS0_17clamp_kernel_cudaERNS_18TensorIteratorBaseERKN3c106ScalarES7_ENKUlvE_clEvENKUlvE3_clEvEUlsE_St5arrayIPcLm2EEEEviT0_T1_,@function
_ZN2at6native29vectorized_elementwise_kernelILi4EZZZNS0_17clamp_kernel_cudaERNS_18TensorIteratorBaseERKN3c106ScalarES7_ENKUlvE_clEvENKUlvE3_clEvEUlsE_St5arrayIPcLm2EEEEviT0_T1_: ; @_ZN2at6native29vectorized_elementwise_kernelILi4EZZZNS0_17clamp_kernel_cudaERNS_18TensorIteratorBaseERKN3c106ScalarES7_ENKUlvE_clEvENKUlvE3_clEvEUlsE_St5arrayIPcLm2EEEEviT0_T1_
; %bb.0:
	s_load_dwordx2 s[8:9], s[0:1], 0x0
	s_load_dwordx4 s[4:7], s[0:1], 0x8
	s_lshl_b32 s2, s2, 11
	s_mov_b64 s[0:1], -1
	s_waitcnt lgkmcnt(0)
	s_sub_i32 s8, s8, s2
	s_cmpk_gt_i32 s8, 0x7ff
	s_cbranch_scc0 .LBB308_2
; %bb.1:
	s_ashr_i32 s3, s2, 31
	s_lshl_b64 s[0:1], s[2:3], 1
	s_add_u32 s10, s6, s0
	s_addc_u32 s11, s7, s1
	v_lshlrev_b32_e32 v1, 3, v0
	global_load_dwordx2 v[2:3], v1, s[10:11]
	global_load_dwordx2 v[4:5], v1, s[10:11] offset:2048
	s_add_u32 s0, s4, s0
	s_addc_u32 s1, s5, s1
	s_waitcnt vmcnt(1)
	v_pk_max_i16 v6, v2, s9 op_sel_hi:[1,0]
	v_pk_max_i16 v7, v3, s9 op_sel_hi:[1,0]
	s_waitcnt vmcnt(0)
	v_pk_max_i16 v2, v4, s9 op_sel_hi:[1,0]
	v_pk_max_i16 v3, v5, s9 op_sel_hi:[1,0]
	v_pk_min_i16 v5, v7, s9 op_sel:[0,1]
	v_pk_min_i16 v4, v6, s9 op_sel:[0,1]
	;; [unrolled: 1-line block ×4, first 2 shown]
	global_store_dwordx2 v1, v[4:5], s[0:1]
	global_store_dwordx2 v1, v[2:3], s[0:1] offset:2048
	s_mov_b64 s[0:1], 0
.LBB308_2:
	s_andn2_b64 vcc, exec, s[0:1]
	s_cbranch_vccnz .LBB308_28
; %bb.3:
	v_cmp_gt_i32_e32 vcc, s8, v0
	v_mov_b32_e32 v1, 0
	v_or_b32_e32 v2, s2, v0
	v_mov_b32_e32 v3, 0
	v_mov_b32_e32 v4, v0
	s_and_saveexec_b64 s[0:1], vcc
	s_cbranch_execz .LBB308_5
; %bb.4:
	v_mov_b32_e32 v3, 0
	v_lshl_add_u64 v[4:5], v[2:3], 1, s[6:7]
	global_load_ushort v3, v[4:5], off
	v_or_b32_e32 v4, 0x100, v0
.LBB308_5:
	s_or_b64 exec, exec, s[0:1]
	v_cmp_gt_i32_e64 s[0:1], s8, v4
	s_and_saveexec_b64 s[10:11], s[0:1]
	s_cbranch_execz .LBB308_7
; %bb.6:
	v_add_u32_e32 v6, s2, v4
	v_mov_b32_e32 v7, 0
	v_lshl_add_u64 v[6:7], v[6:7], 1, s[6:7]
	global_load_ushort v1, v[6:7], off
	v_add_u32_e32 v4, 0x100, v4
.LBB308_7:
	s_or_b64 exec, exec, s[10:11]
	v_cmp_gt_i32_e64 s[0:1], s8, v4
	v_mov_b32_e32 v5, 0
	v_mov_b32_e32 v6, 0
	s_and_saveexec_b64 s[10:11], s[0:1]
	s_cbranch_execz .LBB308_9
; %bb.8:
	v_add_u32_e32 v6, s2, v4
	v_mov_b32_e32 v7, 0
	v_lshl_add_u64 v[6:7], v[6:7], 1, s[6:7]
	global_load_ushort v6, v[6:7], off
	v_add_u32_e32 v4, 0x100, v4
.LBB308_9:
	s_or_b64 exec, exec, s[10:11]
	v_cmp_gt_i32_e64 s[0:1], s8, v4
	s_and_saveexec_b64 s[10:11], s[0:1]
	s_cbranch_execz .LBB308_11
; %bb.10:
	v_add_u32_e32 v8, s2, v4
	v_mov_b32_e32 v9, 0
	v_lshl_add_u64 v[8:9], v[8:9], 1, s[6:7]
	global_load_ushort v5, v[8:9], off
	v_add_u32_e32 v4, 0x100, v4
.LBB308_11:
	s_or_b64 exec, exec, s[10:11]
	v_cmp_gt_i32_e64 s[0:1], s8, v4
	v_mov_b32_e32 v7, 0
	v_mov_b32_e32 v8, 0
	s_and_saveexec_b64 s[10:11], s[0:1]
	s_cbranch_execz .LBB308_13
; %bb.12:
	v_add_u32_e32 v8, s2, v4
	v_mov_b32_e32 v9, 0
	v_lshl_add_u64 v[8:9], v[8:9], 1, s[6:7]
	global_load_ushort v8, v[8:9], off
	v_add_u32_e32 v4, 0x100, v4
.LBB308_13:
	;; [unrolled: 24-line block ×3, first 2 shown]
	s_or_b64 exec, exec, s[10:11]
	v_cmp_gt_i32_e64 s[0:1], s8, v4
	s_and_saveexec_b64 s[10:11], s[0:1]
	s_cbranch_execz .LBB308_19
; %bb.18:
	v_add_u32_e32 v12, s2, v4
	v_mov_b32_e32 v13, 0
	v_lshl_add_u64 v[12:13], v[12:13], 1, s[6:7]
	global_load_ushort v9, v[12:13], off
.LBB308_19:
	s_or_b64 exec, exec, s[10:11]
	s_lshr_b32 s3, s9, 16
	s_waitcnt vmcnt(0)
	v_max_i16_e32 v3, s9, v3
	v_min_i16_e32 v3, s3, v3
	v_max_i16_e32 v1, s9, v1
	v_cndmask_b32_e32 v3, 0, v3, vcc
	v_or_b32_e32 v12, 0x100, v0
	v_min_i16_e32 v1, s3, v1
	s_mov_b32 s6, 0x5040100
	v_perm_b32 v1, v1, v3, s6
	v_cmp_gt_i32_e64 s[0:1], s8, v12
	v_max_i16_e32 v4, s9, v5
	v_min_i16_e32 v4, s3, v4
	v_cndmask_b32_e64 v11, v3, v1, s[0:1]
	v_or_b32_e32 v1, 0x200, v0
	v_max_i16_e32 v3, s9, v6
	v_min_i16_e32 v3, s3, v3
	v_cmp_gt_i32_e64 s[0:1], s8, v1
	v_max_i16_e32 v6, s9, v9
	v_min_i16_e32 v6, s3, v6
	v_cndmask_b32_e64 v1, 0, v3, s[0:1]
	v_or_b32_e32 v3, 0x300, v0
	v_perm_b32 v4, v4, v1, s6
	v_cmp_gt_i32_e64 s[0:1], s8, v3
	v_max_i16_e32 v3, s9, v8
	v_min_i16_e32 v3, s3, v3
	v_cndmask_b32_e64 v5, v1, v4, s[0:1]
	v_or_b32_e32 v1, 0x400, v0
	v_cmp_gt_i32_e64 s[0:1], s8, v1
	v_max_i16_e32 v4, s9, v7
	v_min_i16_e32 v4, s3, v4
	v_cndmask_b32_e64 v1, 0, v3, s[0:1]
	v_or_b32_e32 v3, 0x500, v0
	v_perm_b32 v4, v4, v1, s6
	v_cmp_gt_i32_e64 s[0:1], s8, v3
	v_max_i16_e32 v3, s9, v10
	v_min_i16_e32 v3, s3, v3
	v_cndmask_b32_e64 v4, v1, v4, s[0:1]
	v_or_b32_e32 v1, 0x600, v0
	v_cmp_gt_i32_e64 s[0:1], s8, v1
	s_nop 1
	v_cndmask_b32_e64 v1, 0, v3, s[0:1]
	v_or_b32_e32 v3, 0x700, v0
	v_perm_b32 v6, v6, v1, s6
	v_cmp_gt_i32_e64 s[0:1], s8, v3
	s_nop 1
	v_cndmask_b32_e64 v1, v1, v6, s[0:1]
	s_and_saveexec_b64 s[0:1], vcc
	s_cbranch_execnz .LBB308_29
; %bb.20:
	s_or_b64 exec, exec, s[0:1]
	v_cmp_gt_i32_e32 vcc, s8, v0
	s_and_saveexec_b64 s[0:1], vcc
	s_cbranch_execnz .LBB308_30
.LBB308_21:
	s_or_b64 exec, exec, s[0:1]
	v_cmp_gt_i32_e32 vcc, s8, v0
	s_and_saveexec_b64 s[0:1], vcc
	s_cbranch_execnz .LBB308_31
.LBB308_22:
	s_or_b64 exec, exec, s[0:1]
	v_cmp_gt_i32_e32 vcc, s8, v0
	s_and_saveexec_b64 s[0:1], vcc
	s_cbranch_execnz .LBB308_32
.LBB308_23:
	s_or_b64 exec, exec, s[0:1]
	v_cmp_gt_i32_e32 vcc, s8, v0
	s_and_saveexec_b64 s[0:1], vcc
	s_cbranch_execnz .LBB308_33
.LBB308_24:
	s_or_b64 exec, exec, s[0:1]
	v_cmp_gt_i32_e32 vcc, s8, v0
	s_and_saveexec_b64 s[0:1], vcc
	s_cbranch_execnz .LBB308_34
.LBB308_25:
	s_or_b64 exec, exec, s[0:1]
	v_cmp_gt_i32_e32 vcc, s8, v0
	s_and_saveexec_b64 s[0:1], vcc
	s_cbranch_execnz .LBB308_35
.LBB308_26:
	s_or_b64 exec, exec, s[0:1]
	v_cmp_gt_i32_e32 vcc, s8, v0
	s_and_saveexec_b64 s[0:1], vcc
	s_cbranch_execz .LBB308_28
.LBB308_27:
	v_add_u32_e32 v2, s2, v0
	v_mov_b32_e32 v3, 0
	v_lshl_add_u64 v[2:3], v[2:3], 1, s[4:5]
	global_store_short_d16_hi v[2:3], v1, off
.LBB308_28:
	s_endpgm
.LBB308_29:
	v_mov_b32_e32 v3, 0
	v_lshl_add_u64 v[2:3], v[2:3], 1, s[4:5]
	v_mov_b32_e32 v0, v12
	global_store_short v[2:3], v11, off
	s_or_b64 exec, exec, s[0:1]
	v_cmp_gt_i32_e32 vcc, s8, v0
	s_and_saveexec_b64 s[0:1], vcc
	s_cbranch_execz .LBB308_21
.LBB308_30:
	v_add_u32_e32 v2, s2, v0
	v_mov_b32_e32 v3, 0
	v_lshl_add_u64 v[2:3], v[2:3], 1, s[4:5]
	v_add_u32_e32 v0, 0x100, v0
	global_store_short_d16_hi v[2:3], v11, off
	s_or_b64 exec, exec, s[0:1]
	v_cmp_gt_i32_e32 vcc, s8, v0
	s_and_saveexec_b64 s[0:1], vcc
	s_cbranch_execz .LBB308_22
.LBB308_31:
	v_add_u32_e32 v2, s2, v0
	v_mov_b32_e32 v3, 0
	v_lshl_add_u64 v[2:3], v[2:3], 1, s[4:5]
	v_add_u32_e32 v0, 0x100, v0
	global_store_short v[2:3], v5, off
	s_or_b64 exec, exec, s[0:1]
	v_cmp_gt_i32_e32 vcc, s8, v0
	s_and_saveexec_b64 s[0:1], vcc
	s_cbranch_execz .LBB308_23
.LBB308_32:
	v_add_u32_e32 v2, s2, v0
	v_mov_b32_e32 v3, 0
	v_lshl_add_u64 v[2:3], v[2:3], 1, s[4:5]
	v_add_u32_e32 v0, 0x100, v0
	global_store_short_d16_hi v[2:3], v5, off
	s_or_b64 exec, exec, s[0:1]
	v_cmp_gt_i32_e32 vcc, s8, v0
	s_and_saveexec_b64 s[0:1], vcc
	s_cbranch_execz .LBB308_24
.LBB308_33:
	v_add_u32_e32 v2, s2, v0
	v_mov_b32_e32 v3, 0
	v_lshl_add_u64 v[2:3], v[2:3], 1, s[4:5]
	v_add_u32_e32 v0, 0x100, v0
	global_store_short v[2:3], v4, off
	s_or_b64 exec, exec, s[0:1]
	v_cmp_gt_i32_e32 vcc, s8, v0
	s_and_saveexec_b64 s[0:1], vcc
	s_cbranch_execz .LBB308_25
.LBB308_34:
	v_add_u32_e32 v2, s2, v0
	v_mov_b32_e32 v3, 0
	v_lshl_add_u64 v[2:3], v[2:3], 1, s[4:5]
	v_add_u32_e32 v0, 0x100, v0
	global_store_short_d16_hi v[2:3], v4, off
	s_or_b64 exec, exec, s[0:1]
	v_cmp_gt_i32_e32 vcc, s8, v0
	s_and_saveexec_b64 s[0:1], vcc
	s_cbranch_execz .LBB308_26
.LBB308_35:
	v_add_u32_e32 v2, s2, v0
	v_mov_b32_e32 v3, 0
	v_lshl_add_u64 v[2:3], v[2:3], 1, s[4:5]
	v_add_u32_e32 v0, 0x100, v0
	global_store_short v[2:3], v1, off
	s_or_b64 exec, exec, s[0:1]
	v_cmp_gt_i32_e32 vcc, s8, v0
	s_and_saveexec_b64 s[0:1], vcc
	s_cbranch_execnz .LBB308_27
	s_branch .LBB308_28
	.section	.rodata,"a",@progbits
	.p2align	6, 0x0
	.amdhsa_kernel _ZN2at6native29vectorized_elementwise_kernelILi4EZZZNS0_17clamp_kernel_cudaERNS_18TensorIteratorBaseERKN3c106ScalarES7_ENKUlvE_clEvENKUlvE3_clEvEUlsE_St5arrayIPcLm2EEEEviT0_T1_
		.amdhsa_group_segment_fixed_size 0
		.amdhsa_private_segment_fixed_size 0
		.amdhsa_kernarg_size 24
		.amdhsa_user_sgpr_count 2
		.amdhsa_user_sgpr_dispatch_ptr 0
		.amdhsa_user_sgpr_queue_ptr 0
		.amdhsa_user_sgpr_kernarg_segment_ptr 1
		.amdhsa_user_sgpr_dispatch_id 0
		.amdhsa_user_sgpr_kernarg_preload_length 0
		.amdhsa_user_sgpr_kernarg_preload_offset 0
		.amdhsa_user_sgpr_private_segment_size 0
		.amdhsa_uses_dynamic_stack 0
		.amdhsa_enable_private_segment 0
		.amdhsa_system_sgpr_workgroup_id_x 1
		.amdhsa_system_sgpr_workgroup_id_y 0
		.amdhsa_system_sgpr_workgroup_id_z 0
		.amdhsa_system_sgpr_workgroup_info 0
		.amdhsa_system_vgpr_workitem_id 0
		.amdhsa_next_free_vgpr 14
		.amdhsa_next_free_sgpr 12
		.amdhsa_accum_offset 16
		.amdhsa_reserve_vcc 1
		.amdhsa_float_round_mode_32 0
		.amdhsa_float_round_mode_16_64 0
		.amdhsa_float_denorm_mode_32 3
		.amdhsa_float_denorm_mode_16_64 3
		.amdhsa_dx10_clamp 1
		.amdhsa_ieee_mode 1
		.amdhsa_fp16_overflow 0
		.amdhsa_tg_split 0
		.amdhsa_exception_fp_ieee_invalid_op 0
		.amdhsa_exception_fp_denorm_src 0
		.amdhsa_exception_fp_ieee_div_zero 0
		.amdhsa_exception_fp_ieee_overflow 0
		.amdhsa_exception_fp_ieee_underflow 0
		.amdhsa_exception_fp_ieee_inexact 0
		.amdhsa_exception_int_div_zero 0
	.end_amdhsa_kernel
	.section	.text._ZN2at6native29vectorized_elementwise_kernelILi4EZZZNS0_17clamp_kernel_cudaERNS_18TensorIteratorBaseERKN3c106ScalarES7_ENKUlvE_clEvENKUlvE3_clEvEUlsE_St5arrayIPcLm2EEEEviT0_T1_,"axG",@progbits,_ZN2at6native29vectorized_elementwise_kernelILi4EZZZNS0_17clamp_kernel_cudaERNS_18TensorIteratorBaseERKN3c106ScalarES7_ENKUlvE_clEvENKUlvE3_clEvEUlsE_St5arrayIPcLm2EEEEviT0_T1_,comdat
.Lfunc_end308:
	.size	_ZN2at6native29vectorized_elementwise_kernelILi4EZZZNS0_17clamp_kernel_cudaERNS_18TensorIteratorBaseERKN3c106ScalarES7_ENKUlvE_clEvENKUlvE3_clEvEUlsE_St5arrayIPcLm2EEEEviT0_T1_, .Lfunc_end308-_ZN2at6native29vectorized_elementwise_kernelILi4EZZZNS0_17clamp_kernel_cudaERNS_18TensorIteratorBaseERKN3c106ScalarES7_ENKUlvE_clEvENKUlvE3_clEvEUlsE_St5arrayIPcLm2EEEEviT0_T1_
                                        ; -- End function
	.set _ZN2at6native29vectorized_elementwise_kernelILi4EZZZNS0_17clamp_kernel_cudaERNS_18TensorIteratorBaseERKN3c106ScalarES7_ENKUlvE_clEvENKUlvE3_clEvEUlsE_St5arrayIPcLm2EEEEviT0_T1_.num_vgpr, 14
	.set _ZN2at6native29vectorized_elementwise_kernelILi4EZZZNS0_17clamp_kernel_cudaERNS_18TensorIteratorBaseERKN3c106ScalarES7_ENKUlvE_clEvENKUlvE3_clEvEUlsE_St5arrayIPcLm2EEEEviT0_T1_.num_agpr, 0
	.set _ZN2at6native29vectorized_elementwise_kernelILi4EZZZNS0_17clamp_kernel_cudaERNS_18TensorIteratorBaseERKN3c106ScalarES7_ENKUlvE_clEvENKUlvE3_clEvEUlsE_St5arrayIPcLm2EEEEviT0_T1_.numbered_sgpr, 12
	.set _ZN2at6native29vectorized_elementwise_kernelILi4EZZZNS0_17clamp_kernel_cudaERNS_18TensorIteratorBaseERKN3c106ScalarES7_ENKUlvE_clEvENKUlvE3_clEvEUlsE_St5arrayIPcLm2EEEEviT0_T1_.num_named_barrier, 0
	.set _ZN2at6native29vectorized_elementwise_kernelILi4EZZZNS0_17clamp_kernel_cudaERNS_18TensorIteratorBaseERKN3c106ScalarES7_ENKUlvE_clEvENKUlvE3_clEvEUlsE_St5arrayIPcLm2EEEEviT0_T1_.private_seg_size, 0
	.set _ZN2at6native29vectorized_elementwise_kernelILi4EZZZNS0_17clamp_kernel_cudaERNS_18TensorIteratorBaseERKN3c106ScalarES7_ENKUlvE_clEvENKUlvE3_clEvEUlsE_St5arrayIPcLm2EEEEviT0_T1_.uses_vcc, 1
	.set _ZN2at6native29vectorized_elementwise_kernelILi4EZZZNS0_17clamp_kernel_cudaERNS_18TensorIteratorBaseERKN3c106ScalarES7_ENKUlvE_clEvENKUlvE3_clEvEUlsE_St5arrayIPcLm2EEEEviT0_T1_.uses_flat_scratch, 0
	.set _ZN2at6native29vectorized_elementwise_kernelILi4EZZZNS0_17clamp_kernel_cudaERNS_18TensorIteratorBaseERKN3c106ScalarES7_ENKUlvE_clEvENKUlvE3_clEvEUlsE_St5arrayIPcLm2EEEEviT0_T1_.has_dyn_sized_stack, 0
	.set _ZN2at6native29vectorized_elementwise_kernelILi4EZZZNS0_17clamp_kernel_cudaERNS_18TensorIteratorBaseERKN3c106ScalarES7_ENKUlvE_clEvENKUlvE3_clEvEUlsE_St5arrayIPcLm2EEEEviT0_T1_.has_recursion, 0
	.set _ZN2at6native29vectorized_elementwise_kernelILi4EZZZNS0_17clamp_kernel_cudaERNS_18TensorIteratorBaseERKN3c106ScalarES7_ENKUlvE_clEvENKUlvE3_clEvEUlsE_St5arrayIPcLm2EEEEviT0_T1_.has_indirect_call, 0
	.section	.AMDGPU.csdata,"",@progbits
; Kernel info:
; codeLenInByte = 1396
; TotalNumSgprs: 18
; NumVgprs: 14
; NumAgprs: 0
; TotalNumVgprs: 14
; ScratchSize: 0
; MemoryBound: 0
; FloatMode: 240
; IeeeMode: 1
; LDSByteSize: 0 bytes/workgroup (compile time only)
; SGPRBlocks: 2
; VGPRBlocks: 1
; NumSGPRsForWavesPerEU: 18
; NumVGPRsForWavesPerEU: 14
; AccumOffset: 16
; Occupancy: 8
; WaveLimiterHint : 1
; COMPUTE_PGM_RSRC2:SCRATCH_EN: 0
; COMPUTE_PGM_RSRC2:USER_SGPR: 2
; COMPUTE_PGM_RSRC2:TRAP_HANDLER: 0
; COMPUTE_PGM_RSRC2:TGID_X_EN: 1
; COMPUTE_PGM_RSRC2:TGID_Y_EN: 0
; COMPUTE_PGM_RSRC2:TGID_Z_EN: 0
; COMPUTE_PGM_RSRC2:TIDIG_COMP_CNT: 0
; COMPUTE_PGM_RSRC3_GFX90A:ACCUM_OFFSET: 3
; COMPUTE_PGM_RSRC3_GFX90A:TG_SPLIT: 0
	.section	.text._ZN2at6native29vectorized_elementwise_kernelILi2EZZZNS0_17clamp_kernel_cudaERNS_18TensorIteratorBaseERKN3c106ScalarES7_ENKUlvE_clEvENKUlvE3_clEvEUlsE_St5arrayIPcLm2EEEEviT0_T1_,"axG",@progbits,_ZN2at6native29vectorized_elementwise_kernelILi2EZZZNS0_17clamp_kernel_cudaERNS_18TensorIteratorBaseERKN3c106ScalarES7_ENKUlvE_clEvENKUlvE3_clEvEUlsE_St5arrayIPcLm2EEEEviT0_T1_,comdat
	.globl	_ZN2at6native29vectorized_elementwise_kernelILi2EZZZNS0_17clamp_kernel_cudaERNS_18TensorIteratorBaseERKN3c106ScalarES7_ENKUlvE_clEvENKUlvE3_clEvEUlsE_St5arrayIPcLm2EEEEviT0_T1_ ; -- Begin function _ZN2at6native29vectorized_elementwise_kernelILi2EZZZNS0_17clamp_kernel_cudaERNS_18TensorIteratorBaseERKN3c106ScalarES7_ENKUlvE_clEvENKUlvE3_clEvEUlsE_St5arrayIPcLm2EEEEviT0_T1_
	.p2align	8
	.type	_ZN2at6native29vectorized_elementwise_kernelILi2EZZZNS0_17clamp_kernel_cudaERNS_18TensorIteratorBaseERKN3c106ScalarES7_ENKUlvE_clEvENKUlvE3_clEvEUlsE_St5arrayIPcLm2EEEEviT0_T1_,@function
_ZN2at6native29vectorized_elementwise_kernelILi2EZZZNS0_17clamp_kernel_cudaERNS_18TensorIteratorBaseERKN3c106ScalarES7_ENKUlvE_clEvENKUlvE3_clEvEUlsE_St5arrayIPcLm2EEEEviT0_T1_: ; @_ZN2at6native29vectorized_elementwise_kernelILi2EZZZNS0_17clamp_kernel_cudaERNS_18TensorIteratorBaseERKN3c106ScalarES7_ENKUlvE_clEvENKUlvE3_clEvEUlsE_St5arrayIPcLm2EEEEviT0_T1_
; %bb.0:
	s_load_dwordx2 s[8:9], s[0:1], 0x0
	s_load_dwordx4 s[4:7], s[0:1], 0x8
	s_lshl_b32 s2, s2, 11
	s_mov_b64 s[0:1], -1
	s_waitcnt lgkmcnt(0)
	s_sub_i32 s8, s8, s2
	s_cmpk_gt_i32 s8, 0x7ff
	s_cbranch_scc0 .LBB309_2
; %bb.1:
	s_ashr_i32 s3, s2, 31
	s_lshl_b64 s[0:1], s[2:3], 1
	s_add_u32 s10, s6, s0
	s_addc_u32 s11, s7, s1
	v_lshlrev_b32_e32 v1, 2, v0
	global_load_dword v2, v1, s[10:11]
	global_load_dword v3, v1, s[10:11] offset:1024
	global_load_dword v4, v1, s[10:11] offset:2048
	;; [unrolled: 1-line block ×3, first 2 shown]
	s_add_u32 s0, s4, s0
	s_addc_u32 s1, s5, s1
	s_waitcnt vmcnt(3)
	v_pk_max_i16 v2, v2, s9 op_sel_hi:[1,0]
	s_waitcnt vmcnt(2)
	v_pk_max_i16 v3, v3, s9 op_sel_hi:[1,0]
	;; [unrolled: 2-line block ×4, first 2 shown]
	v_pk_min_i16 v2, v2, s9 op_sel:[0,1]
	v_pk_min_i16 v5, v5, s9 op_sel:[0,1]
	;; [unrolled: 1-line block ×4, first 2 shown]
	global_store_dword v1, v2, s[0:1]
	global_store_dword v1, v3, s[0:1] offset:1024
	global_store_dword v1, v4, s[0:1] offset:2048
	;; [unrolled: 1-line block ×3, first 2 shown]
	s_mov_b64 s[0:1], 0
.LBB309_2:
	s_andn2_b64 vcc, exec, s[0:1]
	s_cbranch_vccnz .LBB309_28
; %bb.3:
	v_cmp_gt_i32_e32 vcc, s8, v0
	v_mov_b32_e32 v1, 0
	v_or_b32_e32 v2, s2, v0
	v_mov_b32_e32 v3, 0
	v_mov_b32_e32 v4, v0
	s_and_saveexec_b64 s[0:1], vcc
	s_cbranch_execz .LBB309_5
; %bb.4:
	v_mov_b32_e32 v3, 0
	v_lshl_add_u64 v[4:5], v[2:3], 1, s[6:7]
	global_load_ushort v3, v[4:5], off
	v_or_b32_e32 v4, 0x100, v0
.LBB309_5:
	s_or_b64 exec, exec, s[0:1]
	v_cmp_gt_i32_e64 s[0:1], s8, v4
	s_and_saveexec_b64 s[10:11], s[0:1]
	s_cbranch_execz .LBB309_7
; %bb.6:
	v_add_u32_e32 v6, s2, v4
	v_mov_b32_e32 v7, 0
	v_lshl_add_u64 v[6:7], v[6:7], 1, s[6:7]
	global_load_ushort v1, v[6:7], off
	v_add_u32_e32 v4, 0x100, v4
.LBB309_7:
	s_or_b64 exec, exec, s[10:11]
	v_cmp_gt_i32_e64 s[0:1], s8, v4
	v_mov_b32_e32 v5, 0
	v_mov_b32_e32 v6, 0
	s_and_saveexec_b64 s[10:11], s[0:1]
	s_cbranch_execz .LBB309_9
; %bb.8:
	v_add_u32_e32 v6, s2, v4
	v_mov_b32_e32 v7, 0
	v_lshl_add_u64 v[6:7], v[6:7], 1, s[6:7]
	global_load_ushort v6, v[6:7], off
	v_add_u32_e32 v4, 0x100, v4
.LBB309_9:
	s_or_b64 exec, exec, s[10:11]
	v_cmp_gt_i32_e64 s[0:1], s8, v4
	s_and_saveexec_b64 s[10:11], s[0:1]
	s_cbranch_execz .LBB309_11
; %bb.10:
	v_add_u32_e32 v8, s2, v4
	v_mov_b32_e32 v9, 0
	v_lshl_add_u64 v[8:9], v[8:9], 1, s[6:7]
	global_load_ushort v5, v[8:9], off
	v_add_u32_e32 v4, 0x100, v4
.LBB309_11:
	s_or_b64 exec, exec, s[10:11]
	v_cmp_gt_i32_e64 s[0:1], s8, v4
	v_mov_b32_e32 v7, 0
	v_mov_b32_e32 v8, 0
	s_and_saveexec_b64 s[10:11], s[0:1]
	s_cbranch_execz .LBB309_13
; %bb.12:
	v_add_u32_e32 v8, s2, v4
	v_mov_b32_e32 v9, 0
	v_lshl_add_u64 v[8:9], v[8:9], 1, s[6:7]
	global_load_ushort v8, v[8:9], off
	v_add_u32_e32 v4, 0x100, v4
.LBB309_13:
	;; [unrolled: 24-line block ×3, first 2 shown]
	s_or_b64 exec, exec, s[10:11]
	v_cmp_gt_i32_e64 s[0:1], s8, v4
	s_and_saveexec_b64 s[10:11], s[0:1]
	s_cbranch_execz .LBB309_19
; %bb.18:
	v_add_u32_e32 v12, s2, v4
	v_mov_b32_e32 v13, 0
	v_lshl_add_u64 v[12:13], v[12:13], 1, s[6:7]
	global_load_ushort v9, v[12:13], off
.LBB309_19:
	s_or_b64 exec, exec, s[10:11]
	s_lshr_b32 s3, s9, 16
	s_waitcnt vmcnt(0)
	v_max_i16_e32 v3, s9, v3
	v_min_i16_e32 v3, s3, v3
	v_max_i16_e32 v1, s9, v1
	v_cndmask_b32_e32 v3, 0, v3, vcc
	v_or_b32_e32 v12, 0x100, v0
	v_min_i16_e32 v1, s3, v1
	s_mov_b32 s6, 0x5040100
	v_perm_b32 v1, v1, v3, s6
	v_cmp_gt_i32_e64 s[0:1], s8, v12
	v_max_i16_e32 v4, s9, v5
	v_min_i16_e32 v4, s3, v4
	v_cndmask_b32_e64 v11, v3, v1, s[0:1]
	v_or_b32_e32 v1, 0x200, v0
	v_max_i16_e32 v3, s9, v6
	v_min_i16_e32 v3, s3, v3
	v_cmp_gt_i32_e64 s[0:1], s8, v1
	v_max_i16_e32 v6, s9, v9
	v_min_i16_e32 v6, s3, v6
	v_cndmask_b32_e64 v1, 0, v3, s[0:1]
	v_or_b32_e32 v3, 0x300, v0
	v_perm_b32 v4, v4, v1, s6
	v_cmp_gt_i32_e64 s[0:1], s8, v3
	v_max_i16_e32 v3, s9, v8
	v_min_i16_e32 v3, s3, v3
	v_cndmask_b32_e64 v5, v1, v4, s[0:1]
	v_or_b32_e32 v1, 0x400, v0
	v_cmp_gt_i32_e64 s[0:1], s8, v1
	v_max_i16_e32 v4, s9, v7
	v_min_i16_e32 v4, s3, v4
	v_cndmask_b32_e64 v1, 0, v3, s[0:1]
	v_or_b32_e32 v3, 0x500, v0
	v_perm_b32 v4, v4, v1, s6
	v_cmp_gt_i32_e64 s[0:1], s8, v3
	v_max_i16_e32 v3, s9, v10
	v_min_i16_e32 v3, s3, v3
	v_cndmask_b32_e64 v4, v1, v4, s[0:1]
	v_or_b32_e32 v1, 0x600, v0
	v_cmp_gt_i32_e64 s[0:1], s8, v1
	s_nop 1
	v_cndmask_b32_e64 v1, 0, v3, s[0:1]
	v_or_b32_e32 v3, 0x700, v0
	v_perm_b32 v6, v6, v1, s6
	v_cmp_gt_i32_e64 s[0:1], s8, v3
	s_nop 1
	v_cndmask_b32_e64 v1, v1, v6, s[0:1]
	s_and_saveexec_b64 s[0:1], vcc
	s_cbranch_execnz .LBB309_29
; %bb.20:
	s_or_b64 exec, exec, s[0:1]
	v_cmp_gt_i32_e32 vcc, s8, v0
	s_and_saveexec_b64 s[0:1], vcc
	s_cbranch_execnz .LBB309_30
.LBB309_21:
	s_or_b64 exec, exec, s[0:1]
	v_cmp_gt_i32_e32 vcc, s8, v0
	s_and_saveexec_b64 s[0:1], vcc
	s_cbranch_execnz .LBB309_31
.LBB309_22:
	s_or_b64 exec, exec, s[0:1]
	v_cmp_gt_i32_e32 vcc, s8, v0
	s_and_saveexec_b64 s[0:1], vcc
	s_cbranch_execnz .LBB309_32
.LBB309_23:
	s_or_b64 exec, exec, s[0:1]
	v_cmp_gt_i32_e32 vcc, s8, v0
	s_and_saveexec_b64 s[0:1], vcc
	s_cbranch_execnz .LBB309_33
.LBB309_24:
	s_or_b64 exec, exec, s[0:1]
	v_cmp_gt_i32_e32 vcc, s8, v0
	s_and_saveexec_b64 s[0:1], vcc
	s_cbranch_execnz .LBB309_34
.LBB309_25:
	s_or_b64 exec, exec, s[0:1]
	v_cmp_gt_i32_e32 vcc, s8, v0
	s_and_saveexec_b64 s[0:1], vcc
	s_cbranch_execnz .LBB309_35
.LBB309_26:
	s_or_b64 exec, exec, s[0:1]
	v_cmp_gt_i32_e32 vcc, s8, v0
	s_and_saveexec_b64 s[0:1], vcc
	s_cbranch_execz .LBB309_28
.LBB309_27:
	v_add_u32_e32 v2, s2, v0
	v_mov_b32_e32 v3, 0
	v_lshl_add_u64 v[2:3], v[2:3], 1, s[4:5]
	global_store_short_d16_hi v[2:3], v1, off
.LBB309_28:
	s_endpgm
.LBB309_29:
	v_mov_b32_e32 v3, 0
	v_lshl_add_u64 v[2:3], v[2:3], 1, s[4:5]
	v_mov_b32_e32 v0, v12
	global_store_short v[2:3], v11, off
	s_or_b64 exec, exec, s[0:1]
	v_cmp_gt_i32_e32 vcc, s8, v0
	s_and_saveexec_b64 s[0:1], vcc
	s_cbranch_execz .LBB309_21
.LBB309_30:
	v_add_u32_e32 v2, s2, v0
	v_mov_b32_e32 v3, 0
	v_lshl_add_u64 v[2:3], v[2:3], 1, s[4:5]
	v_add_u32_e32 v0, 0x100, v0
	global_store_short_d16_hi v[2:3], v11, off
	s_or_b64 exec, exec, s[0:1]
	v_cmp_gt_i32_e32 vcc, s8, v0
	s_and_saveexec_b64 s[0:1], vcc
	s_cbranch_execz .LBB309_22
.LBB309_31:
	v_add_u32_e32 v2, s2, v0
	v_mov_b32_e32 v3, 0
	v_lshl_add_u64 v[2:3], v[2:3], 1, s[4:5]
	v_add_u32_e32 v0, 0x100, v0
	global_store_short v[2:3], v5, off
	s_or_b64 exec, exec, s[0:1]
	v_cmp_gt_i32_e32 vcc, s8, v0
	s_and_saveexec_b64 s[0:1], vcc
	s_cbranch_execz .LBB309_23
.LBB309_32:
	v_add_u32_e32 v2, s2, v0
	v_mov_b32_e32 v3, 0
	v_lshl_add_u64 v[2:3], v[2:3], 1, s[4:5]
	v_add_u32_e32 v0, 0x100, v0
	global_store_short_d16_hi v[2:3], v5, off
	s_or_b64 exec, exec, s[0:1]
	v_cmp_gt_i32_e32 vcc, s8, v0
	s_and_saveexec_b64 s[0:1], vcc
	s_cbranch_execz .LBB309_24
.LBB309_33:
	v_add_u32_e32 v2, s2, v0
	v_mov_b32_e32 v3, 0
	v_lshl_add_u64 v[2:3], v[2:3], 1, s[4:5]
	v_add_u32_e32 v0, 0x100, v0
	global_store_short v[2:3], v4, off
	s_or_b64 exec, exec, s[0:1]
	v_cmp_gt_i32_e32 vcc, s8, v0
	s_and_saveexec_b64 s[0:1], vcc
	s_cbranch_execz .LBB309_25
.LBB309_34:
	v_add_u32_e32 v2, s2, v0
	v_mov_b32_e32 v3, 0
	v_lshl_add_u64 v[2:3], v[2:3], 1, s[4:5]
	v_add_u32_e32 v0, 0x100, v0
	global_store_short_d16_hi v[2:3], v4, off
	s_or_b64 exec, exec, s[0:1]
	v_cmp_gt_i32_e32 vcc, s8, v0
	s_and_saveexec_b64 s[0:1], vcc
	s_cbranch_execz .LBB309_26
.LBB309_35:
	v_add_u32_e32 v2, s2, v0
	v_mov_b32_e32 v3, 0
	v_lshl_add_u64 v[2:3], v[2:3], 1, s[4:5]
	v_add_u32_e32 v0, 0x100, v0
	global_store_short v[2:3], v1, off
	s_or_b64 exec, exec, s[0:1]
	v_cmp_gt_i32_e32 vcc, s8, v0
	s_and_saveexec_b64 s[0:1], vcc
	s_cbranch_execnz .LBB309_27
	s_branch .LBB309_28
	.section	.rodata,"a",@progbits
	.p2align	6, 0x0
	.amdhsa_kernel _ZN2at6native29vectorized_elementwise_kernelILi2EZZZNS0_17clamp_kernel_cudaERNS_18TensorIteratorBaseERKN3c106ScalarES7_ENKUlvE_clEvENKUlvE3_clEvEUlsE_St5arrayIPcLm2EEEEviT0_T1_
		.amdhsa_group_segment_fixed_size 0
		.amdhsa_private_segment_fixed_size 0
		.amdhsa_kernarg_size 24
		.amdhsa_user_sgpr_count 2
		.amdhsa_user_sgpr_dispatch_ptr 0
		.amdhsa_user_sgpr_queue_ptr 0
		.amdhsa_user_sgpr_kernarg_segment_ptr 1
		.amdhsa_user_sgpr_dispatch_id 0
		.amdhsa_user_sgpr_kernarg_preload_length 0
		.amdhsa_user_sgpr_kernarg_preload_offset 0
		.amdhsa_user_sgpr_private_segment_size 0
		.amdhsa_uses_dynamic_stack 0
		.amdhsa_enable_private_segment 0
		.amdhsa_system_sgpr_workgroup_id_x 1
		.amdhsa_system_sgpr_workgroup_id_y 0
		.amdhsa_system_sgpr_workgroup_id_z 0
		.amdhsa_system_sgpr_workgroup_info 0
		.amdhsa_system_vgpr_workitem_id 0
		.amdhsa_next_free_vgpr 14
		.amdhsa_next_free_sgpr 12
		.amdhsa_accum_offset 16
		.amdhsa_reserve_vcc 1
		.amdhsa_float_round_mode_32 0
		.amdhsa_float_round_mode_16_64 0
		.amdhsa_float_denorm_mode_32 3
		.amdhsa_float_denorm_mode_16_64 3
		.amdhsa_dx10_clamp 1
		.amdhsa_ieee_mode 1
		.amdhsa_fp16_overflow 0
		.amdhsa_tg_split 0
		.amdhsa_exception_fp_ieee_invalid_op 0
		.amdhsa_exception_fp_denorm_src 0
		.amdhsa_exception_fp_ieee_div_zero 0
		.amdhsa_exception_fp_ieee_overflow 0
		.amdhsa_exception_fp_ieee_underflow 0
		.amdhsa_exception_fp_ieee_inexact 0
		.amdhsa_exception_int_div_zero 0
	.end_amdhsa_kernel
	.section	.text._ZN2at6native29vectorized_elementwise_kernelILi2EZZZNS0_17clamp_kernel_cudaERNS_18TensorIteratorBaseERKN3c106ScalarES7_ENKUlvE_clEvENKUlvE3_clEvEUlsE_St5arrayIPcLm2EEEEviT0_T1_,"axG",@progbits,_ZN2at6native29vectorized_elementwise_kernelILi2EZZZNS0_17clamp_kernel_cudaERNS_18TensorIteratorBaseERKN3c106ScalarES7_ENKUlvE_clEvENKUlvE3_clEvEUlsE_St5arrayIPcLm2EEEEviT0_T1_,comdat
.Lfunc_end309:
	.size	_ZN2at6native29vectorized_elementwise_kernelILi2EZZZNS0_17clamp_kernel_cudaERNS_18TensorIteratorBaseERKN3c106ScalarES7_ENKUlvE_clEvENKUlvE3_clEvEUlsE_St5arrayIPcLm2EEEEviT0_T1_, .Lfunc_end309-_ZN2at6native29vectorized_elementwise_kernelILi2EZZZNS0_17clamp_kernel_cudaERNS_18TensorIteratorBaseERKN3c106ScalarES7_ENKUlvE_clEvENKUlvE3_clEvEUlsE_St5arrayIPcLm2EEEEviT0_T1_
                                        ; -- End function
	.set _ZN2at6native29vectorized_elementwise_kernelILi2EZZZNS0_17clamp_kernel_cudaERNS_18TensorIteratorBaseERKN3c106ScalarES7_ENKUlvE_clEvENKUlvE3_clEvEUlsE_St5arrayIPcLm2EEEEviT0_T1_.num_vgpr, 14
	.set _ZN2at6native29vectorized_elementwise_kernelILi2EZZZNS0_17clamp_kernel_cudaERNS_18TensorIteratorBaseERKN3c106ScalarES7_ENKUlvE_clEvENKUlvE3_clEvEUlsE_St5arrayIPcLm2EEEEviT0_T1_.num_agpr, 0
	.set _ZN2at6native29vectorized_elementwise_kernelILi2EZZZNS0_17clamp_kernel_cudaERNS_18TensorIteratorBaseERKN3c106ScalarES7_ENKUlvE_clEvENKUlvE3_clEvEUlsE_St5arrayIPcLm2EEEEviT0_T1_.numbered_sgpr, 12
	.set _ZN2at6native29vectorized_elementwise_kernelILi2EZZZNS0_17clamp_kernel_cudaERNS_18TensorIteratorBaseERKN3c106ScalarES7_ENKUlvE_clEvENKUlvE3_clEvEUlsE_St5arrayIPcLm2EEEEviT0_T1_.num_named_barrier, 0
	.set _ZN2at6native29vectorized_elementwise_kernelILi2EZZZNS0_17clamp_kernel_cudaERNS_18TensorIteratorBaseERKN3c106ScalarES7_ENKUlvE_clEvENKUlvE3_clEvEUlsE_St5arrayIPcLm2EEEEviT0_T1_.private_seg_size, 0
	.set _ZN2at6native29vectorized_elementwise_kernelILi2EZZZNS0_17clamp_kernel_cudaERNS_18TensorIteratorBaseERKN3c106ScalarES7_ENKUlvE_clEvENKUlvE3_clEvEUlsE_St5arrayIPcLm2EEEEviT0_T1_.uses_vcc, 1
	.set _ZN2at6native29vectorized_elementwise_kernelILi2EZZZNS0_17clamp_kernel_cudaERNS_18TensorIteratorBaseERKN3c106ScalarES7_ENKUlvE_clEvENKUlvE3_clEvEUlsE_St5arrayIPcLm2EEEEviT0_T1_.uses_flat_scratch, 0
	.set _ZN2at6native29vectorized_elementwise_kernelILi2EZZZNS0_17clamp_kernel_cudaERNS_18TensorIteratorBaseERKN3c106ScalarES7_ENKUlvE_clEvENKUlvE3_clEvEUlsE_St5arrayIPcLm2EEEEviT0_T1_.has_dyn_sized_stack, 0
	.set _ZN2at6native29vectorized_elementwise_kernelILi2EZZZNS0_17clamp_kernel_cudaERNS_18TensorIteratorBaseERKN3c106ScalarES7_ENKUlvE_clEvENKUlvE3_clEvEUlsE_St5arrayIPcLm2EEEEviT0_T1_.has_recursion, 0
	.set _ZN2at6native29vectorized_elementwise_kernelILi2EZZZNS0_17clamp_kernel_cudaERNS_18TensorIteratorBaseERKN3c106ScalarES7_ENKUlvE_clEvENKUlvE3_clEvEUlsE_St5arrayIPcLm2EEEEviT0_T1_.has_indirect_call, 0
	.section	.AMDGPU.csdata,"",@progbits
; Kernel info:
; codeLenInByte = 1436
; TotalNumSgprs: 18
; NumVgprs: 14
; NumAgprs: 0
; TotalNumVgprs: 14
; ScratchSize: 0
; MemoryBound: 0
; FloatMode: 240
; IeeeMode: 1
; LDSByteSize: 0 bytes/workgroup (compile time only)
; SGPRBlocks: 2
; VGPRBlocks: 1
; NumSGPRsForWavesPerEU: 18
; NumVGPRsForWavesPerEU: 14
; AccumOffset: 16
; Occupancy: 8
; WaveLimiterHint : 1
; COMPUTE_PGM_RSRC2:SCRATCH_EN: 0
; COMPUTE_PGM_RSRC2:USER_SGPR: 2
; COMPUTE_PGM_RSRC2:TRAP_HANDLER: 0
; COMPUTE_PGM_RSRC2:TGID_X_EN: 1
; COMPUTE_PGM_RSRC2:TGID_Y_EN: 0
; COMPUTE_PGM_RSRC2:TGID_Z_EN: 0
; COMPUTE_PGM_RSRC2:TIDIG_COMP_CNT: 0
; COMPUTE_PGM_RSRC3_GFX90A:ACCUM_OFFSET: 3
; COMPUTE_PGM_RSRC3_GFX90A:TG_SPLIT: 0
	.section	.text._ZN2at6native27unrolled_elementwise_kernelIZZZNS0_17clamp_kernel_cudaERNS_18TensorIteratorBaseERKN3c106ScalarES7_ENKUlvE_clEvENKUlvE3_clEvEUlsE_St5arrayIPcLm2EELi4E23TrivialOffsetCalculatorILi1EjESF_NS0_6memory15LoadWithoutCastENSG_16StoreWithoutCastEEEviT_T0_T2_T3_T4_T5_,"axG",@progbits,_ZN2at6native27unrolled_elementwise_kernelIZZZNS0_17clamp_kernel_cudaERNS_18TensorIteratorBaseERKN3c106ScalarES7_ENKUlvE_clEvENKUlvE3_clEvEUlsE_St5arrayIPcLm2EELi4E23TrivialOffsetCalculatorILi1EjESF_NS0_6memory15LoadWithoutCastENSG_16StoreWithoutCastEEEviT_T0_T2_T3_T4_T5_,comdat
	.globl	_ZN2at6native27unrolled_elementwise_kernelIZZZNS0_17clamp_kernel_cudaERNS_18TensorIteratorBaseERKN3c106ScalarES7_ENKUlvE_clEvENKUlvE3_clEvEUlsE_St5arrayIPcLm2EELi4E23TrivialOffsetCalculatorILi1EjESF_NS0_6memory15LoadWithoutCastENSG_16StoreWithoutCastEEEviT_T0_T2_T3_T4_T5_ ; -- Begin function _ZN2at6native27unrolled_elementwise_kernelIZZZNS0_17clamp_kernel_cudaERNS_18TensorIteratorBaseERKN3c106ScalarES7_ENKUlvE_clEvENKUlvE3_clEvEUlsE_St5arrayIPcLm2EELi4E23TrivialOffsetCalculatorILi1EjESF_NS0_6memory15LoadWithoutCastENSG_16StoreWithoutCastEEEviT_T0_T2_T3_T4_T5_
	.p2align	8
	.type	_ZN2at6native27unrolled_elementwise_kernelIZZZNS0_17clamp_kernel_cudaERNS_18TensorIteratorBaseERKN3c106ScalarES7_ENKUlvE_clEvENKUlvE3_clEvEUlsE_St5arrayIPcLm2EELi4E23TrivialOffsetCalculatorILi1EjESF_NS0_6memory15LoadWithoutCastENSG_16StoreWithoutCastEEEviT_T0_T2_T3_T4_T5_,@function
_ZN2at6native27unrolled_elementwise_kernelIZZZNS0_17clamp_kernel_cudaERNS_18TensorIteratorBaseERKN3c106ScalarES7_ENKUlvE_clEvENKUlvE3_clEvEUlsE_St5arrayIPcLm2EELi4E23TrivialOffsetCalculatorILi1EjESF_NS0_6memory15LoadWithoutCastENSG_16StoreWithoutCastEEEviT_T0_T2_T3_T4_T5_: ; @_ZN2at6native27unrolled_elementwise_kernelIZZZNS0_17clamp_kernel_cudaERNS_18TensorIteratorBaseERKN3c106ScalarES7_ENKUlvE_clEvENKUlvE3_clEvEUlsE_St5arrayIPcLm2EELi4E23TrivialOffsetCalculatorILi1EjESF_NS0_6memory15LoadWithoutCastENSG_16StoreWithoutCastEEEviT_T0_T2_T3_T4_T5_
; %bb.0:
	s_load_dwordx2 s[8:9], s[0:1], 0x0
	s_load_dwordx4 s[4:7], s[0:1], 0x8
	s_lshl_b32 s10, s2, 10
	v_mov_b32_e32 v1, 0
	v_or_b32_e32 v2, s10, v0
	s_waitcnt lgkmcnt(0)
	s_sub_i32 s8, s8, s10
	v_cmp_gt_i32_e32 vcc, s8, v0
	v_mov_b32_e32 v3, 0
	v_mov_b32_e32 v4, v0
	s_and_saveexec_b64 s[0:1], vcc
	s_cbranch_execz .LBB310_2
; %bb.1:
	v_mov_b32_e32 v3, 0
	v_lshl_add_u64 v[4:5], v[2:3], 1, s[6:7]
	global_load_ushort v3, v[4:5], off
	v_or_b32_e32 v4, 0x100, v0
.LBB310_2:
	s_or_b64 exec, exec, s[0:1]
	v_cmp_gt_i32_e64 s[0:1], s8, v4
	s_and_saveexec_b64 s[2:3], s[0:1]
	s_cbranch_execz .LBB310_4
; %bb.3:
	v_add_u32_e32 v6, s10, v4
	v_mov_b32_e32 v7, 0
	v_lshl_add_u64 v[6:7], v[6:7], 1, s[6:7]
	global_load_ushort v1, v[6:7], off
	v_add_u32_e32 v4, 0x100, v4
.LBB310_4:
	s_or_b64 exec, exec, s[2:3]
	v_cmp_gt_i32_e64 s[0:1], s8, v4
	v_mov_b32_e32 v5, 0
	v_mov_b32_e32 v6, 0
	s_and_saveexec_b64 s[2:3], s[0:1]
	s_cbranch_execz .LBB310_6
; %bb.5:
	v_add_u32_e32 v6, s10, v4
	v_mov_b32_e32 v7, 0
	v_lshl_add_u64 v[6:7], v[6:7], 1, s[6:7]
	global_load_ushort v6, v[6:7], off
	v_add_u32_e32 v4, 0x100, v4
.LBB310_6:
	s_or_b64 exec, exec, s[2:3]
	v_cmp_gt_i32_e64 s[0:1], s8, v4
	s_and_saveexec_b64 s[2:3], s[0:1]
	s_cbranch_execz .LBB310_8
; %bb.7:
	v_add_u32_e32 v4, s10, v4
	v_mov_b32_e32 v5, 0
	v_lshl_add_u64 v[4:5], v[4:5], 1, s[6:7]
	global_load_ushort v5, v[4:5], off
.LBB310_8:
	s_or_b64 exec, exec, s[2:3]
	s_lshr_b32 s2, s9, 16
	s_waitcnt vmcnt(0)
	v_max_i16_e32 v3, s9, v3
	v_min_i16_e32 v3, s2, v3
	v_max_i16_e32 v1, s9, v1
	v_cndmask_b32_e32 v3, 0, v3, vcc
	v_or_b32_e32 v7, 0x100, v0
	v_min_i16_e32 v1, s2, v1
	s_mov_b32 s3, 0x5040100
	v_perm_b32 v1, v1, v3, s3
	v_cmp_gt_i32_e64 s[0:1], s8, v7
	v_max_i16_e32 v5, s9, v5
	v_min_i16_e32 v5, s2, v5
	v_cndmask_b32_e64 v4, v3, v1, s[0:1]
	v_or_b32_e32 v1, 0x200, v0
	v_max_i16_e32 v3, s9, v6
	v_min_i16_e32 v3, s2, v3
	v_cmp_gt_i32_e64 s[0:1], s8, v1
	s_nop 1
	v_cndmask_b32_e64 v1, 0, v3, s[0:1]
	v_or_b32_e32 v3, 0x300, v0
	v_perm_b32 v5, v5, v1, s3
	v_cmp_gt_i32_e64 s[0:1], s8, v3
	s_nop 1
	v_cndmask_b32_e64 v1, v1, v5, s[0:1]
	s_and_saveexec_b64 s[0:1], vcc
	s_cbranch_execnz .LBB310_13
; %bb.9:
	s_or_b64 exec, exec, s[0:1]
	v_cmp_gt_i32_e32 vcc, s8, v0
	s_and_saveexec_b64 s[0:1], vcc
	s_cbranch_execnz .LBB310_14
.LBB310_10:
	s_or_b64 exec, exec, s[0:1]
	v_cmp_gt_i32_e32 vcc, s8, v0
	s_and_saveexec_b64 s[0:1], vcc
	s_cbranch_execnz .LBB310_15
.LBB310_11:
	s_or_b64 exec, exec, s[0:1]
	v_cmp_gt_i32_e32 vcc, s8, v0
	s_and_saveexec_b64 s[0:1], vcc
	s_cbranch_execnz .LBB310_16
.LBB310_12:
	s_endpgm
.LBB310_13:
	v_mov_b32_e32 v3, 0
	v_lshl_add_u64 v[2:3], v[2:3], 1, s[4:5]
	v_mov_b32_e32 v0, v7
	global_store_short v[2:3], v4, off
	s_or_b64 exec, exec, s[0:1]
	v_cmp_gt_i32_e32 vcc, s8, v0
	s_and_saveexec_b64 s[0:1], vcc
	s_cbranch_execz .LBB310_10
.LBB310_14:
	v_add_u32_e32 v5, 0x100, v0
	v_add_u32_e32 v2, s10, v0
	v_mov_b32_e32 v3, 0
	v_lshl_add_u64 v[2:3], v[2:3], 1, s[4:5]
	v_mov_b32_e32 v0, v5
	global_store_short_d16_hi v[2:3], v4, off
	s_or_b64 exec, exec, s[0:1]
	v_cmp_gt_i32_e32 vcc, s8, v0
	s_and_saveexec_b64 s[0:1], vcc
	s_cbranch_execz .LBB310_11
.LBB310_15:
	v_add_u32_e32 v4, 0x100, v0
	v_add_u32_e32 v2, s10, v0
	v_mov_b32_e32 v3, 0
	v_lshl_add_u64 v[2:3], v[2:3], 1, s[4:5]
	v_mov_b32_e32 v0, v4
	global_store_short v[2:3], v1, off
	s_or_b64 exec, exec, s[0:1]
	v_cmp_gt_i32_e32 vcc, s8, v0
	s_and_saveexec_b64 s[0:1], vcc
	s_cbranch_execz .LBB310_12
.LBB310_16:
	v_add_u32_e32 v2, s10, v0
	v_mov_b32_e32 v3, 0
	v_lshl_add_u64 v[2:3], v[2:3], 1, s[4:5]
	global_store_short_d16_hi v[2:3], v1, off
	s_endpgm
	.section	.rodata,"a",@progbits
	.p2align	6, 0x0
	.amdhsa_kernel _ZN2at6native27unrolled_elementwise_kernelIZZZNS0_17clamp_kernel_cudaERNS_18TensorIteratorBaseERKN3c106ScalarES7_ENKUlvE_clEvENKUlvE3_clEvEUlsE_St5arrayIPcLm2EELi4E23TrivialOffsetCalculatorILi1EjESF_NS0_6memory15LoadWithoutCastENSG_16StoreWithoutCastEEEviT_T0_T2_T3_T4_T5_
		.amdhsa_group_segment_fixed_size 0
		.amdhsa_private_segment_fixed_size 0
		.amdhsa_kernarg_size 28
		.amdhsa_user_sgpr_count 2
		.amdhsa_user_sgpr_dispatch_ptr 0
		.amdhsa_user_sgpr_queue_ptr 0
		.amdhsa_user_sgpr_kernarg_segment_ptr 1
		.amdhsa_user_sgpr_dispatch_id 0
		.amdhsa_user_sgpr_kernarg_preload_length 0
		.amdhsa_user_sgpr_kernarg_preload_offset 0
		.amdhsa_user_sgpr_private_segment_size 0
		.amdhsa_uses_dynamic_stack 0
		.amdhsa_enable_private_segment 0
		.amdhsa_system_sgpr_workgroup_id_x 1
		.amdhsa_system_sgpr_workgroup_id_y 0
		.amdhsa_system_sgpr_workgroup_id_z 0
		.amdhsa_system_sgpr_workgroup_info 0
		.amdhsa_system_vgpr_workitem_id 0
		.amdhsa_next_free_vgpr 8
		.amdhsa_next_free_sgpr 11
		.amdhsa_accum_offset 8
		.amdhsa_reserve_vcc 1
		.amdhsa_float_round_mode_32 0
		.amdhsa_float_round_mode_16_64 0
		.amdhsa_float_denorm_mode_32 3
		.amdhsa_float_denorm_mode_16_64 3
		.amdhsa_dx10_clamp 1
		.amdhsa_ieee_mode 1
		.amdhsa_fp16_overflow 0
		.amdhsa_tg_split 0
		.amdhsa_exception_fp_ieee_invalid_op 0
		.amdhsa_exception_fp_denorm_src 0
		.amdhsa_exception_fp_ieee_div_zero 0
		.amdhsa_exception_fp_ieee_overflow 0
		.amdhsa_exception_fp_ieee_underflow 0
		.amdhsa_exception_fp_ieee_inexact 0
		.amdhsa_exception_int_div_zero 0
	.end_amdhsa_kernel
	.section	.text._ZN2at6native27unrolled_elementwise_kernelIZZZNS0_17clamp_kernel_cudaERNS_18TensorIteratorBaseERKN3c106ScalarES7_ENKUlvE_clEvENKUlvE3_clEvEUlsE_St5arrayIPcLm2EELi4E23TrivialOffsetCalculatorILi1EjESF_NS0_6memory15LoadWithoutCastENSG_16StoreWithoutCastEEEviT_T0_T2_T3_T4_T5_,"axG",@progbits,_ZN2at6native27unrolled_elementwise_kernelIZZZNS0_17clamp_kernel_cudaERNS_18TensorIteratorBaseERKN3c106ScalarES7_ENKUlvE_clEvENKUlvE3_clEvEUlsE_St5arrayIPcLm2EELi4E23TrivialOffsetCalculatorILi1EjESF_NS0_6memory15LoadWithoutCastENSG_16StoreWithoutCastEEEviT_T0_T2_T3_T4_T5_,comdat
.Lfunc_end310:
	.size	_ZN2at6native27unrolled_elementwise_kernelIZZZNS0_17clamp_kernel_cudaERNS_18TensorIteratorBaseERKN3c106ScalarES7_ENKUlvE_clEvENKUlvE3_clEvEUlsE_St5arrayIPcLm2EELi4E23TrivialOffsetCalculatorILi1EjESF_NS0_6memory15LoadWithoutCastENSG_16StoreWithoutCastEEEviT_T0_T2_T3_T4_T5_, .Lfunc_end310-_ZN2at6native27unrolled_elementwise_kernelIZZZNS0_17clamp_kernel_cudaERNS_18TensorIteratorBaseERKN3c106ScalarES7_ENKUlvE_clEvENKUlvE3_clEvEUlsE_St5arrayIPcLm2EELi4E23TrivialOffsetCalculatorILi1EjESF_NS0_6memory15LoadWithoutCastENSG_16StoreWithoutCastEEEviT_T0_T2_T3_T4_T5_
                                        ; -- End function
	.set _ZN2at6native27unrolled_elementwise_kernelIZZZNS0_17clamp_kernel_cudaERNS_18TensorIteratorBaseERKN3c106ScalarES7_ENKUlvE_clEvENKUlvE3_clEvEUlsE_St5arrayIPcLm2EELi4E23TrivialOffsetCalculatorILi1EjESF_NS0_6memory15LoadWithoutCastENSG_16StoreWithoutCastEEEviT_T0_T2_T3_T4_T5_.num_vgpr, 8
	.set _ZN2at6native27unrolled_elementwise_kernelIZZZNS0_17clamp_kernel_cudaERNS_18TensorIteratorBaseERKN3c106ScalarES7_ENKUlvE_clEvENKUlvE3_clEvEUlsE_St5arrayIPcLm2EELi4E23TrivialOffsetCalculatorILi1EjESF_NS0_6memory15LoadWithoutCastENSG_16StoreWithoutCastEEEviT_T0_T2_T3_T4_T5_.num_agpr, 0
	.set _ZN2at6native27unrolled_elementwise_kernelIZZZNS0_17clamp_kernel_cudaERNS_18TensorIteratorBaseERKN3c106ScalarES7_ENKUlvE_clEvENKUlvE3_clEvEUlsE_St5arrayIPcLm2EELi4E23TrivialOffsetCalculatorILi1EjESF_NS0_6memory15LoadWithoutCastENSG_16StoreWithoutCastEEEviT_T0_T2_T3_T4_T5_.numbered_sgpr, 11
	.set _ZN2at6native27unrolled_elementwise_kernelIZZZNS0_17clamp_kernel_cudaERNS_18TensorIteratorBaseERKN3c106ScalarES7_ENKUlvE_clEvENKUlvE3_clEvEUlsE_St5arrayIPcLm2EELi4E23TrivialOffsetCalculatorILi1EjESF_NS0_6memory15LoadWithoutCastENSG_16StoreWithoutCastEEEviT_T0_T2_T3_T4_T5_.num_named_barrier, 0
	.set _ZN2at6native27unrolled_elementwise_kernelIZZZNS0_17clamp_kernel_cudaERNS_18TensorIteratorBaseERKN3c106ScalarES7_ENKUlvE_clEvENKUlvE3_clEvEUlsE_St5arrayIPcLm2EELi4E23TrivialOffsetCalculatorILi1EjESF_NS0_6memory15LoadWithoutCastENSG_16StoreWithoutCastEEEviT_T0_T2_T3_T4_T5_.private_seg_size, 0
	.set _ZN2at6native27unrolled_elementwise_kernelIZZZNS0_17clamp_kernel_cudaERNS_18TensorIteratorBaseERKN3c106ScalarES7_ENKUlvE_clEvENKUlvE3_clEvEUlsE_St5arrayIPcLm2EELi4E23TrivialOffsetCalculatorILi1EjESF_NS0_6memory15LoadWithoutCastENSG_16StoreWithoutCastEEEviT_T0_T2_T3_T4_T5_.uses_vcc, 1
	.set _ZN2at6native27unrolled_elementwise_kernelIZZZNS0_17clamp_kernel_cudaERNS_18TensorIteratorBaseERKN3c106ScalarES7_ENKUlvE_clEvENKUlvE3_clEvEUlsE_St5arrayIPcLm2EELi4E23TrivialOffsetCalculatorILi1EjESF_NS0_6memory15LoadWithoutCastENSG_16StoreWithoutCastEEEviT_T0_T2_T3_T4_T5_.uses_flat_scratch, 0
	.set _ZN2at6native27unrolled_elementwise_kernelIZZZNS0_17clamp_kernel_cudaERNS_18TensorIteratorBaseERKN3c106ScalarES7_ENKUlvE_clEvENKUlvE3_clEvEUlsE_St5arrayIPcLm2EELi4E23TrivialOffsetCalculatorILi1EjESF_NS0_6memory15LoadWithoutCastENSG_16StoreWithoutCastEEEviT_T0_T2_T3_T4_T5_.has_dyn_sized_stack, 0
	.set _ZN2at6native27unrolled_elementwise_kernelIZZZNS0_17clamp_kernel_cudaERNS_18TensorIteratorBaseERKN3c106ScalarES7_ENKUlvE_clEvENKUlvE3_clEvEUlsE_St5arrayIPcLm2EELi4E23TrivialOffsetCalculatorILi1EjESF_NS0_6memory15LoadWithoutCastENSG_16StoreWithoutCastEEEviT_T0_T2_T3_T4_T5_.has_recursion, 0
	.set _ZN2at6native27unrolled_elementwise_kernelIZZZNS0_17clamp_kernel_cudaERNS_18TensorIteratorBaseERKN3c106ScalarES7_ENKUlvE_clEvENKUlvE3_clEvEUlsE_St5arrayIPcLm2EELi4E23TrivialOffsetCalculatorILi1EjESF_NS0_6memory15LoadWithoutCastENSG_16StoreWithoutCastEEEviT_T0_T2_T3_T4_T5_.has_indirect_call, 0
	.section	.AMDGPU.csdata,"",@progbits
; Kernel info:
; codeLenInByte = 624
; TotalNumSgprs: 17
; NumVgprs: 8
; NumAgprs: 0
; TotalNumVgprs: 8
; ScratchSize: 0
; MemoryBound: 0
; FloatMode: 240
; IeeeMode: 1
; LDSByteSize: 0 bytes/workgroup (compile time only)
; SGPRBlocks: 2
; VGPRBlocks: 0
; NumSGPRsForWavesPerEU: 17
; NumVGPRsForWavesPerEU: 8
; AccumOffset: 8
; Occupancy: 8
; WaveLimiterHint : 0
; COMPUTE_PGM_RSRC2:SCRATCH_EN: 0
; COMPUTE_PGM_RSRC2:USER_SGPR: 2
; COMPUTE_PGM_RSRC2:TRAP_HANDLER: 0
; COMPUTE_PGM_RSRC2:TGID_X_EN: 1
; COMPUTE_PGM_RSRC2:TGID_Y_EN: 0
; COMPUTE_PGM_RSRC2:TGID_Z_EN: 0
; COMPUTE_PGM_RSRC2:TIDIG_COMP_CNT: 0
; COMPUTE_PGM_RSRC3_GFX90A:ACCUM_OFFSET: 1
; COMPUTE_PGM_RSRC3_GFX90A:TG_SPLIT: 0
	.section	.text._ZN2at6native32elementwise_kernel_manual_unrollILi128ELi8EZNS0_22gpu_kernel_impl_nocastIZZZNS0_17clamp_kernel_cudaERNS_18TensorIteratorBaseERKN3c106ScalarES8_ENKUlvE_clEvENKUlvE3_clEvEUlsE_EEvS4_RKT_EUlibE_EEviT1_,"axG",@progbits,_ZN2at6native32elementwise_kernel_manual_unrollILi128ELi8EZNS0_22gpu_kernel_impl_nocastIZZZNS0_17clamp_kernel_cudaERNS_18TensorIteratorBaseERKN3c106ScalarES8_ENKUlvE_clEvENKUlvE3_clEvEUlsE_EEvS4_RKT_EUlibE_EEviT1_,comdat
	.globl	_ZN2at6native32elementwise_kernel_manual_unrollILi128ELi8EZNS0_22gpu_kernel_impl_nocastIZZZNS0_17clamp_kernel_cudaERNS_18TensorIteratorBaseERKN3c106ScalarES8_ENKUlvE_clEvENKUlvE3_clEvEUlsE_EEvS4_RKT_EUlibE_EEviT1_ ; -- Begin function _ZN2at6native32elementwise_kernel_manual_unrollILi128ELi8EZNS0_22gpu_kernel_impl_nocastIZZZNS0_17clamp_kernel_cudaERNS_18TensorIteratorBaseERKN3c106ScalarES8_ENKUlvE_clEvENKUlvE3_clEvEUlsE_EEvS4_RKT_EUlibE_EEviT1_
	.p2align	8
	.type	_ZN2at6native32elementwise_kernel_manual_unrollILi128ELi8EZNS0_22gpu_kernel_impl_nocastIZZZNS0_17clamp_kernel_cudaERNS_18TensorIteratorBaseERKN3c106ScalarES8_ENKUlvE_clEvENKUlvE3_clEvEUlsE_EEvS4_RKT_EUlibE_EEviT1_,@function
_ZN2at6native32elementwise_kernel_manual_unrollILi128ELi8EZNS0_22gpu_kernel_impl_nocastIZZZNS0_17clamp_kernel_cudaERNS_18TensorIteratorBaseERKN3c106ScalarES8_ENKUlvE_clEvENKUlvE3_clEvEUlsE_EEvS4_RKT_EUlibE_EEviT1_: ; @_ZN2at6native32elementwise_kernel_manual_unrollILi128ELi8EZNS0_22gpu_kernel_impl_nocastIZZZNS0_17clamp_kernel_cudaERNS_18TensorIteratorBaseERKN3c106ScalarES8_ENKUlvE_clEvENKUlvE3_clEvEUlsE_EEvS4_RKT_EUlibE_EEviT1_
; %bb.0:
	s_load_dword s57, s[0:1], 0x0
	s_load_dword s33, s[0:1], 0x8
	s_add_u32 s34, s0, 8
	s_addc_u32 s35, s1, 0
	v_lshl_or_b32 v24, s2, 10, v0
	v_or_b32_e32 v32, 0x380, v24
	s_waitcnt lgkmcnt(0)
	s_add_i32 s54, s33, -1
	s_cmp_gt_u32 s54, 1
	v_cmp_le_i32_e32 vcc, s57, v32
	s_cselect_b64 s[36:37], -1, 0
	s_and_saveexec_b64 s[0:1], vcc
	s_xor_b64 s[38:39], exec, s[0:1]
	s_cbranch_execz .LBB311_8
; %bb.1:
	s_cmp_lg_u32 s33, 0
	s_cselect_b64 s[46:47], -1, 0
	s_add_u32 s44, s34, 0xc4
	s_load_dwordx4 s[20:23], s[34:35], 0x4
	s_load_dwordx2 s[40:41], s[34:35], 0x14
	s_load_dword s55, s[34:35], 0x158
	s_load_dwordx4 s[24:27], s[34:35], 0xc4
	s_load_dwordx4 s[16:19], s[34:35], 0x148
	s_addc_u32 s45, s35, 0
	s_min_u32 s58, s54, 15
	s_cmp_gt_u32 s33, 1
	s_cselect_b64 s[42:43], -1, 0
	s_waitcnt lgkmcnt(0)
	s_lshr_b32 s56, s55, 16
	v_cmp_gt_i32_e32 vcc, s57, v24
	s_and_saveexec_b64 s[48:49], vcc
	s_cbranch_execz .LBB311_15
; %bb.2:
	s_andn2_b64 vcc, exec, s[36:37]
	s_cbranch_vccnz .LBB311_23
; %bb.3:
	s_andn2_b64 vcc, exec, s[46:47]
	s_cbranch_vccnz .LBB311_131
; %bb.4:
	s_add_i32 s60, s58, 1
	s_cmp_eq_u32 s54, 2
	s_cbranch_scc1 .LBB311_133
; %bb.5:
	s_and_b32 s59, s60, 28
	s_mov_b32 s61, 0
	v_mov_b32_e32 v0, 0
	v_mov_b32_e32 v2, 0
	s_mov_b64 s[50:51], s[34:35]
	s_mov_b64 s[52:53], s[44:45]
	v_mov_b32_e32 v4, v24
.LBB311_6:                              ; =>This Inner Loop Header: Depth=1
	s_load_dwordx8 s[8:15], s[50:51], 0x4
	s_load_dwordx4 s[28:31], s[50:51], 0x24
	s_load_dwordx8 s[0:7], s[52:53], 0x0
	s_add_u32 s50, s50, 48
	s_addc_u32 s51, s51, 0
	s_waitcnt lgkmcnt(0)
	v_mul_hi_u32 v1, s9, v4
	v_add_u32_e32 v1, v4, v1
	v_lshrrev_b32_e32 v1, s10, v1
	v_mul_lo_u32 v3, v1, s8
	v_mul_hi_u32 v5, s12, v1
	v_sub_u32_e32 v3, v4, v3
	v_add_u32_e32 v4, v1, v5
	v_lshrrev_b32_e32 v4, s13, v4
	v_mul_lo_u32 v6, v4, s11
	v_mul_hi_u32 v7, s15, v4
	v_sub_u32_e32 v1, v1, v6
	v_add_u32_e32 v6, v4, v7
	v_mul_lo_u32 v5, v3, s1
	v_mul_lo_u32 v3, v3, s0
	;; [unrolled: 1-line block ×4, first 2 shown]
	v_lshrrev_b32_e32 v6, s28, v6
	v_add3_u32 v0, v3, v0, v1
	v_mul_hi_u32 v3, s30, v6
	v_add3_u32 v1, v5, v2, v7
	v_mul_lo_u32 v2, v6, s14
	v_add_u32_e32 v3, v6, v3
	v_sub_u32_e32 v2, v4, v2
	v_lshrrev_b32_e32 v4, s31, v3
	s_add_i32 s61, s61, 4
	v_mul_lo_u32 v3, v4, s29
	s_add_u32 s52, s52, 32
	v_sub_u32_e32 v3, v6, v3
	s_addc_u32 s53, s53, 0
	v_mul_lo_u32 v5, v2, s4
	v_mul_lo_u32 v2, v2, s5
	;; [unrolled: 1-line block ×4, first 2 shown]
	s_cmp_lg_u32 s59, s61
	v_add3_u32 v2, v2, v1, v3
	v_add3_u32 v0, v5, v0, v6
	s_cbranch_scc1 .LBB311_6
; %bb.7:
	v_mov_b32_e32 v1, v2
	s_branch .LBB311_134
.LBB311_8:
	s_andn2_saveexec_b64 s[0:1], s[38:39]
	s_cbranch_execz .LBB311_228
.LBB311_9:
	v_cndmask_b32_e64 v0, 0, 1, s[36:37]
	v_cmp_ne_u32_e64 s[0:1], 1, v0
	s_andn2_b64 vcc, exec, s[36:37]
	s_cbranch_vccnz .LBB311_22
; %bb.10:
	s_cmp_lg_u32 s33, 0
	s_mov_b32 s26, 0
	s_cbranch_scc0 .LBB311_25
; %bb.11:
	s_min_u32 s27, s54, 15
	s_add_i32 s27, s27, 1
	s_cmp_eq_u32 s54, 2
	s_cbranch_scc1 .LBB311_26
; %bb.12:
	s_and_b32 s26, s27, 28
	s_add_u32 s2, s34, 0xc4
	s_addc_u32 s3, s35, 0
	s_mov_b32 s28, 0
	v_mov_b32_e32 v0, 0
	v_mov_b32_e32 v2, 0
	s_mov_b64 s[24:25], s[34:35]
	v_mov_b32_e32 v4, v24
.LBB311_13:                             ; =>This Inner Loop Header: Depth=1
	s_load_dwordx8 s[12:19], s[24:25], 0x4
	s_load_dwordx4 s[20:23], s[24:25], 0x24
	s_load_dwordx8 s[4:11], s[2:3], 0x0
	s_add_u32 s24, s24, 48
	s_addc_u32 s25, s25, 0
	s_waitcnt lgkmcnt(0)
	v_mul_hi_u32 v1, s13, v4
	v_add_u32_e32 v1, v4, v1
	v_lshrrev_b32_e32 v1, s14, v1
	v_mul_lo_u32 v3, v1, s12
	v_mul_hi_u32 v5, s16, v1
	v_sub_u32_e32 v3, v4, v3
	v_add_u32_e32 v4, v1, v5
	v_lshrrev_b32_e32 v4, s17, v4
	v_mul_lo_u32 v6, v4, s15
	v_mul_hi_u32 v7, s19, v4
	v_sub_u32_e32 v1, v1, v6
	v_add_u32_e32 v6, v4, v7
	v_mul_lo_u32 v5, v3, s5
	v_mul_lo_u32 v3, v3, s4
	;; [unrolled: 1-line block ×4, first 2 shown]
	v_lshrrev_b32_e32 v6, s20, v6
	v_add3_u32 v0, v3, v0, v1
	v_mul_hi_u32 v3, s22, v6
	v_add3_u32 v1, v5, v2, v7
	v_mul_lo_u32 v2, v6, s18
	v_add_u32_e32 v3, v6, v3
	v_sub_u32_e32 v2, v4, v2
	v_lshrrev_b32_e32 v4, s23, v3
	s_add_i32 s28, s28, 4
	v_mul_lo_u32 v3, v4, s21
	s_add_u32 s2, s2, 32
	v_sub_u32_e32 v3, v6, v3
	s_addc_u32 s3, s3, 0
	v_mul_lo_u32 v5, v2, s8
	v_mul_lo_u32 v2, v2, s9
	;; [unrolled: 1-line block ×4, first 2 shown]
	s_cmp_lg_u32 s26, s28
	v_add3_u32 v2, v2, v1, v3
	v_add3_u32 v0, v5, v0, v6
	s_cbranch_scc1 .LBB311_13
; %bb.14:
	v_mov_b32_e32 v1, v2
	s_and_b32 s6, s27, 3
	s_cmp_eq_u32 s6, 0
	s_cbranch_scc0 .LBB311_27
	s_branch .LBB311_29
.LBB311_15:
	s_or_b64 exec, exec, s[48:49]
	v_cmp_gt_i32_e32 vcc, s57, v24
	s_and_saveexec_b64 s[48:49], vcc
	s_cbranch_execz .LBB311_141
.LBB311_16:
	s_andn2_b64 vcc, exec, s[36:37]
	s_cbranch_vccnz .LBB311_24
; %bb.17:
	s_andn2_b64 vcc, exec, s[46:47]
	s_cbranch_vccnz .LBB311_132
; %bb.18:
	s_add_i32 s60, s58, 1
	s_cmp_eq_u32 s54, 2
	s_cbranch_scc1 .LBB311_150
; %bb.19:
	s_and_b32 s59, s60, 28
	s_mov_b32 s61, 0
	v_mov_b32_e32 v0, 0
	v_mov_b32_e32 v2, 0
	s_mov_b64 s[50:51], s[34:35]
	s_mov_b64 s[52:53], s[44:45]
	v_mov_b32_e32 v4, v24
.LBB311_20:                             ; =>This Inner Loop Header: Depth=1
	s_load_dwordx8 s[8:15], s[50:51], 0x4
	s_load_dwordx4 s[28:31], s[50:51], 0x24
	s_load_dwordx8 s[0:7], s[52:53], 0x0
	s_add_u32 s50, s50, 48
	s_addc_u32 s51, s51, 0
	s_waitcnt lgkmcnt(0)
	v_mul_hi_u32 v1, s9, v4
	v_add_u32_e32 v1, v4, v1
	v_lshrrev_b32_e32 v1, s10, v1
	v_mul_lo_u32 v3, v1, s8
	v_mul_hi_u32 v5, s12, v1
	v_sub_u32_e32 v3, v4, v3
	v_add_u32_e32 v4, v1, v5
	v_lshrrev_b32_e32 v4, s13, v4
	v_mul_lo_u32 v6, v4, s11
	v_mul_hi_u32 v7, s15, v4
	v_sub_u32_e32 v1, v1, v6
	v_add_u32_e32 v6, v4, v7
	v_mul_lo_u32 v5, v3, s1
	v_mul_lo_u32 v3, v3, s0
	;; [unrolled: 1-line block ×4, first 2 shown]
	v_lshrrev_b32_e32 v6, s28, v6
	v_add3_u32 v0, v3, v0, v1
	v_mul_hi_u32 v3, s30, v6
	v_add3_u32 v1, v5, v2, v7
	v_mul_lo_u32 v2, v6, s14
	v_add_u32_e32 v3, v6, v3
	v_sub_u32_e32 v2, v4, v2
	v_lshrrev_b32_e32 v4, s31, v3
	s_add_i32 s61, s61, 4
	v_mul_lo_u32 v3, v4, s29
	s_add_u32 s52, s52, 32
	v_sub_u32_e32 v3, v6, v3
	s_addc_u32 s53, s53, 0
	v_mul_lo_u32 v5, v2, s4
	v_mul_lo_u32 v2, v2, s5
	;; [unrolled: 1-line block ×4, first 2 shown]
	s_cmp_eq_u32 s59, s61
	v_add3_u32 v2, v2, v1, v3
	v_add3_u32 v0, v5, v0, v6
	s_cbranch_scc0 .LBB311_20
; %bb.21:
	v_mov_b32_e32 v1, v2
	s_branch .LBB311_151
.LBB311_22:
                                        ; implicit-def: $vgpr2
                                        ; implicit-def: $vgpr0
	s_branch .LBB311_30
.LBB311_23:
                                        ; implicit-def: $vgpr2
                                        ; implicit-def: $vgpr0
	s_branch .LBB311_138
.LBB311_24:
                                        ; implicit-def: $vgpr2
                                        ; implicit-def: $vgpr0
	s_branch .LBB311_155
.LBB311_25:
	v_mov_b32_e32 v2, 0
	v_mov_b32_e32 v0, 0
	s_branch .LBB311_29
.LBB311_26:
	v_mov_b32_e32 v0, 0
                                        ; implicit-def: $vgpr2
	v_mov_b32_e32 v1, v0
	v_mov_b32_e32 v4, v24
	s_and_b32 s6, s27, 3
	s_cmp_eq_u32 s6, 0
	s_cbranch_scc1 .LBB311_29
.LBB311_27:
	s_lshl_b32 s2, s26, 3
	s_add_u32 s2, s34, s2
	s_addc_u32 s3, s35, 0
	s_add_u32 s2, s2, 0xc4
	s_addc_u32 s3, s3, 0
	s_mul_i32 s4, s26, 12
	s_add_u32 s4, s34, s4
	s_addc_u32 s5, s35, 0
.LBB311_28:                             ; =>This Inner Loop Header: Depth=1
	s_load_dwordx2 s[8:9], s[4:5], 0x4
	s_load_dword s7, s[4:5], 0xc
	s_load_dwordx2 s[10:11], s[2:3], 0x0
	v_mov_b32_e32 v2, v1
	s_add_u32 s4, s4, 12
	s_waitcnt lgkmcnt(0)
	v_mul_hi_u32 v1, s9, v4
	v_add_u32_e32 v1, v4, v1
	v_lshrrev_b32_e32 v1, s7, v1
	s_addc_u32 s5, s5, 0
	v_mul_lo_u32 v3, v1, s8
	s_add_u32 s2, s2, 8
	v_sub_u32_e32 v5, v4, v3
	s_addc_u32 s3, s3, 0
	s_add_i32 s6, s6, -1
	v_mov_b32_e32 v4, v1
	v_mad_u64_u32 v[2:3], s[8:9], v5, s11, v[2:3]
	v_mad_u64_u32 v[0:1], s[8:9], v5, s10, v[0:1]
	s_cmp_lg_u32 s6, 0
	v_mov_b32_e32 v1, v2
	s_cbranch_scc1 .LBB311_28
.LBB311_29:
	s_cbranch_execnz .LBB311_32
.LBB311_30:
	s_load_dwordx4 s[4:7], s[34:35], 0x4
	s_load_dwordx2 s[2:3], s[34:35], 0xc4
	s_cmp_lt_u32 s33, 2
	s_waitcnt lgkmcnt(0)
	v_mul_hi_u32 v0, s5, v24
	v_add_u32_e32 v0, v24, v0
	v_lshrrev_b32_e32 v1, s6, v0
	v_mul_lo_u32 v0, v1, s4
	v_sub_u32_e32 v0, v24, v0
	v_mul_lo_u32 v2, v0, s3
	v_mul_lo_u32 v0, v0, s2
	s_cbranch_scc1 .LBB311_32
; %bb.31:
	s_load_dwordx4 s[4:7], s[34:35], 0x10
	s_load_dwordx2 s[2:3], s[34:35], 0xcc
	s_waitcnt lgkmcnt(0)
	v_mul_hi_u32 v3, s5, v1
	v_add_u32_e32 v3, v1, v3
	v_lshrrev_b32_e32 v3, s6, v3
	v_mul_lo_u32 v3, v3, s4
	v_sub_u32_e32 v3, v1, v3
	v_mad_u64_u32 v[0:1], s[4:5], v3, s2, v[0:1]
	v_mad_u64_u32 v[2:3], s[2:3], v3, s3, v[2:3]
.LBB311_32:
	s_and_b64 vcc, exec, s[0:1]
	v_add_u32_e32 v3, 0x80, v24
	s_cbranch_vccnz .LBB311_38
; %bb.33:
	s_cmp_lg_u32 s33, 0
	s_mov_b32 s26, 0
	s_cbranch_scc0 .LBB311_39
; %bb.34:
	s_min_u32 s27, s54, 15
	s_add_i32 s27, s27, 1
	s_cmp_eq_u32 s54, 2
	s_cbranch_scc1 .LBB311_40
; %bb.35:
	s_and_b32 s26, s27, 28
	s_add_u32 s2, s34, 0xc4
	s_addc_u32 s3, s35, 0
	s_mov_b32 s28, 0
	v_mov_b32_e32 v4, 0
	v_mov_b32_e32 v6, 0
	s_mov_b64 s[24:25], s[34:35]
	v_mov_b32_e32 v8, v3
.LBB311_36:                             ; =>This Inner Loop Header: Depth=1
	s_load_dwordx8 s[12:19], s[24:25], 0x4
	s_load_dwordx4 s[20:23], s[24:25], 0x24
	s_load_dwordx8 s[4:11], s[2:3], 0x0
	s_add_u32 s24, s24, 48
	s_addc_u32 s25, s25, 0
	s_waitcnt lgkmcnt(0)
	v_mul_hi_u32 v1, s13, v8
	v_add_u32_e32 v1, v8, v1
	v_lshrrev_b32_e32 v1, s14, v1
	v_mul_hi_u32 v7, s16, v1
	v_add_u32_e32 v7, v1, v7
	v_lshrrev_b32_e32 v7, s17, v7
	v_mul_lo_u32 v5, v1, s12
	v_mul_lo_u32 v9, v7, s15
	v_mul_hi_u32 v10, s19, v7
	v_sub_u32_e32 v5, v8, v5
	v_sub_u32_e32 v1, v1, v9
	v_add_u32_e32 v9, v7, v10
	v_mul_lo_u32 v8, v5, s5
	v_mul_lo_u32 v5, v5, s4
	;; [unrolled: 1-line block ×4, first 2 shown]
	v_lshrrev_b32_e32 v9, s20, v9
	v_add3_u32 v1, v5, v4, v1
	v_add3_u32 v4, v8, v6, v10
	v_mul_hi_u32 v6, s22, v9
	v_add_u32_e32 v6, v9, v6
	v_lshrrev_b32_e32 v8, s23, v6
	s_add_i32 s28, s28, 4
	v_mul_lo_u32 v5, v9, s18
	v_mul_lo_u32 v6, v8, s21
	s_add_u32 s2, s2, 32
	v_sub_u32_e32 v5, v7, v5
	v_sub_u32_e32 v6, v9, v6
	s_addc_u32 s3, s3, 0
	v_mul_lo_u32 v7, v5, s8
	v_mul_lo_u32 v5, v5, s9
	;; [unrolled: 1-line block ×4, first 2 shown]
	s_cmp_lg_u32 s26, s28
	v_add3_u32 v6, v5, v4, v6
	v_add3_u32 v4, v7, v1, v9
	s_cbranch_scc1 .LBB311_36
; %bb.37:
	v_mov_b32_e32 v1, v6
	s_and_b32 s6, s27, 3
	s_cmp_eq_u32 s6, 0
	s_cbranch_scc0 .LBB311_41
	s_branch .LBB311_43
.LBB311_38:
                                        ; implicit-def: $vgpr6
                                        ; implicit-def: $vgpr4
	s_branch .LBB311_44
.LBB311_39:
	v_mov_b32_e32 v6, 0
	v_mov_b32_e32 v4, 0
	s_branch .LBB311_43
.LBB311_40:
	v_mov_b32_e32 v4, 0
                                        ; implicit-def: $vgpr6
	v_mov_b32_e32 v1, v4
	v_mov_b32_e32 v8, v3
	s_and_b32 s6, s27, 3
	s_cmp_eq_u32 s6, 0
	s_cbranch_scc1 .LBB311_43
.LBB311_41:
	s_lshl_b32 s2, s26, 3
	s_add_u32 s2, s34, s2
	s_addc_u32 s3, s35, 0
	s_add_u32 s2, s2, 0xc4
	s_addc_u32 s3, s3, 0
	s_mul_i32 s4, s26, 12
	s_add_u32 s4, s34, s4
	s_addc_u32 s5, s35, 0
.LBB311_42:                             ; =>This Inner Loop Header: Depth=1
	s_load_dwordx2 s[8:9], s[4:5], 0x4
	s_load_dword s7, s[4:5], 0xc
	s_load_dwordx2 s[10:11], s[2:3], 0x0
	v_mov_b32_e32 v6, v1
	s_add_u32 s4, s4, 12
	s_waitcnt lgkmcnt(0)
	v_mul_hi_u32 v1, s9, v8
	v_add_u32_e32 v1, v8, v1
	v_lshrrev_b32_e32 v1, s7, v1
	s_addc_u32 s5, s5, 0
	v_mul_lo_u32 v5, v1, s8
	s_add_u32 s2, s2, 8
	v_sub_u32_e32 v5, v8, v5
	s_addc_u32 s3, s3, 0
	s_add_i32 s6, s6, -1
	v_mad_u64_u32 v[6:7], s[8:9], v5, s11, v[6:7]
	s_cmp_lg_u32 s6, 0
	v_mov_b32_e32 v8, v1
	v_mad_u64_u32 v[4:5], s[8:9], v5, s10, v[4:5]
	v_mov_b32_e32 v1, v6
	s_cbranch_scc1 .LBB311_42
.LBB311_43:
	s_cbranch_execnz .LBB311_46
.LBB311_44:
	s_load_dwordx4 s[4:7], s[34:35], 0x4
	s_load_dwordx2 s[2:3], s[34:35], 0xc4
	s_cmp_lt_u32 s33, 2
	s_waitcnt lgkmcnt(0)
	v_mul_hi_u32 v1, s5, v3
	v_add_u32_e32 v1, v3, v1
	v_lshrrev_b32_e32 v1, s6, v1
	v_mul_lo_u32 v4, v1, s4
	v_sub_u32_e32 v3, v3, v4
	v_mul_lo_u32 v6, v3, s3
	v_mul_lo_u32 v4, v3, s2
	s_cbranch_scc1 .LBB311_46
; %bb.45:
	s_load_dwordx4 s[4:7], s[34:35], 0x10
	s_load_dwordx2 s[2:3], s[34:35], 0xcc
	s_waitcnt lgkmcnt(0)
	v_mul_hi_u32 v3, s5, v1
	v_add_u32_e32 v3, v1, v3
	v_lshrrev_b32_e32 v3, s6, v3
	v_mul_lo_u32 v3, v3, s4
	v_sub_u32_e32 v1, v1, v3
	v_mad_u64_u32 v[4:5], s[4:5], v1, s2, v[4:5]
	v_mad_u64_u32 v[6:7], s[2:3], v1, s3, v[6:7]
.LBB311_46:
	s_and_b64 vcc, exec, s[0:1]
	v_add_u32_e32 v3, 0x100, v24
	s_cbranch_vccnz .LBB311_52
; %bb.47:
	s_cmp_lg_u32 s33, 0
	s_mov_b32 s26, 0
	s_cbranch_scc0 .LBB311_53
; %bb.48:
	s_min_u32 s27, s54, 15
	s_add_i32 s27, s27, 1
	s_cmp_eq_u32 s54, 2
	s_cbranch_scc1 .LBB311_54
; %bb.49:
	s_and_b32 s26, s27, 28
	s_add_u32 s2, s34, 0xc4
	s_addc_u32 s3, s35, 0
	s_mov_b32 s28, 0
	v_mov_b32_e32 v8, 0
	v_mov_b32_e32 v10, 0
	s_mov_b64 s[24:25], s[34:35]
	v_mov_b32_e32 v5, v3
.LBB311_50:                             ; =>This Inner Loop Header: Depth=1
	s_load_dwordx8 s[12:19], s[24:25], 0x4
	s_load_dwordx4 s[20:23], s[24:25], 0x24
	s_load_dwordx8 s[4:11], s[2:3], 0x0
	s_add_u32 s24, s24, 48
	s_addc_u32 s25, s25, 0
	s_waitcnt lgkmcnt(0)
	v_mul_hi_u32 v1, s13, v5
	v_add_u32_e32 v1, v5, v1
	v_lshrrev_b32_e32 v1, s14, v1
	v_mul_lo_u32 v7, v1, s12
	v_mul_hi_u32 v9, s16, v1
	v_sub_u32_e32 v5, v5, v7
	v_add_u32_e32 v7, v1, v9
	v_lshrrev_b32_e32 v7, s17, v7
	v_mul_lo_u32 v11, v7, s15
	v_mul_hi_u32 v12, s19, v7
	v_sub_u32_e32 v1, v1, v11
	v_add_u32_e32 v11, v7, v12
	v_mul_lo_u32 v9, v5, s5
	v_mul_lo_u32 v5, v5, s4
	;; [unrolled: 1-line block ×4, first 2 shown]
	v_lshrrev_b32_e32 v11, s20, v11
	v_add3_u32 v1, v5, v8, v1
	v_add3_u32 v8, v9, v10, v12
	v_mul_lo_u32 v5, v11, s18
	v_mul_hi_u32 v9, s22, v11
	v_sub_u32_e32 v5, v7, v5
	v_add_u32_e32 v7, v11, v9
	v_mul_lo_u32 v9, v5, s8
	v_mul_lo_u32 v10, v5, s9
	v_lshrrev_b32_e32 v5, s23, v7
	s_add_i32 s28, s28, 4
	v_mul_lo_u32 v7, v5, s21
	s_add_u32 s2, s2, 32
	v_sub_u32_e32 v7, v11, v7
	s_addc_u32 s3, s3, 0
	v_mul_lo_u32 v11, v7, s10
	v_mul_lo_u32 v7, v7, s11
	s_cmp_lg_u32 s26, s28
	v_add3_u32 v10, v10, v8, v7
	v_add3_u32 v8, v9, v1, v11
	s_cbranch_scc1 .LBB311_50
; %bb.51:
	v_mov_b32_e32 v1, v10
	s_and_b32 s6, s27, 3
	s_cmp_eq_u32 s6, 0
	s_cbranch_scc0 .LBB311_55
	s_branch .LBB311_57
.LBB311_52:
                                        ; implicit-def: $vgpr10
                                        ; implicit-def: $vgpr8
	s_branch .LBB311_58
.LBB311_53:
	v_mov_b32_e32 v10, 0
	v_mov_b32_e32 v8, 0
	s_branch .LBB311_57
.LBB311_54:
	v_mov_b32_e32 v8, 0
                                        ; implicit-def: $vgpr10
	v_mov_b32_e32 v1, v8
	v_mov_b32_e32 v5, v3
	s_and_b32 s6, s27, 3
	s_cmp_eq_u32 s6, 0
	s_cbranch_scc1 .LBB311_57
.LBB311_55:
	s_lshl_b32 s2, s26, 3
	s_add_u32 s2, s34, s2
	s_addc_u32 s3, s35, 0
	s_add_u32 s2, s2, 0xc4
	s_addc_u32 s3, s3, 0
	s_mul_i32 s4, s26, 12
	s_add_u32 s4, s34, s4
	s_addc_u32 s5, s35, 0
.LBB311_56:                             ; =>This Inner Loop Header: Depth=1
	s_load_dwordx2 s[8:9], s[4:5], 0x4
	s_load_dword s7, s[4:5], 0xc
	s_load_dwordx2 s[10:11], s[2:3], 0x0
	v_mov_b32_e32 v10, v1
	s_add_u32 s4, s4, 12
	s_waitcnt lgkmcnt(0)
	v_mul_hi_u32 v1, s9, v5
	v_add_u32_e32 v1, v5, v1
	v_lshrrev_b32_e32 v1, s7, v1
	s_addc_u32 s5, s5, 0
	v_mul_lo_u32 v7, v1, s8
	s_add_u32 s2, s2, 8
	v_sub_u32_e32 v7, v5, v7
	s_addc_u32 s3, s3, 0
	s_add_i32 s6, s6, -1
	v_mad_u64_u32 v[10:11], s[8:9], v7, s11, v[10:11]
	s_cmp_lg_u32 s6, 0
	v_mov_b32_e32 v5, v1
	v_mad_u64_u32 v[8:9], s[8:9], v7, s10, v[8:9]
	v_mov_b32_e32 v1, v10
	s_cbranch_scc1 .LBB311_56
.LBB311_57:
	s_cbranch_execnz .LBB311_60
.LBB311_58:
	s_load_dwordx4 s[4:7], s[34:35], 0x4
	s_load_dwordx2 s[2:3], s[34:35], 0xc4
	s_cmp_lt_u32 s33, 2
	s_waitcnt lgkmcnt(0)
	v_mul_hi_u32 v1, s5, v3
	v_add_u32_e32 v1, v3, v1
	v_lshrrev_b32_e32 v1, s6, v1
	v_mul_lo_u32 v5, v1, s4
	v_sub_u32_e32 v3, v3, v5
	v_mul_lo_u32 v10, v3, s3
	v_mul_lo_u32 v8, v3, s2
	s_cbranch_scc1 .LBB311_60
; %bb.59:
	s_load_dwordx4 s[4:7], s[34:35], 0x10
	s_load_dwordx2 s[2:3], s[34:35], 0xcc
	s_waitcnt lgkmcnt(0)
	v_mul_hi_u32 v3, s5, v1
	v_add_u32_e32 v3, v1, v3
	v_lshrrev_b32_e32 v3, s6, v3
	v_mul_lo_u32 v3, v3, s4
	v_sub_u32_e32 v1, v1, v3
	v_mad_u64_u32 v[8:9], s[4:5], v1, s2, v[8:9]
	v_mad_u64_u32 v[10:11], s[2:3], v1, s3, v[10:11]
.LBB311_60:
	s_and_b64 vcc, exec, s[0:1]
	v_add_u32_e32 v3, 0x180, v24
	s_cbranch_vccnz .LBB311_66
; %bb.61:
	s_cmp_lg_u32 s33, 0
	s_mov_b32 s26, 0
	s_cbranch_scc0 .LBB311_67
; %bb.62:
	s_min_u32 s27, s54, 15
	s_add_i32 s27, s27, 1
	s_cmp_eq_u32 s54, 2
	s_cbranch_scc1 .LBB311_68
; %bb.63:
	s_and_b32 s26, s27, 28
	s_add_u32 s2, s34, 0xc4
	s_addc_u32 s3, s35, 0
	s_mov_b32 s28, 0
	v_mov_b32_e32 v12, 0
	v_mov_b32_e32 v14, 0
	s_mov_b64 s[24:25], s[34:35]
	v_mov_b32_e32 v5, v3
.LBB311_64:                             ; =>This Inner Loop Header: Depth=1
	s_load_dwordx8 s[12:19], s[24:25], 0x4
	s_load_dwordx4 s[20:23], s[24:25], 0x24
	s_load_dwordx8 s[4:11], s[2:3], 0x0
	s_add_u32 s24, s24, 48
	s_addc_u32 s25, s25, 0
	s_waitcnt lgkmcnt(0)
	v_mul_hi_u32 v1, s13, v5
	v_add_u32_e32 v1, v5, v1
	v_lshrrev_b32_e32 v1, s14, v1
	v_mul_lo_u32 v7, v1, s12
	v_mul_hi_u32 v9, s16, v1
	v_sub_u32_e32 v5, v5, v7
	v_add_u32_e32 v7, v1, v9
	v_lshrrev_b32_e32 v7, s17, v7
	v_mul_lo_u32 v11, v7, s15
	v_mul_hi_u32 v13, s19, v7
	v_sub_u32_e32 v1, v1, v11
	v_add_u32_e32 v11, v7, v13
	v_mul_lo_u32 v9, v5, s5
	v_mul_lo_u32 v5, v5, s4
	;; [unrolled: 1-line block ×4, first 2 shown]
	v_lshrrev_b32_e32 v11, s20, v11
	v_add3_u32 v1, v5, v12, v1
	v_mul_lo_u32 v5, v11, s18
	v_mul_hi_u32 v12, s22, v11
	v_sub_u32_e32 v5, v7, v5
	v_add_u32_e32 v7, v11, v12
	v_add3_u32 v9, v9, v14, v13
	v_mul_lo_u32 v12, v5, s8
	v_mul_lo_u32 v13, v5, s9
	v_lshrrev_b32_e32 v5, s23, v7
	s_add_i32 s28, s28, 4
	v_mul_lo_u32 v7, v5, s21
	s_add_u32 s2, s2, 32
	v_sub_u32_e32 v7, v11, v7
	s_addc_u32 s3, s3, 0
	v_mul_lo_u32 v11, v7, s10
	v_mul_lo_u32 v7, v7, s11
	s_cmp_lg_u32 s26, s28
	v_add3_u32 v14, v13, v9, v7
	v_add3_u32 v12, v12, v1, v11
	s_cbranch_scc1 .LBB311_64
; %bb.65:
	v_mov_b32_e32 v1, v14
	s_and_b32 s6, s27, 3
	s_cmp_eq_u32 s6, 0
	s_cbranch_scc0 .LBB311_69
	s_branch .LBB311_71
.LBB311_66:
                                        ; implicit-def: $vgpr14
                                        ; implicit-def: $vgpr12
	s_branch .LBB311_72
.LBB311_67:
	v_mov_b32_e32 v14, 0
	v_mov_b32_e32 v12, 0
	s_branch .LBB311_71
.LBB311_68:
	v_mov_b32_e32 v12, 0
                                        ; implicit-def: $vgpr14
	v_mov_b32_e32 v1, v12
	v_mov_b32_e32 v5, v3
	s_and_b32 s6, s27, 3
	s_cmp_eq_u32 s6, 0
	s_cbranch_scc1 .LBB311_71
.LBB311_69:
	s_lshl_b32 s2, s26, 3
	s_add_u32 s2, s34, s2
	s_addc_u32 s3, s35, 0
	s_add_u32 s2, s2, 0xc4
	s_addc_u32 s3, s3, 0
	s_mul_i32 s4, s26, 12
	s_add_u32 s4, s34, s4
	s_addc_u32 s5, s35, 0
.LBB311_70:                             ; =>This Inner Loop Header: Depth=1
	s_load_dwordx2 s[8:9], s[4:5], 0x4
	s_load_dword s7, s[4:5], 0xc
	s_load_dwordx2 s[10:11], s[2:3], 0x0
	v_mov_b32_e32 v14, v1
	s_add_u32 s4, s4, 12
	s_waitcnt lgkmcnt(0)
	v_mul_hi_u32 v1, s9, v5
	v_add_u32_e32 v1, v5, v1
	v_lshrrev_b32_e32 v1, s7, v1
	s_addc_u32 s5, s5, 0
	v_mul_lo_u32 v7, v1, s8
	s_add_u32 s2, s2, 8
	v_sub_u32_e32 v7, v5, v7
	s_addc_u32 s3, s3, 0
	s_add_i32 s6, s6, -1
	v_mad_u64_u32 v[14:15], s[8:9], v7, s11, v[14:15]
	s_cmp_lg_u32 s6, 0
	v_mov_b32_e32 v5, v1
	v_mad_u64_u32 v[12:13], s[8:9], v7, s10, v[12:13]
	v_mov_b32_e32 v1, v14
	s_cbranch_scc1 .LBB311_70
.LBB311_71:
	s_cbranch_execnz .LBB311_74
.LBB311_72:
	s_load_dwordx4 s[4:7], s[34:35], 0x4
	s_load_dwordx2 s[2:3], s[34:35], 0xc4
	s_cmp_lt_u32 s33, 2
	s_waitcnt lgkmcnt(0)
	v_mul_hi_u32 v1, s5, v3
	v_add_u32_e32 v1, v3, v1
	v_lshrrev_b32_e32 v1, s6, v1
	v_mul_lo_u32 v5, v1, s4
	v_sub_u32_e32 v3, v3, v5
	v_mul_lo_u32 v14, v3, s3
	v_mul_lo_u32 v12, v3, s2
	s_cbranch_scc1 .LBB311_74
; %bb.73:
	s_load_dwordx4 s[4:7], s[34:35], 0x10
	s_load_dwordx2 s[2:3], s[34:35], 0xcc
	s_waitcnt lgkmcnt(0)
	v_mul_hi_u32 v3, s5, v1
	v_add_u32_e32 v3, v1, v3
	v_lshrrev_b32_e32 v3, s6, v3
	v_mul_lo_u32 v3, v3, s4
	v_sub_u32_e32 v1, v1, v3
	v_mad_u64_u32 v[12:13], s[4:5], v1, s2, v[12:13]
	v_mad_u64_u32 v[14:15], s[2:3], v1, s3, v[14:15]
.LBB311_74:
	s_and_b64 vcc, exec, s[0:1]
	v_add_u32_e32 v3, 0x200, v24
	s_cbranch_vccnz .LBB311_80
; %bb.75:
	s_cmp_lg_u32 s33, 0
	s_mov_b32 s26, 0
	s_cbranch_scc0 .LBB311_81
; %bb.76:
	s_min_u32 s27, s54, 15
	s_add_i32 s27, s27, 1
	s_cmp_eq_u32 s54, 2
	s_cbranch_scc1 .LBB311_82
; %bb.77:
	s_and_b32 s26, s27, 28
	s_add_u32 s2, s34, 0xc4
	s_addc_u32 s3, s35, 0
	s_mov_b32 s28, 0
	v_mov_b32_e32 v16, 0
	v_mov_b32_e32 v18, 0
	s_mov_b64 s[24:25], s[34:35]
	v_mov_b32_e32 v5, v3
.LBB311_78:                             ; =>This Inner Loop Header: Depth=1
	s_load_dwordx8 s[12:19], s[24:25], 0x4
	s_load_dwordx4 s[20:23], s[24:25], 0x24
	s_load_dwordx8 s[4:11], s[2:3], 0x0
	s_add_u32 s24, s24, 48
	s_addc_u32 s25, s25, 0
	s_waitcnt lgkmcnt(0)
	v_mul_hi_u32 v1, s13, v5
	v_add_u32_e32 v1, v5, v1
	v_lshrrev_b32_e32 v1, s14, v1
	v_mul_lo_u32 v7, v1, s12
	v_mul_hi_u32 v9, s16, v1
	v_sub_u32_e32 v5, v5, v7
	v_add_u32_e32 v7, v1, v9
	v_lshrrev_b32_e32 v7, s17, v7
	v_mul_lo_u32 v11, v7, s15
	v_mul_hi_u32 v13, s19, v7
	v_sub_u32_e32 v1, v1, v11
	v_add_u32_e32 v11, v7, v13
	v_mul_lo_u32 v9, v5, s5
	v_mul_lo_u32 v5, v5, s4
	;; [unrolled: 1-line block ×4, first 2 shown]
	v_lshrrev_b32_e32 v11, s20, v11
	v_add3_u32 v1, v5, v16, v1
	v_add3_u32 v9, v9, v18, v13
	v_mul_lo_u32 v5, v11, s18
	v_mul_hi_u32 v13, s22, v11
	v_sub_u32_e32 v5, v7, v5
	v_add_u32_e32 v7, v11, v13
	v_mul_lo_u32 v13, v5, s8
	v_mul_lo_u32 v15, v5, s9
	v_lshrrev_b32_e32 v5, s23, v7
	s_add_i32 s28, s28, 4
	v_mul_lo_u32 v7, v5, s21
	s_add_u32 s2, s2, 32
	v_sub_u32_e32 v7, v11, v7
	s_addc_u32 s3, s3, 0
	v_mul_lo_u32 v11, v7, s10
	v_mul_lo_u32 v7, v7, s11
	s_cmp_lg_u32 s26, s28
	v_add3_u32 v18, v15, v9, v7
	v_add3_u32 v16, v13, v1, v11
	s_cbranch_scc1 .LBB311_78
; %bb.79:
	v_mov_b32_e32 v1, v18
	s_and_b32 s6, s27, 3
	s_cmp_eq_u32 s6, 0
	s_cbranch_scc0 .LBB311_83
	s_branch .LBB311_85
.LBB311_80:
                                        ; implicit-def: $vgpr18
                                        ; implicit-def: $vgpr16
	s_branch .LBB311_86
.LBB311_81:
	v_mov_b32_e32 v18, 0
	v_mov_b32_e32 v16, 0
	s_branch .LBB311_85
.LBB311_82:
	v_mov_b32_e32 v16, 0
                                        ; implicit-def: $vgpr18
	v_mov_b32_e32 v1, v16
	v_mov_b32_e32 v5, v3
	s_and_b32 s6, s27, 3
	s_cmp_eq_u32 s6, 0
	s_cbranch_scc1 .LBB311_85
.LBB311_83:
	s_lshl_b32 s2, s26, 3
	s_add_u32 s2, s34, s2
	s_addc_u32 s3, s35, 0
	s_add_u32 s2, s2, 0xc4
	s_addc_u32 s3, s3, 0
	s_mul_i32 s4, s26, 12
	s_add_u32 s4, s34, s4
	s_addc_u32 s5, s35, 0
.LBB311_84:                             ; =>This Inner Loop Header: Depth=1
	s_load_dwordx2 s[8:9], s[4:5], 0x4
	s_load_dword s7, s[4:5], 0xc
	s_load_dwordx2 s[10:11], s[2:3], 0x0
	v_mov_b32_e32 v18, v1
	s_add_u32 s4, s4, 12
	s_waitcnt lgkmcnt(0)
	v_mul_hi_u32 v1, s9, v5
	v_add_u32_e32 v1, v5, v1
	v_lshrrev_b32_e32 v1, s7, v1
	s_addc_u32 s5, s5, 0
	v_mul_lo_u32 v7, v1, s8
	s_add_u32 s2, s2, 8
	v_sub_u32_e32 v7, v5, v7
	s_addc_u32 s3, s3, 0
	s_add_i32 s6, s6, -1
	v_mad_u64_u32 v[18:19], s[8:9], v7, s11, v[18:19]
	s_cmp_lg_u32 s6, 0
	v_mov_b32_e32 v5, v1
	v_mad_u64_u32 v[16:17], s[8:9], v7, s10, v[16:17]
	v_mov_b32_e32 v1, v18
	s_cbranch_scc1 .LBB311_84
.LBB311_85:
	s_cbranch_execnz .LBB311_88
.LBB311_86:
	s_load_dwordx4 s[4:7], s[34:35], 0x4
	s_load_dwordx2 s[2:3], s[34:35], 0xc4
	s_cmp_lt_u32 s33, 2
	s_waitcnt lgkmcnt(0)
	v_mul_hi_u32 v1, s5, v3
	v_add_u32_e32 v1, v3, v1
	v_lshrrev_b32_e32 v1, s6, v1
	v_mul_lo_u32 v5, v1, s4
	v_sub_u32_e32 v3, v3, v5
	v_mul_lo_u32 v18, v3, s3
	v_mul_lo_u32 v16, v3, s2
	s_cbranch_scc1 .LBB311_88
; %bb.87:
	s_load_dwordx4 s[4:7], s[34:35], 0x10
	s_load_dwordx2 s[2:3], s[34:35], 0xcc
	s_waitcnt lgkmcnt(0)
	v_mul_hi_u32 v3, s5, v1
	v_add_u32_e32 v3, v1, v3
	v_lshrrev_b32_e32 v3, s6, v3
	v_mul_lo_u32 v3, v3, s4
	v_sub_u32_e32 v1, v1, v3
	v_mad_u64_u32 v[16:17], s[4:5], v1, s2, v[16:17]
	v_mad_u64_u32 v[18:19], s[2:3], v1, s3, v[18:19]
.LBB311_88:
	s_and_b64 vcc, exec, s[0:1]
	v_add_u32_e32 v3, 0x280, v24
	s_cbranch_vccnz .LBB311_94
; %bb.89:
	s_cmp_lg_u32 s33, 0
	s_mov_b32 s26, 0
	s_cbranch_scc0 .LBB311_95
; %bb.90:
	s_min_u32 s27, s54, 15
	s_add_i32 s27, s27, 1
	s_cmp_eq_u32 s54, 2
	s_cbranch_scc1 .LBB311_96
; %bb.91:
	s_and_b32 s26, s27, 28
	s_add_u32 s2, s34, 0xc4
	s_addc_u32 s3, s35, 0
	s_mov_b32 s28, 0
	v_mov_b32_e32 v20, 0
	v_mov_b32_e32 v22, 0
	s_mov_b64 s[24:25], s[34:35]
	v_mov_b32_e32 v5, v3
.LBB311_92:                             ; =>This Inner Loop Header: Depth=1
	s_load_dwordx8 s[12:19], s[24:25], 0x4
	s_load_dwordx4 s[20:23], s[24:25], 0x24
	s_load_dwordx8 s[4:11], s[2:3], 0x0
	s_add_u32 s24, s24, 48
	s_addc_u32 s25, s25, 0
	s_waitcnt lgkmcnt(0)
	v_mul_hi_u32 v1, s13, v5
	v_add_u32_e32 v1, v5, v1
	v_lshrrev_b32_e32 v1, s14, v1
	v_mul_lo_u32 v7, v1, s12
	v_mul_hi_u32 v9, s16, v1
	v_sub_u32_e32 v5, v5, v7
	v_add_u32_e32 v7, v1, v9
	v_lshrrev_b32_e32 v7, s17, v7
	v_mul_lo_u32 v11, v7, s15
	v_mul_hi_u32 v13, s19, v7
	v_sub_u32_e32 v1, v1, v11
	v_add_u32_e32 v11, v7, v13
	v_mul_lo_u32 v9, v5, s5
	v_mul_lo_u32 v5, v5, s4
	;; [unrolled: 1-line block ×4, first 2 shown]
	v_lshrrev_b32_e32 v11, s20, v11
	v_add3_u32 v1, v5, v20, v1
	v_add3_u32 v9, v9, v22, v13
	v_mul_lo_u32 v5, v11, s18
	v_mul_hi_u32 v13, s22, v11
	v_sub_u32_e32 v5, v7, v5
	v_add_u32_e32 v7, v11, v13
	v_mul_lo_u32 v13, v5, s8
	v_mul_lo_u32 v15, v5, s9
	v_lshrrev_b32_e32 v5, s23, v7
	s_add_i32 s28, s28, 4
	v_mul_lo_u32 v7, v5, s21
	s_add_u32 s2, s2, 32
	v_sub_u32_e32 v7, v11, v7
	s_addc_u32 s3, s3, 0
	v_mul_lo_u32 v11, v7, s10
	v_mul_lo_u32 v7, v7, s11
	s_cmp_lg_u32 s26, s28
	v_add3_u32 v22, v15, v9, v7
	v_add3_u32 v20, v13, v1, v11
	s_cbranch_scc1 .LBB311_92
; %bb.93:
	v_mov_b32_e32 v1, v22
	s_and_b32 s6, s27, 3
	s_cmp_eq_u32 s6, 0
	s_cbranch_scc0 .LBB311_97
	s_branch .LBB311_99
.LBB311_94:
                                        ; implicit-def: $vgpr22
                                        ; implicit-def: $vgpr20
	s_branch .LBB311_100
.LBB311_95:
	v_mov_b32_e32 v22, 0
	v_mov_b32_e32 v20, 0
	s_branch .LBB311_99
.LBB311_96:
	v_mov_b32_e32 v20, 0
                                        ; implicit-def: $vgpr22
	v_mov_b32_e32 v1, v20
	v_mov_b32_e32 v5, v3
	s_and_b32 s6, s27, 3
	s_cmp_eq_u32 s6, 0
	s_cbranch_scc1 .LBB311_99
.LBB311_97:
	s_lshl_b32 s2, s26, 3
	s_add_u32 s2, s34, s2
	s_addc_u32 s3, s35, 0
	s_add_u32 s2, s2, 0xc4
	s_addc_u32 s3, s3, 0
	s_mul_i32 s4, s26, 12
	s_add_u32 s4, s34, s4
	s_addc_u32 s5, s35, 0
.LBB311_98:                             ; =>This Inner Loop Header: Depth=1
	s_load_dwordx2 s[8:9], s[4:5], 0x4
	s_load_dword s7, s[4:5], 0xc
	s_load_dwordx2 s[10:11], s[2:3], 0x0
	v_mov_b32_e32 v22, v1
	s_add_u32 s4, s4, 12
	s_waitcnt lgkmcnt(0)
	v_mul_hi_u32 v1, s9, v5
	v_add_u32_e32 v1, v5, v1
	v_lshrrev_b32_e32 v1, s7, v1
	s_addc_u32 s5, s5, 0
	v_mul_lo_u32 v7, v1, s8
	s_add_u32 s2, s2, 8
	v_sub_u32_e32 v7, v5, v7
	s_addc_u32 s3, s3, 0
	s_add_i32 s6, s6, -1
	v_mad_u64_u32 v[22:23], s[8:9], v7, s11, v[22:23]
	s_cmp_lg_u32 s6, 0
	v_mov_b32_e32 v5, v1
	v_mad_u64_u32 v[20:21], s[8:9], v7, s10, v[20:21]
	v_mov_b32_e32 v1, v22
	s_cbranch_scc1 .LBB311_98
.LBB311_99:
	s_cbranch_execnz .LBB311_102
.LBB311_100:
	s_load_dwordx4 s[4:7], s[34:35], 0x4
	s_load_dwordx2 s[2:3], s[34:35], 0xc4
	s_cmp_lt_u32 s33, 2
	s_waitcnt lgkmcnt(0)
	v_mul_hi_u32 v1, s5, v3
	v_add_u32_e32 v1, v3, v1
	v_lshrrev_b32_e32 v1, s6, v1
	v_mul_lo_u32 v5, v1, s4
	v_sub_u32_e32 v3, v3, v5
	v_mul_lo_u32 v22, v3, s3
	v_mul_lo_u32 v20, v3, s2
	s_cbranch_scc1 .LBB311_102
; %bb.101:
	s_load_dwordx4 s[4:7], s[34:35], 0x10
	s_load_dwordx2 s[2:3], s[34:35], 0xcc
	s_waitcnt lgkmcnt(0)
	v_mul_hi_u32 v3, s5, v1
	v_add_u32_e32 v3, v1, v3
	v_lshrrev_b32_e32 v3, s6, v3
	v_mul_lo_u32 v3, v3, s4
	v_sub_u32_e32 v1, v1, v3
	v_mad_u64_u32 v[20:21], s[4:5], v1, s2, v[20:21]
	v_mad_u64_u32 v[22:23], s[2:3], v1, s3, v[22:23]
.LBB311_102:
	s_and_b64 vcc, exec, s[0:1]
	v_add_u32_e32 v3, 0x300, v24
	s_cbranch_vccnz .LBB311_108
; %bb.103:
	s_cmp_lg_u32 s33, 0
	s_mov_b32 s26, 0
	s_cbranch_scc0 .LBB311_109
; %bb.104:
	s_min_u32 s27, s54, 15
	s_add_i32 s27, s27, 1
	s_cmp_eq_u32 s54, 2
	s_cbranch_scc1 .LBB311_110
; %bb.105:
	s_and_b32 s26, s27, 28
	s_add_u32 s2, s34, 0xc4
	s_addc_u32 s3, s35, 0
	s_mov_b32 s28, 0
	v_mov_b32_e32 v24, 0
	v_mov_b32_e32 v26, 0
	s_mov_b64 s[24:25], s[34:35]
	v_mov_b32_e32 v5, v3
.LBB311_106:                            ; =>This Inner Loop Header: Depth=1
	s_load_dwordx8 s[12:19], s[24:25], 0x4
	s_load_dwordx4 s[20:23], s[24:25], 0x24
	s_load_dwordx8 s[4:11], s[2:3], 0x0
	s_add_u32 s24, s24, 48
	s_addc_u32 s25, s25, 0
	s_waitcnt lgkmcnt(0)
	v_mul_hi_u32 v1, s13, v5
	v_add_u32_e32 v1, v5, v1
	v_lshrrev_b32_e32 v1, s14, v1
	v_mul_lo_u32 v7, v1, s12
	v_mul_hi_u32 v9, s16, v1
	v_sub_u32_e32 v5, v5, v7
	v_add_u32_e32 v7, v1, v9
	v_lshrrev_b32_e32 v7, s17, v7
	v_mul_lo_u32 v11, v7, s15
	v_mul_hi_u32 v13, s19, v7
	v_sub_u32_e32 v1, v1, v11
	v_add_u32_e32 v11, v7, v13
	v_mul_lo_u32 v9, v5, s5
	v_mul_lo_u32 v5, v5, s4
	;; [unrolled: 1-line block ×4, first 2 shown]
	v_lshrrev_b32_e32 v11, s20, v11
	v_add3_u32 v1, v5, v24, v1
	v_add3_u32 v9, v9, v26, v13
	v_mul_lo_u32 v5, v11, s18
	v_mul_hi_u32 v13, s22, v11
	v_sub_u32_e32 v5, v7, v5
	v_add_u32_e32 v7, v11, v13
	v_mul_lo_u32 v13, v5, s8
	v_mul_lo_u32 v15, v5, s9
	v_lshrrev_b32_e32 v5, s23, v7
	s_add_i32 s28, s28, 4
	v_mul_lo_u32 v7, v5, s21
	s_add_u32 s2, s2, 32
	v_sub_u32_e32 v7, v11, v7
	s_addc_u32 s3, s3, 0
	v_mul_lo_u32 v11, v7, s10
	v_mul_lo_u32 v7, v7, s11
	s_cmp_lg_u32 s26, s28
	v_add3_u32 v26, v15, v9, v7
	v_add3_u32 v24, v13, v1, v11
	s_cbranch_scc1 .LBB311_106
; %bb.107:
	v_mov_b32_e32 v1, v26
	s_and_b32 s6, s27, 3
	s_cmp_eq_u32 s6, 0
	s_cbranch_scc0 .LBB311_111
	s_branch .LBB311_113
.LBB311_108:
                                        ; implicit-def: $vgpr26
                                        ; implicit-def: $vgpr24
	s_branch .LBB311_114
.LBB311_109:
	v_mov_b32_e32 v26, 0
	v_mov_b32_e32 v24, 0
	s_branch .LBB311_113
.LBB311_110:
	v_mov_b32_e32 v24, 0
                                        ; implicit-def: $vgpr26
	v_mov_b32_e32 v1, v24
	v_mov_b32_e32 v5, v3
	s_and_b32 s6, s27, 3
	s_cmp_eq_u32 s6, 0
	s_cbranch_scc1 .LBB311_113
.LBB311_111:
	s_lshl_b32 s2, s26, 3
	s_add_u32 s2, s34, s2
	s_addc_u32 s3, s35, 0
	s_add_u32 s2, s2, 0xc4
	s_addc_u32 s3, s3, 0
	s_mul_i32 s4, s26, 12
	s_add_u32 s4, s34, s4
	s_addc_u32 s5, s35, 0
.LBB311_112:                            ; =>This Inner Loop Header: Depth=1
	s_load_dwordx2 s[8:9], s[4:5], 0x4
	s_load_dword s7, s[4:5], 0xc
	s_load_dwordx2 s[10:11], s[2:3], 0x0
	v_mov_b32_e32 v26, v1
	s_add_u32 s4, s4, 12
	s_waitcnt lgkmcnt(0)
	v_mul_hi_u32 v1, s9, v5
	v_add_u32_e32 v1, v5, v1
	v_lshrrev_b32_e32 v1, s7, v1
	s_addc_u32 s5, s5, 0
	v_mul_lo_u32 v7, v1, s8
	s_add_u32 s2, s2, 8
	v_sub_u32_e32 v7, v5, v7
	s_addc_u32 s3, s3, 0
	s_add_i32 s6, s6, -1
	v_mad_u64_u32 v[26:27], s[8:9], v7, s11, v[26:27]
	s_cmp_lg_u32 s6, 0
	v_mov_b32_e32 v5, v1
	v_mad_u64_u32 v[24:25], s[8:9], v7, s10, v[24:25]
	v_mov_b32_e32 v1, v26
	s_cbranch_scc1 .LBB311_112
.LBB311_113:
	s_cbranch_execnz .LBB311_116
.LBB311_114:
	s_load_dwordx4 s[4:7], s[34:35], 0x4
	s_load_dwordx2 s[2:3], s[34:35], 0xc4
	s_cmp_lt_u32 s33, 2
	s_waitcnt lgkmcnt(0)
	v_mul_hi_u32 v1, s5, v3
	v_add_u32_e32 v1, v3, v1
	v_lshrrev_b32_e32 v1, s6, v1
	v_mul_lo_u32 v5, v1, s4
	v_sub_u32_e32 v3, v3, v5
	v_mul_lo_u32 v26, v3, s3
	v_mul_lo_u32 v24, v3, s2
	s_cbranch_scc1 .LBB311_116
; %bb.115:
	s_load_dwordx4 s[4:7], s[34:35], 0x10
	s_load_dwordx2 s[2:3], s[34:35], 0xcc
	s_waitcnt lgkmcnt(0)
	v_mul_hi_u32 v3, s5, v1
	v_add_u32_e32 v3, v1, v3
	v_lshrrev_b32_e32 v3, s6, v3
	v_mul_lo_u32 v3, v3, s4
	v_sub_u32_e32 v1, v1, v3
	v_mad_u64_u32 v[24:25], s[4:5], v1, s2, v[24:25]
	v_mad_u64_u32 v[26:27], s[2:3], v1, s3, v[26:27]
.LBB311_116:
	s_and_b64 vcc, exec, s[0:1]
	s_cbranch_vccnz .LBB311_122
; %bb.117:
	s_cmp_lg_u32 s33, 0
	s_mov_b32 s24, 0
	s_cbranch_scc0 .LBB311_123
; %bb.118:
	s_min_u32 s25, s54, 15
	s_add_i32 s25, s25, 1
	s_cmp_eq_u32 s54, 2
	s_cbranch_scc1 .LBB311_124
; %bb.119:
	s_and_b32 s24, s25, 28
	s_add_u32 s20, s34, 0xc4
	s_addc_u32 s21, s35, 0
	s_mov_b32 s26, 0
	v_mov_b32_e32 v28, 0
	v_mov_b32_e32 v30, 0
	s_mov_b64 s[22:23], s[34:35]
	v_mov_b32_e32 v3, v32
.LBB311_120:                            ; =>This Inner Loop Header: Depth=1
	s_load_dwordx8 s[8:15], s[22:23], 0x4
	s_load_dwordx4 s[16:19], s[22:23], 0x24
	s_load_dwordx8 s[0:7], s[20:21], 0x0
	s_add_u32 s22, s22, 48
	s_addc_u32 s23, s23, 0
	s_waitcnt lgkmcnt(0)
	v_mul_hi_u32 v1, s9, v3
	v_add_u32_e32 v1, v3, v1
	v_lshrrev_b32_e32 v1, s10, v1
	v_mul_lo_u32 v5, v1, s8
	v_mul_hi_u32 v7, s12, v1
	v_sub_u32_e32 v3, v3, v5
	v_add_u32_e32 v5, v1, v7
	v_lshrrev_b32_e32 v5, s13, v5
	v_mul_lo_u32 v9, v5, s11
	v_mul_hi_u32 v11, s15, v5
	v_sub_u32_e32 v1, v1, v9
	v_add_u32_e32 v9, v5, v11
	v_mul_lo_u32 v7, v3, s1
	v_mul_lo_u32 v3, v3, s0
	;; [unrolled: 1-line block ×4, first 2 shown]
	v_lshrrev_b32_e32 v9, s16, v9
	v_add3_u32 v1, v3, v28, v1
	v_add3_u32 v7, v7, v30, v11
	v_mul_lo_u32 v3, v9, s14
	v_mul_hi_u32 v11, s18, v9
	v_sub_u32_e32 v3, v5, v3
	v_add_u32_e32 v5, v9, v11
	v_mul_lo_u32 v11, v3, s4
	v_mul_lo_u32 v13, v3, s5
	v_lshrrev_b32_e32 v3, s19, v5
	s_add_i32 s26, s26, 4
	v_mul_lo_u32 v5, v3, s17
	s_add_u32 s20, s20, 32
	v_sub_u32_e32 v5, v9, v5
	s_addc_u32 s21, s21, 0
	v_mul_lo_u32 v9, v5, s6
	v_mul_lo_u32 v5, v5, s7
	s_cmp_lg_u32 s24, s26
	v_add3_u32 v30, v13, v7, v5
	v_add3_u32 v28, v11, v1, v9
	s_cbranch_scc1 .LBB311_120
; %bb.121:
	v_mov_b32_e32 v1, v30
	s_and_b32 s4, s25, 3
	s_cmp_eq_u32 s4, 0
	s_cbranch_scc0 .LBB311_125
	s_branch .LBB311_127
.LBB311_122:
                                        ; implicit-def: $vgpr30
                                        ; implicit-def: $vgpr28
	s_branch .LBB311_128
.LBB311_123:
	v_mov_b32_e32 v30, 0
	v_mov_b32_e32 v28, 0
	s_branch .LBB311_127
.LBB311_124:
	v_mov_b32_e32 v28, 0
                                        ; implicit-def: $vgpr30
	v_mov_b32_e32 v1, v28
	v_mov_b32_e32 v3, v32
	s_and_b32 s4, s25, 3
	s_cmp_eq_u32 s4, 0
	s_cbranch_scc1 .LBB311_127
.LBB311_125:
	s_lshl_b32 s0, s24, 3
	s_add_u32 s0, s34, s0
	s_addc_u32 s1, s35, 0
	s_add_u32 s0, s0, 0xc4
	s_addc_u32 s1, s1, 0
	s_mul_i32 s2, s24, 12
	s_add_u32 s2, s34, s2
	s_addc_u32 s3, s35, 0
.LBB311_126:                            ; =>This Inner Loop Header: Depth=1
	s_load_dwordx2 s[6:7], s[2:3], 0x4
	s_load_dword s5, s[2:3], 0xc
	s_load_dwordx2 s[8:9], s[0:1], 0x0
	v_mov_b32_e32 v30, v1
	s_add_u32 s2, s2, 12
	s_waitcnt lgkmcnt(0)
	v_mul_hi_u32 v1, s7, v3
	v_add_u32_e32 v1, v3, v1
	v_lshrrev_b32_e32 v1, s5, v1
	s_addc_u32 s3, s3, 0
	v_mul_lo_u32 v5, v1, s6
	s_add_u32 s0, s0, 8
	v_sub_u32_e32 v5, v3, v5
	s_addc_u32 s1, s1, 0
	s_add_i32 s4, s4, -1
	v_mad_u64_u32 v[30:31], s[6:7], v5, s9, v[30:31]
	s_cmp_lg_u32 s4, 0
	v_mov_b32_e32 v3, v1
	v_mad_u64_u32 v[28:29], s[6:7], v5, s8, v[28:29]
	v_mov_b32_e32 v1, v30
	s_cbranch_scc1 .LBB311_126
.LBB311_127:
	s_cbranch_execnz .LBB311_130
.LBB311_128:
	s_load_dwordx4 s[0:3], s[34:35], 0x4
	s_load_dwordx2 s[4:5], s[34:35], 0xc4
	s_cmp_lt_u32 s33, 2
	s_waitcnt lgkmcnt(0)
	v_mul_hi_u32 v1, s1, v32
	v_add_u32_e32 v1, v32, v1
	v_lshrrev_b32_e32 v1, s2, v1
	v_mul_lo_u32 v3, v1, s0
	v_sub_u32_e32 v3, v32, v3
	v_mul_lo_u32 v30, v3, s5
	v_mul_lo_u32 v28, v3, s4
	s_cbranch_scc1 .LBB311_130
; %bb.129:
	s_load_dwordx4 s[0:3], s[34:35], 0x10
	s_load_dwordx2 s[4:5], s[34:35], 0xcc
	s_waitcnt lgkmcnt(0)
	v_mul_hi_u32 v3, s1, v1
	v_add_u32_e32 v3, v1, v3
	v_lshrrev_b32_e32 v3, s2, v3
	v_mul_lo_u32 v3, v3, s0
	v_sub_u32_e32 v1, v1, v3
	v_mad_u64_u32 v[28:29], s[0:1], v1, s4, v[28:29]
	v_mad_u64_u32 v[30:31], s[0:1], v1, s5, v[30:31]
.LBB311_130:
	s_load_dwordx4 s[0:3], s[34:35], 0x148
	s_load_dword s4, s[34:35], 0x158
	s_waitcnt lgkmcnt(0)
	global_load_ushort v1, v2, s[2:3]
	global_load_ushort v3, v6, s[2:3]
	;; [unrolled: 1-line block ×8, first 2 shown]
	s_lshr_b32 s2, s4, 16
	s_waitcnt vmcnt(7)
	v_max_i16_e32 v1, s4, v1
	s_waitcnt vmcnt(6)
	v_max_i16_e32 v2, s4, v3
	;; [unrolled: 2-line block ×8, first 2 shown]
	v_min_i16_e32 v1, s2, v1
	v_min_i16_e32 v2, s2, v2
	;; [unrolled: 1-line block ×8, first 2 shown]
	global_store_short v0, v1, s[0:1]
	global_store_short v4, v2, s[0:1]
	;; [unrolled: 1-line block ×8, first 2 shown]
	s_endpgm
.LBB311_131:
	v_mov_b32_e32 v2, 0
	v_mov_b32_e32 v0, 0
	s_branch .LBB311_137
.LBB311_132:
	v_mov_b32_e32 v2, 0
	v_mov_b32_e32 v0, 0
	s_branch .LBB311_154
.LBB311_133:
	v_mov_b32_e32 v0, 0
	s_mov_b32 s59, 0
	v_mov_b32_e32 v1, v0
                                        ; implicit-def: $vgpr2
	v_mov_b32_e32 v4, v24
.LBB311_134:
	s_and_b32 s4, s60, 3
	s_cmp_eq_u32 s4, 0
	s_cbranch_scc1 .LBB311_137
; %bb.135:
	s_lshl_b32 s0, s59, 3
	s_add_u32 s0, s34, s0
	s_addc_u32 s1, s35, 0
	s_add_u32 s0, s0, 0xc4
	s_addc_u32 s1, s1, 0
	s_mul_i32 s2, s59, 12
	s_add_u32 s2, s34, s2
	s_addc_u32 s3, s35, 0
.LBB311_136:                            ; =>This Inner Loop Header: Depth=1
	s_load_dwordx2 s[6:7], s[2:3], 0x4
	s_load_dword s5, s[2:3], 0xc
	s_load_dwordx2 s[8:9], s[0:1], 0x0
	v_mov_b32_e32 v2, v1
	s_add_u32 s2, s2, 12
	s_waitcnt lgkmcnt(0)
	v_mul_hi_u32 v1, s7, v4
	v_add_u32_e32 v1, v4, v1
	v_lshrrev_b32_e32 v1, s5, v1
	s_addc_u32 s3, s3, 0
	v_mul_lo_u32 v3, v1, s6
	s_add_u32 s0, s0, 8
	v_sub_u32_e32 v5, v4, v3
	s_addc_u32 s1, s1, 0
	s_add_i32 s4, s4, -1
	v_mov_b32_e32 v4, v1
	v_mad_u64_u32 v[2:3], s[6:7], v5, s9, v[2:3]
	v_mad_u64_u32 v[0:1], s[6:7], v5, s8, v[0:1]
	s_cmp_lg_u32 s4, 0
	v_mov_b32_e32 v1, v2
	s_cbranch_scc1 .LBB311_136
.LBB311_137:
	s_cbranch_execnz .LBB311_140
.LBB311_138:
	v_mul_hi_u32 v0, s21, v24
	v_add_u32_e32 v0, v24, v0
	v_lshrrev_b32_e32 v1, s22, v0
	v_mul_lo_u32 v0, v1, s20
	v_sub_u32_e32 v0, v24, v0
	v_mul_lo_u32 v2, v0, s25
	s_andn2_b64 vcc, exec, s[42:43]
	v_mul_lo_u32 v0, v0, s24
	s_cbranch_vccnz .LBB311_140
; %bb.139:
	v_mul_hi_u32 v3, s40, v1
	v_add_u32_e32 v3, v1, v3
	v_lshrrev_b32_e32 v3, s41, v3
	v_mul_lo_u32 v3, v3, s23
	v_sub_u32_e32 v3, v1, v3
	v_mad_u64_u32 v[0:1], s[0:1], v3, s26, v[0:1]
	v_mad_u64_u32 v[2:3], s[0:1], v3, s27, v[2:3]
.LBB311_140:
	global_load_ushort v1, v2, s[18:19]
	v_add_u32_e32 v24, 0x80, v24
	s_waitcnt vmcnt(0)
	v_max_i16_e32 v1, s55, v1
	v_min_i16_e32 v1, s56, v1
	global_store_short v0, v1, s[16:17]
	s_or_b64 exec, exec, s[48:49]
	v_cmp_gt_i32_e32 vcc, s57, v24
	s_and_saveexec_b64 s[48:49], vcc
	s_cbranch_execnz .LBB311_16
.LBB311_141:
	s_or_b64 exec, exec, s[48:49]
	v_cmp_gt_i32_e32 vcc, s57, v24
	s_and_saveexec_b64 s[48:49], vcc
	s_cbranch_execz .LBB311_158
.LBB311_142:
	s_andn2_b64 vcc, exec, s[36:37]
	s_cbranch_vccnz .LBB311_148
; %bb.143:
	s_andn2_b64 vcc, exec, s[46:47]
	s_cbranch_vccnz .LBB311_149
; %bb.144:
	s_add_i32 s60, s58, 1
	s_cmp_eq_u32 s54, 2
	s_cbranch_scc1 .LBB311_167
; %bb.145:
	s_and_b32 s59, s60, 28
	s_mov_b32 s61, 0
	v_mov_b32_e32 v0, 0
	v_mov_b32_e32 v2, 0
	s_mov_b64 s[50:51], s[34:35]
	s_mov_b64 s[52:53], s[44:45]
	v_mov_b32_e32 v4, v24
.LBB311_146:                            ; =>This Inner Loop Header: Depth=1
	s_load_dwordx8 s[8:15], s[50:51], 0x4
	s_load_dwordx4 s[28:31], s[50:51], 0x24
	s_load_dwordx8 s[0:7], s[52:53], 0x0
	s_add_u32 s50, s50, 48
	s_addc_u32 s51, s51, 0
	s_waitcnt lgkmcnt(0)
	v_mul_hi_u32 v1, s9, v4
	v_add_u32_e32 v1, v4, v1
	v_lshrrev_b32_e32 v1, s10, v1
	v_mul_lo_u32 v3, v1, s8
	v_mul_hi_u32 v5, s12, v1
	v_sub_u32_e32 v3, v4, v3
	v_add_u32_e32 v4, v1, v5
	v_lshrrev_b32_e32 v4, s13, v4
	v_mul_lo_u32 v6, v4, s11
	v_mul_hi_u32 v7, s15, v4
	v_sub_u32_e32 v1, v1, v6
	v_add_u32_e32 v6, v4, v7
	v_mul_lo_u32 v5, v3, s1
	v_mul_lo_u32 v3, v3, s0
	;; [unrolled: 1-line block ×4, first 2 shown]
	v_lshrrev_b32_e32 v6, s28, v6
	v_add3_u32 v0, v3, v0, v1
	v_mul_hi_u32 v3, s30, v6
	v_add3_u32 v1, v5, v2, v7
	v_mul_lo_u32 v2, v6, s14
	v_add_u32_e32 v3, v6, v3
	v_sub_u32_e32 v2, v4, v2
	v_lshrrev_b32_e32 v4, s31, v3
	s_add_i32 s61, s61, 4
	v_mul_lo_u32 v3, v4, s29
	s_add_u32 s52, s52, 32
	v_sub_u32_e32 v3, v6, v3
	s_addc_u32 s53, s53, 0
	v_mul_lo_u32 v5, v2, s4
	v_mul_lo_u32 v2, v2, s5
	;; [unrolled: 1-line block ×4, first 2 shown]
	s_cmp_eq_u32 s59, s61
	v_add3_u32 v2, v2, v1, v3
	v_add3_u32 v0, v5, v0, v6
	s_cbranch_scc0 .LBB311_146
; %bb.147:
	v_mov_b32_e32 v1, v2
	s_branch .LBB311_168
.LBB311_148:
                                        ; implicit-def: $vgpr2
                                        ; implicit-def: $vgpr0
	s_branch .LBB311_172
.LBB311_149:
	v_mov_b32_e32 v2, 0
	v_mov_b32_e32 v0, 0
	s_branch .LBB311_171
.LBB311_150:
	v_mov_b32_e32 v0, 0
	s_mov_b32 s59, 0
	v_mov_b32_e32 v1, v0
                                        ; implicit-def: $vgpr2
	v_mov_b32_e32 v4, v24
.LBB311_151:
	s_and_b32 s4, s60, 3
	s_cmp_eq_u32 s4, 0
	s_cbranch_scc1 .LBB311_154
; %bb.152:
	s_lshl_b32 s0, s59, 3
	s_add_u32 s0, s34, s0
	s_addc_u32 s1, s35, 0
	s_add_u32 s0, s0, 0xc4
	s_addc_u32 s1, s1, 0
	s_mul_i32 s2, s59, 12
	s_add_u32 s2, s34, s2
	s_addc_u32 s3, s35, 0
.LBB311_153:                            ; =>This Inner Loop Header: Depth=1
	s_load_dwordx2 s[6:7], s[2:3], 0x4
	s_load_dword s5, s[2:3], 0xc
	s_load_dwordx2 s[8:9], s[0:1], 0x0
	v_mov_b32_e32 v2, v1
	s_add_u32 s2, s2, 12
	s_waitcnt lgkmcnt(0)
	v_mul_hi_u32 v1, s7, v4
	v_add_u32_e32 v1, v4, v1
	v_lshrrev_b32_e32 v1, s5, v1
	s_addc_u32 s3, s3, 0
	v_mul_lo_u32 v3, v1, s6
	s_add_u32 s0, s0, 8
	v_sub_u32_e32 v5, v4, v3
	s_addc_u32 s1, s1, 0
	s_add_i32 s4, s4, -1
	v_mov_b32_e32 v4, v1
	v_mad_u64_u32 v[2:3], s[6:7], v5, s9, v[2:3]
	v_mad_u64_u32 v[0:1], s[6:7], v5, s8, v[0:1]
	s_cmp_lg_u32 s4, 0
	v_mov_b32_e32 v1, v2
	s_cbranch_scc1 .LBB311_153
.LBB311_154:
	s_cbranch_execnz .LBB311_157
.LBB311_155:
	v_mul_hi_u32 v0, s21, v24
	v_add_u32_e32 v0, v24, v0
	v_lshrrev_b32_e32 v1, s22, v0
	v_mul_lo_u32 v0, v1, s20
	v_sub_u32_e32 v0, v24, v0
	v_mul_lo_u32 v2, v0, s25
	s_andn2_b64 vcc, exec, s[42:43]
	v_mul_lo_u32 v0, v0, s24
	s_cbranch_vccnz .LBB311_157
; %bb.156:
	v_mul_hi_u32 v3, s40, v1
	v_add_u32_e32 v3, v1, v3
	v_lshrrev_b32_e32 v3, s41, v3
	v_mul_lo_u32 v3, v3, s23
	v_sub_u32_e32 v3, v1, v3
	v_mad_u64_u32 v[0:1], s[0:1], v3, s26, v[0:1]
	v_mad_u64_u32 v[2:3], s[0:1], v3, s27, v[2:3]
.LBB311_157:
	global_load_ushort v1, v2, s[18:19]
	v_add_u32_e32 v24, 0x80, v24
	s_waitcnt vmcnt(0)
	v_max_i16_e32 v1, s55, v1
	v_min_i16_e32 v1, s56, v1
	global_store_short v0, v1, s[16:17]
	s_or_b64 exec, exec, s[48:49]
	v_cmp_gt_i32_e32 vcc, s57, v24
	s_and_saveexec_b64 s[48:49], vcc
	s_cbranch_execnz .LBB311_142
.LBB311_158:
	s_or_b64 exec, exec, s[48:49]
	v_cmp_gt_i32_e32 vcc, s57, v24
	s_and_saveexec_b64 s[48:49], vcc
	s_cbranch_execz .LBB311_175
.LBB311_159:
	s_andn2_b64 vcc, exec, s[36:37]
	s_cbranch_vccnz .LBB311_165
; %bb.160:
	s_andn2_b64 vcc, exec, s[46:47]
	s_cbranch_vccnz .LBB311_166
; %bb.161:
	s_add_i32 s60, s58, 1
	s_cmp_eq_u32 s54, 2
	s_cbranch_scc1 .LBB311_184
; %bb.162:
	s_and_b32 s59, s60, 28
	s_mov_b32 s61, 0
	v_mov_b32_e32 v0, 0
	v_mov_b32_e32 v2, 0
	s_mov_b64 s[50:51], s[34:35]
	s_mov_b64 s[52:53], s[44:45]
	v_mov_b32_e32 v4, v24
.LBB311_163:                            ; =>This Inner Loop Header: Depth=1
	s_load_dwordx8 s[8:15], s[50:51], 0x4
	s_load_dwordx4 s[28:31], s[50:51], 0x24
	s_load_dwordx8 s[0:7], s[52:53], 0x0
	s_add_u32 s50, s50, 48
	s_addc_u32 s51, s51, 0
	s_waitcnt lgkmcnt(0)
	v_mul_hi_u32 v1, s9, v4
	v_add_u32_e32 v1, v4, v1
	v_lshrrev_b32_e32 v1, s10, v1
	v_mul_lo_u32 v3, v1, s8
	v_mul_hi_u32 v5, s12, v1
	v_sub_u32_e32 v3, v4, v3
	v_add_u32_e32 v4, v1, v5
	v_lshrrev_b32_e32 v4, s13, v4
	v_mul_lo_u32 v6, v4, s11
	v_mul_hi_u32 v7, s15, v4
	v_sub_u32_e32 v1, v1, v6
	v_add_u32_e32 v6, v4, v7
	v_mul_lo_u32 v5, v3, s1
	v_mul_lo_u32 v3, v3, s0
	;; [unrolled: 1-line block ×4, first 2 shown]
	v_lshrrev_b32_e32 v6, s28, v6
	v_add3_u32 v0, v3, v0, v1
	v_mul_hi_u32 v3, s30, v6
	v_add3_u32 v1, v5, v2, v7
	v_mul_lo_u32 v2, v6, s14
	v_add_u32_e32 v3, v6, v3
	v_sub_u32_e32 v2, v4, v2
	v_lshrrev_b32_e32 v4, s31, v3
	s_add_i32 s61, s61, 4
	v_mul_lo_u32 v3, v4, s29
	s_add_u32 s52, s52, 32
	v_sub_u32_e32 v3, v6, v3
	s_addc_u32 s53, s53, 0
	v_mul_lo_u32 v5, v2, s4
	v_mul_lo_u32 v2, v2, s5
	;; [unrolled: 1-line block ×4, first 2 shown]
	s_cmp_eq_u32 s59, s61
	v_add3_u32 v2, v2, v1, v3
	v_add3_u32 v0, v5, v0, v6
	s_cbranch_scc0 .LBB311_163
; %bb.164:
	v_mov_b32_e32 v1, v2
	s_branch .LBB311_185
.LBB311_165:
                                        ; implicit-def: $vgpr2
                                        ; implicit-def: $vgpr0
	s_branch .LBB311_189
.LBB311_166:
	v_mov_b32_e32 v2, 0
	v_mov_b32_e32 v0, 0
	s_branch .LBB311_188
.LBB311_167:
	v_mov_b32_e32 v0, 0
	s_mov_b32 s59, 0
	v_mov_b32_e32 v1, v0
                                        ; implicit-def: $vgpr2
	v_mov_b32_e32 v4, v24
.LBB311_168:
	s_and_b32 s4, s60, 3
	s_cmp_eq_u32 s4, 0
	s_cbranch_scc1 .LBB311_171
; %bb.169:
	s_lshl_b32 s0, s59, 3
	s_add_u32 s0, s34, s0
	s_addc_u32 s1, s35, 0
	s_add_u32 s0, s0, 0xc4
	s_addc_u32 s1, s1, 0
	s_mul_i32 s2, s59, 12
	s_add_u32 s2, s34, s2
	s_addc_u32 s3, s35, 0
.LBB311_170:                            ; =>This Inner Loop Header: Depth=1
	s_load_dwordx2 s[6:7], s[2:3], 0x4
	s_load_dword s5, s[2:3], 0xc
	s_load_dwordx2 s[8:9], s[0:1], 0x0
	v_mov_b32_e32 v2, v1
	s_add_u32 s2, s2, 12
	s_waitcnt lgkmcnt(0)
	v_mul_hi_u32 v1, s7, v4
	v_add_u32_e32 v1, v4, v1
	v_lshrrev_b32_e32 v1, s5, v1
	s_addc_u32 s3, s3, 0
	v_mul_lo_u32 v3, v1, s6
	s_add_u32 s0, s0, 8
	v_sub_u32_e32 v5, v4, v3
	s_addc_u32 s1, s1, 0
	s_add_i32 s4, s4, -1
	v_mov_b32_e32 v4, v1
	v_mad_u64_u32 v[2:3], s[6:7], v5, s9, v[2:3]
	v_mad_u64_u32 v[0:1], s[6:7], v5, s8, v[0:1]
	s_cmp_lg_u32 s4, 0
	v_mov_b32_e32 v1, v2
	s_cbranch_scc1 .LBB311_170
.LBB311_171:
	s_cbranch_execnz .LBB311_174
.LBB311_172:
	v_mul_hi_u32 v0, s21, v24
	v_add_u32_e32 v0, v24, v0
	v_lshrrev_b32_e32 v1, s22, v0
	v_mul_lo_u32 v0, v1, s20
	v_sub_u32_e32 v0, v24, v0
	v_mul_lo_u32 v2, v0, s25
	s_andn2_b64 vcc, exec, s[42:43]
	v_mul_lo_u32 v0, v0, s24
	s_cbranch_vccnz .LBB311_174
; %bb.173:
	v_mul_hi_u32 v3, s40, v1
	v_add_u32_e32 v3, v1, v3
	v_lshrrev_b32_e32 v3, s41, v3
	v_mul_lo_u32 v3, v3, s23
	v_sub_u32_e32 v3, v1, v3
	v_mad_u64_u32 v[0:1], s[0:1], v3, s26, v[0:1]
	v_mad_u64_u32 v[2:3], s[0:1], v3, s27, v[2:3]
.LBB311_174:
	global_load_ushort v1, v2, s[18:19]
	v_add_u32_e32 v24, 0x80, v24
	s_waitcnt vmcnt(0)
	v_max_i16_e32 v1, s55, v1
	v_min_i16_e32 v1, s56, v1
	global_store_short v0, v1, s[16:17]
	s_or_b64 exec, exec, s[48:49]
	v_cmp_gt_i32_e32 vcc, s57, v24
	s_and_saveexec_b64 s[48:49], vcc
	s_cbranch_execnz .LBB311_159
.LBB311_175:
	s_or_b64 exec, exec, s[48:49]
	v_cmp_gt_i32_e32 vcc, s57, v24
	s_and_saveexec_b64 s[48:49], vcc
	s_cbranch_execz .LBB311_192
.LBB311_176:
	s_andn2_b64 vcc, exec, s[36:37]
	s_cbranch_vccnz .LBB311_182
; %bb.177:
	s_andn2_b64 vcc, exec, s[46:47]
	s_cbranch_vccnz .LBB311_183
; %bb.178:
	s_add_i32 s60, s58, 1
	s_cmp_eq_u32 s54, 2
	s_cbranch_scc1 .LBB311_201
; %bb.179:
	s_and_b32 s59, s60, 28
	s_mov_b32 s61, 0
	v_mov_b32_e32 v0, 0
	v_mov_b32_e32 v2, 0
	s_mov_b64 s[50:51], s[34:35]
	s_mov_b64 s[52:53], s[44:45]
	v_mov_b32_e32 v4, v24
.LBB311_180:                            ; =>This Inner Loop Header: Depth=1
	s_load_dwordx8 s[8:15], s[50:51], 0x4
	s_load_dwordx4 s[28:31], s[50:51], 0x24
	s_load_dwordx8 s[0:7], s[52:53], 0x0
	s_add_u32 s50, s50, 48
	s_addc_u32 s51, s51, 0
	s_waitcnt lgkmcnt(0)
	v_mul_hi_u32 v1, s9, v4
	v_add_u32_e32 v1, v4, v1
	v_lshrrev_b32_e32 v1, s10, v1
	v_mul_lo_u32 v3, v1, s8
	v_mul_hi_u32 v5, s12, v1
	v_sub_u32_e32 v3, v4, v3
	v_add_u32_e32 v4, v1, v5
	v_lshrrev_b32_e32 v4, s13, v4
	v_mul_lo_u32 v6, v4, s11
	v_mul_hi_u32 v7, s15, v4
	v_sub_u32_e32 v1, v1, v6
	v_add_u32_e32 v6, v4, v7
	v_mul_lo_u32 v5, v3, s1
	v_mul_lo_u32 v3, v3, s0
	;; [unrolled: 1-line block ×4, first 2 shown]
	v_lshrrev_b32_e32 v6, s28, v6
	v_add3_u32 v0, v3, v0, v1
	v_mul_hi_u32 v3, s30, v6
	v_add3_u32 v1, v5, v2, v7
	v_mul_lo_u32 v2, v6, s14
	v_add_u32_e32 v3, v6, v3
	v_sub_u32_e32 v2, v4, v2
	v_lshrrev_b32_e32 v4, s31, v3
	s_add_i32 s61, s61, 4
	v_mul_lo_u32 v3, v4, s29
	s_add_u32 s52, s52, 32
	v_sub_u32_e32 v3, v6, v3
	s_addc_u32 s53, s53, 0
	v_mul_lo_u32 v5, v2, s4
	v_mul_lo_u32 v2, v2, s5
	;; [unrolled: 1-line block ×4, first 2 shown]
	s_cmp_eq_u32 s59, s61
	v_add3_u32 v2, v2, v1, v3
	v_add3_u32 v0, v5, v0, v6
	s_cbranch_scc0 .LBB311_180
; %bb.181:
	v_mov_b32_e32 v1, v2
	s_branch .LBB311_202
.LBB311_182:
                                        ; implicit-def: $vgpr2
                                        ; implicit-def: $vgpr0
	s_branch .LBB311_206
.LBB311_183:
	v_mov_b32_e32 v2, 0
	v_mov_b32_e32 v0, 0
	s_branch .LBB311_205
.LBB311_184:
	v_mov_b32_e32 v0, 0
	s_mov_b32 s59, 0
	v_mov_b32_e32 v1, v0
                                        ; implicit-def: $vgpr2
	v_mov_b32_e32 v4, v24
.LBB311_185:
	s_and_b32 s4, s60, 3
	s_cmp_eq_u32 s4, 0
	s_cbranch_scc1 .LBB311_188
; %bb.186:
	s_lshl_b32 s0, s59, 3
	s_add_u32 s0, s34, s0
	s_addc_u32 s1, s35, 0
	s_add_u32 s0, s0, 0xc4
	s_addc_u32 s1, s1, 0
	s_mul_i32 s2, s59, 12
	s_add_u32 s2, s34, s2
	s_addc_u32 s3, s35, 0
.LBB311_187:                            ; =>This Inner Loop Header: Depth=1
	s_load_dwordx2 s[6:7], s[2:3], 0x4
	s_load_dword s5, s[2:3], 0xc
	s_load_dwordx2 s[8:9], s[0:1], 0x0
	v_mov_b32_e32 v2, v1
	s_add_u32 s2, s2, 12
	s_waitcnt lgkmcnt(0)
	v_mul_hi_u32 v1, s7, v4
	v_add_u32_e32 v1, v4, v1
	v_lshrrev_b32_e32 v1, s5, v1
	s_addc_u32 s3, s3, 0
	v_mul_lo_u32 v3, v1, s6
	s_add_u32 s0, s0, 8
	v_sub_u32_e32 v5, v4, v3
	s_addc_u32 s1, s1, 0
	s_add_i32 s4, s4, -1
	v_mov_b32_e32 v4, v1
	v_mad_u64_u32 v[2:3], s[6:7], v5, s9, v[2:3]
	v_mad_u64_u32 v[0:1], s[6:7], v5, s8, v[0:1]
	s_cmp_lg_u32 s4, 0
	v_mov_b32_e32 v1, v2
	s_cbranch_scc1 .LBB311_187
.LBB311_188:
	s_cbranch_execnz .LBB311_191
.LBB311_189:
	v_mul_hi_u32 v0, s21, v24
	v_add_u32_e32 v0, v24, v0
	v_lshrrev_b32_e32 v1, s22, v0
	v_mul_lo_u32 v0, v1, s20
	v_sub_u32_e32 v0, v24, v0
	v_mul_lo_u32 v2, v0, s25
	s_andn2_b64 vcc, exec, s[42:43]
	v_mul_lo_u32 v0, v0, s24
	s_cbranch_vccnz .LBB311_191
; %bb.190:
	v_mul_hi_u32 v3, s40, v1
	v_add_u32_e32 v3, v1, v3
	v_lshrrev_b32_e32 v3, s41, v3
	v_mul_lo_u32 v3, v3, s23
	v_sub_u32_e32 v3, v1, v3
	v_mad_u64_u32 v[0:1], s[0:1], v3, s26, v[0:1]
	v_mad_u64_u32 v[2:3], s[0:1], v3, s27, v[2:3]
.LBB311_191:
	global_load_ushort v1, v2, s[18:19]
	v_add_u32_e32 v24, 0x80, v24
	s_waitcnt vmcnt(0)
	v_max_i16_e32 v1, s55, v1
	v_min_i16_e32 v1, s56, v1
	global_store_short v0, v1, s[16:17]
	s_or_b64 exec, exec, s[48:49]
	v_cmp_gt_i32_e32 vcc, s57, v24
	s_and_saveexec_b64 s[48:49], vcc
	s_cbranch_execnz .LBB311_176
.LBB311_192:
	s_or_b64 exec, exec, s[48:49]
	v_cmp_gt_i32_e32 vcc, s57, v24
	s_and_saveexec_b64 s[48:49], vcc
	s_cbranch_execz .LBB311_209
.LBB311_193:
	s_andn2_b64 vcc, exec, s[36:37]
	s_cbranch_vccnz .LBB311_199
; %bb.194:
	s_andn2_b64 vcc, exec, s[46:47]
	s_cbranch_vccnz .LBB311_200
; %bb.195:
	s_add_i32 s60, s58, 1
	s_cmp_eq_u32 s54, 2
	s_cbranch_scc1 .LBB311_218
; %bb.196:
	s_and_b32 s59, s60, 28
	s_mov_b32 s61, 0
	v_mov_b32_e32 v0, 0
	v_mov_b32_e32 v2, 0
	s_mov_b64 s[50:51], s[34:35]
	s_mov_b64 s[52:53], s[44:45]
	v_mov_b32_e32 v4, v24
.LBB311_197:                            ; =>This Inner Loop Header: Depth=1
	s_load_dwordx8 s[8:15], s[50:51], 0x4
	s_load_dwordx4 s[28:31], s[50:51], 0x24
	s_load_dwordx8 s[0:7], s[52:53], 0x0
	s_add_u32 s50, s50, 48
	s_addc_u32 s51, s51, 0
	s_waitcnt lgkmcnt(0)
	v_mul_hi_u32 v1, s9, v4
	v_add_u32_e32 v1, v4, v1
	v_lshrrev_b32_e32 v1, s10, v1
	v_mul_lo_u32 v3, v1, s8
	v_mul_hi_u32 v5, s12, v1
	v_sub_u32_e32 v3, v4, v3
	v_add_u32_e32 v4, v1, v5
	v_lshrrev_b32_e32 v4, s13, v4
	v_mul_lo_u32 v6, v4, s11
	v_mul_hi_u32 v7, s15, v4
	v_sub_u32_e32 v1, v1, v6
	v_add_u32_e32 v6, v4, v7
	v_mul_lo_u32 v5, v3, s1
	v_mul_lo_u32 v3, v3, s0
	;; [unrolled: 1-line block ×4, first 2 shown]
	v_lshrrev_b32_e32 v6, s28, v6
	v_add3_u32 v0, v3, v0, v1
	v_mul_hi_u32 v3, s30, v6
	v_add3_u32 v1, v5, v2, v7
	v_mul_lo_u32 v2, v6, s14
	v_add_u32_e32 v3, v6, v3
	v_sub_u32_e32 v2, v4, v2
	v_lshrrev_b32_e32 v4, s31, v3
	s_add_i32 s61, s61, 4
	v_mul_lo_u32 v3, v4, s29
	s_add_u32 s52, s52, 32
	v_sub_u32_e32 v3, v6, v3
	s_addc_u32 s53, s53, 0
	v_mul_lo_u32 v5, v2, s4
	v_mul_lo_u32 v2, v2, s5
	v_mul_lo_u32 v6, v3, s6
	v_mul_lo_u32 v3, v3, s7
	s_cmp_eq_u32 s59, s61
	v_add3_u32 v2, v2, v1, v3
	v_add3_u32 v0, v5, v0, v6
	s_cbranch_scc0 .LBB311_197
; %bb.198:
	v_mov_b32_e32 v1, v2
	s_branch .LBB311_219
.LBB311_199:
                                        ; implicit-def: $vgpr2
                                        ; implicit-def: $vgpr0
	s_branch .LBB311_223
.LBB311_200:
	v_mov_b32_e32 v2, 0
	v_mov_b32_e32 v0, 0
	s_branch .LBB311_222
.LBB311_201:
	v_mov_b32_e32 v0, 0
	s_mov_b32 s59, 0
	v_mov_b32_e32 v1, v0
                                        ; implicit-def: $vgpr2
	v_mov_b32_e32 v4, v24
.LBB311_202:
	s_and_b32 s4, s60, 3
	s_cmp_eq_u32 s4, 0
	s_cbranch_scc1 .LBB311_205
; %bb.203:
	s_lshl_b32 s0, s59, 3
	s_add_u32 s0, s34, s0
	s_addc_u32 s1, s35, 0
	s_add_u32 s0, s0, 0xc4
	s_addc_u32 s1, s1, 0
	s_mul_i32 s2, s59, 12
	s_add_u32 s2, s34, s2
	s_addc_u32 s3, s35, 0
.LBB311_204:                            ; =>This Inner Loop Header: Depth=1
	s_load_dwordx2 s[6:7], s[2:3], 0x4
	s_load_dword s5, s[2:3], 0xc
	s_load_dwordx2 s[8:9], s[0:1], 0x0
	v_mov_b32_e32 v2, v1
	s_add_u32 s2, s2, 12
	s_waitcnt lgkmcnt(0)
	v_mul_hi_u32 v1, s7, v4
	v_add_u32_e32 v1, v4, v1
	v_lshrrev_b32_e32 v1, s5, v1
	s_addc_u32 s3, s3, 0
	v_mul_lo_u32 v3, v1, s6
	s_add_u32 s0, s0, 8
	v_sub_u32_e32 v5, v4, v3
	s_addc_u32 s1, s1, 0
	s_add_i32 s4, s4, -1
	v_mov_b32_e32 v4, v1
	v_mad_u64_u32 v[2:3], s[6:7], v5, s9, v[2:3]
	v_mad_u64_u32 v[0:1], s[6:7], v5, s8, v[0:1]
	s_cmp_lg_u32 s4, 0
	v_mov_b32_e32 v1, v2
	s_cbranch_scc1 .LBB311_204
.LBB311_205:
	s_cbranch_execnz .LBB311_208
.LBB311_206:
	v_mul_hi_u32 v0, s21, v24
	v_add_u32_e32 v0, v24, v0
	v_lshrrev_b32_e32 v1, s22, v0
	v_mul_lo_u32 v0, v1, s20
	v_sub_u32_e32 v0, v24, v0
	v_mul_lo_u32 v2, v0, s25
	s_andn2_b64 vcc, exec, s[42:43]
	v_mul_lo_u32 v0, v0, s24
	s_cbranch_vccnz .LBB311_208
; %bb.207:
	v_mul_hi_u32 v3, s40, v1
	v_add_u32_e32 v3, v1, v3
	v_lshrrev_b32_e32 v3, s41, v3
	v_mul_lo_u32 v3, v3, s23
	v_sub_u32_e32 v3, v1, v3
	v_mad_u64_u32 v[0:1], s[0:1], v3, s26, v[0:1]
	v_mad_u64_u32 v[2:3], s[0:1], v3, s27, v[2:3]
.LBB311_208:
	global_load_ushort v1, v2, s[18:19]
	v_add_u32_e32 v24, 0x80, v24
	s_waitcnt vmcnt(0)
	v_max_i16_e32 v1, s55, v1
	v_min_i16_e32 v1, s56, v1
	global_store_short v0, v1, s[16:17]
	s_or_b64 exec, exec, s[48:49]
	v_cmp_gt_i32_e32 vcc, s57, v24
	s_and_saveexec_b64 s[48:49], vcc
	s_cbranch_execnz .LBB311_193
.LBB311_209:
	s_or_b64 exec, exec, s[48:49]
	v_cmp_gt_i32_e32 vcc, s57, v24
	s_and_saveexec_b64 s[48:49], vcc
	s_cbranch_execz .LBB311_226
.LBB311_210:
	s_andn2_b64 vcc, exec, s[36:37]
	s_cbranch_vccnz .LBB311_216
; %bb.211:
	s_andn2_b64 vcc, exec, s[46:47]
	s_cbranch_vccnz .LBB311_217
; %bb.212:
	s_add_i32 s60, s58, 1
	s_cmp_eq_u32 s54, 2
	s_cbranch_scc1 .LBB311_229
; %bb.213:
	s_and_b32 s59, s60, 28
	s_mov_b32 s61, 0
	v_mov_b32_e32 v0, 0
	v_mov_b32_e32 v2, 0
	s_mov_b64 s[50:51], s[34:35]
	s_mov_b64 s[52:53], s[44:45]
	v_mov_b32_e32 v4, v24
.LBB311_214:                            ; =>This Inner Loop Header: Depth=1
	s_load_dwordx8 s[8:15], s[50:51], 0x4
	s_load_dwordx4 s[28:31], s[50:51], 0x24
	s_load_dwordx8 s[0:7], s[52:53], 0x0
	s_add_u32 s50, s50, 48
	s_addc_u32 s51, s51, 0
	s_waitcnt lgkmcnt(0)
	v_mul_hi_u32 v1, s9, v4
	v_add_u32_e32 v1, v4, v1
	v_lshrrev_b32_e32 v1, s10, v1
	v_mul_lo_u32 v3, v1, s8
	v_mul_hi_u32 v5, s12, v1
	v_sub_u32_e32 v3, v4, v3
	v_add_u32_e32 v4, v1, v5
	v_lshrrev_b32_e32 v4, s13, v4
	v_mul_lo_u32 v6, v4, s11
	v_mul_hi_u32 v7, s15, v4
	v_sub_u32_e32 v1, v1, v6
	v_add_u32_e32 v6, v4, v7
	v_mul_lo_u32 v5, v3, s1
	v_mul_lo_u32 v3, v3, s0
	;; [unrolled: 1-line block ×4, first 2 shown]
	v_lshrrev_b32_e32 v6, s28, v6
	v_add3_u32 v0, v3, v0, v1
	v_mul_hi_u32 v3, s30, v6
	v_add3_u32 v1, v5, v2, v7
	v_mul_lo_u32 v2, v6, s14
	v_add_u32_e32 v3, v6, v3
	v_sub_u32_e32 v2, v4, v2
	v_lshrrev_b32_e32 v4, s31, v3
	s_add_i32 s61, s61, 4
	v_mul_lo_u32 v3, v4, s29
	s_add_u32 s52, s52, 32
	v_sub_u32_e32 v3, v6, v3
	s_addc_u32 s53, s53, 0
	v_mul_lo_u32 v5, v2, s4
	v_mul_lo_u32 v2, v2, s5
	;; [unrolled: 1-line block ×4, first 2 shown]
	s_cmp_eq_u32 s59, s61
	v_add3_u32 v2, v2, v1, v3
	v_add3_u32 v0, v5, v0, v6
	s_cbranch_scc0 .LBB311_214
; %bb.215:
	v_mov_b32_e32 v1, v2
	s_branch .LBB311_230
.LBB311_216:
                                        ; implicit-def: $vgpr2
                                        ; implicit-def: $vgpr0
	s_branch .LBB311_234
.LBB311_217:
	v_mov_b32_e32 v2, 0
	v_mov_b32_e32 v0, 0
	s_branch .LBB311_233
.LBB311_218:
	v_mov_b32_e32 v0, 0
	s_mov_b32 s59, 0
	v_mov_b32_e32 v1, v0
                                        ; implicit-def: $vgpr2
	v_mov_b32_e32 v4, v24
.LBB311_219:
	s_and_b32 s4, s60, 3
	s_cmp_eq_u32 s4, 0
	s_cbranch_scc1 .LBB311_222
; %bb.220:
	s_lshl_b32 s0, s59, 3
	s_add_u32 s0, s34, s0
	s_addc_u32 s1, s35, 0
	s_add_u32 s0, s0, 0xc4
	s_addc_u32 s1, s1, 0
	s_mul_i32 s2, s59, 12
	s_add_u32 s2, s34, s2
	s_addc_u32 s3, s35, 0
.LBB311_221:                            ; =>This Inner Loop Header: Depth=1
	s_load_dwordx2 s[6:7], s[2:3], 0x4
	s_load_dword s5, s[2:3], 0xc
	s_load_dwordx2 s[8:9], s[0:1], 0x0
	v_mov_b32_e32 v2, v1
	s_add_u32 s2, s2, 12
	s_waitcnt lgkmcnt(0)
	v_mul_hi_u32 v1, s7, v4
	v_add_u32_e32 v1, v4, v1
	v_lshrrev_b32_e32 v1, s5, v1
	s_addc_u32 s3, s3, 0
	v_mul_lo_u32 v3, v1, s6
	s_add_u32 s0, s0, 8
	v_sub_u32_e32 v5, v4, v3
	s_addc_u32 s1, s1, 0
	s_add_i32 s4, s4, -1
	v_mov_b32_e32 v4, v1
	v_mad_u64_u32 v[2:3], s[6:7], v5, s9, v[2:3]
	v_mad_u64_u32 v[0:1], s[6:7], v5, s8, v[0:1]
	s_cmp_lg_u32 s4, 0
	v_mov_b32_e32 v1, v2
	s_cbranch_scc1 .LBB311_221
.LBB311_222:
	s_cbranch_execnz .LBB311_225
.LBB311_223:
	v_mul_hi_u32 v0, s21, v24
	v_add_u32_e32 v0, v24, v0
	v_lshrrev_b32_e32 v1, s22, v0
	v_mul_lo_u32 v0, v1, s20
	v_sub_u32_e32 v0, v24, v0
	v_mul_lo_u32 v2, v0, s25
	s_andn2_b64 vcc, exec, s[42:43]
	v_mul_lo_u32 v0, v0, s24
	s_cbranch_vccnz .LBB311_225
; %bb.224:
	v_mul_hi_u32 v3, s40, v1
	v_add_u32_e32 v3, v1, v3
	v_lshrrev_b32_e32 v3, s41, v3
	v_mul_lo_u32 v3, v3, s23
	v_sub_u32_e32 v3, v1, v3
	v_mad_u64_u32 v[0:1], s[0:1], v3, s26, v[0:1]
	v_mad_u64_u32 v[2:3], s[0:1], v3, s27, v[2:3]
.LBB311_225:
	global_load_ushort v1, v2, s[18:19]
	v_add_u32_e32 v24, 0x80, v24
	s_waitcnt vmcnt(0)
	v_max_i16_e32 v1, s55, v1
	v_min_i16_e32 v1, s56, v1
	global_store_short v0, v1, s[16:17]
	s_or_b64 exec, exec, s[48:49]
	v_cmp_gt_i32_e32 vcc, s57, v24
	s_and_saveexec_b64 s[48:49], vcc
	s_cbranch_execnz .LBB311_210
.LBB311_226:
	s_or_b64 exec, exec, s[48:49]
	v_cmp_gt_i32_e32 vcc, s57, v24
	s_and_saveexec_b64 s[48:49], vcc
	s_cbranch_execnz .LBB311_237
.LBB311_227:
	s_or_b64 exec, exec, s[48:49]
                                        ; implicit-def: $vgpr32
                                        ; implicit-def: $vgpr24
	s_andn2_saveexec_b64 s[0:1], s[38:39]
	s_cbranch_execnz .LBB311_9
.LBB311_228:
	s_endpgm
.LBB311_229:
	v_mov_b32_e32 v0, 0
	s_mov_b32 s59, 0
	v_mov_b32_e32 v1, v0
                                        ; implicit-def: $vgpr2
	v_mov_b32_e32 v4, v24
.LBB311_230:
	s_and_b32 s4, s60, 3
	s_cmp_eq_u32 s4, 0
	s_cbranch_scc1 .LBB311_233
; %bb.231:
	s_lshl_b32 s0, s59, 3
	s_add_u32 s0, s34, s0
	s_addc_u32 s1, s35, 0
	s_add_u32 s0, s0, 0xc4
	s_addc_u32 s1, s1, 0
	s_mul_i32 s2, s59, 12
	s_add_u32 s2, s34, s2
	s_addc_u32 s3, s35, 0
.LBB311_232:                            ; =>This Inner Loop Header: Depth=1
	s_load_dwordx2 s[6:7], s[2:3], 0x4
	s_load_dword s5, s[2:3], 0xc
	s_load_dwordx2 s[8:9], s[0:1], 0x0
	v_mov_b32_e32 v2, v1
	s_add_u32 s2, s2, 12
	s_waitcnt lgkmcnt(0)
	v_mul_hi_u32 v1, s7, v4
	v_add_u32_e32 v1, v4, v1
	v_lshrrev_b32_e32 v1, s5, v1
	s_addc_u32 s3, s3, 0
	v_mul_lo_u32 v3, v1, s6
	s_add_u32 s0, s0, 8
	v_sub_u32_e32 v5, v4, v3
	s_addc_u32 s1, s1, 0
	s_add_i32 s4, s4, -1
	v_mov_b32_e32 v4, v1
	v_mad_u64_u32 v[2:3], s[6:7], v5, s9, v[2:3]
	v_mad_u64_u32 v[0:1], s[6:7], v5, s8, v[0:1]
	s_cmp_lg_u32 s4, 0
	v_mov_b32_e32 v1, v2
	s_cbranch_scc1 .LBB311_232
.LBB311_233:
	s_cbranch_execnz .LBB311_236
.LBB311_234:
	v_mul_hi_u32 v0, s21, v24
	v_add_u32_e32 v0, v24, v0
	v_lshrrev_b32_e32 v1, s22, v0
	v_mul_lo_u32 v0, v1, s20
	v_sub_u32_e32 v0, v24, v0
	v_mul_lo_u32 v2, v0, s25
	s_andn2_b64 vcc, exec, s[42:43]
	v_mul_lo_u32 v0, v0, s24
	s_cbranch_vccnz .LBB311_236
; %bb.235:
	v_mul_hi_u32 v3, s40, v1
	v_add_u32_e32 v3, v1, v3
	v_lshrrev_b32_e32 v3, s41, v3
	v_mul_lo_u32 v3, v3, s23
	v_sub_u32_e32 v3, v1, v3
	v_mad_u64_u32 v[0:1], s[0:1], v3, s26, v[0:1]
	v_mad_u64_u32 v[2:3], s[0:1], v3, s27, v[2:3]
.LBB311_236:
	global_load_ushort v1, v2, s[18:19]
	v_add_u32_e32 v24, 0x80, v24
	s_waitcnt vmcnt(0)
	v_max_i16_e32 v1, s55, v1
	v_min_i16_e32 v1, s56, v1
	global_store_short v0, v1, s[16:17]
	s_or_b64 exec, exec, s[48:49]
	v_cmp_gt_i32_e32 vcc, s57, v24
	s_and_saveexec_b64 s[48:49], vcc
	s_cbranch_execz .LBB311_227
.LBB311_237:
	s_andn2_b64 vcc, exec, s[36:37]
	s_cbranch_vccnz .LBB311_243
; %bb.238:
	s_andn2_b64 vcc, exec, s[46:47]
	s_cbranch_vccnz .LBB311_244
; %bb.239:
	s_add_i32 s58, s58, 1
	s_cmp_eq_u32 s54, 2
	s_cbranch_scc1 .LBB311_245
; %bb.240:
	s_and_b32 s50, s58, 28
	s_mov_b32 s51, 0
	v_mov_b32_e32 v0, 0
	v_mov_b32_e32 v2, 0
	s_mov_b64 s[46:47], s[34:35]
	v_mov_b32_e32 v4, v24
.LBB311_241:                            ; =>This Inner Loop Header: Depth=1
	s_load_dwordx8 s[8:15], s[46:47], 0x4
	s_load_dwordx4 s[28:31], s[46:47], 0x24
	s_load_dwordx8 s[0:7], s[44:45], 0x0
	s_add_u32 s46, s46, 48
	s_addc_u32 s47, s47, 0
	s_waitcnt lgkmcnt(0)
	v_mul_hi_u32 v1, s9, v4
	v_add_u32_e32 v1, v4, v1
	v_lshrrev_b32_e32 v1, s10, v1
	v_mul_lo_u32 v3, v1, s8
	v_mul_hi_u32 v5, s12, v1
	v_sub_u32_e32 v3, v4, v3
	v_add_u32_e32 v4, v1, v5
	v_lshrrev_b32_e32 v4, s13, v4
	v_mul_lo_u32 v6, v4, s11
	v_mul_hi_u32 v7, s15, v4
	v_sub_u32_e32 v1, v1, v6
	v_add_u32_e32 v6, v4, v7
	v_mul_lo_u32 v5, v3, s1
	v_mul_lo_u32 v3, v3, s0
	;; [unrolled: 1-line block ×4, first 2 shown]
	v_lshrrev_b32_e32 v6, s28, v6
	v_add3_u32 v0, v3, v0, v1
	v_mul_hi_u32 v3, s30, v6
	v_add3_u32 v1, v5, v2, v7
	v_mul_lo_u32 v2, v6, s14
	v_add_u32_e32 v3, v6, v3
	v_sub_u32_e32 v2, v4, v2
	v_lshrrev_b32_e32 v4, s31, v3
	s_add_i32 s51, s51, 4
	v_mul_lo_u32 v3, v4, s29
	s_add_u32 s44, s44, 32
	v_sub_u32_e32 v3, v6, v3
	s_addc_u32 s45, s45, 0
	v_mul_lo_u32 v5, v2, s4
	v_mul_lo_u32 v2, v2, s5
	;; [unrolled: 1-line block ×4, first 2 shown]
	s_cmp_eq_u32 s50, s51
	v_add3_u32 v2, v2, v1, v3
	v_add3_u32 v0, v5, v0, v6
	s_cbranch_scc0 .LBB311_241
; %bb.242:
	v_mov_b32_e32 v1, v2
	s_branch .LBB311_246
.LBB311_243:
                                        ; implicit-def: $vgpr2
                                        ; implicit-def: $vgpr0
	s_branch .LBB311_250
.LBB311_244:
	v_mov_b32_e32 v2, 0
	v_mov_b32_e32 v0, 0
	s_branch .LBB311_249
.LBB311_245:
	v_mov_b32_e32 v0, 0
	s_mov_b32 s50, 0
	v_mov_b32_e32 v1, v0
                                        ; implicit-def: $vgpr2
	v_mov_b32_e32 v4, v24
.LBB311_246:
	s_and_b32 s4, s58, 3
	s_cmp_eq_u32 s4, 0
	s_cbranch_scc1 .LBB311_249
; %bb.247:
	s_lshl_b32 s0, s50, 3
	s_add_u32 s0, s34, s0
	s_addc_u32 s1, s35, 0
	s_add_u32 s0, s0, 0xc4
	s_addc_u32 s1, s1, 0
	s_mul_i32 s2, s50, 12
	s_add_u32 s2, s34, s2
	s_addc_u32 s3, s35, 0
.LBB311_248:                            ; =>This Inner Loop Header: Depth=1
	s_load_dwordx2 s[6:7], s[2:3], 0x4
	s_load_dword s5, s[2:3], 0xc
	s_load_dwordx2 s[8:9], s[0:1], 0x0
	v_mov_b32_e32 v2, v1
	s_add_u32 s2, s2, 12
	s_waitcnt lgkmcnt(0)
	v_mul_hi_u32 v1, s7, v4
	v_add_u32_e32 v1, v4, v1
	v_lshrrev_b32_e32 v1, s5, v1
	s_addc_u32 s3, s3, 0
	v_mul_lo_u32 v3, v1, s6
	s_add_u32 s0, s0, 8
	v_sub_u32_e32 v5, v4, v3
	s_addc_u32 s1, s1, 0
	s_add_i32 s4, s4, -1
	v_mov_b32_e32 v4, v1
	v_mad_u64_u32 v[2:3], s[6:7], v5, s9, v[2:3]
	v_mad_u64_u32 v[0:1], s[6:7], v5, s8, v[0:1]
	s_cmp_lg_u32 s4, 0
	v_mov_b32_e32 v1, v2
	s_cbranch_scc1 .LBB311_248
.LBB311_249:
	s_cbranch_execnz .LBB311_252
.LBB311_250:
	v_mul_hi_u32 v0, s21, v24
	v_add_u32_e32 v0, v24, v0
	v_lshrrev_b32_e32 v1, s22, v0
	v_mul_lo_u32 v0, v1, s20
	v_sub_u32_e32 v0, v24, v0
	v_mul_lo_u32 v2, v0, s25
	s_andn2_b64 vcc, exec, s[42:43]
	v_mul_lo_u32 v0, v0, s24
	s_cbranch_vccnz .LBB311_252
; %bb.251:
	v_mul_hi_u32 v3, s40, v1
	v_add_u32_e32 v3, v1, v3
	v_lshrrev_b32_e32 v3, s41, v3
	v_mul_lo_u32 v3, v3, s23
	v_sub_u32_e32 v3, v1, v3
	v_mad_u64_u32 v[0:1], s[0:1], v3, s26, v[0:1]
	v_mad_u64_u32 v[2:3], s[0:1], v3, s27, v[2:3]
.LBB311_252:
	global_load_ushort v1, v2, s[18:19]
	s_waitcnt vmcnt(0)
	v_max_i16_e32 v1, s55, v1
	v_min_i16_e32 v1, s56, v1
	global_store_short v0, v1, s[16:17]
	s_or_b64 exec, exec, s[48:49]
                                        ; implicit-def: $vgpr32
                                        ; implicit-def: $vgpr24
	s_andn2_saveexec_b64 s[0:1], s[38:39]
	s_cbranch_execz .LBB311_228
	s_branch .LBB311_9
	.section	.rodata,"a",@progbits
	.p2align	6, 0x0
	.amdhsa_kernel _ZN2at6native32elementwise_kernel_manual_unrollILi128ELi8EZNS0_22gpu_kernel_impl_nocastIZZZNS0_17clamp_kernel_cudaERNS_18TensorIteratorBaseERKN3c106ScalarES8_ENKUlvE_clEvENKUlvE3_clEvEUlsE_EEvS4_RKT_EUlibE_EEviT1_
		.amdhsa_group_segment_fixed_size 0
		.amdhsa_private_segment_fixed_size 0
		.amdhsa_kernarg_size 360
		.amdhsa_user_sgpr_count 2
		.amdhsa_user_sgpr_dispatch_ptr 0
		.amdhsa_user_sgpr_queue_ptr 0
		.amdhsa_user_sgpr_kernarg_segment_ptr 1
		.amdhsa_user_sgpr_dispatch_id 0
		.amdhsa_user_sgpr_kernarg_preload_length 0
		.amdhsa_user_sgpr_kernarg_preload_offset 0
		.amdhsa_user_sgpr_private_segment_size 0
		.amdhsa_uses_dynamic_stack 0
		.amdhsa_enable_private_segment 0
		.amdhsa_system_sgpr_workgroup_id_x 1
		.amdhsa_system_sgpr_workgroup_id_y 0
		.amdhsa_system_sgpr_workgroup_id_z 0
		.amdhsa_system_sgpr_workgroup_info 0
		.amdhsa_system_vgpr_workitem_id 0
		.amdhsa_next_free_vgpr 33
		.amdhsa_next_free_sgpr 62
		.amdhsa_accum_offset 36
		.amdhsa_reserve_vcc 1
		.amdhsa_float_round_mode_32 0
		.amdhsa_float_round_mode_16_64 0
		.amdhsa_float_denorm_mode_32 3
		.amdhsa_float_denorm_mode_16_64 3
		.amdhsa_dx10_clamp 1
		.amdhsa_ieee_mode 1
		.amdhsa_fp16_overflow 0
		.amdhsa_tg_split 0
		.amdhsa_exception_fp_ieee_invalid_op 0
		.amdhsa_exception_fp_denorm_src 0
		.amdhsa_exception_fp_ieee_div_zero 0
		.amdhsa_exception_fp_ieee_overflow 0
		.amdhsa_exception_fp_ieee_underflow 0
		.amdhsa_exception_fp_ieee_inexact 0
		.amdhsa_exception_int_div_zero 0
	.end_amdhsa_kernel
	.section	.text._ZN2at6native32elementwise_kernel_manual_unrollILi128ELi8EZNS0_22gpu_kernel_impl_nocastIZZZNS0_17clamp_kernel_cudaERNS_18TensorIteratorBaseERKN3c106ScalarES8_ENKUlvE_clEvENKUlvE3_clEvEUlsE_EEvS4_RKT_EUlibE_EEviT1_,"axG",@progbits,_ZN2at6native32elementwise_kernel_manual_unrollILi128ELi8EZNS0_22gpu_kernel_impl_nocastIZZZNS0_17clamp_kernel_cudaERNS_18TensorIteratorBaseERKN3c106ScalarES8_ENKUlvE_clEvENKUlvE3_clEvEUlsE_EEvS4_RKT_EUlibE_EEviT1_,comdat
.Lfunc_end311:
	.size	_ZN2at6native32elementwise_kernel_manual_unrollILi128ELi8EZNS0_22gpu_kernel_impl_nocastIZZZNS0_17clamp_kernel_cudaERNS_18TensorIteratorBaseERKN3c106ScalarES8_ENKUlvE_clEvENKUlvE3_clEvEUlsE_EEvS4_RKT_EUlibE_EEviT1_, .Lfunc_end311-_ZN2at6native32elementwise_kernel_manual_unrollILi128ELi8EZNS0_22gpu_kernel_impl_nocastIZZZNS0_17clamp_kernel_cudaERNS_18TensorIteratorBaseERKN3c106ScalarES8_ENKUlvE_clEvENKUlvE3_clEvEUlsE_EEvS4_RKT_EUlibE_EEviT1_
                                        ; -- End function
	.set _ZN2at6native32elementwise_kernel_manual_unrollILi128ELi8EZNS0_22gpu_kernel_impl_nocastIZZZNS0_17clamp_kernel_cudaERNS_18TensorIteratorBaseERKN3c106ScalarES8_ENKUlvE_clEvENKUlvE3_clEvEUlsE_EEvS4_RKT_EUlibE_EEviT1_.num_vgpr, 33
	.set _ZN2at6native32elementwise_kernel_manual_unrollILi128ELi8EZNS0_22gpu_kernel_impl_nocastIZZZNS0_17clamp_kernel_cudaERNS_18TensorIteratorBaseERKN3c106ScalarES8_ENKUlvE_clEvENKUlvE3_clEvEUlsE_EEvS4_RKT_EUlibE_EEviT1_.num_agpr, 0
	.set _ZN2at6native32elementwise_kernel_manual_unrollILi128ELi8EZNS0_22gpu_kernel_impl_nocastIZZZNS0_17clamp_kernel_cudaERNS_18TensorIteratorBaseERKN3c106ScalarES8_ENKUlvE_clEvENKUlvE3_clEvEUlsE_EEvS4_RKT_EUlibE_EEviT1_.numbered_sgpr, 62
	.set _ZN2at6native32elementwise_kernel_manual_unrollILi128ELi8EZNS0_22gpu_kernel_impl_nocastIZZZNS0_17clamp_kernel_cudaERNS_18TensorIteratorBaseERKN3c106ScalarES8_ENKUlvE_clEvENKUlvE3_clEvEUlsE_EEvS4_RKT_EUlibE_EEviT1_.num_named_barrier, 0
	.set _ZN2at6native32elementwise_kernel_manual_unrollILi128ELi8EZNS0_22gpu_kernel_impl_nocastIZZZNS0_17clamp_kernel_cudaERNS_18TensorIteratorBaseERKN3c106ScalarES8_ENKUlvE_clEvENKUlvE3_clEvEUlsE_EEvS4_RKT_EUlibE_EEviT1_.private_seg_size, 0
	.set _ZN2at6native32elementwise_kernel_manual_unrollILi128ELi8EZNS0_22gpu_kernel_impl_nocastIZZZNS0_17clamp_kernel_cudaERNS_18TensorIteratorBaseERKN3c106ScalarES8_ENKUlvE_clEvENKUlvE3_clEvEUlsE_EEvS4_RKT_EUlibE_EEviT1_.uses_vcc, 1
	.set _ZN2at6native32elementwise_kernel_manual_unrollILi128ELi8EZNS0_22gpu_kernel_impl_nocastIZZZNS0_17clamp_kernel_cudaERNS_18TensorIteratorBaseERKN3c106ScalarES8_ENKUlvE_clEvENKUlvE3_clEvEUlsE_EEvS4_RKT_EUlibE_EEviT1_.uses_flat_scratch, 0
	.set _ZN2at6native32elementwise_kernel_manual_unrollILi128ELi8EZNS0_22gpu_kernel_impl_nocastIZZZNS0_17clamp_kernel_cudaERNS_18TensorIteratorBaseERKN3c106ScalarES8_ENKUlvE_clEvENKUlvE3_clEvEUlsE_EEvS4_RKT_EUlibE_EEviT1_.has_dyn_sized_stack, 0
	.set _ZN2at6native32elementwise_kernel_manual_unrollILi128ELi8EZNS0_22gpu_kernel_impl_nocastIZZZNS0_17clamp_kernel_cudaERNS_18TensorIteratorBaseERKN3c106ScalarES8_ENKUlvE_clEvENKUlvE3_clEvEUlsE_EEvS4_RKT_EUlibE_EEviT1_.has_recursion, 0
	.set _ZN2at6native32elementwise_kernel_manual_unrollILi128ELi8EZNS0_22gpu_kernel_impl_nocastIZZZNS0_17clamp_kernel_cudaERNS_18TensorIteratorBaseERKN3c106ScalarES8_ENKUlvE_clEvENKUlvE3_clEvEUlsE_EEvS4_RKT_EUlibE_EEviT1_.has_indirect_call, 0
	.section	.AMDGPU.csdata,"",@progbits
; Kernel info:
; codeLenInByte = 11452
; TotalNumSgprs: 68
; NumVgprs: 33
; NumAgprs: 0
; TotalNumVgprs: 33
; ScratchSize: 0
; MemoryBound: 0
; FloatMode: 240
; IeeeMode: 1
; LDSByteSize: 0 bytes/workgroup (compile time only)
; SGPRBlocks: 8
; VGPRBlocks: 4
; NumSGPRsForWavesPerEU: 68
; NumVGPRsForWavesPerEU: 33
; AccumOffset: 36
; Occupancy: 8
; WaveLimiterHint : 1
; COMPUTE_PGM_RSRC2:SCRATCH_EN: 0
; COMPUTE_PGM_RSRC2:USER_SGPR: 2
; COMPUTE_PGM_RSRC2:TRAP_HANDLER: 0
; COMPUTE_PGM_RSRC2:TGID_X_EN: 1
; COMPUTE_PGM_RSRC2:TGID_Y_EN: 0
; COMPUTE_PGM_RSRC2:TGID_Z_EN: 0
; COMPUTE_PGM_RSRC2:TIDIG_COMP_CNT: 0
; COMPUTE_PGM_RSRC3_GFX90A:ACCUM_OFFSET: 8
; COMPUTE_PGM_RSRC3_GFX90A:TG_SPLIT: 0
	.section	.text._ZN2at6native32elementwise_kernel_manual_unrollILi128ELi4EZNS0_15gpu_kernel_implIZZZNS0_17clamp_kernel_cudaERNS_18TensorIteratorBaseERKN3c106ScalarES8_ENKUlvE_clEvENKUlvE3_clEvEUlsE_EEvS4_RKT_EUlibE_EEviT1_,"axG",@progbits,_ZN2at6native32elementwise_kernel_manual_unrollILi128ELi4EZNS0_15gpu_kernel_implIZZZNS0_17clamp_kernel_cudaERNS_18TensorIteratorBaseERKN3c106ScalarES8_ENKUlvE_clEvENKUlvE3_clEvEUlsE_EEvS4_RKT_EUlibE_EEviT1_,comdat
	.globl	_ZN2at6native32elementwise_kernel_manual_unrollILi128ELi4EZNS0_15gpu_kernel_implIZZZNS0_17clamp_kernel_cudaERNS_18TensorIteratorBaseERKN3c106ScalarES8_ENKUlvE_clEvENKUlvE3_clEvEUlsE_EEvS4_RKT_EUlibE_EEviT1_ ; -- Begin function _ZN2at6native32elementwise_kernel_manual_unrollILi128ELi4EZNS0_15gpu_kernel_implIZZZNS0_17clamp_kernel_cudaERNS_18TensorIteratorBaseERKN3c106ScalarES8_ENKUlvE_clEvENKUlvE3_clEvEUlsE_EEvS4_RKT_EUlibE_EEviT1_
	.p2align	8
	.type	_ZN2at6native32elementwise_kernel_manual_unrollILi128ELi4EZNS0_15gpu_kernel_implIZZZNS0_17clamp_kernel_cudaERNS_18TensorIteratorBaseERKN3c106ScalarES8_ENKUlvE_clEvENKUlvE3_clEvEUlsE_EEvS4_RKT_EUlibE_EEviT1_,@function
_ZN2at6native32elementwise_kernel_manual_unrollILi128ELi4EZNS0_15gpu_kernel_implIZZZNS0_17clamp_kernel_cudaERNS_18TensorIteratorBaseERKN3c106ScalarES8_ENKUlvE_clEvENKUlvE3_clEvEUlsE_EEvS4_RKT_EUlibE_EEviT1_: ; @_ZN2at6native32elementwise_kernel_manual_unrollILi128ELi4EZNS0_15gpu_kernel_implIZZZNS0_17clamp_kernel_cudaERNS_18TensorIteratorBaseERKN3c106ScalarES8_ENKUlvE_clEvENKUlvE3_clEvEUlsE_EEvS4_RKT_EUlibE_EEviT1_
; %bb.0:
	s_load_dwordx8 s[4:11], s[0:1], 0x8
	s_load_dword s40, s[0:1], 0x0
	v_lshl_or_b32 v10, s2, 9, v0
	v_or_b32_e32 v0, 0x180, v10
	s_mov_b64 s[2:3], 0
	s_waitcnt lgkmcnt(0)
	s_lshr_b32 s33, s10, 16
	s_bfe_u32 s44, s11, 0x80008
	v_cmp_le_i32_e32 vcc, s40, v0
	s_mov_b64 s[14:15], 0
	s_and_saveexec_b64 s[0:1], vcc
	s_xor_b64 s[12:13], exec, s[0:1]
	s_cbranch_execz .LBB312_1011
; %bb.1:
	v_cmp_gt_i32_e32 vcc, s40, v10
	s_mov_b64 s[20:21], -1
	s_mov_b64 s[22:23], 0
	s_mov_b64 s[16:17], 0
	s_and_saveexec_b64 s[18:19], vcc
	s_cbranch_execz .LBB312_248
; %bb.2:
	v_mul_lo_u32 v0, v10, s9
	v_ashrrev_i32_e32 v1, 31, v0
	s_and_b32 s20, 0xffff, s44
	s_cmp_lt_i32 s20, 11
	v_lshl_add_u64 v[0:1], s[6:7], 0, v[0:1]
	s_cbranch_scc1 .LBB312_9
; %bb.3:
	s_cmp_gt_i32 s20, 25
	s_cbranch_scc0 .LBB312_18
; %bb.4:
	s_cmp_gt_i32 s20, 28
	s_cbranch_scc0 .LBB312_22
; %bb.5:
	s_cmp_gt_i32 s20, 43
	s_cbranch_scc0 .LBB312_24
; %bb.6:
	s_cmp_gt_i32 s20, 45
	s_cbranch_scc0 .LBB312_26
; %bb.7:
	s_cmp_eq_u32 s20, 46
	s_cbranch_scc0 .LBB312_28
; %bb.8:
	global_load_dword v2, v[0:1], off
	s_mov_b64 s[0:1], -1
	s_waitcnt vmcnt(0)
	v_lshlrev_b32_e32 v2, 16, v2
	v_cvt_i32_f32_e32 v2, v2
	s_branch .LBB312_30
.LBB312_9:
                                        ; implicit-def: $vgpr2
	s_mov_b64 s[0:1], 0
	s_cbranch_execnz .LBB312_199
.LBB312_10:
	s_andn2_b64 vcc, exec, s[0:1]
	s_cbranch_vccnz .LBB312_246
.LBB312_11:
	s_waitcnt vmcnt(0)
	v_max_i16_e32 v0, s10, v2
	v_min_i16_e32 v4, s33, v0
	v_mul_lo_u32 v0, v10, s8
	v_ashrrev_i32_e32 v1, 31, v0
	s_and_b32 s26, s11, 0xff
	s_cmp_lt_i32 s26, 11
	v_lshl_add_u64 v[0:1], s[4:5], 0, v[0:1]
	s_cbranch_scc1 .LBB312_19
; %bb.12:
	s_and_b32 s27, 0xffff, s26
	s_cmp_gt_i32 s27, 25
	s_cbranch_scc0 .LBB312_23
; %bb.13:
	s_cmp_gt_i32 s27, 28
	s_cbranch_scc0 .LBB312_25
; %bb.14:
	s_cmp_gt_i32 s27, 43
	s_cbranch_scc0 .LBB312_27
; %bb.15:
	s_cmp_gt_i32 s27, 45
	s_cbranch_scc0 .LBB312_33
; %bb.16:
	s_mov_b64 s[20:21], 0
	s_mov_b64 s[0:1], -1
	s_cmp_eq_u32 s27, 46
	s_mov_b64 s[14:15], 0
	s_cbranch_scc0 .LBB312_34
; %bb.17:
	v_cvt_f32_i32_sdwa v2, sext(v4) dst_sel:DWORD dst_unused:UNUSED_PAD src0_sel:WORD_0
	s_movk_i32 s0, 0x7fff
	s_mov_b64 s[14:15], -1
	v_bfe_u32 v3, v2, 16, 1
	v_add3_u32 v2, v2, v3, s0
	v_lshrrev_b32_e32 v2, 16, v2
	global_store_dword v[0:1], v2, off
	s_mov_b64 s[0:1], 0
	s_branch .LBB312_34
.LBB312_18:
	s_mov_b64 s[0:1], 0
                                        ; implicit-def: $vgpr2
	s_cbranch_execnz .LBB312_166
	s_branch .LBB312_198
.LBB312_19:
	s_mov_b64 s[0:1], 0
	s_mov_b64 s[14:15], 0
	s_cbranch_execnz .LBB312_103
.LBB312_20:
	s_andn2_b64 vcc, exec, s[14:15]
	s_cbranch_vccnz .LBB312_141
.LBB312_21:
	v_add_u32_e32 v10, 0x80, v10
	s_mov_b64 s[20:21], -1
	s_branch .LBB312_247
.LBB312_22:
	s_mov_b64 s[14:15], -1
	s_mov_b64 s[0:1], 0
                                        ; implicit-def: $vgpr2
	s_branch .LBB312_149
.LBB312_23:
	s_mov_b64 s[20:21], -1
	s_mov_b64 s[0:1], 0
	s_mov_b64 s[14:15], 0
	s_branch .LBB312_61
.LBB312_24:
	s_mov_b64 s[14:15], -1
	s_mov_b64 s[0:1], 0
                                        ; implicit-def: $vgpr2
	s_branch .LBB312_144
.LBB312_25:
	s_mov_b64 s[20:21], -1
	s_mov_b64 s[0:1], 0
	s_mov_b64 s[14:15], 0
	s_branch .LBB312_44
.LBB312_26:
	s_mov_b64 s[14:15], -1
	s_branch .LBB312_29
.LBB312_27:
	s_mov_b64 s[20:21], -1
	s_mov_b64 s[0:1], 0
	s_mov_b64 s[14:15], 0
	s_branch .LBB312_40
.LBB312_28:
	s_mov_b64 s[16:17], -1
.LBB312_29:
	s_mov_b64 s[0:1], 0
                                        ; implicit-def: $vgpr2
.LBB312_30:
	s_and_b64 vcc, exec, s[14:15]
	s_cbranch_vccz .LBB312_143
; %bb.31:
	s_cmp_eq_u32 s20, 44
	s_cbranch_scc0 .LBB312_142
; %bb.32:
	global_load_ubyte v2, v[0:1], off
	s_mov_b64 s[0:1], -1
	s_mov_b64 s[16:17], 0
	s_waitcnt vmcnt(0)
	v_lshlrev_b32_e32 v3, 23, v2
	v_cvt_i32_f32_e32 v3, v3
	v_cmp_ne_u32_e32 vcc, 0, v2
	s_nop 1
	v_cndmask_b32_e32 v2, 0, v3, vcc
	s_branch .LBB312_143
.LBB312_33:
	s_mov_b64 s[20:21], -1
	s_mov_b64 s[0:1], 0
	s_mov_b64 s[14:15], 0
.LBB312_34:
	s_and_b64 vcc, exec, s[20:21]
	s_cbranch_vccz .LBB312_39
; %bb.35:
	s_cmp_eq_u32 s27, 44
	s_mov_b64 s[0:1], -1
	s_cbranch_scc0 .LBB312_39
; %bb.36:
	v_cvt_f32_i32_sdwa v2, sext(v4) dst_sel:DWORD dst_unused:UNUSED_PAD src0_sel:WORD_0
	s_movk_i32 s0, 0xff
	v_mov_b32_e32 v5, 0xff
	v_bfe_u32 v3, v2, 23, 8
	v_cmp_ne_u32_e32 vcc, s0, v3
	s_and_saveexec_b64 s[14:15], vcc
; %bb.37:
	s_mov_b32 s0, 0x3fffff
	v_lshrrev_b32_e32 v5, 23, v2
	v_and_b32_e32 v6, 0x400000, v2
	v_and_or_b32 v2, v2, s0, v3
	v_cmp_ne_u32_e32 vcc, 0, v6
	v_cmp_ne_u32_e64 s[0:1], 0, v2
	s_and_b64 s[0:1], vcc, s[0:1]
	s_nop 0
	v_cndmask_b32_e64 v2, 0, 1, s[0:1]
	v_add_u32_e32 v5, v5, v2
; %bb.38:
	s_or_b64 exec, exec, s[14:15]
	s_mov_b64 s[14:15], -1
	s_mov_b64 s[0:1], 0
	global_store_byte v[0:1], v5, off
.LBB312_39:
	s_mov_b64 s[20:21], 0
.LBB312_40:
	s_and_b64 vcc, exec, s[20:21]
	s_cbranch_vccz .LBB312_43
; %bb.41:
	s_cmp_eq_u32 s27, 29
	s_mov_b64 s[0:1], -1
	s_cbranch_scc0 .LBB312_43
; %bb.42:
	v_bfe_i32 v2, v4, 0, 16
	v_ashrrev_i32_e32 v3, 31, v2
	global_store_dwordx2 v[0:1], v[2:3], off
	s_mov_b64 s[14:15], -1
	s_mov_b64 s[0:1], 0
.LBB312_43:
	s_mov_b64 s[20:21], 0
.LBB312_44:
	s_and_b64 vcc, exec, s[20:21]
	s_cbranch_vccz .LBB312_60
; %bb.45:
	s_cmp_lt_i32 s27, 27
	s_mov_b64 s[14:15], -1
	s_cbranch_scc1 .LBB312_51
; %bb.46:
	s_cmp_gt_i32 s27, 27
	s_cbranch_scc0 .LBB312_48
; %bb.47:
	v_bfe_i32 v2, v4, 0, 16
	s_mov_b64 s[14:15], 0
	global_store_dword v[0:1], v2, off
.LBB312_48:
	s_andn2_b64 vcc, exec, s[14:15]
	s_cbranch_vccnz .LBB312_50
; %bb.49:
	global_store_short v[0:1], v4, off
.LBB312_50:
	s_mov_b64 s[14:15], 0
.LBB312_51:
	s_andn2_b64 vcc, exec, s[14:15]
	s_cbranch_vccnz .LBB312_59
; %bb.52:
	v_cvt_f32_i32_sdwa v2, sext(v4) dst_sel:DWORD dst_unused:UNUSED_PAD src0_sel:WORD_0
	s_mov_b32 s14, 0x43800000
	v_mov_b32_e32 v5, 0x80
	v_and_b32_e32 v3, 0x7fffffff, v2
	v_cmp_gt_u32_e32 vcc, s14, v3
	s_and_saveexec_b64 s[14:15], vcc
	s_cbranch_execz .LBB312_58
; %bb.53:
	s_mov_b32 s20, 0x3bffffff
	v_cmp_lt_u32_e32 vcc, s20, v3
	s_mov_b64 s[20:21], 0
                                        ; implicit-def: $vgpr3
	s_and_saveexec_b64 s[24:25], vcc
	s_xor_b64 s[24:25], exec, s[24:25]
	s_cbranch_execz .LBB312_275
; %bb.54:
	v_bfe_u32 v3, v2, 20, 1
	s_mov_b32 s28, 0x487ffff
	v_add3_u32 v3, v2, v3, s28
	s_mov_b64 s[20:21], exec
	v_lshrrev_b32_e32 v3, 20, v3
	s_andn2_saveexec_b64 s[24:25], s[24:25]
	s_cbranch_execnz .LBB312_276
.LBB312_55:
	s_or_b64 exec, exec, s[24:25]
	v_mov_b32_e32 v5, 0
	s_and_saveexec_b64 s[24:25], s[20:21]
.LBB312_56:
	v_lshrrev_b32_e32 v2, 24, v2
	s_movk_i32 s20, 0x80
	v_and_or_b32 v5, v2, s20, v3
.LBB312_57:
	s_or_b64 exec, exec, s[24:25]
.LBB312_58:
	s_or_b64 exec, exec, s[14:15]
	global_store_byte v[0:1], v5, off
.LBB312_59:
	s_mov_b64 s[14:15], -1
.LBB312_60:
	s_mov_b64 s[20:21], 0
.LBB312_61:
	s_and_b64 vcc, exec, s[20:21]
	s_cbranch_vccz .LBB312_102
; %bb.62:
	s_cmp_gt_i32 s27, 22
	s_mov_b64 s[20:21], -1
	s_cbranch_scc0 .LBB312_94
; %bb.63:
	s_cmp_lt_i32 s27, 24
	s_mov_b64 s[14:15], -1
	s_cbranch_scc1 .LBB312_83
; %bb.64:
	s_cmp_gt_i32 s27, 24
	s_cbranch_scc0 .LBB312_72
; %bb.65:
	v_cvt_f32_i32_sdwa v2, sext(v4) dst_sel:DWORD dst_unused:UNUSED_PAD src0_sel:WORD_0
	s_mov_b32 s14, 0x47800000
	v_mov_b32_e32 v5, 0x80
	v_and_b32_e32 v3, 0x7fffffff, v2
	v_cmp_gt_u32_e32 vcc, s14, v3
	s_and_saveexec_b64 s[14:15], vcc
	s_cbranch_execz .LBB312_71
; %bb.66:
	s_mov_b32 s20, 0x37ffffff
	v_cmp_lt_u32_e32 vcc, s20, v3
	s_mov_b64 s[20:21], 0
                                        ; implicit-def: $vgpr3
	s_and_saveexec_b64 s[24:25], vcc
	s_xor_b64 s[24:25], exec, s[24:25]
	s_cbranch_execz .LBB312_279
; %bb.67:
	v_bfe_u32 v3, v2, 21, 1
	s_mov_b32 s28, 0x88fffff
	v_add3_u32 v3, v2, v3, s28
	s_mov_b64 s[20:21], exec
	v_lshrrev_b32_e32 v3, 21, v3
	s_andn2_saveexec_b64 s[24:25], s[24:25]
	s_cbranch_execnz .LBB312_280
.LBB312_68:
	s_or_b64 exec, exec, s[24:25]
	v_mov_b32_e32 v5, 0
	s_and_saveexec_b64 s[24:25], s[20:21]
.LBB312_69:
	v_lshrrev_b32_e32 v2, 24, v2
	s_movk_i32 s20, 0x80
	v_and_or_b32 v5, v2, s20, v3
.LBB312_70:
	s_or_b64 exec, exec, s[24:25]
.LBB312_71:
	s_or_b64 exec, exec, s[14:15]
	s_mov_b64 s[14:15], 0
	global_store_byte v[0:1], v5, off
.LBB312_72:
	s_and_b64 vcc, exec, s[14:15]
	s_cbranch_vccz .LBB312_82
; %bb.73:
	v_cvt_f32_i32_sdwa v2, sext(v4) dst_sel:DWORD dst_unused:UNUSED_PAD src0_sel:WORD_0
	s_mov_b32 s14, 0x43f00000
                                        ; implicit-def: $vgpr3
	v_and_b32_e32 v5, 0x7fffffff, v2
	v_cmp_gt_u32_e32 vcc, s14, v5
	s_and_saveexec_b64 s[14:15], vcc
	s_xor_b64 s[14:15], exec, s[14:15]
	s_cbranch_execz .LBB312_79
; %bb.74:
	s_mov_b32 s20, 0x3c7fffff
	v_cmp_lt_u32_e32 vcc, s20, v5
                                        ; implicit-def: $vgpr3
	s_and_saveexec_b64 s[20:21], vcc
	s_xor_b64 s[20:21], exec, s[20:21]
; %bb.75:
	v_bfe_u32 v3, v2, 20, 1
	s_mov_b32 s24, 0x407ffff
	v_add3_u32 v3, v2, v3, s24
	v_lshrrev_b32_e32 v5, 20, v3
	v_and_b32_e32 v3, 0xff00000, v3
	s_mov_b32 s24, 0x7f00000
	v_mov_b32_e32 v6, 0x7e
	v_cmp_ne_u32_e32 vcc, s24, v3
	s_nop 1
	v_cndmask_b32_e32 v3, v6, v5, vcc
; %bb.76:
	s_andn2_saveexec_b64 s[20:21], s[20:21]
; %bb.77:
	s_mov_b32 s24, 0x46800000
	v_add_f32_e64 v3, |v2|, s24
; %bb.78:
	s_or_b64 exec, exec, s[20:21]
                                        ; implicit-def: $vgpr5
.LBB312_79:
	s_andn2_saveexec_b64 s[14:15], s[14:15]
; %bb.80:
	s_mov_b32 s20, 0x7f800000
	v_mov_b32_e32 v3, 0x7e
	v_mov_b32_e32 v6, 0x7f
	v_cmp_lt_u32_e32 vcc, s20, v5
	s_nop 1
	v_cndmask_b32_e32 v3, v3, v6, vcc
; %bb.81:
	s_or_b64 exec, exec, s[14:15]
	v_lshrrev_b32_e32 v2, 24, v2
	s_movk_i32 s14, 0x80
	v_and_or_b32 v2, v2, s14, v3
	global_store_byte v[0:1], v2, off
.LBB312_82:
	s_mov_b64 s[14:15], 0
.LBB312_83:
	s_andn2_b64 vcc, exec, s[14:15]
	s_cbranch_vccnz .LBB312_93
; %bb.84:
	v_cvt_f32_i32_sdwa v2, sext(v4) dst_sel:DWORD dst_unused:UNUSED_PAD src0_sel:WORD_0
	s_mov_b32 s14, 0x47800000
                                        ; implicit-def: $vgpr3
	v_and_b32_e32 v5, 0x7fffffff, v2
	v_cmp_gt_u32_e32 vcc, s14, v5
	s_and_saveexec_b64 s[14:15], vcc
	s_xor_b64 s[14:15], exec, s[14:15]
	s_cbranch_execz .LBB312_90
; %bb.85:
	s_mov_b32 s20, 0x387fffff
	v_cmp_lt_u32_e32 vcc, s20, v5
                                        ; implicit-def: $vgpr3
	s_and_saveexec_b64 s[20:21], vcc
	s_xor_b64 s[20:21], exec, s[20:21]
; %bb.86:
	v_bfe_u32 v3, v2, 21, 1
	s_mov_b32 s24, 0x80fffff
	v_add3_u32 v3, v2, v3, s24
	v_lshrrev_b32_e32 v3, 21, v3
; %bb.87:
	s_andn2_saveexec_b64 s[20:21], s[20:21]
; %bb.88:
	s_mov_b32 s24, 0x43000000
	v_add_f32_e64 v3, |v2|, s24
; %bb.89:
	s_or_b64 exec, exec, s[20:21]
                                        ; implicit-def: $vgpr5
.LBB312_90:
	s_andn2_saveexec_b64 s[14:15], s[14:15]
; %bb.91:
	s_mov_b32 s20, 0x7f800000
	v_mov_b32_e32 v3, 0x7c
	v_mov_b32_e32 v6, 0x7f
	v_cmp_lt_u32_e32 vcc, s20, v5
	s_nop 1
	v_cndmask_b32_e32 v3, v3, v6, vcc
; %bb.92:
	s_or_b64 exec, exec, s[14:15]
	v_lshrrev_b32_e32 v2, 24, v2
	s_movk_i32 s14, 0x80
	v_and_or_b32 v2, v2, s14, v3
	global_store_byte v[0:1], v2, off
.LBB312_93:
	s_mov_b64 s[20:21], 0
	s_mov_b64 s[14:15], -1
.LBB312_94:
	s_andn2_b64 vcc, exec, s[20:21]
	s_cbranch_vccnz .LBB312_102
; %bb.95:
	s_cmp_gt_i32 s27, 14
	s_mov_b64 s[20:21], -1
	s_cbranch_scc0 .LBB312_99
; %bb.96:
	s_cmp_eq_u32 s27, 15
	s_mov_b64 s[0:1], -1
	s_cbranch_scc0 .LBB312_98
; %bb.97:
	v_cvt_f32_i32_sdwa v2, sext(v4) dst_sel:DWORD dst_unused:UNUSED_PAD src0_sel:WORD_0
	s_movk_i32 s0, 0x7fff
	s_mov_b64 s[14:15], -1
	v_bfe_u32 v3, v2, 16, 1
	v_add3_u32 v2, v2, v3, s0
	global_store_short_d16_hi v[0:1], v2, off
	s_mov_b64 s[0:1], 0
.LBB312_98:
	s_mov_b64 s[20:21], 0
.LBB312_99:
	s_and_b64 vcc, exec, s[20:21]
	s_cbranch_vccz .LBB312_102
; %bb.100:
	s_cmp_eq_u32 s27, 11
	s_mov_b64 s[0:1], -1
	s_cbranch_scc0 .LBB312_102
; %bb.101:
	v_cmp_ne_u16_e32 vcc, 0, v4
	s_mov_b64 s[14:15], -1
	s_mov_b64 s[0:1], 0
	v_cndmask_b32_e64 v2, 0, 1, vcc
	global_store_byte v[0:1], v2, off
.LBB312_102:
	s_branch .LBB312_20
.LBB312_103:
	s_and_b32 s20, 0xffff, s26
	s_cmp_lt_i32 s20, 5
	s_mov_b64 s[14:15], -1
	s_cbranch_scc1 .LBB312_124
; %bb.104:
	s_cmp_lt_i32 s20, 8
	s_cbranch_scc1 .LBB312_114
; %bb.105:
	s_cmp_lt_i32 s20, 9
	s_cbranch_scc1 .LBB312_111
; %bb.106:
	s_cmp_gt_i32 s20, 9
	s_cbranch_scc0 .LBB312_108
; %bb.107:
	v_bfe_i32 v2, v4, 0, 16
	v_mov_b32_e32 v8, 0
	v_cvt_f64_i32_e32 v[6:7], v2
	v_mov_b32_e32 v9, v8
	global_store_dwordx4 v[0:1], v[6:9], off
	s_mov_b64 s[14:15], 0
.LBB312_108:
	s_andn2_b64 vcc, exec, s[14:15]
	s_cbranch_vccnz .LBB312_110
; %bb.109:
	v_cvt_f32_i32_sdwa v2, sext(v4) dst_sel:DWORD dst_unused:UNUSED_PAD src0_sel:WORD_0
	v_mov_b32_e32 v3, 0
	global_store_dwordx2 v[0:1], v[2:3], off
.LBB312_110:
	s_mov_b64 s[14:15], 0
.LBB312_111:
	s_andn2_b64 vcc, exec, s[14:15]
	s_cbranch_vccnz .LBB312_113
; %bb.112:
	v_cvt_f16_i16_e32 v2, v4
	global_store_dword v[0:1], v2, off
.LBB312_113:
	s_mov_b64 s[14:15], 0
.LBB312_114:
	s_andn2_b64 vcc, exec, s[14:15]
	s_cbranch_vccnz .LBB312_123
; %bb.115:
	s_cmp_lt_i32 s20, 6
	s_mov_b64 s[14:15], -1
	s_cbranch_scc1 .LBB312_121
; %bb.116:
	s_cmp_gt_i32 s20, 6
	s_cbranch_scc0 .LBB312_118
; %bb.117:
	v_bfe_i32 v2, v4, 0, 16
	v_cvt_f64_i32_e32 v[2:3], v2
	global_store_dwordx2 v[0:1], v[2:3], off
	s_mov_b64 s[14:15], 0
.LBB312_118:
	s_andn2_b64 vcc, exec, s[14:15]
	s_cbranch_vccnz .LBB312_120
; %bb.119:
	v_cvt_f32_i32_sdwa v2, sext(v4) dst_sel:DWORD dst_unused:UNUSED_PAD src0_sel:WORD_0
	global_store_dword v[0:1], v2, off
.LBB312_120:
	s_mov_b64 s[14:15], 0
.LBB312_121:
	s_andn2_b64 vcc, exec, s[14:15]
	s_cbranch_vccnz .LBB312_123
; %bb.122:
	v_cvt_f16_i16_e32 v2, v4
	global_store_short v[0:1], v2, off
.LBB312_123:
	s_mov_b64 s[14:15], 0
.LBB312_124:
	s_andn2_b64 vcc, exec, s[14:15]
	s_cbranch_vccnz .LBB312_140
; %bb.125:
	s_cmp_lt_i32 s20, 2
	s_mov_b64 s[14:15], -1
	s_cbranch_scc1 .LBB312_135
; %bb.126:
	s_cmp_lt_i32 s20, 3
	s_cbranch_scc1 .LBB312_132
; %bb.127:
	s_cmp_gt_i32 s20, 3
	v_bfe_i32 v2, v4, 0, 16
	s_cbranch_scc0 .LBB312_129
; %bb.128:
	v_ashrrev_i32_e32 v3, 31, v2
	global_store_dwordx2 v[0:1], v[2:3], off
	s_mov_b64 s[14:15], 0
.LBB312_129:
	s_andn2_b64 vcc, exec, s[14:15]
	s_cbranch_vccnz .LBB312_131
; %bb.130:
	global_store_dword v[0:1], v2, off
.LBB312_131:
	s_mov_b64 s[14:15], 0
.LBB312_132:
	s_andn2_b64 vcc, exec, s[14:15]
	s_cbranch_vccnz .LBB312_134
; %bb.133:
	global_store_short v[0:1], v4, off
.LBB312_134:
	s_mov_b64 s[14:15], 0
.LBB312_135:
	s_andn2_b64 vcc, exec, s[14:15]
	s_cbranch_vccnz .LBB312_140
; %bb.136:
	s_cmp_gt_i32 s20, 0
	s_mov_b64 s[14:15], -1
	s_cbranch_scc0 .LBB312_138
; %bb.137:
	global_store_byte v[0:1], v4, off
	s_mov_b64 s[14:15], 0
.LBB312_138:
	s_andn2_b64 vcc, exec, s[14:15]
	s_cbranch_vccnz .LBB312_140
; %bb.139:
	global_store_byte v[0:1], v4, off
.LBB312_140:
	s_branch .LBB312_21
.LBB312_141:
	s_mov_b64 s[20:21], 0
                                        ; implicit-def: $vgpr10
	s_branch .LBB312_247
.LBB312_142:
	s_mov_b64 s[16:17], -1
                                        ; implicit-def: $vgpr2
.LBB312_143:
	s_mov_b64 s[14:15], 0
.LBB312_144:
	s_and_b64 vcc, exec, s[14:15]
	s_cbranch_vccz .LBB312_148
; %bb.145:
	s_cmp_eq_u32 s20, 29
	s_cbranch_scc0 .LBB312_147
; %bb.146:
	global_load_dwordx2 v[2:3], v[0:1], off
	s_mov_b64 s[0:1], -1
	s_mov_b64 s[16:17], 0
	s_branch .LBB312_148
.LBB312_147:
	s_mov_b64 s[16:17], -1
                                        ; implicit-def: $vgpr2
.LBB312_148:
	s_mov_b64 s[14:15], 0
.LBB312_149:
	s_and_b64 vcc, exec, s[14:15]
	s_cbranch_vccz .LBB312_165
; %bb.150:
	s_cmp_lt_i32 s20, 27
	s_cbranch_scc1 .LBB312_153
; %bb.151:
	s_cmp_gt_i32 s20, 27
	s_cbranch_scc0 .LBB312_154
; %bb.152:
	global_load_dword v2, v[0:1], off
	s_mov_b64 s[0:1], 0
	s_branch .LBB312_155
.LBB312_153:
	s_mov_b64 s[0:1], -1
                                        ; implicit-def: $vgpr2
	s_branch .LBB312_158
.LBB312_154:
	s_mov_b64 s[0:1], -1
                                        ; implicit-def: $vgpr2
.LBB312_155:
	s_andn2_b64 vcc, exec, s[0:1]
	s_cbranch_vccnz .LBB312_157
; %bb.156:
	global_load_ushort v2, v[0:1], off
.LBB312_157:
	s_mov_b64 s[0:1], 0
.LBB312_158:
	s_andn2_b64 vcc, exec, s[0:1]
	s_cbranch_vccnz .LBB312_164
; %bb.159:
	global_load_ubyte v3, v[0:1], off
	s_movk_i32 s0, 0x7f
	s_mov_b64 s[14:15], 0
	s_waitcnt vmcnt(0)
	v_cmp_lt_i16_e32 vcc, s0, v3
	s_and_saveexec_b64 s[0:1], vcc
	s_xor_b64 s[0:1], exec, s[0:1]
	s_cbranch_execz .LBB312_175
; %bb.160:
	s_movk_i32 s14, 0x80
	v_cmp_ne_u16_e32 vcc, s14, v3
	s_and_b64 s[14:15], vcc, exec
	s_andn2_saveexec_b64 s[0:1], s[0:1]
	s_cbranch_execnz .LBB312_176
.LBB312_161:
	s_or_b64 exec, exec, s[0:1]
	v_mov_b32_e32 v2, 0
	s_and_saveexec_b64 s[0:1], s[14:15]
	s_cbranch_execz .LBB312_163
.LBB312_162:
	v_lshlrev_b32_e32 v2, 24, v3
	v_and_b32_e32 v3, 0xffff, v3
	v_and_b32_e32 v4, 7, v3
	v_ffbh_u32_e32 v6, v4
	v_min_u32_e32 v6, 32, v6
	v_subrev_u32_e32 v7, 28, v6
	v_bfe_u32 v5, v3, 3, 4
	v_lshlrev_b32_e32 v3, v7, v3
	v_sub_u32_e32 v6, 29, v6
	v_and_b32_e32 v3, 7, v3
	v_cmp_eq_u32_e32 vcc, 0, v5
	v_and_b32_e32 v2, 0x80000000, v2
	s_nop 0
	v_cndmask_b32_e32 v5, v5, v6, vcc
	v_cndmask_b32_e32 v3, v4, v3, vcc
	v_mov_b32_e32 v4, 0x3b800000
	v_lshlrev_b32_e32 v3, 20, v3
	v_lshl_add_u32 v4, v5, 23, v4
	v_or3_b32 v2, v2, v4, v3
	v_cvt_i32_f32_e32 v2, v2
.LBB312_163:
	s_or_b64 exec, exec, s[0:1]
.LBB312_164:
	s_mov_b64 s[0:1], -1
.LBB312_165:
	s_branch .LBB312_198
.LBB312_166:
	s_cmp_gt_i32 s20, 22
	s_cbranch_scc0 .LBB312_174
; %bb.167:
	s_cmp_lt_i32 s20, 24
	s_cbranch_scc1 .LBB312_177
; %bb.168:
	s_cmp_gt_i32 s20, 24
	s_cbranch_scc0 .LBB312_178
; %bb.169:
	global_load_ubyte v3, v[0:1], off
	s_movk_i32 s0, 0x7f
	s_mov_b64 s[14:15], 0
	s_waitcnt vmcnt(0)
	v_cmp_lt_i16_e32 vcc, s0, v3
	s_and_saveexec_b64 s[0:1], vcc
	s_xor_b64 s[0:1], exec, s[0:1]
	s_cbranch_execz .LBB312_190
; %bb.170:
	s_movk_i32 s14, 0x80
	v_cmp_ne_u16_e32 vcc, s14, v3
	s_and_b64 s[14:15], vcc, exec
	s_andn2_saveexec_b64 s[0:1], s[0:1]
	s_cbranch_execnz .LBB312_191
.LBB312_171:
	s_or_b64 exec, exec, s[0:1]
	v_mov_b32_e32 v2, 0
	s_and_saveexec_b64 s[0:1], s[14:15]
	s_cbranch_execz .LBB312_173
.LBB312_172:
	v_lshlrev_b32_e32 v2, 24, v3
	v_and_b32_e32 v3, 0xffff, v3
	v_and_b32_e32 v4, 3, v3
	v_ffbh_u32_e32 v6, v4
	v_min_u32_e32 v6, 32, v6
	v_subrev_u32_e32 v7, 29, v6
	v_bfe_u32 v5, v3, 2, 5
	v_lshlrev_b32_e32 v3, v7, v3
	v_sub_u32_e32 v6, 30, v6
	v_and_b32_e32 v3, 3, v3
	v_cmp_eq_u32_e32 vcc, 0, v5
	v_and_b32_e32 v2, 0x80000000, v2
	s_nop 0
	v_cndmask_b32_e32 v5, v5, v6, vcc
	v_cndmask_b32_e32 v3, v4, v3, vcc
	v_mov_b32_e32 v4, 0x37800000
	v_lshlrev_b32_e32 v3, 21, v3
	v_lshl_add_u32 v4, v5, 23, v4
	v_or3_b32 v2, v2, v4, v3
	v_cvt_i32_f32_e32 v2, v2
.LBB312_173:
	s_or_b64 exec, exec, s[0:1]
	s_mov_b64 s[0:1], 0
	s_branch .LBB312_179
.LBB312_174:
	s_mov_b64 s[14:15], -1
                                        ; implicit-def: $vgpr2
	s_branch .LBB312_185
.LBB312_175:
	s_andn2_saveexec_b64 s[0:1], s[0:1]
	s_cbranch_execz .LBB312_161
.LBB312_176:
	v_cmp_ne_u16_e32 vcc, 0, v3
	s_andn2_b64 s[14:15], s[14:15], exec
	s_and_b64 s[24:25], vcc, exec
	s_or_b64 s[14:15], s[14:15], s[24:25]
	s_or_b64 exec, exec, s[0:1]
	v_mov_b32_e32 v2, 0
	s_and_saveexec_b64 s[0:1], s[14:15]
	s_cbranch_execnz .LBB312_162
	s_branch .LBB312_163
.LBB312_177:
	s_mov_b64 s[0:1], -1
                                        ; implicit-def: $vgpr2
	s_branch .LBB312_182
.LBB312_178:
	s_mov_b64 s[0:1], -1
                                        ; implicit-def: $vgpr2
.LBB312_179:
	s_and_b64 vcc, exec, s[0:1]
	s_cbranch_vccz .LBB312_181
; %bb.180:
	global_load_ubyte v2, v[0:1], off
	s_mov_b32 s0, 0x7f800000
	s_waitcnt vmcnt(0)
	v_lshlrev_b32_e32 v2, 24, v2
	v_and_b32_e32 v3, 0x7f000000, v2
	v_ffbh_u32_e32 v4, v3
	v_min_u32_e32 v4, 32, v4
	v_sub_u32_e64 v4, v4, 4 clamp
	v_lshlrev_b32_e32 v6, v4, v3
	v_lshlrev_b32_e32 v4, 23, v4
	v_lshrrev_b32_e32 v6, 4, v6
	v_add_u32_e32 v5, 0x1000000, v3
	v_sub_u32_e32 v4, v6, v4
	v_ashrrev_i32_e32 v5, 8, v5
	v_add_u32_e32 v4, 0x3c000000, v4
	v_and_or_b32 v4, v5, s0, v4
	v_cmp_ne_u32_e32 vcc, 0, v3
	s_brev_b32 s0, 1
	s_nop 0
	v_cndmask_b32_e32 v3, 0, v4, vcc
	v_and_or_b32 v2, v2, s0, v3
	v_cvt_i32_f32_e32 v2, v2
.LBB312_181:
	s_mov_b64 s[0:1], 0
.LBB312_182:
	s_andn2_b64 vcc, exec, s[0:1]
	s_cbranch_vccnz .LBB312_184
; %bb.183:
	global_load_ubyte v2, v[0:1], off
	s_movk_i32 s0, 0x7f00
	s_brev_b32 s1, 16
	s_waitcnt vmcnt(0)
	v_lshlrev_b16_e32 v3, 8, v2
	v_lshlrev_b32_e32 v2, 25, v2
	v_lshrrev_b32_e32 v4, 4, v2
	v_and_or_b32 v5, v3, s0, 0.5
	v_or_b32_e32 v4, 0x70000000, v4
	v_add_f32_e32 v5, -0.5, v5
	v_mul_f32_e32 v4, 0x7800000, v4
	v_cmp_gt_u32_e32 vcc, s1, v2
	v_bfe_i32 v3, v3, 0, 16
	s_brev_b32 s0, 1
	v_cndmask_b32_e32 v2, v4, v5, vcc
	v_and_or_b32 v2, v3, s0, v2
	v_cvt_i32_f32_e32 v2, v2
.LBB312_184:
	s_mov_b64 s[14:15], 0
	s_mov_b64 s[0:1], -1
.LBB312_185:
	s_andn2_b64 vcc, exec, s[14:15]
	s_cbranch_vccnz .LBB312_198
; %bb.186:
	s_cmp_gt_i32 s20, 14
	s_cbranch_scc0 .LBB312_189
; %bb.187:
	s_cmp_eq_u32 s20, 15
	s_cbranch_scc0 .LBB312_192
; %bb.188:
	global_load_ushort v2, v[0:1], off
	s_mov_b64 s[0:1], -1
	s_mov_b64 s[16:17], 0
	s_waitcnt vmcnt(0)
	v_lshlrev_b32_e32 v2, 16, v2
	v_cvt_i32_f32_e32 v2, v2
	s_branch .LBB312_193
.LBB312_189:
	s_mov_b64 s[14:15], -1
                                        ; implicit-def: $vgpr2
	s_branch .LBB312_194
.LBB312_190:
	s_andn2_saveexec_b64 s[0:1], s[0:1]
	s_cbranch_execz .LBB312_171
.LBB312_191:
	v_cmp_ne_u16_e32 vcc, 0, v3
	s_andn2_b64 s[14:15], s[14:15], exec
	s_and_b64 s[24:25], vcc, exec
	s_or_b64 s[14:15], s[14:15], s[24:25]
	s_or_b64 exec, exec, s[0:1]
	v_mov_b32_e32 v2, 0
	s_and_saveexec_b64 s[0:1], s[14:15]
	s_cbranch_execnz .LBB312_172
	s_branch .LBB312_173
.LBB312_192:
	s_mov_b64 s[16:17], -1
                                        ; implicit-def: $vgpr2
.LBB312_193:
	s_mov_b64 s[14:15], 0
.LBB312_194:
	s_and_b64 vcc, exec, s[14:15]
	s_cbranch_vccz .LBB312_198
; %bb.195:
	s_cmp_eq_u32 s20, 11
	s_cbranch_scc0 .LBB312_197
; %bb.196:
	global_load_ubyte v2, v[0:1], off
	s_mov_b64 s[0:1], -1
	s_mov_b64 s[16:17], 0
	s_waitcnt vmcnt(0)
	v_cmp_ne_u16_e32 vcc, 0, v2
	s_nop 1
	v_cndmask_b32_e64 v2, 0, 1, vcc
	s_branch .LBB312_198
.LBB312_197:
	s_mov_b64 s[16:17], -1
                                        ; implicit-def: $vgpr2
.LBB312_198:
	s_branch .LBB312_10
.LBB312_199:
	s_cmp_lt_i32 s20, 5
	s_cbranch_scc1 .LBB312_204
; %bb.200:
	s_cmp_lt_i32 s20, 8
	s_cbranch_scc1 .LBB312_205
; %bb.201:
	;; [unrolled: 3-line block ×3, first 2 shown]
	s_cmp_gt_i32 s20, 9
	s_cbranch_scc0 .LBB312_207
; %bb.203:
	global_load_dwordx2 v[2:3], v[0:1], off
	s_mov_b64 s[0:1], 0
	s_waitcnt vmcnt(0)
	v_cvt_i32_f64_e32 v2, v[2:3]
	s_branch .LBB312_208
.LBB312_204:
                                        ; implicit-def: $vgpr2
	s_branch .LBB312_226
.LBB312_205:
	s_mov_b64 s[0:1], -1
                                        ; implicit-def: $vgpr2
	s_branch .LBB312_214
.LBB312_206:
	s_mov_b64 s[0:1], -1
                                        ; implicit-def: $vgpr2
	s_branch .LBB312_211
.LBB312_207:
	s_mov_b64 s[0:1], -1
                                        ; implicit-def: $vgpr2
.LBB312_208:
	s_andn2_b64 vcc, exec, s[0:1]
	s_cbranch_vccnz .LBB312_210
; %bb.209:
	global_load_dword v2, v[0:1], off
	s_waitcnt vmcnt(0)
	v_cvt_i32_f32_e32 v2, v2
.LBB312_210:
	s_mov_b64 s[0:1], 0
.LBB312_211:
	s_andn2_b64 vcc, exec, s[0:1]
	s_cbranch_vccnz .LBB312_213
; %bb.212:
	global_load_dword v2, v[0:1], off
	s_waitcnt vmcnt(0)
	v_cvt_i16_f16_e32 v2, v2
.LBB312_213:
	s_mov_b64 s[0:1], 0
.LBB312_214:
	s_andn2_b64 vcc, exec, s[0:1]
	s_cbranch_vccnz .LBB312_225
; %bb.215:
	s_cmp_lt_i32 s20, 6
	s_cbranch_scc1 .LBB312_218
; %bb.216:
	s_cmp_gt_i32 s20, 6
	s_cbranch_scc0 .LBB312_219
; %bb.217:
	global_load_dwordx2 v[2:3], v[0:1], off
	s_mov_b64 s[0:1], 0
	s_waitcnt vmcnt(0)
	v_cvt_i32_f64_e32 v2, v[2:3]
	s_branch .LBB312_220
.LBB312_218:
	s_mov_b64 s[0:1], -1
                                        ; implicit-def: $vgpr2
	s_branch .LBB312_223
.LBB312_219:
	s_mov_b64 s[0:1], -1
                                        ; implicit-def: $vgpr2
.LBB312_220:
	s_andn2_b64 vcc, exec, s[0:1]
	s_cbranch_vccnz .LBB312_222
; %bb.221:
	global_load_dword v2, v[0:1], off
	s_waitcnt vmcnt(0)
	v_cvt_i32_f32_e32 v2, v2
.LBB312_222:
	s_mov_b64 s[0:1], 0
.LBB312_223:
	s_andn2_b64 vcc, exec, s[0:1]
	s_cbranch_vccnz .LBB312_225
; %bb.224:
	global_load_ushort v2, v[0:1], off
	s_waitcnt vmcnt(0)
	v_cvt_i16_f16_e32 v2, v2
.LBB312_225:
	s_cbranch_execnz .LBB312_245
.LBB312_226:
	s_cmp_lt_i32 s20, 2
	s_cbranch_scc1 .LBB312_230
; %bb.227:
	s_cmp_lt_i32 s20, 3
	s_cbranch_scc1 .LBB312_231
; %bb.228:
	s_cmp_gt_i32 s20, 3
	s_cbranch_scc0 .LBB312_232
; %bb.229:
	global_load_dwordx2 v[2:3], v[0:1], off
	s_mov_b64 s[0:1], 0
	s_branch .LBB312_233
.LBB312_230:
	s_mov_b64 s[0:1], -1
                                        ; implicit-def: $vgpr2
	s_branch .LBB312_239
.LBB312_231:
	s_mov_b64 s[0:1], -1
                                        ; implicit-def: $vgpr2
	s_branch .LBB312_236
.LBB312_232:
	s_mov_b64 s[0:1], -1
                                        ; implicit-def: $vgpr2
.LBB312_233:
	s_andn2_b64 vcc, exec, s[0:1]
	s_cbranch_vccnz .LBB312_235
; %bb.234:
	global_load_dword v2, v[0:1], off
.LBB312_235:
	s_mov_b64 s[0:1], 0
.LBB312_236:
	s_andn2_b64 vcc, exec, s[0:1]
	s_cbranch_vccnz .LBB312_238
; %bb.237:
	global_load_ushort v2, v[0:1], off
.LBB312_238:
	s_mov_b64 s[0:1], 0
.LBB312_239:
	s_andn2_b64 vcc, exec, s[0:1]
	s_cbranch_vccnz .LBB312_245
; %bb.240:
	s_cmp_gt_i32 s20, 0
	s_cbranch_scc0 .LBB312_242
; %bb.241:
	global_load_sbyte v2, v[0:1], off
	s_mov_b64 s[0:1], 0
	s_branch .LBB312_243
.LBB312_242:
	s_mov_b64 s[0:1], -1
                                        ; implicit-def: $vgpr2
.LBB312_243:
	s_andn2_b64 vcc, exec, s[0:1]
	s_cbranch_vccnz .LBB312_245
; %bb.244:
	global_load_ubyte v2, v[0:1], off
.LBB312_245:
	s_branch .LBB312_11
.LBB312_246:
	s_mov_b64 s[0:1], 0
                                        ; implicit-def: $vgpr10
	s_mov_b64 s[20:21], 0
.LBB312_247:
	s_and_b64 s[14:15], s[0:1], exec
	s_and_b64 s[16:17], s[16:17], exec
	s_orn2_b64 s[20:21], s[20:21], exec
.LBB312_248:
	s_or_b64 exec, exec, s[18:19]
	s_mov_b64 s[24:25], 0
	s_mov_b64 s[0:1], 0
                                        ; implicit-def: $vgpr0_vgpr1
                                        ; implicit-def: $vgpr2
	s_and_saveexec_b64 s[18:19], s[20:21]
	s_cbranch_execz .LBB312_257
; %bb.249:
	v_cmp_gt_i32_e32 vcc, s40, v10
	s_mov_b64 s[0:1], -1
	s_mov_b64 s[20:21], s[16:17]
	s_mov_b64 s[22:23], s[14:15]
	s_and_saveexec_b64 s[24:25], vcc
	s_cbranch_execz .LBB312_505
; %bb.250:
	v_mul_lo_u32 v0, v10, s9
	v_ashrrev_i32_e32 v1, 31, v0
	s_and_b32 s26, 0xffff, s44
	s_cmp_lt_i32 s26, 11
	v_lshl_add_u64 v[0:1], s[6:7], 0, v[0:1]
	s_cbranch_scc1 .LBB312_260
; %bb.251:
	s_cmp_gt_i32 s26, 25
	s_cbranch_scc0 .LBB312_269
; %bb.252:
	s_cmp_gt_i32 s26, 28
	s_cbranch_scc0 .LBB312_271
	;; [unrolled: 3-line block ×4, first 2 shown]
; %bb.255:
	s_cmp_eq_u32 s26, 46
	s_mov_b64 s[22:23], 0
	s_cbranch_scc0 .LBB312_281
; %bb.256:
	global_load_dword v2, v[0:1], off
	s_mov_b64 s[20:21], 0
	s_waitcnt vmcnt(0)
	v_lshlrev_b32_e32 v2, 16, v2
	v_cvt_i32_f32_e32 v2, v2
	s_branch .LBB312_282
.LBB312_257:
	s_or_b64 exec, exec, s[18:19]
	s_mov_b64 s[18:19], 0
	s_and_saveexec_b64 s[20:21], s[16:17]
	s_cbranch_execnz .LBB312_843
.LBB312_258:
	s_or_b64 exec, exec, s[20:21]
	s_and_saveexec_b64 s[16:17], s[22:23]
	s_xor_b64 s[16:17], exec, s[16:17]
	s_cbranch_execz .LBB312_844
.LBB312_259:
	global_load_ubyte v2, v[0:1], off
	s_or_b64 s[0:1], s[0:1], exec
	s_waitcnt vmcnt(0)
	v_cmp_ne_u16_e32 vcc, 0, v2
	s_nop 1
	v_cndmask_b32_e64 v2, 0, 1, vcc
	s_or_b64 exec, exec, s[16:17]
	s_and_saveexec_b64 s[16:17], s[24:25]
	s_cbranch_execz .LBB312_890
	s_branch .LBB312_845
.LBB312_260:
	s_mov_b64 s[0:1], 0
                                        ; implicit-def: $vgpr2
	s_mov_b64 s[20:21], s[16:17]
	s_cbranch_execnz .LBB312_455
.LBB312_261:
	s_andn2_b64 vcc, exec, s[0:1]
	s_cbranch_vccnz .LBB312_503
.LBB312_262:
	s_waitcnt vmcnt(0)
	v_max_i16_e32 v0, s10, v2
	v_min_i16_e32 v4, s33, v0
	v_mul_lo_u32 v0, v10, s8
	v_ashrrev_i32_e32 v1, 31, v0
	s_and_b32 s30, s11, 0xff
	s_cmp_lt_i32 s30, 11
	v_lshl_add_u64 v[0:1], s[4:5], 0, v[0:1]
	s_cbranch_scc1 .LBB312_270
; %bb.263:
	s_and_b32 s31, 0xffff, s30
	s_cmp_gt_i32 s31, 25
	s_cbranch_scc0 .LBB312_272
; %bb.264:
	s_cmp_gt_i32 s31, 28
	s_cbranch_scc0 .LBB312_274
; %bb.265:
	;; [unrolled: 3-line block ×4, first 2 shown]
	s_mov_b64 s[26:27], 0
	s_mov_b64 s[0:1], -1
	s_cmp_eq_u32 s31, 46
	s_mov_b64 s[22:23], 0
	s_cbranch_scc0 .LBB312_286
; %bb.268:
	v_cvt_f32_i32_sdwa v2, sext(v4) dst_sel:DWORD dst_unused:UNUSED_PAD src0_sel:WORD_0
	s_movk_i32 s0, 0x7fff
	s_mov_b64 s[22:23], -1
	v_bfe_u32 v3, v2, 16, 1
	v_add3_u32 v2, v2, v3, s0
	v_lshrrev_b32_e32 v2, 16, v2
	global_store_dword v[0:1], v2, off
	s_mov_b64 s[0:1], 0
	s_branch .LBB312_286
.LBB312_269:
	s_mov_b64 s[22:23], -1
	s_mov_b64 s[0:1], 0
	s_mov_b64 s[20:21], s[16:17]
                                        ; implicit-def: $vgpr2
	s_branch .LBB312_421
.LBB312_270:
	s_mov_b64 s[26:27], -1
	s_mov_b64 s[22:23], 0
	s_mov_b64 s[0:1], s[14:15]
	s_branch .LBB312_355
.LBB312_271:
	s_mov_b64 s[22:23], -1
	s_mov_b64 s[0:1], 0
	s_mov_b64 s[20:21], s[16:17]
                                        ; implicit-def: $vgpr2
	s_branch .LBB312_404
.LBB312_272:
	s_mov_b64 s[26:27], -1
	s_mov_b64 s[22:23], 0
	s_mov_b64 s[0:1], s[14:15]
	s_branch .LBB312_313
.LBB312_273:
	s_mov_b64 s[22:23], -1
	s_mov_b64 s[0:1], 0
	s_mov_b64 s[20:21], s[16:17]
                                        ; implicit-def: $vgpr2
	s_branch .LBB312_399
.LBB312_274:
	s_mov_b64 s[26:27], -1
	s_mov_b64 s[22:23], 0
	s_mov_b64 s[0:1], s[14:15]
	s_branch .LBB312_296
.LBB312_275:
	s_andn2_saveexec_b64 s[24:25], s[24:25]
	s_cbranch_execz .LBB312_55
.LBB312_276:
	s_mov_b32 s28, 0x46000000
	v_add_f32_e64 v3, |v2|, s28
	v_and_b32_e32 v3, 0xff, v3
	v_cmp_ne_u32_e32 vcc, 0, v3
	s_andn2_b64 s[20:21], s[20:21], exec
	s_and_b64 s[28:29], vcc, exec
	s_or_b64 s[20:21], s[20:21], s[28:29]
	s_or_b64 exec, exec, s[24:25]
	v_mov_b32_e32 v5, 0
	s_and_saveexec_b64 s[24:25], s[20:21]
	s_cbranch_execnz .LBB312_56
	s_branch .LBB312_57
.LBB312_277:
	s_mov_b64 s[22:23], -1
	s_mov_b64 s[0:1], 0
	s_mov_b64 s[20:21], s[16:17]
                                        ; implicit-def: $vgpr2
	s_branch .LBB312_282
.LBB312_278:
	s_mov_b64 s[26:27], -1
	s_mov_b64 s[22:23], 0
	s_mov_b64 s[0:1], s[14:15]
	s_branch .LBB312_292
.LBB312_279:
	s_andn2_saveexec_b64 s[24:25], s[24:25]
	s_cbranch_execz .LBB312_68
.LBB312_280:
	s_mov_b32 s28, 0x42800000
	v_add_f32_e64 v3, |v2|, s28
	v_and_b32_e32 v3, 0xff, v3
	v_cmp_ne_u32_e32 vcc, 0, v3
	s_andn2_b64 s[20:21], s[20:21], exec
	s_and_b64 s[28:29], vcc, exec
	s_or_b64 s[20:21], s[20:21], s[28:29]
	s_or_b64 exec, exec, s[24:25]
	v_mov_b32_e32 v5, 0
	s_and_saveexec_b64 s[24:25], s[20:21]
	s_cbranch_execnz .LBB312_69
	s_branch .LBB312_70
.LBB312_281:
	s_mov_b64 s[20:21], -1
                                        ; implicit-def: $vgpr2
	s_mov_b64 s[0:1], 0
.LBB312_282:
	s_and_b64 vcc, exec, s[22:23]
	s_cbranch_vccz .LBB312_398
; %bb.283:
	s_cmp_eq_u32 s26, 44
	s_cbranch_scc0 .LBB312_397
; %bb.284:
	global_load_ubyte v2, v[0:1], off
	s_mov_b64 s[0:1], -1
	s_mov_b64 s[20:21], 0
	s_waitcnt vmcnt(0)
	v_lshlrev_b32_e32 v3, 23, v2
	v_cvt_i32_f32_e32 v3, v3
	v_cmp_ne_u32_e32 vcc, 0, v2
	s_nop 1
	v_cndmask_b32_e32 v2, 0, v3, vcc
	s_branch .LBB312_398
.LBB312_285:
	s_mov_b64 s[26:27], -1
	s_mov_b64 s[22:23], 0
	s_mov_b64 s[0:1], s[14:15]
.LBB312_286:
	s_and_b64 vcc, exec, s[26:27]
	s_cbranch_vccz .LBB312_291
; %bb.287:
	s_cmp_eq_u32 s31, 44
	s_mov_b64 s[0:1], -1
	s_cbranch_scc0 .LBB312_291
; %bb.288:
	v_cvt_f32_i32_sdwa v2, sext(v4) dst_sel:DWORD dst_unused:UNUSED_PAD src0_sel:WORD_0
	s_movk_i32 s0, 0xff
	v_mov_b32_e32 v5, 0xff
	v_bfe_u32 v3, v2, 23, 8
	v_cmp_ne_u32_e32 vcc, s0, v3
	s_and_saveexec_b64 s[22:23], vcc
; %bb.289:
	s_mov_b32 s0, 0x3fffff
	v_lshrrev_b32_e32 v5, 23, v2
	v_and_b32_e32 v6, 0x400000, v2
	v_and_or_b32 v2, v2, s0, v3
	v_cmp_ne_u32_e32 vcc, 0, v6
	v_cmp_ne_u32_e64 s[0:1], 0, v2
	s_and_b64 s[0:1], vcc, s[0:1]
	s_nop 0
	v_cndmask_b32_e64 v2, 0, 1, s[0:1]
	v_add_u32_e32 v5, v5, v2
; %bb.290:
	s_or_b64 exec, exec, s[22:23]
	s_mov_b64 s[22:23], -1
	s_mov_b64 s[0:1], 0
	global_store_byte v[0:1], v5, off
.LBB312_291:
	s_mov_b64 s[26:27], 0
.LBB312_292:
	s_and_b64 vcc, exec, s[26:27]
	s_cbranch_vccz .LBB312_295
; %bb.293:
	s_cmp_eq_u32 s31, 29
	s_mov_b64 s[0:1], -1
	s_cbranch_scc0 .LBB312_295
; %bb.294:
	v_bfe_i32 v2, v4, 0, 16
	v_ashrrev_i32_e32 v3, 31, v2
	global_store_dwordx2 v[0:1], v[2:3], off
	s_mov_b64 s[22:23], -1
	s_mov_b64 s[0:1], 0
.LBB312_295:
	s_mov_b64 s[26:27], 0
.LBB312_296:
	s_and_b64 vcc, exec, s[26:27]
	s_cbranch_vccz .LBB312_312
; %bb.297:
	s_cmp_lt_i32 s31, 27
	s_mov_b64 s[22:23], -1
	s_cbranch_scc1 .LBB312_303
; %bb.298:
	s_cmp_gt_i32 s31, 27
	s_cbranch_scc0 .LBB312_300
; %bb.299:
	v_bfe_i32 v2, v4, 0, 16
	s_mov_b64 s[22:23], 0
	global_store_dword v[0:1], v2, off
.LBB312_300:
	s_andn2_b64 vcc, exec, s[22:23]
	s_cbranch_vccnz .LBB312_302
; %bb.301:
	global_store_short v[0:1], v4, off
.LBB312_302:
	s_mov_b64 s[22:23], 0
.LBB312_303:
	s_andn2_b64 vcc, exec, s[22:23]
	s_cbranch_vccnz .LBB312_311
; %bb.304:
	v_cvt_f32_i32_sdwa v2, sext(v4) dst_sel:DWORD dst_unused:UNUSED_PAD src0_sel:WORD_0
	s_mov_b32 s22, 0x43800000
	v_mov_b32_e32 v5, 0x80
	v_and_b32_e32 v3, 0x7fffffff, v2
	v_cmp_gt_u32_e32 vcc, s22, v3
	s_and_saveexec_b64 s[22:23], vcc
	s_cbranch_execz .LBB312_310
; %bb.305:
	s_mov_b32 s26, 0x3bffffff
	v_cmp_lt_u32_e32 vcc, s26, v3
	s_mov_b64 s[26:27], 0
                                        ; implicit-def: $vgpr3
	s_and_saveexec_b64 s[28:29], vcc
	s_xor_b64 s[28:29], exec, s[28:29]
	s_cbranch_execz .LBB312_518
; %bb.306:
	v_bfe_u32 v3, v2, 20, 1
	s_mov_b32 s34, 0x487ffff
	v_add3_u32 v3, v2, v3, s34
	s_mov_b64 s[26:27], exec
	v_lshrrev_b32_e32 v3, 20, v3
	s_andn2_saveexec_b64 s[28:29], s[28:29]
	s_cbranch_execnz .LBB312_519
.LBB312_307:
	s_or_b64 exec, exec, s[28:29]
	v_mov_b32_e32 v5, 0
	s_and_saveexec_b64 s[28:29], s[26:27]
.LBB312_308:
	v_lshrrev_b32_e32 v2, 24, v2
	s_movk_i32 s26, 0x80
	v_and_or_b32 v5, v2, s26, v3
.LBB312_309:
	s_or_b64 exec, exec, s[28:29]
.LBB312_310:
	s_or_b64 exec, exec, s[22:23]
	global_store_byte v[0:1], v5, off
.LBB312_311:
	s_mov_b64 s[22:23], -1
.LBB312_312:
	s_mov_b64 s[26:27], 0
.LBB312_313:
	s_and_b64 vcc, exec, s[26:27]
	s_cbranch_vccz .LBB312_354
; %bb.314:
	s_cmp_gt_i32 s31, 22
	s_mov_b64 s[26:27], -1
	s_cbranch_scc0 .LBB312_346
; %bb.315:
	s_cmp_lt_i32 s31, 24
	s_mov_b64 s[22:23], -1
	s_cbranch_scc1 .LBB312_335
; %bb.316:
	s_cmp_gt_i32 s31, 24
	s_cbranch_scc0 .LBB312_324
; %bb.317:
	v_cvt_f32_i32_sdwa v2, sext(v4) dst_sel:DWORD dst_unused:UNUSED_PAD src0_sel:WORD_0
	s_mov_b32 s22, 0x47800000
	v_mov_b32_e32 v5, 0x80
	v_and_b32_e32 v3, 0x7fffffff, v2
	v_cmp_gt_u32_e32 vcc, s22, v3
	s_and_saveexec_b64 s[22:23], vcc
	s_cbranch_execz .LBB312_323
; %bb.318:
	s_mov_b32 s26, 0x37ffffff
	v_cmp_lt_u32_e32 vcc, s26, v3
	s_mov_b64 s[26:27], 0
                                        ; implicit-def: $vgpr3
	s_and_saveexec_b64 s[28:29], vcc
	s_xor_b64 s[28:29], exec, s[28:29]
	s_cbranch_execz .LBB312_521
; %bb.319:
	v_bfe_u32 v3, v2, 21, 1
	s_mov_b32 s34, 0x88fffff
	v_add3_u32 v3, v2, v3, s34
	s_mov_b64 s[26:27], exec
	v_lshrrev_b32_e32 v3, 21, v3
	s_andn2_saveexec_b64 s[28:29], s[28:29]
	s_cbranch_execnz .LBB312_522
.LBB312_320:
	s_or_b64 exec, exec, s[28:29]
	v_mov_b32_e32 v5, 0
	s_and_saveexec_b64 s[28:29], s[26:27]
.LBB312_321:
	v_lshrrev_b32_e32 v2, 24, v2
	s_movk_i32 s26, 0x80
	v_and_or_b32 v5, v2, s26, v3
.LBB312_322:
	s_or_b64 exec, exec, s[28:29]
.LBB312_323:
	s_or_b64 exec, exec, s[22:23]
	s_mov_b64 s[22:23], 0
	global_store_byte v[0:1], v5, off
.LBB312_324:
	s_and_b64 vcc, exec, s[22:23]
	s_cbranch_vccz .LBB312_334
; %bb.325:
	v_cvt_f32_i32_sdwa v2, sext(v4) dst_sel:DWORD dst_unused:UNUSED_PAD src0_sel:WORD_0
	s_mov_b32 s22, 0x43f00000
                                        ; implicit-def: $vgpr3
	v_and_b32_e32 v5, 0x7fffffff, v2
	v_cmp_gt_u32_e32 vcc, s22, v5
	s_and_saveexec_b64 s[22:23], vcc
	s_xor_b64 s[22:23], exec, s[22:23]
	s_cbranch_execz .LBB312_331
; %bb.326:
	s_mov_b32 s26, 0x3c7fffff
	v_cmp_lt_u32_e32 vcc, s26, v5
                                        ; implicit-def: $vgpr3
	s_and_saveexec_b64 s[26:27], vcc
	s_xor_b64 s[26:27], exec, s[26:27]
; %bb.327:
	v_bfe_u32 v3, v2, 20, 1
	s_mov_b32 s28, 0x407ffff
	v_add3_u32 v3, v2, v3, s28
	v_lshrrev_b32_e32 v5, 20, v3
	v_and_b32_e32 v3, 0xff00000, v3
	s_mov_b32 s28, 0x7f00000
	v_mov_b32_e32 v6, 0x7e
	v_cmp_ne_u32_e32 vcc, s28, v3
	s_nop 1
	v_cndmask_b32_e32 v3, v6, v5, vcc
; %bb.328:
	s_andn2_saveexec_b64 s[26:27], s[26:27]
; %bb.329:
	s_mov_b32 s28, 0x46800000
	v_add_f32_e64 v3, |v2|, s28
; %bb.330:
	s_or_b64 exec, exec, s[26:27]
                                        ; implicit-def: $vgpr5
.LBB312_331:
	s_andn2_saveexec_b64 s[22:23], s[22:23]
; %bb.332:
	s_mov_b32 s26, 0x7f800000
	v_mov_b32_e32 v3, 0x7e
	v_mov_b32_e32 v6, 0x7f
	v_cmp_lt_u32_e32 vcc, s26, v5
	s_nop 1
	v_cndmask_b32_e32 v3, v3, v6, vcc
; %bb.333:
	s_or_b64 exec, exec, s[22:23]
	v_lshrrev_b32_e32 v2, 24, v2
	s_movk_i32 s22, 0x80
	v_and_or_b32 v2, v2, s22, v3
	global_store_byte v[0:1], v2, off
.LBB312_334:
	s_mov_b64 s[22:23], 0
.LBB312_335:
	s_andn2_b64 vcc, exec, s[22:23]
	s_cbranch_vccnz .LBB312_345
; %bb.336:
	v_cvt_f32_i32_sdwa v2, sext(v4) dst_sel:DWORD dst_unused:UNUSED_PAD src0_sel:WORD_0
	s_mov_b32 s22, 0x47800000
                                        ; implicit-def: $vgpr3
	v_and_b32_e32 v5, 0x7fffffff, v2
	v_cmp_gt_u32_e32 vcc, s22, v5
	s_and_saveexec_b64 s[22:23], vcc
	s_xor_b64 s[22:23], exec, s[22:23]
	s_cbranch_execz .LBB312_342
; %bb.337:
	s_mov_b32 s26, 0x387fffff
	v_cmp_lt_u32_e32 vcc, s26, v5
                                        ; implicit-def: $vgpr3
	s_and_saveexec_b64 s[26:27], vcc
	s_xor_b64 s[26:27], exec, s[26:27]
; %bb.338:
	v_bfe_u32 v3, v2, 21, 1
	s_mov_b32 s28, 0x80fffff
	v_add3_u32 v3, v2, v3, s28
	v_lshrrev_b32_e32 v3, 21, v3
; %bb.339:
	s_andn2_saveexec_b64 s[26:27], s[26:27]
; %bb.340:
	s_mov_b32 s28, 0x43000000
	v_add_f32_e64 v3, |v2|, s28
; %bb.341:
	s_or_b64 exec, exec, s[26:27]
                                        ; implicit-def: $vgpr5
.LBB312_342:
	s_andn2_saveexec_b64 s[22:23], s[22:23]
; %bb.343:
	s_mov_b32 s26, 0x7f800000
	v_mov_b32_e32 v3, 0x7c
	v_mov_b32_e32 v6, 0x7f
	v_cmp_lt_u32_e32 vcc, s26, v5
	s_nop 1
	v_cndmask_b32_e32 v3, v3, v6, vcc
; %bb.344:
	s_or_b64 exec, exec, s[22:23]
	v_lshrrev_b32_e32 v2, 24, v2
	s_movk_i32 s22, 0x80
	v_and_or_b32 v2, v2, s22, v3
	global_store_byte v[0:1], v2, off
.LBB312_345:
	s_mov_b64 s[26:27], 0
	s_mov_b64 s[22:23], -1
.LBB312_346:
	s_andn2_b64 vcc, exec, s[26:27]
	s_cbranch_vccnz .LBB312_354
; %bb.347:
	s_cmp_gt_i32 s31, 14
	s_mov_b64 s[26:27], -1
	s_cbranch_scc0 .LBB312_351
; %bb.348:
	s_cmp_eq_u32 s31, 15
	s_mov_b64 s[0:1], -1
	s_cbranch_scc0 .LBB312_350
; %bb.349:
	v_cvt_f32_i32_sdwa v2, sext(v4) dst_sel:DWORD dst_unused:UNUSED_PAD src0_sel:WORD_0
	s_movk_i32 s0, 0x7fff
	s_mov_b64 s[22:23], -1
	v_bfe_u32 v3, v2, 16, 1
	v_add3_u32 v2, v2, v3, s0
	global_store_short_d16_hi v[0:1], v2, off
	s_mov_b64 s[0:1], 0
.LBB312_350:
	s_mov_b64 s[26:27], 0
.LBB312_351:
	s_and_b64 vcc, exec, s[26:27]
	s_cbranch_vccz .LBB312_354
; %bb.352:
	s_cmp_eq_u32 s31, 11
	s_mov_b64 s[0:1], -1
	s_cbranch_scc0 .LBB312_354
; %bb.353:
	v_cmp_ne_u16_e32 vcc, 0, v4
	s_mov_b64 s[22:23], -1
	s_mov_b64 s[0:1], 0
	v_cndmask_b32_e64 v2, 0, 1, vcc
	global_store_byte v[0:1], v2, off
.LBB312_354:
	s_mov_b64 s[26:27], 0
.LBB312_355:
	s_and_b64 vcc, exec, s[26:27]
	s_cbranch_vccz .LBB312_394
; %bb.356:
	s_and_b32 s26, 0xffff, s30
	s_cmp_lt_i32 s26, 5
	s_mov_b64 s[22:23], -1
	s_cbranch_scc1 .LBB312_377
; %bb.357:
	s_cmp_lt_i32 s26, 8
	s_cbranch_scc1 .LBB312_367
; %bb.358:
	s_cmp_lt_i32 s26, 9
	s_cbranch_scc1 .LBB312_364
; %bb.359:
	s_cmp_gt_i32 s26, 9
	s_cbranch_scc0 .LBB312_361
; %bb.360:
	v_bfe_i32 v2, v4, 0, 16
	v_mov_b32_e32 v8, 0
	v_cvt_f64_i32_e32 v[6:7], v2
	v_mov_b32_e32 v9, v8
	s_mov_b64 s[22:23], 0
	global_store_dwordx4 v[0:1], v[6:9], off
.LBB312_361:
	s_andn2_b64 vcc, exec, s[22:23]
	s_cbranch_vccnz .LBB312_363
; %bb.362:
	v_cvt_f32_i32_sdwa v2, sext(v4) dst_sel:DWORD dst_unused:UNUSED_PAD src0_sel:WORD_0
	v_mov_b32_e32 v3, 0
	global_store_dwordx2 v[0:1], v[2:3], off
.LBB312_363:
	s_mov_b64 s[22:23], 0
.LBB312_364:
	s_andn2_b64 vcc, exec, s[22:23]
	s_cbranch_vccnz .LBB312_366
; %bb.365:
	v_cvt_f16_i16_e32 v2, v4
	global_store_dword v[0:1], v2, off
.LBB312_366:
	s_mov_b64 s[22:23], 0
.LBB312_367:
	s_andn2_b64 vcc, exec, s[22:23]
	s_cbranch_vccnz .LBB312_376
; %bb.368:
	s_cmp_lt_i32 s26, 6
	s_mov_b64 s[22:23], -1
	s_cbranch_scc1 .LBB312_374
; %bb.369:
	s_cmp_gt_i32 s26, 6
	s_cbranch_scc0 .LBB312_371
; %bb.370:
	v_bfe_i32 v2, v4, 0, 16
	v_cvt_f64_i32_e32 v[2:3], v2
	s_mov_b64 s[22:23], 0
	global_store_dwordx2 v[0:1], v[2:3], off
.LBB312_371:
	s_andn2_b64 vcc, exec, s[22:23]
	s_cbranch_vccnz .LBB312_373
; %bb.372:
	v_cvt_f32_i32_sdwa v2, sext(v4) dst_sel:DWORD dst_unused:UNUSED_PAD src0_sel:WORD_0
	global_store_dword v[0:1], v2, off
.LBB312_373:
	s_mov_b64 s[22:23], 0
.LBB312_374:
	s_andn2_b64 vcc, exec, s[22:23]
	s_cbranch_vccnz .LBB312_376
; %bb.375:
	v_cvt_f16_i16_e32 v2, v4
	global_store_short v[0:1], v2, off
.LBB312_376:
	s_mov_b64 s[22:23], 0
.LBB312_377:
	s_andn2_b64 vcc, exec, s[22:23]
	s_cbranch_vccnz .LBB312_393
; %bb.378:
	s_cmp_lt_i32 s26, 2
	s_mov_b64 s[22:23], -1
	s_cbranch_scc1 .LBB312_388
; %bb.379:
	s_cmp_lt_i32 s26, 3
	s_cbranch_scc1 .LBB312_385
; %bb.380:
	s_cmp_gt_i32 s26, 3
	v_bfe_i32 v2, v4, 0, 16
	s_cbranch_scc0 .LBB312_382
; %bb.381:
	v_ashrrev_i32_e32 v3, 31, v2
	s_mov_b64 s[22:23], 0
	global_store_dwordx2 v[0:1], v[2:3], off
.LBB312_382:
	s_andn2_b64 vcc, exec, s[22:23]
	s_cbranch_vccnz .LBB312_384
; %bb.383:
	global_store_dword v[0:1], v2, off
.LBB312_384:
	s_mov_b64 s[22:23], 0
.LBB312_385:
	s_andn2_b64 vcc, exec, s[22:23]
	s_cbranch_vccnz .LBB312_387
; %bb.386:
	global_store_short v[0:1], v4, off
.LBB312_387:
	s_mov_b64 s[22:23], 0
.LBB312_388:
	s_andn2_b64 vcc, exec, s[22:23]
	s_cbranch_vccnz .LBB312_393
; %bb.389:
	s_cmp_gt_i32 s26, 0
	s_mov_b64 s[22:23], -1
	s_cbranch_scc0 .LBB312_391
; %bb.390:
	s_mov_b64 s[22:23], 0
	global_store_byte v[0:1], v4, off
.LBB312_391:
	s_andn2_b64 vcc, exec, s[22:23]
	s_cbranch_vccnz .LBB312_393
; %bb.392:
	global_store_byte v[0:1], v4, off
.LBB312_393:
	s_mov_b64 s[22:23], -1
.LBB312_394:
	s_andn2_b64 vcc, exec, s[22:23]
	s_cbranch_vccnz .LBB312_396
; %bb.395:
	v_add_u32_e32 v10, 0x80, v10
	s_mov_b64 s[26:27], -1
	s_branch .LBB312_504
.LBB312_396:
	s_mov_b64 s[26:27], 0
                                        ; implicit-def: $vgpr10
	s_branch .LBB312_504
.LBB312_397:
	s_mov_b64 s[20:21], -1
                                        ; implicit-def: $vgpr2
.LBB312_398:
	s_mov_b64 s[22:23], 0
.LBB312_399:
	s_and_b64 vcc, exec, s[22:23]
	s_cbranch_vccz .LBB312_403
; %bb.400:
	s_cmp_eq_u32 s26, 29
	s_cbranch_scc0 .LBB312_402
; %bb.401:
	global_load_dwordx2 v[2:3], v[0:1], off
	s_mov_b64 s[0:1], -1
	s_mov_b64 s[20:21], 0
	s_branch .LBB312_403
.LBB312_402:
	s_mov_b64 s[20:21], -1
                                        ; implicit-def: $vgpr2
.LBB312_403:
	s_mov_b64 s[22:23], 0
.LBB312_404:
	s_and_b64 vcc, exec, s[22:23]
	s_cbranch_vccz .LBB312_420
; %bb.405:
	s_cmp_lt_i32 s26, 27
	s_cbranch_scc1 .LBB312_408
; %bb.406:
	s_cmp_gt_i32 s26, 27
	s_cbranch_scc0 .LBB312_409
; %bb.407:
	global_load_dword v2, v[0:1], off
	s_mov_b64 s[0:1], 0
	s_branch .LBB312_410
.LBB312_408:
	s_mov_b64 s[0:1], -1
                                        ; implicit-def: $vgpr2
	s_branch .LBB312_413
.LBB312_409:
	s_mov_b64 s[0:1], -1
                                        ; implicit-def: $vgpr2
.LBB312_410:
	s_andn2_b64 vcc, exec, s[0:1]
	s_cbranch_vccnz .LBB312_412
; %bb.411:
	global_load_ushort v2, v[0:1], off
.LBB312_412:
	s_mov_b64 s[0:1], 0
.LBB312_413:
	s_andn2_b64 vcc, exec, s[0:1]
	s_cbranch_vccnz .LBB312_419
; %bb.414:
	global_load_ubyte v3, v[0:1], off
	s_movk_i32 s0, 0x7f
	s_mov_b64 s[22:23], 0
	s_waitcnt vmcnt(0)
	v_cmp_lt_i16_e32 vcc, s0, v3
	s_and_saveexec_b64 s[0:1], vcc
	s_xor_b64 s[0:1], exec, s[0:1]
	s_cbranch_execz .LBB312_431
; %bb.415:
	s_movk_i32 s22, 0x80
	v_cmp_ne_u16_e32 vcc, s22, v3
	s_and_b64 s[22:23], vcc, exec
	s_andn2_saveexec_b64 s[0:1], s[0:1]
	s_cbranch_execnz .LBB312_432
.LBB312_416:
	s_or_b64 exec, exec, s[0:1]
	v_mov_b32_e32 v2, 0
	s_and_saveexec_b64 s[0:1], s[22:23]
	s_cbranch_execz .LBB312_418
.LBB312_417:
	v_lshlrev_b32_e32 v2, 24, v3
	v_and_b32_e32 v3, 0xffff, v3
	v_and_b32_e32 v4, 7, v3
	v_ffbh_u32_e32 v6, v4
	v_min_u32_e32 v6, 32, v6
	v_subrev_u32_e32 v7, 28, v6
	v_bfe_u32 v5, v3, 3, 4
	v_lshlrev_b32_e32 v3, v7, v3
	v_sub_u32_e32 v6, 29, v6
	v_and_b32_e32 v3, 7, v3
	v_cmp_eq_u32_e32 vcc, 0, v5
	v_and_b32_e32 v2, 0x80000000, v2
	s_nop 0
	v_cndmask_b32_e32 v5, v5, v6, vcc
	v_cndmask_b32_e32 v3, v4, v3, vcc
	v_mov_b32_e32 v4, 0x3b800000
	v_lshlrev_b32_e32 v3, 20, v3
	v_lshl_add_u32 v4, v5, 23, v4
	v_or3_b32 v2, v2, v4, v3
	v_cvt_i32_f32_e32 v2, v2
.LBB312_418:
	s_or_b64 exec, exec, s[0:1]
.LBB312_419:
	s_mov_b64 s[0:1], -1
.LBB312_420:
	s_mov_b64 s[22:23], 0
.LBB312_421:
	s_and_b64 vcc, exec, s[22:23]
	s_cbranch_vccz .LBB312_454
; %bb.422:
	s_cmp_gt_i32 s26, 22
	s_cbranch_scc0 .LBB312_430
; %bb.423:
	s_cmp_lt_i32 s26, 24
	s_cbranch_scc1 .LBB312_433
; %bb.424:
	s_cmp_gt_i32 s26, 24
	s_cbranch_scc0 .LBB312_434
; %bb.425:
	global_load_ubyte v3, v[0:1], off
	s_movk_i32 s0, 0x7f
	s_mov_b64 s[22:23], 0
	s_waitcnt vmcnt(0)
	v_cmp_lt_i16_e32 vcc, s0, v3
	s_and_saveexec_b64 s[0:1], vcc
	s_xor_b64 s[0:1], exec, s[0:1]
	s_cbranch_execz .LBB312_446
; %bb.426:
	s_movk_i32 s22, 0x80
	v_cmp_ne_u16_e32 vcc, s22, v3
	s_and_b64 s[22:23], vcc, exec
	s_andn2_saveexec_b64 s[0:1], s[0:1]
	s_cbranch_execnz .LBB312_447
.LBB312_427:
	s_or_b64 exec, exec, s[0:1]
	v_mov_b32_e32 v2, 0
	s_and_saveexec_b64 s[0:1], s[22:23]
	s_cbranch_execz .LBB312_429
.LBB312_428:
	v_lshlrev_b32_e32 v2, 24, v3
	v_and_b32_e32 v3, 0xffff, v3
	v_and_b32_e32 v4, 3, v3
	v_ffbh_u32_e32 v6, v4
	v_min_u32_e32 v6, 32, v6
	v_subrev_u32_e32 v7, 29, v6
	v_bfe_u32 v5, v3, 2, 5
	v_lshlrev_b32_e32 v3, v7, v3
	v_sub_u32_e32 v6, 30, v6
	v_and_b32_e32 v3, 3, v3
	v_cmp_eq_u32_e32 vcc, 0, v5
	v_and_b32_e32 v2, 0x80000000, v2
	s_nop 0
	v_cndmask_b32_e32 v5, v5, v6, vcc
	v_cndmask_b32_e32 v3, v4, v3, vcc
	v_mov_b32_e32 v4, 0x37800000
	v_lshlrev_b32_e32 v3, 21, v3
	v_lshl_add_u32 v4, v5, 23, v4
	v_or3_b32 v2, v2, v4, v3
	v_cvt_i32_f32_e32 v2, v2
.LBB312_429:
	s_or_b64 exec, exec, s[0:1]
	s_mov_b64 s[0:1], 0
	s_branch .LBB312_435
.LBB312_430:
	s_mov_b64 s[22:23], -1
                                        ; implicit-def: $vgpr2
	s_branch .LBB312_441
.LBB312_431:
	s_andn2_saveexec_b64 s[0:1], s[0:1]
	s_cbranch_execz .LBB312_416
.LBB312_432:
	v_cmp_ne_u16_e32 vcc, 0, v3
	s_andn2_b64 s[22:23], s[22:23], exec
	s_and_b64 s[28:29], vcc, exec
	s_or_b64 s[22:23], s[22:23], s[28:29]
	s_or_b64 exec, exec, s[0:1]
	v_mov_b32_e32 v2, 0
	s_and_saveexec_b64 s[0:1], s[22:23]
	s_cbranch_execnz .LBB312_417
	s_branch .LBB312_418
.LBB312_433:
	s_mov_b64 s[0:1], -1
                                        ; implicit-def: $vgpr2
	s_branch .LBB312_438
.LBB312_434:
	s_mov_b64 s[0:1], -1
                                        ; implicit-def: $vgpr2
.LBB312_435:
	s_and_b64 vcc, exec, s[0:1]
	s_cbranch_vccz .LBB312_437
; %bb.436:
	global_load_ubyte v2, v[0:1], off
	s_mov_b32 s0, 0x7f800000
	s_waitcnt vmcnt(0)
	v_lshlrev_b32_e32 v2, 24, v2
	v_and_b32_e32 v3, 0x7f000000, v2
	v_ffbh_u32_e32 v4, v3
	v_min_u32_e32 v4, 32, v4
	v_sub_u32_e64 v4, v4, 4 clamp
	v_lshlrev_b32_e32 v6, v4, v3
	v_lshlrev_b32_e32 v4, 23, v4
	v_lshrrev_b32_e32 v6, 4, v6
	v_add_u32_e32 v5, 0x1000000, v3
	v_sub_u32_e32 v4, v6, v4
	v_ashrrev_i32_e32 v5, 8, v5
	v_add_u32_e32 v4, 0x3c000000, v4
	v_and_or_b32 v4, v5, s0, v4
	v_cmp_ne_u32_e32 vcc, 0, v3
	s_brev_b32 s0, 1
	s_nop 0
	v_cndmask_b32_e32 v3, 0, v4, vcc
	v_and_or_b32 v2, v2, s0, v3
	v_cvt_i32_f32_e32 v2, v2
.LBB312_437:
	s_mov_b64 s[0:1], 0
.LBB312_438:
	s_andn2_b64 vcc, exec, s[0:1]
	s_cbranch_vccnz .LBB312_440
; %bb.439:
	global_load_ubyte v2, v[0:1], off
	s_movk_i32 s0, 0x7f00
	s_brev_b32 s1, 16
	s_waitcnt vmcnt(0)
	v_lshlrev_b16_e32 v3, 8, v2
	v_lshlrev_b32_e32 v2, 25, v2
	v_lshrrev_b32_e32 v4, 4, v2
	v_and_or_b32 v5, v3, s0, 0.5
	v_or_b32_e32 v4, 0x70000000, v4
	v_add_f32_e32 v5, -0.5, v5
	v_mul_f32_e32 v4, 0x7800000, v4
	v_cmp_gt_u32_e32 vcc, s1, v2
	v_bfe_i32 v3, v3, 0, 16
	s_brev_b32 s0, 1
	v_cndmask_b32_e32 v2, v4, v5, vcc
	v_and_or_b32 v2, v3, s0, v2
	v_cvt_i32_f32_e32 v2, v2
.LBB312_440:
	s_mov_b64 s[22:23], 0
	s_mov_b64 s[0:1], -1
.LBB312_441:
	s_andn2_b64 vcc, exec, s[22:23]
	s_cbranch_vccnz .LBB312_454
; %bb.442:
	s_cmp_gt_i32 s26, 14
	s_cbranch_scc0 .LBB312_445
; %bb.443:
	s_cmp_eq_u32 s26, 15
	s_cbranch_scc0 .LBB312_448
; %bb.444:
	global_load_ushort v2, v[0:1], off
	s_mov_b64 s[0:1], -1
	s_mov_b64 s[20:21], 0
	s_waitcnt vmcnt(0)
	v_lshlrev_b32_e32 v2, 16, v2
	v_cvt_i32_f32_e32 v2, v2
	s_branch .LBB312_449
.LBB312_445:
	s_mov_b64 s[22:23], -1
                                        ; implicit-def: $vgpr2
	s_branch .LBB312_450
.LBB312_446:
	s_andn2_saveexec_b64 s[0:1], s[0:1]
	s_cbranch_execz .LBB312_427
.LBB312_447:
	v_cmp_ne_u16_e32 vcc, 0, v3
	s_andn2_b64 s[22:23], s[22:23], exec
	s_and_b64 s[28:29], vcc, exec
	s_or_b64 s[22:23], s[22:23], s[28:29]
	s_or_b64 exec, exec, s[0:1]
	v_mov_b32_e32 v2, 0
	s_and_saveexec_b64 s[0:1], s[22:23]
	s_cbranch_execnz .LBB312_428
	s_branch .LBB312_429
.LBB312_448:
	s_mov_b64 s[20:21], -1
                                        ; implicit-def: $vgpr2
.LBB312_449:
	s_mov_b64 s[22:23], 0
.LBB312_450:
	s_and_b64 vcc, exec, s[22:23]
	s_cbranch_vccz .LBB312_454
; %bb.451:
	s_cmp_eq_u32 s26, 11
	s_cbranch_scc0 .LBB312_453
; %bb.452:
	global_load_ubyte v2, v[0:1], off
	s_mov_b64 s[0:1], -1
	s_mov_b64 s[20:21], 0
	s_waitcnt vmcnt(0)
	v_cmp_ne_u16_e32 vcc, 0, v2
	s_nop 1
	v_cndmask_b32_e64 v2, 0, 1, vcc
	s_branch .LBB312_454
.LBB312_453:
	s_mov_b64 s[20:21], -1
                                        ; implicit-def: $vgpr2
.LBB312_454:
	s_branch .LBB312_261
.LBB312_455:
	s_cmp_lt_i32 s26, 5
	s_cbranch_scc1 .LBB312_460
; %bb.456:
	s_cmp_lt_i32 s26, 8
	s_cbranch_scc1 .LBB312_461
; %bb.457:
	s_cmp_lt_i32 s26, 9
	s_cbranch_scc1 .LBB312_462
; %bb.458:
	s_cmp_gt_i32 s26, 9
	s_cbranch_scc0 .LBB312_463
; %bb.459:
	global_load_dwordx2 v[2:3], v[0:1], off
	s_mov_b64 s[0:1], 0
	s_waitcnt vmcnt(0)
	v_cvt_i32_f64_e32 v2, v[2:3]
	s_branch .LBB312_464
.LBB312_460:
	s_mov_b64 s[0:1], -1
                                        ; implicit-def: $vgpr2
	s_branch .LBB312_482
.LBB312_461:
	s_mov_b64 s[0:1], -1
                                        ; implicit-def: $vgpr2
	s_branch .LBB312_470
.LBB312_462:
	s_mov_b64 s[0:1], -1
                                        ; implicit-def: $vgpr2
	s_branch .LBB312_467
.LBB312_463:
	s_mov_b64 s[0:1], -1
                                        ; implicit-def: $vgpr2
.LBB312_464:
	s_andn2_b64 vcc, exec, s[0:1]
	s_cbranch_vccnz .LBB312_466
; %bb.465:
	global_load_dword v2, v[0:1], off
	s_waitcnt vmcnt(0)
	v_cvt_i32_f32_e32 v2, v2
.LBB312_466:
	s_mov_b64 s[0:1], 0
.LBB312_467:
	s_andn2_b64 vcc, exec, s[0:1]
	s_cbranch_vccnz .LBB312_469
; %bb.468:
	global_load_dword v2, v[0:1], off
	s_waitcnt vmcnt(0)
	v_cvt_i16_f16_e32 v2, v2
.LBB312_469:
	s_mov_b64 s[0:1], 0
.LBB312_470:
	s_andn2_b64 vcc, exec, s[0:1]
	s_cbranch_vccnz .LBB312_481
; %bb.471:
	s_cmp_lt_i32 s26, 6
	s_cbranch_scc1 .LBB312_474
; %bb.472:
	s_cmp_gt_i32 s26, 6
	s_cbranch_scc0 .LBB312_475
; %bb.473:
	global_load_dwordx2 v[2:3], v[0:1], off
	s_mov_b64 s[0:1], 0
	s_waitcnt vmcnt(0)
	v_cvt_i32_f64_e32 v2, v[2:3]
	s_branch .LBB312_476
.LBB312_474:
	s_mov_b64 s[0:1], -1
                                        ; implicit-def: $vgpr2
	s_branch .LBB312_479
.LBB312_475:
	s_mov_b64 s[0:1], -1
                                        ; implicit-def: $vgpr2
.LBB312_476:
	s_andn2_b64 vcc, exec, s[0:1]
	s_cbranch_vccnz .LBB312_478
; %bb.477:
	global_load_dword v2, v[0:1], off
	s_waitcnt vmcnt(0)
	v_cvt_i32_f32_e32 v2, v2
.LBB312_478:
	s_mov_b64 s[0:1], 0
.LBB312_479:
	s_andn2_b64 vcc, exec, s[0:1]
	s_cbranch_vccnz .LBB312_481
; %bb.480:
	global_load_ushort v2, v[0:1], off
	s_waitcnt vmcnt(0)
	v_cvt_i16_f16_e32 v2, v2
.LBB312_481:
	s_mov_b64 s[0:1], 0
.LBB312_482:
	s_andn2_b64 vcc, exec, s[0:1]
	s_cbranch_vccnz .LBB312_502
; %bb.483:
	s_cmp_lt_i32 s26, 2
	s_cbranch_scc1 .LBB312_487
; %bb.484:
	s_cmp_lt_i32 s26, 3
	s_cbranch_scc1 .LBB312_488
; %bb.485:
	s_cmp_gt_i32 s26, 3
	s_cbranch_scc0 .LBB312_489
; %bb.486:
	global_load_dwordx2 v[2:3], v[0:1], off
	s_mov_b64 s[0:1], 0
	s_branch .LBB312_490
.LBB312_487:
	s_mov_b64 s[0:1], -1
                                        ; implicit-def: $vgpr2
	s_branch .LBB312_496
.LBB312_488:
	s_mov_b64 s[0:1], -1
                                        ; implicit-def: $vgpr2
	s_branch .LBB312_493
.LBB312_489:
	s_mov_b64 s[0:1], -1
                                        ; implicit-def: $vgpr2
.LBB312_490:
	s_andn2_b64 vcc, exec, s[0:1]
	s_cbranch_vccnz .LBB312_492
; %bb.491:
	global_load_dword v2, v[0:1], off
.LBB312_492:
	s_mov_b64 s[0:1], 0
.LBB312_493:
	s_andn2_b64 vcc, exec, s[0:1]
	s_cbranch_vccnz .LBB312_495
; %bb.494:
	global_load_ushort v2, v[0:1], off
.LBB312_495:
	s_mov_b64 s[0:1], 0
.LBB312_496:
	s_andn2_b64 vcc, exec, s[0:1]
	s_cbranch_vccnz .LBB312_502
; %bb.497:
	s_cmp_gt_i32 s26, 0
	s_cbranch_scc0 .LBB312_499
; %bb.498:
	global_load_sbyte v2, v[0:1], off
	s_mov_b64 s[0:1], 0
	s_branch .LBB312_500
.LBB312_499:
	s_mov_b64 s[0:1], -1
                                        ; implicit-def: $vgpr2
.LBB312_500:
	s_andn2_b64 vcc, exec, s[0:1]
	s_cbranch_vccnz .LBB312_502
; %bb.501:
	global_load_ubyte v2, v[0:1], off
.LBB312_502:
	s_branch .LBB312_262
.LBB312_503:
	s_mov_b64 s[26:27], 0
                                        ; implicit-def: $vgpr10
	s_mov_b64 s[0:1], s[14:15]
.LBB312_504:
	s_andn2_b64 s[22:23], s[14:15], exec
	s_and_b64 s[0:1], s[0:1], exec
	s_or_b64 s[22:23], s[22:23], s[0:1]
	s_andn2_b64 s[0:1], s[16:17], exec
	s_and_b64 s[20:21], s[20:21], exec
	s_or_b64 s[20:21], s[0:1], s[20:21]
	s_orn2_b64 s[0:1], s[26:27], exec
.LBB312_505:
	s_or_b64 exec, exec, s[24:25]
	s_mov_b64 s[26:27], 0
	s_mov_b64 s[28:29], 0
	s_mov_b64 s[30:31], 0
                                        ; implicit-def: $vgpr0_vgpr1
                                        ; implicit-def: $vgpr2
	s_and_saveexec_b64 s[24:25], s[0:1]
	s_cbranch_execz .LBB312_842
; %bb.506:
	v_cmp_gt_i32_e32 vcc, s40, v10
	s_mov_b64 s[36:37], -1
	s_mov_b64 s[0:1], s[20:21]
	s_mov_b64 s[30:31], s[22:23]
	s_and_saveexec_b64 s[26:27], vcc
	s_cbranch_execz .LBB312_760
; %bb.507:
	v_mul_lo_u32 v0, v10, s9
	v_ashrrev_i32_e32 v1, 31, v0
	s_and_b32 s34, 0xffff, s44
	s_cmp_lt_i32 s34, 11
	v_lshl_add_u64 v[0:1], s[6:7], 0, v[0:1]
	s_cbranch_scc1 .LBB312_514
; %bb.508:
	s_cmp_gt_i32 s34, 25
	s_cbranch_scc0 .LBB312_515
; %bb.509:
	s_cmp_gt_i32 s34, 28
	s_cbranch_scc0 .LBB312_516
	;; [unrolled: 3-line block ×4, first 2 shown]
; %bb.512:
	s_cmp_eq_u32 s34, 46
	s_mov_b64 s[30:31], 0
	s_cbranch_scc0 .LBB312_523
; %bb.513:
	global_load_dword v2, v[0:1], off
	s_mov_b64 s[0:1], -1
	s_waitcnt vmcnt(0)
	v_lshlrev_b32_e32 v2, 16, v2
	v_cvt_i32_f32_e32 v2, v2
	s_branch .LBB312_524
.LBB312_514:
	s_mov_b64 s[30:31], -1
	s_mov_b64 s[0:1], 0
                                        ; implicit-def: $vgpr2
	s_mov_b64 s[28:29], s[20:21]
	s_branch .LBB312_585
.LBB312_515:
	s_mov_b64 s[30:31], -1
	s_mov_b64 s[0:1], 0
	s_mov_b64 s[28:29], s[20:21]
                                        ; implicit-def: $vgpr2
	s_branch .LBB312_551
.LBB312_516:
	s_mov_b64 s[30:31], -1
	s_mov_b64 s[0:1], 0
	s_mov_b64 s[28:29], s[20:21]
                                        ; implicit-def: $vgpr2
	s_branch .LBB312_534
.LBB312_517:
	s_mov_b64 s[30:31], -1
	s_mov_b64 s[0:1], 0
	s_mov_b64 s[28:29], s[20:21]
                                        ; implicit-def: $vgpr2
	s_branch .LBB312_529
.LBB312_518:
	s_andn2_saveexec_b64 s[28:29], s[28:29]
	s_cbranch_execz .LBB312_307
.LBB312_519:
	s_mov_b32 s34, 0x46000000
	v_add_f32_e64 v3, |v2|, s34
	v_and_b32_e32 v3, 0xff, v3
	v_cmp_ne_u32_e32 vcc, 0, v3
	s_andn2_b64 s[26:27], s[26:27], exec
	s_and_b64 s[34:35], vcc, exec
	s_or_b64 s[26:27], s[26:27], s[34:35]
	s_or_b64 exec, exec, s[28:29]
	v_mov_b32_e32 v5, 0
	s_and_saveexec_b64 s[28:29], s[26:27]
	s_cbranch_execnz .LBB312_308
	s_branch .LBB312_309
.LBB312_520:
	s_mov_b64 s[30:31], -1
	s_mov_b64 s[0:1], 0
	s_mov_b64 s[28:29], s[20:21]
                                        ; implicit-def: $vgpr2
	s_branch .LBB312_524
.LBB312_521:
	s_andn2_saveexec_b64 s[28:29], s[28:29]
	s_cbranch_execz .LBB312_320
.LBB312_522:
	s_mov_b32 s34, 0x42800000
	v_add_f32_e64 v3, |v2|, s34
	v_and_b32_e32 v3, 0xff, v3
	v_cmp_ne_u32_e32 vcc, 0, v3
	s_andn2_b64 s[26:27], s[26:27], exec
	s_and_b64 s[34:35], vcc, exec
	s_or_b64 s[26:27], s[26:27], s[34:35]
	s_or_b64 exec, exec, s[28:29]
	v_mov_b32_e32 v5, 0
	s_and_saveexec_b64 s[28:29], s[26:27]
	s_cbranch_execnz .LBB312_321
	s_branch .LBB312_322
.LBB312_523:
	s_mov_b64 s[28:29], -1
                                        ; implicit-def: $vgpr2
	s_mov_b64 s[0:1], 0
.LBB312_524:
	s_and_b64 vcc, exec, s[30:31]
	s_cbranch_vccz .LBB312_528
; %bb.525:
	s_cmp_eq_u32 s34, 44
	s_cbranch_scc0 .LBB312_527
; %bb.526:
	global_load_ubyte v2, v[0:1], off
	s_mov_b64 s[0:1], -1
	s_mov_b64 s[28:29], 0
	s_waitcnt vmcnt(0)
	v_lshlrev_b32_e32 v3, 23, v2
	v_cvt_i32_f32_e32 v3, v3
	v_cmp_ne_u32_e32 vcc, 0, v2
	s_nop 1
	v_cndmask_b32_e32 v2, 0, v3, vcc
	s_branch .LBB312_528
.LBB312_527:
	s_mov_b64 s[28:29], -1
                                        ; implicit-def: $vgpr2
.LBB312_528:
	s_mov_b64 s[30:31], 0
.LBB312_529:
	s_and_b64 vcc, exec, s[30:31]
	s_cbranch_vccz .LBB312_533
; %bb.530:
	s_cmp_eq_u32 s34, 29
	s_cbranch_scc0 .LBB312_532
; %bb.531:
	global_load_dwordx2 v[2:3], v[0:1], off
	s_mov_b64 s[0:1], -1
	s_mov_b64 s[28:29], 0
	s_branch .LBB312_533
.LBB312_532:
	s_mov_b64 s[28:29], -1
                                        ; implicit-def: $vgpr2
.LBB312_533:
	s_mov_b64 s[30:31], 0
.LBB312_534:
	s_and_b64 vcc, exec, s[30:31]
	s_cbranch_vccz .LBB312_550
; %bb.535:
	s_cmp_lt_i32 s34, 27
	s_cbranch_scc1 .LBB312_538
; %bb.536:
	s_cmp_gt_i32 s34, 27
	s_cbranch_scc0 .LBB312_539
; %bb.537:
	global_load_dword v2, v[0:1], off
	s_mov_b64 s[0:1], 0
	s_branch .LBB312_540
.LBB312_538:
	s_mov_b64 s[0:1], -1
                                        ; implicit-def: $vgpr2
	s_branch .LBB312_543
.LBB312_539:
	s_mov_b64 s[0:1], -1
                                        ; implicit-def: $vgpr2
.LBB312_540:
	s_andn2_b64 vcc, exec, s[0:1]
	s_cbranch_vccnz .LBB312_542
; %bb.541:
	global_load_ushort v2, v[0:1], off
.LBB312_542:
	s_mov_b64 s[0:1], 0
.LBB312_543:
	s_andn2_b64 vcc, exec, s[0:1]
	s_cbranch_vccnz .LBB312_549
; %bb.544:
	global_load_ubyte v3, v[0:1], off
	s_movk_i32 s0, 0x7f
	s_mov_b64 s[30:31], 0
	s_waitcnt vmcnt(0)
	v_cmp_lt_i16_e32 vcc, s0, v3
	s_and_saveexec_b64 s[0:1], vcc
	s_xor_b64 s[0:1], exec, s[0:1]
	s_cbranch_execz .LBB312_561
; %bb.545:
	s_movk_i32 s30, 0x80
	v_cmp_ne_u16_e32 vcc, s30, v3
	s_and_b64 s[30:31], vcc, exec
	s_andn2_saveexec_b64 s[0:1], s[0:1]
	s_cbranch_execnz .LBB312_562
.LBB312_546:
	s_or_b64 exec, exec, s[0:1]
	v_mov_b32_e32 v2, 0
	s_and_saveexec_b64 s[0:1], s[30:31]
	s_cbranch_execz .LBB312_548
.LBB312_547:
	v_lshlrev_b32_e32 v2, 24, v3
	v_and_b32_e32 v3, 0xffff, v3
	v_and_b32_e32 v4, 7, v3
	v_ffbh_u32_e32 v6, v4
	v_min_u32_e32 v6, 32, v6
	v_subrev_u32_e32 v7, 28, v6
	v_bfe_u32 v5, v3, 3, 4
	v_lshlrev_b32_e32 v3, v7, v3
	v_sub_u32_e32 v6, 29, v6
	v_and_b32_e32 v3, 7, v3
	v_cmp_eq_u32_e32 vcc, 0, v5
	v_and_b32_e32 v2, 0x80000000, v2
	s_nop 0
	v_cndmask_b32_e32 v5, v5, v6, vcc
	v_cndmask_b32_e32 v3, v4, v3, vcc
	v_mov_b32_e32 v4, 0x3b800000
	v_lshlrev_b32_e32 v3, 20, v3
	v_lshl_add_u32 v4, v5, 23, v4
	v_or3_b32 v2, v2, v4, v3
	v_cvt_i32_f32_e32 v2, v2
.LBB312_548:
	s_or_b64 exec, exec, s[0:1]
.LBB312_549:
	s_mov_b64 s[0:1], -1
.LBB312_550:
	s_mov_b64 s[30:31], 0
.LBB312_551:
	s_and_b64 vcc, exec, s[30:31]
	s_cbranch_vccz .LBB312_584
; %bb.552:
	s_cmp_gt_i32 s34, 22
	s_cbranch_scc0 .LBB312_560
; %bb.553:
	s_cmp_lt_i32 s34, 24
	s_cbranch_scc1 .LBB312_563
; %bb.554:
	s_cmp_gt_i32 s34, 24
	s_cbranch_scc0 .LBB312_564
; %bb.555:
	global_load_ubyte v3, v[0:1], off
	s_movk_i32 s0, 0x7f
	s_mov_b64 s[30:31], 0
	s_waitcnt vmcnt(0)
	v_cmp_lt_i16_e32 vcc, s0, v3
	s_and_saveexec_b64 s[0:1], vcc
	s_xor_b64 s[0:1], exec, s[0:1]
	s_cbranch_execz .LBB312_576
; %bb.556:
	s_movk_i32 s30, 0x80
	v_cmp_ne_u16_e32 vcc, s30, v3
	s_and_b64 s[30:31], vcc, exec
	s_andn2_saveexec_b64 s[0:1], s[0:1]
	s_cbranch_execnz .LBB312_577
.LBB312_557:
	s_or_b64 exec, exec, s[0:1]
	v_mov_b32_e32 v2, 0
	s_and_saveexec_b64 s[0:1], s[30:31]
	s_cbranch_execz .LBB312_559
.LBB312_558:
	v_lshlrev_b32_e32 v2, 24, v3
	v_and_b32_e32 v3, 0xffff, v3
	v_and_b32_e32 v4, 3, v3
	v_ffbh_u32_e32 v6, v4
	v_min_u32_e32 v6, 32, v6
	v_subrev_u32_e32 v7, 29, v6
	v_bfe_u32 v5, v3, 2, 5
	v_lshlrev_b32_e32 v3, v7, v3
	v_sub_u32_e32 v6, 30, v6
	v_and_b32_e32 v3, 3, v3
	v_cmp_eq_u32_e32 vcc, 0, v5
	v_and_b32_e32 v2, 0x80000000, v2
	s_nop 0
	v_cndmask_b32_e32 v5, v5, v6, vcc
	v_cndmask_b32_e32 v3, v4, v3, vcc
	v_mov_b32_e32 v4, 0x37800000
	v_lshlrev_b32_e32 v3, 21, v3
	v_lshl_add_u32 v4, v5, 23, v4
	v_or3_b32 v2, v2, v4, v3
	v_cvt_i32_f32_e32 v2, v2
.LBB312_559:
	s_or_b64 exec, exec, s[0:1]
	s_mov_b64 s[0:1], 0
	s_branch .LBB312_565
.LBB312_560:
	s_mov_b64 s[30:31], -1
                                        ; implicit-def: $vgpr2
	s_branch .LBB312_571
.LBB312_561:
	s_andn2_saveexec_b64 s[0:1], s[0:1]
	s_cbranch_execz .LBB312_546
.LBB312_562:
	v_cmp_ne_u16_e32 vcc, 0, v3
	s_andn2_b64 s[30:31], s[30:31], exec
	s_and_b64 s[36:37], vcc, exec
	s_or_b64 s[30:31], s[30:31], s[36:37]
	s_or_b64 exec, exec, s[0:1]
	v_mov_b32_e32 v2, 0
	s_and_saveexec_b64 s[0:1], s[30:31]
	s_cbranch_execnz .LBB312_547
	s_branch .LBB312_548
.LBB312_563:
	s_mov_b64 s[0:1], -1
                                        ; implicit-def: $vgpr2
	s_branch .LBB312_568
.LBB312_564:
	s_mov_b64 s[0:1], -1
                                        ; implicit-def: $vgpr2
.LBB312_565:
	s_and_b64 vcc, exec, s[0:1]
	s_cbranch_vccz .LBB312_567
; %bb.566:
	global_load_ubyte v2, v[0:1], off
	s_mov_b32 s0, 0x7f800000
	s_waitcnt vmcnt(0)
	v_lshlrev_b32_e32 v2, 24, v2
	v_and_b32_e32 v3, 0x7f000000, v2
	v_ffbh_u32_e32 v4, v3
	v_min_u32_e32 v4, 32, v4
	v_sub_u32_e64 v4, v4, 4 clamp
	v_lshlrev_b32_e32 v6, v4, v3
	v_lshlrev_b32_e32 v4, 23, v4
	v_lshrrev_b32_e32 v6, 4, v6
	v_add_u32_e32 v5, 0x1000000, v3
	v_sub_u32_e32 v4, v6, v4
	v_ashrrev_i32_e32 v5, 8, v5
	v_add_u32_e32 v4, 0x3c000000, v4
	v_and_or_b32 v4, v5, s0, v4
	v_cmp_ne_u32_e32 vcc, 0, v3
	s_brev_b32 s0, 1
	s_nop 0
	v_cndmask_b32_e32 v3, 0, v4, vcc
	v_and_or_b32 v2, v2, s0, v3
	v_cvt_i32_f32_e32 v2, v2
.LBB312_567:
	s_mov_b64 s[0:1], 0
.LBB312_568:
	s_andn2_b64 vcc, exec, s[0:1]
	s_cbranch_vccnz .LBB312_570
; %bb.569:
	global_load_ubyte v2, v[0:1], off
	s_movk_i32 s0, 0x7f00
	s_brev_b32 s1, 16
	s_waitcnt vmcnt(0)
	v_lshlrev_b16_e32 v3, 8, v2
	v_lshlrev_b32_e32 v2, 25, v2
	v_lshrrev_b32_e32 v4, 4, v2
	v_and_or_b32 v5, v3, s0, 0.5
	v_or_b32_e32 v4, 0x70000000, v4
	v_add_f32_e32 v5, -0.5, v5
	v_mul_f32_e32 v4, 0x7800000, v4
	v_cmp_gt_u32_e32 vcc, s1, v2
	v_bfe_i32 v3, v3, 0, 16
	s_brev_b32 s0, 1
	v_cndmask_b32_e32 v2, v4, v5, vcc
	v_and_or_b32 v2, v3, s0, v2
	v_cvt_i32_f32_e32 v2, v2
.LBB312_570:
	s_mov_b64 s[30:31], 0
	s_mov_b64 s[0:1], -1
.LBB312_571:
	s_andn2_b64 vcc, exec, s[30:31]
	s_cbranch_vccnz .LBB312_584
; %bb.572:
	s_cmp_gt_i32 s34, 14
	s_cbranch_scc0 .LBB312_575
; %bb.573:
	s_cmp_eq_u32 s34, 15
	s_cbranch_scc0 .LBB312_578
; %bb.574:
	global_load_ushort v2, v[0:1], off
	s_mov_b64 s[0:1], -1
	s_mov_b64 s[28:29], 0
	s_waitcnt vmcnt(0)
	v_lshlrev_b32_e32 v2, 16, v2
	v_cvt_i32_f32_e32 v2, v2
	s_branch .LBB312_579
.LBB312_575:
	s_mov_b64 s[30:31], -1
                                        ; implicit-def: $vgpr2
	s_branch .LBB312_580
.LBB312_576:
	s_andn2_saveexec_b64 s[0:1], s[0:1]
	s_cbranch_execz .LBB312_557
.LBB312_577:
	v_cmp_ne_u16_e32 vcc, 0, v3
	s_andn2_b64 s[30:31], s[30:31], exec
	s_and_b64 s[36:37], vcc, exec
	s_or_b64 s[30:31], s[30:31], s[36:37]
	s_or_b64 exec, exec, s[0:1]
	v_mov_b32_e32 v2, 0
	s_and_saveexec_b64 s[0:1], s[30:31]
	s_cbranch_execnz .LBB312_558
	s_branch .LBB312_559
.LBB312_578:
	s_mov_b64 s[28:29], -1
                                        ; implicit-def: $vgpr2
.LBB312_579:
	s_mov_b64 s[30:31], 0
.LBB312_580:
	s_and_b64 vcc, exec, s[30:31]
	s_cbranch_vccz .LBB312_584
; %bb.581:
	s_cmp_eq_u32 s34, 11
	s_cbranch_scc0 .LBB312_583
; %bb.582:
	global_load_ubyte v2, v[0:1], off
	s_mov_b64 s[0:1], -1
	s_mov_b64 s[28:29], 0
	s_waitcnt vmcnt(0)
	v_cmp_ne_u16_e32 vcc, 0, v2
	s_nop 1
	v_cndmask_b32_e64 v2, 0, 1, vcc
	s_branch .LBB312_584
.LBB312_583:
	s_mov_b64 s[28:29], -1
                                        ; implicit-def: $vgpr2
.LBB312_584:
	s_mov_b64 s[30:31], 0
.LBB312_585:
	s_and_b64 vcc, exec, s[30:31]
	s_cbranch_vccz .LBB312_634
; %bb.586:
	s_cmp_lt_i32 s34, 5
	s_cbranch_scc1 .LBB312_591
; %bb.587:
	s_cmp_lt_i32 s34, 8
	s_cbranch_scc1 .LBB312_592
	;; [unrolled: 3-line block ×3, first 2 shown]
; %bb.589:
	s_cmp_gt_i32 s34, 9
	s_cbranch_scc0 .LBB312_594
; %bb.590:
	global_load_dwordx2 v[2:3], v[0:1], off
	s_mov_b64 s[0:1], 0
	s_waitcnt vmcnt(0)
	v_cvt_i32_f64_e32 v2, v[2:3]
	s_branch .LBB312_595
.LBB312_591:
	s_mov_b64 s[0:1], -1
                                        ; implicit-def: $vgpr2
	s_branch .LBB312_613
.LBB312_592:
	s_mov_b64 s[0:1], -1
                                        ; implicit-def: $vgpr2
	s_branch .LBB312_601
.LBB312_593:
	s_mov_b64 s[0:1], -1
                                        ; implicit-def: $vgpr2
	s_branch .LBB312_598
.LBB312_594:
	s_mov_b64 s[0:1], -1
                                        ; implicit-def: $vgpr2
.LBB312_595:
	s_andn2_b64 vcc, exec, s[0:1]
	s_cbranch_vccnz .LBB312_597
; %bb.596:
	global_load_dword v2, v[0:1], off
	s_waitcnt vmcnt(0)
	v_cvt_i32_f32_e32 v2, v2
.LBB312_597:
	s_mov_b64 s[0:1], 0
.LBB312_598:
	s_andn2_b64 vcc, exec, s[0:1]
	s_cbranch_vccnz .LBB312_600
; %bb.599:
	global_load_dword v2, v[0:1], off
	s_waitcnt vmcnt(0)
	v_cvt_i16_f16_e32 v2, v2
.LBB312_600:
	s_mov_b64 s[0:1], 0
.LBB312_601:
	s_andn2_b64 vcc, exec, s[0:1]
	s_cbranch_vccnz .LBB312_612
; %bb.602:
	s_cmp_lt_i32 s34, 6
	s_cbranch_scc1 .LBB312_605
; %bb.603:
	s_cmp_gt_i32 s34, 6
	s_cbranch_scc0 .LBB312_606
; %bb.604:
	global_load_dwordx2 v[2:3], v[0:1], off
	s_mov_b64 s[0:1], 0
	s_waitcnt vmcnt(0)
	v_cvt_i32_f64_e32 v2, v[2:3]
	s_branch .LBB312_607
.LBB312_605:
	s_mov_b64 s[0:1], -1
                                        ; implicit-def: $vgpr2
	s_branch .LBB312_610
.LBB312_606:
	s_mov_b64 s[0:1], -1
                                        ; implicit-def: $vgpr2
.LBB312_607:
	s_andn2_b64 vcc, exec, s[0:1]
	s_cbranch_vccnz .LBB312_609
; %bb.608:
	global_load_dword v2, v[0:1], off
	s_waitcnt vmcnt(0)
	v_cvt_i32_f32_e32 v2, v2
.LBB312_609:
	s_mov_b64 s[0:1], 0
.LBB312_610:
	s_andn2_b64 vcc, exec, s[0:1]
	s_cbranch_vccnz .LBB312_612
; %bb.611:
	global_load_ushort v2, v[0:1], off
	s_waitcnt vmcnt(0)
	v_cvt_i16_f16_e32 v2, v2
.LBB312_612:
	s_mov_b64 s[0:1], 0
.LBB312_613:
	s_andn2_b64 vcc, exec, s[0:1]
	s_cbranch_vccnz .LBB312_633
; %bb.614:
	s_cmp_lt_i32 s34, 2
	s_cbranch_scc1 .LBB312_618
; %bb.615:
	s_cmp_lt_i32 s34, 3
	s_cbranch_scc1 .LBB312_619
; %bb.616:
	s_cmp_gt_i32 s34, 3
	s_cbranch_scc0 .LBB312_620
; %bb.617:
	global_load_dwordx2 v[2:3], v[0:1], off
	s_mov_b64 s[0:1], 0
	s_branch .LBB312_621
.LBB312_618:
	s_mov_b64 s[0:1], -1
                                        ; implicit-def: $vgpr2
	s_branch .LBB312_627
.LBB312_619:
	s_mov_b64 s[0:1], -1
                                        ; implicit-def: $vgpr2
	s_branch .LBB312_624
.LBB312_620:
	s_mov_b64 s[0:1], -1
                                        ; implicit-def: $vgpr2
.LBB312_621:
	s_andn2_b64 vcc, exec, s[0:1]
	s_cbranch_vccnz .LBB312_623
; %bb.622:
	global_load_dword v2, v[0:1], off
.LBB312_623:
	s_mov_b64 s[0:1], 0
.LBB312_624:
	s_andn2_b64 vcc, exec, s[0:1]
	s_cbranch_vccnz .LBB312_626
; %bb.625:
	global_load_ushort v2, v[0:1], off
.LBB312_626:
	s_mov_b64 s[0:1], 0
.LBB312_627:
	s_andn2_b64 vcc, exec, s[0:1]
	s_cbranch_vccnz .LBB312_633
; %bb.628:
	s_cmp_gt_i32 s34, 0
	s_cbranch_scc0 .LBB312_630
; %bb.629:
	global_load_sbyte v2, v[0:1], off
	s_mov_b64 s[0:1], 0
	s_branch .LBB312_631
.LBB312_630:
	s_mov_b64 s[0:1], -1
                                        ; implicit-def: $vgpr2
.LBB312_631:
	s_andn2_b64 vcc, exec, s[0:1]
	s_cbranch_vccnz .LBB312_633
; %bb.632:
	global_load_ubyte v2, v[0:1], off
.LBB312_633:
	s_mov_b64 s[0:1], -1
.LBB312_634:
	s_andn2_b64 vcc, exec, s[0:1]
	s_cbranch_vccnz .LBB312_642
; %bb.635:
	s_waitcnt vmcnt(0)
	v_max_i16_e32 v0, s10, v2
	v_min_i16_e32 v4, s33, v0
	v_mul_lo_u32 v0, v10, s8
	v_ashrrev_i32_e32 v1, 31, v0
	s_and_b32 s38, s11, 0xff
	s_cmp_lt_i32 s38, 11
	v_lshl_add_u64 v[0:1], s[4:5], 0, v[0:1]
	s_cbranch_scc1 .LBB312_643
; %bb.636:
	s_and_b32 s39, 0xffff, s38
	s_cmp_gt_i32 s39, 25
	s_cbranch_scc0 .LBB312_644
; %bb.637:
	s_cmp_gt_i32 s39, 28
	s_cbranch_scc0 .LBB312_645
; %bb.638:
	;; [unrolled: 3-line block ×4, first 2 shown]
	s_mov_b64 s[34:35], 0
	s_mov_b64 s[0:1], -1
	s_cmp_eq_u32 s39, 46
	s_mov_b64 s[30:31], 0
	s_cbranch_scc0 .LBB312_648
; %bb.641:
	v_cvt_f32_i32_sdwa v2, sext(v4) dst_sel:DWORD dst_unused:UNUSED_PAD src0_sel:WORD_0
	s_movk_i32 s0, 0x7fff
	s_mov_b64 s[30:31], -1
	v_bfe_u32 v3, v2, 16, 1
	v_add3_u32 v2, v2, v3, s0
	v_lshrrev_b32_e32 v2, 16, v2
	global_store_dword v[0:1], v2, off
	s_mov_b64 s[0:1], 0
	s_branch .LBB312_648
.LBB312_642:
	s_mov_b64 s[34:35], 0
                                        ; implicit-def: $vgpr10
	s_mov_b64 s[0:1], s[22:23]
	s_branch .LBB312_759
.LBB312_643:
	s_mov_b64 s[34:35], -1
	s_mov_b64 s[30:31], 0
	s_mov_b64 s[0:1], s[22:23]
	s_branch .LBB312_717
.LBB312_644:
	s_mov_b64 s[34:35], -1
	s_mov_b64 s[30:31], 0
	s_mov_b64 s[0:1], s[22:23]
	s_branch .LBB312_675
.LBB312_645:
	s_mov_b64 s[34:35], -1
	s_mov_b64 s[30:31], 0
	s_mov_b64 s[0:1], s[22:23]
	s_branch .LBB312_658
.LBB312_646:
	s_mov_b64 s[34:35], -1
	s_mov_b64 s[30:31], 0
	s_mov_b64 s[0:1], s[22:23]
	s_branch .LBB312_654
.LBB312_647:
	s_mov_b64 s[34:35], -1
	s_mov_b64 s[30:31], 0
	s_mov_b64 s[0:1], s[22:23]
.LBB312_648:
	s_and_b64 vcc, exec, s[34:35]
	s_cbranch_vccz .LBB312_653
; %bb.649:
	s_cmp_eq_u32 s39, 44
	s_mov_b64 s[0:1], -1
	s_cbranch_scc0 .LBB312_653
; %bb.650:
	v_cvt_f32_i32_sdwa v2, sext(v4) dst_sel:DWORD dst_unused:UNUSED_PAD src0_sel:WORD_0
	s_movk_i32 s0, 0xff
	v_mov_b32_e32 v5, 0xff
	v_bfe_u32 v3, v2, 23, 8
	v_cmp_ne_u32_e32 vcc, s0, v3
	s_and_saveexec_b64 s[30:31], vcc
; %bb.651:
	s_mov_b32 s0, 0x3fffff
	v_lshrrev_b32_e32 v5, 23, v2
	v_and_b32_e32 v6, 0x400000, v2
	v_and_or_b32 v2, v2, s0, v3
	v_cmp_ne_u32_e32 vcc, 0, v6
	v_cmp_ne_u32_e64 s[0:1], 0, v2
	s_and_b64 s[0:1], vcc, s[0:1]
	s_nop 0
	v_cndmask_b32_e64 v2, 0, 1, s[0:1]
	v_add_u32_e32 v5, v5, v2
; %bb.652:
	s_or_b64 exec, exec, s[30:31]
	s_mov_b64 s[30:31], -1
	s_mov_b64 s[0:1], 0
	global_store_byte v[0:1], v5, off
.LBB312_653:
	s_mov_b64 s[34:35], 0
.LBB312_654:
	s_and_b64 vcc, exec, s[34:35]
	s_cbranch_vccz .LBB312_657
; %bb.655:
	s_cmp_eq_u32 s39, 29
	s_mov_b64 s[0:1], -1
	s_cbranch_scc0 .LBB312_657
; %bb.656:
	v_bfe_i32 v2, v4, 0, 16
	v_ashrrev_i32_e32 v3, 31, v2
	global_store_dwordx2 v[0:1], v[2:3], off
	s_mov_b64 s[30:31], -1
	s_mov_b64 s[0:1], 0
.LBB312_657:
	s_mov_b64 s[34:35], 0
.LBB312_658:
	s_and_b64 vcc, exec, s[34:35]
	s_cbranch_vccz .LBB312_674
; %bb.659:
	s_cmp_lt_i32 s39, 27
	s_mov_b64 s[30:31], -1
	s_cbranch_scc1 .LBB312_665
; %bb.660:
	s_cmp_gt_i32 s39, 27
	s_cbranch_scc0 .LBB312_662
; %bb.661:
	v_bfe_i32 v2, v4, 0, 16
	s_mov_b64 s[30:31], 0
	global_store_dword v[0:1], v2, off
.LBB312_662:
	s_andn2_b64 vcc, exec, s[30:31]
	s_cbranch_vccnz .LBB312_664
; %bb.663:
	global_store_short v[0:1], v4, off
.LBB312_664:
	s_mov_b64 s[30:31], 0
.LBB312_665:
	s_andn2_b64 vcc, exec, s[30:31]
	s_cbranch_vccnz .LBB312_673
; %bb.666:
	v_cvt_f32_i32_sdwa v2, sext(v4) dst_sel:DWORD dst_unused:UNUSED_PAD src0_sel:WORD_0
	s_mov_b32 s30, 0x43800000
	v_mov_b32_e32 v5, 0x80
	v_and_b32_e32 v3, 0x7fffffff, v2
	v_cmp_gt_u32_e32 vcc, s30, v3
	s_and_saveexec_b64 s[30:31], vcc
	s_cbranch_execz .LBB312_672
; %bb.667:
	s_mov_b32 s34, 0x3bffffff
	v_cmp_lt_u32_e32 vcc, s34, v3
	s_mov_b64 s[34:35], 0
                                        ; implicit-def: $vgpr3
	s_and_saveexec_b64 s[36:37], vcc
	s_xor_b64 s[36:37], exec, s[36:37]
	s_cbranch_execz .LBB312_773
; %bb.668:
	v_bfe_u32 v3, v2, 20, 1
	s_mov_b32 s41, 0x487ffff
	v_add3_u32 v3, v2, v3, s41
	s_mov_b64 s[34:35], exec
	v_lshrrev_b32_e32 v3, 20, v3
	s_andn2_saveexec_b64 s[36:37], s[36:37]
	s_cbranch_execnz .LBB312_774
.LBB312_669:
	s_or_b64 exec, exec, s[36:37]
	v_mov_b32_e32 v5, 0
	s_and_saveexec_b64 s[36:37], s[34:35]
.LBB312_670:
	v_lshrrev_b32_e32 v2, 24, v2
	s_movk_i32 s34, 0x80
	v_and_or_b32 v5, v2, s34, v3
.LBB312_671:
	s_or_b64 exec, exec, s[36:37]
.LBB312_672:
	s_or_b64 exec, exec, s[30:31]
	global_store_byte v[0:1], v5, off
.LBB312_673:
	s_mov_b64 s[30:31], -1
.LBB312_674:
	s_mov_b64 s[34:35], 0
.LBB312_675:
	s_and_b64 vcc, exec, s[34:35]
	s_cbranch_vccz .LBB312_716
; %bb.676:
	s_cmp_gt_i32 s39, 22
	s_mov_b64 s[34:35], -1
	s_cbranch_scc0 .LBB312_708
; %bb.677:
	s_cmp_lt_i32 s39, 24
	s_mov_b64 s[30:31], -1
	s_cbranch_scc1 .LBB312_697
; %bb.678:
	s_cmp_gt_i32 s39, 24
	s_cbranch_scc0 .LBB312_686
; %bb.679:
	v_cvt_f32_i32_sdwa v2, sext(v4) dst_sel:DWORD dst_unused:UNUSED_PAD src0_sel:WORD_0
	s_mov_b32 s30, 0x47800000
	v_mov_b32_e32 v5, 0x80
	v_and_b32_e32 v3, 0x7fffffff, v2
	v_cmp_gt_u32_e32 vcc, s30, v3
	s_and_saveexec_b64 s[30:31], vcc
	s_cbranch_execz .LBB312_685
; %bb.680:
	s_mov_b32 s34, 0x37ffffff
	v_cmp_lt_u32_e32 vcc, s34, v3
	s_mov_b64 s[34:35], 0
                                        ; implicit-def: $vgpr3
	s_and_saveexec_b64 s[36:37], vcc
	s_xor_b64 s[36:37], exec, s[36:37]
	s_cbranch_execz .LBB312_776
; %bb.681:
	v_bfe_u32 v3, v2, 21, 1
	s_mov_b32 s41, 0x88fffff
	v_add3_u32 v3, v2, v3, s41
	s_mov_b64 s[34:35], exec
	v_lshrrev_b32_e32 v3, 21, v3
	s_andn2_saveexec_b64 s[36:37], s[36:37]
	s_cbranch_execnz .LBB312_777
.LBB312_682:
	s_or_b64 exec, exec, s[36:37]
	v_mov_b32_e32 v5, 0
	s_and_saveexec_b64 s[36:37], s[34:35]
.LBB312_683:
	v_lshrrev_b32_e32 v2, 24, v2
	s_movk_i32 s34, 0x80
	v_and_or_b32 v5, v2, s34, v3
.LBB312_684:
	s_or_b64 exec, exec, s[36:37]
.LBB312_685:
	s_or_b64 exec, exec, s[30:31]
	s_mov_b64 s[30:31], 0
	global_store_byte v[0:1], v5, off
.LBB312_686:
	s_and_b64 vcc, exec, s[30:31]
	s_cbranch_vccz .LBB312_696
; %bb.687:
	v_cvt_f32_i32_sdwa v2, sext(v4) dst_sel:DWORD dst_unused:UNUSED_PAD src0_sel:WORD_0
	s_mov_b32 s30, 0x43f00000
                                        ; implicit-def: $vgpr3
	v_and_b32_e32 v5, 0x7fffffff, v2
	v_cmp_gt_u32_e32 vcc, s30, v5
	s_and_saveexec_b64 s[30:31], vcc
	s_xor_b64 s[30:31], exec, s[30:31]
	s_cbranch_execz .LBB312_693
; %bb.688:
	s_mov_b32 s34, 0x3c7fffff
	v_cmp_lt_u32_e32 vcc, s34, v5
                                        ; implicit-def: $vgpr3
	s_and_saveexec_b64 s[34:35], vcc
	s_xor_b64 s[34:35], exec, s[34:35]
; %bb.689:
	v_bfe_u32 v3, v2, 20, 1
	s_mov_b32 s36, 0x407ffff
	v_add3_u32 v3, v2, v3, s36
	v_lshrrev_b32_e32 v5, 20, v3
	v_and_b32_e32 v3, 0xff00000, v3
	s_mov_b32 s36, 0x7f00000
	v_mov_b32_e32 v6, 0x7e
	v_cmp_ne_u32_e32 vcc, s36, v3
	s_nop 1
	v_cndmask_b32_e32 v3, v6, v5, vcc
; %bb.690:
	s_andn2_saveexec_b64 s[34:35], s[34:35]
; %bb.691:
	s_mov_b32 s36, 0x46800000
	v_add_f32_e64 v3, |v2|, s36
; %bb.692:
	s_or_b64 exec, exec, s[34:35]
                                        ; implicit-def: $vgpr5
.LBB312_693:
	s_andn2_saveexec_b64 s[30:31], s[30:31]
; %bb.694:
	s_mov_b32 s34, 0x7f800000
	v_mov_b32_e32 v3, 0x7e
	v_mov_b32_e32 v6, 0x7f
	v_cmp_lt_u32_e32 vcc, s34, v5
	s_nop 1
	v_cndmask_b32_e32 v3, v3, v6, vcc
; %bb.695:
	s_or_b64 exec, exec, s[30:31]
	v_lshrrev_b32_e32 v2, 24, v2
	s_movk_i32 s30, 0x80
	v_and_or_b32 v2, v2, s30, v3
	global_store_byte v[0:1], v2, off
.LBB312_696:
	s_mov_b64 s[30:31], 0
.LBB312_697:
	s_andn2_b64 vcc, exec, s[30:31]
	s_cbranch_vccnz .LBB312_707
; %bb.698:
	v_cvt_f32_i32_sdwa v2, sext(v4) dst_sel:DWORD dst_unused:UNUSED_PAD src0_sel:WORD_0
	s_mov_b32 s30, 0x47800000
                                        ; implicit-def: $vgpr3
	v_and_b32_e32 v5, 0x7fffffff, v2
	v_cmp_gt_u32_e32 vcc, s30, v5
	s_and_saveexec_b64 s[30:31], vcc
	s_xor_b64 s[30:31], exec, s[30:31]
	s_cbranch_execz .LBB312_704
; %bb.699:
	s_mov_b32 s34, 0x387fffff
	v_cmp_lt_u32_e32 vcc, s34, v5
                                        ; implicit-def: $vgpr3
	s_and_saveexec_b64 s[34:35], vcc
	s_xor_b64 s[34:35], exec, s[34:35]
; %bb.700:
	v_bfe_u32 v3, v2, 21, 1
	s_mov_b32 s36, 0x80fffff
	v_add3_u32 v3, v2, v3, s36
	v_lshrrev_b32_e32 v3, 21, v3
; %bb.701:
	s_andn2_saveexec_b64 s[34:35], s[34:35]
; %bb.702:
	s_mov_b32 s36, 0x43000000
	v_add_f32_e64 v3, |v2|, s36
; %bb.703:
	s_or_b64 exec, exec, s[34:35]
                                        ; implicit-def: $vgpr5
.LBB312_704:
	s_andn2_saveexec_b64 s[30:31], s[30:31]
; %bb.705:
	s_mov_b32 s34, 0x7f800000
	v_mov_b32_e32 v3, 0x7c
	v_mov_b32_e32 v6, 0x7f
	v_cmp_lt_u32_e32 vcc, s34, v5
	s_nop 1
	v_cndmask_b32_e32 v3, v3, v6, vcc
; %bb.706:
	s_or_b64 exec, exec, s[30:31]
	v_lshrrev_b32_e32 v2, 24, v2
	s_movk_i32 s30, 0x80
	v_and_or_b32 v2, v2, s30, v3
	global_store_byte v[0:1], v2, off
.LBB312_707:
	s_mov_b64 s[34:35], 0
	s_mov_b64 s[30:31], -1
.LBB312_708:
	s_andn2_b64 vcc, exec, s[34:35]
	s_cbranch_vccnz .LBB312_716
; %bb.709:
	s_cmp_gt_i32 s39, 14
	s_mov_b64 s[34:35], -1
	s_cbranch_scc0 .LBB312_713
; %bb.710:
	s_cmp_eq_u32 s39, 15
	s_mov_b64 s[0:1], -1
	s_cbranch_scc0 .LBB312_712
; %bb.711:
	v_cvt_f32_i32_sdwa v2, sext(v4) dst_sel:DWORD dst_unused:UNUSED_PAD src0_sel:WORD_0
	s_movk_i32 s0, 0x7fff
	s_mov_b64 s[30:31], -1
	v_bfe_u32 v3, v2, 16, 1
	v_add3_u32 v2, v2, v3, s0
	global_store_short_d16_hi v[0:1], v2, off
	s_mov_b64 s[0:1], 0
.LBB312_712:
	s_mov_b64 s[34:35], 0
.LBB312_713:
	s_and_b64 vcc, exec, s[34:35]
	s_cbranch_vccz .LBB312_716
; %bb.714:
	s_cmp_eq_u32 s39, 11
	s_mov_b64 s[0:1], -1
	s_cbranch_scc0 .LBB312_716
; %bb.715:
	v_cmp_ne_u16_e32 vcc, 0, v4
	s_mov_b64 s[30:31], -1
	s_mov_b64 s[0:1], 0
	v_cndmask_b32_e64 v2, 0, 1, vcc
	global_store_byte v[0:1], v2, off
.LBB312_716:
	s_mov_b64 s[34:35], 0
.LBB312_717:
	s_and_b64 vcc, exec, s[34:35]
	s_cbranch_vccz .LBB312_756
; %bb.718:
	s_and_b32 s34, 0xffff, s38
	s_cmp_lt_i32 s34, 5
	s_mov_b64 s[30:31], -1
	s_cbranch_scc1 .LBB312_739
; %bb.719:
	s_cmp_lt_i32 s34, 8
	s_cbranch_scc1 .LBB312_729
; %bb.720:
	s_cmp_lt_i32 s34, 9
	s_cbranch_scc1 .LBB312_726
; %bb.721:
	s_cmp_gt_i32 s34, 9
	s_cbranch_scc0 .LBB312_723
; %bb.722:
	v_bfe_i32 v2, v4, 0, 16
	v_mov_b32_e32 v8, 0
	v_cvt_f64_i32_e32 v[6:7], v2
	v_mov_b32_e32 v9, v8
	s_mov_b64 s[30:31], 0
	global_store_dwordx4 v[0:1], v[6:9], off
.LBB312_723:
	s_andn2_b64 vcc, exec, s[30:31]
	s_cbranch_vccnz .LBB312_725
; %bb.724:
	v_cvt_f32_i32_sdwa v2, sext(v4) dst_sel:DWORD dst_unused:UNUSED_PAD src0_sel:WORD_0
	v_mov_b32_e32 v3, 0
	global_store_dwordx2 v[0:1], v[2:3], off
.LBB312_725:
	s_mov_b64 s[30:31], 0
.LBB312_726:
	s_andn2_b64 vcc, exec, s[30:31]
	s_cbranch_vccnz .LBB312_728
; %bb.727:
	v_cvt_f16_i16_e32 v2, v4
	global_store_dword v[0:1], v2, off
.LBB312_728:
	s_mov_b64 s[30:31], 0
.LBB312_729:
	s_andn2_b64 vcc, exec, s[30:31]
	s_cbranch_vccnz .LBB312_738
; %bb.730:
	s_cmp_lt_i32 s34, 6
	s_mov_b64 s[30:31], -1
	s_cbranch_scc1 .LBB312_736
; %bb.731:
	s_cmp_gt_i32 s34, 6
	s_cbranch_scc0 .LBB312_733
; %bb.732:
	v_bfe_i32 v2, v4, 0, 16
	v_cvt_f64_i32_e32 v[2:3], v2
	s_mov_b64 s[30:31], 0
	global_store_dwordx2 v[0:1], v[2:3], off
.LBB312_733:
	s_andn2_b64 vcc, exec, s[30:31]
	s_cbranch_vccnz .LBB312_735
; %bb.734:
	v_cvt_f32_i32_sdwa v2, sext(v4) dst_sel:DWORD dst_unused:UNUSED_PAD src0_sel:WORD_0
	global_store_dword v[0:1], v2, off
.LBB312_735:
	s_mov_b64 s[30:31], 0
.LBB312_736:
	s_andn2_b64 vcc, exec, s[30:31]
	s_cbranch_vccnz .LBB312_738
; %bb.737:
	v_cvt_f16_i16_e32 v2, v4
	global_store_short v[0:1], v2, off
.LBB312_738:
	s_mov_b64 s[30:31], 0
.LBB312_739:
	s_andn2_b64 vcc, exec, s[30:31]
	s_cbranch_vccnz .LBB312_755
; %bb.740:
	s_cmp_lt_i32 s34, 2
	s_mov_b64 s[30:31], -1
	s_cbranch_scc1 .LBB312_750
; %bb.741:
	s_cmp_lt_i32 s34, 3
	s_cbranch_scc1 .LBB312_747
; %bb.742:
	s_cmp_gt_i32 s34, 3
	v_bfe_i32 v2, v4, 0, 16
	s_cbranch_scc0 .LBB312_744
; %bb.743:
	v_ashrrev_i32_e32 v3, 31, v2
	s_mov_b64 s[30:31], 0
	global_store_dwordx2 v[0:1], v[2:3], off
.LBB312_744:
	s_andn2_b64 vcc, exec, s[30:31]
	s_cbranch_vccnz .LBB312_746
; %bb.745:
	global_store_dword v[0:1], v2, off
.LBB312_746:
	s_mov_b64 s[30:31], 0
.LBB312_747:
	s_andn2_b64 vcc, exec, s[30:31]
	s_cbranch_vccnz .LBB312_749
; %bb.748:
	global_store_short v[0:1], v4, off
.LBB312_749:
	s_mov_b64 s[30:31], 0
.LBB312_750:
	s_andn2_b64 vcc, exec, s[30:31]
	s_cbranch_vccnz .LBB312_755
; %bb.751:
	s_cmp_gt_i32 s34, 0
	s_mov_b64 s[30:31], -1
	s_cbranch_scc0 .LBB312_753
; %bb.752:
	s_mov_b64 s[30:31], 0
	global_store_byte v[0:1], v4, off
.LBB312_753:
	s_andn2_b64 vcc, exec, s[30:31]
	s_cbranch_vccnz .LBB312_755
; %bb.754:
	global_store_byte v[0:1], v4, off
.LBB312_755:
	s_mov_b64 s[30:31], -1
.LBB312_756:
	s_andn2_b64 vcc, exec, s[30:31]
	s_cbranch_vccnz .LBB312_758
; %bb.757:
	v_add_u32_e32 v10, 0x80, v10
	s_mov_b64 s[34:35], -1
	s_branch .LBB312_759
.LBB312_758:
	s_mov_b64 s[34:35], 0
                                        ; implicit-def: $vgpr10
.LBB312_759:
	s_andn2_b64 s[30:31], s[22:23], exec
	s_and_b64 s[0:1], s[0:1], exec
	s_or_b64 s[30:31], s[30:31], s[0:1]
	s_andn2_b64 s[0:1], s[20:21], exec
	s_and_b64 s[28:29], s[28:29], exec
	s_or_b64 s[0:1], s[0:1], s[28:29]
	s_orn2_b64 s[36:37], s[34:35], exec
.LBB312_760:
	s_or_b64 exec, exec, s[26:27]
	s_mov_b64 s[34:35], 0
	s_mov_b64 s[28:29], 0
	;; [unrolled: 1-line block ×3, first 2 shown]
                                        ; implicit-def: $vgpr0_vgpr1
                                        ; implicit-def: $vgpr2
	s_and_saveexec_b64 s[26:27], s[36:37]
	s_cbranch_execz .LBB312_841
; %bb.761:
	v_cmp_gt_i32_e32 vcc, s40, v10
	s_mov_b64 s[36:37], 0
	s_mov_b64 s[40:41], s[0:1]
	;; [unrolled: 1-line block ×3, first 2 shown]
                                        ; implicit-def: $vgpr0_vgpr1
                                        ; implicit-def: $vgpr2
	s_and_saveexec_b64 s[28:29], vcc
	s_cbranch_execz .LBB312_840
; %bb.762:
	v_mul_lo_u32 v0, v10, s9
	v_ashrrev_i32_e32 v1, 31, v0
	s_and_b32 s42, 0xffff, s44
	s_cmp_lt_i32 s42, 11
	v_lshl_add_u64 v[0:1], s[6:7], 0, v[0:1]
	s_cbranch_scc1 .LBB312_769
; %bb.763:
	s_cmp_gt_i32 s42, 25
	s_cbranch_scc0 .LBB312_770
; %bb.764:
	s_cmp_gt_i32 s42, 28
	s_cbranch_scc0 .LBB312_771
	;; [unrolled: 3-line block ×4, first 2 shown]
; %bb.767:
	s_cmp_eq_u32 s42, 46
	s_mov_b64 s[40:41], 0
	s_cbranch_scc0 .LBB312_778
; %bb.768:
	global_load_dword v2, v[0:1], off
	s_mov_b64 s[38:39], -1
	s_waitcnt vmcnt(0)
	v_lshlrev_b32_e32 v2, 16, v2
	v_cvt_i32_f32_e32 v2, v2
	s_branch .LBB312_780
.LBB312_769:
	s_mov_b64 s[40:41], -1
                                        ; implicit-def: $vgpr2
	s_mov_b64 s[34:35], s[0:1]
	s_branch .LBB312_839
.LBB312_770:
	s_mov_b64 s[40:41], -1
	s_mov_b64 s[34:35], s[0:1]
                                        ; implicit-def: $vgpr2
	s_branch .LBB312_807
.LBB312_771:
	s_mov_b64 s[40:41], -1
	s_mov_b64 s[34:35], s[0:1]
                                        ; implicit-def: $vgpr2
	s_branch .LBB312_790
.LBB312_772:
	s_mov_b64 s[40:41], -1
	s_mov_b64 s[34:35], s[0:1]
                                        ; implicit-def: $vgpr2
	s_branch .LBB312_785
.LBB312_773:
	s_andn2_saveexec_b64 s[36:37], s[36:37]
	s_cbranch_execz .LBB312_669
.LBB312_774:
	s_mov_b32 s41, 0x46000000
	v_add_f32_e64 v3, |v2|, s41
	v_and_b32_e32 v3, 0xff, v3
	v_cmp_ne_u32_e32 vcc, 0, v3
	s_andn2_b64 s[34:35], s[34:35], exec
	s_and_b64 s[42:43], vcc, exec
	s_or_b64 s[34:35], s[34:35], s[42:43]
	s_or_b64 exec, exec, s[36:37]
	v_mov_b32_e32 v5, 0
	s_and_saveexec_b64 s[36:37], s[34:35]
	s_cbranch_execnz .LBB312_670
	s_branch .LBB312_671
.LBB312_775:
	s_mov_b64 s[40:41], -1
	s_mov_b64 s[34:35], s[0:1]
	s_branch .LBB312_779
.LBB312_776:
	s_andn2_saveexec_b64 s[36:37], s[36:37]
	s_cbranch_execz .LBB312_682
.LBB312_777:
	s_mov_b32 s41, 0x42800000
	v_add_f32_e64 v3, |v2|, s41
	v_and_b32_e32 v3, 0xff, v3
	v_cmp_ne_u32_e32 vcc, 0, v3
	s_andn2_b64 s[34:35], s[34:35], exec
	s_and_b64 s[42:43], vcc, exec
	s_or_b64 s[34:35], s[34:35], s[42:43]
	s_or_b64 exec, exec, s[36:37]
	v_mov_b32_e32 v5, 0
	s_and_saveexec_b64 s[36:37], s[34:35]
	s_cbranch_execnz .LBB312_683
	s_branch .LBB312_684
.LBB312_778:
	s_mov_b64 s[34:35], -1
.LBB312_779:
                                        ; implicit-def: $vgpr2
.LBB312_780:
	s_and_b64 vcc, exec, s[40:41]
	s_cbranch_vccz .LBB312_784
; %bb.781:
	s_cmp_eq_u32 s42, 44
	s_cbranch_scc0 .LBB312_783
; %bb.782:
	global_load_ubyte v2, v[0:1], off
	s_mov_b64 s[34:35], 0
	s_mov_b64 s[38:39], -1
	s_waitcnt vmcnt(0)
	v_lshlrev_b32_e32 v3, 23, v2
	v_cvt_i32_f32_e32 v3, v3
	v_cmp_ne_u32_e32 vcc, 0, v2
	s_nop 1
	v_cndmask_b32_e32 v2, 0, v3, vcc
	s_branch .LBB312_784
.LBB312_783:
	s_mov_b64 s[34:35], -1
                                        ; implicit-def: $vgpr2
.LBB312_784:
	s_mov_b64 s[40:41], 0
.LBB312_785:
	s_and_b64 vcc, exec, s[40:41]
	s_cbranch_vccz .LBB312_789
; %bb.786:
	s_cmp_eq_u32 s42, 29
	s_cbranch_scc0 .LBB312_788
; %bb.787:
	global_load_dwordx2 v[2:3], v[0:1], off
	s_mov_b64 s[34:35], 0
	s_mov_b64 s[38:39], -1
	s_branch .LBB312_789
.LBB312_788:
	s_mov_b64 s[34:35], -1
                                        ; implicit-def: $vgpr2
.LBB312_789:
	s_mov_b64 s[40:41], 0
.LBB312_790:
	s_and_b64 vcc, exec, s[40:41]
	s_cbranch_vccz .LBB312_806
; %bb.791:
	s_cmp_lt_i32 s42, 27
	s_cbranch_scc1 .LBB312_794
; %bb.792:
	s_cmp_gt_i32 s42, 27
	s_cbranch_scc0 .LBB312_795
; %bb.793:
	global_load_dword v2, v[0:1], off
	s_mov_b64 s[38:39], 0
	s_branch .LBB312_796
.LBB312_794:
	s_mov_b64 s[38:39], -1
                                        ; implicit-def: $vgpr2
	s_branch .LBB312_799
.LBB312_795:
	s_mov_b64 s[38:39], -1
                                        ; implicit-def: $vgpr2
.LBB312_796:
	s_andn2_b64 vcc, exec, s[38:39]
	s_cbranch_vccnz .LBB312_798
; %bb.797:
	global_load_ushort v2, v[0:1], off
.LBB312_798:
	s_mov_b64 s[38:39], 0
.LBB312_799:
	s_andn2_b64 vcc, exec, s[38:39]
	s_cbranch_vccnz .LBB312_805
; %bb.800:
	global_load_ubyte v3, v[0:1], off
	s_movk_i32 s38, 0x7f
	s_mov_b64 s[40:41], 0
	s_waitcnt vmcnt(0)
	v_cmp_lt_i16_e32 vcc, s38, v3
	s_and_saveexec_b64 s[38:39], vcc
	s_xor_b64 s[38:39], exec, s[38:39]
	s_cbranch_execz .LBB312_817
; %bb.801:
	s_movk_i32 s40, 0x80
	v_cmp_ne_u16_e32 vcc, s40, v3
	s_and_b64 s[40:41], vcc, exec
	s_andn2_saveexec_b64 s[38:39], s[38:39]
	s_cbranch_execnz .LBB312_818
.LBB312_802:
	s_or_b64 exec, exec, s[38:39]
	v_mov_b32_e32 v2, 0
	s_and_saveexec_b64 s[38:39], s[40:41]
	s_cbranch_execz .LBB312_804
.LBB312_803:
	v_lshlrev_b32_e32 v2, 24, v3
	v_and_b32_e32 v3, 0xffff, v3
	v_and_b32_e32 v4, 7, v3
	v_ffbh_u32_e32 v6, v4
	v_min_u32_e32 v6, 32, v6
	v_subrev_u32_e32 v7, 28, v6
	v_bfe_u32 v5, v3, 3, 4
	v_lshlrev_b32_e32 v3, v7, v3
	v_sub_u32_e32 v6, 29, v6
	v_and_b32_e32 v3, 7, v3
	v_cmp_eq_u32_e32 vcc, 0, v5
	v_and_b32_e32 v2, 0x80000000, v2
	s_nop 0
	v_cndmask_b32_e32 v5, v5, v6, vcc
	v_cndmask_b32_e32 v3, v4, v3, vcc
	v_mov_b32_e32 v4, 0x3b800000
	v_lshlrev_b32_e32 v3, 20, v3
	v_lshl_add_u32 v4, v5, 23, v4
	v_or3_b32 v2, v2, v4, v3
	v_cvt_i32_f32_e32 v2, v2
.LBB312_804:
	s_or_b64 exec, exec, s[38:39]
.LBB312_805:
	s_mov_b64 s[38:39], -1
.LBB312_806:
	s_mov_b64 s[40:41], 0
.LBB312_807:
	s_and_b64 vcc, exec, s[40:41]
	s_cbranch_vccz .LBB312_838
; %bb.808:
	s_cmp_gt_i32 s42, 22
	s_cbranch_scc0 .LBB312_816
; %bb.809:
	s_cmp_lt_i32 s42, 24
	s_cbranch_scc1 .LBB312_819
; %bb.810:
	s_cmp_gt_i32 s42, 24
	s_cbranch_scc0 .LBB312_820
; %bb.811:
	global_load_ubyte v3, v[0:1], off
	s_movk_i32 s36, 0x7f
	s_mov_b64 s[38:39], 0
	s_waitcnt vmcnt(0)
	v_cmp_lt_i16_e32 vcc, s36, v3
	s_and_saveexec_b64 s[36:37], vcc
	s_xor_b64 s[36:37], exec, s[36:37]
	s_cbranch_execz .LBB312_832
; %bb.812:
	s_movk_i32 s38, 0x80
	v_cmp_ne_u16_e32 vcc, s38, v3
	s_and_b64 s[38:39], vcc, exec
	s_andn2_saveexec_b64 s[36:37], s[36:37]
	s_cbranch_execnz .LBB312_833
.LBB312_813:
	s_or_b64 exec, exec, s[36:37]
	v_mov_b32_e32 v2, 0
	s_and_saveexec_b64 s[36:37], s[38:39]
	s_cbranch_execz .LBB312_815
.LBB312_814:
	v_lshlrev_b32_e32 v2, 24, v3
	v_and_b32_e32 v3, 0xffff, v3
	v_and_b32_e32 v4, 3, v3
	v_ffbh_u32_e32 v6, v4
	v_min_u32_e32 v6, 32, v6
	v_subrev_u32_e32 v7, 29, v6
	v_bfe_u32 v5, v3, 2, 5
	v_lshlrev_b32_e32 v3, v7, v3
	v_sub_u32_e32 v6, 30, v6
	v_and_b32_e32 v3, 3, v3
	v_cmp_eq_u32_e32 vcc, 0, v5
	v_and_b32_e32 v2, 0x80000000, v2
	s_nop 0
	v_cndmask_b32_e32 v5, v5, v6, vcc
	v_cndmask_b32_e32 v3, v4, v3, vcc
	v_mov_b32_e32 v4, 0x37800000
	v_lshlrev_b32_e32 v3, 21, v3
	v_lshl_add_u32 v4, v5, 23, v4
	v_or3_b32 v2, v2, v4, v3
	v_cvt_i32_f32_e32 v2, v2
.LBB312_815:
	s_or_b64 exec, exec, s[36:37]
	s_mov_b64 s[36:37], 0
	s_branch .LBB312_821
.LBB312_816:
	s_mov_b64 s[36:37], -1
                                        ; implicit-def: $vgpr2
	s_branch .LBB312_827
.LBB312_817:
	s_andn2_saveexec_b64 s[38:39], s[38:39]
	s_cbranch_execz .LBB312_802
.LBB312_818:
	v_cmp_ne_u16_e32 vcc, 0, v3
	s_andn2_b64 s[40:41], s[40:41], exec
	s_and_b64 s[46:47], vcc, exec
	s_or_b64 s[40:41], s[40:41], s[46:47]
	s_or_b64 exec, exec, s[38:39]
	v_mov_b32_e32 v2, 0
	s_and_saveexec_b64 s[38:39], s[40:41]
	s_cbranch_execnz .LBB312_803
	s_branch .LBB312_804
.LBB312_819:
	s_mov_b64 s[36:37], -1
                                        ; implicit-def: $vgpr2
	s_branch .LBB312_824
.LBB312_820:
	s_mov_b64 s[36:37], -1
                                        ; implicit-def: $vgpr2
.LBB312_821:
	s_and_b64 vcc, exec, s[36:37]
	s_cbranch_vccz .LBB312_823
; %bb.822:
	global_load_ubyte v2, v[0:1], off
	s_mov_b32 s36, 0x7f800000
	s_waitcnt vmcnt(0)
	v_lshlrev_b32_e32 v2, 24, v2
	v_and_b32_e32 v3, 0x7f000000, v2
	v_ffbh_u32_e32 v4, v3
	v_min_u32_e32 v4, 32, v4
	v_sub_u32_e64 v4, v4, 4 clamp
	v_lshlrev_b32_e32 v6, v4, v3
	v_lshlrev_b32_e32 v4, 23, v4
	v_lshrrev_b32_e32 v6, 4, v6
	v_add_u32_e32 v5, 0x1000000, v3
	v_sub_u32_e32 v4, v6, v4
	v_ashrrev_i32_e32 v5, 8, v5
	v_add_u32_e32 v4, 0x3c000000, v4
	v_and_or_b32 v4, v5, s36, v4
	v_cmp_ne_u32_e32 vcc, 0, v3
	s_brev_b32 s36, 1
	s_nop 0
	v_cndmask_b32_e32 v3, 0, v4, vcc
	v_and_or_b32 v2, v2, s36, v3
	v_cvt_i32_f32_e32 v2, v2
.LBB312_823:
	s_mov_b64 s[36:37], 0
.LBB312_824:
	s_andn2_b64 vcc, exec, s[36:37]
	s_cbranch_vccnz .LBB312_826
; %bb.825:
	global_load_ubyte v2, v[0:1], off
	s_movk_i32 s36, 0x7f00
	s_brev_b32 s37, 16
	s_waitcnt vmcnt(0)
	v_lshlrev_b16_e32 v3, 8, v2
	v_lshlrev_b32_e32 v2, 25, v2
	v_lshrrev_b32_e32 v4, 4, v2
	v_and_or_b32 v5, v3, s36, 0.5
	v_or_b32_e32 v4, 0x70000000, v4
	v_add_f32_e32 v5, -0.5, v5
	v_mul_f32_e32 v4, 0x7800000, v4
	v_cmp_gt_u32_e32 vcc, s37, v2
	v_bfe_i32 v3, v3, 0, 16
	s_brev_b32 s36, 1
	v_cndmask_b32_e32 v2, v4, v5, vcc
	v_and_or_b32 v2, v3, s36, v2
	v_cvt_i32_f32_e32 v2, v2
.LBB312_826:
	s_mov_b64 s[36:37], 0
	s_mov_b64 s[38:39], -1
.LBB312_827:
	s_andn2_b64 vcc, exec, s[36:37]
	s_mov_b64 s[36:37], 0
	s_cbranch_vccnz .LBB312_838
; %bb.828:
	s_cmp_gt_i32 s42, 14
	s_cbranch_scc0 .LBB312_831
; %bb.829:
	s_cmp_eq_u32 s42, 15
	s_cbranch_scc0 .LBB312_834
; %bb.830:
	global_load_ushort v2, v[0:1], off
	s_mov_b64 s[34:35], 0
	s_mov_b64 s[38:39], -1
	s_waitcnt vmcnt(0)
	v_lshlrev_b32_e32 v2, 16, v2
	v_cvt_i32_f32_e32 v2, v2
	s_branch .LBB312_835
.LBB312_831:
	s_mov_b64 s[40:41], -1
                                        ; implicit-def: $vgpr2
	s_branch .LBB312_836
.LBB312_832:
	s_andn2_saveexec_b64 s[36:37], s[36:37]
	s_cbranch_execz .LBB312_813
.LBB312_833:
	v_cmp_ne_u16_e32 vcc, 0, v3
	s_andn2_b64 s[38:39], s[38:39], exec
	s_and_b64 s[40:41], vcc, exec
	s_or_b64 s[38:39], s[38:39], s[40:41]
	s_or_b64 exec, exec, s[36:37]
	v_mov_b32_e32 v2, 0
	s_and_saveexec_b64 s[36:37], s[38:39]
	s_cbranch_execnz .LBB312_814
	s_branch .LBB312_815
.LBB312_834:
	s_mov_b64 s[34:35], -1
                                        ; implicit-def: $vgpr2
.LBB312_835:
	s_mov_b64 s[40:41], 0
.LBB312_836:
	s_and_b64 vcc, exec, s[40:41]
	s_cbranch_vccz .LBB312_838
; %bb.837:
	s_cmp_lg_u32 s42, 11
	s_cselect_b64 s[40:41], -1, 0
	s_andn2_b64 s[34:35], s[34:35], exec
	s_and_b64 s[40:41], s[40:41], exec
	s_mov_b64 s[36:37], -1
	s_or_b64 s[34:35], s[34:35], s[40:41]
.LBB312_838:
	s_mov_b64 s[40:41], 0
.LBB312_839:
	s_and_b64 s[42:43], s[40:41], exec
	s_andn2_b64 s[40:41], s[0:1], exec
	s_and_b64 s[34:35], s[34:35], exec
	s_and_b64 s[38:39], s[38:39], exec
	;; [unrolled: 1-line block ×3, first 2 shown]
	s_or_b64 s[40:41], s[40:41], s[34:35]
.LBB312_840:
	s_or_b64 exec, exec, s[28:29]
	s_and_b64 s[34:35], s[36:37], exec
	s_andn2_b64 s[0:1], s[0:1], exec
	s_and_b64 s[36:37], s[40:41], exec
	s_and_b64 s[38:39], s[38:39], exec
	;; [unrolled: 1-line block ×3, first 2 shown]
	s_or_b64 s[0:1], s[0:1], s[36:37]
.LBB312_841:
	s_or_b64 exec, exec, s[26:27]
	s_andn2_b64 s[22:23], s[22:23], exec
	s_and_b64 s[26:27], s[30:31], exec
	s_andn2_b64 s[20:21], s[20:21], exec
	s_and_b64 s[0:1], s[0:1], exec
	s_or_b64 s[22:23], s[22:23], s[26:27]
	s_and_b64 s[30:31], s[38:39], exec
	s_and_b64 s[28:29], s[28:29], exec
	;; [unrolled: 1-line block ×3, first 2 shown]
	s_or_b64 s[20:21], s[20:21], s[0:1]
.LBB312_842:
	s_or_b64 exec, exec, s[24:25]
	s_andn2_b64 s[0:1], s[14:15], exec
	s_and_b64 s[14:15], s[22:23], exec
	s_andn2_b64 s[16:17], s[16:17], exec
	s_and_b64 s[20:21], s[20:21], exec
	s_or_b64 s[14:15], s[0:1], s[14:15]
	s_and_b64 s[0:1], s[30:31], exec
	s_and_b64 s[24:25], s[28:29], exec
	;; [unrolled: 1-line block ×3, first 2 shown]
	s_or_b64 s[16:17], s[16:17], s[20:21]
	s_or_b64 exec, exec, s[18:19]
	s_mov_b64 s[18:19], 0
	s_and_saveexec_b64 s[20:21], s[16:17]
	s_cbranch_execz .LBB312_258
.LBB312_843:
	s_mov_b64 s[18:19], exec
	s_andn2_b64 s[22:23], s[22:23], exec
	s_trap 2
	s_or_b64 exec, exec, s[20:21]
	s_and_saveexec_b64 s[16:17], s[22:23]
	s_xor_b64 s[16:17], exec, s[16:17]
	s_cbranch_execnz .LBB312_259
.LBB312_844:
	s_or_b64 exec, exec, s[16:17]
	s_and_saveexec_b64 s[16:17], s[24:25]
	s_cbranch_execz .LBB312_890
.LBB312_845:
	s_sext_i32_i16 s20, s44
	s_cmp_lt_i32 s20, 5
	s_cbranch_scc1 .LBB312_850
; %bb.846:
	s_cmp_lt_i32 s20, 8
	s_cbranch_scc1 .LBB312_851
; %bb.847:
	;; [unrolled: 3-line block ×3, first 2 shown]
	s_cmp_gt_i32 s20, 9
	s_cbranch_scc0 .LBB312_853
; %bb.849:
	global_load_dwordx2 v[2:3], v[0:1], off
	s_mov_b64 s[20:21], 0
	s_waitcnt vmcnt(0)
	v_cvt_i32_f64_e32 v2, v[2:3]
	s_branch .LBB312_854
.LBB312_850:
                                        ; implicit-def: $vgpr2
	s_branch .LBB312_871
.LBB312_851:
                                        ; implicit-def: $vgpr2
	s_branch .LBB312_860
.LBB312_852:
	s_mov_b64 s[20:21], -1
                                        ; implicit-def: $vgpr2
	s_branch .LBB312_857
.LBB312_853:
	s_mov_b64 s[20:21], -1
                                        ; implicit-def: $vgpr2
.LBB312_854:
	s_andn2_b64 vcc, exec, s[20:21]
	s_cbranch_vccnz .LBB312_856
; %bb.855:
	global_load_dword v2, v[0:1], off
	s_waitcnt vmcnt(0)
	v_cvt_i32_f32_e32 v2, v2
.LBB312_856:
	s_mov_b64 s[20:21], 0
.LBB312_857:
	s_andn2_b64 vcc, exec, s[20:21]
	s_cbranch_vccnz .LBB312_859
; %bb.858:
	global_load_dword v2, v[0:1], off
	s_waitcnt vmcnt(0)
	v_cvt_i16_f16_e32 v2, v2
.LBB312_859:
	s_cbranch_execnz .LBB312_870
.LBB312_860:
	s_sext_i32_i16 s20, s44
	s_cmp_lt_i32 s20, 6
	s_cbranch_scc1 .LBB312_863
; %bb.861:
	s_cmp_gt_i32 s20, 6
	s_cbranch_scc0 .LBB312_864
; %bb.862:
	global_load_dwordx2 v[2:3], v[0:1], off
	s_mov_b64 s[20:21], 0
	s_waitcnt vmcnt(0)
	v_cvt_i32_f64_e32 v2, v[2:3]
	s_branch .LBB312_865
.LBB312_863:
	s_mov_b64 s[20:21], -1
                                        ; implicit-def: $vgpr2
	s_branch .LBB312_868
.LBB312_864:
	s_mov_b64 s[20:21], -1
                                        ; implicit-def: $vgpr2
.LBB312_865:
	s_andn2_b64 vcc, exec, s[20:21]
	s_cbranch_vccnz .LBB312_867
; %bb.866:
	global_load_dword v2, v[0:1], off
	s_waitcnt vmcnt(0)
	v_cvt_i32_f32_e32 v2, v2
.LBB312_867:
	s_mov_b64 s[20:21], 0
.LBB312_868:
	s_andn2_b64 vcc, exec, s[20:21]
	s_cbranch_vccnz .LBB312_870
; %bb.869:
	global_load_ushort v2, v[0:1], off
	s_waitcnt vmcnt(0)
	v_cvt_i16_f16_e32 v2, v2
.LBB312_870:
	s_cbranch_execnz .LBB312_889
.LBB312_871:
	s_sext_i32_i16 s20, s44
	s_cmp_lt_i32 s20, 2
	s_cbranch_scc1 .LBB312_875
; %bb.872:
	s_cmp_lt_i32 s20, 3
	s_cbranch_scc1 .LBB312_876
; %bb.873:
	s_cmp_gt_i32 s20, 3
	s_cbranch_scc0 .LBB312_877
; %bb.874:
	global_load_dwordx2 v[2:3], v[0:1], off
	s_mov_b64 s[20:21], 0
	s_branch .LBB312_878
.LBB312_875:
                                        ; implicit-def: $vgpr2
	s_branch .LBB312_884
.LBB312_876:
	s_mov_b64 s[20:21], -1
                                        ; implicit-def: $vgpr2
	s_branch .LBB312_881
.LBB312_877:
	s_mov_b64 s[20:21], -1
                                        ; implicit-def: $vgpr2
.LBB312_878:
	s_andn2_b64 vcc, exec, s[20:21]
	s_cbranch_vccnz .LBB312_880
; %bb.879:
	global_load_dword v2, v[0:1], off
.LBB312_880:
	s_mov_b64 s[20:21], 0
.LBB312_881:
	s_andn2_b64 vcc, exec, s[20:21]
	s_cbranch_vccnz .LBB312_883
; %bb.882:
	global_load_ushort v2, v[0:1], off
.LBB312_883:
	s_cbranch_execnz .LBB312_889
.LBB312_884:
	s_sext_i32_i16 s20, s44
	s_cmp_gt_i32 s20, 0
	s_cbranch_scc0 .LBB312_886
; %bb.885:
	global_load_sbyte v2, v[0:1], off
	s_mov_b64 s[20:21], 0
	s_branch .LBB312_887
.LBB312_886:
	s_mov_b64 s[20:21], -1
                                        ; implicit-def: $vgpr2
.LBB312_887:
	s_andn2_b64 vcc, exec, s[20:21]
	s_cbranch_vccnz .LBB312_889
; %bb.888:
	global_load_ubyte v2, v[0:1], off
.LBB312_889:
	s_or_b64 s[0:1], s[0:1], exec
.LBB312_890:
	s_or_b64 exec, exec, s[16:17]
	s_mov_b64 s[22:23], 0
	s_mov_b64 s[20:21], 0
                                        ; implicit-def: $sgpr28
                                        ; implicit-def: $vgpr0_vgpr1
                                        ; implicit-def: $vgpr4
	s_and_saveexec_b64 s[16:17], s[0:1]
	s_cbranch_execz .LBB312_898
; %bb.891:
	s_waitcnt vmcnt(0)
	v_max_i16_e32 v0, s10, v2
	v_min_i16_e32 v4, s33, v0
	v_mul_lo_u32 v0, v10, s8
	v_ashrrev_i32_e32 v1, 31, v0
	s_and_b32 s28, s11, 0xff
	s_cmp_lt_i32 s28, 11
	v_lshl_add_u64 v[0:1], s[4:5], 0, v[0:1]
	s_cbranch_scc1 .LBB312_901
; %bb.892:
	s_and_b32 s29, 0xffff, s28
	s_mov_b64 s[22:23], -1
	s_cmp_gt_i32 s29, 25
	s_mov_b64 s[0:1], s[14:15]
	s_cbranch_scc0 .LBB312_929
; %bb.893:
	s_mov_b64 s[20:21], -1
	s_cmp_gt_i32 s29, 28
	s_mov_b64 s[0:1], s[14:15]
	s_cbranch_scc0 .LBB312_913
; %bb.894:
	s_cmp_gt_i32 s29, 43
	s_mov_b64 s[0:1], s[14:15]
	s_cbranch_scc0 .LBB312_909
; %bb.895:
	;; [unrolled: 4-line block ×3, first 2 shown]
	s_cmp_eq_u32 s29, 46
	s_mov_b64 s[0:1], -1
	s_cbranch_scc0 .LBB312_902
; %bb.897:
	v_cvt_f32_i32_sdwa v2, sext(v4) dst_sel:DWORD dst_unused:UNUSED_PAD src0_sel:WORD_0
	s_movk_i32 s0, 0x7fff
	s_mov_b64 s[20:21], 0
	v_bfe_u32 v3, v2, 16, 1
	v_add3_u32 v2, v2, v3, s0
	v_lshrrev_b32_e32 v2, 16, v2
	global_store_dword v[0:1], v2, off
	s_mov_b64 s[0:1], 0
	s_branch .LBB312_903
.LBB312_898:
	s_or_b64 exec, exec, s[16:17]
	s_and_saveexec_b64 s[0:1], s[14:15]
	s_cbranch_execnz .LBB312_971
.LBB312_899:
	s_or_b64 exec, exec, s[0:1]
	s_and_saveexec_b64 s[0:1], s[22:23]
	s_xor_b64 s[0:1], exec, s[0:1]
	s_cbranch_execz .LBB312_972
.LBB312_900:
	v_cmp_ne_u16_e32 vcc, 0, v4
	s_waitcnt vmcnt(0)
	s_nop 0
	v_cndmask_b32_e64 v2, 0, 1, vcc
	global_store_byte v[0:1], v2, off
	s_or_b64 exec, exec, s[0:1]
	s_and_saveexec_b64 s[0:1], s[20:21]
	s_xor_b64 s[0:1], exec, s[0:1]
	s_cbranch_execz .LBB312_1010
	s_branch .LBB312_973
.LBB312_901:
	s_mov_b64 s[20:21], -1
	s_mov_b64 s[0:1], s[14:15]
	s_branch .LBB312_970
.LBB312_902:
	s_mov_b64 s[20:21], 0
.LBB312_903:
	s_and_b64 vcc, exec, s[20:21]
	s_cbranch_vccz .LBB312_908
; %bb.904:
	s_cmp_eq_u32 s29, 44
	s_mov_b64 s[0:1], -1
	s_cbranch_scc0 .LBB312_908
; %bb.905:
	v_cvt_f32_i32_sdwa v2, sext(v4) dst_sel:DWORD dst_unused:UNUSED_PAD src0_sel:WORD_0
	s_movk_i32 s0, 0xff
	v_mov_b32_e32 v5, 0xff
	v_bfe_u32 v3, v2, 23, 8
	v_cmp_ne_u32_e32 vcc, s0, v3
	s_and_saveexec_b64 s[20:21], vcc
; %bb.906:
	s_mov_b32 s0, 0x3fffff
	v_lshrrev_b32_e32 v5, 23, v2
	v_and_b32_e32 v6, 0x400000, v2
	v_and_or_b32 v2, v2, s0, v3
	v_cmp_ne_u32_e32 vcc, 0, v6
	v_cmp_ne_u32_e64 s[0:1], 0, v2
	s_and_b64 s[0:1], vcc, s[0:1]
	s_nop 0
	v_cndmask_b32_e64 v2, 0, 1, s[0:1]
	v_add_u32_e32 v5, v5, v2
; %bb.907:
	s_or_b64 exec, exec, s[20:21]
	s_mov_b64 s[0:1], 0
	global_store_byte v[0:1], v5, off
.LBB312_908:
	s_mov_b64 s[20:21], 0
.LBB312_909:
	s_and_b64 vcc, exec, s[20:21]
	s_cbranch_vccz .LBB312_912
; %bb.910:
	s_cmp_eq_u32 s29, 29
	s_mov_b64 s[0:1], -1
	s_cbranch_scc0 .LBB312_912
; %bb.911:
	v_bfe_i32 v2, v4, 0, 16
	v_ashrrev_i32_e32 v3, 31, v2
	global_store_dwordx2 v[0:1], v[2:3], off
	s_mov_b64 s[0:1], 0
.LBB312_912:
	s_mov_b64 s[20:21], 0
.LBB312_913:
	s_and_b64 vcc, exec, s[20:21]
	s_cbranch_vccz .LBB312_928
; %bb.914:
	s_cmp_lt_i32 s29, 27
	s_mov_b64 s[20:21], -1
	s_cbranch_scc1 .LBB312_920
; %bb.915:
	s_cmp_gt_i32 s29, 27
	s_cbranch_scc0 .LBB312_917
; %bb.916:
	v_bfe_i32 v2, v4, 0, 16
	s_mov_b64 s[20:21], 0
	global_store_dword v[0:1], v2, off
.LBB312_917:
	s_andn2_b64 vcc, exec, s[20:21]
	s_cbranch_vccnz .LBB312_919
; %bb.918:
	global_store_short v[0:1], v4, off
.LBB312_919:
	s_mov_b64 s[20:21], 0
.LBB312_920:
	s_andn2_b64 vcc, exec, s[20:21]
	s_cbranch_vccnz .LBB312_928
; %bb.921:
	v_cvt_f32_i32_sdwa v2, sext(v4) dst_sel:DWORD dst_unused:UNUSED_PAD src0_sel:WORD_0
	s_mov_b32 s20, 0x43800000
	v_mov_b32_e32 v5, 0x80
	v_and_b32_e32 v3, 0x7fffffff, v2
	v_cmp_gt_u32_e32 vcc, s20, v3
	s_and_saveexec_b64 s[20:21], vcc
	s_cbranch_execz .LBB312_927
; %bb.922:
	s_mov_b32 s22, 0x3bffffff
	v_cmp_lt_u32_e32 vcc, s22, v3
	s_mov_b64 s[22:23], 0
                                        ; implicit-def: $vgpr3
	s_and_saveexec_b64 s[24:25], vcc
	s_xor_b64 s[24:25], exec, s[24:25]
	s_cbranch_execz .LBB312_1025
; %bb.923:
	v_bfe_u32 v3, v2, 20, 1
	s_mov_b32 s26, 0x487ffff
	v_add3_u32 v3, v2, v3, s26
	s_mov_b64 s[22:23], exec
	v_lshrrev_b32_e32 v3, 20, v3
	s_andn2_saveexec_b64 s[24:25], s[24:25]
	s_cbranch_execnz .LBB312_1026
.LBB312_924:
	s_or_b64 exec, exec, s[24:25]
	v_mov_b32_e32 v5, 0
	s_and_saveexec_b64 s[24:25], s[22:23]
.LBB312_925:
	v_lshrrev_b32_e32 v2, 24, v2
	s_movk_i32 s22, 0x80
	v_and_or_b32 v5, v2, s22, v3
.LBB312_926:
	s_or_b64 exec, exec, s[24:25]
.LBB312_927:
	s_or_b64 exec, exec, s[20:21]
	global_store_byte v[0:1], v5, off
.LBB312_928:
	s_mov_b64 s[22:23], 0
.LBB312_929:
	s_mov_b64 s[20:21], 0
	s_and_b64 vcc, exec, s[22:23]
	s_cbranch_vccz .LBB312_969
; %bb.930:
	s_cmp_gt_i32 s29, 22
	s_mov_b64 s[22:23], -1
	s_cbranch_scc0 .LBB312_962
; %bb.931:
	s_cmp_lt_i32 s29, 24
	s_cbranch_scc1 .LBB312_951
; %bb.932:
	s_cmp_gt_i32 s29, 24
	s_cbranch_scc0 .LBB312_940
; %bb.933:
	v_cvt_f32_i32_sdwa v2, sext(v4) dst_sel:DWORD dst_unused:UNUSED_PAD src0_sel:WORD_0
	s_mov_b32 s22, 0x47800000
	v_mov_b32_e32 v5, 0x80
	v_and_b32_e32 v3, 0x7fffffff, v2
	v_cmp_gt_u32_e32 vcc, s22, v3
	s_and_saveexec_b64 s[22:23], vcc
	s_cbranch_execz .LBB312_939
; %bb.934:
	s_mov_b32 s24, 0x37ffffff
	v_cmp_lt_u32_e32 vcc, s24, v3
	s_mov_b64 s[24:25], 0
                                        ; implicit-def: $vgpr3
	s_and_saveexec_b64 s[26:27], vcc
	s_xor_b64 s[26:27], exec, s[26:27]
	s_cbranch_execz .LBB312_1145
; %bb.935:
	v_bfe_u32 v3, v2, 21, 1
	s_mov_b32 s30, 0x88fffff
	v_add3_u32 v3, v2, v3, s30
	s_mov_b64 s[24:25], exec
	v_lshrrev_b32_e32 v3, 21, v3
	s_andn2_saveexec_b64 s[26:27], s[26:27]
	s_cbranch_execnz .LBB312_1146
.LBB312_936:
	s_or_b64 exec, exec, s[26:27]
	v_mov_b32_e32 v5, 0
	s_and_saveexec_b64 s[26:27], s[24:25]
.LBB312_937:
	v_lshrrev_b32_e32 v2, 24, v2
	s_movk_i32 s24, 0x80
	v_and_or_b32 v5, v2, s24, v3
.LBB312_938:
	s_or_b64 exec, exec, s[26:27]
.LBB312_939:
	s_or_b64 exec, exec, s[22:23]
	s_mov_b64 s[22:23], 0
	global_store_byte v[0:1], v5, off
.LBB312_940:
	s_and_b64 vcc, exec, s[22:23]
	s_cbranch_vccz .LBB312_950
; %bb.941:
	v_cvt_f32_i32_sdwa v2, sext(v4) dst_sel:DWORD dst_unused:UNUSED_PAD src0_sel:WORD_0
	s_mov_b32 s22, 0x43f00000
                                        ; implicit-def: $vgpr3
	v_and_b32_e32 v5, 0x7fffffff, v2
	v_cmp_gt_u32_e32 vcc, s22, v5
	s_and_saveexec_b64 s[22:23], vcc
	s_xor_b64 s[22:23], exec, s[22:23]
	s_cbranch_execz .LBB312_947
; %bb.942:
	s_mov_b32 s24, 0x3c7fffff
	v_cmp_lt_u32_e32 vcc, s24, v5
                                        ; implicit-def: $vgpr3
	s_and_saveexec_b64 s[24:25], vcc
	s_xor_b64 s[24:25], exec, s[24:25]
; %bb.943:
	v_bfe_u32 v3, v2, 20, 1
	s_mov_b32 s26, 0x407ffff
	v_add3_u32 v3, v2, v3, s26
	v_lshrrev_b32_e32 v5, 20, v3
	v_and_b32_e32 v3, 0xff00000, v3
	s_mov_b32 s26, 0x7f00000
	v_mov_b32_e32 v6, 0x7e
	v_cmp_ne_u32_e32 vcc, s26, v3
	s_nop 1
	v_cndmask_b32_e32 v3, v6, v5, vcc
; %bb.944:
	s_andn2_saveexec_b64 s[24:25], s[24:25]
; %bb.945:
	s_mov_b32 s26, 0x46800000
	v_add_f32_e64 v3, |v2|, s26
; %bb.946:
	s_or_b64 exec, exec, s[24:25]
                                        ; implicit-def: $vgpr5
.LBB312_947:
	s_andn2_saveexec_b64 s[22:23], s[22:23]
; %bb.948:
	s_mov_b32 s24, 0x7f800000
	v_mov_b32_e32 v3, 0x7e
	v_mov_b32_e32 v6, 0x7f
	v_cmp_lt_u32_e32 vcc, s24, v5
	s_nop 1
	v_cndmask_b32_e32 v3, v3, v6, vcc
; %bb.949:
	s_or_b64 exec, exec, s[22:23]
	v_lshrrev_b32_e32 v2, 24, v2
	s_movk_i32 s22, 0x80
	v_and_or_b32 v2, v2, s22, v3
	global_store_byte v[0:1], v2, off
.LBB312_950:
	s_mov_b64 s[22:23], 0
.LBB312_951:
	s_andn2_b64 vcc, exec, s[22:23]
	s_cbranch_vccnz .LBB312_961
; %bb.952:
	v_cvt_f32_i32_sdwa v2, sext(v4) dst_sel:DWORD dst_unused:UNUSED_PAD src0_sel:WORD_0
	s_mov_b32 s22, 0x47800000
                                        ; implicit-def: $vgpr3
	v_and_b32_e32 v5, 0x7fffffff, v2
	v_cmp_gt_u32_e32 vcc, s22, v5
	s_and_saveexec_b64 s[22:23], vcc
	s_xor_b64 s[22:23], exec, s[22:23]
	s_cbranch_execz .LBB312_958
; %bb.953:
	s_mov_b32 s24, 0x387fffff
	v_cmp_lt_u32_e32 vcc, s24, v5
                                        ; implicit-def: $vgpr3
	s_and_saveexec_b64 s[24:25], vcc
	s_xor_b64 s[24:25], exec, s[24:25]
; %bb.954:
	v_bfe_u32 v3, v2, 21, 1
	s_mov_b32 s26, 0x80fffff
	v_add3_u32 v3, v2, v3, s26
	v_lshrrev_b32_e32 v3, 21, v3
; %bb.955:
	s_andn2_saveexec_b64 s[24:25], s[24:25]
; %bb.956:
	s_mov_b32 s26, 0x43000000
	v_add_f32_e64 v3, |v2|, s26
; %bb.957:
	s_or_b64 exec, exec, s[24:25]
                                        ; implicit-def: $vgpr5
.LBB312_958:
	s_andn2_saveexec_b64 s[22:23], s[22:23]
; %bb.959:
	s_mov_b32 s24, 0x7f800000
	v_mov_b32_e32 v3, 0x7c
	v_mov_b32_e32 v6, 0x7f
	v_cmp_lt_u32_e32 vcc, s24, v5
	s_nop 1
	v_cndmask_b32_e32 v3, v3, v6, vcc
; %bb.960:
	s_or_b64 exec, exec, s[22:23]
	v_lshrrev_b32_e32 v2, 24, v2
	s_movk_i32 s22, 0x80
	v_and_or_b32 v2, v2, s22, v3
	global_store_byte v[0:1], v2, off
.LBB312_961:
	s_mov_b64 s[22:23], 0
.LBB312_962:
	s_andn2_b64 vcc, exec, s[22:23]
	s_mov_b64 s[22:23], 0
	s_cbranch_vccnz .LBB312_970
; %bb.963:
	s_cmp_gt_i32 s29, 14
	s_mov_b64 s[24:25], -1
	s_cbranch_scc0 .LBB312_967
; %bb.964:
	s_cmp_eq_u32 s29, 15
	s_mov_b64 s[0:1], -1
	s_cbranch_scc0 .LBB312_966
; %bb.965:
	v_cvt_f32_i32_sdwa v2, sext(v4) dst_sel:DWORD dst_unused:UNUSED_PAD src0_sel:WORD_0
	s_movk_i32 s0, 0x7fff
	v_bfe_u32 v3, v2, 16, 1
	v_add3_u32 v2, v2, v3, s0
	global_store_short_d16_hi v[0:1], v2, off
	s_mov_b64 s[0:1], 0
.LBB312_966:
	s_mov_b64 s[24:25], 0
.LBB312_967:
	s_and_b64 vcc, exec, s[24:25]
	s_cbranch_vccz .LBB312_970
; %bb.968:
	s_cmp_lg_u32 s29, 11
	s_cselect_b64 s[24:25], -1, 0
	s_andn2_b64 s[0:1], s[0:1], exec
	s_and_b64 s[24:25], s[24:25], exec
	s_mov_b64 s[22:23], -1
	s_or_b64 s[0:1], s[0:1], s[24:25]
	s_branch .LBB312_970
.LBB312_969:
	s_mov_b64 s[22:23], 0
.LBB312_970:
	s_andn2_b64 s[14:15], s[14:15], exec
	s_and_b64 s[0:1], s[0:1], exec
	s_and_b64 s[20:21], s[20:21], exec
	;; [unrolled: 1-line block ×3, first 2 shown]
	s_or_b64 s[14:15], s[14:15], s[0:1]
	s_or_b64 exec, exec, s[16:17]
	s_and_saveexec_b64 s[0:1], s[14:15]
	s_cbranch_execz .LBB312_899
.LBB312_971:
	s_or_b64 s[18:19], s[18:19], exec
	s_andn2_b64 s[22:23], s[22:23], exec
	s_trap 2
	s_or_b64 exec, exec, s[0:1]
	s_and_saveexec_b64 s[0:1], s[22:23]
	s_xor_b64 s[0:1], exec, s[0:1]
	s_cbranch_execnz .LBB312_900
.LBB312_972:
	s_or_b64 exec, exec, s[0:1]
	s_and_saveexec_b64 s[0:1], s[20:21]
	s_xor_b64 s[0:1], exec, s[0:1]
	s_cbranch_execz .LBB312_1010
.LBB312_973:
	s_sext_i32_i16 s16, s28
	s_cmp_lt_i32 s16, 5
	s_mov_b64 s[14:15], -1
	s_cbranch_scc1 .LBB312_994
; %bb.974:
	s_cmp_lt_i32 s16, 8
	s_cbranch_scc1 .LBB312_984
; %bb.975:
	s_cmp_lt_i32 s16, 9
	s_cbranch_scc1 .LBB312_981
; %bb.976:
	s_cmp_gt_i32 s16, 9
	s_cbranch_scc0 .LBB312_978
; %bb.977:
	s_waitcnt vmcnt(0)
	v_bfe_i32 v2, v4, 0, 16
	v_mov_b32_e32 v8, 0
	v_cvt_f64_i32_e32 v[6:7], v2
	v_mov_b32_e32 v9, v8
	s_mov_b64 s[14:15], 0
	global_store_dwordx4 v[0:1], v[6:9], off
.LBB312_978:
	s_andn2_b64 vcc, exec, s[14:15]
	s_cbranch_vccnz .LBB312_980
; %bb.979:
	s_waitcnt vmcnt(0)
	v_cvt_f32_i32_sdwa v2, sext(v4) dst_sel:DWORD dst_unused:UNUSED_PAD src0_sel:WORD_0
	v_mov_b32_e32 v3, 0
	global_store_dwordx2 v[0:1], v[2:3], off
.LBB312_980:
	s_mov_b64 s[14:15], 0
.LBB312_981:
	s_andn2_b64 vcc, exec, s[14:15]
	s_cbranch_vccnz .LBB312_983
; %bb.982:
	s_waitcnt vmcnt(0)
	v_cvt_f16_i16_e32 v2, v4
	global_store_dword v[0:1], v2, off
.LBB312_983:
	s_mov_b64 s[14:15], 0
.LBB312_984:
	s_andn2_b64 vcc, exec, s[14:15]
	s_cbranch_vccnz .LBB312_993
; %bb.985:
	s_sext_i32_i16 s16, s28
	s_cmp_lt_i32 s16, 6
	s_mov_b64 s[14:15], -1
	s_cbranch_scc1 .LBB312_991
; %bb.986:
	s_cmp_gt_i32 s16, 6
	s_cbranch_scc0 .LBB312_988
; %bb.987:
	s_waitcnt vmcnt(0)
	v_bfe_i32 v2, v4, 0, 16
	v_cvt_f64_i32_e32 v[2:3], v2
	s_mov_b64 s[14:15], 0
	global_store_dwordx2 v[0:1], v[2:3], off
.LBB312_988:
	s_andn2_b64 vcc, exec, s[14:15]
	s_cbranch_vccnz .LBB312_990
; %bb.989:
	s_waitcnt vmcnt(0)
	v_cvt_f32_i32_sdwa v2, sext(v4) dst_sel:DWORD dst_unused:UNUSED_PAD src0_sel:WORD_0
	global_store_dword v[0:1], v2, off
.LBB312_990:
	s_mov_b64 s[14:15], 0
.LBB312_991:
	s_andn2_b64 vcc, exec, s[14:15]
	s_cbranch_vccnz .LBB312_993
; %bb.992:
	s_waitcnt vmcnt(0)
	v_cvt_f16_i16_e32 v2, v4
	global_store_short v[0:1], v2, off
.LBB312_993:
	s_mov_b64 s[14:15], 0
.LBB312_994:
	s_andn2_b64 vcc, exec, s[14:15]
	s_cbranch_vccnz .LBB312_1010
; %bb.995:
	s_sext_i32_i16 s16, s28
	s_cmp_lt_i32 s16, 2
	s_mov_b64 s[14:15], -1
	s_cbranch_scc1 .LBB312_1005
; %bb.996:
	s_cmp_lt_i32 s16, 3
	s_cbranch_scc1 .LBB312_1002
; %bb.997:
	s_cmp_gt_i32 s16, 3
	s_waitcnt vmcnt(0)
	v_bfe_i32 v2, v4, 0, 16
	s_cbranch_scc0 .LBB312_999
; %bb.998:
	v_ashrrev_i32_e32 v3, 31, v2
	s_mov_b64 s[14:15], 0
	global_store_dwordx2 v[0:1], v[2:3], off
.LBB312_999:
	s_andn2_b64 vcc, exec, s[14:15]
	s_cbranch_vccnz .LBB312_1001
; %bb.1000:
	global_store_dword v[0:1], v2, off
.LBB312_1001:
	s_mov_b64 s[14:15], 0
.LBB312_1002:
	s_andn2_b64 vcc, exec, s[14:15]
	s_cbranch_vccnz .LBB312_1004
; %bb.1003:
	global_store_short v[0:1], v4, off
.LBB312_1004:
	s_mov_b64 s[14:15], 0
.LBB312_1005:
	s_andn2_b64 vcc, exec, s[14:15]
	s_cbranch_vccnz .LBB312_1010
; %bb.1006:
	s_sext_i32_i16 s14, s28
	s_cmp_gt_i32 s14, 0
	s_mov_b64 s[14:15], -1
	s_cbranch_scc0 .LBB312_1008
; %bb.1007:
	s_mov_b64 s[14:15], 0
	global_store_byte v[0:1], v4, off
.LBB312_1008:
	s_andn2_b64 vcc, exec, s[14:15]
	s_cbranch_vccnz .LBB312_1010
; %bb.1009:
	global_store_byte v[0:1], v4, off
.LBB312_1010:
	s_or_b64 exec, exec, s[0:1]
	s_and_b64 s[14:15], s[18:19], exec
                                        ; implicit-def: $vgpr10
.LBB312_1011:
	s_or_saveexec_b64 s[12:13], s[12:13]
	s_mov_b64 s[0:1], 0
                                        ; implicit-def: $sgpr22
                                        ; implicit-def: $vgpr0_vgpr1
                                        ; implicit-def: $vgpr4
	s_xor_b64 exec, exec, s[12:13]
	s_cbranch_execz .LBB312_1942
; %bb.1012:
	v_mul_lo_u32 v0, s9, v10
	v_ashrrev_i32_e32 v1, 31, v0
	s_and_b32 s22, 0xffff, s44
	s_cmp_lt_i32 s22, 11
	s_waitcnt vmcnt(0)
	v_lshl_add_u64 v[2:3], s[6:7], 0, v[0:1]
	s_cbranch_scc1 .LBB312_1019
; %bb.1013:
	s_cmp_gt_i32 s22, 25
	s_cbranch_scc0 .LBB312_1021
; %bb.1014:
	s_cmp_gt_i32 s22, 28
	s_cbranch_scc0 .LBB312_1022
	;; [unrolled: 3-line block ×4, first 2 shown]
; %bb.1017:
	s_cmp_eq_u32 s22, 46
	s_mov_b64 s[16:17], 0
	s_cbranch_scc0 .LBB312_1027
; %bb.1018:
	global_load_dword v1, v[2:3], off
	s_mov_b64 s[18:19], -1
	s_waitcnt vmcnt(0)
	v_lshlrev_b32_e32 v1, 16, v1
	v_cvt_i32_f32_e32 v6, v1
	s_branch .LBB312_1028
.LBB312_1019:
	s_mov_b64 s[18:19], 0
                                        ; implicit-def: $vgpr6
	s_mov_b64 s[16:17], s[14:15]
	s_cbranch_execnz .LBB312_1086
.LBB312_1020:
	s_andn2_b64 vcc, exec, s[18:19]
	s_cbranch_vccz .LBB312_1131
	s_branch .LBB312_1940
.LBB312_1021:
	s_mov_b64 s[18:19], 0
                                        ; implicit-def: $vgpr6
	s_cbranch_execnz .LBB312_1053
	s_branch .LBB312_1082
.LBB312_1022:
	s_mov_b64 s[18:19], 0
                                        ; implicit-def: $vgpr6
	s_cbranch_execz .LBB312_1052
	s_branch .LBB312_1037
.LBB312_1023:
	s_mov_b64 s[18:19], 0
                                        ; implicit-def: $vgpr6
	s_cbranch_execnz .LBB312_1033
	s_branch .LBB312_1036
.LBB312_1024:
	s_mov_b64 s[16:17], -1
	s_mov_b64 s[18:19], 0
                                        ; implicit-def: $vgpr6
	s_branch .LBB312_1028
.LBB312_1025:
	s_andn2_saveexec_b64 s[24:25], s[24:25]
	s_cbranch_execz .LBB312_924
.LBB312_1026:
	s_mov_b32 s26, 0x46000000
	v_add_f32_e64 v3, |v2|, s26
	v_and_b32_e32 v3, 0xff, v3
	v_cmp_ne_u32_e32 vcc, 0, v3
	s_andn2_b64 s[22:23], s[22:23], exec
	s_and_b64 s[26:27], vcc, exec
	s_or_b64 s[22:23], s[22:23], s[26:27]
	s_or_b64 exec, exec, s[24:25]
	v_mov_b32_e32 v5, 0
	s_and_saveexec_b64 s[24:25], s[22:23]
	s_cbranch_execnz .LBB312_925
	s_branch .LBB312_926
.LBB312_1027:
	s_mov_b64 s[0:1], -1
                                        ; implicit-def: $vgpr6
	s_mov_b64 s[18:19], 0
.LBB312_1028:
	s_and_b64 vcc, exec, s[16:17]
	s_cbranch_vccz .LBB312_1031
; %bb.1029:
	s_cmp_eq_u32 s22, 44
	s_cbranch_scc0 .LBB312_1032
; %bb.1030:
	global_load_ubyte v1, v[2:3], off
	s_mov_b64 s[0:1], 0
	s_mov_b64 s[18:19], -1
	s_waitcnt vmcnt(0)
	v_lshlrev_b32_e32 v4, 23, v1
	v_cvt_i32_f32_e32 v4, v4
	v_cmp_ne_u32_e32 vcc, 0, v1
	s_nop 1
	v_cndmask_b32_e32 v6, 0, v4, vcc
.LBB312_1031:
	s_branch .LBB312_1036
.LBB312_1032:
	s_mov_b64 s[0:1], -1
                                        ; implicit-def: $vgpr6
	s_branch .LBB312_1036
.LBB312_1033:
	s_cmp_eq_u32 s22, 29
	s_cbranch_scc0 .LBB312_1035
; %bb.1034:
	global_load_dwordx2 v[6:7], v[2:3], off
	s_mov_b64 s[0:1], 0
	s_mov_b64 s[18:19], -1
	s_branch .LBB312_1036
.LBB312_1035:
	s_mov_b64 s[0:1], -1
                                        ; implicit-def: $vgpr6
.LBB312_1036:
	s_branch .LBB312_1052
.LBB312_1037:
	s_cmp_lt_i32 s22, 27
	s_cbranch_scc1 .LBB312_1040
; %bb.1038:
	s_cmp_gt_i32 s22, 27
	s_cbranch_scc0 .LBB312_1041
; %bb.1039:
	global_load_dword v6, v[2:3], off
	s_mov_b64 s[16:17], 0
	s_branch .LBB312_1042
.LBB312_1040:
	s_mov_b64 s[16:17], -1
                                        ; implicit-def: $vgpr6
	s_branch .LBB312_1045
.LBB312_1041:
	s_mov_b64 s[16:17], -1
                                        ; implicit-def: $vgpr6
.LBB312_1042:
	s_andn2_b64 vcc, exec, s[16:17]
	s_cbranch_vccnz .LBB312_1044
; %bb.1043:
	global_load_ushort v6, v[2:3], off
.LBB312_1044:
	s_mov_b64 s[16:17], 0
.LBB312_1045:
	s_andn2_b64 vcc, exec, s[16:17]
	s_cbranch_vccnz .LBB312_1051
; %bb.1046:
	global_load_ubyte v1, v[2:3], off
	s_movk_i32 s16, 0x7f
	s_mov_b64 s[18:19], 0
	s_waitcnt vmcnt(0)
	v_cmp_lt_i16_e32 vcc, s16, v1
	s_and_saveexec_b64 s[16:17], vcc
	s_xor_b64 s[16:17], exec, s[16:17]
	s_cbranch_execz .LBB312_1062
; %bb.1047:
	s_movk_i32 s18, 0x80
	v_cmp_ne_u16_e32 vcc, s18, v1
	s_and_b64 s[18:19], vcc, exec
	s_andn2_saveexec_b64 s[16:17], s[16:17]
	s_cbranch_execnz .LBB312_1063
.LBB312_1048:
	s_or_b64 exec, exec, s[16:17]
	v_mov_b32_e32 v6, 0
	s_and_saveexec_b64 s[16:17], s[18:19]
	s_cbranch_execz .LBB312_1050
.LBB312_1049:
	v_lshlrev_b32_e32 v4, 24, v1
	v_and_b32_e32 v1, 0xffff, v1
	v_and_b32_e32 v5, 7, v1
	v_ffbh_u32_e32 v7, v5
	v_min_u32_e32 v7, 32, v7
	v_subrev_u32_e32 v8, 28, v7
	v_bfe_u32 v6, v1, 3, 4
	v_lshlrev_b32_e32 v1, v8, v1
	v_sub_u32_e32 v7, 29, v7
	v_and_b32_e32 v1, 7, v1
	v_cmp_eq_u32_e32 vcc, 0, v6
	v_and_b32_e32 v4, 0x80000000, v4
	s_nop 0
	v_cndmask_b32_e32 v6, v6, v7, vcc
	v_cndmask_b32_e32 v1, v5, v1, vcc
	v_mov_b32_e32 v5, 0x3b800000
	v_lshlrev_b32_e32 v1, 20, v1
	v_lshl_add_u32 v5, v6, 23, v5
	v_or3_b32 v1, v4, v5, v1
	v_cvt_i32_f32_e32 v6, v1
.LBB312_1050:
	s_or_b64 exec, exec, s[16:17]
.LBB312_1051:
	s_mov_b64 s[18:19], -1
.LBB312_1052:
	s_branch .LBB312_1082
.LBB312_1053:
	s_cmp_gt_i32 s22, 22
	s_cbranch_scc0 .LBB312_1061
; %bb.1054:
	s_cmp_lt_i32 s22, 24
	s_cbranch_scc1 .LBB312_1064
; %bb.1055:
	s_cmp_gt_i32 s22, 24
	s_cbranch_scc0 .LBB312_1065
; %bb.1056:
	global_load_ubyte v1, v[2:3], off
	s_movk_i32 s2, 0x7f
	s_mov_b64 s[16:17], 0
	s_waitcnt vmcnt(0)
	v_cmp_lt_i16_e32 vcc, s2, v1
	s_and_saveexec_b64 s[2:3], vcc
	s_xor_b64 s[2:3], exec, s[2:3]
	s_cbranch_execz .LBB312_1076
; %bb.1057:
	s_movk_i32 s16, 0x80
	v_cmp_ne_u16_e32 vcc, s16, v1
	s_and_b64 s[16:17], vcc, exec
	s_andn2_saveexec_b64 s[2:3], s[2:3]
	s_cbranch_execnz .LBB312_1077
.LBB312_1058:
	s_or_b64 exec, exec, s[2:3]
	v_mov_b32_e32 v6, 0
	s_and_saveexec_b64 s[2:3], s[16:17]
	s_cbranch_execz .LBB312_1060
.LBB312_1059:
	v_lshlrev_b32_e32 v4, 24, v1
	v_and_b32_e32 v1, 0xffff, v1
	v_and_b32_e32 v5, 3, v1
	v_ffbh_u32_e32 v7, v5
	v_min_u32_e32 v7, 32, v7
	v_subrev_u32_e32 v8, 29, v7
	v_bfe_u32 v6, v1, 2, 5
	v_lshlrev_b32_e32 v1, v8, v1
	v_sub_u32_e32 v7, 30, v7
	v_and_b32_e32 v1, 3, v1
	v_cmp_eq_u32_e32 vcc, 0, v6
	v_and_b32_e32 v4, 0x80000000, v4
	s_nop 0
	v_cndmask_b32_e32 v6, v6, v7, vcc
	v_cndmask_b32_e32 v1, v5, v1, vcc
	v_mov_b32_e32 v5, 0x37800000
	v_lshlrev_b32_e32 v1, 21, v1
	v_lshl_add_u32 v5, v6, 23, v5
	v_or3_b32 v1, v4, v5, v1
	v_cvt_i32_f32_e32 v6, v1
.LBB312_1060:
	s_or_b64 exec, exec, s[2:3]
	s_mov_b64 s[2:3], 0
	s_branch .LBB312_1066
.LBB312_1061:
                                        ; implicit-def: $vgpr6
	s_mov_b64 s[2:3], 0
	s_branch .LBB312_1072
.LBB312_1062:
	s_andn2_saveexec_b64 s[16:17], s[16:17]
	s_cbranch_execz .LBB312_1048
.LBB312_1063:
	v_cmp_ne_u16_e32 vcc, 0, v1
	s_andn2_b64 s[18:19], s[18:19], exec
	s_and_b64 s[20:21], vcc, exec
	s_or_b64 s[18:19], s[18:19], s[20:21]
	s_or_b64 exec, exec, s[16:17]
	v_mov_b32_e32 v6, 0
	s_and_saveexec_b64 s[16:17], s[18:19]
	s_cbranch_execnz .LBB312_1049
	s_branch .LBB312_1050
.LBB312_1064:
	s_mov_b64 s[2:3], -1
                                        ; implicit-def: $vgpr6
	s_branch .LBB312_1069
.LBB312_1065:
	s_mov_b64 s[2:3], -1
                                        ; implicit-def: $vgpr6
.LBB312_1066:
	s_and_b64 vcc, exec, s[2:3]
	s_cbranch_vccz .LBB312_1068
; %bb.1067:
	global_load_ubyte v1, v[2:3], off
	s_mov_b32 s2, 0x7f800000
	s_waitcnt vmcnt(0)
	v_lshlrev_b32_e32 v1, 24, v1
	v_and_b32_e32 v4, 0x7f000000, v1
	v_ffbh_u32_e32 v5, v4
	v_min_u32_e32 v5, 32, v5
	v_sub_u32_e64 v5, v5, 4 clamp
	v_lshlrev_b32_e32 v7, v5, v4
	v_lshlrev_b32_e32 v5, 23, v5
	v_lshrrev_b32_e32 v7, 4, v7
	v_add_u32_e32 v6, 0x1000000, v4
	v_sub_u32_e32 v5, v7, v5
	v_ashrrev_i32_e32 v6, 8, v6
	v_add_u32_e32 v5, 0x3c000000, v5
	v_and_or_b32 v5, v6, s2, v5
	v_cmp_ne_u32_e32 vcc, 0, v4
	s_brev_b32 s2, 1
	s_nop 0
	v_cndmask_b32_e32 v4, 0, v5, vcc
	v_and_or_b32 v1, v1, s2, v4
	v_cvt_i32_f32_e32 v6, v1
.LBB312_1068:
	s_mov_b64 s[2:3], 0
.LBB312_1069:
	s_andn2_b64 vcc, exec, s[2:3]
	s_cbranch_vccnz .LBB312_1071
; %bb.1070:
	global_load_ubyte v1, v[2:3], off
	s_movk_i32 s2, 0x7f00
	s_brev_b32 s3, 16
	s_waitcnt vmcnt(0)
	v_lshlrev_b16_e32 v4, 8, v1
	v_lshlrev_b32_e32 v1, 25, v1
	v_lshrrev_b32_e32 v5, 4, v1
	v_and_or_b32 v6, v4, s2, 0.5
	v_or_b32_e32 v5, 0x70000000, v5
	v_add_f32_e32 v6, -0.5, v6
	v_mul_f32_e32 v5, 0x7800000, v5
	v_cmp_gt_u32_e32 vcc, s3, v1
	v_bfe_i32 v4, v4, 0, 16
	s_brev_b32 s2, 1
	v_cndmask_b32_e32 v1, v5, v6, vcc
	v_and_or_b32 v1, v4, s2, v1
	v_cvt_i32_f32_e32 v6, v1
.LBB312_1071:
	s_mov_b64 s[18:19], -1
	s_mov_b64 s[2:3], 0
	s_cbranch_execnz .LBB312_1082
.LBB312_1072:
	s_cmp_gt_i32 s22, 14
	s_cbranch_scc0 .LBB312_1075
; %bb.1073:
	s_cmp_eq_u32 s22, 15
	s_cbranch_scc0 .LBB312_1078
; %bb.1074:
	global_load_ushort v1, v[2:3], off
	s_mov_b64 s[0:1], 0
	s_mov_b64 s[18:19], -1
	s_waitcnt vmcnt(0)
	v_lshlrev_b32_e32 v1, 16, v1
	v_cvt_i32_f32_e32 v6, v1
	s_branch .LBB312_1079
.LBB312_1075:
	s_mov_b64 s[16:17], -1
                                        ; implicit-def: $vgpr6
	s_branch .LBB312_1080
.LBB312_1076:
	s_andn2_saveexec_b64 s[2:3], s[2:3]
	s_cbranch_execz .LBB312_1058
.LBB312_1077:
	v_cmp_ne_u16_e32 vcc, 0, v1
	s_andn2_b64 s[16:17], s[16:17], exec
	s_and_b64 s[18:19], vcc, exec
	s_or_b64 s[16:17], s[16:17], s[18:19]
	s_or_b64 exec, exec, s[2:3]
	v_mov_b32_e32 v6, 0
	s_and_saveexec_b64 s[2:3], s[16:17]
	s_cbranch_execnz .LBB312_1059
	s_branch .LBB312_1060
.LBB312_1078:
	s_mov_b64 s[0:1], -1
                                        ; implicit-def: $vgpr6
.LBB312_1079:
	s_mov_b64 s[16:17], 0
.LBB312_1080:
	s_and_b64 vcc, exec, s[16:17]
	s_cbranch_vccz .LBB312_1082
; %bb.1081:
	s_cmp_lg_u32 s22, 11
	s_mov_b64 s[2:3], -1
	s_cselect_b64 s[0:1], -1, 0
.LBB312_1082:
	s_and_b64 vcc, exec, s[0:1]
	s_mov_b64 s[16:17], s[14:15]
	s_cbranch_vccnz .LBB312_1143
; %bb.1083:
	s_andn2_b64 vcc, exec, s[2:3]
	s_cbranch_vccnz .LBB312_1085
.LBB312_1084:
	global_load_ubyte v1, v[2:3], off
	s_mov_b64 s[18:19], -1
	s_waitcnt vmcnt(0)
	v_cmp_ne_u16_e32 vcc, 0, v1
	s_nop 1
	v_cndmask_b32_e64 v6, 0, 1, vcc
.LBB312_1085:
	s_branch .LBB312_1020
.LBB312_1086:
	s_cmp_lt_i32 s22, 5
	s_cbranch_scc1 .LBB312_1091
; %bb.1087:
	s_cmp_lt_i32 s22, 8
	s_cbranch_scc1 .LBB312_1092
; %bb.1088:
	;; [unrolled: 3-line block ×3, first 2 shown]
	s_cmp_gt_i32 s22, 9
	s_cbranch_scc0 .LBB312_1094
; %bb.1090:
	global_load_dwordx2 v[4:5], v[2:3], off
	s_mov_b64 s[0:1], 0
	s_waitcnt vmcnt(0)
	v_cvt_i32_f64_e32 v6, v[4:5]
	s_branch .LBB312_1095
.LBB312_1091:
                                        ; implicit-def: $vgpr6
	s_branch .LBB312_1112
.LBB312_1092:
                                        ; implicit-def: $vgpr6
	s_branch .LBB312_1101
.LBB312_1093:
	s_mov_b64 s[0:1], -1
                                        ; implicit-def: $vgpr6
	s_branch .LBB312_1098
.LBB312_1094:
	s_mov_b64 s[0:1], -1
                                        ; implicit-def: $vgpr6
.LBB312_1095:
	s_andn2_b64 vcc, exec, s[0:1]
	s_cbranch_vccnz .LBB312_1097
; %bb.1096:
	global_load_dword v1, v[2:3], off
	s_waitcnt vmcnt(0)
	v_cvt_i32_f32_e32 v6, v1
.LBB312_1097:
	s_mov_b64 s[0:1], 0
.LBB312_1098:
	s_andn2_b64 vcc, exec, s[0:1]
	s_cbranch_vccnz .LBB312_1100
; %bb.1099:
	global_load_dword v1, v[2:3], off
	s_waitcnt vmcnt(0)
	v_cvt_i16_f16_e32 v6, v1
.LBB312_1100:
	s_cbranch_execnz .LBB312_1111
.LBB312_1101:
	s_cmp_lt_i32 s22, 6
	s_cbranch_scc1 .LBB312_1104
; %bb.1102:
	s_cmp_gt_i32 s22, 6
	s_cbranch_scc0 .LBB312_1105
; %bb.1103:
	global_load_dwordx2 v[4:5], v[2:3], off
	s_mov_b64 s[0:1], 0
	s_waitcnt vmcnt(0)
	v_cvt_i32_f64_e32 v6, v[4:5]
	s_branch .LBB312_1106
.LBB312_1104:
	s_mov_b64 s[0:1], -1
                                        ; implicit-def: $vgpr6
	s_branch .LBB312_1109
.LBB312_1105:
	s_mov_b64 s[0:1], -1
                                        ; implicit-def: $vgpr6
.LBB312_1106:
	s_andn2_b64 vcc, exec, s[0:1]
	s_cbranch_vccnz .LBB312_1108
; %bb.1107:
	global_load_dword v1, v[2:3], off
	s_waitcnt vmcnt(0)
	v_cvt_i32_f32_e32 v6, v1
.LBB312_1108:
	s_mov_b64 s[0:1], 0
.LBB312_1109:
	s_andn2_b64 vcc, exec, s[0:1]
	s_cbranch_vccnz .LBB312_1111
; %bb.1110:
	global_load_ushort v1, v[2:3], off
	s_waitcnt vmcnt(0)
	v_cvt_i16_f16_e32 v6, v1
.LBB312_1111:
	s_cbranch_execnz .LBB312_1130
.LBB312_1112:
	s_cmp_lt_i32 s22, 2
	s_cbranch_scc1 .LBB312_1116
; %bb.1113:
	s_cmp_lt_i32 s22, 3
	s_cbranch_scc1 .LBB312_1117
; %bb.1114:
	s_cmp_gt_i32 s22, 3
	s_cbranch_scc0 .LBB312_1118
; %bb.1115:
	global_load_dwordx2 v[6:7], v[2:3], off
	s_mov_b64 s[0:1], 0
	s_branch .LBB312_1119
.LBB312_1116:
                                        ; implicit-def: $vgpr6
	s_branch .LBB312_1125
.LBB312_1117:
	s_mov_b64 s[0:1], -1
                                        ; implicit-def: $vgpr6
	s_branch .LBB312_1122
.LBB312_1118:
	s_mov_b64 s[0:1], -1
                                        ; implicit-def: $vgpr6
.LBB312_1119:
	s_andn2_b64 vcc, exec, s[0:1]
	s_cbranch_vccnz .LBB312_1121
; %bb.1120:
	global_load_dword v6, v[2:3], off
.LBB312_1121:
	s_mov_b64 s[0:1], 0
.LBB312_1122:
	s_andn2_b64 vcc, exec, s[0:1]
	s_cbranch_vccnz .LBB312_1124
; %bb.1123:
	global_load_ushort v6, v[2:3], off
.LBB312_1124:
	s_cbranch_execnz .LBB312_1130
.LBB312_1125:
	s_cmp_gt_i32 s22, 0
	s_cbranch_scc0 .LBB312_1127
; %bb.1126:
	global_load_sbyte v6, v[2:3], off
	s_mov_b64 s[0:1], 0
	s_branch .LBB312_1128
.LBB312_1127:
	s_mov_b64 s[0:1], -1
                                        ; implicit-def: $vgpr6
.LBB312_1128:
	s_andn2_b64 vcc, exec, s[0:1]
	s_cbranch_vccnz .LBB312_1130
; %bb.1129:
	global_load_ubyte v6, v[2:3], off
.LBB312_1130:
.LBB312_1131:
	s_lshl_b32 s9, s9, 7
	v_add_u32_e32 v0, s9, v0
	v_ashrrev_i32_e32 v1, 31, v0
	s_cmp_lt_i32 s22, 11
	v_lshl_add_u64 v[2:3], s[6:7], 0, v[0:1]
	s_cbranch_scc1 .LBB312_1138
; %bb.1132:
	s_cmp_gt_i32 s22, 25
	s_mov_b64 s[2:3], 0
	s_cbranch_scc0 .LBB312_1140
; %bb.1133:
	s_cmp_gt_i32 s22, 28
	s_cbranch_scc0 .LBB312_1141
; %bb.1134:
	s_cmp_gt_i32 s22, 43
	;; [unrolled: 3-line block ×3, first 2 shown]
	s_cbranch_scc0 .LBB312_1144
; %bb.1136:
	s_cmp_eq_u32 s22, 46
	s_mov_b64 s[20:21], 0
	s_cbranch_scc0 .LBB312_1147
; %bb.1137:
	global_load_dword v1, v[2:3], off
	s_mov_b64 s[0:1], 0
	s_mov_b64 s[18:19], -1
	s_waitcnt vmcnt(0)
	v_lshlrev_b32_e32 v1, 16, v1
	v_cvt_i32_f32_e32 v4, v1
	s_branch .LBB312_1148
.LBB312_1138:
	s_mov_b64 s[18:19], 0
                                        ; implicit-def: $vgpr4
	s_cbranch_execnz .LBB312_1209
.LBB312_1139:
	s_andn2_b64 vcc, exec, s[18:19]
	s_cbranch_vccnz .LBB312_1940
	s_branch .LBB312_1256
.LBB312_1140:
	s_mov_b64 s[18:19], 0
	s_mov_b64 s[0:1], 0
                                        ; implicit-def: $vgpr4
	s_cbranch_execnz .LBB312_1175
	s_branch .LBB312_1205
.LBB312_1141:
	s_mov_b64 s[20:21], -1
	s_mov_b64 s[18:19], 0
	s_mov_b64 s[0:1], 0
                                        ; implicit-def: $vgpr4
	s_branch .LBB312_1158
.LBB312_1142:
	s_mov_b64 s[20:21], -1
	s_mov_b64 s[18:19], 0
	s_mov_b64 s[0:1], 0
                                        ; implicit-def: $vgpr4
	s_branch .LBB312_1153
.LBB312_1143:
	s_or_b64 s[16:17], s[14:15], exec
	s_trap 2
	s_cbranch_execz .LBB312_1084
	s_branch .LBB312_1085
.LBB312_1144:
	s_mov_b64 s[20:21], -1
	s_mov_b64 s[18:19], 0
	s_mov_b64 s[0:1], 0
                                        ; implicit-def: $vgpr4
	s_branch .LBB312_1148
.LBB312_1145:
	s_andn2_saveexec_b64 s[26:27], s[26:27]
	s_cbranch_execz .LBB312_936
.LBB312_1146:
	s_mov_b32 s30, 0x42800000
	v_add_f32_e64 v3, |v2|, s30
	v_and_b32_e32 v3, 0xff, v3
	v_cmp_ne_u32_e32 vcc, 0, v3
	s_andn2_b64 s[24:25], s[24:25], exec
	s_and_b64 s[30:31], vcc, exec
	s_or_b64 s[24:25], s[24:25], s[30:31]
	s_or_b64 exec, exec, s[26:27]
	v_mov_b32_e32 v5, 0
	s_and_saveexec_b64 s[26:27], s[24:25]
	s_cbranch_execnz .LBB312_937
	s_branch .LBB312_938
.LBB312_1147:
	s_mov_b64 s[0:1], -1
                                        ; implicit-def: $vgpr4
	s_mov_b64 s[18:19], 0
.LBB312_1148:
	s_and_b64 vcc, exec, s[20:21]
	s_cbranch_vccz .LBB312_1152
; %bb.1149:
	s_cmp_eq_u32 s22, 44
	s_cbranch_scc0 .LBB312_1151
; %bb.1150:
	global_load_ubyte v1, v[2:3], off
	s_mov_b64 s[0:1], 0
	s_mov_b64 s[18:19], -1
	s_waitcnt vmcnt(0)
	v_lshlrev_b32_e32 v4, 23, v1
	v_cvt_i32_f32_e32 v4, v4
	v_cmp_ne_u32_e32 vcc, 0, v1
	s_nop 1
	v_cndmask_b32_e32 v4, 0, v4, vcc
	s_branch .LBB312_1152
.LBB312_1151:
	s_mov_b64 s[0:1], -1
                                        ; implicit-def: $vgpr4
.LBB312_1152:
	s_mov_b64 s[20:21], 0
.LBB312_1153:
	s_and_b64 vcc, exec, s[20:21]
	s_cbranch_vccz .LBB312_1157
; %bb.1154:
	s_cmp_eq_u32 s22, 29
	s_cbranch_scc0 .LBB312_1156
; %bb.1155:
	global_load_dwordx2 v[4:5], v[2:3], off
	s_mov_b64 s[0:1], 0
	s_mov_b64 s[18:19], -1
	s_branch .LBB312_1157
.LBB312_1156:
	s_mov_b64 s[0:1], -1
                                        ; implicit-def: $vgpr4
.LBB312_1157:
	s_mov_b64 s[20:21], 0
.LBB312_1158:
	s_and_b64 vcc, exec, s[20:21]
	s_cbranch_vccz .LBB312_1174
; %bb.1159:
	s_cmp_lt_i32 s22, 27
	s_cbranch_scc1 .LBB312_1162
; %bb.1160:
	s_cmp_gt_i32 s22, 27
	s_cbranch_scc0 .LBB312_1163
; %bb.1161:
	global_load_dword v4, v[2:3], off
	s_mov_b64 s[18:19], 0
	s_branch .LBB312_1164
.LBB312_1162:
	s_mov_b64 s[18:19], -1
                                        ; implicit-def: $vgpr4
	s_branch .LBB312_1167
.LBB312_1163:
	s_mov_b64 s[18:19], -1
                                        ; implicit-def: $vgpr4
.LBB312_1164:
	s_andn2_b64 vcc, exec, s[18:19]
	s_cbranch_vccnz .LBB312_1166
; %bb.1165:
	global_load_ushort v4, v[2:3], off
.LBB312_1166:
	s_mov_b64 s[18:19], 0
.LBB312_1167:
	s_andn2_b64 vcc, exec, s[18:19]
	s_cbranch_vccnz .LBB312_1173
; %bb.1168:
	global_load_ubyte v1, v[2:3], off
	s_movk_i32 s18, 0x7f
	s_mov_b64 s[20:21], 0
	s_waitcnt vmcnt(0)
	v_cmp_lt_i16_e32 vcc, s18, v1
	s_and_saveexec_b64 s[18:19], vcc
	s_xor_b64 s[18:19], exec, s[18:19]
	s_cbranch_execz .LBB312_1184
; %bb.1169:
	s_movk_i32 s20, 0x80
	v_cmp_ne_u16_e32 vcc, s20, v1
	s_and_b64 s[20:21], vcc, exec
	s_andn2_saveexec_b64 s[18:19], s[18:19]
	s_cbranch_execnz .LBB312_1185
.LBB312_1170:
	s_or_b64 exec, exec, s[18:19]
	v_mov_b32_e32 v4, 0
	s_and_saveexec_b64 s[18:19], s[20:21]
	s_cbranch_execz .LBB312_1172
.LBB312_1171:
	v_lshlrev_b32_e32 v4, 24, v1
	v_and_b32_e32 v1, 0xffff, v1
	v_and_b32_e32 v5, 7, v1
	v_ffbh_u32_e32 v8, v5
	v_min_u32_e32 v8, 32, v8
	v_subrev_u32_e32 v9, 28, v8
	v_bfe_u32 v7, v1, 3, 4
	v_lshlrev_b32_e32 v1, v9, v1
	v_sub_u32_e32 v8, 29, v8
	v_and_b32_e32 v1, 7, v1
	v_cmp_eq_u32_e32 vcc, 0, v7
	v_and_b32_e32 v4, 0x80000000, v4
	s_nop 0
	v_cndmask_b32_e32 v7, v7, v8, vcc
	v_cndmask_b32_e32 v1, v5, v1, vcc
	v_mov_b32_e32 v5, 0x3b800000
	v_lshlrev_b32_e32 v1, 20, v1
	v_lshl_add_u32 v5, v7, 23, v5
	v_or3_b32 v1, v4, v5, v1
	v_cvt_i32_f32_e32 v4, v1
.LBB312_1172:
	s_or_b64 exec, exec, s[18:19]
.LBB312_1173:
	s_mov_b64 s[18:19], -1
.LBB312_1174:
	s_branch .LBB312_1205
.LBB312_1175:
	s_cmp_gt_i32 s22, 22
	s_cbranch_scc0 .LBB312_1183
; %bb.1176:
	s_cmp_lt_i32 s22, 24
	s_cbranch_scc1 .LBB312_1186
; %bb.1177:
	s_cmp_gt_i32 s22, 24
	s_cbranch_scc0 .LBB312_1187
; %bb.1178:
	global_load_ubyte v1, v[2:3], off
	s_movk_i32 s2, 0x7f
	s_mov_b64 s[18:19], 0
	s_waitcnt vmcnt(0)
	v_cmp_lt_i16_e32 vcc, s2, v1
	s_and_saveexec_b64 s[2:3], vcc
	s_xor_b64 s[2:3], exec, s[2:3]
	s_cbranch_execz .LBB312_1199
; %bb.1179:
	s_movk_i32 s18, 0x80
	v_cmp_ne_u16_e32 vcc, s18, v1
	s_and_b64 s[18:19], vcc, exec
	s_andn2_saveexec_b64 s[2:3], s[2:3]
	s_cbranch_execnz .LBB312_1200
.LBB312_1180:
	s_or_b64 exec, exec, s[2:3]
	v_mov_b32_e32 v4, 0
	s_and_saveexec_b64 s[2:3], s[18:19]
	s_cbranch_execz .LBB312_1182
.LBB312_1181:
	v_lshlrev_b32_e32 v4, 24, v1
	v_and_b32_e32 v1, 0xffff, v1
	v_and_b32_e32 v5, 3, v1
	v_ffbh_u32_e32 v8, v5
	v_min_u32_e32 v8, 32, v8
	v_subrev_u32_e32 v9, 29, v8
	v_bfe_u32 v7, v1, 2, 5
	v_lshlrev_b32_e32 v1, v9, v1
	v_sub_u32_e32 v8, 30, v8
	v_and_b32_e32 v1, 3, v1
	v_cmp_eq_u32_e32 vcc, 0, v7
	v_and_b32_e32 v4, 0x80000000, v4
	s_nop 0
	v_cndmask_b32_e32 v7, v7, v8, vcc
	v_cndmask_b32_e32 v1, v5, v1, vcc
	v_mov_b32_e32 v5, 0x37800000
	v_lshlrev_b32_e32 v1, 21, v1
	v_lshl_add_u32 v5, v7, 23, v5
	v_or3_b32 v1, v4, v5, v1
	v_cvt_i32_f32_e32 v4, v1
.LBB312_1182:
	s_or_b64 exec, exec, s[2:3]
	s_mov_b64 s[2:3], 0
	s_branch .LBB312_1188
.LBB312_1183:
	s_mov_b64 s[2:3], -1
                                        ; implicit-def: $vgpr4
	s_branch .LBB312_1194
.LBB312_1184:
	s_andn2_saveexec_b64 s[18:19], s[18:19]
	s_cbranch_execz .LBB312_1170
.LBB312_1185:
	v_cmp_ne_u16_e32 vcc, 0, v1
	s_andn2_b64 s[20:21], s[20:21], exec
	s_and_b64 s[24:25], vcc, exec
	s_or_b64 s[20:21], s[20:21], s[24:25]
	s_or_b64 exec, exec, s[18:19]
	v_mov_b32_e32 v4, 0
	s_and_saveexec_b64 s[18:19], s[20:21]
	s_cbranch_execnz .LBB312_1171
	s_branch .LBB312_1172
.LBB312_1186:
	s_mov_b64 s[2:3], -1
                                        ; implicit-def: $vgpr4
	s_branch .LBB312_1191
.LBB312_1187:
	s_mov_b64 s[2:3], -1
                                        ; implicit-def: $vgpr4
.LBB312_1188:
	s_and_b64 vcc, exec, s[2:3]
	s_cbranch_vccz .LBB312_1190
; %bb.1189:
	global_load_ubyte v1, v[2:3], off
	s_mov_b32 s2, 0x7f800000
	s_waitcnt vmcnt(0)
	v_lshlrev_b32_e32 v1, 24, v1
	v_and_b32_e32 v4, 0x7f000000, v1
	v_ffbh_u32_e32 v5, v4
	v_min_u32_e32 v5, 32, v5
	v_sub_u32_e64 v5, v5, 4 clamp
	v_lshlrev_b32_e32 v8, v5, v4
	v_lshlrev_b32_e32 v5, 23, v5
	v_lshrrev_b32_e32 v8, 4, v8
	v_add_u32_e32 v7, 0x1000000, v4
	v_sub_u32_e32 v5, v8, v5
	v_ashrrev_i32_e32 v7, 8, v7
	v_add_u32_e32 v5, 0x3c000000, v5
	v_and_or_b32 v5, v7, s2, v5
	v_cmp_ne_u32_e32 vcc, 0, v4
	s_brev_b32 s2, 1
	s_nop 0
	v_cndmask_b32_e32 v4, 0, v5, vcc
	v_and_or_b32 v1, v1, s2, v4
	v_cvt_i32_f32_e32 v4, v1
.LBB312_1190:
	s_mov_b64 s[2:3], 0
.LBB312_1191:
	s_andn2_b64 vcc, exec, s[2:3]
	s_cbranch_vccnz .LBB312_1193
; %bb.1192:
	global_load_ubyte v1, v[2:3], off
	s_movk_i32 s2, 0x7f00
	s_brev_b32 s3, 16
	s_waitcnt vmcnt(0)
	v_lshlrev_b16_e32 v4, 8, v1
	v_lshlrev_b32_e32 v1, 25, v1
	v_lshrrev_b32_e32 v5, 4, v1
	v_and_or_b32 v7, v4, s2, 0.5
	v_or_b32_e32 v5, 0x70000000, v5
	v_add_f32_e32 v7, -0.5, v7
	v_mul_f32_e32 v5, 0x7800000, v5
	v_cmp_gt_u32_e32 vcc, s3, v1
	v_bfe_i32 v4, v4, 0, 16
	s_brev_b32 s2, 1
	v_cndmask_b32_e32 v1, v5, v7, vcc
	v_and_or_b32 v1, v4, s2, v1
	v_cvt_i32_f32_e32 v4, v1
.LBB312_1193:
	s_mov_b64 s[2:3], 0
	s_mov_b64 s[18:19], -1
.LBB312_1194:
	s_andn2_b64 vcc, exec, s[2:3]
	s_mov_b64 s[2:3], 0
	s_cbranch_vccnz .LBB312_1205
; %bb.1195:
	s_cmp_gt_i32 s22, 14
	s_cbranch_scc0 .LBB312_1198
; %bb.1196:
	s_cmp_eq_u32 s22, 15
	s_cbranch_scc0 .LBB312_1201
; %bb.1197:
	global_load_ushort v1, v[2:3], off
	s_mov_b64 s[0:1], 0
	s_mov_b64 s[18:19], -1
	s_waitcnt vmcnt(0)
	v_lshlrev_b32_e32 v1, 16, v1
	v_cvt_i32_f32_e32 v4, v1
	s_branch .LBB312_1202
.LBB312_1198:
	s_mov_b64 s[20:21], -1
                                        ; implicit-def: $vgpr4
	s_branch .LBB312_1203
.LBB312_1199:
	s_andn2_saveexec_b64 s[2:3], s[2:3]
	s_cbranch_execz .LBB312_1180
.LBB312_1200:
	v_cmp_ne_u16_e32 vcc, 0, v1
	s_andn2_b64 s[18:19], s[18:19], exec
	s_and_b64 s[20:21], vcc, exec
	s_or_b64 s[18:19], s[18:19], s[20:21]
	s_or_b64 exec, exec, s[2:3]
	v_mov_b32_e32 v4, 0
	s_and_saveexec_b64 s[2:3], s[18:19]
	s_cbranch_execnz .LBB312_1181
	s_branch .LBB312_1182
.LBB312_1201:
	s_mov_b64 s[0:1], -1
                                        ; implicit-def: $vgpr4
.LBB312_1202:
	s_mov_b64 s[20:21], 0
.LBB312_1203:
	s_and_b64 vcc, exec, s[20:21]
	s_cbranch_vccz .LBB312_1205
; %bb.1204:
	s_cmp_lg_u32 s22, 11
	s_mov_b64 s[2:3], -1
	s_cselect_b64 s[0:1], -1, 0
.LBB312_1205:
	s_and_b64 vcc, exec, s[0:1]
	s_cbranch_vccnz .LBB312_1268
; %bb.1206:
	s_andn2_b64 vcc, exec, s[2:3]
	s_cbranch_vccnz .LBB312_1208
.LBB312_1207:
	global_load_ubyte v1, v[2:3], off
	s_mov_b64 s[18:19], -1
	s_waitcnt vmcnt(0)
	v_cmp_ne_u16_e32 vcc, 0, v1
	s_nop 1
	v_cndmask_b32_e64 v4, 0, 1, vcc
.LBB312_1208:
	s_branch .LBB312_1139
.LBB312_1209:
	s_cmp_lt_i32 s22, 5
	s_cbranch_scc1 .LBB312_1214
; %bb.1210:
	s_cmp_lt_i32 s22, 8
	s_cbranch_scc1 .LBB312_1215
; %bb.1211:
	s_cmp_lt_i32 s22, 9
	s_cbranch_scc1 .LBB312_1216
; %bb.1212:
	s_cmp_gt_i32 s22, 9
	s_cbranch_scc0 .LBB312_1217
; %bb.1213:
	global_load_dwordx2 v[4:5], v[2:3], off
	s_mov_b64 s[0:1], 0
	s_waitcnt vmcnt(0)
	v_cvt_i32_f64_e32 v4, v[4:5]
	s_branch .LBB312_1218
.LBB312_1214:
                                        ; implicit-def: $vgpr4
	s_branch .LBB312_1236
.LBB312_1215:
	s_mov_b64 s[0:1], -1
                                        ; implicit-def: $vgpr4
	s_branch .LBB312_1224
.LBB312_1216:
	s_mov_b64 s[0:1], -1
                                        ; implicit-def: $vgpr4
	s_branch .LBB312_1221
.LBB312_1217:
	s_mov_b64 s[0:1], -1
                                        ; implicit-def: $vgpr4
.LBB312_1218:
	s_andn2_b64 vcc, exec, s[0:1]
	s_cbranch_vccnz .LBB312_1220
; %bb.1219:
	global_load_dword v1, v[2:3], off
	s_waitcnt vmcnt(0)
	v_cvt_i32_f32_e32 v4, v1
.LBB312_1220:
	s_mov_b64 s[0:1], 0
.LBB312_1221:
	s_andn2_b64 vcc, exec, s[0:1]
	s_cbranch_vccnz .LBB312_1223
; %bb.1222:
	global_load_dword v1, v[2:3], off
	s_waitcnt vmcnt(0)
	v_cvt_i16_f16_e32 v4, v1
.LBB312_1223:
	s_mov_b64 s[0:1], 0
.LBB312_1224:
	s_andn2_b64 vcc, exec, s[0:1]
	s_cbranch_vccnz .LBB312_1235
; %bb.1225:
	s_cmp_lt_i32 s22, 6
	s_cbranch_scc1 .LBB312_1228
; %bb.1226:
	s_cmp_gt_i32 s22, 6
	s_cbranch_scc0 .LBB312_1229
; %bb.1227:
	global_load_dwordx2 v[4:5], v[2:3], off
	s_mov_b64 s[0:1], 0
	s_waitcnt vmcnt(0)
	v_cvt_i32_f64_e32 v4, v[4:5]
	s_branch .LBB312_1230
.LBB312_1228:
	s_mov_b64 s[0:1], -1
                                        ; implicit-def: $vgpr4
	s_branch .LBB312_1233
.LBB312_1229:
	s_mov_b64 s[0:1], -1
                                        ; implicit-def: $vgpr4
.LBB312_1230:
	s_andn2_b64 vcc, exec, s[0:1]
	s_cbranch_vccnz .LBB312_1232
; %bb.1231:
	global_load_dword v1, v[2:3], off
	s_waitcnt vmcnt(0)
	v_cvt_i32_f32_e32 v4, v1
.LBB312_1232:
	s_mov_b64 s[0:1], 0
.LBB312_1233:
	s_andn2_b64 vcc, exec, s[0:1]
	s_cbranch_vccnz .LBB312_1235
; %bb.1234:
	global_load_ushort v1, v[2:3], off
	s_waitcnt vmcnt(0)
	v_cvt_i16_f16_e32 v4, v1
.LBB312_1235:
	s_cbranch_execnz .LBB312_1255
.LBB312_1236:
	s_cmp_lt_i32 s22, 2
	s_cbranch_scc1 .LBB312_1240
; %bb.1237:
	s_cmp_lt_i32 s22, 3
	s_cbranch_scc1 .LBB312_1241
; %bb.1238:
	s_cmp_gt_i32 s22, 3
	s_cbranch_scc0 .LBB312_1242
; %bb.1239:
	global_load_dwordx2 v[4:5], v[2:3], off
	s_mov_b64 s[0:1], 0
	s_branch .LBB312_1243
.LBB312_1240:
	s_mov_b64 s[0:1], -1
                                        ; implicit-def: $vgpr4
	s_branch .LBB312_1249
.LBB312_1241:
	s_mov_b64 s[0:1], -1
                                        ; implicit-def: $vgpr4
	s_branch .LBB312_1246
.LBB312_1242:
	s_mov_b64 s[0:1], -1
                                        ; implicit-def: $vgpr4
.LBB312_1243:
	s_andn2_b64 vcc, exec, s[0:1]
	s_cbranch_vccnz .LBB312_1245
; %bb.1244:
	global_load_dword v4, v[2:3], off
.LBB312_1245:
	s_mov_b64 s[0:1], 0
.LBB312_1246:
	s_andn2_b64 vcc, exec, s[0:1]
	s_cbranch_vccnz .LBB312_1248
; %bb.1247:
	global_load_ushort v4, v[2:3], off
.LBB312_1248:
	s_mov_b64 s[0:1], 0
.LBB312_1249:
	s_andn2_b64 vcc, exec, s[0:1]
	s_cbranch_vccnz .LBB312_1255
; %bb.1250:
	s_cmp_gt_i32 s22, 0
	s_cbranch_scc0 .LBB312_1252
; %bb.1251:
	global_load_sbyte v4, v[2:3], off
	s_mov_b64 s[0:1], 0
	s_branch .LBB312_1253
.LBB312_1252:
	s_mov_b64 s[0:1], -1
                                        ; implicit-def: $vgpr4
.LBB312_1253:
	s_andn2_b64 vcc, exec, s[0:1]
	s_cbranch_vccnz .LBB312_1255
; %bb.1254:
	global_load_ubyte v4, v[2:3], off
.LBB312_1255:
.LBB312_1256:
	v_add_u32_e32 v0, s9, v0
	v_ashrrev_i32_e32 v1, 31, v0
	s_cmp_lt_i32 s22, 11
	v_lshl_add_u64 v[8:9], s[6:7], 0, v[0:1]
	s_cbranch_scc1 .LBB312_1263
; %bb.1257:
	s_cmp_gt_i32 s22, 25
	s_mov_b64 s[2:3], 0
	s_cbranch_scc0 .LBB312_1265
; %bb.1258:
	s_cmp_gt_i32 s22, 28
	s_cbranch_scc0 .LBB312_1266
; %bb.1259:
	s_cmp_gt_i32 s22, 43
	;; [unrolled: 3-line block ×3, first 2 shown]
	s_cbranch_scc0 .LBB312_1269
; %bb.1261:
	s_cmp_eq_u32 s22, 46
	s_mov_b64 s[20:21], 0
	s_cbranch_scc0 .LBB312_1270
; %bb.1262:
	global_load_dword v1, v[8:9], off
	s_mov_b64 s[0:1], 0
	s_mov_b64 s[18:19], -1
	s_waitcnt vmcnt(0)
	v_lshlrev_b32_e32 v1, 16, v1
	v_cvt_i32_f32_e32 v2, v1
	s_branch .LBB312_1271
.LBB312_1263:
	s_mov_b64 s[18:19], 0
                                        ; implicit-def: $vgpr2
	s_cbranch_execnz .LBB312_1333
.LBB312_1264:
	s_andn2_b64 vcc, exec, s[18:19]
	s_cbranch_vccnz .LBB312_1940
	s_branch .LBB312_1381
.LBB312_1265:
	s_mov_b64 s[20:21], -1
	s_mov_b64 s[18:19], 0
	s_mov_b64 s[0:1], 0
                                        ; implicit-def: $vgpr2
	s_branch .LBB312_1298
.LBB312_1266:
	s_mov_b64 s[20:21], -1
	s_mov_b64 s[18:19], 0
	s_mov_b64 s[0:1], 0
                                        ; implicit-def: $vgpr2
	s_branch .LBB312_1281
.LBB312_1267:
	s_mov_b64 s[20:21], -1
	s_mov_b64 s[18:19], 0
	s_mov_b64 s[0:1], 0
                                        ; implicit-def: $vgpr2
	s_branch .LBB312_1276
.LBB312_1268:
	s_trap 2
	s_or_b64 s[16:17], s[16:17], exec
	s_cbranch_execz .LBB312_1207
	s_branch .LBB312_1208
.LBB312_1269:
	s_mov_b64 s[20:21], -1
	s_mov_b64 s[18:19], 0
	s_mov_b64 s[0:1], 0
                                        ; implicit-def: $vgpr2
	s_branch .LBB312_1271
.LBB312_1270:
	s_mov_b64 s[0:1], -1
                                        ; implicit-def: $vgpr2
	s_mov_b64 s[18:19], 0
.LBB312_1271:
	s_and_b64 vcc, exec, s[20:21]
	s_cbranch_vccz .LBB312_1275
; %bb.1272:
	s_cmp_eq_u32 s22, 44
	s_cbranch_scc0 .LBB312_1274
; %bb.1273:
	global_load_ubyte v1, v[8:9], off
	s_mov_b64 s[0:1], 0
	s_mov_b64 s[18:19], -1
	s_waitcnt vmcnt(0)
	v_lshlrev_b32_e32 v2, 23, v1
	v_cvt_i32_f32_e32 v2, v2
	v_cmp_ne_u32_e32 vcc, 0, v1
	s_nop 1
	v_cndmask_b32_e32 v2, 0, v2, vcc
	s_branch .LBB312_1275
.LBB312_1274:
	s_mov_b64 s[0:1], -1
                                        ; implicit-def: $vgpr2
.LBB312_1275:
	s_mov_b64 s[20:21], 0
.LBB312_1276:
	s_and_b64 vcc, exec, s[20:21]
	s_cbranch_vccz .LBB312_1280
; %bb.1277:
	s_cmp_eq_u32 s22, 29
	s_cbranch_scc0 .LBB312_1279
; %bb.1278:
	global_load_dwordx2 v[2:3], v[8:9], off
	s_mov_b64 s[0:1], 0
	s_mov_b64 s[18:19], -1
	s_branch .LBB312_1280
.LBB312_1279:
	s_mov_b64 s[0:1], -1
                                        ; implicit-def: $vgpr2
.LBB312_1280:
	s_mov_b64 s[20:21], 0
.LBB312_1281:
	s_and_b64 vcc, exec, s[20:21]
	s_cbranch_vccz .LBB312_1297
; %bb.1282:
	s_cmp_lt_i32 s22, 27
	s_cbranch_scc1 .LBB312_1285
; %bb.1283:
	s_cmp_gt_i32 s22, 27
	s_cbranch_scc0 .LBB312_1286
; %bb.1284:
	global_load_dword v2, v[8:9], off
	s_mov_b64 s[18:19], 0
	s_branch .LBB312_1287
.LBB312_1285:
	s_mov_b64 s[18:19], -1
                                        ; implicit-def: $vgpr2
	s_branch .LBB312_1290
.LBB312_1286:
	s_mov_b64 s[18:19], -1
                                        ; implicit-def: $vgpr2
.LBB312_1287:
	s_andn2_b64 vcc, exec, s[18:19]
	s_cbranch_vccnz .LBB312_1289
; %bb.1288:
	global_load_ushort v2, v[8:9], off
.LBB312_1289:
	s_mov_b64 s[18:19], 0
.LBB312_1290:
	s_andn2_b64 vcc, exec, s[18:19]
	s_cbranch_vccnz .LBB312_1296
; %bb.1291:
	global_load_ubyte v1, v[8:9], off
	s_movk_i32 s18, 0x7f
	s_mov_b64 s[20:21], 0
	s_waitcnt vmcnt(0)
	v_cmp_lt_i16_e32 vcc, s18, v1
	s_and_saveexec_b64 s[18:19], vcc
	s_xor_b64 s[18:19], exec, s[18:19]
	s_cbranch_execz .LBB312_1308
; %bb.1292:
	s_movk_i32 s20, 0x80
	v_cmp_ne_u16_e32 vcc, s20, v1
	s_and_b64 s[20:21], vcc, exec
	s_andn2_saveexec_b64 s[18:19], s[18:19]
	s_cbranch_execnz .LBB312_1309
.LBB312_1293:
	s_or_b64 exec, exec, s[18:19]
	v_mov_b32_e32 v2, 0
	s_and_saveexec_b64 s[18:19], s[20:21]
	s_cbranch_execz .LBB312_1295
.LBB312_1294:
	v_lshlrev_b32_e32 v2, 24, v1
	v_and_b32_e32 v1, 0xffff, v1
	v_and_b32_e32 v3, 7, v1
	v_ffbh_u32_e32 v7, v3
	v_min_u32_e32 v7, 32, v7
	v_subrev_u32_e32 v11, 28, v7
	v_bfe_u32 v5, v1, 3, 4
	v_lshlrev_b32_e32 v1, v11, v1
	v_sub_u32_e32 v7, 29, v7
	v_and_b32_e32 v1, 7, v1
	v_cmp_eq_u32_e32 vcc, 0, v5
	v_and_b32_e32 v2, 0x80000000, v2
	s_nop 0
	v_cndmask_b32_e32 v5, v5, v7, vcc
	v_cndmask_b32_e32 v1, v3, v1, vcc
	v_mov_b32_e32 v3, 0x3b800000
	v_lshlrev_b32_e32 v1, 20, v1
	v_lshl_add_u32 v3, v5, 23, v3
	v_or3_b32 v1, v2, v3, v1
	v_cvt_i32_f32_e32 v2, v1
.LBB312_1295:
	s_or_b64 exec, exec, s[18:19]
.LBB312_1296:
	s_mov_b64 s[18:19], -1
.LBB312_1297:
	s_mov_b64 s[20:21], 0
.LBB312_1298:
	s_and_b64 vcc, exec, s[20:21]
	s_cbranch_vccz .LBB312_1329
; %bb.1299:
	s_cmp_gt_i32 s22, 22
	s_cbranch_scc0 .LBB312_1307
; %bb.1300:
	s_cmp_lt_i32 s22, 24
	s_cbranch_scc1 .LBB312_1310
; %bb.1301:
	s_cmp_gt_i32 s22, 24
	s_cbranch_scc0 .LBB312_1311
; %bb.1302:
	global_load_ubyte v1, v[8:9], off
	s_movk_i32 s2, 0x7f
	s_mov_b64 s[18:19], 0
	s_waitcnt vmcnt(0)
	v_cmp_lt_i16_e32 vcc, s2, v1
	s_and_saveexec_b64 s[2:3], vcc
	s_xor_b64 s[2:3], exec, s[2:3]
	s_cbranch_execz .LBB312_1323
; %bb.1303:
	s_movk_i32 s18, 0x80
	v_cmp_ne_u16_e32 vcc, s18, v1
	s_and_b64 s[18:19], vcc, exec
	s_andn2_saveexec_b64 s[2:3], s[2:3]
	s_cbranch_execnz .LBB312_1324
.LBB312_1304:
	s_or_b64 exec, exec, s[2:3]
	v_mov_b32_e32 v2, 0
	s_and_saveexec_b64 s[2:3], s[18:19]
	s_cbranch_execz .LBB312_1306
.LBB312_1305:
	v_lshlrev_b32_e32 v2, 24, v1
	v_and_b32_e32 v1, 0xffff, v1
	v_and_b32_e32 v3, 3, v1
	v_ffbh_u32_e32 v7, v3
	v_min_u32_e32 v7, 32, v7
	v_subrev_u32_e32 v11, 29, v7
	v_bfe_u32 v5, v1, 2, 5
	v_lshlrev_b32_e32 v1, v11, v1
	v_sub_u32_e32 v7, 30, v7
	v_and_b32_e32 v1, 3, v1
	v_cmp_eq_u32_e32 vcc, 0, v5
	v_and_b32_e32 v2, 0x80000000, v2
	s_nop 0
	v_cndmask_b32_e32 v5, v5, v7, vcc
	v_cndmask_b32_e32 v1, v3, v1, vcc
	v_mov_b32_e32 v3, 0x37800000
	v_lshlrev_b32_e32 v1, 21, v1
	v_lshl_add_u32 v3, v5, 23, v3
	v_or3_b32 v1, v2, v3, v1
	v_cvt_i32_f32_e32 v2, v1
.LBB312_1306:
	s_or_b64 exec, exec, s[2:3]
	s_mov_b64 s[2:3], 0
	s_branch .LBB312_1312
.LBB312_1307:
	s_mov_b64 s[2:3], -1
                                        ; implicit-def: $vgpr2
	s_branch .LBB312_1318
.LBB312_1308:
	s_andn2_saveexec_b64 s[18:19], s[18:19]
	s_cbranch_execz .LBB312_1293
.LBB312_1309:
	v_cmp_ne_u16_e32 vcc, 0, v1
	s_andn2_b64 s[20:21], s[20:21], exec
	s_and_b64 s[24:25], vcc, exec
	s_or_b64 s[20:21], s[20:21], s[24:25]
	s_or_b64 exec, exec, s[18:19]
	v_mov_b32_e32 v2, 0
	s_and_saveexec_b64 s[18:19], s[20:21]
	s_cbranch_execnz .LBB312_1294
	s_branch .LBB312_1295
.LBB312_1310:
	s_mov_b64 s[2:3], -1
                                        ; implicit-def: $vgpr2
	s_branch .LBB312_1315
.LBB312_1311:
	s_mov_b64 s[2:3], -1
                                        ; implicit-def: $vgpr2
.LBB312_1312:
	s_and_b64 vcc, exec, s[2:3]
	s_cbranch_vccz .LBB312_1314
; %bb.1313:
	global_load_ubyte v1, v[8:9], off
	s_mov_b32 s2, 0x7f800000
	s_waitcnt vmcnt(0)
	v_lshlrev_b32_e32 v1, 24, v1
	v_and_b32_e32 v2, 0x7f000000, v1
	v_ffbh_u32_e32 v3, v2
	v_min_u32_e32 v3, 32, v3
	v_sub_u32_e64 v3, v3, 4 clamp
	v_lshlrev_b32_e32 v7, v3, v2
	v_lshlrev_b32_e32 v3, 23, v3
	v_lshrrev_b32_e32 v7, 4, v7
	v_add_u32_e32 v5, 0x1000000, v2
	v_sub_u32_e32 v3, v7, v3
	v_ashrrev_i32_e32 v5, 8, v5
	v_add_u32_e32 v3, 0x3c000000, v3
	v_and_or_b32 v3, v5, s2, v3
	v_cmp_ne_u32_e32 vcc, 0, v2
	s_brev_b32 s2, 1
	s_nop 0
	v_cndmask_b32_e32 v2, 0, v3, vcc
	v_and_or_b32 v1, v1, s2, v2
	v_cvt_i32_f32_e32 v2, v1
.LBB312_1314:
	s_mov_b64 s[2:3], 0
.LBB312_1315:
	s_andn2_b64 vcc, exec, s[2:3]
	s_cbranch_vccnz .LBB312_1317
; %bb.1316:
	global_load_ubyte v1, v[8:9], off
	s_movk_i32 s2, 0x7f00
	s_brev_b32 s3, 16
	s_waitcnt vmcnt(0)
	v_lshlrev_b16_e32 v2, 8, v1
	v_lshlrev_b32_e32 v1, 25, v1
	v_lshrrev_b32_e32 v3, 4, v1
	v_and_or_b32 v5, v2, s2, 0.5
	v_or_b32_e32 v3, 0x70000000, v3
	v_add_f32_e32 v5, -0.5, v5
	v_mul_f32_e32 v3, 0x7800000, v3
	v_cmp_gt_u32_e32 vcc, s3, v1
	v_bfe_i32 v2, v2, 0, 16
	s_brev_b32 s2, 1
	v_cndmask_b32_e32 v1, v3, v5, vcc
	v_and_or_b32 v1, v2, s2, v1
	v_cvt_i32_f32_e32 v2, v1
.LBB312_1317:
	s_mov_b64 s[2:3], 0
	s_mov_b64 s[18:19], -1
.LBB312_1318:
	s_andn2_b64 vcc, exec, s[2:3]
	s_mov_b64 s[2:3], 0
	s_cbranch_vccnz .LBB312_1329
; %bb.1319:
	s_cmp_gt_i32 s22, 14
	s_cbranch_scc0 .LBB312_1322
; %bb.1320:
	s_cmp_eq_u32 s22, 15
	s_cbranch_scc0 .LBB312_1325
; %bb.1321:
	global_load_ushort v1, v[8:9], off
	s_mov_b64 s[0:1], 0
	s_mov_b64 s[18:19], -1
	s_waitcnt vmcnt(0)
	v_lshlrev_b32_e32 v1, 16, v1
	v_cvt_i32_f32_e32 v2, v1
	s_branch .LBB312_1326
.LBB312_1322:
	s_mov_b64 s[20:21], -1
                                        ; implicit-def: $vgpr2
	s_branch .LBB312_1327
.LBB312_1323:
	s_andn2_saveexec_b64 s[2:3], s[2:3]
	s_cbranch_execz .LBB312_1304
.LBB312_1324:
	v_cmp_ne_u16_e32 vcc, 0, v1
	s_andn2_b64 s[18:19], s[18:19], exec
	s_and_b64 s[20:21], vcc, exec
	s_or_b64 s[18:19], s[18:19], s[20:21]
	s_or_b64 exec, exec, s[2:3]
	v_mov_b32_e32 v2, 0
	s_and_saveexec_b64 s[2:3], s[18:19]
	s_cbranch_execnz .LBB312_1305
	s_branch .LBB312_1306
.LBB312_1325:
	s_mov_b64 s[0:1], -1
                                        ; implicit-def: $vgpr2
.LBB312_1326:
	s_mov_b64 s[20:21], 0
.LBB312_1327:
	s_and_b64 vcc, exec, s[20:21]
	s_cbranch_vccz .LBB312_1329
; %bb.1328:
	s_cmp_lg_u32 s22, 11
	s_mov_b64 s[2:3], -1
	s_cselect_b64 s[0:1], -1, 0
.LBB312_1329:
	s_and_b64 vcc, exec, s[0:1]
	s_cbranch_vccnz .LBB312_1392
; %bb.1330:
	s_andn2_b64 vcc, exec, s[2:3]
	s_cbranch_vccnz .LBB312_1332
.LBB312_1331:
	global_load_ubyte v1, v[8:9], off
	s_mov_b64 s[18:19], -1
	s_waitcnt vmcnt(0)
	v_cmp_ne_u16_e32 vcc, 0, v1
	s_nop 1
	v_cndmask_b32_e64 v2, 0, 1, vcc
.LBB312_1332:
	s_branch .LBB312_1264
.LBB312_1333:
	s_cmp_lt_i32 s22, 5
	s_cbranch_scc1 .LBB312_1338
; %bb.1334:
	s_cmp_lt_i32 s22, 8
	s_cbranch_scc1 .LBB312_1339
; %bb.1335:
	;; [unrolled: 3-line block ×3, first 2 shown]
	s_cmp_gt_i32 s22, 9
	s_cbranch_scc0 .LBB312_1341
; %bb.1337:
	global_load_dwordx2 v[2:3], v[8:9], off
	s_mov_b64 s[0:1], 0
	s_waitcnt vmcnt(0)
	v_cvt_i32_f64_e32 v2, v[2:3]
	s_branch .LBB312_1342
.LBB312_1338:
	s_mov_b64 s[0:1], -1
                                        ; implicit-def: $vgpr2
	s_branch .LBB312_1360
.LBB312_1339:
	s_mov_b64 s[0:1], -1
                                        ; implicit-def: $vgpr2
	s_branch .LBB312_1348
.LBB312_1340:
	s_mov_b64 s[0:1], -1
                                        ; implicit-def: $vgpr2
	s_branch .LBB312_1345
.LBB312_1341:
	s_mov_b64 s[0:1], -1
                                        ; implicit-def: $vgpr2
.LBB312_1342:
	s_andn2_b64 vcc, exec, s[0:1]
	s_cbranch_vccnz .LBB312_1344
; %bb.1343:
	global_load_dword v1, v[8:9], off
	s_waitcnt vmcnt(0)
	v_cvt_i32_f32_e32 v2, v1
.LBB312_1344:
	s_mov_b64 s[0:1], 0
.LBB312_1345:
	s_andn2_b64 vcc, exec, s[0:1]
	s_cbranch_vccnz .LBB312_1347
; %bb.1346:
	global_load_dword v1, v[8:9], off
	s_waitcnt vmcnt(0)
	v_cvt_i16_f16_e32 v2, v1
.LBB312_1347:
	s_mov_b64 s[0:1], 0
.LBB312_1348:
	s_andn2_b64 vcc, exec, s[0:1]
	s_cbranch_vccnz .LBB312_1359
; %bb.1349:
	s_cmp_lt_i32 s22, 6
	s_cbranch_scc1 .LBB312_1352
; %bb.1350:
	s_cmp_gt_i32 s22, 6
	s_cbranch_scc0 .LBB312_1353
; %bb.1351:
	global_load_dwordx2 v[2:3], v[8:9], off
	s_mov_b64 s[0:1], 0
	s_waitcnt vmcnt(0)
	v_cvt_i32_f64_e32 v2, v[2:3]
	s_branch .LBB312_1354
.LBB312_1352:
	s_mov_b64 s[0:1], -1
                                        ; implicit-def: $vgpr2
	s_branch .LBB312_1357
.LBB312_1353:
	s_mov_b64 s[0:1], -1
                                        ; implicit-def: $vgpr2
.LBB312_1354:
	s_andn2_b64 vcc, exec, s[0:1]
	s_cbranch_vccnz .LBB312_1356
; %bb.1355:
	global_load_dword v1, v[8:9], off
	s_waitcnt vmcnt(0)
	v_cvt_i32_f32_e32 v2, v1
.LBB312_1356:
	s_mov_b64 s[0:1], 0
.LBB312_1357:
	s_andn2_b64 vcc, exec, s[0:1]
	s_cbranch_vccnz .LBB312_1359
; %bb.1358:
	global_load_ushort v1, v[8:9], off
	s_waitcnt vmcnt(0)
	v_cvt_i16_f16_e32 v2, v1
.LBB312_1359:
	s_mov_b64 s[0:1], 0
.LBB312_1360:
	s_andn2_b64 vcc, exec, s[0:1]
	s_cbranch_vccnz .LBB312_1380
; %bb.1361:
	s_cmp_lt_i32 s22, 2
	s_cbranch_scc1 .LBB312_1365
; %bb.1362:
	s_cmp_lt_i32 s22, 3
	s_cbranch_scc1 .LBB312_1366
; %bb.1363:
	s_cmp_gt_i32 s22, 3
	s_cbranch_scc0 .LBB312_1367
; %bb.1364:
	global_load_dwordx2 v[2:3], v[8:9], off
	s_mov_b64 s[0:1], 0
	s_branch .LBB312_1368
.LBB312_1365:
	s_mov_b64 s[0:1], -1
                                        ; implicit-def: $vgpr2
	s_branch .LBB312_1374
.LBB312_1366:
	s_mov_b64 s[0:1], -1
                                        ; implicit-def: $vgpr2
	s_branch .LBB312_1371
.LBB312_1367:
	s_mov_b64 s[0:1], -1
                                        ; implicit-def: $vgpr2
.LBB312_1368:
	s_andn2_b64 vcc, exec, s[0:1]
	s_cbranch_vccnz .LBB312_1370
; %bb.1369:
	global_load_dword v2, v[8:9], off
.LBB312_1370:
	s_mov_b64 s[0:1], 0
.LBB312_1371:
	s_andn2_b64 vcc, exec, s[0:1]
	s_cbranch_vccnz .LBB312_1373
; %bb.1372:
	global_load_ushort v2, v[8:9], off
.LBB312_1373:
	s_mov_b64 s[0:1], 0
.LBB312_1374:
	s_andn2_b64 vcc, exec, s[0:1]
	s_cbranch_vccnz .LBB312_1380
; %bb.1375:
	s_cmp_gt_i32 s22, 0
	s_cbranch_scc0 .LBB312_1377
; %bb.1376:
	global_load_sbyte v2, v[8:9], off
	s_mov_b64 s[0:1], 0
	s_branch .LBB312_1378
.LBB312_1377:
	s_mov_b64 s[0:1], -1
                                        ; implicit-def: $vgpr2
.LBB312_1378:
	s_andn2_b64 vcc, exec, s[0:1]
	s_cbranch_vccnz .LBB312_1380
; %bb.1379:
	global_load_ubyte v2, v[8:9], off
.LBB312_1380:
.LBB312_1381:
	v_add_u32_e32 v0, s9, v0
	v_ashrrev_i32_e32 v1, 31, v0
	s_cmp_lt_i32 s22, 11
	v_lshl_add_u64 v[8:9], s[6:7], 0, v[0:1]
	s_cbranch_scc1 .LBB312_1388
; %bb.1382:
	s_cmp_gt_i32 s22, 25
	s_mov_b64 s[2:3], 0
	s_cbranch_scc0 .LBB312_1389
; %bb.1383:
	s_cmp_gt_i32 s22, 28
	s_cbranch_scc0 .LBB312_1390
; %bb.1384:
	s_cmp_gt_i32 s22, 43
	;; [unrolled: 3-line block ×3, first 2 shown]
	s_cbranch_scc0 .LBB312_1393
; %bb.1386:
	s_cmp_eq_u32 s22, 46
	s_mov_b64 s[18:19], 0
	s_cbranch_scc0 .LBB312_1394
; %bb.1387:
	global_load_dword v0, v[8:9], off
	s_mov_b64 s[0:1], 0
	s_mov_b64 s[6:7], -1
	s_waitcnt vmcnt(0)
	v_lshlrev_b32_e32 v0, 16, v0
	v_cvt_i32_f32_e32 v0, v0
	s_branch .LBB312_1395
.LBB312_1388:
	s_mov_b64 s[0:1], -1
	s_mov_b64 s[6:7], 0
                                        ; implicit-def: $vgpr0
	s_branch .LBB312_1457
.LBB312_1389:
	s_mov_b64 s[18:19], -1
	s_mov_b64 s[6:7], 0
	s_mov_b64 s[0:1], 0
                                        ; implicit-def: $vgpr0
	s_branch .LBB312_1422
.LBB312_1390:
	s_mov_b64 s[18:19], -1
	s_mov_b64 s[6:7], 0
	s_mov_b64 s[0:1], 0
                                        ; implicit-def: $vgpr0
	s_branch .LBB312_1405
.LBB312_1391:
	s_mov_b64 s[18:19], -1
	s_mov_b64 s[6:7], 0
	s_mov_b64 s[0:1], 0
                                        ; implicit-def: $vgpr0
	s_branch .LBB312_1400
.LBB312_1392:
	s_trap 2
	s_or_b64 s[16:17], s[16:17], exec
	s_cbranch_execz .LBB312_1331
	s_branch .LBB312_1332
.LBB312_1393:
	s_mov_b64 s[18:19], -1
	s_mov_b64 s[6:7], 0
	s_mov_b64 s[0:1], 0
                                        ; implicit-def: $vgpr0
	s_branch .LBB312_1395
.LBB312_1394:
	s_mov_b64 s[0:1], -1
                                        ; implicit-def: $vgpr0
	s_mov_b64 s[6:7], 0
.LBB312_1395:
	s_and_b64 vcc, exec, s[18:19]
	s_cbranch_vccz .LBB312_1399
; %bb.1396:
	s_cmp_eq_u32 s22, 44
	s_cbranch_scc0 .LBB312_1398
; %bb.1397:
	global_load_ubyte v0, v[8:9], off
	s_mov_b64 s[0:1], 0
	s_mov_b64 s[6:7], -1
	s_waitcnt vmcnt(0)
	v_lshlrev_b32_e32 v1, 23, v0
	v_cvt_i32_f32_e32 v1, v1
	v_cmp_ne_u32_e32 vcc, 0, v0
	s_nop 1
	v_cndmask_b32_e32 v0, 0, v1, vcc
	s_branch .LBB312_1399
.LBB312_1398:
	s_mov_b64 s[0:1], -1
                                        ; implicit-def: $vgpr0
.LBB312_1399:
	s_mov_b64 s[18:19], 0
.LBB312_1400:
	s_and_b64 vcc, exec, s[18:19]
	s_cbranch_vccz .LBB312_1404
; %bb.1401:
	s_cmp_eq_u32 s22, 29
	s_cbranch_scc0 .LBB312_1403
; %bb.1402:
	global_load_dwordx2 v[0:1], v[8:9], off
	s_mov_b64 s[0:1], 0
	s_mov_b64 s[6:7], -1
	s_branch .LBB312_1404
.LBB312_1403:
	s_mov_b64 s[0:1], -1
                                        ; implicit-def: $vgpr0
.LBB312_1404:
	s_mov_b64 s[18:19], 0
.LBB312_1405:
	s_and_b64 vcc, exec, s[18:19]
	s_cbranch_vccz .LBB312_1421
; %bb.1406:
	s_cmp_lt_i32 s22, 27
	s_cbranch_scc1 .LBB312_1409
; %bb.1407:
	s_cmp_gt_i32 s22, 27
	s_cbranch_scc0 .LBB312_1410
; %bb.1408:
	global_load_dword v0, v[8:9], off
	s_mov_b64 s[6:7], 0
	s_branch .LBB312_1411
.LBB312_1409:
	s_mov_b64 s[6:7], -1
                                        ; implicit-def: $vgpr0
	s_branch .LBB312_1414
.LBB312_1410:
	s_mov_b64 s[6:7], -1
                                        ; implicit-def: $vgpr0
.LBB312_1411:
	s_andn2_b64 vcc, exec, s[6:7]
	s_cbranch_vccnz .LBB312_1413
; %bb.1412:
	global_load_ushort v0, v[8:9], off
.LBB312_1413:
	s_mov_b64 s[6:7], 0
.LBB312_1414:
	s_andn2_b64 vcc, exec, s[6:7]
	s_cbranch_vccnz .LBB312_1420
; %bb.1415:
	global_load_ubyte v1, v[8:9], off
	s_movk_i32 s6, 0x7f
	s_mov_b64 s[18:19], 0
	s_waitcnt vmcnt(0)
	v_cmp_lt_i16_e32 vcc, s6, v1
	s_and_saveexec_b64 s[6:7], vcc
	s_xor_b64 s[6:7], exec, s[6:7]
	s_cbranch_execz .LBB312_1432
; %bb.1416:
	s_movk_i32 s9, 0x80
	v_cmp_ne_u16_e32 vcc, s9, v1
	s_and_b64 s[18:19], vcc, exec
	s_andn2_saveexec_b64 s[6:7], s[6:7]
	s_cbranch_execnz .LBB312_1433
.LBB312_1417:
	s_or_b64 exec, exec, s[6:7]
	v_mov_b32_e32 v0, 0
	s_and_saveexec_b64 s[6:7], s[18:19]
	s_cbranch_execz .LBB312_1419
.LBB312_1418:
	v_lshlrev_b32_e32 v0, 24, v1
	v_and_b32_e32 v1, 0xffff, v1
	v_and_b32_e32 v3, 7, v1
	v_ffbh_u32_e32 v7, v3
	v_min_u32_e32 v7, 32, v7
	v_subrev_u32_e32 v11, 28, v7
	v_bfe_u32 v5, v1, 3, 4
	v_lshlrev_b32_e32 v1, v11, v1
	v_sub_u32_e32 v7, 29, v7
	v_and_b32_e32 v1, 7, v1
	v_cmp_eq_u32_e32 vcc, 0, v5
	v_and_b32_e32 v0, 0x80000000, v0
	s_nop 0
	v_cndmask_b32_e32 v5, v5, v7, vcc
	v_cndmask_b32_e32 v1, v3, v1, vcc
	v_mov_b32_e32 v3, 0x3b800000
	v_lshlrev_b32_e32 v1, 20, v1
	v_lshl_add_u32 v3, v5, 23, v3
	v_or3_b32 v0, v0, v3, v1
	v_cvt_i32_f32_e32 v0, v0
.LBB312_1419:
	s_or_b64 exec, exec, s[6:7]
.LBB312_1420:
	s_mov_b64 s[6:7], -1
.LBB312_1421:
	s_mov_b64 s[18:19], 0
.LBB312_1422:
	s_and_b64 vcc, exec, s[18:19]
	s_cbranch_vccz .LBB312_1453
; %bb.1423:
	s_cmp_gt_i32 s22, 22
	s_cbranch_scc0 .LBB312_1431
; %bb.1424:
	s_cmp_lt_i32 s22, 24
	s_cbranch_scc1 .LBB312_1434
; %bb.1425:
	s_cmp_gt_i32 s22, 24
	s_cbranch_scc0 .LBB312_1435
; %bb.1426:
	global_load_ubyte v1, v[8:9], off
	s_movk_i32 s2, 0x7f
	s_mov_b64 s[6:7], 0
	s_waitcnt vmcnt(0)
	v_cmp_lt_i16_e32 vcc, s2, v1
	s_and_saveexec_b64 s[2:3], vcc
	s_xor_b64 s[2:3], exec, s[2:3]
	s_cbranch_execz .LBB312_1447
; %bb.1427:
	s_movk_i32 s6, 0x80
	v_cmp_ne_u16_e32 vcc, s6, v1
	s_and_b64 s[6:7], vcc, exec
	s_andn2_saveexec_b64 s[2:3], s[2:3]
	s_cbranch_execnz .LBB312_1448
.LBB312_1428:
	s_or_b64 exec, exec, s[2:3]
	v_mov_b32_e32 v0, 0
	s_and_saveexec_b64 s[2:3], s[6:7]
	s_cbranch_execz .LBB312_1430
.LBB312_1429:
	v_lshlrev_b32_e32 v0, 24, v1
	v_and_b32_e32 v1, 0xffff, v1
	v_and_b32_e32 v3, 3, v1
	v_ffbh_u32_e32 v7, v3
	v_min_u32_e32 v7, 32, v7
	v_subrev_u32_e32 v11, 29, v7
	v_bfe_u32 v5, v1, 2, 5
	v_lshlrev_b32_e32 v1, v11, v1
	v_sub_u32_e32 v7, 30, v7
	v_and_b32_e32 v1, 3, v1
	v_cmp_eq_u32_e32 vcc, 0, v5
	v_and_b32_e32 v0, 0x80000000, v0
	s_nop 0
	v_cndmask_b32_e32 v5, v5, v7, vcc
	v_cndmask_b32_e32 v1, v3, v1, vcc
	v_mov_b32_e32 v3, 0x37800000
	v_lshlrev_b32_e32 v1, 21, v1
	v_lshl_add_u32 v3, v5, 23, v3
	v_or3_b32 v0, v0, v3, v1
	v_cvt_i32_f32_e32 v0, v0
.LBB312_1430:
	s_or_b64 exec, exec, s[2:3]
	s_mov_b64 s[2:3], 0
	s_branch .LBB312_1436
.LBB312_1431:
	s_mov_b64 s[2:3], -1
                                        ; implicit-def: $vgpr0
	s_branch .LBB312_1442
.LBB312_1432:
	s_andn2_saveexec_b64 s[6:7], s[6:7]
	s_cbranch_execz .LBB312_1417
.LBB312_1433:
	v_cmp_ne_u16_e32 vcc, 0, v1
	s_andn2_b64 s[18:19], s[18:19], exec
	s_and_b64 s[20:21], vcc, exec
	s_or_b64 s[18:19], s[18:19], s[20:21]
	s_or_b64 exec, exec, s[6:7]
	v_mov_b32_e32 v0, 0
	s_and_saveexec_b64 s[6:7], s[18:19]
	s_cbranch_execnz .LBB312_1418
	s_branch .LBB312_1419
.LBB312_1434:
	s_mov_b64 s[2:3], -1
                                        ; implicit-def: $vgpr0
	s_branch .LBB312_1439
.LBB312_1435:
	s_mov_b64 s[2:3], -1
                                        ; implicit-def: $vgpr0
.LBB312_1436:
	s_and_b64 vcc, exec, s[2:3]
	s_cbranch_vccz .LBB312_1438
; %bb.1437:
	global_load_ubyte v0, v[8:9], off
	s_mov_b32 s2, 0x7f800000
	s_waitcnt vmcnt(0)
	v_lshlrev_b32_e32 v0, 24, v0
	v_and_b32_e32 v1, 0x7f000000, v0
	v_ffbh_u32_e32 v3, v1
	v_min_u32_e32 v3, 32, v3
	v_sub_u32_e64 v3, v3, 4 clamp
	v_lshlrev_b32_e32 v7, v3, v1
	v_lshlrev_b32_e32 v3, 23, v3
	v_lshrrev_b32_e32 v7, 4, v7
	v_add_u32_e32 v5, 0x1000000, v1
	v_sub_u32_e32 v3, v7, v3
	v_ashrrev_i32_e32 v5, 8, v5
	v_add_u32_e32 v3, 0x3c000000, v3
	v_and_or_b32 v3, v5, s2, v3
	v_cmp_ne_u32_e32 vcc, 0, v1
	s_brev_b32 s2, 1
	s_nop 0
	v_cndmask_b32_e32 v1, 0, v3, vcc
	v_and_or_b32 v0, v0, s2, v1
	v_cvt_i32_f32_e32 v0, v0
.LBB312_1438:
	s_mov_b64 s[2:3], 0
.LBB312_1439:
	s_andn2_b64 vcc, exec, s[2:3]
	s_cbranch_vccnz .LBB312_1441
; %bb.1440:
	global_load_ubyte v0, v[8:9], off
	s_movk_i32 s2, 0x7f00
	s_brev_b32 s3, 16
	s_waitcnt vmcnt(0)
	v_lshlrev_b16_e32 v1, 8, v0
	v_lshlrev_b32_e32 v0, 25, v0
	v_lshrrev_b32_e32 v3, 4, v0
	v_and_or_b32 v5, v1, s2, 0.5
	v_or_b32_e32 v3, 0x70000000, v3
	v_add_f32_e32 v5, -0.5, v5
	v_mul_f32_e32 v3, 0x7800000, v3
	v_cmp_gt_u32_e32 vcc, s3, v0
	v_bfe_i32 v1, v1, 0, 16
	s_brev_b32 s2, 1
	v_cndmask_b32_e32 v0, v3, v5, vcc
	v_and_or_b32 v0, v1, s2, v0
	v_cvt_i32_f32_e32 v0, v0
.LBB312_1441:
	s_mov_b64 s[2:3], 0
	s_mov_b64 s[6:7], -1
.LBB312_1442:
	s_andn2_b64 vcc, exec, s[2:3]
	s_mov_b64 s[2:3], 0
	s_cbranch_vccnz .LBB312_1453
; %bb.1443:
	s_cmp_gt_i32 s22, 14
	s_cbranch_scc0 .LBB312_1446
; %bb.1444:
	s_cmp_eq_u32 s22, 15
	s_cbranch_scc0 .LBB312_1449
; %bb.1445:
	global_load_ushort v0, v[8:9], off
	s_mov_b64 s[0:1], 0
	s_mov_b64 s[6:7], -1
	s_waitcnt vmcnt(0)
	v_lshlrev_b32_e32 v0, 16, v0
	v_cvt_i32_f32_e32 v0, v0
	s_branch .LBB312_1450
.LBB312_1446:
	s_mov_b64 s[18:19], -1
                                        ; implicit-def: $vgpr0
	s_branch .LBB312_1451
.LBB312_1447:
	s_andn2_saveexec_b64 s[2:3], s[2:3]
	s_cbranch_execz .LBB312_1428
.LBB312_1448:
	v_cmp_ne_u16_e32 vcc, 0, v1
	s_andn2_b64 s[6:7], s[6:7], exec
	s_and_b64 s[18:19], vcc, exec
	s_or_b64 s[6:7], s[6:7], s[18:19]
	s_or_b64 exec, exec, s[2:3]
	v_mov_b32_e32 v0, 0
	s_and_saveexec_b64 s[2:3], s[6:7]
	s_cbranch_execnz .LBB312_1429
	s_branch .LBB312_1430
.LBB312_1449:
	s_mov_b64 s[0:1], -1
                                        ; implicit-def: $vgpr0
.LBB312_1450:
	s_mov_b64 s[18:19], 0
.LBB312_1451:
	s_and_b64 vcc, exec, s[18:19]
	s_cbranch_vccz .LBB312_1453
; %bb.1452:
	s_cmp_lg_u32 s22, 11
	s_mov_b64 s[2:3], -1
	s_cselect_b64 s[0:1], -1, 0
.LBB312_1453:
	s_and_b64 vcc, exec, s[0:1]
	s_cbranch_vccnz .LBB312_1986
; %bb.1454:
	s_andn2_b64 vcc, exec, s[2:3]
	s_cbranch_vccnz .LBB312_1456
.LBB312_1455:
	global_load_ubyte v0, v[8:9], off
	s_mov_b64 s[6:7], -1
	s_waitcnt vmcnt(0)
	v_cmp_ne_u16_e32 vcc, 0, v0
	s_nop 1
	v_cndmask_b32_e64 v0, 0, 1, vcc
.LBB312_1456:
	s_mov_b64 s[0:1], 0
.LBB312_1457:
	s_and_b64 vcc, exec, s[0:1]
	s_cbranch_vccz .LBB312_1506
; %bb.1458:
	s_cmp_lt_i32 s22, 5
	s_cbranch_scc1 .LBB312_1463
; %bb.1459:
	s_cmp_lt_i32 s22, 8
	s_cbranch_scc1 .LBB312_1464
	;; [unrolled: 3-line block ×3, first 2 shown]
; %bb.1461:
	s_cmp_gt_i32 s22, 9
	s_cbranch_scc0 .LBB312_1466
; %bb.1462:
	global_load_dwordx2 v[0:1], v[8:9], off
	s_mov_b64 s[0:1], 0
	s_waitcnt vmcnt(0)
	v_cvt_i32_f64_e32 v0, v[0:1]
	s_branch .LBB312_1467
.LBB312_1463:
	s_mov_b64 s[0:1], -1
                                        ; implicit-def: $vgpr0
	s_branch .LBB312_1485
.LBB312_1464:
	s_mov_b64 s[0:1], -1
                                        ; implicit-def: $vgpr0
	s_branch .LBB312_1473
.LBB312_1465:
	s_mov_b64 s[0:1], -1
                                        ; implicit-def: $vgpr0
	s_branch .LBB312_1470
.LBB312_1466:
	s_mov_b64 s[0:1], -1
                                        ; implicit-def: $vgpr0
.LBB312_1467:
	s_andn2_b64 vcc, exec, s[0:1]
	s_cbranch_vccnz .LBB312_1469
; %bb.1468:
	global_load_dword v0, v[8:9], off
	s_waitcnt vmcnt(0)
	v_cvt_i32_f32_e32 v0, v0
.LBB312_1469:
	s_mov_b64 s[0:1], 0
.LBB312_1470:
	s_andn2_b64 vcc, exec, s[0:1]
	s_cbranch_vccnz .LBB312_1472
; %bb.1471:
	global_load_dword v0, v[8:9], off
	s_waitcnt vmcnt(0)
	v_cvt_i16_f16_e32 v0, v0
.LBB312_1472:
	s_mov_b64 s[0:1], 0
.LBB312_1473:
	s_andn2_b64 vcc, exec, s[0:1]
	s_cbranch_vccnz .LBB312_1484
; %bb.1474:
	s_cmp_lt_i32 s22, 6
	s_cbranch_scc1 .LBB312_1477
; %bb.1475:
	s_cmp_gt_i32 s22, 6
	s_cbranch_scc0 .LBB312_1478
; %bb.1476:
	global_load_dwordx2 v[0:1], v[8:9], off
	s_mov_b64 s[0:1], 0
	s_waitcnt vmcnt(0)
	v_cvt_i32_f64_e32 v0, v[0:1]
	s_branch .LBB312_1479
.LBB312_1477:
	s_mov_b64 s[0:1], -1
                                        ; implicit-def: $vgpr0
	s_branch .LBB312_1482
.LBB312_1478:
	s_mov_b64 s[0:1], -1
                                        ; implicit-def: $vgpr0
.LBB312_1479:
	s_andn2_b64 vcc, exec, s[0:1]
	s_cbranch_vccnz .LBB312_1481
; %bb.1480:
	global_load_dword v0, v[8:9], off
	s_waitcnt vmcnt(0)
	v_cvt_i32_f32_e32 v0, v0
.LBB312_1481:
	s_mov_b64 s[0:1], 0
.LBB312_1482:
	s_andn2_b64 vcc, exec, s[0:1]
	s_cbranch_vccnz .LBB312_1484
; %bb.1483:
	global_load_ushort v0, v[8:9], off
	s_waitcnt vmcnt(0)
	v_cvt_i16_f16_e32 v0, v0
.LBB312_1484:
	s_mov_b64 s[0:1], 0
.LBB312_1485:
	s_andn2_b64 vcc, exec, s[0:1]
	s_cbranch_vccnz .LBB312_1505
; %bb.1486:
	s_cmp_lt_i32 s22, 2
	s_cbranch_scc1 .LBB312_1490
; %bb.1487:
	s_cmp_lt_i32 s22, 3
	s_cbranch_scc1 .LBB312_1491
; %bb.1488:
	s_cmp_gt_i32 s22, 3
	s_cbranch_scc0 .LBB312_1492
; %bb.1489:
	global_load_dwordx2 v[0:1], v[8:9], off
	s_mov_b64 s[0:1], 0
	s_branch .LBB312_1493
.LBB312_1490:
	s_mov_b64 s[0:1], -1
                                        ; implicit-def: $vgpr0
	s_branch .LBB312_1499
.LBB312_1491:
	s_mov_b64 s[0:1], -1
                                        ; implicit-def: $vgpr0
	s_branch .LBB312_1496
.LBB312_1492:
	s_mov_b64 s[0:1], -1
                                        ; implicit-def: $vgpr0
.LBB312_1493:
	s_andn2_b64 vcc, exec, s[0:1]
	s_cbranch_vccnz .LBB312_1495
; %bb.1494:
	global_load_dword v0, v[8:9], off
.LBB312_1495:
	s_mov_b64 s[0:1], 0
.LBB312_1496:
	s_andn2_b64 vcc, exec, s[0:1]
	s_cbranch_vccnz .LBB312_1498
; %bb.1497:
	global_load_ushort v0, v[8:9], off
.LBB312_1498:
	s_mov_b64 s[0:1], 0
.LBB312_1499:
	s_andn2_b64 vcc, exec, s[0:1]
	s_cbranch_vccnz .LBB312_1505
; %bb.1500:
	s_cmp_gt_i32 s22, 0
	s_cbranch_scc0 .LBB312_1502
; %bb.1501:
	global_load_sbyte v0, v[8:9], off
	s_mov_b64 s[0:1], 0
	s_branch .LBB312_1503
.LBB312_1502:
	s_mov_b64 s[0:1], -1
                                        ; implicit-def: $vgpr0
.LBB312_1503:
	s_andn2_b64 vcc, exec, s[0:1]
	s_cbranch_vccnz .LBB312_1505
; %bb.1504:
	global_load_ubyte v0, v[8:9], off
.LBB312_1505:
	s_mov_b64 s[6:7], -1
.LBB312_1506:
	s_andn2_b64 vcc, exec, s[6:7]
	s_cbranch_vccnz .LBB312_1940
; %bb.1507:
	s_waitcnt vmcnt(0)
	v_max_i16_e32 v1, s10, v6
	v_mul_lo_u32 v6, s8, v10
	v_ashrrev_i32_e32 v7, 31, v6
	s_and_b32 s22, s11, 0xff
	v_min_i16_e32 v1, s33, v1
	s_cmp_lt_i32 s22, 11
	v_lshl_add_u64 v[8:9], s[4:5], 0, v[6:7]
	s_cbranch_scc1 .LBB312_1585
; %bb.1508:
	s_and_b32 s9, 0xffff, s22
	s_mov_b64 s[18:19], -1
	s_mov_b64 s[2:3], 0
	s_cmp_gt_i32 s9, 25
	s_mov_b64 s[6:7], 0
	s_mov_b64 s[0:1], 0
	s_cbranch_scc0 .LBB312_1541
; %bb.1509:
	s_cmp_gt_i32 s9, 28
	s_cbranch_scc0 .LBB312_1524
; %bb.1510:
	s_cmp_gt_i32 s9, 43
	;; [unrolled: 3-line block ×3, first 2 shown]
	s_cbranch_scc0 .LBB312_1514
; %bb.1512:
	s_mov_b64 s[0:1], -1
	s_mov_b64 s[18:19], 0
	s_cmp_eq_u32 s9, 46
	s_cbranch_scc0 .LBB312_1514
; %bb.1513:
	v_cvt_f32_i32_sdwa v3, sext(v1) dst_sel:DWORD dst_unused:UNUSED_PAD src0_sel:WORD_0
	s_movk_i32 s6, 0x7fff
	s_mov_b64 s[0:1], 0
	v_bfe_u32 v5, v3, 16, 1
	v_add3_u32 v3, v3, v5, s6
	v_lshrrev_b32_e32 v3, 16, v3
	global_store_dword v[8:9], v3, off
	s_mov_b64 s[6:7], -1
.LBB312_1514:
	s_and_b64 vcc, exec, s[18:19]
	s_cbranch_vccz .LBB312_1519
; %bb.1515:
	s_cmp_eq_u32 s9, 44
	s_mov_b64 s[0:1], -1
	s_cbranch_scc0 .LBB312_1519
; %bb.1516:
	v_cvt_f32_i32_sdwa v3, sext(v1) dst_sel:DWORD dst_unused:UNUSED_PAD src0_sel:WORD_0
	s_movk_i32 s0, 0xff
	v_mov_b32_e32 v7, 0xff
	v_bfe_u32 v5, v3, 23, 8
	v_cmp_ne_u32_e32 vcc, s0, v5
	s_and_saveexec_b64 s[6:7], vcc
; %bb.1517:
	s_mov_b32 s0, 0x3fffff
	v_lshrrev_b32_e32 v7, 23, v3
	v_and_b32_e32 v10, 0x400000, v3
	v_and_or_b32 v3, v3, s0, v5
	v_cmp_ne_u32_e32 vcc, 0, v10
	v_cmp_ne_u32_e64 s[0:1], 0, v3
	s_and_b64 s[0:1], vcc, s[0:1]
	s_nop 0
	v_cndmask_b32_e64 v3, 0, 1, s[0:1]
	v_add_u32_e32 v7, v7, v3
; %bb.1518:
	s_or_b64 exec, exec, s[6:7]
	s_mov_b64 s[0:1], 0
	s_mov_b64 s[6:7], -1
	global_store_byte v[8:9], v7, off
.LBB312_1519:
	s_mov_b64 s[18:19], 0
.LBB312_1520:
	s_and_b64 vcc, exec, s[18:19]
	s_cbranch_vccz .LBB312_1523
; %bb.1521:
	s_cmp_eq_u32 s9, 29
	s_mov_b64 s[0:1], -1
	s_cbranch_scc0 .LBB312_1523
; %bb.1522:
	v_bfe_i32 v10, v1, 0, 16
	v_ashrrev_i32_e32 v11, 31, v10
	global_store_dwordx2 v[8:9], v[10:11], off
	s_mov_b64 s[0:1], 0
	s_mov_b64 s[6:7], -1
.LBB312_1523:
	s_mov_b64 s[18:19], 0
.LBB312_1524:
	s_and_b64 vcc, exec, s[18:19]
	s_cbranch_vccz .LBB312_1540
; %bb.1525:
	s_cmp_lt_i32 s9, 27
	s_mov_b64 s[6:7], -1
	s_cbranch_scc1 .LBB312_1531
; %bb.1526:
	s_cmp_gt_i32 s9, 27
	s_cbranch_scc0 .LBB312_1528
; %bb.1527:
	v_bfe_i32 v3, v1, 0, 16
	s_mov_b64 s[6:7], 0
	global_store_dword v[8:9], v3, off
.LBB312_1528:
	s_andn2_b64 vcc, exec, s[6:7]
	s_cbranch_vccnz .LBB312_1530
; %bb.1529:
	global_store_short v[8:9], v1, off
.LBB312_1530:
	s_mov_b64 s[6:7], 0
.LBB312_1531:
	s_andn2_b64 vcc, exec, s[6:7]
	s_cbranch_vccnz .LBB312_1539
; %bb.1532:
	v_cvt_f32_i32_sdwa v3, sext(v1) dst_sel:DWORD dst_unused:UNUSED_PAD src0_sel:WORD_0
	s_mov_b32 s6, 0x43800000
	v_mov_b32_e32 v7, 0x80
	v_and_b32_e32 v5, 0x7fffffff, v3
	v_cmp_gt_u32_e32 vcc, s6, v5
	s_and_saveexec_b64 s[6:7], vcc
	s_cbranch_execz .LBB312_1538
; %bb.1533:
	s_mov_b32 s11, 0x3bffffff
	v_cmp_lt_u32_e32 vcc, s11, v5
	s_mov_b64 s[18:19], 0
                                        ; implicit-def: $vgpr5
	s_and_saveexec_b64 s[20:21], vcc
	s_xor_b64 s[20:21], exec, s[20:21]
	s_cbranch_execz .LBB312_1987
; %bb.1534:
	v_bfe_u32 v5, v3, 20, 1
	s_mov_b32 s11, 0x487ffff
	v_add3_u32 v5, v3, v5, s11
	s_mov_b64 s[18:19], exec
	v_lshrrev_b32_e32 v5, 20, v5
	s_andn2_saveexec_b64 s[20:21], s[20:21]
	s_cbranch_execnz .LBB312_1988
.LBB312_1535:
	s_or_b64 exec, exec, s[20:21]
	v_mov_b32_e32 v7, 0
	s_and_saveexec_b64 s[20:21], s[18:19]
.LBB312_1536:
	v_lshrrev_b32_e32 v3, 24, v3
	s_movk_i32 s11, 0x80
	v_and_or_b32 v7, v3, s11, v5
.LBB312_1537:
	s_or_b64 exec, exec, s[20:21]
.LBB312_1538:
	s_or_b64 exec, exec, s[6:7]
	global_store_byte v[8:9], v7, off
.LBB312_1539:
	s_mov_b64 s[6:7], -1
.LBB312_1540:
	s_mov_b64 s[18:19], 0
.LBB312_1541:
	s_and_b64 vcc, exec, s[18:19]
	s_cbranch_vccz .LBB312_1581
; %bb.1542:
	s_cmp_gt_i32 s9, 22
	s_mov_b64 s[2:3], -1
	s_cbranch_scc0 .LBB312_1574
; %bb.1543:
	s_cmp_lt_i32 s9, 24
	s_cbranch_scc1 .LBB312_1563
; %bb.1544:
	s_cmp_gt_i32 s9, 24
	s_cbranch_scc0 .LBB312_1552
; %bb.1545:
	v_cvt_f32_i32_sdwa v3, sext(v1) dst_sel:DWORD dst_unused:UNUSED_PAD src0_sel:WORD_0
	s_mov_b32 s2, 0x47800000
	v_mov_b32_e32 v7, 0x80
	v_and_b32_e32 v5, 0x7fffffff, v3
	v_cmp_gt_u32_e32 vcc, s2, v5
	s_and_saveexec_b64 s[2:3], vcc
	s_cbranch_execz .LBB312_1551
; %bb.1546:
	s_mov_b32 s6, 0x37ffffff
	v_cmp_lt_u32_e32 vcc, s6, v5
	s_mov_b64 s[6:7], 0
                                        ; implicit-def: $vgpr5
	s_and_saveexec_b64 s[18:19], vcc
	s_xor_b64 s[18:19], exec, s[18:19]
	s_cbranch_execz .LBB312_1990
; %bb.1547:
	v_bfe_u32 v5, v3, 21, 1
	s_mov_b32 s11, 0x88fffff
	v_add3_u32 v5, v3, v5, s11
	s_mov_b64 s[6:7], exec
	v_lshrrev_b32_e32 v5, 21, v5
	s_andn2_saveexec_b64 s[18:19], s[18:19]
	s_cbranch_execnz .LBB312_1991
.LBB312_1548:
	s_or_b64 exec, exec, s[18:19]
	v_mov_b32_e32 v7, 0
	s_and_saveexec_b64 s[18:19], s[6:7]
.LBB312_1549:
	v_lshrrev_b32_e32 v3, 24, v3
	s_movk_i32 s6, 0x80
	v_and_or_b32 v7, v3, s6, v5
.LBB312_1550:
	s_or_b64 exec, exec, s[18:19]
.LBB312_1551:
	s_or_b64 exec, exec, s[2:3]
	s_mov_b64 s[2:3], 0
	global_store_byte v[8:9], v7, off
.LBB312_1552:
	s_and_b64 vcc, exec, s[2:3]
	s_cbranch_vccz .LBB312_1562
; %bb.1553:
	v_cvt_f32_i32_sdwa v3, sext(v1) dst_sel:DWORD dst_unused:UNUSED_PAD src0_sel:WORD_0
	s_mov_b32 s2, 0x43f00000
                                        ; implicit-def: $vgpr5
	v_and_b32_e32 v7, 0x7fffffff, v3
	v_cmp_gt_u32_e32 vcc, s2, v7
	s_and_saveexec_b64 s[2:3], vcc
	s_xor_b64 s[2:3], exec, s[2:3]
	s_cbranch_execz .LBB312_1559
; %bb.1554:
	s_mov_b32 s6, 0x3c7fffff
	v_cmp_lt_u32_e32 vcc, s6, v7
                                        ; implicit-def: $vgpr5
	s_and_saveexec_b64 s[6:7], vcc
	s_xor_b64 s[6:7], exec, s[6:7]
; %bb.1555:
	v_bfe_u32 v5, v3, 20, 1
	s_mov_b32 s11, 0x407ffff
	v_add3_u32 v5, v3, v5, s11
	v_lshrrev_b32_e32 v7, 20, v5
	v_and_b32_e32 v5, 0xff00000, v5
	s_mov_b32 s11, 0x7f00000
	v_mov_b32_e32 v10, 0x7e
	v_cmp_ne_u32_e32 vcc, s11, v5
	s_nop 1
	v_cndmask_b32_e32 v5, v10, v7, vcc
; %bb.1556:
	s_andn2_saveexec_b64 s[6:7], s[6:7]
; %bb.1557:
	s_mov_b32 s11, 0x46800000
	v_add_f32_e64 v5, |v3|, s11
; %bb.1558:
	s_or_b64 exec, exec, s[6:7]
                                        ; implicit-def: $vgpr7
.LBB312_1559:
	s_andn2_saveexec_b64 s[2:3], s[2:3]
; %bb.1560:
	s_mov_b32 s6, 0x7f800000
	v_mov_b32_e32 v5, 0x7e
	v_mov_b32_e32 v10, 0x7f
	v_cmp_lt_u32_e32 vcc, s6, v7
	s_nop 1
	v_cndmask_b32_e32 v5, v5, v10, vcc
; %bb.1561:
	s_or_b64 exec, exec, s[2:3]
	v_lshrrev_b32_e32 v3, 24, v3
	s_movk_i32 s2, 0x80
	v_and_or_b32 v3, v3, s2, v5
	global_store_byte v[8:9], v3, off
.LBB312_1562:
	s_mov_b64 s[2:3], 0
.LBB312_1563:
	s_andn2_b64 vcc, exec, s[2:3]
	s_cbranch_vccnz .LBB312_1573
; %bb.1564:
	v_cvt_f32_i32_sdwa v3, sext(v1) dst_sel:DWORD dst_unused:UNUSED_PAD src0_sel:WORD_0
	s_mov_b32 s2, 0x47800000
                                        ; implicit-def: $vgpr5
	v_and_b32_e32 v7, 0x7fffffff, v3
	v_cmp_gt_u32_e32 vcc, s2, v7
	s_and_saveexec_b64 s[2:3], vcc
	s_xor_b64 s[2:3], exec, s[2:3]
	s_cbranch_execz .LBB312_1570
; %bb.1565:
	s_mov_b32 s6, 0x387fffff
	v_cmp_lt_u32_e32 vcc, s6, v7
                                        ; implicit-def: $vgpr5
	s_and_saveexec_b64 s[6:7], vcc
	s_xor_b64 s[6:7], exec, s[6:7]
; %bb.1566:
	v_bfe_u32 v5, v3, 21, 1
	s_mov_b32 s11, 0x80fffff
	v_add3_u32 v5, v3, v5, s11
	v_lshrrev_b32_e32 v5, 21, v5
; %bb.1567:
	s_andn2_saveexec_b64 s[6:7], s[6:7]
; %bb.1568:
	s_mov_b32 s11, 0x43000000
	v_add_f32_e64 v5, |v3|, s11
; %bb.1569:
	s_or_b64 exec, exec, s[6:7]
                                        ; implicit-def: $vgpr7
.LBB312_1570:
	s_andn2_saveexec_b64 s[2:3], s[2:3]
; %bb.1571:
	s_mov_b32 s6, 0x7f800000
	v_mov_b32_e32 v5, 0x7c
	v_mov_b32_e32 v10, 0x7f
	v_cmp_lt_u32_e32 vcc, s6, v7
	s_nop 1
	v_cndmask_b32_e32 v5, v5, v10, vcc
; %bb.1572:
	s_or_b64 exec, exec, s[2:3]
	v_lshrrev_b32_e32 v3, 24, v3
	s_movk_i32 s2, 0x80
	v_and_or_b32 v3, v3, s2, v5
	global_store_byte v[8:9], v3, off
.LBB312_1573:
	s_mov_b64 s[2:3], 0
	s_mov_b64 s[6:7], -1
.LBB312_1574:
	s_andn2_b64 vcc, exec, s[2:3]
	s_mov_b64 s[2:3], 0
	s_cbranch_vccnz .LBB312_1581
; %bb.1575:
	s_cmp_gt_i32 s9, 14
	s_mov_b64 s[18:19], -1
	s_cbranch_scc0 .LBB312_1579
; %bb.1576:
	s_cmp_eq_u32 s9, 15
	s_mov_b64 s[0:1], -1
	s_cbranch_scc0 .LBB312_1578
; %bb.1577:
	v_cvt_f32_i32_sdwa v3, sext(v1) dst_sel:DWORD dst_unused:UNUSED_PAD src0_sel:WORD_0
	s_movk_i32 s2, 0x7fff
	s_mov_b64 s[0:1], 0
	s_mov_b64 s[6:7], -1
	v_bfe_u32 v5, v3, 16, 1
	v_add3_u32 v3, v3, v5, s2
	global_store_short_d16_hi v[8:9], v3, off
.LBB312_1578:
	s_mov_b64 s[18:19], 0
.LBB312_1579:
	s_mov_b64 s[2:3], 0
	s_and_b64 vcc, exec, s[18:19]
	s_cbranch_vccz .LBB312_1581
; %bb.1580:
	s_cmp_lg_u32 s9, 11
	s_mov_b64 s[2:3], -1
	s_cselect_b64 s[0:1], -1, 0
.LBB312_1581:
	s_and_b64 vcc, exec, s[0:1]
	s_cbranch_vccnz .LBB312_1989
; %bb.1582:
	s_andn2_b64 vcc, exec, s[2:3]
	s_cbranch_vccnz .LBB312_1584
.LBB312_1583:
	v_cmp_ne_u16_e32 vcc, 0, v1
	s_mov_b64 s[6:7], -1
	s_nop 0
	v_cndmask_b32_e64 v3, 0, 1, vcc
	global_store_byte v[8:9], v3, off
.LBB312_1584:
	s_mov_b64 s[0:1], 0
	s_branch .LBB312_1586
.LBB312_1585:
	s_mov_b64 s[0:1], -1
	s_mov_b64 s[6:7], 0
.LBB312_1586:
	s_and_b64 vcc, exec, s[0:1]
	s_cbranch_vccz .LBB312_1625
; %bb.1587:
	s_and_b32 s2, 0xffff, s22
	s_cmp_lt_i32 s2, 5
	s_mov_b64 s[0:1], -1
	s_cbranch_scc1 .LBB312_1608
; %bb.1588:
	s_cmp_lt_i32 s2, 8
	s_cbranch_scc1 .LBB312_1598
; %bb.1589:
	s_cmp_lt_i32 s2, 9
	s_cbranch_scc1 .LBB312_1595
; %bb.1590:
	s_cmp_gt_i32 s2, 9
	s_cbranch_scc0 .LBB312_1592
; %bb.1591:
	v_bfe_i32 v3, v1, 0, 16
	v_mov_b32_e32 v12, 0
	v_cvt_f64_i32_e32 v[10:11], v3
	v_mov_b32_e32 v13, v12
	global_store_dwordx4 v[8:9], v[10:13], off
	s_mov_b64 s[0:1], 0
.LBB312_1592:
	s_andn2_b64 vcc, exec, s[0:1]
	s_cbranch_vccnz .LBB312_1594
; %bb.1593:
	v_cvt_f32_i32_sdwa v10, sext(v1) dst_sel:DWORD dst_unused:UNUSED_PAD src0_sel:WORD_0
	v_mov_b32_e32 v11, 0
	global_store_dwordx2 v[8:9], v[10:11], off
.LBB312_1594:
	s_mov_b64 s[0:1], 0
.LBB312_1595:
	s_andn2_b64 vcc, exec, s[0:1]
	s_cbranch_vccnz .LBB312_1597
; %bb.1596:
	v_cvt_f16_i16_e32 v3, v1
	global_store_dword v[8:9], v3, off
.LBB312_1597:
	s_mov_b64 s[0:1], 0
.LBB312_1598:
	s_andn2_b64 vcc, exec, s[0:1]
	s_cbranch_vccnz .LBB312_1607
; %bb.1599:
	s_cmp_lt_i32 s2, 6
	s_mov_b64 s[0:1], -1
	s_cbranch_scc1 .LBB312_1605
; %bb.1600:
	s_cmp_gt_i32 s2, 6
	s_cbranch_scc0 .LBB312_1602
; %bb.1601:
	v_bfe_i32 v3, v1, 0, 16
	v_cvt_f64_i32_e32 v[10:11], v3
	global_store_dwordx2 v[8:9], v[10:11], off
	s_mov_b64 s[0:1], 0
.LBB312_1602:
	s_andn2_b64 vcc, exec, s[0:1]
	s_cbranch_vccnz .LBB312_1604
; %bb.1603:
	v_cvt_f32_i32_sdwa v3, sext(v1) dst_sel:DWORD dst_unused:UNUSED_PAD src0_sel:WORD_0
	global_store_dword v[8:9], v3, off
.LBB312_1604:
	s_mov_b64 s[0:1], 0
.LBB312_1605:
	s_andn2_b64 vcc, exec, s[0:1]
	s_cbranch_vccnz .LBB312_1607
; %bb.1606:
	v_cvt_f16_i16_e32 v3, v1
	global_store_short v[8:9], v3, off
.LBB312_1607:
	s_mov_b64 s[0:1], 0
.LBB312_1608:
	s_andn2_b64 vcc, exec, s[0:1]
	s_cbranch_vccnz .LBB312_1624
; %bb.1609:
	s_cmp_lt_i32 s2, 2
	s_mov_b64 s[0:1], -1
	s_cbranch_scc1 .LBB312_1619
; %bb.1610:
	s_cmp_lt_i32 s2, 3
	s_cbranch_scc1 .LBB312_1616
; %bb.1611:
	s_cmp_gt_i32 s2, 3
	v_bfe_i32 v10, v1, 0, 16
	s_cbranch_scc0 .LBB312_1613
; %bb.1612:
	v_ashrrev_i32_e32 v11, 31, v10
	global_store_dwordx2 v[8:9], v[10:11], off
	s_mov_b64 s[0:1], 0
.LBB312_1613:
	s_andn2_b64 vcc, exec, s[0:1]
	s_cbranch_vccnz .LBB312_1615
; %bb.1614:
	global_store_dword v[8:9], v10, off
.LBB312_1615:
	s_mov_b64 s[0:1], 0
.LBB312_1616:
	s_andn2_b64 vcc, exec, s[0:1]
	s_cbranch_vccnz .LBB312_1618
; %bb.1617:
	global_store_short v[8:9], v1, off
.LBB312_1618:
	s_mov_b64 s[0:1], 0
.LBB312_1619:
	s_andn2_b64 vcc, exec, s[0:1]
	s_cbranch_vccnz .LBB312_1624
; %bb.1620:
	s_cmp_gt_i32 s2, 0
	s_mov_b64 s[0:1], -1
	s_cbranch_scc0 .LBB312_1622
; %bb.1621:
	global_store_byte v[8:9], v1, off
	s_mov_b64 s[0:1], 0
.LBB312_1622:
	s_andn2_b64 vcc, exec, s[0:1]
	s_cbranch_vccnz .LBB312_1624
; %bb.1623:
	global_store_byte v[8:9], v1, off
.LBB312_1624:
	s_mov_b64 s[6:7], -1
.LBB312_1625:
	s_andn2_b64 vcc, exec, s[6:7]
	s_cbranch_vccnz .LBB312_1940
; %bb.1626:
	s_lshl_b32 s11, s8, 7
	v_max_i16_e32 v1, s10, v4
	v_add_u32_e32 v4, s11, v6
	v_ashrrev_i32_e32 v5, 31, v4
	v_min_i16_e32 v1, s33, v1
	s_cmp_lt_i32 s22, 11
	v_lshl_add_u64 v[6:7], s[4:5], 0, v[4:5]
	s_cbranch_scc1 .LBB312_1704
; %bb.1627:
	s_and_b32 s20, 0xffff, s22
	s_mov_b64 s[8:9], -1
	s_mov_b64 s[2:3], 0
	s_cmp_gt_i32 s20, 25
	s_mov_b64 s[6:7], 0
	s_mov_b64 s[0:1], 0
	s_cbranch_scc0 .LBB312_1660
; %bb.1628:
	s_cmp_gt_i32 s20, 28
	s_cbranch_scc0 .LBB312_1643
; %bb.1629:
	s_cmp_gt_i32 s20, 43
	;; [unrolled: 3-line block ×3, first 2 shown]
	s_cbranch_scc0 .LBB312_1633
; %bb.1631:
	s_mov_b64 s[0:1], -1
	s_mov_b64 s[8:9], 0
	s_cmp_eq_u32 s20, 46
	s_cbranch_scc0 .LBB312_1633
; %bb.1632:
	v_cvt_f32_i32_sdwa v3, sext(v1) dst_sel:DWORD dst_unused:UNUSED_PAD src0_sel:WORD_0
	s_movk_i32 s6, 0x7fff
	s_mov_b64 s[0:1], 0
	v_bfe_u32 v5, v3, 16, 1
	v_add3_u32 v3, v3, v5, s6
	v_lshrrev_b32_e32 v3, 16, v3
	global_store_dword v[6:7], v3, off
	s_mov_b64 s[6:7], -1
.LBB312_1633:
	s_and_b64 vcc, exec, s[8:9]
	s_cbranch_vccz .LBB312_1638
; %bb.1634:
	s_cmp_eq_u32 s20, 44
	s_mov_b64 s[0:1], -1
	s_cbranch_scc0 .LBB312_1638
; %bb.1635:
	v_cvt_f32_i32_sdwa v3, sext(v1) dst_sel:DWORD dst_unused:UNUSED_PAD src0_sel:WORD_0
	s_movk_i32 s0, 0xff
	v_mov_b32_e32 v8, 0xff
	v_bfe_u32 v5, v3, 23, 8
	v_cmp_ne_u32_e32 vcc, s0, v5
	s_and_saveexec_b64 s[6:7], vcc
; %bb.1636:
	s_mov_b32 s0, 0x3fffff
	v_lshrrev_b32_e32 v8, 23, v3
	v_and_b32_e32 v9, 0x400000, v3
	v_and_or_b32 v3, v3, s0, v5
	v_cmp_ne_u32_e32 vcc, 0, v9
	v_cmp_ne_u32_e64 s[0:1], 0, v3
	s_and_b64 s[0:1], vcc, s[0:1]
	s_nop 0
	v_cndmask_b32_e64 v3, 0, 1, s[0:1]
	v_add_u32_e32 v8, v8, v3
; %bb.1637:
	s_or_b64 exec, exec, s[6:7]
	s_mov_b64 s[0:1], 0
	s_mov_b64 s[6:7], -1
	global_store_byte v[6:7], v8, off
.LBB312_1638:
	s_mov_b64 s[8:9], 0
.LBB312_1639:
	s_and_b64 vcc, exec, s[8:9]
	s_cbranch_vccz .LBB312_1642
; %bb.1640:
	s_cmp_eq_u32 s20, 29
	s_mov_b64 s[0:1], -1
	s_cbranch_scc0 .LBB312_1642
; %bb.1641:
	v_bfe_i32 v8, v1, 0, 16
	v_ashrrev_i32_e32 v9, 31, v8
	global_store_dwordx2 v[6:7], v[8:9], off
	s_mov_b64 s[0:1], 0
	s_mov_b64 s[6:7], -1
.LBB312_1642:
	s_mov_b64 s[8:9], 0
.LBB312_1643:
	s_and_b64 vcc, exec, s[8:9]
	s_cbranch_vccz .LBB312_1659
; %bb.1644:
	s_cmp_lt_i32 s20, 27
	s_mov_b64 s[6:7], -1
	s_cbranch_scc1 .LBB312_1650
; %bb.1645:
	s_cmp_gt_i32 s20, 27
	s_cbranch_scc0 .LBB312_1647
; %bb.1646:
	v_bfe_i32 v3, v1, 0, 16
	s_mov_b64 s[6:7], 0
	global_store_dword v[6:7], v3, off
.LBB312_1647:
	s_andn2_b64 vcc, exec, s[6:7]
	s_cbranch_vccnz .LBB312_1649
; %bb.1648:
	global_store_short v[6:7], v1, off
.LBB312_1649:
	s_mov_b64 s[6:7], 0
.LBB312_1650:
	s_andn2_b64 vcc, exec, s[6:7]
	s_cbranch_vccnz .LBB312_1658
; %bb.1651:
	v_cvt_f32_i32_sdwa v3, sext(v1) dst_sel:DWORD dst_unused:UNUSED_PAD src0_sel:WORD_0
	s_mov_b32 s6, 0x43800000
	v_mov_b32_e32 v8, 0x80
	v_and_b32_e32 v5, 0x7fffffff, v3
	v_cmp_gt_u32_e32 vcc, s6, v5
	s_and_saveexec_b64 s[6:7], vcc
	s_cbranch_execz .LBB312_1657
; %bb.1652:
	s_mov_b32 s8, 0x3bffffff
	v_cmp_lt_u32_e32 vcc, s8, v5
	s_mov_b64 s[8:9], 0
                                        ; implicit-def: $vgpr5
	s_and_saveexec_b64 s[18:19], vcc
	s_xor_b64 s[18:19], exec, s[18:19]
	s_cbranch_execz .LBB312_1992
; %bb.1653:
	v_bfe_u32 v5, v3, 20, 1
	s_mov_b32 s21, 0x487ffff
	v_add3_u32 v5, v3, v5, s21
	s_mov_b64 s[8:9], exec
	v_lshrrev_b32_e32 v5, 20, v5
	s_andn2_saveexec_b64 s[18:19], s[18:19]
	s_cbranch_execnz .LBB312_1993
.LBB312_1654:
	s_or_b64 exec, exec, s[18:19]
	v_mov_b32_e32 v8, 0
	s_and_saveexec_b64 s[18:19], s[8:9]
.LBB312_1655:
	v_lshrrev_b32_e32 v3, 24, v3
	s_movk_i32 s8, 0x80
	v_and_or_b32 v8, v3, s8, v5
.LBB312_1656:
	s_or_b64 exec, exec, s[18:19]
.LBB312_1657:
	s_or_b64 exec, exec, s[6:7]
	global_store_byte v[6:7], v8, off
.LBB312_1658:
	s_mov_b64 s[6:7], -1
.LBB312_1659:
	s_mov_b64 s[8:9], 0
.LBB312_1660:
	s_and_b64 vcc, exec, s[8:9]
	s_cbranch_vccz .LBB312_1700
; %bb.1661:
	s_cmp_gt_i32 s20, 22
	s_mov_b64 s[2:3], -1
	s_cbranch_scc0 .LBB312_1693
; %bb.1662:
	s_cmp_lt_i32 s20, 24
	s_cbranch_scc1 .LBB312_1682
; %bb.1663:
	s_cmp_gt_i32 s20, 24
	s_cbranch_scc0 .LBB312_1671
; %bb.1664:
	v_cvt_f32_i32_sdwa v3, sext(v1) dst_sel:DWORD dst_unused:UNUSED_PAD src0_sel:WORD_0
	s_mov_b32 s2, 0x47800000
	v_mov_b32_e32 v8, 0x80
	v_and_b32_e32 v5, 0x7fffffff, v3
	v_cmp_gt_u32_e32 vcc, s2, v5
	s_and_saveexec_b64 s[2:3], vcc
	s_cbranch_execz .LBB312_1670
; %bb.1665:
	s_mov_b32 s6, 0x37ffffff
	v_cmp_lt_u32_e32 vcc, s6, v5
	s_mov_b64 s[6:7], 0
                                        ; implicit-def: $vgpr5
	s_and_saveexec_b64 s[8:9], vcc
	s_xor_b64 s[8:9], exec, s[8:9]
	s_cbranch_execz .LBB312_1995
; %bb.1666:
	v_bfe_u32 v5, v3, 21, 1
	s_mov_b32 s18, 0x88fffff
	v_add3_u32 v5, v3, v5, s18
	s_mov_b64 s[6:7], exec
	v_lshrrev_b32_e32 v5, 21, v5
	s_andn2_saveexec_b64 s[8:9], s[8:9]
	s_cbranch_execnz .LBB312_1996
.LBB312_1667:
	s_or_b64 exec, exec, s[8:9]
	v_mov_b32_e32 v8, 0
	s_and_saveexec_b64 s[8:9], s[6:7]
.LBB312_1668:
	v_lshrrev_b32_e32 v3, 24, v3
	s_movk_i32 s6, 0x80
	v_and_or_b32 v8, v3, s6, v5
.LBB312_1669:
	s_or_b64 exec, exec, s[8:9]
.LBB312_1670:
	s_or_b64 exec, exec, s[2:3]
	s_mov_b64 s[2:3], 0
	global_store_byte v[6:7], v8, off
.LBB312_1671:
	s_and_b64 vcc, exec, s[2:3]
	s_cbranch_vccz .LBB312_1681
; %bb.1672:
	v_cvt_f32_i32_sdwa v3, sext(v1) dst_sel:DWORD dst_unused:UNUSED_PAD src0_sel:WORD_0
	s_mov_b32 s2, 0x43f00000
                                        ; implicit-def: $vgpr5
	v_and_b32_e32 v8, 0x7fffffff, v3
	v_cmp_gt_u32_e32 vcc, s2, v8
	s_and_saveexec_b64 s[2:3], vcc
	s_xor_b64 s[2:3], exec, s[2:3]
	s_cbranch_execz .LBB312_1678
; %bb.1673:
	s_mov_b32 s6, 0x3c7fffff
	v_cmp_lt_u32_e32 vcc, s6, v8
                                        ; implicit-def: $vgpr5
	s_and_saveexec_b64 s[6:7], vcc
	s_xor_b64 s[6:7], exec, s[6:7]
; %bb.1674:
	v_bfe_u32 v5, v3, 20, 1
	s_mov_b32 s8, 0x407ffff
	v_add3_u32 v5, v3, v5, s8
	v_lshrrev_b32_e32 v8, 20, v5
	v_and_b32_e32 v5, 0xff00000, v5
	s_mov_b32 s8, 0x7f00000
	v_mov_b32_e32 v9, 0x7e
	v_cmp_ne_u32_e32 vcc, s8, v5
	s_nop 1
	v_cndmask_b32_e32 v5, v9, v8, vcc
; %bb.1675:
	s_andn2_saveexec_b64 s[6:7], s[6:7]
; %bb.1676:
	s_mov_b32 s8, 0x46800000
	v_add_f32_e64 v5, |v3|, s8
; %bb.1677:
	s_or_b64 exec, exec, s[6:7]
                                        ; implicit-def: $vgpr8
.LBB312_1678:
	s_andn2_saveexec_b64 s[2:3], s[2:3]
; %bb.1679:
	s_mov_b32 s6, 0x7f800000
	v_mov_b32_e32 v5, 0x7e
	v_mov_b32_e32 v9, 0x7f
	v_cmp_lt_u32_e32 vcc, s6, v8
	s_nop 1
	v_cndmask_b32_e32 v5, v5, v9, vcc
; %bb.1680:
	s_or_b64 exec, exec, s[2:3]
	v_lshrrev_b32_e32 v3, 24, v3
	s_movk_i32 s2, 0x80
	v_and_or_b32 v3, v3, s2, v5
	global_store_byte v[6:7], v3, off
.LBB312_1681:
	s_mov_b64 s[2:3], 0
.LBB312_1682:
	s_andn2_b64 vcc, exec, s[2:3]
	s_cbranch_vccnz .LBB312_1692
; %bb.1683:
	v_cvt_f32_i32_sdwa v3, sext(v1) dst_sel:DWORD dst_unused:UNUSED_PAD src0_sel:WORD_0
	s_mov_b32 s2, 0x47800000
                                        ; implicit-def: $vgpr5
	v_and_b32_e32 v8, 0x7fffffff, v3
	v_cmp_gt_u32_e32 vcc, s2, v8
	s_and_saveexec_b64 s[2:3], vcc
	s_xor_b64 s[2:3], exec, s[2:3]
	s_cbranch_execz .LBB312_1689
; %bb.1684:
	s_mov_b32 s6, 0x387fffff
	v_cmp_lt_u32_e32 vcc, s6, v8
                                        ; implicit-def: $vgpr5
	s_and_saveexec_b64 s[6:7], vcc
	s_xor_b64 s[6:7], exec, s[6:7]
; %bb.1685:
	v_bfe_u32 v5, v3, 21, 1
	s_mov_b32 s8, 0x80fffff
	v_add3_u32 v5, v3, v5, s8
	v_lshrrev_b32_e32 v5, 21, v5
; %bb.1686:
	s_andn2_saveexec_b64 s[6:7], s[6:7]
; %bb.1687:
	s_mov_b32 s8, 0x43000000
	v_add_f32_e64 v5, |v3|, s8
; %bb.1688:
	s_or_b64 exec, exec, s[6:7]
                                        ; implicit-def: $vgpr8
.LBB312_1689:
	s_andn2_saveexec_b64 s[2:3], s[2:3]
; %bb.1690:
	s_mov_b32 s6, 0x7f800000
	v_mov_b32_e32 v5, 0x7c
	v_mov_b32_e32 v9, 0x7f
	v_cmp_lt_u32_e32 vcc, s6, v8
	s_nop 1
	v_cndmask_b32_e32 v5, v5, v9, vcc
; %bb.1691:
	s_or_b64 exec, exec, s[2:3]
	v_lshrrev_b32_e32 v3, 24, v3
	s_movk_i32 s2, 0x80
	v_and_or_b32 v3, v3, s2, v5
	global_store_byte v[6:7], v3, off
.LBB312_1692:
	s_mov_b64 s[2:3], 0
	s_mov_b64 s[6:7], -1
.LBB312_1693:
	s_andn2_b64 vcc, exec, s[2:3]
	s_mov_b64 s[2:3], 0
	s_cbranch_vccnz .LBB312_1700
; %bb.1694:
	s_cmp_gt_i32 s20, 14
	s_mov_b64 s[8:9], -1
	s_cbranch_scc0 .LBB312_1698
; %bb.1695:
	s_cmp_eq_u32 s20, 15
	s_mov_b64 s[0:1], -1
	s_cbranch_scc0 .LBB312_1697
; %bb.1696:
	v_cvt_f32_i32_sdwa v3, sext(v1) dst_sel:DWORD dst_unused:UNUSED_PAD src0_sel:WORD_0
	s_movk_i32 s2, 0x7fff
	s_mov_b64 s[0:1], 0
	s_mov_b64 s[6:7], -1
	v_bfe_u32 v5, v3, 16, 1
	v_add3_u32 v3, v3, v5, s2
	global_store_short_d16_hi v[6:7], v3, off
.LBB312_1697:
	s_mov_b64 s[8:9], 0
.LBB312_1698:
	s_mov_b64 s[2:3], 0
	s_and_b64 vcc, exec, s[8:9]
	s_cbranch_vccz .LBB312_1700
; %bb.1699:
	s_cmp_lg_u32 s20, 11
	s_mov_b64 s[2:3], -1
	s_cselect_b64 s[0:1], -1, 0
.LBB312_1700:
	s_and_b64 vcc, exec, s[0:1]
	s_cbranch_vccnz .LBB312_1994
; %bb.1701:
	s_andn2_b64 vcc, exec, s[2:3]
	s_cbranch_vccnz .LBB312_1703
.LBB312_1702:
	v_cmp_ne_u16_e32 vcc, 0, v1
	s_mov_b64 s[6:7], -1
	s_nop 0
	v_cndmask_b32_e64 v3, 0, 1, vcc
	global_store_byte v[6:7], v3, off
.LBB312_1703:
	s_mov_b64 s[0:1], 0
	s_branch .LBB312_1705
.LBB312_1704:
	s_mov_b64 s[0:1], -1
	s_mov_b64 s[6:7], 0
.LBB312_1705:
	s_and_b64 vcc, exec, s[0:1]
	s_cbranch_vccz .LBB312_1744
; %bb.1706:
	s_and_b32 s2, 0xffff, s22
	s_cmp_lt_i32 s2, 5
	s_mov_b64 s[0:1], -1
	s_cbranch_scc1 .LBB312_1727
; %bb.1707:
	s_cmp_lt_i32 s2, 8
	s_cbranch_scc1 .LBB312_1717
; %bb.1708:
	s_cmp_lt_i32 s2, 9
	s_cbranch_scc1 .LBB312_1714
; %bb.1709:
	s_cmp_gt_i32 s2, 9
	s_cbranch_scc0 .LBB312_1711
; %bb.1710:
	v_bfe_i32 v3, v1, 0, 16
	v_mov_b32_e32 v10, 0
	v_cvt_f64_i32_e32 v[8:9], v3
	v_mov_b32_e32 v11, v10
	global_store_dwordx4 v[6:7], v[8:11], off
	s_mov_b64 s[0:1], 0
.LBB312_1711:
	s_andn2_b64 vcc, exec, s[0:1]
	s_cbranch_vccnz .LBB312_1713
; %bb.1712:
	v_cvt_f32_i32_sdwa v8, sext(v1) dst_sel:DWORD dst_unused:UNUSED_PAD src0_sel:WORD_0
	v_mov_b32_e32 v9, 0
	global_store_dwordx2 v[6:7], v[8:9], off
.LBB312_1713:
	s_mov_b64 s[0:1], 0
.LBB312_1714:
	s_andn2_b64 vcc, exec, s[0:1]
	s_cbranch_vccnz .LBB312_1716
; %bb.1715:
	v_cvt_f16_i16_e32 v3, v1
	global_store_dword v[6:7], v3, off
.LBB312_1716:
	s_mov_b64 s[0:1], 0
.LBB312_1717:
	s_andn2_b64 vcc, exec, s[0:1]
	s_cbranch_vccnz .LBB312_1726
; %bb.1718:
	s_cmp_lt_i32 s2, 6
	s_mov_b64 s[0:1], -1
	s_cbranch_scc1 .LBB312_1724
; %bb.1719:
	s_cmp_gt_i32 s2, 6
	s_cbranch_scc0 .LBB312_1721
; %bb.1720:
	v_bfe_i32 v3, v1, 0, 16
	v_cvt_f64_i32_e32 v[8:9], v3
	global_store_dwordx2 v[6:7], v[8:9], off
	s_mov_b64 s[0:1], 0
.LBB312_1721:
	s_andn2_b64 vcc, exec, s[0:1]
	s_cbranch_vccnz .LBB312_1723
; %bb.1722:
	v_cvt_f32_i32_sdwa v3, sext(v1) dst_sel:DWORD dst_unused:UNUSED_PAD src0_sel:WORD_0
	global_store_dword v[6:7], v3, off
.LBB312_1723:
	s_mov_b64 s[0:1], 0
.LBB312_1724:
	s_andn2_b64 vcc, exec, s[0:1]
	s_cbranch_vccnz .LBB312_1726
; %bb.1725:
	v_cvt_f16_i16_e32 v3, v1
	global_store_short v[6:7], v3, off
.LBB312_1726:
	s_mov_b64 s[0:1], 0
.LBB312_1727:
	s_andn2_b64 vcc, exec, s[0:1]
	s_cbranch_vccnz .LBB312_1743
; %bb.1728:
	s_cmp_lt_i32 s2, 2
	s_mov_b64 s[0:1], -1
	s_cbranch_scc1 .LBB312_1738
; %bb.1729:
	s_cmp_lt_i32 s2, 3
	s_cbranch_scc1 .LBB312_1735
; %bb.1730:
	s_cmp_gt_i32 s2, 3
	v_bfe_i32 v8, v1, 0, 16
	s_cbranch_scc0 .LBB312_1732
; %bb.1731:
	v_ashrrev_i32_e32 v9, 31, v8
	global_store_dwordx2 v[6:7], v[8:9], off
	s_mov_b64 s[0:1], 0
.LBB312_1732:
	s_andn2_b64 vcc, exec, s[0:1]
	s_cbranch_vccnz .LBB312_1734
; %bb.1733:
	global_store_dword v[6:7], v8, off
.LBB312_1734:
	s_mov_b64 s[0:1], 0
.LBB312_1735:
	s_andn2_b64 vcc, exec, s[0:1]
	s_cbranch_vccnz .LBB312_1737
; %bb.1736:
	global_store_short v[6:7], v1, off
.LBB312_1737:
	s_mov_b64 s[0:1], 0
.LBB312_1738:
	s_andn2_b64 vcc, exec, s[0:1]
	s_cbranch_vccnz .LBB312_1743
; %bb.1739:
	s_cmp_gt_i32 s2, 0
	s_mov_b64 s[0:1], -1
	s_cbranch_scc0 .LBB312_1741
; %bb.1740:
	global_store_byte v[6:7], v1, off
	s_mov_b64 s[0:1], 0
.LBB312_1741:
	s_andn2_b64 vcc, exec, s[0:1]
	s_cbranch_vccnz .LBB312_1743
; %bb.1742:
	global_store_byte v[6:7], v1, off
.LBB312_1743:
	s_mov_b64 s[6:7], -1
.LBB312_1744:
	s_andn2_b64 vcc, exec, s[6:7]
	s_cbranch_vccnz .LBB312_1940
; %bb.1745:
	v_max_i16_e32 v1, s10, v2
	v_add_u32_e32 v2, s11, v4
	v_ashrrev_i32_e32 v3, 31, v2
	v_min_i16_e32 v1, s33, v1
	s_cmp_lt_i32 s22, 11
	v_lshl_add_u64 v[4:5], s[4:5], 0, v[2:3]
	s_cbranch_scc1 .LBB312_1823
; %bb.1746:
	s_and_b32 s20, 0xffff, s22
	s_mov_b64 s[8:9], -1
	s_mov_b64 s[2:3], 0
	s_cmp_gt_i32 s20, 25
	s_mov_b64 s[6:7], 0
	s_mov_b64 s[0:1], 0
	s_cbranch_scc0 .LBB312_1779
; %bb.1747:
	s_cmp_gt_i32 s20, 28
	s_cbranch_scc0 .LBB312_1762
; %bb.1748:
	s_cmp_gt_i32 s20, 43
	;; [unrolled: 3-line block ×3, first 2 shown]
	s_cbranch_scc0 .LBB312_1752
; %bb.1750:
	s_mov_b64 s[0:1], -1
	s_mov_b64 s[8:9], 0
	s_cmp_eq_u32 s20, 46
	s_cbranch_scc0 .LBB312_1752
; %bb.1751:
	v_cvt_f32_i32_sdwa v3, sext(v1) dst_sel:DWORD dst_unused:UNUSED_PAD src0_sel:WORD_0
	s_movk_i32 s6, 0x7fff
	s_mov_b64 s[0:1], 0
	v_bfe_u32 v6, v3, 16, 1
	v_add3_u32 v3, v3, v6, s6
	v_lshrrev_b32_e32 v3, 16, v3
	global_store_dword v[4:5], v3, off
	s_mov_b64 s[6:7], -1
.LBB312_1752:
	s_and_b64 vcc, exec, s[8:9]
	s_cbranch_vccz .LBB312_1757
; %bb.1753:
	s_cmp_eq_u32 s20, 44
	s_mov_b64 s[0:1], -1
	s_cbranch_scc0 .LBB312_1757
; %bb.1754:
	v_cvt_f32_i32_sdwa v3, sext(v1) dst_sel:DWORD dst_unused:UNUSED_PAD src0_sel:WORD_0
	s_movk_i32 s0, 0xff
	v_mov_b32_e32 v7, 0xff
	v_bfe_u32 v6, v3, 23, 8
	v_cmp_ne_u32_e32 vcc, s0, v6
	s_and_saveexec_b64 s[6:7], vcc
; %bb.1755:
	s_mov_b32 s0, 0x3fffff
	v_lshrrev_b32_e32 v7, 23, v3
	v_and_b32_e32 v8, 0x400000, v3
	v_and_or_b32 v3, v3, s0, v6
	v_cmp_ne_u32_e32 vcc, 0, v8
	v_cmp_ne_u32_e64 s[0:1], 0, v3
	s_and_b64 s[0:1], vcc, s[0:1]
	s_nop 0
	v_cndmask_b32_e64 v3, 0, 1, s[0:1]
	v_add_u32_e32 v7, v7, v3
; %bb.1756:
	s_or_b64 exec, exec, s[6:7]
	s_mov_b64 s[0:1], 0
	s_mov_b64 s[6:7], -1
	global_store_byte v[4:5], v7, off
.LBB312_1757:
	s_mov_b64 s[8:9], 0
.LBB312_1758:
	s_and_b64 vcc, exec, s[8:9]
	s_cbranch_vccz .LBB312_1761
; %bb.1759:
	s_cmp_eq_u32 s20, 29
	s_mov_b64 s[0:1], -1
	s_cbranch_scc0 .LBB312_1761
; %bb.1760:
	v_bfe_i32 v6, v1, 0, 16
	v_ashrrev_i32_e32 v7, 31, v6
	global_store_dwordx2 v[4:5], v[6:7], off
	s_mov_b64 s[0:1], 0
	s_mov_b64 s[6:7], -1
.LBB312_1761:
	s_mov_b64 s[8:9], 0
.LBB312_1762:
	s_and_b64 vcc, exec, s[8:9]
	s_cbranch_vccz .LBB312_1778
; %bb.1763:
	s_cmp_lt_i32 s20, 27
	s_mov_b64 s[6:7], -1
	s_cbranch_scc1 .LBB312_1769
; %bb.1764:
	s_cmp_gt_i32 s20, 27
	s_cbranch_scc0 .LBB312_1766
; %bb.1765:
	v_bfe_i32 v3, v1, 0, 16
	s_mov_b64 s[6:7], 0
	global_store_dword v[4:5], v3, off
.LBB312_1766:
	s_andn2_b64 vcc, exec, s[6:7]
	s_cbranch_vccnz .LBB312_1768
; %bb.1767:
	global_store_short v[4:5], v1, off
.LBB312_1768:
	s_mov_b64 s[6:7], 0
.LBB312_1769:
	s_andn2_b64 vcc, exec, s[6:7]
	s_cbranch_vccnz .LBB312_1777
; %bb.1770:
	v_cvt_f32_i32_sdwa v3, sext(v1) dst_sel:DWORD dst_unused:UNUSED_PAD src0_sel:WORD_0
	s_mov_b32 s6, 0x43800000
	v_mov_b32_e32 v7, 0x80
	v_and_b32_e32 v6, 0x7fffffff, v3
	v_cmp_gt_u32_e32 vcc, s6, v6
	s_and_saveexec_b64 s[6:7], vcc
	s_cbranch_execz .LBB312_1776
; %bb.1771:
	s_mov_b32 s8, 0x3bffffff
	v_cmp_lt_u32_e32 vcc, s8, v6
	s_mov_b64 s[8:9], 0
                                        ; implicit-def: $vgpr6
	s_and_saveexec_b64 s[18:19], vcc
	s_xor_b64 s[18:19], exec, s[18:19]
	s_cbranch_execz .LBB312_1997
; %bb.1772:
	v_bfe_u32 v6, v3, 20, 1
	s_mov_b32 s21, 0x487ffff
	v_add3_u32 v6, v3, v6, s21
	s_mov_b64 s[8:9], exec
	v_lshrrev_b32_e32 v6, 20, v6
	s_andn2_saveexec_b64 s[18:19], s[18:19]
	s_cbranch_execnz .LBB312_1998
.LBB312_1773:
	s_or_b64 exec, exec, s[18:19]
	v_mov_b32_e32 v7, 0
	s_and_saveexec_b64 s[18:19], s[8:9]
.LBB312_1774:
	v_lshrrev_b32_e32 v3, 24, v3
	s_movk_i32 s8, 0x80
	v_and_or_b32 v7, v3, s8, v6
.LBB312_1775:
	s_or_b64 exec, exec, s[18:19]
.LBB312_1776:
	s_or_b64 exec, exec, s[6:7]
	global_store_byte v[4:5], v7, off
.LBB312_1777:
	s_mov_b64 s[6:7], -1
.LBB312_1778:
	s_mov_b64 s[8:9], 0
.LBB312_1779:
	s_and_b64 vcc, exec, s[8:9]
	s_cbranch_vccz .LBB312_1819
; %bb.1780:
	s_cmp_gt_i32 s20, 22
	s_mov_b64 s[2:3], -1
	s_cbranch_scc0 .LBB312_1812
; %bb.1781:
	s_cmp_lt_i32 s20, 24
	s_cbranch_scc1 .LBB312_1801
; %bb.1782:
	s_cmp_gt_i32 s20, 24
	s_cbranch_scc0 .LBB312_1790
; %bb.1783:
	v_cvt_f32_i32_sdwa v3, sext(v1) dst_sel:DWORD dst_unused:UNUSED_PAD src0_sel:WORD_0
	s_mov_b32 s2, 0x47800000
	v_mov_b32_e32 v7, 0x80
	v_and_b32_e32 v6, 0x7fffffff, v3
	v_cmp_gt_u32_e32 vcc, s2, v6
	s_and_saveexec_b64 s[2:3], vcc
	s_cbranch_execz .LBB312_1789
; %bb.1784:
	s_mov_b32 s6, 0x37ffffff
	v_cmp_lt_u32_e32 vcc, s6, v6
	s_mov_b64 s[6:7], 0
                                        ; implicit-def: $vgpr6
	s_and_saveexec_b64 s[8:9], vcc
	s_xor_b64 s[8:9], exec, s[8:9]
	s_cbranch_execz .LBB312_2000
; %bb.1785:
	v_bfe_u32 v6, v3, 21, 1
	s_mov_b32 s18, 0x88fffff
	v_add3_u32 v6, v3, v6, s18
	s_mov_b64 s[6:7], exec
	v_lshrrev_b32_e32 v6, 21, v6
	s_andn2_saveexec_b64 s[8:9], s[8:9]
	s_cbranch_execnz .LBB312_2001
.LBB312_1786:
	s_or_b64 exec, exec, s[8:9]
	v_mov_b32_e32 v7, 0
	s_and_saveexec_b64 s[8:9], s[6:7]
.LBB312_1787:
	v_lshrrev_b32_e32 v3, 24, v3
	s_movk_i32 s6, 0x80
	v_and_or_b32 v7, v3, s6, v6
.LBB312_1788:
	s_or_b64 exec, exec, s[8:9]
.LBB312_1789:
	s_or_b64 exec, exec, s[2:3]
	s_mov_b64 s[2:3], 0
	global_store_byte v[4:5], v7, off
.LBB312_1790:
	s_and_b64 vcc, exec, s[2:3]
	s_cbranch_vccz .LBB312_1800
; %bb.1791:
	v_cvt_f32_i32_sdwa v3, sext(v1) dst_sel:DWORD dst_unused:UNUSED_PAD src0_sel:WORD_0
	s_mov_b32 s2, 0x43f00000
                                        ; implicit-def: $vgpr6
	v_and_b32_e32 v7, 0x7fffffff, v3
	v_cmp_gt_u32_e32 vcc, s2, v7
	s_and_saveexec_b64 s[2:3], vcc
	s_xor_b64 s[2:3], exec, s[2:3]
	s_cbranch_execz .LBB312_1797
; %bb.1792:
	s_mov_b32 s6, 0x3c7fffff
	v_cmp_lt_u32_e32 vcc, s6, v7
                                        ; implicit-def: $vgpr6
	s_and_saveexec_b64 s[6:7], vcc
	s_xor_b64 s[6:7], exec, s[6:7]
; %bb.1793:
	v_bfe_u32 v6, v3, 20, 1
	s_mov_b32 s8, 0x407ffff
	v_add3_u32 v6, v3, v6, s8
	v_lshrrev_b32_e32 v7, 20, v6
	v_and_b32_e32 v6, 0xff00000, v6
	s_mov_b32 s8, 0x7f00000
	v_mov_b32_e32 v8, 0x7e
	v_cmp_ne_u32_e32 vcc, s8, v6
	s_nop 1
	v_cndmask_b32_e32 v6, v8, v7, vcc
; %bb.1794:
	s_andn2_saveexec_b64 s[6:7], s[6:7]
; %bb.1795:
	s_mov_b32 s8, 0x46800000
	v_add_f32_e64 v6, |v3|, s8
; %bb.1796:
	s_or_b64 exec, exec, s[6:7]
                                        ; implicit-def: $vgpr7
.LBB312_1797:
	s_andn2_saveexec_b64 s[2:3], s[2:3]
; %bb.1798:
	s_mov_b32 s6, 0x7f800000
	v_mov_b32_e32 v6, 0x7e
	v_mov_b32_e32 v8, 0x7f
	v_cmp_lt_u32_e32 vcc, s6, v7
	s_nop 1
	v_cndmask_b32_e32 v6, v6, v8, vcc
; %bb.1799:
	s_or_b64 exec, exec, s[2:3]
	v_lshrrev_b32_e32 v3, 24, v3
	s_movk_i32 s2, 0x80
	v_and_or_b32 v3, v3, s2, v6
	global_store_byte v[4:5], v3, off
.LBB312_1800:
	s_mov_b64 s[2:3], 0
.LBB312_1801:
	s_andn2_b64 vcc, exec, s[2:3]
	s_cbranch_vccnz .LBB312_1811
; %bb.1802:
	v_cvt_f32_i32_sdwa v3, sext(v1) dst_sel:DWORD dst_unused:UNUSED_PAD src0_sel:WORD_0
	s_mov_b32 s2, 0x47800000
                                        ; implicit-def: $vgpr6
	v_and_b32_e32 v7, 0x7fffffff, v3
	v_cmp_gt_u32_e32 vcc, s2, v7
	s_and_saveexec_b64 s[2:3], vcc
	s_xor_b64 s[2:3], exec, s[2:3]
	s_cbranch_execz .LBB312_1808
; %bb.1803:
	s_mov_b32 s6, 0x387fffff
	v_cmp_lt_u32_e32 vcc, s6, v7
                                        ; implicit-def: $vgpr6
	s_and_saveexec_b64 s[6:7], vcc
	s_xor_b64 s[6:7], exec, s[6:7]
; %bb.1804:
	v_bfe_u32 v6, v3, 21, 1
	s_mov_b32 s8, 0x80fffff
	v_add3_u32 v6, v3, v6, s8
	v_lshrrev_b32_e32 v6, 21, v6
; %bb.1805:
	s_andn2_saveexec_b64 s[6:7], s[6:7]
; %bb.1806:
	s_mov_b32 s8, 0x43000000
	v_add_f32_e64 v6, |v3|, s8
; %bb.1807:
	s_or_b64 exec, exec, s[6:7]
                                        ; implicit-def: $vgpr7
.LBB312_1808:
	s_andn2_saveexec_b64 s[2:3], s[2:3]
; %bb.1809:
	s_mov_b32 s6, 0x7f800000
	v_mov_b32_e32 v6, 0x7c
	v_mov_b32_e32 v8, 0x7f
	v_cmp_lt_u32_e32 vcc, s6, v7
	s_nop 1
	v_cndmask_b32_e32 v6, v6, v8, vcc
; %bb.1810:
	s_or_b64 exec, exec, s[2:3]
	v_lshrrev_b32_e32 v3, 24, v3
	s_movk_i32 s2, 0x80
	v_and_or_b32 v3, v3, s2, v6
	global_store_byte v[4:5], v3, off
.LBB312_1811:
	s_mov_b64 s[2:3], 0
	s_mov_b64 s[6:7], -1
.LBB312_1812:
	s_andn2_b64 vcc, exec, s[2:3]
	s_mov_b64 s[2:3], 0
	s_cbranch_vccnz .LBB312_1819
; %bb.1813:
	s_cmp_gt_i32 s20, 14
	s_mov_b64 s[8:9], -1
	s_cbranch_scc0 .LBB312_1817
; %bb.1814:
	s_cmp_eq_u32 s20, 15
	s_mov_b64 s[0:1], -1
	s_cbranch_scc0 .LBB312_1816
; %bb.1815:
	v_cvt_f32_i32_sdwa v3, sext(v1) dst_sel:DWORD dst_unused:UNUSED_PAD src0_sel:WORD_0
	s_movk_i32 s2, 0x7fff
	s_mov_b64 s[0:1], 0
	s_mov_b64 s[6:7], -1
	v_bfe_u32 v6, v3, 16, 1
	v_add3_u32 v3, v3, v6, s2
	global_store_short_d16_hi v[4:5], v3, off
.LBB312_1816:
	s_mov_b64 s[8:9], 0
.LBB312_1817:
	s_mov_b64 s[2:3], 0
	s_and_b64 vcc, exec, s[8:9]
	s_cbranch_vccz .LBB312_1819
; %bb.1818:
	s_cmp_lg_u32 s20, 11
	s_mov_b64 s[2:3], -1
	s_cselect_b64 s[0:1], -1, 0
.LBB312_1819:
	s_and_b64 vcc, exec, s[0:1]
	s_cbranch_vccnz .LBB312_1999
; %bb.1820:
	s_andn2_b64 vcc, exec, s[2:3]
	s_cbranch_vccnz .LBB312_1822
.LBB312_1821:
	v_cmp_ne_u16_e32 vcc, 0, v1
	s_mov_b64 s[6:7], -1
	s_nop 0
	v_cndmask_b32_e64 v3, 0, 1, vcc
	global_store_byte v[4:5], v3, off
.LBB312_1822:
	s_mov_b64 s[0:1], 0
	s_branch .LBB312_1824
.LBB312_1823:
	s_mov_b64 s[0:1], -1
	s_mov_b64 s[6:7], 0
.LBB312_1824:
	s_and_b64 vcc, exec, s[0:1]
	s_cbranch_vccz .LBB312_1863
; %bb.1825:
	s_and_b32 s2, 0xffff, s22
	s_cmp_lt_i32 s2, 5
	s_mov_b64 s[0:1], -1
	s_cbranch_scc1 .LBB312_1846
; %bb.1826:
	s_cmp_lt_i32 s2, 8
	s_cbranch_scc1 .LBB312_1836
; %bb.1827:
	s_cmp_lt_i32 s2, 9
	s_cbranch_scc1 .LBB312_1833
; %bb.1828:
	s_cmp_gt_i32 s2, 9
	s_cbranch_scc0 .LBB312_1830
; %bb.1829:
	v_bfe_i32 v3, v1, 0, 16
	v_mov_b32_e32 v8, 0
	v_cvt_f64_i32_e32 v[6:7], v3
	v_mov_b32_e32 v9, v8
	global_store_dwordx4 v[4:5], v[6:9], off
	s_mov_b64 s[0:1], 0
.LBB312_1830:
	s_andn2_b64 vcc, exec, s[0:1]
	s_cbranch_vccnz .LBB312_1832
; %bb.1831:
	v_cvt_f32_i32_sdwa v6, sext(v1) dst_sel:DWORD dst_unused:UNUSED_PAD src0_sel:WORD_0
	v_mov_b32_e32 v7, 0
	global_store_dwordx2 v[4:5], v[6:7], off
.LBB312_1832:
	s_mov_b64 s[0:1], 0
.LBB312_1833:
	s_andn2_b64 vcc, exec, s[0:1]
	s_cbranch_vccnz .LBB312_1835
; %bb.1834:
	v_cvt_f16_i16_e32 v3, v1
	global_store_dword v[4:5], v3, off
.LBB312_1835:
	s_mov_b64 s[0:1], 0
.LBB312_1836:
	s_andn2_b64 vcc, exec, s[0:1]
	s_cbranch_vccnz .LBB312_1845
; %bb.1837:
	s_cmp_lt_i32 s2, 6
	s_mov_b64 s[0:1], -1
	s_cbranch_scc1 .LBB312_1843
; %bb.1838:
	s_cmp_gt_i32 s2, 6
	s_cbranch_scc0 .LBB312_1840
; %bb.1839:
	v_bfe_i32 v3, v1, 0, 16
	v_cvt_f64_i32_e32 v[6:7], v3
	global_store_dwordx2 v[4:5], v[6:7], off
	s_mov_b64 s[0:1], 0
.LBB312_1840:
	s_andn2_b64 vcc, exec, s[0:1]
	s_cbranch_vccnz .LBB312_1842
; %bb.1841:
	v_cvt_f32_i32_sdwa v3, sext(v1) dst_sel:DWORD dst_unused:UNUSED_PAD src0_sel:WORD_0
	global_store_dword v[4:5], v3, off
.LBB312_1842:
	s_mov_b64 s[0:1], 0
.LBB312_1843:
	s_andn2_b64 vcc, exec, s[0:1]
	s_cbranch_vccnz .LBB312_1845
; %bb.1844:
	v_cvt_f16_i16_e32 v3, v1
	global_store_short v[4:5], v3, off
.LBB312_1845:
	s_mov_b64 s[0:1], 0
.LBB312_1846:
	s_andn2_b64 vcc, exec, s[0:1]
	s_cbranch_vccnz .LBB312_1862
; %bb.1847:
	s_cmp_lt_i32 s2, 2
	s_mov_b64 s[0:1], -1
	s_cbranch_scc1 .LBB312_1857
; %bb.1848:
	s_cmp_lt_i32 s2, 3
	s_cbranch_scc1 .LBB312_1854
; %bb.1849:
	s_cmp_gt_i32 s2, 3
	v_bfe_i32 v6, v1, 0, 16
	s_cbranch_scc0 .LBB312_1851
; %bb.1850:
	v_ashrrev_i32_e32 v7, 31, v6
	global_store_dwordx2 v[4:5], v[6:7], off
	s_mov_b64 s[0:1], 0
.LBB312_1851:
	s_andn2_b64 vcc, exec, s[0:1]
	s_cbranch_vccnz .LBB312_1853
; %bb.1852:
	global_store_dword v[4:5], v6, off
.LBB312_1853:
	s_mov_b64 s[0:1], 0
.LBB312_1854:
	s_andn2_b64 vcc, exec, s[0:1]
	s_cbranch_vccnz .LBB312_1856
; %bb.1855:
	global_store_short v[4:5], v1, off
.LBB312_1856:
	s_mov_b64 s[0:1], 0
.LBB312_1857:
	s_andn2_b64 vcc, exec, s[0:1]
	s_cbranch_vccnz .LBB312_1862
; %bb.1858:
	s_cmp_gt_i32 s2, 0
	s_mov_b64 s[0:1], -1
	s_cbranch_scc0 .LBB312_1860
; %bb.1859:
	global_store_byte v[4:5], v1, off
	s_mov_b64 s[0:1], 0
.LBB312_1860:
	s_andn2_b64 vcc, exec, s[0:1]
	s_cbranch_vccnz .LBB312_1862
; %bb.1861:
	global_store_byte v[4:5], v1, off
.LBB312_1862:
	s_mov_b64 s[6:7], -1
.LBB312_1863:
	s_andn2_b64 vcc, exec, s[6:7]
	s_cbranch_vccnz .LBB312_1940
; %bb.1864:
	v_max_i16_e32 v0, s10, v0
	v_min_i16_e32 v4, s33, v0
	v_add_u32_e32 v0, s11, v2
	v_ashrrev_i32_e32 v1, 31, v0
	s_cmp_lt_i32 s22, 11
	v_lshl_add_u64 v[0:1], s[4:5], 0, v[0:1]
	s_cbranch_scc1 .LBB312_1985
; %bb.1865:
	s_and_b32 s10, 0xffff, s22
	s_mov_b64 s[4:5], -1
	s_mov_b64 s[2:3], 0
	s_cmp_gt_i32 s10, 25
	s_mov_b64 s[0:1], 0
	s_cbranch_scc0 .LBB312_1898
; %bb.1866:
	s_cmp_gt_i32 s10, 28
	s_cbranch_scc0 .LBB312_1882
; %bb.1867:
	s_cmp_gt_i32 s10, 43
	;; [unrolled: 3-line block ×3, first 2 shown]
	s_cbranch_scc0 .LBB312_1872
; %bb.1869:
	s_cmp_eq_u32 s10, 46
	s_mov_b64 s[0:1], -1
	s_cbranch_scc0 .LBB312_1871
; %bb.1870:
	v_cvt_f32_i32_sdwa v2, sext(v4) dst_sel:DWORD dst_unused:UNUSED_PAD src0_sel:WORD_0
	s_movk_i32 s0, 0x7fff
	v_bfe_u32 v3, v2, 16, 1
	v_add3_u32 v2, v2, v3, s0
	v_lshrrev_b32_e32 v2, 16, v2
	global_store_dword v[0:1], v2, off
	s_mov_b64 s[0:1], 0
.LBB312_1871:
	s_mov_b64 s[4:5], 0
.LBB312_1872:
	s_and_b64 vcc, exec, s[4:5]
	s_cbranch_vccz .LBB312_1877
; %bb.1873:
	s_cmp_eq_u32 s10, 44
	s_mov_b64 s[0:1], -1
	s_cbranch_scc0 .LBB312_1877
; %bb.1874:
	v_cvt_f32_i32_sdwa v2, sext(v4) dst_sel:DWORD dst_unused:UNUSED_PAD src0_sel:WORD_0
	s_movk_i32 s0, 0xff
	v_mov_b32_e32 v5, 0xff
	v_bfe_u32 v3, v2, 23, 8
	v_cmp_ne_u32_e32 vcc, s0, v3
	s_and_saveexec_b64 s[4:5], vcc
; %bb.1875:
	s_mov_b32 s0, 0x3fffff
	v_lshrrev_b32_e32 v5, 23, v2
	v_and_b32_e32 v6, 0x400000, v2
	v_and_or_b32 v2, v2, s0, v3
	v_cmp_ne_u32_e32 vcc, 0, v6
	v_cmp_ne_u32_e64 s[0:1], 0, v2
	s_and_b64 s[0:1], vcc, s[0:1]
	s_nop 0
	v_cndmask_b32_e64 v2, 0, 1, s[0:1]
	v_add_u32_e32 v5, v5, v2
; %bb.1876:
	s_or_b64 exec, exec, s[4:5]
	s_mov_b64 s[0:1], 0
	global_store_byte v[0:1], v5, off
.LBB312_1877:
	s_mov_b64 s[4:5], 0
.LBB312_1878:
	s_and_b64 vcc, exec, s[4:5]
	s_cbranch_vccz .LBB312_1881
; %bb.1879:
	s_cmp_eq_u32 s10, 29
	s_mov_b64 s[0:1], -1
	s_cbranch_scc0 .LBB312_1881
; %bb.1880:
	v_bfe_i32 v2, v4, 0, 16
	v_ashrrev_i32_e32 v3, 31, v2
	global_store_dwordx2 v[0:1], v[2:3], off
	s_mov_b64 s[0:1], 0
.LBB312_1881:
	s_mov_b64 s[4:5], 0
.LBB312_1882:
	s_and_b64 vcc, exec, s[4:5]
	s_cbranch_vccz .LBB312_1897
; %bb.1883:
	s_cmp_lt_i32 s10, 27
	s_mov_b64 s[4:5], -1
	s_cbranch_scc1 .LBB312_1889
; %bb.1884:
	s_cmp_gt_i32 s10, 27
	s_cbranch_scc0 .LBB312_1886
; %bb.1885:
	v_bfe_i32 v2, v4, 0, 16
	global_store_dword v[0:1], v2, off
	s_mov_b64 s[4:5], 0
.LBB312_1886:
	s_andn2_b64 vcc, exec, s[4:5]
	s_cbranch_vccnz .LBB312_1888
; %bb.1887:
	global_store_short v[0:1], v4, off
.LBB312_1888:
	s_mov_b64 s[4:5], 0
.LBB312_1889:
	s_andn2_b64 vcc, exec, s[4:5]
	s_cbranch_vccnz .LBB312_1897
; %bb.1890:
	v_cvt_f32_i32_sdwa v2, sext(v4) dst_sel:DWORD dst_unused:UNUSED_PAD src0_sel:WORD_0
	s_mov_b32 s4, 0x43800000
	v_mov_b32_e32 v5, 0x80
	v_and_b32_e32 v3, 0x7fffffff, v2
	v_cmp_gt_u32_e32 vcc, s4, v3
	s_and_saveexec_b64 s[4:5], vcc
	s_cbranch_execz .LBB312_1896
; %bb.1891:
	s_mov_b32 s6, 0x3bffffff
	v_cmp_lt_u32_e32 vcc, s6, v3
	s_mov_b64 s[6:7], 0
                                        ; implicit-def: $vgpr3
	s_and_saveexec_b64 s[8:9], vcc
	s_xor_b64 s[8:9], exec, s[8:9]
	s_cbranch_execz .LBB312_2002
; %bb.1892:
	v_bfe_u32 v3, v2, 20, 1
	s_mov_b32 s11, 0x487ffff
	v_add3_u32 v3, v2, v3, s11
	s_mov_b64 s[6:7], exec
	v_lshrrev_b32_e32 v3, 20, v3
	s_andn2_saveexec_b64 s[8:9], s[8:9]
	s_cbranch_execnz .LBB312_2003
.LBB312_1893:
	s_or_b64 exec, exec, s[8:9]
	v_mov_b32_e32 v5, 0
	s_and_saveexec_b64 s[8:9], s[6:7]
.LBB312_1894:
	v_lshrrev_b32_e32 v2, 24, v2
	s_movk_i32 s6, 0x80
	v_and_or_b32 v5, v2, s6, v3
.LBB312_1895:
	s_or_b64 exec, exec, s[8:9]
.LBB312_1896:
	s_or_b64 exec, exec, s[4:5]
	global_store_byte v[0:1], v5, off
.LBB312_1897:
	s_mov_b64 s[4:5], 0
.LBB312_1898:
	s_and_b64 vcc, exec, s[4:5]
	s_cbranch_vccz .LBB312_1938
; %bb.1899:
	s_cmp_gt_i32 s10, 22
	s_mov_b64 s[2:3], -1
	s_cbranch_scc0 .LBB312_1931
; %bb.1900:
	s_cmp_lt_i32 s10, 24
	s_cbranch_scc1 .LBB312_1920
; %bb.1901:
	s_cmp_gt_i32 s10, 24
	s_cbranch_scc0 .LBB312_1909
; %bb.1902:
	v_cvt_f32_i32_sdwa v2, sext(v4) dst_sel:DWORD dst_unused:UNUSED_PAD src0_sel:WORD_0
	s_mov_b32 s2, 0x47800000
	v_mov_b32_e32 v5, 0x80
	v_and_b32_e32 v3, 0x7fffffff, v2
	v_cmp_gt_u32_e32 vcc, s2, v3
	s_and_saveexec_b64 s[2:3], vcc
	s_cbranch_execz .LBB312_1908
; %bb.1903:
	s_mov_b32 s4, 0x37ffffff
	v_cmp_lt_u32_e32 vcc, s4, v3
	s_mov_b64 s[4:5], 0
                                        ; implicit-def: $vgpr3
	s_and_saveexec_b64 s[6:7], vcc
	s_xor_b64 s[6:7], exec, s[6:7]
	s_cbranch_execz .LBB312_2005
; %bb.1904:
	v_bfe_u32 v3, v2, 21, 1
	s_mov_b32 s8, 0x88fffff
	v_add3_u32 v3, v2, v3, s8
	s_mov_b64 s[4:5], exec
	v_lshrrev_b32_e32 v3, 21, v3
	s_andn2_saveexec_b64 s[6:7], s[6:7]
	s_cbranch_execnz .LBB312_2006
.LBB312_1905:
	s_or_b64 exec, exec, s[6:7]
	v_mov_b32_e32 v5, 0
	s_and_saveexec_b64 s[6:7], s[4:5]
.LBB312_1906:
	v_lshrrev_b32_e32 v2, 24, v2
	s_movk_i32 s4, 0x80
	v_and_or_b32 v5, v2, s4, v3
.LBB312_1907:
	s_or_b64 exec, exec, s[6:7]
.LBB312_1908:
	s_or_b64 exec, exec, s[2:3]
	s_mov_b64 s[2:3], 0
	global_store_byte v[0:1], v5, off
.LBB312_1909:
	s_and_b64 vcc, exec, s[2:3]
	s_cbranch_vccz .LBB312_1919
; %bb.1910:
	v_cvt_f32_i32_sdwa v2, sext(v4) dst_sel:DWORD dst_unused:UNUSED_PAD src0_sel:WORD_0
	s_mov_b32 s2, 0x43f00000
                                        ; implicit-def: $vgpr3
	v_and_b32_e32 v5, 0x7fffffff, v2
	v_cmp_gt_u32_e32 vcc, s2, v5
	s_and_saveexec_b64 s[2:3], vcc
	s_xor_b64 s[2:3], exec, s[2:3]
	s_cbranch_execz .LBB312_1916
; %bb.1911:
	s_mov_b32 s4, 0x3c7fffff
	v_cmp_lt_u32_e32 vcc, s4, v5
                                        ; implicit-def: $vgpr3
	s_and_saveexec_b64 s[4:5], vcc
	s_xor_b64 s[4:5], exec, s[4:5]
; %bb.1912:
	v_bfe_u32 v3, v2, 20, 1
	s_mov_b32 s6, 0x407ffff
	v_add3_u32 v3, v2, v3, s6
	v_lshrrev_b32_e32 v5, 20, v3
	v_and_b32_e32 v3, 0xff00000, v3
	s_mov_b32 s6, 0x7f00000
	v_mov_b32_e32 v6, 0x7e
	v_cmp_ne_u32_e32 vcc, s6, v3
	s_nop 1
	v_cndmask_b32_e32 v3, v6, v5, vcc
; %bb.1913:
	s_andn2_saveexec_b64 s[4:5], s[4:5]
; %bb.1914:
	s_mov_b32 s6, 0x46800000
	v_add_f32_e64 v3, |v2|, s6
; %bb.1915:
	s_or_b64 exec, exec, s[4:5]
                                        ; implicit-def: $vgpr5
.LBB312_1916:
	s_andn2_saveexec_b64 s[2:3], s[2:3]
; %bb.1917:
	s_mov_b32 s4, 0x7f800000
	v_mov_b32_e32 v3, 0x7e
	v_mov_b32_e32 v6, 0x7f
	v_cmp_lt_u32_e32 vcc, s4, v5
	s_nop 1
	v_cndmask_b32_e32 v3, v3, v6, vcc
; %bb.1918:
	s_or_b64 exec, exec, s[2:3]
	v_lshrrev_b32_e32 v2, 24, v2
	s_movk_i32 s2, 0x80
	v_and_or_b32 v2, v2, s2, v3
	global_store_byte v[0:1], v2, off
.LBB312_1919:
	s_mov_b64 s[2:3], 0
.LBB312_1920:
	s_andn2_b64 vcc, exec, s[2:3]
	s_cbranch_vccnz .LBB312_1930
; %bb.1921:
	v_cvt_f32_i32_sdwa v2, sext(v4) dst_sel:DWORD dst_unused:UNUSED_PAD src0_sel:WORD_0
	s_mov_b32 s2, 0x47800000
                                        ; implicit-def: $vgpr3
	v_and_b32_e32 v5, 0x7fffffff, v2
	v_cmp_gt_u32_e32 vcc, s2, v5
	s_and_saveexec_b64 s[2:3], vcc
	s_xor_b64 s[2:3], exec, s[2:3]
	s_cbranch_execz .LBB312_1927
; %bb.1922:
	s_mov_b32 s4, 0x387fffff
	v_cmp_lt_u32_e32 vcc, s4, v5
                                        ; implicit-def: $vgpr3
	s_and_saveexec_b64 s[4:5], vcc
	s_xor_b64 s[4:5], exec, s[4:5]
; %bb.1923:
	v_bfe_u32 v3, v2, 21, 1
	s_mov_b32 s6, 0x80fffff
	v_add3_u32 v3, v2, v3, s6
	v_lshrrev_b32_e32 v3, 21, v3
; %bb.1924:
	s_andn2_saveexec_b64 s[4:5], s[4:5]
; %bb.1925:
	s_mov_b32 s6, 0x43000000
	v_add_f32_e64 v3, |v2|, s6
; %bb.1926:
	s_or_b64 exec, exec, s[4:5]
                                        ; implicit-def: $vgpr5
.LBB312_1927:
	s_andn2_saveexec_b64 s[2:3], s[2:3]
; %bb.1928:
	s_mov_b32 s4, 0x7f800000
	v_mov_b32_e32 v3, 0x7c
	v_mov_b32_e32 v6, 0x7f
	v_cmp_lt_u32_e32 vcc, s4, v5
	s_nop 1
	v_cndmask_b32_e32 v3, v3, v6, vcc
; %bb.1929:
	s_or_b64 exec, exec, s[2:3]
	v_lshrrev_b32_e32 v2, 24, v2
	s_movk_i32 s2, 0x80
	v_and_or_b32 v2, v2, s2, v3
	global_store_byte v[0:1], v2, off
.LBB312_1930:
	s_mov_b64 s[2:3], 0
.LBB312_1931:
	s_andn2_b64 vcc, exec, s[2:3]
	s_mov_b64 s[2:3], 0
	s_cbranch_vccnz .LBB312_1938
; %bb.1932:
	s_cmp_gt_i32 s10, 14
	s_mov_b64 s[4:5], -1
	s_cbranch_scc0 .LBB312_1936
; %bb.1933:
	s_cmp_eq_u32 s10, 15
	s_mov_b64 s[0:1], -1
	s_cbranch_scc0 .LBB312_1935
; %bb.1934:
	v_cvt_f32_i32_sdwa v2, sext(v4) dst_sel:DWORD dst_unused:UNUSED_PAD src0_sel:WORD_0
	s_movk_i32 s0, 0x7fff
	v_bfe_u32 v3, v2, 16, 1
	v_add3_u32 v2, v2, v3, s0
	global_store_short_d16_hi v[0:1], v2, off
	s_mov_b64 s[0:1], 0
.LBB312_1935:
	s_mov_b64 s[4:5], 0
.LBB312_1936:
	s_and_b64 vcc, exec, s[4:5]
	s_cbranch_vccz .LBB312_1938
; %bb.1937:
	s_cmp_lg_u32 s10, 11
	s_mov_b64 s[2:3], -1
	s_cselect_b64 s[0:1], -1, 0
.LBB312_1938:
	s_and_b64 vcc, exec, s[0:1]
	s_cbranch_vccnz .LBB312_2004
.LBB312_1939:
	s_mov_b64 s[0:1], 0
	s_branch .LBB312_1941
.LBB312_1940:
	s_mov_b64 s[0:1], 0
	s_mov_b64 s[2:3], 0
                                        ; implicit-def: $sgpr22
                                        ; implicit-def: $vgpr0_vgpr1
                                        ; implicit-def: $vgpr4
.LBB312_1941:
	s_andn2_b64 s[4:5], s[14:15], exec
	s_and_b64 s[6:7], s[16:17], exec
	s_and_b64 s[0:1], s[0:1], exec
	;; [unrolled: 1-line block ×3, first 2 shown]
	s_or_b64 s[14:15], s[4:5], s[6:7]
.LBB312_1942:
	s_or_b64 exec, exec, s[12:13]
	s_and_saveexec_b64 s[4:5], s[14:15]
	s_cbranch_execz .LBB312_1945
; %bb.1943:
	; divergent unreachable
	s_or_b64 exec, exec, s[4:5]
	s_and_saveexec_b64 s[4:5], s[2:3]
	s_xor_b64 s[2:3], exec, s[4:5]
	s_cbranch_execnz .LBB312_1946
.LBB312_1944:
	s_or_b64 exec, exec, s[2:3]
	s_and_saveexec_b64 s[2:3], s[0:1]
	s_cbranch_execnz .LBB312_1947
	s_branch .LBB312_1984
.LBB312_1945:
	s_or_b64 exec, exec, s[4:5]
	s_and_saveexec_b64 s[4:5], s[2:3]
	s_xor_b64 s[2:3], exec, s[4:5]
	s_cbranch_execz .LBB312_1944
.LBB312_1946:
	s_waitcnt vmcnt(0)
	v_cmp_ne_u16_e32 vcc, 0, v4
	s_nop 1
	v_cndmask_b32_e64 v2, 0, 1, vcc
	global_store_byte v[0:1], v2, off
	s_or_b64 exec, exec, s[2:3]
	s_and_saveexec_b64 s[2:3], s[0:1]
	s_cbranch_execz .LBB312_1984
.LBB312_1947:
	s_sext_i32_i16 s2, s22
	s_cmp_lt_i32 s2, 5
	s_mov_b64 s[0:1], -1
	s_cbranch_scc1 .LBB312_1968
; %bb.1948:
	s_cmp_lt_i32 s2, 8
	s_cbranch_scc1 .LBB312_1958
; %bb.1949:
	s_cmp_lt_i32 s2, 9
	s_cbranch_scc1 .LBB312_1955
; %bb.1950:
	s_cmp_gt_i32 s2, 9
	s_cbranch_scc0 .LBB312_1952
; %bb.1951:
	s_waitcnt vmcnt(0)
	v_bfe_i32 v2, v4, 0, 16
	v_mov_b32_e32 v8, 0
	v_cvt_f64_i32_e32 v[6:7], v2
	v_mov_b32_e32 v9, v8
	global_store_dwordx4 v[0:1], v[6:9], off
	s_mov_b64 s[0:1], 0
.LBB312_1952:
	s_andn2_b64 vcc, exec, s[0:1]
	s_cbranch_vccnz .LBB312_1954
; %bb.1953:
	s_waitcnt vmcnt(0)
	v_cvt_f32_i32_sdwa v2, sext(v4) dst_sel:DWORD dst_unused:UNUSED_PAD src0_sel:WORD_0
	v_mov_b32_e32 v3, 0
	global_store_dwordx2 v[0:1], v[2:3], off
.LBB312_1954:
	s_mov_b64 s[0:1], 0
.LBB312_1955:
	s_andn2_b64 vcc, exec, s[0:1]
	s_cbranch_vccnz .LBB312_1957
; %bb.1956:
	s_waitcnt vmcnt(0)
	v_cvt_f16_i16_e32 v2, v4
	global_store_dword v[0:1], v2, off
.LBB312_1957:
	s_mov_b64 s[0:1], 0
.LBB312_1958:
	s_andn2_b64 vcc, exec, s[0:1]
	s_cbranch_vccnz .LBB312_1967
; %bb.1959:
	s_sext_i32_i16 s2, s22
	s_cmp_lt_i32 s2, 6
	s_mov_b64 s[0:1], -1
	s_cbranch_scc1 .LBB312_1965
; %bb.1960:
	s_cmp_gt_i32 s2, 6
	s_cbranch_scc0 .LBB312_1962
; %bb.1961:
	s_waitcnt vmcnt(0)
	v_bfe_i32 v2, v4, 0, 16
	v_cvt_f64_i32_e32 v[2:3], v2
	global_store_dwordx2 v[0:1], v[2:3], off
	s_mov_b64 s[0:1], 0
.LBB312_1962:
	s_andn2_b64 vcc, exec, s[0:1]
	s_cbranch_vccnz .LBB312_1964
; %bb.1963:
	s_waitcnt vmcnt(0)
	v_cvt_f32_i32_sdwa v2, sext(v4) dst_sel:DWORD dst_unused:UNUSED_PAD src0_sel:WORD_0
	global_store_dword v[0:1], v2, off
.LBB312_1964:
	s_mov_b64 s[0:1], 0
.LBB312_1965:
	s_andn2_b64 vcc, exec, s[0:1]
	s_cbranch_vccnz .LBB312_1967
; %bb.1966:
	s_waitcnt vmcnt(0)
	v_cvt_f16_i16_e32 v2, v4
	global_store_short v[0:1], v2, off
.LBB312_1967:
	s_mov_b64 s[0:1], 0
.LBB312_1968:
	s_andn2_b64 vcc, exec, s[0:1]
	s_cbranch_vccnz .LBB312_1984
; %bb.1969:
	s_sext_i32_i16 s2, s22
	s_cmp_lt_i32 s2, 2
	s_mov_b64 s[0:1], -1
	s_cbranch_scc1 .LBB312_1979
; %bb.1970:
	s_cmp_lt_i32 s2, 3
	s_cbranch_scc1 .LBB312_1976
; %bb.1971:
	s_cmp_gt_i32 s2, 3
	s_waitcnt vmcnt(0)
	v_bfe_i32 v2, v4, 0, 16
	s_cbranch_scc0 .LBB312_1973
; %bb.1972:
	v_ashrrev_i32_e32 v3, 31, v2
	global_store_dwordx2 v[0:1], v[2:3], off
	s_mov_b64 s[0:1], 0
.LBB312_1973:
	s_andn2_b64 vcc, exec, s[0:1]
	s_cbranch_vccnz .LBB312_1975
; %bb.1974:
	global_store_dword v[0:1], v2, off
.LBB312_1975:
	s_mov_b64 s[0:1], 0
.LBB312_1976:
	s_andn2_b64 vcc, exec, s[0:1]
	s_cbranch_vccnz .LBB312_1978
; %bb.1977:
	s_waitcnt vmcnt(0)
	global_store_short v[0:1], v4, off
.LBB312_1978:
	s_mov_b64 s[0:1], 0
.LBB312_1979:
	s_andn2_b64 vcc, exec, s[0:1]
	s_cbranch_vccnz .LBB312_1984
; %bb.1980:
	s_sext_i32_i16 s0, s22
	s_cmp_gt_i32 s0, 0
	s_mov_b64 s[0:1], -1
	s_cbranch_scc0 .LBB312_1982
; %bb.1981:
	s_waitcnt vmcnt(0)
	global_store_byte v[0:1], v4, off
	s_mov_b64 s[0:1], 0
.LBB312_1982:
	s_andn2_b64 vcc, exec, s[0:1]
	s_cbranch_vccnz .LBB312_1984
; %bb.1983:
	s_waitcnt vmcnt(0)
	global_store_byte v[0:1], v4, off
	s_endpgm
.LBB312_1984:
	s_endpgm
.LBB312_1985:
	s_mov_b64 s[2:3], 0
	s_mov_b64 s[0:1], -1
	s_branch .LBB312_1941
.LBB312_1986:
	s_trap 2
	s_or_b64 s[16:17], s[16:17], exec
	s_cbranch_execz .LBB312_1455
	s_branch .LBB312_1456
.LBB312_1987:
	s_andn2_saveexec_b64 s[20:21], s[20:21]
	s_cbranch_execz .LBB312_1535
.LBB312_1988:
	s_mov_b32 s11, 0x46000000
	v_add_f32_e64 v5, |v3|, s11
	v_and_b32_e32 v5, 0xff, v5
	v_cmp_ne_u32_e32 vcc, 0, v5
	s_andn2_b64 s[18:19], s[18:19], exec
	s_and_b64 s[24:25], vcc, exec
	s_or_b64 s[18:19], s[18:19], s[24:25]
	s_or_b64 exec, exec, s[20:21]
	v_mov_b32_e32 v7, 0
	s_and_saveexec_b64 s[20:21], s[18:19]
	s_cbranch_execnz .LBB312_1536
	s_branch .LBB312_1537
.LBB312_1989:
	s_trap 2
	s_or_b64 s[16:17], s[16:17], exec
	s_cbranch_execz .LBB312_1583
	s_branch .LBB312_1584
.LBB312_1990:
	s_andn2_saveexec_b64 s[18:19], s[18:19]
	s_cbranch_execz .LBB312_1548
.LBB312_1991:
	s_mov_b32 s11, 0x42800000
	v_add_f32_e64 v5, |v3|, s11
	v_and_b32_e32 v5, 0xff, v5
	v_cmp_ne_u32_e32 vcc, 0, v5
	s_andn2_b64 s[6:7], s[6:7], exec
	s_and_b64 s[20:21], vcc, exec
	s_or_b64 s[6:7], s[6:7], s[20:21]
	s_or_b64 exec, exec, s[18:19]
	v_mov_b32_e32 v7, 0
	s_and_saveexec_b64 s[18:19], s[6:7]
	s_cbranch_execnz .LBB312_1549
	s_branch .LBB312_1550
.LBB312_1992:
	s_andn2_saveexec_b64 s[18:19], s[18:19]
	s_cbranch_execz .LBB312_1654
.LBB312_1993:
	s_mov_b32 s21, 0x46000000
	v_add_f32_e64 v5, |v3|, s21
	v_and_b32_e32 v5, 0xff, v5
	v_cmp_ne_u32_e32 vcc, 0, v5
	s_andn2_b64 s[8:9], s[8:9], exec
	s_and_b64 s[24:25], vcc, exec
	s_or_b64 s[8:9], s[8:9], s[24:25]
	s_or_b64 exec, exec, s[18:19]
	v_mov_b32_e32 v8, 0
	s_and_saveexec_b64 s[18:19], s[8:9]
	s_cbranch_execnz .LBB312_1655
	s_branch .LBB312_1656
.LBB312_1994:
	s_trap 2
	s_or_b64 s[16:17], s[16:17], exec
	s_cbranch_execz .LBB312_1702
	s_branch .LBB312_1703
.LBB312_1995:
	s_andn2_saveexec_b64 s[8:9], s[8:9]
	s_cbranch_execz .LBB312_1667
.LBB312_1996:
	s_mov_b32 s18, 0x42800000
	v_add_f32_e64 v5, |v3|, s18
	v_and_b32_e32 v5, 0xff, v5
	v_cmp_ne_u32_e32 vcc, 0, v5
	s_andn2_b64 s[6:7], s[6:7], exec
	s_and_b64 s[18:19], vcc, exec
	s_or_b64 s[6:7], s[6:7], s[18:19]
	s_or_b64 exec, exec, s[8:9]
	v_mov_b32_e32 v8, 0
	s_and_saveexec_b64 s[8:9], s[6:7]
	s_cbranch_execnz .LBB312_1668
	s_branch .LBB312_1669
.LBB312_1997:
	s_andn2_saveexec_b64 s[18:19], s[18:19]
	s_cbranch_execz .LBB312_1773
.LBB312_1998:
	s_mov_b32 s21, 0x46000000
	v_add_f32_e64 v6, |v3|, s21
	v_and_b32_e32 v6, 0xff, v6
	v_cmp_ne_u32_e32 vcc, 0, v6
	s_andn2_b64 s[8:9], s[8:9], exec
	s_and_b64 s[24:25], vcc, exec
	s_or_b64 s[8:9], s[8:9], s[24:25]
	s_or_b64 exec, exec, s[18:19]
	v_mov_b32_e32 v7, 0
	s_and_saveexec_b64 s[18:19], s[8:9]
	s_cbranch_execnz .LBB312_1774
	s_branch .LBB312_1775
.LBB312_1999:
	s_trap 2
	s_or_b64 s[16:17], s[16:17], exec
	s_cbranch_execz .LBB312_1821
	s_branch .LBB312_1822
.LBB312_2000:
	s_andn2_saveexec_b64 s[8:9], s[8:9]
	s_cbranch_execz .LBB312_1786
.LBB312_2001:
	s_mov_b32 s18, 0x42800000
	v_add_f32_e64 v6, |v3|, s18
	v_and_b32_e32 v6, 0xff, v6
	v_cmp_ne_u32_e32 vcc, 0, v6
	s_andn2_b64 s[6:7], s[6:7], exec
	s_and_b64 s[18:19], vcc, exec
	s_or_b64 s[6:7], s[6:7], s[18:19]
	s_or_b64 exec, exec, s[8:9]
	v_mov_b32_e32 v7, 0
	s_and_saveexec_b64 s[8:9], s[6:7]
	s_cbranch_execnz .LBB312_1787
	s_branch .LBB312_1788
.LBB312_2002:
	s_andn2_saveexec_b64 s[8:9], s[8:9]
	s_cbranch_execz .LBB312_1893
.LBB312_2003:
	s_mov_b32 s11, 0x46000000
	v_add_f32_e64 v3, |v2|, s11
	v_and_b32_e32 v3, 0xff, v3
	v_cmp_ne_u32_e32 vcc, 0, v3
	s_andn2_b64 s[6:7], s[6:7], exec
	s_and_b64 s[18:19], vcc, exec
	s_or_b64 s[6:7], s[6:7], s[18:19]
	s_or_b64 exec, exec, s[8:9]
	v_mov_b32_e32 v5, 0
	s_and_saveexec_b64 s[8:9], s[6:7]
	s_cbranch_execnz .LBB312_1894
	s_branch .LBB312_1895
.LBB312_2004:
	s_mov_b64 s[2:3], 0
	s_or_b64 s[16:17], s[16:17], exec
	s_trap 2
	s_branch .LBB312_1939
.LBB312_2005:
	s_andn2_saveexec_b64 s[6:7], s[6:7]
	s_cbranch_execz .LBB312_1905
.LBB312_2006:
	s_mov_b32 s8, 0x42800000
	v_add_f32_e64 v3, |v2|, s8
	v_and_b32_e32 v3, 0xff, v3
	v_cmp_ne_u32_e32 vcc, 0, v3
	s_andn2_b64 s[4:5], s[4:5], exec
	s_and_b64 s[8:9], vcc, exec
	s_or_b64 s[4:5], s[4:5], s[8:9]
	s_or_b64 exec, exec, s[6:7]
	v_mov_b32_e32 v5, 0
	s_and_saveexec_b64 s[6:7], s[4:5]
	s_cbranch_execnz .LBB312_1906
	s_branch .LBB312_1907
	.section	.rodata,"a",@progbits
	.p2align	6, 0x0
	.amdhsa_kernel _ZN2at6native32elementwise_kernel_manual_unrollILi128ELi4EZNS0_15gpu_kernel_implIZZZNS0_17clamp_kernel_cudaERNS_18TensorIteratorBaseERKN3c106ScalarES8_ENKUlvE_clEvENKUlvE3_clEvEUlsE_EEvS4_RKT_EUlibE_EEviT1_
		.amdhsa_group_segment_fixed_size 0
		.amdhsa_private_segment_fixed_size 0
		.amdhsa_kernarg_size 40
		.amdhsa_user_sgpr_count 2
		.amdhsa_user_sgpr_dispatch_ptr 0
		.amdhsa_user_sgpr_queue_ptr 0
		.amdhsa_user_sgpr_kernarg_segment_ptr 1
		.amdhsa_user_sgpr_dispatch_id 0
		.amdhsa_user_sgpr_kernarg_preload_length 0
		.amdhsa_user_sgpr_kernarg_preload_offset 0
		.amdhsa_user_sgpr_private_segment_size 0
		.amdhsa_uses_dynamic_stack 0
		.amdhsa_enable_private_segment 0
		.amdhsa_system_sgpr_workgroup_id_x 1
		.amdhsa_system_sgpr_workgroup_id_y 0
		.amdhsa_system_sgpr_workgroup_id_z 0
		.amdhsa_system_sgpr_workgroup_info 0
		.amdhsa_system_vgpr_workitem_id 0
		.amdhsa_next_free_vgpr 14
		.amdhsa_next_free_sgpr 48
		.amdhsa_accum_offset 16
		.amdhsa_reserve_vcc 1
		.amdhsa_float_round_mode_32 0
		.amdhsa_float_round_mode_16_64 0
		.amdhsa_float_denorm_mode_32 3
		.amdhsa_float_denorm_mode_16_64 3
		.amdhsa_dx10_clamp 1
		.amdhsa_ieee_mode 1
		.amdhsa_fp16_overflow 0
		.amdhsa_tg_split 0
		.amdhsa_exception_fp_ieee_invalid_op 0
		.amdhsa_exception_fp_denorm_src 0
		.amdhsa_exception_fp_ieee_div_zero 0
		.amdhsa_exception_fp_ieee_overflow 0
		.amdhsa_exception_fp_ieee_underflow 0
		.amdhsa_exception_fp_ieee_inexact 0
		.amdhsa_exception_int_div_zero 0
	.end_amdhsa_kernel
	.section	.text._ZN2at6native32elementwise_kernel_manual_unrollILi128ELi4EZNS0_15gpu_kernel_implIZZZNS0_17clamp_kernel_cudaERNS_18TensorIteratorBaseERKN3c106ScalarES8_ENKUlvE_clEvENKUlvE3_clEvEUlsE_EEvS4_RKT_EUlibE_EEviT1_,"axG",@progbits,_ZN2at6native32elementwise_kernel_manual_unrollILi128ELi4EZNS0_15gpu_kernel_implIZZZNS0_17clamp_kernel_cudaERNS_18TensorIteratorBaseERKN3c106ScalarES8_ENKUlvE_clEvENKUlvE3_clEvEUlsE_EEvS4_RKT_EUlibE_EEviT1_,comdat
.Lfunc_end312:
	.size	_ZN2at6native32elementwise_kernel_manual_unrollILi128ELi4EZNS0_15gpu_kernel_implIZZZNS0_17clamp_kernel_cudaERNS_18TensorIteratorBaseERKN3c106ScalarES8_ENKUlvE_clEvENKUlvE3_clEvEUlsE_EEvS4_RKT_EUlibE_EEviT1_, .Lfunc_end312-_ZN2at6native32elementwise_kernel_manual_unrollILi128ELi4EZNS0_15gpu_kernel_implIZZZNS0_17clamp_kernel_cudaERNS_18TensorIteratorBaseERKN3c106ScalarES8_ENKUlvE_clEvENKUlvE3_clEvEUlsE_EEvS4_RKT_EUlibE_EEviT1_
                                        ; -- End function
	.set _ZN2at6native32elementwise_kernel_manual_unrollILi128ELi4EZNS0_15gpu_kernel_implIZZZNS0_17clamp_kernel_cudaERNS_18TensorIteratorBaseERKN3c106ScalarES8_ENKUlvE_clEvENKUlvE3_clEvEUlsE_EEvS4_RKT_EUlibE_EEviT1_.num_vgpr, 14
	.set _ZN2at6native32elementwise_kernel_manual_unrollILi128ELi4EZNS0_15gpu_kernel_implIZZZNS0_17clamp_kernel_cudaERNS_18TensorIteratorBaseERKN3c106ScalarES8_ENKUlvE_clEvENKUlvE3_clEvEUlsE_EEvS4_RKT_EUlibE_EEviT1_.num_agpr, 0
	.set _ZN2at6native32elementwise_kernel_manual_unrollILi128ELi4EZNS0_15gpu_kernel_implIZZZNS0_17clamp_kernel_cudaERNS_18TensorIteratorBaseERKN3c106ScalarES8_ENKUlvE_clEvENKUlvE3_clEvEUlsE_EEvS4_RKT_EUlibE_EEviT1_.numbered_sgpr, 48
	.set _ZN2at6native32elementwise_kernel_manual_unrollILi128ELi4EZNS0_15gpu_kernel_implIZZZNS0_17clamp_kernel_cudaERNS_18TensorIteratorBaseERKN3c106ScalarES8_ENKUlvE_clEvENKUlvE3_clEvEUlsE_EEvS4_RKT_EUlibE_EEviT1_.num_named_barrier, 0
	.set _ZN2at6native32elementwise_kernel_manual_unrollILi128ELi4EZNS0_15gpu_kernel_implIZZZNS0_17clamp_kernel_cudaERNS_18TensorIteratorBaseERKN3c106ScalarES8_ENKUlvE_clEvENKUlvE3_clEvEUlsE_EEvS4_RKT_EUlibE_EEviT1_.private_seg_size, 0
	.set _ZN2at6native32elementwise_kernel_manual_unrollILi128ELi4EZNS0_15gpu_kernel_implIZZZNS0_17clamp_kernel_cudaERNS_18TensorIteratorBaseERKN3c106ScalarES8_ENKUlvE_clEvENKUlvE3_clEvEUlsE_EEvS4_RKT_EUlibE_EEviT1_.uses_vcc, 1
	.set _ZN2at6native32elementwise_kernel_manual_unrollILi128ELi4EZNS0_15gpu_kernel_implIZZZNS0_17clamp_kernel_cudaERNS_18TensorIteratorBaseERKN3c106ScalarES8_ENKUlvE_clEvENKUlvE3_clEvEUlsE_EEvS4_RKT_EUlibE_EEviT1_.uses_flat_scratch, 0
	.set _ZN2at6native32elementwise_kernel_manual_unrollILi128ELi4EZNS0_15gpu_kernel_implIZZZNS0_17clamp_kernel_cudaERNS_18TensorIteratorBaseERKN3c106ScalarES8_ENKUlvE_clEvENKUlvE3_clEvEUlsE_EEvS4_RKT_EUlibE_EEviT1_.has_dyn_sized_stack, 0
	.set _ZN2at6native32elementwise_kernel_manual_unrollILi128ELi4EZNS0_15gpu_kernel_implIZZZNS0_17clamp_kernel_cudaERNS_18TensorIteratorBaseERKN3c106ScalarES8_ENKUlvE_clEvENKUlvE3_clEvEUlsE_EEvS4_RKT_EUlibE_EEviT1_.has_recursion, 0
	.set _ZN2at6native32elementwise_kernel_manual_unrollILi128ELi4EZNS0_15gpu_kernel_implIZZZNS0_17clamp_kernel_cudaERNS_18TensorIteratorBaseERKN3c106ScalarES8_ENKUlvE_clEvENKUlvE3_clEvEUlsE_EEvS4_RKT_EUlibE_EEviT1_.has_indirect_call, 0
	.section	.AMDGPU.csdata,"",@progbits
; Kernel info:
; codeLenInByte = 30016
; TotalNumSgprs: 54
; NumVgprs: 14
; NumAgprs: 0
; TotalNumVgprs: 14
; ScratchSize: 0
; MemoryBound: 1
; FloatMode: 240
; IeeeMode: 1
; LDSByteSize: 0 bytes/workgroup (compile time only)
; SGPRBlocks: 6
; VGPRBlocks: 1
; NumSGPRsForWavesPerEU: 54
; NumVGPRsForWavesPerEU: 14
; AccumOffset: 16
; Occupancy: 8
; WaveLimiterHint : 0
; COMPUTE_PGM_RSRC2:SCRATCH_EN: 0
; COMPUTE_PGM_RSRC2:USER_SGPR: 2
; COMPUTE_PGM_RSRC2:TRAP_HANDLER: 0
; COMPUTE_PGM_RSRC2:TGID_X_EN: 1
; COMPUTE_PGM_RSRC2:TGID_Y_EN: 0
; COMPUTE_PGM_RSRC2:TGID_Z_EN: 0
; COMPUTE_PGM_RSRC2:TIDIG_COMP_CNT: 0
; COMPUTE_PGM_RSRC3_GFX90A:ACCUM_OFFSET: 3
; COMPUTE_PGM_RSRC3_GFX90A:TG_SPLIT: 0
	.section	.text._ZN2at6native32elementwise_kernel_manual_unrollILi128ELi4EZNS0_15gpu_kernel_implIZZZNS0_17clamp_kernel_cudaERNS_18TensorIteratorBaseERKN3c106ScalarES8_ENKUlvE_clEvENKUlvE3_clEvEUlsE_EEvS4_RKT_EUlibE0_EEviT1_,"axG",@progbits,_ZN2at6native32elementwise_kernel_manual_unrollILi128ELi4EZNS0_15gpu_kernel_implIZZZNS0_17clamp_kernel_cudaERNS_18TensorIteratorBaseERKN3c106ScalarES8_ENKUlvE_clEvENKUlvE3_clEvEUlsE_EEvS4_RKT_EUlibE0_EEviT1_,comdat
	.globl	_ZN2at6native32elementwise_kernel_manual_unrollILi128ELi4EZNS0_15gpu_kernel_implIZZZNS0_17clamp_kernel_cudaERNS_18TensorIteratorBaseERKN3c106ScalarES8_ENKUlvE_clEvENKUlvE3_clEvEUlsE_EEvS4_RKT_EUlibE0_EEviT1_ ; -- Begin function _ZN2at6native32elementwise_kernel_manual_unrollILi128ELi4EZNS0_15gpu_kernel_implIZZZNS0_17clamp_kernel_cudaERNS_18TensorIteratorBaseERKN3c106ScalarES8_ENKUlvE_clEvENKUlvE3_clEvEUlsE_EEvS4_RKT_EUlibE0_EEviT1_
	.p2align	8
	.type	_ZN2at6native32elementwise_kernel_manual_unrollILi128ELi4EZNS0_15gpu_kernel_implIZZZNS0_17clamp_kernel_cudaERNS_18TensorIteratorBaseERKN3c106ScalarES8_ENKUlvE_clEvENKUlvE3_clEvEUlsE_EEvS4_RKT_EUlibE0_EEviT1_,@function
_ZN2at6native32elementwise_kernel_manual_unrollILi128ELi4EZNS0_15gpu_kernel_implIZZZNS0_17clamp_kernel_cudaERNS_18TensorIteratorBaseERKN3c106ScalarES8_ENKUlvE_clEvENKUlvE3_clEvEUlsE_EEvS4_RKT_EUlibE0_EEviT1_: ; @_ZN2at6native32elementwise_kernel_manual_unrollILi128ELi4EZNS0_15gpu_kernel_implIZZZNS0_17clamp_kernel_cudaERNS_18TensorIteratorBaseERKN3c106ScalarES8_ENKUlvE_clEvENKUlvE3_clEvEUlsE_EEvS4_RKT_EUlibE0_EEviT1_
; %bb.0:
	s_load_dword s72, s[0:1], 0x0
	s_load_dword s33, s[0:1], 0x8
	s_add_u32 s34, s0, 8
	s_addc_u32 s35, s1, 0
	v_lshl_or_b32 v8, s2, 9, v0
	v_or_b32_e32 v16, 0x180, v8
	s_waitcnt lgkmcnt(0)
	s_add_i32 s74, s33, -1
	s_cmp_gt_u32 s74, 1
	v_cmp_le_i32_e32 vcc, s72, v16
	s_cselect_b64 s[42:43], -1, 0
	s_mov_b64 s[40:41], 0
	s_mov_b64 s[24:25], 0
	s_and_saveexec_b64 s[2:3], vcc
	s_xor_b64 s[44:45], exec, s[2:3]
	s_cbranch_execz .LBB313_1074
; %bb.1:
	s_load_dwordx4 s[24:27], s[34:35], 0x4
	s_load_dwordx2 s[48:49], s[34:35], 0x14
	s_load_dwordx2 s[46:47], s[34:35], 0x158
	s_cmp_lg_u32 s33, 0
	s_load_dwordx4 s[28:31], s[34:35], 0xc4
	s_load_dwordx4 s[20:23], s[34:35], 0x148
	s_cselect_b64 s[54:55], -1, 0
	s_add_u32 s52, s34, 0xc4
	s_addc_u32 s53, s35, 0
	s_min_u32 s77, s74, 15
	s_cmp_gt_u32 s33, 1
	s_cselect_b64 s[50:51], -1, 0
	s_waitcnt lgkmcnt(0)
	s_lshr_b32 s75, s46, 16
	s_bfe_u32 s76, s47, 0x80008
	v_cmp_gt_i32_e32 vcc, s72, v8
	s_mov_b64 s[4:5], -1
	s_mov_b64 s[64:65], 0
	s_mov_b64 s[58:59], 0
	;; [unrolled: 1-line block ×3, first 2 shown]
	s_and_saveexec_b64 s[60:61], vcc
	s_cbranch_execz .LBB313_263
; %bb.2:
	s_andn2_b64 vcc, exec, s[42:43]
	s_cbranch_vccnz .LBB313_8
; %bb.3:
	s_andn2_b64 vcc, exec, s[54:55]
	s_cbranch_vccnz .LBB313_9
; %bb.4:
	s_add_i32 s59, s77, 1
	s_cmp_eq_u32 s74, 2
	s_cbranch_scc1 .LBB313_10
; %bb.5:
	s_and_b32 s58, s59, 28
	s_mov_b32 s62, 0
	v_mov_b32_e32 v0, 0
	v_mov_b32_e32 v2, 0
	s_mov_b64 s[2:3], s[34:35]
	s_mov_b64 s[56:57], s[52:53]
	v_mov_b32_e32 v4, v8
.LBB313_6:                              ; =>This Inner Loop Header: Depth=1
	s_load_dwordx8 s[12:19], s[2:3], 0x4
	s_load_dwordx4 s[36:39], s[2:3], 0x24
	s_load_dwordx8 s[4:11], s[56:57], 0x0
	s_add_u32 s2, s2, 48
	s_addc_u32 s3, s3, 0
	s_waitcnt lgkmcnt(0)
	v_mul_hi_u32 v1, s13, v4
	v_add_u32_e32 v1, v4, v1
	v_lshrrev_b32_e32 v1, s14, v1
	v_mul_lo_u32 v3, v1, s12
	v_mul_hi_u32 v5, s16, v1
	v_sub_u32_e32 v3, v4, v3
	v_add_u32_e32 v4, v1, v5
	v_lshrrev_b32_e32 v4, s17, v4
	v_mul_lo_u32 v6, v4, s15
	v_mul_hi_u32 v7, s19, v4
	v_sub_u32_e32 v1, v1, v6
	v_add_u32_e32 v6, v4, v7
	v_mul_lo_u32 v5, v3, s5
	v_mul_lo_u32 v3, v3, s4
	;; [unrolled: 1-line block ×4, first 2 shown]
	v_lshrrev_b32_e32 v6, s36, v6
	v_add3_u32 v0, v3, v0, v1
	v_mul_hi_u32 v3, s38, v6
	v_add3_u32 v1, v5, v2, v7
	v_mul_lo_u32 v2, v6, s18
	v_add_u32_e32 v3, v6, v3
	v_sub_u32_e32 v2, v4, v2
	v_lshrrev_b32_e32 v4, s39, v3
	s_add_i32 s62, s62, 4
	v_mul_lo_u32 v3, v4, s37
	s_add_u32 s56, s56, 32
	v_sub_u32_e32 v3, v6, v3
	s_addc_u32 s57, s57, 0
	v_mul_lo_u32 v5, v2, s8
	v_mul_lo_u32 v2, v2, s9
	;; [unrolled: 1-line block ×4, first 2 shown]
	s_cmp_lg_u32 s58, s62
	v_add3_u32 v2, v2, v1, v3
	v_add3_u32 v0, v5, v0, v6
	s_cbranch_scc1 .LBB313_6
; %bb.7:
	v_mov_b32_e32 v1, v2
	s_branch .LBB313_11
.LBB313_8:
                                        ; implicit-def: $vgpr2
                                        ; implicit-def: $vgpr0
	s_branch .LBB313_15
.LBB313_9:
	v_mov_b32_e32 v2, 0
	v_mov_b32_e32 v0, 0
	s_branch .LBB313_14
.LBB313_10:
	v_mov_b32_e32 v0, 0
	s_mov_b32 s58, 0
	v_mov_b32_e32 v1, v0
                                        ; implicit-def: $vgpr2
	v_mov_b32_e32 v4, v8
.LBB313_11:
	s_and_b32 s6, s59, 3
	s_cmp_eq_u32 s6, 0
	s_cbranch_scc1 .LBB313_14
; %bb.12:
	s_lshl_b32 s2, s58, 3
	s_add_u32 s2, s34, s2
	s_addc_u32 s3, s35, 0
	s_add_u32 s2, s2, 0xc4
	s_addc_u32 s3, s3, 0
	s_mul_i32 s4, s58, 12
	s_add_u32 s4, s34, s4
	s_addc_u32 s5, s35, 0
.LBB313_13:                             ; =>This Inner Loop Header: Depth=1
	s_load_dwordx2 s[8:9], s[4:5], 0x4
	s_load_dword s7, s[4:5], 0xc
	s_load_dwordx2 s[10:11], s[2:3], 0x0
	v_mov_b32_e32 v2, v1
	s_add_u32 s4, s4, 12
	s_waitcnt lgkmcnt(0)
	v_mul_hi_u32 v1, s9, v4
	v_add_u32_e32 v1, v4, v1
	v_lshrrev_b32_e32 v1, s7, v1
	s_addc_u32 s5, s5, 0
	v_mul_lo_u32 v3, v1, s8
	s_add_u32 s2, s2, 8
	v_sub_u32_e32 v5, v4, v3
	s_addc_u32 s3, s3, 0
	s_add_i32 s6, s6, -1
	v_mov_b32_e32 v4, v1
	v_mad_u64_u32 v[2:3], s[8:9], v5, s11, v[2:3]
	v_mad_u64_u32 v[0:1], s[8:9], v5, s10, v[0:1]
	s_cmp_lg_u32 s6, 0
	v_mov_b32_e32 v1, v2
	s_cbranch_scc1 .LBB313_13
.LBB313_14:
	s_cbranch_execnz .LBB313_17
.LBB313_15:
	v_mul_hi_u32 v0, s25, v8
	v_add_u32_e32 v0, v8, v0
	v_lshrrev_b32_e32 v1, s26, v0
	v_mul_lo_u32 v0, v1, s24
	v_sub_u32_e32 v0, v8, v0
	v_mul_lo_u32 v2, v0, s29
	s_andn2_b64 vcc, exec, s[50:51]
	v_mul_lo_u32 v0, v0, s28
	s_cbranch_vccnz .LBB313_17
; %bb.16:
	v_mul_hi_u32 v3, s48, v1
	v_add_u32_e32 v3, v1, v3
	v_lshrrev_b32_e32 v3, s49, v3
	v_mul_lo_u32 v3, v3, s27
	v_sub_u32_e32 v3, v1, v3
	v_mad_u64_u32 v[0:1], s[2:3], v3, s30, v[0:1]
	v_mad_u64_u32 v[2:3], s[2:3], v3, s31, v[2:3]
.LBB313_17:
	v_mov_b32_e32 v3, 0
	s_and_b32 s8, 0xffff, s76
	s_cmp_lt_i32 s8, 11
	v_lshl_add_u64 v[2:3], s[22:23], 0, v[2:3]
	s_cbranch_scc1 .LBB313_24
; %bb.18:
	s_cmp_gt_i32 s8, 25
	s_cbranch_scc0 .LBB313_33
; %bb.19:
	s_cmp_gt_i32 s8, 28
	s_cbranch_scc0 .LBB313_36
	;; [unrolled: 3-line block ×4, first 2 shown]
; %bb.22:
	s_cmp_eq_u32 s8, 46
	s_mov_b64 s[6:7], 0
	s_cbranch_scc0 .LBB313_42
; %bb.23:
	global_load_dword v1, v[2:3], off
	s_mov_b64 s[2:3], -1
	s_mov_b64 s[4:5], 0
	s_waitcnt vmcnt(0)
	v_lshlrev_b32_e32 v1, 16, v1
	v_cvt_i32_f32_e32 v4, v1
	s_branch .LBB313_44
.LBB313_24:
	s_mov_b64 s[4:5], 0
                                        ; implicit-def: $vgpr4
	s_mov_b64 s[2:3], 0
	s_cbranch_execnz .LBB313_213
.LBB313_25:
	s_andn2_b64 vcc, exec, s[2:3]
	s_cbranch_vccnz .LBB313_260
.LBB313_26:
	s_waitcnt vmcnt(0)
	v_max_i16_e32 v1, s46, v4
	v_min_i16_e32 v4, s75, v1
	v_mov_b32_e32 v1, 0
	s_and_b32 s12, s47, 0xff
	s_cmp_lt_i32 s12, 11
	v_lshl_add_u64 v[0:1], s[20:21], 0, v[0:1]
	s_cbranch_scc1 .LBB313_34
; %bb.27:
	s_and_b32 s13, 0xffff, s12
	s_cmp_gt_i32 s13, 25
	s_cbranch_scc0 .LBB313_37
; %bb.28:
	s_cmp_gt_i32 s13, 28
	s_cbranch_scc0 .LBB313_39
; %bb.29:
	;; [unrolled: 3-line block ×4, first 2 shown]
	s_mov_b64 s[8:9], 0
	s_mov_b64 s[2:3], -1
	s_cmp_eq_u32 s13, 46
	s_mov_b64 s[6:7], 0
	s_cbranch_scc0 .LBB313_48
; %bb.32:
	v_cvt_f32_i32_sdwa v2, sext(v4) dst_sel:DWORD dst_unused:UNUSED_PAD src0_sel:WORD_0
	s_movk_i32 s2, 0x7fff
	s_mov_b64 s[6:7], -1
	v_bfe_u32 v3, v2, 16, 1
	v_add3_u32 v2, v2, v3, s2
	v_lshrrev_b32_e32 v2, 16, v2
	global_store_dword v[0:1], v2, off
	s_mov_b64 s[2:3], 0
	s_branch .LBB313_48
.LBB313_33:
	s_mov_b64 s[4:5], 0
	s_mov_b64 s[2:3], 0
                                        ; implicit-def: $vgpr4
	s_cbranch_execnz .LBB313_180
	s_branch .LBB313_212
.LBB313_34:
	s_mov_b64 s[2:3], 0
	s_mov_b64 s[6:7], 0
	s_cbranch_execnz .LBB313_117
.LBB313_35:
	s_andn2_b64 vcc, exec, s[6:7]
	s_cbranch_vccnz .LBB313_261
	s_branch .LBB313_155
.LBB313_36:
	s_mov_b64 s[6:7], -1
	s_mov_b64 s[4:5], 0
	s_mov_b64 s[2:3], 0
                                        ; implicit-def: $vgpr4
	s_branch .LBB313_163
.LBB313_37:
	s_mov_b64 s[8:9], -1
	s_mov_b64 s[2:3], 0
	s_mov_b64 s[6:7], 0
	s_branch .LBB313_75
.LBB313_38:
	s_mov_b64 s[6:7], -1
	s_mov_b64 s[4:5], 0
	s_mov_b64 s[2:3], 0
                                        ; implicit-def: $vgpr4
	s_branch .LBB313_158
.LBB313_39:
	s_mov_b64 s[8:9], -1
	s_mov_b64 s[2:3], 0
	s_mov_b64 s[6:7], 0
	s_branch .LBB313_58
.LBB313_40:
	s_mov_b64 s[6:7], -1
	s_mov_b64 s[4:5], 0
	s_branch .LBB313_43
.LBB313_41:
	s_mov_b64 s[8:9], -1
	s_mov_b64 s[2:3], 0
	s_mov_b64 s[6:7], 0
	s_branch .LBB313_54
.LBB313_42:
	s_mov_b64 s[4:5], -1
.LBB313_43:
	s_mov_b64 s[2:3], 0
                                        ; implicit-def: $vgpr4
.LBB313_44:
	s_and_b64 vcc, exec, s[6:7]
	s_cbranch_vccz .LBB313_157
; %bb.45:
	s_cmp_eq_u32 s8, 44
	s_cbranch_scc0 .LBB313_156
; %bb.46:
	global_load_ubyte v1, v[2:3], off
	s_mov_b64 s[2:3], -1
	s_mov_b64 s[4:5], 0
	s_waitcnt vmcnt(0)
	v_lshlrev_b32_e32 v4, 23, v1
	v_cvt_i32_f32_e32 v4, v4
	v_cmp_ne_u32_e32 vcc, 0, v1
	s_nop 1
	v_cndmask_b32_e32 v4, 0, v4, vcc
	s_branch .LBB313_157
.LBB313_47:
	s_mov_b64 s[8:9], -1
	s_mov_b64 s[2:3], 0
	s_mov_b64 s[6:7], 0
.LBB313_48:
	s_and_b64 vcc, exec, s[8:9]
	s_cbranch_vccz .LBB313_53
; %bb.49:
	s_cmp_eq_u32 s13, 44
	s_mov_b64 s[2:3], -1
	s_cbranch_scc0 .LBB313_53
; %bb.50:
	v_cvt_f32_i32_sdwa v2, sext(v4) dst_sel:DWORD dst_unused:UNUSED_PAD src0_sel:WORD_0
	s_movk_i32 s2, 0xff
	v_mov_b32_e32 v5, 0xff
	v_bfe_u32 v3, v2, 23, 8
	v_cmp_ne_u32_e32 vcc, s2, v3
	s_and_saveexec_b64 s[6:7], vcc
; %bb.51:
	s_mov_b32 s2, 0x3fffff
	v_lshrrev_b32_e32 v5, 23, v2
	v_and_b32_e32 v6, 0x400000, v2
	v_and_or_b32 v2, v2, s2, v3
	v_cmp_ne_u32_e32 vcc, 0, v6
	v_cmp_ne_u32_e64 s[2:3], 0, v2
	s_and_b64 s[2:3], vcc, s[2:3]
	s_nop 0
	v_cndmask_b32_e64 v2, 0, 1, s[2:3]
	v_add_u32_e32 v5, v5, v2
; %bb.52:
	s_or_b64 exec, exec, s[6:7]
	s_mov_b64 s[6:7], -1
	s_mov_b64 s[2:3], 0
	global_store_byte v[0:1], v5, off
.LBB313_53:
	s_mov_b64 s[8:9], 0
.LBB313_54:
	s_and_b64 vcc, exec, s[8:9]
	s_cbranch_vccz .LBB313_57
; %bb.55:
	s_cmp_eq_u32 s13, 29
	s_mov_b64 s[2:3], -1
	s_cbranch_scc0 .LBB313_57
; %bb.56:
	v_bfe_i32 v2, v4, 0, 16
	v_ashrrev_i32_e32 v3, 31, v2
	global_store_dwordx2 v[0:1], v[2:3], off
	s_mov_b64 s[6:7], -1
	s_mov_b64 s[2:3], 0
.LBB313_57:
	s_mov_b64 s[8:9], 0
.LBB313_58:
	s_and_b64 vcc, exec, s[8:9]
	s_cbranch_vccz .LBB313_74
; %bb.59:
	s_cmp_lt_i32 s13, 27
	s_mov_b64 s[6:7], -1
	s_cbranch_scc1 .LBB313_65
; %bb.60:
	s_cmp_gt_i32 s13, 27
	s_cbranch_scc0 .LBB313_62
; %bb.61:
	v_bfe_i32 v2, v4, 0, 16
	s_mov_b64 s[6:7], 0
	global_store_dword v[0:1], v2, off
.LBB313_62:
	s_andn2_b64 vcc, exec, s[6:7]
	s_cbranch_vccnz .LBB313_64
; %bb.63:
	global_store_short v[0:1], v4, off
.LBB313_64:
	s_mov_b64 s[6:7], 0
.LBB313_65:
	s_andn2_b64 vcc, exec, s[6:7]
	s_cbranch_vccnz .LBB313_73
; %bb.66:
	v_cvt_f32_i32_sdwa v2, sext(v4) dst_sel:DWORD dst_unused:UNUSED_PAD src0_sel:WORD_0
	s_mov_b32 s6, 0x43800000
	v_mov_b32_e32 v5, 0x80
	v_and_b32_e32 v3, 0x7fffffff, v2
	v_cmp_gt_u32_e32 vcc, s6, v3
	s_and_saveexec_b64 s[6:7], vcc
	s_cbranch_execz .LBB313_72
; %bb.67:
	s_mov_b32 s8, 0x3bffffff
	v_cmp_lt_u32_e32 vcc, s8, v3
	s_mov_b64 s[8:9], 0
                                        ; implicit-def: $vgpr3
	s_and_saveexec_b64 s[10:11], vcc
	s_xor_b64 s[10:11], exec, s[10:11]
	s_cbranch_execz .LBB313_305
; %bb.68:
	v_bfe_u32 v3, v2, 20, 1
	s_mov_b32 s14, 0x487ffff
	v_add3_u32 v3, v2, v3, s14
	s_mov_b64 s[8:9], exec
	v_lshrrev_b32_e32 v3, 20, v3
	s_andn2_saveexec_b64 s[10:11], s[10:11]
	s_cbranch_execnz .LBB313_306
.LBB313_69:
	s_or_b64 exec, exec, s[10:11]
	v_mov_b32_e32 v5, 0
	s_and_saveexec_b64 s[10:11], s[8:9]
.LBB313_70:
	v_lshrrev_b32_e32 v2, 24, v2
	s_movk_i32 s8, 0x80
	v_and_or_b32 v5, v2, s8, v3
.LBB313_71:
	s_or_b64 exec, exec, s[10:11]
.LBB313_72:
	s_or_b64 exec, exec, s[6:7]
	global_store_byte v[0:1], v5, off
.LBB313_73:
	s_mov_b64 s[6:7], -1
.LBB313_74:
	s_mov_b64 s[8:9], 0
.LBB313_75:
	s_and_b64 vcc, exec, s[8:9]
	s_cbranch_vccz .LBB313_116
; %bb.76:
	s_cmp_gt_i32 s13, 22
	s_mov_b64 s[8:9], -1
	s_cbranch_scc0 .LBB313_108
; %bb.77:
	s_cmp_lt_i32 s13, 24
	s_mov_b64 s[6:7], -1
	s_cbranch_scc1 .LBB313_97
; %bb.78:
	s_cmp_gt_i32 s13, 24
	s_cbranch_scc0 .LBB313_86
; %bb.79:
	v_cvt_f32_i32_sdwa v2, sext(v4) dst_sel:DWORD dst_unused:UNUSED_PAD src0_sel:WORD_0
	s_mov_b32 s6, 0x47800000
	v_mov_b32_e32 v5, 0x80
	v_and_b32_e32 v3, 0x7fffffff, v2
	v_cmp_gt_u32_e32 vcc, s6, v3
	s_and_saveexec_b64 s[6:7], vcc
	s_cbranch_execz .LBB313_85
; %bb.80:
	s_mov_b32 s8, 0x37ffffff
	v_cmp_lt_u32_e32 vcc, s8, v3
	s_mov_b64 s[8:9], 0
                                        ; implicit-def: $vgpr3
	s_and_saveexec_b64 s[10:11], vcc
	s_xor_b64 s[10:11], exec, s[10:11]
	s_cbranch_execz .LBB313_309
; %bb.81:
	v_bfe_u32 v3, v2, 21, 1
	s_mov_b32 s14, 0x88fffff
	v_add3_u32 v3, v2, v3, s14
	s_mov_b64 s[8:9], exec
	v_lshrrev_b32_e32 v3, 21, v3
	s_andn2_saveexec_b64 s[10:11], s[10:11]
	s_cbranch_execnz .LBB313_310
.LBB313_82:
	s_or_b64 exec, exec, s[10:11]
	v_mov_b32_e32 v5, 0
	s_and_saveexec_b64 s[10:11], s[8:9]
.LBB313_83:
	v_lshrrev_b32_e32 v2, 24, v2
	s_movk_i32 s8, 0x80
	v_and_or_b32 v5, v2, s8, v3
.LBB313_84:
	s_or_b64 exec, exec, s[10:11]
.LBB313_85:
	s_or_b64 exec, exec, s[6:7]
	s_mov_b64 s[6:7], 0
	global_store_byte v[0:1], v5, off
.LBB313_86:
	s_and_b64 vcc, exec, s[6:7]
	s_cbranch_vccz .LBB313_96
; %bb.87:
	v_cvt_f32_i32_sdwa v2, sext(v4) dst_sel:DWORD dst_unused:UNUSED_PAD src0_sel:WORD_0
	s_mov_b32 s6, 0x43f00000
                                        ; implicit-def: $vgpr3
	v_and_b32_e32 v5, 0x7fffffff, v2
	v_cmp_gt_u32_e32 vcc, s6, v5
	s_and_saveexec_b64 s[6:7], vcc
	s_xor_b64 s[6:7], exec, s[6:7]
	s_cbranch_execz .LBB313_93
; %bb.88:
	s_mov_b32 s8, 0x3c7fffff
	v_cmp_lt_u32_e32 vcc, s8, v5
                                        ; implicit-def: $vgpr3
	s_and_saveexec_b64 s[8:9], vcc
	s_xor_b64 s[8:9], exec, s[8:9]
; %bb.89:
	v_bfe_u32 v3, v2, 20, 1
	s_mov_b32 s10, 0x407ffff
	v_add3_u32 v3, v2, v3, s10
	v_lshrrev_b32_e32 v5, 20, v3
	v_and_b32_e32 v3, 0xff00000, v3
	s_mov_b32 s10, 0x7f00000
	v_mov_b32_e32 v6, 0x7e
	v_cmp_ne_u32_e32 vcc, s10, v3
	s_nop 1
	v_cndmask_b32_e32 v3, v6, v5, vcc
; %bb.90:
	s_andn2_saveexec_b64 s[8:9], s[8:9]
; %bb.91:
	s_mov_b32 s10, 0x46800000
	v_add_f32_e64 v3, |v2|, s10
; %bb.92:
	s_or_b64 exec, exec, s[8:9]
                                        ; implicit-def: $vgpr5
.LBB313_93:
	s_andn2_saveexec_b64 s[6:7], s[6:7]
; %bb.94:
	s_mov_b32 s8, 0x7f800000
	v_mov_b32_e32 v3, 0x7e
	v_mov_b32_e32 v6, 0x7f
	v_cmp_lt_u32_e32 vcc, s8, v5
	s_nop 1
	v_cndmask_b32_e32 v3, v3, v6, vcc
; %bb.95:
	s_or_b64 exec, exec, s[6:7]
	v_lshrrev_b32_e32 v2, 24, v2
	s_movk_i32 s6, 0x80
	v_and_or_b32 v2, v2, s6, v3
	global_store_byte v[0:1], v2, off
.LBB313_96:
	s_mov_b64 s[6:7], 0
.LBB313_97:
	s_andn2_b64 vcc, exec, s[6:7]
	s_cbranch_vccnz .LBB313_107
; %bb.98:
	v_cvt_f32_i32_sdwa v2, sext(v4) dst_sel:DWORD dst_unused:UNUSED_PAD src0_sel:WORD_0
	s_mov_b32 s6, 0x47800000
                                        ; implicit-def: $vgpr3
	v_and_b32_e32 v5, 0x7fffffff, v2
	v_cmp_gt_u32_e32 vcc, s6, v5
	s_and_saveexec_b64 s[6:7], vcc
	s_xor_b64 s[6:7], exec, s[6:7]
	s_cbranch_execz .LBB313_104
; %bb.99:
	s_mov_b32 s8, 0x387fffff
	v_cmp_lt_u32_e32 vcc, s8, v5
                                        ; implicit-def: $vgpr3
	s_and_saveexec_b64 s[8:9], vcc
	s_xor_b64 s[8:9], exec, s[8:9]
; %bb.100:
	v_bfe_u32 v3, v2, 21, 1
	s_mov_b32 s10, 0x80fffff
	v_add3_u32 v3, v2, v3, s10
	v_lshrrev_b32_e32 v3, 21, v3
; %bb.101:
	s_andn2_saveexec_b64 s[8:9], s[8:9]
; %bb.102:
	s_mov_b32 s10, 0x43000000
	v_add_f32_e64 v3, |v2|, s10
; %bb.103:
	s_or_b64 exec, exec, s[8:9]
                                        ; implicit-def: $vgpr5
.LBB313_104:
	s_andn2_saveexec_b64 s[6:7], s[6:7]
; %bb.105:
	s_mov_b32 s8, 0x7f800000
	v_mov_b32_e32 v3, 0x7c
	v_mov_b32_e32 v6, 0x7f
	v_cmp_lt_u32_e32 vcc, s8, v5
	s_nop 1
	v_cndmask_b32_e32 v3, v3, v6, vcc
; %bb.106:
	s_or_b64 exec, exec, s[6:7]
	v_lshrrev_b32_e32 v2, 24, v2
	s_movk_i32 s6, 0x80
	v_and_or_b32 v2, v2, s6, v3
	global_store_byte v[0:1], v2, off
.LBB313_107:
	s_mov_b64 s[8:9], 0
	s_mov_b64 s[6:7], -1
.LBB313_108:
	s_andn2_b64 vcc, exec, s[8:9]
	s_cbranch_vccnz .LBB313_116
; %bb.109:
	s_cmp_gt_i32 s13, 14
	s_mov_b64 s[8:9], -1
	s_cbranch_scc0 .LBB313_113
; %bb.110:
	s_cmp_eq_u32 s13, 15
	s_mov_b64 s[2:3], -1
	s_cbranch_scc0 .LBB313_112
; %bb.111:
	v_cvt_f32_i32_sdwa v2, sext(v4) dst_sel:DWORD dst_unused:UNUSED_PAD src0_sel:WORD_0
	s_movk_i32 s2, 0x7fff
	s_mov_b64 s[6:7], -1
	v_bfe_u32 v3, v2, 16, 1
	v_add3_u32 v2, v2, v3, s2
	global_store_short_d16_hi v[0:1], v2, off
	s_mov_b64 s[2:3], 0
.LBB313_112:
	s_mov_b64 s[8:9], 0
.LBB313_113:
	s_and_b64 vcc, exec, s[8:9]
	s_cbranch_vccz .LBB313_116
; %bb.114:
	s_cmp_eq_u32 s13, 11
	s_mov_b64 s[2:3], -1
	s_cbranch_scc0 .LBB313_116
; %bb.115:
	v_cmp_ne_u16_e32 vcc, 0, v4
	s_mov_b64 s[6:7], -1
	s_mov_b64 s[2:3], 0
	v_cndmask_b32_e64 v2, 0, 1, vcc
	global_store_byte v[0:1], v2, off
.LBB313_116:
	s_branch .LBB313_35
.LBB313_117:
	s_and_b32 s8, 0xffff, s12
	s_cmp_lt_i32 s8, 5
	s_mov_b64 s[6:7], -1
	s_cbranch_scc1 .LBB313_138
; %bb.118:
	s_cmp_lt_i32 s8, 8
	s_cbranch_scc1 .LBB313_128
; %bb.119:
	s_cmp_lt_i32 s8, 9
	s_cbranch_scc1 .LBB313_125
; %bb.120:
	s_cmp_gt_i32 s8, 9
	s_cbranch_scc0 .LBB313_122
; %bb.121:
	v_bfe_i32 v2, v4, 0, 16
	v_mov_b32_e32 v12, 0
	v_cvt_f64_i32_e32 v[10:11], v2
	v_mov_b32_e32 v13, v12
	global_store_dwordx4 v[0:1], v[10:13], off
	s_mov_b64 s[6:7], 0
.LBB313_122:
	s_andn2_b64 vcc, exec, s[6:7]
	s_cbranch_vccnz .LBB313_124
; %bb.123:
	v_cvt_f32_i32_sdwa v2, sext(v4) dst_sel:DWORD dst_unused:UNUSED_PAD src0_sel:WORD_0
	v_mov_b32_e32 v3, 0
	global_store_dwordx2 v[0:1], v[2:3], off
.LBB313_124:
	s_mov_b64 s[6:7], 0
.LBB313_125:
	s_andn2_b64 vcc, exec, s[6:7]
	s_cbranch_vccnz .LBB313_127
; %bb.126:
	v_cvt_f16_i16_e32 v2, v4
	global_store_dword v[0:1], v2, off
.LBB313_127:
	s_mov_b64 s[6:7], 0
.LBB313_128:
	s_andn2_b64 vcc, exec, s[6:7]
	s_cbranch_vccnz .LBB313_137
; %bb.129:
	s_cmp_lt_i32 s8, 6
	s_mov_b64 s[6:7], -1
	s_cbranch_scc1 .LBB313_135
; %bb.130:
	s_cmp_gt_i32 s8, 6
	s_cbranch_scc0 .LBB313_132
; %bb.131:
	v_bfe_i32 v2, v4, 0, 16
	v_cvt_f64_i32_e32 v[2:3], v2
	global_store_dwordx2 v[0:1], v[2:3], off
	s_mov_b64 s[6:7], 0
.LBB313_132:
	s_andn2_b64 vcc, exec, s[6:7]
	s_cbranch_vccnz .LBB313_134
; %bb.133:
	v_cvt_f32_i32_sdwa v2, sext(v4) dst_sel:DWORD dst_unused:UNUSED_PAD src0_sel:WORD_0
	global_store_dword v[0:1], v2, off
.LBB313_134:
	s_mov_b64 s[6:7], 0
.LBB313_135:
	s_andn2_b64 vcc, exec, s[6:7]
	s_cbranch_vccnz .LBB313_137
; %bb.136:
	v_cvt_f16_i16_e32 v2, v4
	global_store_short v[0:1], v2, off
.LBB313_137:
	s_mov_b64 s[6:7], 0
.LBB313_138:
	s_andn2_b64 vcc, exec, s[6:7]
	s_cbranch_vccnz .LBB313_154
; %bb.139:
	s_cmp_lt_i32 s8, 2
	s_mov_b64 s[6:7], -1
	s_cbranch_scc1 .LBB313_149
; %bb.140:
	s_cmp_lt_i32 s8, 3
	s_cbranch_scc1 .LBB313_146
; %bb.141:
	s_cmp_gt_i32 s8, 3
	v_bfe_i32 v2, v4, 0, 16
	s_cbranch_scc0 .LBB313_143
; %bb.142:
	v_ashrrev_i32_e32 v3, 31, v2
	global_store_dwordx2 v[0:1], v[2:3], off
	s_mov_b64 s[6:7], 0
.LBB313_143:
	s_andn2_b64 vcc, exec, s[6:7]
	s_cbranch_vccnz .LBB313_145
; %bb.144:
	global_store_dword v[0:1], v2, off
.LBB313_145:
	s_mov_b64 s[6:7], 0
.LBB313_146:
	s_andn2_b64 vcc, exec, s[6:7]
	s_cbranch_vccnz .LBB313_148
; %bb.147:
	global_store_short v[0:1], v4, off
.LBB313_148:
	s_mov_b64 s[6:7], 0
.LBB313_149:
	s_andn2_b64 vcc, exec, s[6:7]
	s_cbranch_vccnz .LBB313_154
; %bb.150:
	s_cmp_gt_i32 s8, 0
	s_mov_b64 s[6:7], -1
	s_cbranch_scc0 .LBB313_152
; %bb.151:
	global_store_byte v[0:1], v4, off
	s_mov_b64 s[6:7], 0
.LBB313_152:
	s_andn2_b64 vcc, exec, s[6:7]
	s_cbranch_vccnz .LBB313_154
; %bb.153:
	global_store_byte v[0:1], v4, off
.LBB313_154:
.LBB313_155:
	v_add_u32_e32 v8, 0x80, v8
	s_mov_b64 s[6:7], -1
	s_branch .LBB313_262
.LBB313_156:
	s_mov_b64 s[4:5], -1
                                        ; implicit-def: $vgpr4
.LBB313_157:
	s_mov_b64 s[6:7], 0
.LBB313_158:
	s_and_b64 vcc, exec, s[6:7]
	s_cbranch_vccz .LBB313_162
; %bb.159:
	s_cmp_eq_u32 s8, 29
	s_cbranch_scc0 .LBB313_161
; %bb.160:
	global_load_dwordx2 v[4:5], v[2:3], off
	s_mov_b64 s[2:3], -1
	s_mov_b64 s[4:5], 0
	s_branch .LBB313_162
.LBB313_161:
	s_mov_b64 s[4:5], -1
                                        ; implicit-def: $vgpr4
.LBB313_162:
	s_mov_b64 s[6:7], 0
.LBB313_163:
	s_and_b64 vcc, exec, s[6:7]
	s_cbranch_vccz .LBB313_179
; %bb.164:
	s_cmp_lt_i32 s8, 27
	s_cbranch_scc1 .LBB313_167
; %bb.165:
	s_cmp_gt_i32 s8, 27
	s_cbranch_scc0 .LBB313_168
; %bb.166:
	global_load_dword v4, v[2:3], off
	s_mov_b64 s[2:3], 0
	s_branch .LBB313_169
.LBB313_167:
	s_mov_b64 s[2:3], -1
                                        ; implicit-def: $vgpr4
	s_branch .LBB313_172
.LBB313_168:
	s_mov_b64 s[2:3], -1
                                        ; implicit-def: $vgpr4
.LBB313_169:
	s_andn2_b64 vcc, exec, s[2:3]
	s_cbranch_vccnz .LBB313_171
; %bb.170:
	global_load_ushort v4, v[2:3], off
.LBB313_171:
	s_mov_b64 s[2:3], 0
.LBB313_172:
	s_andn2_b64 vcc, exec, s[2:3]
	s_cbranch_vccnz .LBB313_178
; %bb.173:
	global_load_ubyte v1, v[2:3], off
	s_movk_i32 s2, 0x7f
	s_mov_b64 s[6:7], 0
	s_waitcnt vmcnt(0)
	v_cmp_lt_i16_e32 vcc, s2, v1
	s_and_saveexec_b64 s[2:3], vcc
	s_xor_b64 s[2:3], exec, s[2:3]
	s_cbranch_execz .LBB313_189
; %bb.174:
	s_movk_i32 s6, 0x80
	v_cmp_ne_u16_e32 vcc, s6, v1
	s_and_b64 s[6:7], vcc, exec
	s_andn2_saveexec_b64 s[2:3], s[2:3]
	s_cbranch_execnz .LBB313_190
.LBB313_175:
	s_or_b64 exec, exec, s[2:3]
	v_mov_b32_e32 v4, 0
	s_and_saveexec_b64 s[2:3], s[6:7]
	s_cbranch_execz .LBB313_177
.LBB313_176:
	v_lshlrev_b32_e32 v4, 24, v1
	v_and_b32_e32 v1, 0xffff, v1
	v_and_b32_e32 v5, 7, v1
	v_ffbh_u32_e32 v7, v5
	v_min_u32_e32 v7, 32, v7
	v_subrev_u32_e32 v9, 28, v7
	v_bfe_u32 v6, v1, 3, 4
	v_lshlrev_b32_e32 v1, v9, v1
	v_sub_u32_e32 v7, 29, v7
	v_and_b32_e32 v1, 7, v1
	v_cmp_eq_u32_e32 vcc, 0, v6
	v_and_b32_e32 v4, 0x80000000, v4
	s_nop 0
	v_cndmask_b32_e32 v6, v6, v7, vcc
	v_cndmask_b32_e32 v1, v5, v1, vcc
	v_mov_b32_e32 v5, 0x3b800000
	v_lshlrev_b32_e32 v1, 20, v1
	v_lshl_add_u32 v5, v6, 23, v5
	v_or3_b32 v1, v4, v5, v1
	v_cvt_i32_f32_e32 v4, v1
.LBB313_177:
	s_or_b64 exec, exec, s[2:3]
.LBB313_178:
	s_mov_b64 s[2:3], -1
.LBB313_179:
	s_branch .LBB313_212
.LBB313_180:
	s_cmp_gt_i32 s8, 22
	s_cbranch_scc0 .LBB313_188
; %bb.181:
	s_cmp_lt_i32 s8, 24
	s_cbranch_scc1 .LBB313_191
; %bb.182:
	s_cmp_gt_i32 s8, 24
	s_cbranch_scc0 .LBB313_192
; %bb.183:
	global_load_ubyte v1, v[2:3], off
	s_movk_i32 s2, 0x7f
	s_mov_b64 s[6:7], 0
	s_waitcnt vmcnt(0)
	v_cmp_lt_i16_e32 vcc, s2, v1
	s_and_saveexec_b64 s[2:3], vcc
	s_xor_b64 s[2:3], exec, s[2:3]
	s_cbranch_execz .LBB313_204
; %bb.184:
	s_movk_i32 s6, 0x80
	v_cmp_ne_u16_e32 vcc, s6, v1
	s_and_b64 s[6:7], vcc, exec
	s_andn2_saveexec_b64 s[2:3], s[2:3]
	s_cbranch_execnz .LBB313_205
.LBB313_185:
	s_or_b64 exec, exec, s[2:3]
	v_mov_b32_e32 v4, 0
	s_and_saveexec_b64 s[2:3], s[6:7]
	s_cbranch_execz .LBB313_187
.LBB313_186:
	v_lshlrev_b32_e32 v4, 24, v1
	v_and_b32_e32 v1, 0xffff, v1
	v_and_b32_e32 v5, 3, v1
	v_ffbh_u32_e32 v7, v5
	v_min_u32_e32 v7, 32, v7
	v_subrev_u32_e32 v9, 29, v7
	v_bfe_u32 v6, v1, 2, 5
	v_lshlrev_b32_e32 v1, v9, v1
	v_sub_u32_e32 v7, 30, v7
	v_and_b32_e32 v1, 3, v1
	v_cmp_eq_u32_e32 vcc, 0, v6
	v_and_b32_e32 v4, 0x80000000, v4
	s_nop 0
	v_cndmask_b32_e32 v6, v6, v7, vcc
	v_cndmask_b32_e32 v1, v5, v1, vcc
	v_mov_b32_e32 v5, 0x37800000
	v_lshlrev_b32_e32 v1, 21, v1
	v_lshl_add_u32 v5, v6, 23, v5
	v_or3_b32 v1, v4, v5, v1
	v_cvt_i32_f32_e32 v4, v1
.LBB313_187:
	s_or_b64 exec, exec, s[2:3]
	s_mov_b64 s[2:3], 0
	s_branch .LBB313_193
.LBB313_188:
	s_mov_b64 s[6:7], -1
                                        ; implicit-def: $vgpr4
	s_branch .LBB313_199
.LBB313_189:
	s_andn2_saveexec_b64 s[2:3], s[2:3]
	s_cbranch_execz .LBB313_175
.LBB313_190:
	v_cmp_ne_u16_e32 vcc, 0, v1
	s_andn2_b64 s[6:7], s[6:7], exec
	s_and_b64 s[10:11], vcc, exec
	s_or_b64 s[6:7], s[6:7], s[10:11]
	s_or_b64 exec, exec, s[2:3]
	v_mov_b32_e32 v4, 0
	s_and_saveexec_b64 s[2:3], s[6:7]
	s_cbranch_execnz .LBB313_176
	s_branch .LBB313_177
.LBB313_191:
	s_mov_b64 s[2:3], -1
                                        ; implicit-def: $vgpr4
	s_branch .LBB313_196
.LBB313_192:
	s_mov_b64 s[2:3], -1
                                        ; implicit-def: $vgpr4
.LBB313_193:
	s_and_b64 vcc, exec, s[2:3]
	s_cbranch_vccz .LBB313_195
; %bb.194:
	global_load_ubyte v1, v[2:3], off
	s_mov_b32 s2, 0x7f800000
	s_waitcnt vmcnt(0)
	v_lshlrev_b32_e32 v1, 24, v1
	v_and_b32_e32 v4, 0x7f000000, v1
	v_ffbh_u32_e32 v5, v4
	v_min_u32_e32 v5, 32, v5
	v_sub_u32_e64 v5, v5, 4 clamp
	v_lshlrev_b32_e32 v7, v5, v4
	v_lshlrev_b32_e32 v5, 23, v5
	v_lshrrev_b32_e32 v7, 4, v7
	v_add_u32_e32 v6, 0x1000000, v4
	v_sub_u32_e32 v5, v7, v5
	v_ashrrev_i32_e32 v6, 8, v6
	v_add_u32_e32 v5, 0x3c000000, v5
	v_and_or_b32 v5, v6, s2, v5
	v_cmp_ne_u32_e32 vcc, 0, v4
	s_brev_b32 s2, 1
	s_nop 0
	v_cndmask_b32_e32 v4, 0, v5, vcc
	v_and_or_b32 v1, v1, s2, v4
	v_cvt_i32_f32_e32 v4, v1
.LBB313_195:
	s_mov_b64 s[2:3], 0
.LBB313_196:
	s_andn2_b64 vcc, exec, s[2:3]
	s_cbranch_vccnz .LBB313_198
; %bb.197:
	global_load_ubyte v1, v[2:3], off
	s_movk_i32 s2, 0x7f00
	s_brev_b32 s3, 16
	s_waitcnt vmcnt(0)
	v_lshlrev_b16_e32 v4, 8, v1
	v_lshlrev_b32_e32 v1, 25, v1
	v_lshrrev_b32_e32 v5, 4, v1
	v_and_or_b32 v6, v4, s2, 0.5
	v_or_b32_e32 v5, 0x70000000, v5
	v_add_f32_e32 v6, -0.5, v6
	v_mul_f32_e32 v5, 0x7800000, v5
	v_cmp_gt_u32_e32 vcc, s3, v1
	v_bfe_i32 v4, v4, 0, 16
	s_brev_b32 s2, 1
	v_cndmask_b32_e32 v1, v5, v6, vcc
	v_and_or_b32 v1, v4, s2, v1
	v_cvt_i32_f32_e32 v4, v1
.LBB313_198:
	s_mov_b64 s[6:7], 0
	s_mov_b64 s[2:3], -1
.LBB313_199:
	s_andn2_b64 vcc, exec, s[6:7]
	s_cbranch_vccnz .LBB313_212
; %bb.200:
	s_cmp_gt_i32 s8, 14
	s_cbranch_scc0 .LBB313_203
; %bb.201:
	s_cmp_eq_u32 s8, 15
	s_cbranch_scc0 .LBB313_206
; %bb.202:
	global_load_ushort v1, v[2:3], off
	s_mov_b64 s[2:3], -1
	s_mov_b64 s[4:5], 0
	s_waitcnt vmcnt(0)
	v_lshlrev_b32_e32 v1, 16, v1
	v_cvt_i32_f32_e32 v4, v1
	s_branch .LBB313_207
.LBB313_203:
	s_mov_b64 s[6:7], -1
                                        ; implicit-def: $vgpr4
	s_branch .LBB313_208
.LBB313_204:
	s_andn2_saveexec_b64 s[2:3], s[2:3]
	s_cbranch_execz .LBB313_185
.LBB313_205:
	v_cmp_ne_u16_e32 vcc, 0, v1
	s_andn2_b64 s[6:7], s[6:7], exec
	s_and_b64 s[10:11], vcc, exec
	s_or_b64 s[6:7], s[6:7], s[10:11]
	s_or_b64 exec, exec, s[2:3]
	v_mov_b32_e32 v4, 0
	s_and_saveexec_b64 s[2:3], s[6:7]
	s_cbranch_execnz .LBB313_186
	s_branch .LBB313_187
.LBB313_206:
	s_mov_b64 s[4:5], -1
                                        ; implicit-def: $vgpr4
.LBB313_207:
	s_mov_b64 s[6:7], 0
.LBB313_208:
	s_and_b64 vcc, exec, s[6:7]
	s_cbranch_vccz .LBB313_212
; %bb.209:
	s_cmp_eq_u32 s8, 11
	s_cbranch_scc0 .LBB313_211
; %bb.210:
	global_load_ubyte v1, v[2:3], off
	s_mov_b64 s[2:3], -1
	s_mov_b64 s[4:5], 0
	s_waitcnt vmcnt(0)
	v_cmp_ne_u16_e32 vcc, 0, v1
	s_nop 1
	v_cndmask_b32_e64 v4, 0, 1, vcc
	s_branch .LBB313_212
.LBB313_211:
	s_mov_b64 s[4:5], -1
                                        ; implicit-def: $vgpr4
.LBB313_212:
	s_branch .LBB313_25
.LBB313_213:
	s_cmp_lt_i32 s8, 5
	s_cbranch_scc1 .LBB313_218
; %bb.214:
	s_cmp_lt_i32 s8, 8
	s_cbranch_scc1 .LBB313_219
; %bb.215:
	;; [unrolled: 3-line block ×3, first 2 shown]
	s_cmp_gt_i32 s8, 9
	s_cbranch_scc0 .LBB313_221
; %bb.217:
	global_load_dwordx2 v[4:5], v[2:3], off
	s_mov_b64 s[2:3], 0
	s_waitcnt vmcnt(0)
	v_cvt_i32_f64_e32 v4, v[4:5]
	s_branch .LBB313_222
.LBB313_218:
                                        ; implicit-def: $vgpr4
	s_branch .LBB313_240
.LBB313_219:
	s_mov_b64 s[2:3], -1
                                        ; implicit-def: $vgpr4
	s_branch .LBB313_228
.LBB313_220:
	s_mov_b64 s[2:3], -1
                                        ; implicit-def: $vgpr4
	s_branch .LBB313_225
.LBB313_221:
	s_mov_b64 s[2:3], -1
                                        ; implicit-def: $vgpr4
.LBB313_222:
	s_andn2_b64 vcc, exec, s[2:3]
	s_cbranch_vccnz .LBB313_224
; %bb.223:
	global_load_dword v1, v[2:3], off
	s_waitcnt vmcnt(0)
	v_cvt_i32_f32_e32 v4, v1
.LBB313_224:
	s_mov_b64 s[2:3], 0
.LBB313_225:
	s_andn2_b64 vcc, exec, s[2:3]
	s_cbranch_vccnz .LBB313_227
; %bb.226:
	global_load_dword v1, v[2:3], off
	s_waitcnt vmcnt(0)
	v_cvt_i16_f16_e32 v4, v1
.LBB313_227:
	s_mov_b64 s[2:3], 0
.LBB313_228:
	s_andn2_b64 vcc, exec, s[2:3]
	s_cbranch_vccnz .LBB313_239
; %bb.229:
	s_cmp_lt_i32 s8, 6
	s_cbranch_scc1 .LBB313_232
; %bb.230:
	s_cmp_gt_i32 s8, 6
	s_cbranch_scc0 .LBB313_233
; %bb.231:
	global_load_dwordx2 v[4:5], v[2:3], off
	s_mov_b64 s[2:3], 0
	s_waitcnt vmcnt(0)
	v_cvt_i32_f64_e32 v4, v[4:5]
	s_branch .LBB313_234
.LBB313_232:
	s_mov_b64 s[2:3], -1
                                        ; implicit-def: $vgpr4
	s_branch .LBB313_237
.LBB313_233:
	s_mov_b64 s[2:3], -1
                                        ; implicit-def: $vgpr4
.LBB313_234:
	s_andn2_b64 vcc, exec, s[2:3]
	s_cbranch_vccnz .LBB313_236
; %bb.235:
	global_load_dword v1, v[2:3], off
	s_waitcnt vmcnt(0)
	v_cvt_i32_f32_e32 v4, v1
.LBB313_236:
	s_mov_b64 s[2:3], 0
.LBB313_237:
	s_andn2_b64 vcc, exec, s[2:3]
	s_cbranch_vccnz .LBB313_239
; %bb.238:
	global_load_ushort v1, v[2:3], off
	s_waitcnt vmcnt(0)
	v_cvt_i16_f16_e32 v4, v1
.LBB313_239:
	s_cbranch_execnz .LBB313_259
.LBB313_240:
	s_cmp_lt_i32 s8, 2
	s_cbranch_scc1 .LBB313_244
; %bb.241:
	s_cmp_lt_i32 s8, 3
	s_cbranch_scc1 .LBB313_245
; %bb.242:
	s_cmp_gt_i32 s8, 3
	s_cbranch_scc0 .LBB313_246
; %bb.243:
	global_load_dwordx2 v[4:5], v[2:3], off
	s_mov_b64 s[2:3], 0
	s_branch .LBB313_247
.LBB313_244:
	s_mov_b64 s[2:3], -1
                                        ; implicit-def: $vgpr4
	s_branch .LBB313_253
.LBB313_245:
	s_mov_b64 s[2:3], -1
                                        ; implicit-def: $vgpr4
	s_branch .LBB313_250
.LBB313_246:
	s_mov_b64 s[2:3], -1
                                        ; implicit-def: $vgpr4
.LBB313_247:
	s_andn2_b64 vcc, exec, s[2:3]
	s_cbranch_vccnz .LBB313_249
; %bb.248:
	global_load_dword v4, v[2:3], off
.LBB313_249:
	s_mov_b64 s[2:3], 0
.LBB313_250:
	s_andn2_b64 vcc, exec, s[2:3]
	s_cbranch_vccnz .LBB313_252
; %bb.251:
	global_load_ushort v4, v[2:3], off
.LBB313_252:
	s_mov_b64 s[2:3], 0
.LBB313_253:
	s_andn2_b64 vcc, exec, s[2:3]
	s_cbranch_vccnz .LBB313_259
; %bb.254:
	s_cmp_gt_i32 s8, 0
	s_cbranch_scc0 .LBB313_256
; %bb.255:
	global_load_sbyte v4, v[2:3], off
	s_mov_b64 s[2:3], 0
	s_branch .LBB313_257
.LBB313_256:
	s_mov_b64 s[2:3], -1
                                        ; implicit-def: $vgpr4
.LBB313_257:
	s_andn2_b64 vcc, exec, s[2:3]
	s_cbranch_vccnz .LBB313_259
; %bb.258:
	global_load_ubyte v4, v[2:3], off
.LBB313_259:
	s_branch .LBB313_26
.LBB313_260:
	s_mov_b64 s[2:3], 0
.LBB313_261:
	s_mov_b64 s[6:7], 0
                                        ; implicit-def: $vgpr8
.LBB313_262:
	s_and_b64 s[56:57], s[2:3], exec
	s_and_b64 s[58:59], s[4:5], exec
	s_orn2_b64 s[4:5], s[6:7], exec
.LBB313_263:
	s_or_b64 exec, exec, s[60:61]
	s_mov_b64 s[8:9], 0
	s_mov_b64 s[2:3], 0
                                        ; implicit-def: $vgpr2_vgpr3
                                        ; implicit-def: $vgpr0
                                        ; implicit-def: $vgpr4
	s_and_saveexec_b64 s[60:61], s[4:5]
	s_cbranch_execz .LBB313_271
; %bb.264:
	v_cmp_gt_i32_e32 vcc, s72, v8
	s_mov_b64 s[2:3], -1
	s_mov_b64 s[62:63], s[58:59]
	s_mov_b64 s[64:65], s[56:57]
	s_and_saveexec_b64 s[66:67], vcc
	s_cbranch_execz .LBB313_536
; %bb.265:
	s_andn2_b64 vcc, exec, s[42:43]
	s_cbranch_vccnz .LBB313_274
; %bb.266:
	s_andn2_b64 vcc, exec, s[54:55]
	s_cbranch_vccnz .LBB313_275
; %bb.267:
	s_add_i32 s65, s77, 1
	s_cmp_eq_u32 s74, 2
	s_cbranch_scc1 .LBB313_276
; %bb.268:
	s_and_b32 s64, s65, 28
	s_mov_b32 s68, 0
	v_mov_b32_e32 v0, 0
	v_mov_b32_e32 v2, 0
	s_mov_b64 s[2:3], s[34:35]
	s_mov_b64 s[62:63], s[52:53]
	s_waitcnt vmcnt(0)
	v_mov_b32_e32 v4, v8
.LBB313_269:                            ; =>This Inner Loop Header: Depth=1
	s_load_dwordx8 s[12:19], s[2:3], 0x4
	s_load_dwordx4 s[36:39], s[2:3], 0x24
	s_load_dwordx8 s[4:11], s[62:63], 0x0
	s_add_u32 s2, s2, 48
	s_addc_u32 s3, s3, 0
	s_waitcnt lgkmcnt(0)
	v_mul_hi_u32 v1, s13, v4
	v_add_u32_e32 v1, v4, v1
	v_lshrrev_b32_e32 v1, s14, v1
	v_mul_lo_u32 v3, v1, s12
	v_mul_hi_u32 v5, s16, v1
	v_sub_u32_e32 v3, v4, v3
	v_add_u32_e32 v4, v1, v5
	v_lshrrev_b32_e32 v4, s17, v4
	v_mul_lo_u32 v6, v4, s15
	v_mul_hi_u32 v7, s19, v4
	v_sub_u32_e32 v1, v1, v6
	v_add_u32_e32 v6, v4, v7
	v_mul_lo_u32 v5, v3, s5
	v_mul_lo_u32 v3, v3, s4
	;; [unrolled: 1-line block ×4, first 2 shown]
	v_lshrrev_b32_e32 v6, s36, v6
	v_add3_u32 v0, v3, v0, v1
	v_mul_hi_u32 v3, s38, v6
	v_add3_u32 v1, v5, v2, v7
	v_mul_lo_u32 v2, v6, s18
	v_add_u32_e32 v3, v6, v3
	v_sub_u32_e32 v2, v4, v2
	v_lshrrev_b32_e32 v4, s39, v3
	s_add_i32 s68, s68, 4
	v_mul_lo_u32 v3, v4, s37
	s_add_u32 s62, s62, 32
	v_sub_u32_e32 v3, v6, v3
	s_addc_u32 s63, s63, 0
	v_mul_lo_u32 v5, v2, s8
	v_mul_lo_u32 v2, v2, s9
	;; [unrolled: 1-line block ×4, first 2 shown]
	s_cmp_eq_u32 s64, s68
	v_add3_u32 v2, v2, v1, v3
	v_add3_u32 v0, v5, v0, v6
	s_cbranch_scc0 .LBB313_269
; %bb.270:
	v_mov_b32_e32 v1, v2
	s_branch .LBB313_277
.LBB313_271:
	s_or_b64 exec, exec, s[60:61]
	s_mov_b64 s[4:5], 0
	s_and_saveexec_b64 s[6:7], s[58:59]
	s_cbranch_execnz .LBB313_906
.LBB313_272:
	s_or_b64 exec, exec, s[6:7]
	s_and_saveexec_b64 s[6:7], s[64:65]
	s_xor_b64 s[6:7], exec, s[6:7]
	s_cbranch_execz .LBB313_907
.LBB313_273:
	global_load_ubyte v1, v[2:3], off
	s_or_b64 s[2:3], s[2:3], exec
	s_waitcnt vmcnt(0)
	v_cmp_ne_u16_e32 vcc, 0, v1
	s_nop 1
	v_cndmask_b32_e64 v4, 0, 1, vcc
	s_or_b64 exec, exec, s[6:7]
	s_and_saveexec_b64 s[6:7], s[8:9]
	s_cbranch_execz .LBB313_953
	s_branch .LBB313_908
.LBB313_274:
                                        ; implicit-def: $vgpr2
                                        ; implicit-def: $vgpr0
	s_andn2_b64 vcc, exec, s[2:3]
	s_cbranch_vccz .LBB313_281
	s_branch .LBB313_283
.LBB313_275:
	v_mov_b32_e32 v2, 0
	v_mov_b32_e32 v0, 0
	s_branch .LBB313_280
.LBB313_276:
	v_mov_b32_e32 v0, 0
	s_mov_b32 s64, 0
	v_mov_b32_e32 v1, v0
                                        ; implicit-def: $vgpr2
	s_waitcnt vmcnt(0)
	v_mov_b32_e32 v4, v8
.LBB313_277:
	s_and_b32 s6, s65, 3
	s_cmp_eq_u32 s6, 0
	s_cbranch_scc1 .LBB313_280
; %bb.278:
	s_lshl_b32 s2, s64, 3
	s_add_u32 s2, s34, s2
	s_addc_u32 s3, s35, 0
	s_add_u32 s2, s2, 0xc4
	s_addc_u32 s3, s3, 0
	s_mul_i32 s4, s64, 12
	s_add_u32 s4, s34, s4
	s_addc_u32 s5, s35, 0
.LBB313_279:                            ; =>This Inner Loop Header: Depth=1
	s_load_dwordx2 s[8:9], s[4:5], 0x4
	s_load_dword s7, s[4:5], 0xc
	s_load_dwordx2 s[10:11], s[2:3], 0x0
	v_mov_b32_e32 v2, v1
	s_add_u32 s4, s4, 12
	s_waitcnt lgkmcnt(0)
	v_mul_hi_u32 v1, s9, v4
	v_add_u32_e32 v1, v4, v1
	v_lshrrev_b32_e32 v1, s7, v1
	s_addc_u32 s5, s5, 0
	v_mul_lo_u32 v3, v1, s8
	s_add_u32 s2, s2, 8
	v_sub_u32_e32 v5, v4, v3
	s_addc_u32 s3, s3, 0
	s_add_i32 s6, s6, -1
	v_mov_b32_e32 v4, v1
	v_mad_u64_u32 v[2:3], s[8:9], v5, s11, v[2:3]
	v_mad_u64_u32 v[0:1], s[8:9], v5, s10, v[0:1]
	s_cmp_lg_u32 s6, 0
	v_mov_b32_e32 v1, v2
	s_cbranch_scc1 .LBB313_279
.LBB313_280:
	s_cbranch_execnz .LBB313_283
.LBB313_281:
	v_mul_hi_u32 v0, s25, v8
	v_add_u32_e32 v0, v8, v0
	v_lshrrev_b32_e32 v1, s26, v0
	v_mul_lo_u32 v0, v1, s24
	v_sub_u32_e32 v0, v8, v0
	v_mul_lo_u32 v2, v0, s29
	s_andn2_b64 vcc, exec, s[50:51]
	v_mul_lo_u32 v0, v0, s28
	s_cbranch_vccnz .LBB313_283
; %bb.282:
	v_mul_hi_u32 v3, s48, v1
	v_add_u32_e32 v3, v1, v3
	v_lshrrev_b32_e32 v3, s49, v3
	v_mul_lo_u32 v3, v3, s27
	v_sub_u32_e32 v3, v1, v3
	v_mad_u64_u32 v[0:1], s[2:3], v3, s30, v[0:1]
	v_mad_u64_u32 v[2:3], s[2:3], v3, s31, v[2:3]
.LBB313_283:
	v_mov_b32_e32 v3, 0
	s_and_b32 s8, 0xffff, s76
	s_cmp_lt_i32 s8, 11
	v_lshl_add_u64 v[2:3], s[22:23], 0, v[2:3]
	s_cbranch_scc1 .LBB313_290
; %bb.284:
	s_cmp_gt_i32 s8, 25
	s_cbranch_scc0 .LBB313_299
; %bb.285:
	s_cmp_gt_i32 s8, 28
	s_cbranch_scc0 .LBB313_301
	;; [unrolled: 3-line block ×4, first 2 shown]
; %bb.288:
	s_cmp_eq_u32 s8, 46
	s_mov_b64 s[6:7], 0
	s_cbranch_scc0 .LBB313_311
; %bb.289:
	global_load_dword v1, v[2:3], off
	s_mov_b64 s[2:3], -1
	s_mov_b64 s[4:5], 0
	s_waitcnt vmcnt(0)
	v_lshlrev_b32_e32 v1, 16, v1
	v_cvt_i32_f32_e32 v4, v1
	s_branch .LBB313_312
.LBB313_290:
	s_mov_b64 s[2:3], 0
                                        ; implicit-def: $vgpr4
	s_mov_b64 s[4:5], s[58:59]
	s_cbranch_execnz .LBB313_485
.LBB313_291:
	s_andn2_b64 vcc, exec, s[2:3]
	s_cbranch_vccnz .LBB313_533
.LBB313_292:
	s_waitcnt vmcnt(0)
	v_max_i16_e32 v1, s46, v4
	v_min_i16_e32 v4, s75, v1
	v_mov_b32_e32 v1, 0
	s_and_b32 s12, s47, 0xff
	s_cmp_lt_i32 s12, 11
	v_lshl_add_u64 v[0:1], s[20:21], 0, v[0:1]
	s_cbranch_scc1 .LBB313_300
; %bb.293:
	s_and_b32 s13, 0xffff, s12
	s_cmp_gt_i32 s13, 25
	s_cbranch_scc0 .LBB313_302
; %bb.294:
	s_cmp_gt_i32 s13, 28
	s_cbranch_scc0 .LBB313_304
; %bb.295:
	;; [unrolled: 3-line block ×4, first 2 shown]
	s_mov_b64 s[8:9], 0
	s_mov_b64 s[2:3], -1
	s_cmp_eq_u32 s13, 46
	s_mov_b64 s[6:7], 0
	s_cbranch_scc0 .LBB313_316
; %bb.298:
	v_cvt_f32_i32_sdwa v2, sext(v4) dst_sel:DWORD dst_unused:UNUSED_PAD src0_sel:WORD_0
	s_movk_i32 s2, 0x7fff
	s_mov_b64 s[6:7], -1
	v_bfe_u32 v3, v2, 16, 1
	v_add3_u32 v2, v2, v3, s2
	v_lshrrev_b32_e32 v2, 16, v2
	global_store_dword v[0:1], v2, off
	s_mov_b64 s[2:3], 0
	s_branch .LBB313_316
.LBB313_299:
	s_mov_b64 s[6:7], -1
	s_mov_b64 s[2:3], 0
	s_mov_b64 s[4:5], s[58:59]
                                        ; implicit-def: $vgpr4
	s_branch .LBB313_451
.LBB313_300:
	s_mov_b64 s[8:9], -1
	s_mov_b64 s[6:7], 0
	s_mov_b64 s[2:3], s[56:57]
	s_branch .LBB313_385
.LBB313_301:
	s_mov_b64 s[6:7], -1
	s_mov_b64 s[2:3], 0
	s_mov_b64 s[4:5], s[58:59]
                                        ; implicit-def: $vgpr4
	s_branch .LBB313_434
.LBB313_302:
	s_mov_b64 s[8:9], -1
	s_mov_b64 s[6:7], 0
	s_mov_b64 s[2:3], s[56:57]
	s_branch .LBB313_343
.LBB313_303:
	s_mov_b64 s[6:7], -1
	s_mov_b64 s[2:3], 0
	s_mov_b64 s[4:5], s[58:59]
                                        ; implicit-def: $vgpr4
	s_branch .LBB313_429
.LBB313_304:
	s_mov_b64 s[8:9], -1
	s_mov_b64 s[6:7], 0
	s_mov_b64 s[2:3], s[56:57]
	s_branch .LBB313_326
.LBB313_305:
	s_andn2_saveexec_b64 s[10:11], s[10:11]
	s_cbranch_execz .LBB313_69
.LBB313_306:
	s_mov_b32 s14, 0x46000000
	v_add_f32_e64 v3, |v2|, s14
	v_and_b32_e32 v3, 0xff, v3
	v_cmp_ne_u32_e32 vcc, 0, v3
	s_andn2_b64 s[8:9], s[8:9], exec
	s_and_b64 s[14:15], vcc, exec
	s_or_b64 s[8:9], s[8:9], s[14:15]
	s_or_b64 exec, exec, s[10:11]
	v_mov_b32_e32 v5, 0
	s_and_saveexec_b64 s[10:11], s[8:9]
	s_cbranch_execnz .LBB313_70
	s_branch .LBB313_71
.LBB313_307:
	s_mov_b64 s[6:7], -1
	s_mov_b64 s[2:3], 0
	s_mov_b64 s[4:5], s[58:59]
                                        ; implicit-def: $vgpr4
	s_branch .LBB313_312
.LBB313_308:
	s_mov_b64 s[8:9], -1
	s_mov_b64 s[6:7], 0
	s_mov_b64 s[2:3], s[56:57]
	s_branch .LBB313_322
.LBB313_309:
	s_andn2_saveexec_b64 s[10:11], s[10:11]
	s_cbranch_execz .LBB313_82
.LBB313_310:
	s_mov_b32 s14, 0x42800000
	v_add_f32_e64 v3, |v2|, s14
	v_and_b32_e32 v3, 0xff, v3
	v_cmp_ne_u32_e32 vcc, 0, v3
	s_andn2_b64 s[8:9], s[8:9], exec
	s_and_b64 s[14:15], vcc, exec
	s_or_b64 s[8:9], s[8:9], s[14:15]
	s_or_b64 exec, exec, s[10:11]
	v_mov_b32_e32 v5, 0
	s_and_saveexec_b64 s[10:11], s[8:9]
	s_cbranch_execnz .LBB313_83
	s_branch .LBB313_84
.LBB313_311:
	s_mov_b64 s[4:5], -1
                                        ; implicit-def: $vgpr4
	s_mov_b64 s[2:3], 0
.LBB313_312:
	s_and_b64 vcc, exec, s[6:7]
	s_cbranch_vccz .LBB313_428
; %bb.313:
	s_cmp_eq_u32 s8, 44
	s_cbranch_scc0 .LBB313_427
; %bb.314:
	global_load_ubyte v1, v[2:3], off
	s_mov_b64 s[2:3], -1
	s_mov_b64 s[4:5], 0
	s_waitcnt vmcnt(0)
	v_lshlrev_b32_e32 v4, 23, v1
	v_cvt_i32_f32_e32 v4, v4
	v_cmp_ne_u32_e32 vcc, 0, v1
	s_nop 1
	v_cndmask_b32_e32 v4, 0, v4, vcc
	s_branch .LBB313_428
.LBB313_315:
	s_mov_b64 s[8:9], -1
	s_mov_b64 s[6:7], 0
	s_mov_b64 s[2:3], s[56:57]
.LBB313_316:
	s_and_b64 vcc, exec, s[8:9]
	s_cbranch_vccz .LBB313_321
; %bb.317:
	s_cmp_eq_u32 s13, 44
	s_mov_b64 s[2:3], -1
	s_cbranch_scc0 .LBB313_321
; %bb.318:
	v_cvt_f32_i32_sdwa v2, sext(v4) dst_sel:DWORD dst_unused:UNUSED_PAD src0_sel:WORD_0
	s_movk_i32 s2, 0xff
	v_mov_b32_e32 v5, 0xff
	v_bfe_u32 v3, v2, 23, 8
	v_cmp_ne_u32_e32 vcc, s2, v3
	s_and_saveexec_b64 s[6:7], vcc
; %bb.319:
	s_mov_b32 s2, 0x3fffff
	v_lshrrev_b32_e32 v5, 23, v2
	v_and_b32_e32 v6, 0x400000, v2
	v_and_or_b32 v2, v2, s2, v3
	v_cmp_ne_u32_e32 vcc, 0, v6
	v_cmp_ne_u32_e64 s[2:3], 0, v2
	s_and_b64 s[2:3], vcc, s[2:3]
	s_nop 0
	v_cndmask_b32_e64 v2, 0, 1, s[2:3]
	v_add_u32_e32 v5, v5, v2
; %bb.320:
	s_or_b64 exec, exec, s[6:7]
	s_mov_b64 s[6:7], -1
	s_mov_b64 s[2:3], 0
	global_store_byte v[0:1], v5, off
.LBB313_321:
	s_mov_b64 s[8:9], 0
.LBB313_322:
	s_and_b64 vcc, exec, s[8:9]
	s_cbranch_vccz .LBB313_325
; %bb.323:
	s_cmp_eq_u32 s13, 29
	s_mov_b64 s[2:3], -1
	s_cbranch_scc0 .LBB313_325
; %bb.324:
	v_bfe_i32 v2, v4, 0, 16
	v_ashrrev_i32_e32 v3, 31, v2
	global_store_dwordx2 v[0:1], v[2:3], off
	s_mov_b64 s[6:7], -1
	s_mov_b64 s[2:3], 0
.LBB313_325:
	s_mov_b64 s[8:9], 0
.LBB313_326:
	s_and_b64 vcc, exec, s[8:9]
	s_cbranch_vccz .LBB313_342
; %bb.327:
	s_cmp_lt_i32 s13, 27
	s_mov_b64 s[6:7], -1
	s_cbranch_scc1 .LBB313_333
; %bb.328:
	s_cmp_gt_i32 s13, 27
	s_cbranch_scc0 .LBB313_330
; %bb.329:
	v_bfe_i32 v2, v4, 0, 16
	s_mov_b64 s[6:7], 0
	global_store_dword v[0:1], v2, off
.LBB313_330:
	s_andn2_b64 vcc, exec, s[6:7]
	s_cbranch_vccnz .LBB313_332
; %bb.331:
	global_store_short v[0:1], v4, off
.LBB313_332:
	s_mov_b64 s[6:7], 0
.LBB313_333:
	s_andn2_b64 vcc, exec, s[6:7]
	s_cbranch_vccnz .LBB313_341
; %bb.334:
	v_cvt_f32_i32_sdwa v2, sext(v4) dst_sel:DWORD dst_unused:UNUSED_PAD src0_sel:WORD_0
	s_mov_b32 s6, 0x43800000
	v_mov_b32_e32 v5, 0x80
	v_and_b32_e32 v3, 0x7fffffff, v2
	v_cmp_gt_u32_e32 vcc, s6, v3
	s_and_saveexec_b64 s[6:7], vcc
	s_cbranch_execz .LBB313_340
; %bb.335:
	s_mov_b32 s8, 0x3bffffff
	v_cmp_lt_u32_e32 vcc, s8, v3
	s_mov_b64 s[8:9], 0
                                        ; implicit-def: $vgpr3
	s_and_saveexec_b64 s[10:11], vcc
	s_xor_b64 s[10:11], exec, s[10:11]
	s_cbranch_execz .LBB313_565
; %bb.336:
	v_bfe_u32 v3, v2, 20, 1
	s_mov_b32 s14, 0x487ffff
	v_add3_u32 v3, v2, v3, s14
	s_mov_b64 s[8:9], exec
	v_lshrrev_b32_e32 v3, 20, v3
	s_andn2_saveexec_b64 s[10:11], s[10:11]
	s_cbranch_execnz .LBB313_566
.LBB313_337:
	s_or_b64 exec, exec, s[10:11]
	v_mov_b32_e32 v5, 0
	s_and_saveexec_b64 s[10:11], s[8:9]
.LBB313_338:
	v_lshrrev_b32_e32 v2, 24, v2
	s_movk_i32 s8, 0x80
	v_and_or_b32 v5, v2, s8, v3
.LBB313_339:
	s_or_b64 exec, exec, s[10:11]
.LBB313_340:
	s_or_b64 exec, exec, s[6:7]
	global_store_byte v[0:1], v5, off
.LBB313_341:
	s_mov_b64 s[6:7], -1
.LBB313_342:
	s_mov_b64 s[8:9], 0
.LBB313_343:
	s_and_b64 vcc, exec, s[8:9]
	s_cbranch_vccz .LBB313_384
; %bb.344:
	s_cmp_gt_i32 s13, 22
	s_mov_b64 s[8:9], -1
	s_cbranch_scc0 .LBB313_376
; %bb.345:
	s_cmp_lt_i32 s13, 24
	s_mov_b64 s[6:7], -1
	s_cbranch_scc1 .LBB313_365
; %bb.346:
	s_cmp_gt_i32 s13, 24
	s_cbranch_scc0 .LBB313_354
; %bb.347:
	v_cvt_f32_i32_sdwa v2, sext(v4) dst_sel:DWORD dst_unused:UNUSED_PAD src0_sel:WORD_0
	s_mov_b32 s6, 0x47800000
	v_mov_b32_e32 v5, 0x80
	v_and_b32_e32 v3, 0x7fffffff, v2
	v_cmp_gt_u32_e32 vcc, s6, v3
	s_and_saveexec_b64 s[6:7], vcc
	s_cbranch_execz .LBB313_353
; %bb.348:
	s_mov_b32 s8, 0x37ffffff
	v_cmp_lt_u32_e32 vcc, s8, v3
	s_mov_b64 s[8:9], 0
                                        ; implicit-def: $vgpr3
	s_and_saveexec_b64 s[10:11], vcc
	s_xor_b64 s[10:11], exec, s[10:11]
	s_cbranch_execz .LBB313_568
; %bb.349:
	v_bfe_u32 v3, v2, 21, 1
	s_mov_b32 s14, 0x88fffff
	v_add3_u32 v3, v2, v3, s14
	s_mov_b64 s[8:9], exec
	v_lshrrev_b32_e32 v3, 21, v3
	s_andn2_saveexec_b64 s[10:11], s[10:11]
	s_cbranch_execnz .LBB313_569
.LBB313_350:
	s_or_b64 exec, exec, s[10:11]
	v_mov_b32_e32 v5, 0
	s_and_saveexec_b64 s[10:11], s[8:9]
.LBB313_351:
	v_lshrrev_b32_e32 v2, 24, v2
	s_movk_i32 s8, 0x80
	v_and_or_b32 v5, v2, s8, v3
.LBB313_352:
	s_or_b64 exec, exec, s[10:11]
.LBB313_353:
	s_or_b64 exec, exec, s[6:7]
	s_mov_b64 s[6:7], 0
	global_store_byte v[0:1], v5, off
.LBB313_354:
	s_and_b64 vcc, exec, s[6:7]
	s_cbranch_vccz .LBB313_364
; %bb.355:
	v_cvt_f32_i32_sdwa v2, sext(v4) dst_sel:DWORD dst_unused:UNUSED_PAD src0_sel:WORD_0
	s_mov_b32 s6, 0x43f00000
                                        ; implicit-def: $vgpr3
	v_and_b32_e32 v5, 0x7fffffff, v2
	v_cmp_gt_u32_e32 vcc, s6, v5
	s_and_saveexec_b64 s[6:7], vcc
	s_xor_b64 s[6:7], exec, s[6:7]
	s_cbranch_execz .LBB313_361
; %bb.356:
	s_mov_b32 s8, 0x3c7fffff
	v_cmp_lt_u32_e32 vcc, s8, v5
                                        ; implicit-def: $vgpr3
	s_and_saveexec_b64 s[8:9], vcc
	s_xor_b64 s[8:9], exec, s[8:9]
; %bb.357:
	v_bfe_u32 v3, v2, 20, 1
	s_mov_b32 s10, 0x407ffff
	v_add3_u32 v3, v2, v3, s10
	v_lshrrev_b32_e32 v5, 20, v3
	v_and_b32_e32 v3, 0xff00000, v3
	s_mov_b32 s10, 0x7f00000
	v_mov_b32_e32 v6, 0x7e
	v_cmp_ne_u32_e32 vcc, s10, v3
	s_nop 1
	v_cndmask_b32_e32 v3, v6, v5, vcc
; %bb.358:
	s_andn2_saveexec_b64 s[8:9], s[8:9]
; %bb.359:
	s_mov_b32 s10, 0x46800000
	v_add_f32_e64 v3, |v2|, s10
; %bb.360:
	s_or_b64 exec, exec, s[8:9]
                                        ; implicit-def: $vgpr5
.LBB313_361:
	s_andn2_saveexec_b64 s[6:7], s[6:7]
; %bb.362:
	s_mov_b32 s8, 0x7f800000
	v_mov_b32_e32 v3, 0x7e
	v_mov_b32_e32 v6, 0x7f
	v_cmp_lt_u32_e32 vcc, s8, v5
	s_nop 1
	v_cndmask_b32_e32 v3, v3, v6, vcc
; %bb.363:
	s_or_b64 exec, exec, s[6:7]
	v_lshrrev_b32_e32 v2, 24, v2
	s_movk_i32 s6, 0x80
	v_and_or_b32 v2, v2, s6, v3
	global_store_byte v[0:1], v2, off
.LBB313_364:
	s_mov_b64 s[6:7], 0
.LBB313_365:
	s_andn2_b64 vcc, exec, s[6:7]
	s_cbranch_vccnz .LBB313_375
; %bb.366:
	v_cvt_f32_i32_sdwa v2, sext(v4) dst_sel:DWORD dst_unused:UNUSED_PAD src0_sel:WORD_0
	s_mov_b32 s6, 0x47800000
                                        ; implicit-def: $vgpr3
	v_and_b32_e32 v5, 0x7fffffff, v2
	v_cmp_gt_u32_e32 vcc, s6, v5
	s_and_saveexec_b64 s[6:7], vcc
	s_xor_b64 s[6:7], exec, s[6:7]
	s_cbranch_execz .LBB313_372
; %bb.367:
	s_mov_b32 s8, 0x387fffff
	v_cmp_lt_u32_e32 vcc, s8, v5
                                        ; implicit-def: $vgpr3
	s_and_saveexec_b64 s[8:9], vcc
	s_xor_b64 s[8:9], exec, s[8:9]
; %bb.368:
	v_bfe_u32 v3, v2, 21, 1
	s_mov_b32 s10, 0x80fffff
	v_add3_u32 v3, v2, v3, s10
	v_lshrrev_b32_e32 v3, 21, v3
; %bb.369:
	s_andn2_saveexec_b64 s[8:9], s[8:9]
; %bb.370:
	s_mov_b32 s10, 0x43000000
	v_add_f32_e64 v3, |v2|, s10
; %bb.371:
	s_or_b64 exec, exec, s[8:9]
                                        ; implicit-def: $vgpr5
.LBB313_372:
	s_andn2_saveexec_b64 s[6:7], s[6:7]
; %bb.373:
	s_mov_b32 s8, 0x7f800000
	v_mov_b32_e32 v3, 0x7c
	v_mov_b32_e32 v6, 0x7f
	v_cmp_lt_u32_e32 vcc, s8, v5
	s_nop 1
	v_cndmask_b32_e32 v3, v3, v6, vcc
; %bb.374:
	s_or_b64 exec, exec, s[6:7]
	v_lshrrev_b32_e32 v2, 24, v2
	s_movk_i32 s6, 0x80
	v_and_or_b32 v2, v2, s6, v3
	global_store_byte v[0:1], v2, off
.LBB313_375:
	s_mov_b64 s[8:9], 0
	s_mov_b64 s[6:7], -1
.LBB313_376:
	s_andn2_b64 vcc, exec, s[8:9]
	s_cbranch_vccnz .LBB313_384
; %bb.377:
	s_cmp_gt_i32 s13, 14
	s_mov_b64 s[8:9], -1
	s_cbranch_scc0 .LBB313_381
; %bb.378:
	s_cmp_eq_u32 s13, 15
	s_mov_b64 s[2:3], -1
	s_cbranch_scc0 .LBB313_380
; %bb.379:
	v_cvt_f32_i32_sdwa v2, sext(v4) dst_sel:DWORD dst_unused:UNUSED_PAD src0_sel:WORD_0
	s_movk_i32 s2, 0x7fff
	s_mov_b64 s[6:7], -1
	v_bfe_u32 v3, v2, 16, 1
	v_add3_u32 v2, v2, v3, s2
	global_store_short_d16_hi v[0:1], v2, off
	s_mov_b64 s[2:3], 0
.LBB313_380:
	s_mov_b64 s[8:9], 0
.LBB313_381:
	s_and_b64 vcc, exec, s[8:9]
	s_cbranch_vccz .LBB313_384
; %bb.382:
	s_cmp_eq_u32 s13, 11
	s_mov_b64 s[2:3], -1
	s_cbranch_scc0 .LBB313_384
; %bb.383:
	v_cmp_ne_u16_e32 vcc, 0, v4
	s_mov_b64 s[6:7], -1
	s_mov_b64 s[2:3], 0
	v_cndmask_b32_e64 v2, 0, 1, vcc
	global_store_byte v[0:1], v2, off
.LBB313_384:
	s_mov_b64 s[8:9], 0
.LBB313_385:
	s_and_b64 vcc, exec, s[8:9]
	s_cbranch_vccz .LBB313_424
; %bb.386:
	s_and_b32 s8, 0xffff, s12
	s_cmp_lt_i32 s8, 5
	s_mov_b64 s[6:7], -1
	s_cbranch_scc1 .LBB313_407
; %bb.387:
	s_cmp_lt_i32 s8, 8
	s_cbranch_scc1 .LBB313_397
; %bb.388:
	s_cmp_lt_i32 s8, 9
	s_cbranch_scc1 .LBB313_394
; %bb.389:
	s_cmp_gt_i32 s8, 9
	s_cbranch_scc0 .LBB313_391
; %bb.390:
	v_bfe_i32 v2, v4, 0, 16
	v_mov_b32_e32 v12, 0
	v_cvt_f64_i32_e32 v[10:11], v2
	v_mov_b32_e32 v13, v12
	s_mov_b64 s[6:7], 0
	global_store_dwordx4 v[0:1], v[10:13], off
.LBB313_391:
	s_andn2_b64 vcc, exec, s[6:7]
	s_cbranch_vccnz .LBB313_393
; %bb.392:
	v_cvt_f32_i32_sdwa v2, sext(v4) dst_sel:DWORD dst_unused:UNUSED_PAD src0_sel:WORD_0
	v_mov_b32_e32 v3, 0
	global_store_dwordx2 v[0:1], v[2:3], off
.LBB313_393:
	s_mov_b64 s[6:7], 0
.LBB313_394:
	s_andn2_b64 vcc, exec, s[6:7]
	s_cbranch_vccnz .LBB313_396
; %bb.395:
	v_cvt_f16_i16_e32 v2, v4
	global_store_dword v[0:1], v2, off
.LBB313_396:
	s_mov_b64 s[6:7], 0
.LBB313_397:
	s_andn2_b64 vcc, exec, s[6:7]
	s_cbranch_vccnz .LBB313_406
; %bb.398:
	s_cmp_lt_i32 s8, 6
	s_mov_b64 s[6:7], -1
	s_cbranch_scc1 .LBB313_404
; %bb.399:
	s_cmp_gt_i32 s8, 6
	s_cbranch_scc0 .LBB313_401
; %bb.400:
	v_bfe_i32 v2, v4, 0, 16
	v_cvt_f64_i32_e32 v[2:3], v2
	s_mov_b64 s[6:7], 0
	global_store_dwordx2 v[0:1], v[2:3], off
.LBB313_401:
	s_andn2_b64 vcc, exec, s[6:7]
	s_cbranch_vccnz .LBB313_403
; %bb.402:
	v_cvt_f32_i32_sdwa v2, sext(v4) dst_sel:DWORD dst_unused:UNUSED_PAD src0_sel:WORD_0
	global_store_dword v[0:1], v2, off
.LBB313_403:
	s_mov_b64 s[6:7], 0
.LBB313_404:
	s_andn2_b64 vcc, exec, s[6:7]
	s_cbranch_vccnz .LBB313_406
; %bb.405:
	v_cvt_f16_i16_e32 v2, v4
	global_store_short v[0:1], v2, off
.LBB313_406:
	s_mov_b64 s[6:7], 0
.LBB313_407:
	s_andn2_b64 vcc, exec, s[6:7]
	s_cbranch_vccnz .LBB313_423
; %bb.408:
	s_cmp_lt_i32 s8, 2
	s_mov_b64 s[6:7], -1
	s_cbranch_scc1 .LBB313_418
; %bb.409:
	s_cmp_lt_i32 s8, 3
	s_cbranch_scc1 .LBB313_415
; %bb.410:
	s_cmp_gt_i32 s8, 3
	v_bfe_i32 v2, v4, 0, 16
	s_cbranch_scc0 .LBB313_412
; %bb.411:
	v_ashrrev_i32_e32 v3, 31, v2
	s_mov_b64 s[6:7], 0
	global_store_dwordx2 v[0:1], v[2:3], off
.LBB313_412:
	s_andn2_b64 vcc, exec, s[6:7]
	s_cbranch_vccnz .LBB313_414
; %bb.413:
	global_store_dword v[0:1], v2, off
.LBB313_414:
	s_mov_b64 s[6:7], 0
.LBB313_415:
	s_andn2_b64 vcc, exec, s[6:7]
	s_cbranch_vccnz .LBB313_417
; %bb.416:
	global_store_short v[0:1], v4, off
.LBB313_417:
	s_mov_b64 s[6:7], 0
.LBB313_418:
	s_andn2_b64 vcc, exec, s[6:7]
	s_cbranch_vccnz .LBB313_423
; %bb.419:
	s_cmp_gt_i32 s8, 0
	s_mov_b64 s[6:7], -1
	s_cbranch_scc0 .LBB313_421
; %bb.420:
	s_mov_b64 s[6:7], 0
	global_store_byte v[0:1], v4, off
.LBB313_421:
	s_andn2_b64 vcc, exec, s[6:7]
	s_cbranch_vccnz .LBB313_423
; %bb.422:
	global_store_byte v[0:1], v4, off
.LBB313_423:
	s_mov_b64 s[6:7], -1
.LBB313_424:
	s_andn2_b64 vcc, exec, s[6:7]
	s_cbranch_vccnz .LBB313_426
; %bb.425:
	v_add_u32_e32 v8, 0x80, v8
	s_mov_b64 s[6:7], -1
	s_branch .LBB313_535
.LBB313_426:
	s_mov_b64 s[6:7], 0
	s_branch .LBB313_534
.LBB313_427:
	s_mov_b64 s[4:5], -1
                                        ; implicit-def: $vgpr4
.LBB313_428:
	s_mov_b64 s[6:7], 0
.LBB313_429:
	s_and_b64 vcc, exec, s[6:7]
	s_cbranch_vccz .LBB313_433
; %bb.430:
	s_cmp_eq_u32 s8, 29
	s_cbranch_scc0 .LBB313_432
; %bb.431:
	global_load_dwordx2 v[4:5], v[2:3], off
	s_mov_b64 s[2:3], -1
	s_mov_b64 s[4:5], 0
	s_branch .LBB313_433
.LBB313_432:
	s_mov_b64 s[4:5], -1
                                        ; implicit-def: $vgpr4
.LBB313_433:
	s_mov_b64 s[6:7], 0
.LBB313_434:
	s_and_b64 vcc, exec, s[6:7]
	s_cbranch_vccz .LBB313_450
; %bb.435:
	s_cmp_lt_i32 s8, 27
	s_cbranch_scc1 .LBB313_438
; %bb.436:
	s_cmp_gt_i32 s8, 27
	s_cbranch_scc0 .LBB313_439
; %bb.437:
	global_load_dword v4, v[2:3], off
	s_mov_b64 s[2:3], 0
	s_branch .LBB313_440
.LBB313_438:
	s_mov_b64 s[2:3], -1
                                        ; implicit-def: $vgpr4
	s_branch .LBB313_443
.LBB313_439:
	s_mov_b64 s[2:3], -1
                                        ; implicit-def: $vgpr4
.LBB313_440:
	s_andn2_b64 vcc, exec, s[2:3]
	s_cbranch_vccnz .LBB313_442
; %bb.441:
	global_load_ushort v4, v[2:3], off
.LBB313_442:
	s_mov_b64 s[2:3], 0
.LBB313_443:
	s_andn2_b64 vcc, exec, s[2:3]
	s_cbranch_vccnz .LBB313_449
; %bb.444:
	global_load_ubyte v1, v[2:3], off
	s_movk_i32 s2, 0x7f
	s_mov_b64 s[6:7], 0
	s_waitcnt vmcnt(0)
	v_cmp_lt_i16_e32 vcc, s2, v1
	s_and_saveexec_b64 s[2:3], vcc
	s_xor_b64 s[2:3], exec, s[2:3]
	s_cbranch_execz .LBB313_461
; %bb.445:
	s_movk_i32 s6, 0x80
	v_cmp_ne_u16_e32 vcc, s6, v1
	s_and_b64 s[6:7], vcc, exec
	s_andn2_saveexec_b64 s[2:3], s[2:3]
	s_cbranch_execnz .LBB313_462
.LBB313_446:
	s_or_b64 exec, exec, s[2:3]
	v_mov_b32_e32 v4, 0
	s_and_saveexec_b64 s[2:3], s[6:7]
	s_cbranch_execz .LBB313_448
.LBB313_447:
	v_lshlrev_b32_e32 v4, 24, v1
	v_and_b32_e32 v1, 0xffff, v1
	v_and_b32_e32 v5, 7, v1
	v_ffbh_u32_e32 v7, v5
	v_min_u32_e32 v7, 32, v7
	v_subrev_u32_e32 v9, 28, v7
	v_bfe_u32 v6, v1, 3, 4
	v_lshlrev_b32_e32 v1, v9, v1
	v_sub_u32_e32 v7, 29, v7
	v_and_b32_e32 v1, 7, v1
	v_cmp_eq_u32_e32 vcc, 0, v6
	v_and_b32_e32 v4, 0x80000000, v4
	s_nop 0
	v_cndmask_b32_e32 v6, v6, v7, vcc
	v_cndmask_b32_e32 v1, v5, v1, vcc
	v_mov_b32_e32 v5, 0x3b800000
	v_lshlrev_b32_e32 v1, 20, v1
	v_lshl_add_u32 v5, v6, 23, v5
	v_or3_b32 v1, v4, v5, v1
	v_cvt_i32_f32_e32 v4, v1
.LBB313_448:
	s_or_b64 exec, exec, s[2:3]
.LBB313_449:
	s_mov_b64 s[2:3], -1
.LBB313_450:
	s_mov_b64 s[6:7], 0
.LBB313_451:
	s_and_b64 vcc, exec, s[6:7]
	s_cbranch_vccz .LBB313_484
; %bb.452:
	s_cmp_gt_i32 s8, 22
	s_cbranch_scc0 .LBB313_460
; %bb.453:
	s_cmp_lt_i32 s8, 24
	s_cbranch_scc1 .LBB313_463
; %bb.454:
	s_cmp_gt_i32 s8, 24
	s_cbranch_scc0 .LBB313_464
; %bb.455:
	global_load_ubyte v1, v[2:3], off
	s_movk_i32 s2, 0x7f
	s_mov_b64 s[6:7], 0
	s_waitcnt vmcnt(0)
	v_cmp_lt_i16_e32 vcc, s2, v1
	s_and_saveexec_b64 s[2:3], vcc
	s_xor_b64 s[2:3], exec, s[2:3]
	s_cbranch_execz .LBB313_476
; %bb.456:
	s_movk_i32 s6, 0x80
	v_cmp_ne_u16_e32 vcc, s6, v1
	s_and_b64 s[6:7], vcc, exec
	s_andn2_saveexec_b64 s[2:3], s[2:3]
	s_cbranch_execnz .LBB313_477
.LBB313_457:
	s_or_b64 exec, exec, s[2:3]
	v_mov_b32_e32 v4, 0
	s_and_saveexec_b64 s[2:3], s[6:7]
	s_cbranch_execz .LBB313_459
.LBB313_458:
	v_lshlrev_b32_e32 v4, 24, v1
	v_and_b32_e32 v1, 0xffff, v1
	v_and_b32_e32 v5, 3, v1
	v_ffbh_u32_e32 v7, v5
	v_min_u32_e32 v7, 32, v7
	v_subrev_u32_e32 v9, 29, v7
	v_bfe_u32 v6, v1, 2, 5
	v_lshlrev_b32_e32 v1, v9, v1
	v_sub_u32_e32 v7, 30, v7
	v_and_b32_e32 v1, 3, v1
	v_cmp_eq_u32_e32 vcc, 0, v6
	v_and_b32_e32 v4, 0x80000000, v4
	s_nop 0
	v_cndmask_b32_e32 v6, v6, v7, vcc
	v_cndmask_b32_e32 v1, v5, v1, vcc
	v_mov_b32_e32 v5, 0x37800000
	v_lshlrev_b32_e32 v1, 21, v1
	v_lshl_add_u32 v5, v6, 23, v5
	v_or3_b32 v1, v4, v5, v1
	v_cvt_i32_f32_e32 v4, v1
.LBB313_459:
	s_or_b64 exec, exec, s[2:3]
	s_mov_b64 s[2:3], 0
	s_branch .LBB313_465
.LBB313_460:
	s_mov_b64 s[6:7], -1
                                        ; implicit-def: $vgpr4
	s_branch .LBB313_471
.LBB313_461:
	s_andn2_saveexec_b64 s[2:3], s[2:3]
	s_cbranch_execz .LBB313_446
.LBB313_462:
	v_cmp_ne_u16_e32 vcc, 0, v1
	s_andn2_b64 s[6:7], s[6:7], exec
	s_and_b64 s[10:11], vcc, exec
	s_or_b64 s[6:7], s[6:7], s[10:11]
	s_or_b64 exec, exec, s[2:3]
	v_mov_b32_e32 v4, 0
	s_and_saveexec_b64 s[2:3], s[6:7]
	s_cbranch_execnz .LBB313_447
	s_branch .LBB313_448
.LBB313_463:
	s_mov_b64 s[2:3], -1
                                        ; implicit-def: $vgpr4
	s_branch .LBB313_468
.LBB313_464:
	s_mov_b64 s[2:3], -1
                                        ; implicit-def: $vgpr4
.LBB313_465:
	s_and_b64 vcc, exec, s[2:3]
	s_cbranch_vccz .LBB313_467
; %bb.466:
	global_load_ubyte v1, v[2:3], off
	s_mov_b32 s2, 0x7f800000
	s_waitcnt vmcnt(0)
	v_lshlrev_b32_e32 v1, 24, v1
	v_and_b32_e32 v4, 0x7f000000, v1
	v_ffbh_u32_e32 v5, v4
	v_min_u32_e32 v5, 32, v5
	v_sub_u32_e64 v5, v5, 4 clamp
	v_lshlrev_b32_e32 v7, v5, v4
	v_lshlrev_b32_e32 v5, 23, v5
	v_lshrrev_b32_e32 v7, 4, v7
	v_add_u32_e32 v6, 0x1000000, v4
	v_sub_u32_e32 v5, v7, v5
	v_ashrrev_i32_e32 v6, 8, v6
	v_add_u32_e32 v5, 0x3c000000, v5
	v_and_or_b32 v5, v6, s2, v5
	v_cmp_ne_u32_e32 vcc, 0, v4
	s_brev_b32 s2, 1
	s_nop 0
	v_cndmask_b32_e32 v4, 0, v5, vcc
	v_and_or_b32 v1, v1, s2, v4
	v_cvt_i32_f32_e32 v4, v1
.LBB313_467:
	s_mov_b64 s[2:3], 0
.LBB313_468:
	s_andn2_b64 vcc, exec, s[2:3]
	s_cbranch_vccnz .LBB313_470
; %bb.469:
	global_load_ubyte v1, v[2:3], off
	s_movk_i32 s2, 0x7f00
	s_brev_b32 s3, 16
	s_waitcnt vmcnt(0)
	v_lshlrev_b16_e32 v4, 8, v1
	v_lshlrev_b32_e32 v1, 25, v1
	v_lshrrev_b32_e32 v5, 4, v1
	v_and_or_b32 v6, v4, s2, 0.5
	v_or_b32_e32 v5, 0x70000000, v5
	v_add_f32_e32 v6, -0.5, v6
	v_mul_f32_e32 v5, 0x7800000, v5
	v_cmp_gt_u32_e32 vcc, s3, v1
	v_bfe_i32 v4, v4, 0, 16
	s_brev_b32 s2, 1
	v_cndmask_b32_e32 v1, v5, v6, vcc
	v_and_or_b32 v1, v4, s2, v1
	v_cvt_i32_f32_e32 v4, v1
.LBB313_470:
	s_mov_b64 s[6:7], 0
	s_mov_b64 s[2:3], -1
.LBB313_471:
	s_andn2_b64 vcc, exec, s[6:7]
	s_cbranch_vccnz .LBB313_484
; %bb.472:
	s_cmp_gt_i32 s8, 14
	s_cbranch_scc0 .LBB313_475
; %bb.473:
	s_cmp_eq_u32 s8, 15
	s_cbranch_scc0 .LBB313_478
; %bb.474:
	global_load_ushort v1, v[2:3], off
	s_mov_b64 s[2:3], -1
	s_mov_b64 s[4:5], 0
	s_waitcnt vmcnt(0)
	v_lshlrev_b32_e32 v1, 16, v1
	v_cvt_i32_f32_e32 v4, v1
	s_branch .LBB313_479
.LBB313_475:
	s_mov_b64 s[6:7], -1
                                        ; implicit-def: $vgpr4
	s_branch .LBB313_480
.LBB313_476:
	s_andn2_saveexec_b64 s[2:3], s[2:3]
	s_cbranch_execz .LBB313_457
.LBB313_477:
	v_cmp_ne_u16_e32 vcc, 0, v1
	s_andn2_b64 s[6:7], s[6:7], exec
	s_and_b64 s[10:11], vcc, exec
	s_or_b64 s[6:7], s[6:7], s[10:11]
	s_or_b64 exec, exec, s[2:3]
	v_mov_b32_e32 v4, 0
	s_and_saveexec_b64 s[2:3], s[6:7]
	s_cbranch_execnz .LBB313_458
	s_branch .LBB313_459
.LBB313_478:
	s_mov_b64 s[4:5], -1
                                        ; implicit-def: $vgpr4
.LBB313_479:
	s_mov_b64 s[6:7], 0
.LBB313_480:
	s_and_b64 vcc, exec, s[6:7]
	s_cbranch_vccz .LBB313_484
; %bb.481:
	s_cmp_eq_u32 s8, 11
	s_cbranch_scc0 .LBB313_483
; %bb.482:
	global_load_ubyte v1, v[2:3], off
	s_mov_b64 s[2:3], -1
	s_mov_b64 s[4:5], 0
	s_waitcnt vmcnt(0)
	v_cmp_ne_u16_e32 vcc, 0, v1
	s_nop 1
	v_cndmask_b32_e64 v4, 0, 1, vcc
	s_branch .LBB313_484
.LBB313_483:
	s_mov_b64 s[4:5], -1
                                        ; implicit-def: $vgpr4
.LBB313_484:
	s_branch .LBB313_291
.LBB313_485:
	s_cmp_lt_i32 s8, 5
	s_cbranch_scc1 .LBB313_490
; %bb.486:
	s_cmp_lt_i32 s8, 8
	s_cbranch_scc1 .LBB313_491
; %bb.487:
	s_cmp_lt_i32 s8, 9
	s_cbranch_scc1 .LBB313_492
; %bb.488:
	s_cmp_gt_i32 s8, 9
	s_cbranch_scc0 .LBB313_493
; %bb.489:
	global_load_dwordx2 v[4:5], v[2:3], off
	s_mov_b64 s[2:3], 0
	s_waitcnt vmcnt(0)
	v_cvt_i32_f64_e32 v4, v[4:5]
	s_branch .LBB313_494
.LBB313_490:
	s_mov_b64 s[2:3], -1
                                        ; implicit-def: $vgpr4
	s_branch .LBB313_512
.LBB313_491:
	s_mov_b64 s[2:3], -1
                                        ; implicit-def: $vgpr4
	s_branch .LBB313_500
.LBB313_492:
	s_mov_b64 s[2:3], -1
                                        ; implicit-def: $vgpr4
	s_branch .LBB313_497
.LBB313_493:
	s_mov_b64 s[2:3], -1
                                        ; implicit-def: $vgpr4
.LBB313_494:
	s_andn2_b64 vcc, exec, s[2:3]
	s_cbranch_vccnz .LBB313_496
; %bb.495:
	global_load_dword v1, v[2:3], off
	s_waitcnt vmcnt(0)
	v_cvt_i32_f32_e32 v4, v1
.LBB313_496:
	s_mov_b64 s[2:3], 0
.LBB313_497:
	s_andn2_b64 vcc, exec, s[2:3]
	s_cbranch_vccnz .LBB313_499
; %bb.498:
	global_load_dword v1, v[2:3], off
	s_waitcnt vmcnt(0)
	v_cvt_i16_f16_e32 v4, v1
.LBB313_499:
	s_mov_b64 s[2:3], 0
.LBB313_500:
	s_andn2_b64 vcc, exec, s[2:3]
	s_cbranch_vccnz .LBB313_511
; %bb.501:
	s_cmp_lt_i32 s8, 6
	s_cbranch_scc1 .LBB313_504
; %bb.502:
	s_cmp_gt_i32 s8, 6
	s_cbranch_scc0 .LBB313_505
; %bb.503:
	global_load_dwordx2 v[4:5], v[2:3], off
	s_mov_b64 s[2:3], 0
	s_waitcnt vmcnt(0)
	v_cvt_i32_f64_e32 v4, v[4:5]
	s_branch .LBB313_506
.LBB313_504:
	s_mov_b64 s[2:3], -1
                                        ; implicit-def: $vgpr4
	s_branch .LBB313_509
.LBB313_505:
	s_mov_b64 s[2:3], -1
                                        ; implicit-def: $vgpr4
.LBB313_506:
	s_andn2_b64 vcc, exec, s[2:3]
	s_cbranch_vccnz .LBB313_508
; %bb.507:
	global_load_dword v1, v[2:3], off
	s_waitcnt vmcnt(0)
	v_cvt_i32_f32_e32 v4, v1
.LBB313_508:
	s_mov_b64 s[2:3], 0
.LBB313_509:
	s_andn2_b64 vcc, exec, s[2:3]
	s_cbranch_vccnz .LBB313_511
; %bb.510:
	global_load_ushort v1, v[2:3], off
	s_waitcnt vmcnt(0)
	v_cvt_i16_f16_e32 v4, v1
.LBB313_511:
	s_mov_b64 s[2:3], 0
.LBB313_512:
	s_andn2_b64 vcc, exec, s[2:3]
	s_cbranch_vccnz .LBB313_532
; %bb.513:
	s_cmp_lt_i32 s8, 2
	s_cbranch_scc1 .LBB313_517
; %bb.514:
	s_cmp_lt_i32 s8, 3
	s_cbranch_scc1 .LBB313_518
; %bb.515:
	s_cmp_gt_i32 s8, 3
	s_cbranch_scc0 .LBB313_519
; %bb.516:
	global_load_dwordx2 v[4:5], v[2:3], off
	s_mov_b64 s[2:3], 0
	s_branch .LBB313_520
.LBB313_517:
	s_mov_b64 s[2:3], -1
                                        ; implicit-def: $vgpr4
	s_branch .LBB313_526
.LBB313_518:
	s_mov_b64 s[2:3], -1
                                        ; implicit-def: $vgpr4
	s_branch .LBB313_523
.LBB313_519:
	s_mov_b64 s[2:3], -1
                                        ; implicit-def: $vgpr4
.LBB313_520:
	s_andn2_b64 vcc, exec, s[2:3]
	s_cbranch_vccnz .LBB313_522
; %bb.521:
	global_load_dword v4, v[2:3], off
.LBB313_522:
	s_mov_b64 s[2:3], 0
.LBB313_523:
	s_andn2_b64 vcc, exec, s[2:3]
	s_cbranch_vccnz .LBB313_525
; %bb.524:
	global_load_ushort v4, v[2:3], off
.LBB313_525:
	s_mov_b64 s[2:3], 0
.LBB313_526:
	s_andn2_b64 vcc, exec, s[2:3]
	s_cbranch_vccnz .LBB313_532
; %bb.527:
	s_cmp_gt_i32 s8, 0
	s_cbranch_scc0 .LBB313_529
; %bb.528:
	global_load_sbyte v4, v[2:3], off
	s_mov_b64 s[2:3], 0
	s_branch .LBB313_530
.LBB313_529:
	s_mov_b64 s[2:3], -1
                                        ; implicit-def: $vgpr4
.LBB313_530:
	s_andn2_b64 vcc, exec, s[2:3]
	s_cbranch_vccnz .LBB313_532
; %bb.531:
	global_load_ubyte v4, v[2:3], off
.LBB313_532:
	s_branch .LBB313_292
.LBB313_533:
	s_mov_b64 s[6:7], 0
	s_mov_b64 s[2:3], s[56:57]
.LBB313_534:
                                        ; implicit-def: $vgpr8
.LBB313_535:
	s_andn2_b64 s[8:9], s[56:57], exec
	s_and_b64 s[2:3], s[2:3], exec
	s_or_b64 s[64:65], s[8:9], s[2:3]
	s_andn2_b64 s[2:3], s[58:59], exec
	s_and_b64 s[4:5], s[4:5], exec
	s_or_b64 s[62:63], s[2:3], s[4:5]
	s_orn2_b64 s[2:3], s[6:7], exec
.LBB313_536:
	s_or_b64 exec, exec, s[66:67]
	s_mov_b64 s[4:5], 0
	s_mov_b64 s[6:7], 0
	;; [unrolled: 1-line block ×3, first 2 shown]
                                        ; implicit-def: $vgpr2_vgpr3
                                        ; implicit-def: $vgpr0
                                        ; implicit-def: $vgpr4
	s_and_saveexec_b64 s[66:67], s[2:3]
	s_cbranch_execz .LBB313_905
; %bb.537:
	v_cmp_gt_i32_e32 vcc, s72, v8
	s_mov_b64 s[6:7], -1
	s_mov_b64 s[2:3], s[62:63]
	s_mov_b64 s[70:71], s[64:65]
	s_and_saveexec_b64 s[68:69], vcc
	s_cbranch_execz .LBB313_808
; %bb.538:
	s_andn2_b64 vcc, exec, s[42:43]
	s_cbranch_vccnz .LBB313_544
; %bb.539:
	s_andn2_b64 vcc, exec, s[54:55]
	s_cbranch_vccnz .LBB313_545
; %bb.540:
	s_add_i32 s78, s77, 1
	s_cmp_eq_u32 s74, 2
	s_cbranch_scc1 .LBB313_546
; %bb.541:
	s_and_b32 s73, s78, 28
	s_mov_b32 s79, 0
	v_mov_b32_e32 v0, 0
	v_mov_b32_e32 v2, 0
	s_mov_b64 s[2:3], s[34:35]
	s_mov_b64 s[70:71], s[52:53]
	s_waitcnt vmcnt(0)
	v_mov_b32_e32 v4, v8
.LBB313_542:                            ; =>This Inner Loop Header: Depth=1
	s_load_dwordx8 s[12:19], s[2:3], 0x4
	s_load_dwordx4 s[36:39], s[2:3], 0x24
	s_load_dwordx8 s[4:11], s[70:71], 0x0
	s_add_u32 s2, s2, 48
	s_addc_u32 s3, s3, 0
	s_waitcnt lgkmcnt(0)
	v_mul_hi_u32 v1, s13, v4
	v_add_u32_e32 v1, v4, v1
	v_lshrrev_b32_e32 v1, s14, v1
	v_mul_lo_u32 v3, v1, s12
	v_mul_hi_u32 v5, s16, v1
	v_sub_u32_e32 v3, v4, v3
	v_add_u32_e32 v4, v1, v5
	v_lshrrev_b32_e32 v4, s17, v4
	v_mul_lo_u32 v6, v4, s15
	v_mul_hi_u32 v7, s19, v4
	v_sub_u32_e32 v1, v1, v6
	v_add_u32_e32 v6, v4, v7
	v_mul_lo_u32 v5, v3, s5
	v_mul_lo_u32 v3, v3, s4
	;; [unrolled: 1-line block ×4, first 2 shown]
	v_lshrrev_b32_e32 v6, s36, v6
	v_add3_u32 v0, v3, v0, v1
	v_mul_hi_u32 v3, s38, v6
	v_add3_u32 v1, v5, v2, v7
	v_mul_lo_u32 v2, v6, s18
	v_add_u32_e32 v3, v6, v3
	v_sub_u32_e32 v2, v4, v2
	v_lshrrev_b32_e32 v4, s39, v3
	s_add_i32 s79, s79, 4
	v_mul_lo_u32 v3, v4, s37
	s_add_u32 s70, s70, 32
	v_sub_u32_e32 v3, v6, v3
	s_addc_u32 s71, s71, 0
	v_mul_lo_u32 v5, v2, s8
	v_mul_lo_u32 v2, v2, s9
	;; [unrolled: 1-line block ×4, first 2 shown]
	s_cmp_eq_u32 s73, s79
	v_add3_u32 v2, v2, v1, v3
	v_add3_u32 v0, v5, v0, v6
	s_cbranch_scc0 .LBB313_542
; %bb.543:
	v_mov_b32_e32 v1, v2
	s_branch .LBB313_547
.LBB313_544:
	s_mov_b64 s[2:3], -1
                                        ; implicit-def: $vgpr2
                                        ; implicit-def: $vgpr0
	s_branch .LBB313_551
.LBB313_545:
	v_mov_b32_e32 v2, 0
	v_mov_b32_e32 v0, 0
	s_branch .LBB313_550
.LBB313_546:
	v_mov_b32_e32 v0, 0
	s_mov_b32 s73, 0
	v_mov_b32_e32 v1, v0
                                        ; implicit-def: $vgpr2
	s_waitcnt vmcnt(0)
	v_mov_b32_e32 v4, v8
.LBB313_547:
	s_and_b32 s6, s78, 3
	s_cmp_eq_u32 s6, 0
	s_cbranch_scc1 .LBB313_550
; %bb.548:
	s_lshl_b32 s2, s73, 3
	s_add_u32 s2, s34, s2
	s_addc_u32 s3, s35, 0
	s_add_u32 s2, s2, 0xc4
	s_addc_u32 s3, s3, 0
	s_mul_i32 s4, s73, 12
	s_add_u32 s4, s34, s4
	s_addc_u32 s5, s35, 0
.LBB313_549:                            ; =>This Inner Loop Header: Depth=1
	s_load_dwordx2 s[8:9], s[4:5], 0x4
	s_load_dword s7, s[4:5], 0xc
	s_load_dwordx2 s[10:11], s[2:3], 0x0
	v_mov_b32_e32 v2, v1
	s_add_u32 s4, s4, 12
	s_waitcnt lgkmcnt(0)
	v_mul_hi_u32 v1, s9, v4
	v_add_u32_e32 v1, v4, v1
	v_lshrrev_b32_e32 v1, s7, v1
	s_addc_u32 s5, s5, 0
	v_mul_lo_u32 v3, v1, s8
	s_add_u32 s2, s2, 8
	v_sub_u32_e32 v5, v4, v3
	s_addc_u32 s3, s3, 0
	s_add_i32 s6, s6, -1
	v_mov_b32_e32 v4, v1
	v_mad_u64_u32 v[2:3], s[8:9], v5, s11, v[2:3]
	v_mad_u64_u32 v[0:1], s[8:9], v5, s10, v[0:1]
	s_cmp_lg_u32 s6, 0
	v_mov_b32_e32 v1, v2
	s_cbranch_scc1 .LBB313_549
.LBB313_550:
	s_mov_b64 s[2:3], 0
.LBB313_551:
	s_andn2_b64 vcc, exec, s[2:3]
	s_cbranch_vccnz .LBB313_554
; %bb.552:
	v_mul_hi_u32 v0, s25, v8
	v_add_u32_e32 v0, v8, v0
	v_lshrrev_b32_e32 v1, s26, v0
	v_mul_lo_u32 v0, v1, s24
	v_sub_u32_e32 v0, v8, v0
	v_mul_lo_u32 v2, v0, s29
	s_andn2_b64 vcc, exec, s[50:51]
	v_mul_lo_u32 v0, v0, s28
	s_cbranch_vccnz .LBB313_554
; %bb.553:
	v_mul_hi_u32 v3, s48, v1
	v_add_u32_e32 v3, v1, v3
	v_lshrrev_b32_e32 v3, s49, v3
	v_mul_lo_u32 v3, v3, s27
	v_sub_u32_e32 v3, v1, v3
	v_mad_u64_u32 v[0:1], s[2:3], v3, s30, v[0:1]
	v_mad_u64_u32 v[2:3], s[2:3], v3, s31, v[2:3]
.LBB313_554:
	v_mov_b32_e32 v3, 0
	s_and_b32 s8, 0xffff, s76
	s_cmp_lt_i32 s8, 11
	v_lshl_add_u64 v[2:3], s[22:23], 0, v[2:3]
	s_cbranch_scc1 .LBB313_561
; %bb.555:
	s_cmp_gt_i32 s8, 25
	s_cbranch_scc0 .LBB313_562
; %bb.556:
	s_cmp_gt_i32 s8, 28
	s_cbranch_scc0 .LBB313_563
	;; [unrolled: 3-line block ×4, first 2 shown]
; %bb.559:
	s_cmp_eq_u32 s8, 46
	s_mov_b64 s[6:7], 0
	s_cbranch_scc0 .LBB313_570
; %bb.560:
	global_load_dword v1, v[2:3], off
	s_mov_b64 s[2:3], -1
	s_mov_b64 s[4:5], 0
	s_waitcnt vmcnt(0)
	v_lshlrev_b32_e32 v1, 16, v1
	v_cvt_i32_f32_e32 v4, v1
	s_branch .LBB313_571
.LBB313_561:
	s_mov_b64 s[6:7], -1
	s_mov_b64 s[2:3], 0
                                        ; implicit-def: $vgpr4
	s_mov_b64 s[4:5], s[62:63]
	s_branch .LBB313_632
.LBB313_562:
	s_mov_b64 s[6:7], -1
	s_mov_b64 s[2:3], 0
	s_mov_b64 s[4:5], s[62:63]
                                        ; implicit-def: $vgpr4
	s_branch .LBB313_598
.LBB313_563:
	s_mov_b64 s[6:7], -1
	s_mov_b64 s[2:3], 0
	s_mov_b64 s[4:5], s[62:63]
                                        ; implicit-def: $vgpr4
	s_branch .LBB313_581
.LBB313_564:
	s_mov_b64 s[6:7], -1
	s_mov_b64 s[2:3], 0
	s_mov_b64 s[4:5], s[62:63]
                                        ; implicit-def: $vgpr4
	s_branch .LBB313_576
.LBB313_565:
	s_andn2_saveexec_b64 s[10:11], s[10:11]
	s_cbranch_execz .LBB313_337
.LBB313_566:
	s_mov_b32 s14, 0x46000000
	v_add_f32_e64 v3, |v2|, s14
	v_and_b32_e32 v3, 0xff, v3
	v_cmp_ne_u32_e32 vcc, 0, v3
	s_andn2_b64 s[8:9], s[8:9], exec
	s_and_b64 s[14:15], vcc, exec
	s_or_b64 s[8:9], s[8:9], s[14:15]
	s_or_b64 exec, exec, s[10:11]
	v_mov_b32_e32 v5, 0
	s_and_saveexec_b64 s[10:11], s[8:9]
	s_cbranch_execnz .LBB313_338
	s_branch .LBB313_339
.LBB313_567:
	s_mov_b64 s[6:7], -1
	s_mov_b64 s[2:3], 0
	s_mov_b64 s[4:5], s[62:63]
                                        ; implicit-def: $vgpr4
	s_branch .LBB313_571
.LBB313_568:
	s_andn2_saveexec_b64 s[10:11], s[10:11]
	s_cbranch_execz .LBB313_350
.LBB313_569:
	s_mov_b32 s14, 0x42800000
	v_add_f32_e64 v3, |v2|, s14
	v_and_b32_e32 v3, 0xff, v3
	v_cmp_ne_u32_e32 vcc, 0, v3
	s_andn2_b64 s[8:9], s[8:9], exec
	s_and_b64 s[14:15], vcc, exec
	s_or_b64 s[8:9], s[8:9], s[14:15]
	s_or_b64 exec, exec, s[10:11]
	v_mov_b32_e32 v5, 0
	s_and_saveexec_b64 s[10:11], s[8:9]
	s_cbranch_execnz .LBB313_351
	s_branch .LBB313_352
.LBB313_570:
	s_mov_b64 s[4:5], -1
                                        ; implicit-def: $vgpr4
	s_mov_b64 s[2:3], 0
.LBB313_571:
	s_and_b64 vcc, exec, s[6:7]
	s_cbranch_vccz .LBB313_575
; %bb.572:
	s_cmp_eq_u32 s8, 44
	s_cbranch_scc0 .LBB313_574
; %bb.573:
	global_load_ubyte v1, v[2:3], off
	s_mov_b64 s[2:3], -1
	s_mov_b64 s[4:5], 0
	s_waitcnt vmcnt(0)
	v_lshlrev_b32_e32 v4, 23, v1
	v_cvt_i32_f32_e32 v4, v4
	v_cmp_ne_u32_e32 vcc, 0, v1
	s_nop 1
	v_cndmask_b32_e32 v4, 0, v4, vcc
	s_branch .LBB313_575
.LBB313_574:
	s_mov_b64 s[4:5], -1
                                        ; implicit-def: $vgpr4
.LBB313_575:
	s_mov_b64 s[6:7], 0
.LBB313_576:
	s_and_b64 vcc, exec, s[6:7]
	s_cbranch_vccz .LBB313_580
; %bb.577:
	s_cmp_eq_u32 s8, 29
	s_cbranch_scc0 .LBB313_579
; %bb.578:
	global_load_dwordx2 v[4:5], v[2:3], off
	s_mov_b64 s[2:3], -1
	s_mov_b64 s[4:5], 0
	s_branch .LBB313_580
.LBB313_579:
	s_mov_b64 s[4:5], -1
                                        ; implicit-def: $vgpr4
.LBB313_580:
	s_mov_b64 s[6:7], 0
.LBB313_581:
	s_and_b64 vcc, exec, s[6:7]
	s_cbranch_vccz .LBB313_597
; %bb.582:
	s_cmp_lt_i32 s8, 27
	s_cbranch_scc1 .LBB313_585
; %bb.583:
	s_cmp_gt_i32 s8, 27
	s_cbranch_scc0 .LBB313_586
; %bb.584:
	global_load_dword v4, v[2:3], off
	s_mov_b64 s[2:3], 0
	s_branch .LBB313_587
.LBB313_585:
	s_mov_b64 s[2:3], -1
                                        ; implicit-def: $vgpr4
	s_branch .LBB313_590
.LBB313_586:
	s_mov_b64 s[2:3], -1
                                        ; implicit-def: $vgpr4
.LBB313_587:
	s_andn2_b64 vcc, exec, s[2:3]
	s_cbranch_vccnz .LBB313_589
; %bb.588:
	global_load_ushort v4, v[2:3], off
.LBB313_589:
	s_mov_b64 s[2:3], 0
.LBB313_590:
	s_andn2_b64 vcc, exec, s[2:3]
	s_cbranch_vccnz .LBB313_596
; %bb.591:
	global_load_ubyte v1, v[2:3], off
	s_movk_i32 s2, 0x7f
	s_mov_b64 s[6:7], 0
	s_waitcnt vmcnt(0)
	v_cmp_lt_i16_e32 vcc, s2, v1
	s_and_saveexec_b64 s[2:3], vcc
	s_xor_b64 s[2:3], exec, s[2:3]
	s_cbranch_execz .LBB313_608
; %bb.592:
	s_movk_i32 s6, 0x80
	v_cmp_ne_u16_e32 vcc, s6, v1
	s_and_b64 s[6:7], vcc, exec
	s_andn2_saveexec_b64 s[2:3], s[2:3]
	s_cbranch_execnz .LBB313_609
.LBB313_593:
	s_or_b64 exec, exec, s[2:3]
	v_mov_b32_e32 v4, 0
	s_and_saveexec_b64 s[2:3], s[6:7]
	s_cbranch_execz .LBB313_595
.LBB313_594:
	v_lshlrev_b32_e32 v4, 24, v1
	v_and_b32_e32 v1, 0xffff, v1
	v_and_b32_e32 v5, 7, v1
	v_ffbh_u32_e32 v7, v5
	v_min_u32_e32 v7, 32, v7
	v_subrev_u32_e32 v9, 28, v7
	v_bfe_u32 v6, v1, 3, 4
	v_lshlrev_b32_e32 v1, v9, v1
	v_sub_u32_e32 v7, 29, v7
	v_and_b32_e32 v1, 7, v1
	v_cmp_eq_u32_e32 vcc, 0, v6
	v_and_b32_e32 v4, 0x80000000, v4
	s_nop 0
	v_cndmask_b32_e32 v6, v6, v7, vcc
	v_cndmask_b32_e32 v1, v5, v1, vcc
	v_mov_b32_e32 v5, 0x3b800000
	v_lshlrev_b32_e32 v1, 20, v1
	v_lshl_add_u32 v5, v6, 23, v5
	v_or3_b32 v1, v4, v5, v1
	v_cvt_i32_f32_e32 v4, v1
.LBB313_595:
	s_or_b64 exec, exec, s[2:3]
.LBB313_596:
	s_mov_b64 s[2:3], -1
.LBB313_597:
	s_mov_b64 s[6:7], 0
.LBB313_598:
	s_and_b64 vcc, exec, s[6:7]
	s_cbranch_vccz .LBB313_631
; %bb.599:
	s_cmp_gt_i32 s8, 22
	s_cbranch_scc0 .LBB313_607
; %bb.600:
	s_cmp_lt_i32 s8, 24
	s_cbranch_scc1 .LBB313_610
; %bb.601:
	s_cmp_gt_i32 s8, 24
	s_cbranch_scc0 .LBB313_611
; %bb.602:
	global_load_ubyte v1, v[2:3], off
	s_movk_i32 s2, 0x7f
	s_mov_b64 s[6:7], 0
	s_waitcnt vmcnt(0)
	v_cmp_lt_i16_e32 vcc, s2, v1
	s_and_saveexec_b64 s[2:3], vcc
	s_xor_b64 s[2:3], exec, s[2:3]
	s_cbranch_execz .LBB313_623
; %bb.603:
	s_movk_i32 s6, 0x80
	v_cmp_ne_u16_e32 vcc, s6, v1
	s_and_b64 s[6:7], vcc, exec
	s_andn2_saveexec_b64 s[2:3], s[2:3]
	s_cbranch_execnz .LBB313_624
.LBB313_604:
	s_or_b64 exec, exec, s[2:3]
	v_mov_b32_e32 v4, 0
	s_and_saveexec_b64 s[2:3], s[6:7]
	s_cbranch_execz .LBB313_606
.LBB313_605:
	v_lshlrev_b32_e32 v4, 24, v1
	v_and_b32_e32 v1, 0xffff, v1
	v_and_b32_e32 v5, 3, v1
	v_ffbh_u32_e32 v7, v5
	v_min_u32_e32 v7, 32, v7
	v_subrev_u32_e32 v9, 29, v7
	v_bfe_u32 v6, v1, 2, 5
	v_lshlrev_b32_e32 v1, v9, v1
	v_sub_u32_e32 v7, 30, v7
	v_and_b32_e32 v1, 3, v1
	v_cmp_eq_u32_e32 vcc, 0, v6
	v_and_b32_e32 v4, 0x80000000, v4
	s_nop 0
	v_cndmask_b32_e32 v6, v6, v7, vcc
	v_cndmask_b32_e32 v1, v5, v1, vcc
	v_mov_b32_e32 v5, 0x37800000
	v_lshlrev_b32_e32 v1, 21, v1
	v_lshl_add_u32 v5, v6, 23, v5
	v_or3_b32 v1, v4, v5, v1
	v_cvt_i32_f32_e32 v4, v1
.LBB313_606:
	s_or_b64 exec, exec, s[2:3]
	s_mov_b64 s[2:3], 0
	s_branch .LBB313_612
.LBB313_607:
	s_mov_b64 s[6:7], -1
                                        ; implicit-def: $vgpr4
	s_branch .LBB313_618
.LBB313_608:
	s_andn2_saveexec_b64 s[2:3], s[2:3]
	s_cbranch_execz .LBB313_593
.LBB313_609:
	v_cmp_ne_u16_e32 vcc, 0, v1
	s_andn2_b64 s[6:7], s[6:7], exec
	s_and_b64 s[10:11], vcc, exec
	s_or_b64 s[6:7], s[6:7], s[10:11]
	s_or_b64 exec, exec, s[2:3]
	v_mov_b32_e32 v4, 0
	s_and_saveexec_b64 s[2:3], s[6:7]
	s_cbranch_execnz .LBB313_594
	s_branch .LBB313_595
.LBB313_610:
	s_mov_b64 s[2:3], -1
                                        ; implicit-def: $vgpr4
	s_branch .LBB313_615
.LBB313_611:
	s_mov_b64 s[2:3], -1
                                        ; implicit-def: $vgpr4
.LBB313_612:
	s_and_b64 vcc, exec, s[2:3]
	s_cbranch_vccz .LBB313_614
; %bb.613:
	global_load_ubyte v1, v[2:3], off
	s_mov_b32 s2, 0x7f800000
	s_waitcnt vmcnt(0)
	v_lshlrev_b32_e32 v1, 24, v1
	v_and_b32_e32 v4, 0x7f000000, v1
	v_ffbh_u32_e32 v5, v4
	v_min_u32_e32 v5, 32, v5
	v_sub_u32_e64 v5, v5, 4 clamp
	v_lshlrev_b32_e32 v7, v5, v4
	v_lshlrev_b32_e32 v5, 23, v5
	v_lshrrev_b32_e32 v7, 4, v7
	v_add_u32_e32 v6, 0x1000000, v4
	v_sub_u32_e32 v5, v7, v5
	v_ashrrev_i32_e32 v6, 8, v6
	v_add_u32_e32 v5, 0x3c000000, v5
	v_and_or_b32 v5, v6, s2, v5
	v_cmp_ne_u32_e32 vcc, 0, v4
	s_brev_b32 s2, 1
	s_nop 0
	v_cndmask_b32_e32 v4, 0, v5, vcc
	v_and_or_b32 v1, v1, s2, v4
	v_cvt_i32_f32_e32 v4, v1
.LBB313_614:
	s_mov_b64 s[2:3], 0
.LBB313_615:
	s_andn2_b64 vcc, exec, s[2:3]
	s_cbranch_vccnz .LBB313_617
; %bb.616:
	global_load_ubyte v1, v[2:3], off
	s_movk_i32 s2, 0x7f00
	s_brev_b32 s3, 16
	s_waitcnt vmcnt(0)
	v_lshlrev_b16_e32 v4, 8, v1
	v_lshlrev_b32_e32 v1, 25, v1
	v_lshrrev_b32_e32 v5, 4, v1
	v_and_or_b32 v6, v4, s2, 0.5
	v_or_b32_e32 v5, 0x70000000, v5
	v_add_f32_e32 v6, -0.5, v6
	v_mul_f32_e32 v5, 0x7800000, v5
	v_cmp_gt_u32_e32 vcc, s3, v1
	v_bfe_i32 v4, v4, 0, 16
	s_brev_b32 s2, 1
	v_cndmask_b32_e32 v1, v5, v6, vcc
	v_and_or_b32 v1, v4, s2, v1
	v_cvt_i32_f32_e32 v4, v1
.LBB313_617:
	s_mov_b64 s[6:7], 0
	s_mov_b64 s[2:3], -1
.LBB313_618:
	s_andn2_b64 vcc, exec, s[6:7]
	s_cbranch_vccnz .LBB313_631
; %bb.619:
	s_cmp_gt_i32 s8, 14
	s_cbranch_scc0 .LBB313_622
; %bb.620:
	s_cmp_eq_u32 s8, 15
	s_cbranch_scc0 .LBB313_625
; %bb.621:
	global_load_ushort v1, v[2:3], off
	s_mov_b64 s[2:3], -1
	s_mov_b64 s[4:5], 0
	s_waitcnt vmcnt(0)
	v_lshlrev_b32_e32 v1, 16, v1
	v_cvt_i32_f32_e32 v4, v1
	s_branch .LBB313_626
.LBB313_622:
	s_mov_b64 s[6:7], -1
                                        ; implicit-def: $vgpr4
	s_branch .LBB313_627
.LBB313_623:
	s_andn2_saveexec_b64 s[2:3], s[2:3]
	s_cbranch_execz .LBB313_604
.LBB313_624:
	v_cmp_ne_u16_e32 vcc, 0, v1
	s_andn2_b64 s[6:7], s[6:7], exec
	s_and_b64 s[10:11], vcc, exec
	s_or_b64 s[6:7], s[6:7], s[10:11]
	s_or_b64 exec, exec, s[2:3]
	v_mov_b32_e32 v4, 0
	s_and_saveexec_b64 s[2:3], s[6:7]
	s_cbranch_execnz .LBB313_605
	s_branch .LBB313_606
.LBB313_625:
	s_mov_b64 s[4:5], -1
                                        ; implicit-def: $vgpr4
.LBB313_626:
	s_mov_b64 s[6:7], 0
.LBB313_627:
	s_and_b64 vcc, exec, s[6:7]
	s_cbranch_vccz .LBB313_631
; %bb.628:
	s_cmp_eq_u32 s8, 11
	s_cbranch_scc0 .LBB313_630
; %bb.629:
	global_load_ubyte v1, v[2:3], off
	s_mov_b64 s[2:3], -1
	s_mov_b64 s[4:5], 0
	s_waitcnt vmcnt(0)
	v_cmp_ne_u16_e32 vcc, 0, v1
	s_nop 1
	v_cndmask_b32_e64 v4, 0, 1, vcc
	s_branch .LBB313_631
.LBB313_630:
	s_mov_b64 s[4:5], -1
                                        ; implicit-def: $vgpr4
.LBB313_631:
	s_mov_b64 s[6:7], 0
.LBB313_632:
	s_and_b64 vcc, exec, s[6:7]
	s_cbranch_vccz .LBB313_681
; %bb.633:
	s_cmp_lt_i32 s8, 5
	s_cbranch_scc1 .LBB313_638
; %bb.634:
	s_cmp_lt_i32 s8, 8
	s_cbranch_scc1 .LBB313_639
	;; [unrolled: 3-line block ×3, first 2 shown]
; %bb.636:
	s_cmp_gt_i32 s8, 9
	s_cbranch_scc0 .LBB313_641
; %bb.637:
	global_load_dwordx2 v[4:5], v[2:3], off
	s_mov_b64 s[2:3], 0
	s_waitcnt vmcnt(0)
	v_cvt_i32_f64_e32 v4, v[4:5]
	s_branch .LBB313_642
.LBB313_638:
	s_mov_b64 s[2:3], -1
                                        ; implicit-def: $vgpr4
	s_branch .LBB313_660
.LBB313_639:
	s_mov_b64 s[2:3], -1
                                        ; implicit-def: $vgpr4
	s_branch .LBB313_648
.LBB313_640:
	s_mov_b64 s[2:3], -1
                                        ; implicit-def: $vgpr4
	s_branch .LBB313_645
.LBB313_641:
	s_mov_b64 s[2:3], -1
                                        ; implicit-def: $vgpr4
.LBB313_642:
	s_andn2_b64 vcc, exec, s[2:3]
	s_cbranch_vccnz .LBB313_644
; %bb.643:
	global_load_dword v1, v[2:3], off
	s_waitcnt vmcnt(0)
	v_cvt_i32_f32_e32 v4, v1
.LBB313_644:
	s_mov_b64 s[2:3], 0
.LBB313_645:
	s_andn2_b64 vcc, exec, s[2:3]
	s_cbranch_vccnz .LBB313_647
; %bb.646:
	global_load_dword v1, v[2:3], off
	s_waitcnt vmcnt(0)
	v_cvt_i16_f16_e32 v4, v1
.LBB313_647:
	s_mov_b64 s[2:3], 0
.LBB313_648:
	s_andn2_b64 vcc, exec, s[2:3]
	s_cbranch_vccnz .LBB313_659
; %bb.649:
	s_cmp_lt_i32 s8, 6
	s_cbranch_scc1 .LBB313_652
; %bb.650:
	s_cmp_gt_i32 s8, 6
	s_cbranch_scc0 .LBB313_653
; %bb.651:
	global_load_dwordx2 v[4:5], v[2:3], off
	s_mov_b64 s[2:3], 0
	s_waitcnt vmcnt(0)
	v_cvt_i32_f64_e32 v4, v[4:5]
	s_branch .LBB313_654
.LBB313_652:
	s_mov_b64 s[2:3], -1
                                        ; implicit-def: $vgpr4
	s_branch .LBB313_657
.LBB313_653:
	s_mov_b64 s[2:3], -1
                                        ; implicit-def: $vgpr4
.LBB313_654:
	s_andn2_b64 vcc, exec, s[2:3]
	s_cbranch_vccnz .LBB313_656
; %bb.655:
	global_load_dword v1, v[2:3], off
	s_waitcnt vmcnt(0)
	v_cvt_i32_f32_e32 v4, v1
.LBB313_656:
	s_mov_b64 s[2:3], 0
.LBB313_657:
	s_andn2_b64 vcc, exec, s[2:3]
	s_cbranch_vccnz .LBB313_659
; %bb.658:
	global_load_ushort v1, v[2:3], off
	s_waitcnt vmcnt(0)
	v_cvt_i16_f16_e32 v4, v1
.LBB313_659:
	s_mov_b64 s[2:3], 0
.LBB313_660:
	s_andn2_b64 vcc, exec, s[2:3]
	s_cbranch_vccnz .LBB313_680
; %bb.661:
	s_cmp_lt_i32 s8, 2
	s_cbranch_scc1 .LBB313_665
; %bb.662:
	s_cmp_lt_i32 s8, 3
	s_cbranch_scc1 .LBB313_666
; %bb.663:
	s_cmp_gt_i32 s8, 3
	s_cbranch_scc0 .LBB313_667
; %bb.664:
	global_load_dwordx2 v[4:5], v[2:3], off
	s_mov_b64 s[2:3], 0
	s_branch .LBB313_668
.LBB313_665:
	s_mov_b64 s[2:3], -1
                                        ; implicit-def: $vgpr4
	s_branch .LBB313_674
.LBB313_666:
	s_mov_b64 s[2:3], -1
                                        ; implicit-def: $vgpr4
	s_branch .LBB313_671
.LBB313_667:
	s_mov_b64 s[2:3], -1
                                        ; implicit-def: $vgpr4
.LBB313_668:
	s_andn2_b64 vcc, exec, s[2:3]
	s_cbranch_vccnz .LBB313_670
; %bb.669:
	global_load_dword v4, v[2:3], off
.LBB313_670:
	s_mov_b64 s[2:3], 0
.LBB313_671:
	s_andn2_b64 vcc, exec, s[2:3]
	s_cbranch_vccnz .LBB313_673
; %bb.672:
	global_load_ushort v4, v[2:3], off
.LBB313_673:
	s_mov_b64 s[2:3], 0
.LBB313_674:
	s_andn2_b64 vcc, exec, s[2:3]
	s_cbranch_vccnz .LBB313_680
; %bb.675:
	s_cmp_gt_i32 s8, 0
	s_cbranch_scc0 .LBB313_677
; %bb.676:
	global_load_sbyte v4, v[2:3], off
	s_mov_b64 s[2:3], 0
	s_branch .LBB313_678
.LBB313_677:
	s_mov_b64 s[2:3], -1
                                        ; implicit-def: $vgpr4
.LBB313_678:
	s_andn2_b64 vcc, exec, s[2:3]
	s_cbranch_vccnz .LBB313_680
; %bb.679:
	global_load_ubyte v4, v[2:3], off
.LBB313_680:
	s_mov_b64 s[2:3], -1
.LBB313_681:
	s_andn2_b64 vcc, exec, s[2:3]
	s_cbranch_vccnz .LBB313_689
; %bb.682:
	s_waitcnt vmcnt(0)
	v_max_i16_e32 v1, s46, v4
	v_min_i16_e32 v4, s75, v1
	v_mov_b32_e32 v1, 0
	s_and_b32 s12, s47, 0xff
	s_cmp_lt_i32 s12, 11
	v_lshl_add_u64 v[0:1], s[20:21], 0, v[0:1]
	s_cbranch_scc1 .LBB313_690
; %bb.683:
	s_and_b32 s13, 0xffff, s12
	s_cmp_gt_i32 s13, 25
	s_cbranch_scc0 .LBB313_691
; %bb.684:
	s_cmp_gt_i32 s13, 28
	s_cbranch_scc0 .LBB313_692
; %bb.685:
	;; [unrolled: 3-line block ×4, first 2 shown]
	s_mov_b64 s[8:9], 0
	s_mov_b64 s[2:3], -1
	s_cmp_eq_u32 s13, 46
	s_mov_b64 s[6:7], 0
	s_cbranch_scc0 .LBB313_695
; %bb.688:
	v_cvt_f32_i32_sdwa v2, sext(v4) dst_sel:DWORD dst_unused:UNUSED_PAD src0_sel:WORD_0
	s_movk_i32 s2, 0x7fff
	s_mov_b64 s[6:7], -1
	v_bfe_u32 v3, v2, 16, 1
	v_add3_u32 v2, v2, v3, s2
	v_lshrrev_b32_e32 v2, 16, v2
	global_store_dword v[0:1], v2, off
	s_mov_b64 s[2:3], 0
	s_branch .LBB313_695
.LBB313_689:
	s_mov_b64 s[6:7], 0
	s_mov_b64 s[2:3], s[64:65]
	s_branch .LBB313_806
.LBB313_690:
	s_mov_b64 s[8:9], -1
	s_mov_b64 s[6:7], 0
	s_mov_b64 s[2:3], s[64:65]
	s_branch .LBB313_764
.LBB313_691:
	s_mov_b64 s[8:9], -1
	s_mov_b64 s[6:7], 0
	s_mov_b64 s[2:3], s[64:65]
	s_branch .LBB313_722
.LBB313_692:
	s_mov_b64 s[8:9], -1
	s_mov_b64 s[6:7], 0
	s_mov_b64 s[2:3], s[64:65]
	s_branch .LBB313_705
.LBB313_693:
	s_mov_b64 s[8:9], -1
	s_mov_b64 s[6:7], 0
	s_mov_b64 s[2:3], s[64:65]
	s_branch .LBB313_701
.LBB313_694:
	s_mov_b64 s[8:9], -1
	s_mov_b64 s[6:7], 0
	s_mov_b64 s[2:3], s[64:65]
.LBB313_695:
	s_and_b64 vcc, exec, s[8:9]
	s_cbranch_vccz .LBB313_700
; %bb.696:
	s_cmp_eq_u32 s13, 44
	s_mov_b64 s[2:3], -1
	s_cbranch_scc0 .LBB313_700
; %bb.697:
	v_cvt_f32_i32_sdwa v2, sext(v4) dst_sel:DWORD dst_unused:UNUSED_PAD src0_sel:WORD_0
	s_movk_i32 s2, 0xff
	v_mov_b32_e32 v5, 0xff
	v_bfe_u32 v3, v2, 23, 8
	v_cmp_ne_u32_e32 vcc, s2, v3
	s_and_saveexec_b64 s[6:7], vcc
; %bb.698:
	s_mov_b32 s2, 0x3fffff
	v_lshrrev_b32_e32 v5, 23, v2
	v_and_b32_e32 v6, 0x400000, v2
	v_and_or_b32 v2, v2, s2, v3
	v_cmp_ne_u32_e32 vcc, 0, v6
	v_cmp_ne_u32_e64 s[2:3], 0, v2
	s_and_b64 s[2:3], vcc, s[2:3]
	s_nop 0
	v_cndmask_b32_e64 v2, 0, 1, s[2:3]
	v_add_u32_e32 v5, v5, v2
; %bb.699:
	s_or_b64 exec, exec, s[6:7]
	s_mov_b64 s[6:7], -1
	s_mov_b64 s[2:3], 0
	global_store_byte v[0:1], v5, off
.LBB313_700:
	s_mov_b64 s[8:9], 0
.LBB313_701:
	s_and_b64 vcc, exec, s[8:9]
	s_cbranch_vccz .LBB313_704
; %bb.702:
	s_cmp_eq_u32 s13, 29
	s_mov_b64 s[2:3], -1
	s_cbranch_scc0 .LBB313_704
; %bb.703:
	v_bfe_i32 v2, v4, 0, 16
	v_ashrrev_i32_e32 v3, 31, v2
	global_store_dwordx2 v[0:1], v[2:3], off
	s_mov_b64 s[6:7], -1
	s_mov_b64 s[2:3], 0
.LBB313_704:
	s_mov_b64 s[8:9], 0
.LBB313_705:
	s_and_b64 vcc, exec, s[8:9]
	s_cbranch_vccz .LBB313_721
; %bb.706:
	s_cmp_lt_i32 s13, 27
	s_mov_b64 s[6:7], -1
	s_cbranch_scc1 .LBB313_712
; %bb.707:
	s_cmp_gt_i32 s13, 27
	s_cbranch_scc0 .LBB313_709
; %bb.708:
	v_bfe_i32 v2, v4, 0, 16
	s_mov_b64 s[6:7], 0
	global_store_dword v[0:1], v2, off
.LBB313_709:
	s_andn2_b64 vcc, exec, s[6:7]
	s_cbranch_vccnz .LBB313_711
; %bb.710:
	global_store_short v[0:1], v4, off
.LBB313_711:
	s_mov_b64 s[6:7], 0
.LBB313_712:
	s_andn2_b64 vcc, exec, s[6:7]
	s_cbranch_vccnz .LBB313_720
; %bb.713:
	v_cvt_f32_i32_sdwa v2, sext(v4) dst_sel:DWORD dst_unused:UNUSED_PAD src0_sel:WORD_0
	s_mov_b32 s6, 0x43800000
	v_mov_b32_e32 v5, 0x80
	v_and_b32_e32 v3, 0x7fffffff, v2
	v_cmp_gt_u32_e32 vcc, s6, v3
	s_and_saveexec_b64 s[6:7], vcc
	s_cbranch_execz .LBB313_719
; %bb.714:
	s_mov_b32 s8, 0x3bffffff
	v_cmp_lt_u32_e32 vcc, s8, v3
	s_mov_b64 s[8:9], 0
                                        ; implicit-def: $vgpr3
	s_and_saveexec_b64 s[10:11], vcc
	s_xor_b64 s[10:11], exec, s[10:11]
	s_cbranch_execz .LBB313_837
; %bb.715:
	v_bfe_u32 v3, v2, 20, 1
	s_mov_b32 s14, 0x487ffff
	v_add3_u32 v3, v2, v3, s14
	s_mov_b64 s[8:9], exec
	v_lshrrev_b32_e32 v3, 20, v3
	s_andn2_saveexec_b64 s[10:11], s[10:11]
	s_cbranch_execnz .LBB313_838
.LBB313_716:
	s_or_b64 exec, exec, s[10:11]
	v_mov_b32_e32 v5, 0
	s_and_saveexec_b64 s[10:11], s[8:9]
.LBB313_717:
	v_lshrrev_b32_e32 v2, 24, v2
	s_movk_i32 s8, 0x80
	v_and_or_b32 v5, v2, s8, v3
.LBB313_718:
	s_or_b64 exec, exec, s[10:11]
.LBB313_719:
	s_or_b64 exec, exec, s[6:7]
	global_store_byte v[0:1], v5, off
.LBB313_720:
	s_mov_b64 s[6:7], -1
.LBB313_721:
	s_mov_b64 s[8:9], 0
.LBB313_722:
	s_and_b64 vcc, exec, s[8:9]
	s_cbranch_vccz .LBB313_763
; %bb.723:
	s_cmp_gt_i32 s13, 22
	s_mov_b64 s[8:9], -1
	s_cbranch_scc0 .LBB313_755
; %bb.724:
	s_cmp_lt_i32 s13, 24
	s_mov_b64 s[6:7], -1
	s_cbranch_scc1 .LBB313_744
; %bb.725:
	s_cmp_gt_i32 s13, 24
	s_cbranch_scc0 .LBB313_733
; %bb.726:
	v_cvt_f32_i32_sdwa v2, sext(v4) dst_sel:DWORD dst_unused:UNUSED_PAD src0_sel:WORD_0
	s_mov_b32 s6, 0x47800000
	v_mov_b32_e32 v5, 0x80
	v_and_b32_e32 v3, 0x7fffffff, v2
	v_cmp_gt_u32_e32 vcc, s6, v3
	s_and_saveexec_b64 s[6:7], vcc
	s_cbranch_execz .LBB313_732
; %bb.727:
	s_mov_b32 s8, 0x37ffffff
	v_cmp_lt_u32_e32 vcc, s8, v3
	s_mov_b64 s[8:9], 0
                                        ; implicit-def: $vgpr3
	s_and_saveexec_b64 s[10:11], vcc
	s_xor_b64 s[10:11], exec, s[10:11]
	s_cbranch_execz .LBB313_840
; %bb.728:
	v_bfe_u32 v3, v2, 21, 1
	s_mov_b32 s14, 0x88fffff
	v_add3_u32 v3, v2, v3, s14
	s_mov_b64 s[8:9], exec
	v_lshrrev_b32_e32 v3, 21, v3
	s_andn2_saveexec_b64 s[10:11], s[10:11]
	s_cbranch_execnz .LBB313_841
.LBB313_729:
	s_or_b64 exec, exec, s[10:11]
	v_mov_b32_e32 v5, 0
	s_and_saveexec_b64 s[10:11], s[8:9]
.LBB313_730:
	v_lshrrev_b32_e32 v2, 24, v2
	s_movk_i32 s8, 0x80
	v_and_or_b32 v5, v2, s8, v3
.LBB313_731:
	s_or_b64 exec, exec, s[10:11]
.LBB313_732:
	s_or_b64 exec, exec, s[6:7]
	s_mov_b64 s[6:7], 0
	global_store_byte v[0:1], v5, off
.LBB313_733:
	s_and_b64 vcc, exec, s[6:7]
	s_cbranch_vccz .LBB313_743
; %bb.734:
	v_cvt_f32_i32_sdwa v2, sext(v4) dst_sel:DWORD dst_unused:UNUSED_PAD src0_sel:WORD_0
	s_mov_b32 s6, 0x43f00000
                                        ; implicit-def: $vgpr3
	v_and_b32_e32 v5, 0x7fffffff, v2
	v_cmp_gt_u32_e32 vcc, s6, v5
	s_and_saveexec_b64 s[6:7], vcc
	s_xor_b64 s[6:7], exec, s[6:7]
	s_cbranch_execz .LBB313_740
; %bb.735:
	s_mov_b32 s8, 0x3c7fffff
	v_cmp_lt_u32_e32 vcc, s8, v5
                                        ; implicit-def: $vgpr3
	s_and_saveexec_b64 s[8:9], vcc
	s_xor_b64 s[8:9], exec, s[8:9]
; %bb.736:
	v_bfe_u32 v3, v2, 20, 1
	s_mov_b32 s10, 0x407ffff
	v_add3_u32 v3, v2, v3, s10
	v_lshrrev_b32_e32 v5, 20, v3
	v_and_b32_e32 v3, 0xff00000, v3
	s_mov_b32 s10, 0x7f00000
	v_mov_b32_e32 v6, 0x7e
	v_cmp_ne_u32_e32 vcc, s10, v3
	s_nop 1
	v_cndmask_b32_e32 v3, v6, v5, vcc
; %bb.737:
	s_andn2_saveexec_b64 s[8:9], s[8:9]
; %bb.738:
	s_mov_b32 s10, 0x46800000
	v_add_f32_e64 v3, |v2|, s10
; %bb.739:
	s_or_b64 exec, exec, s[8:9]
                                        ; implicit-def: $vgpr5
.LBB313_740:
	s_andn2_saveexec_b64 s[6:7], s[6:7]
; %bb.741:
	s_mov_b32 s8, 0x7f800000
	v_mov_b32_e32 v3, 0x7e
	v_mov_b32_e32 v6, 0x7f
	v_cmp_lt_u32_e32 vcc, s8, v5
	s_nop 1
	v_cndmask_b32_e32 v3, v3, v6, vcc
; %bb.742:
	s_or_b64 exec, exec, s[6:7]
	v_lshrrev_b32_e32 v2, 24, v2
	s_movk_i32 s6, 0x80
	v_and_or_b32 v2, v2, s6, v3
	global_store_byte v[0:1], v2, off
.LBB313_743:
	s_mov_b64 s[6:7], 0
.LBB313_744:
	s_andn2_b64 vcc, exec, s[6:7]
	s_cbranch_vccnz .LBB313_754
; %bb.745:
	v_cvt_f32_i32_sdwa v2, sext(v4) dst_sel:DWORD dst_unused:UNUSED_PAD src0_sel:WORD_0
	s_mov_b32 s6, 0x47800000
                                        ; implicit-def: $vgpr3
	v_and_b32_e32 v5, 0x7fffffff, v2
	v_cmp_gt_u32_e32 vcc, s6, v5
	s_and_saveexec_b64 s[6:7], vcc
	s_xor_b64 s[6:7], exec, s[6:7]
	s_cbranch_execz .LBB313_751
; %bb.746:
	s_mov_b32 s8, 0x387fffff
	v_cmp_lt_u32_e32 vcc, s8, v5
                                        ; implicit-def: $vgpr3
	s_and_saveexec_b64 s[8:9], vcc
	s_xor_b64 s[8:9], exec, s[8:9]
; %bb.747:
	v_bfe_u32 v3, v2, 21, 1
	s_mov_b32 s10, 0x80fffff
	v_add3_u32 v3, v2, v3, s10
	v_lshrrev_b32_e32 v3, 21, v3
; %bb.748:
	s_andn2_saveexec_b64 s[8:9], s[8:9]
; %bb.749:
	s_mov_b32 s10, 0x43000000
	v_add_f32_e64 v3, |v2|, s10
; %bb.750:
	s_or_b64 exec, exec, s[8:9]
                                        ; implicit-def: $vgpr5
.LBB313_751:
	s_andn2_saveexec_b64 s[6:7], s[6:7]
; %bb.752:
	s_mov_b32 s8, 0x7f800000
	v_mov_b32_e32 v3, 0x7c
	v_mov_b32_e32 v6, 0x7f
	v_cmp_lt_u32_e32 vcc, s8, v5
	s_nop 1
	v_cndmask_b32_e32 v3, v3, v6, vcc
; %bb.753:
	s_or_b64 exec, exec, s[6:7]
	v_lshrrev_b32_e32 v2, 24, v2
	s_movk_i32 s6, 0x80
	v_and_or_b32 v2, v2, s6, v3
	global_store_byte v[0:1], v2, off
.LBB313_754:
	s_mov_b64 s[8:9], 0
	s_mov_b64 s[6:7], -1
.LBB313_755:
	s_andn2_b64 vcc, exec, s[8:9]
	s_cbranch_vccnz .LBB313_763
; %bb.756:
	s_cmp_gt_i32 s13, 14
	s_mov_b64 s[8:9], -1
	s_cbranch_scc0 .LBB313_760
; %bb.757:
	s_cmp_eq_u32 s13, 15
	s_mov_b64 s[2:3], -1
	s_cbranch_scc0 .LBB313_759
; %bb.758:
	v_cvt_f32_i32_sdwa v2, sext(v4) dst_sel:DWORD dst_unused:UNUSED_PAD src0_sel:WORD_0
	s_movk_i32 s2, 0x7fff
	s_mov_b64 s[6:7], -1
	v_bfe_u32 v3, v2, 16, 1
	v_add3_u32 v2, v2, v3, s2
	global_store_short_d16_hi v[0:1], v2, off
	s_mov_b64 s[2:3], 0
.LBB313_759:
	s_mov_b64 s[8:9], 0
.LBB313_760:
	s_and_b64 vcc, exec, s[8:9]
	s_cbranch_vccz .LBB313_763
; %bb.761:
	s_cmp_eq_u32 s13, 11
	s_mov_b64 s[2:3], -1
	s_cbranch_scc0 .LBB313_763
; %bb.762:
	v_cmp_ne_u16_e32 vcc, 0, v4
	s_mov_b64 s[6:7], -1
	s_mov_b64 s[2:3], 0
	v_cndmask_b32_e64 v2, 0, 1, vcc
	global_store_byte v[0:1], v2, off
.LBB313_763:
	s_mov_b64 s[8:9], 0
.LBB313_764:
	s_and_b64 vcc, exec, s[8:9]
	s_cbranch_vccz .LBB313_803
; %bb.765:
	s_and_b32 s8, 0xffff, s12
	s_cmp_lt_i32 s8, 5
	s_mov_b64 s[6:7], -1
	s_cbranch_scc1 .LBB313_786
; %bb.766:
	s_cmp_lt_i32 s8, 8
	s_cbranch_scc1 .LBB313_776
; %bb.767:
	s_cmp_lt_i32 s8, 9
	s_cbranch_scc1 .LBB313_773
; %bb.768:
	s_cmp_gt_i32 s8, 9
	s_cbranch_scc0 .LBB313_770
; %bb.769:
	v_bfe_i32 v2, v4, 0, 16
	v_mov_b32_e32 v12, 0
	v_cvt_f64_i32_e32 v[10:11], v2
	v_mov_b32_e32 v13, v12
	s_mov_b64 s[6:7], 0
	global_store_dwordx4 v[0:1], v[10:13], off
.LBB313_770:
	s_andn2_b64 vcc, exec, s[6:7]
	s_cbranch_vccnz .LBB313_772
; %bb.771:
	v_cvt_f32_i32_sdwa v2, sext(v4) dst_sel:DWORD dst_unused:UNUSED_PAD src0_sel:WORD_0
	v_mov_b32_e32 v3, 0
	global_store_dwordx2 v[0:1], v[2:3], off
.LBB313_772:
	s_mov_b64 s[6:7], 0
.LBB313_773:
	s_andn2_b64 vcc, exec, s[6:7]
	s_cbranch_vccnz .LBB313_775
; %bb.774:
	v_cvt_f16_i16_e32 v2, v4
	global_store_dword v[0:1], v2, off
.LBB313_775:
	s_mov_b64 s[6:7], 0
.LBB313_776:
	s_andn2_b64 vcc, exec, s[6:7]
	s_cbranch_vccnz .LBB313_785
; %bb.777:
	s_cmp_lt_i32 s8, 6
	s_mov_b64 s[6:7], -1
	s_cbranch_scc1 .LBB313_783
; %bb.778:
	s_cmp_gt_i32 s8, 6
	s_cbranch_scc0 .LBB313_780
; %bb.779:
	v_bfe_i32 v2, v4, 0, 16
	v_cvt_f64_i32_e32 v[2:3], v2
	s_mov_b64 s[6:7], 0
	global_store_dwordx2 v[0:1], v[2:3], off
.LBB313_780:
	s_andn2_b64 vcc, exec, s[6:7]
	s_cbranch_vccnz .LBB313_782
; %bb.781:
	v_cvt_f32_i32_sdwa v2, sext(v4) dst_sel:DWORD dst_unused:UNUSED_PAD src0_sel:WORD_0
	global_store_dword v[0:1], v2, off
.LBB313_782:
	s_mov_b64 s[6:7], 0
.LBB313_783:
	s_andn2_b64 vcc, exec, s[6:7]
	s_cbranch_vccnz .LBB313_785
; %bb.784:
	v_cvt_f16_i16_e32 v2, v4
	global_store_short v[0:1], v2, off
.LBB313_785:
	s_mov_b64 s[6:7], 0
.LBB313_786:
	s_andn2_b64 vcc, exec, s[6:7]
	s_cbranch_vccnz .LBB313_802
; %bb.787:
	s_cmp_lt_i32 s8, 2
	s_mov_b64 s[6:7], -1
	s_cbranch_scc1 .LBB313_797
; %bb.788:
	s_cmp_lt_i32 s8, 3
	s_cbranch_scc1 .LBB313_794
; %bb.789:
	s_cmp_gt_i32 s8, 3
	v_bfe_i32 v2, v4, 0, 16
	s_cbranch_scc0 .LBB313_791
; %bb.790:
	v_ashrrev_i32_e32 v3, 31, v2
	s_mov_b64 s[6:7], 0
	global_store_dwordx2 v[0:1], v[2:3], off
.LBB313_791:
	s_andn2_b64 vcc, exec, s[6:7]
	s_cbranch_vccnz .LBB313_793
; %bb.792:
	global_store_dword v[0:1], v2, off
.LBB313_793:
	s_mov_b64 s[6:7], 0
.LBB313_794:
	s_andn2_b64 vcc, exec, s[6:7]
	s_cbranch_vccnz .LBB313_796
; %bb.795:
	global_store_short v[0:1], v4, off
.LBB313_796:
	s_mov_b64 s[6:7], 0
.LBB313_797:
	s_andn2_b64 vcc, exec, s[6:7]
	s_cbranch_vccnz .LBB313_802
; %bb.798:
	s_cmp_gt_i32 s8, 0
	s_mov_b64 s[6:7], -1
	s_cbranch_scc0 .LBB313_800
; %bb.799:
	s_mov_b64 s[6:7], 0
	global_store_byte v[0:1], v4, off
.LBB313_800:
	s_andn2_b64 vcc, exec, s[6:7]
	s_cbranch_vccnz .LBB313_802
; %bb.801:
	global_store_byte v[0:1], v4, off
.LBB313_802:
	s_mov_b64 s[6:7], -1
.LBB313_803:
	s_andn2_b64 vcc, exec, s[6:7]
	s_cbranch_vccnz .LBB313_805
; %bb.804:
	v_add_u32_e32 v8, 0x80, v8
	s_mov_b64 s[6:7], -1
	s_branch .LBB313_807
.LBB313_805:
	s_mov_b64 s[6:7], 0
.LBB313_806:
                                        ; implicit-def: $vgpr8
.LBB313_807:
	s_andn2_b64 s[8:9], s[64:65], exec
	s_and_b64 s[2:3], s[2:3], exec
	s_or_b64 s[70:71], s[8:9], s[2:3]
	s_andn2_b64 s[2:3], s[62:63], exec
	s_and_b64 s[4:5], s[4:5], exec
	s_or_b64 s[2:3], s[2:3], s[4:5]
	s_orn2_b64 s[6:7], s[6:7], exec
.LBB313_808:
	s_or_b64 exec, exec, s[68:69]
	s_mov_b64 s[4:5], 0
	s_mov_b64 s[10:11], 0
	;; [unrolled: 1-line block ×3, first 2 shown]
                                        ; implicit-def: $vgpr2_vgpr3
                                        ; implicit-def: $vgpr0
                                        ; implicit-def: $vgpr4
	s_and_saveexec_b64 s[68:69], s[6:7]
	s_cbranch_execz .LBB313_904
; %bb.809:
	v_cmp_gt_i32_e32 vcc, s72, v8
	s_mov_b64 s[6:7], 0
	s_mov_b64 s[12:13], s[2:3]
                                        ; implicit-def: $vgpr2_vgpr3
                                        ; implicit-def: $vgpr0
                                        ; implicit-def: $vgpr4
	s_and_saveexec_b64 s[72:73], vcc
	s_cbranch_execz .LBB313_903
; %bb.810:
	s_andn2_b64 vcc, exec, s[42:43]
	s_cbranch_vccnz .LBB313_816
; %bb.811:
	s_andn2_b64 vcc, exec, s[54:55]
	s_cbranch_vccnz .LBB313_817
; %bb.812:
	s_add_i32 s78, s77, 1
	s_cmp_eq_u32 s74, 2
	s_cbranch_scc1 .LBB313_818
; %bb.813:
	s_and_b32 s77, s78, 28
	s_mov_b32 s79, 0
	v_mov_b32_e32 v0, 0
	v_mov_b32_e32 v2, 0
	s_mov_b64 s[54:55], s[34:35]
	s_waitcnt vmcnt(0)
	v_mov_b32_e32 v4, v8
.LBB313_814:                            ; =>This Inner Loop Header: Depth=1
	s_load_dwordx8 s[12:19], s[54:55], 0x4
	s_load_dwordx4 s[36:39], s[54:55], 0x24
	s_load_dwordx8 s[4:11], s[52:53], 0x0
	s_add_u32 s54, s54, 48
	s_addc_u32 s55, s55, 0
	s_waitcnt lgkmcnt(0)
	v_mul_hi_u32 v1, s13, v4
	v_add_u32_e32 v1, v4, v1
	v_lshrrev_b32_e32 v1, s14, v1
	v_mul_lo_u32 v3, v1, s12
	v_mul_hi_u32 v5, s16, v1
	v_sub_u32_e32 v3, v4, v3
	v_add_u32_e32 v4, v1, v5
	v_lshrrev_b32_e32 v4, s17, v4
	v_mul_lo_u32 v6, v4, s15
	v_mul_hi_u32 v7, s19, v4
	v_sub_u32_e32 v1, v1, v6
	v_add_u32_e32 v6, v4, v7
	v_mul_lo_u32 v5, v3, s5
	v_mul_lo_u32 v3, v3, s4
	;; [unrolled: 1-line block ×4, first 2 shown]
	v_lshrrev_b32_e32 v6, s36, v6
	v_add3_u32 v0, v3, v0, v1
	v_mul_hi_u32 v3, s38, v6
	v_add3_u32 v1, v5, v2, v7
	v_mul_lo_u32 v2, v6, s18
	v_add_u32_e32 v3, v6, v3
	v_sub_u32_e32 v2, v4, v2
	v_lshrrev_b32_e32 v4, s39, v3
	s_add_i32 s79, s79, 4
	v_mul_lo_u32 v3, v4, s37
	s_add_u32 s52, s52, 32
	v_sub_u32_e32 v3, v6, v3
	s_addc_u32 s53, s53, 0
	v_mul_lo_u32 v5, v2, s8
	v_mul_lo_u32 v2, v2, s9
	;; [unrolled: 1-line block ×4, first 2 shown]
	s_cmp_eq_u32 s77, s79
	v_add3_u32 v2, v2, v1, v3
	v_add3_u32 v0, v5, v0, v6
	s_cbranch_scc0 .LBB313_814
; %bb.815:
	v_mov_b32_e32 v1, v2
	s_branch .LBB313_819
.LBB313_816:
	s_mov_b64 s[4:5], -1
                                        ; implicit-def: $vgpr2
                                        ; implicit-def: $vgpr0
	s_branch .LBB313_823
.LBB313_817:
	v_mov_b32_e32 v2, 0
	v_mov_b32_e32 v0, 0
	s_branch .LBB313_822
.LBB313_818:
	v_mov_b32_e32 v0, 0
	s_mov_b32 s77, 0
	v_mov_b32_e32 v1, v0
                                        ; implicit-def: $vgpr2
	s_waitcnt vmcnt(0)
	v_mov_b32_e32 v4, v8
.LBB313_819:
	s_and_b32 s8, s78, 3
	s_cmp_eq_u32 s8, 0
	s_cbranch_scc1 .LBB313_822
; %bb.820:
	s_lshl_b32 s4, s77, 3
	s_add_u32 s4, s34, s4
	s_addc_u32 s5, s35, 0
	s_add_u32 s4, s4, 0xc4
	s_addc_u32 s5, s5, 0
	s_mul_i32 s6, s77, 12
	s_add_u32 s6, s34, s6
	s_addc_u32 s7, s35, 0
.LBB313_821:                            ; =>This Inner Loop Header: Depth=1
	s_load_dwordx2 s[10:11], s[6:7], 0x4
	s_load_dword s9, s[6:7], 0xc
	s_load_dwordx2 s[12:13], s[4:5], 0x0
	v_mov_b32_e32 v2, v1
	s_add_u32 s6, s6, 12
	s_waitcnt lgkmcnt(0)
	v_mul_hi_u32 v1, s11, v4
	v_add_u32_e32 v1, v4, v1
	v_lshrrev_b32_e32 v1, s9, v1
	s_addc_u32 s7, s7, 0
	v_mul_lo_u32 v3, v1, s10
	s_add_u32 s4, s4, 8
	v_sub_u32_e32 v5, v4, v3
	s_addc_u32 s5, s5, 0
	s_add_i32 s8, s8, -1
	v_mov_b32_e32 v4, v1
	v_mad_u64_u32 v[2:3], s[10:11], v5, s13, v[2:3]
	v_mad_u64_u32 v[0:1], s[10:11], v5, s12, v[0:1]
	s_cmp_lg_u32 s8, 0
	v_mov_b32_e32 v1, v2
	s_cbranch_scc1 .LBB313_821
.LBB313_822:
	s_mov_b64 s[4:5], 0
.LBB313_823:
	s_andn2_b64 vcc, exec, s[4:5]
	s_cbranch_vccnz .LBB313_826
; %bb.824:
	v_mul_hi_u32 v0, s25, v8
	v_add_u32_e32 v0, v8, v0
	v_lshrrev_b32_e32 v1, s26, v0
	v_mul_lo_u32 v0, v1, s24
	v_sub_u32_e32 v0, v8, v0
	v_mul_lo_u32 v2, v0, s29
	s_andn2_b64 vcc, exec, s[50:51]
	v_mul_lo_u32 v0, v0, s28
	s_cbranch_vccnz .LBB313_826
; %bb.825:
	v_mul_hi_u32 v3, s48, v1
	v_add_u32_e32 v3, v1, v3
	v_lshrrev_b32_e32 v3, s49, v3
	v_mul_lo_u32 v3, v3, s27
	v_sub_u32_e32 v3, v1, v3
	v_mad_u64_u32 v[0:1], s[4:5], v3, s30, v[0:1]
	v_mad_u64_u32 v[2:3], s[4:5], v3, s31, v[2:3]
.LBB313_826:
	v_mov_b32_e32 v3, 0
	s_and_b32 s12, 0xffff, s76
	s_cmp_lt_i32 s12, 11
	v_lshl_add_u64 v[2:3], s[22:23], 0, v[2:3]
	s_cbranch_scc1 .LBB313_833
; %bb.827:
	s_cmp_gt_i32 s12, 25
	s_mov_b64 s[6:7], 0
	s_cbranch_scc0 .LBB313_834
; %bb.828:
	s_cmp_gt_i32 s12, 28
	s_cbranch_scc0 .LBB313_835
; %bb.829:
	s_cmp_gt_i32 s12, 43
	;; [unrolled: 3-line block ×3, first 2 shown]
	s_cbranch_scc0 .LBB313_839
; %bb.831:
	s_cmp_eq_u32 s12, 46
	s_mov_b64 s[10:11], 0
	s_cbranch_scc0 .LBB313_842
; %bb.832:
	global_load_dword v1, v[2:3], off
	s_mov_b64 s[4:5], 0
	s_mov_b64 s[8:9], -1
	s_waitcnt vmcnt(0)
	v_lshlrev_b32_e32 v1, 16, v1
	v_cvt_i32_f32_e32 v4, v1
	s_branch .LBB313_843
.LBB313_833:
	s_mov_b64 s[10:11], -1
	s_mov_b64 s[8:9], 0
	s_mov_b64 s[6:7], 0
	;; [unrolled: 1-line block ×3, first 2 shown]
                                        ; implicit-def: $vgpr4
	s_branch .LBB313_902
.LBB313_834:
	s_mov_b64 s[10:11], -1
	s_mov_b64 s[8:9], 0
	s_mov_b64 s[4:5], s[2:3]
                                        ; implicit-def: $vgpr4
	s_branch .LBB313_870
.LBB313_835:
	s_mov_b64 s[10:11], -1
	s_mov_b64 s[8:9], 0
	s_mov_b64 s[4:5], s[2:3]
                                        ; implicit-def: $vgpr4
	s_branch .LBB313_853
.LBB313_836:
	s_mov_b64 s[10:11], -1
	s_mov_b64 s[8:9], 0
	s_mov_b64 s[4:5], s[2:3]
                                        ; implicit-def: $vgpr4
	s_branch .LBB313_848
.LBB313_837:
	s_andn2_saveexec_b64 s[10:11], s[10:11]
	s_cbranch_execz .LBB313_716
.LBB313_838:
	s_mov_b32 s14, 0x46000000
	v_add_f32_e64 v3, |v2|, s14
	v_and_b32_e32 v3, 0xff, v3
	v_cmp_ne_u32_e32 vcc, 0, v3
	s_andn2_b64 s[8:9], s[8:9], exec
	s_and_b64 s[14:15], vcc, exec
	s_or_b64 s[8:9], s[8:9], s[14:15]
	s_or_b64 exec, exec, s[10:11]
	v_mov_b32_e32 v5, 0
	s_and_saveexec_b64 s[10:11], s[8:9]
	s_cbranch_execnz .LBB313_717
	s_branch .LBB313_718
.LBB313_839:
	s_mov_b64 s[10:11], -1
	s_mov_b64 s[8:9], 0
	s_mov_b64 s[4:5], s[2:3]
                                        ; implicit-def: $vgpr4
	s_branch .LBB313_843
.LBB313_840:
	s_andn2_saveexec_b64 s[10:11], s[10:11]
	s_cbranch_execz .LBB313_729
.LBB313_841:
	s_mov_b32 s14, 0x42800000
	v_add_f32_e64 v3, |v2|, s14
	v_and_b32_e32 v3, 0xff, v3
	v_cmp_ne_u32_e32 vcc, 0, v3
	s_andn2_b64 s[8:9], s[8:9], exec
	s_and_b64 s[14:15], vcc, exec
	s_or_b64 s[8:9], s[8:9], s[14:15]
	s_or_b64 exec, exec, s[10:11]
	v_mov_b32_e32 v5, 0
	s_and_saveexec_b64 s[10:11], s[8:9]
	s_cbranch_execnz .LBB313_730
	s_branch .LBB313_731
.LBB313_842:
	s_mov_b64 s[4:5], -1
                                        ; implicit-def: $vgpr4
	s_mov_b64 s[8:9], 0
.LBB313_843:
	s_and_b64 vcc, exec, s[10:11]
	s_cbranch_vccz .LBB313_847
; %bb.844:
	s_cmp_eq_u32 s12, 44
	s_cbranch_scc0 .LBB313_846
; %bb.845:
	global_load_ubyte v1, v[2:3], off
	s_mov_b64 s[4:5], 0
	s_mov_b64 s[8:9], -1
	s_waitcnt vmcnt(0)
	v_lshlrev_b32_e32 v4, 23, v1
	v_cvt_i32_f32_e32 v4, v4
	v_cmp_ne_u32_e32 vcc, 0, v1
	s_nop 1
	v_cndmask_b32_e32 v4, 0, v4, vcc
	s_branch .LBB313_847
.LBB313_846:
	s_mov_b64 s[4:5], -1
                                        ; implicit-def: $vgpr4
.LBB313_847:
	s_mov_b64 s[10:11], 0
.LBB313_848:
	s_and_b64 vcc, exec, s[10:11]
	s_cbranch_vccz .LBB313_852
; %bb.849:
	s_cmp_eq_u32 s12, 29
	s_cbranch_scc0 .LBB313_851
; %bb.850:
	global_load_dwordx2 v[4:5], v[2:3], off
	s_mov_b64 s[4:5], 0
	s_mov_b64 s[8:9], -1
	s_branch .LBB313_852
.LBB313_851:
	s_mov_b64 s[4:5], -1
                                        ; implicit-def: $vgpr4
.LBB313_852:
	s_mov_b64 s[10:11], 0
.LBB313_853:
	s_and_b64 vcc, exec, s[10:11]
	s_cbranch_vccz .LBB313_869
; %bb.854:
	s_cmp_lt_i32 s12, 27
	s_cbranch_scc1 .LBB313_857
; %bb.855:
	s_cmp_gt_i32 s12, 27
	s_cbranch_scc0 .LBB313_858
; %bb.856:
	global_load_dword v4, v[2:3], off
	s_mov_b64 s[8:9], 0
	s_branch .LBB313_859
.LBB313_857:
	s_mov_b64 s[8:9], -1
                                        ; implicit-def: $vgpr4
	s_branch .LBB313_862
.LBB313_858:
	s_mov_b64 s[8:9], -1
                                        ; implicit-def: $vgpr4
.LBB313_859:
	s_andn2_b64 vcc, exec, s[8:9]
	s_cbranch_vccnz .LBB313_861
; %bb.860:
	global_load_ushort v4, v[2:3], off
.LBB313_861:
	s_mov_b64 s[8:9], 0
.LBB313_862:
	s_andn2_b64 vcc, exec, s[8:9]
	s_cbranch_vccnz .LBB313_868
; %bb.863:
	global_load_ubyte v1, v[2:3], off
	s_movk_i32 s8, 0x7f
	s_mov_b64 s[10:11], 0
	s_waitcnt vmcnt(0)
	v_cmp_lt_i16_e32 vcc, s8, v1
	s_and_saveexec_b64 s[8:9], vcc
	s_xor_b64 s[8:9], exec, s[8:9]
	s_cbranch_execz .LBB313_880
; %bb.864:
	s_movk_i32 s10, 0x80
	v_cmp_ne_u16_e32 vcc, s10, v1
	s_and_b64 s[10:11], vcc, exec
	s_andn2_saveexec_b64 s[8:9], s[8:9]
	s_cbranch_execnz .LBB313_881
.LBB313_865:
	s_or_b64 exec, exec, s[8:9]
	v_mov_b32_e32 v4, 0
	s_and_saveexec_b64 s[8:9], s[10:11]
	s_cbranch_execz .LBB313_867
.LBB313_866:
	v_lshlrev_b32_e32 v4, 24, v1
	v_and_b32_e32 v1, 0xffff, v1
	v_and_b32_e32 v5, 7, v1
	v_ffbh_u32_e32 v7, v5
	v_min_u32_e32 v7, 32, v7
	v_subrev_u32_e32 v8, 28, v7
	v_bfe_u32 v6, v1, 3, 4
	v_lshlrev_b32_e32 v1, v8, v1
	v_sub_u32_e32 v7, 29, v7
	v_and_b32_e32 v1, 7, v1
	v_cmp_eq_u32_e32 vcc, 0, v6
	v_and_b32_e32 v4, 0x80000000, v4
	s_nop 0
	v_cndmask_b32_e32 v6, v6, v7, vcc
	v_cndmask_b32_e32 v1, v5, v1, vcc
	v_mov_b32_e32 v5, 0x3b800000
	v_lshlrev_b32_e32 v1, 20, v1
	v_lshl_add_u32 v5, v6, 23, v5
	v_or3_b32 v1, v4, v5, v1
	v_cvt_i32_f32_e32 v4, v1
.LBB313_867:
	s_or_b64 exec, exec, s[8:9]
.LBB313_868:
	s_mov_b64 s[8:9], -1
.LBB313_869:
	s_mov_b64 s[10:11], 0
.LBB313_870:
	s_and_b64 vcc, exec, s[10:11]
	s_cbranch_vccz .LBB313_901
; %bb.871:
	s_cmp_gt_i32 s12, 22
	s_cbranch_scc0 .LBB313_879
; %bb.872:
	s_cmp_lt_i32 s12, 24
	s_cbranch_scc1 .LBB313_882
; %bb.873:
	s_cmp_gt_i32 s12, 24
	s_cbranch_scc0 .LBB313_883
; %bb.874:
	global_load_ubyte v1, v[2:3], off
	s_movk_i32 s6, 0x7f
	s_mov_b64 s[8:9], 0
	s_waitcnt vmcnt(0)
	v_cmp_lt_i16_e32 vcc, s6, v1
	s_and_saveexec_b64 s[6:7], vcc
	s_xor_b64 s[6:7], exec, s[6:7]
	s_cbranch_execz .LBB313_895
; %bb.875:
	s_movk_i32 s8, 0x80
	v_cmp_ne_u16_e32 vcc, s8, v1
	s_and_b64 s[8:9], vcc, exec
	s_andn2_saveexec_b64 s[6:7], s[6:7]
	s_cbranch_execnz .LBB313_896
.LBB313_876:
	s_or_b64 exec, exec, s[6:7]
	v_mov_b32_e32 v4, 0
	s_and_saveexec_b64 s[6:7], s[8:9]
	s_cbranch_execz .LBB313_878
.LBB313_877:
	v_lshlrev_b32_e32 v4, 24, v1
	v_and_b32_e32 v1, 0xffff, v1
	v_and_b32_e32 v5, 3, v1
	v_ffbh_u32_e32 v7, v5
	v_min_u32_e32 v7, 32, v7
	v_subrev_u32_e32 v8, 29, v7
	v_bfe_u32 v6, v1, 2, 5
	v_lshlrev_b32_e32 v1, v8, v1
	v_sub_u32_e32 v7, 30, v7
	v_and_b32_e32 v1, 3, v1
	v_cmp_eq_u32_e32 vcc, 0, v6
	v_and_b32_e32 v4, 0x80000000, v4
	s_nop 0
	v_cndmask_b32_e32 v6, v6, v7, vcc
	v_cndmask_b32_e32 v1, v5, v1, vcc
	v_mov_b32_e32 v5, 0x37800000
	v_lshlrev_b32_e32 v1, 21, v1
	v_lshl_add_u32 v5, v6, 23, v5
	v_or3_b32 v1, v4, v5, v1
	v_cvt_i32_f32_e32 v4, v1
.LBB313_878:
	s_or_b64 exec, exec, s[6:7]
	s_mov_b64 s[6:7], 0
	s_branch .LBB313_884
.LBB313_879:
	s_mov_b64 s[6:7], -1
                                        ; implicit-def: $vgpr4
	s_branch .LBB313_890
.LBB313_880:
	s_andn2_saveexec_b64 s[8:9], s[8:9]
	s_cbranch_execz .LBB313_865
.LBB313_881:
	v_cmp_ne_u16_e32 vcc, 0, v1
	s_andn2_b64 s[10:11], s[10:11], exec
	s_and_b64 s[14:15], vcc, exec
	s_or_b64 s[10:11], s[10:11], s[14:15]
	s_or_b64 exec, exec, s[8:9]
	v_mov_b32_e32 v4, 0
	s_and_saveexec_b64 s[8:9], s[10:11]
	s_cbranch_execnz .LBB313_866
	s_branch .LBB313_867
.LBB313_882:
	s_mov_b64 s[6:7], -1
                                        ; implicit-def: $vgpr4
	s_branch .LBB313_887
.LBB313_883:
	s_mov_b64 s[6:7], -1
                                        ; implicit-def: $vgpr4
.LBB313_884:
	s_and_b64 vcc, exec, s[6:7]
	s_cbranch_vccz .LBB313_886
; %bb.885:
	global_load_ubyte v1, v[2:3], off
	s_mov_b32 s6, 0x7f800000
	s_waitcnt vmcnt(0)
	v_lshlrev_b32_e32 v1, 24, v1
	v_and_b32_e32 v4, 0x7f000000, v1
	v_ffbh_u32_e32 v5, v4
	v_min_u32_e32 v5, 32, v5
	v_sub_u32_e64 v5, v5, 4 clamp
	v_lshlrev_b32_e32 v7, v5, v4
	v_lshlrev_b32_e32 v5, 23, v5
	v_lshrrev_b32_e32 v7, 4, v7
	v_add_u32_e32 v6, 0x1000000, v4
	v_sub_u32_e32 v5, v7, v5
	v_ashrrev_i32_e32 v6, 8, v6
	v_add_u32_e32 v5, 0x3c000000, v5
	v_and_or_b32 v5, v6, s6, v5
	v_cmp_ne_u32_e32 vcc, 0, v4
	s_brev_b32 s6, 1
	s_nop 0
	v_cndmask_b32_e32 v4, 0, v5, vcc
	v_and_or_b32 v1, v1, s6, v4
	v_cvt_i32_f32_e32 v4, v1
.LBB313_886:
	s_mov_b64 s[6:7], 0
.LBB313_887:
	s_andn2_b64 vcc, exec, s[6:7]
	s_cbranch_vccnz .LBB313_889
; %bb.888:
	global_load_ubyte v1, v[2:3], off
	s_movk_i32 s6, 0x7f00
	s_brev_b32 s7, 16
	s_waitcnt vmcnt(0)
	v_lshlrev_b16_e32 v4, 8, v1
	v_lshlrev_b32_e32 v1, 25, v1
	v_lshrrev_b32_e32 v5, 4, v1
	v_and_or_b32 v6, v4, s6, 0.5
	v_or_b32_e32 v5, 0x70000000, v5
	v_add_f32_e32 v6, -0.5, v6
	v_mul_f32_e32 v5, 0x7800000, v5
	v_cmp_gt_u32_e32 vcc, s7, v1
	v_bfe_i32 v4, v4, 0, 16
	s_brev_b32 s6, 1
	v_cndmask_b32_e32 v1, v5, v6, vcc
	v_and_or_b32 v1, v4, s6, v1
	v_cvt_i32_f32_e32 v4, v1
.LBB313_889:
	s_mov_b64 s[6:7], 0
	s_mov_b64 s[8:9], -1
.LBB313_890:
	s_andn2_b64 vcc, exec, s[6:7]
	s_mov_b64 s[6:7], 0
	s_cbranch_vccnz .LBB313_901
; %bb.891:
	s_cmp_gt_i32 s12, 14
	s_cbranch_scc0 .LBB313_894
; %bb.892:
	s_cmp_eq_u32 s12, 15
	s_cbranch_scc0 .LBB313_897
; %bb.893:
	global_load_ushort v1, v[2:3], off
	s_mov_b64 s[4:5], 0
	s_mov_b64 s[8:9], -1
	s_waitcnt vmcnt(0)
	v_lshlrev_b32_e32 v1, 16, v1
	v_cvt_i32_f32_e32 v4, v1
	s_branch .LBB313_898
.LBB313_894:
	s_mov_b64 s[10:11], -1
                                        ; implicit-def: $vgpr4
	s_branch .LBB313_899
.LBB313_895:
	s_andn2_saveexec_b64 s[6:7], s[6:7]
	s_cbranch_execz .LBB313_876
.LBB313_896:
	v_cmp_ne_u16_e32 vcc, 0, v1
	s_andn2_b64 s[8:9], s[8:9], exec
	s_and_b64 s[10:11], vcc, exec
	s_or_b64 s[8:9], s[8:9], s[10:11]
	s_or_b64 exec, exec, s[6:7]
	v_mov_b32_e32 v4, 0
	s_and_saveexec_b64 s[6:7], s[8:9]
	s_cbranch_execnz .LBB313_877
	s_branch .LBB313_878
.LBB313_897:
	s_mov_b64 s[4:5], -1
                                        ; implicit-def: $vgpr4
.LBB313_898:
	s_mov_b64 s[10:11], 0
.LBB313_899:
	s_and_b64 vcc, exec, s[10:11]
	s_cbranch_vccz .LBB313_901
; %bb.900:
	s_cmp_lg_u32 s12, 11
	s_cselect_b64 s[10:11], -1, 0
	s_andn2_b64 s[4:5], s[4:5], exec
	s_and_b64 s[10:11], s[10:11], exec
	s_mov_b64 s[6:7], -1
	s_or_b64 s[4:5], s[4:5], s[10:11]
.LBB313_901:
	s_mov_b64 s[10:11], 0
.LBB313_902:
	s_andn2_b64 s[12:13], s[2:3], exec
	s_and_b64 s[4:5], s[4:5], exec
	s_and_b64 s[8:9], s[8:9], exec
	;; [unrolled: 1-line block ×4, first 2 shown]
	s_or_b64 s[12:13], s[12:13], s[4:5]
.LBB313_903:
	s_or_b64 exec, exec, s[72:73]
	s_and_b64 s[4:5], s[6:7], exec
	s_andn2_b64 s[2:3], s[2:3], exec
	s_and_b64 s[6:7], s[12:13], exec
	s_and_b64 s[8:9], s[8:9], exec
	;; [unrolled: 1-line block ×3, first 2 shown]
	s_or_b64 s[2:3], s[2:3], s[6:7]
.LBB313_904:
	s_or_b64 exec, exec, s[68:69]
	s_andn2_b64 s[6:7], s[64:65], exec
	s_and_b64 s[12:13], s[70:71], exec
	s_or_b64 s[64:65], s[6:7], s[12:13]
	s_and_b64 s[6:7], s[10:11], exec
	s_andn2_b64 s[10:11], s[62:63], exec
	s_and_b64 s[2:3], s[2:3], exec
	s_and_b64 s[8:9], s[8:9], exec
	;; [unrolled: 1-line block ×3, first 2 shown]
	s_or_b64 s[62:63], s[10:11], s[2:3]
.LBB313_905:
	s_or_b64 exec, exec, s[66:67]
	s_andn2_b64 s[2:3], s[56:57], exec
	s_and_b64 s[10:11], s[64:65], exec
	s_or_b64 s[56:57], s[2:3], s[10:11]
	s_and_b64 s[2:3], s[8:9], exec
	s_and_b64 s[8:9], s[6:7], exec
	s_and_b64 s[64:65], s[4:5], exec
	s_andn2_b64 s[4:5], s[58:59], exec
	s_and_b64 s[6:7], s[62:63], exec
	s_or_b64 s[58:59], s[4:5], s[6:7]
	s_or_b64 exec, exec, s[60:61]
	s_mov_b64 s[4:5], 0
	s_and_saveexec_b64 s[6:7], s[58:59]
	s_cbranch_execz .LBB313_272
.LBB313_906:
	s_mov_b64 s[4:5], exec
	s_andn2_b64 s[64:65], s[64:65], exec
	s_trap 2
	s_or_b64 exec, exec, s[6:7]
	s_and_saveexec_b64 s[6:7], s[64:65]
	s_xor_b64 s[6:7], exec, s[6:7]
	s_cbranch_execnz .LBB313_273
.LBB313_907:
	s_or_b64 exec, exec, s[6:7]
	s_and_saveexec_b64 s[6:7], s[8:9]
	s_cbranch_execz .LBB313_953
.LBB313_908:
	s_sext_i32_i16 s8, s76
	s_cmp_lt_i32 s8, 5
	s_cbranch_scc1 .LBB313_913
; %bb.909:
	s_cmp_lt_i32 s8, 8
	s_cbranch_scc1 .LBB313_914
; %bb.910:
	;; [unrolled: 3-line block ×3, first 2 shown]
	s_cmp_gt_i32 s8, 9
	s_cbranch_scc0 .LBB313_916
; %bb.912:
	global_load_dwordx2 v[4:5], v[2:3], off
	s_mov_b64 s[8:9], 0
	s_waitcnt vmcnt(0)
	v_cvt_i32_f64_e32 v4, v[4:5]
	s_branch .LBB313_917
.LBB313_913:
                                        ; implicit-def: $vgpr4
	s_branch .LBB313_934
.LBB313_914:
                                        ; implicit-def: $vgpr4
	s_branch .LBB313_923
.LBB313_915:
	s_mov_b64 s[8:9], -1
                                        ; implicit-def: $vgpr4
	s_branch .LBB313_920
.LBB313_916:
	s_mov_b64 s[8:9], -1
                                        ; implicit-def: $vgpr4
.LBB313_917:
	s_andn2_b64 vcc, exec, s[8:9]
	s_cbranch_vccnz .LBB313_919
; %bb.918:
	global_load_dword v1, v[2:3], off
	s_waitcnt vmcnt(0)
	v_cvt_i32_f32_e32 v4, v1
.LBB313_919:
	s_mov_b64 s[8:9], 0
.LBB313_920:
	s_andn2_b64 vcc, exec, s[8:9]
	s_cbranch_vccnz .LBB313_922
; %bb.921:
	global_load_dword v1, v[2:3], off
	s_waitcnt vmcnt(0)
	v_cvt_i16_f16_e32 v4, v1
.LBB313_922:
	s_cbranch_execnz .LBB313_933
.LBB313_923:
	s_sext_i32_i16 s8, s76
	s_cmp_lt_i32 s8, 6
	s_cbranch_scc1 .LBB313_926
; %bb.924:
	s_cmp_gt_i32 s8, 6
	s_cbranch_scc0 .LBB313_927
; %bb.925:
	global_load_dwordx2 v[4:5], v[2:3], off
	s_mov_b64 s[8:9], 0
	s_waitcnt vmcnt(0)
	v_cvt_i32_f64_e32 v4, v[4:5]
	s_branch .LBB313_928
.LBB313_926:
	s_mov_b64 s[8:9], -1
                                        ; implicit-def: $vgpr4
	s_branch .LBB313_931
.LBB313_927:
	s_mov_b64 s[8:9], -1
                                        ; implicit-def: $vgpr4
.LBB313_928:
	s_andn2_b64 vcc, exec, s[8:9]
	s_cbranch_vccnz .LBB313_930
; %bb.929:
	global_load_dword v1, v[2:3], off
	s_waitcnt vmcnt(0)
	v_cvt_i32_f32_e32 v4, v1
.LBB313_930:
	s_mov_b64 s[8:9], 0
.LBB313_931:
	s_andn2_b64 vcc, exec, s[8:9]
	s_cbranch_vccnz .LBB313_933
; %bb.932:
	global_load_ushort v1, v[2:3], off
	s_waitcnt vmcnt(0)
	v_cvt_i16_f16_e32 v4, v1
.LBB313_933:
	s_cbranch_execnz .LBB313_952
.LBB313_934:
	s_sext_i32_i16 s8, s76
	s_cmp_lt_i32 s8, 2
	s_cbranch_scc1 .LBB313_938
; %bb.935:
	s_cmp_lt_i32 s8, 3
	s_cbranch_scc1 .LBB313_939
; %bb.936:
	s_cmp_gt_i32 s8, 3
	s_cbranch_scc0 .LBB313_940
; %bb.937:
	global_load_dwordx2 v[4:5], v[2:3], off
	s_mov_b64 s[8:9], 0
	s_branch .LBB313_941
.LBB313_938:
                                        ; implicit-def: $vgpr4
	s_branch .LBB313_947
.LBB313_939:
	s_mov_b64 s[8:9], -1
                                        ; implicit-def: $vgpr4
	s_branch .LBB313_944
.LBB313_940:
	s_mov_b64 s[8:9], -1
                                        ; implicit-def: $vgpr4
.LBB313_941:
	s_andn2_b64 vcc, exec, s[8:9]
	s_cbranch_vccnz .LBB313_943
; %bb.942:
	global_load_dword v4, v[2:3], off
.LBB313_943:
	s_mov_b64 s[8:9], 0
.LBB313_944:
	s_andn2_b64 vcc, exec, s[8:9]
	s_cbranch_vccnz .LBB313_946
; %bb.945:
	global_load_ushort v4, v[2:3], off
.LBB313_946:
	s_cbranch_execnz .LBB313_952
.LBB313_947:
	s_sext_i32_i16 s8, s76
	s_cmp_gt_i32 s8, 0
	s_cbranch_scc0 .LBB313_949
; %bb.948:
	global_load_sbyte v4, v[2:3], off
	s_mov_b64 s[8:9], 0
	s_branch .LBB313_950
.LBB313_949:
	s_mov_b64 s[8:9], -1
                                        ; implicit-def: $vgpr4
.LBB313_950:
	s_andn2_b64 vcc, exec, s[8:9]
	s_cbranch_vccnz .LBB313_952
; %bb.951:
	global_load_ubyte v4, v[2:3], off
.LBB313_952:
	s_or_b64 s[2:3], s[2:3], exec
.LBB313_953:
	s_or_b64 exec, exec, s[6:7]
	s_mov_b64 s[10:11], 0
	s_mov_b64 s[8:9], 0
                                        ; implicit-def: $sgpr16
                                        ; implicit-def: $vgpr2_vgpr3
                                        ; implicit-def: $vgpr5
	s_and_saveexec_b64 s[6:7], s[2:3]
	s_cbranch_execz .LBB313_961
; %bb.954:
	s_waitcnt vmcnt(0)
	v_max_i16_e32 v1, s46, v4
	v_min_i16_e32 v5, s75, v1
	v_mov_b32_e32 v1, 0
	s_and_b32 s16, s47, 0xff
	s_cmp_lt_i32 s16, 11
	v_lshl_add_u64 v[2:3], s[20:21], 0, v[0:1]
	s_cbranch_scc1 .LBB313_964
; %bb.955:
	s_and_b32 s17, 0xffff, s16
	s_mov_b64 s[10:11], -1
	s_cmp_gt_i32 s17, 25
	s_mov_b64 s[2:3], s[56:57]
	s_cbranch_scc0 .LBB313_992
; %bb.956:
	s_mov_b64 s[8:9], -1
	s_cmp_gt_i32 s17, 28
	s_mov_b64 s[2:3], s[56:57]
	s_cbranch_scc0 .LBB313_976
; %bb.957:
	s_cmp_gt_i32 s17, 43
	s_mov_b64 s[2:3], s[56:57]
	s_cbranch_scc0 .LBB313_972
; %bb.958:
	;; [unrolled: 4-line block ×3, first 2 shown]
	s_cmp_eq_u32 s17, 46
	s_mov_b64 s[2:3], -1
	s_cbranch_scc0 .LBB313_965
; %bb.960:
	v_cvt_f32_i32_sdwa v0, sext(v5) dst_sel:DWORD dst_unused:UNUSED_PAD src0_sel:WORD_0
	s_movk_i32 s2, 0x7fff
	s_mov_b64 s[8:9], 0
	v_bfe_u32 v1, v0, 16, 1
	v_add3_u32 v0, v0, v1, s2
	v_lshrrev_b32_e32 v0, 16, v0
	global_store_dword v[2:3], v0, off
	s_mov_b64 s[2:3], 0
	s_branch .LBB313_966
.LBB313_961:
	s_or_b64 exec, exec, s[6:7]
	s_and_saveexec_b64 s[2:3], s[56:57]
	s_cbranch_execnz .LBB313_1034
.LBB313_962:
	s_or_b64 exec, exec, s[2:3]
	s_and_saveexec_b64 s[2:3], s[10:11]
	s_xor_b64 s[2:3], exec, s[2:3]
	s_cbranch_execz .LBB313_1035
.LBB313_963:
	s_waitcnt vmcnt(0)
	v_cmp_ne_u16_e32 vcc, 0, v5
	s_nop 1
	v_cndmask_b32_e64 v0, 0, 1, vcc
	global_store_byte v[2:3], v0, off
	s_or_b64 exec, exec, s[2:3]
	s_and_saveexec_b64 s[2:3], s[8:9]
	s_xor_b64 s[2:3], exec, s[2:3]
	s_cbranch_execz .LBB313_1073
	s_branch .LBB313_1036
.LBB313_964:
	s_mov_b64 s[8:9], -1
	s_mov_b64 s[2:3], s[56:57]
	s_branch .LBB313_1033
.LBB313_965:
	s_mov_b64 s[8:9], 0
.LBB313_966:
	s_and_b64 vcc, exec, s[8:9]
	s_cbranch_vccz .LBB313_971
; %bb.967:
	s_cmp_eq_u32 s17, 44
	s_mov_b64 s[2:3], -1
	s_cbranch_scc0 .LBB313_971
; %bb.968:
	v_cvt_f32_i32_sdwa v0, sext(v5) dst_sel:DWORD dst_unused:UNUSED_PAD src0_sel:WORD_0
	s_movk_i32 s2, 0xff
	v_mov_b32_e32 v4, 0xff
	v_bfe_u32 v1, v0, 23, 8
	v_cmp_ne_u32_e32 vcc, s2, v1
	s_and_saveexec_b64 s[8:9], vcc
; %bb.969:
	s_mov_b32 s2, 0x3fffff
	v_lshrrev_b32_e32 v4, 23, v0
	v_and_b32_e32 v6, 0x400000, v0
	v_and_or_b32 v0, v0, s2, v1
	v_cmp_ne_u32_e32 vcc, 0, v6
	v_cmp_ne_u32_e64 s[2:3], 0, v0
	s_and_b64 s[2:3], vcc, s[2:3]
	s_nop 0
	v_cndmask_b32_e64 v0, 0, 1, s[2:3]
	v_add_u32_e32 v4, v4, v0
; %bb.970:
	s_or_b64 exec, exec, s[8:9]
	s_mov_b64 s[2:3], 0
	global_store_byte v[2:3], v4, off
.LBB313_971:
	s_mov_b64 s[8:9], 0
.LBB313_972:
	s_and_b64 vcc, exec, s[8:9]
	s_cbranch_vccz .LBB313_975
; %bb.973:
	s_cmp_eq_u32 s17, 29
	s_mov_b64 s[2:3], -1
	s_cbranch_scc0 .LBB313_975
; %bb.974:
	v_bfe_i32 v0, v5, 0, 16
	v_ashrrev_i32_e32 v1, 31, v0
	global_store_dwordx2 v[2:3], v[0:1], off
	s_mov_b64 s[2:3], 0
.LBB313_975:
	s_mov_b64 s[8:9], 0
.LBB313_976:
	s_and_b64 vcc, exec, s[8:9]
	s_cbranch_vccz .LBB313_991
; %bb.977:
	s_cmp_lt_i32 s17, 27
	s_mov_b64 s[8:9], -1
	s_cbranch_scc1 .LBB313_983
; %bb.978:
	s_cmp_gt_i32 s17, 27
	s_cbranch_scc0 .LBB313_980
; %bb.979:
	v_bfe_i32 v0, v5, 0, 16
	s_mov_b64 s[8:9], 0
	global_store_dword v[2:3], v0, off
.LBB313_980:
	s_andn2_b64 vcc, exec, s[8:9]
	s_cbranch_vccnz .LBB313_982
; %bb.981:
	global_store_short v[2:3], v5, off
.LBB313_982:
	s_mov_b64 s[8:9], 0
.LBB313_983:
	s_andn2_b64 vcc, exec, s[8:9]
	s_cbranch_vccnz .LBB313_991
; %bb.984:
	v_cvt_f32_i32_sdwa v0, sext(v5) dst_sel:DWORD dst_unused:UNUSED_PAD src0_sel:WORD_0
	s_mov_b32 s8, 0x43800000
	v_mov_b32_e32 v4, 0x80
	v_and_b32_e32 v1, 0x7fffffff, v0
	v_cmp_gt_u32_e32 vcc, s8, v1
	s_and_saveexec_b64 s[8:9], vcc
	s_cbranch_execz .LBB313_990
; %bb.985:
	s_mov_b32 s10, 0x3bffffff
	v_cmp_lt_u32_e32 vcc, s10, v1
	s_mov_b64 s[10:11], 0
                                        ; implicit-def: $vgpr1
	s_and_saveexec_b64 s[12:13], vcc
	s_xor_b64 s[12:13], exec, s[12:13]
	s_cbranch_execz .LBB313_1144
; %bb.986:
	v_bfe_u32 v1, v0, 20, 1
	s_mov_b32 s14, 0x487ffff
	v_add3_u32 v1, v0, v1, s14
	s_mov_b64 s[10:11], exec
	v_lshrrev_b32_e32 v1, 20, v1
	s_andn2_saveexec_b64 s[12:13], s[12:13]
	s_cbranch_execnz .LBB313_1145
.LBB313_987:
	s_or_b64 exec, exec, s[12:13]
	v_mov_b32_e32 v4, 0
	s_and_saveexec_b64 s[12:13], s[10:11]
.LBB313_988:
	v_lshrrev_b32_e32 v0, 24, v0
	s_movk_i32 s10, 0x80
	v_and_or_b32 v4, v0, s10, v1
.LBB313_989:
	s_or_b64 exec, exec, s[12:13]
.LBB313_990:
	s_or_b64 exec, exec, s[8:9]
	global_store_byte v[2:3], v4, off
.LBB313_991:
	s_mov_b64 s[10:11], 0
.LBB313_992:
	s_mov_b64 s[8:9], 0
	s_and_b64 vcc, exec, s[10:11]
	s_cbranch_vccz .LBB313_1032
; %bb.993:
	s_cmp_gt_i32 s17, 22
	s_mov_b64 s[10:11], -1
	s_cbranch_scc0 .LBB313_1025
; %bb.994:
	s_cmp_lt_i32 s17, 24
	s_cbranch_scc1 .LBB313_1014
; %bb.995:
	s_cmp_gt_i32 s17, 24
	s_cbranch_scc0 .LBB313_1003
; %bb.996:
	v_cvt_f32_i32_sdwa v0, sext(v5) dst_sel:DWORD dst_unused:UNUSED_PAD src0_sel:WORD_0
	s_mov_b32 s10, 0x47800000
	v_mov_b32_e32 v4, 0x80
	v_and_b32_e32 v1, 0x7fffffff, v0
	v_cmp_gt_u32_e32 vcc, s10, v1
	s_and_saveexec_b64 s[10:11], vcc
	s_cbranch_execz .LBB313_1002
; %bb.997:
	s_mov_b32 s12, 0x37ffffff
	v_cmp_lt_u32_e32 vcc, s12, v1
	s_mov_b64 s[12:13], 0
                                        ; implicit-def: $vgpr1
	s_and_saveexec_b64 s[14:15], vcc
	s_xor_b64 s[14:15], exec, s[14:15]
	s_cbranch_execz .LBB313_1264
; %bb.998:
	v_bfe_u32 v1, v0, 21, 1
	s_mov_b32 s18, 0x88fffff
	v_add3_u32 v1, v0, v1, s18
	s_mov_b64 s[12:13], exec
	v_lshrrev_b32_e32 v1, 21, v1
	s_andn2_saveexec_b64 s[14:15], s[14:15]
	s_cbranch_execnz .LBB313_1265
.LBB313_999:
	s_or_b64 exec, exec, s[14:15]
	v_mov_b32_e32 v4, 0
	s_and_saveexec_b64 s[14:15], s[12:13]
.LBB313_1000:
	v_lshrrev_b32_e32 v0, 24, v0
	s_movk_i32 s12, 0x80
	v_and_or_b32 v4, v0, s12, v1
.LBB313_1001:
	s_or_b64 exec, exec, s[14:15]
.LBB313_1002:
	s_or_b64 exec, exec, s[10:11]
	s_mov_b64 s[10:11], 0
	global_store_byte v[2:3], v4, off
.LBB313_1003:
	s_and_b64 vcc, exec, s[10:11]
	s_cbranch_vccz .LBB313_1013
; %bb.1004:
	v_cvt_f32_i32_sdwa v0, sext(v5) dst_sel:DWORD dst_unused:UNUSED_PAD src0_sel:WORD_0
	s_mov_b32 s10, 0x43f00000
                                        ; implicit-def: $vgpr1
	v_and_b32_e32 v4, 0x7fffffff, v0
	v_cmp_gt_u32_e32 vcc, s10, v4
	s_and_saveexec_b64 s[10:11], vcc
	s_xor_b64 s[10:11], exec, s[10:11]
	s_cbranch_execz .LBB313_1010
; %bb.1005:
	s_mov_b32 s12, 0x3c7fffff
	v_cmp_lt_u32_e32 vcc, s12, v4
                                        ; implicit-def: $vgpr1
	s_and_saveexec_b64 s[12:13], vcc
	s_xor_b64 s[12:13], exec, s[12:13]
; %bb.1006:
	v_bfe_u32 v1, v0, 20, 1
	s_mov_b32 s14, 0x407ffff
	v_add3_u32 v1, v0, v1, s14
	v_lshrrev_b32_e32 v4, 20, v1
	v_and_b32_e32 v1, 0xff00000, v1
	s_mov_b32 s14, 0x7f00000
	v_mov_b32_e32 v6, 0x7e
	v_cmp_ne_u32_e32 vcc, s14, v1
	s_nop 1
	v_cndmask_b32_e32 v1, v6, v4, vcc
; %bb.1007:
	s_andn2_saveexec_b64 s[12:13], s[12:13]
; %bb.1008:
	s_mov_b32 s14, 0x46800000
	v_add_f32_e64 v1, |v0|, s14
; %bb.1009:
	s_or_b64 exec, exec, s[12:13]
                                        ; implicit-def: $vgpr4
.LBB313_1010:
	s_andn2_saveexec_b64 s[10:11], s[10:11]
; %bb.1011:
	s_mov_b32 s12, 0x7f800000
	v_mov_b32_e32 v1, 0x7e
	v_mov_b32_e32 v6, 0x7f
	v_cmp_lt_u32_e32 vcc, s12, v4
	s_nop 1
	v_cndmask_b32_e32 v1, v1, v6, vcc
; %bb.1012:
	s_or_b64 exec, exec, s[10:11]
	v_lshrrev_b32_e32 v0, 24, v0
	s_movk_i32 s10, 0x80
	v_and_or_b32 v0, v0, s10, v1
	global_store_byte v[2:3], v0, off
.LBB313_1013:
	s_mov_b64 s[10:11], 0
.LBB313_1014:
	s_andn2_b64 vcc, exec, s[10:11]
	s_cbranch_vccnz .LBB313_1024
; %bb.1015:
	v_cvt_f32_i32_sdwa v0, sext(v5) dst_sel:DWORD dst_unused:UNUSED_PAD src0_sel:WORD_0
	s_mov_b32 s10, 0x47800000
                                        ; implicit-def: $vgpr1
	v_and_b32_e32 v4, 0x7fffffff, v0
	v_cmp_gt_u32_e32 vcc, s10, v4
	s_and_saveexec_b64 s[10:11], vcc
	s_xor_b64 s[10:11], exec, s[10:11]
	s_cbranch_execz .LBB313_1021
; %bb.1016:
	s_mov_b32 s12, 0x387fffff
	v_cmp_lt_u32_e32 vcc, s12, v4
                                        ; implicit-def: $vgpr1
	s_and_saveexec_b64 s[12:13], vcc
	s_xor_b64 s[12:13], exec, s[12:13]
; %bb.1017:
	v_bfe_u32 v1, v0, 21, 1
	s_mov_b32 s14, 0x80fffff
	v_add3_u32 v1, v0, v1, s14
	v_lshrrev_b32_e32 v1, 21, v1
; %bb.1018:
	s_andn2_saveexec_b64 s[12:13], s[12:13]
; %bb.1019:
	s_mov_b32 s14, 0x43000000
	v_add_f32_e64 v1, |v0|, s14
; %bb.1020:
	s_or_b64 exec, exec, s[12:13]
                                        ; implicit-def: $vgpr4
.LBB313_1021:
	s_andn2_saveexec_b64 s[10:11], s[10:11]
; %bb.1022:
	s_mov_b32 s12, 0x7f800000
	v_mov_b32_e32 v1, 0x7c
	v_mov_b32_e32 v6, 0x7f
	v_cmp_lt_u32_e32 vcc, s12, v4
	s_nop 1
	v_cndmask_b32_e32 v1, v1, v6, vcc
; %bb.1023:
	s_or_b64 exec, exec, s[10:11]
	v_lshrrev_b32_e32 v0, 24, v0
	s_movk_i32 s10, 0x80
	v_and_or_b32 v0, v0, s10, v1
	global_store_byte v[2:3], v0, off
.LBB313_1024:
	s_mov_b64 s[10:11], 0
.LBB313_1025:
	s_andn2_b64 vcc, exec, s[10:11]
	s_mov_b64 s[10:11], 0
	s_cbranch_vccnz .LBB313_1033
; %bb.1026:
	s_cmp_gt_i32 s17, 14
	s_mov_b64 s[12:13], -1
	s_cbranch_scc0 .LBB313_1030
; %bb.1027:
	s_cmp_eq_u32 s17, 15
	s_mov_b64 s[2:3], -1
	s_cbranch_scc0 .LBB313_1029
; %bb.1028:
	v_cvt_f32_i32_sdwa v0, sext(v5) dst_sel:DWORD dst_unused:UNUSED_PAD src0_sel:WORD_0
	s_movk_i32 s2, 0x7fff
	v_bfe_u32 v1, v0, 16, 1
	v_add3_u32 v0, v0, v1, s2
	global_store_short_d16_hi v[2:3], v0, off
	s_mov_b64 s[2:3], 0
.LBB313_1029:
	s_mov_b64 s[12:13], 0
.LBB313_1030:
	s_and_b64 vcc, exec, s[12:13]
	s_cbranch_vccz .LBB313_1033
; %bb.1031:
	s_cmp_lg_u32 s17, 11
	s_cselect_b64 s[12:13], -1, 0
	s_andn2_b64 s[2:3], s[2:3], exec
	s_and_b64 s[12:13], s[12:13], exec
	s_mov_b64 s[10:11], -1
	s_or_b64 s[2:3], s[2:3], s[12:13]
	s_branch .LBB313_1033
.LBB313_1032:
	s_mov_b64 s[10:11], 0
.LBB313_1033:
	s_andn2_b64 s[12:13], s[56:57], exec
	s_and_b64 s[2:3], s[2:3], exec
	s_and_b64 s[8:9], s[8:9], exec
	;; [unrolled: 1-line block ×3, first 2 shown]
	s_or_b64 s[56:57], s[12:13], s[2:3]
	s_or_b64 exec, exec, s[6:7]
	s_and_saveexec_b64 s[2:3], s[56:57]
	s_cbranch_execz .LBB313_962
.LBB313_1034:
	s_or_b64 s[4:5], s[4:5], exec
	s_andn2_b64 s[10:11], s[10:11], exec
	s_trap 2
	s_or_b64 exec, exec, s[2:3]
	s_and_saveexec_b64 s[2:3], s[10:11]
	s_xor_b64 s[2:3], exec, s[2:3]
	s_cbranch_execnz .LBB313_963
.LBB313_1035:
	s_or_b64 exec, exec, s[2:3]
	s_and_saveexec_b64 s[2:3], s[8:9]
	s_xor_b64 s[2:3], exec, s[2:3]
	s_cbranch_execz .LBB313_1073
.LBB313_1036:
	s_sext_i32_i16 s8, s16
	s_cmp_lt_i32 s8, 5
	s_mov_b64 s[6:7], -1
	s_cbranch_scc1 .LBB313_1057
; %bb.1037:
	s_cmp_lt_i32 s8, 8
	s_cbranch_scc1 .LBB313_1047
; %bb.1038:
	s_cmp_lt_i32 s8, 9
	s_cbranch_scc1 .LBB313_1044
; %bb.1039:
	s_cmp_gt_i32 s8, 9
	s_cbranch_scc0 .LBB313_1041
; %bb.1040:
	s_waitcnt vmcnt(0)
	v_bfe_i32 v0, v5, 0, 16
	v_mov_b32_e32 v8, 0
	v_cvt_f64_i32_e32 v[6:7], v0
	v_mov_b32_e32 v9, v8
	s_mov_b64 s[6:7], 0
	global_store_dwordx4 v[2:3], v[6:9], off
.LBB313_1041:
	s_andn2_b64 vcc, exec, s[6:7]
	s_cbranch_vccnz .LBB313_1043
; %bb.1042:
	s_waitcnt vmcnt(0)
	v_cvt_f32_i32_sdwa v0, sext(v5) dst_sel:DWORD dst_unused:UNUSED_PAD src0_sel:WORD_0
	v_mov_b32_e32 v1, 0
	global_store_dwordx2 v[2:3], v[0:1], off
.LBB313_1043:
	s_mov_b64 s[6:7], 0
.LBB313_1044:
	s_andn2_b64 vcc, exec, s[6:7]
	s_cbranch_vccnz .LBB313_1046
; %bb.1045:
	s_waitcnt vmcnt(0)
	v_cvt_f16_i16_e32 v0, v5
	global_store_dword v[2:3], v0, off
.LBB313_1046:
	s_mov_b64 s[6:7], 0
.LBB313_1047:
	s_andn2_b64 vcc, exec, s[6:7]
	s_cbranch_vccnz .LBB313_1056
; %bb.1048:
	s_sext_i32_i16 s8, s16
	s_cmp_lt_i32 s8, 6
	s_mov_b64 s[6:7], -1
	s_cbranch_scc1 .LBB313_1054
; %bb.1049:
	s_cmp_gt_i32 s8, 6
	s_cbranch_scc0 .LBB313_1051
; %bb.1050:
	s_waitcnt vmcnt(0)
	v_bfe_i32 v0, v5, 0, 16
	v_cvt_f64_i32_e32 v[0:1], v0
	s_mov_b64 s[6:7], 0
	global_store_dwordx2 v[2:3], v[0:1], off
.LBB313_1051:
	s_andn2_b64 vcc, exec, s[6:7]
	s_cbranch_vccnz .LBB313_1053
; %bb.1052:
	s_waitcnt vmcnt(0)
	v_cvt_f32_i32_sdwa v0, sext(v5) dst_sel:DWORD dst_unused:UNUSED_PAD src0_sel:WORD_0
	global_store_dword v[2:3], v0, off
.LBB313_1053:
	s_mov_b64 s[6:7], 0
.LBB313_1054:
	s_andn2_b64 vcc, exec, s[6:7]
	s_cbranch_vccnz .LBB313_1056
; %bb.1055:
	s_waitcnt vmcnt(0)
	v_cvt_f16_i16_e32 v0, v5
	global_store_short v[2:3], v0, off
.LBB313_1056:
	s_mov_b64 s[6:7], 0
.LBB313_1057:
	s_andn2_b64 vcc, exec, s[6:7]
	s_cbranch_vccnz .LBB313_1073
; %bb.1058:
	s_sext_i32_i16 s8, s16
	s_cmp_lt_i32 s8, 2
	s_mov_b64 s[6:7], -1
	s_cbranch_scc1 .LBB313_1068
; %bb.1059:
	s_cmp_lt_i32 s8, 3
	s_cbranch_scc1 .LBB313_1065
; %bb.1060:
	s_cmp_gt_i32 s8, 3
	s_cbranch_scc0 .LBB313_1062
; %bb.1061:
	s_waitcnt vmcnt(0)
	v_bfe_i32 v0, v5, 0, 16
	v_ashrrev_i32_e32 v1, 31, v0
	s_mov_b64 s[6:7], 0
	global_store_dwordx2 v[2:3], v[0:1], off
.LBB313_1062:
	s_andn2_b64 vcc, exec, s[6:7]
	s_cbranch_vccnz .LBB313_1064
; %bb.1063:
	s_waitcnt vmcnt(0)
	v_bfe_i32 v0, v5, 0, 16
	global_store_dword v[2:3], v0, off
.LBB313_1064:
	s_mov_b64 s[6:7], 0
.LBB313_1065:
	s_andn2_b64 vcc, exec, s[6:7]
	s_cbranch_vccnz .LBB313_1067
; %bb.1066:
	s_waitcnt vmcnt(0)
	global_store_short v[2:3], v5, off
.LBB313_1067:
	s_mov_b64 s[6:7], 0
.LBB313_1068:
	s_andn2_b64 vcc, exec, s[6:7]
	s_cbranch_vccnz .LBB313_1073
; %bb.1069:
	s_sext_i32_i16 s6, s16
	s_cmp_gt_i32 s6, 0
	s_mov_b64 s[6:7], -1
	s_cbranch_scc0 .LBB313_1071
; %bb.1070:
	s_mov_b64 s[6:7], 0
	s_waitcnt vmcnt(0)
	global_store_byte v[2:3], v5, off
.LBB313_1071:
	s_andn2_b64 vcc, exec, s[6:7]
	s_cbranch_vccnz .LBB313_1073
; %bb.1072:
	s_waitcnt vmcnt(0)
	global_store_byte v[2:3], v5, off
.LBB313_1073:
	s_or_b64 exec, exec, s[2:3]
	s_and_b64 s[24:25], s[4:5], exec
                                        ; implicit-def: $vgpr16
                                        ; implicit-def: $vgpr8
.LBB313_1074:
	s_or_saveexec_b64 s[26:27], s[44:45]
	s_mov_b64 s[6:7], 0
                                        ; implicit-def: $vgpr0_vgpr1
                                        ; implicit-def: $sgpr16
                                        ; implicit-def: $vgpr2
	s_xor_b64 exec, exec, s[26:27]
	s_cbranch_execz .LBB313_2061
; %bb.1075:
	v_cndmask_b32_e64 v0, 0, 1, s[42:43]
	v_cmp_ne_u32_e64 s[2:3], 1, v0
	s_andn2_b64 vcc, exec, s[42:43]
	s_cbranch_vccnz .LBB313_1081
; %bb.1076:
	s_cmp_lg_u32 s33, 0
	s_mov_b32 s36, 0
	s_cbranch_scc0 .LBB313_1082
; %bb.1077:
	s_min_u32 s37, s74, 15
	s_add_i32 s37, s37, 1
	s_cmp_eq_u32 s74, 2
	s_cbranch_scc1 .LBB313_1083
; %bb.1078:
	s_and_b32 s36, s37, 28
	s_add_u32 s28, s34, 0xc4
	s_addc_u32 s29, s35, 0
	s_mov_b32 s38, 0
	v_mov_b32_e32 v6, 0
	v_mov_b32_e32 v14, 0
	s_mov_b64 s[30:31], s[34:35]
	v_mov_b32_e32 v0, v8
.LBB313_1079:                           ; =>This Inner Loop Header: Depth=1
	s_load_dwordx8 s[12:19], s[30:31], 0x4
	s_load_dwordx4 s[20:23], s[30:31], 0x24
	s_load_dwordx8 s[4:11], s[28:29], 0x0
	s_add_u32 s30, s30, 48
	s_addc_u32 s31, s31, 0
	s_waitcnt lgkmcnt(0)
	v_mul_hi_u32 v1, s13, v0
	v_add_u32_e32 v1, v0, v1
	v_lshrrev_b32_e32 v1, s14, v1
	v_mul_lo_u32 v2, v1, s12
	v_mul_hi_u32 v3, s16, v1
	v_sub_u32_e32 v0, v0, v2
	v_add_u32_e32 v2, v1, v3
	v_lshrrev_b32_e32 v2, s17, v2
	s_waitcnt vmcnt(0)
	v_mul_lo_u32 v4, v2, s15
	v_mul_hi_u32 v5, s19, v2
	v_sub_u32_e32 v1, v1, v4
	v_add_u32_e32 v4, v2, v5
	v_mul_lo_u32 v3, v0, s5
	v_mul_lo_u32 v0, v0, s4
	;; [unrolled: 1-line block ×4, first 2 shown]
	v_lshrrev_b32_e32 v4, s20, v4
	v_add3_u32 v1, v0, v6, v1
	v_add3_u32 v3, v3, v14, v5
	v_mul_lo_u32 v0, v4, s18
	v_mul_hi_u32 v5, s22, v4
	v_sub_u32_e32 v0, v2, v0
	v_add_u32_e32 v2, v4, v5
	v_mul_lo_u32 v5, v0, s8
	v_mul_lo_u32 v6, v0, s9
	v_lshrrev_b32_e32 v0, s23, v2
	s_add_i32 s38, s38, 4
	v_mul_lo_u32 v2, v0, s21
	s_add_u32 s28, s28, 32
	v_sub_u32_e32 v2, v4, v2
	s_addc_u32 s29, s29, 0
	v_mul_lo_u32 v4, v2, s10
	v_mul_lo_u32 v2, v2, s11
	s_cmp_lg_u32 s36, s38
	v_add3_u32 v14, v6, v3, v2
	v_add3_u32 v6, v5, v1, v4
	s_cbranch_scc1 .LBB313_1079
; %bb.1080:
	v_mov_b32_e32 v1, v14
	s_and_b32 s8, s37, 3
	s_cmp_eq_u32 s8, 0
	s_cbranch_scc0 .LBB313_1084
	s_branch .LBB313_1086
.LBB313_1081:
                                        ; implicit-def: $vgpr14
                                        ; implicit-def: $vgpr6
	s_branch .LBB313_1087
.LBB313_1082:
	v_mov_b32_e32 v14, 0
	v_mov_b32_e32 v6, 0
	s_branch .LBB313_1086
.LBB313_1083:
	v_mov_b32_e32 v6, 0
                                        ; implicit-def: $vgpr14
	v_mov_b32_e32 v1, v6
	v_mov_b32_e32 v0, v8
	s_and_b32 s8, s37, 3
	s_cmp_eq_u32 s8, 0
	s_cbranch_scc1 .LBB313_1086
.LBB313_1084:
	s_lshl_b32 s4, s36, 3
	s_add_u32 s4, s34, s4
	s_addc_u32 s5, s35, 0
	s_add_u32 s4, s4, 0xc4
	s_addc_u32 s5, s5, 0
	s_mul_i32 s6, s36, 12
	s_add_u32 s6, s34, s6
	s_addc_u32 s7, s35, 0
.LBB313_1085:                           ; =>This Inner Loop Header: Depth=1
	s_load_dwordx2 s[10:11], s[6:7], 0x4
	s_load_dword s9, s[6:7], 0xc
	s_load_dwordx2 s[12:13], s[4:5], 0x0
	v_mov_b32_e32 v2, v1
	s_add_u32 s6, s6, 12
	s_waitcnt lgkmcnt(0)
	v_mul_hi_u32 v1, s11, v0
	v_add_u32_e32 v1, v0, v1
	v_lshrrev_b32_e32 v1, s9, v1
	s_addc_u32 s7, s7, 0
	v_mul_lo_u32 v3, v1, s10
	s_add_u32 s4, s4, 8
	v_sub_u32_e32 v3, v0, v3
	s_addc_u32 s5, s5, 0
	s_add_i32 s8, s8, -1
	v_mad_u64_u32 v[14:15], s[10:11], v3, s13, v[2:3]
	s_cmp_lg_u32 s8, 0
	v_mov_b32_e32 v0, v1
	v_mad_u64_u32 v[6:7], s[10:11], v3, s12, v[6:7]
	v_mov_b32_e32 v1, v14
	s_cbranch_scc1 .LBB313_1085
.LBB313_1086:
	s_cbranch_execnz .LBB313_1089
.LBB313_1087:
	s_load_dwordx4 s[4:7], s[34:35], 0x4
	s_load_dwordx2 s[8:9], s[34:35], 0xc4
	s_cmp_lt_u32 s33, 2
	s_waitcnt lgkmcnt(0)
	v_mul_hi_u32 v0, s5, v8
	v_add_u32_e32 v0, v8, v0
	v_lshrrev_b32_e32 v0, s6, v0
	v_mul_lo_u32 v1, v0, s4
	v_sub_u32_e32 v1, v8, v1
	v_mul_lo_u32 v14, v1, s9
	v_mul_lo_u32 v6, v1, s8
	s_cbranch_scc1 .LBB313_1089
; %bb.1088:
	s_load_dwordx4 s[4:7], s[34:35], 0x10
	s_load_dwordx2 s[8:9], s[34:35], 0xcc
	s_waitcnt lgkmcnt(0)
	v_mul_hi_u32 v1, s5, v0
	v_add_u32_e32 v1, v0, v1
	v_lshrrev_b32_e32 v1, s6, v1
	v_mul_lo_u32 v1, v1, s4
	v_sub_u32_e32 v0, v0, v1
	v_mad_u64_u32 v[6:7], s[4:5], v0, s8, v[6:7]
	v_mad_u64_u32 v[14:15], s[4:5], v0, s9, v[14:15]
.LBB313_1089:
	s_and_b64 vcc, exec, s[2:3]
	v_add_u32_e32 v0, 0x80, v8
	s_cbranch_vccnz .LBB313_1095
; %bb.1090:
	s_cmp_lg_u32 s33, 0
	s_mov_b32 s36, 0
	s_cbranch_scc0 .LBB313_1096
; %bb.1091:
	s_min_u32 s37, s74, 15
	s_add_i32 s37, s37, 1
	s_cmp_eq_u32 s74, 2
	s_cbranch_scc1 .LBB313_1097
; %bb.1092:
	s_and_b32 s36, s37, 28
	s_add_u32 s28, s34, 0xc4
	s_addc_u32 s29, s35, 0
	s_mov_b32 s38, 0
	s_waitcnt vmcnt(0)
	v_mov_b32_e32 v4, 0
	v_mov_b32_e32 v12, 0
	s_mov_b64 s[30:31], s[34:35]
	v_mov_b32_e32 v2, v0
.LBB313_1093:                           ; =>This Inner Loop Header: Depth=1
	s_load_dwordx8 s[12:19], s[30:31], 0x4
	s_load_dwordx4 s[20:23], s[30:31], 0x24
	s_load_dwordx8 s[4:11], s[28:29], 0x0
	s_add_u32 s30, s30, 48
	s_addc_u32 s31, s31, 0
	s_waitcnt lgkmcnt(0)
	v_mul_hi_u32 v1, s13, v2
	v_add_u32_e32 v1, v2, v1
	v_lshrrev_b32_e32 v1, s14, v1
	v_mul_lo_u32 v3, v1, s12
	v_mul_hi_u32 v5, s16, v1
	v_sub_u32_e32 v2, v2, v3
	v_add_u32_e32 v3, v1, v5
	v_lshrrev_b32_e32 v3, s17, v3
	v_mul_lo_u32 v7, v3, s15
	v_mul_hi_u32 v9, s19, v3
	v_sub_u32_e32 v1, v1, v7
	v_add_u32_e32 v7, v3, v9
	v_mul_lo_u32 v5, v2, s5
	v_mul_lo_u32 v2, v2, s4
	;; [unrolled: 1-line block ×4, first 2 shown]
	v_lshrrev_b32_e32 v7, s20, v7
	v_add3_u32 v1, v2, v4, v1
	v_add3_u32 v4, v5, v12, v9
	v_mul_lo_u32 v2, v7, s18
	v_mul_hi_u32 v5, s22, v7
	v_sub_u32_e32 v2, v3, v2
	v_add_u32_e32 v3, v7, v5
	v_mul_lo_u32 v5, v2, s8
	v_mul_lo_u32 v9, v2, s9
	v_lshrrev_b32_e32 v2, s23, v3
	s_add_i32 s38, s38, 4
	v_mul_lo_u32 v3, v2, s21
	s_add_u32 s28, s28, 32
	v_sub_u32_e32 v3, v7, v3
	s_addc_u32 s29, s29, 0
	v_mul_lo_u32 v7, v3, s10
	v_mul_lo_u32 v3, v3, s11
	s_cmp_lg_u32 s36, s38
	v_add3_u32 v12, v9, v4, v3
	v_add3_u32 v4, v5, v1, v7
	s_cbranch_scc1 .LBB313_1093
; %bb.1094:
	v_mov_b32_e32 v1, v12
	s_and_b32 s8, s37, 3
	s_cmp_eq_u32 s8, 0
	s_cbranch_scc0 .LBB313_1098
	s_branch .LBB313_1100
.LBB313_1095:
                                        ; implicit-def: $vgpr12
                                        ; implicit-def: $vgpr4
	s_branch .LBB313_1101
.LBB313_1096:
	v_mov_b32_e32 v12, 0
	s_waitcnt vmcnt(0)
	v_mov_b32_e32 v4, 0
	s_branch .LBB313_1100
.LBB313_1097:
	s_waitcnt vmcnt(0)
	v_mov_b32_e32 v4, 0
                                        ; implicit-def: $vgpr12
	v_mov_b32_e32 v1, v4
	v_mov_b32_e32 v2, v0
	s_and_b32 s8, s37, 3
	s_cmp_eq_u32 s8, 0
	s_cbranch_scc1 .LBB313_1100
.LBB313_1098:
	s_lshl_b32 s4, s36, 3
	s_add_u32 s4, s34, s4
	s_addc_u32 s5, s35, 0
	s_add_u32 s4, s4, 0xc4
	s_addc_u32 s5, s5, 0
	s_mul_i32 s6, s36, 12
	s_add_u32 s6, s34, s6
	s_addc_u32 s7, s35, 0
.LBB313_1099:                           ; =>This Inner Loop Header: Depth=1
	s_load_dwordx2 s[10:11], s[6:7], 0x4
	s_load_dword s9, s[6:7], 0xc
	s_load_dwordx2 s[12:13], s[4:5], 0x0
	v_mov_b32_e32 v10, v1
	s_add_u32 s6, s6, 12
	s_waitcnt lgkmcnt(0)
	v_mul_hi_u32 v1, s11, v2
	v_add_u32_e32 v1, v2, v1
	v_lshrrev_b32_e32 v1, s9, v1
	s_addc_u32 s7, s7, 0
	v_mul_lo_u32 v3, v1, s10
	s_add_u32 s4, s4, 8
	v_sub_u32_e32 v3, v2, v3
	s_addc_u32 s5, s5, 0
	s_add_i32 s8, s8, -1
	v_mad_u64_u32 v[12:13], s[10:11], v3, s13, v[10:11]
	s_cmp_lg_u32 s8, 0
	v_mov_b32_e32 v2, v1
	v_mad_u64_u32 v[4:5], s[10:11], v3, s12, v[4:5]
	v_mov_b32_e32 v1, v12
	s_cbranch_scc1 .LBB313_1099
.LBB313_1100:
	s_cbranch_execnz .LBB313_1103
.LBB313_1101:
	s_load_dwordx4 s[4:7], s[34:35], 0x4
	s_load_dwordx2 s[8:9], s[34:35], 0xc4
	s_cmp_lt_u32 s33, 2
	s_waitcnt lgkmcnt(0)
	v_mul_hi_u32 v1, s5, v0
	v_add_u32_e32 v1, v0, v1
	v_lshrrev_b32_e32 v1, s6, v1
	v_mul_lo_u32 v2, v1, s4
	v_sub_u32_e32 v0, v0, v2
	v_mul_lo_u32 v12, v0, s9
	s_waitcnt vmcnt(0)
	v_mul_lo_u32 v4, v0, s8
	s_cbranch_scc1 .LBB313_1103
; %bb.1102:
	s_load_dwordx4 s[4:7], s[34:35], 0x10
	s_load_dwordx2 s[8:9], s[34:35], 0xcc
	s_waitcnt lgkmcnt(0)
	v_mul_hi_u32 v0, s5, v1
	v_add_u32_e32 v0, v1, v0
	v_lshrrev_b32_e32 v0, s6, v0
	v_mul_lo_u32 v0, v0, s4
	v_sub_u32_e32 v0, v1, v0
	v_mad_u64_u32 v[4:5], s[4:5], v0, s8, v[4:5]
	v_mad_u64_u32 v[12:13], s[4:5], v0, s9, v[12:13]
.LBB313_1103:
	s_and_b64 vcc, exec, s[2:3]
	v_add_u32_e32 v0, 0x100, v8
	s_cbranch_vccnz .LBB313_1109
; %bb.1104:
	s_cmp_lg_u32 s33, 0
	s_mov_b32 s36, 0
	s_cbranch_scc0 .LBB313_1110
; %bb.1105:
	s_min_u32 s37, s74, 15
	s_add_i32 s37, s37, 1
	s_cmp_eq_u32 s74, 2
	s_cbranch_scc1 .LBB313_1111
; %bb.1106:
	s_and_b32 s36, s37, 28
	s_add_u32 s28, s34, 0xc4
	s_addc_u32 s29, s35, 0
	s_mov_b32 s38, 0
	v_mov_b32_e32 v2, 0
	v_mov_b32_e32 v10, 0
	s_mov_b64 s[30:31], s[34:35]
	s_waitcnt vmcnt(0)
	v_mov_b32_e32 v5, v0
.LBB313_1107:                           ; =>This Inner Loop Header: Depth=1
	s_load_dwordx8 s[12:19], s[30:31], 0x4
	s_load_dwordx4 s[20:23], s[30:31], 0x24
	s_load_dwordx8 s[4:11], s[28:29], 0x0
	s_add_u32 s30, s30, 48
	s_addc_u32 s31, s31, 0
	s_waitcnt lgkmcnt(0)
	v_mul_hi_u32 v1, s13, v5
	v_add_u32_e32 v1, v5, v1
	v_lshrrev_b32_e32 v1, s14, v1
	v_mul_lo_u32 v3, v1, s12
	v_mul_hi_u32 v7, s16, v1
	v_sub_u32_e32 v3, v5, v3
	v_add_u32_e32 v5, v1, v7
	v_lshrrev_b32_e32 v5, s17, v5
	v_mul_lo_u32 v8, v5, s15
	v_mul_hi_u32 v9, s19, v5
	v_sub_u32_e32 v1, v1, v8
	v_add_u32_e32 v8, v5, v9
	v_mul_lo_u32 v7, v3, s5
	v_mul_lo_u32 v3, v3, s4
	;; [unrolled: 1-line block ×4, first 2 shown]
	v_lshrrev_b32_e32 v8, s20, v8
	v_add3_u32 v1, v3, v2, v1
	v_add3_u32 v2, v7, v10, v9
	v_mul_lo_u32 v3, v8, s18
	v_mul_hi_u32 v7, s22, v8
	v_sub_u32_e32 v3, v5, v3
	v_add_u32_e32 v5, v8, v7
	v_lshrrev_b32_e32 v5, s23, v5
	s_add_i32 s38, s38, 4
	v_mul_lo_u32 v9, v5, s21
	s_add_u32 s28, s28, 32
	v_sub_u32_e32 v8, v8, v9
	s_addc_u32 s29, s29, 0
	v_mul_lo_u32 v7, v3, s8
	v_mul_lo_u32 v3, v3, s9
	;; [unrolled: 1-line block ×4, first 2 shown]
	s_cmp_lg_u32 s36, s38
	v_add3_u32 v10, v3, v2, v8
	v_add3_u32 v2, v7, v1, v9
	s_cbranch_scc1 .LBB313_1107
; %bb.1108:
	v_mov_b32_e32 v1, v10
	s_and_b32 s8, s37, 3
	s_cmp_eq_u32 s8, 0
	s_cbranch_scc0 .LBB313_1112
	s_branch .LBB313_1114
.LBB313_1109:
                                        ; implicit-def: $vgpr10
                                        ; implicit-def: $vgpr2
	s_branch .LBB313_1115
.LBB313_1110:
	v_mov_b32_e32 v10, 0
	v_mov_b32_e32 v2, 0
	s_branch .LBB313_1114
.LBB313_1111:
	v_mov_b32_e32 v2, 0
                                        ; implicit-def: $vgpr10
	v_mov_b32_e32 v1, v2
	s_waitcnt vmcnt(0)
	v_mov_b32_e32 v5, v0
	s_and_b32 s8, s37, 3
	s_cmp_eq_u32 s8, 0
	s_cbranch_scc1 .LBB313_1114
.LBB313_1112:
	s_lshl_b32 s4, s36, 3
	s_add_u32 s4, s34, s4
	s_addc_u32 s5, s35, 0
	s_add_u32 s4, s4, 0xc4
	s_addc_u32 s5, s5, 0
	s_mul_i32 s6, s36, 12
	s_add_u32 s6, s34, s6
	s_addc_u32 s7, s35, 0
.LBB313_1113:                           ; =>This Inner Loop Header: Depth=1
	s_load_dwordx2 s[10:11], s[6:7], 0x4
	s_load_dword s9, s[6:7], 0xc
	s_load_dwordx2 s[12:13], s[4:5], 0x0
	v_mov_b32_e32 v8, v1
	s_add_u32 s6, s6, 12
	s_waitcnt lgkmcnt(0)
	v_mul_hi_u32 v1, s11, v5
	v_add_u32_e32 v1, v5, v1
	v_lshrrev_b32_e32 v1, s9, v1
	s_addc_u32 s7, s7, 0
	v_mul_lo_u32 v3, v1, s10
	s_add_u32 s4, s4, 8
	v_sub_u32_e32 v3, v5, v3
	s_addc_u32 s5, s5, 0
	s_add_i32 s8, s8, -1
	v_mad_u64_u32 v[10:11], s[10:11], v3, s13, v[8:9]
	s_cmp_lg_u32 s8, 0
	v_mov_b32_e32 v5, v1
	v_mad_u64_u32 v[2:3], s[10:11], v3, s12, v[2:3]
	v_mov_b32_e32 v1, v10
	s_cbranch_scc1 .LBB313_1113
.LBB313_1114:
	s_cbranch_execnz .LBB313_1117
.LBB313_1115:
	s_load_dwordx4 s[4:7], s[34:35], 0x4
	s_load_dwordx2 s[8:9], s[34:35], 0xc4
	s_cmp_lt_u32 s33, 2
	s_waitcnt lgkmcnt(0)
	v_mul_hi_u32 v1, s5, v0
	v_add_u32_e32 v1, v0, v1
	v_lshrrev_b32_e32 v1, s6, v1
	v_mul_lo_u32 v2, v1, s4
	v_sub_u32_e32 v0, v0, v2
	v_mul_lo_u32 v10, v0, s9
	v_mul_lo_u32 v2, v0, s8
	s_cbranch_scc1 .LBB313_1117
; %bb.1116:
	s_load_dwordx4 s[4:7], s[34:35], 0x10
	s_load_dwordx2 s[8:9], s[34:35], 0xcc
	s_waitcnt lgkmcnt(0)
	v_mul_hi_u32 v0, s5, v1
	v_add_u32_e32 v0, v1, v0
	v_lshrrev_b32_e32 v0, s6, v0
	v_mul_lo_u32 v0, v0, s4
	v_sub_u32_e32 v0, v1, v0
	v_mad_u64_u32 v[2:3], s[4:5], v0, s8, v[2:3]
	v_mad_u64_u32 v[10:11], s[4:5], v0, s9, v[10:11]
.LBB313_1117:
	s_and_b64 vcc, exec, s[2:3]
	s_cbranch_vccnz .LBB313_1123
; %bb.1118:
	s_cmp_lg_u32 s33, 0
	s_mov_b32 s30, 0
	s_cbranch_scc0 .LBB313_1124
; %bb.1119:
	s_min_u32 s31, s74, 15
	s_add_i32 s31, s31, 1
	s_cmp_eq_u32 s74, 2
	s_cbranch_scc1 .LBB313_1125
; %bb.1120:
	s_and_b32 s30, s31, 28
	s_add_u32 s2, s34, 0xc4
	s_addc_u32 s3, s35, 0
	s_mov_b32 s36, 0
	v_mov_b32_e32 v0, 0
	v_mov_b32_e32 v8, 0
	s_mov_b64 s[28:29], s[34:35]
	v_mov_b32_e32 v3, v16
.LBB313_1121:                           ; =>This Inner Loop Header: Depth=1
	s_load_dwordx8 s[12:19], s[28:29], 0x4
	s_load_dwordx4 s[20:23], s[28:29], 0x24
	s_load_dwordx8 s[4:11], s[2:3], 0x0
	s_add_u32 s28, s28, 48
	s_addc_u32 s29, s29, 0
	s_waitcnt lgkmcnt(0)
	v_mul_hi_u32 v1, s13, v3
	v_add_u32_e32 v1, v3, v1
	v_lshrrev_b32_e32 v1, s14, v1
	s_waitcnt vmcnt(0)
	v_mul_lo_u32 v5, v1, s12
	v_mul_hi_u32 v7, s16, v1
	v_sub_u32_e32 v3, v3, v5
	v_add_u32_e32 v5, v1, v7
	v_lshrrev_b32_e32 v5, s17, v5
	v_mul_lo_u32 v9, v5, s15
	v_mul_hi_u32 v11, s19, v5
	v_sub_u32_e32 v1, v1, v9
	v_add_u32_e32 v9, v5, v11
	v_mul_lo_u32 v7, v3, s5
	v_mul_lo_u32 v3, v3, s4
	;; [unrolled: 1-line block ×4, first 2 shown]
	v_lshrrev_b32_e32 v9, s20, v9
	v_add3_u32 v0, v3, v0, v1
	v_add3_u32 v1, v7, v8, v11
	v_mul_lo_u32 v3, v9, s18
	v_mul_hi_u32 v7, s22, v9
	v_sub_u32_e32 v3, v5, v3
	v_add_u32_e32 v5, v9, v7
	v_mul_lo_u32 v7, v3, s8
	v_mul_lo_u32 v8, v3, s9
	v_lshrrev_b32_e32 v3, s23, v5
	s_add_i32 s36, s36, 4
	v_mul_lo_u32 v5, v3, s21
	s_add_u32 s2, s2, 32
	v_sub_u32_e32 v5, v9, v5
	s_addc_u32 s3, s3, 0
	v_mul_lo_u32 v9, v5, s10
	v_mul_lo_u32 v5, v5, s11
	s_cmp_lg_u32 s30, s36
	v_add3_u32 v8, v8, v1, v5
	v_add3_u32 v0, v7, v0, v9
	s_cbranch_scc1 .LBB313_1121
; %bb.1122:
	v_mov_b32_e32 v1, v8
	s_and_b32 s6, s31, 3
	s_cmp_eq_u32 s6, 0
	s_cbranch_scc0 .LBB313_1126
	s_branch .LBB313_1128
.LBB313_1123:
                                        ; implicit-def: $vgpr8
                                        ; implicit-def: $vgpr0
	s_branch .LBB313_1129
.LBB313_1124:
	v_mov_b32_e32 v8, 0
	v_mov_b32_e32 v0, 0
	s_branch .LBB313_1128
.LBB313_1125:
	v_mov_b32_e32 v0, 0
                                        ; implicit-def: $vgpr8
	v_mov_b32_e32 v1, v0
	v_mov_b32_e32 v3, v16
	s_and_b32 s6, s31, 3
	s_cmp_eq_u32 s6, 0
	s_cbranch_scc1 .LBB313_1128
.LBB313_1126:
	s_lshl_b32 s2, s30, 3
	s_add_u32 s2, s34, s2
	s_addc_u32 s3, s35, 0
	s_add_u32 s2, s2, 0xc4
	s_addc_u32 s3, s3, 0
	s_mul_i32 s4, s30, 12
	s_add_u32 s4, s34, s4
	s_addc_u32 s5, s35, 0
.LBB313_1127:                           ; =>This Inner Loop Header: Depth=1
	s_load_dwordx2 s[8:9], s[4:5], 0x4
	s_load_dword s7, s[4:5], 0xc
	s_load_dwordx2 s[10:11], s[2:3], 0x0
	v_mov_b32_e32 v8, v1
	s_add_u32 s4, s4, 12
	s_waitcnt lgkmcnt(0)
	v_mul_hi_u32 v1, s9, v3
	v_add_u32_e32 v1, v3, v1
	v_lshrrev_b32_e32 v1, s7, v1
	s_addc_u32 s5, s5, 0
	s_waitcnt vmcnt(0)
	v_mul_lo_u32 v5, v1, s8
	s_add_u32 s2, s2, 8
	v_sub_u32_e32 v5, v3, v5
	s_addc_u32 s3, s3, 0
	s_add_i32 s6, s6, -1
	v_mov_b32_e32 v3, v1
	v_mad_u64_u32 v[8:9], s[8:9], v5, s11, v[8:9]
	v_mad_u64_u32 v[0:1], s[8:9], v5, s10, v[0:1]
	s_cmp_lg_u32 s6, 0
	v_mov_b32_e32 v1, v8
	s_cbranch_scc1 .LBB313_1127
.LBB313_1128:
	s_cbranch_execnz .LBB313_1131
.LBB313_1129:
	s_load_dwordx4 s[4:7], s[34:35], 0x4
	s_load_dwordx2 s[2:3], s[34:35], 0xc4
	s_cmp_lt_u32 s33, 2
	s_waitcnt lgkmcnt(0)
	v_mul_hi_u32 v0, s5, v16
	v_add_u32_e32 v0, v16, v0
	v_lshrrev_b32_e32 v1, s6, v0
	v_mul_lo_u32 v0, v1, s4
	v_sub_u32_e32 v0, v16, v0
	v_mul_lo_u32 v8, v0, s3
	v_mul_lo_u32 v0, v0, s2
	s_cbranch_scc1 .LBB313_1131
; %bb.1130:
	s_load_dwordx4 s[4:7], s[34:35], 0x10
	s_load_dwordx2 s[2:3], s[34:35], 0xcc
	s_waitcnt lgkmcnt(0)
	v_mul_hi_u32 v3, s5, v1
	v_add_u32_e32 v3, v1, v3
	v_lshrrev_b32_e32 v3, s6, v3
	v_mul_lo_u32 v3, v3, s4
	v_sub_u32_e32 v3, v1, v3
	v_mad_u64_u32 v[0:1], s[4:5], v3, s2, v[0:1]
	v_mad_u64_u32 v[8:9], s[2:3], v3, s3, v[8:9]
.LBB313_1131:
	s_load_dword s12, s[0:1], 0x164
	s_load_dwordx4 s[4:7], s[34:35], 0x148
	v_mov_b32_e32 v15, 0
	s_waitcnt lgkmcnt(0)
	s_bfe_u32 s13, s12, 0x80008
	s_cmp_lt_i32 s13, 11
	v_lshl_add_u64 v[16:17], s[6:7], 0, v[14:15]
	s_cbranch_scc1 .LBB313_1138
; %bb.1132:
	s_and_b32 s14, 0xffff, s13
	s_cmp_gt_i32 s14, 25
	s_mov_b64 s[8:9], 0
	s_cbranch_scc0 .LBB313_1140
; %bb.1133:
	s_cmp_gt_i32 s14, 28
	s_cbranch_scc0 .LBB313_1141
; %bb.1134:
	s_cmp_gt_i32 s14, 43
	;; [unrolled: 3-line block ×3, first 2 shown]
	s_cbranch_scc0 .LBB313_1143
; %bb.1136:
	s_cmp_eq_u32 s14, 46
	s_mov_b64 s[2:3], 0
	s_cbranch_scc0 .LBB313_1146
; %bb.1137:
	global_load_dword v1, v[16:17], off
	s_mov_b64 s[0:1], 0
	s_mov_b64 s[10:11], -1
	s_waitcnt vmcnt(0)
	v_lshlrev_b32_e32 v1, 16, v1
	v_cvt_i32_f32_e32 v14, v1
	s_branch .LBB313_1147
.LBB313_1138:
	s_mov_b64 s[10:11], 0
                                        ; implicit-def: $vgpr14
	s_mov_b64 s[2:3], s[24:25]
	s_cbranch_execnz .LBB313_1205
.LBB313_1139:
	s_andn2_b64 vcc, exec, s[10:11]
	s_cbranch_vccz .LBB313_1250
	s_branch .LBB313_2059
.LBB313_1140:
	s_mov_b64 s[10:11], 0
	s_mov_b64 s[0:1], 0
                                        ; implicit-def: $vgpr14
	s_cbranch_execnz .LBB313_1172
	s_branch .LBB313_1201
.LBB313_1141:
	s_mov_b64 s[10:11], 0
	s_mov_b64 s[0:1], 0
                                        ; implicit-def: $vgpr14
	s_cbranch_execz .LBB313_1171
	s_branch .LBB313_1156
.LBB313_1142:
	s_mov_b64 s[10:11], 0
	s_mov_b64 s[0:1], 0
                                        ; implicit-def: $vgpr14
	s_cbranch_execnz .LBB313_1152
	s_branch .LBB313_1155
.LBB313_1143:
	s_mov_b64 s[2:3], -1
	s_mov_b64 s[10:11], 0
	s_mov_b64 s[0:1], 0
                                        ; implicit-def: $vgpr14
	s_branch .LBB313_1147
.LBB313_1144:
	s_andn2_saveexec_b64 s[12:13], s[12:13]
	s_cbranch_execz .LBB313_987
.LBB313_1145:
	s_mov_b32 s14, 0x46000000
	v_add_f32_e64 v1, |v0|, s14
	v_and_b32_e32 v1, 0xff, v1
	v_cmp_ne_u32_e32 vcc, 0, v1
	s_andn2_b64 s[10:11], s[10:11], exec
	s_and_b64 s[14:15], vcc, exec
	s_or_b64 s[10:11], s[10:11], s[14:15]
	s_or_b64 exec, exec, s[12:13]
	v_mov_b32_e32 v4, 0
	s_and_saveexec_b64 s[12:13], s[10:11]
	s_cbranch_execnz .LBB313_988
	s_branch .LBB313_989
.LBB313_1146:
	s_mov_b64 s[0:1], -1
                                        ; implicit-def: $vgpr14
	s_mov_b64 s[10:11], 0
.LBB313_1147:
	s_and_b64 vcc, exec, s[2:3]
	s_cbranch_vccz .LBB313_1150
; %bb.1148:
	s_cmp_eq_u32 s14, 44
	s_cbranch_scc0 .LBB313_1151
; %bb.1149:
	global_load_ubyte v1, v[16:17], off
	s_mov_b64 s[0:1], 0
	s_mov_b64 s[10:11], -1
	s_waitcnt vmcnt(0)
	v_lshlrev_b32_e32 v3, 23, v1
	v_cvt_i32_f32_e32 v3, v3
	v_cmp_ne_u32_e32 vcc, 0, v1
	s_nop 1
	v_cndmask_b32_e32 v14, 0, v3, vcc
.LBB313_1150:
	s_branch .LBB313_1155
.LBB313_1151:
	s_mov_b64 s[0:1], -1
                                        ; implicit-def: $vgpr14
	s_branch .LBB313_1155
.LBB313_1152:
	s_cmp_eq_u32 s14, 29
	s_cbranch_scc0 .LBB313_1154
; %bb.1153:
	global_load_dwordx2 v[14:15], v[16:17], off
	s_mov_b64 s[0:1], 0
	s_mov_b64 s[10:11], -1
	s_branch .LBB313_1155
.LBB313_1154:
	s_mov_b64 s[0:1], -1
                                        ; implicit-def: $vgpr14
.LBB313_1155:
	s_branch .LBB313_1171
.LBB313_1156:
	s_cmp_lt_i32 s14, 27
	s_cbranch_scc1 .LBB313_1159
; %bb.1157:
	s_cmp_gt_i32 s14, 27
	s_cbranch_scc0 .LBB313_1160
; %bb.1158:
	global_load_dword v14, v[16:17], off
	s_mov_b64 s[2:3], 0
	s_branch .LBB313_1161
.LBB313_1159:
	s_mov_b64 s[2:3], -1
                                        ; implicit-def: $vgpr14
	s_branch .LBB313_1164
.LBB313_1160:
	s_mov_b64 s[2:3], -1
                                        ; implicit-def: $vgpr14
.LBB313_1161:
	s_andn2_b64 vcc, exec, s[2:3]
	s_cbranch_vccnz .LBB313_1163
; %bb.1162:
	global_load_ushort v14, v[16:17], off
.LBB313_1163:
	s_mov_b64 s[2:3], 0
.LBB313_1164:
	s_andn2_b64 vcc, exec, s[2:3]
	s_cbranch_vccnz .LBB313_1170
; %bb.1165:
	global_load_ubyte v1, v[16:17], off
	s_movk_i32 s2, 0x7f
	s_mov_b64 s[10:11], 0
	s_waitcnt vmcnt(0)
	v_cmp_lt_i16_e32 vcc, s2, v1
	s_and_saveexec_b64 s[2:3], vcc
	s_xor_b64 s[2:3], exec, s[2:3]
	s_cbranch_execz .LBB313_1181
; %bb.1166:
	s_movk_i32 s10, 0x80
	v_cmp_ne_u16_e32 vcc, s10, v1
	s_and_b64 s[10:11], vcc, exec
	s_andn2_saveexec_b64 s[2:3], s[2:3]
	s_cbranch_execnz .LBB313_1182
.LBB313_1167:
	s_or_b64 exec, exec, s[2:3]
	v_mov_b32_e32 v14, 0
	s_and_saveexec_b64 s[2:3], s[10:11]
	s_cbranch_execz .LBB313_1169
.LBB313_1168:
	v_lshlrev_b32_e32 v3, 24, v1
	v_and_b32_e32 v1, 0xffff, v1
	v_and_b32_e32 v5, 7, v1
	v_ffbh_u32_e32 v9, v5
	v_min_u32_e32 v9, 32, v9
	v_subrev_u32_e32 v11, 28, v9
	v_bfe_u32 v7, v1, 3, 4
	v_lshlrev_b32_e32 v1, v11, v1
	v_sub_u32_e32 v9, 29, v9
	v_and_b32_e32 v1, 7, v1
	v_cmp_eq_u32_e32 vcc, 0, v7
	v_and_b32_e32 v3, 0x80000000, v3
	s_nop 0
	v_cndmask_b32_e32 v7, v7, v9, vcc
	v_cndmask_b32_e32 v1, v5, v1, vcc
	v_mov_b32_e32 v5, 0x3b800000
	v_lshlrev_b32_e32 v1, 20, v1
	v_lshl_add_u32 v5, v7, 23, v5
	v_or3_b32 v1, v3, v5, v1
	v_cvt_i32_f32_e32 v14, v1
.LBB313_1169:
	s_or_b64 exec, exec, s[2:3]
.LBB313_1170:
	s_mov_b64 s[10:11], -1
.LBB313_1171:
	s_branch .LBB313_1201
.LBB313_1172:
	s_cmp_gt_i32 s14, 22
	s_cbranch_scc0 .LBB313_1180
; %bb.1173:
	s_cmp_lt_i32 s14, 24
	s_cbranch_scc1 .LBB313_1183
; %bb.1174:
	s_cmp_gt_i32 s14, 24
	s_cbranch_scc0 .LBB313_1184
; %bb.1175:
	global_load_ubyte v1, v[16:17], off
	s_movk_i32 s2, 0x7f
	s_waitcnt vmcnt(0)
	v_cmp_lt_i16_e32 vcc, s2, v1
	s_and_saveexec_b64 s[2:3], vcc
	s_xor_b64 s[2:3], exec, s[2:3]
	s_cbranch_execz .LBB313_1195
; %bb.1176:
	s_movk_i32 s8, 0x80
	v_cmp_ne_u16_e32 vcc, s8, v1
	s_and_b64 s[8:9], vcc, exec
	s_andn2_saveexec_b64 s[2:3], s[2:3]
	s_cbranch_execnz .LBB313_1196
.LBB313_1177:
	s_or_b64 exec, exec, s[2:3]
	v_mov_b32_e32 v14, 0
	s_and_saveexec_b64 s[2:3], s[8:9]
	s_cbranch_execz .LBB313_1179
.LBB313_1178:
	v_lshlrev_b32_e32 v3, 24, v1
	v_and_b32_e32 v1, 0xffff, v1
	v_and_b32_e32 v5, 3, v1
	v_ffbh_u32_e32 v9, v5
	v_min_u32_e32 v9, 32, v9
	v_subrev_u32_e32 v11, 29, v9
	v_bfe_u32 v7, v1, 2, 5
	v_lshlrev_b32_e32 v1, v11, v1
	v_sub_u32_e32 v9, 30, v9
	v_and_b32_e32 v1, 3, v1
	v_cmp_eq_u32_e32 vcc, 0, v7
	v_and_b32_e32 v3, 0x80000000, v3
	s_nop 0
	v_cndmask_b32_e32 v7, v7, v9, vcc
	v_cndmask_b32_e32 v1, v5, v1, vcc
	v_mov_b32_e32 v5, 0x37800000
	v_lshlrev_b32_e32 v1, 21, v1
	v_lshl_add_u32 v5, v7, 23, v5
	v_or3_b32 v1, v3, v5, v1
	v_cvt_i32_f32_e32 v14, v1
.LBB313_1179:
	s_or_b64 exec, exec, s[2:3]
	s_mov_b64 s[2:3], 0
	s_branch .LBB313_1185
.LBB313_1180:
                                        ; implicit-def: $vgpr14
	s_mov_b64 s[8:9], 0
	s_branch .LBB313_1191
.LBB313_1181:
	s_andn2_saveexec_b64 s[2:3], s[2:3]
	s_cbranch_execz .LBB313_1167
.LBB313_1182:
	v_cmp_ne_u16_e32 vcc, 0, v1
	s_andn2_b64 s[10:11], s[10:11], exec
	s_and_b64 s[16:17], vcc, exec
	s_or_b64 s[10:11], s[10:11], s[16:17]
	s_or_b64 exec, exec, s[2:3]
	v_mov_b32_e32 v14, 0
	s_and_saveexec_b64 s[2:3], s[10:11]
	s_cbranch_execnz .LBB313_1168
	s_branch .LBB313_1169
.LBB313_1183:
	s_mov_b64 s[2:3], -1
                                        ; implicit-def: $vgpr14
	s_branch .LBB313_1188
.LBB313_1184:
	s_mov_b64 s[2:3], -1
                                        ; implicit-def: $vgpr14
.LBB313_1185:
	s_and_b64 vcc, exec, s[2:3]
	s_cbranch_vccz .LBB313_1187
; %bb.1186:
	global_load_ubyte v1, v[16:17], off
	s_mov_b32 s2, 0x7f800000
	s_waitcnt vmcnt(0)
	v_lshlrev_b32_e32 v1, 24, v1
	v_and_b32_e32 v3, 0x7f000000, v1
	v_ffbh_u32_e32 v5, v3
	v_min_u32_e32 v5, 32, v5
	v_sub_u32_e64 v5, v5, 4 clamp
	v_lshlrev_b32_e32 v9, v5, v3
	v_lshlrev_b32_e32 v5, 23, v5
	v_lshrrev_b32_e32 v9, 4, v9
	v_add_u32_e32 v7, 0x1000000, v3
	v_sub_u32_e32 v5, v9, v5
	v_ashrrev_i32_e32 v7, 8, v7
	v_add_u32_e32 v5, 0x3c000000, v5
	v_and_or_b32 v5, v7, s2, v5
	v_cmp_ne_u32_e32 vcc, 0, v3
	s_brev_b32 s2, 1
	s_nop 0
	v_cndmask_b32_e32 v3, 0, v5, vcc
	v_and_or_b32 v1, v1, s2, v3
	v_cvt_i32_f32_e32 v14, v1
.LBB313_1187:
	s_mov_b64 s[2:3], 0
.LBB313_1188:
	s_andn2_b64 vcc, exec, s[2:3]
	s_cbranch_vccnz .LBB313_1190
; %bb.1189:
	global_load_ubyte v1, v[16:17], off
	s_movk_i32 s2, 0x7f00
	s_brev_b32 s3, 16
	s_waitcnt vmcnt(0)
	v_lshlrev_b16_e32 v3, 8, v1
	v_lshlrev_b32_e32 v1, 25, v1
	v_lshrrev_b32_e32 v5, 4, v1
	v_and_or_b32 v7, v3, s2, 0.5
	v_or_b32_e32 v5, 0x70000000, v5
	v_add_f32_e32 v7, -0.5, v7
	v_mul_f32_e32 v5, 0x7800000, v5
	v_cmp_gt_u32_e32 vcc, s3, v1
	v_bfe_i32 v3, v3, 0, 16
	s_brev_b32 s2, 1
	v_cndmask_b32_e32 v1, v5, v7, vcc
	v_and_or_b32 v1, v3, s2, v1
	v_cvt_i32_f32_e32 v14, v1
.LBB313_1190:
	s_mov_b64 s[10:11], -1
	s_mov_b64 s[8:9], 0
	s_cbranch_execnz .LBB313_1201
.LBB313_1191:
	s_cmp_gt_i32 s14, 14
	s_cbranch_scc0 .LBB313_1194
; %bb.1192:
	s_cmp_eq_u32 s14, 15
	s_cbranch_scc0 .LBB313_1197
; %bb.1193:
	global_load_ushort v1, v[16:17], off
	s_mov_b64 s[0:1], 0
	s_mov_b64 s[10:11], -1
	s_waitcnt vmcnt(0)
	v_lshlrev_b32_e32 v1, 16, v1
	v_cvt_i32_f32_e32 v14, v1
	s_branch .LBB313_1198
.LBB313_1194:
	s_mov_b64 s[2:3], -1
                                        ; implicit-def: $vgpr14
	s_branch .LBB313_1199
.LBB313_1195:
	s_andn2_saveexec_b64 s[2:3], s[2:3]
	s_cbranch_execz .LBB313_1177
.LBB313_1196:
	v_cmp_ne_u16_e32 vcc, 0, v1
	s_andn2_b64 s[8:9], s[8:9], exec
	s_and_b64 s[10:11], vcc, exec
	s_or_b64 s[8:9], s[8:9], s[10:11]
	s_or_b64 exec, exec, s[2:3]
	v_mov_b32_e32 v14, 0
	s_and_saveexec_b64 s[2:3], s[8:9]
	s_cbranch_execnz .LBB313_1178
	s_branch .LBB313_1179
.LBB313_1197:
	s_mov_b64 s[0:1], -1
                                        ; implicit-def: $vgpr14
.LBB313_1198:
	s_mov_b64 s[2:3], 0
.LBB313_1199:
	s_and_b64 vcc, exec, s[2:3]
	s_cbranch_vccz .LBB313_1201
; %bb.1200:
	s_cmp_lg_u32 s14, 11
	s_mov_b64 s[8:9], -1
	s_cselect_b64 s[0:1], -1, 0
.LBB313_1201:
	s_and_b64 vcc, exec, s[0:1]
	s_mov_b64 s[2:3], s[24:25]
	s_cbranch_vccnz .LBB313_1262
; %bb.1202:
	s_andn2_b64 vcc, exec, s[8:9]
	s_cbranch_vccnz .LBB313_1204
.LBB313_1203:
	global_load_ubyte v1, v[16:17], off
	s_mov_b64 s[10:11], -1
	s_waitcnt vmcnt(0)
	v_cmp_ne_u16_e32 vcc, 0, v1
	s_nop 1
	v_cndmask_b32_e64 v14, 0, 1, vcc
.LBB313_1204:
	s_branch .LBB313_1139
.LBB313_1205:
	s_and_b32 s8, 0xffff, s13
	s_cmp_lt_i32 s8, 5
	s_cbranch_scc1 .LBB313_1210
; %bb.1206:
	s_cmp_lt_i32 s8, 8
	s_cbranch_scc1 .LBB313_1211
; %bb.1207:
	;; [unrolled: 3-line block ×3, first 2 shown]
	s_cmp_gt_i32 s8, 9
	s_cbranch_scc0 .LBB313_1213
; %bb.1209:
	global_load_dwordx2 v[14:15], v[16:17], off
	s_mov_b64 s[0:1], 0
	s_waitcnt vmcnt(0)
	v_cvt_i32_f64_e32 v14, v[14:15]
	s_branch .LBB313_1214
.LBB313_1210:
                                        ; implicit-def: $vgpr14
	s_branch .LBB313_1231
.LBB313_1211:
                                        ; implicit-def: $vgpr14
	s_branch .LBB313_1220
.LBB313_1212:
	s_mov_b64 s[0:1], -1
                                        ; implicit-def: $vgpr14
	s_branch .LBB313_1217
.LBB313_1213:
	s_mov_b64 s[0:1], -1
                                        ; implicit-def: $vgpr14
.LBB313_1214:
	s_andn2_b64 vcc, exec, s[0:1]
	s_cbranch_vccnz .LBB313_1216
; %bb.1215:
	global_load_dword v1, v[16:17], off
	s_waitcnt vmcnt(0)
	v_cvt_i32_f32_e32 v14, v1
.LBB313_1216:
	s_mov_b64 s[0:1], 0
.LBB313_1217:
	s_andn2_b64 vcc, exec, s[0:1]
	s_cbranch_vccnz .LBB313_1219
; %bb.1218:
	global_load_dword v1, v[16:17], off
	s_waitcnt vmcnt(0)
	v_cvt_i16_f16_e32 v14, v1
.LBB313_1219:
	s_cbranch_execnz .LBB313_1230
.LBB313_1220:
	s_cmp_lt_i32 s8, 6
	s_cbranch_scc1 .LBB313_1223
; %bb.1221:
	s_cmp_gt_i32 s8, 6
	s_cbranch_scc0 .LBB313_1224
; %bb.1222:
	global_load_dwordx2 v[14:15], v[16:17], off
	s_mov_b64 s[0:1], 0
	s_waitcnt vmcnt(0)
	v_cvt_i32_f64_e32 v14, v[14:15]
	s_branch .LBB313_1225
.LBB313_1223:
	s_mov_b64 s[0:1], -1
                                        ; implicit-def: $vgpr14
	s_branch .LBB313_1228
.LBB313_1224:
	s_mov_b64 s[0:1], -1
                                        ; implicit-def: $vgpr14
.LBB313_1225:
	s_andn2_b64 vcc, exec, s[0:1]
	s_cbranch_vccnz .LBB313_1227
; %bb.1226:
	global_load_dword v1, v[16:17], off
	s_waitcnt vmcnt(0)
	v_cvt_i32_f32_e32 v14, v1
.LBB313_1227:
	s_mov_b64 s[0:1], 0
.LBB313_1228:
	s_andn2_b64 vcc, exec, s[0:1]
	s_cbranch_vccnz .LBB313_1230
; %bb.1229:
	global_load_ushort v1, v[16:17], off
	s_waitcnt vmcnt(0)
	v_cvt_i16_f16_e32 v14, v1
.LBB313_1230:
	s_cbranch_execnz .LBB313_1249
.LBB313_1231:
	s_cmp_lt_i32 s8, 2
	s_cbranch_scc1 .LBB313_1235
; %bb.1232:
	s_cmp_lt_i32 s8, 3
	s_cbranch_scc1 .LBB313_1236
; %bb.1233:
	s_cmp_gt_i32 s8, 3
	s_cbranch_scc0 .LBB313_1237
; %bb.1234:
	global_load_dwordx2 v[14:15], v[16:17], off
	s_mov_b64 s[0:1], 0
	s_branch .LBB313_1238
.LBB313_1235:
                                        ; implicit-def: $vgpr14
	s_branch .LBB313_1244
.LBB313_1236:
	s_mov_b64 s[0:1], -1
                                        ; implicit-def: $vgpr14
	s_branch .LBB313_1241
.LBB313_1237:
	s_mov_b64 s[0:1], -1
                                        ; implicit-def: $vgpr14
.LBB313_1238:
	s_andn2_b64 vcc, exec, s[0:1]
	s_cbranch_vccnz .LBB313_1240
; %bb.1239:
	global_load_dword v14, v[16:17], off
.LBB313_1240:
	s_mov_b64 s[0:1], 0
.LBB313_1241:
	s_andn2_b64 vcc, exec, s[0:1]
	s_cbranch_vccnz .LBB313_1243
; %bb.1242:
	global_load_ushort v14, v[16:17], off
.LBB313_1243:
	s_cbranch_execnz .LBB313_1249
.LBB313_1244:
	s_cmp_gt_i32 s8, 0
	s_cbranch_scc0 .LBB313_1246
; %bb.1245:
	global_load_sbyte v14, v[16:17], off
	s_mov_b64 s[0:1], 0
	s_branch .LBB313_1247
.LBB313_1246:
	s_mov_b64 s[0:1], -1
                                        ; implicit-def: $vgpr14
.LBB313_1247:
	s_andn2_b64 vcc, exec, s[0:1]
	s_cbranch_vccnz .LBB313_1249
; %bb.1248:
	global_load_ubyte v14, v[16:17], off
.LBB313_1249:
.LBB313_1250:
	s_lshr_b32 s0, s12, 8
	v_mov_b32_e32 v13, 0
	s_and_b32 s14, s0, 0xff
	s_cmp_lt_i32 s14, 11
	v_lshl_add_u64 v[16:17], s[6:7], 0, v[12:13]
	s_cbranch_scc1 .LBB313_1257
; %bb.1251:
	s_and_b32 s15, 0xffff, s14
	s_cmp_gt_i32 s15, 25
	s_mov_b64 s[8:9], 0
	s_cbranch_scc0 .LBB313_1259
; %bb.1252:
	s_cmp_gt_i32 s15, 28
	s_cbranch_scc0 .LBB313_1260
; %bb.1253:
	s_cmp_gt_i32 s15, 43
	;; [unrolled: 3-line block ×3, first 2 shown]
	s_cbranch_scc0 .LBB313_1263
; %bb.1255:
	s_cmp_eq_u32 s15, 46
	s_mov_b64 s[12:13], 0
	s_cbranch_scc0 .LBB313_1266
; %bb.1256:
	global_load_dword v1, v[16:17], off
	s_mov_b64 s[0:1], 0
	s_mov_b64 s[10:11], -1
	s_waitcnt vmcnt(0)
	v_lshlrev_b32_e32 v1, 16, v1
	v_cvt_i32_f32_e32 v12, v1
	s_branch .LBB313_1267
.LBB313_1257:
	s_mov_b64 s[10:11], 0
                                        ; implicit-def: $vgpr12
	s_cbranch_execnz .LBB313_1328
.LBB313_1258:
	s_andn2_b64 vcc, exec, s[10:11]
	s_cbranch_vccnz .LBB313_2059
	s_branch .LBB313_1375
.LBB313_1259:
	s_mov_b64 s[10:11], 0
	s_mov_b64 s[0:1], 0
                                        ; implicit-def: $vgpr12
	s_cbranch_execnz .LBB313_1294
	s_branch .LBB313_1324
.LBB313_1260:
	s_mov_b64 s[12:13], -1
	s_mov_b64 s[10:11], 0
	s_mov_b64 s[0:1], 0
                                        ; implicit-def: $vgpr12
	s_branch .LBB313_1277
.LBB313_1261:
	s_mov_b64 s[12:13], -1
	s_mov_b64 s[10:11], 0
	s_mov_b64 s[0:1], 0
                                        ; implicit-def: $vgpr12
	s_branch .LBB313_1272
.LBB313_1262:
	s_or_b64 s[2:3], s[24:25], exec
	s_trap 2
	s_cbranch_execz .LBB313_1203
	s_branch .LBB313_1204
.LBB313_1263:
	s_mov_b64 s[12:13], -1
	s_mov_b64 s[10:11], 0
	s_mov_b64 s[0:1], 0
                                        ; implicit-def: $vgpr12
	s_branch .LBB313_1267
.LBB313_1264:
	s_andn2_saveexec_b64 s[14:15], s[14:15]
	s_cbranch_execz .LBB313_999
.LBB313_1265:
	s_mov_b32 s18, 0x42800000
	v_add_f32_e64 v1, |v0|, s18
	v_and_b32_e32 v1, 0xff, v1
	v_cmp_ne_u32_e32 vcc, 0, v1
	s_andn2_b64 s[12:13], s[12:13], exec
	s_and_b64 s[18:19], vcc, exec
	s_or_b64 s[12:13], s[12:13], s[18:19]
	s_or_b64 exec, exec, s[14:15]
	v_mov_b32_e32 v4, 0
	s_and_saveexec_b64 s[14:15], s[12:13]
	s_cbranch_execnz .LBB313_1000
	s_branch .LBB313_1001
.LBB313_1266:
	s_mov_b64 s[0:1], -1
                                        ; implicit-def: $vgpr12
	s_mov_b64 s[10:11], 0
.LBB313_1267:
	s_and_b64 vcc, exec, s[12:13]
	s_cbranch_vccz .LBB313_1271
; %bb.1268:
	s_cmp_eq_u32 s15, 44
	s_cbranch_scc0 .LBB313_1270
; %bb.1269:
	global_load_ubyte v1, v[16:17], off
	s_mov_b64 s[0:1], 0
	s_mov_b64 s[10:11], -1
	s_waitcnt vmcnt(0)
	v_lshlrev_b32_e32 v3, 23, v1
	v_cvt_i32_f32_e32 v3, v3
	v_cmp_ne_u32_e32 vcc, 0, v1
	s_nop 1
	v_cndmask_b32_e32 v12, 0, v3, vcc
	s_branch .LBB313_1271
.LBB313_1270:
	s_mov_b64 s[0:1], -1
                                        ; implicit-def: $vgpr12
.LBB313_1271:
	s_mov_b64 s[12:13], 0
.LBB313_1272:
	s_and_b64 vcc, exec, s[12:13]
	s_cbranch_vccz .LBB313_1276
; %bb.1273:
	s_cmp_eq_u32 s15, 29
	s_cbranch_scc0 .LBB313_1275
; %bb.1274:
	global_load_dwordx2 v[12:13], v[16:17], off
	s_mov_b64 s[0:1], 0
	s_mov_b64 s[10:11], -1
	s_branch .LBB313_1276
.LBB313_1275:
	s_mov_b64 s[0:1], -1
                                        ; implicit-def: $vgpr12
.LBB313_1276:
	s_mov_b64 s[12:13], 0
.LBB313_1277:
	s_and_b64 vcc, exec, s[12:13]
	s_cbranch_vccz .LBB313_1293
; %bb.1278:
	s_cmp_lt_i32 s15, 27
	s_cbranch_scc1 .LBB313_1281
; %bb.1279:
	s_cmp_gt_i32 s15, 27
	s_cbranch_scc0 .LBB313_1282
; %bb.1280:
	global_load_dword v12, v[16:17], off
	s_mov_b64 s[10:11], 0
	s_branch .LBB313_1283
.LBB313_1281:
	s_mov_b64 s[10:11], -1
                                        ; implicit-def: $vgpr12
	s_branch .LBB313_1286
.LBB313_1282:
	s_mov_b64 s[10:11], -1
                                        ; implicit-def: $vgpr12
.LBB313_1283:
	s_andn2_b64 vcc, exec, s[10:11]
	s_cbranch_vccnz .LBB313_1285
; %bb.1284:
	global_load_ushort v12, v[16:17], off
.LBB313_1285:
	s_mov_b64 s[10:11], 0
.LBB313_1286:
	s_andn2_b64 vcc, exec, s[10:11]
	s_cbranch_vccnz .LBB313_1292
; %bb.1287:
	global_load_ubyte v1, v[16:17], off
	s_movk_i32 s10, 0x7f
	s_mov_b64 s[12:13], 0
	s_waitcnt vmcnt(0)
	v_cmp_lt_i16_e32 vcc, s10, v1
	s_and_saveexec_b64 s[10:11], vcc
	s_xor_b64 s[10:11], exec, s[10:11]
	s_cbranch_execz .LBB313_1303
; %bb.1288:
	s_movk_i32 s12, 0x80
	v_cmp_ne_u16_e32 vcc, s12, v1
	s_and_b64 s[12:13], vcc, exec
	s_andn2_saveexec_b64 s[10:11], s[10:11]
	s_cbranch_execnz .LBB313_1304
.LBB313_1289:
	s_or_b64 exec, exec, s[10:11]
	v_mov_b32_e32 v12, 0
	s_and_saveexec_b64 s[10:11], s[12:13]
	s_cbranch_execz .LBB313_1291
.LBB313_1290:
	v_lshlrev_b32_e32 v3, 24, v1
	v_and_b32_e32 v1, 0xffff, v1
	v_and_b32_e32 v5, 7, v1
	v_ffbh_u32_e32 v9, v5
	v_min_u32_e32 v9, 32, v9
	v_subrev_u32_e32 v11, 28, v9
	v_bfe_u32 v7, v1, 3, 4
	v_lshlrev_b32_e32 v1, v11, v1
	v_sub_u32_e32 v9, 29, v9
	v_and_b32_e32 v1, 7, v1
	v_cmp_eq_u32_e32 vcc, 0, v7
	v_and_b32_e32 v3, 0x80000000, v3
	s_nop 0
	v_cndmask_b32_e32 v7, v7, v9, vcc
	v_cndmask_b32_e32 v1, v5, v1, vcc
	v_mov_b32_e32 v5, 0x3b800000
	v_lshlrev_b32_e32 v1, 20, v1
	v_lshl_add_u32 v5, v7, 23, v5
	v_or3_b32 v1, v3, v5, v1
	v_cvt_i32_f32_e32 v12, v1
.LBB313_1291:
	s_or_b64 exec, exec, s[10:11]
.LBB313_1292:
	s_mov_b64 s[10:11], -1
.LBB313_1293:
	s_branch .LBB313_1324
.LBB313_1294:
	s_cmp_gt_i32 s15, 22
	s_cbranch_scc0 .LBB313_1302
; %bb.1295:
	s_cmp_lt_i32 s15, 24
	s_cbranch_scc1 .LBB313_1305
; %bb.1296:
	s_cmp_gt_i32 s15, 24
	s_cbranch_scc0 .LBB313_1306
; %bb.1297:
	global_load_ubyte v1, v[16:17], off
	s_movk_i32 s8, 0x7f
	s_mov_b64 s[10:11], 0
	s_waitcnt vmcnt(0)
	v_cmp_lt_i16_e32 vcc, s8, v1
	s_and_saveexec_b64 s[8:9], vcc
	s_xor_b64 s[8:9], exec, s[8:9]
	s_cbranch_execz .LBB313_1318
; %bb.1298:
	s_movk_i32 s10, 0x80
	v_cmp_ne_u16_e32 vcc, s10, v1
	s_and_b64 s[10:11], vcc, exec
	s_andn2_saveexec_b64 s[8:9], s[8:9]
	s_cbranch_execnz .LBB313_1319
.LBB313_1299:
	s_or_b64 exec, exec, s[8:9]
	v_mov_b32_e32 v12, 0
	s_and_saveexec_b64 s[8:9], s[10:11]
	s_cbranch_execz .LBB313_1301
.LBB313_1300:
	v_lshlrev_b32_e32 v3, 24, v1
	v_and_b32_e32 v1, 0xffff, v1
	v_and_b32_e32 v5, 3, v1
	v_ffbh_u32_e32 v9, v5
	v_min_u32_e32 v9, 32, v9
	v_subrev_u32_e32 v11, 29, v9
	v_bfe_u32 v7, v1, 2, 5
	v_lshlrev_b32_e32 v1, v11, v1
	v_sub_u32_e32 v9, 30, v9
	v_and_b32_e32 v1, 3, v1
	v_cmp_eq_u32_e32 vcc, 0, v7
	v_and_b32_e32 v3, 0x80000000, v3
	s_nop 0
	v_cndmask_b32_e32 v7, v7, v9, vcc
	v_cndmask_b32_e32 v1, v5, v1, vcc
	v_mov_b32_e32 v5, 0x37800000
	v_lshlrev_b32_e32 v1, 21, v1
	v_lshl_add_u32 v5, v7, 23, v5
	v_or3_b32 v1, v3, v5, v1
	v_cvt_i32_f32_e32 v12, v1
.LBB313_1301:
	s_or_b64 exec, exec, s[8:9]
	s_mov_b64 s[8:9], 0
	s_branch .LBB313_1307
.LBB313_1302:
	s_mov_b64 s[8:9], -1
                                        ; implicit-def: $vgpr12
	s_branch .LBB313_1313
.LBB313_1303:
	s_andn2_saveexec_b64 s[10:11], s[10:11]
	s_cbranch_execz .LBB313_1289
.LBB313_1304:
	v_cmp_ne_u16_e32 vcc, 0, v1
	s_andn2_b64 s[12:13], s[12:13], exec
	s_and_b64 s[16:17], vcc, exec
	s_or_b64 s[12:13], s[12:13], s[16:17]
	s_or_b64 exec, exec, s[10:11]
	v_mov_b32_e32 v12, 0
	s_and_saveexec_b64 s[10:11], s[12:13]
	s_cbranch_execnz .LBB313_1290
	s_branch .LBB313_1291
.LBB313_1305:
	s_mov_b64 s[8:9], -1
                                        ; implicit-def: $vgpr12
	s_branch .LBB313_1310
.LBB313_1306:
	s_mov_b64 s[8:9], -1
                                        ; implicit-def: $vgpr12
.LBB313_1307:
	s_and_b64 vcc, exec, s[8:9]
	s_cbranch_vccz .LBB313_1309
; %bb.1308:
	global_load_ubyte v1, v[16:17], off
	s_mov_b32 s8, 0x7f800000
	s_waitcnt vmcnt(0)
	v_lshlrev_b32_e32 v1, 24, v1
	v_and_b32_e32 v3, 0x7f000000, v1
	v_ffbh_u32_e32 v5, v3
	v_min_u32_e32 v5, 32, v5
	v_sub_u32_e64 v5, v5, 4 clamp
	v_lshlrev_b32_e32 v9, v5, v3
	v_lshlrev_b32_e32 v5, 23, v5
	v_lshrrev_b32_e32 v9, 4, v9
	v_add_u32_e32 v7, 0x1000000, v3
	v_sub_u32_e32 v5, v9, v5
	v_ashrrev_i32_e32 v7, 8, v7
	v_add_u32_e32 v5, 0x3c000000, v5
	v_and_or_b32 v5, v7, s8, v5
	v_cmp_ne_u32_e32 vcc, 0, v3
	s_brev_b32 s8, 1
	s_nop 0
	v_cndmask_b32_e32 v3, 0, v5, vcc
	v_and_or_b32 v1, v1, s8, v3
	v_cvt_i32_f32_e32 v12, v1
.LBB313_1309:
	s_mov_b64 s[8:9], 0
.LBB313_1310:
	s_andn2_b64 vcc, exec, s[8:9]
	s_cbranch_vccnz .LBB313_1312
; %bb.1311:
	global_load_ubyte v1, v[16:17], off
	s_movk_i32 s8, 0x7f00
	s_brev_b32 s9, 16
	s_waitcnt vmcnt(0)
	v_lshlrev_b16_e32 v3, 8, v1
	v_lshlrev_b32_e32 v1, 25, v1
	v_lshrrev_b32_e32 v5, 4, v1
	v_and_or_b32 v7, v3, s8, 0.5
	v_or_b32_e32 v5, 0x70000000, v5
	v_add_f32_e32 v7, -0.5, v7
	v_mul_f32_e32 v5, 0x7800000, v5
	v_cmp_gt_u32_e32 vcc, s9, v1
	v_bfe_i32 v3, v3, 0, 16
	s_brev_b32 s8, 1
	v_cndmask_b32_e32 v1, v5, v7, vcc
	v_and_or_b32 v1, v3, s8, v1
	v_cvt_i32_f32_e32 v12, v1
.LBB313_1312:
	s_mov_b64 s[8:9], 0
	s_mov_b64 s[10:11], -1
.LBB313_1313:
	s_andn2_b64 vcc, exec, s[8:9]
	s_mov_b64 s[8:9], 0
	s_cbranch_vccnz .LBB313_1324
; %bb.1314:
	s_cmp_gt_i32 s15, 14
	s_cbranch_scc0 .LBB313_1317
; %bb.1315:
	s_cmp_eq_u32 s15, 15
	s_cbranch_scc0 .LBB313_1320
; %bb.1316:
	global_load_ushort v1, v[16:17], off
	s_mov_b64 s[0:1], 0
	s_mov_b64 s[10:11], -1
	s_waitcnt vmcnt(0)
	v_lshlrev_b32_e32 v1, 16, v1
	v_cvt_i32_f32_e32 v12, v1
	s_branch .LBB313_1321
.LBB313_1317:
	s_mov_b64 s[12:13], -1
                                        ; implicit-def: $vgpr12
	s_branch .LBB313_1322
.LBB313_1318:
	s_andn2_saveexec_b64 s[8:9], s[8:9]
	s_cbranch_execz .LBB313_1299
.LBB313_1319:
	v_cmp_ne_u16_e32 vcc, 0, v1
	s_andn2_b64 s[10:11], s[10:11], exec
	s_and_b64 s[12:13], vcc, exec
	s_or_b64 s[10:11], s[10:11], s[12:13]
	s_or_b64 exec, exec, s[8:9]
	v_mov_b32_e32 v12, 0
	s_and_saveexec_b64 s[8:9], s[10:11]
	s_cbranch_execnz .LBB313_1300
	s_branch .LBB313_1301
.LBB313_1320:
	s_mov_b64 s[0:1], -1
                                        ; implicit-def: $vgpr12
.LBB313_1321:
	s_mov_b64 s[12:13], 0
.LBB313_1322:
	s_and_b64 vcc, exec, s[12:13]
	s_cbranch_vccz .LBB313_1324
; %bb.1323:
	s_cmp_lg_u32 s15, 11
	s_mov_b64 s[8:9], -1
	s_cselect_b64 s[0:1], -1, 0
.LBB313_1324:
	s_and_b64 vcc, exec, s[0:1]
	s_cbranch_vccnz .LBB313_1387
; %bb.1325:
	s_andn2_b64 vcc, exec, s[8:9]
	s_cbranch_vccnz .LBB313_1327
.LBB313_1326:
	global_load_ubyte v1, v[16:17], off
	s_mov_b64 s[10:11], -1
	s_waitcnt vmcnt(0)
	v_cmp_ne_u16_e32 vcc, 0, v1
	s_nop 1
	v_cndmask_b32_e64 v12, 0, 1, vcc
.LBB313_1327:
	s_branch .LBB313_1258
.LBB313_1328:
	s_and_b32 s8, 0xffff, s14
	s_cmp_lt_i32 s8, 5
	s_cbranch_scc1 .LBB313_1333
; %bb.1329:
	s_cmp_lt_i32 s8, 8
	s_cbranch_scc1 .LBB313_1334
; %bb.1330:
	;; [unrolled: 3-line block ×3, first 2 shown]
	s_cmp_gt_i32 s8, 9
	s_cbranch_scc0 .LBB313_1336
; %bb.1332:
	global_load_dwordx2 v[12:13], v[16:17], off
	s_mov_b64 s[0:1], 0
	s_waitcnt vmcnt(0)
	v_cvt_i32_f64_e32 v12, v[12:13]
	s_branch .LBB313_1337
.LBB313_1333:
                                        ; implicit-def: $vgpr12
	s_branch .LBB313_1355
.LBB313_1334:
	s_mov_b64 s[0:1], -1
                                        ; implicit-def: $vgpr12
	s_branch .LBB313_1343
.LBB313_1335:
	s_mov_b64 s[0:1], -1
                                        ; implicit-def: $vgpr12
	s_branch .LBB313_1340
.LBB313_1336:
	s_mov_b64 s[0:1], -1
                                        ; implicit-def: $vgpr12
.LBB313_1337:
	s_andn2_b64 vcc, exec, s[0:1]
	s_cbranch_vccnz .LBB313_1339
; %bb.1338:
	global_load_dword v1, v[16:17], off
	s_waitcnt vmcnt(0)
	v_cvt_i32_f32_e32 v12, v1
.LBB313_1339:
	s_mov_b64 s[0:1], 0
.LBB313_1340:
	s_andn2_b64 vcc, exec, s[0:1]
	s_cbranch_vccnz .LBB313_1342
; %bb.1341:
	global_load_dword v1, v[16:17], off
	s_waitcnt vmcnt(0)
	v_cvt_i16_f16_e32 v12, v1
.LBB313_1342:
	s_mov_b64 s[0:1], 0
.LBB313_1343:
	s_andn2_b64 vcc, exec, s[0:1]
	s_cbranch_vccnz .LBB313_1354
; %bb.1344:
	s_cmp_lt_i32 s8, 6
	s_cbranch_scc1 .LBB313_1347
; %bb.1345:
	s_cmp_gt_i32 s8, 6
	s_cbranch_scc0 .LBB313_1348
; %bb.1346:
	global_load_dwordx2 v[12:13], v[16:17], off
	s_mov_b64 s[0:1], 0
	s_waitcnt vmcnt(0)
	v_cvt_i32_f64_e32 v12, v[12:13]
	s_branch .LBB313_1349
.LBB313_1347:
	s_mov_b64 s[0:1], -1
                                        ; implicit-def: $vgpr12
	s_branch .LBB313_1352
.LBB313_1348:
	s_mov_b64 s[0:1], -1
                                        ; implicit-def: $vgpr12
.LBB313_1349:
	s_andn2_b64 vcc, exec, s[0:1]
	s_cbranch_vccnz .LBB313_1351
; %bb.1350:
	global_load_dword v1, v[16:17], off
	s_waitcnt vmcnt(0)
	v_cvt_i32_f32_e32 v12, v1
.LBB313_1351:
	s_mov_b64 s[0:1], 0
.LBB313_1352:
	s_andn2_b64 vcc, exec, s[0:1]
	s_cbranch_vccnz .LBB313_1354
; %bb.1353:
	global_load_ushort v1, v[16:17], off
	s_waitcnt vmcnt(0)
	v_cvt_i16_f16_e32 v12, v1
.LBB313_1354:
	s_cbranch_execnz .LBB313_1374
.LBB313_1355:
	s_cmp_lt_i32 s8, 2
	s_cbranch_scc1 .LBB313_1359
; %bb.1356:
	s_cmp_lt_i32 s8, 3
	s_cbranch_scc1 .LBB313_1360
; %bb.1357:
	s_cmp_gt_i32 s8, 3
	s_cbranch_scc0 .LBB313_1361
; %bb.1358:
	global_load_dwordx2 v[12:13], v[16:17], off
	s_mov_b64 s[0:1], 0
	s_branch .LBB313_1362
.LBB313_1359:
	s_mov_b64 s[0:1], -1
                                        ; implicit-def: $vgpr12
	s_branch .LBB313_1368
.LBB313_1360:
	s_mov_b64 s[0:1], -1
                                        ; implicit-def: $vgpr12
	s_branch .LBB313_1365
.LBB313_1361:
	s_mov_b64 s[0:1], -1
                                        ; implicit-def: $vgpr12
.LBB313_1362:
	s_andn2_b64 vcc, exec, s[0:1]
	s_cbranch_vccnz .LBB313_1364
; %bb.1363:
	global_load_dword v12, v[16:17], off
.LBB313_1364:
	s_mov_b64 s[0:1], 0
.LBB313_1365:
	s_andn2_b64 vcc, exec, s[0:1]
	s_cbranch_vccnz .LBB313_1367
; %bb.1366:
	global_load_ushort v12, v[16:17], off
.LBB313_1367:
	s_mov_b64 s[0:1], 0
.LBB313_1368:
	s_andn2_b64 vcc, exec, s[0:1]
	s_cbranch_vccnz .LBB313_1374
; %bb.1369:
	s_cmp_gt_i32 s8, 0
	s_cbranch_scc0 .LBB313_1371
; %bb.1370:
	global_load_sbyte v12, v[16:17], off
	s_mov_b64 s[0:1], 0
	s_branch .LBB313_1372
.LBB313_1371:
	s_mov_b64 s[0:1], -1
                                        ; implicit-def: $vgpr12
.LBB313_1372:
	s_andn2_b64 vcc, exec, s[0:1]
	s_cbranch_vccnz .LBB313_1374
; %bb.1373:
	global_load_ubyte v12, v[16:17], off
.LBB313_1374:
.LBB313_1375:
	v_mov_b32_e32 v11, 0
	s_cmp_lt_i32 s14, 11
	v_lshl_add_u64 v[16:17], s[6:7], 0, v[10:11]
	s_cbranch_scc1 .LBB313_1382
; %bb.1376:
	s_and_b32 s15, 0xffff, s14
	s_cmp_gt_i32 s15, 25
	s_mov_b64 s[8:9], 0
	s_cbranch_scc0 .LBB313_1384
; %bb.1377:
	s_cmp_gt_i32 s15, 28
	s_cbranch_scc0 .LBB313_1385
; %bb.1378:
	s_cmp_gt_i32 s15, 43
	;; [unrolled: 3-line block ×3, first 2 shown]
	s_cbranch_scc0 .LBB313_1388
; %bb.1380:
	s_cmp_eq_u32 s15, 46
	s_mov_b64 s[12:13], 0
	s_cbranch_scc0 .LBB313_1389
; %bb.1381:
	global_load_dword v1, v[16:17], off
	s_mov_b64 s[0:1], 0
	s_mov_b64 s[10:11], -1
	s_waitcnt vmcnt(0)
	v_lshlrev_b32_e32 v1, 16, v1
	v_cvt_i32_f32_e32 v10, v1
	s_branch .LBB313_1390
.LBB313_1382:
	s_mov_b64 s[10:11], 0
                                        ; implicit-def: $vgpr10
	s_cbranch_execnz .LBB313_1452
.LBB313_1383:
	s_andn2_b64 vcc, exec, s[10:11]
	s_cbranch_vccnz .LBB313_2059
	s_branch .LBB313_1500
.LBB313_1384:
	s_mov_b64 s[12:13], -1
	s_mov_b64 s[10:11], 0
	s_mov_b64 s[0:1], 0
                                        ; implicit-def: $vgpr10
	s_branch .LBB313_1417
.LBB313_1385:
	s_mov_b64 s[12:13], -1
	s_mov_b64 s[10:11], 0
	s_mov_b64 s[0:1], 0
                                        ; implicit-def: $vgpr10
	s_branch .LBB313_1400
.LBB313_1386:
	s_mov_b64 s[12:13], -1
	s_mov_b64 s[10:11], 0
	s_mov_b64 s[0:1], 0
                                        ; implicit-def: $vgpr10
	s_branch .LBB313_1395
.LBB313_1387:
	s_trap 2
	s_or_b64 s[2:3], s[2:3], exec
	s_cbranch_execz .LBB313_1326
	s_branch .LBB313_1327
.LBB313_1388:
	s_mov_b64 s[12:13], -1
	s_mov_b64 s[10:11], 0
	s_mov_b64 s[0:1], 0
                                        ; implicit-def: $vgpr10
	s_branch .LBB313_1390
.LBB313_1389:
	s_mov_b64 s[0:1], -1
                                        ; implicit-def: $vgpr10
	s_mov_b64 s[10:11], 0
.LBB313_1390:
	s_and_b64 vcc, exec, s[12:13]
	s_cbranch_vccz .LBB313_1394
; %bb.1391:
	s_cmp_eq_u32 s15, 44
	s_cbranch_scc0 .LBB313_1393
; %bb.1392:
	global_load_ubyte v1, v[16:17], off
	s_mov_b64 s[0:1], 0
	s_mov_b64 s[10:11], -1
	s_waitcnt vmcnt(0)
	v_lshlrev_b32_e32 v3, 23, v1
	v_cvt_i32_f32_e32 v3, v3
	v_cmp_ne_u32_e32 vcc, 0, v1
	s_nop 1
	v_cndmask_b32_e32 v10, 0, v3, vcc
	s_branch .LBB313_1394
.LBB313_1393:
	s_mov_b64 s[0:1], -1
                                        ; implicit-def: $vgpr10
.LBB313_1394:
	s_mov_b64 s[12:13], 0
.LBB313_1395:
	s_and_b64 vcc, exec, s[12:13]
	s_cbranch_vccz .LBB313_1399
; %bb.1396:
	s_cmp_eq_u32 s15, 29
	s_cbranch_scc0 .LBB313_1398
; %bb.1397:
	global_load_dwordx2 v[10:11], v[16:17], off
	s_mov_b64 s[0:1], 0
	s_mov_b64 s[10:11], -1
	s_branch .LBB313_1399
.LBB313_1398:
	s_mov_b64 s[0:1], -1
                                        ; implicit-def: $vgpr10
.LBB313_1399:
	s_mov_b64 s[12:13], 0
.LBB313_1400:
	s_and_b64 vcc, exec, s[12:13]
	s_cbranch_vccz .LBB313_1416
; %bb.1401:
	s_cmp_lt_i32 s15, 27
	s_cbranch_scc1 .LBB313_1404
; %bb.1402:
	s_cmp_gt_i32 s15, 27
	s_cbranch_scc0 .LBB313_1405
; %bb.1403:
	global_load_dword v10, v[16:17], off
	s_mov_b64 s[10:11], 0
	s_branch .LBB313_1406
.LBB313_1404:
	s_mov_b64 s[10:11], -1
                                        ; implicit-def: $vgpr10
	s_branch .LBB313_1409
.LBB313_1405:
	s_mov_b64 s[10:11], -1
                                        ; implicit-def: $vgpr10
.LBB313_1406:
	s_andn2_b64 vcc, exec, s[10:11]
	s_cbranch_vccnz .LBB313_1408
; %bb.1407:
	global_load_ushort v10, v[16:17], off
.LBB313_1408:
	s_mov_b64 s[10:11], 0
.LBB313_1409:
	s_andn2_b64 vcc, exec, s[10:11]
	s_cbranch_vccnz .LBB313_1415
; %bb.1410:
	global_load_ubyte v1, v[16:17], off
	s_movk_i32 s10, 0x7f
	s_mov_b64 s[12:13], 0
	s_waitcnt vmcnt(0)
	v_cmp_lt_i16_e32 vcc, s10, v1
	s_and_saveexec_b64 s[10:11], vcc
	s_xor_b64 s[10:11], exec, s[10:11]
	s_cbranch_execz .LBB313_1427
; %bb.1411:
	s_movk_i32 s12, 0x80
	v_cmp_ne_u16_e32 vcc, s12, v1
	s_and_b64 s[12:13], vcc, exec
	s_andn2_saveexec_b64 s[10:11], s[10:11]
	s_cbranch_execnz .LBB313_1428
.LBB313_1412:
	s_or_b64 exec, exec, s[10:11]
	v_mov_b32_e32 v10, 0
	s_and_saveexec_b64 s[10:11], s[12:13]
	s_cbranch_execz .LBB313_1414
.LBB313_1413:
	v_lshlrev_b32_e32 v3, 24, v1
	v_and_b32_e32 v1, 0xffff, v1
	v_and_b32_e32 v5, 7, v1
	v_ffbh_u32_e32 v9, v5
	v_min_u32_e32 v9, 32, v9
	v_subrev_u32_e32 v10, 28, v9
	v_bfe_u32 v7, v1, 3, 4
	v_lshlrev_b32_e32 v1, v10, v1
	v_sub_u32_e32 v9, 29, v9
	v_and_b32_e32 v1, 7, v1
	v_cmp_eq_u32_e32 vcc, 0, v7
	v_and_b32_e32 v3, 0x80000000, v3
	s_nop 0
	v_cndmask_b32_e32 v7, v7, v9, vcc
	v_cndmask_b32_e32 v1, v5, v1, vcc
	v_mov_b32_e32 v5, 0x3b800000
	v_lshlrev_b32_e32 v1, 20, v1
	v_lshl_add_u32 v5, v7, 23, v5
	v_or3_b32 v1, v3, v5, v1
	v_cvt_i32_f32_e32 v10, v1
.LBB313_1414:
	s_or_b64 exec, exec, s[10:11]
.LBB313_1415:
	s_mov_b64 s[10:11], -1
.LBB313_1416:
	s_mov_b64 s[12:13], 0
.LBB313_1417:
	s_and_b64 vcc, exec, s[12:13]
	s_cbranch_vccz .LBB313_1448
; %bb.1418:
	s_cmp_gt_i32 s15, 22
	s_cbranch_scc0 .LBB313_1426
; %bb.1419:
	s_cmp_lt_i32 s15, 24
	s_cbranch_scc1 .LBB313_1429
; %bb.1420:
	s_cmp_gt_i32 s15, 24
	s_cbranch_scc0 .LBB313_1430
; %bb.1421:
	global_load_ubyte v1, v[16:17], off
	s_movk_i32 s8, 0x7f
	s_mov_b64 s[10:11], 0
	s_waitcnt vmcnt(0)
	v_cmp_lt_i16_e32 vcc, s8, v1
	s_and_saveexec_b64 s[8:9], vcc
	s_xor_b64 s[8:9], exec, s[8:9]
	s_cbranch_execz .LBB313_1442
; %bb.1422:
	s_movk_i32 s10, 0x80
	v_cmp_ne_u16_e32 vcc, s10, v1
	s_and_b64 s[10:11], vcc, exec
	s_andn2_saveexec_b64 s[8:9], s[8:9]
	s_cbranch_execnz .LBB313_1443
.LBB313_1423:
	s_or_b64 exec, exec, s[8:9]
	v_mov_b32_e32 v10, 0
	s_and_saveexec_b64 s[8:9], s[10:11]
	s_cbranch_execz .LBB313_1425
.LBB313_1424:
	v_lshlrev_b32_e32 v3, 24, v1
	v_and_b32_e32 v1, 0xffff, v1
	v_and_b32_e32 v5, 3, v1
	v_ffbh_u32_e32 v9, v5
	v_min_u32_e32 v9, 32, v9
	v_subrev_u32_e32 v10, 29, v9
	v_bfe_u32 v7, v1, 2, 5
	v_lshlrev_b32_e32 v1, v10, v1
	v_sub_u32_e32 v9, 30, v9
	v_and_b32_e32 v1, 3, v1
	v_cmp_eq_u32_e32 vcc, 0, v7
	v_and_b32_e32 v3, 0x80000000, v3
	s_nop 0
	v_cndmask_b32_e32 v7, v7, v9, vcc
	v_cndmask_b32_e32 v1, v5, v1, vcc
	v_mov_b32_e32 v5, 0x37800000
	v_lshlrev_b32_e32 v1, 21, v1
	v_lshl_add_u32 v5, v7, 23, v5
	v_or3_b32 v1, v3, v5, v1
	v_cvt_i32_f32_e32 v10, v1
.LBB313_1425:
	s_or_b64 exec, exec, s[8:9]
	s_mov_b64 s[8:9], 0
	s_branch .LBB313_1431
.LBB313_1426:
	s_mov_b64 s[8:9], -1
                                        ; implicit-def: $vgpr10
	s_branch .LBB313_1437
.LBB313_1427:
	s_andn2_saveexec_b64 s[10:11], s[10:11]
	s_cbranch_execz .LBB313_1412
.LBB313_1428:
	v_cmp_ne_u16_e32 vcc, 0, v1
	s_andn2_b64 s[12:13], s[12:13], exec
	s_and_b64 s[16:17], vcc, exec
	s_or_b64 s[12:13], s[12:13], s[16:17]
	s_or_b64 exec, exec, s[10:11]
	v_mov_b32_e32 v10, 0
	s_and_saveexec_b64 s[10:11], s[12:13]
	s_cbranch_execnz .LBB313_1413
	s_branch .LBB313_1414
.LBB313_1429:
	s_mov_b64 s[8:9], -1
                                        ; implicit-def: $vgpr10
	s_branch .LBB313_1434
.LBB313_1430:
	s_mov_b64 s[8:9], -1
                                        ; implicit-def: $vgpr10
.LBB313_1431:
	s_and_b64 vcc, exec, s[8:9]
	s_cbranch_vccz .LBB313_1433
; %bb.1432:
	global_load_ubyte v1, v[16:17], off
	s_mov_b32 s8, 0x7f800000
	s_waitcnt vmcnt(0)
	v_lshlrev_b32_e32 v1, 24, v1
	v_and_b32_e32 v3, 0x7f000000, v1
	v_ffbh_u32_e32 v5, v3
	v_min_u32_e32 v5, 32, v5
	v_sub_u32_e64 v5, v5, 4 clamp
	v_lshlrev_b32_e32 v9, v5, v3
	v_lshlrev_b32_e32 v5, 23, v5
	v_lshrrev_b32_e32 v9, 4, v9
	v_add_u32_e32 v7, 0x1000000, v3
	v_sub_u32_e32 v5, v9, v5
	v_ashrrev_i32_e32 v7, 8, v7
	v_add_u32_e32 v5, 0x3c000000, v5
	v_and_or_b32 v5, v7, s8, v5
	v_cmp_ne_u32_e32 vcc, 0, v3
	s_brev_b32 s8, 1
	s_nop 0
	v_cndmask_b32_e32 v3, 0, v5, vcc
	v_and_or_b32 v1, v1, s8, v3
	v_cvt_i32_f32_e32 v10, v1
.LBB313_1433:
	s_mov_b64 s[8:9], 0
.LBB313_1434:
	s_andn2_b64 vcc, exec, s[8:9]
	s_cbranch_vccnz .LBB313_1436
; %bb.1435:
	global_load_ubyte v1, v[16:17], off
	s_movk_i32 s8, 0x7f00
	s_brev_b32 s9, 16
	s_waitcnt vmcnt(0)
	v_lshlrev_b16_e32 v3, 8, v1
	v_lshlrev_b32_e32 v1, 25, v1
	v_lshrrev_b32_e32 v5, 4, v1
	v_and_or_b32 v7, v3, s8, 0.5
	v_or_b32_e32 v5, 0x70000000, v5
	v_add_f32_e32 v7, -0.5, v7
	v_mul_f32_e32 v5, 0x7800000, v5
	v_cmp_gt_u32_e32 vcc, s9, v1
	v_bfe_i32 v3, v3, 0, 16
	s_brev_b32 s8, 1
	v_cndmask_b32_e32 v1, v5, v7, vcc
	v_and_or_b32 v1, v3, s8, v1
	v_cvt_i32_f32_e32 v10, v1
.LBB313_1436:
	s_mov_b64 s[8:9], 0
	s_mov_b64 s[10:11], -1
.LBB313_1437:
	s_andn2_b64 vcc, exec, s[8:9]
	s_mov_b64 s[8:9], 0
	s_cbranch_vccnz .LBB313_1448
; %bb.1438:
	s_cmp_gt_i32 s15, 14
	s_cbranch_scc0 .LBB313_1441
; %bb.1439:
	s_cmp_eq_u32 s15, 15
	s_cbranch_scc0 .LBB313_1444
; %bb.1440:
	global_load_ushort v1, v[16:17], off
	s_mov_b64 s[0:1], 0
	s_mov_b64 s[10:11], -1
	s_waitcnt vmcnt(0)
	v_lshlrev_b32_e32 v1, 16, v1
	v_cvt_i32_f32_e32 v10, v1
	s_branch .LBB313_1445
.LBB313_1441:
	s_mov_b64 s[12:13], -1
                                        ; implicit-def: $vgpr10
	s_branch .LBB313_1446
.LBB313_1442:
	s_andn2_saveexec_b64 s[8:9], s[8:9]
	s_cbranch_execz .LBB313_1423
.LBB313_1443:
	v_cmp_ne_u16_e32 vcc, 0, v1
	s_andn2_b64 s[10:11], s[10:11], exec
	s_and_b64 s[12:13], vcc, exec
	s_or_b64 s[10:11], s[10:11], s[12:13]
	s_or_b64 exec, exec, s[8:9]
	v_mov_b32_e32 v10, 0
	s_and_saveexec_b64 s[8:9], s[10:11]
	s_cbranch_execnz .LBB313_1424
	s_branch .LBB313_1425
.LBB313_1444:
	s_mov_b64 s[0:1], -1
                                        ; implicit-def: $vgpr10
.LBB313_1445:
	s_mov_b64 s[12:13], 0
.LBB313_1446:
	s_and_b64 vcc, exec, s[12:13]
	s_cbranch_vccz .LBB313_1448
; %bb.1447:
	s_cmp_lg_u32 s15, 11
	s_mov_b64 s[8:9], -1
	s_cselect_b64 s[0:1], -1, 0
.LBB313_1448:
	s_and_b64 vcc, exec, s[0:1]
	s_cbranch_vccnz .LBB313_1511
; %bb.1449:
	s_andn2_b64 vcc, exec, s[8:9]
	s_cbranch_vccnz .LBB313_1451
.LBB313_1450:
	global_load_ubyte v1, v[16:17], off
	s_mov_b64 s[10:11], -1
	s_waitcnt vmcnt(0)
	v_cmp_ne_u16_e32 vcc, 0, v1
	s_nop 1
	v_cndmask_b32_e64 v10, 0, 1, vcc
.LBB313_1451:
	s_branch .LBB313_1383
.LBB313_1452:
	s_and_b32 s8, 0xffff, s14
	s_cmp_lt_i32 s8, 5
	s_cbranch_scc1 .LBB313_1457
; %bb.1453:
	s_cmp_lt_i32 s8, 8
	s_cbranch_scc1 .LBB313_1458
; %bb.1454:
	;; [unrolled: 3-line block ×3, first 2 shown]
	s_cmp_gt_i32 s8, 9
	s_cbranch_scc0 .LBB313_1460
; %bb.1456:
	global_load_dwordx2 v[10:11], v[16:17], off
	s_mov_b64 s[0:1], 0
	s_waitcnt vmcnt(0)
	v_cvt_i32_f64_e32 v10, v[10:11]
	s_branch .LBB313_1461
.LBB313_1457:
	s_mov_b64 s[0:1], -1
                                        ; implicit-def: $vgpr10
	s_branch .LBB313_1479
.LBB313_1458:
	s_mov_b64 s[0:1], -1
                                        ; implicit-def: $vgpr10
	s_branch .LBB313_1467
.LBB313_1459:
	s_mov_b64 s[0:1], -1
                                        ; implicit-def: $vgpr10
	s_branch .LBB313_1464
.LBB313_1460:
	s_mov_b64 s[0:1], -1
                                        ; implicit-def: $vgpr10
.LBB313_1461:
	s_andn2_b64 vcc, exec, s[0:1]
	s_cbranch_vccnz .LBB313_1463
; %bb.1462:
	global_load_dword v1, v[16:17], off
	s_waitcnt vmcnt(0)
	v_cvt_i32_f32_e32 v10, v1
.LBB313_1463:
	s_mov_b64 s[0:1], 0
.LBB313_1464:
	s_andn2_b64 vcc, exec, s[0:1]
	s_cbranch_vccnz .LBB313_1466
; %bb.1465:
	global_load_dword v1, v[16:17], off
	s_waitcnt vmcnt(0)
	v_cvt_i16_f16_e32 v10, v1
.LBB313_1466:
	s_mov_b64 s[0:1], 0
.LBB313_1467:
	s_andn2_b64 vcc, exec, s[0:1]
	s_cbranch_vccnz .LBB313_1478
; %bb.1468:
	s_cmp_lt_i32 s8, 6
	s_cbranch_scc1 .LBB313_1471
; %bb.1469:
	s_cmp_gt_i32 s8, 6
	s_cbranch_scc0 .LBB313_1472
; %bb.1470:
	global_load_dwordx2 v[10:11], v[16:17], off
	s_mov_b64 s[0:1], 0
	s_waitcnt vmcnt(0)
	v_cvt_i32_f64_e32 v10, v[10:11]
	s_branch .LBB313_1473
.LBB313_1471:
	s_mov_b64 s[0:1], -1
                                        ; implicit-def: $vgpr10
	s_branch .LBB313_1476
.LBB313_1472:
	s_mov_b64 s[0:1], -1
                                        ; implicit-def: $vgpr10
.LBB313_1473:
	s_andn2_b64 vcc, exec, s[0:1]
	s_cbranch_vccnz .LBB313_1475
; %bb.1474:
	global_load_dword v1, v[16:17], off
	s_waitcnt vmcnt(0)
	v_cvt_i32_f32_e32 v10, v1
.LBB313_1475:
	s_mov_b64 s[0:1], 0
.LBB313_1476:
	s_andn2_b64 vcc, exec, s[0:1]
	s_cbranch_vccnz .LBB313_1478
; %bb.1477:
	global_load_ushort v1, v[16:17], off
	s_waitcnt vmcnt(0)
	v_cvt_i16_f16_e32 v10, v1
.LBB313_1478:
	s_mov_b64 s[0:1], 0
.LBB313_1479:
	s_andn2_b64 vcc, exec, s[0:1]
	s_cbranch_vccnz .LBB313_1499
; %bb.1480:
	s_cmp_lt_i32 s8, 2
	s_cbranch_scc1 .LBB313_1484
; %bb.1481:
	s_cmp_lt_i32 s8, 3
	s_cbranch_scc1 .LBB313_1485
; %bb.1482:
	s_cmp_gt_i32 s8, 3
	s_cbranch_scc0 .LBB313_1486
; %bb.1483:
	global_load_dwordx2 v[10:11], v[16:17], off
	s_mov_b64 s[0:1], 0
	s_branch .LBB313_1487
.LBB313_1484:
	s_mov_b64 s[0:1], -1
                                        ; implicit-def: $vgpr10
	s_branch .LBB313_1493
.LBB313_1485:
	s_mov_b64 s[0:1], -1
                                        ; implicit-def: $vgpr10
	s_branch .LBB313_1490
.LBB313_1486:
	s_mov_b64 s[0:1], -1
                                        ; implicit-def: $vgpr10
.LBB313_1487:
	s_andn2_b64 vcc, exec, s[0:1]
	s_cbranch_vccnz .LBB313_1489
; %bb.1488:
	global_load_dword v10, v[16:17], off
.LBB313_1489:
	s_mov_b64 s[0:1], 0
.LBB313_1490:
	s_andn2_b64 vcc, exec, s[0:1]
	s_cbranch_vccnz .LBB313_1492
; %bb.1491:
	global_load_ushort v10, v[16:17], off
.LBB313_1492:
	s_mov_b64 s[0:1], 0
.LBB313_1493:
	s_andn2_b64 vcc, exec, s[0:1]
	s_cbranch_vccnz .LBB313_1499
; %bb.1494:
	s_cmp_gt_i32 s8, 0
	s_cbranch_scc0 .LBB313_1496
; %bb.1495:
	global_load_sbyte v10, v[16:17], off
	s_mov_b64 s[0:1], 0
	s_branch .LBB313_1497
.LBB313_1496:
	s_mov_b64 s[0:1], -1
                                        ; implicit-def: $vgpr10
.LBB313_1497:
	s_andn2_b64 vcc, exec, s[0:1]
	s_cbranch_vccnz .LBB313_1499
; %bb.1498:
	global_load_ubyte v10, v[16:17], off
.LBB313_1499:
.LBB313_1500:
	v_mov_b32_e32 v9, 0
	s_cmp_lt_i32 s14, 11
	v_lshl_add_u64 v[16:17], s[6:7], 0, v[8:9]
	s_cbranch_scc1 .LBB313_1507
; %bb.1501:
	s_and_b32 s12, 0xffff, s14
	s_cmp_gt_i32 s12, 25
	s_mov_b64 s[6:7], 0
	s_cbranch_scc0 .LBB313_1508
; %bb.1502:
	s_cmp_gt_i32 s12, 28
	s_cbranch_scc0 .LBB313_1509
; %bb.1503:
	s_cmp_gt_i32 s12, 43
	;; [unrolled: 3-line block ×3, first 2 shown]
	s_cbranch_scc0 .LBB313_1512
; %bb.1505:
	s_cmp_eq_u32 s12, 46
	s_mov_b64 s[10:11], 0
	s_cbranch_scc0 .LBB313_1513
; %bb.1506:
	global_load_dword v1, v[16:17], off
	s_mov_b64 s[0:1], 0
	s_mov_b64 s[8:9], -1
	s_waitcnt vmcnt(0)
	v_lshlrev_b32_e32 v1, 16, v1
	v_cvt_i32_f32_e32 v8, v1
	s_branch .LBB313_1514
.LBB313_1507:
	s_mov_b64 s[0:1], -1
	s_mov_b64 s[8:9], 0
                                        ; implicit-def: $vgpr8
	s_branch .LBB313_1576
.LBB313_1508:
	s_mov_b64 s[10:11], -1
	s_mov_b64 s[8:9], 0
	s_mov_b64 s[0:1], 0
                                        ; implicit-def: $vgpr8
	s_branch .LBB313_1541
.LBB313_1509:
	s_mov_b64 s[10:11], -1
	s_mov_b64 s[8:9], 0
	s_mov_b64 s[0:1], 0
                                        ; implicit-def: $vgpr8
	s_branch .LBB313_1524
.LBB313_1510:
	s_mov_b64 s[10:11], -1
	s_mov_b64 s[8:9], 0
	s_mov_b64 s[0:1], 0
                                        ; implicit-def: $vgpr8
	s_branch .LBB313_1519
.LBB313_1511:
	s_trap 2
	s_or_b64 s[2:3], s[2:3], exec
	s_cbranch_execz .LBB313_1450
	s_branch .LBB313_1451
.LBB313_1512:
	s_mov_b64 s[10:11], -1
	s_mov_b64 s[8:9], 0
	s_mov_b64 s[0:1], 0
                                        ; implicit-def: $vgpr8
	s_branch .LBB313_1514
.LBB313_1513:
	s_mov_b64 s[0:1], -1
                                        ; implicit-def: $vgpr8
	s_mov_b64 s[8:9], 0
.LBB313_1514:
	s_and_b64 vcc, exec, s[10:11]
	s_cbranch_vccz .LBB313_1518
; %bb.1515:
	s_cmp_eq_u32 s12, 44
	s_cbranch_scc0 .LBB313_1517
; %bb.1516:
	global_load_ubyte v1, v[16:17], off
	s_mov_b64 s[0:1], 0
	s_mov_b64 s[8:9], -1
	s_waitcnt vmcnt(0)
	v_lshlrev_b32_e32 v3, 23, v1
	v_cvt_i32_f32_e32 v3, v3
	v_cmp_ne_u32_e32 vcc, 0, v1
	s_nop 1
	v_cndmask_b32_e32 v8, 0, v3, vcc
	s_branch .LBB313_1518
.LBB313_1517:
	s_mov_b64 s[0:1], -1
                                        ; implicit-def: $vgpr8
.LBB313_1518:
	s_mov_b64 s[10:11], 0
.LBB313_1519:
	s_and_b64 vcc, exec, s[10:11]
	s_cbranch_vccz .LBB313_1523
; %bb.1520:
	s_cmp_eq_u32 s12, 29
	s_cbranch_scc0 .LBB313_1522
; %bb.1521:
	global_load_dwordx2 v[8:9], v[16:17], off
	s_mov_b64 s[0:1], 0
	s_mov_b64 s[8:9], -1
	s_branch .LBB313_1523
.LBB313_1522:
	s_mov_b64 s[0:1], -1
                                        ; implicit-def: $vgpr8
.LBB313_1523:
	s_mov_b64 s[10:11], 0
.LBB313_1524:
	s_and_b64 vcc, exec, s[10:11]
	s_cbranch_vccz .LBB313_1540
; %bb.1525:
	s_cmp_lt_i32 s12, 27
	s_cbranch_scc1 .LBB313_1528
; %bb.1526:
	s_cmp_gt_i32 s12, 27
	s_cbranch_scc0 .LBB313_1529
; %bb.1527:
	global_load_dword v8, v[16:17], off
	s_mov_b64 s[8:9], 0
	s_branch .LBB313_1530
.LBB313_1528:
	s_mov_b64 s[8:9], -1
                                        ; implicit-def: $vgpr8
	s_branch .LBB313_1533
.LBB313_1529:
	s_mov_b64 s[8:9], -1
                                        ; implicit-def: $vgpr8
.LBB313_1530:
	s_andn2_b64 vcc, exec, s[8:9]
	s_cbranch_vccnz .LBB313_1532
; %bb.1531:
	global_load_ushort v8, v[16:17], off
.LBB313_1532:
	s_mov_b64 s[8:9], 0
.LBB313_1533:
	s_andn2_b64 vcc, exec, s[8:9]
	s_cbranch_vccnz .LBB313_1539
; %bb.1534:
	global_load_ubyte v1, v[16:17], off
	s_movk_i32 s8, 0x7f
	s_mov_b64 s[10:11], 0
	s_waitcnt vmcnt(0)
	v_cmp_lt_i16_e32 vcc, s8, v1
	s_and_saveexec_b64 s[8:9], vcc
	s_xor_b64 s[8:9], exec, s[8:9]
	s_cbranch_execz .LBB313_1551
; %bb.1535:
	s_movk_i32 s10, 0x80
	v_cmp_ne_u16_e32 vcc, s10, v1
	s_and_b64 s[10:11], vcc, exec
	s_andn2_saveexec_b64 s[8:9], s[8:9]
	s_cbranch_execnz .LBB313_1552
.LBB313_1536:
	s_or_b64 exec, exec, s[8:9]
	v_mov_b32_e32 v8, 0
	s_and_saveexec_b64 s[8:9], s[10:11]
	s_cbranch_execz .LBB313_1538
.LBB313_1537:
	v_lshlrev_b32_e32 v3, 24, v1
	v_and_b32_e32 v1, 0xffff, v1
	v_and_b32_e32 v5, 7, v1
	v_ffbh_u32_e32 v8, v5
	v_min_u32_e32 v8, 32, v8
	v_subrev_u32_e32 v9, 28, v8
	v_bfe_u32 v7, v1, 3, 4
	v_lshlrev_b32_e32 v1, v9, v1
	v_sub_u32_e32 v8, 29, v8
	v_and_b32_e32 v1, 7, v1
	v_cmp_eq_u32_e32 vcc, 0, v7
	v_and_b32_e32 v3, 0x80000000, v3
	s_nop 0
	v_cndmask_b32_e32 v7, v7, v8, vcc
	v_cndmask_b32_e32 v1, v5, v1, vcc
	v_mov_b32_e32 v5, 0x3b800000
	v_lshlrev_b32_e32 v1, 20, v1
	v_lshl_add_u32 v5, v7, 23, v5
	v_or3_b32 v1, v3, v5, v1
	v_cvt_i32_f32_e32 v8, v1
.LBB313_1538:
	s_or_b64 exec, exec, s[8:9]
.LBB313_1539:
	s_mov_b64 s[8:9], -1
.LBB313_1540:
	s_mov_b64 s[10:11], 0
.LBB313_1541:
	s_and_b64 vcc, exec, s[10:11]
	s_cbranch_vccz .LBB313_1572
; %bb.1542:
	s_cmp_gt_i32 s12, 22
	s_cbranch_scc0 .LBB313_1550
; %bb.1543:
	s_cmp_lt_i32 s12, 24
	s_cbranch_scc1 .LBB313_1553
; %bb.1544:
	s_cmp_gt_i32 s12, 24
	s_cbranch_scc0 .LBB313_1554
; %bb.1545:
	global_load_ubyte v1, v[16:17], off
	s_movk_i32 s6, 0x7f
	s_mov_b64 s[8:9], 0
	s_waitcnt vmcnt(0)
	v_cmp_lt_i16_e32 vcc, s6, v1
	s_and_saveexec_b64 s[6:7], vcc
	s_xor_b64 s[6:7], exec, s[6:7]
	s_cbranch_execz .LBB313_1566
; %bb.1546:
	s_movk_i32 s8, 0x80
	v_cmp_ne_u16_e32 vcc, s8, v1
	s_and_b64 s[8:9], vcc, exec
	s_andn2_saveexec_b64 s[6:7], s[6:7]
	s_cbranch_execnz .LBB313_1567
.LBB313_1547:
	s_or_b64 exec, exec, s[6:7]
	v_mov_b32_e32 v8, 0
	s_and_saveexec_b64 s[6:7], s[8:9]
	s_cbranch_execz .LBB313_1549
.LBB313_1548:
	v_lshlrev_b32_e32 v3, 24, v1
	v_and_b32_e32 v1, 0xffff, v1
	v_and_b32_e32 v5, 3, v1
	v_ffbh_u32_e32 v8, v5
	v_min_u32_e32 v8, 32, v8
	v_subrev_u32_e32 v9, 29, v8
	v_bfe_u32 v7, v1, 2, 5
	v_lshlrev_b32_e32 v1, v9, v1
	v_sub_u32_e32 v8, 30, v8
	v_and_b32_e32 v1, 3, v1
	v_cmp_eq_u32_e32 vcc, 0, v7
	v_and_b32_e32 v3, 0x80000000, v3
	s_nop 0
	v_cndmask_b32_e32 v7, v7, v8, vcc
	v_cndmask_b32_e32 v1, v5, v1, vcc
	v_mov_b32_e32 v5, 0x37800000
	v_lshlrev_b32_e32 v1, 21, v1
	v_lshl_add_u32 v5, v7, 23, v5
	v_or3_b32 v1, v3, v5, v1
	v_cvt_i32_f32_e32 v8, v1
.LBB313_1549:
	s_or_b64 exec, exec, s[6:7]
	s_mov_b64 s[6:7], 0
	s_branch .LBB313_1555
.LBB313_1550:
	s_mov_b64 s[6:7], -1
                                        ; implicit-def: $vgpr8
	s_branch .LBB313_1561
.LBB313_1551:
	s_andn2_saveexec_b64 s[8:9], s[8:9]
	s_cbranch_execz .LBB313_1536
.LBB313_1552:
	v_cmp_ne_u16_e32 vcc, 0, v1
	s_andn2_b64 s[10:11], s[10:11], exec
	s_and_b64 s[16:17], vcc, exec
	s_or_b64 s[10:11], s[10:11], s[16:17]
	s_or_b64 exec, exec, s[8:9]
	v_mov_b32_e32 v8, 0
	s_and_saveexec_b64 s[8:9], s[10:11]
	s_cbranch_execnz .LBB313_1537
	s_branch .LBB313_1538
.LBB313_1553:
	s_mov_b64 s[6:7], -1
                                        ; implicit-def: $vgpr8
	s_branch .LBB313_1558
.LBB313_1554:
	s_mov_b64 s[6:7], -1
                                        ; implicit-def: $vgpr8
.LBB313_1555:
	s_and_b64 vcc, exec, s[6:7]
	s_cbranch_vccz .LBB313_1557
; %bb.1556:
	global_load_ubyte v1, v[16:17], off
	s_mov_b32 s6, 0x7f800000
	s_waitcnt vmcnt(0)
	v_lshlrev_b32_e32 v1, 24, v1
	v_and_b32_e32 v3, 0x7f000000, v1
	v_ffbh_u32_e32 v5, v3
	v_min_u32_e32 v5, 32, v5
	v_sub_u32_e64 v5, v5, 4 clamp
	v_lshlrev_b32_e32 v8, v5, v3
	v_lshlrev_b32_e32 v5, 23, v5
	v_lshrrev_b32_e32 v8, 4, v8
	v_add_u32_e32 v7, 0x1000000, v3
	v_sub_u32_e32 v5, v8, v5
	v_ashrrev_i32_e32 v7, 8, v7
	v_add_u32_e32 v5, 0x3c000000, v5
	v_and_or_b32 v5, v7, s6, v5
	v_cmp_ne_u32_e32 vcc, 0, v3
	s_brev_b32 s6, 1
	s_nop 0
	v_cndmask_b32_e32 v3, 0, v5, vcc
	v_and_or_b32 v1, v1, s6, v3
	v_cvt_i32_f32_e32 v8, v1
.LBB313_1557:
	s_mov_b64 s[6:7], 0
.LBB313_1558:
	s_andn2_b64 vcc, exec, s[6:7]
	s_cbranch_vccnz .LBB313_1560
; %bb.1559:
	global_load_ubyte v1, v[16:17], off
	s_movk_i32 s6, 0x7f00
	s_brev_b32 s7, 16
	s_waitcnt vmcnt(0)
	v_lshlrev_b16_e32 v3, 8, v1
	v_lshlrev_b32_e32 v1, 25, v1
	v_lshrrev_b32_e32 v5, 4, v1
	v_and_or_b32 v7, v3, s6, 0.5
	v_or_b32_e32 v5, 0x70000000, v5
	v_add_f32_e32 v7, -0.5, v7
	v_mul_f32_e32 v5, 0x7800000, v5
	v_cmp_gt_u32_e32 vcc, s7, v1
	v_bfe_i32 v3, v3, 0, 16
	s_brev_b32 s6, 1
	v_cndmask_b32_e32 v1, v5, v7, vcc
	v_and_or_b32 v1, v3, s6, v1
	v_cvt_i32_f32_e32 v8, v1
.LBB313_1560:
	s_mov_b64 s[6:7], 0
	s_mov_b64 s[8:9], -1
.LBB313_1561:
	s_andn2_b64 vcc, exec, s[6:7]
	s_mov_b64 s[6:7], 0
	s_cbranch_vccnz .LBB313_1572
; %bb.1562:
	s_cmp_gt_i32 s12, 14
	s_cbranch_scc0 .LBB313_1565
; %bb.1563:
	s_cmp_eq_u32 s12, 15
	s_cbranch_scc0 .LBB313_1568
; %bb.1564:
	global_load_ushort v1, v[16:17], off
	s_mov_b64 s[0:1], 0
	s_mov_b64 s[8:9], -1
	s_waitcnt vmcnt(0)
	v_lshlrev_b32_e32 v1, 16, v1
	v_cvt_i32_f32_e32 v8, v1
	s_branch .LBB313_1569
.LBB313_1565:
	s_mov_b64 s[10:11], -1
                                        ; implicit-def: $vgpr8
	s_branch .LBB313_1570
.LBB313_1566:
	s_andn2_saveexec_b64 s[6:7], s[6:7]
	s_cbranch_execz .LBB313_1547
.LBB313_1567:
	v_cmp_ne_u16_e32 vcc, 0, v1
	s_andn2_b64 s[8:9], s[8:9], exec
	s_and_b64 s[10:11], vcc, exec
	s_or_b64 s[8:9], s[8:9], s[10:11]
	s_or_b64 exec, exec, s[6:7]
	v_mov_b32_e32 v8, 0
	s_and_saveexec_b64 s[6:7], s[8:9]
	s_cbranch_execnz .LBB313_1548
	s_branch .LBB313_1549
.LBB313_1568:
	s_mov_b64 s[0:1], -1
                                        ; implicit-def: $vgpr8
.LBB313_1569:
	s_mov_b64 s[10:11], 0
.LBB313_1570:
	s_and_b64 vcc, exec, s[10:11]
	s_cbranch_vccz .LBB313_1572
; %bb.1571:
	s_cmp_lg_u32 s12, 11
	s_mov_b64 s[6:7], -1
	s_cselect_b64 s[0:1], -1, 0
.LBB313_1572:
	s_and_b64 vcc, exec, s[0:1]
	s_cbranch_vccnz .LBB313_2105
; %bb.1573:
	s_andn2_b64 vcc, exec, s[6:7]
	s_cbranch_vccnz .LBB313_1575
.LBB313_1574:
	global_load_ubyte v1, v[16:17], off
	s_mov_b64 s[8:9], -1
	s_waitcnt vmcnt(0)
	v_cmp_ne_u16_e32 vcc, 0, v1
	s_nop 1
	v_cndmask_b32_e64 v8, 0, 1, vcc
.LBB313_1575:
	s_mov_b64 s[0:1], 0
.LBB313_1576:
	s_and_b64 vcc, exec, s[0:1]
	s_cbranch_vccz .LBB313_1625
; %bb.1577:
	s_and_b32 s6, 0xffff, s14
	s_cmp_lt_i32 s6, 5
	s_cbranch_scc1 .LBB313_1582
; %bb.1578:
	s_cmp_lt_i32 s6, 8
	s_cbranch_scc1 .LBB313_1583
; %bb.1579:
	;; [unrolled: 3-line block ×3, first 2 shown]
	s_cmp_gt_i32 s6, 9
	s_cbranch_scc0 .LBB313_1585
; %bb.1581:
	global_load_dwordx2 v[8:9], v[16:17], off
	s_mov_b64 s[0:1], 0
	s_waitcnt vmcnt(0)
	v_cvt_i32_f64_e32 v8, v[8:9]
	s_branch .LBB313_1586
.LBB313_1582:
	s_mov_b64 s[0:1], -1
                                        ; implicit-def: $vgpr8
	s_branch .LBB313_1604
.LBB313_1583:
	s_mov_b64 s[0:1], -1
                                        ; implicit-def: $vgpr8
	s_branch .LBB313_1592
.LBB313_1584:
	s_mov_b64 s[0:1], -1
                                        ; implicit-def: $vgpr8
	s_branch .LBB313_1589
.LBB313_1585:
	s_mov_b64 s[0:1], -1
                                        ; implicit-def: $vgpr8
.LBB313_1586:
	s_andn2_b64 vcc, exec, s[0:1]
	s_cbranch_vccnz .LBB313_1588
; %bb.1587:
	global_load_dword v1, v[16:17], off
	s_waitcnt vmcnt(0)
	v_cvt_i32_f32_e32 v8, v1
.LBB313_1588:
	s_mov_b64 s[0:1], 0
.LBB313_1589:
	s_andn2_b64 vcc, exec, s[0:1]
	s_cbranch_vccnz .LBB313_1591
; %bb.1590:
	global_load_dword v1, v[16:17], off
	s_waitcnt vmcnt(0)
	v_cvt_i16_f16_e32 v8, v1
.LBB313_1591:
	s_mov_b64 s[0:1], 0
.LBB313_1592:
	s_andn2_b64 vcc, exec, s[0:1]
	s_cbranch_vccnz .LBB313_1603
; %bb.1593:
	s_cmp_lt_i32 s6, 6
	s_cbranch_scc1 .LBB313_1596
; %bb.1594:
	s_cmp_gt_i32 s6, 6
	s_cbranch_scc0 .LBB313_1597
; %bb.1595:
	global_load_dwordx2 v[8:9], v[16:17], off
	s_mov_b64 s[0:1], 0
	s_waitcnt vmcnt(0)
	v_cvt_i32_f64_e32 v8, v[8:9]
	s_branch .LBB313_1598
.LBB313_1596:
	s_mov_b64 s[0:1], -1
                                        ; implicit-def: $vgpr8
	s_branch .LBB313_1601
.LBB313_1597:
	s_mov_b64 s[0:1], -1
                                        ; implicit-def: $vgpr8
.LBB313_1598:
	s_andn2_b64 vcc, exec, s[0:1]
	s_cbranch_vccnz .LBB313_1600
; %bb.1599:
	global_load_dword v1, v[16:17], off
	s_waitcnt vmcnt(0)
	v_cvt_i32_f32_e32 v8, v1
.LBB313_1600:
	s_mov_b64 s[0:1], 0
.LBB313_1601:
	s_andn2_b64 vcc, exec, s[0:1]
	s_cbranch_vccnz .LBB313_1603
; %bb.1602:
	global_load_ushort v1, v[16:17], off
	s_waitcnt vmcnt(0)
	v_cvt_i16_f16_e32 v8, v1
.LBB313_1603:
	s_mov_b64 s[0:1], 0
.LBB313_1604:
	s_andn2_b64 vcc, exec, s[0:1]
	s_cbranch_vccnz .LBB313_1624
; %bb.1605:
	s_cmp_lt_i32 s6, 2
	s_cbranch_scc1 .LBB313_1609
; %bb.1606:
	s_cmp_lt_i32 s6, 3
	s_cbranch_scc1 .LBB313_1610
; %bb.1607:
	s_cmp_gt_i32 s6, 3
	s_cbranch_scc0 .LBB313_1611
; %bb.1608:
	global_load_dwordx2 v[8:9], v[16:17], off
	s_mov_b64 s[0:1], 0
	s_branch .LBB313_1612
.LBB313_1609:
	s_mov_b64 s[0:1], -1
                                        ; implicit-def: $vgpr8
	s_branch .LBB313_1618
.LBB313_1610:
	s_mov_b64 s[0:1], -1
                                        ; implicit-def: $vgpr8
	s_branch .LBB313_1615
.LBB313_1611:
	s_mov_b64 s[0:1], -1
                                        ; implicit-def: $vgpr8
.LBB313_1612:
	s_andn2_b64 vcc, exec, s[0:1]
	s_cbranch_vccnz .LBB313_1614
; %bb.1613:
	global_load_dword v8, v[16:17], off
.LBB313_1614:
	s_mov_b64 s[0:1], 0
.LBB313_1615:
	s_andn2_b64 vcc, exec, s[0:1]
	s_cbranch_vccnz .LBB313_1617
; %bb.1616:
	global_load_ushort v8, v[16:17], off
.LBB313_1617:
	s_mov_b64 s[0:1], 0
.LBB313_1618:
	s_andn2_b64 vcc, exec, s[0:1]
	s_cbranch_vccnz .LBB313_1624
; %bb.1619:
	s_cmp_gt_i32 s6, 0
	s_cbranch_scc0 .LBB313_1621
; %bb.1620:
	global_load_sbyte v8, v[16:17], off
	s_mov_b64 s[0:1], 0
	s_branch .LBB313_1622
.LBB313_1621:
	s_mov_b64 s[0:1], -1
                                        ; implicit-def: $vgpr8
.LBB313_1622:
	s_andn2_b64 vcc, exec, s[0:1]
	s_cbranch_vccnz .LBB313_1624
; %bb.1623:
	global_load_ubyte v8, v[16:17], off
.LBB313_1624:
	s_mov_b64 s[8:9], -1
.LBB313_1625:
	s_andn2_b64 vcc, exec, s[8:9]
	s_cbranch_vccnz .LBB313_2059
; %bb.1626:
	s_load_dwordx2 s[6:7], s[34:35], 0x158
	v_mov_b32_e32 v7, 0
	v_lshl_add_u64 v[6:7], s[4:5], 0, v[6:7]
	s_waitcnt lgkmcnt(0)
	s_lshr_b32 s17, s6, 16
	s_and_b32 s16, s7, 0xff
	s_waitcnt vmcnt(0)
	v_max_i16_e32 v1, s6, v14
	v_min_i16_e32 v1, s17, v1
	s_cmp_lt_i32 s16, 11
	s_cbranch_scc1 .LBB313_1704
; %bb.1627:
	s_and_b32 s7, 0xffff, s16
	s_mov_b64 s[12:13], -1
	s_mov_b64 s[8:9], 0
	s_cmp_gt_i32 s7, 25
	s_mov_b64 s[10:11], 0
	s_mov_b64 s[0:1], 0
	s_cbranch_scc0 .LBB313_1660
; %bb.1628:
	s_cmp_gt_i32 s7, 28
	s_cbranch_scc0 .LBB313_1643
; %bb.1629:
	s_cmp_gt_i32 s7, 43
	;; [unrolled: 3-line block ×3, first 2 shown]
	s_cbranch_scc0 .LBB313_1633
; %bb.1631:
	s_mov_b64 s[0:1], -1
	s_mov_b64 s[12:13], 0
	s_cmp_eq_u32 s7, 46
	s_cbranch_scc0 .LBB313_1633
; %bb.1632:
	v_cvt_f32_i32_sdwa v3, sext(v1) dst_sel:DWORD dst_unused:UNUSED_PAD src0_sel:WORD_0
	s_movk_i32 s10, 0x7fff
	s_mov_b64 s[0:1], 0
	v_bfe_u32 v5, v3, 16, 1
	v_add3_u32 v3, v3, v5, s10
	v_lshrrev_b32_e32 v3, 16, v3
	global_store_dword v[6:7], v3, off
	s_mov_b64 s[10:11], -1
.LBB313_1633:
	s_and_b64 vcc, exec, s[12:13]
	s_cbranch_vccz .LBB313_1638
; %bb.1634:
	s_cmp_eq_u32 s7, 44
	s_mov_b64 s[0:1], -1
	s_cbranch_scc0 .LBB313_1638
; %bb.1635:
	v_cvt_f32_i32_sdwa v3, sext(v1) dst_sel:DWORD dst_unused:UNUSED_PAD src0_sel:WORD_0
	s_movk_i32 s0, 0xff
	v_mov_b32_e32 v9, 0xff
	v_bfe_u32 v5, v3, 23, 8
	v_cmp_ne_u32_e32 vcc, s0, v5
	s_and_saveexec_b64 s[10:11], vcc
; %bb.1636:
	s_mov_b32 s0, 0x3fffff
	v_lshrrev_b32_e32 v9, 23, v3
	v_and_b32_e32 v11, 0x400000, v3
	v_and_or_b32 v3, v3, s0, v5
	v_cmp_ne_u32_e32 vcc, 0, v11
	v_cmp_ne_u32_e64 s[0:1], 0, v3
	s_and_b64 s[0:1], vcc, s[0:1]
	s_nop 0
	v_cndmask_b32_e64 v3, 0, 1, s[0:1]
	v_add_u32_e32 v9, v9, v3
; %bb.1637:
	s_or_b64 exec, exec, s[10:11]
	s_mov_b64 s[0:1], 0
	s_mov_b64 s[10:11], -1
	global_store_byte v[6:7], v9, off
.LBB313_1638:
	s_mov_b64 s[12:13], 0
.LBB313_1639:
	s_and_b64 vcc, exec, s[12:13]
	s_cbranch_vccz .LBB313_1642
; %bb.1640:
	s_cmp_eq_u32 s7, 29
	s_mov_b64 s[0:1], -1
	s_cbranch_scc0 .LBB313_1642
; %bb.1641:
	v_bfe_i32 v14, v1, 0, 16
	v_ashrrev_i32_e32 v15, 31, v14
	global_store_dwordx2 v[6:7], v[14:15], off
	s_mov_b64 s[0:1], 0
	s_mov_b64 s[10:11], -1
.LBB313_1642:
	s_mov_b64 s[12:13], 0
.LBB313_1643:
	s_and_b64 vcc, exec, s[12:13]
	s_cbranch_vccz .LBB313_1659
; %bb.1644:
	s_cmp_lt_i32 s7, 27
	s_mov_b64 s[10:11], -1
	s_cbranch_scc1 .LBB313_1650
; %bb.1645:
	s_cmp_gt_i32 s7, 27
	s_cbranch_scc0 .LBB313_1647
; %bb.1646:
	v_bfe_i32 v3, v1, 0, 16
	s_mov_b64 s[10:11], 0
	global_store_dword v[6:7], v3, off
.LBB313_1647:
	s_andn2_b64 vcc, exec, s[10:11]
	s_cbranch_vccnz .LBB313_1649
; %bb.1648:
	global_store_short v[6:7], v1, off
.LBB313_1649:
	s_mov_b64 s[10:11], 0
.LBB313_1650:
	s_andn2_b64 vcc, exec, s[10:11]
	s_cbranch_vccnz .LBB313_1658
; %bb.1651:
	v_cvt_f32_i32_sdwa v3, sext(v1) dst_sel:DWORD dst_unused:UNUSED_PAD src0_sel:WORD_0
	s_mov_b32 s10, 0x43800000
	v_mov_b32_e32 v9, 0x80
	v_and_b32_e32 v5, 0x7fffffff, v3
	v_cmp_gt_u32_e32 vcc, s10, v5
	s_and_saveexec_b64 s[10:11], vcc
	s_cbranch_execz .LBB313_1657
; %bb.1652:
	s_mov_b32 s12, 0x3bffffff
	v_cmp_lt_u32_e32 vcc, s12, v5
	s_mov_b64 s[12:13], 0
                                        ; implicit-def: $vgpr5
	s_and_saveexec_b64 s[14:15], vcc
	s_xor_b64 s[14:15], exec, s[14:15]
	s_cbranch_execz .LBB313_2106
; %bb.1653:
	v_bfe_u32 v5, v3, 20, 1
	s_mov_b32 s18, 0x487ffff
	v_add3_u32 v5, v3, v5, s18
	s_mov_b64 s[12:13], exec
	v_lshrrev_b32_e32 v5, 20, v5
	s_andn2_saveexec_b64 s[14:15], s[14:15]
	s_cbranch_execnz .LBB313_2107
.LBB313_1654:
	s_or_b64 exec, exec, s[14:15]
	v_mov_b32_e32 v9, 0
	s_and_saveexec_b64 s[14:15], s[12:13]
.LBB313_1655:
	v_lshrrev_b32_e32 v3, 24, v3
	s_movk_i32 s12, 0x80
	v_and_or_b32 v9, v3, s12, v5
.LBB313_1656:
	s_or_b64 exec, exec, s[14:15]
.LBB313_1657:
	s_or_b64 exec, exec, s[10:11]
	global_store_byte v[6:7], v9, off
.LBB313_1658:
	s_mov_b64 s[10:11], -1
.LBB313_1659:
	s_mov_b64 s[12:13], 0
.LBB313_1660:
	s_and_b64 vcc, exec, s[12:13]
	s_cbranch_vccz .LBB313_1700
; %bb.1661:
	s_cmp_gt_i32 s7, 22
	s_mov_b64 s[8:9], -1
	s_cbranch_scc0 .LBB313_1693
; %bb.1662:
	s_cmp_lt_i32 s7, 24
	s_cbranch_scc1 .LBB313_1682
; %bb.1663:
	s_cmp_gt_i32 s7, 24
	s_cbranch_scc0 .LBB313_1671
; %bb.1664:
	v_cvt_f32_i32_sdwa v3, sext(v1) dst_sel:DWORD dst_unused:UNUSED_PAD src0_sel:WORD_0
	s_mov_b32 s8, 0x47800000
	v_mov_b32_e32 v9, 0x80
	v_and_b32_e32 v5, 0x7fffffff, v3
	v_cmp_gt_u32_e32 vcc, s8, v5
	s_and_saveexec_b64 s[8:9], vcc
	s_cbranch_execz .LBB313_1670
; %bb.1665:
	s_mov_b32 s10, 0x37ffffff
	v_cmp_lt_u32_e32 vcc, s10, v5
	s_mov_b64 s[10:11], 0
                                        ; implicit-def: $vgpr5
	s_and_saveexec_b64 s[12:13], vcc
	s_xor_b64 s[12:13], exec, s[12:13]
	s_cbranch_execz .LBB313_2109
; %bb.1666:
	v_bfe_u32 v5, v3, 21, 1
	s_mov_b32 s14, 0x88fffff
	v_add3_u32 v5, v3, v5, s14
	s_mov_b64 s[10:11], exec
	v_lshrrev_b32_e32 v5, 21, v5
	s_andn2_saveexec_b64 s[12:13], s[12:13]
	s_cbranch_execnz .LBB313_2110
.LBB313_1667:
	s_or_b64 exec, exec, s[12:13]
	v_mov_b32_e32 v9, 0
	s_and_saveexec_b64 s[12:13], s[10:11]
.LBB313_1668:
	v_lshrrev_b32_e32 v3, 24, v3
	s_movk_i32 s10, 0x80
	v_and_or_b32 v9, v3, s10, v5
.LBB313_1669:
	s_or_b64 exec, exec, s[12:13]
.LBB313_1670:
	s_or_b64 exec, exec, s[8:9]
	s_mov_b64 s[8:9], 0
	global_store_byte v[6:7], v9, off
.LBB313_1671:
	s_and_b64 vcc, exec, s[8:9]
	s_cbranch_vccz .LBB313_1681
; %bb.1672:
	v_cvt_f32_i32_sdwa v3, sext(v1) dst_sel:DWORD dst_unused:UNUSED_PAD src0_sel:WORD_0
	s_mov_b32 s8, 0x43f00000
                                        ; implicit-def: $vgpr5
	v_and_b32_e32 v9, 0x7fffffff, v3
	v_cmp_gt_u32_e32 vcc, s8, v9
	s_and_saveexec_b64 s[8:9], vcc
	s_xor_b64 s[8:9], exec, s[8:9]
	s_cbranch_execz .LBB313_1678
; %bb.1673:
	s_mov_b32 s10, 0x3c7fffff
	v_cmp_lt_u32_e32 vcc, s10, v9
                                        ; implicit-def: $vgpr5
	s_and_saveexec_b64 s[10:11], vcc
	s_xor_b64 s[10:11], exec, s[10:11]
; %bb.1674:
	v_bfe_u32 v5, v3, 20, 1
	s_mov_b32 s12, 0x407ffff
	v_add3_u32 v5, v3, v5, s12
	v_lshrrev_b32_e32 v9, 20, v5
	v_and_b32_e32 v5, 0xff00000, v5
	s_mov_b32 s12, 0x7f00000
	v_mov_b32_e32 v11, 0x7e
	v_cmp_ne_u32_e32 vcc, s12, v5
	s_nop 1
	v_cndmask_b32_e32 v5, v11, v9, vcc
; %bb.1675:
	s_andn2_saveexec_b64 s[10:11], s[10:11]
; %bb.1676:
	s_mov_b32 s12, 0x46800000
	v_add_f32_e64 v5, |v3|, s12
; %bb.1677:
	s_or_b64 exec, exec, s[10:11]
                                        ; implicit-def: $vgpr9
.LBB313_1678:
	s_andn2_saveexec_b64 s[8:9], s[8:9]
; %bb.1679:
	s_mov_b32 s10, 0x7f800000
	v_mov_b32_e32 v5, 0x7e
	v_mov_b32_e32 v11, 0x7f
	v_cmp_lt_u32_e32 vcc, s10, v9
	s_nop 1
	v_cndmask_b32_e32 v5, v5, v11, vcc
; %bb.1680:
	s_or_b64 exec, exec, s[8:9]
	v_lshrrev_b32_e32 v3, 24, v3
	s_movk_i32 s8, 0x80
	v_and_or_b32 v3, v3, s8, v5
	global_store_byte v[6:7], v3, off
.LBB313_1681:
	s_mov_b64 s[8:9], 0
.LBB313_1682:
	s_andn2_b64 vcc, exec, s[8:9]
	s_cbranch_vccnz .LBB313_1692
; %bb.1683:
	v_cvt_f32_i32_sdwa v3, sext(v1) dst_sel:DWORD dst_unused:UNUSED_PAD src0_sel:WORD_0
	s_mov_b32 s8, 0x47800000
                                        ; implicit-def: $vgpr5
	v_and_b32_e32 v9, 0x7fffffff, v3
	v_cmp_gt_u32_e32 vcc, s8, v9
	s_and_saveexec_b64 s[8:9], vcc
	s_xor_b64 s[8:9], exec, s[8:9]
	s_cbranch_execz .LBB313_1689
; %bb.1684:
	s_mov_b32 s10, 0x387fffff
	v_cmp_lt_u32_e32 vcc, s10, v9
                                        ; implicit-def: $vgpr5
	s_and_saveexec_b64 s[10:11], vcc
	s_xor_b64 s[10:11], exec, s[10:11]
; %bb.1685:
	v_bfe_u32 v5, v3, 21, 1
	s_mov_b32 s12, 0x80fffff
	v_add3_u32 v5, v3, v5, s12
	v_lshrrev_b32_e32 v5, 21, v5
; %bb.1686:
	s_andn2_saveexec_b64 s[10:11], s[10:11]
; %bb.1687:
	s_mov_b32 s12, 0x43000000
	v_add_f32_e64 v5, |v3|, s12
; %bb.1688:
	s_or_b64 exec, exec, s[10:11]
                                        ; implicit-def: $vgpr9
.LBB313_1689:
	s_andn2_saveexec_b64 s[8:9], s[8:9]
; %bb.1690:
	s_mov_b32 s10, 0x7f800000
	v_mov_b32_e32 v5, 0x7c
	v_mov_b32_e32 v11, 0x7f
	v_cmp_lt_u32_e32 vcc, s10, v9
	s_nop 1
	v_cndmask_b32_e32 v5, v5, v11, vcc
; %bb.1691:
	s_or_b64 exec, exec, s[8:9]
	v_lshrrev_b32_e32 v3, 24, v3
	s_movk_i32 s8, 0x80
	v_and_or_b32 v3, v3, s8, v5
	global_store_byte v[6:7], v3, off
.LBB313_1692:
	s_mov_b64 s[8:9], 0
	s_mov_b64 s[10:11], -1
.LBB313_1693:
	s_andn2_b64 vcc, exec, s[8:9]
	s_mov_b64 s[8:9], 0
	s_cbranch_vccnz .LBB313_1700
; %bb.1694:
	s_cmp_gt_i32 s7, 14
	s_mov_b64 s[12:13], -1
	s_cbranch_scc0 .LBB313_1698
; %bb.1695:
	s_cmp_eq_u32 s7, 15
	s_mov_b64 s[0:1], -1
	s_cbranch_scc0 .LBB313_1697
; %bb.1696:
	v_cvt_f32_i32_sdwa v3, sext(v1) dst_sel:DWORD dst_unused:UNUSED_PAD src0_sel:WORD_0
	s_movk_i32 s8, 0x7fff
	s_mov_b64 s[0:1], 0
	s_mov_b64 s[10:11], -1
	v_bfe_u32 v5, v3, 16, 1
	v_add3_u32 v3, v3, v5, s8
	global_store_short_d16_hi v[6:7], v3, off
.LBB313_1697:
	s_mov_b64 s[12:13], 0
.LBB313_1698:
	s_mov_b64 s[8:9], 0
	s_and_b64 vcc, exec, s[12:13]
	s_cbranch_vccz .LBB313_1700
; %bb.1699:
	s_cmp_lg_u32 s7, 11
	s_mov_b64 s[8:9], -1
	s_cselect_b64 s[0:1], -1, 0
.LBB313_1700:
	s_and_b64 vcc, exec, s[0:1]
	s_cbranch_vccnz .LBB313_2108
; %bb.1701:
	s_andn2_b64 vcc, exec, s[8:9]
	s_cbranch_vccnz .LBB313_1703
.LBB313_1702:
	v_cmp_ne_u16_e32 vcc, 0, v1
	s_mov_b64 s[10:11], -1
	s_nop 0
	v_cndmask_b32_e64 v3, 0, 1, vcc
	global_store_byte v[6:7], v3, off
.LBB313_1703:
	s_mov_b64 s[0:1], 0
	s_branch .LBB313_1705
.LBB313_1704:
	s_mov_b64 s[0:1], -1
	s_mov_b64 s[10:11], 0
.LBB313_1705:
	s_and_b64 vcc, exec, s[0:1]
	s_cbranch_vccz .LBB313_1744
; %bb.1706:
	s_and_b32 s7, 0xffff, s16
	s_cmp_lt_i32 s7, 5
	s_mov_b64 s[0:1], -1
	s_cbranch_scc1 .LBB313_1727
; %bb.1707:
	s_cmp_lt_i32 s7, 8
	s_cbranch_scc1 .LBB313_1717
; %bb.1708:
	s_cmp_lt_i32 s7, 9
	s_cbranch_scc1 .LBB313_1714
; %bb.1709:
	s_cmp_gt_i32 s7, 9
	s_cbranch_scc0 .LBB313_1711
; %bb.1710:
	v_bfe_i32 v3, v1, 0, 16
	v_mov_b32_e32 v16, 0
	v_cvt_f64_i32_e32 v[14:15], v3
	v_mov_b32_e32 v17, v16
	global_store_dwordx4 v[6:7], v[14:17], off
	s_mov_b64 s[0:1], 0
.LBB313_1711:
	s_andn2_b64 vcc, exec, s[0:1]
	s_cbranch_vccnz .LBB313_1713
; %bb.1712:
	v_cvt_f32_i32_sdwa v14, sext(v1) dst_sel:DWORD dst_unused:UNUSED_PAD src0_sel:WORD_0
	v_mov_b32_e32 v15, 0
	global_store_dwordx2 v[6:7], v[14:15], off
.LBB313_1713:
	s_mov_b64 s[0:1], 0
.LBB313_1714:
	s_andn2_b64 vcc, exec, s[0:1]
	s_cbranch_vccnz .LBB313_1716
; %bb.1715:
	v_cvt_f16_i16_e32 v3, v1
	global_store_dword v[6:7], v3, off
.LBB313_1716:
	s_mov_b64 s[0:1], 0
.LBB313_1717:
	s_andn2_b64 vcc, exec, s[0:1]
	s_cbranch_vccnz .LBB313_1726
; %bb.1718:
	s_cmp_lt_i32 s7, 6
	s_mov_b64 s[0:1], -1
	s_cbranch_scc1 .LBB313_1724
; %bb.1719:
	s_cmp_gt_i32 s7, 6
	s_cbranch_scc0 .LBB313_1721
; %bb.1720:
	v_bfe_i32 v3, v1, 0, 16
	v_cvt_f64_i32_e32 v[14:15], v3
	global_store_dwordx2 v[6:7], v[14:15], off
	s_mov_b64 s[0:1], 0
.LBB313_1721:
	s_andn2_b64 vcc, exec, s[0:1]
	s_cbranch_vccnz .LBB313_1723
; %bb.1722:
	v_cvt_f32_i32_sdwa v3, sext(v1) dst_sel:DWORD dst_unused:UNUSED_PAD src0_sel:WORD_0
	global_store_dword v[6:7], v3, off
.LBB313_1723:
	s_mov_b64 s[0:1], 0
.LBB313_1724:
	s_andn2_b64 vcc, exec, s[0:1]
	s_cbranch_vccnz .LBB313_1726
; %bb.1725:
	v_cvt_f16_i16_e32 v3, v1
	global_store_short v[6:7], v3, off
.LBB313_1726:
	s_mov_b64 s[0:1], 0
.LBB313_1727:
	s_andn2_b64 vcc, exec, s[0:1]
	s_cbranch_vccnz .LBB313_1743
; %bb.1728:
	s_cmp_lt_i32 s7, 2
	s_mov_b64 s[0:1], -1
	s_cbranch_scc1 .LBB313_1738
; %bb.1729:
	s_cmp_lt_i32 s7, 3
	s_cbranch_scc1 .LBB313_1735
; %bb.1730:
	s_cmp_gt_i32 s7, 3
	v_bfe_i32 v14, v1, 0, 16
	s_cbranch_scc0 .LBB313_1732
; %bb.1731:
	v_ashrrev_i32_e32 v15, 31, v14
	global_store_dwordx2 v[6:7], v[14:15], off
	s_mov_b64 s[0:1], 0
.LBB313_1732:
	s_andn2_b64 vcc, exec, s[0:1]
	s_cbranch_vccnz .LBB313_1734
; %bb.1733:
	global_store_dword v[6:7], v14, off
.LBB313_1734:
	s_mov_b64 s[0:1], 0
.LBB313_1735:
	s_andn2_b64 vcc, exec, s[0:1]
	s_cbranch_vccnz .LBB313_1737
; %bb.1736:
	global_store_short v[6:7], v1, off
.LBB313_1737:
	s_mov_b64 s[0:1], 0
.LBB313_1738:
	s_andn2_b64 vcc, exec, s[0:1]
	s_cbranch_vccnz .LBB313_1743
; %bb.1739:
	s_cmp_gt_i32 s7, 0
	s_mov_b64 s[0:1], -1
	s_cbranch_scc0 .LBB313_1741
; %bb.1740:
	global_store_byte v[6:7], v1, off
	s_mov_b64 s[0:1], 0
.LBB313_1741:
	s_andn2_b64 vcc, exec, s[0:1]
	s_cbranch_vccnz .LBB313_1743
; %bb.1742:
	global_store_byte v[6:7], v1, off
.LBB313_1743:
	s_mov_b64 s[10:11], -1
.LBB313_1744:
	s_andn2_b64 vcc, exec, s[10:11]
	s_cbranch_vccnz .LBB313_2059
; %bb.1745:
	v_max_i16_e32 v1, s6, v12
	v_mov_b32_e32 v5, 0
	s_and_b32 s18, 0xffff, s16
	v_min_i16_e32 v1, s17, v1
	s_cmp_lt_i32 s18, 11
	v_lshl_add_u64 v[4:5], s[4:5], 0, v[4:5]
	s_cbranch_scc1 .LBB313_1823
; %bb.1746:
	s_mov_b64 s[12:13], -1
	s_mov_b64 s[8:9], 0
	s_cmp_gt_i32 s18, 25
	s_mov_b64 s[10:11], 0
	s_mov_b64 s[0:1], 0
	s_cbranch_scc0 .LBB313_1779
; %bb.1747:
	s_cmp_gt_i32 s18, 28
	s_cbranch_scc0 .LBB313_1762
; %bb.1748:
	s_cmp_gt_i32 s18, 43
	;; [unrolled: 3-line block ×3, first 2 shown]
	s_cbranch_scc0 .LBB313_1752
; %bb.1750:
	s_mov_b64 s[0:1], -1
	s_mov_b64 s[12:13], 0
	s_cmp_eq_u32 s18, 46
	s_cbranch_scc0 .LBB313_1752
; %bb.1751:
	v_cvt_f32_i32_sdwa v3, sext(v1) dst_sel:DWORD dst_unused:UNUSED_PAD src0_sel:WORD_0
	s_movk_i32 s7, 0x7fff
	s_mov_b64 s[0:1], 0
	s_mov_b64 s[10:11], -1
	v_bfe_u32 v6, v3, 16, 1
	v_add3_u32 v3, v3, v6, s7
	v_lshrrev_b32_e32 v3, 16, v3
	global_store_dword v[4:5], v3, off
.LBB313_1752:
	s_and_b64 vcc, exec, s[12:13]
	s_cbranch_vccz .LBB313_1757
; %bb.1753:
	s_cmp_eq_u32 s18, 44
	s_mov_b64 s[0:1], -1
	s_cbranch_scc0 .LBB313_1757
; %bb.1754:
	v_cvt_f32_i32_sdwa v3, sext(v1) dst_sel:DWORD dst_unused:UNUSED_PAD src0_sel:WORD_0
	s_movk_i32 s0, 0xff
	v_mov_b32_e32 v7, 0xff
	v_bfe_u32 v6, v3, 23, 8
	v_cmp_ne_u32_e32 vcc, s0, v6
	s_and_saveexec_b64 s[10:11], vcc
; %bb.1755:
	s_mov_b32 s0, 0x3fffff
	v_lshrrev_b32_e32 v7, 23, v3
	v_and_b32_e32 v9, 0x400000, v3
	v_and_or_b32 v3, v3, s0, v6
	v_cmp_ne_u32_e32 vcc, 0, v9
	v_cmp_ne_u32_e64 s[0:1], 0, v3
	s_and_b64 s[0:1], vcc, s[0:1]
	s_nop 0
	v_cndmask_b32_e64 v3, 0, 1, s[0:1]
	v_add_u32_e32 v7, v7, v3
; %bb.1756:
	s_or_b64 exec, exec, s[10:11]
	s_mov_b64 s[0:1], 0
	s_mov_b64 s[10:11], -1
	global_store_byte v[4:5], v7, off
.LBB313_1757:
	s_mov_b64 s[12:13], 0
.LBB313_1758:
	s_and_b64 vcc, exec, s[12:13]
	s_cbranch_vccz .LBB313_1761
; %bb.1759:
	s_cmp_eq_u32 s18, 29
	s_mov_b64 s[0:1], -1
	s_cbranch_scc0 .LBB313_1761
; %bb.1760:
	v_bfe_i32 v6, v1, 0, 16
	v_ashrrev_i32_e32 v7, 31, v6
	global_store_dwordx2 v[4:5], v[6:7], off
	s_mov_b64 s[0:1], 0
	s_mov_b64 s[10:11], -1
.LBB313_1761:
	s_mov_b64 s[12:13], 0
.LBB313_1762:
	s_and_b64 vcc, exec, s[12:13]
	s_cbranch_vccz .LBB313_1778
; %bb.1763:
	s_cmp_lt_i32 s18, 27
	s_mov_b64 s[10:11], -1
	s_cbranch_scc1 .LBB313_1769
; %bb.1764:
	s_cmp_gt_i32 s18, 27
	s_cbranch_scc0 .LBB313_1766
; %bb.1765:
	v_bfe_i32 v3, v1, 0, 16
	s_mov_b64 s[10:11], 0
	global_store_dword v[4:5], v3, off
.LBB313_1766:
	s_andn2_b64 vcc, exec, s[10:11]
	s_cbranch_vccnz .LBB313_1768
; %bb.1767:
	global_store_short v[4:5], v1, off
.LBB313_1768:
	s_mov_b64 s[10:11], 0
.LBB313_1769:
	s_andn2_b64 vcc, exec, s[10:11]
	s_cbranch_vccnz .LBB313_1777
; %bb.1770:
	v_cvt_f32_i32_sdwa v3, sext(v1) dst_sel:DWORD dst_unused:UNUSED_PAD src0_sel:WORD_0
	s_mov_b32 s7, 0x43800000
	v_mov_b32_e32 v7, 0x80
	v_and_b32_e32 v6, 0x7fffffff, v3
	v_cmp_gt_u32_e32 vcc, s7, v6
	s_and_saveexec_b64 s[10:11], vcc
	s_cbranch_execz .LBB313_1776
; %bb.1771:
	s_mov_b32 s7, 0x3bffffff
	v_cmp_lt_u32_e32 vcc, s7, v6
	s_mov_b64 s[12:13], 0
                                        ; implicit-def: $vgpr6
	s_and_saveexec_b64 s[14:15], vcc
	s_xor_b64 s[14:15], exec, s[14:15]
	s_cbranch_execz .LBB313_2111
; %bb.1772:
	v_bfe_u32 v6, v3, 20, 1
	s_mov_b32 s7, 0x487ffff
	v_add3_u32 v6, v3, v6, s7
	s_mov_b64 s[12:13], exec
	v_lshrrev_b32_e32 v6, 20, v6
	s_andn2_saveexec_b64 s[14:15], s[14:15]
	s_cbranch_execnz .LBB313_2112
.LBB313_1773:
	s_or_b64 exec, exec, s[14:15]
	v_mov_b32_e32 v7, 0
	s_and_saveexec_b64 s[14:15], s[12:13]
.LBB313_1774:
	v_lshrrev_b32_e32 v3, 24, v3
	s_movk_i32 s7, 0x80
	v_and_or_b32 v7, v3, s7, v6
.LBB313_1775:
	s_or_b64 exec, exec, s[14:15]
.LBB313_1776:
	s_or_b64 exec, exec, s[10:11]
	global_store_byte v[4:5], v7, off
.LBB313_1777:
	s_mov_b64 s[10:11], -1
.LBB313_1778:
	s_mov_b64 s[12:13], 0
.LBB313_1779:
	s_and_b64 vcc, exec, s[12:13]
	s_cbranch_vccz .LBB313_1819
; %bb.1780:
	s_cmp_gt_i32 s18, 22
	s_mov_b64 s[8:9], -1
	s_cbranch_scc0 .LBB313_1812
; %bb.1781:
	s_cmp_lt_i32 s18, 24
	s_cbranch_scc1 .LBB313_1801
; %bb.1782:
	s_cmp_gt_i32 s18, 24
	s_cbranch_scc0 .LBB313_1790
; %bb.1783:
	v_cvt_f32_i32_sdwa v3, sext(v1) dst_sel:DWORD dst_unused:UNUSED_PAD src0_sel:WORD_0
	s_mov_b32 s7, 0x47800000
	v_mov_b32_e32 v7, 0x80
	v_and_b32_e32 v6, 0x7fffffff, v3
	v_cmp_gt_u32_e32 vcc, s7, v6
	s_and_saveexec_b64 s[8:9], vcc
	s_cbranch_execz .LBB313_1789
; %bb.1784:
	s_mov_b32 s7, 0x37ffffff
	v_cmp_lt_u32_e32 vcc, s7, v6
	s_mov_b64 s[10:11], 0
                                        ; implicit-def: $vgpr6
	s_and_saveexec_b64 s[12:13], vcc
	s_xor_b64 s[12:13], exec, s[12:13]
	s_cbranch_execz .LBB313_2114
; %bb.1785:
	v_bfe_u32 v6, v3, 21, 1
	s_mov_b32 s7, 0x88fffff
	v_add3_u32 v6, v3, v6, s7
	s_mov_b64 s[10:11], exec
	v_lshrrev_b32_e32 v6, 21, v6
	s_andn2_saveexec_b64 s[12:13], s[12:13]
	s_cbranch_execnz .LBB313_2115
.LBB313_1786:
	s_or_b64 exec, exec, s[12:13]
	v_mov_b32_e32 v7, 0
	s_and_saveexec_b64 s[12:13], s[10:11]
.LBB313_1787:
	v_lshrrev_b32_e32 v3, 24, v3
	s_movk_i32 s7, 0x80
	v_and_or_b32 v7, v3, s7, v6
.LBB313_1788:
	s_or_b64 exec, exec, s[12:13]
.LBB313_1789:
	s_or_b64 exec, exec, s[8:9]
	s_mov_b64 s[8:9], 0
	global_store_byte v[4:5], v7, off
.LBB313_1790:
	s_and_b64 vcc, exec, s[8:9]
	s_cbranch_vccz .LBB313_1800
; %bb.1791:
	v_cvt_f32_i32_sdwa v3, sext(v1) dst_sel:DWORD dst_unused:UNUSED_PAD src0_sel:WORD_0
	s_mov_b32 s7, 0x43f00000
                                        ; implicit-def: $vgpr6
	v_and_b32_e32 v7, 0x7fffffff, v3
	v_cmp_gt_u32_e32 vcc, s7, v7
	s_and_saveexec_b64 s[8:9], vcc
	s_xor_b64 s[8:9], exec, s[8:9]
	s_cbranch_execz .LBB313_1797
; %bb.1792:
	s_mov_b32 s7, 0x3c7fffff
	v_cmp_lt_u32_e32 vcc, s7, v7
                                        ; implicit-def: $vgpr6
	s_and_saveexec_b64 s[10:11], vcc
	s_xor_b64 s[10:11], exec, s[10:11]
; %bb.1793:
	v_bfe_u32 v6, v3, 20, 1
	s_mov_b32 s7, 0x407ffff
	v_add3_u32 v6, v3, v6, s7
	v_lshrrev_b32_e32 v7, 20, v6
	v_and_b32_e32 v6, 0xff00000, v6
	s_mov_b32 s7, 0x7f00000
	v_mov_b32_e32 v9, 0x7e
	v_cmp_ne_u32_e32 vcc, s7, v6
	s_nop 1
	v_cndmask_b32_e32 v6, v9, v7, vcc
; %bb.1794:
	s_andn2_saveexec_b64 s[10:11], s[10:11]
; %bb.1795:
	s_mov_b32 s7, 0x46800000
	v_add_f32_e64 v6, |v3|, s7
; %bb.1796:
	s_or_b64 exec, exec, s[10:11]
                                        ; implicit-def: $vgpr7
.LBB313_1797:
	s_andn2_saveexec_b64 s[8:9], s[8:9]
; %bb.1798:
	s_mov_b32 s7, 0x7f800000
	v_mov_b32_e32 v6, 0x7e
	v_mov_b32_e32 v9, 0x7f
	v_cmp_lt_u32_e32 vcc, s7, v7
	s_nop 1
	v_cndmask_b32_e32 v6, v6, v9, vcc
; %bb.1799:
	s_or_b64 exec, exec, s[8:9]
	v_lshrrev_b32_e32 v3, 24, v3
	s_movk_i32 s7, 0x80
	v_and_or_b32 v3, v3, s7, v6
	global_store_byte v[4:5], v3, off
.LBB313_1800:
	s_mov_b64 s[8:9], 0
.LBB313_1801:
	s_andn2_b64 vcc, exec, s[8:9]
	s_cbranch_vccnz .LBB313_1811
; %bb.1802:
	v_cvt_f32_i32_sdwa v3, sext(v1) dst_sel:DWORD dst_unused:UNUSED_PAD src0_sel:WORD_0
	s_mov_b32 s7, 0x47800000
                                        ; implicit-def: $vgpr6
	v_and_b32_e32 v7, 0x7fffffff, v3
	v_cmp_gt_u32_e32 vcc, s7, v7
	s_and_saveexec_b64 s[8:9], vcc
	s_xor_b64 s[8:9], exec, s[8:9]
	s_cbranch_execz .LBB313_1808
; %bb.1803:
	s_mov_b32 s7, 0x387fffff
	v_cmp_lt_u32_e32 vcc, s7, v7
                                        ; implicit-def: $vgpr6
	s_and_saveexec_b64 s[10:11], vcc
	s_xor_b64 s[10:11], exec, s[10:11]
; %bb.1804:
	v_bfe_u32 v6, v3, 21, 1
	s_mov_b32 s7, 0x80fffff
	v_add3_u32 v6, v3, v6, s7
	v_lshrrev_b32_e32 v6, 21, v6
; %bb.1805:
	s_andn2_saveexec_b64 s[10:11], s[10:11]
; %bb.1806:
	s_mov_b32 s7, 0x43000000
	v_add_f32_e64 v6, |v3|, s7
; %bb.1807:
	s_or_b64 exec, exec, s[10:11]
                                        ; implicit-def: $vgpr7
.LBB313_1808:
	s_andn2_saveexec_b64 s[8:9], s[8:9]
; %bb.1809:
	s_mov_b32 s7, 0x7f800000
	v_mov_b32_e32 v6, 0x7c
	v_mov_b32_e32 v9, 0x7f
	v_cmp_lt_u32_e32 vcc, s7, v7
	s_nop 1
	v_cndmask_b32_e32 v6, v6, v9, vcc
; %bb.1810:
	s_or_b64 exec, exec, s[8:9]
	v_lshrrev_b32_e32 v3, 24, v3
	s_movk_i32 s7, 0x80
	v_and_or_b32 v3, v3, s7, v6
	global_store_byte v[4:5], v3, off
.LBB313_1811:
	s_mov_b64 s[8:9], 0
	s_mov_b64 s[10:11], -1
.LBB313_1812:
	s_andn2_b64 vcc, exec, s[8:9]
	s_mov_b64 s[8:9], 0
	s_cbranch_vccnz .LBB313_1819
; %bb.1813:
	s_cmp_gt_i32 s18, 14
	s_mov_b64 s[12:13], -1
	s_cbranch_scc0 .LBB313_1817
; %bb.1814:
	s_cmp_eq_u32 s18, 15
	s_mov_b64 s[0:1], -1
	s_cbranch_scc0 .LBB313_1816
; %bb.1815:
	v_cvt_f32_i32_sdwa v3, sext(v1) dst_sel:DWORD dst_unused:UNUSED_PAD src0_sel:WORD_0
	s_movk_i32 s7, 0x7fff
	s_mov_b64 s[0:1], 0
	s_mov_b64 s[10:11], -1
	v_bfe_u32 v6, v3, 16, 1
	v_add3_u32 v3, v3, v6, s7
	global_store_short_d16_hi v[4:5], v3, off
.LBB313_1816:
	s_mov_b64 s[12:13], 0
.LBB313_1817:
	s_and_b64 vcc, exec, s[12:13]
	s_cbranch_vccz .LBB313_1819
; %bb.1818:
	s_cmp_lg_u32 s18, 11
	s_mov_b64 s[8:9], -1
	s_cselect_b64 s[0:1], -1, 0
.LBB313_1819:
	s_and_b64 vcc, exec, s[0:1]
	s_cbranch_vccnz .LBB313_2113
; %bb.1820:
	s_andn2_b64 vcc, exec, s[8:9]
	s_cbranch_vccnz .LBB313_1822
.LBB313_1821:
	v_cmp_ne_u16_e32 vcc, 0, v1
	s_mov_b64 s[10:11], -1
	s_nop 0
	v_cndmask_b32_e64 v3, 0, 1, vcc
	global_store_byte v[4:5], v3, off
.LBB313_1822:
	s_mov_b64 s[0:1], 0
	s_branch .LBB313_1824
.LBB313_1823:
	s_mov_b64 s[0:1], -1
	s_mov_b64 s[10:11], 0
.LBB313_1824:
	s_and_b64 vcc, exec, s[0:1]
	s_cbranch_vccz .LBB313_1863
; %bb.1825:
	s_cmp_lt_i32 s18, 5
	s_mov_b64 s[0:1], -1
	s_cbranch_scc1 .LBB313_1846
; %bb.1826:
	s_cmp_lt_i32 s18, 8
	s_cbranch_scc1 .LBB313_1836
; %bb.1827:
	s_cmp_lt_i32 s18, 9
	s_cbranch_scc1 .LBB313_1833
; %bb.1828:
	s_cmp_gt_i32 s18, 9
	s_cbranch_scc0 .LBB313_1830
; %bb.1829:
	v_bfe_i32 v3, v1, 0, 16
	v_mov_b32_e32 v14, 0
	v_cvt_f64_i32_e32 v[12:13], v3
	v_mov_b32_e32 v15, v14
	global_store_dwordx4 v[4:5], v[12:15], off
	s_mov_b64 s[0:1], 0
.LBB313_1830:
	s_andn2_b64 vcc, exec, s[0:1]
	s_cbranch_vccnz .LBB313_1832
; %bb.1831:
	v_cvt_f32_i32_sdwa v6, sext(v1) dst_sel:DWORD dst_unused:UNUSED_PAD src0_sel:WORD_0
	v_mov_b32_e32 v7, 0
	global_store_dwordx2 v[4:5], v[6:7], off
.LBB313_1832:
	s_mov_b64 s[0:1], 0
.LBB313_1833:
	s_andn2_b64 vcc, exec, s[0:1]
	s_cbranch_vccnz .LBB313_1835
; %bb.1834:
	v_cvt_f16_i16_e32 v3, v1
	global_store_dword v[4:5], v3, off
.LBB313_1835:
	s_mov_b64 s[0:1], 0
.LBB313_1836:
	s_andn2_b64 vcc, exec, s[0:1]
	s_cbranch_vccnz .LBB313_1845
; %bb.1837:
	s_cmp_lt_i32 s18, 6
	s_mov_b64 s[0:1], -1
	s_cbranch_scc1 .LBB313_1843
; %bb.1838:
	s_cmp_gt_i32 s18, 6
	s_cbranch_scc0 .LBB313_1840
; %bb.1839:
	v_bfe_i32 v3, v1, 0, 16
	v_cvt_f64_i32_e32 v[6:7], v3
	global_store_dwordx2 v[4:5], v[6:7], off
	s_mov_b64 s[0:1], 0
.LBB313_1840:
	s_andn2_b64 vcc, exec, s[0:1]
	s_cbranch_vccnz .LBB313_1842
; %bb.1841:
	v_cvt_f32_i32_sdwa v3, sext(v1) dst_sel:DWORD dst_unused:UNUSED_PAD src0_sel:WORD_0
	global_store_dword v[4:5], v3, off
.LBB313_1842:
	s_mov_b64 s[0:1], 0
.LBB313_1843:
	s_andn2_b64 vcc, exec, s[0:1]
	s_cbranch_vccnz .LBB313_1845
; %bb.1844:
	v_cvt_f16_i16_e32 v3, v1
	global_store_short v[4:5], v3, off
.LBB313_1845:
	s_mov_b64 s[0:1], 0
.LBB313_1846:
	s_andn2_b64 vcc, exec, s[0:1]
	s_cbranch_vccnz .LBB313_1862
; %bb.1847:
	s_cmp_lt_i32 s18, 2
	s_mov_b64 s[0:1], -1
	s_cbranch_scc1 .LBB313_1857
; %bb.1848:
	s_cmp_lt_i32 s18, 3
	s_cbranch_scc1 .LBB313_1854
; %bb.1849:
	s_cmp_gt_i32 s18, 3
	s_cbranch_scc0 .LBB313_1851
; %bb.1850:
	v_bfe_i32 v6, v1, 0, 16
	v_ashrrev_i32_e32 v7, 31, v6
	global_store_dwordx2 v[4:5], v[6:7], off
	s_mov_b64 s[0:1], 0
.LBB313_1851:
	s_andn2_b64 vcc, exec, s[0:1]
	s_cbranch_vccnz .LBB313_1853
; %bb.1852:
	v_bfe_i32 v3, v1, 0, 16
	global_store_dword v[4:5], v3, off
.LBB313_1853:
	s_mov_b64 s[0:1], 0
.LBB313_1854:
	s_andn2_b64 vcc, exec, s[0:1]
	s_cbranch_vccnz .LBB313_1856
; %bb.1855:
	global_store_short v[4:5], v1, off
.LBB313_1856:
	s_mov_b64 s[0:1], 0
.LBB313_1857:
	s_andn2_b64 vcc, exec, s[0:1]
	s_cbranch_vccnz .LBB313_1862
; %bb.1858:
	s_cmp_gt_i32 s18, 0
	s_mov_b64 s[0:1], -1
	s_cbranch_scc0 .LBB313_1860
; %bb.1859:
	global_store_byte v[4:5], v1, off
	s_mov_b64 s[0:1], 0
.LBB313_1860:
	s_andn2_b64 vcc, exec, s[0:1]
	s_cbranch_vccnz .LBB313_1862
; %bb.1861:
	global_store_byte v[4:5], v1, off
.LBB313_1862:
	s_mov_b64 s[10:11], -1
.LBB313_1863:
	s_andn2_b64 vcc, exec, s[10:11]
	s_cbranch_vccnz .LBB313_2059
; %bb.1864:
	v_max_i16_e32 v1, s6, v10
	v_mov_b32_e32 v3, 0
	v_min_i16_e32 v1, s17, v1
	s_cmp_lt_i32 s18, 11
	v_lshl_add_u64 v[2:3], s[4:5], 0, v[2:3]
	s_cbranch_scc1 .LBB313_1942
; %bb.1865:
	s_mov_b64 s[12:13], -1
	s_mov_b64 s[8:9], 0
	s_cmp_gt_i32 s18, 25
	s_mov_b64 s[10:11], 0
	s_mov_b64 s[0:1], 0
	s_cbranch_scc0 .LBB313_1898
; %bb.1866:
	s_cmp_gt_i32 s18, 28
	s_cbranch_scc0 .LBB313_1881
; %bb.1867:
	s_cmp_gt_i32 s18, 43
	s_cbranch_scc0 .LBB313_1877
; %bb.1868:
	s_cmp_gt_i32 s18, 45
	s_cbranch_scc0 .LBB313_1871
; %bb.1869:
	s_mov_b64 s[0:1], -1
	s_mov_b64 s[12:13], 0
	s_cmp_eq_u32 s18, 46
	s_cbranch_scc0 .LBB313_1871
; %bb.1870:
	v_cvt_f32_i32_sdwa v4, sext(v1) dst_sel:DWORD dst_unused:UNUSED_PAD src0_sel:WORD_0
	s_movk_i32 s7, 0x7fff
	s_mov_b64 s[0:1], 0
	s_mov_b64 s[10:11], -1
	v_bfe_u32 v5, v4, 16, 1
	v_add3_u32 v4, v4, v5, s7
	v_lshrrev_b32_e32 v4, 16, v4
	global_store_dword v[2:3], v4, off
.LBB313_1871:
	s_and_b64 vcc, exec, s[12:13]
	s_cbranch_vccz .LBB313_1876
; %bb.1872:
	s_cmp_eq_u32 s18, 44
	s_mov_b64 s[0:1], -1
	s_cbranch_scc0 .LBB313_1876
; %bb.1873:
	v_cvt_f32_i32_sdwa v4, sext(v1) dst_sel:DWORD dst_unused:UNUSED_PAD src0_sel:WORD_0
	s_movk_i32 s0, 0xff
	v_mov_b32_e32 v6, 0xff
	v_bfe_u32 v5, v4, 23, 8
	v_cmp_ne_u32_e32 vcc, s0, v5
	s_and_saveexec_b64 s[10:11], vcc
; %bb.1874:
	s_mov_b32 s0, 0x3fffff
	v_lshrrev_b32_e32 v6, 23, v4
	v_and_b32_e32 v7, 0x400000, v4
	v_and_or_b32 v4, v4, s0, v5
	v_cmp_ne_u32_e32 vcc, 0, v7
	v_cmp_ne_u32_e64 s[0:1], 0, v4
	s_and_b64 s[0:1], vcc, s[0:1]
	s_nop 0
	v_cndmask_b32_e64 v4, 0, 1, s[0:1]
	v_add_u32_e32 v6, v6, v4
; %bb.1875:
	s_or_b64 exec, exec, s[10:11]
	s_mov_b64 s[0:1], 0
	s_mov_b64 s[10:11], -1
	global_store_byte v[2:3], v6, off
.LBB313_1876:
	s_mov_b64 s[12:13], 0
.LBB313_1877:
	s_and_b64 vcc, exec, s[12:13]
	s_cbranch_vccz .LBB313_1880
; %bb.1878:
	s_cmp_eq_u32 s18, 29
	s_mov_b64 s[0:1], -1
	s_cbranch_scc0 .LBB313_1880
; %bb.1879:
	v_bfe_i32 v4, v1, 0, 16
	v_ashrrev_i32_e32 v5, 31, v4
	global_store_dwordx2 v[2:3], v[4:5], off
	s_mov_b64 s[0:1], 0
	s_mov_b64 s[10:11], -1
.LBB313_1880:
	s_mov_b64 s[12:13], 0
.LBB313_1881:
	s_and_b64 vcc, exec, s[12:13]
	s_cbranch_vccz .LBB313_1897
; %bb.1882:
	s_cmp_lt_i32 s18, 27
	s_mov_b64 s[10:11], -1
	s_cbranch_scc1 .LBB313_1888
; %bb.1883:
	s_cmp_gt_i32 s18, 27
	s_cbranch_scc0 .LBB313_1885
; %bb.1884:
	v_bfe_i32 v4, v1, 0, 16
	s_mov_b64 s[10:11], 0
	global_store_dword v[2:3], v4, off
.LBB313_1885:
	s_andn2_b64 vcc, exec, s[10:11]
	s_cbranch_vccnz .LBB313_1887
; %bb.1886:
	global_store_short v[2:3], v1, off
.LBB313_1887:
	s_mov_b64 s[10:11], 0
.LBB313_1888:
	s_andn2_b64 vcc, exec, s[10:11]
	s_cbranch_vccnz .LBB313_1896
; %bb.1889:
	v_cvt_f32_i32_sdwa v4, sext(v1) dst_sel:DWORD dst_unused:UNUSED_PAD src0_sel:WORD_0
	s_mov_b32 s7, 0x43800000
	v_mov_b32_e32 v6, 0x80
	v_and_b32_e32 v5, 0x7fffffff, v4
	v_cmp_gt_u32_e32 vcc, s7, v5
	s_and_saveexec_b64 s[10:11], vcc
	s_cbranch_execz .LBB313_1895
; %bb.1890:
	s_mov_b32 s7, 0x3bffffff
	v_cmp_lt_u32_e32 vcc, s7, v5
	s_mov_b64 s[12:13], 0
                                        ; implicit-def: $vgpr5
	s_and_saveexec_b64 s[14:15], vcc
	s_xor_b64 s[14:15], exec, s[14:15]
	s_cbranch_execz .LBB313_2116
; %bb.1891:
	v_bfe_u32 v5, v4, 20, 1
	s_mov_b32 s7, 0x487ffff
	v_add3_u32 v5, v4, v5, s7
	s_mov_b64 s[12:13], exec
	v_lshrrev_b32_e32 v5, 20, v5
	s_andn2_saveexec_b64 s[14:15], s[14:15]
	s_cbranch_execnz .LBB313_2117
.LBB313_1892:
	s_or_b64 exec, exec, s[14:15]
	v_mov_b32_e32 v6, 0
	s_and_saveexec_b64 s[14:15], s[12:13]
.LBB313_1893:
	v_lshrrev_b32_e32 v4, 24, v4
	s_movk_i32 s7, 0x80
	v_and_or_b32 v6, v4, s7, v5
.LBB313_1894:
	s_or_b64 exec, exec, s[14:15]
.LBB313_1895:
	s_or_b64 exec, exec, s[10:11]
	global_store_byte v[2:3], v6, off
.LBB313_1896:
	s_mov_b64 s[10:11], -1
.LBB313_1897:
	s_mov_b64 s[12:13], 0
.LBB313_1898:
	s_and_b64 vcc, exec, s[12:13]
	s_cbranch_vccz .LBB313_1938
; %bb.1899:
	s_cmp_gt_i32 s18, 22
	s_mov_b64 s[8:9], -1
	s_cbranch_scc0 .LBB313_1931
; %bb.1900:
	s_cmp_lt_i32 s18, 24
	s_cbranch_scc1 .LBB313_1920
; %bb.1901:
	s_cmp_gt_i32 s18, 24
	s_cbranch_scc0 .LBB313_1909
; %bb.1902:
	v_cvt_f32_i32_sdwa v4, sext(v1) dst_sel:DWORD dst_unused:UNUSED_PAD src0_sel:WORD_0
	s_mov_b32 s7, 0x47800000
	v_mov_b32_e32 v6, 0x80
	v_and_b32_e32 v5, 0x7fffffff, v4
	v_cmp_gt_u32_e32 vcc, s7, v5
	s_and_saveexec_b64 s[8:9], vcc
	s_cbranch_execz .LBB313_1908
; %bb.1903:
	s_mov_b32 s7, 0x37ffffff
	v_cmp_lt_u32_e32 vcc, s7, v5
	s_mov_b64 s[10:11], 0
                                        ; implicit-def: $vgpr5
	s_and_saveexec_b64 s[12:13], vcc
	s_xor_b64 s[12:13], exec, s[12:13]
	s_cbranch_execz .LBB313_2119
; %bb.1904:
	v_bfe_u32 v5, v4, 21, 1
	s_mov_b32 s7, 0x88fffff
	v_add3_u32 v5, v4, v5, s7
	s_mov_b64 s[10:11], exec
	v_lshrrev_b32_e32 v5, 21, v5
	s_andn2_saveexec_b64 s[12:13], s[12:13]
	s_cbranch_execnz .LBB313_2120
.LBB313_1905:
	s_or_b64 exec, exec, s[12:13]
	v_mov_b32_e32 v6, 0
	s_and_saveexec_b64 s[12:13], s[10:11]
.LBB313_1906:
	v_lshrrev_b32_e32 v4, 24, v4
	s_movk_i32 s7, 0x80
	v_and_or_b32 v6, v4, s7, v5
.LBB313_1907:
	s_or_b64 exec, exec, s[12:13]
.LBB313_1908:
	s_or_b64 exec, exec, s[8:9]
	s_mov_b64 s[8:9], 0
	global_store_byte v[2:3], v6, off
.LBB313_1909:
	s_and_b64 vcc, exec, s[8:9]
	s_cbranch_vccz .LBB313_1919
; %bb.1910:
	v_cvt_f32_i32_sdwa v4, sext(v1) dst_sel:DWORD dst_unused:UNUSED_PAD src0_sel:WORD_0
	s_mov_b32 s7, 0x43f00000
                                        ; implicit-def: $vgpr5
	v_and_b32_e32 v6, 0x7fffffff, v4
	v_cmp_gt_u32_e32 vcc, s7, v6
	s_and_saveexec_b64 s[8:9], vcc
	s_xor_b64 s[8:9], exec, s[8:9]
	s_cbranch_execz .LBB313_1916
; %bb.1911:
	s_mov_b32 s7, 0x3c7fffff
	v_cmp_lt_u32_e32 vcc, s7, v6
                                        ; implicit-def: $vgpr5
	s_and_saveexec_b64 s[10:11], vcc
	s_xor_b64 s[10:11], exec, s[10:11]
; %bb.1912:
	v_bfe_u32 v5, v4, 20, 1
	s_mov_b32 s7, 0x407ffff
	v_add3_u32 v5, v4, v5, s7
	v_lshrrev_b32_e32 v6, 20, v5
	v_and_b32_e32 v5, 0xff00000, v5
	s_mov_b32 s7, 0x7f00000
	v_mov_b32_e32 v7, 0x7e
	v_cmp_ne_u32_e32 vcc, s7, v5
	s_nop 1
	v_cndmask_b32_e32 v5, v7, v6, vcc
; %bb.1913:
	s_andn2_saveexec_b64 s[10:11], s[10:11]
; %bb.1914:
	s_mov_b32 s7, 0x46800000
	v_add_f32_e64 v5, |v4|, s7
; %bb.1915:
	s_or_b64 exec, exec, s[10:11]
                                        ; implicit-def: $vgpr6
.LBB313_1916:
	s_andn2_saveexec_b64 s[8:9], s[8:9]
; %bb.1917:
	s_mov_b32 s7, 0x7f800000
	v_mov_b32_e32 v5, 0x7e
	v_mov_b32_e32 v7, 0x7f
	v_cmp_lt_u32_e32 vcc, s7, v6
	s_nop 1
	v_cndmask_b32_e32 v5, v5, v7, vcc
; %bb.1918:
	s_or_b64 exec, exec, s[8:9]
	v_lshrrev_b32_e32 v4, 24, v4
	s_movk_i32 s7, 0x80
	v_and_or_b32 v4, v4, s7, v5
	global_store_byte v[2:3], v4, off
.LBB313_1919:
	s_mov_b64 s[8:9], 0
.LBB313_1920:
	s_andn2_b64 vcc, exec, s[8:9]
	s_cbranch_vccnz .LBB313_1930
; %bb.1921:
	v_cvt_f32_i32_sdwa v4, sext(v1) dst_sel:DWORD dst_unused:UNUSED_PAD src0_sel:WORD_0
	s_mov_b32 s7, 0x47800000
                                        ; implicit-def: $vgpr5
	v_and_b32_e32 v6, 0x7fffffff, v4
	v_cmp_gt_u32_e32 vcc, s7, v6
	s_and_saveexec_b64 s[8:9], vcc
	s_xor_b64 s[8:9], exec, s[8:9]
	s_cbranch_execz .LBB313_1927
; %bb.1922:
	s_mov_b32 s7, 0x387fffff
	v_cmp_lt_u32_e32 vcc, s7, v6
                                        ; implicit-def: $vgpr5
	s_and_saveexec_b64 s[10:11], vcc
	s_xor_b64 s[10:11], exec, s[10:11]
; %bb.1923:
	v_bfe_u32 v5, v4, 21, 1
	s_mov_b32 s7, 0x80fffff
	v_add3_u32 v5, v4, v5, s7
	v_lshrrev_b32_e32 v5, 21, v5
; %bb.1924:
	s_andn2_saveexec_b64 s[10:11], s[10:11]
; %bb.1925:
	s_mov_b32 s7, 0x43000000
	v_add_f32_e64 v5, |v4|, s7
; %bb.1926:
	s_or_b64 exec, exec, s[10:11]
                                        ; implicit-def: $vgpr6
.LBB313_1927:
	s_andn2_saveexec_b64 s[8:9], s[8:9]
; %bb.1928:
	s_mov_b32 s7, 0x7f800000
	v_mov_b32_e32 v5, 0x7c
	v_mov_b32_e32 v7, 0x7f
	v_cmp_lt_u32_e32 vcc, s7, v6
	s_nop 1
	v_cndmask_b32_e32 v5, v5, v7, vcc
; %bb.1929:
	s_or_b64 exec, exec, s[8:9]
	v_lshrrev_b32_e32 v4, 24, v4
	s_movk_i32 s7, 0x80
	v_and_or_b32 v4, v4, s7, v5
	global_store_byte v[2:3], v4, off
.LBB313_1930:
	s_mov_b64 s[8:9], 0
	s_mov_b64 s[10:11], -1
.LBB313_1931:
	s_andn2_b64 vcc, exec, s[8:9]
	s_mov_b64 s[8:9], 0
	s_cbranch_vccnz .LBB313_1938
; %bb.1932:
	s_cmp_gt_i32 s18, 14
	s_mov_b64 s[12:13], -1
	s_cbranch_scc0 .LBB313_1936
; %bb.1933:
	s_cmp_eq_u32 s18, 15
	s_mov_b64 s[0:1], -1
	s_cbranch_scc0 .LBB313_1935
; %bb.1934:
	v_cvt_f32_i32_sdwa v4, sext(v1) dst_sel:DWORD dst_unused:UNUSED_PAD src0_sel:WORD_0
	s_movk_i32 s7, 0x7fff
	s_mov_b64 s[0:1], 0
	s_mov_b64 s[10:11], -1
	v_bfe_u32 v5, v4, 16, 1
	v_add3_u32 v4, v4, v5, s7
	global_store_short_d16_hi v[2:3], v4, off
.LBB313_1935:
	s_mov_b64 s[12:13], 0
.LBB313_1936:
	s_and_b64 vcc, exec, s[12:13]
	s_cbranch_vccz .LBB313_1938
; %bb.1937:
	s_cmp_lg_u32 s18, 11
	s_mov_b64 s[8:9], -1
	s_cselect_b64 s[0:1], -1, 0
.LBB313_1938:
	s_and_b64 vcc, exec, s[0:1]
	s_cbranch_vccnz .LBB313_2118
; %bb.1939:
	s_andn2_b64 vcc, exec, s[8:9]
	s_cbranch_vccnz .LBB313_1941
.LBB313_1940:
	v_cmp_ne_u16_e32 vcc, 0, v1
	s_mov_b64 s[10:11], -1
	s_nop 0
	v_cndmask_b32_e64 v4, 0, 1, vcc
	global_store_byte v[2:3], v4, off
.LBB313_1941:
	s_mov_b64 s[0:1], 0
	s_branch .LBB313_1943
.LBB313_1942:
	s_mov_b64 s[0:1], -1
	s_mov_b64 s[10:11], 0
.LBB313_1943:
	s_and_b64 vcc, exec, s[0:1]
	s_cbranch_vccz .LBB313_1982
; %bb.1944:
	s_cmp_lt_i32 s18, 5
	s_mov_b64 s[0:1], -1
	s_cbranch_scc1 .LBB313_1965
; %bb.1945:
	s_cmp_lt_i32 s18, 8
	s_cbranch_scc1 .LBB313_1955
; %bb.1946:
	s_cmp_lt_i32 s18, 9
	s_cbranch_scc1 .LBB313_1952
; %bb.1947:
	s_cmp_gt_i32 s18, 9
	s_cbranch_scc0 .LBB313_1949
; %bb.1948:
	v_bfe_i32 v4, v1, 0, 16
	v_mov_b32_e32 v6, 0
	v_cvt_f64_i32_e32 v[4:5], v4
	v_mov_b32_e32 v7, v6
	global_store_dwordx4 v[2:3], v[4:7], off
	s_mov_b64 s[0:1], 0
.LBB313_1949:
	s_andn2_b64 vcc, exec, s[0:1]
	s_cbranch_vccnz .LBB313_1951
; %bb.1950:
	v_cvt_f32_i32_sdwa v4, sext(v1) dst_sel:DWORD dst_unused:UNUSED_PAD src0_sel:WORD_0
	v_mov_b32_e32 v5, 0
	global_store_dwordx2 v[2:3], v[4:5], off
.LBB313_1951:
	s_mov_b64 s[0:1], 0
.LBB313_1952:
	s_andn2_b64 vcc, exec, s[0:1]
	s_cbranch_vccnz .LBB313_1954
; %bb.1953:
	v_cvt_f16_i16_e32 v4, v1
	global_store_dword v[2:3], v4, off
.LBB313_1954:
	s_mov_b64 s[0:1], 0
.LBB313_1955:
	s_andn2_b64 vcc, exec, s[0:1]
	s_cbranch_vccnz .LBB313_1964
; %bb.1956:
	s_cmp_lt_i32 s18, 6
	s_mov_b64 s[0:1], -1
	s_cbranch_scc1 .LBB313_1962
; %bb.1957:
	s_cmp_gt_i32 s18, 6
	s_cbranch_scc0 .LBB313_1959
; %bb.1958:
	v_bfe_i32 v4, v1, 0, 16
	v_cvt_f64_i32_e32 v[4:5], v4
	global_store_dwordx2 v[2:3], v[4:5], off
	s_mov_b64 s[0:1], 0
.LBB313_1959:
	s_andn2_b64 vcc, exec, s[0:1]
	s_cbranch_vccnz .LBB313_1961
; %bb.1960:
	v_cvt_f32_i32_sdwa v4, sext(v1) dst_sel:DWORD dst_unused:UNUSED_PAD src0_sel:WORD_0
	global_store_dword v[2:3], v4, off
.LBB313_1961:
	s_mov_b64 s[0:1], 0
.LBB313_1962:
	s_andn2_b64 vcc, exec, s[0:1]
	s_cbranch_vccnz .LBB313_1964
; %bb.1963:
	v_cvt_f16_i16_e32 v4, v1
	global_store_short v[2:3], v4, off
.LBB313_1964:
	s_mov_b64 s[0:1], 0
.LBB313_1965:
	s_andn2_b64 vcc, exec, s[0:1]
	s_cbranch_vccnz .LBB313_1981
; %bb.1966:
	s_cmp_lt_i32 s18, 2
	s_mov_b64 s[0:1], -1
	s_cbranch_scc1 .LBB313_1976
; %bb.1967:
	s_cmp_lt_i32 s18, 3
	s_cbranch_scc1 .LBB313_1973
; %bb.1968:
	s_cmp_gt_i32 s18, 3
	v_bfe_i32 v4, v1, 0, 16
	s_cbranch_scc0 .LBB313_1970
; %bb.1969:
	v_ashrrev_i32_e32 v5, 31, v4
	global_store_dwordx2 v[2:3], v[4:5], off
	s_mov_b64 s[0:1], 0
.LBB313_1970:
	s_andn2_b64 vcc, exec, s[0:1]
	s_cbranch_vccnz .LBB313_1972
; %bb.1971:
	global_store_dword v[2:3], v4, off
.LBB313_1972:
	s_mov_b64 s[0:1], 0
.LBB313_1973:
	s_andn2_b64 vcc, exec, s[0:1]
	s_cbranch_vccnz .LBB313_1975
; %bb.1974:
	global_store_short v[2:3], v1, off
.LBB313_1975:
	s_mov_b64 s[0:1], 0
.LBB313_1976:
	s_andn2_b64 vcc, exec, s[0:1]
	s_cbranch_vccnz .LBB313_1981
; %bb.1977:
	s_cmp_gt_i32 s18, 0
	s_mov_b64 s[0:1], -1
	s_cbranch_scc0 .LBB313_1979
; %bb.1978:
	global_store_byte v[2:3], v1, off
	s_mov_b64 s[0:1], 0
.LBB313_1979:
	s_andn2_b64 vcc, exec, s[0:1]
	s_cbranch_vccnz .LBB313_1981
; %bb.1980:
	global_store_byte v[2:3], v1, off
.LBB313_1981:
	s_mov_b64 s[10:11], -1
.LBB313_1982:
	s_andn2_b64 vcc, exec, s[10:11]
	s_cbranch_vccnz .LBB313_2059
; %bb.1983:
	v_max_i16_e32 v1, s6, v8
	v_min_i16_e32 v2, s17, v1
	v_mov_b32_e32 v1, 0
	s_cmp_lt_i32 s18, 11
	v_lshl_add_u64 v[0:1], s[4:5], 0, v[0:1]
	s_cbranch_scc1 .LBB313_2104
; %bb.1984:
	s_mov_b64 s[6:7], -1
	s_mov_b64 s[4:5], 0
	s_cmp_gt_i32 s18, 25
	s_mov_b64 s[0:1], 0
	s_cbranch_scc0 .LBB313_2017
; %bb.1985:
	s_cmp_gt_i32 s18, 28
	s_cbranch_scc0 .LBB313_2001
; %bb.1986:
	s_cmp_gt_i32 s18, 43
	;; [unrolled: 3-line block ×3, first 2 shown]
	s_cbranch_scc0 .LBB313_1991
; %bb.1988:
	s_cmp_eq_u32 s18, 46
	s_mov_b64 s[0:1], -1
	s_cbranch_scc0 .LBB313_1990
; %bb.1989:
	v_cvt_f32_i32_sdwa v3, sext(v2) dst_sel:DWORD dst_unused:UNUSED_PAD src0_sel:WORD_0
	s_movk_i32 s0, 0x7fff
	v_bfe_u32 v4, v3, 16, 1
	v_add3_u32 v3, v3, v4, s0
	v_lshrrev_b32_e32 v3, 16, v3
	global_store_dword v[0:1], v3, off
	s_mov_b64 s[0:1], 0
.LBB313_1990:
	s_mov_b64 s[6:7], 0
.LBB313_1991:
	s_and_b64 vcc, exec, s[6:7]
	s_cbranch_vccz .LBB313_1996
; %bb.1992:
	s_cmp_eq_u32 s18, 44
	s_mov_b64 s[0:1], -1
	s_cbranch_scc0 .LBB313_1996
; %bb.1993:
	v_cvt_f32_i32_sdwa v3, sext(v2) dst_sel:DWORD dst_unused:UNUSED_PAD src0_sel:WORD_0
	s_movk_i32 s0, 0xff
	v_mov_b32_e32 v5, 0xff
	v_bfe_u32 v4, v3, 23, 8
	v_cmp_ne_u32_e32 vcc, s0, v4
	s_and_saveexec_b64 s[6:7], vcc
; %bb.1994:
	s_mov_b32 s0, 0x3fffff
	v_lshrrev_b32_e32 v5, 23, v3
	v_and_b32_e32 v6, 0x400000, v3
	v_and_or_b32 v3, v3, s0, v4
	v_cmp_ne_u32_e32 vcc, 0, v6
	v_cmp_ne_u32_e64 s[0:1], 0, v3
	s_and_b64 s[0:1], vcc, s[0:1]
	s_nop 0
	v_cndmask_b32_e64 v3, 0, 1, s[0:1]
	v_add_u32_e32 v5, v5, v3
; %bb.1995:
	s_or_b64 exec, exec, s[6:7]
	s_mov_b64 s[0:1], 0
	global_store_byte v[0:1], v5, off
.LBB313_1996:
	s_mov_b64 s[6:7], 0
.LBB313_1997:
	s_and_b64 vcc, exec, s[6:7]
	s_cbranch_vccz .LBB313_2000
; %bb.1998:
	s_cmp_eq_u32 s18, 29
	s_mov_b64 s[0:1], -1
	s_cbranch_scc0 .LBB313_2000
; %bb.1999:
	v_bfe_i32 v4, v2, 0, 16
	v_ashrrev_i32_e32 v5, 31, v4
	global_store_dwordx2 v[0:1], v[4:5], off
	s_mov_b64 s[0:1], 0
.LBB313_2000:
	s_mov_b64 s[6:7], 0
.LBB313_2001:
	s_and_b64 vcc, exec, s[6:7]
	s_cbranch_vccz .LBB313_2016
; %bb.2002:
	s_cmp_lt_i32 s18, 27
	s_mov_b64 s[6:7], -1
	s_cbranch_scc1 .LBB313_2008
; %bb.2003:
	s_cmp_gt_i32 s18, 27
	s_cbranch_scc0 .LBB313_2005
; %bb.2004:
	v_bfe_i32 v3, v2, 0, 16
	global_store_dword v[0:1], v3, off
	s_mov_b64 s[6:7], 0
.LBB313_2005:
	s_andn2_b64 vcc, exec, s[6:7]
	s_cbranch_vccnz .LBB313_2007
; %bb.2006:
	global_store_short v[0:1], v2, off
.LBB313_2007:
	s_mov_b64 s[6:7], 0
.LBB313_2008:
	s_andn2_b64 vcc, exec, s[6:7]
	s_cbranch_vccnz .LBB313_2016
; %bb.2009:
	v_cvt_f32_i32_sdwa v3, sext(v2) dst_sel:DWORD dst_unused:UNUSED_PAD src0_sel:WORD_0
	s_mov_b32 s6, 0x43800000
	v_mov_b32_e32 v5, 0x80
	v_and_b32_e32 v4, 0x7fffffff, v3
	v_cmp_gt_u32_e32 vcc, s6, v4
	s_and_saveexec_b64 s[6:7], vcc
	s_cbranch_execz .LBB313_2015
; %bb.2010:
	s_mov_b32 s8, 0x3bffffff
	v_cmp_lt_u32_e32 vcc, s8, v4
	s_mov_b64 s[8:9], 0
                                        ; implicit-def: $vgpr4
	s_and_saveexec_b64 s[10:11], vcc
	s_xor_b64 s[10:11], exec, s[10:11]
	s_cbranch_execz .LBB313_2121
; %bb.2011:
	v_bfe_u32 v4, v3, 20, 1
	s_mov_b32 s12, 0x487ffff
	v_add3_u32 v4, v3, v4, s12
	s_mov_b64 s[8:9], exec
	v_lshrrev_b32_e32 v4, 20, v4
	s_andn2_saveexec_b64 s[10:11], s[10:11]
	s_cbranch_execnz .LBB313_2122
.LBB313_2012:
	s_or_b64 exec, exec, s[10:11]
	v_mov_b32_e32 v5, 0
	s_and_saveexec_b64 s[10:11], s[8:9]
.LBB313_2013:
	v_lshrrev_b32_e32 v3, 24, v3
	s_movk_i32 s8, 0x80
	v_and_or_b32 v5, v3, s8, v4
.LBB313_2014:
	s_or_b64 exec, exec, s[10:11]
.LBB313_2015:
	s_or_b64 exec, exec, s[6:7]
	global_store_byte v[0:1], v5, off
.LBB313_2016:
	s_mov_b64 s[6:7], 0
.LBB313_2017:
	s_and_b64 vcc, exec, s[6:7]
	s_cbranch_vccz .LBB313_2057
; %bb.2018:
	s_cmp_gt_i32 s18, 22
	s_mov_b64 s[4:5], -1
	s_cbranch_scc0 .LBB313_2050
; %bb.2019:
	s_cmp_lt_i32 s18, 24
	s_cbranch_scc1 .LBB313_2039
; %bb.2020:
	s_cmp_gt_i32 s18, 24
	s_cbranch_scc0 .LBB313_2028
; %bb.2021:
	v_cvt_f32_i32_sdwa v3, sext(v2) dst_sel:DWORD dst_unused:UNUSED_PAD src0_sel:WORD_0
	s_mov_b32 s4, 0x47800000
	v_mov_b32_e32 v5, 0x80
	v_and_b32_e32 v4, 0x7fffffff, v3
	v_cmp_gt_u32_e32 vcc, s4, v4
	s_and_saveexec_b64 s[4:5], vcc
	s_cbranch_execz .LBB313_2027
; %bb.2022:
	s_mov_b32 s6, 0x37ffffff
	v_cmp_lt_u32_e32 vcc, s6, v4
	s_mov_b64 s[6:7], 0
                                        ; implicit-def: $vgpr4
	s_and_saveexec_b64 s[8:9], vcc
	s_xor_b64 s[8:9], exec, s[8:9]
	s_cbranch_execz .LBB313_2124
; %bb.2023:
	v_bfe_u32 v4, v3, 21, 1
	s_mov_b32 s10, 0x88fffff
	v_add3_u32 v4, v3, v4, s10
	s_mov_b64 s[6:7], exec
	v_lshrrev_b32_e32 v4, 21, v4
	s_andn2_saveexec_b64 s[8:9], s[8:9]
	s_cbranch_execnz .LBB313_2125
.LBB313_2024:
	s_or_b64 exec, exec, s[8:9]
	v_mov_b32_e32 v5, 0
	s_and_saveexec_b64 s[8:9], s[6:7]
.LBB313_2025:
	v_lshrrev_b32_e32 v3, 24, v3
	s_movk_i32 s6, 0x80
	v_and_or_b32 v5, v3, s6, v4
.LBB313_2026:
	s_or_b64 exec, exec, s[8:9]
.LBB313_2027:
	s_or_b64 exec, exec, s[4:5]
	s_mov_b64 s[4:5], 0
	global_store_byte v[0:1], v5, off
.LBB313_2028:
	s_and_b64 vcc, exec, s[4:5]
	s_cbranch_vccz .LBB313_2038
; %bb.2029:
	v_cvt_f32_i32_sdwa v3, sext(v2) dst_sel:DWORD dst_unused:UNUSED_PAD src0_sel:WORD_0
	s_mov_b32 s4, 0x43f00000
                                        ; implicit-def: $vgpr4
	v_and_b32_e32 v5, 0x7fffffff, v3
	v_cmp_gt_u32_e32 vcc, s4, v5
	s_and_saveexec_b64 s[4:5], vcc
	s_xor_b64 s[4:5], exec, s[4:5]
	s_cbranch_execz .LBB313_2035
; %bb.2030:
	s_mov_b32 s6, 0x3c7fffff
	v_cmp_lt_u32_e32 vcc, s6, v5
                                        ; implicit-def: $vgpr4
	s_and_saveexec_b64 s[6:7], vcc
	s_xor_b64 s[6:7], exec, s[6:7]
; %bb.2031:
	v_bfe_u32 v4, v3, 20, 1
	s_mov_b32 s8, 0x407ffff
	v_add3_u32 v4, v3, v4, s8
	v_lshrrev_b32_e32 v5, 20, v4
	v_and_b32_e32 v4, 0xff00000, v4
	s_mov_b32 s8, 0x7f00000
	v_mov_b32_e32 v6, 0x7e
	v_cmp_ne_u32_e32 vcc, s8, v4
	s_nop 1
	v_cndmask_b32_e32 v4, v6, v5, vcc
; %bb.2032:
	s_andn2_saveexec_b64 s[6:7], s[6:7]
; %bb.2033:
	s_mov_b32 s8, 0x46800000
	v_add_f32_e64 v4, |v3|, s8
; %bb.2034:
	s_or_b64 exec, exec, s[6:7]
                                        ; implicit-def: $vgpr5
.LBB313_2035:
	s_andn2_saveexec_b64 s[4:5], s[4:5]
; %bb.2036:
	s_mov_b32 s6, 0x7f800000
	v_mov_b32_e32 v4, 0x7e
	v_mov_b32_e32 v6, 0x7f
	v_cmp_lt_u32_e32 vcc, s6, v5
	s_nop 1
	v_cndmask_b32_e32 v4, v4, v6, vcc
; %bb.2037:
	s_or_b64 exec, exec, s[4:5]
	v_lshrrev_b32_e32 v3, 24, v3
	s_movk_i32 s4, 0x80
	v_and_or_b32 v3, v3, s4, v4
	global_store_byte v[0:1], v3, off
.LBB313_2038:
	s_mov_b64 s[4:5], 0
.LBB313_2039:
	s_andn2_b64 vcc, exec, s[4:5]
	s_cbranch_vccnz .LBB313_2049
; %bb.2040:
	v_cvt_f32_i32_sdwa v3, sext(v2) dst_sel:DWORD dst_unused:UNUSED_PAD src0_sel:WORD_0
	s_mov_b32 s4, 0x47800000
                                        ; implicit-def: $vgpr4
	v_and_b32_e32 v5, 0x7fffffff, v3
	v_cmp_gt_u32_e32 vcc, s4, v5
	s_and_saveexec_b64 s[4:5], vcc
	s_xor_b64 s[4:5], exec, s[4:5]
	s_cbranch_execz .LBB313_2046
; %bb.2041:
	s_mov_b32 s6, 0x387fffff
	v_cmp_lt_u32_e32 vcc, s6, v5
                                        ; implicit-def: $vgpr4
	s_and_saveexec_b64 s[6:7], vcc
	s_xor_b64 s[6:7], exec, s[6:7]
; %bb.2042:
	v_bfe_u32 v4, v3, 21, 1
	s_mov_b32 s8, 0x80fffff
	v_add3_u32 v4, v3, v4, s8
	v_lshrrev_b32_e32 v4, 21, v4
; %bb.2043:
	s_andn2_saveexec_b64 s[6:7], s[6:7]
; %bb.2044:
	s_mov_b32 s8, 0x43000000
	v_add_f32_e64 v4, |v3|, s8
; %bb.2045:
	s_or_b64 exec, exec, s[6:7]
                                        ; implicit-def: $vgpr5
.LBB313_2046:
	s_andn2_saveexec_b64 s[4:5], s[4:5]
; %bb.2047:
	s_mov_b32 s6, 0x7f800000
	v_mov_b32_e32 v4, 0x7c
	v_mov_b32_e32 v6, 0x7f
	v_cmp_lt_u32_e32 vcc, s6, v5
	s_nop 1
	v_cndmask_b32_e32 v4, v4, v6, vcc
; %bb.2048:
	s_or_b64 exec, exec, s[4:5]
	v_lshrrev_b32_e32 v3, 24, v3
	s_movk_i32 s4, 0x80
	v_and_or_b32 v3, v3, s4, v4
	global_store_byte v[0:1], v3, off
.LBB313_2049:
	s_mov_b64 s[4:5], 0
.LBB313_2050:
	s_andn2_b64 vcc, exec, s[4:5]
	s_mov_b64 s[4:5], 0
	s_cbranch_vccnz .LBB313_2057
; %bb.2051:
	s_cmp_gt_i32 s18, 14
	s_mov_b64 s[6:7], -1
	s_cbranch_scc0 .LBB313_2055
; %bb.2052:
	s_cmp_eq_u32 s18, 15
	s_mov_b64 s[0:1], -1
	s_cbranch_scc0 .LBB313_2054
; %bb.2053:
	v_cvt_f32_i32_sdwa v3, sext(v2) dst_sel:DWORD dst_unused:UNUSED_PAD src0_sel:WORD_0
	s_movk_i32 s0, 0x7fff
	v_bfe_u32 v4, v3, 16, 1
	v_add3_u32 v3, v3, v4, s0
	global_store_short_d16_hi v[0:1], v3, off
	s_mov_b64 s[0:1], 0
.LBB313_2054:
	s_mov_b64 s[6:7], 0
.LBB313_2055:
	s_and_b64 vcc, exec, s[6:7]
	s_cbranch_vccz .LBB313_2057
; %bb.2056:
	s_cmp_lg_u32 s18, 11
	s_mov_b64 s[4:5], -1
	s_cselect_b64 s[0:1], -1, 0
.LBB313_2057:
	s_and_b64 vcc, exec, s[0:1]
	s_cbranch_vccnz .LBB313_2123
.LBB313_2058:
	s_mov_b64 s[0:1], 0
	s_branch .LBB313_2060
.LBB313_2059:
	s_mov_b64 s[0:1], 0
	s_mov_b64 s[4:5], 0
                                        ; implicit-def: $vgpr0_vgpr1
                                        ; implicit-def: $sgpr16
                                        ; implicit-def: $vgpr2
.LBB313_2060:
	s_and_b64 s[6:7], s[0:1], exec
	s_andn2_b64 s[0:1], s[24:25], exec
	s_and_b64 s[2:3], s[2:3], exec
	s_and_b64 s[40:41], s[4:5], exec
	s_or_b64 s[24:25], s[0:1], s[2:3]
.LBB313_2061:
	s_or_b64 exec, exec, s[26:27]
	s_and_saveexec_b64 s[0:1], s[24:25]
	s_cbranch_execz .LBB313_2064
; %bb.2062:
	; divergent unreachable
	s_or_b64 exec, exec, s[0:1]
	s_and_saveexec_b64 s[0:1], s[40:41]
	s_xor_b64 s[0:1], exec, s[0:1]
	s_cbranch_execnz .LBB313_2065
.LBB313_2063:
	s_or_b64 exec, exec, s[0:1]
	s_and_saveexec_b64 s[0:1], s[6:7]
	s_cbranch_execnz .LBB313_2066
	s_branch .LBB313_2103
.LBB313_2064:
	s_or_b64 exec, exec, s[0:1]
	s_and_saveexec_b64 s[0:1], s[40:41]
	s_xor_b64 s[0:1], exec, s[0:1]
	s_cbranch_execz .LBB313_2063
.LBB313_2065:
	v_cmp_ne_u16_e32 vcc, 0, v2
	s_nop 1
	v_cndmask_b32_e64 v3, 0, 1, vcc
	global_store_byte v[0:1], v3, off
	s_or_b64 exec, exec, s[0:1]
	s_and_saveexec_b64 s[0:1], s[6:7]
	s_cbranch_execz .LBB313_2103
.LBB313_2066:
	s_sext_i32_i16 s2, s16
	s_cmp_lt_i32 s2, 5
	s_mov_b64 s[0:1], -1
	s_cbranch_scc1 .LBB313_2087
; %bb.2067:
	s_cmp_lt_i32 s2, 8
	s_cbranch_scc1 .LBB313_2077
; %bb.2068:
	s_cmp_lt_i32 s2, 9
	s_cbranch_scc1 .LBB313_2074
; %bb.2069:
	s_cmp_gt_i32 s2, 9
	s_cbranch_scc0 .LBB313_2071
; %bb.2070:
	v_bfe_i32 v3, v2, 0, 16
	v_mov_b32_e32 v6, 0
	s_waitcnt vmcnt(0)
	v_cvt_f64_i32_e32 v[4:5], v3
	v_mov_b32_e32 v7, v6
	global_store_dwordx4 v[0:1], v[4:7], off
	s_mov_b64 s[0:1], 0
.LBB313_2071:
	s_andn2_b64 vcc, exec, s[0:1]
	s_cbranch_vccnz .LBB313_2073
; %bb.2072:
	s_waitcnt vmcnt(0)
	v_cvt_f32_i32_sdwa v4, sext(v2) dst_sel:DWORD dst_unused:UNUSED_PAD src0_sel:WORD_0
	v_mov_b32_e32 v5, 0
	global_store_dwordx2 v[0:1], v[4:5], off
.LBB313_2073:
	s_mov_b64 s[0:1], 0
.LBB313_2074:
	s_andn2_b64 vcc, exec, s[0:1]
	s_cbranch_vccnz .LBB313_2076
; %bb.2075:
	v_cvt_f16_i16_e32 v3, v2
	global_store_dword v[0:1], v3, off
.LBB313_2076:
	s_mov_b64 s[0:1], 0
.LBB313_2077:
	s_andn2_b64 vcc, exec, s[0:1]
	s_cbranch_vccnz .LBB313_2086
; %bb.2078:
	s_sext_i32_i16 s2, s16
	s_cmp_lt_i32 s2, 6
	s_mov_b64 s[0:1], -1
	s_cbranch_scc1 .LBB313_2084
; %bb.2079:
	s_cmp_gt_i32 s2, 6
	s_cbranch_scc0 .LBB313_2081
; %bb.2080:
	v_bfe_i32 v3, v2, 0, 16
	s_waitcnt vmcnt(0)
	v_cvt_f64_i32_e32 v[4:5], v3
	global_store_dwordx2 v[0:1], v[4:5], off
	s_mov_b64 s[0:1], 0
.LBB313_2081:
	s_andn2_b64 vcc, exec, s[0:1]
	s_cbranch_vccnz .LBB313_2083
; %bb.2082:
	v_cvt_f32_i32_sdwa v3, sext(v2) dst_sel:DWORD dst_unused:UNUSED_PAD src0_sel:WORD_0
	global_store_dword v[0:1], v3, off
.LBB313_2083:
	s_mov_b64 s[0:1], 0
.LBB313_2084:
	s_andn2_b64 vcc, exec, s[0:1]
	s_cbranch_vccnz .LBB313_2086
; %bb.2085:
	v_cvt_f16_i16_e32 v3, v2
	global_store_short v[0:1], v3, off
.LBB313_2086:
	s_mov_b64 s[0:1], 0
.LBB313_2087:
	s_andn2_b64 vcc, exec, s[0:1]
	s_cbranch_vccnz .LBB313_2103
; %bb.2088:
	s_sext_i32_i16 s2, s16
	s_cmp_lt_i32 s2, 2
	s_mov_b64 s[0:1], -1
	s_cbranch_scc1 .LBB313_2098
; %bb.2089:
	s_cmp_lt_i32 s2, 3
	s_cbranch_scc1 .LBB313_2095
; %bb.2090:
	s_cmp_gt_i32 s2, 3
	s_cbranch_scc0 .LBB313_2092
; %bb.2091:
	s_waitcnt vmcnt(0)
	v_bfe_i32 v4, v2, 0, 16
	v_ashrrev_i32_e32 v5, 31, v4
	global_store_dwordx2 v[0:1], v[4:5], off
	s_mov_b64 s[0:1], 0
.LBB313_2092:
	s_andn2_b64 vcc, exec, s[0:1]
	s_cbranch_vccnz .LBB313_2094
; %bb.2093:
	v_bfe_i32 v3, v2, 0, 16
	global_store_dword v[0:1], v3, off
.LBB313_2094:
	s_mov_b64 s[0:1], 0
.LBB313_2095:
	s_andn2_b64 vcc, exec, s[0:1]
	s_cbranch_vccnz .LBB313_2097
; %bb.2096:
	global_store_short v[0:1], v2, off
.LBB313_2097:
	s_mov_b64 s[0:1], 0
.LBB313_2098:
	s_andn2_b64 vcc, exec, s[0:1]
	s_cbranch_vccnz .LBB313_2103
; %bb.2099:
	s_sext_i32_i16 s0, s16
	s_cmp_gt_i32 s0, 0
	s_mov_b64 s[0:1], -1
	s_cbranch_scc0 .LBB313_2101
; %bb.2100:
	global_store_byte v[0:1], v2, off
	s_mov_b64 s[0:1], 0
.LBB313_2101:
	s_andn2_b64 vcc, exec, s[0:1]
	s_cbranch_vccnz .LBB313_2103
; %bb.2102:
	global_store_byte v[0:1], v2, off
	s_endpgm
.LBB313_2103:
	s_endpgm
.LBB313_2104:
	s_mov_b64 s[4:5], 0
	s_mov_b64 s[0:1], -1
	s_branch .LBB313_2060
.LBB313_2105:
	s_trap 2
	s_or_b64 s[2:3], s[2:3], exec
	s_cbranch_execz .LBB313_1574
	s_branch .LBB313_1575
.LBB313_2106:
	s_andn2_saveexec_b64 s[14:15], s[14:15]
	s_cbranch_execz .LBB313_1654
.LBB313_2107:
	s_mov_b32 s18, 0x46000000
	v_add_f32_e64 v5, |v3|, s18
	v_and_b32_e32 v5, 0xff, v5
	v_cmp_ne_u32_e32 vcc, 0, v5
	s_andn2_b64 s[12:13], s[12:13], exec
	s_and_b64 s[18:19], vcc, exec
	s_or_b64 s[12:13], s[12:13], s[18:19]
	s_or_b64 exec, exec, s[14:15]
	v_mov_b32_e32 v9, 0
	s_and_saveexec_b64 s[14:15], s[12:13]
	s_cbranch_execnz .LBB313_1655
	s_branch .LBB313_1656
.LBB313_2108:
	s_trap 2
	s_or_b64 s[2:3], s[2:3], exec
	s_cbranch_execz .LBB313_1702
	s_branch .LBB313_1703
.LBB313_2109:
	s_andn2_saveexec_b64 s[12:13], s[12:13]
	s_cbranch_execz .LBB313_1667
.LBB313_2110:
	s_mov_b32 s14, 0x42800000
	v_add_f32_e64 v5, |v3|, s14
	v_and_b32_e32 v5, 0xff, v5
	v_cmp_ne_u32_e32 vcc, 0, v5
	s_andn2_b64 s[10:11], s[10:11], exec
	s_and_b64 s[14:15], vcc, exec
	s_or_b64 s[10:11], s[10:11], s[14:15]
	s_or_b64 exec, exec, s[12:13]
	v_mov_b32_e32 v9, 0
	s_and_saveexec_b64 s[12:13], s[10:11]
	s_cbranch_execnz .LBB313_1668
	s_branch .LBB313_1669
.LBB313_2111:
	s_andn2_saveexec_b64 s[14:15], s[14:15]
	s_cbranch_execz .LBB313_1773
.LBB313_2112:
	s_mov_b32 s7, 0x46000000
	v_add_f32_e64 v6, |v3|, s7
	v_and_b32_e32 v6, 0xff, v6
	v_cmp_ne_u32_e32 vcc, 0, v6
	s_andn2_b64 s[12:13], s[12:13], exec
	s_and_b64 s[20:21], vcc, exec
	s_or_b64 s[12:13], s[12:13], s[20:21]
	s_or_b64 exec, exec, s[14:15]
	v_mov_b32_e32 v7, 0
	s_and_saveexec_b64 s[14:15], s[12:13]
	s_cbranch_execnz .LBB313_1774
	s_branch .LBB313_1775
.LBB313_2113:
	s_trap 2
	s_or_b64 s[2:3], s[2:3], exec
	s_cbranch_execz .LBB313_1821
	s_branch .LBB313_1822
.LBB313_2114:
	s_andn2_saveexec_b64 s[12:13], s[12:13]
	s_cbranch_execz .LBB313_1786
.LBB313_2115:
	s_mov_b32 s7, 0x42800000
	v_add_f32_e64 v6, |v3|, s7
	v_and_b32_e32 v6, 0xff, v6
	v_cmp_ne_u32_e32 vcc, 0, v6
	s_andn2_b64 s[10:11], s[10:11], exec
	s_and_b64 s[14:15], vcc, exec
	s_or_b64 s[10:11], s[10:11], s[14:15]
	s_or_b64 exec, exec, s[12:13]
	v_mov_b32_e32 v7, 0
	s_and_saveexec_b64 s[12:13], s[10:11]
	s_cbranch_execnz .LBB313_1787
	s_branch .LBB313_1788
.LBB313_2116:
	s_andn2_saveexec_b64 s[14:15], s[14:15]
	s_cbranch_execz .LBB313_1892
.LBB313_2117:
	s_mov_b32 s7, 0x46000000
	v_add_f32_e64 v5, |v4|, s7
	v_and_b32_e32 v5, 0xff, v5
	v_cmp_ne_u32_e32 vcc, 0, v5
	s_andn2_b64 s[12:13], s[12:13], exec
	s_and_b64 s[20:21], vcc, exec
	s_or_b64 s[12:13], s[12:13], s[20:21]
	s_or_b64 exec, exec, s[14:15]
	v_mov_b32_e32 v6, 0
	s_and_saveexec_b64 s[14:15], s[12:13]
	s_cbranch_execnz .LBB313_1893
	s_branch .LBB313_1894
.LBB313_2118:
	s_trap 2
	s_or_b64 s[2:3], s[2:3], exec
	s_cbranch_execz .LBB313_1940
	s_branch .LBB313_1941
.LBB313_2119:
	s_andn2_saveexec_b64 s[12:13], s[12:13]
	s_cbranch_execz .LBB313_1905
.LBB313_2120:
	s_mov_b32 s7, 0x42800000
	v_add_f32_e64 v5, |v4|, s7
	v_and_b32_e32 v5, 0xff, v5
	v_cmp_ne_u32_e32 vcc, 0, v5
	s_andn2_b64 s[10:11], s[10:11], exec
	s_and_b64 s[14:15], vcc, exec
	s_or_b64 s[10:11], s[10:11], s[14:15]
	s_or_b64 exec, exec, s[12:13]
	v_mov_b32_e32 v6, 0
	s_and_saveexec_b64 s[12:13], s[10:11]
	s_cbranch_execnz .LBB313_1906
	s_branch .LBB313_1907
.LBB313_2121:
	s_andn2_saveexec_b64 s[10:11], s[10:11]
	s_cbranch_execz .LBB313_2012
.LBB313_2122:
	s_mov_b32 s12, 0x46000000
	v_add_f32_e64 v4, |v3|, s12
	v_and_b32_e32 v4, 0xff, v4
	v_cmp_ne_u32_e32 vcc, 0, v4
	s_andn2_b64 s[8:9], s[8:9], exec
	s_and_b64 s[12:13], vcc, exec
	s_or_b64 s[8:9], s[8:9], s[12:13]
	s_or_b64 exec, exec, s[10:11]
	v_mov_b32_e32 v5, 0
	s_and_saveexec_b64 s[10:11], s[8:9]
	s_cbranch_execnz .LBB313_2013
	s_branch .LBB313_2014
.LBB313_2123:
	s_mov_b64 s[4:5], 0
	s_or_b64 s[2:3], s[2:3], exec
	s_trap 2
	s_branch .LBB313_2058
.LBB313_2124:
	s_andn2_saveexec_b64 s[8:9], s[8:9]
	s_cbranch_execz .LBB313_2024
.LBB313_2125:
	s_mov_b32 s10, 0x42800000
	v_add_f32_e64 v4, |v3|, s10
	v_and_b32_e32 v4, 0xff, v4
	v_cmp_ne_u32_e32 vcc, 0, v4
	s_andn2_b64 s[6:7], s[6:7], exec
	s_and_b64 s[10:11], vcc, exec
	s_or_b64 s[6:7], s[6:7], s[10:11]
	s_or_b64 exec, exec, s[8:9]
	v_mov_b32_e32 v5, 0
	s_and_saveexec_b64 s[8:9], s[6:7]
	s_cbranch_execnz .LBB313_2025
	s_branch .LBB313_2026
	.section	.rodata,"a",@progbits
	.p2align	6, 0x0
	.amdhsa_kernel _ZN2at6native32elementwise_kernel_manual_unrollILi128ELi4EZNS0_15gpu_kernel_implIZZZNS0_17clamp_kernel_cudaERNS_18TensorIteratorBaseERKN3c106ScalarES8_ENKUlvE_clEvENKUlvE3_clEvEUlsE_EEvS4_RKT_EUlibE0_EEviT1_
		.amdhsa_group_segment_fixed_size 0
		.amdhsa_private_segment_fixed_size 0
		.amdhsa_kernarg_size 360
		.amdhsa_user_sgpr_count 2
		.amdhsa_user_sgpr_dispatch_ptr 0
		.amdhsa_user_sgpr_queue_ptr 0
		.amdhsa_user_sgpr_kernarg_segment_ptr 1
		.amdhsa_user_sgpr_dispatch_id 0
		.amdhsa_user_sgpr_kernarg_preload_length 0
		.amdhsa_user_sgpr_kernarg_preload_offset 0
		.amdhsa_user_sgpr_private_segment_size 0
		.amdhsa_uses_dynamic_stack 0
		.amdhsa_enable_private_segment 0
		.amdhsa_system_sgpr_workgroup_id_x 1
		.amdhsa_system_sgpr_workgroup_id_y 0
		.amdhsa_system_sgpr_workgroup_id_z 0
		.amdhsa_system_sgpr_workgroup_info 0
		.amdhsa_system_vgpr_workitem_id 0
		.amdhsa_next_free_vgpr 18
		.amdhsa_next_free_sgpr 80
		.amdhsa_accum_offset 20
		.amdhsa_reserve_vcc 1
		.amdhsa_float_round_mode_32 0
		.amdhsa_float_round_mode_16_64 0
		.amdhsa_float_denorm_mode_32 3
		.amdhsa_float_denorm_mode_16_64 3
		.amdhsa_dx10_clamp 1
		.amdhsa_ieee_mode 1
		.amdhsa_fp16_overflow 0
		.amdhsa_tg_split 0
		.amdhsa_exception_fp_ieee_invalid_op 0
		.amdhsa_exception_fp_denorm_src 0
		.amdhsa_exception_fp_ieee_div_zero 0
		.amdhsa_exception_fp_ieee_overflow 0
		.amdhsa_exception_fp_ieee_underflow 0
		.amdhsa_exception_fp_ieee_inexact 0
		.amdhsa_exception_int_div_zero 0
	.end_amdhsa_kernel
	.section	.text._ZN2at6native32elementwise_kernel_manual_unrollILi128ELi4EZNS0_15gpu_kernel_implIZZZNS0_17clamp_kernel_cudaERNS_18TensorIteratorBaseERKN3c106ScalarES8_ENKUlvE_clEvENKUlvE3_clEvEUlsE_EEvS4_RKT_EUlibE0_EEviT1_,"axG",@progbits,_ZN2at6native32elementwise_kernel_manual_unrollILi128ELi4EZNS0_15gpu_kernel_implIZZZNS0_17clamp_kernel_cudaERNS_18TensorIteratorBaseERKN3c106ScalarES8_ENKUlvE_clEvENKUlvE3_clEvEUlsE_EEvS4_RKT_EUlibE0_EEviT1_,comdat
.Lfunc_end313:
	.size	_ZN2at6native32elementwise_kernel_manual_unrollILi128ELi4EZNS0_15gpu_kernel_implIZZZNS0_17clamp_kernel_cudaERNS_18TensorIteratorBaseERKN3c106ScalarES8_ENKUlvE_clEvENKUlvE3_clEvEUlsE_EEvS4_RKT_EUlibE0_EEviT1_, .Lfunc_end313-_ZN2at6native32elementwise_kernel_manual_unrollILi128ELi4EZNS0_15gpu_kernel_implIZZZNS0_17clamp_kernel_cudaERNS_18TensorIteratorBaseERKN3c106ScalarES8_ENKUlvE_clEvENKUlvE3_clEvEUlsE_EEvS4_RKT_EUlibE0_EEviT1_
                                        ; -- End function
	.set _ZN2at6native32elementwise_kernel_manual_unrollILi128ELi4EZNS0_15gpu_kernel_implIZZZNS0_17clamp_kernel_cudaERNS_18TensorIteratorBaseERKN3c106ScalarES8_ENKUlvE_clEvENKUlvE3_clEvEUlsE_EEvS4_RKT_EUlibE0_EEviT1_.num_vgpr, 18
	.set _ZN2at6native32elementwise_kernel_manual_unrollILi128ELi4EZNS0_15gpu_kernel_implIZZZNS0_17clamp_kernel_cudaERNS_18TensorIteratorBaseERKN3c106ScalarES8_ENKUlvE_clEvENKUlvE3_clEvEUlsE_EEvS4_RKT_EUlibE0_EEviT1_.num_agpr, 0
	.set _ZN2at6native32elementwise_kernel_manual_unrollILi128ELi4EZNS0_15gpu_kernel_implIZZZNS0_17clamp_kernel_cudaERNS_18TensorIteratorBaseERKN3c106ScalarES8_ENKUlvE_clEvENKUlvE3_clEvEUlsE_EEvS4_RKT_EUlibE0_EEviT1_.numbered_sgpr, 80
	.set _ZN2at6native32elementwise_kernel_manual_unrollILi128ELi4EZNS0_15gpu_kernel_implIZZZNS0_17clamp_kernel_cudaERNS_18TensorIteratorBaseERKN3c106ScalarES8_ENKUlvE_clEvENKUlvE3_clEvEUlsE_EEvS4_RKT_EUlibE0_EEviT1_.num_named_barrier, 0
	.set _ZN2at6native32elementwise_kernel_manual_unrollILi128ELi4EZNS0_15gpu_kernel_implIZZZNS0_17clamp_kernel_cudaERNS_18TensorIteratorBaseERKN3c106ScalarES8_ENKUlvE_clEvENKUlvE3_clEvEUlsE_EEvS4_RKT_EUlibE0_EEviT1_.private_seg_size, 0
	.set _ZN2at6native32elementwise_kernel_manual_unrollILi128ELi4EZNS0_15gpu_kernel_implIZZZNS0_17clamp_kernel_cudaERNS_18TensorIteratorBaseERKN3c106ScalarES8_ENKUlvE_clEvENKUlvE3_clEvEUlsE_EEvS4_RKT_EUlibE0_EEviT1_.uses_vcc, 1
	.set _ZN2at6native32elementwise_kernel_manual_unrollILi128ELi4EZNS0_15gpu_kernel_implIZZZNS0_17clamp_kernel_cudaERNS_18TensorIteratorBaseERKN3c106ScalarES8_ENKUlvE_clEvENKUlvE3_clEvEUlsE_EEvS4_RKT_EUlibE0_EEviT1_.uses_flat_scratch, 0
	.set _ZN2at6native32elementwise_kernel_manual_unrollILi128ELi4EZNS0_15gpu_kernel_implIZZZNS0_17clamp_kernel_cudaERNS_18TensorIteratorBaseERKN3c106ScalarES8_ENKUlvE_clEvENKUlvE3_clEvEUlsE_EEvS4_RKT_EUlibE0_EEviT1_.has_dyn_sized_stack, 0
	.set _ZN2at6native32elementwise_kernel_manual_unrollILi128ELi4EZNS0_15gpu_kernel_implIZZZNS0_17clamp_kernel_cudaERNS_18TensorIteratorBaseERKN3c106ScalarES8_ENKUlvE_clEvENKUlvE3_clEvEUlsE_EEvS4_RKT_EUlibE0_EEviT1_.has_recursion, 0
	.set _ZN2at6native32elementwise_kernel_manual_unrollILi128ELi4EZNS0_15gpu_kernel_implIZZZNS0_17clamp_kernel_cudaERNS_18TensorIteratorBaseERKN3c106ScalarES8_ENKUlvE_clEvENKUlvE3_clEvEUlsE_EEvS4_RKT_EUlibE0_EEviT1_.has_indirect_call, 0
	.section	.AMDGPU.csdata,"",@progbits
; Kernel info:
; codeLenInByte = 35500
; TotalNumSgprs: 86
; NumVgprs: 18
; NumAgprs: 0
; TotalNumVgprs: 18
; ScratchSize: 0
; MemoryBound: 1
; FloatMode: 240
; IeeeMode: 1
; LDSByteSize: 0 bytes/workgroup (compile time only)
; SGPRBlocks: 10
; VGPRBlocks: 2
; NumSGPRsForWavesPerEU: 86
; NumVGPRsForWavesPerEU: 18
; AccumOffset: 20
; Occupancy: 8
; WaveLimiterHint : 1
; COMPUTE_PGM_RSRC2:SCRATCH_EN: 0
; COMPUTE_PGM_RSRC2:USER_SGPR: 2
; COMPUTE_PGM_RSRC2:TRAP_HANDLER: 0
; COMPUTE_PGM_RSRC2:TGID_X_EN: 1
; COMPUTE_PGM_RSRC2:TGID_Y_EN: 0
; COMPUTE_PGM_RSRC2:TGID_Z_EN: 0
; COMPUTE_PGM_RSRC2:TIDIG_COMP_CNT: 0
; COMPUTE_PGM_RSRC3_GFX90A:ACCUM_OFFSET: 4
; COMPUTE_PGM_RSRC3_GFX90A:TG_SPLIT: 0
	.section	.text._ZN2at6native29vectorized_elementwise_kernelILi16EZZZNS0_17clamp_kernel_cudaERNS_18TensorIteratorBaseERKN3c106ScalarES7_ENKUlvE_clEvENKUlvE4_clEvEUldE_St5arrayIPcLm2EEEEviT0_T1_,"axG",@progbits,_ZN2at6native29vectorized_elementwise_kernelILi16EZZZNS0_17clamp_kernel_cudaERNS_18TensorIteratorBaseERKN3c106ScalarES7_ENKUlvE_clEvENKUlvE4_clEvEUldE_St5arrayIPcLm2EEEEviT0_T1_,comdat
	.globl	_ZN2at6native29vectorized_elementwise_kernelILi16EZZZNS0_17clamp_kernel_cudaERNS_18TensorIteratorBaseERKN3c106ScalarES7_ENKUlvE_clEvENKUlvE4_clEvEUldE_St5arrayIPcLm2EEEEviT0_T1_ ; -- Begin function _ZN2at6native29vectorized_elementwise_kernelILi16EZZZNS0_17clamp_kernel_cudaERNS_18TensorIteratorBaseERKN3c106ScalarES7_ENKUlvE_clEvENKUlvE4_clEvEUldE_St5arrayIPcLm2EEEEviT0_T1_
	.p2align	8
	.type	_ZN2at6native29vectorized_elementwise_kernelILi16EZZZNS0_17clamp_kernel_cudaERNS_18TensorIteratorBaseERKN3c106ScalarES7_ENKUlvE_clEvENKUlvE4_clEvEUldE_St5arrayIPcLm2EEEEviT0_T1_,@function
_ZN2at6native29vectorized_elementwise_kernelILi16EZZZNS0_17clamp_kernel_cudaERNS_18TensorIteratorBaseERKN3c106ScalarES7_ENKUlvE_clEvENKUlvE4_clEvEUldE_St5arrayIPcLm2EEEEviT0_T1_: ; @_ZN2at6native29vectorized_elementwise_kernelILi16EZZZNS0_17clamp_kernel_cudaERNS_18TensorIteratorBaseERKN3c106ScalarES7_ENKUlvE_clEvENKUlvE4_clEvEUldE_St5arrayIPcLm2EEEEviT0_T1_
; %bb.0:
	s_load_dword s3, s[0:1], 0x0
	s_load_dwordx8 s[4:11], s[0:1], 0x8
	s_lshl_b32 s2, s2, 10
	s_mov_b64 s[0:1], -1
	s_waitcnt lgkmcnt(0)
	s_sub_i32 s12, s3, s2
	s_cmpk_gt_i32 s12, 0x3ff
	v_max_f64 v[2:3], s[4:5], s[4:5]
	v_max_f64 v[4:5], s[6:7], s[6:7]
	s_cbranch_scc0 .LBB314_2
; %bb.1:
	s_ashr_i32 s3, s2, 31
	s_lshl_b64 s[0:1], s[2:3], 3
	s_add_u32 s4, s10, s0
	s_addc_u32 s5, s11, s1
	v_lshlrev_b32_e32 v1, 5, v0
	global_load_dwordx4 v[6:9], v1, s[4:5]
	global_load_dwordx4 v[10:13], v1, s[4:5] offset:16
	s_add_u32 s0, s8, s0
	s_addc_u32 s1, s9, s1
	s_waitcnt vmcnt(1)
	v_max_f64 v[14:15], v[6:7], v[6:7]
	v_max_f64 v[16:17], v[8:9], v[8:9]
	;; [unrolled: 1-line block ×3, first 2 shown]
	s_waitcnt vmcnt(0)
	v_max_f64 v[18:19], v[10:11], v[10:11]
	v_max_f64 v[16:17], v[16:17], v[2:3]
	v_min_f64 v[14:15], v[14:15], v[4:5]
	v_cmp_u_f64_e32 vcc, v[6:7], v[6:7]
	v_max_f64 v[20:21], v[12:13], v[12:13]
	v_max_f64 v[18:19], v[18:19], v[2:3]
	v_min_f64 v[16:17], v[16:17], v[4:5]
	v_cndmask_b32_e32 v7, v15, v7, vcc
	v_cndmask_b32_e32 v6, v14, v6, vcc
	v_cmp_u_f64_e32 vcc, v[8:9], v[8:9]
	v_max_f64 v[20:21], v[20:21], v[2:3]
	v_min_f64 v[18:19], v[18:19], v[4:5]
	v_cndmask_b32_e32 v9, v17, v9, vcc
	v_cndmask_b32_e32 v8, v16, v8, vcc
	v_cmp_u_f64_e32 vcc, v[10:11], v[10:11]
	v_min_f64 v[20:21], v[20:21], v[4:5]
	s_nop 0
	v_cndmask_b32_e32 v11, v19, v11, vcc
	v_cndmask_b32_e32 v10, v18, v10, vcc
	v_cmp_u_f64_e32 vcc, v[12:13], v[12:13]
	s_nop 1
	v_cndmask_b32_e32 v13, v21, v13, vcc
	v_cndmask_b32_e32 v12, v20, v12, vcc
	global_store_dwordx4 v1, v[6:9], s[0:1]
	global_store_dwordx4 v1, v[10:13], s[0:1] offset:16
	s_mov_b64 s[0:1], 0
.LBB314_2:
	s_andn2_b64 vcc, exec, s[0:1]
	s_cbranch_vccnz .LBB314_16
; %bb.3:
	v_cmp_gt_i32_e32 vcc, s12, v0
	v_mov_b64_e32 v[8:9], 0
	v_or_b32_e32 v6, s2, v0
	v_mov_b64_e32 v[10:11], 0
	v_mov_b32_e32 v1, v0
	s_and_saveexec_b64 s[0:1], vcc
	s_cbranch_execz .LBB314_5
; %bb.4:
	v_mov_b32_e32 v7, 0
	v_lshl_add_u64 v[10:11], v[6:7], 3, s[10:11]
	global_load_dwordx2 v[10:11], v[10:11], off
	v_or_b32_e32 v1, 0x100, v0
.LBB314_5:
	s_or_b64 exec, exec, s[0:1]
	v_cmp_gt_i32_e64 s[0:1], s12, v1
	s_and_saveexec_b64 s[4:5], s[0:1]
	s_cbranch_execz .LBB314_7
; %bb.6:
	v_add_u32_e32 v8, s2, v1
	v_mov_b32_e32 v9, 0
	v_lshl_add_u64 v[8:9], v[8:9], 3, s[10:11]
	global_load_dwordx2 v[8:9], v[8:9], off
	v_add_u32_e32 v1, 0x100, v1
.LBB314_7:
	s_or_b64 exec, exec, s[4:5]
	v_cmp_gt_i32_e64 s[0:1], s12, v1
	v_mov_b64_e32 v[12:13], 0
	v_mov_b64_e32 v[14:15], 0
	s_and_saveexec_b64 s[4:5], s[0:1]
	s_cbranch_execz .LBB314_9
; %bb.8:
	v_add_u32_e32 v14, s2, v1
	v_mov_b32_e32 v15, 0
	v_lshl_add_u64 v[14:15], v[14:15], 3, s[10:11]
	global_load_dwordx2 v[14:15], v[14:15], off
	v_add_u32_e32 v1, 0x100, v1
.LBB314_9:
	s_or_b64 exec, exec, s[4:5]
	v_cmp_gt_i32_e64 s[0:1], s12, v1
	s_and_saveexec_b64 s[4:5], s[0:1]
	s_cbranch_execz .LBB314_11
; %bb.10:
	v_add_u32_e32 v12, s2, v1
	v_mov_b32_e32 v13, 0
	v_lshl_add_u64 v[12:13], v[12:13], 3, s[10:11]
	global_load_dwordx2 v[12:13], v[12:13], off
.LBB314_11:
	s_or_b64 exec, exec, s[4:5]
	s_waitcnt vmcnt(0)
	v_max_f64 v[16:17], v[10:11], v[10:11]
	v_max_f64 v[16:17], v[16:17], v[2:3]
	v_min_f64 v[16:17], v[16:17], v[4:5]
	v_cmp_u_f64_e64 s[0:1], v[10:11], v[10:11]
	s_nop 1
	v_cndmask_b32_e64 v1, v16, v10, s[0:1]
	v_cndmask_b32_e64 v7, v17, v11, s[0:1]
	v_max_f64 v[10:11], v[8:9], v[8:9]
	v_max_f64 v[10:11], v[10:11], v[2:3]
	v_cndmask_b32_e32 v16, 0, v1, vcc
	v_or_b32_e32 v1, 0x100, v0
	v_min_f64 v[10:11], v[10:11], v[4:5]
	v_cmp_u_f64_e64 s[0:1], v[8:9], v[8:9]
	v_cndmask_b32_e32 v17, 0, v7, vcc
	s_nop 0
	v_cndmask_b32_e64 v7, v10, v8, s[0:1]
	v_cndmask_b32_e64 v8, v11, v9, s[0:1]
	v_cmp_gt_i32_e64 s[0:1], s12, v1
	s_nop 1
	v_cndmask_b32_e64 v11, 0, v8, s[0:1]
	v_max_f64 v[8:9], v[14:15], v[14:15]
	v_max_f64 v[8:9], v[8:9], v[2:3]
	v_cndmask_b32_e64 v10, 0, v7, s[0:1]
	v_min_f64 v[8:9], v[8:9], v[4:5]
	v_cmp_u_f64_e64 s[0:1], v[14:15], v[14:15]
	v_or_b32_e32 v7, 0x200, v0
	s_nop 0
	v_cndmask_b32_e64 v8, v8, v14, s[0:1]
	v_cndmask_b32_e64 v9, v9, v15, s[0:1]
	v_max_f64 v[14:15], v[12:13], v[12:13]
	v_cmp_gt_i32_e64 s[0:1], s12, v7
	v_max_f64 v[2:3], v[14:15], v[2:3]
	v_or_b32_e32 v7, 0x300, v0
	v_cndmask_b32_e64 v9, 0, v9, s[0:1]
	v_cndmask_b32_e64 v8, 0, v8, s[0:1]
	v_min_f64 v[2:3], v[2:3], v[4:5]
	v_cmp_u_f64_e64 s[0:1], v[12:13], v[12:13]
	s_nop 1
	v_cndmask_b32_e64 v2, v2, v12, s[0:1]
	v_cndmask_b32_e64 v3, v3, v13, s[0:1]
	v_cmp_gt_i32_e64 s[0:1], s12, v7
	s_nop 1
	v_cndmask_b32_e64 v3, 0, v3, s[0:1]
	v_cndmask_b32_e64 v2, 0, v2, s[0:1]
	s_and_saveexec_b64 s[0:1], vcc
	s_cbranch_execnz .LBB314_17
; %bb.12:
	s_or_b64 exec, exec, s[0:1]
	v_cmp_gt_i32_e32 vcc, s12, v0
	s_and_saveexec_b64 s[0:1], vcc
	s_cbranch_execnz .LBB314_18
.LBB314_13:
	s_or_b64 exec, exec, s[0:1]
	v_cmp_gt_i32_e32 vcc, s12, v0
	s_and_saveexec_b64 s[0:1], vcc
	s_cbranch_execnz .LBB314_19
.LBB314_14:
	s_or_b64 exec, exec, s[0:1]
	v_cmp_gt_i32_e32 vcc, s12, v0
	s_and_saveexec_b64 s[0:1], vcc
	s_cbranch_execz .LBB314_16
.LBB314_15:
	v_add_u32_e32 v0, s2, v0
	v_mov_b32_e32 v1, 0
	v_lshl_add_u64 v[0:1], v[0:1], 3, s[8:9]
	global_store_dwordx2 v[0:1], v[2:3], off
.LBB314_16:
	s_endpgm
.LBB314_17:
	v_mov_b32_e32 v7, 0
	v_lshl_add_u64 v[4:5], v[6:7], 3, s[8:9]
	v_mov_b32_e32 v0, v1
	global_store_dwordx2 v[4:5], v[16:17], off
	s_or_b64 exec, exec, s[0:1]
	v_cmp_gt_i32_e32 vcc, s12, v0
	s_and_saveexec_b64 s[0:1], vcc
	s_cbranch_execz .LBB314_13
.LBB314_18:
	v_add_u32_e32 v4, s2, v0
	v_mov_b32_e32 v5, 0
	v_lshl_add_u64 v[4:5], v[4:5], 3, s[8:9]
	v_add_u32_e32 v0, 0x100, v0
	global_store_dwordx2 v[4:5], v[10:11], off
	s_or_b64 exec, exec, s[0:1]
	v_cmp_gt_i32_e32 vcc, s12, v0
	s_and_saveexec_b64 s[0:1], vcc
	s_cbranch_execz .LBB314_14
.LBB314_19:
	v_add_u32_e32 v4, s2, v0
	v_mov_b32_e32 v5, 0
	v_lshl_add_u64 v[4:5], v[4:5], 3, s[8:9]
	v_add_u32_e32 v0, 0x100, v0
	global_store_dwordx2 v[4:5], v[8:9], off
	s_or_b64 exec, exec, s[0:1]
	v_cmp_gt_i32_e32 vcc, s12, v0
	s_and_saveexec_b64 s[0:1], vcc
	s_cbranch_execnz .LBB314_15
	s_branch .LBB314_16
	.section	.rodata,"a",@progbits
	.p2align	6, 0x0
	.amdhsa_kernel _ZN2at6native29vectorized_elementwise_kernelILi16EZZZNS0_17clamp_kernel_cudaERNS_18TensorIteratorBaseERKN3c106ScalarES7_ENKUlvE_clEvENKUlvE4_clEvEUldE_St5arrayIPcLm2EEEEviT0_T1_
		.amdhsa_group_segment_fixed_size 0
		.amdhsa_private_segment_fixed_size 0
		.amdhsa_kernarg_size 40
		.amdhsa_user_sgpr_count 2
		.amdhsa_user_sgpr_dispatch_ptr 0
		.amdhsa_user_sgpr_queue_ptr 0
		.amdhsa_user_sgpr_kernarg_segment_ptr 1
		.amdhsa_user_sgpr_dispatch_id 0
		.amdhsa_user_sgpr_kernarg_preload_length 0
		.amdhsa_user_sgpr_kernarg_preload_offset 0
		.amdhsa_user_sgpr_private_segment_size 0
		.amdhsa_uses_dynamic_stack 0
		.amdhsa_enable_private_segment 0
		.amdhsa_system_sgpr_workgroup_id_x 1
		.amdhsa_system_sgpr_workgroup_id_y 0
		.amdhsa_system_sgpr_workgroup_id_z 0
		.amdhsa_system_sgpr_workgroup_info 0
		.amdhsa_system_vgpr_workitem_id 0
		.amdhsa_next_free_vgpr 22
		.amdhsa_next_free_sgpr 13
		.amdhsa_accum_offset 24
		.amdhsa_reserve_vcc 1
		.amdhsa_float_round_mode_32 0
		.amdhsa_float_round_mode_16_64 0
		.amdhsa_float_denorm_mode_32 3
		.amdhsa_float_denorm_mode_16_64 3
		.amdhsa_dx10_clamp 1
		.amdhsa_ieee_mode 1
		.amdhsa_fp16_overflow 0
		.amdhsa_tg_split 0
		.amdhsa_exception_fp_ieee_invalid_op 0
		.amdhsa_exception_fp_denorm_src 0
		.amdhsa_exception_fp_ieee_div_zero 0
		.amdhsa_exception_fp_ieee_overflow 0
		.amdhsa_exception_fp_ieee_underflow 0
		.amdhsa_exception_fp_ieee_inexact 0
		.amdhsa_exception_int_div_zero 0
	.end_amdhsa_kernel
	.section	.text._ZN2at6native29vectorized_elementwise_kernelILi16EZZZNS0_17clamp_kernel_cudaERNS_18TensorIteratorBaseERKN3c106ScalarES7_ENKUlvE_clEvENKUlvE4_clEvEUldE_St5arrayIPcLm2EEEEviT0_T1_,"axG",@progbits,_ZN2at6native29vectorized_elementwise_kernelILi16EZZZNS0_17clamp_kernel_cudaERNS_18TensorIteratorBaseERKN3c106ScalarES7_ENKUlvE_clEvENKUlvE4_clEvEUldE_St5arrayIPcLm2EEEEviT0_T1_,comdat
.Lfunc_end314:
	.size	_ZN2at6native29vectorized_elementwise_kernelILi16EZZZNS0_17clamp_kernel_cudaERNS_18TensorIteratorBaseERKN3c106ScalarES7_ENKUlvE_clEvENKUlvE4_clEvEUldE_St5arrayIPcLm2EEEEviT0_T1_, .Lfunc_end314-_ZN2at6native29vectorized_elementwise_kernelILi16EZZZNS0_17clamp_kernel_cudaERNS_18TensorIteratorBaseERKN3c106ScalarES7_ENKUlvE_clEvENKUlvE4_clEvEUldE_St5arrayIPcLm2EEEEviT0_T1_
                                        ; -- End function
	.set _ZN2at6native29vectorized_elementwise_kernelILi16EZZZNS0_17clamp_kernel_cudaERNS_18TensorIteratorBaseERKN3c106ScalarES7_ENKUlvE_clEvENKUlvE4_clEvEUldE_St5arrayIPcLm2EEEEviT0_T1_.num_vgpr, 22
	.set _ZN2at6native29vectorized_elementwise_kernelILi16EZZZNS0_17clamp_kernel_cudaERNS_18TensorIteratorBaseERKN3c106ScalarES7_ENKUlvE_clEvENKUlvE4_clEvEUldE_St5arrayIPcLm2EEEEviT0_T1_.num_agpr, 0
	.set _ZN2at6native29vectorized_elementwise_kernelILi16EZZZNS0_17clamp_kernel_cudaERNS_18TensorIteratorBaseERKN3c106ScalarES7_ENKUlvE_clEvENKUlvE4_clEvEUldE_St5arrayIPcLm2EEEEviT0_T1_.numbered_sgpr, 13
	.set _ZN2at6native29vectorized_elementwise_kernelILi16EZZZNS0_17clamp_kernel_cudaERNS_18TensorIteratorBaseERKN3c106ScalarES7_ENKUlvE_clEvENKUlvE4_clEvEUldE_St5arrayIPcLm2EEEEviT0_T1_.num_named_barrier, 0
	.set _ZN2at6native29vectorized_elementwise_kernelILi16EZZZNS0_17clamp_kernel_cudaERNS_18TensorIteratorBaseERKN3c106ScalarES7_ENKUlvE_clEvENKUlvE4_clEvEUldE_St5arrayIPcLm2EEEEviT0_T1_.private_seg_size, 0
	.set _ZN2at6native29vectorized_elementwise_kernelILi16EZZZNS0_17clamp_kernel_cudaERNS_18TensorIteratorBaseERKN3c106ScalarES7_ENKUlvE_clEvENKUlvE4_clEvEUldE_St5arrayIPcLm2EEEEviT0_T1_.uses_vcc, 1
	.set _ZN2at6native29vectorized_elementwise_kernelILi16EZZZNS0_17clamp_kernel_cudaERNS_18TensorIteratorBaseERKN3c106ScalarES7_ENKUlvE_clEvENKUlvE4_clEvEUldE_St5arrayIPcLm2EEEEviT0_T1_.uses_flat_scratch, 0
	.set _ZN2at6native29vectorized_elementwise_kernelILi16EZZZNS0_17clamp_kernel_cudaERNS_18TensorIteratorBaseERKN3c106ScalarES7_ENKUlvE_clEvENKUlvE4_clEvEUldE_St5arrayIPcLm2EEEEviT0_T1_.has_dyn_sized_stack, 0
	.set _ZN2at6native29vectorized_elementwise_kernelILi16EZZZNS0_17clamp_kernel_cudaERNS_18TensorIteratorBaseERKN3c106ScalarES7_ENKUlvE_clEvENKUlvE4_clEvEUldE_St5arrayIPcLm2EEEEviT0_T1_.has_recursion, 0
	.set _ZN2at6native29vectorized_elementwise_kernelILi16EZZZNS0_17clamp_kernel_cudaERNS_18TensorIteratorBaseERKN3c106ScalarES7_ENKUlvE_clEvENKUlvE4_clEvEUldE_St5arrayIPcLm2EEEEviT0_T1_.has_indirect_call, 0
	.section	.AMDGPU.csdata,"",@progbits
; Kernel info:
; codeLenInByte = 1052
; TotalNumSgprs: 19
; NumVgprs: 22
; NumAgprs: 0
; TotalNumVgprs: 22
; ScratchSize: 0
; MemoryBound: 0
; FloatMode: 240
; IeeeMode: 1
; LDSByteSize: 0 bytes/workgroup (compile time only)
; SGPRBlocks: 2
; VGPRBlocks: 2
; NumSGPRsForWavesPerEU: 19
; NumVGPRsForWavesPerEU: 22
; AccumOffset: 24
; Occupancy: 8
; WaveLimiterHint : 0
; COMPUTE_PGM_RSRC2:SCRATCH_EN: 0
; COMPUTE_PGM_RSRC2:USER_SGPR: 2
; COMPUTE_PGM_RSRC2:TRAP_HANDLER: 0
; COMPUTE_PGM_RSRC2:TGID_X_EN: 1
; COMPUTE_PGM_RSRC2:TGID_Y_EN: 0
; COMPUTE_PGM_RSRC2:TGID_Z_EN: 0
; COMPUTE_PGM_RSRC2:TIDIG_COMP_CNT: 0
; COMPUTE_PGM_RSRC3_GFX90A:ACCUM_OFFSET: 5
; COMPUTE_PGM_RSRC3_GFX90A:TG_SPLIT: 0
	.section	.text._ZN2at6native29vectorized_elementwise_kernelILi8EZZZNS0_17clamp_kernel_cudaERNS_18TensorIteratorBaseERKN3c106ScalarES7_ENKUlvE_clEvENKUlvE4_clEvEUldE_St5arrayIPcLm2EEEEviT0_T1_,"axG",@progbits,_ZN2at6native29vectorized_elementwise_kernelILi8EZZZNS0_17clamp_kernel_cudaERNS_18TensorIteratorBaseERKN3c106ScalarES7_ENKUlvE_clEvENKUlvE4_clEvEUldE_St5arrayIPcLm2EEEEviT0_T1_,comdat
	.globl	_ZN2at6native29vectorized_elementwise_kernelILi8EZZZNS0_17clamp_kernel_cudaERNS_18TensorIteratorBaseERKN3c106ScalarES7_ENKUlvE_clEvENKUlvE4_clEvEUldE_St5arrayIPcLm2EEEEviT0_T1_ ; -- Begin function _ZN2at6native29vectorized_elementwise_kernelILi8EZZZNS0_17clamp_kernel_cudaERNS_18TensorIteratorBaseERKN3c106ScalarES7_ENKUlvE_clEvENKUlvE4_clEvEUldE_St5arrayIPcLm2EEEEviT0_T1_
	.p2align	8
	.type	_ZN2at6native29vectorized_elementwise_kernelILi8EZZZNS0_17clamp_kernel_cudaERNS_18TensorIteratorBaseERKN3c106ScalarES7_ENKUlvE_clEvENKUlvE4_clEvEUldE_St5arrayIPcLm2EEEEviT0_T1_,@function
_ZN2at6native29vectorized_elementwise_kernelILi8EZZZNS0_17clamp_kernel_cudaERNS_18TensorIteratorBaseERKN3c106ScalarES7_ENKUlvE_clEvENKUlvE4_clEvEUldE_St5arrayIPcLm2EEEEviT0_T1_: ; @_ZN2at6native29vectorized_elementwise_kernelILi8EZZZNS0_17clamp_kernel_cudaERNS_18TensorIteratorBaseERKN3c106ScalarES7_ENKUlvE_clEvENKUlvE4_clEvEUldE_St5arrayIPcLm2EEEEviT0_T1_
; %bb.0:
	s_load_dword s3, s[0:1], 0x0
	s_load_dwordx8 s[4:11], s[0:1], 0x8
	s_lshl_b32 s2, s2, 10
	s_mov_b64 s[0:1], -1
	s_waitcnt lgkmcnt(0)
	s_sub_i32 s12, s3, s2
	s_cmpk_gt_i32 s12, 0x3ff
	v_max_f64 v[2:3], s[4:5], s[4:5]
	v_max_f64 v[4:5], s[6:7], s[6:7]
	s_cbranch_scc0 .LBB315_2
; %bb.1:
	s_ashr_i32 s3, s2, 31
	s_lshl_b64 s[0:1], s[2:3], 3
	s_add_u32 s4, s10, s0
	s_addc_u32 s5, s11, s1
	v_lshlrev_b32_e32 v1, 5, v0
	global_load_dwordx4 v[6:9], v1, s[4:5]
	global_load_dwordx4 v[10:13], v1, s[4:5] offset:16
	s_add_u32 s0, s8, s0
	s_addc_u32 s1, s9, s1
	s_waitcnt vmcnt(1)
	v_max_f64 v[14:15], v[6:7], v[6:7]
	v_max_f64 v[16:17], v[8:9], v[8:9]
	;; [unrolled: 1-line block ×3, first 2 shown]
	s_waitcnt vmcnt(0)
	v_max_f64 v[18:19], v[10:11], v[10:11]
	v_max_f64 v[16:17], v[16:17], v[2:3]
	v_min_f64 v[14:15], v[14:15], v[4:5]
	v_cmp_u_f64_e32 vcc, v[6:7], v[6:7]
	v_max_f64 v[20:21], v[12:13], v[12:13]
	v_max_f64 v[18:19], v[18:19], v[2:3]
	v_min_f64 v[16:17], v[16:17], v[4:5]
	v_cndmask_b32_e32 v7, v15, v7, vcc
	v_cndmask_b32_e32 v6, v14, v6, vcc
	v_cmp_u_f64_e32 vcc, v[8:9], v[8:9]
	v_max_f64 v[20:21], v[20:21], v[2:3]
	v_min_f64 v[18:19], v[18:19], v[4:5]
	v_cndmask_b32_e32 v9, v17, v9, vcc
	v_cndmask_b32_e32 v8, v16, v8, vcc
	v_cmp_u_f64_e32 vcc, v[10:11], v[10:11]
	v_min_f64 v[20:21], v[20:21], v[4:5]
	s_nop 0
	v_cndmask_b32_e32 v11, v19, v11, vcc
	v_cndmask_b32_e32 v10, v18, v10, vcc
	v_cmp_u_f64_e32 vcc, v[12:13], v[12:13]
	s_nop 1
	v_cndmask_b32_e32 v13, v21, v13, vcc
	v_cndmask_b32_e32 v12, v20, v12, vcc
	global_store_dwordx4 v1, v[6:9], s[0:1]
	global_store_dwordx4 v1, v[10:13], s[0:1] offset:16
	s_mov_b64 s[0:1], 0
.LBB315_2:
	s_andn2_b64 vcc, exec, s[0:1]
	s_cbranch_vccnz .LBB315_16
; %bb.3:
	v_cmp_gt_i32_e32 vcc, s12, v0
	v_mov_b64_e32 v[8:9], 0
	v_or_b32_e32 v6, s2, v0
	v_mov_b64_e32 v[10:11], 0
	v_mov_b32_e32 v1, v0
	s_and_saveexec_b64 s[0:1], vcc
	s_cbranch_execz .LBB315_5
; %bb.4:
	v_mov_b32_e32 v7, 0
	v_lshl_add_u64 v[10:11], v[6:7], 3, s[10:11]
	global_load_dwordx2 v[10:11], v[10:11], off
	v_or_b32_e32 v1, 0x100, v0
.LBB315_5:
	s_or_b64 exec, exec, s[0:1]
	v_cmp_gt_i32_e64 s[0:1], s12, v1
	s_and_saveexec_b64 s[4:5], s[0:1]
	s_cbranch_execz .LBB315_7
; %bb.6:
	v_add_u32_e32 v8, s2, v1
	v_mov_b32_e32 v9, 0
	v_lshl_add_u64 v[8:9], v[8:9], 3, s[10:11]
	global_load_dwordx2 v[8:9], v[8:9], off
	v_add_u32_e32 v1, 0x100, v1
.LBB315_7:
	s_or_b64 exec, exec, s[4:5]
	v_cmp_gt_i32_e64 s[0:1], s12, v1
	v_mov_b64_e32 v[12:13], 0
	v_mov_b64_e32 v[14:15], 0
	s_and_saveexec_b64 s[4:5], s[0:1]
	s_cbranch_execz .LBB315_9
; %bb.8:
	v_add_u32_e32 v14, s2, v1
	v_mov_b32_e32 v15, 0
	v_lshl_add_u64 v[14:15], v[14:15], 3, s[10:11]
	global_load_dwordx2 v[14:15], v[14:15], off
	v_add_u32_e32 v1, 0x100, v1
.LBB315_9:
	s_or_b64 exec, exec, s[4:5]
	v_cmp_gt_i32_e64 s[0:1], s12, v1
	s_and_saveexec_b64 s[4:5], s[0:1]
	s_cbranch_execz .LBB315_11
; %bb.10:
	v_add_u32_e32 v12, s2, v1
	v_mov_b32_e32 v13, 0
	v_lshl_add_u64 v[12:13], v[12:13], 3, s[10:11]
	global_load_dwordx2 v[12:13], v[12:13], off
.LBB315_11:
	s_or_b64 exec, exec, s[4:5]
	s_waitcnt vmcnt(0)
	v_max_f64 v[16:17], v[10:11], v[10:11]
	v_max_f64 v[16:17], v[16:17], v[2:3]
	v_min_f64 v[16:17], v[16:17], v[4:5]
	v_cmp_u_f64_e64 s[0:1], v[10:11], v[10:11]
	s_nop 1
	v_cndmask_b32_e64 v1, v16, v10, s[0:1]
	v_cndmask_b32_e64 v7, v17, v11, s[0:1]
	v_max_f64 v[10:11], v[8:9], v[8:9]
	v_max_f64 v[10:11], v[10:11], v[2:3]
	v_cndmask_b32_e32 v16, 0, v1, vcc
	v_or_b32_e32 v1, 0x100, v0
	v_min_f64 v[10:11], v[10:11], v[4:5]
	v_cmp_u_f64_e64 s[0:1], v[8:9], v[8:9]
	v_cndmask_b32_e32 v17, 0, v7, vcc
	s_nop 0
	v_cndmask_b32_e64 v7, v10, v8, s[0:1]
	v_cndmask_b32_e64 v8, v11, v9, s[0:1]
	v_cmp_gt_i32_e64 s[0:1], s12, v1
	s_nop 1
	v_cndmask_b32_e64 v11, 0, v8, s[0:1]
	v_max_f64 v[8:9], v[14:15], v[14:15]
	v_max_f64 v[8:9], v[8:9], v[2:3]
	v_cndmask_b32_e64 v10, 0, v7, s[0:1]
	v_min_f64 v[8:9], v[8:9], v[4:5]
	v_cmp_u_f64_e64 s[0:1], v[14:15], v[14:15]
	v_or_b32_e32 v7, 0x200, v0
	s_nop 0
	v_cndmask_b32_e64 v8, v8, v14, s[0:1]
	v_cndmask_b32_e64 v9, v9, v15, s[0:1]
	v_max_f64 v[14:15], v[12:13], v[12:13]
	v_cmp_gt_i32_e64 s[0:1], s12, v7
	v_max_f64 v[2:3], v[14:15], v[2:3]
	v_or_b32_e32 v7, 0x300, v0
	v_cndmask_b32_e64 v9, 0, v9, s[0:1]
	v_cndmask_b32_e64 v8, 0, v8, s[0:1]
	v_min_f64 v[2:3], v[2:3], v[4:5]
	v_cmp_u_f64_e64 s[0:1], v[12:13], v[12:13]
	s_nop 1
	v_cndmask_b32_e64 v2, v2, v12, s[0:1]
	v_cndmask_b32_e64 v3, v3, v13, s[0:1]
	v_cmp_gt_i32_e64 s[0:1], s12, v7
	s_nop 1
	v_cndmask_b32_e64 v3, 0, v3, s[0:1]
	v_cndmask_b32_e64 v2, 0, v2, s[0:1]
	s_and_saveexec_b64 s[0:1], vcc
	s_cbranch_execnz .LBB315_17
; %bb.12:
	s_or_b64 exec, exec, s[0:1]
	v_cmp_gt_i32_e32 vcc, s12, v0
	s_and_saveexec_b64 s[0:1], vcc
	s_cbranch_execnz .LBB315_18
.LBB315_13:
	s_or_b64 exec, exec, s[0:1]
	v_cmp_gt_i32_e32 vcc, s12, v0
	s_and_saveexec_b64 s[0:1], vcc
	s_cbranch_execnz .LBB315_19
.LBB315_14:
	s_or_b64 exec, exec, s[0:1]
	v_cmp_gt_i32_e32 vcc, s12, v0
	s_and_saveexec_b64 s[0:1], vcc
	s_cbranch_execz .LBB315_16
.LBB315_15:
	v_add_u32_e32 v0, s2, v0
	v_mov_b32_e32 v1, 0
	v_lshl_add_u64 v[0:1], v[0:1], 3, s[8:9]
	global_store_dwordx2 v[0:1], v[2:3], off
.LBB315_16:
	s_endpgm
.LBB315_17:
	v_mov_b32_e32 v7, 0
	v_lshl_add_u64 v[4:5], v[6:7], 3, s[8:9]
	v_mov_b32_e32 v0, v1
	global_store_dwordx2 v[4:5], v[16:17], off
	s_or_b64 exec, exec, s[0:1]
	v_cmp_gt_i32_e32 vcc, s12, v0
	s_and_saveexec_b64 s[0:1], vcc
	s_cbranch_execz .LBB315_13
.LBB315_18:
	v_add_u32_e32 v4, s2, v0
	v_mov_b32_e32 v5, 0
	v_lshl_add_u64 v[4:5], v[4:5], 3, s[8:9]
	v_add_u32_e32 v0, 0x100, v0
	global_store_dwordx2 v[4:5], v[10:11], off
	s_or_b64 exec, exec, s[0:1]
	v_cmp_gt_i32_e32 vcc, s12, v0
	s_and_saveexec_b64 s[0:1], vcc
	s_cbranch_execz .LBB315_14
.LBB315_19:
	v_add_u32_e32 v4, s2, v0
	v_mov_b32_e32 v5, 0
	v_lshl_add_u64 v[4:5], v[4:5], 3, s[8:9]
	v_add_u32_e32 v0, 0x100, v0
	global_store_dwordx2 v[4:5], v[8:9], off
	s_or_b64 exec, exec, s[0:1]
	v_cmp_gt_i32_e32 vcc, s12, v0
	s_and_saveexec_b64 s[0:1], vcc
	s_cbranch_execnz .LBB315_15
	s_branch .LBB315_16
	.section	.rodata,"a",@progbits
	.p2align	6, 0x0
	.amdhsa_kernel _ZN2at6native29vectorized_elementwise_kernelILi8EZZZNS0_17clamp_kernel_cudaERNS_18TensorIteratorBaseERKN3c106ScalarES7_ENKUlvE_clEvENKUlvE4_clEvEUldE_St5arrayIPcLm2EEEEviT0_T1_
		.amdhsa_group_segment_fixed_size 0
		.amdhsa_private_segment_fixed_size 0
		.amdhsa_kernarg_size 40
		.amdhsa_user_sgpr_count 2
		.amdhsa_user_sgpr_dispatch_ptr 0
		.amdhsa_user_sgpr_queue_ptr 0
		.amdhsa_user_sgpr_kernarg_segment_ptr 1
		.amdhsa_user_sgpr_dispatch_id 0
		.amdhsa_user_sgpr_kernarg_preload_length 0
		.amdhsa_user_sgpr_kernarg_preload_offset 0
		.amdhsa_user_sgpr_private_segment_size 0
		.amdhsa_uses_dynamic_stack 0
		.amdhsa_enable_private_segment 0
		.amdhsa_system_sgpr_workgroup_id_x 1
		.amdhsa_system_sgpr_workgroup_id_y 0
		.amdhsa_system_sgpr_workgroup_id_z 0
		.amdhsa_system_sgpr_workgroup_info 0
		.amdhsa_system_vgpr_workitem_id 0
		.amdhsa_next_free_vgpr 22
		.amdhsa_next_free_sgpr 13
		.amdhsa_accum_offset 24
		.amdhsa_reserve_vcc 1
		.amdhsa_float_round_mode_32 0
		.amdhsa_float_round_mode_16_64 0
		.amdhsa_float_denorm_mode_32 3
		.amdhsa_float_denorm_mode_16_64 3
		.amdhsa_dx10_clamp 1
		.amdhsa_ieee_mode 1
		.amdhsa_fp16_overflow 0
		.amdhsa_tg_split 0
		.amdhsa_exception_fp_ieee_invalid_op 0
		.amdhsa_exception_fp_denorm_src 0
		.amdhsa_exception_fp_ieee_div_zero 0
		.amdhsa_exception_fp_ieee_overflow 0
		.amdhsa_exception_fp_ieee_underflow 0
		.amdhsa_exception_fp_ieee_inexact 0
		.amdhsa_exception_int_div_zero 0
	.end_amdhsa_kernel
	.section	.text._ZN2at6native29vectorized_elementwise_kernelILi8EZZZNS0_17clamp_kernel_cudaERNS_18TensorIteratorBaseERKN3c106ScalarES7_ENKUlvE_clEvENKUlvE4_clEvEUldE_St5arrayIPcLm2EEEEviT0_T1_,"axG",@progbits,_ZN2at6native29vectorized_elementwise_kernelILi8EZZZNS0_17clamp_kernel_cudaERNS_18TensorIteratorBaseERKN3c106ScalarES7_ENKUlvE_clEvENKUlvE4_clEvEUldE_St5arrayIPcLm2EEEEviT0_T1_,comdat
.Lfunc_end315:
	.size	_ZN2at6native29vectorized_elementwise_kernelILi8EZZZNS0_17clamp_kernel_cudaERNS_18TensorIteratorBaseERKN3c106ScalarES7_ENKUlvE_clEvENKUlvE4_clEvEUldE_St5arrayIPcLm2EEEEviT0_T1_, .Lfunc_end315-_ZN2at6native29vectorized_elementwise_kernelILi8EZZZNS0_17clamp_kernel_cudaERNS_18TensorIteratorBaseERKN3c106ScalarES7_ENKUlvE_clEvENKUlvE4_clEvEUldE_St5arrayIPcLm2EEEEviT0_T1_
                                        ; -- End function
	.set _ZN2at6native29vectorized_elementwise_kernelILi8EZZZNS0_17clamp_kernel_cudaERNS_18TensorIteratorBaseERKN3c106ScalarES7_ENKUlvE_clEvENKUlvE4_clEvEUldE_St5arrayIPcLm2EEEEviT0_T1_.num_vgpr, 22
	.set _ZN2at6native29vectorized_elementwise_kernelILi8EZZZNS0_17clamp_kernel_cudaERNS_18TensorIteratorBaseERKN3c106ScalarES7_ENKUlvE_clEvENKUlvE4_clEvEUldE_St5arrayIPcLm2EEEEviT0_T1_.num_agpr, 0
	.set _ZN2at6native29vectorized_elementwise_kernelILi8EZZZNS0_17clamp_kernel_cudaERNS_18TensorIteratorBaseERKN3c106ScalarES7_ENKUlvE_clEvENKUlvE4_clEvEUldE_St5arrayIPcLm2EEEEviT0_T1_.numbered_sgpr, 13
	.set _ZN2at6native29vectorized_elementwise_kernelILi8EZZZNS0_17clamp_kernel_cudaERNS_18TensorIteratorBaseERKN3c106ScalarES7_ENKUlvE_clEvENKUlvE4_clEvEUldE_St5arrayIPcLm2EEEEviT0_T1_.num_named_barrier, 0
	.set _ZN2at6native29vectorized_elementwise_kernelILi8EZZZNS0_17clamp_kernel_cudaERNS_18TensorIteratorBaseERKN3c106ScalarES7_ENKUlvE_clEvENKUlvE4_clEvEUldE_St5arrayIPcLm2EEEEviT0_T1_.private_seg_size, 0
	.set _ZN2at6native29vectorized_elementwise_kernelILi8EZZZNS0_17clamp_kernel_cudaERNS_18TensorIteratorBaseERKN3c106ScalarES7_ENKUlvE_clEvENKUlvE4_clEvEUldE_St5arrayIPcLm2EEEEviT0_T1_.uses_vcc, 1
	.set _ZN2at6native29vectorized_elementwise_kernelILi8EZZZNS0_17clamp_kernel_cudaERNS_18TensorIteratorBaseERKN3c106ScalarES7_ENKUlvE_clEvENKUlvE4_clEvEUldE_St5arrayIPcLm2EEEEviT0_T1_.uses_flat_scratch, 0
	.set _ZN2at6native29vectorized_elementwise_kernelILi8EZZZNS0_17clamp_kernel_cudaERNS_18TensorIteratorBaseERKN3c106ScalarES7_ENKUlvE_clEvENKUlvE4_clEvEUldE_St5arrayIPcLm2EEEEviT0_T1_.has_dyn_sized_stack, 0
	.set _ZN2at6native29vectorized_elementwise_kernelILi8EZZZNS0_17clamp_kernel_cudaERNS_18TensorIteratorBaseERKN3c106ScalarES7_ENKUlvE_clEvENKUlvE4_clEvEUldE_St5arrayIPcLm2EEEEviT0_T1_.has_recursion, 0
	.set _ZN2at6native29vectorized_elementwise_kernelILi8EZZZNS0_17clamp_kernel_cudaERNS_18TensorIteratorBaseERKN3c106ScalarES7_ENKUlvE_clEvENKUlvE4_clEvEUldE_St5arrayIPcLm2EEEEviT0_T1_.has_indirect_call, 0
	.section	.AMDGPU.csdata,"",@progbits
; Kernel info:
; codeLenInByte = 1052
; TotalNumSgprs: 19
; NumVgprs: 22
; NumAgprs: 0
; TotalNumVgprs: 22
; ScratchSize: 0
; MemoryBound: 0
; FloatMode: 240
; IeeeMode: 1
; LDSByteSize: 0 bytes/workgroup (compile time only)
; SGPRBlocks: 2
; VGPRBlocks: 2
; NumSGPRsForWavesPerEU: 19
; NumVGPRsForWavesPerEU: 22
; AccumOffset: 24
; Occupancy: 8
; WaveLimiterHint : 0
; COMPUTE_PGM_RSRC2:SCRATCH_EN: 0
; COMPUTE_PGM_RSRC2:USER_SGPR: 2
; COMPUTE_PGM_RSRC2:TRAP_HANDLER: 0
; COMPUTE_PGM_RSRC2:TGID_X_EN: 1
; COMPUTE_PGM_RSRC2:TGID_Y_EN: 0
; COMPUTE_PGM_RSRC2:TGID_Z_EN: 0
; COMPUTE_PGM_RSRC2:TIDIG_COMP_CNT: 0
; COMPUTE_PGM_RSRC3_GFX90A:ACCUM_OFFSET: 5
; COMPUTE_PGM_RSRC3_GFX90A:TG_SPLIT: 0
	.section	.text._ZN2at6native29vectorized_elementwise_kernelILi4EZZZNS0_17clamp_kernel_cudaERNS_18TensorIteratorBaseERKN3c106ScalarES7_ENKUlvE_clEvENKUlvE4_clEvEUldE_St5arrayIPcLm2EEEEviT0_T1_,"axG",@progbits,_ZN2at6native29vectorized_elementwise_kernelILi4EZZZNS0_17clamp_kernel_cudaERNS_18TensorIteratorBaseERKN3c106ScalarES7_ENKUlvE_clEvENKUlvE4_clEvEUldE_St5arrayIPcLm2EEEEviT0_T1_,comdat
	.globl	_ZN2at6native29vectorized_elementwise_kernelILi4EZZZNS0_17clamp_kernel_cudaERNS_18TensorIteratorBaseERKN3c106ScalarES7_ENKUlvE_clEvENKUlvE4_clEvEUldE_St5arrayIPcLm2EEEEviT0_T1_ ; -- Begin function _ZN2at6native29vectorized_elementwise_kernelILi4EZZZNS0_17clamp_kernel_cudaERNS_18TensorIteratorBaseERKN3c106ScalarES7_ENKUlvE_clEvENKUlvE4_clEvEUldE_St5arrayIPcLm2EEEEviT0_T1_
	.p2align	8
	.type	_ZN2at6native29vectorized_elementwise_kernelILi4EZZZNS0_17clamp_kernel_cudaERNS_18TensorIteratorBaseERKN3c106ScalarES7_ENKUlvE_clEvENKUlvE4_clEvEUldE_St5arrayIPcLm2EEEEviT0_T1_,@function
_ZN2at6native29vectorized_elementwise_kernelILi4EZZZNS0_17clamp_kernel_cudaERNS_18TensorIteratorBaseERKN3c106ScalarES7_ENKUlvE_clEvENKUlvE4_clEvEUldE_St5arrayIPcLm2EEEEviT0_T1_: ; @_ZN2at6native29vectorized_elementwise_kernelILi4EZZZNS0_17clamp_kernel_cudaERNS_18TensorIteratorBaseERKN3c106ScalarES7_ENKUlvE_clEvENKUlvE4_clEvEUldE_St5arrayIPcLm2EEEEviT0_T1_
; %bb.0:
	s_load_dword s3, s[0:1], 0x0
	s_load_dwordx8 s[4:11], s[0:1], 0x8
	s_lshl_b32 s2, s2, 10
	s_mov_b64 s[0:1], -1
	s_waitcnt lgkmcnt(0)
	s_sub_i32 s12, s3, s2
	s_cmpk_gt_i32 s12, 0x3ff
	v_max_f64 v[2:3], s[4:5], s[4:5]
	v_max_f64 v[4:5], s[6:7], s[6:7]
	s_cbranch_scc0 .LBB316_2
; %bb.1:
	s_ashr_i32 s3, s2, 31
	s_lshl_b64 s[0:1], s[2:3], 3
	s_add_u32 s4, s10, s0
	s_addc_u32 s5, s11, s1
	v_lshlrev_b32_e32 v1, 5, v0
	global_load_dwordx4 v[6:9], v1, s[4:5]
	global_load_dwordx4 v[10:13], v1, s[4:5] offset:16
	s_add_u32 s0, s8, s0
	s_addc_u32 s1, s9, s1
	s_waitcnt vmcnt(1)
	v_max_f64 v[14:15], v[6:7], v[6:7]
	v_max_f64 v[16:17], v[8:9], v[8:9]
	;; [unrolled: 1-line block ×3, first 2 shown]
	s_waitcnt vmcnt(0)
	v_max_f64 v[18:19], v[10:11], v[10:11]
	v_max_f64 v[16:17], v[16:17], v[2:3]
	v_min_f64 v[14:15], v[14:15], v[4:5]
	v_cmp_u_f64_e32 vcc, v[6:7], v[6:7]
	v_max_f64 v[20:21], v[12:13], v[12:13]
	v_max_f64 v[18:19], v[18:19], v[2:3]
	v_min_f64 v[16:17], v[16:17], v[4:5]
	v_cndmask_b32_e32 v7, v15, v7, vcc
	v_cndmask_b32_e32 v6, v14, v6, vcc
	v_cmp_u_f64_e32 vcc, v[8:9], v[8:9]
	v_max_f64 v[20:21], v[20:21], v[2:3]
	v_min_f64 v[18:19], v[18:19], v[4:5]
	v_cndmask_b32_e32 v9, v17, v9, vcc
	v_cndmask_b32_e32 v8, v16, v8, vcc
	v_cmp_u_f64_e32 vcc, v[10:11], v[10:11]
	v_min_f64 v[20:21], v[20:21], v[4:5]
	s_nop 0
	v_cndmask_b32_e32 v11, v19, v11, vcc
	v_cndmask_b32_e32 v10, v18, v10, vcc
	v_cmp_u_f64_e32 vcc, v[12:13], v[12:13]
	s_nop 1
	v_cndmask_b32_e32 v13, v21, v13, vcc
	v_cndmask_b32_e32 v12, v20, v12, vcc
	global_store_dwordx4 v1, v[6:9], s[0:1]
	global_store_dwordx4 v1, v[10:13], s[0:1] offset:16
	s_mov_b64 s[0:1], 0
.LBB316_2:
	s_andn2_b64 vcc, exec, s[0:1]
	s_cbranch_vccnz .LBB316_16
; %bb.3:
	v_cmp_gt_i32_e32 vcc, s12, v0
	v_mov_b64_e32 v[8:9], 0
	v_or_b32_e32 v6, s2, v0
	v_mov_b64_e32 v[10:11], 0
	v_mov_b32_e32 v1, v0
	s_and_saveexec_b64 s[0:1], vcc
	s_cbranch_execz .LBB316_5
; %bb.4:
	v_mov_b32_e32 v7, 0
	v_lshl_add_u64 v[10:11], v[6:7], 3, s[10:11]
	global_load_dwordx2 v[10:11], v[10:11], off
	v_or_b32_e32 v1, 0x100, v0
.LBB316_5:
	s_or_b64 exec, exec, s[0:1]
	v_cmp_gt_i32_e64 s[0:1], s12, v1
	s_and_saveexec_b64 s[4:5], s[0:1]
	s_cbranch_execz .LBB316_7
; %bb.6:
	v_add_u32_e32 v8, s2, v1
	v_mov_b32_e32 v9, 0
	v_lshl_add_u64 v[8:9], v[8:9], 3, s[10:11]
	global_load_dwordx2 v[8:9], v[8:9], off
	v_add_u32_e32 v1, 0x100, v1
.LBB316_7:
	s_or_b64 exec, exec, s[4:5]
	v_cmp_gt_i32_e64 s[0:1], s12, v1
	v_mov_b64_e32 v[12:13], 0
	v_mov_b64_e32 v[14:15], 0
	s_and_saveexec_b64 s[4:5], s[0:1]
	s_cbranch_execz .LBB316_9
; %bb.8:
	v_add_u32_e32 v14, s2, v1
	v_mov_b32_e32 v15, 0
	v_lshl_add_u64 v[14:15], v[14:15], 3, s[10:11]
	global_load_dwordx2 v[14:15], v[14:15], off
	v_add_u32_e32 v1, 0x100, v1
.LBB316_9:
	s_or_b64 exec, exec, s[4:5]
	v_cmp_gt_i32_e64 s[0:1], s12, v1
	s_and_saveexec_b64 s[4:5], s[0:1]
	s_cbranch_execz .LBB316_11
; %bb.10:
	v_add_u32_e32 v12, s2, v1
	v_mov_b32_e32 v13, 0
	v_lshl_add_u64 v[12:13], v[12:13], 3, s[10:11]
	global_load_dwordx2 v[12:13], v[12:13], off
.LBB316_11:
	s_or_b64 exec, exec, s[4:5]
	s_waitcnt vmcnt(0)
	v_max_f64 v[16:17], v[10:11], v[10:11]
	v_max_f64 v[16:17], v[16:17], v[2:3]
	v_min_f64 v[16:17], v[16:17], v[4:5]
	v_cmp_u_f64_e64 s[0:1], v[10:11], v[10:11]
	s_nop 1
	v_cndmask_b32_e64 v1, v16, v10, s[0:1]
	v_cndmask_b32_e64 v7, v17, v11, s[0:1]
	v_max_f64 v[10:11], v[8:9], v[8:9]
	v_max_f64 v[10:11], v[10:11], v[2:3]
	v_cndmask_b32_e32 v16, 0, v1, vcc
	v_or_b32_e32 v1, 0x100, v0
	v_min_f64 v[10:11], v[10:11], v[4:5]
	v_cmp_u_f64_e64 s[0:1], v[8:9], v[8:9]
	v_cndmask_b32_e32 v17, 0, v7, vcc
	s_nop 0
	v_cndmask_b32_e64 v7, v10, v8, s[0:1]
	v_cndmask_b32_e64 v8, v11, v9, s[0:1]
	v_cmp_gt_i32_e64 s[0:1], s12, v1
	s_nop 1
	v_cndmask_b32_e64 v11, 0, v8, s[0:1]
	v_max_f64 v[8:9], v[14:15], v[14:15]
	v_max_f64 v[8:9], v[8:9], v[2:3]
	v_cndmask_b32_e64 v10, 0, v7, s[0:1]
	v_min_f64 v[8:9], v[8:9], v[4:5]
	v_cmp_u_f64_e64 s[0:1], v[14:15], v[14:15]
	v_or_b32_e32 v7, 0x200, v0
	s_nop 0
	v_cndmask_b32_e64 v8, v8, v14, s[0:1]
	v_cndmask_b32_e64 v9, v9, v15, s[0:1]
	v_max_f64 v[14:15], v[12:13], v[12:13]
	v_cmp_gt_i32_e64 s[0:1], s12, v7
	v_max_f64 v[2:3], v[14:15], v[2:3]
	v_or_b32_e32 v7, 0x300, v0
	v_cndmask_b32_e64 v9, 0, v9, s[0:1]
	v_cndmask_b32_e64 v8, 0, v8, s[0:1]
	v_min_f64 v[2:3], v[2:3], v[4:5]
	v_cmp_u_f64_e64 s[0:1], v[12:13], v[12:13]
	s_nop 1
	v_cndmask_b32_e64 v2, v2, v12, s[0:1]
	v_cndmask_b32_e64 v3, v3, v13, s[0:1]
	v_cmp_gt_i32_e64 s[0:1], s12, v7
	s_nop 1
	v_cndmask_b32_e64 v3, 0, v3, s[0:1]
	v_cndmask_b32_e64 v2, 0, v2, s[0:1]
	s_and_saveexec_b64 s[0:1], vcc
	s_cbranch_execnz .LBB316_17
; %bb.12:
	s_or_b64 exec, exec, s[0:1]
	v_cmp_gt_i32_e32 vcc, s12, v0
	s_and_saveexec_b64 s[0:1], vcc
	s_cbranch_execnz .LBB316_18
.LBB316_13:
	s_or_b64 exec, exec, s[0:1]
	v_cmp_gt_i32_e32 vcc, s12, v0
	s_and_saveexec_b64 s[0:1], vcc
	s_cbranch_execnz .LBB316_19
.LBB316_14:
	s_or_b64 exec, exec, s[0:1]
	v_cmp_gt_i32_e32 vcc, s12, v0
	s_and_saveexec_b64 s[0:1], vcc
	s_cbranch_execz .LBB316_16
.LBB316_15:
	v_add_u32_e32 v0, s2, v0
	v_mov_b32_e32 v1, 0
	v_lshl_add_u64 v[0:1], v[0:1], 3, s[8:9]
	global_store_dwordx2 v[0:1], v[2:3], off
.LBB316_16:
	s_endpgm
.LBB316_17:
	v_mov_b32_e32 v7, 0
	v_lshl_add_u64 v[4:5], v[6:7], 3, s[8:9]
	v_mov_b32_e32 v0, v1
	global_store_dwordx2 v[4:5], v[16:17], off
	s_or_b64 exec, exec, s[0:1]
	v_cmp_gt_i32_e32 vcc, s12, v0
	s_and_saveexec_b64 s[0:1], vcc
	s_cbranch_execz .LBB316_13
.LBB316_18:
	v_add_u32_e32 v4, s2, v0
	v_mov_b32_e32 v5, 0
	v_lshl_add_u64 v[4:5], v[4:5], 3, s[8:9]
	v_add_u32_e32 v0, 0x100, v0
	global_store_dwordx2 v[4:5], v[10:11], off
	s_or_b64 exec, exec, s[0:1]
	v_cmp_gt_i32_e32 vcc, s12, v0
	s_and_saveexec_b64 s[0:1], vcc
	s_cbranch_execz .LBB316_14
.LBB316_19:
	v_add_u32_e32 v4, s2, v0
	v_mov_b32_e32 v5, 0
	v_lshl_add_u64 v[4:5], v[4:5], 3, s[8:9]
	v_add_u32_e32 v0, 0x100, v0
	global_store_dwordx2 v[4:5], v[8:9], off
	s_or_b64 exec, exec, s[0:1]
	v_cmp_gt_i32_e32 vcc, s12, v0
	s_and_saveexec_b64 s[0:1], vcc
	s_cbranch_execnz .LBB316_15
	s_branch .LBB316_16
	.section	.rodata,"a",@progbits
	.p2align	6, 0x0
	.amdhsa_kernel _ZN2at6native29vectorized_elementwise_kernelILi4EZZZNS0_17clamp_kernel_cudaERNS_18TensorIteratorBaseERKN3c106ScalarES7_ENKUlvE_clEvENKUlvE4_clEvEUldE_St5arrayIPcLm2EEEEviT0_T1_
		.amdhsa_group_segment_fixed_size 0
		.amdhsa_private_segment_fixed_size 0
		.amdhsa_kernarg_size 40
		.amdhsa_user_sgpr_count 2
		.amdhsa_user_sgpr_dispatch_ptr 0
		.amdhsa_user_sgpr_queue_ptr 0
		.amdhsa_user_sgpr_kernarg_segment_ptr 1
		.amdhsa_user_sgpr_dispatch_id 0
		.amdhsa_user_sgpr_kernarg_preload_length 0
		.amdhsa_user_sgpr_kernarg_preload_offset 0
		.amdhsa_user_sgpr_private_segment_size 0
		.amdhsa_uses_dynamic_stack 0
		.amdhsa_enable_private_segment 0
		.amdhsa_system_sgpr_workgroup_id_x 1
		.amdhsa_system_sgpr_workgroup_id_y 0
		.amdhsa_system_sgpr_workgroup_id_z 0
		.amdhsa_system_sgpr_workgroup_info 0
		.amdhsa_system_vgpr_workitem_id 0
		.amdhsa_next_free_vgpr 22
		.amdhsa_next_free_sgpr 13
		.amdhsa_accum_offset 24
		.amdhsa_reserve_vcc 1
		.amdhsa_float_round_mode_32 0
		.amdhsa_float_round_mode_16_64 0
		.amdhsa_float_denorm_mode_32 3
		.amdhsa_float_denorm_mode_16_64 3
		.amdhsa_dx10_clamp 1
		.amdhsa_ieee_mode 1
		.amdhsa_fp16_overflow 0
		.amdhsa_tg_split 0
		.amdhsa_exception_fp_ieee_invalid_op 0
		.amdhsa_exception_fp_denorm_src 0
		.amdhsa_exception_fp_ieee_div_zero 0
		.amdhsa_exception_fp_ieee_overflow 0
		.amdhsa_exception_fp_ieee_underflow 0
		.amdhsa_exception_fp_ieee_inexact 0
		.amdhsa_exception_int_div_zero 0
	.end_amdhsa_kernel
	.section	.text._ZN2at6native29vectorized_elementwise_kernelILi4EZZZNS0_17clamp_kernel_cudaERNS_18TensorIteratorBaseERKN3c106ScalarES7_ENKUlvE_clEvENKUlvE4_clEvEUldE_St5arrayIPcLm2EEEEviT0_T1_,"axG",@progbits,_ZN2at6native29vectorized_elementwise_kernelILi4EZZZNS0_17clamp_kernel_cudaERNS_18TensorIteratorBaseERKN3c106ScalarES7_ENKUlvE_clEvENKUlvE4_clEvEUldE_St5arrayIPcLm2EEEEviT0_T1_,comdat
.Lfunc_end316:
	.size	_ZN2at6native29vectorized_elementwise_kernelILi4EZZZNS0_17clamp_kernel_cudaERNS_18TensorIteratorBaseERKN3c106ScalarES7_ENKUlvE_clEvENKUlvE4_clEvEUldE_St5arrayIPcLm2EEEEviT0_T1_, .Lfunc_end316-_ZN2at6native29vectorized_elementwise_kernelILi4EZZZNS0_17clamp_kernel_cudaERNS_18TensorIteratorBaseERKN3c106ScalarES7_ENKUlvE_clEvENKUlvE4_clEvEUldE_St5arrayIPcLm2EEEEviT0_T1_
                                        ; -- End function
	.set _ZN2at6native29vectorized_elementwise_kernelILi4EZZZNS0_17clamp_kernel_cudaERNS_18TensorIteratorBaseERKN3c106ScalarES7_ENKUlvE_clEvENKUlvE4_clEvEUldE_St5arrayIPcLm2EEEEviT0_T1_.num_vgpr, 22
	.set _ZN2at6native29vectorized_elementwise_kernelILi4EZZZNS0_17clamp_kernel_cudaERNS_18TensorIteratorBaseERKN3c106ScalarES7_ENKUlvE_clEvENKUlvE4_clEvEUldE_St5arrayIPcLm2EEEEviT0_T1_.num_agpr, 0
	.set _ZN2at6native29vectorized_elementwise_kernelILi4EZZZNS0_17clamp_kernel_cudaERNS_18TensorIteratorBaseERKN3c106ScalarES7_ENKUlvE_clEvENKUlvE4_clEvEUldE_St5arrayIPcLm2EEEEviT0_T1_.numbered_sgpr, 13
	.set _ZN2at6native29vectorized_elementwise_kernelILi4EZZZNS0_17clamp_kernel_cudaERNS_18TensorIteratorBaseERKN3c106ScalarES7_ENKUlvE_clEvENKUlvE4_clEvEUldE_St5arrayIPcLm2EEEEviT0_T1_.num_named_barrier, 0
	.set _ZN2at6native29vectorized_elementwise_kernelILi4EZZZNS0_17clamp_kernel_cudaERNS_18TensorIteratorBaseERKN3c106ScalarES7_ENKUlvE_clEvENKUlvE4_clEvEUldE_St5arrayIPcLm2EEEEviT0_T1_.private_seg_size, 0
	.set _ZN2at6native29vectorized_elementwise_kernelILi4EZZZNS0_17clamp_kernel_cudaERNS_18TensorIteratorBaseERKN3c106ScalarES7_ENKUlvE_clEvENKUlvE4_clEvEUldE_St5arrayIPcLm2EEEEviT0_T1_.uses_vcc, 1
	.set _ZN2at6native29vectorized_elementwise_kernelILi4EZZZNS0_17clamp_kernel_cudaERNS_18TensorIteratorBaseERKN3c106ScalarES7_ENKUlvE_clEvENKUlvE4_clEvEUldE_St5arrayIPcLm2EEEEviT0_T1_.uses_flat_scratch, 0
	.set _ZN2at6native29vectorized_elementwise_kernelILi4EZZZNS0_17clamp_kernel_cudaERNS_18TensorIteratorBaseERKN3c106ScalarES7_ENKUlvE_clEvENKUlvE4_clEvEUldE_St5arrayIPcLm2EEEEviT0_T1_.has_dyn_sized_stack, 0
	.set _ZN2at6native29vectorized_elementwise_kernelILi4EZZZNS0_17clamp_kernel_cudaERNS_18TensorIteratorBaseERKN3c106ScalarES7_ENKUlvE_clEvENKUlvE4_clEvEUldE_St5arrayIPcLm2EEEEviT0_T1_.has_recursion, 0
	.set _ZN2at6native29vectorized_elementwise_kernelILi4EZZZNS0_17clamp_kernel_cudaERNS_18TensorIteratorBaseERKN3c106ScalarES7_ENKUlvE_clEvENKUlvE4_clEvEUldE_St5arrayIPcLm2EEEEviT0_T1_.has_indirect_call, 0
	.section	.AMDGPU.csdata,"",@progbits
; Kernel info:
; codeLenInByte = 1052
; TotalNumSgprs: 19
; NumVgprs: 22
; NumAgprs: 0
; TotalNumVgprs: 22
; ScratchSize: 0
; MemoryBound: 0
; FloatMode: 240
; IeeeMode: 1
; LDSByteSize: 0 bytes/workgroup (compile time only)
; SGPRBlocks: 2
; VGPRBlocks: 2
; NumSGPRsForWavesPerEU: 19
; NumVGPRsForWavesPerEU: 22
; AccumOffset: 24
; Occupancy: 8
; WaveLimiterHint : 0
; COMPUTE_PGM_RSRC2:SCRATCH_EN: 0
; COMPUTE_PGM_RSRC2:USER_SGPR: 2
; COMPUTE_PGM_RSRC2:TRAP_HANDLER: 0
; COMPUTE_PGM_RSRC2:TGID_X_EN: 1
; COMPUTE_PGM_RSRC2:TGID_Y_EN: 0
; COMPUTE_PGM_RSRC2:TGID_Z_EN: 0
; COMPUTE_PGM_RSRC2:TIDIG_COMP_CNT: 0
; COMPUTE_PGM_RSRC3_GFX90A:ACCUM_OFFSET: 5
; COMPUTE_PGM_RSRC3_GFX90A:TG_SPLIT: 0
	.section	.text._ZN2at6native29vectorized_elementwise_kernelILi2EZZZNS0_17clamp_kernel_cudaERNS_18TensorIteratorBaseERKN3c106ScalarES7_ENKUlvE_clEvENKUlvE4_clEvEUldE_St5arrayIPcLm2EEEEviT0_T1_,"axG",@progbits,_ZN2at6native29vectorized_elementwise_kernelILi2EZZZNS0_17clamp_kernel_cudaERNS_18TensorIteratorBaseERKN3c106ScalarES7_ENKUlvE_clEvENKUlvE4_clEvEUldE_St5arrayIPcLm2EEEEviT0_T1_,comdat
	.globl	_ZN2at6native29vectorized_elementwise_kernelILi2EZZZNS0_17clamp_kernel_cudaERNS_18TensorIteratorBaseERKN3c106ScalarES7_ENKUlvE_clEvENKUlvE4_clEvEUldE_St5arrayIPcLm2EEEEviT0_T1_ ; -- Begin function _ZN2at6native29vectorized_elementwise_kernelILi2EZZZNS0_17clamp_kernel_cudaERNS_18TensorIteratorBaseERKN3c106ScalarES7_ENKUlvE_clEvENKUlvE4_clEvEUldE_St5arrayIPcLm2EEEEviT0_T1_
	.p2align	8
	.type	_ZN2at6native29vectorized_elementwise_kernelILi2EZZZNS0_17clamp_kernel_cudaERNS_18TensorIteratorBaseERKN3c106ScalarES7_ENKUlvE_clEvENKUlvE4_clEvEUldE_St5arrayIPcLm2EEEEviT0_T1_,@function
_ZN2at6native29vectorized_elementwise_kernelILi2EZZZNS0_17clamp_kernel_cudaERNS_18TensorIteratorBaseERKN3c106ScalarES7_ENKUlvE_clEvENKUlvE4_clEvEUldE_St5arrayIPcLm2EEEEviT0_T1_: ; @_ZN2at6native29vectorized_elementwise_kernelILi2EZZZNS0_17clamp_kernel_cudaERNS_18TensorIteratorBaseERKN3c106ScalarES7_ENKUlvE_clEvENKUlvE4_clEvEUldE_St5arrayIPcLm2EEEEviT0_T1_
; %bb.0:
	s_load_dword s3, s[0:1], 0x0
	s_load_dwordx8 s[4:11], s[0:1], 0x8
	s_lshl_b32 s2, s2, 10
	s_mov_b64 s[0:1], -1
	s_waitcnt lgkmcnt(0)
	s_sub_i32 s12, s3, s2
	s_cmpk_gt_i32 s12, 0x3ff
	v_max_f64 v[2:3], s[4:5], s[4:5]
	v_max_f64 v[4:5], s[6:7], s[6:7]
	s_cbranch_scc0 .LBB317_2
; %bb.1:
	s_ashr_i32 s3, s2, 31
	s_lshl_b64 s[0:1], s[2:3], 3
	s_add_u32 s4, s10, s0
	s_addc_u32 s5, s11, s1
	v_lshlrev_b32_e32 v14, 4, v0
	v_mov_b32_e32 v15, 0
	global_load_dwordx4 v[6:9], v14, s[4:5]
	v_lshl_add_u64 v[10:11], s[4:5], 0, v[14:15]
	v_add_co_u32_e32 v10, vcc, 0x1000, v10
	s_add_u32 s0, s8, s0
	s_nop 0
	v_addc_co_u32_e32 v11, vcc, 0, v11, vcc
	global_load_dwordx4 v[10:13], v[10:11], off
	s_addc_u32 s1, s9, s1
	v_lshl_add_u64 v[16:17], s[0:1], 0, v[14:15]
	v_add_co_u32_e32 v16, vcc, 0x1000, v16
	s_waitcnt vmcnt(1)
	v_max_f64 v[18:19], v[6:7], v[6:7]
	v_addc_co_u32_e32 v17, vcc, 0, v17, vcc
	v_max_f64 v[20:21], v[8:9], v[8:9]
	v_max_f64 v[18:19], v[18:19], v[2:3]
	;; [unrolled: 1-line block ×3, first 2 shown]
	v_min_f64 v[18:19], v[18:19], v[4:5]
	v_cmp_u_f64_e32 vcc, v[6:7], v[6:7]
	v_min_f64 v[20:21], v[20:21], v[4:5]
	s_nop 0
	v_cndmask_b32_e32 v7, v19, v7, vcc
	v_cndmask_b32_e32 v6, v18, v6, vcc
	v_cmp_u_f64_e32 vcc, v[8:9], v[8:9]
	s_waitcnt vmcnt(0)
	v_max_f64 v[18:19], v[10:11], v[10:11]
	v_max_f64 v[18:19], v[18:19], v[2:3]
	v_cndmask_b32_e32 v9, v21, v9, vcc
	v_cndmask_b32_e32 v8, v20, v8, vcc
	v_max_f64 v[20:21], v[12:13], v[12:13]
	v_max_f64 v[20:21], v[20:21], v[2:3]
	global_store_dwordx4 v14, v[6:9], s[0:1]
	v_cmp_u_f64_e32 vcc, v[10:11], v[10:11]
	s_mov_b64 s[0:1], 0
	v_min_f64 v[6:7], v[18:19], v[4:5]
	v_min_f64 v[8:9], v[20:21], v[4:5]
	v_cndmask_b32_e32 v7, v7, v11, vcc
	v_cndmask_b32_e32 v6, v6, v10, vcc
	v_cmp_u_f64_e32 vcc, v[12:13], v[12:13]
	s_nop 1
	v_cndmask_b32_e32 v9, v9, v13, vcc
	v_cndmask_b32_e32 v8, v8, v12, vcc
	global_store_dwordx4 v[16:17], v[6:9], off
.LBB317_2:
	s_andn2_b64 vcc, exec, s[0:1]
	s_cbranch_vccnz .LBB317_16
; %bb.3:
	v_cmp_gt_i32_e32 vcc, s12, v0
	v_mov_b64_e32 v[8:9], 0
	v_or_b32_e32 v6, s2, v0
	v_mov_b64_e32 v[10:11], 0
	v_mov_b32_e32 v1, v0
	s_and_saveexec_b64 s[0:1], vcc
	s_cbranch_execz .LBB317_5
; %bb.4:
	v_mov_b32_e32 v7, 0
	v_lshl_add_u64 v[10:11], v[6:7], 3, s[10:11]
	global_load_dwordx2 v[10:11], v[10:11], off
	v_or_b32_e32 v1, 0x100, v0
.LBB317_5:
	s_or_b64 exec, exec, s[0:1]
	v_cmp_gt_i32_e64 s[0:1], s12, v1
	s_and_saveexec_b64 s[4:5], s[0:1]
	s_cbranch_execz .LBB317_7
; %bb.6:
	v_add_u32_e32 v8, s2, v1
	v_mov_b32_e32 v9, 0
	v_lshl_add_u64 v[8:9], v[8:9], 3, s[10:11]
	global_load_dwordx2 v[8:9], v[8:9], off
	v_add_u32_e32 v1, 0x100, v1
.LBB317_7:
	s_or_b64 exec, exec, s[4:5]
	v_cmp_gt_i32_e64 s[0:1], s12, v1
	v_mov_b64_e32 v[12:13], 0
	v_mov_b64_e32 v[14:15], 0
	s_and_saveexec_b64 s[4:5], s[0:1]
	s_cbranch_execz .LBB317_9
; %bb.8:
	v_add_u32_e32 v14, s2, v1
	v_mov_b32_e32 v15, 0
	v_lshl_add_u64 v[14:15], v[14:15], 3, s[10:11]
	global_load_dwordx2 v[14:15], v[14:15], off
	v_add_u32_e32 v1, 0x100, v1
.LBB317_9:
	s_or_b64 exec, exec, s[4:5]
	v_cmp_gt_i32_e64 s[0:1], s12, v1
	s_and_saveexec_b64 s[4:5], s[0:1]
	s_cbranch_execz .LBB317_11
; %bb.10:
	v_add_u32_e32 v12, s2, v1
	v_mov_b32_e32 v13, 0
	v_lshl_add_u64 v[12:13], v[12:13], 3, s[10:11]
	global_load_dwordx2 v[12:13], v[12:13], off
.LBB317_11:
	s_or_b64 exec, exec, s[4:5]
	s_waitcnt vmcnt(0)
	v_max_f64 v[16:17], v[10:11], v[10:11]
	v_max_f64 v[16:17], v[16:17], v[2:3]
	v_min_f64 v[16:17], v[16:17], v[4:5]
	v_cmp_u_f64_e64 s[0:1], v[10:11], v[10:11]
	s_nop 1
	v_cndmask_b32_e64 v1, v16, v10, s[0:1]
	v_cndmask_b32_e64 v7, v17, v11, s[0:1]
	v_max_f64 v[10:11], v[8:9], v[8:9]
	v_max_f64 v[10:11], v[10:11], v[2:3]
	v_cndmask_b32_e32 v16, 0, v1, vcc
	v_or_b32_e32 v1, 0x100, v0
	v_min_f64 v[10:11], v[10:11], v[4:5]
	v_cmp_u_f64_e64 s[0:1], v[8:9], v[8:9]
	v_cndmask_b32_e32 v17, 0, v7, vcc
	s_nop 0
	v_cndmask_b32_e64 v7, v10, v8, s[0:1]
	v_cndmask_b32_e64 v8, v11, v9, s[0:1]
	v_cmp_gt_i32_e64 s[0:1], s12, v1
	s_nop 1
	v_cndmask_b32_e64 v11, 0, v8, s[0:1]
	v_max_f64 v[8:9], v[14:15], v[14:15]
	v_max_f64 v[8:9], v[8:9], v[2:3]
	v_cndmask_b32_e64 v10, 0, v7, s[0:1]
	v_min_f64 v[8:9], v[8:9], v[4:5]
	v_cmp_u_f64_e64 s[0:1], v[14:15], v[14:15]
	v_or_b32_e32 v7, 0x200, v0
	s_nop 0
	v_cndmask_b32_e64 v8, v8, v14, s[0:1]
	v_cndmask_b32_e64 v9, v9, v15, s[0:1]
	v_max_f64 v[14:15], v[12:13], v[12:13]
	v_cmp_gt_i32_e64 s[0:1], s12, v7
	v_max_f64 v[2:3], v[14:15], v[2:3]
	v_or_b32_e32 v7, 0x300, v0
	v_cndmask_b32_e64 v9, 0, v9, s[0:1]
	v_cndmask_b32_e64 v8, 0, v8, s[0:1]
	v_min_f64 v[2:3], v[2:3], v[4:5]
	v_cmp_u_f64_e64 s[0:1], v[12:13], v[12:13]
	s_nop 1
	v_cndmask_b32_e64 v2, v2, v12, s[0:1]
	v_cndmask_b32_e64 v3, v3, v13, s[0:1]
	v_cmp_gt_i32_e64 s[0:1], s12, v7
	s_nop 1
	v_cndmask_b32_e64 v3, 0, v3, s[0:1]
	v_cndmask_b32_e64 v2, 0, v2, s[0:1]
	s_and_saveexec_b64 s[0:1], vcc
	s_cbranch_execnz .LBB317_17
; %bb.12:
	s_or_b64 exec, exec, s[0:1]
	v_cmp_gt_i32_e32 vcc, s12, v0
	s_and_saveexec_b64 s[0:1], vcc
	s_cbranch_execnz .LBB317_18
.LBB317_13:
	s_or_b64 exec, exec, s[0:1]
	v_cmp_gt_i32_e32 vcc, s12, v0
	s_and_saveexec_b64 s[0:1], vcc
	s_cbranch_execnz .LBB317_19
.LBB317_14:
	s_or_b64 exec, exec, s[0:1]
	v_cmp_gt_i32_e32 vcc, s12, v0
	s_and_saveexec_b64 s[0:1], vcc
	s_cbranch_execz .LBB317_16
.LBB317_15:
	v_add_u32_e32 v0, s2, v0
	v_mov_b32_e32 v1, 0
	v_lshl_add_u64 v[0:1], v[0:1], 3, s[8:9]
	global_store_dwordx2 v[0:1], v[2:3], off
.LBB317_16:
	s_endpgm
.LBB317_17:
	v_mov_b32_e32 v7, 0
	v_lshl_add_u64 v[4:5], v[6:7], 3, s[8:9]
	v_mov_b32_e32 v0, v1
	global_store_dwordx2 v[4:5], v[16:17], off
	s_or_b64 exec, exec, s[0:1]
	v_cmp_gt_i32_e32 vcc, s12, v0
	s_and_saveexec_b64 s[0:1], vcc
	s_cbranch_execz .LBB317_13
.LBB317_18:
	v_add_u32_e32 v4, s2, v0
	v_mov_b32_e32 v5, 0
	v_lshl_add_u64 v[4:5], v[4:5], 3, s[8:9]
	v_add_u32_e32 v0, 0x100, v0
	global_store_dwordx2 v[4:5], v[10:11], off
	s_or_b64 exec, exec, s[0:1]
	v_cmp_gt_i32_e32 vcc, s12, v0
	s_and_saveexec_b64 s[0:1], vcc
	s_cbranch_execz .LBB317_14
.LBB317_19:
	v_add_u32_e32 v4, s2, v0
	v_mov_b32_e32 v5, 0
	v_lshl_add_u64 v[4:5], v[4:5], 3, s[8:9]
	v_add_u32_e32 v0, 0x100, v0
	global_store_dwordx2 v[4:5], v[8:9], off
	s_or_b64 exec, exec, s[0:1]
	v_cmp_gt_i32_e32 vcc, s12, v0
	s_and_saveexec_b64 s[0:1], vcc
	s_cbranch_execnz .LBB317_15
	s_branch .LBB317_16
	.section	.rodata,"a",@progbits
	.p2align	6, 0x0
	.amdhsa_kernel _ZN2at6native29vectorized_elementwise_kernelILi2EZZZNS0_17clamp_kernel_cudaERNS_18TensorIteratorBaseERKN3c106ScalarES7_ENKUlvE_clEvENKUlvE4_clEvEUldE_St5arrayIPcLm2EEEEviT0_T1_
		.amdhsa_group_segment_fixed_size 0
		.amdhsa_private_segment_fixed_size 0
		.amdhsa_kernarg_size 40
		.amdhsa_user_sgpr_count 2
		.amdhsa_user_sgpr_dispatch_ptr 0
		.amdhsa_user_sgpr_queue_ptr 0
		.amdhsa_user_sgpr_kernarg_segment_ptr 1
		.amdhsa_user_sgpr_dispatch_id 0
		.amdhsa_user_sgpr_kernarg_preload_length 0
		.amdhsa_user_sgpr_kernarg_preload_offset 0
		.amdhsa_user_sgpr_private_segment_size 0
		.amdhsa_uses_dynamic_stack 0
		.amdhsa_enable_private_segment 0
		.amdhsa_system_sgpr_workgroup_id_x 1
		.amdhsa_system_sgpr_workgroup_id_y 0
		.amdhsa_system_sgpr_workgroup_id_z 0
		.amdhsa_system_sgpr_workgroup_info 0
		.amdhsa_system_vgpr_workitem_id 0
		.amdhsa_next_free_vgpr 22
		.amdhsa_next_free_sgpr 13
		.amdhsa_accum_offset 24
		.amdhsa_reserve_vcc 1
		.amdhsa_float_round_mode_32 0
		.amdhsa_float_round_mode_16_64 0
		.amdhsa_float_denorm_mode_32 3
		.amdhsa_float_denorm_mode_16_64 3
		.amdhsa_dx10_clamp 1
		.amdhsa_ieee_mode 1
		.amdhsa_fp16_overflow 0
		.amdhsa_tg_split 0
		.amdhsa_exception_fp_ieee_invalid_op 0
		.amdhsa_exception_fp_denorm_src 0
		.amdhsa_exception_fp_ieee_div_zero 0
		.amdhsa_exception_fp_ieee_overflow 0
		.amdhsa_exception_fp_ieee_underflow 0
		.amdhsa_exception_fp_ieee_inexact 0
		.amdhsa_exception_int_div_zero 0
	.end_amdhsa_kernel
	.section	.text._ZN2at6native29vectorized_elementwise_kernelILi2EZZZNS0_17clamp_kernel_cudaERNS_18TensorIteratorBaseERKN3c106ScalarES7_ENKUlvE_clEvENKUlvE4_clEvEUldE_St5arrayIPcLm2EEEEviT0_T1_,"axG",@progbits,_ZN2at6native29vectorized_elementwise_kernelILi2EZZZNS0_17clamp_kernel_cudaERNS_18TensorIteratorBaseERKN3c106ScalarES7_ENKUlvE_clEvENKUlvE4_clEvEUldE_St5arrayIPcLm2EEEEviT0_T1_,comdat
.Lfunc_end317:
	.size	_ZN2at6native29vectorized_elementwise_kernelILi2EZZZNS0_17clamp_kernel_cudaERNS_18TensorIteratorBaseERKN3c106ScalarES7_ENKUlvE_clEvENKUlvE4_clEvEUldE_St5arrayIPcLm2EEEEviT0_T1_, .Lfunc_end317-_ZN2at6native29vectorized_elementwise_kernelILi2EZZZNS0_17clamp_kernel_cudaERNS_18TensorIteratorBaseERKN3c106ScalarES7_ENKUlvE_clEvENKUlvE4_clEvEUldE_St5arrayIPcLm2EEEEviT0_T1_
                                        ; -- End function
	.set _ZN2at6native29vectorized_elementwise_kernelILi2EZZZNS0_17clamp_kernel_cudaERNS_18TensorIteratorBaseERKN3c106ScalarES7_ENKUlvE_clEvENKUlvE4_clEvEUldE_St5arrayIPcLm2EEEEviT0_T1_.num_vgpr, 22
	.set _ZN2at6native29vectorized_elementwise_kernelILi2EZZZNS0_17clamp_kernel_cudaERNS_18TensorIteratorBaseERKN3c106ScalarES7_ENKUlvE_clEvENKUlvE4_clEvEUldE_St5arrayIPcLm2EEEEviT0_T1_.num_agpr, 0
	.set _ZN2at6native29vectorized_elementwise_kernelILi2EZZZNS0_17clamp_kernel_cudaERNS_18TensorIteratorBaseERKN3c106ScalarES7_ENKUlvE_clEvENKUlvE4_clEvEUldE_St5arrayIPcLm2EEEEviT0_T1_.numbered_sgpr, 13
	.set _ZN2at6native29vectorized_elementwise_kernelILi2EZZZNS0_17clamp_kernel_cudaERNS_18TensorIteratorBaseERKN3c106ScalarES7_ENKUlvE_clEvENKUlvE4_clEvEUldE_St5arrayIPcLm2EEEEviT0_T1_.num_named_barrier, 0
	.set _ZN2at6native29vectorized_elementwise_kernelILi2EZZZNS0_17clamp_kernel_cudaERNS_18TensorIteratorBaseERKN3c106ScalarES7_ENKUlvE_clEvENKUlvE4_clEvEUldE_St5arrayIPcLm2EEEEviT0_T1_.private_seg_size, 0
	.set _ZN2at6native29vectorized_elementwise_kernelILi2EZZZNS0_17clamp_kernel_cudaERNS_18TensorIteratorBaseERKN3c106ScalarES7_ENKUlvE_clEvENKUlvE4_clEvEUldE_St5arrayIPcLm2EEEEviT0_T1_.uses_vcc, 1
	.set _ZN2at6native29vectorized_elementwise_kernelILi2EZZZNS0_17clamp_kernel_cudaERNS_18TensorIteratorBaseERKN3c106ScalarES7_ENKUlvE_clEvENKUlvE4_clEvEUldE_St5arrayIPcLm2EEEEviT0_T1_.uses_flat_scratch, 0
	.set _ZN2at6native29vectorized_elementwise_kernelILi2EZZZNS0_17clamp_kernel_cudaERNS_18TensorIteratorBaseERKN3c106ScalarES7_ENKUlvE_clEvENKUlvE4_clEvEUldE_St5arrayIPcLm2EEEEviT0_T1_.has_dyn_sized_stack, 0
	.set _ZN2at6native29vectorized_elementwise_kernelILi2EZZZNS0_17clamp_kernel_cudaERNS_18TensorIteratorBaseERKN3c106ScalarES7_ENKUlvE_clEvENKUlvE4_clEvEUldE_St5arrayIPcLm2EEEEviT0_T1_.has_recursion, 0
	.set _ZN2at6native29vectorized_elementwise_kernelILi2EZZZNS0_17clamp_kernel_cudaERNS_18TensorIteratorBaseERKN3c106ScalarES7_ENKUlvE_clEvENKUlvE4_clEvEUldE_St5arrayIPcLm2EEEEviT0_T1_.has_indirect_call, 0
	.section	.AMDGPU.csdata,"",@progbits
; Kernel info:
; codeLenInByte = 1100
; TotalNumSgprs: 19
; NumVgprs: 22
; NumAgprs: 0
; TotalNumVgprs: 22
; ScratchSize: 0
; MemoryBound: 0
; FloatMode: 240
; IeeeMode: 1
; LDSByteSize: 0 bytes/workgroup (compile time only)
; SGPRBlocks: 2
; VGPRBlocks: 2
; NumSGPRsForWavesPerEU: 19
; NumVGPRsForWavesPerEU: 22
; AccumOffset: 24
; Occupancy: 8
; WaveLimiterHint : 1
; COMPUTE_PGM_RSRC2:SCRATCH_EN: 0
; COMPUTE_PGM_RSRC2:USER_SGPR: 2
; COMPUTE_PGM_RSRC2:TRAP_HANDLER: 0
; COMPUTE_PGM_RSRC2:TGID_X_EN: 1
; COMPUTE_PGM_RSRC2:TGID_Y_EN: 0
; COMPUTE_PGM_RSRC2:TGID_Z_EN: 0
; COMPUTE_PGM_RSRC2:TIDIG_COMP_CNT: 0
; COMPUTE_PGM_RSRC3_GFX90A:ACCUM_OFFSET: 5
; COMPUTE_PGM_RSRC3_GFX90A:TG_SPLIT: 0
	.section	.text._ZN2at6native27unrolled_elementwise_kernelIZZZNS0_17clamp_kernel_cudaERNS_18TensorIteratorBaseERKN3c106ScalarES7_ENKUlvE_clEvENKUlvE4_clEvEUldE_St5arrayIPcLm2EELi4E23TrivialOffsetCalculatorILi1EjESF_NS0_6memory15LoadWithoutCastENSG_16StoreWithoutCastEEEviT_T0_T2_T3_T4_T5_,"axG",@progbits,_ZN2at6native27unrolled_elementwise_kernelIZZZNS0_17clamp_kernel_cudaERNS_18TensorIteratorBaseERKN3c106ScalarES7_ENKUlvE_clEvENKUlvE4_clEvEUldE_St5arrayIPcLm2EELi4E23TrivialOffsetCalculatorILi1EjESF_NS0_6memory15LoadWithoutCastENSG_16StoreWithoutCastEEEviT_T0_T2_T3_T4_T5_,comdat
	.globl	_ZN2at6native27unrolled_elementwise_kernelIZZZNS0_17clamp_kernel_cudaERNS_18TensorIteratorBaseERKN3c106ScalarES7_ENKUlvE_clEvENKUlvE4_clEvEUldE_St5arrayIPcLm2EELi4E23TrivialOffsetCalculatorILi1EjESF_NS0_6memory15LoadWithoutCastENSG_16StoreWithoutCastEEEviT_T0_T2_T3_T4_T5_ ; -- Begin function _ZN2at6native27unrolled_elementwise_kernelIZZZNS0_17clamp_kernel_cudaERNS_18TensorIteratorBaseERKN3c106ScalarES7_ENKUlvE_clEvENKUlvE4_clEvEUldE_St5arrayIPcLm2EELi4E23TrivialOffsetCalculatorILi1EjESF_NS0_6memory15LoadWithoutCastENSG_16StoreWithoutCastEEEviT_T0_T2_T3_T4_T5_
	.p2align	8
	.type	_ZN2at6native27unrolled_elementwise_kernelIZZZNS0_17clamp_kernel_cudaERNS_18TensorIteratorBaseERKN3c106ScalarES7_ENKUlvE_clEvENKUlvE4_clEvEUldE_St5arrayIPcLm2EELi4E23TrivialOffsetCalculatorILi1EjESF_NS0_6memory15LoadWithoutCastENSG_16StoreWithoutCastEEEviT_T0_T2_T3_T4_T5_,@function
_ZN2at6native27unrolled_elementwise_kernelIZZZNS0_17clamp_kernel_cudaERNS_18TensorIteratorBaseERKN3c106ScalarES7_ENKUlvE_clEvENKUlvE4_clEvEUldE_St5arrayIPcLm2EELi4E23TrivialOffsetCalculatorILi1EjESF_NS0_6memory15LoadWithoutCastENSG_16StoreWithoutCastEEEviT_T0_T2_T3_T4_T5_: ; @_ZN2at6native27unrolled_elementwise_kernelIZZZNS0_17clamp_kernel_cudaERNS_18TensorIteratorBaseERKN3c106ScalarES7_ENKUlvE_clEvENKUlvE4_clEvEUldE_St5arrayIPcLm2EELi4E23TrivialOffsetCalculatorILi1EjESF_NS0_6memory15LoadWithoutCastENSG_16StoreWithoutCastEEEviT_T0_T2_T3_T4_T5_
; %bb.0:
	s_load_dword s3, s[0:1], 0x0
	s_load_dwordx8 s[4:11], s[0:1], 0x8
	s_lshl_b32 s12, s2, 10
	v_mov_b64_e32 v[4:5], 0
	v_or_b32_e32 v2, s12, v0
	s_waitcnt lgkmcnt(0)
	s_sub_i32 s13, s3, s12
	v_cmp_gt_i32_e32 vcc, s13, v0
	v_mov_b64_e32 v[6:7], 0
	v_mov_b32_e32 v1, v0
	s_and_saveexec_b64 s[0:1], vcc
	s_cbranch_execz .LBB318_2
; %bb.1:
	v_mov_b32_e32 v3, 0
	v_lshl_add_u64 v[6:7], v[2:3], 3, s[10:11]
	global_load_dwordx2 v[6:7], v[6:7], off
	v_or_b32_e32 v1, 0x100, v0
.LBB318_2:
	s_or_b64 exec, exec, s[0:1]
	v_cmp_gt_i32_e64 s[0:1], s13, v1
	s_and_saveexec_b64 s[2:3], s[0:1]
	s_cbranch_execz .LBB318_4
; %bb.3:
	v_add_u32_e32 v4, s12, v1
	v_mov_b32_e32 v5, 0
	v_lshl_add_u64 v[4:5], v[4:5], 3, s[10:11]
	global_load_dwordx2 v[4:5], v[4:5], off
	v_add_u32_e32 v1, 0x100, v1
.LBB318_4:
	s_or_b64 exec, exec, s[2:3]
	v_cmp_gt_i32_e64 s[0:1], s13, v1
	v_mov_b64_e32 v[8:9], 0
	v_mov_b64_e32 v[10:11], 0
	s_and_saveexec_b64 s[2:3], s[0:1]
	s_cbranch_execz .LBB318_6
; %bb.5:
	v_add_u32_e32 v10, s12, v1
	v_mov_b32_e32 v11, 0
	v_lshl_add_u64 v[10:11], v[10:11], 3, s[10:11]
	global_load_dwordx2 v[10:11], v[10:11], off
	v_add_u32_e32 v1, 0x100, v1
.LBB318_6:
	s_or_b64 exec, exec, s[2:3]
	v_cmp_gt_i32_e64 s[0:1], s13, v1
	s_and_saveexec_b64 s[2:3], s[0:1]
	s_cbranch_execz .LBB318_8
; %bb.7:
	v_add_u32_e32 v8, s12, v1
	v_mov_b32_e32 v9, 0
	v_lshl_add_u64 v[8:9], v[8:9], 3, s[10:11]
	global_load_dwordx2 v[8:9], v[8:9], off
.LBB318_8:
	s_or_b64 exec, exec, s[2:3]
	v_max_f64 v[16:17], s[4:5], s[4:5]
	s_waitcnt vmcnt(0)
	v_max_f64 v[12:13], v[6:7], v[6:7]
	v_max_f64 v[12:13], v[12:13], v[16:17]
	v_max_f64 v[18:19], s[6:7], s[6:7]
	v_min_f64 v[12:13], v[12:13], v[18:19]
	v_cmp_u_f64_e64 s[0:1], v[6:7], v[6:7]
	s_nop 1
	v_cndmask_b32_e64 v1, v12, v6, s[0:1]
	v_cndmask_b32_e64 v3, v13, v7, s[0:1]
	v_max_f64 v[6:7], v[4:5], v[4:5]
	v_max_f64 v[6:7], v[6:7], v[16:17]
	v_cndmask_b32_e32 v14, 0, v1, vcc
	v_or_b32_e32 v1, 0x100, v0
	v_min_f64 v[6:7], v[6:7], v[18:19]
	v_cmp_u_f64_e64 s[0:1], v[4:5], v[4:5]
	v_cndmask_b32_e32 v15, 0, v3, vcc
	s_nop 0
	v_cndmask_b32_e64 v3, v6, v4, s[0:1]
	v_cndmask_b32_e64 v4, v7, v5, s[0:1]
	v_cmp_gt_i32_e64 s[0:1], s13, v1
	s_nop 1
	v_cndmask_b32_e64 v13, 0, v4, s[0:1]
	v_max_f64 v[4:5], v[10:11], v[10:11]
	v_max_f64 v[4:5], v[4:5], v[16:17]
	v_cndmask_b32_e64 v12, 0, v3, s[0:1]
	v_or_b32_e32 v3, 0x200, v0
	v_min_f64 v[4:5], v[4:5], v[18:19]
	v_cmp_u_f64_e64 s[0:1], v[10:11], v[10:11]
	s_nop 1
	v_cndmask_b32_e64 v4, v4, v10, s[0:1]
	v_cndmask_b32_e64 v5, v5, v11, s[0:1]
	v_cmp_gt_i32_e64 s[0:1], s13, v3
	v_or_b32_e32 v3, 0x300, v0
	s_nop 0
	v_cndmask_b32_e64 v7, 0, v5, s[0:1]
	v_cndmask_b32_e64 v6, 0, v4, s[0:1]
	v_max_f64 v[4:5], v[8:9], v[8:9]
	v_max_f64 v[4:5], v[4:5], v[16:17]
	v_min_f64 v[4:5], v[4:5], v[18:19]
	v_cmp_u_f64_e64 s[0:1], v[8:9], v[8:9]
	s_nop 1
	v_cndmask_b32_e64 v4, v4, v8, s[0:1]
	v_cndmask_b32_e64 v5, v5, v9, s[0:1]
	v_cmp_gt_i32_e64 s[0:1], s13, v3
	s_nop 1
	v_cndmask_b32_e64 v5, 0, v5, s[0:1]
	v_cndmask_b32_e64 v4, 0, v4, s[0:1]
	s_and_saveexec_b64 s[0:1], vcc
	s_cbranch_execnz .LBB318_13
; %bb.9:
	s_or_b64 exec, exec, s[0:1]
	v_cmp_gt_i32_e32 vcc, s13, v0
	s_and_saveexec_b64 s[0:1], vcc
	s_cbranch_execnz .LBB318_14
.LBB318_10:
	s_or_b64 exec, exec, s[0:1]
	v_cmp_gt_i32_e32 vcc, s13, v0
	s_and_saveexec_b64 s[0:1], vcc
	s_cbranch_execnz .LBB318_15
.LBB318_11:
	s_or_b64 exec, exec, s[0:1]
	v_cmp_gt_i32_e32 vcc, s13, v0
	s_and_saveexec_b64 s[0:1], vcc
	s_cbranch_execnz .LBB318_16
.LBB318_12:
	s_endpgm
.LBB318_13:
	v_mov_b32_e32 v3, 0
	v_lshl_add_u64 v[2:3], v[2:3], 3, s[8:9]
	v_mov_b32_e32 v0, v1
	global_store_dwordx2 v[2:3], v[14:15], off
	s_or_b64 exec, exec, s[0:1]
	v_cmp_gt_i32_e32 vcc, s13, v0
	s_and_saveexec_b64 s[0:1], vcc
	s_cbranch_execz .LBB318_10
.LBB318_14:
	v_add_u32_e32 v2, 0x100, v0
	v_add_u32_e32 v0, s12, v0
	v_mov_b32_e32 v1, 0
	v_lshl_add_u64 v[0:1], v[0:1], 3, s[8:9]
	global_store_dwordx2 v[0:1], v[12:13], off
	v_mov_b32_e32 v0, v2
	s_or_b64 exec, exec, s[0:1]
	v_cmp_gt_i32_e32 vcc, s13, v0
	s_and_saveexec_b64 s[0:1], vcc
	s_cbranch_execz .LBB318_11
.LBB318_15:
	v_add_u32_e32 v2, 0x100, v0
	v_add_u32_e32 v0, s12, v0
	v_mov_b32_e32 v1, 0
	v_lshl_add_u64 v[0:1], v[0:1], 3, s[8:9]
	global_store_dwordx2 v[0:1], v[6:7], off
	v_mov_b32_e32 v0, v2
	s_or_b64 exec, exec, s[0:1]
	v_cmp_gt_i32_e32 vcc, s13, v0
	s_and_saveexec_b64 s[0:1], vcc
	s_cbranch_execz .LBB318_12
.LBB318_16:
	v_add_u32_e32 v0, s12, v0
	v_mov_b32_e32 v1, 0
	v_lshl_add_u64 v[0:1], v[0:1], 3, s[8:9]
	global_store_dwordx2 v[0:1], v[4:5], off
	s_endpgm
	.section	.rodata,"a",@progbits
	.p2align	6, 0x0
	.amdhsa_kernel _ZN2at6native27unrolled_elementwise_kernelIZZZNS0_17clamp_kernel_cudaERNS_18TensorIteratorBaseERKN3c106ScalarES7_ENKUlvE_clEvENKUlvE4_clEvEUldE_St5arrayIPcLm2EELi4E23TrivialOffsetCalculatorILi1EjESF_NS0_6memory15LoadWithoutCastENSG_16StoreWithoutCastEEEviT_T0_T2_T3_T4_T5_
		.amdhsa_group_segment_fixed_size 0
		.amdhsa_private_segment_fixed_size 0
		.amdhsa_kernarg_size 44
		.amdhsa_user_sgpr_count 2
		.amdhsa_user_sgpr_dispatch_ptr 0
		.amdhsa_user_sgpr_queue_ptr 0
		.amdhsa_user_sgpr_kernarg_segment_ptr 1
		.amdhsa_user_sgpr_dispatch_id 0
		.amdhsa_user_sgpr_kernarg_preload_length 0
		.amdhsa_user_sgpr_kernarg_preload_offset 0
		.amdhsa_user_sgpr_private_segment_size 0
		.amdhsa_uses_dynamic_stack 0
		.amdhsa_enable_private_segment 0
		.amdhsa_system_sgpr_workgroup_id_x 1
		.amdhsa_system_sgpr_workgroup_id_y 0
		.amdhsa_system_sgpr_workgroup_id_z 0
		.amdhsa_system_sgpr_workgroup_info 0
		.amdhsa_system_vgpr_workitem_id 0
		.amdhsa_next_free_vgpr 20
		.amdhsa_next_free_sgpr 14
		.amdhsa_accum_offset 20
		.amdhsa_reserve_vcc 1
		.amdhsa_float_round_mode_32 0
		.amdhsa_float_round_mode_16_64 0
		.amdhsa_float_denorm_mode_32 3
		.amdhsa_float_denorm_mode_16_64 3
		.amdhsa_dx10_clamp 1
		.amdhsa_ieee_mode 1
		.amdhsa_fp16_overflow 0
		.amdhsa_tg_split 0
		.amdhsa_exception_fp_ieee_invalid_op 0
		.amdhsa_exception_fp_denorm_src 0
		.amdhsa_exception_fp_ieee_div_zero 0
		.amdhsa_exception_fp_ieee_overflow 0
		.amdhsa_exception_fp_ieee_underflow 0
		.amdhsa_exception_fp_ieee_inexact 0
		.amdhsa_exception_int_div_zero 0
	.end_amdhsa_kernel
	.section	.text._ZN2at6native27unrolled_elementwise_kernelIZZZNS0_17clamp_kernel_cudaERNS_18TensorIteratorBaseERKN3c106ScalarES7_ENKUlvE_clEvENKUlvE4_clEvEUldE_St5arrayIPcLm2EELi4E23TrivialOffsetCalculatorILi1EjESF_NS0_6memory15LoadWithoutCastENSG_16StoreWithoutCastEEEviT_T0_T2_T3_T4_T5_,"axG",@progbits,_ZN2at6native27unrolled_elementwise_kernelIZZZNS0_17clamp_kernel_cudaERNS_18TensorIteratorBaseERKN3c106ScalarES7_ENKUlvE_clEvENKUlvE4_clEvEUldE_St5arrayIPcLm2EELi4E23TrivialOffsetCalculatorILi1EjESF_NS0_6memory15LoadWithoutCastENSG_16StoreWithoutCastEEEviT_T0_T2_T3_T4_T5_,comdat
.Lfunc_end318:
	.size	_ZN2at6native27unrolled_elementwise_kernelIZZZNS0_17clamp_kernel_cudaERNS_18TensorIteratorBaseERKN3c106ScalarES7_ENKUlvE_clEvENKUlvE4_clEvEUldE_St5arrayIPcLm2EELi4E23TrivialOffsetCalculatorILi1EjESF_NS0_6memory15LoadWithoutCastENSG_16StoreWithoutCastEEEviT_T0_T2_T3_T4_T5_, .Lfunc_end318-_ZN2at6native27unrolled_elementwise_kernelIZZZNS0_17clamp_kernel_cudaERNS_18TensorIteratorBaseERKN3c106ScalarES7_ENKUlvE_clEvENKUlvE4_clEvEUldE_St5arrayIPcLm2EELi4E23TrivialOffsetCalculatorILi1EjESF_NS0_6memory15LoadWithoutCastENSG_16StoreWithoutCastEEEviT_T0_T2_T3_T4_T5_
                                        ; -- End function
	.set _ZN2at6native27unrolled_elementwise_kernelIZZZNS0_17clamp_kernel_cudaERNS_18TensorIteratorBaseERKN3c106ScalarES7_ENKUlvE_clEvENKUlvE4_clEvEUldE_St5arrayIPcLm2EELi4E23TrivialOffsetCalculatorILi1EjESF_NS0_6memory15LoadWithoutCastENSG_16StoreWithoutCastEEEviT_T0_T2_T3_T4_T5_.num_vgpr, 20
	.set _ZN2at6native27unrolled_elementwise_kernelIZZZNS0_17clamp_kernel_cudaERNS_18TensorIteratorBaseERKN3c106ScalarES7_ENKUlvE_clEvENKUlvE4_clEvEUldE_St5arrayIPcLm2EELi4E23TrivialOffsetCalculatorILi1EjESF_NS0_6memory15LoadWithoutCastENSG_16StoreWithoutCastEEEviT_T0_T2_T3_T4_T5_.num_agpr, 0
	.set _ZN2at6native27unrolled_elementwise_kernelIZZZNS0_17clamp_kernel_cudaERNS_18TensorIteratorBaseERKN3c106ScalarES7_ENKUlvE_clEvENKUlvE4_clEvEUldE_St5arrayIPcLm2EELi4E23TrivialOffsetCalculatorILi1EjESF_NS0_6memory15LoadWithoutCastENSG_16StoreWithoutCastEEEviT_T0_T2_T3_T4_T5_.numbered_sgpr, 14
	.set _ZN2at6native27unrolled_elementwise_kernelIZZZNS0_17clamp_kernel_cudaERNS_18TensorIteratorBaseERKN3c106ScalarES7_ENKUlvE_clEvENKUlvE4_clEvEUldE_St5arrayIPcLm2EELi4E23TrivialOffsetCalculatorILi1EjESF_NS0_6memory15LoadWithoutCastENSG_16StoreWithoutCastEEEviT_T0_T2_T3_T4_T5_.num_named_barrier, 0
	.set _ZN2at6native27unrolled_elementwise_kernelIZZZNS0_17clamp_kernel_cudaERNS_18TensorIteratorBaseERKN3c106ScalarES7_ENKUlvE_clEvENKUlvE4_clEvEUldE_St5arrayIPcLm2EELi4E23TrivialOffsetCalculatorILi1EjESF_NS0_6memory15LoadWithoutCastENSG_16StoreWithoutCastEEEviT_T0_T2_T3_T4_T5_.private_seg_size, 0
	.set _ZN2at6native27unrolled_elementwise_kernelIZZZNS0_17clamp_kernel_cudaERNS_18TensorIteratorBaseERKN3c106ScalarES7_ENKUlvE_clEvENKUlvE4_clEvEUldE_St5arrayIPcLm2EELi4E23TrivialOffsetCalculatorILi1EjESF_NS0_6memory15LoadWithoutCastENSG_16StoreWithoutCastEEEviT_T0_T2_T3_T4_T5_.uses_vcc, 1
	.set _ZN2at6native27unrolled_elementwise_kernelIZZZNS0_17clamp_kernel_cudaERNS_18TensorIteratorBaseERKN3c106ScalarES7_ENKUlvE_clEvENKUlvE4_clEvEUldE_St5arrayIPcLm2EELi4E23TrivialOffsetCalculatorILi1EjESF_NS0_6memory15LoadWithoutCastENSG_16StoreWithoutCastEEEviT_T0_T2_T3_T4_T5_.uses_flat_scratch, 0
	.set _ZN2at6native27unrolled_elementwise_kernelIZZZNS0_17clamp_kernel_cudaERNS_18TensorIteratorBaseERKN3c106ScalarES7_ENKUlvE_clEvENKUlvE4_clEvEUldE_St5arrayIPcLm2EELi4E23TrivialOffsetCalculatorILi1EjESF_NS0_6memory15LoadWithoutCastENSG_16StoreWithoutCastEEEviT_T0_T2_T3_T4_T5_.has_dyn_sized_stack, 0
	.set _ZN2at6native27unrolled_elementwise_kernelIZZZNS0_17clamp_kernel_cudaERNS_18TensorIteratorBaseERKN3c106ScalarES7_ENKUlvE_clEvENKUlvE4_clEvEUldE_St5arrayIPcLm2EELi4E23TrivialOffsetCalculatorILi1EjESF_NS0_6memory15LoadWithoutCastENSG_16StoreWithoutCastEEEviT_T0_T2_T3_T4_T5_.has_recursion, 0
	.set _ZN2at6native27unrolled_elementwise_kernelIZZZNS0_17clamp_kernel_cudaERNS_18TensorIteratorBaseERKN3c106ScalarES7_ENKUlvE_clEvENKUlvE4_clEvEUldE_St5arrayIPcLm2EELi4E23TrivialOffsetCalculatorILi1EjESF_NS0_6memory15LoadWithoutCastENSG_16StoreWithoutCastEEEviT_T0_T2_T3_T4_T5_.has_indirect_call, 0
	.section	.AMDGPU.csdata,"",@progbits
; Kernel info:
; codeLenInByte = 820
; TotalNumSgprs: 20
; NumVgprs: 20
; NumAgprs: 0
; TotalNumVgprs: 20
; ScratchSize: 0
; MemoryBound: 0
; FloatMode: 240
; IeeeMode: 1
; LDSByteSize: 0 bytes/workgroup (compile time only)
; SGPRBlocks: 2
; VGPRBlocks: 2
; NumSGPRsForWavesPerEU: 20
; NumVGPRsForWavesPerEU: 20
; AccumOffset: 20
; Occupancy: 8
; WaveLimiterHint : 0
; COMPUTE_PGM_RSRC2:SCRATCH_EN: 0
; COMPUTE_PGM_RSRC2:USER_SGPR: 2
; COMPUTE_PGM_RSRC2:TRAP_HANDLER: 0
; COMPUTE_PGM_RSRC2:TGID_X_EN: 1
; COMPUTE_PGM_RSRC2:TGID_Y_EN: 0
; COMPUTE_PGM_RSRC2:TGID_Z_EN: 0
; COMPUTE_PGM_RSRC2:TIDIG_COMP_CNT: 0
; COMPUTE_PGM_RSRC3_GFX90A:ACCUM_OFFSET: 4
; COMPUTE_PGM_RSRC3_GFX90A:TG_SPLIT: 0
	.section	.text._ZN2at6native32elementwise_kernel_manual_unrollILi128ELi4EZNS0_22gpu_kernel_impl_nocastIZZZNS0_17clamp_kernel_cudaERNS_18TensorIteratorBaseERKN3c106ScalarES8_ENKUlvE_clEvENKUlvE4_clEvEUldE_EEvS4_RKT_EUlibE_EEviT1_,"axG",@progbits,_ZN2at6native32elementwise_kernel_manual_unrollILi128ELi4EZNS0_22gpu_kernel_impl_nocastIZZZNS0_17clamp_kernel_cudaERNS_18TensorIteratorBaseERKN3c106ScalarES8_ENKUlvE_clEvENKUlvE4_clEvEUldE_EEvS4_RKT_EUlibE_EEviT1_,comdat
	.globl	_ZN2at6native32elementwise_kernel_manual_unrollILi128ELi4EZNS0_22gpu_kernel_impl_nocastIZZZNS0_17clamp_kernel_cudaERNS_18TensorIteratorBaseERKN3c106ScalarES8_ENKUlvE_clEvENKUlvE4_clEvEUldE_EEvS4_RKT_EUlibE_EEviT1_ ; -- Begin function _ZN2at6native32elementwise_kernel_manual_unrollILi128ELi4EZNS0_22gpu_kernel_impl_nocastIZZZNS0_17clamp_kernel_cudaERNS_18TensorIteratorBaseERKN3c106ScalarES8_ENKUlvE_clEvENKUlvE4_clEvEUldE_EEvS4_RKT_EUlibE_EEviT1_
	.p2align	8
	.type	_ZN2at6native32elementwise_kernel_manual_unrollILi128ELi4EZNS0_22gpu_kernel_impl_nocastIZZZNS0_17clamp_kernel_cudaERNS_18TensorIteratorBaseERKN3c106ScalarES8_ENKUlvE_clEvENKUlvE4_clEvEUldE_EEvS4_RKT_EUlibE_EEviT1_,@function
_ZN2at6native32elementwise_kernel_manual_unrollILi128ELi4EZNS0_22gpu_kernel_impl_nocastIZZZNS0_17clamp_kernel_cudaERNS_18TensorIteratorBaseERKN3c106ScalarES8_ENKUlvE_clEvENKUlvE4_clEvEUldE_EEvS4_RKT_EUlibE_EEviT1_: ; @_ZN2at6native32elementwise_kernel_manual_unrollILi128ELi4EZNS0_22gpu_kernel_impl_nocastIZZZNS0_17clamp_kernel_cudaERNS_18TensorIteratorBaseERKN3c106ScalarES8_ENKUlvE_clEvENKUlvE4_clEvEUldE_EEvS4_RKT_EUlibE_EEviT1_
; %bb.0:
	s_load_dword s59, s[0:1], 0x0
	s_load_dword s33, s[0:1], 0x8
	s_add_u32 s34, s0, 8
	s_addc_u32 s35, s1, 0
	v_lshl_or_b32 v8, s2, 9, v0
	v_or_b32_e32 v16, 0x180, v8
	s_waitcnt lgkmcnt(0)
	s_add_i32 s58, s33, -1
	s_cmp_gt_u32 s58, 1
	v_cmp_le_i32_e32 vcc, s59, v16
	s_cselect_b64 s[40:41], -1, 0
	s_and_saveexec_b64 s[0:1], vcc
	s_xor_b64 s[42:43], exec, s[0:1]
	s_cbranch_execz .LBB319_8
; %bb.1:
	s_load_dwordx4 s[28:31], s[34:35], 0x4
	s_load_dwordx2 s[44:45], s[34:35], 0x14
	s_load_dwordx4 s[24:27], s[34:35], 0xc4
	s_load_dwordx8 s[0:7], s[34:35], 0x148
	s_cmp_lg_u32 s33, 0
	s_cselect_b64 s[50:51], -1, 0
	s_add_u32 s48, s34, 0xc4
	s_addc_u32 s49, s35, 0
	s_min_u32 s60, s58, 15
	s_cmp_gt_u32 s33, 1
	s_cselect_b64 s[46:47], -1, 0
	v_cmp_gt_i32_e32 vcc, s59, v8
	s_and_saveexec_b64 s[52:53], vcc
	s_cbranch_execz .LBB319_15
; %bb.2:
	s_andn2_b64 vcc, exec, s[40:41]
	s_cbranch_vccnz .LBB319_23
; %bb.3:
	s_andn2_b64 vcc, exec, s[50:51]
	s_cbranch_vccnz .LBB319_75
; %bb.4:
	s_add_i32 s62, s60, 1
	s_cmp_eq_u32 s58, 2
	s_cbranch_scc1 .LBB319_77
; %bb.5:
	s_and_b32 s61, s62, 28
	s_mov_b32 s63, 0
	v_mov_b32_e32 v0, 0
	v_mov_b32_e32 v2, 0
	s_mov_b64 s[54:55], s[34:35]
	s_mov_b64 s[56:57], s[48:49]
	v_mov_b32_e32 v4, v8
.LBB319_6:                              ; =>This Inner Loop Header: Depth=1
	s_load_dwordx8 s[16:23], s[54:55], 0x4
	s_load_dwordx4 s[36:39], s[54:55], 0x24
	s_load_dwordx8 s[8:15], s[56:57], 0x0
	s_add_u32 s54, s54, 48
	s_addc_u32 s55, s55, 0
	s_waitcnt lgkmcnt(0)
	v_mul_hi_u32 v1, s17, v4
	v_add_u32_e32 v1, v4, v1
	v_lshrrev_b32_e32 v1, s18, v1
	v_mul_lo_u32 v3, v1, s16
	v_mul_hi_u32 v5, s20, v1
	v_sub_u32_e32 v3, v4, v3
	v_add_u32_e32 v4, v1, v5
	v_lshrrev_b32_e32 v4, s21, v4
	v_mul_lo_u32 v6, v4, s19
	v_mul_hi_u32 v7, s23, v4
	v_sub_u32_e32 v1, v1, v6
	v_add_u32_e32 v6, v4, v7
	v_mul_lo_u32 v5, v3, s9
	v_mul_lo_u32 v3, v3, s8
	;; [unrolled: 1-line block ×4, first 2 shown]
	v_lshrrev_b32_e32 v6, s36, v6
	v_add3_u32 v0, v3, v0, v1
	v_mul_hi_u32 v3, s38, v6
	v_add3_u32 v1, v5, v2, v7
	v_mul_lo_u32 v2, v6, s22
	v_add_u32_e32 v3, v6, v3
	v_sub_u32_e32 v2, v4, v2
	v_lshrrev_b32_e32 v4, s39, v3
	s_add_i32 s63, s63, 4
	v_mul_lo_u32 v3, v4, s37
	s_add_u32 s56, s56, 32
	v_sub_u32_e32 v3, v6, v3
	s_addc_u32 s57, s57, 0
	v_mul_lo_u32 v5, v2, s12
	v_mul_lo_u32 v2, v2, s13
	;; [unrolled: 1-line block ×4, first 2 shown]
	s_cmp_lg_u32 s61, s63
	v_add3_u32 v2, v2, v1, v3
	v_add3_u32 v0, v5, v0, v6
	s_cbranch_scc1 .LBB319_6
; %bb.7:
	v_mov_b32_e32 v1, v2
	s_branch .LBB319_78
.LBB319_8:
	s_andn2_saveexec_b64 s[0:1], s[42:43]
	s_cbranch_execz .LBB319_104
.LBB319_9:
	v_cndmask_b32_e64 v0, 0, 1, s[40:41]
	v_cmp_ne_u32_e64 s[0:1], 1, v0
	s_andn2_b64 vcc, exec, s[40:41]
	s_cbranch_vccnz .LBB319_22
; %bb.10:
	s_cmp_lg_u32 s33, 0
	s_mov_b32 s26, 0
	s_cbranch_scc0 .LBB319_25
; %bb.11:
	s_min_u32 s27, s58, 15
	s_add_i32 s27, s27, 1
	s_cmp_eq_u32 s58, 2
	s_cbranch_scc1 .LBB319_26
; %bb.12:
	s_and_b32 s26, s27, 28
	s_add_u32 s2, s34, 0xc4
	s_addc_u32 s3, s35, 0
	s_mov_b32 s28, 0
	v_mov_b32_e32 v0, 0
	v_mov_b32_e32 v2, 0
	s_mov_b64 s[24:25], s[34:35]
	v_mov_b32_e32 v4, v8
.LBB319_13:                             ; =>This Inner Loop Header: Depth=1
	s_load_dwordx8 s[12:19], s[24:25], 0x4
	s_load_dwordx4 s[20:23], s[24:25], 0x24
	s_load_dwordx8 s[4:11], s[2:3], 0x0
	s_add_u32 s24, s24, 48
	s_addc_u32 s25, s25, 0
	s_waitcnt lgkmcnt(0)
	v_mul_hi_u32 v1, s13, v4
	v_add_u32_e32 v1, v4, v1
	v_lshrrev_b32_e32 v1, s14, v1
	v_mul_lo_u32 v3, v1, s12
	v_mul_hi_u32 v5, s16, v1
	v_sub_u32_e32 v3, v4, v3
	v_add_u32_e32 v4, v1, v5
	v_lshrrev_b32_e32 v4, s17, v4
	v_mul_lo_u32 v6, v4, s15
	v_mul_hi_u32 v7, s19, v4
	v_sub_u32_e32 v1, v1, v6
	v_add_u32_e32 v6, v4, v7
	v_mul_lo_u32 v5, v3, s5
	v_mul_lo_u32 v3, v3, s4
	;; [unrolled: 1-line block ×4, first 2 shown]
	v_lshrrev_b32_e32 v6, s20, v6
	v_add3_u32 v0, v3, v0, v1
	v_mul_hi_u32 v3, s22, v6
	v_add3_u32 v1, v5, v2, v7
	v_mul_lo_u32 v2, v6, s18
	v_add_u32_e32 v3, v6, v3
	v_sub_u32_e32 v2, v4, v2
	v_lshrrev_b32_e32 v4, s23, v3
	s_add_i32 s28, s28, 4
	v_mul_lo_u32 v3, v4, s21
	s_add_u32 s2, s2, 32
	v_sub_u32_e32 v3, v6, v3
	s_addc_u32 s3, s3, 0
	v_mul_lo_u32 v5, v2, s8
	v_mul_lo_u32 v2, v2, s9
	;; [unrolled: 1-line block ×4, first 2 shown]
	s_cmp_lg_u32 s26, s28
	v_add3_u32 v2, v2, v1, v3
	v_add3_u32 v0, v5, v0, v6
	s_cbranch_scc1 .LBB319_13
; %bb.14:
	v_mov_b32_e32 v1, v2
	s_and_b32 s6, s27, 3
	s_cmp_eq_u32 s6, 0
	s_cbranch_scc0 .LBB319_27
	s_branch .LBB319_29
.LBB319_15:
	s_or_b64 exec, exec, s[52:53]
	v_cmp_gt_i32_e32 vcc, s59, v8
	s_and_saveexec_b64 s[52:53], vcc
	s_cbranch_execz .LBB319_85
.LBB319_16:
	s_andn2_b64 vcc, exec, s[40:41]
	s_cbranch_vccnz .LBB319_24
; %bb.17:
	s_andn2_b64 vcc, exec, s[50:51]
	s_cbranch_vccnz .LBB319_76
; %bb.18:
	s_add_i32 s62, s60, 1
	s_cmp_eq_u32 s58, 2
	s_cbranch_scc1 .LBB319_94
; %bb.19:
	s_and_b32 s61, s62, 28
	s_mov_b32 s63, 0
	v_mov_b32_e32 v0, 0
	v_mov_b32_e32 v2, 0
	s_mov_b64 s[54:55], s[34:35]
	s_mov_b64 s[56:57], s[48:49]
	v_mov_b32_e32 v4, v8
.LBB319_20:                             ; =>This Inner Loop Header: Depth=1
	s_load_dwordx8 s[16:23], s[54:55], 0x4
	s_load_dwordx4 s[36:39], s[54:55], 0x24
	s_load_dwordx8 s[8:15], s[56:57], 0x0
	s_add_u32 s54, s54, 48
	s_addc_u32 s55, s55, 0
	s_waitcnt lgkmcnt(0)
	v_mul_hi_u32 v1, s17, v4
	v_add_u32_e32 v1, v4, v1
	v_lshrrev_b32_e32 v1, s18, v1
	v_mul_lo_u32 v3, v1, s16
	v_mul_hi_u32 v5, s20, v1
	v_sub_u32_e32 v3, v4, v3
	v_add_u32_e32 v4, v1, v5
	v_lshrrev_b32_e32 v4, s21, v4
	v_mul_lo_u32 v6, v4, s19
	v_mul_hi_u32 v7, s23, v4
	v_sub_u32_e32 v1, v1, v6
	v_add_u32_e32 v6, v4, v7
	v_mul_lo_u32 v5, v3, s9
	v_mul_lo_u32 v3, v3, s8
	;; [unrolled: 1-line block ×4, first 2 shown]
	v_lshrrev_b32_e32 v6, s36, v6
	v_add3_u32 v0, v3, v0, v1
	v_mul_hi_u32 v3, s38, v6
	v_add3_u32 v1, v5, v2, v7
	v_mul_lo_u32 v2, v6, s22
	v_add_u32_e32 v3, v6, v3
	v_sub_u32_e32 v2, v4, v2
	v_lshrrev_b32_e32 v4, s39, v3
	s_add_i32 s63, s63, 4
	v_mul_lo_u32 v3, v4, s37
	s_add_u32 s56, s56, 32
	v_sub_u32_e32 v3, v6, v3
	s_addc_u32 s57, s57, 0
	v_mul_lo_u32 v5, v2, s12
	v_mul_lo_u32 v2, v2, s13
	v_mul_lo_u32 v6, v3, s14
	v_mul_lo_u32 v3, v3, s15
	s_cmp_eq_u32 s61, s63
	v_add3_u32 v2, v2, v1, v3
	v_add3_u32 v0, v5, v0, v6
	s_cbranch_scc0 .LBB319_20
; %bb.21:
	v_mov_b32_e32 v1, v2
	s_branch .LBB319_95
.LBB319_22:
                                        ; implicit-def: $vgpr2
                                        ; implicit-def: $vgpr0
	s_branch .LBB319_30
.LBB319_23:
                                        ; implicit-def: $vgpr2
                                        ; implicit-def: $vgpr0
	s_branch .LBB319_82
.LBB319_24:
                                        ; implicit-def: $vgpr2
                                        ; implicit-def: $vgpr0
	s_branch .LBB319_99
.LBB319_25:
	v_mov_b32_e32 v2, 0
	v_mov_b32_e32 v0, 0
	s_branch .LBB319_29
.LBB319_26:
	v_mov_b32_e32 v0, 0
                                        ; implicit-def: $vgpr2
	v_mov_b32_e32 v1, v0
	v_mov_b32_e32 v4, v8
	s_and_b32 s6, s27, 3
	s_cmp_eq_u32 s6, 0
	s_cbranch_scc1 .LBB319_29
.LBB319_27:
	s_lshl_b32 s2, s26, 3
	s_add_u32 s2, s34, s2
	s_addc_u32 s3, s35, 0
	s_add_u32 s2, s2, 0xc4
	s_addc_u32 s3, s3, 0
	s_mul_i32 s4, s26, 12
	s_add_u32 s4, s34, s4
	s_addc_u32 s5, s35, 0
.LBB319_28:                             ; =>This Inner Loop Header: Depth=1
	s_load_dwordx2 s[8:9], s[4:5], 0x4
	s_load_dword s7, s[4:5], 0xc
	s_load_dwordx2 s[10:11], s[2:3], 0x0
	v_mov_b32_e32 v2, v1
	s_add_u32 s4, s4, 12
	s_waitcnt lgkmcnt(0)
	v_mul_hi_u32 v1, s9, v4
	v_add_u32_e32 v1, v4, v1
	v_lshrrev_b32_e32 v1, s7, v1
	s_addc_u32 s5, s5, 0
	v_mul_lo_u32 v3, v1, s8
	s_add_u32 s2, s2, 8
	v_sub_u32_e32 v5, v4, v3
	s_addc_u32 s3, s3, 0
	s_add_i32 s6, s6, -1
	v_mov_b32_e32 v4, v1
	v_mad_u64_u32 v[2:3], s[8:9], v5, s11, v[2:3]
	v_mad_u64_u32 v[0:1], s[8:9], v5, s10, v[0:1]
	s_cmp_lg_u32 s6, 0
	v_mov_b32_e32 v1, v2
	s_cbranch_scc1 .LBB319_28
.LBB319_29:
	s_cbranch_execnz .LBB319_32
.LBB319_30:
	s_load_dwordx4 s[4:7], s[34:35], 0x4
	s_load_dwordx2 s[2:3], s[34:35], 0xc4
	s_cmp_lt_u32 s33, 2
	s_waitcnt lgkmcnt(0)
	v_mul_hi_u32 v0, s5, v8
	v_add_u32_e32 v0, v8, v0
	v_lshrrev_b32_e32 v1, s6, v0
	v_mul_lo_u32 v0, v1, s4
	v_sub_u32_e32 v0, v8, v0
	v_mul_lo_u32 v2, v0, s3
	v_mul_lo_u32 v0, v0, s2
	s_cbranch_scc1 .LBB319_32
; %bb.31:
	s_load_dwordx4 s[4:7], s[34:35], 0x10
	s_load_dwordx2 s[2:3], s[34:35], 0xcc
	s_waitcnt lgkmcnt(0)
	v_mul_hi_u32 v3, s5, v1
	v_add_u32_e32 v3, v1, v3
	v_lshrrev_b32_e32 v3, s6, v3
	v_mul_lo_u32 v3, v3, s4
	v_sub_u32_e32 v3, v1, v3
	v_mad_u64_u32 v[0:1], s[4:5], v3, s2, v[0:1]
	v_mad_u64_u32 v[2:3], s[2:3], v3, s3, v[2:3]
.LBB319_32:
	s_and_b64 vcc, exec, s[0:1]
	v_add_u32_e32 v3, 0x80, v8
	s_cbranch_vccnz .LBB319_38
; %bb.33:
	s_cmp_lg_u32 s33, 0
	s_mov_b32 s26, 0
	s_cbranch_scc0 .LBB319_39
; %bb.34:
	s_min_u32 s27, s58, 15
	s_add_i32 s27, s27, 1
	s_cmp_eq_u32 s58, 2
	s_cbranch_scc1 .LBB319_40
; %bb.35:
	s_and_b32 s26, s27, 28
	s_add_u32 s2, s34, 0xc4
	s_addc_u32 s3, s35, 0
	s_mov_b32 s28, 0
	v_mov_b32_e32 v4, 0
	v_mov_b32_e32 v6, 0
	s_mov_b64 s[24:25], s[34:35]
	v_mov_b32_e32 v9, v3
.LBB319_36:                             ; =>This Inner Loop Header: Depth=1
	s_load_dwordx8 s[12:19], s[24:25], 0x4
	s_load_dwordx4 s[20:23], s[24:25], 0x24
	s_load_dwordx8 s[4:11], s[2:3], 0x0
	s_add_u32 s24, s24, 48
	s_addc_u32 s25, s25, 0
	s_waitcnt lgkmcnt(0)
	v_mul_hi_u32 v1, s13, v9
	v_add_u32_e32 v1, v9, v1
	v_lshrrev_b32_e32 v1, s14, v1
	v_mul_hi_u32 v7, s16, v1
	v_add_u32_e32 v7, v1, v7
	v_lshrrev_b32_e32 v7, s17, v7
	v_mul_lo_u32 v5, v1, s12
	v_mul_lo_u32 v10, v7, s15
	v_mul_hi_u32 v11, s19, v7
	v_sub_u32_e32 v5, v9, v5
	v_sub_u32_e32 v1, v1, v10
	v_add_u32_e32 v10, v7, v11
	v_mul_lo_u32 v9, v5, s5
	v_mul_lo_u32 v5, v5, s4
	;; [unrolled: 1-line block ×4, first 2 shown]
	v_lshrrev_b32_e32 v10, s20, v10
	v_add3_u32 v1, v5, v4, v1
	v_add3_u32 v4, v9, v6, v11
	v_mul_hi_u32 v6, s22, v10
	v_add_u32_e32 v6, v10, v6
	v_lshrrev_b32_e32 v9, s23, v6
	s_add_i32 s28, s28, 4
	v_mul_lo_u32 v5, v10, s18
	v_mul_lo_u32 v6, v9, s21
	s_add_u32 s2, s2, 32
	v_sub_u32_e32 v5, v7, v5
	v_sub_u32_e32 v6, v10, v6
	s_addc_u32 s3, s3, 0
	v_mul_lo_u32 v7, v5, s8
	v_mul_lo_u32 v5, v5, s9
	;; [unrolled: 1-line block ×4, first 2 shown]
	s_cmp_lg_u32 s26, s28
	v_add3_u32 v6, v5, v4, v6
	v_add3_u32 v4, v7, v1, v10
	s_cbranch_scc1 .LBB319_36
; %bb.37:
	v_mov_b32_e32 v1, v6
	s_and_b32 s6, s27, 3
	s_cmp_eq_u32 s6, 0
	s_cbranch_scc0 .LBB319_41
	s_branch .LBB319_43
.LBB319_38:
                                        ; implicit-def: $vgpr6
                                        ; implicit-def: $vgpr4
	s_branch .LBB319_44
.LBB319_39:
	v_mov_b32_e32 v6, 0
	v_mov_b32_e32 v4, 0
	s_branch .LBB319_43
.LBB319_40:
	v_mov_b32_e32 v4, 0
                                        ; implicit-def: $vgpr6
	v_mov_b32_e32 v1, v4
	v_mov_b32_e32 v9, v3
	s_and_b32 s6, s27, 3
	s_cmp_eq_u32 s6, 0
	s_cbranch_scc1 .LBB319_43
.LBB319_41:
	s_lshl_b32 s2, s26, 3
	s_add_u32 s2, s34, s2
	s_addc_u32 s3, s35, 0
	s_add_u32 s2, s2, 0xc4
	s_addc_u32 s3, s3, 0
	s_mul_i32 s4, s26, 12
	s_add_u32 s4, s34, s4
	s_addc_u32 s5, s35, 0
.LBB319_42:                             ; =>This Inner Loop Header: Depth=1
	s_load_dwordx2 s[8:9], s[4:5], 0x4
	s_load_dword s7, s[4:5], 0xc
	s_load_dwordx2 s[10:11], s[2:3], 0x0
	v_mov_b32_e32 v6, v1
	s_add_u32 s4, s4, 12
	s_waitcnt lgkmcnt(0)
	v_mul_hi_u32 v1, s9, v9
	v_add_u32_e32 v1, v9, v1
	v_lshrrev_b32_e32 v1, s7, v1
	s_addc_u32 s5, s5, 0
	v_mul_lo_u32 v5, v1, s8
	s_add_u32 s2, s2, 8
	v_sub_u32_e32 v5, v9, v5
	s_addc_u32 s3, s3, 0
	s_add_i32 s6, s6, -1
	v_mad_u64_u32 v[6:7], s[8:9], v5, s11, v[6:7]
	s_cmp_lg_u32 s6, 0
	v_mov_b32_e32 v9, v1
	v_mad_u64_u32 v[4:5], s[8:9], v5, s10, v[4:5]
	v_mov_b32_e32 v1, v6
	s_cbranch_scc1 .LBB319_42
.LBB319_43:
	s_cbranch_execnz .LBB319_46
.LBB319_44:
	s_load_dwordx4 s[4:7], s[34:35], 0x4
	s_load_dwordx2 s[2:3], s[34:35], 0xc4
	s_cmp_lt_u32 s33, 2
	s_waitcnt lgkmcnt(0)
	v_mul_hi_u32 v1, s5, v3
	v_add_u32_e32 v1, v3, v1
	v_lshrrev_b32_e32 v1, s6, v1
	v_mul_lo_u32 v4, v1, s4
	v_sub_u32_e32 v3, v3, v4
	v_mul_lo_u32 v6, v3, s3
	v_mul_lo_u32 v4, v3, s2
	s_cbranch_scc1 .LBB319_46
; %bb.45:
	s_load_dwordx4 s[4:7], s[34:35], 0x10
	s_load_dwordx2 s[2:3], s[34:35], 0xcc
	s_waitcnt lgkmcnt(0)
	v_mul_hi_u32 v3, s5, v1
	v_add_u32_e32 v3, v1, v3
	v_lshrrev_b32_e32 v3, s6, v3
	v_mul_lo_u32 v3, v3, s4
	v_sub_u32_e32 v1, v1, v3
	v_mad_u64_u32 v[4:5], s[4:5], v1, s2, v[4:5]
	v_mad_u64_u32 v[6:7], s[2:3], v1, s3, v[6:7]
.LBB319_46:
	s_and_b64 vcc, exec, s[0:1]
	v_add_u32_e32 v3, 0x100, v8
	s_cbranch_vccnz .LBB319_52
; %bb.47:
	s_cmp_lg_u32 s33, 0
	s_mov_b32 s26, 0
	s_cbranch_scc0 .LBB319_53
; %bb.48:
	s_min_u32 s27, s58, 15
	s_add_i32 s27, s27, 1
	s_cmp_eq_u32 s58, 2
	s_cbranch_scc1 .LBB319_54
; %bb.49:
	s_and_b32 s26, s27, 28
	s_add_u32 s2, s34, 0xc4
	s_addc_u32 s3, s35, 0
	s_mov_b32 s28, 0
	v_mov_b32_e32 v8, 0
	v_mov_b32_e32 v10, 0
	s_mov_b64 s[24:25], s[34:35]
	v_mov_b32_e32 v5, v3
.LBB319_50:                             ; =>This Inner Loop Header: Depth=1
	s_load_dwordx8 s[12:19], s[24:25], 0x4
	s_load_dwordx4 s[20:23], s[24:25], 0x24
	s_load_dwordx8 s[4:11], s[2:3], 0x0
	s_add_u32 s24, s24, 48
	s_addc_u32 s25, s25, 0
	s_waitcnt lgkmcnt(0)
	v_mul_hi_u32 v1, s13, v5
	v_add_u32_e32 v1, v5, v1
	v_lshrrev_b32_e32 v1, s14, v1
	v_mul_lo_u32 v7, v1, s12
	v_mul_hi_u32 v9, s16, v1
	v_sub_u32_e32 v5, v5, v7
	v_add_u32_e32 v7, v1, v9
	v_lshrrev_b32_e32 v7, s17, v7
	v_mul_lo_u32 v11, v7, s15
	v_mul_hi_u32 v12, s19, v7
	v_sub_u32_e32 v1, v1, v11
	v_add_u32_e32 v11, v7, v12
	v_mul_lo_u32 v9, v5, s5
	v_mul_lo_u32 v5, v5, s4
	;; [unrolled: 1-line block ×4, first 2 shown]
	v_lshrrev_b32_e32 v11, s20, v11
	v_add3_u32 v1, v5, v8, v1
	v_add3_u32 v8, v9, v10, v12
	v_mul_lo_u32 v5, v11, s18
	v_mul_hi_u32 v9, s22, v11
	v_sub_u32_e32 v5, v7, v5
	v_add_u32_e32 v7, v11, v9
	v_mul_lo_u32 v9, v5, s8
	v_mul_lo_u32 v10, v5, s9
	v_lshrrev_b32_e32 v5, s23, v7
	s_add_i32 s28, s28, 4
	v_mul_lo_u32 v7, v5, s21
	s_add_u32 s2, s2, 32
	v_sub_u32_e32 v7, v11, v7
	s_addc_u32 s3, s3, 0
	v_mul_lo_u32 v11, v7, s10
	v_mul_lo_u32 v7, v7, s11
	s_cmp_lg_u32 s26, s28
	v_add3_u32 v10, v10, v8, v7
	v_add3_u32 v8, v9, v1, v11
	s_cbranch_scc1 .LBB319_50
; %bb.51:
	v_mov_b32_e32 v1, v10
	s_and_b32 s6, s27, 3
	s_cmp_eq_u32 s6, 0
	s_cbranch_scc0 .LBB319_55
	s_branch .LBB319_57
.LBB319_52:
                                        ; implicit-def: $vgpr10
                                        ; implicit-def: $vgpr8
	s_branch .LBB319_58
.LBB319_53:
	v_mov_b32_e32 v10, 0
	v_mov_b32_e32 v8, 0
	s_branch .LBB319_57
.LBB319_54:
	v_mov_b32_e32 v8, 0
                                        ; implicit-def: $vgpr10
	v_mov_b32_e32 v1, v8
	v_mov_b32_e32 v5, v3
	s_and_b32 s6, s27, 3
	s_cmp_eq_u32 s6, 0
	s_cbranch_scc1 .LBB319_57
.LBB319_55:
	s_lshl_b32 s2, s26, 3
	s_add_u32 s2, s34, s2
	s_addc_u32 s3, s35, 0
	s_add_u32 s2, s2, 0xc4
	s_addc_u32 s3, s3, 0
	s_mul_i32 s4, s26, 12
	s_add_u32 s4, s34, s4
	s_addc_u32 s5, s35, 0
.LBB319_56:                             ; =>This Inner Loop Header: Depth=1
	s_load_dwordx2 s[8:9], s[4:5], 0x4
	s_load_dword s7, s[4:5], 0xc
	s_load_dwordx2 s[10:11], s[2:3], 0x0
	v_mov_b32_e32 v10, v1
	s_add_u32 s4, s4, 12
	s_waitcnt lgkmcnt(0)
	v_mul_hi_u32 v1, s9, v5
	v_add_u32_e32 v1, v5, v1
	v_lshrrev_b32_e32 v1, s7, v1
	s_addc_u32 s5, s5, 0
	v_mul_lo_u32 v7, v1, s8
	s_add_u32 s2, s2, 8
	v_sub_u32_e32 v7, v5, v7
	s_addc_u32 s3, s3, 0
	s_add_i32 s6, s6, -1
	v_mad_u64_u32 v[10:11], s[8:9], v7, s11, v[10:11]
	s_cmp_lg_u32 s6, 0
	v_mov_b32_e32 v5, v1
	v_mad_u64_u32 v[8:9], s[8:9], v7, s10, v[8:9]
	v_mov_b32_e32 v1, v10
	s_cbranch_scc1 .LBB319_56
.LBB319_57:
	s_cbranch_execnz .LBB319_60
.LBB319_58:
	s_load_dwordx4 s[4:7], s[34:35], 0x4
	s_load_dwordx2 s[2:3], s[34:35], 0xc4
	s_cmp_lt_u32 s33, 2
	s_waitcnt lgkmcnt(0)
	v_mul_hi_u32 v1, s5, v3
	v_add_u32_e32 v1, v3, v1
	v_lshrrev_b32_e32 v1, s6, v1
	v_mul_lo_u32 v5, v1, s4
	v_sub_u32_e32 v3, v3, v5
	v_mul_lo_u32 v10, v3, s3
	v_mul_lo_u32 v8, v3, s2
	s_cbranch_scc1 .LBB319_60
; %bb.59:
	s_load_dwordx4 s[4:7], s[34:35], 0x10
	s_load_dwordx2 s[2:3], s[34:35], 0xcc
	s_waitcnt lgkmcnt(0)
	v_mul_hi_u32 v3, s5, v1
	v_add_u32_e32 v3, v1, v3
	v_lshrrev_b32_e32 v3, s6, v3
	v_mul_lo_u32 v3, v3, s4
	v_sub_u32_e32 v1, v1, v3
	v_mad_u64_u32 v[8:9], s[4:5], v1, s2, v[8:9]
	v_mad_u64_u32 v[10:11], s[2:3], v1, s3, v[10:11]
.LBB319_60:
	s_and_b64 vcc, exec, s[0:1]
	s_cbranch_vccnz .LBB319_66
; %bb.61:
	s_cmp_lg_u32 s33, 0
	s_mov_b32 s24, 0
	s_cbranch_scc0 .LBB319_67
; %bb.62:
	s_min_u32 s25, s58, 15
	s_add_i32 s25, s25, 1
	s_cmp_eq_u32 s58, 2
	s_cbranch_scc1 .LBB319_68
; %bb.63:
	s_and_b32 s24, s25, 28
	s_add_u32 s20, s34, 0xc4
	s_addc_u32 s21, s35, 0
	s_mov_b32 s26, 0
	v_mov_b32_e32 v12, 0
	v_mov_b32_e32 v14, 0
	s_mov_b64 s[22:23], s[34:35]
	v_mov_b32_e32 v3, v16
.LBB319_64:                             ; =>This Inner Loop Header: Depth=1
	s_load_dwordx8 s[8:15], s[22:23], 0x4
	s_load_dwordx4 s[16:19], s[22:23], 0x24
	s_load_dwordx8 s[0:7], s[20:21], 0x0
	s_add_u32 s22, s22, 48
	s_addc_u32 s23, s23, 0
	s_waitcnt lgkmcnt(0)
	v_mul_hi_u32 v1, s9, v3
	v_add_u32_e32 v1, v3, v1
	v_lshrrev_b32_e32 v1, s10, v1
	v_mul_lo_u32 v5, v1, s8
	v_mul_hi_u32 v7, s12, v1
	v_sub_u32_e32 v3, v3, v5
	v_add_u32_e32 v5, v1, v7
	v_lshrrev_b32_e32 v5, s13, v5
	v_mul_lo_u32 v9, v5, s11
	v_mul_hi_u32 v11, s15, v5
	v_sub_u32_e32 v1, v1, v9
	v_add_u32_e32 v9, v5, v11
	v_mul_lo_u32 v7, v3, s1
	v_mul_lo_u32 v3, v3, s0
	;; [unrolled: 1-line block ×4, first 2 shown]
	v_lshrrev_b32_e32 v9, s16, v9
	v_add3_u32 v1, v3, v12, v1
	v_add3_u32 v7, v7, v14, v11
	v_mul_lo_u32 v3, v9, s14
	v_mul_hi_u32 v11, s18, v9
	v_sub_u32_e32 v3, v5, v3
	v_add_u32_e32 v5, v9, v11
	v_mul_lo_u32 v11, v3, s4
	v_mul_lo_u32 v12, v3, s5
	v_lshrrev_b32_e32 v3, s19, v5
	s_add_i32 s26, s26, 4
	v_mul_lo_u32 v5, v3, s17
	s_add_u32 s20, s20, 32
	v_sub_u32_e32 v5, v9, v5
	s_addc_u32 s21, s21, 0
	v_mul_lo_u32 v9, v5, s6
	v_mul_lo_u32 v5, v5, s7
	s_cmp_lg_u32 s24, s26
	v_add3_u32 v14, v12, v7, v5
	v_add3_u32 v12, v11, v1, v9
	s_cbranch_scc1 .LBB319_64
; %bb.65:
	v_mov_b32_e32 v1, v14
	s_and_b32 s4, s25, 3
	s_cmp_eq_u32 s4, 0
	s_cbranch_scc0 .LBB319_69
	s_branch .LBB319_71
.LBB319_66:
                                        ; implicit-def: $vgpr14
                                        ; implicit-def: $vgpr12
	s_branch .LBB319_72
.LBB319_67:
	v_mov_b32_e32 v14, 0
	v_mov_b32_e32 v12, 0
	s_branch .LBB319_71
.LBB319_68:
	v_mov_b32_e32 v12, 0
                                        ; implicit-def: $vgpr14
	v_mov_b32_e32 v1, v12
	v_mov_b32_e32 v3, v16
	s_and_b32 s4, s25, 3
	s_cmp_eq_u32 s4, 0
	s_cbranch_scc1 .LBB319_71
.LBB319_69:
	s_lshl_b32 s0, s24, 3
	s_add_u32 s0, s34, s0
	s_addc_u32 s1, s35, 0
	s_add_u32 s0, s0, 0xc4
	s_addc_u32 s1, s1, 0
	s_mul_i32 s2, s24, 12
	s_add_u32 s2, s34, s2
	s_addc_u32 s3, s35, 0
.LBB319_70:                             ; =>This Inner Loop Header: Depth=1
	s_load_dwordx2 s[6:7], s[2:3], 0x4
	s_load_dword s5, s[2:3], 0xc
	s_load_dwordx2 s[8:9], s[0:1], 0x0
	v_mov_b32_e32 v14, v1
	s_add_u32 s2, s2, 12
	s_waitcnt lgkmcnt(0)
	v_mul_hi_u32 v1, s7, v3
	v_add_u32_e32 v1, v3, v1
	v_lshrrev_b32_e32 v1, s5, v1
	s_addc_u32 s3, s3, 0
	v_mul_lo_u32 v5, v1, s6
	s_add_u32 s0, s0, 8
	v_sub_u32_e32 v5, v3, v5
	s_addc_u32 s1, s1, 0
	s_add_i32 s4, s4, -1
	v_mad_u64_u32 v[14:15], s[6:7], v5, s9, v[14:15]
	s_cmp_lg_u32 s4, 0
	v_mov_b32_e32 v3, v1
	v_mad_u64_u32 v[12:13], s[6:7], v5, s8, v[12:13]
	v_mov_b32_e32 v1, v14
	s_cbranch_scc1 .LBB319_70
.LBB319_71:
	s_cbranch_execnz .LBB319_74
.LBB319_72:
	s_load_dwordx4 s[0:3], s[34:35], 0x4
	s_load_dwordx2 s[4:5], s[34:35], 0xc4
	s_cmp_lt_u32 s33, 2
	s_waitcnt lgkmcnt(0)
	v_mul_hi_u32 v1, s1, v16
	v_add_u32_e32 v1, v16, v1
	v_lshrrev_b32_e32 v1, s2, v1
	v_mul_lo_u32 v3, v1, s0
	v_sub_u32_e32 v3, v16, v3
	v_mul_lo_u32 v14, v3, s5
	v_mul_lo_u32 v12, v3, s4
	s_cbranch_scc1 .LBB319_74
; %bb.73:
	s_load_dwordx4 s[0:3], s[34:35], 0x10
	s_load_dwordx2 s[4:5], s[34:35], 0xcc
	s_waitcnt lgkmcnt(0)
	v_mul_hi_u32 v3, s1, v1
	v_add_u32_e32 v3, v1, v3
	v_lshrrev_b32_e32 v3, s2, v3
	v_mul_lo_u32 v3, v3, s0
	v_sub_u32_e32 v1, v1, v3
	v_mad_u64_u32 v[12:13], s[0:1], v1, s4, v[12:13]
	v_mad_u64_u32 v[14:15], s[0:1], v1, s5, v[14:15]
.LBB319_74:
	s_load_dwordx8 s[0:7], s[34:35], 0x148
	s_waitcnt lgkmcnt(0)
	global_load_dwordx2 v[16:17], v2, s[2:3]
	global_load_dwordx2 v[18:19], v6, s[2:3]
	;; [unrolled: 1-line block ×4, first 2 shown]
	v_max_f64 v[2:3], s[4:5], s[4:5]
	v_max_f64 v[6:7], s[6:7], s[6:7]
	s_waitcnt vmcnt(3)
	v_max_f64 v[10:11], v[16:17], v[16:17]
	s_waitcnt vmcnt(2)
	;; [unrolled: 2-line block ×4, first 2 shown]
	v_max_f64 v[26:27], v[22:23], v[22:23]
	v_max_f64 v[10:11], v[10:11], v[2:3]
	;; [unrolled: 1-line block ×5, first 2 shown]
	v_min_f64 v[10:11], v[10:11], v[6:7]
	v_cmp_u_f64_e32 vcc, v[16:17], v[16:17]
	v_min_f64 v[14:15], v[14:15], v[6:7]
	v_min_f64 v[24:25], v[24:25], v[6:7]
	;; [unrolled: 1-line block ×3, first 2 shown]
	v_cndmask_b32_e32 v7, v11, v17, vcc
	v_cndmask_b32_e32 v6, v10, v16, vcc
	v_cmp_u_f64_e32 vcc, v[18:19], v[18:19]
	s_nop 1
	v_cndmask_b32_e32 v11, v15, v19, vcc
	v_cndmask_b32_e32 v10, v14, v18, vcc
	v_cmp_u_f64_e32 vcc, v[20:21], v[20:21]
	s_nop 1
	;; [unrolled: 4-line block ×3, first 2 shown]
	v_cndmask_b32_e32 v3, v3, v23, vcc
	v_cndmask_b32_e32 v2, v2, v22, vcc
	global_store_dwordx2 v0, v[6:7], s[0:1]
	global_store_dwordx2 v4, v[10:11], s[0:1]
	;; [unrolled: 1-line block ×4, first 2 shown]
	s_endpgm
.LBB319_75:
	v_mov_b32_e32 v2, 0
	v_mov_b32_e32 v0, 0
	s_branch .LBB319_81
.LBB319_76:
	v_mov_b32_e32 v2, 0
	v_mov_b32_e32 v0, 0
	s_branch .LBB319_98
.LBB319_77:
	v_mov_b32_e32 v0, 0
	s_mov_b32 s61, 0
	v_mov_b32_e32 v1, v0
                                        ; implicit-def: $vgpr2
	v_mov_b32_e32 v4, v8
.LBB319_78:
	s_and_b32 s12, s62, 3
	s_cmp_eq_u32 s12, 0
	s_cbranch_scc1 .LBB319_81
; %bb.79:
	s_lshl_b32 s8, s61, 3
	s_add_u32 s8, s34, s8
	s_addc_u32 s9, s35, 0
	s_add_u32 s8, s8, 0xc4
	s_addc_u32 s9, s9, 0
	s_mul_i32 s10, s61, 12
	s_add_u32 s10, s34, s10
	s_addc_u32 s11, s35, 0
.LBB319_80:                             ; =>This Inner Loop Header: Depth=1
	s_load_dwordx2 s[14:15], s[10:11], 0x4
	s_load_dword s13, s[10:11], 0xc
	s_load_dwordx2 s[16:17], s[8:9], 0x0
	v_mov_b32_e32 v2, v1
	s_add_u32 s10, s10, 12
	s_waitcnt lgkmcnt(0)
	v_mul_hi_u32 v1, s15, v4
	v_add_u32_e32 v1, v4, v1
	v_lshrrev_b32_e32 v1, s13, v1
	s_addc_u32 s11, s11, 0
	v_mul_lo_u32 v3, v1, s14
	s_add_u32 s8, s8, 8
	v_sub_u32_e32 v5, v4, v3
	s_addc_u32 s9, s9, 0
	s_add_i32 s12, s12, -1
	v_mov_b32_e32 v4, v1
	v_mad_u64_u32 v[2:3], s[14:15], v5, s17, v[2:3]
	v_mad_u64_u32 v[0:1], s[14:15], v5, s16, v[0:1]
	s_cmp_lg_u32 s12, 0
	v_mov_b32_e32 v1, v2
	s_cbranch_scc1 .LBB319_80
.LBB319_81:
	s_cbranch_execnz .LBB319_84
.LBB319_82:
	s_waitcnt lgkmcnt(0)
	v_mul_hi_u32 v0, s29, v8
	v_add_u32_e32 v0, v8, v0
	v_lshrrev_b32_e32 v1, s30, v0
	v_mul_lo_u32 v0, v1, s28
	v_sub_u32_e32 v0, v8, v0
	v_mul_lo_u32 v2, v0, s25
	s_andn2_b64 vcc, exec, s[46:47]
	v_mul_lo_u32 v0, v0, s24
	s_cbranch_vccnz .LBB319_84
; %bb.83:
	v_mul_hi_u32 v3, s44, v1
	v_add_u32_e32 v3, v1, v3
	v_lshrrev_b32_e32 v3, s45, v3
	v_mul_lo_u32 v3, v3, s31
	v_sub_u32_e32 v3, v1, v3
	v_mad_u64_u32 v[0:1], s[8:9], v3, s26, v[0:1]
	v_mad_u64_u32 v[2:3], s[8:9], v3, s27, v[2:3]
.LBB319_84:
	s_waitcnt lgkmcnt(0)
	global_load_dwordx2 v[2:3], v2, s[2:3]
	v_max_f64 v[4:5], s[4:5], s[4:5]
	v_max_f64 v[6:7], s[6:7], s[6:7]
	v_add_u32_e32 v8, 0x80, v8
	s_waitcnt vmcnt(0)
	v_max_f64 v[10:11], v[2:3], v[2:3]
	v_max_f64 v[4:5], v[10:11], v[4:5]
	v_min_f64 v[4:5], v[4:5], v[6:7]
	v_cmp_u_f64_e32 vcc, v[2:3], v[2:3]
	s_nop 1
	v_cndmask_b32_e32 v3, v5, v3, vcc
	v_cndmask_b32_e32 v2, v4, v2, vcc
	global_store_dwordx2 v0, v[2:3], s[0:1]
	s_or_b64 exec, exec, s[52:53]
	v_cmp_gt_i32_e32 vcc, s59, v8
	s_and_saveexec_b64 s[52:53], vcc
	s_cbranch_execnz .LBB319_16
.LBB319_85:
	s_or_b64 exec, exec, s[52:53]
	v_cmp_gt_i32_e32 vcc, s59, v8
	s_and_saveexec_b64 s[52:53], vcc
	s_cbranch_execz .LBB319_102
.LBB319_86:
	s_andn2_b64 vcc, exec, s[40:41]
	s_cbranch_vccnz .LBB319_92
; %bb.87:
	s_andn2_b64 vcc, exec, s[50:51]
	s_cbranch_vccnz .LBB319_93
; %bb.88:
	s_add_i32 s62, s60, 1
	s_cmp_eq_u32 s58, 2
	s_cbranch_scc1 .LBB319_105
; %bb.89:
	s_and_b32 s61, s62, 28
	s_mov_b32 s63, 0
	v_mov_b32_e32 v0, 0
	v_mov_b32_e32 v2, 0
	s_mov_b64 s[54:55], s[34:35]
	s_mov_b64 s[56:57], s[48:49]
	v_mov_b32_e32 v4, v8
.LBB319_90:                             ; =>This Inner Loop Header: Depth=1
	s_load_dwordx8 s[16:23], s[54:55], 0x4
	s_load_dwordx4 s[36:39], s[54:55], 0x24
	s_load_dwordx8 s[8:15], s[56:57], 0x0
	s_add_u32 s54, s54, 48
	s_addc_u32 s55, s55, 0
	s_waitcnt lgkmcnt(0)
	v_mul_hi_u32 v1, s17, v4
	v_add_u32_e32 v1, v4, v1
	v_lshrrev_b32_e32 v1, s18, v1
	v_mul_lo_u32 v3, v1, s16
	v_mul_hi_u32 v5, s20, v1
	v_sub_u32_e32 v3, v4, v3
	v_add_u32_e32 v4, v1, v5
	v_lshrrev_b32_e32 v4, s21, v4
	v_mul_lo_u32 v6, v4, s19
	v_mul_hi_u32 v7, s23, v4
	v_sub_u32_e32 v1, v1, v6
	v_add_u32_e32 v6, v4, v7
	v_mul_lo_u32 v5, v3, s9
	v_mul_lo_u32 v3, v3, s8
	v_mul_lo_u32 v7, v1, s11
	v_mul_lo_u32 v1, v1, s10
	v_lshrrev_b32_e32 v6, s36, v6
	v_add3_u32 v0, v3, v0, v1
	v_mul_hi_u32 v3, s38, v6
	v_add3_u32 v1, v5, v2, v7
	v_mul_lo_u32 v2, v6, s22
	v_add_u32_e32 v3, v6, v3
	v_sub_u32_e32 v2, v4, v2
	v_lshrrev_b32_e32 v4, s39, v3
	s_add_i32 s63, s63, 4
	v_mul_lo_u32 v3, v4, s37
	s_add_u32 s56, s56, 32
	v_sub_u32_e32 v3, v6, v3
	s_addc_u32 s57, s57, 0
	v_mul_lo_u32 v5, v2, s12
	v_mul_lo_u32 v2, v2, s13
	;; [unrolled: 1-line block ×4, first 2 shown]
	s_cmp_eq_u32 s61, s63
	v_add3_u32 v2, v2, v1, v3
	v_add3_u32 v0, v5, v0, v6
	s_cbranch_scc0 .LBB319_90
; %bb.91:
	v_mov_b32_e32 v1, v2
	s_branch .LBB319_106
.LBB319_92:
                                        ; implicit-def: $vgpr2
                                        ; implicit-def: $vgpr0
	s_branch .LBB319_110
.LBB319_93:
	v_mov_b32_e32 v2, 0
	v_mov_b32_e32 v0, 0
	s_branch .LBB319_109
.LBB319_94:
	v_mov_b32_e32 v0, 0
	s_mov_b32 s61, 0
	v_mov_b32_e32 v1, v0
                                        ; implicit-def: $vgpr2
	v_mov_b32_e32 v4, v8
.LBB319_95:
	s_and_b32 s12, s62, 3
	s_cmp_eq_u32 s12, 0
	s_cbranch_scc1 .LBB319_98
; %bb.96:
	s_lshl_b32 s8, s61, 3
	s_add_u32 s8, s34, s8
	s_addc_u32 s9, s35, 0
	s_add_u32 s8, s8, 0xc4
	s_addc_u32 s9, s9, 0
	s_mul_i32 s10, s61, 12
	s_add_u32 s10, s34, s10
	s_addc_u32 s11, s35, 0
.LBB319_97:                             ; =>This Inner Loop Header: Depth=1
	s_load_dwordx2 s[14:15], s[10:11], 0x4
	s_load_dword s13, s[10:11], 0xc
	s_load_dwordx2 s[16:17], s[8:9], 0x0
	v_mov_b32_e32 v2, v1
	s_add_u32 s10, s10, 12
	s_waitcnt lgkmcnt(0)
	v_mul_hi_u32 v1, s15, v4
	v_add_u32_e32 v1, v4, v1
	v_lshrrev_b32_e32 v1, s13, v1
	s_addc_u32 s11, s11, 0
	v_mul_lo_u32 v3, v1, s14
	s_add_u32 s8, s8, 8
	v_sub_u32_e32 v5, v4, v3
	s_addc_u32 s9, s9, 0
	s_add_i32 s12, s12, -1
	v_mov_b32_e32 v4, v1
	v_mad_u64_u32 v[2:3], s[14:15], v5, s17, v[2:3]
	v_mad_u64_u32 v[0:1], s[14:15], v5, s16, v[0:1]
	s_cmp_lg_u32 s12, 0
	v_mov_b32_e32 v1, v2
	s_cbranch_scc1 .LBB319_97
.LBB319_98:
	s_cbranch_execnz .LBB319_101
.LBB319_99:
	s_waitcnt lgkmcnt(0)
	v_mul_hi_u32 v0, s29, v8
	v_add_u32_e32 v0, v8, v0
	v_lshrrev_b32_e32 v1, s30, v0
	v_mul_lo_u32 v0, v1, s28
	v_sub_u32_e32 v0, v8, v0
	v_mul_lo_u32 v2, v0, s25
	s_andn2_b64 vcc, exec, s[46:47]
	v_mul_lo_u32 v0, v0, s24
	s_cbranch_vccnz .LBB319_101
; %bb.100:
	v_mul_hi_u32 v3, s44, v1
	v_add_u32_e32 v3, v1, v3
	v_lshrrev_b32_e32 v3, s45, v3
	v_mul_lo_u32 v3, v3, s31
	v_sub_u32_e32 v3, v1, v3
	v_mad_u64_u32 v[0:1], s[8:9], v3, s26, v[0:1]
	v_mad_u64_u32 v[2:3], s[8:9], v3, s27, v[2:3]
.LBB319_101:
	s_waitcnt lgkmcnt(0)
	global_load_dwordx2 v[2:3], v2, s[2:3]
	v_max_f64 v[4:5], s[4:5], s[4:5]
	v_max_f64 v[6:7], s[6:7], s[6:7]
	v_add_u32_e32 v8, 0x80, v8
	s_waitcnt vmcnt(0)
	v_max_f64 v[10:11], v[2:3], v[2:3]
	v_max_f64 v[4:5], v[10:11], v[4:5]
	v_min_f64 v[4:5], v[4:5], v[6:7]
	v_cmp_u_f64_e32 vcc, v[2:3], v[2:3]
	s_nop 1
	v_cndmask_b32_e32 v3, v5, v3, vcc
	v_cndmask_b32_e32 v2, v4, v2, vcc
	global_store_dwordx2 v0, v[2:3], s[0:1]
	s_or_b64 exec, exec, s[52:53]
	v_cmp_gt_i32_e32 vcc, s59, v8
	s_and_saveexec_b64 s[52:53], vcc
	s_cbranch_execnz .LBB319_86
.LBB319_102:
	s_or_b64 exec, exec, s[52:53]
	v_cmp_gt_i32_e32 vcc, s59, v8
	s_and_saveexec_b64 s[52:53], vcc
	s_cbranch_execnz .LBB319_113
.LBB319_103:
	s_or_b64 exec, exec, s[52:53]
                                        ; implicit-def: $vgpr16
                                        ; implicit-def: $vgpr8
	s_waitcnt lgkmcnt(0)
	s_andn2_saveexec_b64 s[0:1], s[42:43]
	s_cbranch_execnz .LBB319_9
.LBB319_104:
	s_endpgm
.LBB319_105:
	v_mov_b32_e32 v0, 0
	s_mov_b32 s61, 0
	v_mov_b32_e32 v1, v0
                                        ; implicit-def: $vgpr2
	v_mov_b32_e32 v4, v8
.LBB319_106:
	s_and_b32 s12, s62, 3
	s_cmp_eq_u32 s12, 0
	s_cbranch_scc1 .LBB319_109
; %bb.107:
	s_lshl_b32 s8, s61, 3
	s_add_u32 s8, s34, s8
	s_addc_u32 s9, s35, 0
	s_add_u32 s8, s8, 0xc4
	s_addc_u32 s9, s9, 0
	s_mul_i32 s10, s61, 12
	s_add_u32 s10, s34, s10
	s_addc_u32 s11, s35, 0
.LBB319_108:                            ; =>This Inner Loop Header: Depth=1
	s_load_dwordx2 s[14:15], s[10:11], 0x4
	s_load_dword s13, s[10:11], 0xc
	s_load_dwordx2 s[16:17], s[8:9], 0x0
	v_mov_b32_e32 v2, v1
	s_add_u32 s10, s10, 12
	s_waitcnt lgkmcnt(0)
	v_mul_hi_u32 v1, s15, v4
	v_add_u32_e32 v1, v4, v1
	v_lshrrev_b32_e32 v1, s13, v1
	s_addc_u32 s11, s11, 0
	v_mul_lo_u32 v3, v1, s14
	s_add_u32 s8, s8, 8
	v_sub_u32_e32 v5, v4, v3
	s_addc_u32 s9, s9, 0
	s_add_i32 s12, s12, -1
	v_mov_b32_e32 v4, v1
	v_mad_u64_u32 v[2:3], s[14:15], v5, s17, v[2:3]
	v_mad_u64_u32 v[0:1], s[14:15], v5, s16, v[0:1]
	s_cmp_lg_u32 s12, 0
	v_mov_b32_e32 v1, v2
	s_cbranch_scc1 .LBB319_108
.LBB319_109:
	s_cbranch_execnz .LBB319_112
.LBB319_110:
	s_waitcnt lgkmcnt(0)
	v_mul_hi_u32 v0, s29, v8
	v_add_u32_e32 v0, v8, v0
	v_lshrrev_b32_e32 v1, s30, v0
	v_mul_lo_u32 v0, v1, s28
	v_sub_u32_e32 v0, v8, v0
	v_mul_lo_u32 v2, v0, s25
	s_andn2_b64 vcc, exec, s[46:47]
	v_mul_lo_u32 v0, v0, s24
	s_cbranch_vccnz .LBB319_112
; %bb.111:
	v_mul_hi_u32 v3, s44, v1
	v_add_u32_e32 v3, v1, v3
	v_lshrrev_b32_e32 v3, s45, v3
	v_mul_lo_u32 v3, v3, s31
	v_sub_u32_e32 v3, v1, v3
	v_mad_u64_u32 v[0:1], s[8:9], v3, s26, v[0:1]
	v_mad_u64_u32 v[2:3], s[8:9], v3, s27, v[2:3]
.LBB319_112:
	s_waitcnt lgkmcnt(0)
	global_load_dwordx2 v[2:3], v2, s[2:3]
	v_max_f64 v[4:5], s[4:5], s[4:5]
	v_max_f64 v[6:7], s[6:7], s[6:7]
	v_add_u32_e32 v8, 0x80, v8
	s_waitcnt vmcnt(0)
	v_max_f64 v[10:11], v[2:3], v[2:3]
	v_max_f64 v[4:5], v[10:11], v[4:5]
	v_min_f64 v[4:5], v[4:5], v[6:7]
	v_cmp_u_f64_e32 vcc, v[2:3], v[2:3]
	s_nop 1
	v_cndmask_b32_e32 v3, v5, v3, vcc
	v_cndmask_b32_e32 v2, v4, v2, vcc
	global_store_dwordx2 v0, v[2:3], s[0:1]
	s_or_b64 exec, exec, s[52:53]
	v_cmp_gt_i32_e32 vcc, s59, v8
	s_and_saveexec_b64 s[52:53], vcc
	s_cbranch_execz .LBB319_103
.LBB319_113:
	s_andn2_b64 vcc, exec, s[40:41]
	s_cbranch_vccnz .LBB319_119
; %bb.114:
	s_andn2_b64 vcc, exec, s[50:51]
	s_cbranch_vccnz .LBB319_120
; %bb.115:
	s_add_i32 s60, s60, 1
	s_cmp_eq_u32 s58, 2
	s_cbranch_scc1 .LBB319_121
; %bb.116:
	s_and_b32 s54, s60, 28
	s_mov_b32 s55, 0
	v_mov_b32_e32 v0, 0
	v_mov_b32_e32 v2, 0
	s_mov_b64 s[50:51], s[34:35]
	v_mov_b32_e32 v4, v8
.LBB319_117:                            ; =>This Inner Loop Header: Depth=1
	s_load_dwordx8 s[16:23], s[50:51], 0x4
	s_load_dwordx4 s[36:39], s[50:51], 0x24
	s_load_dwordx8 s[8:15], s[48:49], 0x0
	s_add_u32 s50, s50, 48
	s_addc_u32 s51, s51, 0
	s_waitcnt lgkmcnt(0)
	v_mul_hi_u32 v1, s17, v4
	v_add_u32_e32 v1, v4, v1
	v_lshrrev_b32_e32 v1, s18, v1
	v_mul_lo_u32 v3, v1, s16
	v_mul_hi_u32 v5, s20, v1
	v_sub_u32_e32 v3, v4, v3
	v_add_u32_e32 v4, v1, v5
	v_lshrrev_b32_e32 v4, s21, v4
	v_mul_lo_u32 v6, v4, s19
	v_mul_hi_u32 v7, s23, v4
	v_sub_u32_e32 v1, v1, v6
	v_add_u32_e32 v6, v4, v7
	v_mul_lo_u32 v5, v3, s9
	v_mul_lo_u32 v3, v3, s8
	;; [unrolled: 1-line block ×4, first 2 shown]
	v_lshrrev_b32_e32 v6, s36, v6
	v_add3_u32 v0, v3, v0, v1
	v_mul_hi_u32 v3, s38, v6
	v_add3_u32 v1, v5, v2, v7
	v_mul_lo_u32 v2, v6, s22
	v_add_u32_e32 v3, v6, v3
	v_sub_u32_e32 v2, v4, v2
	v_lshrrev_b32_e32 v4, s39, v3
	s_add_i32 s55, s55, 4
	v_mul_lo_u32 v3, v4, s37
	s_add_u32 s48, s48, 32
	v_sub_u32_e32 v3, v6, v3
	s_addc_u32 s49, s49, 0
	v_mul_lo_u32 v5, v2, s12
	v_mul_lo_u32 v2, v2, s13
	;; [unrolled: 1-line block ×4, first 2 shown]
	s_cmp_eq_u32 s54, s55
	v_add3_u32 v2, v2, v1, v3
	v_add3_u32 v0, v5, v0, v6
	s_cbranch_scc0 .LBB319_117
; %bb.118:
	v_mov_b32_e32 v1, v2
	s_branch .LBB319_122
.LBB319_119:
                                        ; implicit-def: $vgpr2
                                        ; implicit-def: $vgpr0
	s_branch .LBB319_126
.LBB319_120:
	v_mov_b32_e32 v2, 0
	v_mov_b32_e32 v0, 0
	s_branch .LBB319_125
.LBB319_121:
	v_mov_b32_e32 v0, 0
	s_mov_b32 s54, 0
	v_mov_b32_e32 v1, v0
                                        ; implicit-def: $vgpr2
	v_mov_b32_e32 v4, v8
.LBB319_122:
	s_and_b32 s12, s60, 3
	s_cmp_eq_u32 s12, 0
	s_cbranch_scc1 .LBB319_125
; %bb.123:
	s_lshl_b32 s8, s54, 3
	s_add_u32 s8, s34, s8
	s_addc_u32 s9, s35, 0
	s_add_u32 s8, s8, 0xc4
	s_addc_u32 s9, s9, 0
	s_mul_i32 s10, s54, 12
	s_add_u32 s10, s34, s10
	s_addc_u32 s11, s35, 0
.LBB319_124:                            ; =>This Inner Loop Header: Depth=1
	s_load_dwordx2 s[14:15], s[10:11], 0x4
	s_load_dword s13, s[10:11], 0xc
	s_load_dwordx2 s[16:17], s[8:9], 0x0
	v_mov_b32_e32 v2, v1
	s_add_u32 s10, s10, 12
	s_waitcnt lgkmcnt(0)
	v_mul_hi_u32 v1, s15, v4
	v_add_u32_e32 v1, v4, v1
	v_lshrrev_b32_e32 v1, s13, v1
	s_addc_u32 s11, s11, 0
	v_mul_lo_u32 v3, v1, s14
	s_add_u32 s8, s8, 8
	v_sub_u32_e32 v5, v4, v3
	s_addc_u32 s9, s9, 0
	s_add_i32 s12, s12, -1
	v_mov_b32_e32 v4, v1
	v_mad_u64_u32 v[2:3], s[14:15], v5, s17, v[2:3]
	v_mad_u64_u32 v[0:1], s[14:15], v5, s16, v[0:1]
	s_cmp_lg_u32 s12, 0
	v_mov_b32_e32 v1, v2
	s_cbranch_scc1 .LBB319_124
.LBB319_125:
	s_cbranch_execnz .LBB319_128
.LBB319_126:
	s_waitcnt lgkmcnt(0)
	v_mul_hi_u32 v0, s29, v8
	v_add_u32_e32 v0, v8, v0
	v_lshrrev_b32_e32 v1, s30, v0
	v_mul_lo_u32 v0, v1, s28
	v_sub_u32_e32 v0, v8, v0
	v_mul_lo_u32 v2, v0, s25
	s_andn2_b64 vcc, exec, s[46:47]
	v_mul_lo_u32 v0, v0, s24
	s_cbranch_vccnz .LBB319_128
; %bb.127:
	v_mul_hi_u32 v3, s44, v1
	v_add_u32_e32 v3, v1, v3
	v_lshrrev_b32_e32 v3, s45, v3
	v_mul_lo_u32 v3, v3, s31
	v_sub_u32_e32 v3, v1, v3
	v_mad_u64_u32 v[0:1], s[8:9], v3, s26, v[0:1]
	v_mad_u64_u32 v[2:3], s[8:9], v3, s27, v[2:3]
.LBB319_128:
	s_waitcnt lgkmcnt(0)
	global_load_dwordx2 v[2:3], v2, s[2:3]
	v_max_f64 v[4:5], s[4:5], s[4:5]
	v_max_f64 v[6:7], s[6:7], s[6:7]
	s_waitcnt vmcnt(0)
	v_max_f64 v[8:9], v[2:3], v[2:3]
	v_max_f64 v[4:5], v[8:9], v[4:5]
	v_min_f64 v[4:5], v[4:5], v[6:7]
	v_cmp_u_f64_e32 vcc, v[2:3], v[2:3]
	s_nop 1
	v_cndmask_b32_e32 v3, v5, v3, vcc
	v_cndmask_b32_e32 v2, v4, v2, vcc
	global_store_dwordx2 v0, v[2:3], s[0:1]
	s_or_b64 exec, exec, s[52:53]
                                        ; implicit-def: $vgpr16
                                        ; implicit-def: $vgpr8
	s_andn2_saveexec_b64 s[0:1], s[42:43]
	s_cbranch_execz .LBB319_104
	s_branch .LBB319_9
	.section	.rodata,"a",@progbits
	.p2align	6, 0x0
	.amdhsa_kernel _ZN2at6native32elementwise_kernel_manual_unrollILi128ELi4EZNS0_22gpu_kernel_impl_nocastIZZZNS0_17clamp_kernel_cudaERNS_18TensorIteratorBaseERKN3c106ScalarES8_ENKUlvE_clEvENKUlvE4_clEvEUldE_EEvS4_RKT_EUlibE_EEviT1_
		.amdhsa_group_segment_fixed_size 0
		.amdhsa_private_segment_fixed_size 0
		.amdhsa_kernarg_size 368
		.amdhsa_user_sgpr_count 2
		.amdhsa_user_sgpr_dispatch_ptr 0
		.amdhsa_user_sgpr_queue_ptr 0
		.amdhsa_user_sgpr_kernarg_segment_ptr 1
		.amdhsa_user_sgpr_dispatch_id 0
		.amdhsa_user_sgpr_kernarg_preload_length 0
		.amdhsa_user_sgpr_kernarg_preload_offset 0
		.amdhsa_user_sgpr_private_segment_size 0
		.amdhsa_uses_dynamic_stack 0
		.amdhsa_enable_private_segment 0
		.amdhsa_system_sgpr_workgroup_id_x 1
		.amdhsa_system_sgpr_workgroup_id_y 0
		.amdhsa_system_sgpr_workgroup_id_z 0
		.amdhsa_system_sgpr_workgroup_info 0
		.amdhsa_system_vgpr_workitem_id 0
		.amdhsa_next_free_vgpr 28
		.amdhsa_next_free_sgpr 64
		.amdhsa_accum_offset 28
		.amdhsa_reserve_vcc 1
		.amdhsa_float_round_mode_32 0
		.amdhsa_float_round_mode_16_64 0
		.amdhsa_float_denorm_mode_32 3
		.amdhsa_float_denorm_mode_16_64 3
		.amdhsa_dx10_clamp 1
		.amdhsa_ieee_mode 1
		.amdhsa_fp16_overflow 0
		.amdhsa_tg_split 0
		.amdhsa_exception_fp_ieee_invalid_op 0
		.amdhsa_exception_fp_denorm_src 0
		.amdhsa_exception_fp_ieee_div_zero 0
		.amdhsa_exception_fp_ieee_overflow 0
		.amdhsa_exception_fp_ieee_underflow 0
		.amdhsa_exception_fp_ieee_inexact 0
		.amdhsa_exception_int_div_zero 0
	.end_amdhsa_kernel
	.section	.text._ZN2at6native32elementwise_kernel_manual_unrollILi128ELi4EZNS0_22gpu_kernel_impl_nocastIZZZNS0_17clamp_kernel_cudaERNS_18TensorIteratorBaseERKN3c106ScalarES8_ENKUlvE_clEvENKUlvE4_clEvEUldE_EEvS4_RKT_EUlibE_EEviT1_,"axG",@progbits,_ZN2at6native32elementwise_kernel_manual_unrollILi128ELi4EZNS0_22gpu_kernel_impl_nocastIZZZNS0_17clamp_kernel_cudaERNS_18TensorIteratorBaseERKN3c106ScalarES8_ENKUlvE_clEvENKUlvE4_clEvEUldE_EEvS4_RKT_EUlibE_EEviT1_,comdat
.Lfunc_end319:
	.size	_ZN2at6native32elementwise_kernel_manual_unrollILi128ELi4EZNS0_22gpu_kernel_impl_nocastIZZZNS0_17clamp_kernel_cudaERNS_18TensorIteratorBaseERKN3c106ScalarES8_ENKUlvE_clEvENKUlvE4_clEvEUldE_EEvS4_RKT_EUlibE_EEviT1_, .Lfunc_end319-_ZN2at6native32elementwise_kernel_manual_unrollILi128ELi4EZNS0_22gpu_kernel_impl_nocastIZZZNS0_17clamp_kernel_cudaERNS_18TensorIteratorBaseERKN3c106ScalarES8_ENKUlvE_clEvENKUlvE4_clEvEUldE_EEvS4_RKT_EUlibE_EEviT1_
                                        ; -- End function
	.set _ZN2at6native32elementwise_kernel_manual_unrollILi128ELi4EZNS0_22gpu_kernel_impl_nocastIZZZNS0_17clamp_kernel_cudaERNS_18TensorIteratorBaseERKN3c106ScalarES8_ENKUlvE_clEvENKUlvE4_clEvEUldE_EEvS4_RKT_EUlibE_EEviT1_.num_vgpr, 28
	.set _ZN2at6native32elementwise_kernel_manual_unrollILi128ELi4EZNS0_22gpu_kernel_impl_nocastIZZZNS0_17clamp_kernel_cudaERNS_18TensorIteratorBaseERKN3c106ScalarES8_ENKUlvE_clEvENKUlvE4_clEvEUldE_EEvS4_RKT_EUlibE_EEviT1_.num_agpr, 0
	.set _ZN2at6native32elementwise_kernel_manual_unrollILi128ELi4EZNS0_22gpu_kernel_impl_nocastIZZZNS0_17clamp_kernel_cudaERNS_18TensorIteratorBaseERKN3c106ScalarES8_ENKUlvE_clEvENKUlvE4_clEvEUldE_EEvS4_RKT_EUlibE_EEviT1_.numbered_sgpr, 64
	.set _ZN2at6native32elementwise_kernel_manual_unrollILi128ELi4EZNS0_22gpu_kernel_impl_nocastIZZZNS0_17clamp_kernel_cudaERNS_18TensorIteratorBaseERKN3c106ScalarES8_ENKUlvE_clEvENKUlvE4_clEvEUldE_EEvS4_RKT_EUlibE_EEviT1_.num_named_barrier, 0
	.set _ZN2at6native32elementwise_kernel_manual_unrollILi128ELi4EZNS0_22gpu_kernel_impl_nocastIZZZNS0_17clamp_kernel_cudaERNS_18TensorIteratorBaseERKN3c106ScalarES8_ENKUlvE_clEvENKUlvE4_clEvEUldE_EEvS4_RKT_EUlibE_EEviT1_.private_seg_size, 0
	.set _ZN2at6native32elementwise_kernel_manual_unrollILi128ELi4EZNS0_22gpu_kernel_impl_nocastIZZZNS0_17clamp_kernel_cudaERNS_18TensorIteratorBaseERKN3c106ScalarES8_ENKUlvE_clEvENKUlvE4_clEvEUldE_EEvS4_RKT_EUlibE_EEviT1_.uses_vcc, 1
	.set _ZN2at6native32elementwise_kernel_manual_unrollILi128ELi4EZNS0_22gpu_kernel_impl_nocastIZZZNS0_17clamp_kernel_cudaERNS_18TensorIteratorBaseERKN3c106ScalarES8_ENKUlvE_clEvENKUlvE4_clEvEUldE_EEvS4_RKT_EUlibE_EEviT1_.uses_flat_scratch, 0
	.set _ZN2at6native32elementwise_kernel_manual_unrollILi128ELi4EZNS0_22gpu_kernel_impl_nocastIZZZNS0_17clamp_kernel_cudaERNS_18TensorIteratorBaseERKN3c106ScalarES8_ENKUlvE_clEvENKUlvE4_clEvEUldE_EEvS4_RKT_EUlibE_EEviT1_.has_dyn_sized_stack, 0
	.set _ZN2at6native32elementwise_kernel_manual_unrollILi128ELi4EZNS0_22gpu_kernel_impl_nocastIZZZNS0_17clamp_kernel_cudaERNS_18TensorIteratorBaseERKN3c106ScalarES8_ENKUlvE_clEvENKUlvE4_clEvEUldE_EEvS4_RKT_EUlibE_EEviT1_.has_recursion, 0
	.set _ZN2at6native32elementwise_kernel_manual_unrollILi128ELi4EZNS0_22gpu_kernel_impl_nocastIZZZNS0_17clamp_kernel_cudaERNS_18TensorIteratorBaseERKN3c106ScalarES8_ENKUlvE_clEvENKUlvE4_clEvEUldE_EEvS4_RKT_EUlibE_EEviT1_.has_indirect_call, 0
	.section	.AMDGPU.csdata,"",@progbits
; Kernel info:
; codeLenInByte = 6160
; TotalNumSgprs: 70
; NumVgprs: 28
; NumAgprs: 0
; TotalNumVgprs: 28
; ScratchSize: 0
; MemoryBound: 0
; FloatMode: 240
; IeeeMode: 1
; LDSByteSize: 0 bytes/workgroup (compile time only)
; SGPRBlocks: 8
; VGPRBlocks: 3
; NumSGPRsForWavesPerEU: 70
; NumVGPRsForWavesPerEU: 28
; AccumOffset: 28
; Occupancy: 8
; WaveLimiterHint : 1
; COMPUTE_PGM_RSRC2:SCRATCH_EN: 0
; COMPUTE_PGM_RSRC2:USER_SGPR: 2
; COMPUTE_PGM_RSRC2:TRAP_HANDLER: 0
; COMPUTE_PGM_RSRC2:TGID_X_EN: 1
; COMPUTE_PGM_RSRC2:TGID_Y_EN: 0
; COMPUTE_PGM_RSRC2:TGID_Z_EN: 0
; COMPUTE_PGM_RSRC2:TIDIG_COMP_CNT: 0
; COMPUTE_PGM_RSRC3_GFX90A:ACCUM_OFFSET: 6
; COMPUTE_PGM_RSRC3_GFX90A:TG_SPLIT: 0
	.section	.text._ZN2at6native32elementwise_kernel_manual_unrollILi128ELi4EZNS0_15gpu_kernel_implIZZZNS0_17clamp_kernel_cudaERNS_18TensorIteratorBaseERKN3c106ScalarES8_ENKUlvE_clEvENKUlvE4_clEvEUldE_EEvS4_RKT_EUlibE_EEviT1_,"axG",@progbits,_ZN2at6native32elementwise_kernel_manual_unrollILi128ELi4EZNS0_15gpu_kernel_implIZZZNS0_17clamp_kernel_cudaERNS_18TensorIteratorBaseERKN3c106ScalarES8_ENKUlvE_clEvENKUlvE4_clEvEUldE_EEvS4_RKT_EUlibE_EEviT1_,comdat
	.globl	_ZN2at6native32elementwise_kernel_manual_unrollILi128ELi4EZNS0_15gpu_kernel_implIZZZNS0_17clamp_kernel_cudaERNS_18TensorIteratorBaseERKN3c106ScalarES8_ENKUlvE_clEvENKUlvE4_clEvEUldE_EEvS4_RKT_EUlibE_EEviT1_ ; -- Begin function _ZN2at6native32elementwise_kernel_manual_unrollILi128ELi4EZNS0_15gpu_kernel_implIZZZNS0_17clamp_kernel_cudaERNS_18TensorIteratorBaseERKN3c106ScalarES8_ENKUlvE_clEvENKUlvE4_clEvEUldE_EEvS4_RKT_EUlibE_EEviT1_
	.p2align	8
	.type	_ZN2at6native32elementwise_kernel_manual_unrollILi128ELi4EZNS0_15gpu_kernel_implIZZZNS0_17clamp_kernel_cudaERNS_18TensorIteratorBaseERKN3c106ScalarES8_ENKUlvE_clEvENKUlvE4_clEvEUldE_EEvS4_RKT_EUlibE_EEviT1_,@function
_ZN2at6native32elementwise_kernel_manual_unrollILi128ELi4EZNS0_15gpu_kernel_implIZZZNS0_17clamp_kernel_cudaERNS_18TensorIteratorBaseERKN3c106ScalarES8_ENKUlvE_clEvENKUlvE4_clEvEUldE_EEvS4_RKT_EUlibE_EEviT1_: ; @_ZN2at6native32elementwise_kernel_manual_unrollILi128ELi4EZNS0_15gpu_kernel_implIZZZNS0_17clamp_kernel_cudaERNS_18TensorIteratorBaseERKN3c106ScalarES8_ENKUlvE_clEvENKUlvE4_clEvEUldE_EEvS4_RKT_EUlibE_EEviT1_
; %bb.0:
	s_load_dword s33, s[0:1], 0x30
	s_load_dword s42, s[0:1], 0x0
	s_load_dwordx4 s[4:7], s[0:1], 0x8
	s_load_dwordx2 s[12:13], s[0:1], 0x18
	s_load_dwordx4 s[8:11], s[0:1], 0x20
	v_lshl_or_b32 v14, s2, 9, v0
	v_or_b32_e32 v0, 0x180, v14
	s_waitcnt lgkmcnt(0)
	s_bfe_u32 s46, s33, 0x80008
	v_cmp_le_i32_e32 vcc, s42, v0
	s_mov_b64 s[2:3], 0
	s_mov_b64 s[16:17], 0
	s_and_saveexec_b64 s[0:1], vcc
	s_xor_b64 s[14:15], exec, s[0:1]
	s_cbranch_execz .LBB320_1027
; %bb.1:
	v_cmp_gt_i32_e32 vcc, s42, v14
	s_mov_b64 s[22:23], -1
	s_mov_b64 s[24:25], 0
	s_mov_b64 s[18:19], 0
	s_and_saveexec_b64 s[20:21], vcc
	s_cbranch_execz .LBB320_252
; %bb.2:
	v_mul_lo_u32 v0, v14, s13
	v_ashrrev_i32_e32 v1, 31, v0
	s_and_b32 s26, 0xffff, s46
	s_cmp_lt_i32 s26, 11
	v_lshl_add_u64 v[0:1], s[6:7], 0, v[0:1]
	s_cbranch_scc1 .LBB320_9
; %bb.3:
	s_cmp_gt_i32 s26, 25
	s_cbranch_scc0 .LBB320_18
; %bb.4:
	s_cmp_gt_i32 s26, 28
	s_cbranch_scc0 .LBB320_22
	;; [unrolled: 3-line block ×4, first 2 shown]
; %bb.7:
	s_cmp_eq_u32 s26, 46
	s_cbranch_scc0 .LBB320_28
; %bb.8:
	global_load_dword v2, v[0:1], off
	s_mov_b64 s[0:1], -1
	s_waitcnt vmcnt(0)
	v_lshlrev_b32_e32 v2, 16, v2
	v_cvt_f64_f32_e32 v[2:3], v2
	s_branch .LBB320_30
.LBB320_9:
                                        ; implicit-def: $vgpr2_vgpr3
	s_mov_b64 s[0:1], 0
	s_cbranch_execnz .LBB320_203
.LBB320_10:
	s_andn2_b64 vcc, exec, s[0:1]
	s_cbranch_vccnz .LBB320_250
.LBB320_11:
	v_max_f64 v[0:1], s[8:9], s[8:9]
	s_waitcnt vmcnt(0)
	v_max_f64 v[4:5], v[2:3], v[2:3]
	v_max_f64 v[0:1], v[4:5], v[0:1]
	v_max_f64 v[4:5], s[10:11], s[10:11]
	v_min_f64 v[0:1], v[0:1], v[4:5]
	v_cmp_u_f64_e32 vcc, v[2:3], v[2:3]
	s_and_b32 s28, s33, 0xff
	s_cmp_lt_i32 s28, 11
	v_cndmask_b32_e32 v0, v0, v2, vcc
	v_mul_lo_u32 v2, v14, s12
	v_cndmask_b32_e32 v1, v1, v3, vcc
	v_ashrrev_i32_e32 v3, 31, v2
	v_lshl_add_u64 v[4:5], s[4:5], 0, v[2:3]
	s_cbranch_scc1 .LBB320_19
; %bb.12:
	s_and_b32 s29, 0xffff, s28
	s_cmp_gt_i32 s29, 25
	s_cbranch_scc0 .LBB320_23
; %bb.13:
	s_cmp_gt_i32 s29, 28
	s_cbranch_scc0 .LBB320_25
; %bb.14:
	;; [unrolled: 3-line block ×4, first 2 shown]
	s_mov_b64 s[22:23], 0
	s_mov_b64 s[0:1], -1
	s_cmp_eq_u32 s29, 46
	s_mov_b64 s[16:17], 0
	s_cbranch_scc0 .LBB320_34
; %bb.17:
	v_cvt_f32_f64_e32 v2, v[0:1]
	v_bfe_u32 v3, v2, 16, 1
	s_movk_i32 s0, 0x7fff
	v_add3_u32 v3, v2, v3, s0
	v_cmp_o_f32_e32 vcc, v2, v2
	v_mov_b32_e32 v2, 0x7fc0
	s_mov_b64 s[16:17], -1
	v_cndmask_b32_sdwa v2, v2, v3, vcc dst_sel:DWORD dst_unused:UNUSED_PAD src0_sel:DWORD src1_sel:WORD_1
	global_store_dword v[4:5], v2, off
	s_mov_b64 s[0:1], 0
	s_branch .LBB320_34
.LBB320_18:
	s_mov_b64 s[0:1], 0
                                        ; implicit-def: $vgpr2_vgpr3
	s_cbranch_execnz .LBB320_170
	s_branch .LBB320_202
.LBB320_19:
	s_mov_b64 s[0:1], 0
	s_mov_b64 s[16:17], 0
	s_cbranch_execnz .LBB320_103
.LBB320_20:
	s_andn2_b64 vcc, exec, s[16:17]
	s_cbranch_vccnz .LBB320_141
.LBB320_21:
	v_add_u32_e32 v14, 0x80, v14
	s_mov_b64 s[22:23], -1
	s_branch .LBB320_251
.LBB320_22:
	s_mov_b64 s[16:17], -1
	s_mov_b64 s[0:1], 0
                                        ; implicit-def: $vgpr2_vgpr3
	s_branch .LBB320_149
.LBB320_23:
	s_mov_b64 s[22:23], -1
	s_mov_b64 s[0:1], 0
	s_mov_b64 s[16:17], 0
	s_branch .LBB320_61
.LBB320_24:
	s_mov_b64 s[16:17], -1
	s_mov_b64 s[0:1], 0
                                        ; implicit-def: $vgpr2_vgpr3
	s_branch .LBB320_144
.LBB320_25:
	s_mov_b64 s[22:23], -1
	s_mov_b64 s[0:1], 0
	s_mov_b64 s[16:17], 0
	s_branch .LBB320_44
.LBB320_26:
	s_mov_b64 s[16:17], -1
	s_branch .LBB320_29
.LBB320_27:
	s_mov_b64 s[22:23], -1
	s_mov_b64 s[0:1], 0
	s_mov_b64 s[16:17], 0
	s_branch .LBB320_40
.LBB320_28:
	s_mov_b64 s[18:19], -1
.LBB320_29:
	s_mov_b64 s[0:1], 0
                                        ; implicit-def: $vgpr2_vgpr3
.LBB320_30:
	s_and_b64 vcc, exec, s[16:17]
	s_cbranch_vccz .LBB320_143
; %bb.31:
	s_cmp_eq_u32 s26, 44
	s_cbranch_scc0 .LBB320_142
; %bb.32:
	global_load_ubyte v4, v[0:1], off
	s_movk_i32 s16, 0xff
	v_bfrev_b32_e32 v5, 4
	v_mov_b32_e32 v6, 0x7ff80000
	v_bfrev_b32_e32 v7, 28
	s_mov_b64 s[0:1], -1
	s_mov_b64 s[18:19], 0
	s_waitcnt vmcnt(0)
	v_lshlrev_b32_e32 v2, 23, v4
	v_cvt_f64_f32_e32 v[2:3], v2
	v_cmp_ne_u32_e32 vcc, s16, v4
	s_nop 1
	v_cndmask_b32_e32 v2, v5, v2, vcc
	v_cndmask_b32_e32 v3, v6, v3, vcc
	v_cmp_ne_u32_e32 vcc, 0, v4
	s_nop 1
	v_cndmask_b32_e32 v3, v7, v3, vcc
	v_cndmask_b32_e32 v2, 0, v2, vcc
	s_branch .LBB320_143
.LBB320_33:
	s_mov_b64 s[22:23], -1
	s_mov_b64 s[0:1], 0
	s_mov_b64 s[16:17], 0
.LBB320_34:
	s_and_b64 vcc, exec, s[22:23]
	s_cbranch_vccz .LBB320_39
; %bb.35:
	s_cmp_eq_u32 s29, 44
	s_mov_b64 s[0:1], -1
	s_cbranch_scc0 .LBB320_39
; %bb.36:
	v_cvt_f32_f64_e32 v2, v[0:1]
	v_bfe_u32 v3, v2, 23, 8
	s_movk_i32 s0, 0xff
	v_cmp_ne_u32_e32 vcc, s0, v3
	v_mov_b32_e32 v6, 0xff
	s_and_saveexec_b64 s[16:17], vcc
; %bb.37:
	s_mov_b32 s0, 0x3fffff
	v_lshrrev_b32_e32 v6, 23, v2
	v_and_b32_e32 v7, 0x400000, v2
	v_and_or_b32 v2, v2, s0, v3
	v_cmp_ne_u32_e32 vcc, 0, v7
	v_cmp_ne_u32_e64 s[0:1], 0, v2
	s_and_b64 s[0:1], vcc, s[0:1]
	s_nop 0
	v_cndmask_b32_e64 v2, 0, 1, s[0:1]
	v_add_u32_e32 v6, v6, v2
; %bb.38:
	s_or_b64 exec, exec, s[16:17]
	s_mov_b64 s[16:17], -1
	s_mov_b64 s[0:1], 0
	global_store_byte v[4:5], v6, off
.LBB320_39:
	s_mov_b64 s[22:23], 0
.LBB320_40:
	s_and_b64 vcc, exec, s[22:23]
	s_cbranch_vccz .LBB320_43
; %bb.41:
	s_cmp_eq_u32 s29, 29
	s_mov_b64 s[0:1], -1
	s_cbranch_scc0 .LBB320_43
; %bb.42:
	v_trunc_f64_e32 v[2:3], v[0:1]
	s_movk_i32 s0, 0xffe0
	v_ldexp_f64 v[6:7], v[2:3], s0
	v_floor_f64_e32 v[6:7], v[6:7]
	v_fmac_f64_e32 v[2:3], 0xc1f00000, v[6:7]
	v_cvt_u32_f64_e32 v9, v[6:7]
	v_cvt_u32_f64_e32 v8, v[2:3]
	global_store_dwordx2 v[4:5], v[8:9], off
	s_mov_b64 s[16:17], -1
	s_mov_b64 s[0:1], 0
.LBB320_43:
	s_mov_b64 s[22:23], 0
.LBB320_44:
	s_and_b64 vcc, exec, s[22:23]
	s_cbranch_vccz .LBB320_60
; %bb.45:
	s_cmp_lt_i32 s29, 27
	s_mov_b64 s[16:17], -1
	s_cbranch_scc1 .LBB320_51
; %bb.46:
	s_cmp_gt_i32 s29, 27
	v_cvt_u32_f64_e32 v2, v[0:1]
	s_cbranch_scc0 .LBB320_48
; %bb.47:
	s_mov_b64 s[16:17], 0
	global_store_dword v[4:5], v2, off
.LBB320_48:
	s_andn2_b64 vcc, exec, s[16:17]
	s_cbranch_vccnz .LBB320_50
; %bb.49:
	global_store_short v[4:5], v2, off
.LBB320_50:
	s_mov_b64 s[16:17], 0
.LBB320_51:
	s_andn2_b64 vcc, exec, s[16:17]
	s_cbranch_vccnz .LBB320_59
; %bb.52:
	v_cvt_f32_f64_e32 v2, v[0:1]
	v_and_b32_e32 v3, 0x7fffffff, v2
	s_mov_b32 s16, 0x43800000
	v_cmp_gt_u32_e32 vcc, s16, v3
	v_mov_b32_e32 v6, 0x80
	s_and_saveexec_b64 s[16:17], vcc
	s_cbranch_execz .LBB320_58
; %bb.53:
	s_mov_b32 s22, 0x3bffffff
	v_cmp_lt_u32_e32 vcc, s22, v3
	s_mov_b64 s[22:23], 0
                                        ; implicit-def: $vgpr3
	s_and_saveexec_b64 s[26:27], vcc
	s_xor_b64 s[26:27], exec, s[26:27]
	s_cbranch_execz .LBB320_279
; %bb.54:
	v_bfe_u32 v3, v2, 20, 1
	s_mov_b32 s30, 0x487ffff
	v_add3_u32 v3, v2, v3, s30
	s_mov_b64 s[22:23], exec
	v_lshrrev_b32_e32 v3, 20, v3
	s_andn2_saveexec_b64 s[26:27], s[26:27]
	s_cbranch_execnz .LBB320_280
.LBB320_55:
	s_or_b64 exec, exec, s[26:27]
	v_mov_b32_e32 v6, 0
	s_and_saveexec_b64 s[26:27], s[22:23]
.LBB320_56:
	v_lshrrev_b32_e32 v2, 24, v2
	s_movk_i32 s22, 0x80
	v_and_or_b32 v6, v2, s22, v3
.LBB320_57:
	s_or_b64 exec, exec, s[26:27]
.LBB320_58:
	s_or_b64 exec, exec, s[16:17]
	global_store_byte v[4:5], v6, off
.LBB320_59:
	s_mov_b64 s[16:17], -1
.LBB320_60:
	s_mov_b64 s[22:23], 0
.LBB320_61:
	s_and_b64 vcc, exec, s[22:23]
	s_cbranch_vccz .LBB320_102
; %bb.62:
	s_cmp_gt_i32 s29, 22
	s_mov_b64 s[22:23], -1
	s_cbranch_scc0 .LBB320_94
; %bb.63:
	s_cmp_lt_i32 s29, 24
	s_mov_b64 s[16:17], -1
	s_cbranch_scc1 .LBB320_83
; %bb.64:
	s_cmp_gt_i32 s29, 24
	s_cbranch_scc0 .LBB320_72
; %bb.65:
	v_cvt_f32_f64_e32 v2, v[0:1]
	v_and_b32_e32 v3, 0x7fffffff, v2
	s_mov_b32 s16, 0x47800000
	v_cmp_gt_u32_e32 vcc, s16, v3
	v_mov_b32_e32 v6, 0x80
	s_and_saveexec_b64 s[16:17], vcc
	s_cbranch_execz .LBB320_71
; %bb.66:
	s_mov_b32 s22, 0x37ffffff
	v_cmp_lt_u32_e32 vcc, s22, v3
	s_mov_b64 s[22:23], 0
                                        ; implicit-def: $vgpr3
	s_and_saveexec_b64 s[26:27], vcc
	s_xor_b64 s[26:27], exec, s[26:27]
	s_cbranch_execz .LBB320_283
; %bb.67:
	v_bfe_u32 v3, v2, 21, 1
	s_mov_b32 s30, 0x88fffff
	v_add3_u32 v3, v2, v3, s30
	s_mov_b64 s[22:23], exec
	v_lshrrev_b32_e32 v3, 21, v3
	s_andn2_saveexec_b64 s[26:27], s[26:27]
	s_cbranch_execnz .LBB320_284
.LBB320_68:
	s_or_b64 exec, exec, s[26:27]
	v_mov_b32_e32 v6, 0
	s_and_saveexec_b64 s[26:27], s[22:23]
.LBB320_69:
	v_lshrrev_b32_e32 v2, 24, v2
	s_movk_i32 s22, 0x80
	v_and_or_b32 v6, v2, s22, v3
.LBB320_70:
	s_or_b64 exec, exec, s[26:27]
.LBB320_71:
	s_or_b64 exec, exec, s[16:17]
	s_mov_b64 s[16:17], 0
	global_store_byte v[4:5], v6, off
.LBB320_72:
	s_and_b64 vcc, exec, s[16:17]
	s_cbranch_vccz .LBB320_82
; %bb.73:
	v_cvt_f32_f64_e32 v2, v[0:1]
	v_and_b32_e32 v6, 0x7fffffff, v2
	s_mov_b32 s16, 0x43f00000
	v_cmp_gt_u32_e32 vcc, s16, v6
                                        ; implicit-def: $vgpr3
	s_and_saveexec_b64 s[16:17], vcc
	s_xor_b64 s[16:17], exec, s[16:17]
	s_cbranch_execz .LBB320_79
; %bb.74:
	s_mov_b32 s22, 0x3c7fffff
	v_cmp_lt_u32_e32 vcc, s22, v6
                                        ; implicit-def: $vgpr3
	s_and_saveexec_b64 s[22:23], vcc
	s_xor_b64 s[22:23], exec, s[22:23]
; %bb.75:
	v_bfe_u32 v3, v2, 20, 1
	s_mov_b32 s26, 0x407ffff
	v_add3_u32 v3, v2, v3, s26
	v_lshrrev_b32_e32 v6, 20, v3
	v_and_b32_e32 v3, 0xff00000, v3
	s_mov_b32 s26, 0x7f00000
	v_mov_b32_e32 v7, 0x7e
	v_cmp_ne_u32_e32 vcc, s26, v3
	s_nop 1
	v_cndmask_b32_e32 v3, v7, v6, vcc
; %bb.76:
	s_andn2_saveexec_b64 s[22:23], s[22:23]
; %bb.77:
	s_mov_b32 s26, 0x46800000
	v_add_f32_e64 v3, |v2|, s26
; %bb.78:
	s_or_b64 exec, exec, s[22:23]
                                        ; implicit-def: $vgpr6
.LBB320_79:
	s_andn2_saveexec_b64 s[16:17], s[16:17]
; %bb.80:
	s_mov_b32 s22, 0x7f800000
	v_mov_b32_e32 v3, 0x7e
	v_mov_b32_e32 v7, 0x7f
	v_cmp_lt_u32_e32 vcc, s22, v6
	s_nop 1
	v_cndmask_b32_e32 v3, v3, v7, vcc
; %bb.81:
	s_or_b64 exec, exec, s[16:17]
	v_lshrrev_b32_e32 v2, 24, v2
	s_movk_i32 s16, 0x80
	v_and_or_b32 v2, v2, s16, v3
	global_store_byte v[4:5], v2, off
.LBB320_82:
	s_mov_b64 s[16:17], 0
.LBB320_83:
	s_andn2_b64 vcc, exec, s[16:17]
	s_cbranch_vccnz .LBB320_93
; %bb.84:
	v_cvt_f32_f64_e32 v2, v[0:1]
	v_and_b32_e32 v6, 0x7fffffff, v2
	s_mov_b32 s16, 0x47800000
	v_cmp_gt_u32_e32 vcc, s16, v6
                                        ; implicit-def: $vgpr3
	s_and_saveexec_b64 s[16:17], vcc
	s_xor_b64 s[16:17], exec, s[16:17]
	s_cbranch_execz .LBB320_90
; %bb.85:
	s_mov_b32 s22, 0x387fffff
	v_cmp_lt_u32_e32 vcc, s22, v6
                                        ; implicit-def: $vgpr3
	s_and_saveexec_b64 s[22:23], vcc
	s_xor_b64 s[22:23], exec, s[22:23]
; %bb.86:
	v_bfe_u32 v3, v2, 21, 1
	s_mov_b32 s26, 0x80fffff
	v_add3_u32 v3, v2, v3, s26
	v_lshrrev_b32_e32 v3, 21, v3
; %bb.87:
	s_andn2_saveexec_b64 s[22:23], s[22:23]
; %bb.88:
	s_mov_b32 s26, 0x43000000
	v_add_f32_e64 v3, |v2|, s26
; %bb.89:
	s_or_b64 exec, exec, s[22:23]
                                        ; implicit-def: $vgpr6
.LBB320_90:
	s_andn2_saveexec_b64 s[16:17], s[16:17]
; %bb.91:
	s_mov_b32 s22, 0x7f800000
	v_mov_b32_e32 v3, 0x7c
	v_mov_b32_e32 v7, 0x7f
	v_cmp_lt_u32_e32 vcc, s22, v6
	s_nop 1
	v_cndmask_b32_e32 v3, v3, v7, vcc
; %bb.92:
	s_or_b64 exec, exec, s[16:17]
	v_lshrrev_b32_e32 v2, 24, v2
	s_movk_i32 s16, 0x80
	v_and_or_b32 v2, v2, s16, v3
	global_store_byte v[4:5], v2, off
.LBB320_93:
	s_mov_b64 s[22:23], 0
	s_mov_b64 s[16:17], -1
.LBB320_94:
	s_andn2_b64 vcc, exec, s[22:23]
	s_cbranch_vccnz .LBB320_102
; %bb.95:
	s_cmp_gt_i32 s29, 14
	s_mov_b64 s[22:23], -1
	s_cbranch_scc0 .LBB320_99
; %bb.96:
	s_cmp_eq_u32 s29, 15
	s_mov_b64 s[0:1], -1
	s_cbranch_scc0 .LBB320_98
; %bb.97:
	v_cvt_f32_f64_e32 v2, v[0:1]
	v_bfe_u32 v3, v2, 16, 1
	s_movk_i32 s0, 0x7fff
	v_add3_u32 v3, v2, v3, s0
	v_cmp_o_f32_e32 vcc, v2, v2
	v_mov_b32_e32 v2, 0x7fc0
	s_mov_b64 s[16:17], -1
	v_cndmask_b32_sdwa v2, v2, v3, vcc dst_sel:DWORD dst_unused:UNUSED_PAD src0_sel:DWORD src1_sel:WORD_1
	global_store_short v[4:5], v2, off
	s_mov_b64 s[0:1], 0
.LBB320_98:
	s_mov_b64 s[22:23], 0
.LBB320_99:
	s_and_b64 vcc, exec, s[22:23]
	s_cbranch_vccz .LBB320_102
; %bb.100:
	s_cmp_eq_u32 s29, 11
	s_mov_b64 s[0:1], -1
	s_cbranch_scc0 .LBB320_102
; %bb.101:
	v_cmp_neq_f64_e32 vcc, 0, v[0:1]
	s_mov_b64 s[0:1], 0
	s_mov_b64 s[16:17], -1
	v_cndmask_b32_e64 v2, 0, 1, vcc
	global_store_byte v[4:5], v2, off
.LBB320_102:
	s_branch .LBB320_20
.LBB320_103:
	s_and_b32 s22, 0xffff, s28
	s_cmp_lt_i32 s22, 5
	s_mov_b64 s[16:17], -1
	s_cbranch_scc1 .LBB320_124
; %bb.104:
	s_cmp_lt_i32 s22, 8
	s_cbranch_scc1 .LBB320_114
; %bb.105:
	s_cmp_lt_i32 s22, 9
	s_cbranch_scc1 .LBB320_111
; %bb.106:
	s_cmp_gt_i32 s22, 9
	s_cbranch_scc0 .LBB320_108
; %bb.107:
	v_mov_b32_e32 v2, 0
	v_mov_b32_e32 v3, v2
	global_store_dwordx4 v[4:5], v[0:3], off
	s_mov_b64 s[16:17], 0
.LBB320_108:
	s_andn2_b64 vcc, exec, s[16:17]
	s_cbranch_vccnz .LBB320_110
; %bb.109:
	v_cvt_f32_f64_e32 v2, v[0:1]
	v_mov_b32_e32 v3, 0
	global_store_dwordx2 v[4:5], v[2:3], off
.LBB320_110:
	s_mov_b64 s[16:17], 0
.LBB320_111:
	s_andn2_b64 vcc, exec, s[16:17]
	s_cbranch_vccnz .LBB320_113
; %bb.112:
	s_movk_i32 s16, 0x1ff
	v_and_or_b32 v2, v1, s16, v0
	v_cmp_ne_u32_e32 vcc, 0, v2
	v_lshrrev_b32_e32 v3, 8, v1
	s_movk_i32 s16, 0xffe
	v_cndmask_b32_e64 v2, 0, 1, vcc
	v_bfe_u32 v6, v1, 20, 11
	v_and_or_b32 v2, v3, s16, v2
	v_sub_u32_e32 v7, 0x3f1, v6
	v_or_b32_e32 v3, 0x1000, v2
	v_med3_i32 v7, v7, 0, 13
	v_lshrrev_b32_e32 v8, v7, v3
	v_lshlrev_b32_e32 v7, v7, v8
	v_cmp_ne_u32_e32 vcc, v7, v3
	v_add_u32_e32 v6, 0xfffffc10, v6
	v_lshl_or_b32 v7, v6, 12, v2
	v_cndmask_b32_e64 v3, 0, 1, vcc
	v_or_b32_e32 v3, v8, v3
	v_cmp_gt_i32_e32 vcc, 1, v6
	s_movk_i32 s16, 0x40f
	s_nop 0
	v_cndmask_b32_e32 v3, v7, v3, vcc
	v_and_b32_e32 v7, 7, v3
	v_cmp_lt_i32_e32 vcc, 5, v7
	v_lshrrev_b32_e32 v3, 2, v3
	s_nop 0
	v_cndmask_b32_e64 v8, 0, 1, vcc
	v_cmp_eq_u32_e32 vcc, 3, v7
	s_nop 1
	v_cndmask_b32_e64 v7, 0, 1, vcc
	v_or_b32_e32 v7, v7, v8
	v_add_u32_e32 v3, v3, v7
	v_mov_b32_e32 v7, 0x7c00
	v_cmp_gt_i32_e32 vcc, 31, v6
	v_mov_b32_e32 v8, 0x7e00
	s_nop 0
	v_cndmask_b32_e32 v3, v7, v3, vcc
	v_cmp_ne_u32_e32 vcc, 0, v2
	s_nop 1
	v_cndmask_b32_e32 v2, v7, v8, vcc
	v_cmp_eq_u32_e32 vcc, s16, v6
	s_mov_b32 s16, 0x8000
	s_nop 0
	v_cndmask_b32_e32 v2, v3, v2, vcc
	v_and_b32_sdwa v3, v1, s16 dst_sel:DWORD dst_unused:UNUSED_PAD src0_sel:WORD_1 src1_sel:DWORD
	s_mov_b32 s16, 0xffff
	v_bitop3_b32 v2, v3, s16, v2 bitop3:0xc8
	global_store_dword v[4:5], v2, off
.LBB320_113:
	s_mov_b64 s[16:17], 0
.LBB320_114:
	s_andn2_b64 vcc, exec, s[16:17]
	s_cbranch_vccnz .LBB320_123
; %bb.115:
	s_cmp_lt_i32 s22, 6
	s_mov_b64 s[16:17], -1
	s_cbranch_scc1 .LBB320_121
; %bb.116:
	s_cmp_gt_i32 s22, 6
	s_cbranch_scc0 .LBB320_118
; %bb.117:
	global_store_dwordx2 v[4:5], v[0:1], off
	s_mov_b64 s[16:17], 0
.LBB320_118:
	s_andn2_b64 vcc, exec, s[16:17]
	s_cbranch_vccnz .LBB320_120
; %bb.119:
	v_cvt_f32_f64_e32 v2, v[0:1]
	global_store_dword v[4:5], v2, off
.LBB320_120:
	s_mov_b64 s[16:17], 0
.LBB320_121:
	s_andn2_b64 vcc, exec, s[16:17]
	s_cbranch_vccnz .LBB320_123
; %bb.122:
	s_movk_i32 s16, 0x1ff
	v_and_or_b32 v2, v1, s16, v0
	v_cmp_ne_u32_e32 vcc, 0, v2
	v_lshrrev_b32_e32 v3, 8, v1
	s_movk_i32 s16, 0xffe
	v_cndmask_b32_e64 v2, 0, 1, vcc
	v_bfe_u32 v6, v1, 20, 11
	v_and_or_b32 v2, v3, s16, v2
	v_sub_u32_e32 v7, 0x3f1, v6
	v_or_b32_e32 v3, 0x1000, v2
	v_med3_i32 v7, v7, 0, 13
	v_lshrrev_b32_e32 v8, v7, v3
	v_lshlrev_b32_e32 v7, v7, v8
	v_cmp_ne_u32_e32 vcc, v7, v3
	v_add_u32_e32 v6, 0xfffffc10, v6
	v_lshl_or_b32 v7, v6, 12, v2
	v_cndmask_b32_e64 v3, 0, 1, vcc
	v_or_b32_e32 v3, v8, v3
	v_cmp_gt_i32_e32 vcc, 1, v6
	s_movk_i32 s16, 0x40f
	s_nop 0
	v_cndmask_b32_e32 v3, v7, v3, vcc
	v_and_b32_e32 v7, 7, v3
	v_cmp_lt_i32_e32 vcc, 5, v7
	v_lshrrev_b32_e32 v3, 2, v3
	s_nop 0
	v_cndmask_b32_e64 v8, 0, 1, vcc
	v_cmp_eq_u32_e32 vcc, 3, v7
	s_nop 1
	v_cndmask_b32_e64 v7, 0, 1, vcc
	v_or_b32_e32 v7, v7, v8
	v_add_u32_e32 v3, v3, v7
	v_mov_b32_e32 v7, 0x7c00
	v_cmp_gt_i32_e32 vcc, 31, v6
	v_mov_b32_e32 v8, 0x7e00
	s_nop 0
	v_cndmask_b32_e32 v3, v7, v3, vcc
	v_cmp_ne_u32_e32 vcc, 0, v2
	s_nop 1
	v_cndmask_b32_e32 v2, v7, v8, vcc
	v_cmp_eq_u32_e32 vcc, s16, v6
	s_mov_b32 s16, 0x8000
	s_nop 0
	v_cndmask_b32_e32 v2, v3, v2, vcc
	v_lshrrev_b32_e32 v3, 16, v1
	v_and_or_b32 v2, v3, s16, v2
	global_store_short v[4:5], v2, off
.LBB320_123:
	s_mov_b64 s[16:17], 0
.LBB320_124:
	s_andn2_b64 vcc, exec, s[16:17]
	s_cbranch_vccnz .LBB320_140
; %bb.125:
	s_cmp_lt_i32 s22, 2
	s_mov_b64 s[16:17], -1
	s_cbranch_scc1 .LBB320_135
; %bb.126:
	s_cmp_lt_i32 s22, 3
	s_cbranch_scc1 .LBB320_132
; %bb.127:
	s_cmp_gt_i32 s22, 3
	s_cbranch_scc0 .LBB320_129
; %bb.128:
	v_trunc_f64_e32 v[2:3], v[0:1]
	s_movk_i32 s16, 0xffe0
	v_ldexp_f64 v[6:7], v[2:3], s16
	v_floor_f64_e32 v[6:7], v[6:7]
	v_fmac_f64_e32 v[2:3], 0xc1f00000, v[6:7]
	v_cvt_i32_f64_e32 v9, v[6:7]
	v_cvt_u32_f64_e32 v8, v[2:3]
	global_store_dwordx2 v[4:5], v[8:9], off
	s_mov_b64 s[16:17], 0
.LBB320_129:
	s_andn2_b64 vcc, exec, s[16:17]
	s_cbranch_vccnz .LBB320_131
; %bb.130:
	v_cvt_i32_f64_e32 v2, v[0:1]
	global_store_dword v[4:5], v2, off
.LBB320_131:
	s_mov_b64 s[16:17], 0
.LBB320_132:
	s_andn2_b64 vcc, exec, s[16:17]
	s_cbranch_vccnz .LBB320_134
; %bb.133:
	v_cvt_i32_f64_e32 v2, v[0:1]
	global_store_short v[4:5], v2, off
.LBB320_134:
	s_mov_b64 s[16:17], 0
.LBB320_135:
	s_andn2_b64 vcc, exec, s[16:17]
	s_cbranch_vccnz .LBB320_140
; %bb.136:
	s_cmp_gt_i32 s22, 0
	s_mov_b64 s[16:17], -1
	s_cbranch_scc0 .LBB320_138
; %bb.137:
	v_cvt_i32_f64_e32 v2, v[0:1]
	global_store_byte v[4:5], v2, off
	s_mov_b64 s[16:17], 0
.LBB320_138:
	s_andn2_b64 vcc, exec, s[16:17]
	s_cbranch_vccnz .LBB320_140
; %bb.139:
	v_trunc_f64_e32 v[0:1], v[0:1]
	s_movk_i32 s16, 0xffe0
	v_ldexp_f64 v[2:3], v[0:1], s16
	v_floor_f64_e32 v[2:3], v[2:3]
	v_fmac_f64_e32 v[0:1], 0xc1f00000, v[2:3]
	v_cvt_u32_f64_e32 v0, v[0:1]
	global_store_byte v[4:5], v0, off
.LBB320_140:
	s_branch .LBB320_21
.LBB320_141:
	s_mov_b64 s[22:23], 0
                                        ; implicit-def: $vgpr14
	s_branch .LBB320_251
.LBB320_142:
	s_mov_b64 s[18:19], -1
                                        ; implicit-def: $vgpr2_vgpr3
.LBB320_143:
	s_mov_b64 s[16:17], 0
.LBB320_144:
	s_and_b64 vcc, exec, s[16:17]
	s_cbranch_vccz .LBB320_148
; %bb.145:
	s_cmp_eq_u32 s26, 29
	s_cbranch_scc0 .LBB320_147
; %bb.146:
	global_load_dwordx2 v[2:3], v[0:1], off
	s_mov_b64 s[0:1], -1
	s_mov_b64 s[18:19], 0
	s_mov_b64 s[16:17], 0
	s_waitcnt vmcnt(0)
	v_cvt_f64_u32_e32 v[4:5], v3
	v_cvt_f64_u32_e32 v[2:3], v2
	v_ldexp_f64 v[4:5], v[4:5], 32
	v_add_f64 v[2:3], v[4:5], v[2:3]
	s_branch .LBB320_149
.LBB320_147:
	s_mov_b64 s[18:19], -1
                                        ; implicit-def: $vgpr2_vgpr3
.LBB320_148:
	s_mov_b64 s[16:17], 0
.LBB320_149:
	s_and_b64 vcc, exec, s[16:17]
	s_cbranch_vccz .LBB320_169
; %bb.150:
	s_cmp_lt_i32 s26, 27
	s_cbranch_scc1 .LBB320_153
; %bb.151:
	s_cmp_gt_i32 s26, 27
	s_cbranch_scc0 .LBB320_154
; %bb.152:
	global_load_dword v2, v[0:1], off
	s_mov_b64 s[0:1], 0
	s_waitcnt vmcnt(0)
	v_cvt_f64_u32_e32 v[2:3], v2
	s_branch .LBB320_155
.LBB320_153:
	s_mov_b64 s[0:1], -1
                                        ; implicit-def: $vgpr2_vgpr3
	s_branch .LBB320_158
.LBB320_154:
	s_mov_b64 s[0:1], -1
                                        ; implicit-def: $vgpr2_vgpr3
.LBB320_155:
	s_andn2_b64 vcc, exec, s[0:1]
	s_cbranch_vccnz .LBB320_157
; %bb.156:
	global_load_ushort v2, v[0:1], off
	s_waitcnt vmcnt(0)
	v_cvt_f64_u32_e32 v[2:3], v2
.LBB320_157:
	s_mov_b64 s[0:1], 0
.LBB320_158:
	s_andn2_b64 vcc, exec, s[0:1]
	s_cbranch_vccnz .LBB320_168
; %bb.159:
	global_load_ubyte v4, v[0:1], off
	s_movk_i32 s0, 0x7f
	s_waitcnt vmcnt(0)
	v_cmp_lt_i16_e32 vcc, s0, v4
	s_mov_b64 s[0:1], 0
	s_and_saveexec_b64 s[16:17], vcc
	s_xor_b64 s[16:17], exec, s[16:17]
	s_cbranch_execz .LBB320_163
; %bb.160:
	s_movk_i32 s0, 0x80
	v_cmp_eq_u16_e32 vcc, s0, v4
	s_mov_b64 s[0:1], -1
	s_and_saveexec_b64 s[22:23], vcc
; %bb.161:
	s_xor_b64 s[0:1], exec, -1
; %bb.162:
	s_or_b64 exec, exec, s[22:23]
	s_and_b64 s[0:1], s[0:1], exec
.LBB320_163:
	s_or_saveexec_b64 s[16:17], s[16:17]
	v_bfrev_b32_e32 v2, 4
	v_mov_b32_e32 v3, 0x7ff80000
	s_xor_b64 exec, exec, s[16:17]
; %bb.164:
	v_cmp_ne_u16_e32 vcc, 0, v4
	s_andn2_b64 s[0:1], s[0:1], exec
	s_and_b64 s[22:23], vcc, exec
	v_mov_b64_e32 v[2:3], 0
	s_or_b64 s[0:1], s[0:1], s[22:23]
; %bb.165:
	s_or_b64 exec, exec, s[16:17]
	s_and_saveexec_b64 s[16:17], s[0:1]
	s_cbranch_execz .LBB320_167
; %bb.166:
	v_and_b32_e32 v3, 0xffff, v4
	v_lshlrev_b32_e32 v2, 24, v4
	v_and_b32_e32 v4, 7, v3
	v_ffbh_u32_e32 v6, v4
	v_min_u32_e32 v6, 32, v6
	v_subrev_u32_e32 v7, 28, v6
	v_bfe_u32 v5, v3, 3, 4
	v_lshlrev_b32_e32 v3, v7, v3
	v_sub_u32_e32 v6, 29, v6
	v_and_b32_e32 v3, 7, v3
	v_cmp_eq_u32_e32 vcc, 0, v5
	v_and_b32_e32 v2, 0x80000000, v2
	s_nop 0
	v_cndmask_b32_e32 v5, v5, v6, vcc
	v_cndmask_b32_e32 v3, v4, v3, vcc
	v_mov_b32_e32 v4, 0x3b800000
	v_lshlrev_b32_e32 v3, 20, v3
	v_lshl_add_u32 v4, v5, 23, v4
	v_or3_b32 v2, v2, v4, v3
	v_cvt_f64_f32_e32 v[2:3], v2
.LBB320_167:
	s_or_b64 exec, exec, s[16:17]
.LBB320_168:
	s_mov_b64 s[0:1], -1
.LBB320_169:
	s_branch .LBB320_202
.LBB320_170:
	s_cmp_gt_i32 s26, 22
	s_cbranch_scc0 .LBB320_182
; %bb.171:
	s_cmp_lt_i32 s26, 24
	s_cbranch_scc1 .LBB320_183
; %bb.172:
	s_cmp_gt_i32 s26, 24
	s_cbranch_scc0 .LBB320_184
; %bb.173:
	global_load_ubyte v4, v[0:1], off
	s_movk_i32 s0, 0x7f
	s_waitcnt vmcnt(0)
	v_cmp_lt_i16_e32 vcc, s0, v4
	s_mov_b64 s[0:1], 0
	s_and_saveexec_b64 s[16:17], vcc
	s_xor_b64 s[16:17], exec, s[16:17]
	s_cbranch_execz .LBB320_177
; %bb.174:
	s_movk_i32 s0, 0x80
	v_cmp_eq_u16_e32 vcc, s0, v4
	s_mov_b64 s[0:1], -1
	s_and_saveexec_b64 s[22:23], vcc
; %bb.175:
	s_xor_b64 s[0:1], exec, -1
; %bb.176:
	s_or_b64 exec, exec, s[22:23]
	s_and_b64 s[0:1], s[0:1], exec
.LBB320_177:
	s_or_saveexec_b64 s[16:17], s[16:17]
	v_bfrev_b32_e32 v2, 4
	v_mov_b32_e32 v3, 0x7ff80000
	s_xor_b64 exec, exec, s[16:17]
; %bb.178:
	v_cmp_ne_u16_e32 vcc, 0, v4
	s_andn2_b64 s[0:1], s[0:1], exec
	s_and_b64 s[22:23], vcc, exec
	v_mov_b64_e32 v[2:3], 0
	s_or_b64 s[0:1], s[0:1], s[22:23]
; %bb.179:
	s_or_b64 exec, exec, s[16:17]
	s_and_saveexec_b64 s[16:17], s[0:1]
	s_cbranch_execz .LBB320_181
; %bb.180:
	v_and_b32_e32 v3, 0xffff, v4
	v_lshlrev_b32_e32 v2, 24, v4
	v_and_b32_e32 v4, 3, v3
	v_ffbh_u32_e32 v6, v4
	v_min_u32_e32 v6, 32, v6
	v_subrev_u32_e32 v7, 29, v6
	v_bfe_u32 v5, v3, 2, 5
	v_lshlrev_b32_e32 v3, v7, v3
	v_sub_u32_e32 v6, 30, v6
	v_and_b32_e32 v3, 3, v3
	v_cmp_eq_u32_e32 vcc, 0, v5
	v_and_b32_e32 v2, 0x80000000, v2
	s_nop 0
	v_cndmask_b32_e32 v5, v5, v6, vcc
	v_cndmask_b32_e32 v3, v4, v3, vcc
	v_mov_b32_e32 v4, 0x37800000
	v_lshlrev_b32_e32 v3, 21, v3
	v_lshl_add_u32 v4, v5, 23, v4
	v_or3_b32 v2, v2, v4, v3
	v_cvt_f64_f32_e32 v[2:3], v2
.LBB320_181:
	s_or_b64 exec, exec, s[16:17]
	s_mov_b64 s[0:1], 0
	s_branch .LBB320_185
.LBB320_182:
	s_mov_b64 s[16:17], -1
                                        ; implicit-def: $vgpr2_vgpr3
	s_branch .LBB320_191
.LBB320_183:
	s_mov_b64 s[0:1], -1
                                        ; implicit-def: $vgpr2_vgpr3
	s_branch .LBB320_188
.LBB320_184:
	s_mov_b64 s[0:1], -1
                                        ; implicit-def: $vgpr2_vgpr3
.LBB320_185:
	s_and_b64 vcc, exec, s[0:1]
	s_cbranch_vccz .LBB320_187
; %bb.186:
	global_load_ubyte v2, v[0:1], off
	s_mov_b32 s0, 0x7f800000
	s_waitcnt vmcnt(0)
	v_lshlrev_b32_e32 v2, 24, v2
	v_and_b32_e32 v3, 0x7f000000, v2
	v_ffbh_u32_e32 v4, v3
	v_min_u32_e32 v4, 32, v4
	v_sub_u32_e64 v4, v4, 4 clamp
	v_lshlrev_b32_e32 v6, v4, v3
	v_lshlrev_b32_e32 v4, 23, v4
	v_lshrrev_b32_e32 v6, 4, v6
	v_add_u32_e32 v5, 0x1000000, v3
	v_sub_u32_e32 v4, v6, v4
	v_ashrrev_i32_e32 v5, 8, v5
	v_add_u32_e32 v4, 0x3c000000, v4
	v_and_or_b32 v4, v5, s0, v4
	v_cmp_ne_u32_e32 vcc, 0, v3
	s_brev_b32 s0, 1
	s_nop 0
	v_cndmask_b32_e32 v3, 0, v4, vcc
	v_and_or_b32 v2, v2, s0, v3
	v_cvt_f64_f32_e32 v[2:3], v2
.LBB320_187:
	s_mov_b64 s[0:1], 0
.LBB320_188:
	s_andn2_b64 vcc, exec, s[0:1]
	s_cbranch_vccnz .LBB320_190
; %bb.189:
	global_load_ubyte v2, v[0:1], off
	s_movk_i32 s0, 0x7f00
	s_brev_b32 s1, 16
	s_waitcnt vmcnt(0)
	v_lshlrev_b16_e32 v3, 8, v2
	v_lshlrev_b32_e32 v2, 25, v2
	v_lshrrev_b32_e32 v4, 4, v2
	v_and_or_b32 v5, v3, s0, 0.5
	v_or_b32_e32 v4, 0x70000000, v4
	v_add_f32_e32 v5, -0.5, v5
	v_mul_f32_e32 v4, 0x7800000, v4
	v_cmp_gt_u32_e32 vcc, s1, v2
	v_bfe_i32 v3, v3, 0, 16
	s_brev_b32 s0, 1
	v_cndmask_b32_e32 v2, v4, v5, vcc
	v_and_or_b32 v2, v3, s0, v2
	v_cvt_f64_f32_e32 v[2:3], v2
.LBB320_190:
	s_mov_b64 s[16:17], 0
	s_mov_b64 s[0:1], -1
.LBB320_191:
	s_andn2_b64 vcc, exec, s[16:17]
	s_cbranch_vccnz .LBB320_202
; %bb.192:
	s_cmp_gt_i32 s26, 14
	s_cbranch_scc0 .LBB320_195
; %bb.193:
	s_cmp_eq_u32 s26, 15
	s_cbranch_scc0 .LBB320_196
; %bb.194:
	global_load_ushort v2, v[0:1], off
	s_mov_b64 s[0:1], -1
	s_mov_b64 s[18:19], 0
	s_waitcnt vmcnt(0)
	v_lshlrev_b32_e32 v2, 16, v2
	v_cvt_f64_f32_e32 v[2:3], v2
	s_branch .LBB320_197
.LBB320_195:
	s_mov_b64 s[16:17], -1
                                        ; implicit-def: $vgpr2_vgpr3
	s_branch .LBB320_198
.LBB320_196:
	s_mov_b64 s[18:19], -1
                                        ; implicit-def: $vgpr2_vgpr3
.LBB320_197:
	s_mov_b64 s[16:17], 0
.LBB320_198:
	s_and_b64 vcc, exec, s[16:17]
	s_cbranch_vccz .LBB320_202
; %bb.199:
	s_cmp_eq_u32 s26, 11
	s_cbranch_scc0 .LBB320_201
; %bb.200:
	global_load_ubyte v3, v[0:1], off
	v_mov_b32_e32 v4, 0x3ff00000
	v_mov_b32_e32 v2, 0
	s_mov_b64 s[0:1], -1
	s_mov_b64 s[18:19], 0
	s_waitcnt vmcnt(0)
	v_cmp_ne_u16_e32 vcc, 0, v3
	s_nop 1
	v_cndmask_b32_e32 v3, 0, v4, vcc
	s_branch .LBB320_202
.LBB320_201:
	s_mov_b64 s[18:19], -1
                                        ; implicit-def: $vgpr2_vgpr3
.LBB320_202:
	s_branch .LBB320_10
.LBB320_203:
	s_cmp_lt_i32 s26, 5
	s_cbranch_scc1 .LBB320_208
; %bb.204:
	s_cmp_lt_i32 s26, 8
	s_cbranch_scc1 .LBB320_209
; %bb.205:
	;; [unrolled: 3-line block ×3, first 2 shown]
	s_cmp_gt_i32 s26, 9
	s_cbranch_scc0 .LBB320_211
; %bb.207:
	global_load_dwordx2 v[2:3], v[0:1], off
	s_mov_b64 s[0:1], 0
	s_branch .LBB320_212
.LBB320_208:
                                        ; implicit-def: $vgpr2_vgpr3
	s_branch .LBB320_230
.LBB320_209:
	s_mov_b64 s[0:1], -1
                                        ; implicit-def: $vgpr2_vgpr3
	s_branch .LBB320_218
.LBB320_210:
	s_mov_b64 s[0:1], -1
                                        ; implicit-def: $vgpr2_vgpr3
	s_branch .LBB320_215
.LBB320_211:
	s_mov_b64 s[0:1], -1
                                        ; implicit-def: $vgpr2_vgpr3
.LBB320_212:
	s_andn2_b64 vcc, exec, s[0:1]
	s_cbranch_vccnz .LBB320_214
; %bb.213:
	global_load_dword v2, v[0:1], off
	s_waitcnt vmcnt(0)
	v_cvt_f64_f32_e32 v[2:3], v2
.LBB320_214:
	s_mov_b64 s[0:1], 0
.LBB320_215:
	s_andn2_b64 vcc, exec, s[0:1]
	s_cbranch_vccnz .LBB320_217
; %bb.216:
	global_load_dword v2, v[0:1], off
	s_waitcnt vmcnt(0)
	v_cvt_f32_f16_e32 v2, v2
	v_cvt_f64_f32_e32 v[2:3], v2
.LBB320_217:
	s_mov_b64 s[0:1], 0
.LBB320_218:
	s_andn2_b64 vcc, exec, s[0:1]
	s_cbranch_vccnz .LBB320_229
; %bb.219:
	s_cmp_lt_i32 s26, 6
	s_cbranch_scc1 .LBB320_222
; %bb.220:
	s_cmp_gt_i32 s26, 6
	s_cbranch_scc0 .LBB320_223
; %bb.221:
	global_load_dwordx2 v[2:3], v[0:1], off
	s_mov_b64 s[0:1], 0
	s_branch .LBB320_224
.LBB320_222:
	s_mov_b64 s[0:1], -1
                                        ; implicit-def: $vgpr2_vgpr3
	s_branch .LBB320_227
.LBB320_223:
	s_mov_b64 s[0:1], -1
                                        ; implicit-def: $vgpr2_vgpr3
.LBB320_224:
	s_andn2_b64 vcc, exec, s[0:1]
	s_cbranch_vccnz .LBB320_226
; %bb.225:
	global_load_dword v2, v[0:1], off
	s_waitcnt vmcnt(0)
	v_cvt_f64_f32_e32 v[2:3], v2
.LBB320_226:
	s_mov_b64 s[0:1], 0
.LBB320_227:
	s_andn2_b64 vcc, exec, s[0:1]
	s_cbranch_vccnz .LBB320_229
; %bb.228:
	global_load_ushort v2, v[0:1], off
	s_waitcnt vmcnt(0)
	v_cvt_f32_f16_e32 v2, v2
	v_cvt_f64_f32_e32 v[2:3], v2
.LBB320_229:
	s_cbranch_execnz .LBB320_249
.LBB320_230:
	s_cmp_lt_i32 s26, 2
	s_cbranch_scc1 .LBB320_234
; %bb.231:
	s_cmp_lt_i32 s26, 3
	s_cbranch_scc1 .LBB320_235
; %bb.232:
	s_cmp_gt_i32 s26, 3
	s_cbranch_scc0 .LBB320_236
; %bb.233:
	global_load_dwordx2 v[2:3], v[0:1], off
	s_mov_b64 s[0:1], 0
	s_waitcnt vmcnt(0)
	v_cvt_f64_i32_e32 v[4:5], v3
	v_cvt_f64_u32_e32 v[2:3], v2
	v_ldexp_f64 v[4:5], v[4:5], 32
	v_add_f64 v[2:3], v[4:5], v[2:3]
	s_branch .LBB320_237
.LBB320_234:
	s_mov_b64 s[0:1], -1
                                        ; implicit-def: $vgpr2_vgpr3
	s_branch .LBB320_243
.LBB320_235:
	s_mov_b64 s[0:1], -1
                                        ; implicit-def: $vgpr2_vgpr3
	s_branch .LBB320_240
.LBB320_236:
	s_mov_b64 s[0:1], -1
                                        ; implicit-def: $vgpr2_vgpr3
.LBB320_237:
	s_andn2_b64 vcc, exec, s[0:1]
	s_cbranch_vccnz .LBB320_239
; %bb.238:
	global_load_dword v2, v[0:1], off
	s_waitcnt vmcnt(0)
	v_cvt_f64_i32_e32 v[2:3], v2
.LBB320_239:
	s_mov_b64 s[0:1], 0
.LBB320_240:
	s_andn2_b64 vcc, exec, s[0:1]
	s_cbranch_vccnz .LBB320_242
; %bb.241:
	global_load_sshort v2, v[0:1], off
	s_waitcnt vmcnt(0)
	v_cvt_f64_i32_e32 v[2:3], v2
.LBB320_242:
	s_mov_b64 s[0:1], 0
.LBB320_243:
	s_andn2_b64 vcc, exec, s[0:1]
	s_cbranch_vccnz .LBB320_249
; %bb.244:
	s_cmp_gt_i32 s26, 0
	s_cbranch_scc0 .LBB320_246
; %bb.245:
	global_load_sbyte v2, v[0:1], off
	s_mov_b64 s[0:1], 0
	s_waitcnt vmcnt(0)
	v_cvt_f64_i32_e32 v[2:3], v2
	s_branch .LBB320_247
.LBB320_246:
	s_mov_b64 s[0:1], -1
                                        ; implicit-def: $vgpr2_vgpr3
.LBB320_247:
	s_andn2_b64 vcc, exec, s[0:1]
	s_cbranch_vccnz .LBB320_249
; %bb.248:
	global_load_ubyte v0, v[0:1], off
	s_waitcnt vmcnt(0)
	v_cvt_f64_u32_e32 v[2:3], v0
.LBB320_249:
	s_branch .LBB320_11
.LBB320_250:
	s_mov_b64 s[0:1], 0
                                        ; implicit-def: $vgpr14
	s_mov_b64 s[22:23], 0
.LBB320_251:
	s_and_b64 s[16:17], s[0:1], exec
	s_and_b64 s[18:19], s[18:19], exec
	s_orn2_b64 s[22:23], s[22:23], exec
.LBB320_252:
	s_or_b64 exec, exec, s[20:21]
	s_mov_b64 s[26:27], 0
	s_mov_b64 s[0:1], 0
                                        ; implicit-def: $vgpr0_vgpr1
                                        ; implicit-def: $vgpr2_vgpr3
	s_and_saveexec_b64 s[20:21], s[22:23]
	s_cbranch_execz .LBB320_261
; %bb.253:
	v_cmp_gt_i32_e32 vcc, s42, v14
	s_mov_b64 s[0:1], -1
	s_mov_b64 s[22:23], s[18:19]
	s_mov_b64 s[24:25], s[16:17]
	s_and_saveexec_b64 s[26:27], vcc
	s_cbranch_execz .LBB320_513
; %bb.254:
	v_mul_lo_u32 v0, v14, s13
	v_ashrrev_i32_e32 v1, 31, v0
	s_and_b32 s30, 0xffff, s46
	s_cmp_lt_i32 s30, 11
	v_lshl_add_u64 v[0:1], s[6:7], 0, v[0:1]
	s_cbranch_scc1 .LBB320_264
; %bb.255:
	s_cmp_gt_i32 s30, 25
	s_cbranch_scc0 .LBB320_273
; %bb.256:
	s_cmp_gt_i32 s30, 28
	s_cbranch_scc0 .LBB320_275
; %bb.257:
	s_cmp_gt_i32 s30, 43
	s_cbranch_scc0 .LBB320_277
; %bb.258:
	s_cmp_gt_i32 s30, 45
	s_cbranch_scc0 .LBB320_281
; %bb.259:
	s_cmp_eq_u32 s30, 46
	s_mov_b64 s[24:25], 0
	s_cbranch_scc0 .LBB320_285
; %bb.260:
	global_load_dword v2, v[0:1], off
	s_mov_b64 s[22:23], 0
	s_waitcnt vmcnt(0)
	v_lshlrev_b32_e32 v2, 16, v2
	v_cvt_f64_f32_e32 v[2:3], v2
	s_branch .LBB320_286
.LBB320_261:
	s_or_b64 exec, exec, s[20:21]
	s_mov_b64 s[20:21], 0
	s_and_saveexec_b64 s[22:23], s[18:19]
	s_cbranch_execnz .LBB320_859
.LBB320_262:
	s_or_b64 exec, exec, s[22:23]
	s_and_saveexec_b64 s[18:19], s[24:25]
	s_xor_b64 s[18:19], exec, s[18:19]
	s_cbranch_execz .LBB320_860
.LBB320_263:
	global_load_ubyte v3, v[0:1], off
	v_mov_b32_e32 v4, 0x3ff00000
	s_waitcnt vmcnt(1)
	v_mov_b32_e32 v2, 0
	s_or_b64 s[0:1], s[0:1], exec
	s_waitcnt vmcnt(0)
	v_cmp_ne_u16_e32 vcc, 0, v3
	s_nop 1
	v_cndmask_b32_e32 v3, 0, v4, vcc
	s_or_b64 exec, exec, s[18:19]
	s_and_saveexec_b64 s[18:19], s[26:27]
	s_cbranch_execz .LBB320_906
	s_branch .LBB320_861
.LBB320_264:
	s_mov_b64 s[0:1], 0
                                        ; implicit-def: $vgpr2_vgpr3
	s_mov_b64 s[22:23], s[18:19]
	s_cbranch_execnz .LBB320_463
.LBB320_265:
	s_andn2_b64 vcc, exec, s[0:1]
	s_cbranch_vccnz .LBB320_511
.LBB320_266:
	v_max_f64 v[0:1], s[8:9], s[8:9]
	s_waitcnt vmcnt(0)
	v_max_f64 v[4:5], v[2:3], v[2:3]
	v_max_f64 v[0:1], v[4:5], v[0:1]
	;; [unrolled: 1-line block ×3, first 2 shown]
	v_min_f64 v[0:1], v[0:1], v[4:5]
	v_cmp_u_f64_e32 vcc, v[2:3], v[2:3]
	s_and_b32 s34, s33, 0xff
	s_cmp_lt_i32 s34, 11
	v_cndmask_b32_e32 v0, v0, v2, vcc
	v_mul_lo_u32 v2, v14, s12
	v_cndmask_b32_e32 v1, v1, v3, vcc
	v_ashrrev_i32_e32 v3, 31, v2
	v_lshl_add_u64 v[4:5], s[4:5], 0, v[2:3]
	s_cbranch_scc1 .LBB320_274
; %bb.267:
	s_and_b32 s35, 0xffff, s34
	s_cmp_gt_i32 s35, 25
	s_cbranch_scc0 .LBB320_276
; %bb.268:
	s_cmp_gt_i32 s35, 28
	s_cbranch_scc0 .LBB320_278
; %bb.269:
	;; [unrolled: 3-line block ×4, first 2 shown]
	s_mov_b64 s[28:29], 0
	s_mov_b64 s[0:1], -1
	s_cmp_eq_u32 s35, 46
	s_mov_b64 s[24:25], 0
	s_cbranch_scc0 .LBB320_290
; %bb.272:
	v_cvt_f32_f64_e32 v2, v[0:1]
	v_bfe_u32 v3, v2, 16, 1
	s_movk_i32 s0, 0x7fff
	v_add3_u32 v3, v2, v3, s0
	v_cmp_o_f32_e32 vcc, v2, v2
	v_mov_b32_e32 v2, 0x7fc0
	s_mov_b64 s[24:25], -1
	v_cndmask_b32_sdwa v2, v2, v3, vcc dst_sel:DWORD dst_unused:UNUSED_PAD src0_sel:DWORD src1_sel:WORD_1
	global_store_dword v[4:5], v2, off
	s_mov_b64 s[0:1], 0
	s_branch .LBB320_290
.LBB320_273:
	s_mov_b64 s[24:25], -1
	s_mov_b64 s[0:1], 0
	s_mov_b64 s[22:23], s[18:19]
                                        ; implicit-def: $vgpr2_vgpr3
	s_branch .LBB320_429
.LBB320_274:
	s_mov_b64 s[28:29], -1
	s_mov_b64 s[24:25], 0
	s_mov_b64 s[0:1], s[16:17]
	s_branch .LBB320_359
.LBB320_275:
	s_mov_b64 s[24:25], -1
	s_mov_b64 s[0:1], 0
	s_mov_b64 s[22:23], s[18:19]
                                        ; implicit-def: $vgpr2_vgpr3
	s_branch .LBB320_408
.LBB320_276:
	s_mov_b64 s[28:29], -1
	s_mov_b64 s[24:25], 0
	s_mov_b64 s[0:1], s[16:17]
	s_branch .LBB320_317
.LBB320_277:
	s_mov_b64 s[24:25], -1
	s_mov_b64 s[0:1], 0
	s_mov_b64 s[22:23], s[18:19]
                                        ; implicit-def: $vgpr2_vgpr3
	s_branch .LBB320_403
.LBB320_278:
	s_mov_b64 s[28:29], -1
	s_mov_b64 s[24:25], 0
	s_mov_b64 s[0:1], s[16:17]
	s_branch .LBB320_300
.LBB320_279:
	s_andn2_saveexec_b64 s[26:27], s[26:27]
	s_cbranch_execz .LBB320_55
.LBB320_280:
	s_mov_b32 s30, 0x46000000
	v_add_f32_e64 v3, |v2|, s30
	v_and_b32_e32 v3, 0xff, v3
	v_cmp_ne_u32_e32 vcc, 0, v3
	s_andn2_b64 s[22:23], s[22:23], exec
	s_and_b64 s[30:31], vcc, exec
	s_or_b64 s[22:23], s[22:23], s[30:31]
	s_or_b64 exec, exec, s[26:27]
	v_mov_b32_e32 v6, 0
	s_and_saveexec_b64 s[26:27], s[22:23]
	s_cbranch_execnz .LBB320_56
	s_branch .LBB320_57
.LBB320_281:
	s_mov_b64 s[24:25], -1
	s_mov_b64 s[0:1], 0
	s_mov_b64 s[22:23], s[18:19]
                                        ; implicit-def: $vgpr2_vgpr3
	s_branch .LBB320_286
.LBB320_282:
	s_mov_b64 s[28:29], -1
	s_mov_b64 s[24:25], 0
	s_mov_b64 s[0:1], s[16:17]
	s_branch .LBB320_296
.LBB320_283:
	s_andn2_saveexec_b64 s[26:27], s[26:27]
	s_cbranch_execz .LBB320_68
.LBB320_284:
	s_mov_b32 s30, 0x42800000
	v_add_f32_e64 v3, |v2|, s30
	v_and_b32_e32 v3, 0xff, v3
	v_cmp_ne_u32_e32 vcc, 0, v3
	s_andn2_b64 s[22:23], s[22:23], exec
	s_and_b64 s[30:31], vcc, exec
	s_or_b64 s[22:23], s[22:23], s[30:31]
	s_or_b64 exec, exec, s[26:27]
	v_mov_b32_e32 v6, 0
	s_and_saveexec_b64 s[26:27], s[22:23]
	s_cbranch_execnz .LBB320_69
	s_branch .LBB320_70
.LBB320_285:
	s_mov_b64 s[22:23], -1
                                        ; implicit-def: $vgpr2_vgpr3
	s_mov_b64 s[0:1], 0
.LBB320_286:
	s_and_b64 vcc, exec, s[24:25]
	s_cbranch_vccz .LBB320_402
; %bb.287:
	s_cmp_eq_u32 s30, 44
	s_cbranch_scc0 .LBB320_401
; %bb.288:
	global_load_ubyte v4, v[0:1], off
	s_movk_i32 s22, 0xff
	v_bfrev_b32_e32 v5, 4
	v_mov_b32_e32 v6, 0x7ff80000
	v_bfrev_b32_e32 v7, 28
	s_mov_b64 s[0:1], -1
	s_waitcnt vmcnt(0)
	v_lshlrev_b32_e32 v2, 23, v4
	v_cvt_f64_f32_e32 v[2:3], v2
	v_cmp_ne_u32_e32 vcc, s22, v4
	s_mov_b64 s[22:23], 0
	s_nop 0
	v_cndmask_b32_e32 v2, v5, v2, vcc
	v_cndmask_b32_e32 v3, v6, v3, vcc
	v_cmp_ne_u32_e32 vcc, 0, v4
	s_nop 1
	v_cndmask_b32_e32 v3, v7, v3, vcc
	v_cndmask_b32_e32 v2, 0, v2, vcc
	s_branch .LBB320_402
.LBB320_289:
	s_mov_b64 s[28:29], -1
	s_mov_b64 s[24:25], 0
	s_mov_b64 s[0:1], s[16:17]
.LBB320_290:
	s_and_b64 vcc, exec, s[28:29]
	s_cbranch_vccz .LBB320_295
; %bb.291:
	s_cmp_eq_u32 s35, 44
	s_mov_b64 s[0:1], -1
	s_cbranch_scc0 .LBB320_295
; %bb.292:
	v_cvt_f32_f64_e32 v2, v[0:1]
	v_bfe_u32 v3, v2, 23, 8
	s_movk_i32 s0, 0xff
	v_cmp_ne_u32_e32 vcc, s0, v3
	v_mov_b32_e32 v6, 0xff
	s_and_saveexec_b64 s[24:25], vcc
; %bb.293:
	s_mov_b32 s0, 0x3fffff
	v_lshrrev_b32_e32 v6, 23, v2
	v_and_b32_e32 v7, 0x400000, v2
	v_and_or_b32 v2, v2, s0, v3
	v_cmp_ne_u32_e32 vcc, 0, v7
	v_cmp_ne_u32_e64 s[0:1], 0, v2
	s_and_b64 s[0:1], vcc, s[0:1]
	s_nop 0
	v_cndmask_b32_e64 v2, 0, 1, s[0:1]
	v_add_u32_e32 v6, v6, v2
; %bb.294:
	s_or_b64 exec, exec, s[24:25]
	s_mov_b64 s[24:25], -1
	s_mov_b64 s[0:1], 0
	global_store_byte v[4:5], v6, off
.LBB320_295:
	s_mov_b64 s[28:29], 0
.LBB320_296:
	s_and_b64 vcc, exec, s[28:29]
	s_cbranch_vccz .LBB320_299
; %bb.297:
	s_cmp_eq_u32 s35, 29
	s_mov_b64 s[0:1], -1
	s_cbranch_scc0 .LBB320_299
; %bb.298:
	v_trunc_f64_e32 v[2:3], v[0:1]
	s_movk_i32 s0, 0xffe0
	v_ldexp_f64 v[6:7], v[2:3], s0
	v_floor_f64_e32 v[6:7], v[6:7]
	v_fmac_f64_e32 v[2:3], 0xc1f00000, v[6:7]
	v_cvt_u32_f64_e32 v9, v[6:7]
	v_cvt_u32_f64_e32 v8, v[2:3]
	global_store_dwordx2 v[4:5], v[8:9], off
	s_mov_b64 s[24:25], -1
	s_mov_b64 s[0:1], 0
.LBB320_299:
	s_mov_b64 s[28:29], 0
.LBB320_300:
	s_and_b64 vcc, exec, s[28:29]
	s_cbranch_vccz .LBB320_316
; %bb.301:
	s_cmp_lt_i32 s35, 27
	s_mov_b64 s[24:25], -1
	s_cbranch_scc1 .LBB320_307
; %bb.302:
	s_cmp_gt_i32 s35, 27
	v_cvt_u32_f64_e32 v2, v[0:1]
	s_cbranch_scc0 .LBB320_304
; %bb.303:
	s_mov_b64 s[24:25], 0
	global_store_dword v[4:5], v2, off
.LBB320_304:
	s_andn2_b64 vcc, exec, s[24:25]
	s_cbranch_vccnz .LBB320_306
; %bb.305:
	global_store_short v[4:5], v2, off
.LBB320_306:
	s_mov_b64 s[24:25], 0
.LBB320_307:
	s_andn2_b64 vcc, exec, s[24:25]
	s_cbranch_vccnz .LBB320_315
; %bb.308:
	v_cvt_f32_f64_e32 v2, v[0:1]
	v_and_b32_e32 v3, 0x7fffffff, v2
	s_mov_b32 s24, 0x43800000
	v_cmp_gt_u32_e32 vcc, s24, v3
	v_mov_b32_e32 v6, 0x80
	s_and_saveexec_b64 s[24:25], vcc
	s_cbranch_execz .LBB320_314
; %bb.309:
	s_mov_b32 s28, 0x3bffffff
	v_cmp_lt_u32_e32 vcc, s28, v3
	s_mov_b64 s[28:29], 0
                                        ; implicit-def: $vgpr3
	s_and_saveexec_b64 s[30:31], vcc
	s_xor_b64 s[30:31], exec, s[30:31]
	s_cbranch_execz .LBB320_526
; %bb.310:
	v_bfe_u32 v3, v2, 20, 1
	s_mov_b32 s36, 0x487ffff
	v_add3_u32 v3, v2, v3, s36
	s_mov_b64 s[28:29], exec
	v_lshrrev_b32_e32 v3, 20, v3
	s_andn2_saveexec_b64 s[30:31], s[30:31]
	s_cbranch_execnz .LBB320_527
.LBB320_311:
	s_or_b64 exec, exec, s[30:31]
	v_mov_b32_e32 v6, 0
	s_and_saveexec_b64 s[30:31], s[28:29]
.LBB320_312:
	v_lshrrev_b32_e32 v2, 24, v2
	s_movk_i32 s28, 0x80
	v_and_or_b32 v6, v2, s28, v3
.LBB320_313:
	s_or_b64 exec, exec, s[30:31]
.LBB320_314:
	s_or_b64 exec, exec, s[24:25]
	global_store_byte v[4:5], v6, off
.LBB320_315:
	s_mov_b64 s[24:25], -1
.LBB320_316:
	s_mov_b64 s[28:29], 0
.LBB320_317:
	s_and_b64 vcc, exec, s[28:29]
	s_cbranch_vccz .LBB320_358
; %bb.318:
	s_cmp_gt_i32 s35, 22
	s_mov_b64 s[28:29], -1
	s_cbranch_scc0 .LBB320_350
; %bb.319:
	s_cmp_lt_i32 s35, 24
	s_mov_b64 s[24:25], -1
	s_cbranch_scc1 .LBB320_339
; %bb.320:
	s_cmp_gt_i32 s35, 24
	s_cbranch_scc0 .LBB320_328
; %bb.321:
	v_cvt_f32_f64_e32 v2, v[0:1]
	v_and_b32_e32 v3, 0x7fffffff, v2
	s_mov_b32 s24, 0x47800000
	v_cmp_gt_u32_e32 vcc, s24, v3
	v_mov_b32_e32 v6, 0x80
	s_and_saveexec_b64 s[24:25], vcc
	s_cbranch_execz .LBB320_327
; %bb.322:
	s_mov_b32 s28, 0x37ffffff
	v_cmp_lt_u32_e32 vcc, s28, v3
	s_mov_b64 s[28:29], 0
                                        ; implicit-def: $vgpr3
	s_and_saveexec_b64 s[30:31], vcc
	s_xor_b64 s[30:31], exec, s[30:31]
	s_cbranch_execz .LBB320_529
; %bb.323:
	v_bfe_u32 v3, v2, 21, 1
	s_mov_b32 s36, 0x88fffff
	v_add3_u32 v3, v2, v3, s36
	s_mov_b64 s[28:29], exec
	v_lshrrev_b32_e32 v3, 21, v3
	s_andn2_saveexec_b64 s[30:31], s[30:31]
	s_cbranch_execnz .LBB320_530
.LBB320_324:
	s_or_b64 exec, exec, s[30:31]
	v_mov_b32_e32 v6, 0
	s_and_saveexec_b64 s[30:31], s[28:29]
.LBB320_325:
	v_lshrrev_b32_e32 v2, 24, v2
	s_movk_i32 s28, 0x80
	v_and_or_b32 v6, v2, s28, v3
.LBB320_326:
	s_or_b64 exec, exec, s[30:31]
.LBB320_327:
	s_or_b64 exec, exec, s[24:25]
	s_mov_b64 s[24:25], 0
	global_store_byte v[4:5], v6, off
.LBB320_328:
	s_and_b64 vcc, exec, s[24:25]
	s_cbranch_vccz .LBB320_338
; %bb.329:
	v_cvt_f32_f64_e32 v2, v[0:1]
	v_and_b32_e32 v6, 0x7fffffff, v2
	s_mov_b32 s24, 0x43f00000
	v_cmp_gt_u32_e32 vcc, s24, v6
                                        ; implicit-def: $vgpr3
	s_and_saveexec_b64 s[24:25], vcc
	s_xor_b64 s[24:25], exec, s[24:25]
	s_cbranch_execz .LBB320_335
; %bb.330:
	s_mov_b32 s28, 0x3c7fffff
	v_cmp_lt_u32_e32 vcc, s28, v6
                                        ; implicit-def: $vgpr3
	s_and_saveexec_b64 s[28:29], vcc
	s_xor_b64 s[28:29], exec, s[28:29]
; %bb.331:
	v_bfe_u32 v3, v2, 20, 1
	s_mov_b32 s30, 0x407ffff
	v_add3_u32 v3, v2, v3, s30
	v_lshrrev_b32_e32 v6, 20, v3
	v_and_b32_e32 v3, 0xff00000, v3
	s_mov_b32 s30, 0x7f00000
	v_mov_b32_e32 v7, 0x7e
	v_cmp_ne_u32_e32 vcc, s30, v3
	s_nop 1
	v_cndmask_b32_e32 v3, v7, v6, vcc
; %bb.332:
	s_andn2_saveexec_b64 s[28:29], s[28:29]
; %bb.333:
	s_mov_b32 s30, 0x46800000
	v_add_f32_e64 v3, |v2|, s30
; %bb.334:
	s_or_b64 exec, exec, s[28:29]
                                        ; implicit-def: $vgpr6
.LBB320_335:
	s_andn2_saveexec_b64 s[24:25], s[24:25]
; %bb.336:
	s_mov_b32 s28, 0x7f800000
	v_mov_b32_e32 v3, 0x7e
	v_mov_b32_e32 v7, 0x7f
	v_cmp_lt_u32_e32 vcc, s28, v6
	s_nop 1
	v_cndmask_b32_e32 v3, v3, v7, vcc
; %bb.337:
	s_or_b64 exec, exec, s[24:25]
	v_lshrrev_b32_e32 v2, 24, v2
	s_movk_i32 s24, 0x80
	v_and_or_b32 v2, v2, s24, v3
	global_store_byte v[4:5], v2, off
.LBB320_338:
	s_mov_b64 s[24:25], 0
.LBB320_339:
	s_andn2_b64 vcc, exec, s[24:25]
	s_cbranch_vccnz .LBB320_349
; %bb.340:
	v_cvt_f32_f64_e32 v2, v[0:1]
	v_and_b32_e32 v6, 0x7fffffff, v2
	s_mov_b32 s24, 0x47800000
	v_cmp_gt_u32_e32 vcc, s24, v6
                                        ; implicit-def: $vgpr3
	s_and_saveexec_b64 s[24:25], vcc
	s_xor_b64 s[24:25], exec, s[24:25]
	s_cbranch_execz .LBB320_346
; %bb.341:
	s_mov_b32 s28, 0x387fffff
	v_cmp_lt_u32_e32 vcc, s28, v6
                                        ; implicit-def: $vgpr3
	s_and_saveexec_b64 s[28:29], vcc
	s_xor_b64 s[28:29], exec, s[28:29]
; %bb.342:
	v_bfe_u32 v3, v2, 21, 1
	s_mov_b32 s30, 0x80fffff
	v_add3_u32 v3, v2, v3, s30
	v_lshrrev_b32_e32 v3, 21, v3
; %bb.343:
	s_andn2_saveexec_b64 s[28:29], s[28:29]
; %bb.344:
	s_mov_b32 s30, 0x43000000
	v_add_f32_e64 v3, |v2|, s30
; %bb.345:
	s_or_b64 exec, exec, s[28:29]
                                        ; implicit-def: $vgpr6
.LBB320_346:
	s_andn2_saveexec_b64 s[24:25], s[24:25]
; %bb.347:
	s_mov_b32 s28, 0x7f800000
	v_mov_b32_e32 v3, 0x7c
	v_mov_b32_e32 v7, 0x7f
	v_cmp_lt_u32_e32 vcc, s28, v6
	s_nop 1
	v_cndmask_b32_e32 v3, v3, v7, vcc
; %bb.348:
	s_or_b64 exec, exec, s[24:25]
	v_lshrrev_b32_e32 v2, 24, v2
	s_movk_i32 s24, 0x80
	v_and_or_b32 v2, v2, s24, v3
	global_store_byte v[4:5], v2, off
.LBB320_349:
	s_mov_b64 s[28:29], 0
	s_mov_b64 s[24:25], -1
.LBB320_350:
	s_andn2_b64 vcc, exec, s[28:29]
	s_cbranch_vccnz .LBB320_358
; %bb.351:
	s_cmp_gt_i32 s35, 14
	s_mov_b64 s[28:29], -1
	s_cbranch_scc0 .LBB320_355
; %bb.352:
	s_cmp_eq_u32 s35, 15
	s_mov_b64 s[0:1], -1
	s_cbranch_scc0 .LBB320_354
; %bb.353:
	v_cvt_f32_f64_e32 v2, v[0:1]
	v_bfe_u32 v3, v2, 16, 1
	s_movk_i32 s0, 0x7fff
	v_add3_u32 v3, v2, v3, s0
	v_cmp_o_f32_e32 vcc, v2, v2
	v_mov_b32_e32 v2, 0x7fc0
	s_mov_b64 s[24:25], -1
	v_cndmask_b32_sdwa v2, v2, v3, vcc dst_sel:DWORD dst_unused:UNUSED_PAD src0_sel:DWORD src1_sel:WORD_1
	global_store_short v[4:5], v2, off
	s_mov_b64 s[0:1], 0
.LBB320_354:
	s_mov_b64 s[28:29], 0
.LBB320_355:
	s_and_b64 vcc, exec, s[28:29]
	s_cbranch_vccz .LBB320_358
; %bb.356:
	s_cmp_eq_u32 s35, 11
	s_mov_b64 s[0:1], -1
	s_cbranch_scc0 .LBB320_358
; %bb.357:
	v_cmp_neq_f64_e32 vcc, 0, v[0:1]
	s_mov_b64 s[0:1], 0
	s_mov_b64 s[24:25], -1
	v_cndmask_b32_e64 v2, 0, 1, vcc
	global_store_byte v[4:5], v2, off
.LBB320_358:
	s_mov_b64 s[28:29], 0
.LBB320_359:
	s_and_b64 vcc, exec, s[28:29]
	s_cbranch_vccz .LBB320_398
; %bb.360:
	s_and_b32 s28, 0xffff, s34
	s_cmp_lt_i32 s28, 5
	s_mov_b64 s[24:25], -1
	s_cbranch_scc1 .LBB320_381
; %bb.361:
	s_cmp_lt_i32 s28, 8
	s_cbranch_scc1 .LBB320_371
; %bb.362:
	s_cmp_lt_i32 s28, 9
	s_cbranch_scc1 .LBB320_368
; %bb.363:
	s_cmp_gt_i32 s28, 9
	s_cbranch_scc0 .LBB320_365
; %bb.364:
	v_mov_b32_e32 v2, 0
	v_mov_b32_e32 v3, v2
	s_mov_b64 s[24:25], 0
	global_store_dwordx4 v[4:5], v[0:3], off
.LBB320_365:
	s_andn2_b64 vcc, exec, s[24:25]
	s_cbranch_vccnz .LBB320_367
; %bb.366:
	v_cvt_f32_f64_e32 v2, v[0:1]
	v_mov_b32_e32 v3, 0
	global_store_dwordx2 v[4:5], v[2:3], off
.LBB320_367:
	s_mov_b64 s[24:25], 0
.LBB320_368:
	s_andn2_b64 vcc, exec, s[24:25]
	s_cbranch_vccnz .LBB320_370
; %bb.369:
	s_movk_i32 s24, 0x1ff
	v_and_or_b32 v2, v1, s24, v0
	v_cmp_ne_u32_e32 vcc, 0, v2
	v_lshrrev_b32_e32 v3, 8, v1
	s_movk_i32 s24, 0xffe
	v_cndmask_b32_e64 v2, 0, 1, vcc
	v_bfe_u32 v6, v1, 20, 11
	v_and_or_b32 v2, v3, s24, v2
	v_sub_u32_e32 v7, 0x3f1, v6
	v_or_b32_e32 v3, 0x1000, v2
	v_med3_i32 v7, v7, 0, 13
	v_lshrrev_b32_e32 v8, v7, v3
	v_lshlrev_b32_e32 v7, v7, v8
	v_cmp_ne_u32_e32 vcc, v7, v3
	v_add_u32_e32 v6, 0xfffffc10, v6
	v_lshl_or_b32 v7, v6, 12, v2
	v_cndmask_b32_e64 v3, 0, 1, vcc
	v_or_b32_e32 v3, v8, v3
	v_cmp_gt_i32_e32 vcc, 1, v6
	s_movk_i32 s24, 0x40f
	s_nop 0
	v_cndmask_b32_e32 v3, v7, v3, vcc
	v_and_b32_e32 v7, 7, v3
	v_cmp_lt_i32_e32 vcc, 5, v7
	v_lshrrev_b32_e32 v3, 2, v3
	s_nop 0
	v_cndmask_b32_e64 v8, 0, 1, vcc
	v_cmp_eq_u32_e32 vcc, 3, v7
	s_nop 1
	v_cndmask_b32_e64 v7, 0, 1, vcc
	v_or_b32_e32 v7, v7, v8
	v_add_u32_e32 v3, v3, v7
	v_mov_b32_e32 v7, 0x7c00
	v_cmp_gt_i32_e32 vcc, 31, v6
	v_mov_b32_e32 v8, 0x7e00
	s_nop 0
	v_cndmask_b32_e32 v3, v7, v3, vcc
	v_cmp_ne_u32_e32 vcc, 0, v2
	s_nop 1
	v_cndmask_b32_e32 v2, v7, v8, vcc
	v_cmp_eq_u32_e32 vcc, s24, v6
	s_mov_b32 s24, 0x8000
	s_nop 0
	v_cndmask_b32_e32 v2, v3, v2, vcc
	v_and_b32_sdwa v3, v1, s24 dst_sel:DWORD dst_unused:UNUSED_PAD src0_sel:WORD_1 src1_sel:DWORD
	s_mov_b32 s24, 0xffff
	v_bitop3_b32 v2, v3, s24, v2 bitop3:0xc8
	global_store_dword v[4:5], v2, off
.LBB320_370:
	s_mov_b64 s[24:25], 0
.LBB320_371:
	s_andn2_b64 vcc, exec, s[24:25]
	s_cbranch_vccnz .LBB320_380
; %bb.372:
	s_cmp_lt_i32 s28, 6
	s_mov_b64 s[24:25], -1
	s_cbranch_scc1 .LBB320_378
; %bb.373:
	s_cmp_gt_i32 s28, 6
	s_cbranch_scc0 .LBB320_375
; %bb.374:
	s_mov_b64 s[24:25], 0
	global_store_dwordx2 v[4:5], v[0:1], off
.LBB320_375:
	s_andn2_b64 vcc, exec, s[24:25]
	s_cbranch_vccnz .LBB320_377
; %bb.376:
	v_cvt_f32_f64_e32 v2, v[0:1]
	global_store_dword v[4:5], v2, off
.LBB320_377:
	s_mov_b64 s[24:25], 0
.LBB320_378:
	s_andn2_b64 vcc, exec, s[24:25]
	s_cbranch_vccnz .LBB320_380
; %bb.379:
	s_movk_i32 s24, 0x1ff
	v_and_or_b32 v2, v1, s24, v0
	v_cmp_ne_u32_e32 vcc, 0, v2
	v_lshrrev_b32_e32 v3, 8, v1
	s_movk_i32 s24, 0xffe
	v_cndmask_b32_e64 v2, 0, 1, vcc
	v_bfe_u32 v6, v1, 20, 11
	v_and_or_b32 v2, v3, s24, v2
	v_sub_u32_e32 v7, 0x3f1, v6
	v_or_b32_e32 v3, 0x1000, v2
	v_med3_i32 v7, v7, 0, 13
	v_lshrrev_b32_e32 v8, v7, v3
	v_lshlrev_b32_e32 v7, v7, v8
	v_cmp_ne_u32_e32 vcc, v7, v3
	v_add_u32_e32 v6, 0xfffffc10, v6
	v_lshl_or_b32 v7, v6, 12, v2
	v_cndmask_b32_e64 v3, 0, 1, vcc
	v_or_b32_e32 v3, v8, v3
	v_cmp_gt_i32_e32 vcc, 1, v6
	s_movk_i32 s24, 0x40f
	s_nop 0
	v_cndmask_b32_e32 v3, v7, v3, vcc
	v_and_b32_e32 v7, 7, v3
	v_cmp_lt_i32_e32 vcc, 5, v7
	v_lshrrev_b32_e32 v3, 2, v3
	s_nop 0
	v_cndmask_b32_e64 v8, 0, 1, vcc
	v_cmp_eq_u32_e32 vcc, 3, v7
	s_nop 1
	v_cndmask_b32_e64 v7, 0, 1, vcc
	v_or_b32_e32 v7, v7, v8
	v_add_u32_e32 v3, v3, v7
	v_mov_b32_e32 v7, 0x7c00
	v_cmp_gt_i32_e32 vcc, 31, v6
	v_mov_b32_e32 v8, 0x7e00
	s_nop 0
	v_cndmask_b32_e32 v3, v7, v3, vcc
	v_cmp_ne_u32_e32 vcc, 0, v2
	s_nop 1
	v_cndmask_b32_e32 v2, v7, v8, vcc
	v_cmp_eq_u32_e32 vcc, s24, v6
	s_mov_b32 s24, 0x8000
	s_nop 0
	v_cndmask_b32_e32 v2, v3, v2, vcc
	v_lshrrev_b32_e32 v3, 16, v1
	v_and_or_b32 v2, v3, s24, v2
	global_store_short v[4:5], v2, off
.LBB320_380:
	s_mov_b64 s[24:25], 0
.LBB320_381:
	s_andn2_b64 vcc, exec, s[24:25]
	s_cbranch_vccnz .LBB320_397
; %bb.382:
	s_cmp_lt_i32 s28, 2
	s_mov_b64 s[24:25], -1
	s_cbranch_scc1 .LBB320_392
; %bb.383:
	s_cmp_lt_i32 s28, 3
	s_cbranch_scc1 .LBB320_389
; %bb.384:
	s_cmp_gt_i32 s28, 3
	s_cbranch_scc0 .LBB320_386
; %bb.385:
	v_trunc_f64_e32 v[2:3], v[0:1]
	s_movk_i32 s24, 0xffe0
	v_ldexp_f64 v[6:7], v[2:3], s24
	v_floor_f64_e32 v[6:7], v[6:7]
	v_fmac_f64_e32 v[2:3], 0xc1f00000, v[6:7]
	v_cvt_i32_f64_e32 v9, v[6:7]
	v_cvt_u32_f64_e32 v8, v[2:3]
	s_mov_b64 s[24:25], 0
	global_store_dwordx2 v[4:5], v[8:9], off
.LBB320_386:
	s_andn2_b64 vcc, exec, s[24:25]
	s_cbranch_vccnz .LBB320_388
; %bb.387:
	v_cvt_i32_f64_e32 v2, v[0:1]
	global_store_dword v[4:5], v2, off
.LBB320_388:
	s_mov_b64 s[24:25], 0
.LBB320_389:
	s_andn2_b64 vcc, exec, s[24:25]
	s_cbranch_vccnz .LBB320_391
; %bb.390:
	v_cvt_i32_f64_e32 v2, v[0:1]
	global_store_short v[4:5], v2, off
.LBB320_391:
	s_mov_b64 s[24:25], 0
.LBB320_392:
	s_andn2_b64 vcc, exec, s[24:25]
	s_cbranch_vccnz .LBB320_397
; %bb.393:
	s_cmp_gt_i32 s28, 0
	s_mov_b64 s[24:25], -1
	s_cbranch_scc0 .LBB320_395
; %bb.394:
	v_cvt_i32_f64_e32 v2, v[0:1]
	s_mov_b64 s[24:25], 0
	global_store_byte v[4:5], v2, off
.LBB320_395:
	s_andn2_b64 vcc, exec, s[24:25]
	s_cbranch_vccnz .LBB320_397
; %bb.396:
	v_trunc_f64_e32 v[0:1], v[0:1]
	s_movk_i32 s24, 0xffe0
	v_ldexp_f64 v[2:3], v[0:1], s24
	v_floor_f64_e32 v[2:3], v[2:3]
	v_fmac_f64_e32 v[0:1], 0xc1f00000, v[2:3]
	v_cvt_u32_f64_e32 v0, v[0:1]
	global_store_byte v[4:5], v0, off
.LBB320_397:
	s_mov_b64 s[24:25], -1
.LBB320_398:
	s_andn2_b64 vcc, exec, s[24:25]
	s_cbranch_vccnz .LBB320_400
; %bb.399:
	v_add_u32_e32 v14, 0x80, v14
	s_mov_b64 s[28:29], -1
	s_branch .LBB320_512
.LBB320_400:
	s_mov_b64 s[28:29], 0
                                        ; implicit-def: $vgpr14
	s_branch .LBB320_512
.LBB320_401:
	s_mov_b64 s[22:23], -1
                                        ; implicit-def: $vgpr2_vgpr3
.LBB320_402:
	s_mov_b64 s[24:25], 0
.LBB320_403:
	s_and_b64 vcc, exec, s[24:25]
	s_cbranch_vccz .LBB320_407
; %bb.404:
	s_cmp_eq_u32 s30, 29
	s_cbranch_scc0 .LBB320_406
; %bb.405:
	global_load_dwordx2 v[2:3], v[0:1], off
	s_mov_b64 s[0:1], -1
	s_mov_b64 s[22:23], 0
	s_mov_b64 s[24:25], 0
	s_waitcnt vmcnt(0)
	v_cvt_f64_u32_e32 v[4:5], v3
	v_cvt_f64_u32_e32 v[2:3], v2
	v_ldexp_f64 v[4:5], v[4:5], 32
	v_add_f64 v[2:3], v[4:5], v[2:3]
	s_branch .LBB320_408
.LBB320_406:
	s_mov_b64 s[22:23], -1
                                        ; implicit-def: $vgpr2_vgpr3
.LBB320_407:
	s_mov_b64 s[24:25], 0
.LBB320_408:
	s_and_b64 vcc, exec, s[24:25]
	s_cbranch_vccz .LBB320_428
; %bb.409:
	s_cmp_lt_i32 s30, 27
	s_cbranch_scc1 .LBB320_412
; %bb.410:
	s_cmp_gt_i32 s30, 27
	s_cbranch_scc0 .LBB320_413
; %bb.411:
	global_load_dword v2, v[0:1], off
	s_mov_b64 s[0:1], 0
	s_waitcnt vmcnt(0)
	v_cvt_f64_u32_e32 v[2:3], v2
	s_branch .LBB320_414
.LBB320_412:
	s_mov_b64 s[0:1], -1
                                        ; implicit-def: $vgpr2_vgpr3
	s_branch .LBB320_417
.LBB320_413:
	s_mov_b64 s[0:1], -1
                                        ; implicit-def: $vgpr2_vgpr3
.LBB320_414:
	s_andn2_b64 vcc, exec, s[0:1]
	s_cbranch_vccnz .LBB320_416
; %bb.415:
	global_load_ushort v2, v[0:1], off
	s_waitcnt vmcnt(0)
	v_cvt_f64_u32_e32 v[2:3], v2
.LBB320_416:
	s_mov_b64 s[0:1], 0
.LBB320_417:
	s_andn2_b64 vcc, exec, s[0:1]
	s_cbranch_vccnz .LBB320_427
; %bb.418:
	global_load_ubyte v4, v[0:1], off
	s_movk_i32 s0, 0x7f
	s_waitcnt vmcnt(0)
	v_cmp_lt_i16_e32 vcc, s0, v4
	s_mov_b64 s[0:1], 0
	s_and_saveexec_b64 s[24:25], vcc
	s_xor_b64 s[24:25], exec, s[24:25]
	s_cbranch_execz .LBB320_422
; %bb.419:
	s_movk_i32 s0, 0x80
	v_cmp_eq_u16_e32 vcc, s0, v4
	s_mov_b64 s[0:1], -1
	s_and_saveexec_b64 s[28:29], vcc
; %bb.420:
	s_xor_b64 s[0:1], exec, -1
; %bb.421:
	s_or_b64 exec, exec, s[28:29]
	s_and_b64 s[0:1], s[0:1], exec
.LBB320_422:
	s_or_saveexec_b64 s[24:25], s[24:25]
	v_bfrev_b32_e32 v2, 4
	v_mov_b32_e32 v3, 0x7ff80000
	s_xor_b64 exec, exec, s[24:25]
; %bb.423:
	v_cmp_ne_u16_e32 vcc, 0, v4
	s_andn2_b64 s[0:1], s[0:1], exec
	s_and_b64 s[28:29], vcc, exec
	v_mov_b64_e32 v[2:3], 0
	s_or_b64 s[0:1], s[0:1], s[28:29]
; %bb.424:
	s_or_b64 exec, exec, s[24:25]
	s_and_saveexec_b64 s[24:25], s[0:1]
	s_cbranch_execz .LBB320_426
; %bb.425:
	v_and_b32_e32 v3, 0xffff, v4
	v_lshlrev_b32_e32 v2, 24, v4
	v_and_b32_e32 v4, 7, v3
	v_ffbh_u32_e32 v6, v4
	v_min_u32_e32 v6, 32, v6
	v_subrev_u32_e32 v7, 28, v6
	v_bfe_u32 v5, v3, 3, 4
	v_lshlrev_b32_e32 v3, v7, v3
	v_sub_u32_e32 v6, 29, v6
	v_and_b32_e32 v3, 7, v3
	v_cmp_eq_u32_e32 vcc, 0, v5
	v_and_b32_e32 v2, 0x80000000, v2
	s_nop 0
	v_cndmask_b32_e32 v5, v5, v6, vcc
	v_cndmask_b32_e32 v3, v4, v3, vcc
	v_mov_b32_e32 v4, 0x3b800000
	v_lshlrev_b32_e32 v3, 20, v3
	v_lshl_add_u32 v4, v5, 23, v4
	v_or3_b32 v2, v2, v4, v3
	v_cvt_f64_f32_e32 v[2:3], v2
.LBB320_426:
	s_or_b64 exec, exec, s[24:25]
.LBB320_427:
	s_mov_b64 s[0:1], -1
.LBB320_428:
	s_mov_b64 s[24:25], 0
.LBB320_429:
	s_and_b64 vcc, exec, s[24:25]
	s_cbranch_vccz .LBB320_462
; %bb.430:
	s_cmp_gt_i32 s30, 22
	s_cbranch_scc0 .LBB320_442
; %bb.431:
	s_cmp_lt_i32 s30, 24
	s_cbranch_scc1 .LBB320_443
; %bb.432:
	s_cmp_gt_i32 s30, 24
	s_cbranch_scc0 .LBB320_444
; %bb.433:
	global_load_ubyte v4, v[0:1], off
	s_movk_i32 s0, 0x7f
	s_waitcnt vmcnt(0)
	v_cmp_lt_i16_e32 vcc, s0, v4
	s_mov_b64 s[0:1], 0
	s_and_saveexec_b64 s[24:25], vcc
	s_xor_b64 s[24:25], exec, s[24:25]
	s_cbranch_execz .LBB320_437
; %bb.434:
	s_movk_i32 s0, 0x80
	v_cmp_eq_u16_e32 vcc, s0, v4
	s_mov_b64 s[0:1], -1
	s_and_saveexec_b64 s[28:29], vcc
; %bb.435:
	s_xor_b64 s[0:1], exec, -1
; %bb.436:
	s_or_b64 exec, exec, s[28:29]
	s_and_b64 s[0:1], s[0:1], exec
.LBB320_437:
	s_or_saveexec_b64 s[24:25], s[24:25]
	v_bfrev_b32_e32 v2, 4
	v_mov_b32_e32 v3, 0x7ff80000
	s_xor_b64 exec, exec, s[24:25]
; %bb.438:
	v_cmp_ne_u16_e32 vcc, 0, v4
	s_andn2_b64 s[0:1], s[0:1], exec
	s_and_b64 s[28:29], vcc, exec
	v_mov_b64_e32 v[2:3], 0
	s_or_b64 s[0:1], s[0:1], s[28:29]
; %bb.439:
	s_or_b64 exec, exec, s[24:25]
	s_and_saveexec_b64 s[24:25], s[0:1]
	s_cbranch_execz .LBB320_441
; %bb.440:
	v_and_b32_e32 v3, 0xffff, v4
	v_lshlrev_b32_e32 v2, 24, v4
	v_and_b32_e32 v4, 3, v3
	v_ffbh_u32_e32 v6, v4
	v_min_u32_e32 v6, 32, v6
	v_subrev_u32_e32 v7, 29, v6
	v_bfe_u32 v5, v3, 2, 5
	v_lshlrev_b32_e32 v3, v7, v3
	v_sub_u32_e32 v6, 30, v6
	v_and_b32_e32 v3, 3, v3
	v_cmp_eq_u32_e32 vcc, 0, v5
	v_and_b32_e32 v2, 0x80000000, v2
	s_nop 0
	v_cndmask_b32_e32 v5, v5, v6, vcc
	v_cndmask_b32_e32 v3, v4, v3, vcc
	v_mov_b32_e32 v4, 0x37800000
	v_lshlrev_b32_e32 v3, 21, v3
	v_lshl_add_u32 v4, v5, 23, v4
	v_or3_b32 v2, v2, v4, v3
	v_cvt_f64_f32_e32 v[2:3], v2
.LBB320_441:
	s_or_b64 exec, exec, s[24:25]
	s_mov_b64 s[0:1], 0
	s_branch .LBB320_445
.LBB320_442:
	s_mov_b64 s[24:25], -1
                                        ; implicit-def: $vgpr2_vgpr3
	s_branch .LBB320_451
.LBB320_443:
	s_mov_b64 s[0:1], -1
                                        ; implicit-def: $vgpr2_vgpr3
	s_branch .LBB320_448
.LBB320_444:
	s_mov_b64 s[0:1], -1
                                        ; implicit-def: $vgpr2_vgpr3
.LBB320_445:
	s_and_b64 vcc, exec, s[0:1]
	s_cbranch_vccz .LBB320_447
; %bb.446:
	global_load_ubyte v2, v[0:1], off
	s_mov_b32 s0, 0x7f800000
	s_waitcnt vmcnt(0)
	v_lshlrev_b32_e32 v2, 24, v2
	v_and_b32_e32 v3, 0x7f000000, v2
	v_ffbh_u32_e32 v4, v3
	v_min_u32_e32 v4, 32, v4
	v_sub_u32_e64 v4, v4, 4 clamp
	v_lshlrev_b32_e32 v6, v4, v3
	v_lshlrev_b32_e32 v4, 23, v4
	v_lshrrev_b32_e32 v6, 4, v6
	v_add_u32_e32 v5, 0x1000000, v3
	v_sub_u32_e32 v4, v6, v4
	v_ashrrev_i32_e32 v5, 8, v5
	v_add_u32_e32 v4, 0x3c000000, v4
	v_and_or_b32 v4, v5, s0, v4
	v_cmp_ne_u32_e32 vcc, 0, v3
	s_brev_b32 s0, 1
	s_nop 0
	v_cndmask_b32_e32 v3, 0, v4, vcc
	v_and_or_b32 v2, v2, s0, v3
	v_cvt_f64_f32_e32 v[2:3], v2
.LBB320_447:
	s_mov_b64 s[0:1], 0
.LBB320_448:
	s_andn2_b64 vcc, exec, s[0:1]
	s_cbranch_vccnz .LBB320_450
; %bb.449:
	global_load_ubyte v2, v[0:1], off
	s_movk_i32 s0, 0x7f00
	s_brev_b32 s1, 16
	s_waitcnt vmcnt(0)
	v_lshlrev_b16_e32 v3, 8, v2
	v_lshlrev_b32_e32 v2, 25, v2
	v_lshrrev_b32_e32 v4, 4, v2
	v_and_or_b32 v5, v3, s0, 0.5
	v_or_b32_e32 v4, 0x70000000, v4
	v_add_f32_e32 v5, -0.5, v5
	v_mul_f32_e32 v4, 0x7800000, v4
	v_cmp_gt_u32_e32 vcc, s1, v2
	v_bfe_i32 v3, v3, 0, 16
	s_brev_b32 s0, 1
	v_cndmask_b32_e32 v2, v4, v5, vcc
	v_and_or_b32 v2, v3, s0, v2
	v_cvt_f64_f32_e32 v[2:3], v2
.LBB320_450:
	s_mov_b64 s[24:25], 0
	s_mov_b64 s[0:1], -1
.LBB320_451:
	s_andn2_b64 vcc, exec, s[24:25]
	s_cbranch_vccnz .LBB320_462
; %bb.452:
	s_cmp_gt_i32 s30, 14
	s_cbranch_scc0 .LBB320_455
; %bb.453:
	s_cmp_eq_u32 s30, 15
	s_cbranch_scc0 .LBB320_456
; %bb.454:
	global_load_ushort v2, v[0:1], off
	s_mov_b64 s[0:1], -1
	s_mov_b64 s[22:23], 0
	s_waitcnt vmcnt(0)
	v_lshlrev_b32_e32 v2, 16, v2
	v_cvt_f64_f32_e32 v[2:3], v2
	s_branch .LBB320_457
.LBB320_455:
	s_mov_b64 s[24:25], -1
                                        ; implicit-def: $vgpr2_vgpr3
	s_branch .LBB320_458
.LBB320_456:
	s_mov_b64 s[22:23], -1
                                        ; implicit-def: $vgpr2_vgpr3
.LBB320_457:
	s_mov_b64 s[24:25], 0
.LBB320_458:
	s_and_b64 vcc, exec, s[24:25]
	s_cbranch_vccz .LBB320_462
; %bb.459:
	s_cmp_eq_u32 s30, 11
	s_cbranch_scc0 .LBB320_461
; %bb.460:
	global_load_ubyte v3, v[0:1], off
	v_mov_b32_e32 v4, 0x3ff00000
	s_waitcnt vmcnt(1)
	v_mov_b32_e32 v2, 0
	s_mov_b64 s[0:1], -1
	s_mov_b64 s[22:23], 0
	s_waitcnt vmcnt(0)
	v_cmp_ne_u16_e32 vcc, 0, v3
	s_nop 1
	v_cndmask_b32_e32 v3, 0, v4, vcc
	s_branch .LBB320_462
.LBB320_461:
	s_mov_b64 s[22:23], -1
                                        ; implicit-def: $vgpr2_vgpr3
.LBB320_462:
	s_branch .LBB320_265
.LBB320_463:
	s_cmp_lt_i32 s30, 5
	s_cbranch_scc1 .LBB320_468
; %bb.464:
	s_cmp_lt_i32 s30, 8
	s_cbranch_scc1 .LBB320_469
; %bb.465:
	s_cmp_lt_i32 s30, 9
	s_cbranch_scc1 .LBB320_470
; %bb.466:
	s_cmp_gt_i32 s30, 9
	s_cbranch_scc0 .LBB320_471
; %bb.467:
	global_load_dwordx2 v[2:3], v[0:1], off
	s_mov_b64 s[0:1], 0
	s_branch .LBB320_472
.LBB320_468:
	s_mov_b64 s[0:1], -1
                                        ; implicit-def: $vgpr2_vgpr3
	s_branch .LBB320_490
.LBB320_469:
	s_mov_b64 s[0:1], -1
                                        ; implicit-def: $vgpr2_vgpr3
	s_branch .LBB320_478
.LBB320_470:
	s_mov_b64 s[0:1], -1
                                        ; implicit-def: $vgpr2_vgpr3
	s_branch .LBB320_475
.LBB320_471:
	s_mov_b64 s[0:1], -1
                                        ; implicit-def: $vgpr2_vgpr3
.LBB320_472:
	s_andn2_b64 vcc, exec, s[0:1]
	s_cbranch_vccnz .LBB320_474
; %bb.473:
	global_load_dword v2, v[0:1], off
	s_waitcnt vmcnt(0)
	v_cvt_f64_f32_e32 v[2:3], v2
.LBB320_474:
	s_mov_b64 s[0:1], 0
.LBB320_475:
	s_andn2_b64 vcc, exec, s[0:1]
	s_cbranch_vccnz .LBB320_477
; %bb.476:
	global_load_dword v2, v[0:1], off
	s_waitcnt vmcnt(0)
	v_cvt_f32_f16_e32 v2, v2
	v_cvt_f64_f32_e32 v[2:3], v2
.LBB320_477:
	s_mov_b64 s[0:1], 0
.LBB320_478:
	s_andn2_b64 vcc, exec, s[0:1]
	s_cbranch_vccnz .LBB320_489
; %bb.479:
	s_cmp_lt_i32 s30, 6
	s_cbranch_scc1 .LBB320_482
; %bb.480:
	s_cmp_gt_i32 s30, 6
	s_cbranch_scc0 .LBB320_483
; %bb.481:
	global_load_dwordx2 v[2:3], v[0:1], off
	s_mov_b64 s[0:1], 0
	s_branch .LBB320_484
.LBB320_482:
	s_mov_b64 s[0:1], -1
                                        ; implicit-def: $vgpr2_vgpr3
	s_branch .LBB320_487
.LBB320_483:
	s_mov_b64 s[0:1], -1
                                        ; implicit-def: $vgpr2_vgpr3
.LBB320_484:
	s_andn2_b64 vcc, exec, s[0:1]
	s_cbranch_vccnz .LBB320_486
; %bb.485:
	global_load_dword v2, v[0:1], off
	s_waitcnt vmcnt(0)
	v_cvt_f64_f32_e32 v[2:3], v2
.LBB320_486:
	s_mov_b64 s[0:1], 0
.LBB320_487:
	s_andn2_b64 vcc, exec, s[0:1]
	s_cbranch_vccnz .LBB320_489
; %bb.488:
	global_load_ushort v2, v[0:1], off
	s_waitcnt vmcnt(0)
	v_cvt_f32_f16_e32 v2, v2
	v_cvt_f64_f32_e32 v[2:3], v2
.LBB320_489:
	s_mov_b64 s[0:1], 0
.LBB320_490:
	s_andn2_b64 vcc, exec, s[0:1]
	s_cbranch_vccnz .LBB320_510
; %bb.491:
	s_cmp_lt_i32 s30, 2
	s_cbranch_scc1 .LBB320_495
; %bb.492:
	s_cmp_lt_i32 s30, 3
	s_cbranch_scc1 .LBB320_496
; %bb.493:
	s_cmp_gt_i32 s30, 3
	s_cbranch_scc0 .LBB320_497
; %bb.494:
	global_load_dwordx2 v[2:3], v[0:1], off
	s_mov_b64 s[0:1], 0
	s_waitcnt vmcnt(0)
	v_cvt_f64_i32_e32 v[4:5], v3
	v_cvt_f64_u32_e32 v[2:3], v2
	v_ldexp_f64 v[4:5], v[4:5], 32
	v_add_f64 v[2:3], v[4:5], v[2:3]
	s_branch .LBB320_498
.LBB320_495:
	s_mov_b64 s[0:1], -1
                                        ; implicit-def: $vgpr2_vgpr3
	s_branch .LBB320_504
.LBB320_496:
	s_mov_b64 s[0:1], -1
                                        ; implicit-def: $vgpr2_vgpr3
	s_branch .LBB320_501
.LBB320_497:
	s_mov_b64 s[0:1], -1
                                        ; implicit-def: $vgpr2_vgpr3
.LBB320_498:
	s_andn2_b64 vcc, exec, s[0:1]
	s_cbranch_vccnz .LBB320_500
; %bb.499:
	global_load_dword v2, v[0:1], off
	s_waitcnt vmcnt(0)
	v_cvt_f64_i32_e32 v[2:3], v2
.LBB320_500:
	s_mov_b64 s[0:1], 0
.LBB320_501:
	s_andn2_b64 vcc, exec, s[0:1]
	s_cbranch_vccnz .LBB320_503
; %bb.502:
	global_load_sshort v2, v[0:1], off
	s_waitcnt vmcnt(0)
	v_cvt_f64_i32_e32 v[2:3], v2
.LBB320_503:
	s_mov_b64 s[0:1], 0
.LBB320_504:
	s_andn2_b64 vcc, exec, s[0:1]
	s_cbranch_vccnz .LBB320_510
; %bb.505:
	s_cmp_gt_i32 s30, 0
	s_cbranch_scc0 .LBB320_507
; %bb.506:
	global_load_sbyte v2, v[0:1], off
	s_mov_b64 s[0:1], 0
	s_waitcnt vmcnt(0)
	v_cvt_f64_i32_e32 v[2:3], v2
	s_branch .LBB320_508
.LBB320_507:
	s_mov_b64 s[0:1], -1
                                        ; implicit-def: $vgpr2_vgpr3
.LBB320_508:
	s_andn2_b64 vcc, exec, s[0:1]
	s_cbranch_vccnz .LBB320_510
; %bb.509:
	global_load_ubyte v0, v[0:1], off
	s_waitcnt vmcnt(0)
	v_cvt_f64_u32_e32 v[2:3], v0
.LBB320_510:
	s_branch .LBB320_266
.LBB320_511:
	s_mov_b64 s[28:29], 0
                                        ; implicit-def: $vgpr14
	s_mov_b64 s[0:1], s[16:17]
.LBB320_512:
	s_andn2_b64 s[24:25], s[16:17], exec
	s_and_b64 s[0:1], s[0:1], exec
	s_or_b64 s[24:25], s[24:25], s[0:1]
	s_andn2_b64 s[0:1], s[18:19], exec
	s_and_b64 s[22:23], s[22:23], exec
	s_or_b64 s[22:23], s[0:1], s[22:23]
	s_orn2_b64 s[0:1], s[28:29], exec
.LBB320_513:
	s_or_b64 exec, exec, s[26:27]
	s_mov_b64 s[28:29], 0
	s_mov_b64 s[30:31], 0
	;; [unrolled: 1-line block ×3, first 2 shown]
                                        ; implicit-def: $vgpr0_vgpr1
                                        ; implicit-def: $vgpr2_vgpr3
	s_and_saveexec_b64 s[26:27], s[0:1]
	s_cbranch_execz .LBB320_858
; %bb.514:
	v_cmp_gt_i32_e32 vcc, s42, v14
	s_mov_b64 s[38:39], -1
	s_mov_b64 s[0:1], s[22:23]
	s_mov_b64 s[34:35], s[24:25]
	s_and_saveexec_b64 s[28:29], vcc
	s_cbranch_execz .LBB320_772
; %bb.515:
	v_mul_lo_u32 v0, v14, s13
	v_ashrrev_i32_e32 v1, 31, v0
	s_and_b32 s38, 0xffff, s46
	s_cmp_lt_i32 s38, 11
	v_lshl_add_u64 v[0:1], s[6:7], 0, v[0:1]
	s_cbranch_scc1 .LBB320_522
; %bb.516:
	s_cmp_gt_i32 s38, 25
	s_cbranch_scc0 .LBB320_523
; %bb.517:
	s_cmp_gt_i32 s38, 28
	s_cbranch_scc0 .LBB320_524
	;; [unrolled: 3-line block ×4, first 2 shown]
; %bb.520:
	s_cmp_eq_u32 s38, 46
	s_mov_b64 s[34:35], 0
	s_cbranch_scc0 .LBB320_531
; %bb.521:
	global_load_dword v2, v[0:1], off
	s_mov_b64 s[0:1], -1
	s_waitcnt vmcnt(0)
	v_lshlrev_b32_e32 v2, 16, v2
	v_cvt_f64_f32_e32 v[2:3], v2
	s_branch .LBB320_532
.LBB320_522:
	s_mov_b64 s[34:35], -1
	s_mov_b64 s[0:1], 0
                                        ; implicit-def: $vgpr2_vgpr3
	s_mov_b64 s[30:31], s[22:23]
	s_branch .LBB320_597
.LBB320_523:
	s_mov_b64 s[34:35], -1
	s_mov_b64 s[0:1], 0
	s_mov_b64 s[30:31], s[22:23]
                                        ; implicit-def: $vgpr2_vgpr3
	s_branch .LBB320_563
.LBB320_524:
	s_mov_b64 s[34:35], -1
	s_mov_b64 s[0:1], 0
	s_mov_b64 s[30:31], s[22:23]
                                        ; implicit-def: $vgpr2_vgpr3
	s_branch .LBB320_542
.LBB320_525:
	s_mov_b64 s[34:35], -1
	s_mov_b64 s[0:1], 0
	s_mov_b64 s[30:31], s[22:23]
                                        ; implicit-def: $vgpr2_vgpr3
	s_branch .LBB320_537
.LBB320_526:
	s_andn2_saveexec_b64 s[30:31], s[30:31]
	s_cbranch_execz .LBB320_311
.LBB320_527:
	s_mov_b32 s36, 0x46000000
	v_add_f32_e64 v3, |v2|, s36
	v_and_b32_e32 v3, 0xff, v3
	v_cmp_ne_u32_e32 vcc, 0, v3
	s_andn2_b64 s[28:29], s[28:29], exec
	s_and_b64 s[36:37], vcc, exec
	s_or_b64 s[28:29], s[28:29], s[36:37]
	s_or_b64 exec, exec, s[30:31]
	v_mov_b32_e32 v6, 0
	s_and_saveexec_b64 s[30:31], s[28:29]
	s_cbranch_execnz .LBB320_312
	s_branch .LBB320_313
.LBB320_528:
	s_mov_b64 s[34:35], -1
	s_mov_b64 s[0:1], 0
	s_mov_b64 s[30:31], s[22:23]
                                        ; implicit-def: $vgpr2_vgpr3
	s_branch .LBB320_532
.LBB320_529:
	s_andn2_saveexec_b64 s[30:31], s[30:31]
	s_cbranch_execz .LBB320_324
.LBB320_530:
	s_mov_b32 s36, 0x42800000
	v_add_f32_e64 v3, |v2|, s36
	v_and_b32_e32 v3, 0xff, v3
	v_cmp_ne_u32_e32 vcc, 0, v3
	s_andn2_b64 s[28:29], s[28:29], exec
	s_and_b64 s[36:37], vcc, exec
	s_or_b64 s[28:29], s[28:29], s[36:37]
	s_or_b64 exec, exec, s[30:31]
	v_mov_b32_e32 v6, 0
	s_and_saveexec_b64 s[30:31], s[28:29]
	s_cbranch_execnz .LBB320_325
	s_branch .LBB320_326
.LBB320_531:
	s_mov_b64 s[30:31], -1
                                        ; implicit-def: $vgpr2_vgpr3
	s_mov_b64 s[0:1], 0
.LBB320_532:
	s_and_b64 vcc, exec, s[34:35]
	s_cbranch_vccz .LBB320_536
; %bb.533:
	s_cmp_eq_u32 s38, 44
	s_cbranch_scc0 .LBB320_535
; %bb.534:
	global_load_ubyte v4, v[0:1], off
	s_movk_i32 s30, 0xff
	v_bfrev_b32_e32 v5, 4
	v_mov_b32_e32 v6, 0x7ff80000
	v_bfrev_b32_e32 v7, 28
	s_mov_b64 s[0:1], -1
	s_waitcnt vmcnt(0)
	v_lshlrev_b32_e32 v2, 23, v4
	v_cvt_f64_f32_e32 v[2:3], v2
	v_cmp_ne_u32_e32 vcc, s30, v4
	s_mov_b64 s[30:31], 0
	s_nop 0
	v_cndmask_b32_e32 v2, v5, v2, vcc
	v_cndmask_b32_e32 v3, v6, v3, vcc
	v_cmp_ne_u32_e32 vcc, 0, v4
	s_nop 1
	v_cndmask_b32_e32 v3, v7, v3, vcc
	v_cndmask_b32_e32 v2, 0, v2, vcc
	s_branch .LBB320_536
.LBB320_535:
	s_mov_b64 s[30:31], -1
                                        ; implicit-def: $vgpr2_vgpr3
.LBB320_536:
	s_mov_b64 s[34:35], 0
.LBB320_537:
	s_and_b64 vcc, exec, s[34:35]
	s_cbranch_vccz .LBB320_541
; %bb.538:
	s_cmp_eq_u32 s38, 29
	s_cbranch_scc0 .LBB320_540
; %bb.539:
	global_load_dwordx2 v[2:3], v[0:1], off
	s_mov_b64 s[0:1], -1
	s_mov_b64 s[30:31], 0
	s_mov_b64 s[34:35], 0
	s_waitcnt vmcnt(0)
	v_cvt_f64_u32_e32 v[4:5], v3
	v_cvt_f64_u32_e32 v[2:3], v2
	v_ldexp_f64 v[4:5], v[4:5], 32
	v_add_f64 v[2:3], v[4:5], v[2:3]
	s_branch .LBB320_542
.LBB320_540:
	s_mov_b64 s[30:31], -1
                                        ; implicit-def: $vgpr2_vgpr3
.LBB320_541:
	s_mov_b64 s[34:35], 0
.LBB320_542:
	s_and_b64 vcc, exec, s[34:35]
	s_cbranch_vccz .LBB320_562
; %bb.543:
	s_cmp_lt_i32 s38, 27
	s_cbranch_scc1 .LBB320_546
; %bb.544:
	s_cmp_gt_i32 s38, 27
	s_cbranch_scc0 .LBB320_547
; %bb.545:
	global_load_dword v2, v[0:1], off
	s_mov_b64 s[0:1], 0
	s_waitcnt vmcnt(0)
	v_cvt_f64_u32_e32 v[2:3], v2
	s_branch .LBB320_548
.LBB320_546:
	s_mov_b64 s[0:1], -1
                                        ; implicit-def: $vgpr2_vgpr3
	s_branch .LBB320_551
.LBB320_547:
	s_mov_b64 s[0:1], -1
                                        ; implicit-def: $vgpr2_vgpr3
.LBB320_548:
	s_andn2_b64 vcc, exec, s[0:1]
	s_cbranch_vccnz .LBB320_550
; %bb.549:
	global_load_ushort v2, v[0:1], off
	s_waitcnt vmcnt(0)
	v_cvt_f64_u32_e32 v[2:3], v2
.LBB320_550:
	s_mov_b64 s[0:1], 0
.LBB320_551:
	s_andn2_b64 vcc, exec, s[0:1]
	s_cbranch_vccnz .LBB320_561
; %bb.552:
	global_load_ubyte v4, v[0:1], off
	s_movk_i32 s0, 0x7f
	s_waitcnt vmcnt(0)
	v_cmp_lt_i16_e32 vcc, s0, v4
	s_mov_b64 s[0:1], 0
	s_and_saveexec_b64 s[34:35], vcc
	s_xor_b64 s[34:35], exec, s[34:35]
	s_cbranch_execz .LBB320_556
; %bb.553:
	s_movk_i32 s0, 0x80
	v_cmp_eq_u16_e32 vcc, s0, v4
	s_mov_b64 s[0:1], -1
	s_and_saveexec_b64 s[36:37], vcc
; %bb.554:
	s_xor_b64 s[0:1], exec, -1
; %bb.555:
	s_or_b64 exec, exec, s[36:37]
	s_and_b64 s[0:1], s[0:1], exec
.LBB320_556:
	s_or_saveexec_b64 s[34:35], s[34:35]
	v_bfrev_b32_e32 v2, 4
	v_mov_b32_e32 v3, 0x7ff80000
	s_xor_b64 exec, exec, s[34:35]
; %bb.557:
	v_cmp_ne_u16_e32 vcc, 0, v4
	s_andn2_b64 s[0:1], s[0:1], exec
	s_and_b64 s[36:37], vcc, exec
	v_mov_b64_e32 v[2:3], 0
	s_or_b64 s[0:1], s[0:1], s[36:37]
; %bb.558:
	s_or_b64 exec, exec, s[34:35]
	s_and_saveexec_b64 s[34:35], s[0:1]
	s_cbranch_execz .LBB320_560
; %bb.559:
	v_and_b32_e32 v3, 0xffff, v4
	v_lshlrev_b32_e32 v2, 24, v4
	v_and_b32_e32 v4, 7, v3
	v_ffbh_u32_e32 v6, v4
	v_min_u32_e32 v6, 32, v6
	v_subrev_u32_e32 v7, 28, v6
	v_bfe_u32 v5, v3, 3, 4
	v_lshlrev_b32_e32 v3, v7, v3
	v_sub_u32_e32 v6, 29, v6
	v_and_b32_e32 v3, 7, v3
	v_cmp_eq_u32_e32 vcc, 0, v5
	v_and_b32_e32 v2, 0x80000000, v2
	s_nop 0
	v_cndmask_b32_e32 v5, v5, v6, vcc
	v_cndmask_b32_e32 v3, v4, v3, vcc
	v_mov_b32_e32 v4, 0x3b800000
	v_lshlrev_b32_e32 v3, 20, v3
	v_lshl_add_u32 v4, v5, 23, v4
	v_or3_b32 v2, v2, v4, v3
	v_cvt_f64_f32_e32 v[2:3], v2
.LBB320_560:
	s_or_b64 exec, exec, s[34:35]
.LBB320_561:
	s_mov_b64 s[0:1], -1
.LBB320_562:
	s_mov_b64 s[34:35], 0
.LBB320_563:
	s_and_b64 vcc, exec, s[34:35]
	s_cbranch_vccz .LBB320_596
; %bb.564:
	s_cmp_gt_i32 s38, 22
	s_cbranch_scc0 .LBB320_576
; %bb.565:
	s_cmp_lt_i32 s38, 24
	s_cbranch_scc1 .LBB320_577
; %bb.566:
	s_cmp_gt_i32 s38, 24
	s_cbranch_scc0 .LBB320_578
; %bb.567:
	global_load_ubyte v4, v[0:1], off
	s_movk_i32 s0, 0x7f
	s_waitcnt vmcnt(0)
	v_cmp_lt_i16_e32 vcc, s0, v4
	s_mov_b64 s[0:1], 0
	s_and_saveexec_b64 s[34:35], vcc
	s_xor_b64 s[34:35], exec, s[34:35]
	s_cbranch_execz .LBB320_571
; %bb.568:
	s_movk_i32 s0, 0x80
	v_cmp_eq_u16_e32 vcc, s0, v4
	s_mov_b64 s[0:1], -1
	s_and_saveexec_b64 s[36:37], vcc
; %bb.569:
	s_xor_b64 s[0:1], exec, -1
; %bb.570:
	s_or_b64 exec, exec, s[36:37]
	s_and_b64 s[0:1], s[0:1], exec
.LBB320_571:
	s_or_saveexec_b64 s[34:35], s[34:35]
	v_bfrev_b32_e32 v2, 4
	v_mov_b32_e32 v3, 0x7ff80000
	s_xor_b64 exec, exec, s[34:35]
; %bb.572:
	v_cmp_ne_u16_e32 vcc, 0, v4
	s_andn2_b64 s[0:1], s[0:1], exec
	s_and_b64 s[36:37], vcc, exec
	v_mov_b64_e32 v[2:3], 0
	s_or_b64 s[0:1], s[0:1], s[36:37]
; %bb.573:
	s_or_b64 exec, exec, s[34:35]
	s_and_saveexec_b64 s[34:35], s[0:1]
	s_cbranch_execz .LBB320_575
; %bb.574:
	v_and_b32_e32 v3, 0xffff, v4
	v_lshlrev_b32_e32 v2, 24, v4
	v_and_b32_e32 v4, 3, v3
	v_ffbh_u32_e32 v6, v4
	v_min_u32_e32 v6, 32, v6
	v_subrev_u32_e32 v7, 29, v6
	v_bfe_u32 v5, v3, 2, 5
	v_lshlrev_b32_e32 v3, v7, v3
	v_sub_u32_e32 v6, 30, v6
	v_and_b32_e32 v3, 3, v3
	v_cmp_eq_u32_e32 vcc, 0, v5
	v_and_b32_e32 v2, 0x80000000, v2
	s_nop 0
	v_cndmask_b32_e32 v5, v5, v6, vcc
	v_cndmask_b32_e32 v3, v4, v3, vcc
	v_mov_b32_e32 v4, 0x37800000
	v_lshlrev_b32_e32 v3, 21, v3
	v_lshl_add_u32 v4, v5, 23, v4
	v_or3_b32 v2, v2, v4, v3
	v_cvt_f64_f32_e32 v[2:3], v2
.LBB320_575:
	s_or_b64 exec, exec, s[34:35]
	s_mov_b64 s[0:1], 0
	s_branch .LBB320_579
.LBB320_576:
	s_mov_b64 s[34:35], -1
                                        ; implicit-def: $vgpr2_vgpr3
	s_branch .LBB320_585
.LBB320_577:
	s_mov_b64 s[0:1], -1
                                        ; implicit-def: $vgpr2_vgpr3
	s_branch .LBB320_582
.LBB320_578:
	s_mov_b64 s[0:1], -1
                                        ; implicit-def: $vgpr2_vgpr3
.LBB320_579:
	s_and_b64 vcc, exec, s[0:1]
	s_cbranch_vccz .LBB320_581
; %bb.580:
	global_load_ubyte v2, v[0:1], off
	s_mov_b32 s0, 0x7f800000
	s_waitcnt vmcnt(0)
	v_lshlrev_b32_e32 v2, 24, v2
	v_and_b32_e32 v3, 0x7f000000, v2
	v_ffbh_u32_e32 v4, v3
	v_min_u32_e32 v4, 32, v4
	v_sub_u32_e64 v4, v4, 4 clamp
	v_lshlrev_b32_e32 v6, v4, v3
	v_lshlrev_b32_e32 v4, 23, v4
	v_lshrrev_b32_e32 v6, 4, v6
	v_add_u32_e32 v5, 0x1000000, v3
	v_sub_u32_e32 v4, v6, v4
	v_ashrrev_i32_e32 v5, 8, v5
	v_add_u32_e32 v4, 0x3c000000, v4
	v_and_or_b32 v4, v5, s0, v4
	v_cmp_ne_u32_e32 vcc, 0, v3
	s_brev_b32 s0, 1
	s_nop 0
	v_cndmask_b32_e32 v3, 0, v4, vcc
	v_and_or_b32 v2, v2, s0, v3
	v_cvt_f64_f32_e32 v[2:3], v2
.LBB320_581:
	s_mov_b64 s[0:1], 0
.LBB320_582:
	s_andn2_b64 vcc, exec, s[0:1]
	s_cbranch_vccnz .LBB320_584
; %bb.583:
	global_load_ubyte v2, v[0:1], off
	s_movk_i32 s0, 0x7f00
	s_brev_b32 s1, 16
	s_waitcnt vmcnt(0)
	v_lshlrev_b16_e32 v3, 8, v2
	v_lshlrev_b32_e32 v2, 25, v2
	v_lshrrev_b32_e32 v4, 4, v2
	v_and_or_b32 v5, v3, s0, 0.5
	v_or_b32_e32 v4, 0x70000000, v4
	v_add_f32_e32 v5, -0.5, v5
	v_mul_f32_e32 v4, 0x7800000, v4
	v_cmp_gt_u32_e32 vcc, s1, v2
	v_bfe_i32 v3, v3, 0, 16
	s_brev_b32 s0, 1
	v_cndmask_b32_e32 v2, v4, v5, vcc
	v_and_or_b32 v2, v3, s0, v2
	v_cvt_f64_f32_e32 v[2:3], v2
.LBB320_584:
	s_mov_b64 s[34:35], 0
	s_mov_b64 s[0:1], -1
.LBB320_585:
	s_andn2_b64 vcc, exec, s[34:35]
	s_cbranch_vccnz .LBB320_596
; %bb.586:
	s_cmp_gt_i32 s38, 14
	s_cbranch_scc0 .LBB320_589
; %bb.587:
	s_cmp_eq_u32 s38, 15
	s_cbranch_scc0 .LBB320_590
; %bb.588:
	global_load_ushort v2, v[0:1], off
	s_mov_b64 s[0:1], -1
	s_mov_b64 s[30:31], 0
	s_waitcnt vmcnt(0)
	v_lshlrev_b32_e32 v2, 16, v2
	v_cvt_f64_f32_e32 v[2:3], v2
	s_branch .LBB320_591
.LBB320_589:
	s_mov_b64 s[34:35], -1
                                        ; implicit-def: $vgpr2_vgpr3
	s_branch .LBB320_592
.LBB320_590:
	s_mov_b64 s[30:31], -1
                                        ; implicit-def: $vgpr2_vgpr3
.LBB320_591:
	s_mov_b64 s[34:35], 0
.LBB320_592:
	s_and_b64 vcc, exec, s[34:35]
	s_cbranch_vccz .LBB320_596
; %bb.593:
	s_cmp_eq_u32 s38, 11
	s_cbranch_scc0 .LBB320_595
; %bb.594:
	global_load_ubyte v3, v[0:1], off
	v_mov_b32_e32 v4, 0x3ff00000
	s_waitcnt vmcnt(1)
	v_mov_b32_e32 v2, 0
	s_mov_b64 s[0:1], -1
	s_mov_b64 s[30:31], 0
	s_waitcnt vmcnt(0)
	v_cmp_ne_u16_e32 vcc, 0, v3
	s_nop 1
	v_cndmask_b32_e32 v3, 0, v4, vcc
	s_branch .LBB320_596
.LBB320_595:
	s_mov_b64 s[30:31], -1
                                        ; implicit-def: $vgpr2_vgpr3
.LBB320_596:
	s_mov_b64 s[34:35], 0
.LBB320_597:
	s_and_b64 vcc, exec, s[34:35]
	s_cbranch_vccz .LBB320_646
; %bb.598:
	s_cmp_lt_i32 s38, 5
	s_cbranch_scc1 .LBB320_603
; %bb.599:
	s_cmp_lt_i32 s38, 8
	s_cbranch_scc1 .LBB320_604
	;; [unrolled: 3-line block ×3, first 2 shown]
; %bb.601:
	s_cmp_gt_i32 s38, 9
	s_cbranch_scc0 .LBB320_606
; %bb.602:
	global_load_dwordx2 v[2:3], v[0:1], off
	s_mov_b64 s[0:1], 0
	s_branch .LBB320_607
.LBB320_603:
	s_mov_b64 s[0:1], -1
                                        ; implicit-def: $vgpr2_vgpr3
	s_branch .LBB320_625
.LBB320_604:
	s_mov_b64 s[0:1], -1
                                        ; implicit-def: $vgpr2_vgpr3
	s_branch .LBB320_613
.LBB320_605:
	s_mov_b64 s[0:1], -1
                                        ; implicit-def: $vgpr2_vgpr3
	s_branch .LBB320_610
.LBB320_606:
	s_mov_b64 s[0:1], -1
                                        ; implicit-def: $vgpr2_vgpr3
.LBB320_607:
	s_andn2_b64 vcc, exec, s[0:1]
	s_cbranch_vccnz .LBB320_609
; %bb.608:
	global_load_dword v2, v[0:1], off
	s_waitcnt vmcnt(0)
	v_cvt_f64_f32_e32 v[2:3], v2
.LBB320_609:
	s_mov_b64 s[0:1], 0
.LBB320_610:
	s_andn2_b64 vcc, exec, s[0:1]
	s_cbranch_vccnz .LBB320_612
; %bb.611:
	global_load_dword v2, v[0:1], off
	s_waitcnt vmcnt(0)
	v_cvt_f32_f16_e32 v2, v2
	v_cvt_f64_f32_e32 v[2:3], v2
.LBB320_612:
	s_mov_b64 s[0:1], 0
.LBB320_613:
	s_andn2_b64 vcc, exec, s[0:1]
	s_cbranch_vccnz .LBB320_624
; %bb.614:
	s_cmp_lt_i32 s38, 6
	s_cbranch_scc1 .LBB320_617
; %bb.615:
	s_cmp_gt_i32 s38, 6
	s_cbranch_scc0 .LBB320_618
; %bb.616:
	global_load_dwordx2 v[2:3], v[0:1], off
	s_mov_b64 s[0:1], 0
	s_branch .LBB320_619
.LBB320_617:
	s_mov_b64 s[0:1], -1
                                        ; implicit-def: $vgpr2_vgpr3
	s_branch .LBB320_622
.LBB320_618:
	s_mov_b64 s[0:1], -1
                                        ; implicit-def: $vgpr2_vgpr3
.LBB320_619:
	s_andn2_b64 vcc, exec, s[0:1]
	s_cbranch_vccnz .LBB320_621
; %bb.620:
	global_load_dword v2, v[0:1], off
	s_waitcnt vmcnt(0)
	v_cvt_f64_f32_e32 v[2:3], v2
.LBB320_621:
	s_mov_b64 s[0:1], 0
.LBB320_622:
	s_andn2_b64 vcc, exec, s[0:1]
	s_cbranch_vccnz .LBB320_624
; %bb.623:
	global_load_ushort v2, v[0:1], off
	s_waitcnt vmcnt(0)
	v_cvt_f32_f16_e32 v2, v2
	v_cvt_f64_f32_e32 v[2:3], v2
.LBB320_624:
	s_mov_b64 s[0:1], 0
.LBB320_625:
	s_andn2_b64 vcc, exec, s[0:1]
	s_cbranch_vccnz .LBB320_645
; %bb.626:
	s_cmp_lt_i32 s38, 2
	s_cbranch_scc1 .LBB320_630
; %bb.627:
	s_cmp_lt_i32 s38, 3
	s_cbranch_scc1 .LBB320_631
; %bb.628:
	s_cmp_gt_i32 s38, 3
	s_cbranch_scc0 .LBB320_632
; %bb.629:
	global_load_dwordx2 v[2:3], v[0:1], off
	s_mov_b64 s[0:1], 0
	s_waitcnt vmcnt(0)
	v_cvt_f64_i32_e32 v[4:5], v3
	v_cvt_f64_u32_e32 v[2:3], v2
	v_ldexp_f64 v[4:5], v[4:5], 32
	v_add_f64 v[2:3], v[4:5], v[2:3]
	s_branch .LBB320_633
.LBB320_630:
	s_mov_b64 s[0:1], -1
                                        ; implicit-def: $vgpr2_vgpr3
	s_branch .LBB320_639
.LBB320_631:
	s_mov_b64 s[0:1], -1
                                        ; implicit-def: $vgpr2_vgpr3
	s_branch .LBB320_636
.LBB320_632:
	s_mov_b64 s[0:1], -1
                                        ; implicit-def: $vgpr2_vgpr3
.LBB320_633:
	s_andn2_b64 vcc, exec, s[0:1]
	s_cbranch_vccnz .LBB320_635
; %bb.634:
	global_load_dword v2, v[0:1], off
	s_waitcnt vmcnt(0)
	v_cvt_f64_i32_e32 v[2:3], v2
.LBB320_635:
	s_mov_b64 s[0:1], 0
.LBB320_636:
	s_andn2_b64 vcc, exec, s[0:1]
	s_cbranch_vccnz .LBB320_638
; %bb.637:
	global_load_sshort v2, v[0:1], off
	s_waitcnt vmcnt(0)
	v_cvt_f64_i32_e32 v[2:3], v2
.LBB320_638:
	s_mov_b64 s[0:1], 0
.LBB320_639:
	s_andn2_b64 vcc, exec, s[0:1]
	s_cbranch_vccnz .LBB320_645
; %bb.640:
	s_cmp_gt_i32 s38, 0
	s_cbranch_scc0 .LBB320_642
; %bb.641:
	global_load_sbyte v2, v[0:1], off
	s_mov_b64 s[0:1], 0
	s_waitcnt vmcnt(0)
	v_cvt_f64_i32_e32 v[2:3], v2
	s_branch .LBB320_643
.LBB320_642:
	s_mov_b64 s[0:1], -1
                                        ; implicit-def: $vgpr2_vgpr3
.LBB320_643:
	s_andn2_b64 vcc, exec, s[0:1]
	s_cbranch_vccnz .LBB320_645
; %bb.644:
	global_load_ubyte v0, v[0:1], off
	s_waitcnt vmcnt(0)
	v_cvt_f64_u32_e32 v[2:3], v0
.LBB320_645:
	s_mov_b64 s[0:1], -1
.LBB320_646:
	s_andn2_b64 vcc, exec, s[0:1]
	s_cbranch_vccnz .LBB320_654
; %bb.647:
	v_max_f64 v[0:1], s[8:9], s[8:9]
	s_waitcnt vmcnt(0)
	v_max_f64 v[4:5], v[2:3], v[2:3]
	v_max_f64 v[0:1], v[4:5], v[0:1]
	;; [unrolled: 1-line block ×3, first 2 shown]
	v_min_f64 v[0:1], v[0:1], v[4:5]
	v_cmp_u_f64_e32 vcc, v[2:3], v[2:3]
	s_and_b32 s40, s33, 0xff
	s_cmp_lt_i32 s40, 11
	v_cndmask_b32_e32 v0, v0, v2, vcc
	v_mul_lo_u32 v2, v14, s12
	v_cndmask_b32_e32 v1, v1, v3, vcc
	v_ashrrev_i32_e32 v3, 31, v2
	v_lshl_add_u64 v[4:5], s[4:5], 0, v[2:3]
	s_cbranch_scc1 .LBB320_655
; %bb.648:
	s_and_b32 s41, 0xffff, s40
	s_cmp_gt_i32 s41, 25
	s_cbranch_scc0 .LBB320_656
; %bb.649:
	s_cmp_gt_i32 s41, 28
	s_cbranch_scc0 .LBB320_657
; %bb.650:
	;; [unrolled: 3-line block ×4, first 2 shown]
	s_mov_b64 s[36:37], 0
	s_mov_b64 s[0:1], -1
	s_cmp_eq_u32 s41, 46
	s_mov_b64 s[34:35], 0
	s_cbranch_scc0 .LBB320_660
; %bb.653:
	v_cvt_f32_f64_e32 v2, v[0:1]
	v_bfe_u32 v3, v2, 16, 1
	s_movk_i32 s0, 0x7fff
	v_add3_u32 v3, v2, v3, s0
	v_cmp_o_f32_e32 vcc, v2, v2
	v_mov_b32_e32 v2, 0x7fc0
	s_mov_b64 s[34:35], -1
	v_cndmask_b32_sdwa v2, v2, v3, vcc dst_sel:DWORD dst_unused:UNUSED_PAD src0_sel:DWORD src1_sel:WORD_1
	global_store_dword v[4:5], v2, off
	s_mov_b64 s[0:1], 0
	s_branch .LBB320_660
.LBB320_654:
	s_mov_b64 s[36:37], 0
                                        ; implicit-def: $vgpr14
	s_mov_b64 s[0:1], s[24:25]
	s_branch .LBB320_771
.LBB320_655:
	s_mov_b64 s[36:37], -1
	s_mov_b64 s[34:35], 0
	s_mov_b64 s[0:1], s[24:25]
	s_branch .LBB320_729
.LBB320_656:
	s_mov_b64 s[36:37], -1
	s_mov_b64 s[34:35], 0
	s_mov_b64 s[0:1], s[24:25]
	s_branch .LBB320_687
.LBB320_657:
	s_mov_b64 s[36:37], -1
	s_mov_b64 s[34:35], 0
	s_mov_b64 s[0:1], s[24:25]
	s_branch .LBB320_670
.LBB320_658:
	s_mov_b64 s[36:37], -1
	s_mov_b64 s[34:35], 0
	s_mov_b64 s[0:1], s[24:25]
	s_branch .LBB320_666
.LBB320_659:
	s_mov_b64 s[36:37], -1
	s_mov_b64 s[34:35], 0
	s_mov_b64 s[0:1], s[24:25]
.LBB320_660:
	s_and_b64 vcc, exec, s[36:37]
	s_cbranch_vccz .LBB320_665
; %bb.661:
	s_cmp_eq_u32 s41, 44
	s_mov_b64 s[0:1], -1
	s_cbranch_scc0 .LBB320_665
; %bb.662:
	v_cvt_f32_f64_e32 v2, v[0:1]
	v_bfe_u32 v3, v2, 23, 8
	s_movk_i32 s0, 0xff
	v_cmp_ne_u32_e32 vcc, s0, v3
	v_mov_b32_e32 v6, 0xff
	s_and_saveexec_b64 s[34:35], vcc
; %bb.663:
	s_mov_b32 s0, 0x3fffff
	v_lshrrev_b32_e32 v6, 23, v2
	v_and_b32_e32 v7, 0x400000, v2
	v_and_or_b32 v2, v2, s0, v3
	v_cmp_ne_u32_e32 vcc, 0, v7
	v_cmp_ne_u32_e64 s[0:1], 0, v2
	s_and_b64 s[0:1], vcc, s[0:1]
	s_nop 0
	v_cndmask_b32_e64 v2, 0, 1, s[0:1]
	v_add_u32_e32 v6, v6, v2
; %bb.664:
	s_or_b64 exec, exec, s[34:35]
	s_mov_b64 s[34:35], -1
	s_mov_b64 s[0:1], 0
	global_store_byte v[4:5], v6, off
.LBB320_665:
	s_mov_b64 s[36:37], 0
.LBB320_666:
	s_and_b64 vcc, exec, s[36:37]
	s_cbranch_vccz .LBB320_669
; %bb.667:
	s_cmp_eq_u32 s41, 29
	s_mov_b64 s[0:1], -1
	s_cbranch_scc0 .LBB320_669
; %bb.668:
	v_trunc_f64_e32 v[2:3], v[0:1]
	s_movk_i32 s0, 0xffe0
	v_ldexp_f64 v[6:7], v[2:3], s0
	v_floor_f64_e32 v[6:7], v[6:7]
	v_fmac_f64_e32 v[2:3], 0xc1f00000, v[6:7]
	v_cvt_u32_f64_e32 v9, v[6:7]
	v_cvt_u32_f64_e32 v8, v[2:3]
	global_store_dwordx2 v[4:5], v[8:9], off
	s_mov_b64 s[34:35], -1
	s_mov_b64 s[0:1], 0
.LBB320_669:
	s_mov_b64 s[36:37], 0
.LBB320_670:
	s_and_b64 vcc, exec, s[36:37]
	s_cbranch_vccz .LBB320_686
; %bb.671:
	s_cmp_lt_i32 s41, 27
	s_mov_b64 s[34:35], -1
	s_cbranch_scc1 .LBB320_677
; %bb.672:
	s_cmp_gt_i32 s41, 27
	v_cvt_u32_f64_e32 v2, v[0:1]
	s_cbranch_scc0 .LBB320_674
; %bb.673:
	s_mov_b64 s[34:35], 0
	global_store_dword v[4:5], v2, off
.LBB320_674:
	s_andn2_b64 vcc, exec, s[34:35]
	s_cbranch_vccnz .LBB320_676
; %bb.675:
	global_store_short v[4:5], v2, off
.LBB320_676:
	s_mov_b64 s[34:35], 0
.LBB320_677:
	s_andn2_b64 vcc, exec, s[34:35]
	s_cbranch_vccnz .LBB320_685
; %bb.678:
	v_cvt_f32_f64_e32 v2, v[0:1]
	v_and_b32_e32 v3, 0x7fffffff, v2
	s_mov_b32 s34, 0x43800000
	v_cmp_gt_u32_e32 vcc, s34, v3
	v_mov_b32_e32 v6, 0x80
	s_and_saveexec_b64 s[34:35], vcc
	s_cbranch_execz .LBB320_684
; %bb.679:
	s_mov_b32 s36, 0x3bffffff
	v_cmp_lt_u32_e32 vcc, s36, v3
	s_mov_b64 s[36:37], 0
                                        ; implicit-def: $vgpr3
	s_and_saveexec_b64 s[38:39], vcc
	s_xor_b64 s[38:39], exec, s[38:39]
	s_cbranch_execz .LBB320_785
; %bb.680:
	v_bfe_u32 v3, v2, 20, 1
	s_mov_b32 s43, 0x487ffff
	v_add3_u32 v3, v2, v3, s43
	s_mov_b64 s[36:37], exec
	v_lshrrev_b32_e32 v3, 20, v3
	s_andn2_saveexec_b64 s[38:39], s[38:39]
	s_cbranch_execnz .LBB320_786
.LBB320_681:
	s_or_b64 exec, exec, s[38:39]
	v_mov_b32_e32 v6, 0
	s_and_saveexec_b64 s[38:39], s[36:37]
.LBB320_682:
	v_lshrrev_b32_e32 v2, 24, v2
	s_movk_i32 s36, 0x80
	v_and_or_b32 v6, v2, s36, v3
.LBB320_683:
	s_or_b64 exec, exec, s[38:39]
.LBB320_684:
	s_or_b64 exec, exec, s[34:35]
	global_store_byte v[4:5], v6, off
.LBB320_685:
	s_mov_b64 s[34:35], -1
.LBB320_686:
	s_mov_b64 s[36:37], 0
.LBB320_687:
	s_and_b64 vcc, exec, s[36:37]
	s_cbranch_vccz .LBB320_728
; %bb.688:
	s_cmp_gt_i32 s41, 22
	s_mov_b64 s[36:37], -1
	s_cbranch_scc0 .LBB320_720
; %bb.689:
	s_cmp_lt_i32 s41, 24
	s_mov_b64 s[34:35], -1
	s_cbranch_scc1 .LBB320_709
; %bb.690:
	s_cmp_gt_i32 s41, 24
	s_cbranch_scc0 .LBB320_698
; %bb.691:
	v_cvt_f32_f64_e32 v2, v[0:1]
	v_and_b32_e32 v3, 0x7fffffff, v2
	s_mov_b32 s34, 0x47800000
	v_cmp_gt_u32_e32 vcc, s34, v3
	v_mov_b32_e32 v6, 0x80
	s_and_saveexec_b64 s[34:35], vcc
	s_cbranch_execz .LBB320_697
; %bb.692:
	s_mov_b32 s36, 0x37ffffff
	v_cmp_lt_u32_e32 vcc, s36, v3
	s_mov_b64 s[36:37], 0
                                        ; implicit-def: $vgpr3
	s_and_saveexec_b64 s[38:39], vcc
	s_xor_b64 s[38:39], exec, s[38:39]
	s_cbranch_execz .LBB320_788
; %bb.693:
	v_bfe_u32 v3, v2, 21, 1
	s_mov_b32 s43, 0x88fffff
	v_add3_u32 v3, v2, v3, s43
	s_mov_b64 s[36:37], exec
	v_lshrrev_b32_e32 v3, 21, v3
	s_andn2_saveexec_b64 s[38:39], s[38:39]
	s_cbranch_execnz .LBB320_789
.LBB320_694:
	s_or_b64 exec, exec, s[38:39]
	v_mov_b32_e32 v6, 0
	s_and_saveexec_b64 s[38:39], s[36:37]
.LBB320_695:
	v_lshrrev_b32_e32 v2, 24, v2
	s_movk_i32 s36, 0x80
	v_and_or_b32 v6, v2, s36, v3
.LBB320_696:
	s_or_b64 exec, exec, s[38:39]
.LBB320_697:
	s_or_b64 exec, exec, s[34:35]
	s_mov_b64 s[34:35], 0
	global_store_byte v[4:5], v6, off
.LBB320_698:
	s_and_b64 vcc, exec, s[34:35]
	s_cbranch_vccz .LBB320_708
; %bb.699:
	v_cvt_f32_f64_e32 v2, v[0:1]
	v_and_b32_e32 v6, 0x7fffffff, v2
	s_mov_b32 s34, 0x43f00000
	v_cmp_gt_u32_e32 vcc, s34, v6
                                        ; implicit-def: $vgpr3
	s_and_saveexec_b64 s[34:35], vcc
	s_xor_b64 s[34:35], exec, s[34:35]
	s_cbranch_execz .LBB320_705
; %bb.700:
	s_mov_b32 s36, 0x3c7fffff
	v_cmp_lt_u32_e32 vcc, s36, v6
                                        ; implicit-def: $vgpr3
	s_and_saveexec_b64 s[36:37], vcc
	s_xor_b64 s[36:37], exec, s[36:37]
; %bb.701:
	v_bfe_u32 v3, v2, 20, 1
	s_mov_b32 s38, 0x407ffff
	v_add3_u32 v3, v2, v3, s38
	v_lshrrev_b32_e32 v6, 20, v3
	v_and_b32_e32 v3, 0xff00000, v3
	s_mov_b32 s38, 0x7f00000
	v_mov_b32_e32 v7, 0x7e
	v_cmp_ne_u32_e32 vcc, s38, v3
	s_nop 1
	v_cndmask_b32_e32 v3, v7, v6, vcc
; %bb.702:
	s_andn2_saveexec_b64 s[36:37], s[36:37]
; %bb.703:
	s_mov_b32 s38, 0x46800000
	v_add_f32_e64 v3, |v2|, s38
; %bb.704:
	s_or_b64 exec, exec, s[36:37]
                                        ; implicit-def: $vgpr6
.LBB320_705:
	s_andn2_saveexec_b64 s[34:35], s[34:35]
; %bb.706:
	s_mov_b32 s36, 0x7f800000
	v_mov_b32_e32 v3, 0x7e
	v_mov_b32_e32 v7, 0x7f
	v_cmp_lt_u32_e32 vcc, s36, v6
	s_nop 1
	v_cndmask_b32_e32 v3, v3, v7, vcc
; %bb.707:
	s_or_b64 exec, exec, s[34:35]
	v_lshrrev_b32_e32 v2, 24, v2
	s_movk_i32 s34, 0x80
	v_and_or_b32 v2, v2, s34, v3
	global_store_byte v[4:5], v2, off
.LBB320_708:
	s_mov_b64 s[34:35], 0
.LBB320_709:
	s_andn2_b64 vcc, exec, s[34:35]
	s_cbranch_vccnz .LBB320_719
; %bb.710:
	v_cvt_f32_f64_e32 v2, v[0:1]
	v_and_b32_e32 v6, 0x7fffffff, v2
	s_mov_b32 s34, 0x47800000
	v_cmp_gt_u32_e32 vcc, s34, v6
                                        ; implicit-def: $vgpr3
	s_and_saveexec_b64 s[34:35], vcc
	s_xor_b64 s[34:35], exec, s[34:35]
	s_cbranch_execz .LBB320_716
; %bb.711:
	s_mov_b32 s36, 0x387fffff
	v_cmp_lt_u32_e32 vcc, s36, v6
                                        ; implicit-def: $vgpr3
	s_and_saveexec_b64 s[36:37], vcc
	s_xor_b64 s[36:37], exec, s[36:37]
; %bb.712:
	v_bfe_u32 v3, v2, 21, 1
	s_mov_b32 s38, 0x80fffff
	v_add3_u32 v3, v2, v3, s38
	v_lshrrev_b32_e32 v3, 21, v3
; %bb.713:
	s_andn2_saveexec_b64 s[36:37], s[36:37]
; %bb.714:
	s_mov_b32 s38, 0x43000000
	v_add_f32_e64 v3, |v2|, s38
; %bb.715:
	s_or_b64 exec, exec, s[36:37]
                                        ; implicit-def: $vgpr6
.LBB320_716:
	s_andn2_saveexec_b64 s[34:35], s[34:35]
; %bb.717:
	s_mov_b32 s36, 0x7f800000
	v_mov_b32_e32 v3, 0x7c
	v_mov_b32_e32 v7, 0x7f
	v_cmp_lt_u32_e32 vcc, s36, v6
	s_nop 1
	v_cndmask_b32_e32 v3, v3, v7, vcc
; %bb.718:
	s_or_b64 exec, exec, s[34:35]
	v_lshrrev_b32_e32 v2, 24, v2
	s_movk_i32 s34, 0x80
	v_and_or_b32 v2, v2, s34, v3
	global_store_byte v[4:5], v2, off
.LBB320_719:
	s_mov_b64 s[36:37], 0
	s_mov_b64 s[34:35], -1
.LBB320_720:
	s_andn2_b64 vcc, exec, s[36:37]
	s_cbranch_vccnz .LBB320_728
; %bb.721:
	s_cmp_gt_i32 s41, 14
	s_mov_b64 s[36:37], -1
	s_cbranch_scc0 .LBB320_725
; %bb.722:
	s_cmp_eq_u32 s41, 15
	s_mov_b64 s[0:1], -1
	s_cbranch_scc0 .LBB320_724
; %bb.723:
	v_cvt_f32_f64_e32 v2, v[0:1]
	v_bfe_u32 v3, v2, 16, 1
	s_movk_i32 s0, 0x7fff
	v_add3_u32 v3, v2, v3, s0
	v_cmp_o_f32_e32 vcc, v2, v2
	v_mov_b32_e32 v2, 0x7fc0
	s_mov_b64 s[34:35], -1
	v_cndmask_b32_sdwa v2, v2, v3, vcc dst_sel:DWORD dst_unused:UNUSED_PAD src0_sel:DWORD src1_sel:WORD_1
	global_store_short v[4:5], v2, off
	s_mov_b64 s[0:1], 0
.LBB320_724:
	s_mov_b64 s[36:37], 0
.LBB320_725:
	s_and_b64 vcc, exec, s[36:37]
	s_cbranch_vccz .LBB320_728
; %bb.726:
	s_cmp_eq_u32 s41, 11
	s_mov_b64 s[0:1], -1
	s_cbranch_scc0 .LBB320_728
; %bb.727:
	v_cmp_neq_f64_e32 vcc, 0, v[0:1]
	s_mov_b64 s[0:1], 0
	s_mov_b64 s[34:35], -1
	v_cndmask_b32_e64 v2, 0, 1, vcc
	global_store_byte v[4:5], v2, off
.LBB320_728:
	s_mov_b64 s[36:37], 0
.LBB320_729:
	s_and_b64 vcc, exec, s[36:37]
	s_cbranch_vccz .LBB320_768
; %bb.730:
	s_and_b32 s36, 0xffff, s40
	s_cmp_lt_i32 s36, 5
	s_mov_b64 s[34:35], -1
	s_cbranch_scc1 .LBB320_751
; %bb.731:
	s_cmp_lt_i32 s36, 8
	s_cbranch_scc1 .LBB320_741
; %bb.732:
	s_cmp_lt_i32 s36, 9
	s_cbranch_scc1 .LBB320_738
; %bb.733:
	s_cmp_gt_i32 s36, 9
	s_cbranch_scc0 .LBB320_735
; %bb.734:
	v_mov_b32_e32 v2, 0
	v_mov_b32_e32 v3, v2
	s_mov_b64 s[34:35], 0
	global_store_dwordx4 v[4:5], v[0:3], off
.LBB320_735:
	s_andn2_b64 vcc, exec, s[34:35]
	s_cbranch_vccnz .LBB320_737
; %bb.736:
	v_cvt_f32_f64_e32 v2, v[0:1]
	v_mov_b32_e32 v3, 0
	global_store_dwordx2 v[4:5], v[2:3], off
.LBB320_737:
	s_mov_b64 s[34:35], 0
.LBB320_738:
	s_andn2_b64 vcc, exec, s[34:35]
	s_cbranch_vccnz .LBB320_740
; %bb.739:
	s_movk_i32 s34, 0x1ff
	v_and_or_b32 v2, v1, s34, v0
	v_cmp_ne_u32_e32 vcc, 0, v2
	v_lshrrev_b32_e32 v3, 8, v1
	s_movk_i32 s34, 0xffe
	v_cndmask_b32_e64 v2, 0, 1, vcc
	v_bfe_u32 v6, v1, 20, 11
	v_and_or_b32 v2, v3, s34, v2
	v_sub_u32_e32 v7, 0x3f1, v6
	v_or_b32_e32 v3, 0x1000, v2
	v_med3_i32 v7, v7, 0, 13
	v_lshrrev_b32_e32 v8, v7, v3
	v_lshlrev_b32_e32 v7, v7, v8
	v_cmp_ne_u32_e32 vcc, v7, v3
	v_add_u32_e32 v6, 0xfffffc10, v6
	v_lshl_or_b32 v7, v6, 12, v2
	v_cndmask_b32_e64 v3, 0, 1, vcc
	v_or_b32_e32 v3, v8, v3
	v_cmp_gt_i32_e32 vcc, 1, v6
	s_movk_i32 s34, 0x40f
	s_nop 0
	v_cndmask_b32_e32 v3, v7, v3, vcc
	v_and_b32_e32 v7, 7, v3
	v_cmp_lt_i32_e32 vcc, 5, v7
	v_lshrrev_b32_e32 v3, 2, v3
	s_nop 0
	v_cndmask_b32_e64 v8, 0, 1, vcc
	v_cmp_eq_u32_e32 vcc, 3, v7
	s_nop 1
	v_cndmask_b32_e64 v7, 0, 1, vcc
	v_or_b32_e32 v7, v7, v8
	v_add_u32_e32 v3, v3, v7
	v_mov_b32_e32 v7, 0x7c00
	v_cmp_gt_i32_e32 vcc, 31, v6
	v_mov_b32_e32 v8, 0x7e00
	s_nop 0
	v_cndmask_b32_e32 v3, v7, v3, vcc
	v_cmp_ne_u32_e32 vcc, 0, v2
	s_nop 1
	v_cndmask_b32_e32 v2, v7, v8, vcc
	v_cmp_eq_u32_e32 vcc, s34, v6
	s_mov_b32 s34, 0x8000
	s_nop 0
	v_cndmask_b32_e32 v2, v3, v2, vcc
	v_and_b32_sdwa v3, v1, s34 dst_sel:DWORD dst_unused:UNUSED_PAD src0_sel:WORD_1 src1_sel:DWORD
	s_mov_b32 s34, 0xffff
	v_bitop3_b32 v2, v3, s34, v2 bitop3:0xc8
	global_store_dword v[4:5], v2, off
.LBB320_740:
	s_mov_b64 s[34:35], 0
.LBB320_741:
	s_andn2_b64 vcc, exec, s[34:35]
	s_cbranch_vccnz .LBB320_750
; %bb.742:
	s_cmp_lt_i32 s36, 6
	s_mov_b64 s[34:35], -1
	s_cbranch_scc1 .LBB320_748
; %bb.743:
	s_cmp_gt_i32 s36, 6
	s_cbranch_scc0 .LBB320_745
; %bb.744:
	s_mov_b64 s[34:35], 0
	global_store_dwordx2 v[4:5], v[0:1], off
.LBB320_745:
	s_andn2_b64 vcc, exec, s[34:35]
	s_cbranch_vccnz .LBB320_747
; %bb.746:
	v_cvt_f32_f64_e32 v2, v[0:1]
	global_store_dword v[4:5], v2, off
.LBB320_747:
	s_mov_b64 s[34:35], 0
.LBB320_748:
	s_andn2_b64 vcc, exec, s[34:35]
	s_cbranch_vccnz .LBB320_750
; %bb.749:
	s_movk_i32 s34, 0x1ff
	v_and_or_b32 v2, v1, s34, v0
	v_cmp_ne_u32_e32 vcc, 0, v2
	v_lshrrev_b32_e32 v3, 8, v1
	s_movk_i32 s34, 0xffe
	v_cndmask_b32_e64 v2, 0, 1, vcc
	v_bfe_u32 v6, v1, 20, 11
	v_and_or_b32 v2, v3, s34, v2
	v_sub_u32_e32 v7, 0x3f1, v6
	v_or_b32_e32 v3, 0x1000, v2
	v_med3_i32 v7, v7, 0, 13
	v_lshrrev_b32_e32 v8, v7, v3
	v_lshlrev_b32_e32 v7, v7, v8
	v_cmp_ne_u32_e32 vcc, v7, v3
	v_add_u32_e32 v6, 0xfffffc10, v6
	v_lshl_or_b32 v7, v6, 12, v2
	v_cndmask_b32_e64 v3, 0, 1, vcc
	v_or_b32_e32 v3, v8, v3
	v_cmp_gt_i32_e32 vcc, 1, v6
	s_movk_i32 s34, 0x40f
	s_nop 0
	v_cndmask_b32_e32 v3, v7, v3, vcc
	v_and_b32_e32 v7, 7, v3
	v_cmp_lt_i32_e32 vcc, 5, v7
	v_lshrrev_b32_e32 v3, 2, v3
	s_nop 0
	v_cndmask_b32_e64 v8, 0, 1, vcc
	v_cmp_eq_u32_e32 vcc, 3, v7
	s_nop 1
	v_cndmask_b32_e64 v7, 0, 1, vcc
	v_or_b32_e32 v7, v7, v8
	v_add_u32_e32 v3, v3, v7
	v_mov_b32_e32 v7, 0x7c00
	v_cmp_gt_i32_e32 vcc, 31, v6
	v_mov_b32_e32 v8, 0x7e00
	s_nop 0
	v_cndmask_b32_e32 v3, v7, v3, vcc
	v_cmp_ne_u32_e32 vcc, 0, v2
	s_nop 1
	v_cndmask_b32_e32 v2, v7, v8, vcc
	v_cmp_eq_u32_e32 vcc, s34, v6
	s_mov_b32 s34, 0x8000
	s_nop 0
	v_cndmask_b32_e32 v2, v3, v2, vcc
	v_lshrrev_b32_e32 v3, 16, v1
	v_and_or_b32 v2, v3, s34, v2
	global_store_short v[4:5], v2, off
.LBB320_750:
	s_mov_b64 s[34:35], 0
.LBB320_751:
	s_andn2_b64 vcc, exec, s[34:35]
	s_cbranch_vccnz .LBB320_767
; %bb.752:
	s_cmp_lt_i32 s36, 2
	s_mov_b64 s[34:35], -1
	s_cbranch_scc1 .LBB320_762
; %bb.753:
	s_cmp_lt_i32 s36, 3
	s_cbranch_scc1 .LBB320_759
; %bb.754:
	s_cmp_gt_i32 s36, 3
	s_cbranch_scc0 .LBB320_756
; %bb.755:
	v_trunc_f64_e32 v[2:3], v[0:1]
	s_movk_i32 s34, 0xffe0
	v_ldexp_f64 v[6:7], v[2:3], s34
	v_floor_f64_e32 v[6:7], v[6:7]
	v_fmac_f64_e32 v[2:3], 0xc1f00000, v[6:7]
	v_cvt_i32_f64_e32 v9, v[6:7]
	v_cvt_u32_f64_e32 v8, v[2:3]
	s_mov_b64 s[34:35], 0
	global_store_dwordx2 v[4:5], v[8:9], off
.LBB320_756:
	s_andn2_b64 vcc, exec, s[34:35]
	s_cbranch_vccnz .LBB320_758
; %bb.757:
	v_cvt_i32_f64_e32 v2, v[0:1]
	global_store_dword v[4:5], v2, off
.LBB320_758:
	s_mov_b64 s[34:35], 0
.LBB320_759:
	s_andn2_b64 vcc, exec, s[34:35]
	s_cbranch_vccnz .LBB320_761
; %bb.760:
	v_cvt_i32_f64_e32 v2, v[0:1]
	global_store_short v[4:5], v2, off
.LBB320_761:
	s_mov_b64 s[34:35], 0
.LBB320_762:
	s_andn2_b64 vcc, exec, s[34:35]
	s_cbranch_vccnz .LBB320_767
; %bb.763:
	s_cmp_gt_i32 s36, 0
	s_mov_b64 s[34:35], -1
	s_cbranch_scc0 .LBB320_765
; %bb.764:
	v_cvt_i32_f64_e32 v2, v[0:1]
	s_mov_b64 s[34:35], 0
	global_store_byte v[4:5], v2, off
.LBB320_765:
	s_andn2_b64 vcc, exec, s[34:35]
	s_cbranch_vccnz .LBB320_767
; %bb.766:
	v_trunc_f64_e32 v[0:1], v[0:1]
	s_movk_i32 s34, 0xffe0
	v_ldexp_f64 v[2:3], v[0:1], s34
	v_floor_f64_e32 v[2:3], v[2:3]
	v_fmac_f64_e32 v[0:1], 0xc1f00000, v[2:3]
	v_cvt_u32_f64_e32 v0, v[0:1]
	global_store_byte v[4:5], v0, off
.LBB320_767:
	s_mov_b64 s[34:35], -1
.LBB320_768:
	s_andn2_b64 vcc, exec, s[34:35]
	s_cbranch_vccnz .LBB320_770
; %bb.769:
	v_add_u32_e32 v14, 0x80, v14
	s_mov_b64 s[36:37], -1
	s_branch .LBB320_771
.LBB320_770:
	s_mov_b64 s[36:37], 0
                                        ; implicit-def: $vgpr14
.LBB320_771:
	s_andn2_b64 s[34:35], s[24:25], exec
	s_and_b64 s[0:1], s[0:1], exec
	s_or_b64 s[34:35], s[34:35], s[0:1]
	s_andn2_b64 s[0:1], s[22:23], exec
	s_and_b64 s[30:31], s[30:31], exec
	s_or_b64 s[0:1], s[0:1], s[30:31]
	s_orn2_b64 s[38:39], s[36:37], exec
.LBB320_772:
	s_or_b64 exec, exec, s[28:29]
	s_mov_b64 s[36:37], 0
	s_mov_b64 s[30:31], 0
	;; [unrolled: 1-line block ×3, first 2 shown]
                                        ; implicit-def: $vgpr0_vgpr1
                                        ; implicit-def: $vgpr2_vgpr3
	s_and_saveexec_b64 s[28:29], s[38:39]
	s_cbranch_execz .LBB320_857
; %bb.773:
	v_cmp_gt_i32_e32 vcc, s42, v14
	s_mov_b64 s[38:39], 0
	s_mov_b64 s[42:43], s[0:1]
	;; [unrolled: 1-line block ×3, first 2 shown]
                                        ; implicit-def: $vgpr0_vgpr1
                                        ; implicit-def: $vgpr2_vgpr3
	s_and_saveexec_b64 s[30:31], vcc
	s_cbranch_execz .LBB320_856
; %bb.774:
	v_mul_lo_u32 v0, v14, s13
	v_ashrrev_i32_e32 v1, 31, v0
	s_and_b32 s47, 0xffff, s46
	s_cmp_lt_i32 s47, 11
	v_lshl_add_u64 v[0:1], s[6:7], 0, v[0:1]
	s_cbranch_scc1 .LBB320_781
; %bb.775:
	s_cmp_gt_i32 s47, 25
	s_cbranch_scc0 .LBB320_782
; %bb.776:
	s_cmp_gt_i32 s47, 28
	s_cbranch_scc0 .LBB320_783
	;; [unrolled: 3-line block ×4, first 2 shown]
; %bb.779:
	s_cmp_eq_u32 s47, 46
	s_mov_b64 s[42:43], 0
	s_cbranch_scc0 .LBB320_790
; %bb.780:
	global_load_dword v2, v[0:1], off
	s_mov_b64 s[40:41], -1
	s_waitcnt vmcnt(0)
	v_lshlrev_b32_e32 v2, 16, v2
	v_cvt_f64_f32_e32 v[2:3], v2
	s_branch .LBB320_792
.LBB320_781:
	s_mov_b64 s[42:43], -1
                                        ; implicit-def: $vgpr2_vgpr3
	s_mov_b64 s[36:37], s[0:1]
	s_branch .LBB320_855
.LBB320_782:
	s_mov_b64 s[42:43], -1
	s_mov_b64 s[36:37], s[0:1]
                                        ; implicit-def: $vgpr2_vgpr3
	s_branch .LBB320_823
.LBB320_783:
	s_mov_b64 s[42:43], -1
	s_mov_b64 s[36:37], s[0:1]
                                        ; implicit-def: $vgpr2_vgpr3
	s_branch .LBB320_802
.LBB320_784:
	s_mov_b64 s[42:43], -1
	s_mov_b64 s[36:37], s[0:1]
                                        ; implicit-def: $vgpr2_vgpr3
	s_branch .LBB320_797
.LBB320_785:
	s_andn2_saveexec_b64 s[38:39], s[38:39]
	s_cbranch_execz .LBB320_681
.LBB320_786:
	s_mov_b32 s43, 0x46000000
	v_add_f32_e64 v3, |v2|, s43
	v_and_b32_e32 v3, 0xff, v3
	v_cmp_ne_u32_e32 vcc, 0, v3
	s_andn2_b64 s[36:37], s[36:37], exec
	s_and_b64 s[44:45], vcc, exec
	s_or_b64 s[36:37], s[36:37], s[44:45]
	s_or_b64 exec, exec, s[38:39]
	v_mov_b32_e32 v6, 0
	s_and_saveexec_b64 s[38:39], s[36:37]
	s_cbranch_execnz .LBB320_682
	s_branch .LBB320_683
.LBB320_787:
	s_mov_b64 s[42:43], -1
	s_mov_b64 s[36:37], s[0:1]
	s_branch .LBB320_791
.LBB320_788:
	s_andn2_saveexec_b64 s[38:39], s[38:39]
	s_cbranch_execz .LBB320_694
.LBB320_789:
	s_mov_b32 s43, 0x42800000
	v_add_f32_e64 v3, |v2|, s43
	v_and_b32_e32 v3, 0xff, v3
	v_cmp_ne_u32_e32 vcc, 0, v3
	s_andn2_b64 s[36:37], s[36:37], exec
	s_and_b64 s[44:45], vcc, exec
	s_or_b64 s[36:37], s[36:37], s[44:45]
	s_or_b64 exec, exec, s[38:39]
	v_mov_b32_e32 v6, 0
	s_and_saveexec_b64 s[38:39], s[36:37]
	s_cbranch_execnz .LBB320_695
	s_branch .LBB320_696
.LBB320_790:
	s_mov_b64 s[36:37], -1
.LBB320_791:
                                        ; implicit-def: $vgpr2_vgpr3
.LBB320_792:
	s_and_b64 vcc, exec, s[42:43]
	s_cbranch_vccz .LBB320_796
; %bb.793:
	s_cmp_eq_u32 s47, 44
	s_cbranch_scc0 .LBB320_795
; %bb.794:
	global_load_ubyte v4, v[0:1], off
	s_movk_i32 s40, 0xff
	v_bfrev_b32_e32 v5, 4
	v_mov_b32_e32 v6, 0x7ff80000
	v_bfrev_b32_e32 v7, 28
	s_mov_b64 s[36:37], 0
	s_waitcnt vmcnt(0)
	v_lshlrev_b32_e32 v2, 23, v4
	v_cvt_f64_f32_e32 v[2:3], v2
	v_cmp_ne_u32_e32 vcc, s40, v4
	s_mov_b64 s[40:41], -1
	s_nop 0
	v_cndmask_b32_e32 v2, v5, v2, vcc
	v_cndmask_b32_e32 v3, v6, v3, vcc
	v_cmp_ne_u32_e32 vcc, 0, v4
	s_nop 1
	v_cndmask_b32_e32 v3, v7, v3, vcc
	v_cndmask_b32_e32 v2, 0, v2, vcc
	s_branch .LBB320_796
.LBB320_795:
	s_mov_b64 s[36:37], -1
                                        ; implicit-def: $vgpr2_vgpr3
.LBB320_796:
	s_mov_b64 s[42:43], 0
.LBB320_797:
	s_and_b64 vcc, exec, s[42:43]
	s_cbranch_vccz .LBB320_801
; %bb.798:
	s_cmp_eq_u32 s47, 29
	s_cbranch_scc0 .LBB320_800
; %bb.799:
	global_load_dwordx2 v[2:3], v[0:1], off
	s_mov_b64 s[36:37], 0
	s_mov_b64 s[40:41], -1
	s_mov_b64 s[42:43], 0
	s_waitcnt vmcnt(0)
	v_cvt_f64_u32_e32 v[4:5], v3
	v_cvt_f64_u32_e32 v[2:3], v2
	v_ldexp_f64 v[4:5], v[4:5], 32
	v_add_f64 v[2:3], v[4:5], v[2:3]
	s_branch .LBB320_802
.LBB320_800:
	s_mov_b64 s[36:37], -1
                                        ; implicit-def: $vgpr2_vgpr3
.LBB320_801:
	s_mov_b64 s[42:43], 0
.LBB320_802:
	s_and_b64 vcc, exec, s[42:43]
	s_cbranch_vccz .LBB320_822
; %bb.803:
	s_cmp_lt_i32 s47, 27
	s_cbranch_scc1 .LBB320_806
; %bb.804:
	s_cmp_gt_i32 s47, 27
	s_cbranch_scc0 .LBB320_807
; %bb.805:
	global_load_dword v2, v[0:1], off
	s_mov_b64 s[40:41], 0
	s_waitcnt vmcnt(0)
	v_cvt_f64_u32_e32 v[2:3], v2
	s_branch .LBB320_808
.LBB320_806:
	s_mov_b64 s[40:41], -1
                                        ; implicit-def: $vgpr2_vgpr3
	s_branch .LBB320_811
.LBB320_807:
	s_mov_b64 s[40:41], -1
                                        ; implicit-def: $vgpr2_vgpr3
.LBB320_808:
	s_andn2_b64 vcc, exec, s[40:41]
	s_cbranch_vccnz .LBB320_810
; %bb.809:
	global_load_ushort v2, v[0:1], off
	s_waitcnt vmcnt(0)
	v_cvt_f64_u32_e32 v[2:3], v2
.LBB320_810:
	s_mov_b64 s[40:41], 0
.LBB320_811:
	s_andn2_b64 vcc, exec, s[40:41]
	s_cbranch_vccnz .LBB320_821
; %bb.812:
	global_load_ubyte v4, v[0:1], off
	s_movk_i32 s40, 0x7f
	s_waitcnt vmcnt(0)
	v_cmp_lt_i16_e32 vcc, s40, v4
	s_mov_b64 s[40:41], 0
	s_and_saveexec_b64 s[42:43], vcc
	s_xor_b64 s[42:43], exec, s[42:43]
	s_cbranch_execz .LBB320_816
; %bb.813:
	s_movk_i32 s40, 0x80
	v_cmp_eq_u16_e32 vcc, s40, v4
	s_mov_b64 s[40:41], -1
	s_and_saveexec_b64 s[44:45], vcc
; %bb.814:
	s_xor_b64 s[40:41], exec, -1
; %bb.815:
	s_or_b64 exec, exec, s[44:45]
	s_and_b64 s[40:41], s[40:41], exec
.LBB320_816:
	s_or_saveexec_b64 s[42:43], s[42:43]
	v_bfrev_b32_e32 v2, 4
	v_mov_b32_e32 v3, 0x7ff80000
	s_xor_b64 exec, exec, s[42:43]
; %bb.817:
	v_cmp_ne_u16_e32 vcc, 0, v4
	s_andn2_b64 s[40:41], s[40:41], exec
	s_and_b64 s[44:45], vcc, exec
	v_mov_b64_e32 v[2:3], 0
	s_or_b64 s[40:41], s[40:41], s[44:45]
; %bb.818:
	s_or_b64 exec, exec, s[42:43]
	s_and_saveexec_b64 s[42:43], s[40:41]
	s_cbranch_execz .LBB320_820
; %bb.819:
	v_and_b32_e32 v3, 0xffff, v4
	v_lshlrev_b32_e32 v2, 24, v4
	v_and_b32_e32 v4, 7, v3
	v_ffbh_u32_e32 v6, v4
	v_min_u32_e32 v6, 32, v6
	v_subrev_u32_e32 v7, 28, v6
	v_bfe_u32 v5, v3, 3, 4
	v_lshlrev_b32_e32 v3, v7, v3
	v_sub_u32_e32 v6, 29, v6
	v_and_b32_e32 v3, 7, v3
	v_cmp_eq_u32_e32 vcc, 0, v5
	v_and_b32_e32 v2, 0x80000000, v2
	s_nop 0
	v_cndmask_b32_e32 v5, v5, v6, vcc
	v_cndmask_b32_e32 v3, v4, v3, vcc
	v_mov_b32_e32 v4, 0x3b800000
	v_lshlrev_b32_e32 v3, 20, v3
	v_lshl_add_u32 v4, v5, 23, v4
	v_or3_b32 v2, v2, v4, v3
	v_cvt_f64_f32_e32 v[2:3], v2
.LBB320_820:
	s_or_b64 exec, exec, s[42:43]
.LBB320_821:
	s_mov_b64 s[40:41], -1
.LBB320_822:
	s_mov_b64 s[42:43], 0
.LBB320_823:
	s_and_b64 vcc, exec, s[42:43]
	s_cbranch_vccz .LBB320_854
; %bb.824:
	s_cmp_gt_i32 s47, 22
	s_cbranch_scc0 .LBB320_836
; %bb.825:
	s_cmp_lt_i32 s47, 24
	s_cbranch_scc1 .LBB320_837
; %bb.826:
	s_cmp_gt_i32 s47, 24
	s_cbranch_scc0 .LBB320_838
; %bb.827:
	global_load_ubyte v4, v[0:1], off
	s_movk_i32 s38, 0x7f
	s_waitcnt vmcnt(0)
	v_cmp_lt_i16_e32 vcc, s38, v4
	s_mov_b64 s[38:39], 0
	s_and_saveexec_b64 s[40:41], vcc
	s_xor_b64 s[40:41], exec, s[40:41]
	s_cbranch_execz .LBB320_831
; %bb.828:
	s_movk_i32 s38, 0x80
	v_cmp_eq_u16_e32 vcc, s38, v4
	s_mov_b64 s[38:39], -1
	s_and_saveexec_b64 s[42:43], vcc
; %bb.829:
	s_xor_b64 s[38:39], exec, -1
; %bb.830:
	s_or_b64 exec, exec, s[42:43]
	s_and_b64 s[38:39], s[38:39], exec
.LBB320_831:
	s_or_saveexec_b64 s[40:41], s[40:41]
	v_bfrev_b32_e32 v2, 4
	v_mov_b32_e32 v3, 0x7ff80000
	s_xor_b64 exec, exec, s[40:41]
; %bb.832:
	v_cmp_ne_u16_e32 vcc, 0, v4
	s_andn2_b64 s[38:39], s[38:39], exec
	s_and_b64 s[42:43], vcc, exec
	v_mov_b64_e32 v[2:3], 0
	s_or_b64 s[38:39], s[38:39], s[42:43]
; %bb.833:
	s_or_b64 exec, exec, s[40:41]
	s_and_saveexec_b64 s[40:41], s[38:39]
	s_cbranch_execz .LBB320_835
; %bb.834:
	v_and_b32_e32 v3, 0xffff, v4
	v_lshlrev_b32_e32 v2, 24, v4
	v_and_b32_e32 v4, 3, v3
	v_ffbh_u32_e32 v6, v4
	v_min_u32_e32 v6, 32, v6
	v_subrev_u32_e32 v7, 29, v6
	v_bfe_u32 v5, v3, 2, 5
	v_lshlrev_b32_e32 v3, v7, v3
	v_sub_u32_e32 v6, 30, v6
	v_and_b32_e32 v3, 3, v3
	v_cmp_eq_u32_e32 vcc, 0, v5
	v_and_b32_e32 v2, 0x80000000, v2
	s_nop 0
	v_cndmask_b32_e32 v5, v5, v6, vcc
	v_cndmask_b32_e32 v3, v4, v3, vcc
	v_mov_b32_e32 v4, 0x37800000
	v_lshlrev_b32_e32 v3, 21, v3
	v_lshl_add_u32 v4, v5, 23, v4
	v_or3_b32 v2, v2, v4, v3
	v_cvt_f64_f32_e32 v[2:3], v2
.LBB320_835:
	s_or_b64 exec, exec, s[40:41]
	s_mov_b64 s[38:39], 0
	s_branch .LBB320_839
.LBB320_836:
	s_mov_b64 s[38:39], -1
                                        ; implicit-def: $vgpr2_vgpr3
	s_branch .LBB320_845
.LBB320_837:
	s_mov_b64 s[38:39], -1
                                        ; implicit-def: $vgpr2_vgpr3
	s_branch .LBB320_842
.LBB320_838:
	s_mov_b64 s[38:39], -1
                                        ; implicit-def: $vgpr2_vgpr3
.LBB320_839:
	s_and_b64 vcc, exec, s[38:39]
	s_cbranch_vccz .LBB320_841
; %bb.840:
	global_load_ubyte v2, v[0:1], off
	s_mov_b32 s38, 0x7f800000
	s_waitcnt vmcnt(0)
	v_lshlrev_b32_e32 v2, 24, v2
	v_and_b32_e32 v3, 0x7f000000, v2
	v_ffbh_u32_e32 v4, v3
	v_min_u32_e32 v4, 32, v4
	v_sub_u32_e64 v4, v4, 4 clamp
	v_lshlrev_b32_e32 v6, v4, v3
	v_lshlrev_b32_e32 v4, 23, v4
	v_lshrrev_b32_e32 v6, 4, v6
	v_add_u32_e32 v5, 0x1000000, v3
	v_sub_u32_e32 v4, v6, v4
	v_ashrrev_i32_e32 v5, 8, v5
	v_add_u32_e32 v4, 0x3c000000, v4
	v_and_or_b32 v4, v5, s38, v4
	v_cmp_ne_u32_e32 vcc, 0, v3
	s_brev_b32 s38, 1
	s_nop 0
	v_cndmask_b32_e32 v3, 0, v4, vcc
	v_and_or_b32 v2, v2, s38, v3
	v_cvt_f64_f32_e32 v[2:3], v2
.LBB320_841:
	s_mov_b64 s[38:39], 0
.LBB320_842:
	s_andn2_b64 vcc, exec, s[38:39]
	s_cbranch_vccnz .LBB320_844
; %bb.843:
	global_load_ubyte v2, v[0:1], off
	s_movk_i32 s38, 0x7f00
	s_brev_b32 s39, 16
	s_waitcnt vmcnt(0)
	v_lshlrev_b16_e32 v3, 8, v2
	v_lshlrev_b32_e32 v2, 25, v2
	v_lshrrev_b32_e32 v4, 4, v2
	v_and_or_b32 v5, v3, s38, 0.5
	v_or_b32_e32 v4, 0x70000000, v4
	v_add_f32_e32 v5, -0.5, v5
	v_mul_f32_e32 v4, 0x7800000, v4
	v_cmp_gt_u32_e32 vcc, s39, v2
	v_bfe_i32 v3, v3, 0, 16
	s_brev_b32 s38, 1
	v_cndmask_b32_e32 v2, v4, v5, vcc
	v_and_or_b32 v2, v3, s38, v2
	v_cvt_f64_f32_e32 v[2:3], v2
.LBB320_844:
	s_mov_b64 s[38:39], 0
	s_mov_b64 s[40:41], -1
.LBB320_845:
	s_andn2_b64 vcc, exec, s[38:39]
	s_mov_b64 s[38:39], 0
	s_cbranch_vccnz .LBB320_854
; %bb.846:
	s_cmp_gt_i32 s47, 14
	s_cbranch_scc0 .LBB320_849
; %bb.847:
	s_cmp_eq_u32 s47, 15
	s_cbranch_scc0 .LBB320_850
; %bb.848:
	global_load_ushort v2, v[0:1], off
	s_mov_b64 s[36:37], 0
	s_mov_b64 s[40:41], -1
	s_waitcnt vmcnt(0)
	v_lshlrev_b32_e32 v2, 16, v2
	v_cvt_f64_f32_e32 v[2:3], v2
	s_branch .LBB320_851
.LBB320_849:
	s_mov_b64 s[42:43], -1
                                        ; implicit-def: $vgpr2_vgpr3
	s_branch .LBB320_852
.LBB320_850:
	s_mov_b64 s[36:37], -1
                                        ; implicit-def: $vgpr2_vgpr3
.LBB320_851:
	s_mov_b64 s[42:43], 0
.LBB320_852:
	s_and_b64 vcc, exec, s[42:43]
	s_cbranch_vccz .LBB320_854
; %bb.853:
	s_cmp_lg_u32 s47, 11
	s_cselect_b64 s[42:43], -1, 0
	s_andn2_b64 s[36:37], s[36:37], exec
	s_and_b64 s[42:43], s[42:43], exec
	s_mov_b64 s[38:39], -1
	s_or_b64 s[36:37], s[36:37], s[42:43]
.LBB320_854:
	s_mov_b64 s[42:43], 0
.LBB320_855:
	s_and_b64 s[44:45], s[42:43], exec
	s_andn2_b64 s[42:43], s[0:1], exec
	s_and_b64 s[36:37], s[36:37], exec
	s_and_b64 s[40:41], s[40:41], exec
	s_and_b64 s[38:39], s[38:39], exec
	s_or_b64 s[42:43], s[42:43], s[36:37]
.LBB320_856:
	s_or_b64 exec, exec, s[30:31]
	s_and_b64 s[36:37], s[38:39], exec
	s_andn2_b64 s[0:1], s[0:1], exec
	s_and_b64 s[38:39], s[42:43], exec
	s_and_b64 s[40:41], s[40:41], exec
	;; [unrolled: 1-line block ×3, first 2 shown]
	s_or_b64 s[0:1], s[0:1], s[38:39]
.LBB320_857:
	s_or_b64 exec, exec, s[28:29]
	s_andn2_b64 s[24:25], s[24:25], exec
	s_and_b64 s[28:29], s[34:35], exec
	s_andn2_b64 s[22:23], s[22:23], exec
	s_and_b64 s[0:1], s[0:1], exec
	s_or_b64 s[24:25], s[24:25], s[28:29]
	s_and_b64 s[34:35], s[40:41], exec
	s_and_b64 s[30:31], s[30:31], exec
	;; [unrolled: 1-line block ×3, first 2 shown]
	s_or_b64 s[22:23], s[22:23], s[0:1]
.LBB320_858:
	s_or_b64 exec, exec, s[26:27]
	s_andn2_b64 s[0:1], s[16:17], exec
	s_and_b64 s[16:17], s[24:25], exec
	s_andn2_b64 s[18:19], s[18:19], exec
	s_and_b64 s[22:23], s[22:23], exec
	s_or_b64 s[16:17], s[0:1], s[16:17]
	s_and_b64 s[0:1], s[34:35], exec
	s_and_b64 s[26:27], s[30:31], exec
	;; [unrolled: 1-line block ×3, first 2 shown]
	s_or_b64 s[18:19], s[18:19], s[22:23]
	s_or_b64 exec, exec, s[20:21]
	s_mov_b64 s[20:21], 0
	s_and_saveexec_b64 s[22:23], s[18:19]
	s_cbranch_execz .LBB320_262
.LBB320_859:
	s_mov_b64 s[20:21], exec
	s_andn2_b64 s[24:25], s[24:25], exec
	s_trap 2
	s_or_b64 exec, exec, s[22:23]
	s_and_saveexec_b64 s[18:19], s[24:25]
	s_xor_b64 s[18:19], exec, s[18:19]
	s_cbranch_execnz .LBB320_263
.LBB320_860:
	s_or_b64 exec, exec, s[18:19]
	s_and_saveexec_b64 s[18:19], s[26:27]
	s_cbranch_execz .LBB320_906
.LBB320_861:
	s_sext_i32_i16 s22, s46
	s_cmp_lt_i32 s22, 5
	s_cbranch_scc1 .LBB320_866
; %bb.862:
	s_cmp_lt_i32 s22, 8
	s_cbranch_scc1 .LBB320_867
; %bb.863:
	;; [unrolled: 3-line block ×3, first 2 shown]
	s_cmp_gt_i32 s22, 9
	s_cbranch_scc0 .LBB320_869
; %bb.865:
	global_load_dwordx2 v[2:3], v[0:1], off
	s_mov_b64 s[22:23], 0
	s_branch .LBB320_870
.LBB320_866:
                                        ; implicit-def: $vgpr2_vgpr3
	s_branch .LBB320_887
.LBB320_867:
                                        ; implicit-def: $vgpr2_vgpr3
	s_branch .LBB320_876
.LBB320_868:
	s_mov_b64 s[22:23], -1
                                        ; implicit-def: $vgpr2_vgpr3
	s_branch .LBB320_873
.LBB320_869:
	s_mov_b64 s[22:23], -1
                                        ; implicit-def: $vgpr2_vgpr3
.LBB320_870:
	s_andn2_b64 vcc, exec, s[22:23]
	s_cbranch_vccnz .LBB320_872
; %bb.871:
	global_load_dword v2, v[0:1], off
	s_waitcnt vmcnt(0)
	v_cvt_f64_f32_e32 v[2:3], v2
.LBB320_872:
	s_mov_b64 s[22:23], 0
.LBB320_873:
	s_andn2_b64 vcc, exec, s[22:23]
	s_cbranch_vccnz .LBB320_875
; %bb.874:
	global_load_dword v2, v[0:1], off
	s_waitcnt vmcnt(0)
	v_cvt_f32_f16_e32 v2, v2
	v_cvt_f64_f32_e32 v[2:3], v2
.LBB320_875:
	s_cbranch_execnz .LBB320_886
.LBB320_876:
	s_sext_i32_i16 s22, s46
	s_cmp_lt_i32 s22, 6
	s_cbranch_scc1 .LBB320_879
; %bb.877:
	s_cmp_gt_i32 s22, 6
	s_cbranch_scc0 .LBB320_880
; %bb.878:
	global_load_dwordx2 v[2:3], v[0:1], off
	s_mov_b64 s[22:23], 0
	s_branch .LBB320_881
.LBB320_879:
	s_mov_b64 s[22:23], -1
                                        ; implicit-def: $vgpr2_vgpr3
	s_branch .LBB320_884
.LBB320_880:
	s_mov_b64 s[22:23], -1
                                        ; implicit-def: $vgpr2_vgpr3
.LBB320_881:
	s_andn2_b64 vcc, exec, s[22:23]
	s_cbranch_vccnz .LBB320_883
; %bb.882:
	global_load_dword v2, v[0:1], off
	s_waitcnt vmcnt(0)
	v_cvt_f64_f32_e32 v[2:3], v2
.LBB320_883:
	s_mov_b64 s[22:23], 0
.LBB320_884:
	s_andn2_b64 vcc, exec, s[22:23]
	s_cbranch_vccnz .LBB320_886
; %bb.885:
	global_load_ushort v2, v[0:1], off
	s_waitcnt vmcnt(0)
	v_cvt_f32_f16_e32 v2, v2
	v_cvt_f64_f32_e32 v[2:3], v2
.LBB320_886:
	s_cbranch_execnz .LBB320_905
.LBB320_887:
	s_sext_i32_i16 s22, s46
	s_cmp_lt_i32 s22, 2
	s_cbranch_scc1 .LBB320_891
; %bb.888:
	s_cmp_lt_i32 s22, 3
	s_cbranch_scc1 .LBB320_892
; %bb.889:
	s_cmp_gt_i32 s22, 3
	s_cbranch_scc0 .LBB320_893
; %bb.890:
	global_load_dwordx2 v[2:3], v[0:1], off
	s_mov_b64 s[22:23], 0
	s_waitcnt vmcnt(0)
	v_cvt_f64_i32_e32 v[4:5], v3
	v_cvt_f64_u32_e32 v[2:3], v2
	v_ldexp_f64 v[4:5], v[4:5], 32
	v_add_f64 v[2:3], v[4:5], v[2:3]
	s_branch .LBB320_894
.LBB320_891:
                                        ; implicit-def: $vgpr2_vgpr3
	s_branch .LBB320_900
.LBB320_892:
	s_mov_b64 s[22:23], -1
                                        ; implicit-def: $vgpr2_vgpr3
	s_branch .LBB320_897
.LBB320_893:
	s_mov_b64 s[22:23], -1
                                        ; implicit-def: $vgpr2_vgpr3
.LBB320_894:
	s_andn2_b64 vcc, exec, s[22:23]
	s_cbranch_vccnz .LBB320_896
; %bb.895:
	global_load_dword v2, v[0:1], off
	s_waitcnt vmcnt(0)
	v_cvt_f64_i32_e32 v[2:3], v2
.LBB320_896:
	s_mov_b64 s[22:23], 0
.LBB320_897:
	s_andn2_b64 vcc, exec, s[22:23]
	s_cbranch_vccnz .LBB320_899
; %bb.898:
	global_load_sshort v2, v[0:1], off
	s_waitcnt vmcnt(0)
	v_cvt_f64_i32_e32 v[2:3], v2
.LBB320_899:
	s_cbranch_execnz .LBB320_905
.LBB320_900:
	s_sext_i32_i16 s22, s46
	s_cmp_gt_i32 s22, 0
	s_cbranch_scc0 .LBB320_902
; %bb.901:
	global_load_sbyte v2, v[0:1], off
	s_mov_b64 s[22:23], 0
	s_waitcnt vmcnt(0)
	v_cvt_f64_i32_e32 v[2:3], v2
	s_branch .LBB320_903
.LBB320_902:
	s_mov_b64 s[22:23], -1
                                        ; implicit-def: $vgpr2_vgpr3
.LBB320_903:
	s_andn2_b64 vcc, exec, s[22:23]
	s_cbranch_vccnz .LBB320_905
; %bb.904:
	global_load_ubyte v0, v[0:1], off
	s_waitcnt vmcnt(0)
	v_cvt_f64_u32_e32 v[2:3], v0
.LBB320_905:
	s_or_b64 s[0:1], s[0:1], exec
.LBB320_906:
	s_or_b64 exec, exec, s[18:19]
	s_mov_b64 s[24:25], 0
	s_mov_b64 s[22:23], 0
                                        ; implicit-def: $sgpr30
                                        ; implicit-def: $vgpr4_vgpr5
                                        ; implicit-def: $vgpr0_vgpr1
	s_and_saveexec_b64 s[18:19], s[0:1]
	s_cbranch_execz .LBB320_981
; %bb.907:
	v_max_f64 v[0:1], s[8:9], s[8:9]
	s_waitcnt vmcnt(0)
	v_max_f64 v[4:5], v[2:3], v[2:3]
	v_max_f64 v[0:1], v[4:5], v[0:1]
	;; [unrolled: 1-line block ×3, first 2 shown]
	v_min_f64 v[0:1], v[0:1], v[4:5]
	v_cmp_u_f64_e32 vcc, v[2:3], v[2:3]
	s_and_b32 s30, s33, 0xff
	s_cmp_lt_i32 s30, 11
	v_cndmask_b32_e32 v0, v0, v2, vcc
	v_mul_lo_u32 v2, v14, s12
	v_cndmask_b32_e32 v1, v1, v3, vcc
	v_ashrrev_i32_e32 v3, 31, v2
	v_lshl_add_u64 v[4:5], s[4:5], 0, v[2:3]
	s_cbranch_scc1 .LBB320_984
; %bb.908:
	s_and_b32 s31, 0xffff, s30
	s_mov_b64 s[24:25], -1
	s_cmp_gt_i32 s31, 25
	s_mov_b64 s[0:1], s[16:17]
	s_cbranch_scc0 .LBB320_941
; %bb.909:
	s_mov_b64 s[22:23], -1
	s_cmp_gt_i32 s31, 28
	s_mov_b64 s[0:1], s[16:17]
	s_cbranch_scc0 .LBB320_925
; %bb.910:
	s_cmp_gt_i32 s31, 43
	s_mov_b64 s[0:1], s[16:17]
	s_cbranch_scc0 .LBB320_921
; %bb.911:
	;; [unrolled: 4-line block ×3, first 2 shown]
	s_cmp_eq_u32 s31, 46
	s_mov_b64 s[0:1], -1
	s_cbranch_scc0 .LBB320_914
; %bb.913:
	v_cvt_f32_f64_e32 v2, v[0:1]
	v_bfe_u32 v3, v2, 16, 1
	s_movk_i32 s0, 0x7fff
	v_add3_u32 v3, v2, v3, s0
	v_cmp_o_f32_e32 vcc, v2, v2
	v_mov_b32_e32 v2, 0x7fc0
	s_mov_b64 s[0:1], 0
	v_cndmask_b32_sdwa v2, v2, v3, vcc dst_sel:DWORD dst_unused:UNUSED_PAD src0_sel:DWORD src1_sel:WORD_1
	global_store_dword v[4:5], v2, off
.LBB320_914:
	s_mov_b64 s[22:23], 0
.LBB320_915:
	s_and_b64 vcc, exec, s[22:23]
	s_cbranch_vccz .LBB320_920
; %bb.916:
	s_cmp_eq_u32 s31, 44
	s_mov_b64 s[0:1], -1
	s_cbranch_scc0 .LBB320_920
; %bb.917:
	v_cvt_f32_f64_e32 v2, v[0:1]
	v_bfe_u32 v3, v2, 23, 8
	s_movk_i32 s0, 0xff
	v_cmp_ne_u32_e32 vcc, s0, v3
	v_mov_b32_e32 v6, 0xff
	s_and_saveexec_b64 s[22:23], vcc
; %bb.918:
	s_mov_b32 s0, 0x3fffff
	v_lshrrev_b32_e32 v6, 23, v2
	v_and_b32_e32 v7, 0x400000, v2
	v_and_or_b32 v2, v2, s0, v3
	v_cmp_ne_u32_e32 vcc, 0, v7
	v_cmp_ne_u32_e64 s[0:1], 0, v2
	s_and_b64 s[0:1], vcc, s[0:1]
	s_nop 0
	v_cndmask_b32_e64 v2, 0, 1, s[0:1]
	v_add_u32_e32 v6, v6, v2
; %bb.919:
	s_or_b64 exec, exec, s[22:23]
	s_mov_b64 s[0:1], 0
	global_store_byte v[4:5], v6, off
.LBB320_920:
	s_mov_b64 s[22:23], 0
.LBB320_921:
	s_and_b64 vcc, exec, s[22:23]
	s_cbranch_vccz .LBB320_924
; %bb.922:
	s_cmp_eq_u32 s31, 29
	s_mov_b64 s[0:1], -1
	s_cbranch_scc0 .LBB320_924
; %bb.923:
	v_trunc_f64_e32 v[2:3], v[0:1]
	s_movk_i32 s0, 0xffe0
	v_ldexp_f64 v[6:7], v[2:3], s0
	v_floor_f64_e32 v[6:7], v[6:7]
	v_fmac_f64_e32 v[2:3], 0xc1f00000, v[6:7]
	v_cvt_u32_f64_e32 v9, v[6:7]
	v_cvt_u32_f64_e32 v8, v[2:3]
	global_store_dwordx2 v[4:5], v[8:9], off
	s_mov_b64 s[0:1], 0
.LBB320_924:
	s_mov_b64 s[22:23], 0
.LBB320_925:
	s_and_b64 vcc, exec, s[22:23]
	s_cbranch_vccz .LBB320_940
; %bb.926:
	s_cmp_lt_i32 s31, 27
	s_mov_b64 s[22:23], -1
	s_cbranch_scc1 .LBB320_932
; %bb.927:
	s_cmp_gt_i32 s31, 27
	v_cvt_u32_f64_e32 v2, v[0:1]
	s_cbranch_scc0 .LBB320_929
; %bb.928:
	s_mov_b64 s[22:23], 0
	global_store_dword v[4:5], v2, off
.LBB320_929:
	s_andn2_b64 vcc, exec, s[22:23]
	s_cbranch_vccnz .LBB320_931
; %bb.930:
	global_store_short v[4:5], v2, off
.LBB320_931:
	s_mov_b64 s[22:23], 0
.LBB320_932:
	s_andn2_b64 vcc, exec, s[22:23]
	s_cbranch_vccnz .LBB320_940
; %bb.933:
	v_cvt_f32_f64_e32 v2, v[0:1]
	v_and_b32_e32 v3, 0x7fffffff, v2
	s_mov_b32 s22, 0x43800000
	v_cmp_gt_u32_e32 vcc, s22, v3
	v_mov_b32_e32 v6, 0x80
	s_and_saveexec_b64 s[22:23], vcc
	s_cbranch_execz .LBB320_939
; %bb.934:
	s_mov_b32 s24, 0x3bffffff
	v_cmp_lt_u32_e32 vcc, s24, v3
	s_mov_b64 s[24:25], 0
                                        ; implicit-def: $vgpr3
	s_and_saveexec_b64 s[26:27], vcc
	s_xor_b64 s[26:27], exec, s[26:27]
	s_cbranch_execz .LBB320_1041
; %bb.935:
	v_bfe_u32 v3, v2, 20, 1
	s_mov_b32 s28, 0x487ffff
	v_add3_u32 v3, v2, v3, s28
	s_mov_b64 s[24:25], exec
	v_lshrrev_b32_e32 v3, 20, v3
	s_andn2_saveexec_b64 s[26:27], s[26:27]
	s_cbranch_execnz .LBB320_1042
.LBB320_936:
	s_or_b64 exec, exec, s[26:27]
	v_mov_b32_e32 v6, 0
	s_and_saveexec_b64 s[26:27], s[24:25]
.LBB320_937:
	v_lshrrev_b32_e32 v2, 24, v2
	s_movk_i32 s24, 0x80
	v_and_or_b32 v6, v2, s24, v3
.LBB320_938:
	s_or_b64 exec, exec, s[26:27]
.LBB320_939:
	s_or_b64 exec, exec, s[22:23]
	global_store_byte v[4:5], v6, off
.LBB320_940:
	s_mov_b64 s[24:25], 0
.LBB320_941:
	s_mov_b64 s[22:23], 0
	s_and_b64 vcc, exec, s[24:25]
	s_cbranch_vccz .LBB320_985
; %bb.942:
	s_cmp_gt_i32 s31, 22
	s_mov_b64 s[24:25], -1
	s_cbranch_scc0 .LBB320_974
; %bb.943:
	s_cmp_lt_i32 s31, 24
	s_cbranch_scc1 .LBB320_963
; %bb.944:
	s_cmp_gt_i32 s31, 24
	s_cbranch_scc0 .LBB320_952
; %bb.945:
	v_cvt_f32_f64_e32 v2, v[0:1]
	v_and_b32_e32 v3, 0x7fffffff, v2
	s_mov_b32 s24, 0x47800000
	v_cmp_gt_u32_e32 vcc, s24, v3
	v_mov_b32_e32 v6, 0x80
	s_and_saveexec_b64 s[24:25], vcc
	s_cbranch_execz .LBB320_951
; %bb.946:
	s_mov_b32 s26, 0x37ffffff
	v_cmp_lt_u32_e32 vcc, s26, v3
	s_mov_b64 s[26:27], 0
                                        ; implicit-def: $vgpr3
	s_and_saveexec_b64 s[28:29], vcc
	s_xor_b64 s[28:29], exec, s[28:29]
	s_cbranch_execz .LBB320_1166
; %bb.947:
	v_bfe_u32 v3, v2, 21, 1
	s_mov_b32 s34, 0x88fffff
	v_add3_u32 v3, v2, v3, s34
	s_mov_b64 s[26:27], exec
	v_lshrrev_b32_e32 v3, 21, v3
	s_andn2_saveexec_b64 s[28:29], s[28:29]
	s_cbranch_execnz .LBB320_1167
.LBB320_948:
	s_or_b64 exec, exec, s[28:29]
	v_mov_b32_e32 v6, 0
	s_and_saveexec_b64 s[28:29], s[26:27]
.LBB320_949:
	v_lshrrev_b32_e32 v2, 24, v2
	s_movk_i32 s26, 0x80
	v_and_or_b32 v6, v2, s26, v3
.LBB320_950:
	s_or_b64 exec, exec, s[28:29]
.LBB320_951:
	s_or_b64 exec, exec, s[24:25]
	s_mov_b64 s[24:25], 0
	global_store_byte v[4:5], v6, off
.LBB320_952:
	s_and_b64 vcc, exec, s[24:25]
	s_cbranch_vccz .LBB320_962
; %bb.953:
	v_cvt_f32_f64_e32 v2, v[0:1]
	v_and_b32_e32 v6, 0x7fffffff, v2
	s_mov_b32 s24, 0x43f00000
	v_cmp_gt_u32_e32 vcc, s24, v6
                                        ; implicit-def: $vgpr3
	s_and_saveexec_b64 s[24:25], vcc
	s_xor_b64 s[24:25], exec, s[24:25]
	s_cbranch_execz .LBB320_959
; %bb.954:
	s_mov_b32 s26, 0x3c7fffff
	v_cmp_lt_u32_e32 vcc, s26, v6
                                        ; implicit-def: $vgpr3
	s_and_saveexec_b64 s[26:27], vcc
	s_xor_b64 s[26:27], exec, s[26:27]
; %bb.955:
	v_bfe_u32 v3, v2, 20, 1
	s_mov_b32 s28, 0x407ffff
	v_add3_u32 v3, v2, v3, s28
	v_lshrrev_b32_e32 v6, 20, v3
	v_and_b32_e32 v3, 0xff00000, v3
	s_mov_b32 s28, 0x7f00000
	v_mov_b32_e32 v7, 0x7e
	v_cmp_ne_u32_e32 vcc, s28, v3
	s_nop 1
	v_cndmask_b32_e32 v3, v7, v6, vcc
; %bb.956:
	s_andn2_saveexec_b64 s[26:27], s[26:27]
; %bb.957:
	s_mov_b32 s28, 0x46800000
	v_add_f32_e64 v3, |v2|, s28
; %bb.958:
	s_or_b64 exec, exec, s[26:27]
                                        ; implicit-def: $vgpr6
.LBB320_959:
	s_andn2_saveexec_b64 s[24:25], s[24:25]
; %bb.960:
	s_mov_b32 s26, 0x7f800000
	v_mov_b32_e32 v3, 0x7e
	v_mov_b32_e32 v7, 0x7f
	v_cmp_lt_u32_e32 vcc, s26, v6
	s_nop 1
	v_cndmask_b32_e32 v3, v3, v7, vcc
; %bb.961:
	s_or_b64 exec, exec, s[24:25]
	v_lshrrev_b32_e32 v2, 24, v2
	s_movk_i32 s24, 0x80
	v_and_or_b32 v2, v2, s24, v3
	global_store_byte v[4:5], v2, off
.LBB320_962:
	s_mov_b64 s[24:25], 0
.LBB320_963:
	s_andn2_b64 vcc, exec, s[24:25]
	s_cbranch_vccnz .LBB320_973
; %bb.964:
	v_cvt_f32_f64_e32 v2, v[0:1]
	v_and_b32_e32 v6, 0x7fffffff, v2
	s_mov_b32 s24, 0x47800000
	v_cmp_gt_u32_e32 vcc, s24, v6
                                        ; implicit-def: $vgpr3
	s_and_saveexec_b64 s[24:25], vcc
	s_xor_b64 s[24:25], exec, s[24:25]
	s_cbranch_execz .LBB320_970
; %bb.965:
	s_mov_b32 s26, 0x387fffff
	v_cmp_lt_u32_e32 vcc, s26, v6
                                        ; implicit-def: $vgpr3
	s_and_saveexec_b64 s[26:27], vcc
	s_xor_b64 s[26:27], exec, s[26:27]
; %bb.966:
	v_bfe_u32 v3, v2, 21, 1
	s_mov_b32 s28, 0x80fffff
	v_add3_u32 v3, v2, v3, s28
	v_lshrrev_b32_e32 v3, 21, v3
; %bb.967:
	s_andn2_saveexec_b64 s[26:27], s[26:27]
; %bb.968:
	s_mov_b32 s28, 0x43000000
	v_add_f32_e64 v3, |v2|, s28
; %bb.969:
	s_or_b64 exec, exec, s[26:27]
                                        ; implicit-def: $vgpr6
.LBB320_970:
	s_andn2_saveexec_b64 s[24:25], s[24:25]
; %bb.971:
	s_mov_b32 s26, 0x7f800000
	v_mov_b32_e32 v3, 0x7c
	v_mov_b32_e32 v7, 0x7f
	v_cmp_lt_u32_e32 vcc, s26, v6
	s_nop 1
	v_cndmask_b32_e32 v3, v3, v7, vcc
; %bb.972:
	s_or_b64 exec, exec, s[24:25]
	v_lshrrev_b32_e32 v2, 24, v2
	s_movk_i32 s24, 0x80
	v_and_or_b32 v2, v2, s24, v3
	global_store_byte v[4:5], v2, off
.LBB320_973:
	s_mov_b64 s[24:25], 0
.LBB320_974:
	s_andn2_b64 vcc, exec, s[24:25]
	s_mov_b64 s[24:25], 0
	s_cbranch_vccnz .LBB320_986
; %bb.975:
	s_cmp_gt_i32 s31, 14
	s_mov_b64 s[26:27], -1
	s_cbranch_scc0 .LBB320_979
; %bb.976:
	s_cmp_eq_u32 s31, 15
	s_mov_b64 s[0:1], -1
	s_cbranch_scc0 .LBB320_978
; %bb.977:
	v_cvt_f32_f64_e32 v2, v[0:1]
	v_bfe_u32 v3, v2, 16, 1
	s_movk_i32 s0, 0x7fff
	v_add3_u32 v3, v2, v3, s0
	v_cmp_o_f32_e32 vcc, v2, v2
	v_mov_b32_e32 v2, 0x7fc0
	s_mov_b64 s[0:1], 0
	v_cndmask_b32_sdwa v2, v2, v3, vcc dst_sel:DWORD dst_unused:UNUSED_PAD src0_sel:DWORD src1_sel:WORD_1
	global_store_short v[4:5], v2, off
.LBB320_978:
	s_mov_b64 s[26:27], 0
.LBB320_979:
	s_and_b64 vcc, exec, s[26:27]
	s_cbranch_vccz .LBB320_986
; %bb.980:
	s_cmp_lg_u32 s31, 11
	s_cselect_b64 s[26:27], -1, 0
	s_andn2_b64 s[0:1], s[0:1], exec
	s_and_b64 s[26:27], s[26:27], exec
	s_mov_b64 s[24:25], -1
	s_or_b64 s[0:1], s[0:1], s[26:27]
	s_branch .LBB320_986
.LBB320_981:
	s_or_b64 exec, exec, s[18:19]
	s_and_saveexec_b64 s[0:1], s[16:17]
	s_cbranch_execnz .LBB320_987
.LBB320_982:
	s_or_b64 exec, exec, s[0:1]
	s_and_saveexec_b64 s[0:1], s[24:25]
	s_xor_b64 s[0:1], exec, s[0:1]
	s_cbranch_execz .LBB320_988
.LBB320_983:
	v_cmp_neq_f64_e32 vcc, 0, v[0:1]
	s_waitcnt vmcnt(0)
	s_nop 0
	v_cndmask_b32_e64 v2, 0, 1, vcc
	global_store_byte v[4:5], v2, off
	s_or_b64 exec, exec, s[0:1]
	s_and_saveexec_b64 s[0:1], s[22:23]
	s_xor_b64 s[0:1], exec, s[0:1]
	s_cbranch_execz .LBB320_1026
	s_branch .LBB320_989
.LBB320_984:
	s_mov_b64 s[22:23], -1
	s_mov_b64 s[0:1], s[16:17]
	s_branch .LBB320_986
.LBB320_985:
	s_mov_b64 s[24:25], 0
.LBB320_986:
	s_andn2_b64 s[16:17], s[16:17], exec
	s_and_b64 s[0:1], s[0:1], exec
	s_and_b64 s[22:23], s[22:23], exec
	;; [unrolled: 1-line block ×3, first 2 shown]
	s_or_b64 s[16:17], s[16:17], s[0:1]
	s_or_b64 exec, exec, s[18:19]
	s_and_saveexec_b64 s[0:1], s[16:17]
	s_cbranch_execz .LBB320_982
.LBB320_987:
	s_or_b64 s[20:21], s[20:21], exec
	s_andn2_b64 s[24:25], s[24:25], exec
	s_trap 2
	s_or_b64 exec, exec, s[0:1]
	s_and_saveexec_b64 s[0:1], s[24:25]
	s_xor_b64 s[0:1], exec, s[0:1]
	s_cbranch_execnz .LBB320_983
.LBB320_988:
	s_or_b64 exec, exec, s[0:1]
	s_and_saveexec_b64 s[0:1], s[22:23]
	s_xor_b64 s[0:1], exec, s[0:1]
	s_cbranch_execz .LBB320_1026
.LBB320_989:
	s_sext_i32_i16 s18, s30
	s_cmp_lt_i32 s18, 5
	s_mov_b64 s[16:17], -1
	s_cbranch_scc1 .LBB320_1010
; %bb.990:
	s_cmp_lt_i32 s18, 8
	s_cbranch_scc1 .LBB320_1000
; %bb.991:
	s_cmp_lt_i32 s18, 9
	s_cbranch_scc1 .LBB320_997
; %bb.992:
	s_cmp_gt_i32 s18, 9
	s_cbranch_scc0 .LBB320_994
; %bb.993:
	s_waitcnt vmcnt(0)
	v_mov_b32_e32 v2, 0
	v_mov_b32_e32 v3, v2
	s_mov_b64 s[16:17], 0
	global_store_dwordx4 v[4:5], v[0:3], off
.LBB320_994:
	s_andn2_b64 vcc, exec, s[16:17]
	s_cbranch_vccnz .LBB320_996
; %bb.995:
	s_waitcnt vmcnt(0)
	v_cvt_f32_f64_e32 v2, v[0:1]
	v_mov_b32_e32 v3, 0
	global_store_dwordx2 v[4:5], v[2:3], off
.LBB320_996:
	s_mov_b64 s[16:17], 0
.LBB320_997:
	s_andn2_b64 vcc, exec, s[16:17]
	s_cbranch_vccnz .LBB320_999
; %bb.998:
	s_movk_i32 s16, 0x1ff
	s_waitcnt vmcnt(0)
	v_and_or_b32 v2, v1, s16, v0
	v_cmp_ne_u32_e32 vcc, 0, v2
	v_lshrrev_b32_e32 v3, 8, v1
	s_movk_i32 s16, 0xffe
	v_cndmask_b32_e64 v2, 0, 1, vcc
	v_bfe_u32 v6, v1, 20, 11
	v_and_or_b32 v2, v3, s16, v2
	v_sub_u32_e32 v7, 0x3f1, v6
	v_or_b32_e32 v3, 0x1000, v2
	v_med3_i32 v7, v7, 0, 13
	v_lshrrev_b32_e32 v8, v7, v3
	v_lshlrev_b32_e32 v7, v7, v8
	v_cmp_ne_u32_e32 vcc, v7, v3
	v_add_u32_e32 v6, 0xfffffc10, v6
	v_lshl_or_b32 v7, v6, 12, v2
	v_cndmask_b32_e64 v3, 0, 1, vcc
	v_or_b32_e32 v3, v8, v3
	v_cmp_gt_i32_e32 vcc, 1, v6
	s_movk_i32 s16, 0x40f
	s_nop 0
	v_cndmask_b32_e32 v3, v7, v3, vcc
	v_and_b32_e32 v7, 7, v3
	v_cmp_lt_i32_e32 vcc, 5, v7
	v_lshrrev_b32_e32 v3, 2, v3
	s_nop 0
	v_cndmask_b32_e64 v8, 0, 1, vcc
	v_cmp_eq_u32_e32 vcc, 3, v7
	s_nop 1
	v_cndmask_b32_e64 v7, 0, 1, vcc
	v_or_b32_e32 v7, v7, v8
	v_add_u32_e32 v3, v3, v7
	v_mov_b32_e32 v7, 0x7c00
	v_cmp_gt_i32_e32 vcc, 31, v6
	v_mov_b32_e32 v8, 0x7e00
	s_nop 0
	v_cndmask_b32_e32 v3, v7, v3, vcc
	v_cmp_ne_u32_e32 vcc, 0, v2
	s_nop 1
	v_cndmask_b32_e32 v2, v7, v8, vcc
	v_cmp_eq_u32_e32 vcc, s16, v6
	s_mov_b32 s16, 0x8000
	s_nop 0
	v_cndmask_b32_e32 v2, v3, v2, vcc
	v_and_b32_sdwa v3, v1, s16 dst_sel:DWORD dst_unused:UNUSED_PAD src0_sel:WORD_1 src1_sel:DWORD
	s_mov_b32 s16, 0xffff
	v_bitop3_b32 v2, v3, s16, v2 bitop3:0xc8
	global_store_dword v[4:5], v2, off
.LBB320_999:
	s_mov_b64 s[16:17], 0
.LBB320_1000:
	s_andn2_b64 vcc, exec, s[16:17]
	s_cbranch_vccnz .LBB320_1009
; %bb.1001:
	s_sext_i32_i16 s18, s30
	s_cmp_lt_i32 s18, 6
	s_mov_b64 s[16:17], -1
	s_cbranch_scc1 .LBB320_1007
; %bb.1002:
	s_cmp_gt_i32 s18, 6
	s_cbranch_scc0 .LBB320_1004
; %bb.1003:
	s_mov_b64 s[16:17], 0
	global_store_dwordx2 v[4:5], v[0:1], off
.LBB320_1004:
	s_andn2_b64 vcc, exec, s[16:17]
	s_cbranch_vccnz .LBB320_1006
; %bb.1005:
	s_waitcnt vmcnt(0)
	v_cvt_f32_f64_e32 v2, v[0:1]
	global_store_dword v[4:5], v2, off
.LBB320_1006:
	s_mov_b64 s[16:17], 0
.LBB320_1007:
	s_andn2_b64 vcc, exec, s[16:17]
	s_cbranch_vccnz .LBB320_1009
; %bb.1008:
	s_movk_i32 s16, 0x1ff
	s_waitcnt vmcnt(0)
	v_and_or_b32 v2, v1, s16, v0
	v_cmp_ne_u32_e32 vcc, 0, v2
	v_lshrrev_b32_e32 v3, 8, v1
	s_movk_i32 s16, 0xffe
	v_cndmask_b32_e64 v2, 0, 1, vcc
	v_bfe_u32 v6, v1, 20, 11
	v_and_or_b32 v2, v3, s16, v2
	v_sub_u32_e32 v7, 0x3f1, v6
	v_or_b32_e32 v3, 0x1000, v2
	v_med3_i32 v7, v7, 0, 13
	v_lshrrev_b32_e32 v8, v7, v3
	v_lshlrev_b32_e32 v7, v7, v8
	v_cmp_ne_u32_e32 vcc, v7, v3
	v_add_u32_e32 v6, 0xfffffc10, v6
	v_lshl_or_b32 v7, v6, 12, v2
	v_cndmask_b32_e64 v3, 0, 1, vcc
	v_or_b32_e32 v3, v8, v3
	v_cmp_gt_i32_e32 vcc, 1, v6
	s_movk_i32 s16, 0x40f
	s_nop 0
	v_cndmask_b32_e32 v3, v7, v3, vcc
	v_and_b32_e32 v7, 7, v3
	v_cmp_lt_i32_e32 vcc, 5, v7
	v_lshrrev_b32_e32 v3, 2, v3
	s_nop 0
	v_cndmask_b32_e64 v8, 0, 1, vcc
	v_cmp_eq_u32_e32 vcc, 3, v7
	s_nop 1
	v_cndmask_b32_e64 v7, 0, 1, vcc
	v_or_b32_e32 v7, v7, v8
	v_add_u32_e32 v3, v3, v7
	v_mov_b32_e32 v7, 0x7c00
	v_cmp_gt_i32_e32 vcc, 31, v6
	v_mov_b32_e32 v8, 0x7e00
	s_nop 0
	v_cndmask_b32_e32 v3, v7, v3, vcc
	v_cmp_ne_u32_e32 vcc, 0, v2
	s_nop 1
	v_cndmask_b32_e32 v2, v7, v8, vcc
	v_cmp_eq_u32_e32 vcc, s16, v6
	s_mov_b32 s16, 0x8000
	s_nop 0
	v_cndmask_b32_e32 v2, v3, v2, vcc
	v_lshrrev_b32_e32 v3, 16, v1
	v_and_or_b32 v2, v3, s16, v2
	global_store_short v[4:5], v2, off
.LBB320_1009:
	s_mov_b64 s[16:17], 0
.LBB320_1010:
	s_andn2_b64 vcc, exec, s[16:17]
	s_cbranch_vccnz .LBB320_1026
; %bb.1011:
	s_sext_i32_i16 s18, s30
	s_cmp_lt_i32 s18, 2
	s_mov_b64 s[16:17], -1
	s_cbranch_scc1 .LBB320_1021
; %bb.1012:
	s_cmp_lt_i32 s18, 3
	s_cbranch_scc1 .LBB320_1018
; %bb.1013:
	s_cmp_gt_i32 s18, 3
	s_cbranch_scc0 .LBB320_1015
; %bb.1014:
	s_waitcnt vmcnt(0)
	v_trunc_f64_e32 v[2:3], v[0:1]
	s_movk_i32 s16, 0xffe0
	v_ldexp_f64 v[6:7], v[2:3], s16
	v_floor_f64_e32 v[6:7], v[6:7]
	v_fmac_f64_e32 v[2:3], 0xc1f00000, v[6:7]
	v_cvt_i32_f64_e32 v9, v[6:7]
	v_cvt_u32_f64_e32 v8, v[2:3]
	s_mov_b64 s[16:17], 0
	global_store_dwordx2 v[4:5], v[8:9], off
.LBB320_1015:
	s_andn2_b64 vcc, exec, s[16:17]
	s_cbranch_vccnz .LBB320_1017
; %bb.1016:
	s_waitcnt vmcnt(0)
	v_cvt_i32_f64_e32 v2, v[0:1]
	global_store_dword v[4:5], v2, off
.LBB320_1017:
	s_mov_b64 s[16:17], 0
.LBB320_1018:
	s_andn2_b64 vcc, exec, s[16:17]
	s_cbranch_vccnz .LBB320_1020
; %bb.1019:
	s_waitcnt vmcnt(0)
	v_cvt_i32_f64_e32 v2, v[0:1]
	global_store_short v[4:5], v2, off
.LBB320_1020:
	s_mov_b64 s[16:17], 0
.LBB320_1021:
	s_andn2_b64 vcc, exec, s[16:17]
	s_cbranch_vccnz .LBB320_1026
; %bb.1022:
	s_sext_i32_i16 s16, s30
	s_cmp_gt_i32 s16, 0
	s_mov_b64 s[16:17], -1
	s_cbranch_scc0 .LBB320_1024
; %bb.1023:
	s_waitcnt vmcnt(0)
	v_cvt_i32_f64_e32 v2, v[0:1]
	s_mov_b64 s[16:17], 0
	global_store_byte v[4:5], v2, off
.LBB320_1024:
	s_andn2_b64 vcc, exec, s[16:17]
	s_cbranch_vccnz .LBB320_1026
; %bb.1025:
	v_trunc_f64_e32 v[0:1], v[0:1]
	s_movk_i32 s16, 0xffe0
	s_waitcnt vmcnt(0)
	v_ldexp_f64 v[2:3], v[0:1], s16
	v_floor_f64_e32 v[2:3], v[2:3]
	v_fmac_f64_e32 v[0:1], 0xc1f00000, v[2:3]
	v_cvt_u32_f64_e32 v0, v[0:1]
	global_store_byte v[4:5], v0, off
.LBB320_1026:
	s_or_b64 exec, exec, s[0:1]
	s_and_b64 s[16:17], s[20:21], exec
                                        ; implicit-def: $vgpr14
.LBB320_1027:
	s_or_saveexec_b64 s[14:15], s[14:15]
	s_mov_b64 s[0:1], 0
                                        ; implicit-def: $sgpr20
                                        ; implicit-def: $vgpr4_vgpr5
                                        ; implicit-def: $vgpr0_vgpr1
	s_xor_b64 exec, exec, s[14:15]
	s_cbranch_execz .LBB320_1975
; %bb.1028:
	s_waitcnt vmcnt(0)
	v_mul_lo_u32 v2, s13, v14
	v_ashrrev_i32_e32 v3, 31, v2
	s_and_b32 s26, 0xffff, s46
	s_cmp_lt_i32 s26, 11
	v_lshl_add_u64 v[4:5], s[6:7], 0, v[2:3]
	s_cbranch_scc1 .LBB320_1035
; %bb.1029:
	s_cmp_gt_i32 s26, 25
	s_cbranch_scc0 .LBB320_1037
; %bb.1030:
	s_cmp_gt_i32 s26, 28
	s_cbranch_scc0 .LBB320_1038
	;; [unrolled: 3-line block ×4, first 2 shown]
; %bb.1033:
	s_cmp_eq_u32 s26, 46
	s_mov_b64 s[18:19], 0
	s_cbranch_scc0 .LBB320_1043
; %bb.1034:
	global_load_dword v0, v[4:5], off
	s_mov_b64 s[20:21], -1
	s_waitcnt vmcnt(0)
	v_lshlrev_b32_e32 v0, 16, v0
	v_cvt_f64_f32_e32 v[0:1], v0
	s_branch .LBB320_1044
.LBB320_1035:
	s_mov_b64 s[20:21], 0
                                        ; implicit-def: $vgpr0_vgpr1
	s_mov_b64 s[18:19], s[16:17]
	s_cbranch_execnz .LBB320_1107
.LBB320_1036:
	s_andn2_b64 vcc, exec, s[20:21]
	s_cbranch_vccz .LBB320_1152
	s_branch .LBB320_1973
.LBB320_1037:
	s_mov_b64 s[20:21], 0
                                        ; implicit-def: $vgpr0_vgpr1
	s_cbranch_execnz .LBB320_1074
	s_branch .LBB320_1103
.LBB320_1038:
	s_mov_b64 s[18:19], -1
	s_mov_b64 s[20:21], 0
                                        ; implicit-def: $vgpr0_vgpr1
	s_branch .LBB320_1053
.LBB320_1039:
	s_mov_b64 s[20:21], 0
                                        ; implicit-def: $vgpr0_vgpr1
	s_cbranch_execnz .LBB320_1049
	s_branch .LBB320_1052
.LBB320_1040:
	s_mov_b64 s[18:19], -1
	s_mov_b64 s[20:21], 0
                                        ; implicit-def: $vgpr0_vgpr1
	s_branch .LBB320_1044
.LBB320_1041:
	s_andn2_saveexec_b64 s[26:27], s[26:27]
	s_cbranch_execz .LBB320_936
.LBB320_1042:
	s_mov_b32 s28, 0x46000000
	v_add_f32_e64 v3, |v2|, s28
	v_and_b32_e32 v3, 0xff, v3
	v_cmp_ne_u32_e32 vcc, 0, v3
	s_andn2_b64 s[24:25], s[24:25], exec
	s_and_b64 s[28:29], vcc, exec
	s_or_b64 s[24:25], s[24:25], s[28:29]
	s_or_b64 exec, exec, s[26:27]
	v_mov_b32_e32 v6, 0
	s_and_saveexec_b64 s[26:27], s[24:25]
	s_cbranch_execnz .LBB320_937
	s_branch .LBB320_938
.LBB320_1043:
	s_mov_b64 s[0:1], -1
                                        ; implicit-def: $vgpr0_vgpr1
	s_mov_b64 s[20:21], 0
.LBB320_1044:
	s_and_b64 vcc, exec, s[18:19]
	s_cbranch_vccz .LBB320_1047
; %bb.1045:
	s_cmp_eq_u32 s26, 44
	s_cbranch_scc0 .LBB320_1048
; %bb.1046:
	global_load_ubyte v3, v[4:5], off
	s_movk_i32 s18, 0xff
	v_bfrev_b32_e32 v6, 4
	v_mov_b32_e32 v7, 0x7ff80000
	v_bfrev_b32_e32 v8, 28
	s_mov_b64 s[0:1], 0
	s_mov_b64 s[20:21], -1
	s_waitcnt vmcnt(0)
	v_lshlrev_b32_e32 v0, 23, v3
	v_cvt_f64_f32_e32 v[0:1], v0
	v_cmp_ne_u32_e32 vcc, s18, v3
	s_nop 1
	v_cndmask_b32_e32 v0, v6, v0, vcc
	v_cndmask_b32_e32 v1, v7, v1, vcc
	v_cmp_ne_u32_e32 vcc, 0, v3
	s_nop 1
	v_cndmask_b32_e32 v1, v8, v1, vcc
	v_cndmask_b32_e32 v0, 0, v0, vcc
.LBB320_1047:
	s_branch .LBB320_1052
.LBB320_1048:
	s_mov_b64 s[0:1], -1
                                        ; implicit-def: $vgpr0_vgpr1
	s_branch .LBB320_1052
.LBB320_1049:
	s_cmp_eq_u32 s26, 29
	s_cbranch_scc0 .LBB320_1051
; %bb.1050:
	global_load_dwordx2 v[0:1], v[4:5], off
	s_mov_b64 s[0:1], 0
	s_mov_b64 s[20:21], -1
	s_mov_b64 s[18:19], 0
	s_waitcnt vmcnt(0)
	v_cvt_f64_u32_e32 v[6:7], v1
	v_cvt_f64_u32_e32 v[0:1], v0
	v_ldexp_f64 v[6:7], v[6:7], 32
	v_add_f64 v[0:1], v[6:7], v[0:1]
	s_branch .LBB320_1053
.LBB320_1051:
	s_mov_b64 s[0:1], -1
                                        ; implicit-def: $vgpr0_vgpr1
.LBB320_1052:
	s_mov_b64 s[18:19], 0
.LBB320_1053:
	s_and_b64 vcc, exec, s[18:19]
	s_cbranch_vccz .LBB320_1073
; %bb.1054:
	s_cmp_lt_i32 s26, 27
	s_cbranch_scc1 .LBB320_1057
; %bb.1055:
	s_cmp_gt_i32 s26, 27
	s_cbranch_scc0 .LBB320_1058
; %bb.1056:
	global_load_dword v0, v[4:5], off
	s_mov_b64 s[18:19], 0
	s_waitcnt vmcnt(0)
	v_cvt_f64_u32_e32 v[0:1], v0
	s_branch .LBB320_1059
.LBB320_1057:
	s_mov_b64 s[18:19], -1
                                        ; implicit-def: $vgpr0_vgpr1
	s_branch .LBB320_1062
.LBB320_1058:
	s_mov_b64 s[18:19], -1
                                        ; implicit-def: $vgpr0_vgpr1
.LBB320_1059:
	s_andn2_b64 vcc, exec, s[18:19]
	s_cbranch_vccnz .LBB320_1061
; %bb.1060:
	global_load_ushort v0, v[4:5], off
	s_waitcnt vmcnt(0)
	v_cvt_f64_u32_e32 v[0:1], v0
.LBB320_1061:
	s_mov_b64 s[18:19], 0
.LBB320_1062:
	s_andn2_b64 vcc, exec, s[18:19]
	s_cbranch_vccnz .LBB320_1072
; %bb.1063:
	global_load_ubyte v3, v[4:5], off
	s_movk_i32 s18, 0x7f
	s_waitcnt vmcnt(0)
	v_cmp_lt_i16_e32 vcc, s18, v3
	s_mov_b64 s[18:19], 0
	s_and_saveexec_b64 s[20:21], vcc
	s_xor_b64 s[20:21], exec, s[20:21]
	s_cbranch_execz .LBB320_1067
; %bb.1064:
	s_movk_i32 s18, 0x80
	v_cmp_eq_u16_e32 vcc, s18, v3
	s_mov_b64 s[18:19], -1
	s_and_saveexec_b64 s[22:23], vcc
; %bb.1065:
	s_xor_b64 s[18:19], exec, -1
; %bb.1066:
	s_or_b64 exec, exec, s[22:23]
	s_and_b64 s[18:19], s[18:19], exec
.LBB320_1067:
	s_or_saveexec_b64 s[20:21], s[20:21]
	v_bfrev_b32_e32 v0, 4
	v_mov_b32_e32 v1, 0x7ff80000
	s_xor_b64 exec, exec, s[20:21]
; %bb.1068:
	v_cmp_ne_u16_e32 vcc, 0, v3
	s_andn2_b64 s[18:19], s[18:19], exec
	s_and_b64 s[22:23], vcc, exec
	v_mov_b64_e32 v[0:1], 0
	s_or_b64 s[18:19], s[18:19], s[22:23]
; %bb.1069:
	s_or_b64 exec, exec, s[20:21]
	s_and_saveexec_b64 s[20:21], s[18:19]
	s_cbranch_execz .LBB320_1071
; %bb.1070:
	v_and_b32_e32 v1, 0xffff, v3
	v_lshlrev_b32_e32 v0, 24, v3
	v_and_b32_e32 v3, 7, v1
	v_ffbh_u32_e32 v7, v3
	v_min_u32_e32 v7, 32, v7
	v_subrev_u32_e32 v8, 28, v7
	v_bfe_u32 v6, v1, 3, 4
	v_lshlrev_b32_e32 v1, v8, v1
	v_sub_u32_e32 v7, 29, v7
	v_and_b32_e32 v1, 7, v1
	v_cmp_eq_u32_e32 vcc, 0, v6
	v_and_b32_e32 v0, 0x80000000, v0
	s_nop 0
	v_cndmask_b32_e32 v6, v6, v7, vcc
	v_cndmask_b32_e32 v1, v3, v1, vcc
	v_mov_b32_e32 v3, 0x3b800000
	v_lshlrev_b32_e32 v1, 20, v1
	v_lshl_add_u32 v3, v6, 23, v3
	v_or3_b32 v0, v0, v3, v1
	v_cvt_f64_f32_e32 v[0:1], v0
.LBB320_1071:
	s_or_b64 exec, exec, s[20:21]
.LBB320_1072:
	s_mov_b64 s[20:21], -1
.LBB320_1073:
	s_branch .LBB320_1103
.LBB320_1074:
	s_cmp_gt_i32 s26, 22
	s_cbranch_scc0 .LBB320_1086
; %bb.1075:
	s_cmp_lt_i32 s26, 24
	s_cbranch_scc1 .LBB320_1087
; %bb.1076:
	s_cmp_gt_i32 s26, 24
	s_cbranch_scc0 .LBB320_1088
; %bb.1077:
	global_load_ubyte v3, v[4:5], off
	s_movk_i32 s2, 0x7f
	s_waitcnt vmcnt(0)
	v_cmp_lt_i16_e32 vcc, s2, v3
	s_mov_b64 s[2:3], 0
	s_and_saveexec_b64 s[18:19], vcc
	s_xor_b64 s[18:19], exec, s[18:19]
	s_cbranch_execz .LBB320_1081
; %bb.1078:
	s_movk_i32 s2, 0x80
	v_cmp_eq_u16_e32 vcc, s2, v3
	s_mov_b64 s[2:3], -1
	s_and_saveexec_b64 s[20:21], vcc
; %bb.1079:
	s_xor_b64 s[2:3], exec, -1
; %bb.1080:
	s_or_b64 exec, exec, s[20:21]
	s_and_b64 s[2:3], s[2:3], exec
.LBB320_1081:
	s_or_saveexec_b64 s[18:19], s[18:19]
	v_bfrev_b32_e32 v0, 4
	v_mov_b32_e32 v1, 0x7ff80000
	s_xor_b64 exec, exec, s[18:19]
; %bb.1082:
	v_cmp_ne_u16_e32 vcc, 0, v3
	s_andn2_b64 s[2:3], s[2:3], exec
	s_and_b64 s[20:21], vcc, exec
	v_mov_b64_e32 v[0:1], 0
	s_or_b64 s[2:3], s[2:3], s[20:21]
; %bb.1083:
	s_or_b64 exec, exec, s[18:19]
	s_and_saveexec_b64 s[18:19], s[2:3]
	s_cbranch_execz .LBB320_1085
; %bb.1084:
	v_and_b32_e32 v1, 0xffff, v3
	v_lshlrev_b32_e32 v0, 24, v3
	v_and_b32_e32 v3, 3, v1
	v_ffbh_u32_e32 v7, v3
	v_min_u32_e32 v7, 32, v7
	v_subrev_u32_e32 v8, 29, v7
	v_bfe_u32 v6, v1, 2, 5
	v_lshlrev_b32_e32 v1, v8, v1
	v_sub_u32_e32 v7, 30, v7
	v_and_b32_e32 v1, 3, v1
	v_cmp_eq_u32_e32 vcc, 0, v6
	v_and_b32_e32 v0, 0x80000000, v0
	s_nop 0
	v_cndmask_b32_e32 v6, v6, v7, vcc
	v_cndmask_b32_e32 v1, v3, v1, vcc
	v_mov_b32_e32 v3, 0x37800000
	v_lshlrev_b32_e32 v1, 21, v1
	v_lshl_add_u32 v3, v6, 23, v3
	v_or3_b32 v0, v0, v3, v1
	v_cvt_f64_f32_e32 v[0:1], v0
.LBB320_1085:
	s_or_b64 exec, exec, s[18:19]
	s_mov_b64 s[2:3], 0
	s_branch .LBB320_1089
.LBB320_1086:
                                        ; implicit-def: $vgpr0_vgpr1
	s_mov_b64 s[2:3], 0
	s_branch .LBB320_1095
.LBB320_1087:
	s_mov_b64 s[2:3], -1
                                        ; implicit-def: $vgpr0_vgpr1
	s_branch .LBB320_1092
.LBB320_1088:
	s_mov_b64 s[2:3], -1
                                        ; implicit-def: $vgpr0_vgpr1
.LBB320_1089:
	s_and_b64 vcc, exec, s[2:3]
	s_cbranch_vccz .LBB320_1091
; %bb.1090:
	global_load_ubyte v0, v[4:5], off
	s_mov_b32 s2, 0x7f800000
	s_waitcnt vmcnt(0)
	v_lshlrev_b32_e32 v0, 24, v0
	v_and_b32_e32 v1, 0x7f000000, v0
	v_ffbh_u32_e32 v3, v1
	v_min_u32_e32 v3, 32, v3
	v_sub_u32_e64 v3, v3, 4 clamp
	v_lshlrev_b32_e32 v7, v3, v1
	v_lshlrev_b32_e32 v3, 23, v3
	v_lshrrev_b32_e32 v7, 4, v7
	v_add_u32_e32 v6, 0x1000000, v1
	v_sub_u32_e32 v3, v7, v3
	v_ashrrev_i32_e32 v6, 8, v6
	v_add_u32_e32 v3, 0x3c000000, v3
	v_and_or_b32 v3, v6, s2, v3
	v_cmp_ne_u32_e32 vcc, 0, v1
	s_brev_b32 s2, 1
	s_nop 0
	v_cndmask_b32_e32 v1, 0, v3, vcc
	v_and_or_b32 v0, v0, s2, v1
	v_cvt_f64_f32_e32 v[0:1], v0
.LBB320_1091:
	s_mov_b64 s[2:3], 0
.LBB320_1092:
	s_andn2_b64 vcc, exec, s[2:3]
	s_cbranch_vccnz .LBB320_1094
; %bb.1093:
	global_load_ubyte v0, v[4:5], off
	s_movk_i32 s2, 0x7f00
	s_brev_b32 s3, 16
	s_waitcnt vmcnt(0)
	v_lshlrev_b16_e32 v1, 8, v0
	v_lshlrev_b32_e32 v0, 25, v0
	v_lshrrev_b32_e32 v3, 4, v0
	v_and_or_b32 v6, v1, s2, 0.5
	v_or_b32_e32 v3, 0x70000000, v3
	v_add_f32_e32 v6, -0.5, v6
	v_mul_f32_e32 v3, 0x7800000, v3
	v_cmp_gt_u32_e32 vcc, s3, v0
	v_bfe_i32 v1, v1, 0, 16
	s_brev_b32 s2, 1
	v_cndmask_b32_e32 v0, v3, v6, vcc
	v_and_or_b32 v0, v1, s2, v0
	v_cvt_f64_f32_e32 v[0:1], v0
.LBB320_1094:
	s_mov_b64 s[20:21], -1
	s_mov_b64 s[2:3], 0
	s_cbranch_execnz .LBB320_1103
.LBB320_1095:
	s_cmp_gt_i32 s26, 14
	s_cbranch_scc0 .LBB320_1098
; %bb.1096:
	s_cmp_eq_u32 s26, 15
	s_cbranch_scc0 .LBB320_1099
; %bb.1097:
	global_load_ushort v0, v[4:5], off
	s_mov_b64 s[0:1], 0
	s_mov_b64 s[20:21], -1
	s_waitcnt vmcnt(0)
	v_lshlrev_b32_e32 v0, 16, v0
	v_cvt_f64_f32_e32 v[0:1], v0
	s_branch .LBB320_1100
.LBB320_1098:
	s_mov_b64 s[18:19], -1
                                        ; implicit-def: $vgpr0_vgpr1
	s_branch .LBB320_1101
.LBB320_1099:
	s_mov_b64 s[0:1], -1
                                        ; implicit-def: $vgpr0_vgpr1
.LBB320_1100:
	s_mov_b64 s[18:19], 0
.LBB320_1101:
	s_and_b64 vcc, exec, s[18:19]
	s_cbranch_vccz .LBB320_1103
; %bb.1102:
	s_cmp_lg_u32 s26, 11
	s_mov_b64 s[2:3], -1
	s_cselect_b64 s[0:1], -1, 0
.LBB320_1103:
	s_and_b64 vcc, exec, s[0:1]
	s_mov_b64 s[18:19], s[16:17]
	s_cbranch_vccnz .LBB320_1164
; %bb.1104:
	s_andn2_b64 vcc, exec, s[2:3]
	s_cbranch_vccnz .LBB320_1106
.LBB320_1105:
	global_load_ubyte v1, v[4:5], off
	v_mov_b32_e32 v3, 0x3ff00000
	v_mov_b32_e32 v0, 0
	s_mov_b64 s[20:21], -1
	s_waitcnt vmcnt(0)
	v_cmp_ne_u16_e32 vcc, 0, v1
	s_nop 1
	v_cndmask_b32_e32 v1, 0, v3, vcc
.LBB320_1106:
	s_branch .LBB320_1036
.LBB320_1107:
	s_cmp_lt_i32 s26, 5
	s_cbranch_scc1 .LBB320_1112
; %bb.1108:
	s_cmp_lt_i32 s26, 8
	s_cbranch_scc1 .LBB320_1113
; %bb.1109:
	;; [unrolled: 3-line block ×3, first 2 shown]
	s_cmp_gt_i32 s26, 9
	s_cbranch_scc0 .LBB320_1115
; %bb.1111:
	global_load_dwordx2 v[0:1], v[4:5], off
	s_mov_b64 s[0:1], 0
	s_branch .LBB320_1116
.LBB320_1112:
                                        ; implicit-def: $vgpr0_vgpr1
	s_branch .LBB320_1133
.LBB320_1113:
                                        ; implicit-def: $vgpr0_vgpr1
	s_branch .LBB320_1122
.LBB320_1114:
	s_mov_b64 s[0:1], -1
                                        ; implicit-def: $vgpr0_vgpr1
	s_branch .LBB320_1119
.LBB320_1115:
	s_mov_b64 s[0:1], -1
                                        ; implicit-def: $vgpr0_vgpr1
.LBB320_1116:
	s_andn2_b64 vcc, exec, s[0:1]
	s_cbranch_vccnz .LBB320_1118
; %bb.1117:
	global_load_dword v0, v[4:5], off
	s_waitcnt vmcnt(0)
	v_cvt_f64_f32_e32 v[0:1], v0
.LBB320_1118:
	s_mov_b64 s[0:1], 0
.LBB320_1119:
	s_andn2_b64 vcc, exec, s[0:1]
	s_cbranch_vccnz .LBB320_1121
; %bb.1120:
	global_load_dword v0, v[4:5], off
	s_waitcnt vmcnt(0)
	v_cvt_f32_f16_e32 v0, v0
	v_cvt_f64_f32_e32 v[0:1], v0
.LBB320_1121:
	s_cbranch_execnz .LBB320_1132
.LBB320_1122:
	s_cmp_lt_i32 s26, 6
	s_cbranch_scc1 .LBB320_1125
; %bb.1123:
	s_cmp_gt_i32 s26, 6
	s_cbranch_scc0 .LBB320_1126
; %bb.1124:
	global_load_dwordx2 v[0:1], v[4:5], off
	s_mov_b64 s[0:1], 0
	s_branch .LBB320_1127
.LBB320_1125:
	s_mov_b64 s[0:1], -1
                                        ; implicit-def: $vgpr0_vgpr1
	s_branch .LBB320_1130
.LBB320_1126:
	s_mov_b64 s[0:1], -1
                                        ; implicit-def: $vgpr0_vgpr1
.LBB320_1127:
	s_andn2_b64 vcc, exec, s[0:1]
	s_cbranch_vccnz .LBB320_1129
; %bb.1128:
	global_load_dword v0, v[4:5], off
	s_waitcnt vmcnt(0)
	v_cvt_f64_f32_e32 v[0:1], v0
.LBB320_1129:
	s_mov_b64 s[0:1], 0
.LBB320_1130:
	s_andn2_b64 vcc, exec, s[0:1]
	s_cbranch_vccnz .LBB320_1132
; %bb.1131:
	global_load_ushort v0, v[4:5], off
	s_waitcnt vmcnt(0)
	v_cvt_f32_f16_e32 v0, v0
	v_cvt_f64_f32_e32 v[0:1], v0
.LBB320_1132:
	s_cbranch_execnz .LBB320_1151
.LBB320_1133:
	s_cmp_lt_i32 s26, 2
	s_cbranch_scc1 .LBB320_1137
; %bb.1134:
	s_cmp_lt_i32 s26, 3
	s_cbranch_scc1 .LBB320_1138
; %bb.1135:
	s_cmp_gt_i32 s26, 3
	s_cbranch_scc0 .LBB320_1139
; %bb.1136:
	global_load_dwordx2 v[0:1], v[4:5], off
	s_mov_b64 s[0:1], 0
	s_waitcnt vmcnt(0)
	v_cvt_f64_i32_e32 v[6:7], v1
	v_cvt_f64_u32_e32 v[0:1], v0
	v_ldexp_f64 v[6:7], v[6:7], 32
	v_add_f64 v[0:1], v[6:7], v[0:1]
	s_branch .LBB320_1140
.LBB320_1137:
                                        ; implicit-def: $vgpr0_vgpr1
	s_branch .LBB320_1146
.LBB320_1138:
	s_mov_b64 s[0:1], -1
                                        ; implicit-def: $vgpr0_vgpr1
	s_branch .LBB320_1143
.LBB320_1139:
	s_mov_b64 s[0:1], -1
                                        ; implicit-def: $vgpr0_vgpr1
.LBB320_1140:
	s_andn2_b64 vcc, exec, s[0:1]
	s_cbranch_vccnz .LBB320_1142
; %bb.1141:
	global_load_dword v0, v[4:5], off
	s_waitcnt vmcnt(0)
	v_cvt_f64_i32_e32 v[0:1], v0
.LBB320_1142:
	s_mov_b64 s[0:1], 0
.LBB320_1143:
	s_andn2_b64 vcc, exec, s[0:1]
	s_cbranch_vccnz .LBB320_1145
; %bb.1144:
	global_load_sshort v0, v[4:5], off
	s_waitcnt vmcnt(0)
	v_cvt_f64_i32_e32 v[0:1], v0
.LBB320_1145:
	s_cbranch_execnz .LBB320_1151
.LBB320_1146:
	s_cmp_gt_i32 s26, 0
	s_cbranch_scc0 .LBB320_1148
; %bb.1147:
	global_load_sbyte v0, v[4:5], off
	s_mov_b64 s[0:1], 0
	s_waitcnt vmcnt(0)
	v_cvt_f64_i32_e32 v[0:1], v0
	s_branch .LBB320_1149
.LBB320_1148:
	s_mov_b64 s[0:1], -1
                                        ; implicit-def: $vgpr0_vgpr1
.LBB320_1149:
	s_andn2_b64 vcc, exec, s[0:1]
	s_cbranch_vccnz .LBB320_1151
; %bb.1150:
	global_load_ubyte v0, v[4:5], off
	s_waitcnt vmcnt(0)
	v_cvt_f64_u32_e32 v[0:1], v0
.LBB320_1151:
.LBB320_1152:
	s_lshl_b32 s13, s13, 7
	v_add_u32_e32 v2, s13, v2
	v_ashrrev_i32_e32 v3, 31, v2
	s_cmp_lt_i32 s26, 11
	v_lshl_add_u64 v[4:5], s[6:7], 0, v[2:3]
	s_cbranch_scc1 .LBB320_1159
; %bb.1153:
	s_cmp_gt_i32 s26, 25
	s_mov_b64 s[2:3], 0
	s_cbranch_scc0 .LBB320_1161
; %bb.1154:
	s_cmp_gt_i32 s26, 28
	s_cbranch_scc0 .LBB320_1162
; %bb.1155:
	s_cmp_gt_i32 s26, 43
	;; [unrolled: 3-line block ×3, first 2 shown]
	s_cbranch_scc0 .LBB320_1165
; %bb.1157:
	s_cmp_eq_u32 s26, 46
	s_mov_b64 s[22:23], 0
	s_cbranch_scc0 .LBB320_1168
; %bb.1158:
	global_load_dword v3, v[4:5], off
	s_mov_b64 s[0:1], 0
	s_mov_b64 s[20:21], -1
	s_waitcnt vmcnt(0)
	v_lshlrev_b32_e32 v3, 16, v3
	v_cvt_f64_f32_e32 v[8:9], v3
	s_branch .LBB320_1169
.LBB320_1159:
	s_mov_b64 s[20:21], 0
                                        ; implicit-def: $vgpr8_vgpr9
	s_cbranch_execnz .LBB320_1234
.LBB320_1160:
	s_andn2_b64 vcc, exec, s[20:21]
	s_cbranch_vccnz .LBB320_1973
	s_branch .LBB320_1281
.LBB320_1161:
	s_mov_b64 s[20:21], 0
	s_mov_b64 s[0:1], 0
                                        ; implicit-def: $vgpr8_vgpr9
	s_cbranch_execnz .LBB320_1200
	s_branch .LBB320_1230
.LBB320_1162:
	s_mov_b64 s[22:23], -1
	s_mov_b64 s[20:21], 0
	s_mov_b64 s[0:1], 0
                                        ; implicit-def: $vgpr8_vgpr9
	s_branch .LBB320_1179
.LBB320_1163:
	s_mov_b64 s[22:23], -1
	s_mov_b64 s[20:21], 0
	s_mov_b64 s[0:1], 0
                                        ; implicit-def: $vgpr8_vgpr9
	s_branch .LBB320_1174
.LBB320_1164:
	s_or_b64 s[18:19], s[16:17], exec
	s_trap 2
	s_cbranch_execz .LBB320_1105
	s_branch .LBB320_1106
.LBB320_1165:
	s_mov_b64 s[22:23], -1
	s_mov_b64 s[20:21], 0
	s_mov_b64 s[0:1], 0
                                        ; implicit-def: $vgpr8_vgpr9
	s_branch .LBB320_1169
.LBB320_1166:
	s_andn2_saveexec_b64 s[28:29], s[28:29]
	s_cbranch_execz .LBB320_948
.LBB320_1167:
	s_mov_b32 s34, 0x42800000
	v_add_f32_e64 v3, |v2|, s34
	v_and_b32_e32 v3, 0xff, v3
	v_cmp_ne_u32_e32 vcc, 0, v3
	s_andn2_b64 s[26:27], s[26:27], exec
	s_and_b64 s[34:35], vcc, exec
	s_or_b64 s[26:27], s[26:27], s[34:35]
	s_or_b64 exec, exec, s[28:29]
	v_mov_b32_e32 v6, 0
	s_and_saveexec_b64 s[28:29], s[26:27]
	s_cbranch_execnz .LBB320_949
	s_branch .LBB320_950
.LBB320_1168:
	s_mov_b64 s[0:1], -1
                                        ; implicit-def: $vgpr8_vgpr9
	s_mov_b64 s[20:21], 0
.LBB320_1169:
	s_and_b64 vcc, exec, s[22:23]
	s_cbranch_vccz .LBB320_1173
; %bb.1170:
	s_cmp_eq_u32 s26, 44
	s_cbranch_scc0 .LBB320_1172
; %bb.1171:
	global_load_ubyte v3, v[4:5], off
	s_movk_i32 s20, 0xff
	v_bfrev_b32_e32 v8, 4
	v_mov_b32_e32 v9, 0x7ff80000
	v_bfrev_b32_e32 v10, 28
	s_mov_b64 s[0:1], 0
	s_waitcnt vmcnt(0)
	v_lshlrev_b32_e32 v6, 23, v3
	v_cvt_f64_f32_e32 v[6:7], v6
	v_cmp_ne_u32_e32 vcc, s20, v3
	s_mov_b64 s[20:21], -1
	s_nop 0
	v_cndmask_b32_e32 v6, v8, v6, vcc
	v_cndmask_b32_e32 v7, v9, v7, vcc
	v_cmp_ne_u32_e32 vcc, 0, v3
	s_nop 1
	v_cndmask_b32_e32 v9, v10, v7, vcc
	v_cndmask_b32_e32 v8, 0, v6, vcc
	s_branch .LBB320_1173
.LBB320_1172:
	s_mov_b64 s[0:1], -1
                                        ; implicit-def: $vgpr8_vgpr9
.LBB320_1173:
	s_mov_b64 s[22:23], 0
.LBB320_1174:
	s_and_b64 vcc, exec, s[22:23]
	s_cbranch_vccz .LBB320_1178
; %bb.1175:
	s_cmp_eq_u32 s26, 29
	s_cbranch_scc0 .LBB320_1177
; %bb.1176:
	global_load_dwordx2 v[6:7], v[4:5], off
	s_mov_b64 s[0:1], 0
	s_mov_b64 s[20:21], -1
	s_mov_b64 s[22:23], 0
	s_waitcnt vmcnt(0)
	v_cvt_f64_u32_e32 v[8:9], v7
	v_cvt_f64_u32_e32 v[6:7], v6
	v_ldexp_f64 v[8:9], v[8:9], 32
	v_add_f64 v[8:9], v[8:9], v[6:7]
	s_branch .LBB320_1179
.LBB320_1177:
	s_mov_b64 s[0:1], -1
                                        ; implicit-def: $vgpr8_vgpr9
.LBB320_1178:
	s_mov_b64 s[22:23], 0
.LBB320_1179:
	s_and_b64 vcc, exec, s[22:23]
	s_cbranch_vccz .LBB320_1199
; %bb.1180:
	s_cmp_lt_i32 s26, 27
	s_cbranch_scc1 .LBB320_1183
; %bb.1181:
	s_cmp_gt_i32 s26, 27
	s_cbranch_scc0 .LBB320_1184
; %bb.1182:
	global_load_dword v3, v[4:5], off
	s_mov_b64 s[20:21], 0
	s_waitcnt vmcnt(0)
	v_cvt_f64_u32_e32 v[8:9], v3
	s_branch .LBB320_1185
.LBB320_1183:
	s_mov_b64 s[20:21], -1
                                        ; implicit-def: $vgpr8_vgpr9
	s_branch .LBB320_1188
.LBB320_1184:
	s_mov_b64 s[20:21], -1
                                        ; implicit-def: $vgpr8_vgpr9
.LBB320_1185:
	s_andn2_b64 vcc, exec, s[20:21]
	s_cbranch_vccnz .LBB320_1187
; %bb.1186:
	global_load_ushort v3, v[4:5], off
	s_waitcnt vmcnt(0)
	v_cvt_f64_u32_e32 v[8:9], v3
.LBB320_1187:
	s_mov_b64 s[20:21], 0
.LBB320_1188:
	s_andn2_b64 vcc, exec, s[20:21]
	s_cbranch_vccnz .LBB320_1198
; %bb.1189:
	global_load_ubyte v3, v[4:5], off
	s_movk_i32 s20, 0x7f
	s_waitcnt vmcnt(0)
	v_cmp_lt_i16_e32 vcc, s20, v3
	s_mov_b64 s[20:21], 0
	s_and_saveexec_b64 s[22:23], vcc
	s_xor_b64 s[22:23], exec, s[22:23]
	s_cbranch_execz .LBB320_1193
; %bb.1190:
	s_movk_i32 s20, 0x80
	v_cmp_eq_u16_e32 vcc, s20, v3
	s_mov_b64 s[20:21], -1
	s_and_saveexec_b64 s[24:25], vcc
; %bb.1191:
	s_xor_b64 s[20:21], exec, -1
; %bb.1192:
	s_or_b64 exec, exec, s[24:25]
	s_and_b64 s[20:21], s[20:21], exec
.LBB320_1193:
	s_or_saveexec_b64 s[22:23], s[22:23]
	v_bfrev_b32_e32 v8, 4
	v_mov_b32_e32 v9, 0x7ff80000
	s_xor_b64 exec, exec, s[22:23]
; %bb.1194:
	v_cmp_ne_u16_e32 vcc, 0, v3
	s_andn2_b64 s[20:21], s[20:21], exec
	s_and_b64 s[24:25], vcc, exec
	v_mov_b64_e32 v[8:9], 0
	s_or_b64 s[20:21], s[20:21], s[24:25]
; %bb.1195:
	s_or_b64 exec, exec, s[22:23]
	s_and_saveexec_b64 s[22:23], s[20:21]
	s_cbranch_execz .LBB320_1197
; %bb.1196:
	v_lshlrev_b32_e32 v6, 24, v3
	v_and_b32_e32 v3, 0xffff, v3
	v_and_b32_e32 v7, 7, v3
	v_ffbh_u32_e32 v9, v7
	v_min_u32_e32 v9, 32, v9
	v_subrev_u32_e32 v10, 28, v9
	v_bfe_u32 v8, v3, 3, 4
	v_lshlrev_b32_e32 v3, v10, v3
	v_sub_u32_e32 v9, 29, v9
	v_and_b32_e32 v3, 7, v3
	v_cmp_eq_u32_e32 vcc, 0, v8
	v_and_b32_e32 v6, 0x80000000, v6
	s_nop 0
	v_cndmask_b32_e32 v8, v8, v9, vcc
	v_cndmask_b32_e32 v3, v7, v3, vcc
	v_mov_b32_e32 v7, 0x3b800000
	v_lshlrev_b32_e32 v3, 20, v3
	v_lshl_add_u32 v7, v8, 23, v7
	v_or3_b32 v3, v6, v7, v3
	v_cvt_f64_f32_e32 v[8:9], v3
.LBB320_1197:
	s_or_b64 exec, exec, s[22:23]
.LBB320_1198:
	s_mov_b64 s[20:21], -1
.LBB320_1199:
	s_branch .LBB320_1230
.LBB320_1200:
	s_cmp_gt_i32 s26, 22
	s_cbranch_scc0 .LBB320_1212
; %bb.1201:
	s_cmp_lt_i32 s26, 24
	s_cbranch_scc1 .LBB320_1213
; %bb.1202:
	s_cmp_gt_i32 s26, 24
	s_cbranch_scc0 .LBB320_1214
; %bb.1203:
	global_load_ubyte v3, v[4:5], off
	s_movk_i32 s2, 0x7f
	s_waitcnt vmcnt(0)
	v_cmp_lt_i16_e32 vcc, s2, v3
	s_mov_b64 s[2:3], 0
	s_and_saveexec_b64 s[20:21], vcc
	s_xor_b64 s[20:21], exec, s[20:21]
	s_cbranch_execz .LBB320_1207
; %bb.1204:
	s_movk_i32 s2, 0x80
	v_cmp_eq_u16_e32 vcc, s2, v3
	s_mov_b64 s[2:3], -1
	s_and_saveexec_b64 s[22:23], vcc
; %bb.1205:
	s_xor_b64 s[2:3], exec, -1
; %bb.1206:
	s_or_b64 exec, exec, s[22:23]
	s_and_b64 s[2:3], s[2:3], exec
.LBB320_1207:
	s_or_saveexec_b64 s[20:21], s[20:21]
	v_bfrev_b32_e32 v8, 4
	v_mov_b32_e32 v9, 0x7ff80000
	s_xor_b64 exec, exec, s[20:21]
; %bb.1208:
	v_cmp_ne_u16_e32 vcc, 0, v3
	s_andn2_b64 s[2:3], s[2:3], exec
	s_and_b64 s[22:23], vcc, exec
	v_mov_b64_e32 v[8:9], 0
	s_or_b64 s[2:3], s[2:3], s[22:23]
; %bb.1209:
	s_or_b64 exec, exec, s[20:21]
	s_and_saveexec_b64 s[20:21], s[2:3]
	s_cbranch_execz .LBB320_1211
; %bb.1210:
	v_lshlrev_b32_e32 v6, 24, v3
	v_and_b32_e32 v3, 0xffff, v3
	v_and_b32_e32 v7, 3, v3
	v_ffbh_u32_e32 v9, v7
	v_min_u32_e32 v9, 32, v9
	v_subrev_u32_e32 v10, 29, v9
	v_bfe_u32 v8, v3, 2, 5
	v_lshlrev_b32_e32 v3, v10, v3
	v_sub_u32_e32 v9, 30, v9
	v_and_b32_e32 v3, 3, v3
	v_cmp_eq_u32_e32 vcc, 0, v8
	v_and_b32_e32 v6, 0x80000000, v6
	s_nop 0
	v_cndmask_b32_e32 v8, v8, v9, vcc
	v_cndmask_b32_e32 v3, v7, v3, vcc
	v_mov_b32_e32 v7, 0x37800000
	v_lshlrev_b32_e32 v3, 21, v3
	v_lshl_add_u32 v7, v8, 23, v7
	v_or3_b32 v3, v6, v7, v3
	v_cvt_f64_f32_e32 v[8:9], v3
.LBB320_1211:
	s_or_b64 exec, exec, s[20:21]
	s_mov_b64 s[2:3], 0
	s_branch .LBB320_1215
.LBB320_1212:
	s_mov_b64 s[2:3], -1
                                        ; implicit-def: $vgpr8_vgpr9
	s_branch .LBB320_1221
.LBB320_1213:
	s_mov_b64 s[2:3], -1
                                        ; implicit-def: $vgpr8_vgpr9
	s_branch .LBB320_1218
.LBB320_1214:
	s_mov_b64 s[2:3], -1
                                        ; implicit-def: $vgpr8_vgpr9
.LBB320_1215:
	s_and_b64 vcc, exec, s[2:3]
	s_cbranch_vccz .LBB320_1217
; %bb.1216:
	global_load_ubyte v3, v[4:5], off
	s_mov_b32 s2, 0x7f800000
	s_waitcnt vmcnt(0)
	v_lshlrev_b32_e32 v3, 24, v3
	v_and_b32_e32 v6, 0x7f000000, v3
	v_ffbh_u32_e32 v7, v6
	v_min_u32_e32 v7, 32, v7
	v_sub_u32_e64 v7, v7, 4 clamp
	v_lshlrev_b32_e32 v9, v7, v6
	v_lshlrev_b32_e32 v7, 23, v7
	v_lshrrev_b32_e32 v9, 4, v9
	v_add_u32_e32 v8, 0x1000000, v6
	v_sub_u32_e32 v7, v9, v7
	v_ashrrev_i32_e32 v8, 8, v8
	v_add_u32_e32 v7, 0x3c000000, v7
	v_and_or_b32 v7, v8, s2, v7
	v_cmp_ne_u32_e32 vcc, 0, v6
	s_brev_b32 s2, 1
	s_nop 0
	v_cndmask_b32_e32 v6, 0, v7, vcc
	v_and_or_b32 v3, v3, s2, v6
	v_cvt_f64_f32_e32 v[8:9], v3
.LBB320_1217:
	s_mov_b64 s[2:3], 0
.LBB320_1218:
	s_andn2_b64 vcc, exec, s[2:3]
	s_cbranch_vccnz .LBB320_1220
; %bb.1219:
	global_load_ubyte v3, v[4:5], off
	s_movk_i32 s2, 0x7f00
	s_brev_b32 s3, 16
	s_waitcnt vmcnt(0)
	v_lshlrev_b16_e32 v6, 8, v3
	v_lshlrev_b32_e32 v3, 25, v3
	v_lshrrev_b32_e32 v7, 4, v3
	v_and_or_b32 v8, v6, s2, 0.5
	v_or_b32_e32 v7, 0x70000000, v7
	v_add_f32_e32 v8, -0.5, v8
	v_mul_f32_e32 v7, 0x7800000, v7
	v_cmp_gt_u32_e32 vcc, s3, v3
	v_bfe_i32 v6, v6, 0, 16
	s_brev_b32 s2, 1
	v_cndmask_b32_e32 v3, v7, v8, vcc
	v_and_or_b32 v3, v6, s2, v3
	v_cvt_f64_f32_e32 v[8:9], v3
.LBB320_1220:
	s_mov_b64 s[2:3], 0
	s_mov_b64 s[20:21], -1
.LBB320_1221:
	s_andn2_b64 vcc, exec, s[2:3]
	s_mov_b64 s[2:3], 0
	s_cbranch_vccnz .LBB320_1230
; %bb.1222:
	s_cmp_gt_i32 s26, 14
	s_cbranch_scc0 .LBB320_1225
; %bb.1223:
	s_cmp_eq_u32 s26, 15
	s_cbranch_scc0 .LBB320_1226
; %bb.1224:
	global_load_ushort v3, v[4:5], off
	s_mov_b64 s[0:1], 0
	s_mov_b64 s[20:21], -1
	s_waitcnt vmcnt(0)
	v_lshlrev_b32_e32 v3, 16, v3
	v_cvt_f64_f32_e32 v[8:9], v3
	s_branch .LBB320_1227
.LBB320_1225:
	s_mov_b64 s[22:23], -1
                                        ; implicit-def: $vgpr8_vgpr9
	s_branch .LBB320_1228
.LBB320_1226:
	s_mov_b64 s[0:1], -1
                                        ; implicit-def: $vgpr8_vgpr9
.LBB320_1227:
	s_mov_b64 s[22:23], 0
.LBB320_1228:
	s_and_b64 vcc, exec, s[22:23]
	s_cbranch_vccz .LBB320_1230
; %bb.1229:
	s_cmp_lg_u32 s26, 11
	s_mov_b64 s[2:3], -1
	s_cselect_b64 s[0:1], -1, 0
.LBB320_1230:
	s_and_b64 vcc, exec, s[0:1]
	s_cbranch_vccnz .LBB320_1293
; %bb.1231:
	s_andn2_b64 vcc, exec, s[2:3]
	s_cbranch_vccnz .LBB320_1233
.LBB320_1232:
	global_load_ubyte v3, v[4:5], off
	v_mov_b32_e32 v6, 0x3ff00000
	v_mov_b32_e32 v8, 0
	s_mov_b64 s[20:21], -1
	s_waitcnt vmcnt(0)
	v_cmp_ne_u16_e32 vcc, 0, v3
	s_nop 1
	v_cndmask_b32_e32 v9, 0, v6, vcc
.LBB320_1233:
	s_branch .LBB320_1160
.LBB320_1234:
	s_cmp_lt_i32 s26, 5
	s_cbranch_scc1 .LBB320_1239
; %bb.1235:
	s_cmp_lt_i32 s26, 8
	s_cbranch_scc1 .LBB320_1240
; %bb.1236:
	;; [unrolled: 3-line block ×3, first 2 shown]
	s_cmp_gt_i32 s26, 9
	s_cbranch_scc0 .LBB320_1242
; %bb.1238:
	global_load_dwordx2 v[8:9], v[4:5], off
	s_mov_b64 s[0:1], 0
	s_branch .LBB320_1243
.LBB320_1239:
                                        ; implicit-def: $vgpr8_vgpr9
	s_branch .LBB320_1261
.LBB320_1240:
	s_mov_b64 s[0:1], -1
                                        ; implicit-def: $vgpr8_vgpr9
	s_branch .LBB320_1249
.LBB320_1241:
	s_mov_b64 s[0:1], -1
                                        ; implicit-def: $vgpr8_vgpr9
	s_branch .LBB320_1246
.LBB320_1242:
	s_mov_b64 s[0:1], -1
                                        ; implicit-def: $vgpr8_vgpr9
.LBB320_1243:
	s_andn2_b64 vcc, exec, s[0:1]
	s_cbranch_vccnz .LBB320_1245
; %bb.1244:
	global_load_dword v3, v[4:5], off
	s_waitcnt vmcnt(0)
	v_cvt_f64_f32_e32 v[8:9], v3
.LBB320_1245:
	s_mov_b64 s[0:1], 0
.LBB320_1246:
	s_andn2_b64 vcc, exec, s[0:1]
	s_cbranch_vccnz .LBB320_1248
; %bb.1247:
	global_load_dword v3, v[4:5], off
	s_waitcnt vmcnt(0)
	v_cvt_f32_f16_e32 v3, v3
	v_cvt_f64_f32_e32 v[8:9], v3
.LBB320_1248:
	s_mov_b64 s[0:1], 0
.LBB320_1249:
	s_andn2_b64 vcc, exec, s[0:1]
	s_cbranch_vccnz .LBB320_1260
; %bb.1250:
	s_cmp_lt_i32 s26, 6
	s_cbranch_scc1 .LBB320_1253
; %bb.1251:
	s_cmp_gt_i32 s26, 6
	s_cbranch_scc0 .LBB320_1254
; %bb.1252:
	global_load_dwordx2 v[8:9], v[4:5], off
	s_mov_b64 s[0:1], 0
	s_branch .LBB320_1255
.LBB320_1253:
	s_mov_b64 s[0:1], -1
                                        ; implicit-def: $vgpr8_vgpr9
	s_branch .LBB320_1258
.LBB320_1254:
	s_mov_b64 s[0:1], -1
                                        ; implicit-def: $vgpr8_vgpr9
.LBB320_1255:
	s_andn2_b64 vcc, exec, s[0:1]
	s_cbranch_vccnz .LBB320_1257
; %bb.1256:
	global_load_dword v3, v[4:5], off
	s_waitcnt vmcnt(0)
	v_cvt_f64_f32_e32 v[8:9], v3
.LBB320_1257:
	s_mov_b64 s[0:1], 0
.LBB320_1258:
	s_andn2_b64 vcc, exec, s[0:1]
	s_cbranch_vccnz .LBB320_1260
; %bb.1259:
	global_load_ushort v3, v[4:5], off
	s_waitcnt vmcnt(0)
	v_cvt_f32_f16_e32 v3, v3
	v_cvt_f64_f32_e32 v[8:9], v3
.LBB320_1260:
	s_cbranch_execnz .LBB320_1280
.LBB320_1261:
	s_cmp_lt_i32 s26, 2
	s_cbranch_scc1 .LBB320_1265
; %bb.1262:
	s_cmp_lt_i32 s26, 3
	s_cbranch_scc1 .LBB320_1266
; %bb.1263:
	s_cmp_gt_i32 s26, 3
	s_cbranch_scc0 .LBB320_1267
; %bb.1264:
	global_load_dwordx2 v[6:7], v[4:5], off
	s_mov_b64 s[0:1], 0
	s_waitcnt vmcnt(0)
	v_cvt_f64_i32_e32 v[8:9], v7
	v_cvt_f64_u32_e32 v[6:7], v6
	v_ldexp_f64 v[8:9], v[8:9], 32
	v_add_f64 v[8:9], v[8:9], v[6:7]
	s_branch .LBB320_1268
.LBB320_1265:
	s_mov_b64 s[0:1], -1
                                        ; implicit-def: $vgpr8_vgpr9
	s_branch .LBB320_1274
.LBB320_1266:
	s_mov_b64 s[0:1], -1
                                        ; implicit-def: $vgpr8_vgpr9
	s_branch .LBB320_1271
.LBB320_1267:
	s_mov_b64 s[0:1], -1
                                        ; implicit-def: $vgpr8_vgpr9
.LBB320_1268:
	s_andn2_b64 vcc, exec, s[0:1]
	s_cbranch_vccnz .LBB320_1270
; %bb.1269:
	global_load_dword v3, v[4:5], off
	s_waitcnt vmcnt(0)
	v_cvt_f64_i32_e32 v[8:9], v3
.LBB320_1270:
	s_mov_b64 s[0:1], 0
.LBB320_1271:
	s_andn2_b64 vcc, exec, s[0:1]
	s_cbranch_vccnz .LBB320_1273
; %bb.1272:
	global_load_sshort v3, v[4:5], off
	s_waitcnt vmcnt(0)
	v_cvt_f64_i32_e32 v[8:9], v3
.LBB320_1273:
	s_mov_b64 s[0:1], 0
.LBB320_1274:
	s_andn2_b64 vcc, exec, s[0:1]
	s_cbranch_vccnz .LBB320_1280
; %bb.1275:
	s_cmp_gt_i32 s26, 0
	s_cbranch_scc0 .LBB320_1277
; %bb.1276:
	global_load_sbyte v3, v[4:5], off
	s_mov_b64 s[0:1], 0
	s_waitcnt vmcnt(0)
	v_cvt_f64_i32_e32 v[8:9], v3
	s_branch .LBB320_1278
.LBB320_1277:
	s_mov_b64 s[0:1], -1
                                        ; implicit-def: $vgpr8_vgpr9
.LBB320_1278:
	s_andn2_b64 vcc, exec, s[0:1]
	s_cbranch_vccnz .LBB320_1280
; %bb.1279:
	global_load_ubyte v3, v[4:5], off
	s_waitcnt vmcnt(0)
	v_cvt_f64_u32_e32 v[8:9], v3
.LBB320_1280:
.LBB320_1281:
	v_add_u32_e32 v2, s13, v2
	v_ashrrev_i32_e32 v3, 31, v2
	s_cmp_lt_i32 s26, 11
	v_lshl_add_u64 v[4:5], s[6:7], 0, v[2:3]
	s_cbranch_scc1 .LBB320_1288
; %bb.1282:
	s_cmp_gt_i32 s26, 25
	s_mov_b64 s[2:3], 0
	s_cbranch_scc0 .LBB320_1290
; %bb.1283:
	s_cmp_gt_i32 s26, 28
	s_cbranch_scc0 .LBB320_1291
; %bb.1284:
	s_cmp_gt_i32 s26, 43
	;; [unrolled: 3-line block ×3, first 2 shown]
	s_cbranch_scc0 .LBB320_1294
; %bb.1286:
	s_cmp_eq_u32 s26, 46
	s_mov_b64 s[22:23], 0
	s_cbranch_scc0 .LBB320_1295
; %bb.1287:
	global_load_dword v3, v[4:5], off
	s_mov_b64 s[0:1], 0
	s_mov_b64 s[20:21], -1
	s_waitcnt vmcnt(0)
	v_lshlrev_b32_e32 v3, 16, v3
	v_cvt_f64_f32_e32 v[6:7], v3
	s_branch .LBB320_1296
.LBB320_1288:
	s_mov_b64 s[20:21], 0
                                        ; implicit-def: $vgpr6_vgpr7
	s_cbranch_execnz .LBB320_1362
.LBB320_1289:
	s_andn2_b64 vcc, exec, s[20:21]
	s_cbranch_vccnz .LBB320_1973
	s_branch .LBB320_1410
.LBB320_1290:
	s_mov_b64 s[22:23], -1
	s_mov_b64 s[20:21], 0
	s_mov_b64 s[0:1], 0
                                        ; implicit-def: $vgpr6_vgpr7
	s_branch .LBB320_1327
.LBB320_1291:
	s_mov_b64 s[22:23], -1
	s_mov_b64 s[20:21], 0
	s_mov_b64 s[0:1], 0
                                        ; implicit-def: $vgpr6_vgpr7
	s_branch .LBB320_1306
.LBB320_1292:
	s_mov_b64 s[22:23], -1
	s_mov_b64 s[20:21], 0
	s_mov_b64 s[0:1], 0
                                        ; implicit-def: $vgpr6_vgpr7
	s_branch .LBB320_1301
.LBB320_1293:
	s_trap 2
	s_or_b64 s[18:19], s[18:19], exec
	s_cbranch_execz .LBB320_1232
	s_branch .LBB320_1233
.LBB320_1294:
	s_mov_b64 s[22:23], -1
	s_mov_b64 s[20:21], 0
	s_mov_b64 s[0:1], 0
                                        ; implicit-def: $vgpr6_vgpr7
	s_branch .LBB320_1296
.LBB320_1295:
	s_mov_b64 s[0:1], -1
                                        ; implicit-def: $vgpr6_vgpr7
	s_mov_b64 s[20:21], 0
.LBB320_1296:
	s_and_b64 vcc, exec, s[22:23]
	s_cbranch_vccz .LBB320_1300
; %bb.1297:
	s_cmp_eq_u32 s26, 44
	s_cbranch_scc0 .LBB320_1299
; %bb.1298:
	global_load_ubyte v3, v[4:5], off
	s_movk_i32 s20, 0xff
	v_bfrev_b32_e32 v10, 4
	v_mov_b32_e32 v11, 0x7ff80000
	v_bfrev_b32_e32 v12, 28
	s_mov_b64 s[0:1], 0
	s_waitcnt vmcnt(0)
	v_lshlrev_b32_e32 v6, 23, v3
	v_cvt_f64_f32_e32 v[6:7], v6
	v_cmp_ne_u32_e32 vcc, s20, v3
	s_mov_b64 s[20:21], -1
	s_nop 0
	v_cndmask_b32_e32 v6, v10, v6, vcc
	v_cndmask_b32_e32 v7, v11, v7, vcc
	v_cmp_ne_u32_e32 vcc, 0, v3
	s_nop 1
	v_cndmask_b32_e32 v7, v12, v7, vcc
	v_cndmask_b32_e32 v6, 0, v6, vcc
	s_branch .LBB320_1300
.LBB320_1299:
	s_mov_b64 s[0:1], -1
                                        ; implicit-def: $vgpr6_vgpr7
.LBB320_1300:
	s_mov_b64 s[22:23], 0
.LBB320_1301:
	s_and_b64 vcc, exec, s[22:23]
	s_cbranch_vccz .LBB320_1305
; %bb.1302:
	s_cmp_eq_u32 s26, 29
	s_cbranch_scc0 .LBB320_1304
; %bb.1303:
	global_load_dwordx2 v[6:7], v[4:5], off
	s_mov_b64 s[0:1], 0
	s_mov_b64 s[20:21], -1
	s_mov_b64 s[22:23], 0
	s_waitcnt vmcnt(0)
	v_cvt_f64_u32_e32 v[10:11], v7
	v_cvt_f64_u32_e32 v[6:7], v6
	v_ldexp_f64 v[10:11], v[10:11], 32
	v_add_f64 v[6:7], v[10:11], v[6:7]
	s_branch .LBB320_1306
.LBB320_1304:
	s_mov_b64 s[0:1], -1
                                        ; implicit-def: $vgpr6_vgpr7
.LBB320_1305:
	s_mov_b64 s[22:23], 0
.LBB320_1306:
	s_and_b64 vcc, exec, s[22:23]
	s_cbranch_vccz .LBB320_1326
; %bb.1307:
	s_cmp_lt_i32 s26, 27
	s_cbranch_scc1 .LBB320_1310
; %bb.1308:
	s_cmp_gt_i32 s26, 27
	s_cbranch_scc0 .LBB320_1311
; %bb.1309:
	global_load_dword v3, v[4:5], off
	s_mov_b64 s[20:21], 0
	s_waitcnt vmcnt(0)
	v_cvt_f64_u32_e32 v[6:7], v3
	s_branch .LBB320_1312
.LBB320_1310:
	s_mov_b64 s[20:21], -1
                                        ; implicit-def: $vgpr6_vgpr7
	s_branch .LBB320_1315
.LBB320_1311:
	s_mov_b64 s[20:21], -1
                                        ; implicit-def: $vgpr6_vgpr7
.LBB320_1312:
	s_andn2_b64 vcc, exec, s[20:21]
	s_cbranch_vccnz .LBB320_1314
; %bb.1313:
	global_load_ushort v3, v[4:5], off
	s_waitcnt vmcnt(0)
	v_cvt_f64_u32_e32 v[6:7], v3
.LBB320_1314:
	s_mov_b64 s[20:21], 0
.LBB320_1315:
	s_andn2_b64 vcc, exec, s[20:21]
	s_cbranch_vccnz .LBB320_1325
; %bb.1316:
	global_load_ubyte v3, v[4:5], off
	s_movk_i32 s20, 0x7f
	s_waitcnt vmcnt(0)
	v_cmp_lt_i16_e32 vcc, s20, v3
	s_mov_b64 s[20:21], 0
	s_and_saveexec_b64 s[22:23], vcc
	s_xor_b64 s[22:23], exec, s[22:23]
	s_cbranch_execz .LBB320_1320
; %bb.1317:
	s_movk_i32 s20, 0x80
	v_cmp_eq_u16_e32 vcc, s20, v3
	s_mov_b64 s[20:21], -1
	s_and_saveexec_b64 s[24:25], vcc
; %bb.1318:
	s_xor_b64 s[20:21], exec, -1
; %bb.1319:
	s_or_b64 exec, exec, s[24:25]
	s_and_b64 s[20:21], s[20:21], exec
.LBB320_1320:
	s_or_saveexec_b64 s[22:23], s[22:23]
	v_bfrev_b32_e32 v6, 4
	v_mov_b32_e32 v7, 0x7ff80000
	s_xor_b64 exec, exec, s[22:23]
; %bb.1321:
	v_cmp_ne_u16_e32 vcc, 0, v3
	s_andn2_b64 s[20:21], s[20:21], exec
	s_and_b64 s[24:25], vcc, exec
	v_mov_b64_e32 v[6:7], 0
	s_or_b64 s[20:21], s[20:21], s[24:25]
; %bb.1322:
	s_or_b64 exec, exec, s[22:23]
	s_and_saveexec_b64 s[22:23], s[20:21]
	s_cbranch_execz .LBB320_1324
; %bb.1323:
	v_lshlrev_b32_e32 v6, 24, v3
	v_and_b32_e32 v3, 0xffff, v3
	v_and_b32_e32 v7, 7, v3
	v_ffbh_u32_e32 v11, v7
	v_min_u32_e32 v11, 32, v11
	v_subrev_u32_e32 v12, 28, v11
	v_bfe_u32 v10, v3, 3, 4
	v_lshlrev_b32_e32 v3, v12, v3
	v_sub_u32_e32 v11, 29, v11
	v_and_b32_e32 v3, 7, v3
	v_cmp_eq_u32_e32 vcc, 0, v10
	v_and_b32_e32 v6, 0x80000000, v6
	s_nop 0
	v_cndmask_b32_e32 v10, v10, v11, vcc
	v_cndmask_b32_e32 v3, v7, v3, vcc
	v_mov_b32_e32 v7, 0x3b800000
	v_lshlrev_b32_e32 v3, 20, v3
	v_lshl_add_u32 v7, v10, 23, v7
	v_or3_b32 v3, v6, v7, v3
	v_cvt_f64_f32_e32 v[6:7], v3
.LBB320_1324:
	s_or_b64 exec, exec, s[22:23]
.LBB320_1325:
	s_mov_b64 s[20:21], -1
.LBB320_1326:
	s_mov_b64 s[22:23], 0
.LBB320_1327:
	s_and_b64 vcc, exec, s[22:23]
	s_cbranch_vccz .LBB320_1358
; %bb.1328:
	s_cmp_gt_i32 s26, 22
	s_cbranch_scc0 .LBB320_1340
; %bb.1329:
	s_cmp_lt_i32 s26, 24
	s_cbranch_scc1 .LBB320_1341
; %bb.1330:
	s_cmp_gt_i32 s26, 24
	s_cbranch_scc0 .LBB320_1342
; %bb.1331:
	global_load_ubyte v3, v[4:5], off
	s_movk_i32 s2, 0x7f
	s_waitcnt vmcnt(0)
	v_cmp_lt_i16_e32 vcc, s2, v3
	s_mov_b64 s[2:3], 0
	s_and_saveexec_b64 s[20:21], vcc
	s_xor_b64 s[20:21], exec, s[20:21]
	s_cbranch_execz .LBB320_1335
; %bb.1332:
	s_movk_i32 s2, 0x80
	v_cmp_eq_u16_e32 vcc, s2, v3
	s_mov_b64 s[2:3], -1
	s_and_saveexec_b64 s[22:23], vcc
; %bb.1333:
	s_xor_b64 s[2:3], exec, -1
; %bb.1334:
	s_or_b64 exec, exec, s[22:23]
	s_and_b64 s[2:3], s[2:3], exec
.LBB320_1335:
	s_or_saveexec_b64 s[20:21], s[20:21]
	v_bfrev_b32_e32 v6, 4
	v_mov_b32_e32 v7, 0x7ff80000
	s_xor_b64 exec, exec, s[20:21]
; %bb.1336:
	v_cmp_ne_u16_e32 vcc, 0, v3
	s_andn2_b64 s[2:3], s[2:3], exec
	s_and_b64 s[22:23], vcc, exec
	v_mov_b64_e32 v[6:7], 0
	s_or_b64 s[2:3], s[2:3], s[22:23]
; %bb.1337:
	s_or_b64 exec, exec, s[20:21]
	s_and_saveexec_b64 s[20:21], s[2:3]
	s_cbranch_execz .LBB320_1339
; %bb.1338:
	v_lshlrev_b32_e32 v6, 24, v3
	v_and_b32_e32 v3, 0xffff, v3
	v_and_b32_e32 v7, 3, v3
	v_ffbh_u32_e32 v11, v7
	v_min_u32_e32 v11, 32, v11
	v_subrev_u32_e32 v12, 29, v11
	v_bfe_u32 v10, v3, 2, 5
	v_lshlrev_b32_e32 v3, v12, v3
	v_sub_u32_e32 v11, 30, v11
	v_and_b32_e32 v3, 3, v3
	v_cmp_eq_u32_e32 vcc, 0, v10
	v_and_b32_e32 v6, 0x80000000, v6
	s_nop 0
	v_cndmask_b32_e32 v10, v10, v11, vcc
	v_cndmask_b32_e32 v3, v7, v3, vcc
	v_mov_b32_e32 v7, 0x37800000
	v_lshlrev_b32_e32 v3, 21, v3
	v_lshl_add_u32 v7, v10, 23, v7
	v_or3_b32 v3, v6, v7, v3
	v_cvt_f64_f32_e32 v[6:7], v3
.LBB320_1339:
	s_or_b64 exec, exec, s[20:21]
	s_mov_b64 s[2:3], 0
	s_branch .LBB320_1343
.LBB320_1340:
	s_mov_b64 s[2:3], -1
                                        ; implicit-def: $vgpr6_vgpr7
	s_branch .LBB320_1349
.LBB320_1341:
	s_mov_b64 s[2:3], -1
                                        ; implicit-def: $vgpr6_vgpr7
	s_branch .LBB320_1346
.LBB320_1342:
	s_mov_b64 s[2:3], -1
                                        ; implicit-def: $vgpr6_vgpr7
.LBB320_1343:
	s_and_b64 vcc, exec, s[2:3]
	s_cbranch_vccz .LBB320_1345
; %bb.1344:
	global_load_ubyte v3, v[4:5], off
	s_mov_b32 s2, 0x7f800000
	s_waitcnt vmcnt(0)
	v_lshlrev_b32_e32 v3, 24, v3
	v_and_b32_e32 v6, 0x7f000000, v3
	v_ffbh_u32_e32 v7, v6
	v_min_u32_e32 v7, 32, v7
	v_sub_u32_e64 v7, v7, 4 clamp
	v_lshlrev_b32_e32 v11, v7, v6
	v_lshlrev_b32_e32 v7, 23, v7
	v_lshrrev_b32_e32 v11, 4, v11
	v_add_u32_e32 v10, 0x1000000, v6
	v_sub_u32_e32 v7, v11, v7
	v_ashrrev_i32_e32 v10, 8, v10
	v_add_u32_e32 v7, 0x3c000000, v7
	v_and_or_b32 v7, v10, s2, v7
	v_cmp_ne_u32_e32 vcc, 0, v6
	s_brev_b32 s2, 1
	s_nop 0
	v_cndmask_b32_e32 v6, 0, v7, vcc
	v_and_or_b32 v3, v3, s2, v6
	v_cvt_f64_f32_e32 v[6:7], v3
.LBB320_1345:
	s_mov_b64 s[2:3], 0
.LBB320_1346:
	s_andn2_b64 vcc, exec, s[2:3]
	s_cbranch_vccnz .LBB320_1348
; %bb.1347:
	global_load_ubyte v3, v[4:5], off
	s_movk_i32 s2, 0x7f00
	s_brev_b32 s3, 16
	s_waitcnt vmcnt(0)
	v_lshlrev_b16_e32 v6, 8, v3
	v_lshlrev_b32_e32 v3, 25, v3
	v_lshrrev_b32_e32 v7, 4, v3
	v_and_or_b32 v10, v6, s2, 0.5
	v_or_b32_e32 v7, 0x70000000, v7
	v_add_f32_e32 v10, -0.5, v10
	v_mul_f32_e32 v7, 0x7800000, v7
	v_cmp_gt_u32_e32 vcc, s3, v3
	v_bfe_i32 v6, v6, 0, 16
	s_brev_b32 s2, 1
	v_cndmask_b32_e32 v3, v7, v10, vcc
	v_and_or_b32 v3, v6, s2, v3
	v_cvt_f64_f32_e32 v[6:7], v3
.LBB320_1348:
	s_mov_b64 s[2:3], 0
	s_mov_b64 s[20:21], -1
.LBB320_1349:
	s_andn2_b64 vcc, exec, s[2:3]
	s_mov_b64 s[2:3], 0
	s_cbranch_vccnz .LBB320_1358
; %bb.1350:
	s_cmp_gt_i32 s26, 14
	s_cbranch_scc0 .LBB320_1353
; %bb.1351:
	s_cmp_eq_u32 s26, 15
	s_cbranch_scc0 .LBB320_1354
; %bb.1352:
	global_load_ushort v3, v[4:5], off
	s_mov_b64 s[0:1], 0
	s_mov_b64 s[20:21], -1
	s_waitcnt vmcnt(0)
	v_lshlrev_b32_e32 v3, 16, v3
	v_cvt_f64_f32_e32 v[6:7], v3
	s_branch .LBB320_1355
.LBB320_1353:
	s_mov_b64 s[22:23], -1
                                        ; implicit-def: $vgpr6_vgpr7
	s_branch .LBB320_1356
.LBB320_1354:
	s_mov_b64 s[0:1], -1
                                        ; implicit-def: $vgpr6_vgpr7
.LBB320_1355:
	s_mov_b64 s[22:23], 0
.LBB320_1356:
	s_and_b64 vcc, exec, s[22:23]
	s_cbranch_vccz .LBB320_1358
; %bb.1357:
	s_cmp_lg_u32 s26, 11
	s_mov_b64 s[2:3], -1
	s_cselect_b64 s[0:1], -1, 0
.LBB320_1358:
	s_and_b64 vcc, exec, s[0:1]
	s_cbranch_vccnz .LBB320_1421
; %bb.1359:
	s_andn2_b64 vcc, exec, s[2:3]
	s_cbranch_vccnz .LBB320_1361
.LBB320_1360:
	global_load_ubyte v3, v[4:5], off
	v_mov_b32_e32 v7, 0x3ff00000
	v_mov_b32_e32 v6, 0
	s_mov_b64 s[20:21], -1
	s_waitcnt vmcnt(0)
	v_cmp_ne_u16_e32 vcc, 0, v3
	s_nop 1
	v_cndmask_b32_e32 v7, 0, v7, vcc
.LBB320_1361:
	s_branch .LBB320_1289
.LBB320_1362:
	s_cmp_lt_i32 s26, 5
	s_cbranch_scc1 .LBB320_1367
; %bb.1363:
	s_cmp_lt_i32 s26, 8
	s_cbranch_scc1 .LBB320_1368
; %bb.1364:
	;; [unrolled: 3-line block ×3, first 2 shown]
	s_cmp_gt_i32 s26, 9
	s_cbranch_scc0 .LBB320_1370
; %bb.1366:
	global_load_dwordx2 v[6:7], v[4:5], off
	s_mov_b64 s[0:1], 0
	s_branch .LBB320_1371
.LBB320_1367:
	s_mov_b64 s[0:1], -1
                                        ; implicit-def: $vgpr6_vgpr7
	s_branch .LBB320_1389
.LBB320_1368:
	s_mov_b64 s[0:1], -1
                                        ; implicit-def: $vgpr6_vgpr7
	s_branch .LBB320_1377
.LBB320_1369:
	s_mov_b64 s[0:1], -1
                                        ; implicit-def: $vgpr6_vgpr7
	s_branch .LBB320_1374
.LBB320_1370:
	s_mov_b64 s[0:1], -1
                                        ; implicit-def: $vgpr6_vgpr7
.LBB320_1371:
	s_andn2_b64 vcc, exec, s[0:1]
	s_cbranch_vccnz .LBB320_1373
; %bb.1372:
	global_load_dword v3, v[4:5], off
	s_waitcnt vmcnt(0)
	v_cvt_f64_f32_e32 v[6:7], v3
.LBB320_1373:
	s_mov_b64 s[0:1], 0
.LBB320_1374:
	s_andn2_b64 vcc, exec, s[0:1]
	s_cbranch_vccnz .LBB320_1376
; %bb.1375:
	global_load_dword v3, v[4:5], off
	s_waitcnt vmcnt(0)
	v_cvt_f32_f16_e32 v3, v3
	v_cvt_f64_f32_e32 v[6:7], v3
.LBB320_1376:
	s_mov_b64 s[0:1], 0
.LBB320_1377:
	s_andn2_b64 vcc, exec, s[0:1]
	s_cbranch_vccnz .LBB320_1388
; %bb.1378:
	s_cmp_lt_i32 s26, 6
	s_cbranch_scc1 .LBB320_1381
; %bb.1379:
	s_cmp_gt_i32 s26, 6
	s_cbranch_scc0 .LBB320_1382
; %bb.1380:
	global_load_dwordx2 v[6:7], v[4:5], off
	s_mov_b64 s[0:1], 0
	s_branch .LBB320_1383
.LBB320_1381:
	s_mov_b64 s[0:1], -1
                                        ; implicit-def: $vgpr6_vgpr7
	s_branch .LBB320_1386
.LBB320_1382:
	s_mov_b64 s[0:1], -1
                                        ; implicit-def: $vgpr6_vgpr7
.LBB320_1383:
	s_andn2_b64 vcc, exec, s[0:1]
	s_cbranch_vccnz .LBB320_1385
; %bb.1384:
	global_load_dword v3, v[4:5], off
	s_waitcnt vmcnt(0)
	v_cvt_f64_f32_e32 v[6:7], v3
.LBB320_1385:
	s_mov_b64 s[0:1], 0
.LBB320_1386:
	s_andn2_b64 vcc, exec, s[0:1]
	s_cbranch_vccnz .LBB320_1388
; %bb.1387:
	global_load_ushort v3, v[4:5], off
	s_waitcnt vmcnt(0)
	v_cvt_f32_f16_e32 v3, v3
	v_cvt_f64_f32_e32 v[6:7], v3
.LBB320_1388:
	s_mov_b64 s[0:1], 0
.LBB320_1389:
	s_andn2_b64 vcc, exec, s[0:1]
	s_cbranch_vccnz .LBB320_1409
; %bb.1390:
	s_cmp_lt_i32 s26, 2
	s_cbranch_scc1 .LBB320_1394
; %bb.1391:
	s_cmp_lt_i32 s26, 3
	s_cbranch_scc1 .LBB320_1395
; %bb.1392:
	s_cmp_gt_i32 s26, 3
	s_cbranch_scc0 .LBB320_1396
; %bb.1393:
	global_load_dwordx2 v[6:7], v[4:5], off
	s_mov_b64 s[0:1], 0
	s_waitcnt vmcnt(0)
	v_cvt_f64_i32_e32 v[10:11], v7
	v_cvt_f64_u32_e32 v[6:7], v6
	v_ldexp_f64 v[10:11], v[10:11], 32
	v_add_f64 v[6:7], v[10:11], v[6:7]
	s_branch .LBB320_1397
.LBB320_1394:
	s_mov_b64 s[0:1], -1
                                        ; implicit-def: $vgpr6_vgpr7
	s_branch .LBB320_1403
.LBB320_1395:
	s_mov_b64 s[0:1], -1
                                        ; implicit-def: $vgpr6_vgpr7
	s_branch .LBB320_1400
.LBB320_1396:
	s_mov_b64 s[0:1], -1
                                        ; implicit-def: $vgpr6_vgpr7
.LBB320_1397:
	s_andn2_b64 vcc, exec, s[0:1]
	s_cbranch_vccnz .LBB320_1399
; %bb.1398:
	global_load_dword v3, v[4:5], off
	s_waitcnt vmcnt(0)
	v_cvt_f64_i32_e32 v[6:7], v3
.LBB320_1399:
	s_mov_b64 s[0:1], 0
.LBB320_1400:
	s_andn2_b64 vcc, exec, s[0:1]
	s_cbranch_vccnz .LBB320_1402
; %bb.1401:
	global_load_sshort v3, v[4:5], off
	s_waitcnt vmcnt(0)
	v_cvt_f64_i32_e32 v[6:7], v3
.LBB320_1402:
	s_mov_b64 s[0:1], 0
.LBB320_1403:
	s_andn2_b64 vcc, exec, s[0:1]
	s_cbranch_vccnz .LBB320_1409
; %bb.1404:
	s_cmp_gt_i32 s26, 0
	s_cbranch_scc0 .LBB320_1406
; %bb.1405:
	global_load_sbyte v3, v[4:5], off
	s_mov_b64 s[0:1], 0
	s_waitcnt vmcnt(0)
	v_cvt_f64_i32_e32 v[6:7], v3
	s_branch .LBB320_1407
.LBB320_1406:
	s_mov_b64 s[0:1], -1
                                        ; implicit-def: $vgpr6_vgpr7
.LBB320_1407:
	s_andn2_b64 vcc, exec, s[0:1]
	s_cbranch_vccnz .LBB320_1409
; %bb.1408:
	global_load_ubyte v3, v[4:5], off
	s_waitcnt vmcnt(0)
	v_cvt_f64_u32_e32 v[6:7], v3
.LBB320_1409:
.LBB320_1410:
	v_add_u32_e32 v2, s13, v2
	v_ashrrev_i32_e32 v3, 31, v2
	s_cmp_lt_i32 s26, 11
	v_lshl_add_u64 v[2:3], s[6:7], 0, v[2:3]
	s_cbranch_scc1 .LBB320_1417
; %bb.1411:
	s_cmp_gt_i32 s26, 25
	s_mov_b64 s[2:3], 0
	s_cbranch_scc0 .LBB320_1418
; %bb.1412:
	s_cmp_gt_i32 s26, 28
	s_cbranch_scc0 .LBB320_1419
; %bb.1413:
	s_cmp_gt_i32 s26, 43
	;; [unrolled: 3-line block ×3, first 2 shown]
	s_cbranch_scc0 .LBB320_1422
; %bb.1415:
	s_cmp_eq_u32 s26, 46
	s_mov_b64 s[20:21], 0
	s_cbranch_scc0 .LBB320_1423
; %bb.1416:
	global_load_dword v4, v[2:3], off
	s_mov_b64 s[0:1], 0
	s_mov_b64 s[6:7], -1
	s_waitcnt vmcnt(0)
	v_lshlrev_b32_e32 v4, 16, v4
	v_cvt_f64_f32_e32 v[4:5], v4
	s_branch .LBB320_1424
.LBB320_1417:
	s_mov_b64 s[0:1], -1
	s_mov_b64 s[6:7], 0
                                        ; implicit-def: $vgpr4_vgpr5
	s_branch .LBB320_1490
.LBB320_1418:
	s_mov_b64 s[20:21], -1
	s_mov_b64 s[6:7], 0
	s_mov_b64 s[0:1], 0
                                        ; implicit-def: $vgpr4_vgpr5
	s_branch .LBB320_1455
.LBB320_1419:
	s_mov_b64 s[20:21], -1
	s_mov_b64 s[6:7], 0
	s_mov_b64 s[0:1], 0
                                        ; implicit-def: $vgpr4_vgpr5
	s_branch .LBB320_1434
.LBB320_1420:
	s_mov_b64 s[20:21], -1
	s_mov_b64 s[6:7], 0
	s_mov_b64 s[0:1], 0
                                        ; implicit-def: $vgpr4_vgpr5
	s_branch .LBB320_1429
.LBB320_1421:
	s_trap 2
	s_or_b64 s[18:19], s[18:19], exec
	s_cbranch_execz .LBB320_1360
	s_branch .LBB320_1361
.LBB320_1422:
	s_mov_b64 s[20:21], -1
	s_mov_b64 s[6:7], 0
	s_mov_b64 s[0:1], 0
                                        ; implicit-def: $vgpr4_vgpr5
	s_branch .LBB320_1424
.LBB320_1423:
	s_mov_b64 s[0:1], -1
                                        ; implicit-def: $vgpr4_vgpr5
	s_mov_b64 s[6:7], 0
.LBB320_1424:
	s_and_b64 vcc, exec, s[20:21]
	s_cbranch_vccz .LBB320_1428
; %bb.1425:
	s_cmp_eq_u32 s26, 44
	s_cbranch_scc0 .LBB320_1427
; %bb.1426:
	global_load_ubyte v10, v[2:3], off
	s_movk_i32 s6, 0xff
	v_bfrev_b32_e32 v11, 4
	v_mov_b32_e32 v12, 0x7ff80000
	v_bfrev_b32_e32 v13, 28
	s_mov_b64 s[0:1], 0
	s_waitcnt vmcnt(0)
	v_lshlrev_b32_e32 v4, 23, v10
	v_cvt_f64_f32_e32 v[4:5], v4
	v_cmp_ne_u32_e32 vcc, s6, v10
	s_mov_b64 s[6:7], -1
	s_nop 0
	v_cndmask_b32_e32 v4, v11, v4, vcc
	v_cndmask_b32_e32 v5, v12, v5, vcc
	v_cmp_ne_u32_e32 vcc, 0, v10
	s_nop 1
	v_cndmask_b32_e32 v5, v13, v5, vcc
	v_cndmask_b32_e32 v4, 0, v4, vcc
	s_branch .LBB320_1428
.LBB320_1427:
	s_mov_b64 s[0:1], -1
                                        ; implicit-def: $vgpr4_vgpr5
.LBB320_1428:
	s_mov_b64 s[20:21], 0
.LBB320_1429:
	s_and_b64 vcc, exec, s[20:21]
	s_cbranch_vccz .LBB320_1433
; %bb.1430:
	s_cmp_eq_u32 s26, 29
	s_cbranch_scc0 .LBB320_1432
; %bb.1431:
	global_load_dwordx2 v[4:5], v[2:3], off
	s_mov_b64 s[0:1], 0
	s_mov_b64 s[6:7], -1
	s_mov_b64 s[20:21], 0
	s_waitcnt vmcnt(0)
	v_cvt_f64_u32_e32 v[10:11], v5
	v_cvt_f64_u32_e32 v[4:5], v4
	v_ldexp_f64 v[10:11], v[10:11], 32
	v_add_f64 v[4:5], v[10:11], v[4:5]
	s_branch .LBB320_1434
.LBB320_1432:
	s_mov_b64 s[0:1], -1
                                        ; implicit-def: $vgpr4_vgpr5
.LBB320_1433:
	s_mov_b64 s[20:21], 0
.LBB320_1434:
	s_and_b64 vcc, exec, s[20:21]
	s_cbranch_vccz .LBB320_1454
; %bb.1435:
	s_cmp_lt_i32 s26, 27
	s_cbranch_scc1 .LBB320_1438
; %bb.1436:
	s_cmp_gt_i32 s26, 27
	s_cbranch_scc0 .LBB320_1439
; %bb.1437:
	global_load_dword v4, v[2:3], off
	s_mov_b64 s[6:7], 0
	s_waitcnt vmcnt(0)
	v_cvt_f64_u32_e32 v[4:5], v4
	s_branch .LBB320_1440
.LBB320_1438:
	s_mov_b64 s[6:7], -1
                                        ; implicit-def: $vgpr4_vgpr5
	s_branch .LBB320_1443
.LBB320_1439:
	s_mov_b64 s[6:7], -1
                                        ; implicit-def: $vgpr4_vgpr5
.LBB320_1440:
	s_andn2_b64 vcc, exec, s[6:7]
	s_cbranch_vccnz .LBB320_1442
; %bb.1441:
	global_load_ushort v4, v[2:3], off
	s_waitcnt vmcnt(0)
	v_cvt_f64_u32_e32 v[4:5], v4
.LBB320_1442:
	s_mov_b64 s[6:7], 0
.LBB320_1443:
	s_andn2_b64 vcc, exec, s[6:7]
	s_cbranch_vccnz .LBB320_1453
; %bb.1444:
	global_load_ubyte v10, v[2:3], off
	s_movk_i32 s6, 0x7f
	s_waitcnt vmcnt(0)
	v_cmp_lt_i16_e32 vcc, s6, v10
	s_mov_b64 s[6:7], 0
	s_and_saveexec_b64 s[20:21], vcc
	s_xor_b64 s[20:21], exec, s[20:21]
	s_cbranch_execz .LBB320_1448
; %bb.1445:
	s_movk_i32 s6, 0x80
	v_cmp_eq_u16_e32 vcc, s6, v10
	s_mov_b64 s[6:7], -1
	s_and_saveexec_b64 s[22:23], vcc
; %bb.1446:
	s_xor_b64 s[6:7], exec, -1
; %bb.1447:
	s_or_b64 exec, exec, s[22:23]
	s_and_b64 s[6:7], s[6:7], exec
.LBB320_1448:
	s_or_saveexec_b64 s[20:21], s[20:21]
	v_bfrev_b32_e32 v4, 4
	v_mov_b32_e32 v5, 0x7ff80000
	s_xor_b64 exec, exec, s[20:21]
; %bb.1449:
	v_cmp_ne_u16_e32 vcc, 0, v10
	s_andn2_b64 s[6:7], s[6:7], exec
	s_and_b64 s[22:23], vcc, exec
	v_mov_b64_e32 v[4:5], 0
	s_or_b64 s[6:7], s[6:7], s[22:23]
; %bb.1450:
	s_or_b64 exec, exec, s[20:21]
	s_and_saveexec_b64 s[20:21], s[6:7]
	s_cbranch_execz .LBB320_1452
; %bb.1451:
	v_and_b32_e32 v5, 0xffff, v10
	v_lshlrev_b32_e32 v4, 24, v10
	v_and_b32_e32 v10, 7, v5
	v_ffbh_u32_e32 v12, v10
	v_min_u32_e32 v12, 32, v12
	v_subrev_u32_e32 v13, 28, v12
	v_bfe_u32 v11, v5, 3, 4
	v_lshlrev_b32_e32 v5, v13, v5
	v_sub_u32_e32 v12, 29, v12
	v_and_b32_e32 v5, 7, v5
	v_cmp_eq_u32_e32 vcc, 0, v11
	v_and_b32_e32 v4, 0x80000000, v4
	s_nop 0
	v_cndmask_b32_e32 v11, v11, v12, vcc
	v_cndmask_b32_e32 v5, v10, v5, vcc
	v_mov_b32_e32 v10, 0x3b800000
	v_lshlrev_b32_e32 v5, 20, v5
	v_lshl_add_u32 v10, v11, 23, v10
	v_or3_b32 v4, v4, v10, v5
	v_cvt_f64_f32_e32 v[4:5], v4
.LBB320_1452:
	s_or_b64 exec, exec, s[20:21]
.LBB320_1453:
	s_mov_b64 s[6:7], -1
.LBB320_1454:
	s_mov_b64 s[20:21], 0
.LBB320_1455:
	s_and_b64 vcc, exec, s[20:21]
	s_cbranch_vccz .LBB320_1486
; %bb.1456:
	s_cmp_gt_i32 s26, 22
	s_cbranch_scc0 .LBB320_1468
; %bb.1457:
	s_cmp_lt_i32 s26, 24
	s_cbranch_scc1 .LBB320_1469
; %bb.1458:
	s_cmp_gt_i32 s26, 24
	s_cbranch_scc0 .LBB320_1470
; %bb.1459:
	global_load_ubyte v10, v[2:3], off
	s_movk_i32 s2, 0x7f
	s_waitcnt vmcnt(0)
	v_cmp_lt_i16_e32 vcc, s2, v10
	s_mov_b64 s[2:3], 0
	s_and_saveexec_b64 s[6:7], vcc
	s_xor_b64 s[6:7], exec, s[6:7]
	s_cbranch_execz .LBB320_1463
; %bb.1460:
	s_movk_i32 s2, 0x80
	v_cmp_eq_u16_e32 vcc, s2, v10
	s_mov_b64 s[2:3], -1
	s_and_saveexec_b64 s[20:21], vcc
; %bb.1461:
	s_xor_b64 s[2:3], exec, -1
; %bb.1462:
	s_or_b64 exec, exec, s[20:21]
	s_and_b64 s[2:3], s[2:3], exec
.LBB320_1463:
	s_or_saveexec_b64 s[6:7], s[6:7]
	v_bfrev_b32_e32 v4, 4
	v_mov_b32_e32 v5, 0x7ff80000
	s_xor_b64 exec, exec, s[6:7]
; %bb.1464:
	v_cmp_ne_u16_e32 vcc, 0, v10
	s_andn2_b64 s[2:3], s[2:3], exec
	s_and_b64 s[20:21], vcc, exec
	v_mov_b64_e32 v[4:5], 0
	s_or_b64 s[2:3], s[2:3], s[20:21]
; %bb.1465:
	s_or_b64 exec, exec, s[6:7]
	s_and_saveexec_b64 s[6:7], s[2:3]
	s_cbranch_execz .LBB320_1467
; %bb.1466:
	v_and_b32_e32 v5, 0xffff, v10
	v_lshlrev_b32_e32 v4, 24, v10
	v_and_b32_e32 v10, 3, v5
	v_ffbh_u32_e32 v12, v10
	v_min_u32_e32 v12, 32, v12
	v_subrev_u32_e32 v13, 29, v12
	v_bfe_u32 v11, v5, 2, 5
	v_lshlrev_b32_e32 v5, v13, v5
	v_sub_u32_e32 v12, 30, v12
	v_and_b32_e32 v5, 3, v5
	v_cmp_eq_u32_e32 vcc, 0, v11
	v_and_b32_e32 v4, 0x80000000, v4
	s_nop 0
	v_cndmask_b32_e32 v11, v11, v12, vcc
	v_cndmask_b32_e32 v5, v10, v5, vcc
	v_mov_b32_e32 v10, 0x37800000
	v_lshlrev_b32_e32 v5, 21, v5
	v_lshl_add_u32 v10, v11, 23, v10
	v_or3_b32 v4, v4, v10, v5
	v_cvt_f64_f32_e32 v[4:5], v4
.LBB320_1467:
	s_or_b64 exec, exec, s[6:7]
	s_mov_b64 s[2:3], 0
	s_branch .LBB320_1471
.LBB320_1468:
	s_mov_b64 s[2:3], -1
                                        ; implicit-def: $vgpr4_vgpr5
	s_branch .LBB320_1477
.LBB320_1469:
	s_mov_b64 s[2:3], -1
                                        ; implicit-def: $vgpr4_vgpr5
	s_branch .LBB320_1474
.LBB320_1470:
	s_mov_b64 s[2:3], -1
                                        ; implicit-def: $vgpr4_vgpr5
.LBB320_1471:
	s_and_b64 vcc, exec, s[2:3]
	s_cbranch_vccz .LBB320_1473
; %bb.1472:
	global_load_ubyte v4, v[2:3], off
	s_mov_b32 s2, 0x7f800000
	s_waitcnt vmcnt(0)
	v_lshlrev_b32_e32 v4, 24, v4
	v_and_b32_e32 v5, 0x7f000000, v4
	v_ffbh_u32_e32 v10, v5
	v_min_u32_e32 v10, 32, v10
	v_sub_u32_e64 v10, v10, 4 clamp
	v_lshlrev_b32_e32 v12, v10, v5
	v_lshlrev_b32_e32 v10, 23, v10
	v_lshrrev_b32_e32 v12, 4, v12
	v_add_u32_e32 v11, 0x1000000, v5
	v_sub_u32_e32 v10, v12, v10
	v_ashrrev_i32_e32 v11, 8, v11
	v_add_u32_e32 v10, 0x3c000000, v10
	v_and_or_b32 v10, v11, s2, v10
	v_cmp_ne_u32_e32 vcc, 0, v5
	s_brev_b32 s2, 1
	s_nop 0
	v_cndmask_b32_e32 v5, 0, v10, vcc
	v_and_or_b32 v4, v4, s2, v5
	v_cvt_f64_f32_e32 v[4:5], v4
.LBB320_1473:
	s_mov_b64 s[2:3], 0
.LBB320_1474:
	s_andn2_b64 vcc, exec, s[2:3]
	s_cbranch_vccnz .LBB320_1476
; %bb.1475:
	global_load_ubyte v4, v[2:3], off
	s_movk_i32 s2, 0x7f00
	s_brev_b32 s3, 16
	s_waitcnt vmcnt(0)
	v_lshlrev_b16_e32 v5, 8, v4
	v_lshlrev_b32_e32 v4, 25, v4
	v_lshrrev_b32_e32 v10, 4, v4
	v_and_or_b32 v11, v5, s2, 0.5
	v_or_b32_e32 v10, 0x70000000, v10
	v_add_f32_e32 v11, -0.5, v11
	v_mul_f32_e32 v10, 0x7800000, v10
	v_cmp_gt_u32_e32 vcc, s3, v4
	v_bfe_i32 v5, v5, 0, 16
	s_brev_b32 s2, 1
	v_cndmask_b32_e32 v4, v10, v11, vcc
	v_and_or_b32 v4, v5, s2, v4
	v_cvt_f64_f32_e32 v[4:5], v4
.LBB320_1476:
	s_mov_b64 s[2:3], 0
	s_mov_b64 s[6:7], -1
.LBB320_1477:
	s_andn2_b64 vcc, exec, s[2:3]
	s_mov_b64 s[2:3], 0
	s_cbranch_vccnz .LBB320_1486
; %bb.1478:
	s_cmp_gt_i32 s26, 14
	s_cbranch_scc0 .LBB320_1481
; %bb.1479:
	s_cmp_eq_u32 s26, 15
	s_cbranch_scc0 .LBB320_1482
; %bb.1480:
	global_load_ushort v4, v[2:3], off
	s_mov_b64 s[0:1], 0
	s_mov_b64 s[6:7], -1
	s_waitcnt vmcnt(0)
	v_lshlrev_b32_e32 v4, 16, v4
	v_cvt_f64_f32_e32 v[4:5], v4
	s_branch .LBB320_1483
.LBB320_1481:
	s_mov_b64 s[20:21], -1
                                        ; implicit-def: $vgpr4_vgpr5
	s_branch .LBB320_1484
.LBB320_1482:
	s_mov_b64 s[0:1], -1
                                        ; implicit-def: $vgpr4_vgpr5
.LBB320_1483:
	s_mov_b64 s[20:21], 0
.LBB320_1484:
	s_and_b64 vcc, exec, s[20:21]
	s_cbranch_vccz .LBB320_1486
; %bb.1485:
	s_cmp_lg_u32 s26, 11
	s_mov_b64 s[2:3], -1
	s_cselect_b64 s[0:1], -1, 0
.LBB320_1486:
	s_and_b64 vcc, exec, s[0:1]
	s_cbranch_vccnz .LBB320_2019
; %bb.1487:
	s_andn2_b64 vcc, exec, s[2:3]
	s_cbranch_vccnz .LBB320_1489
.LBB320_1488:
	global_load_ubyte v5, v[2:3], off
	v_mov_b32_e32 v10, 0x3ff00000
	v_mov_b32_e32 v4, 0
	s_mov_b64 s[6:7], -1
	s_waitcnt vmcnt(0)
	v_cmp_ne_u16_e32 vcc, 0, v5
	s_nop 1
	v_cndmask_b32_e32 v5, 0, v10, vcc
.LBB320_1489:
	s_mov_b64 s[0:1], 0
.LBB320_1490:
	s_and_b64 vcc, exec, s[0:1]
	s_cbranch_vccz .LBB320_1539
; %bb.1491:
	s_cmp_lt_i32 s26, 5
	s_cbranch_scc1 .LBB320_1496
; %bb.1492:
	s_cmp_lt_i32 s26, 8
	s_cbranch_scc1 .LBB320_1497
	;; [unrolled: 3-line block ×3, first 2 shown]
; %bb.1494:
	s_cmp_gt_i32 s26, 9
	s_cbranch_scc0 .LBB320_1499
; %bb.1495:
	global_load_dwordx2 v[4:5], v[2:3], off
	s_mov_b64 s[0:1], 0
	s_branch .LBB320_1500
.LBB320_1496:
	s_mov_b64 s[0:1], -1
                                        ; implicit-def: $vgpr4_vgpr5
	s_branch .LBB320_1518
.LBB320_1497:
	s_mov_b64 s[0:1], -1
                                        ; implicit-def: $vgpr4_vgpr5
	s_branch .LBB320_1506
.LBB320_1498:
	s_mov_b64 s[0:1], -1
                                        ; implicit-def: $vgpr4_vgpr5
	s_branch .LBB320_1503
.LBB320_1499:
	s_mov_b64 s[0:1], -1
                                        ; implicit-def: $vgpr4_vgpr5
.LBB320_1500:
	s_andn2_b64 vcc, exec, s[0:1]
	s_cbranch_vccnz .LBB320_1502
; %bb.1501:
	global_load_dword v4, v[2:3], off
	s_waitcnt vmcnt(0)
	v_cvt_f64_f32_e32 v[4:5], v4
.LBB320_1502:
	s_mov_b64 s[0:1], 0
.LBB320_1503:
	s_andn2_b64 vcc, exec, s[0:1]
	s_cbranch_vccnz .LBB320_1505
; %bb.1504:
	global_load_dword v4, v[2:3], off
	s_waitcnt vmcnt(0)
	v_cvt_f32_f16_e32 v4, v4
	v_cvt_f64_f32_e32 v[4:5], v4
.LBB320_1505:
	s_mov_b64 s[0:1], 0
.LBB320_1506:
	s_andn2_b64 vcc, exec, s[0:1]
	s_cbranch_vccnz .LBB320_1517
; %bb.1507:
	s_cmp_lt_i32 s26, 6
	s_cbranch_scc1 .LBB320_1510
; %bb.1508:
	s_cmp_gt_i32 s26, 6
	s_cbranch_scc0 .LBB320_1511
; %bb.1509:
	global_load_dwordx2 v[4:5], v[2:3], off
	s_mov_b64 s[0:1], 0
	s_branch .LBB320_1512
.LBB320_1510:
	s_mov_b64 s[0:1], -1
                                        ; implicit-def: $vgpr4_vgpr5
	s_branch .LBB320_1515
.LBB320_1511:
	s_mov_b64 s[0:1], -1
                                        ; implicit-def: $vgpr4_vgpr5
.LBB320_1512:
	s_andn2_b64 vcc, exec, s[0:1]
	s_cbranch_vccnz .LBB320_1514
; %bb.1513:
	global_load_dword v4, v[2:3], off
	s_waitcnt vmcnt(0)
	v_cvt_f64_f32_e32 v[4:5], v4
.LBB320_1514:
	s_mov_b64 s[0:1], 0
.LBB320_1515:
	s_andn2_b64 vcc, exec, s[0:1]
	s_cbranch_vccnz .LBB320_1517
; %bb.1516:
	global_load_ushort v4, v[2:3], off
	s_waitcnt vmcnt(0)
	v_cvt_f32_f16_e32 v4, v4
	v_cvt_f64_f32_e32 v[4:5], v4
.LBB320_1517:
	s_mov_b64 s[0:1], 0
.LBB320_1518:
	s_andn2_b64 vcc, exec, s[0:1]
	s_cbranch_vccnz .LBB320_1538
; %bb.1519:
	s_cmp_lt_i32 s26, 2
	s_cbranch_scc1 .LBB320_1523
; %bb.1520:
	s_cmp_lt_i32 s26, 3
	s_cbranch_scc1 .LBB320_1524
; %bb.1521:
	s_cmp_gt_i32 s26, 3
	s_cbranch_scc0 .LBB320_1525
; %bb.1522:
	global_load_dwordx2 v[4:5], v[2:3], off
	s_mov_b64 s[0:1], 0
	s_waitcnt vmcnt(0)
	v_cvt_f64_i32_e32 v[10:11], v5
	v_cvt_f64_u32_e32 v[4:5], v4
	v_ldexp_f64 v[10:11], v[10:11], 32
	v_add_f64 v[4:5], v[10:11], v[4:5]
	s_branch .LBB320_1526
.LBB320_1523:
	s_mov_b64 s[0:1], -1
                                        ; implicit-def: $vgpr4_vgpr5
	s_branch .LBB320_1532
.LBB320_1524:
	s_mov_b64 s[0:1], -1
                                        ; implicit-def: $vgpr4_vgpr5
	s_branch .LBB320_1529
.LBB320_1525:
	s_mov_b64 s[0:1], -1
                                        ; implicit-def: $vgpr4_vgpr5
.LBB320_1526:
	s_andn2_b64 vcc, exec, s[0:1]
	s_cbranch_vccnz .LBB320_1528
; %bb.1527:
	global_load_dword v4, v[2:3], off
	s_waitcnt vmcnt(0)
	v_cvt_f64_i32_e32 v[4:5], v4
.LBB320_1528:
	s_mov_b64 s[0:1], 0
.LBB320_1529:
	s_andn2_b64 vcc, exec, s[0:1]
	s_cbranch_vccnz .LBB320_1531
; %bb.1530:
	global_load_sshort v4, v[2:3], off
	s_waitcnt vmcnt(0)
	v_cvt_f64_i32_e32 v[4:5], v4
.LBB320_1531:
	s_mov_b64 s[0:1], 0
.LBB320_1532:
	s_andn2_b64 vcc, exec, s[0:1]
	s_cbranch_vccnz .LBB320_1538
; %bb.1533:
	s_cmp_gt_i32 s26, 0
	s_cbranch_scc0 .LBB320_1535
; %bb.1534:
	global_load_sbyte v4, v[2:3], off
	s_mov_b64 s[0:1], 0
	s_waitcnt vmcnt(0)
	v_cvt_f64_i32_e32 v[4:5], v4
	s_branch .LBB320_1536
.LBB320_1535:
	s_mov_b64 s[0:1], -1
                                        ; implicit-def: $vgpr4_vgpr5
.LBB320_1536:
	s_andn2_b64 vcc, exec, s[0:1]
	s_cbranch_vccnz .LBB320_1538
; %bb.1537:
	global_load_ubyte v2, v[2:3], off
	s_waitcnt vmcnt(0)
	v_cvt_f64_u32_e32 v[4:5], v2
.LBB320_1538:
	s_mov_b64 s[6:7], -1
.LBB320_1539:
	s_andn2_b64 vcc, exec, s[6:7]
	s_cbranch_vccnz .LBB320_1973
; %bb.1540:
	v_max_f64 v[10:11], s[8:9], s[8:9]
	s_waitcnt vmcnt(0)
	v_max_f64 v[2:3], v[0:1], v[0:1]
	v_max_f64 v[2:3], v[2:3], v[10:11]
	v_max_f64 v[12:13], s[10:11], s[10:11]
	v_mul_lo_u32 v14, s12, v14
	v_min_f64 v[2:3], v[2:3], v[12:13]
	v_cmp_u_f64_e32 vcc, v[0:1], v[0:1]
	v_ashrrev_i32_e32 v15, 31, v14
	s_and_b32 s20, s33, 0xff
	v_cndmask_b32_e32 v1, v3, v1, vcc
	v_cndmask_b32_e32 v0, v2, v0, vcc
	s_cmp_lt_i32 s20, 11
	v_lshl_add_u64 v[16:17], s[4:5], 0, v[14:15]
	s_cbranch_scc1 .LBB320_1618
; %bb.1541:
	s_and_b32 s13, 0xffff, s20
	s_mov_b64 s[8:9], -1
	s_mov_b64 s[2:3], 0
	s_cmp_gt_i32 s13, 25
	s_mov_b64 s[6:7], 0
	s_mov_b64 s[0:1], 0
	s_cbranch_scc0 .LBB320_1574
; %bb.1542:
	s_cmp_gt_i32 s13, 28
	s_cbranch_scc0 .LBB320_1557
; %bb.1543:
	s_cmp_gt_i32 s13, 43
	;; [unrolled: 3-line block ×3, first 2 shown]
	s_cbranch_scc0 .LBB320_1547
; %bb.1545:
	s_mov_b64 s[0:1], -1
	s_mov_b64 s[8:9], 0
	s_cmp_eq_u32 s13, 46
	s_cbranch_scc0 .LBB320_1547
; %bb.1546:
	v_cvt_f32_f64_e32 v2, v[0:1]
	v_bfe_u32 v3, v2, 16, 1
	s_movk_i32 s0, 0x7fff
	v_add3_u32 v3, v2, v3, s0
	v_cmp_o_f32_e32 vcc, v2, v2
	v_mov_b32_e32 v2, 0x7fc0
	s_mov_b64 s[0:1], 0
	v_cndmask_b32_sdwa v2, v2, v3, vcc dst_sel:DWORD dst_unused:UNUSED_PAD src0_sel:DWORD src1_sel:WORD_1
	global_store_dword v[16:17], v2, off
	s_mov_b64 s[6:7], -1
.LBB320_1547:
	s_and_b64 vcc, exec, s[8:9]
	s_cbranch_vccz .LBB320_1552
; %bb.1548:
	s_cmp_eq_u32 s13, 44
	s_mov_b64 s[0:1], -1
	s_cbranch_scc0 .LBB320_1552
; %bb.1549:
	v_cvt_f32_f64_e32 v2, v[0:1]
	v_bfe_u32 v3, v2, 23, 8
	s_movk_i32 s0, 0xff
	v_cmp_ne_u32_e32 vcc, s0, v3
	v_mov_b32_e32 v15, 0xff
	s_and_saveexec_b64 s[6:7], vcc
; %bb.1550:
	s_mov_b32 s0, 0x3fffff
	v_lshrrev_b32_e32 v15, 23, v2
	v_and_b32_e32 v18, 0x400000, v2
	v_and_or_b32 v2, v2, s0, v3
	v_cmp_ne_u32_e32 vcc, 0, v18
	v_cmp_ne_u32_e64 s[0:1], 0, v2
	s_and_b64 s[0:1], vcc, s[0:1]
	s_nop 0
	v_cndmask_b32_e64 v2, 0, 1, s[0:1]
	v_add_u32_e32 v15, v15, v2
; %bb.1551:
	s_or_b64 exec, exec, s[6:7]
	s_mov_b64 s[0:1], 0
	s_mov_b64 s[6:7], -1
	global_store_byte v[16:17], v15, off
.LBB320_1552:
	s_mov_b64 s[8:9], 0
.LBB320_1553:
	s_and_b64 vcc, exec, s[8:9]
	s_cbranch_vccz .LBB320_1556
; %bb.1554:
	s_cmp_eq_u32 s13, 29
	s_mov_b64 s[0:1], -1
	s_cbranch_scc0 .LBB320_1556
; %bb.1555:
	v_trunc_f64_e32 v[2:3], v[0:1]
	s_movk_i32 s0, 0xffe0
	v_ldexp_f64 v[18:19], v[2:3], s0
	v_floor_f64_e32 v[18:19], v[18:19]
	v_fmac_f64_e32 v[2:3], 0xc1f00000, v[18:19]
	v_cvt_u32_f64_e32 v21, v[18:19]
	v_cvt_u32_f64_e32 v20, v[2:3]
	global_store_dwordx2 v[16:17], v[20:21], off
	s_mov_b64 s[0:1], 0
	s_mov_b64 s[6:7], -1
.LBB320_1556:
	s_mov_b64 s[8:9], 0
.LBB320_1557:
	s_and_b64 vcc, exec, s[8:9]
	s_cbranch_vccz .LBB320_1573
; %bb.1558:
	s_cmp_lt_i32 s13, 27
	s_mov_b64 s[6:7], -1
	s_cbranch_scc1 .LBB320_1564
; %bb.1559:
	s_cmp_gt_i32 s13, 27
	v_cvt_u32_f64_e32 v2, v[0:1]
	s_cbranch_scc0 .LBB320_1561
; %bb.1560:
	s_mov_b64 s[6:7], 0
	global_store_dword v[16:17], v2, off
.LBB320_1561:
	s_andn2_b64 vcc, exec, s[6:7]
	s_cbranch_vccnz .LBB320_1563
; %bb.1562:
	global_store_short v[16:17], v2, off
.LBB320_1563:
	s_mov_b64 s[6:7], 0
.LBB320_1564:
	s_andn2_b64 vcc, exec, s[6:7]
	s_cbranch_vccnz .LBB320_1572
; %bb.1565:
	v_cvt_f32_f64_e32 v2, v[0:1]
	v_and_b32_e32 v3, 0x7fffffff, v2
	s_mov_b32 s6, 0x43800000
	v_cmp_gt_u32_e32 vcc, s6, v3
	v_mov_b32_e32 v15, 0x80
	s_and_saveexec_b64 s[6:7], vcc
	s_cbranch_execz .LBB320_1571
; %bb.1566:
	s_mov_b32 s8, 0x3bffffff
	v_cmp_lt_u32_e32 vcc, s8, v3
	s_mov_b64 s[8:9], 0
                                        ; implicit-def: $vgpr3
	s_and_saveexec_b64 s[10:11], vcc
	s_xor_b64 s[10:11], exec, s[10:11]
	s_cbranch_execz .LBB320_2020
; %bb.1567:
	v_bfe_u32 v3, v2, 20, 1
	s_mov_b32 s21, 0x487ffff
	v_add3_u32 v3, v2, v3, s21
	s_mov_b64 s[8:9], exec
	v_lshrrev_b32_e32 v3, 20, v3
	s_andn2_saveexec_b64 s[10:11], s[10:11]
	s_cbranch_execnz .LBB320_2021
.LBB320_1568:
	s_or_b64 exec, exec, s[10:11]
	v_mov_b32_e32 v15, 0
	s_and_saveexec_b64 s[10:11], s[8:9]
.LBB320_1569:
	v_lshrrev_b32_e32 v2, 24, v2
	s_movk_i32 s8, 0x80
	v_and_or_b32 v15, v2, s8, v3
.LBB320_1570:
	s_or_b64 exec, exec, s[10:11]
.LBB320_1571:
	s_or_b64 exec, exec, s[6:7]
	global_store_byte v[16:17], v15, off
.LBB320_1572:
	s_mov_b64 s[6:7], -1
.LBB320_1573:
	s_mov_b64 s[8:9], 0
.LBB320_1574:
	s_and_b64 vcc, exec, s[8:9]
	s_cbranch_vccz .LBB320_1614
; %bb.1575:
	s_cmp_gt_i32 s13, 22
	s_mov_b64 s[2:3], -1
	s_cbranch_scc0 .LBB320_1607
; %bb.1576:
	s_cmp_lt_i32 s13, 24
	s_cbranch_scc1 .LBB320_1596
; %bb.1577:
	s_cmp_gt_i32 s13, 24
	s_cbranch_scc0 .LBB320_1585
; %bb.1578:
	v_cvt_f32_f64_e32 v2, v[0:1]
	v_and_b32_e32 v3, 0x7fffffff, v2
	s_mov_b32 s2, 0x47800000
	v_cmp_gt_u32_e32 vcc, s2, v3
	v_mov_b32_e32 v15, 0x80
	s_and_saveexec_b64 s[2:3], vcc
	s_cbranch_execz .LBB320_1584
; %bb.1579:
	s_mov_b32 s6, 0x37ffffff
	v_cmp_lt_u32_e32 vcc, s6, v3
	s_mov_b64 s[6:7], 0
                                        ; implicit-def: $vgpr3
	s_and_saveexec_b64 s[8:9], vcc
	s_xor_b64 s[8:9], exec, s[8:9]
	s_cbranch_execz .LBB320_2023
; %bb.1580:
	v_bfe_u32 v3, v2, 21, 1
	s_mov_b32 s10, 0x88fffff
	v_add3_u32 v3, v2, v3, s10
	s_mov_b64 s[6:7], exec
	v_lshrrev_b32_e32 v3, 21, v3
	s_andn2_saveexec_b64 s[8:9], s[8:9]
	s_cbranch_execnz .LBB320_2024
.LBB320_1581:
	s_or_b64 exec, exec, s[8:9]
	v_mov_b32_e32 v15, 0
	s_and_saveexec_b64 s[8:9], s[6:7]
.LBB320_1582:
	v_lshrrev_b32_e32 v2, 24, v2
	s_movk_i32 s6, 0x80
	v_and_or_b32 v15, v2, s6, v3
.LBB320_1583:
	s_or_b64 exec, exec, s[8:9]
.LBB320_1584:
	s_or_b64 exec, exec, s[2:3]
	s_mov_b64 s[2:3], 0
	global_store_byte v[16:17], v15, off
.LBB320_1585:
	s_and_b64 vcc, exec, s[2:3]
	s_cbranch_vccz .LBB320_1595
; %bb.1586:
	v_cvt_f32_f64_e32 v2, v[0:1]
	v_and_b32_e32 v15, 0x7fffffff, v2
	s_mov_b32 s2, 0x43f00000
	v_cmp_gt_u32_e32 vcc, s2, v15
                                        ; implicit-def: $vgpr3
	s_and_saveexec_b64 s[2:3], vcc
	s_xor_b64 s[2:3], exec, s[2:3]
	s_cbranch_execz .LBB320_1592
; %bb.1587:
	s_mov_b32 s6, 0x3c7fffff
	v_cmp_lt_u32_e32 vcc, s6, v15
                                        ; implicit-def: $vgpr3
	s_and_saveexec_b64 s[6:7], vcc
	s_xor_b64 s[6:7], exec, s[6:7]
; %bb.1588:
	v_bfe_u32 v3, v2, 20, 1
	s_mov_b32 s8, 0x407ffff
	v_add3_u32 v3, v2, v3, s8
	v_lshrrev_b32_e32 v15, 20, v3
	v_and_b32_e32 v3, 0xff00000, v3
	s_mov_b32 s8, 0x7f00000
	v_mov_b32_e32 v18, 0x7e
	v_cmp_ne_u32_e32 vcc, s8, v3
	s_nop 1
	v_cndmask_b32_e32 v3, v18, v15, vcc
; %bb.1589:
	s_andn2_saveexec_b64 s[6:7], s[6:7]
; %bb.1590:
	s_mov_b32 s8, 0x46800000
	v_add_f32_e64 v3, |v2|, s8
; %bb.1591:
	s_or_b64 exec, exec, s[6:7]
                                        ; implicit-def: $vgpr15
.LBB320_1592:
	s_andn2_saveexec_b64 s[2:3], s[2:3]
; %bb.1593:
	s_mov_b32 s6, 0x7f800000
	v_mov_b32_e32 v3, 0x7e
	v_mov_b32_e32 v18, 0x7f
	v_cmp_lt_u32_e32 vcc, s6, v15
	s_nop 1
	v_cndmask_b32_e32 v3, v3, v18, vcc
; %bb.1594:
	s_or_b64 exec, exec, s[2:3]
	v_lshrrev_b32_e32 v2, 24, v2
	s_movk_i32 s2, 0x80
	v_and_or_b32 v2, v2, s2, v3
	global_store_byte v[16:17], v2, off
.LBB320_1595:
	s_mov_b64 s[2:3], 0
.LBB320_1596:
	s_andn2_b64 vcc, exec, s[2:3]
	s_cbranch_vccnz .LBB320_1606
; %bb.1597:
	v_cvt_f32_f64_e32 v2, v[0:1]
	v_and_b32_e32 v15, 0x7fffffff, v2
	s_mov_b32 s2, 0x47800000
	v_cmp_gt_u32_e32 vcc, s2, v15
                                        ; implicit-def: $vgpr3
	s_and_saveexec_b64 s[2:3], vcc
	s_xor_b64 s[2:3], exec, s[2:3]
	s_cbranch_execz .LBB320_1603
; %bb.1598:
	s_mov_b32 s6, 0x387fffff
	v_cmp_lt_u32_e32 vcc, s6, v15
                                        ; implicit-def: $vgpr3
	s_and_saveexec_b64 s[6:7], vcc
	s_xor_b64 s[6:7], exec, s[6:7]
; %bb.1599:
	v_bfe_u32 v3, v2, 21, 1
	s_mov_b32 s8, 0x80fffff
	v_add3_u32 v3, v2, v3, s8
	v_lshrrev_b32_e32 v3, 21, v3
; %bb.1600:
	s_andn2_saveexec_b64 s[6:7], s[6:7]
; %bb.1601:
	s_mov_b32 s8, 0x43000000
	v_add_f32_e64 v3, |v2|, s8
; %bb.1602:
	s_or_b64 exec, exec, s[6:7]
                                        ; implicit-def: $vgpr15
.LBB320_1603:
	s_andn2_saveexec_b64 s[2:3], s[2:3]
; %bb.1604:
	s_mov_b32 s6, 0x7f800000
	v_mov_b32_e32 v3, 0x7c
	v_mov_b32_e32 v18, 0x7f
	v_cmp_lt_u32_e32 vcc, s6, v15
	s_nop 1
	v_cndmask_b32_e32 v3, v3, v18, vcc
; %bb.1605:
	s_or_b64 exec, exec, s[2:3]
	v_lshrrev_b32_e32 v2, 24, v2
	s_movk_i32 s2, 0x80
	v_and_or_b32 v2, v2, s2, v3
	global_store_byte v[16:17], v2, off
.LBB320_1606:
	s_mov_b64 s[2:3], 0
	s_mov_b64 s[6:7], -1
.LBB320_1607:
	s_andn2_b64 vcc, exec, s[2:3]
	s_mov_b64 s[2:3], 0
	s_cbranch_vccnz .LBB320_1614
; %bb.1608:
	s_cmp_gt_i32 s13, 14
	s_mov_b64 s[8:9], -1
	s_cbranch_scc0 .LBB320_1612
; %bb.1609:
	s_cmp_eq_u32 s13, 15
	s_mov_b64 s[0:1], -1
	s_cbranch_scc0 .LBB320_1611
; %bb.1610:
	v_cvt_f32_f64_e32 v2, v[0:1]
	v_bfe_u32 v3, v2, 16, 1
	s_movk_i32 s0, 0x7fff
	v_add3_u32 v3, v2, v3, s0
	v_cmp_o_f32_e32 vcc, v2, v2
	v_mov_b32_e32 v2, 0x7fc0
	s_mov_b64 s[0:1], 0
	v_cndmask_b32_sdwa v2, v2, v3, vcc dst_sel:DWORD dst_unused:UNUSED_PAD src0_sel:DWORD src1_sel:WORD_1
	global_store_short v[16:17], v2, off
	s_mov_b64 s[6:7], -1
.LBB320_1611:
	s_mov_b64 s[8:9], 0
.LBB320_1612:
	s_and_b64 vcc, exec, s[8:9]
	s_cbranch_vccz .LBB320_1614
; %bb.1613:
	s_cmp_lg_u32 s13, 11
	s_mov_b64 s[2:3], -1
	s_cselect_b64 s[0:1], -1, 0
.LBB320_1614:
	s_and_b64 vcc, exec, s[0:1]
	s_cbranch_vccnz .LBB320_2022
; %bb.1615:
	s_andn2_b64 vcc, exec, s[2:3]
	s_cbranch_vccnz .LBB320_1617
.LBB320_1616:
	v_cmp_neq_f64_e32 vcc, 0, v[0:1]
	s_mov_b64 s[6:7], -1
	s_nop 0
	v_cndmask_b32_e64 v2, 0, 1, vcc
	global_store_byte v[16:17], v2, off
.LBB320_1617:
	s_mov_b64 s[0:1], 0
	s_branch .LBB320_1619
.LBB320_1618:
	s_mov_b64 s[0:1], -1
	s_mov_b64 s[6:7], 0
.LBB320_1619:
	s_and_b64 vcc, exec, s[0:1]
	s_cbranch_vccz .LBB320_1658
; %bb.1620:
	s_and_b32 s2, 0xffff, s20
	s_cmp_lt_i32 s2, 5
	s_mov_b64 s[0:1], -1
	s_cbranch_scc1 .LBB320_1641
; %bb.1621:
	s_cmp_lt_i32 s2, 8
	s_cbranch_scc1 .LBB320_1631
; %bb.1622:
	s_cmp_lt_i32 s2, 9
	s_cbranch_scc1 .LBB320_1628
; %bb.1623:
	s_cmp_gt_i32 s2, 9
	s_cbranch_scc0 .LBB320_1625
; %bb.1624:
	v_mov_b32_e32 v2, 0
	v_mov_b32_e32 v3, v2
	global_store_dwordx4 v[16:17], v[0:3], off
	s_mov_b64 s[0:1], 0
.LBB320_1625:
	s_andn2_b64 vcc, exec, s[0:1]
	s_cbranch_vccnz .LBB320_1627
; %bb.1626:
	v_cvt_f32_f64_e32 v2, v[0:1]
	v_mov_b32_e32 v3, 0
	global_store_dwordx2 v[16:17], v[2:3], off
.LBB320_1627:
	s_mov_b64 s[0:1], 0
.LBB320_1628:
	s_andn2_b64 vcc, exec, s[0:1]
	s_cbranch_vccnz .LBB320_1630
; %bb.1629:
	s_movk_i32 s0, 0x1ff
	v_and_or_b32 v2, v1, s0, v0
	v_cmp_ne_u32_e32 vcc, 0, v2
	v_lshrrev_b32_e32 v3, 8, v1
	s_movk_i32 s0, 0xffe
	v_cndmask_b32_e64 v2, 0, 1, vcc
	v_bfe_u32 v15, v1, 20, 11
	v_and_or_b32 v2, v3, s0, v2
	v_sub_u32_e32 v18, 0x3f1, v15
	v_or_b32_e32 v3, 0x1000, v2
	v_med3_i32 v18, v18, 0, 13
	v_lshrrev_b32_e32 v19, v18, v3
	v_lshlrev_b32_e32 v18, v18, v19
	v_cmp_ne_u32_e32 vcc, v18, v3
	v_add_u32_e32 v15, 0xfffffc10, v15
	v_lshl_or_b32 v18, v15, 12, v2
	v_cndmask_b32_e64 v3, 0, 1, vcc
	v_or_b32_e32 v3, v19, v3
	v_cmp_gt_i32_e32 vcc, 1, v15
	s_movk_i32 s0, 0x40f
	s_nop 0
	v_cndmask_b32_e32 v3, v18, v3, vcc
	v_and_b32_e32 v18, 7, v3
	v_cmp_lt_i32_e32 vcc, 5, v18
	v_lshrrev_b32_e32 v3, 2, v3
	s_nop 0
	v_cndmask_b32_e64 v19, 0, 1, vcc
	v_cmp_eq_u32_e32 vcc, 3, v18
	s_nop 1
	v_cndmask_b32_e64 v18, 0, 1, vcc
	v_or_b32_e32 v18, v18, v19
	v_add_u32_e32 v3, v3, v18
	v_mov_b32_e32 v18, 0x7c00
	v_cmp_gt_i32_e32 vcc, 31, v15
	v_mov_b32_e32 v19, 0x7e00
	s_nop 0
	v_cndmask_b32_e32 v3, v18, v3, vcc
	v_cmp_ne_u32_e32 vcc, 0, v2
	s_nop 1
	v_cndmask_b32_e32 v2, v18, v19, vcc
	v_cmp_eq_u32_e32 vcc, s0, v15
	s_mov_b32 s0, 0x8000
	s_nop 0
	v_cndmask_b32_e32 v2, v3, v2, vcc
	v_and_b32_sdwa v3, v1, s0 dst_sel:DWORD dst_unused:UNUSED_PAD src0_sel:WORD_1 src1_sel:DWORD
	s_mov_b32 s0, 0xffff
	v_bitop3_b32 v2, v3, s0, v2 bitop3:0xc8
	global_store_dword v[16:17], v2, off
.LBB320_1630:
	s_mov_b64 s[0:1], 0
.LBB320_1631:
	s_andn2_b64 vcc, exec, s[0:1]
	s_cbranch_vccnz .LBB320_1640
; %bb.1632:
	s_cmp_lt_i32 s2, 6
	s_mov_b64 s[0:1], -1
	s_cbranch_scc1 .LBB320_1638
; %bb.1633:
	s_cmp_gt_i32 s2, 6
	s_cbranch_scc0 .LBB320_1635
; %bb.1634:
	global_store_dwordx2 v[16:17], v[0:1], off
	s_mov_b64 s[0:1], 0
.LBB320_1635:
	s_andn2_b64 vcc, exec, s[0:1]
	s_cbranch_vccnz .LBB320_1637
; %bb.1636:
	v_cvt_f32_f64_e32 v2, v[0:1]
	global_store_dword v[16:17], v2, off
.LBB320_1637:
	s_mov_b64 s[0:1], 0
.LBB320_1638:
	s_andn2_b64 vcc, exec, s[0:1]
	s_cbranch_vccnz .LBB320_1640
; %bb.1639:
	s_movk_i32 s0, 0x1ff
	v_and_or_b32 v2, v1, s0, v0
	v_cmp_ne_u32_e32 vcc, 0, v2
	v_lshrrev_b32_e32 v3, 8, v1
	s_movk_i32 s0, 0xffe
	v_cndmask_b32_e64 v2, 0, 1, vcc
	v_bfe_u32 v15, v1, 20, 11
	v_and_or_b32 v2, v3, s0, v2
	v_sub_u32_e32 v18, 0x3f1, v15
	v_or_b32_e32 v3, 0x1000, v2
	v_med3_i32 v18, v18, 0, 13
	v_lshrrev_b32_e32 v19, v18, v3
	v_lshlrev_b32_e32 v18, v18, v19
	v_cmp_ne_u32_e32 vcc, v18, v3
	v_add_u32_e32 v15, 0xfffffc10, v15
	v_lshl_or_b32 v18, v15, 12, v2
	v_cndmask_b32_e64 v3, 0, 1, vcc
	v_or_b32_e32 v3, v19, v3
	v_cmp_gt_i32_e32 vcc, 1, v15
	s_movk_i32 s0, 0x40f
	s_nop 0
	v_cndmask_b32_e32 v3, v18, v3, vcc
	v_and_b32_e32 v18, 7, v3
	v_cmp_lt_i32_e32 vcc, 5, v18
	v_lshrrev_b32_e32 v3, 2, v3
	s_nop 0
	v_cndmask_b32_e64 v19, 0, 1, vcc
	v_cmp_eq_u32_e32 vcc, 3, v18
	s_nop 1
	v_cndmask_b32_e64 v18, 0, 1, vcc
	v_or_b32_e32 v18, v18, v19
	v_add_u32_e32 v3, v3, v18
	v_mov_b32_e32 v18, 0x7c00
	v_cmp_gt_i32_e32 vcc, 31, v15
	v_mov_b32_e32 v19, 0x7e00
	s_nop 0
	v_cndmask_b32_e32 v3, v18, v3, vcc
	v_cmp_ne_u32_e32 vcc, 0, v2
	s_nop 1
	v_cndmask_b32_e32 v2, v18, v19, vcc
	v_cmp_eq_u32_e32 vcc, s0, v15
	s_mov_b32 s0, 0x8000
	s_nop 0
	v_cndmask_b32_e32 v2, v3, v2, vcc
	v_lshrrev_b32_e32 v3, 16, v1
	v_and_or_b32 v2, v3, s0, v2
	global_store_short v[16:17], v2, off
.LBB320_1640:
	s_mov_b64 s[0:1], 0
.LBB320_1641:
	s_andn2_b64 vcc, exec, s[0:1]
	s_cbranch_vccnz .LBB320_1657
; %bb.1642:
	s_cmp_lt_i32 s2, 2
	s_mov_b64 s[0:1], -1
	s_cbranch_scc1 .LBB320_1652
; %bb.1643:
	s_cmp_lt_i32 s2, 3
	s_cbranch_scc1 .LBB320_1649
; %bb.1644:
	s_cmp_gt_i32 s2, 3
	s_cbranch_scc0 .LBB320_1646
; %bb.1645:
	v_trunc_f64_e32 v[2:3], v[0:1]
	s_movk_i32 s0, 0xffe0
	v_ldexp_f64 v[18:19], v[2:3], s0
	v_floor_f64_e32 v[18:19], v[18:19]
	v_fmac_f64_e32 v[2:3], 0xc1f00000, v[18:19]
	v_cvt_i32_f64_e32 v21, v[18:19]
	v_cvt_u32_f64_e32 v20, v[2:3]
	global_store_dwordx2 v[16:17], v[20:21], off
	s_mov_b64 s[0:1], 0
.LBB320_1646:
	s_andn2_b64 vcc, exec, s[0:1]
	s_cbranch_vccnz .LBB320_1648
; %bb.1647:
	v_cvt_i32_f64_e32 v2, v[0:1]
	global_store_dword v[16:17], v2, off
.LBB320_1648:
	s_mov_b64 s[0:1], 0
.LBB320_1649:
	s_andn2_b64 vcc, exec, s[0:1]
	s_cbranch_vccnz .LBB320_1651
; %bb.1650:
	v_cvt_i32_f64_e32 v2, v[0:1]
	global_store_short v[16:17], v2, off
.LBB320_1651:
	s_mov_b64 s[0:1], 0
.LBB320_1652:
	s_andn2_b64 vcc, exec, s[0:1]
	s_cbranch_vccnz .LBB320_1657
; %bb.1653:
	s_cmp_gt_i32 s2, 0
	s_mov_b64 s[0:1], -1
	s_cbranch_scc0 .LBB320_1655
; %bb.1654:
	v_cvt_i32_f64_e32 v2, v[0:1]
	global_store_byte v[16:17], v2, off
	s_mov_b64 s[0:1], 0
.LBB320_1655:
	s_andn2_b64 vcc, exec, s[0:1]
	s_cbranch_vccnz .LBB320_1657
; %bb.1656:
	v_trunc_f64_e32 v[0:1], v[0:1]
	s_movk_i32 s0, 0xffe0
	v_ldexp_f64 v[2:3], v[0:1], s0
	v_floor_f64_e32 v[2:3], v[2:3]
	v_fmac_f64_e32 v[0:1], 0xc1f00000, v[2:3]
	v_cvt_u32_f64_e32 v0, v[0:1]
	global_store_byte v[16:17], v0, off
.LBB320_1657:
	s_mov_b64 s[6:7], -1
.LBB320_1658:
	s_andn2_b64 vcc, exec, s[6:7]
	s_cbranch_vccnz .LBB320_1973
; %bb.1659:
	v_max_f64 v[0:1], v[8:9], v[8:9]
	v_max_f64 v[0:1], v[0:1], v[10:11]
	v_min_f64 v[0:1], v[0:1], v[12:13]
	v_cmp_u_f64_e32 vcc, v[8:9], v[8:9]
	s_lshl_b32 s12, s12, 7
	s_cmp_lt_i32 s20, 11
	v_cndmask_b32_e32 v0, v0, v8, vcc
	v_add_u32_e32 v8, s12, v14
	v_cndmask_b32_e32 v1, v1, v9, vcc
	v_ashrrev_i32_e32 v9, 31, v8
	v_lshl_add_u64 v[14:15], s[4:5], 0, v[8:9]
	s_cbranch_scc1 .LBB320_1737
; %bb.1660:
	s_and_b32 s13, 0xffff, s20
	s_mov_b64 s[8:9], -1
	s_mov_b64 s[2:3], 0
	s_cmp_gt_i32 s13, 25
	s_mov_b64 s[6:7], 0
	s_mov_b64 s[0:1], 0
	s_cbranch_scc0 .LBB320_1693
; %bb.1661:
	s_cmp_gt_i32 s13, 28
	s_cbranch_scc0 .LBB320_1676
; %bb.1662:
	s_cmp_gt_i32 s13, 43
	;; [unrolled: 3-line block ×3, first 2 shown]
	s_cbranch_scc0 .LBB320_1666
; %bb.1664:
	s_mov_b64 s[0:1], -1
	s_mov_b64 s[8:9], 0
	s_cmp_eq_u32 s13, 46
	s_cbranch_scc0 .LBB320_1666
; %bb.1665:
	v_cvt_f32_f64_e32 v2, v[0:1]
	v_bfe_u32 v3, v2, 16, 1
	s_movk_i32 s0, 0x7fff
	v_add3_u32 v3, v2, v3, s0
	v_cmp_o_f32_e32 vcc, v2, v2
	v_mov_b32_e32 v2, 0x7fc0
	s_mov_b64 s[0:1], 0
	v_cndmask_b32_sdwa v2, v2, v3, vcc dst_sel:DWORD dst_unused:UNUSED_PAD src0_sel:DWORD src1_sel:WORD_1
	global_store_dword v[14:15], v2, off
	s_mov_b64 s[6:7], -1
.LBB320_1666:
	s_and_b64 vcc, exec, s[8:9]
	s_cbranch_vccz .LBB320_1671
; %bb.1667:
	s_cmp_eq_u32 s13, 44
	s_mov_b64 s[0:1], -1
	s_cbranch_scc0 .LBB320_1671
; %bb.1668:
	v_cvt_f32_f64_e32 v2, v[0:1]
	v_bfe_u32 v3, v2, 23, 8
	s_movk_i32 s0, 0xff
	v_cmp_ne_u32_e32 vcc, s0, v3
	v_mov_b32_e32 v9, 0xff
	s_and_saveexec_b64 s[6:7], vcc
; %bb.1669:
	s_mov_b32 s0, 0x3fffff
	v_lshrrev_b32_e32 v9, 23, v2
	v_and_b32_e32 v16, 0x400000, v2
	v_and_or_b32 v2, v2, s0, v3
	v_cmp_ne_u32_e32 vcc, 0, v16
	v_cmp_ne_u32_e64 s[0:1], 0, v2
	s_and_b64 s[0:1], vcc, s[0:1]
	s_nop 0
	v_cndmask_b32_e64 v2, 0, 1, s[0:1]
	v_add_u32_e32 v9, v9, v2
; %bb.1670:
	s_or_b64 exec, exec, s[6:7]
	s_mov_b64 s[0:1], 0
	s_mov_b64 s[6:7], -1
	global_store_byte v[14:15], v9, off
.LBB320_1671:
	s_mov_b64 s[8:9], 0
.LBB320_1672:
	s_and_b64 vcc, exec, s[8:9]
	s_cbranch_vccz .LBB320_1675
; %bb.1673:
	s_cmp_eq_u32 s13, 29
	s_mov_b64 s[0:1], -1
	s_cbranch_scc0 .LBB320_1675
; %bb.1674:
	v_trunc_f64_e32 v[2:3], v[0:1]
	s_movk_i32 s0, 0xffe0
	v_ldexp_f64 v[16:17], v[2:3], s0
	v_floor_f64_e32 v[16:17], v[16:17]
	v_fmac_f64_e32 v[2:3], 0xc1f00000, v[16:17]
	v_cvt_u32_f64_e32 v19, v[16:17]
	v_cvt_u32_f64_e32 v18, v[2:3]
	global_store_dwordx2 v[14:15], v[18:19], off
	s_mov_b64 s[0:1], 0
	s_mov_b64 s[6:7], -1
.LBB320_1675:
	s_mov_b64 s[8:9], 0
.LBB320_1676:
	s_and_b64 vcc, exec, s[8:9]
	s_cbranch_vccz .LBB320_1692
; %bb.1677:
	s_cmp_lt_i32 s13, 27
	s_mov_b64 s[6:7], -1
	s_cbranch_scc1 .LBB320_1683
; %bb.1678:
	s_cmp_gt_i32 s13, 27
	v_cvt_u32_f64_e32 v2, v[0:1]
	s_cbranch_scc0 .LBB320_1680
; %bb.1679:
	s_mov_b64 s[6:7], 0
	global_store_dword v[14:15], v2, off
.LBB320_1680:
	s_andn2_b64 vcc, exec, s[6:7]
	s_cbranch_vccnz .LBB320_1682
; %bb.1681:
	global_store_short v[14:15], v2, off
.LBB320_1682:
	s_mov_b64 s[6:7], 0
.LBB320_1683:
	s_andn2_b64 vcc, exec, s[6:7]
	s_cbranch_vccnz .LBB320_1691
; %bb.1684:
	v_cvt_f32_f64_e32 v2, v[0:1]
	v_and_b32_e32 v3, 0x7fffffff, v2
	s_mov_b32 s6, 0x43800000
	v_cmp_gt_u32_e32 vcc, s6, v3
	v_mov_b32_e32 v9, 0x80
	s_and_saveexec_b64 s[6:7], vcc
	s_cbranch_execz .LBB320_1690
; %bb.1685:
	s_mov_b32 s8, 0x3bffffff
	v_cmp_lt_u32_e32 vcc, s8, v3
	s_mov_b64 s[8:9], 0
                                        ; implicit-def: $vgpr3
	s_and_saveexec_b64 s[10:11], vcc
	s_xor_b64 s[10:11], exec, s[10:11]
	s_cbranch_execz .LBB320_2025
; %bb.1686:
	v_bfe_u32 v3, v2, 20, 1
	s_mov_b32 s21, 0x487ffff
	v_add3_u32 v3, v2, v3, s21
	s_mov_b64 s[8:9], exec
	v_lshrrev_b32_e32 v3, 20, v3
	s_andn2_saveexec_b64 s[10:11], s[10:11]
	s_cbranch_execnz .LBB320_2026
.LBB320_1687:
	s_or_b64 exec, exec, s[10:11]
	v_mov_b32_e32 v9, 0
	s_and_saveexec_b64 s[10:11], s[8:9]
.LBB320_1688:
	v_lshrrev_b32_e32 v2, 24, v2
	s_movk_i32 s8, 0x80
	v_and_or_b32 v9, v2, s8, v3
.LBB320_1689:
	s_or_b64 exec, exec, s[10:11]
.LBB320_1690:
	s_or_b64 exec, exec, s[6:7]
	global_store_byte v[14:15], v9, off
.LBB320_1691:
	s_mov_b64 s[6:7], -1
.LBB320_1692:
	s_mov_b64 s[8:9], 0
.LBB320_1693:
	s_and_b64 vcc, exec, s[8:9]
	s_cbranch_vccz .LBB320_1733
; %bb.1694:
	s_cmp_gt_i32 s13, 22
	s_mov_b64 s[2:3], -1
	s_cbranch_scc0 .LBB320_1726
; %bb.1695:
	s_cmp_lt_i32 s13, 24
	s_cbranch_scc1 .LBB320_1715
; %bb.1696:
	s_cmp_gt_i32 s13, 24
	s_cbranch_scc0 .LBB320_1704
; %bb.1697:
	v_cvt_f32_f64_e32 v2, v[0:1]
	v_and_b32_e32 v3, 0x7fffffff, v2
	s_mov_b32 s2, 0x47800000
	v_cmp_gt_u32_e32 vcc, s2, v3
	v_mov_b32_e32 v9, 0x80
	s_and_saveexec_b64 s[2:3], vcc
	s_cbranch_execz .LBB320_1703
; %bb.1698:
	s_mov_b32 s6, 0x37ffffff
	v_cmp_lt_u32_e32 vcc, s6, v3
	s_mov_b64 s[6:7], 0
                                        ; implicit-def: $vgpr3
	s_and_saveexec_b64 s[8:9], vcc
	s_xor_b64 s[8:9], exec, s[8:9]
	s_cbranch_execz .LBB320_2028
; %bb.1699:
	v_bfe_u32 v3, v2, 21, 1
	s_mov_b32 s10, 0x88fffff
	v_add3_u32 v3, v2, v3, s10
	s_mov_b64 s[6:7], exec
	v_lshrrev_b32_e32 v3, 21, v3
	s_andn2_saveexec_b64 s[8:9], s[8:9]
	s_cbranch_execnz .LBB320_2029
.LBB320_1700:
	s_or_b64 exec, exec, s[8:9]
	v_mov_b32_e32 v9, 0
	s_and_saveexec_b64 s[8:9], s[6:7]
.LBB320_1701:
	v_lshrrev_b32_e32 v2, 24, v2
	s_movk_i32 s6, 0x80
	v_and_or_b32 v9, v2, s6, v3
.LBB320_1702:
	s_or_b64 exec, exec, s[8:9]
.LBB320_1703:
	s_or_b64 exec, exec, s[2:3]
	s_mov_b64 s[2:3], 0
	global_store_byte v[14:15], v9, off
.LBB320_1704:
	s_and_b64 vcc, exec, s[2:3]
	s_cbranch_vccz .LBB320_1714
; %bb.1705:
	v_cvt_f32_f64_e32 v2, v[0:1]
	v_and_b32_e32 v9, 0x7fffffff, v2
	s_mov_b32 s2, 0x43f00000
	v_cmp_gt_u32_e32 vcc, s2, v9
                                        ; implicit-def: $vgpr3
	s_and_saveexec_b64 s[2:3], vcc
	s_xor_b64 s[2:3], exec, s[2:3]
	s_cbranch_execz .LBB320_1711
; %bb.1706:
	s_mov_b32 s6, 0x3c7fffff
	v_cmp_lt_u32_e32 vcc, s6, v9
                                        ; implicit-def: $vgpr3
	s_and_saveexec_b64 s[6:7], vcc
	s_xor_b64 s[6:7], exec, s[6:7]
; %bb.1707:
	v_bfe_u32 v3, v2, 20, 1
	s_mov_b32 s8, 0x407ffff
	v_add3_u32 v3, v2, v3, s8
	v_lshrrev_b32_e32 v9, 20, v3
	v_and_b32_e32 v3, 0xff00000, v3
	s_mov_b32 s8, 0x7f00000
	v_mov_b32_e32 v16, 0x7e
	v_cmp_ne_u32_e32 vcc, s8, v3
	s_nop 1
	v_cndmask_b32_e32 v3, v16, v9, vcc
; %bb.1708:
	s_andn2_saveexec_b64 s[6:7], s[6:7]
; %bb.1709:
	s_mov_b32 s8, 0x46800000
	v_add_f32_e64 v3, |v2|, s8
; %bb.1710:
	s_or_b64 exec, exec, s[6:7]
                                        ; implicit-def: $vgpr9
.LBB320_1711:
	s_andn2_saveexec_b64 s[2:3], s[2:3]
; %bb.1712:
	s_mov_b32 s6, 0x7f800000
	v_mov_b32_e32 v3, 0x7e
	v_mov_b32_e32 v16, 0x7f
	v_cmp_lt_u32_e32 vcc, s6, v9
	s_nop 1
	v_cndmask_b32_e32 v3, v3, v16, vcc
; %bb.1713:
	s_or_b64 exec, exec, s[2:3]
	v_lshrrev_b32_e32 v2, 24, v2
	s_movk_i32 s2, 0x80
	v_and_or_b32 v2, v2, s2, v3
	global_store_byte v[14:15], v2, off
.LBB320_1714:
	s_mov_b64 s[2:3], 0
.LBB320_1715:
	s_andn2_b64 vcc, exec, s[2:3]
	s_cbranch_vccnz .LBB320_1725
; %bb.1716:
	v_cvt_f32_f64_e32 v2, v[0:1]
	v_and_b32_e32 v9, 0x7fffffff, v2
	s_mov_b32 s2, 0x47800000
	v_cmp_gt_u32_e32 vcc, s2, v9
                                        ; implicit-def: $vgpr3
	s_and_saveexec_b64 s[2:3], vcc
	s_xor_b64 s[2:3], exec, s[2:3]
	s_cbranch_execz .LBB320_1722
; %bb.1717:
	s_mov_b32 s6, 0x387fffff
	v_cmp_lt_u32_e32 vcc, s6, v9
                                        ; implicit-def: $vgpr3
	s_and_saveexec_b64 s[6:7], vcc
	s_xor_b64 s[6:7], exec, s[6:7]
; %bb.1718:
	v_bfe_u32 v3, v2, 21, 1
	s_mov_b32 s8, 0x80fffff
	v_add3_u32 v3, v2, v3, s8
	v_lshrrev_b32_e32 v3, 21, v3
; %bb.1719:
	s_andn2_saveexec_b64 s[6:7], s[6:7]
; %bb.1720:
	s_mov_b32 s8, 0x43000000
	v_add_f32_e64 v3, |v2|, s8
; %bb.1721:
	s_or_b64 exec, exec, s[6:7]
                                        ; implicit-def: $vgpr9
.LBB320_1722:
	s_andn2_saveexec_b64 s[2:3], s[2:3]
; %bb.1723:
	s_mov_b32 s6, 0x7f800000
	v_mov_b32_e32 v3, 0x7c
	v_mov_b32_e32 v16, 0x7f
	v_cmp_lt_u32_e32 vcc, s6, v9
	s_nop 1
	v_cndmask_b32_e32 v3, v3, v16, vcc
; %bb.1724:
	s_or_b64 exec, exec, s[2:3]
	v_lshrrev_b32_e32 v2, 24, v2
	s_movk_i32 s2, 0x80
	v_and_or_b32 v2, v2, s2, v3
	global_store_byte v[14:15], v2, off
.LBB320_1725:
	s_mov_b64 s[2:3], 0
	s_mov_b64 s[6:7], -1
.LBB320_1726:
	s_andn2_b64 vcc, exec, s[2:3]
	s_mov_b64 s[2:3], 0
	s_cbranch_vccnz .LBB320_1733
; %bb.1727:
	s_cmp_gt_i32 s13, 14
	s_mov_b64 s[8:9], -1
	s_cbranch_scc0 .LBB320_1731
; %bb.1728:
	s_cmp_eq_u32 s13, 15
	s_mov_b64 s[0:1], -1
	s_cbranch_scc0 .LBB320_1730
; %bb.1729:
	v_cvt_f32_f64_e32 v2, v[0:1]
	v_bfe_u32 v3, v2, 16, 1
	s_movk_i32 s0, 0x7fff
	v_add3_u32 v3, v2, v3, s0
	v_cmp_o_f32_e32 vcc, v2, v2
	v_mov_b32_e32 v2, 0x7fc0
	s_mov_b64 s[0:1], 0
	v_cndmask_b32_sdwa v2, v2, v3, vcc dst_sel:DWORD dst_unused:UNUSED_PAD src0_sel:DWORD src1_sel:WORD_1
	global_store_short v[14:15], v2, off
	s_mov_b64 s[6:7], -1
.LBB320_1730:
	s_mov_b64 s[8:9], 0
.LBB320_1731:
	s_and_b64 vcc, exec, s[8:9]
	s_cbranch_vccz .LBB320_1733
; %bb.1732:
	s_cmp_lg_u32 s13, 11
	s_mov_b64 s[2:3], -1
	s_cselect_b64 s[0:1], -1, 0
.LBB320_1733:
	s_and_b64 vcc, exec, s[0:1]
	s_cbranch_vccnz .LBB320_2027
; %bb.1734:
	s_andn2_b64 vcc, exec, s[2:3]
	s_cbranch_vccnz .LBB320_1736
.LBB320_1735:
	v_cmp_neq_f64_e32 vcc, 0, v[0:1]
	s_mov_b64 s[6:7], -1
	s_nop 0
	v_cndmask_b32_e64 v2, 0, 1, vcc
	global_store_byte v[14:15], v2, off
.LBB320_1736:
	s_mov_b64 s[0:1], 0
	s_branch .LBB320_1738
.LBB320_1737:
	s_mov_b64 s[0:1], -1
	s_mov_b64 s[6:7], 0
.LBB320_1738:
	s_and_b64 vcc, exec, s[0:1]
	s_cbranch_vccz .LBB320_1777
; %bb.1739:
	s_and_b32 s2, 0xffff, s20
	s_cmp_lt_i32 s2, 5
	s_mov_b64 s[0:1], -1
	s_cbranch_scc1 .LBB320_1760
; %bb.1740:
	s_cmp_lt_i32 s2, 8
	s_cbranch_scc1 .LBB320_1750
; %bb.1741:
	s_cmp_lt_i32 s2, 9
	s_cbranch_scc1 .LBB320_1747
; %bb.1742:
	s_cmp_gt_i32 s2, 9
	s_cbranch_scc0 .LBB320_1744
; %bb.1743:
	v_mov_b32_e32 v2, 0
	v_mov_b32_e32 v3, v2
	global_store_dwordx4 v[14:15], v[0:3], off
	s_mov_b64 s[0:1], 0
.LBB320_1744:
	s_andn2_b64 vcc, exec, s[0:1]
	s_cbranch_vccnz .LBB320_1746
; %bb.1745:
	v_cvt_f32_f64_e32 v2, v[0:1]
	v_mov_b32_e32 v3, 0
	global_store_dwordx2 v[14:15], v[2:3], off
.LBB320_1746:
	s_mov_b64 s[0:1], 0
.LBB320_1747:
	s_andn2_b64 vcc, exec, s[0:1]
	s_cbranch_vccnz .LBB320_1749
; %bb.1748:
	s_movk_i32 s0, 0x1ff
	v_and_or_b32 v2, v1, s0, v0
	v_cmp_ne_u32_e32 vcc, 0, v2
	v_lshrrev_b32_e32 v3, 8, v1
	s_movk_i32 s0, 0xffe
	v_cndmask_b32_e64 v2, 0, 1, vcc
	v_bfe_u32 v9, v1, 20, 11
	v_and_or_b32 v2, v3, s0, v2
	v_sub_u32_e32 v16, 0x3f1, v9
	v_or_b32_e32 v3, 0x1000, v2
	v_med3_i32 v16, v16, 0, 13
	v_lshrrev_b32_e32 v17, v16, v3
	v_lshlrev_b32_e32 v16, v16, v17
	v_cmp_ne_u32_e32 vcc, v16, v3
	v_add_u32_e32 v9, 0xfffffc10, v9
	v_lshl_or_b32 v16, v9, 12, v2
	v_cndmask_b32_e64 v3, 0, 1, vcc
	v_or_b32_e32 v3, v17, v3
	v_cmp_gt_i32_e32 vcc, 1, v9
	s_movk_i32 s0, 0x40f
	s_nop 0
	v_cndmask_b32_e32 v3, v16, v3, vcc
	v_and_b32_e32 v16, 7, v3
	v_cmp_lt_i32_e32 vcc, 5, v16
	v_lshrrev_b32_e32 v3, 2, v3
	s_nop 0
	v_cndmask_b32_e64 v17, 0, 1, vcc
	v_cmp_eq_u32_e32 vcc, 3, v16
	s_nop 1
	v_cndmask_b32_e64 v16, 0, 1, vcc
	v_or_b32_e32 v16, v16, v17
	v_add_u32_e32 v3, v3, v16
	v_mov_b32_e32 v16, 0x7c00
	v_cmp_gt_i32_e32 vcc, 31, v9
	v_mov_b32_e32 v17, 0x7e00
	s_nop 0
	v_cndmask_b32_e32 v3, v16, v3, vcc
	v_cmp_ne_u32_e32 vcc, 0, v2
	s_nop 1
	v_cndmask_b32_e32 v2, v16, v17, vcc
	v_cmp_eq_u32_e32 vcc, s0, v9
	s_mov_b32 s0, 0x8000
	s_nop 0
	v_cndmask_b32_e32 v2, v3, v2, vcc
	v_and_b32_sdwa v3, v1, s0 dst_sel:DWORD dst_unused:UNUSED_PAD src0_sel:WORD_1 src1_sel:DWORD
	s_mov_b32 s0, 0xffff
	v_bitop3_b32 v2, v3, s0, v2 bitop3:0xc8
	global_store_dword v[14:15], v2, off
.LBB320_1749:
	s_mov_b64 s[0:1], 0
.LBB320_1750:
	s_andn2_b64 vcc, exec, s[0:1]
	s_cbranch_vccnz .LBB320_1759
; %bb.1751:
	s_cmp_lt_i32 s2, 6
	s_mov_b64 s[0:1], -1
	s_cbranch_scc1 .LBB320_1757
; %bb.1752:
	s_cmp_gt_i32 s2, 6
	s_cbranch_scc0 .LBB320_1754
; %bb.1753:
	global_store_dwordx2 v[14:15], v[0:1], off
	s_mov_b64 s[0:1], 0
.LBB320_1754:
	s_andn2_b64 vcc, exec, s[0:1]
	s_cbranch_vccnz .LBB320_1756
; %bb.1755:
	v_cvt_f32_f64_e32 v2, v[0:1]
	global_store_dword v[14:15], v2, off
.LBB320_1756:
	s_mov_b64 s[0:1], 0
.LBB320_1757:
	s_andn2_b64 vcc, exec, s[0:1]
	s_cbranch_vccnz .LBB320_1759
; %bb.1758:
	s_movk_i32 s0, 0x1ff
	v_and_or_b32 v2, v1, s0, v0
	v_cmp_ne_u32_e32 vcc, 0, v2
	v_lshrrev_b32_e32 v3, 8, v1
	s_movk_i32 s0, 0xffe
	v_cndmask_b32_e64 v2, 0, 1, vcc
	v_bfe_u32 v9, v1, 20, 11
	v_and_or_b32 v2, v3, s0, v2
	v_sub_u32_e32 v16, 0x3f1, v9
	v_or_b32_e32 v3, 0x1000, v2
	v_med3_i32 v16, v16, 0, 13
	v_lshrrev_b32_e32 v17, v16, v3
	v_lshlrev_b32_e32 v16, v16, v17
	v_cmp_ne_u32_e32 vcc, v16, v3
	v_add_u32_e32 v9, 0xfffffc10, v9
	v_lshl_or_b32 v16, v9, 12, v2
	v_cndmask_b32_e64 v3, 0, 1, vcc
	v_or_b32_e32 v3, v17, v3
	v_cmp_gt_i32_e32 vcc, 1, v9
	s_movk_i32 s0, 0x40f
	s_nop 0
	v_cndmask_b32_e32 v3, v16, v3, vcc
	v_and_b32_e32 v16, 7, v3
	v_cmp_lt_i32_e32 vcc, 5, v16
	v_lshrrev_b32_e32 v3, 2, v3
	s_nop 0
	v_cndmask_b32_e64 v17, 0, 1, vcc
	v_cmp_eq_u32_e32 vcc, 3, v16
	s_nop 1
	v_cndmask_b32_e64 v16, 0, 1, vcc
	v_or_b32_e32 v16, v16, v17
	v_add_u32_e32 v3, v3, v16
	v_mov_b32_e32 v16, 0x7c00
	v_cmp_gt_i32_e32 vcc, 31, v9
	v_mov_b32_e32 v17, 0x7e00
	s_nop 0
	v_cndmask_b32_e32 v3, v16, v3, vcc
	v_cmp_ne_u32_e32 vcc, 0, v2
	s_nop 1
	v_cndmask_b32_e32 v2, v16, v17, vcc
	v_cmp_eq_u32_e32 vcc, s0, v9
	s_mov_b32 s0, 0x8000
	s_nop 0
	v_cndmask_b32_e32 v2, v3, v2, vcc
	v_lshrrev_b32_e32 v3, 16, v1
	v_and_or_b32 v2, v3, s0, v2
	global_store_short v[14:15], v2, off
.LBB320_1759:
	s_mov_b64 s[0:1], 0
.LBB320_1760:
	s_andn2_b64 vcc, exec, s[0:1]
	s_cbranch_vccnz .LBB320_1776
; %bb.1761:
	s_cmp_lt_i32 s2, 2
	s_mov_b64 s[0:1], -1
	s_cbranch_scc1 .LBB320_1771
; %bb.1762:
	s_cmp_lt_i32 s2, 3
	s_cbranch_scc1 .LBB320_1768
; %bb.1763:
	s_cmp_gt_i32 s2, 3
	s_cbranch_scc0 .LBB320_1765
; %bb.1764:
	v_trunc_f64_e32 v[2:3], v[0:1]
	s_movk_i32 s0, 0xffe0
	v_ldexp_f64 v[16:17], v[2:3], s0
	v_floor_f64_e32 v[16:17], v[16:17]
	v_fmac_f64_e32 v[2:3], 0xc1f00000, v[16:17]
	v_cvt_i32_f64_e32 v19, v[16:17]
	v_cvt_u32_f64_e32 v18, v[2:3]
	global_store_dwordx2 v[14:15], v[18:19], off
	s_mov_b64 s[0:1], 0
.LBB320_1765:
	s_andn2_b64 vcc, exec, s[0:1]
	s_cbranch_vccnz .LBB320_1767
; %bb.1766:
	v_cvt_i32_f64_e32 v2, v[0:1]
	global_store_dword v[14:15], v2, off
.LBB320_1767:
	s_mov_b64 s[0:1], 0
.LBB320_1768:
	s_andn2_b64 vcc, exec, s[0:1]
	s_cbranch_vccnz .LBB320_1770
; %bb.1769:
	v_cvt_i32_f64_e32 v2, v[0:1]
	global_store_short v[14:15], v2, off
.LBB320_1770:
	s_mov_b64 s[0:1], 0
.LBB320_1771:
	s_andn2_b64 vcc, exec, s[0:1]
	s_cbranch_vccnz .LBB320_1776
; %bb.1772:
	s_cmp_gt_i32 s2, 0
	s_mov_b64 s[0:1], -1
	s_cbranch_scc0 .LBB320_1774
; %bb.1773:
	v_cvt_i32_f64_e32 v2, v[0:1]
	global_store_byte v[14:15], v2, off
	s_mov_b64 s[0:1], 0
.LBB320_1774:
	s_andn2_b64 vcc, exec, s[0:1]
	s_cbranch_vccnz .LBB320_1776
; %bb.1775:
	v_trunc_f64_e32 v[0:1], v[0:1]
	s_movk_i32 s0, 0xffe0
	v_ldexp_f64 v[2:3], v[0:1], s0
	v_floor_f64_e32 v[2:3], v[2:3]
	v_fmac_f64_e32 v[0:1], 0xc1f00000, v[2:3]
	v_cvt_u32_f64_e32 v0, v[0:1]
	global_store_byte v[14:15], v0, off
.LBB320_1776:
	s_mov_b64 s[6:7], -1
.LBB320_1777:
	s_andn2_b64 vcc, exec, s[6:7]
	s_cbranch_vccnz .LBB320_1973
; %bb.1778:
	v_max_f64 v[0:1], v[6:7], v[6:7]
	v_max_f64 v[0:1], v[0:1], v[10:11]
	v_min_f64 v[0:1], v[0:1], v[12:13]
	v_cmp_u_f64_e32 vcc, v[6:7], v[6:7]
	s_cmp_lt_i32 s20, 11
	s_nop 0
	v_cndmask_b32_e32 v0, v0, v6, vcc
	v_add_u32_e32 v6, s12, v8
	v_cndmask_b32_e32 v1, v1, v7, vcc
	v_ashrrev_i32_e32 v7, 31, v6
	v_lshl_add_u64 v[8:9], s[4:5], 0, v[6:7]
	s_cbranch_scc1 .LBB320_1856
; %bb.1779:
	s_and_b32 s13, 0xffff, s20
	s_mov_b64 s[8:9], -1
	s_mov_b64 s[2:3], 0
	s_cmp_gt_i32 s13, 25
	s_mov_b64 s[6:7], 0
	s_mov_b64 s[0:1], 0
	s_cbranch_scc0 .LBB320_1812
; %bb.1780:
	s_cmp_gt_i32 s13, 28
	s_cbranch_scc0 .LBB320_1795
; %bb.1781:
	s_cmp_gt_i32 s13, 43
	;; [unrolled: 3-line block ×3, first 2 shown]
	s_cbranch_scc0 .LBB320_1785
; %bb.1783:
	s_mov_b64 s[0:1], -1
	s_mov_b64 s[8:9], 0
	s_cmp_eq_u32 s13, 46
	s_cbranch_scc0 .LBB320_1785
; %bb.1784:
	v_cvt_f32_f64_e32 v2, v[0:1]
	v_bfe_u32 v3, v2, 16, 1
	s_movk_i32 s0, 0x7fff
	v_add3_u32 v3, v2, v3, s0
	v_cmp_o_f32_e32 vcc, v2, v2
	v_mov_b32_e32 v2, 0x7fc0
	s_mov_b64 s[0:1], 0
	v_cndmask_b32_sdwa v2, v2, v3, vcc dst_sel:DWORD dst_unused:UNUSED_PAD src0_sel:DWORD src1_sel:WORD_1
	global_store_dword v[8:9], v2, off
	s_mov_b64 s[6:7], -1
.LBB320_1785:
	s_and_b64 vcc, exec, s[8:9]
	s_cbranch_vccz .LBB320_1790
; %bb.1786:
	s_cmp_eq_u32 s13, 44
	s_mov_b64 s[0:1], -1
	s_cbranch_scc0 .LBB320_1790
; %bb.1787:
	v_cvt_f32_f64_e32 v2, v[0:1]
	v_bfe_u32 v3, v2, 23, 8
	s_movk_i32 s0, 0xff
	v_cmp_ne_u32_e32 vcc, s0, v3
	v_mov_b32_e32 v7, 0xff
	s_and_saveexec_b64 s[6:7], vcc
; %bb.1788:
	s_mov_b32 s0, 0x3fffff
	v_lshrrev_b32_e32 v7, 23, v2
	v_and_b32_e32 v14, 0x400000, v2
	v_and_or_b32 v2, v2, s0, v3
	v_cmp_ne_u32_e32 vcc, 0, v14
	v_cmp_ne_u32_e64 s[0:1], 0, v2
	s_and_b64 s[0:1], vcc, s[0:1]
	s_nop 0
	v_cndmask_b32_e64 v2, 0, 1, s[0:1]
	v_add_u32_e32 v7, v7, v2
; %bb.1789:
	s_or_b64 exec, exec, s[6:7]
	s_mov_b64 s[0:1], 0
	s_mov_b64 s[6:7], -1
	global_store_byte v[8:9], v7, off
.LBB320_1790:
	s_mov_b64 s[8:9], 0
.LBB320_1791:
	s_and_b64 vcc, exec, s[8:9]
	s_cbranch_vccz .LBB320_1794
; %bb.1792:
	s_cmp_eq_u32 s13, 29
	s_mov_b64 s[0:1], -1
	s_cbranch_scc0 .LBB320_1794
; %bb.1793:
	v_trunc_f64_e32 v[2:3], v[0:1]
	s_movk_i32 s0, 0xffe0
	v_ldexp_f64 v[14:15], v[2:3], s0
	v_floor_f64_e32 v[14:15], v[14:15]
	v_fmac_f64_e32 v[2:3], 0xc1f00000, v[14:15]
	v_cvt_u32_f64_e32 v17, v[14:15]
	v_cvt_u32_f64_e32 v16, v[2:3]
	global_store_dwordx2 v[8:9], v[16:17], off
	s_mov_b64 s[0:1], 0
	s_mov_b64 s[6:7], -1
.LBB320_1794:
	s_mov_b64 s[8:9], 0
.LBB320_1795:
	s_and_b64 vcc, exec, s[8:9]
	s_cbranch_vccz .LBB320_1811
; %bb.1796:
	s_cmp_lt_i32 s13, 27
	s_mov_b64 s[6:7], -1
	s_cbranch_scc1 .LBB320_1802
; %bb.1797:
	s_cmp_gt_i32 s13, 27
	v_cvt_u32_f64_e32 v2, v[0:1]
	s_cbranch_scc0 .LBB320_1799
; %bb.1798:
	s_mov_b64 s[6:7], 0
	global_store_dword v[8:9], v2, off
.LBB320_1799:
	s_andn2_b64 vcc, exec, s[6:7]
	s_cbranch_vccnz .LBB320_1801
; %bb.1800:
	global_store_short v[8:9], v2, off
.LBB320_1801:
	s_mov_b64 s[6:7], 0
.LBB320_1802:
	s_andn2_b64 vcc, exec, s[6:7]
	s_cbranch_vccnz .LBB320_1810
; %bb.1803:
	v_cvt_f32_f64_e32 v2, v[0:1]
	v_and_b32_e32 v3, 0x7fffffff, v2
	s_mov_b32 s6, 0x43800000
	v_cmp_gt_u32_e32 vcc, s6, v3
	v_mov_b32_e32 v7, 0x80
	s_and_saveexec_b64 s[6:7], vcc
	s_cbranch_execz .LBB320_1809
; %bb.1804:
	s_mov_b32 s8, 0x3bffffff
	v_cmp_lt_u32_e32 vcc, s8, v3
	s_mov_b64 s[8:9], 0
                                        ; implicit-def: $vgpr3
	s_and_saveexec_b64 s[10:11], vcc
	s_xor_b64 s[10:11], exec, s[10:11]
	s_cbranch_execz .LBB320_2030
; %bb.1805:
	v_bfe_u32 v3, v2, 20, 1
	s_mov_b32 s21, 0x487ffff
	v_add3_u32 v3, v2, v3, s21
	s_mov_b64 s[8:9], exec
	v_lshrrev_b32_e32 v3, 20, v3
	s_andn2_saveexec_b64 s[10:11], s[10:11]
	s_cbranch_execnz .LBB320_2031
.LBB320_1806:
	s_or_b64 exec, exec, s[10:11]
	v_mov_b32_e32 v7, 0
	s_and_saveexec_b64 s[10:11], s[8:9]
.LBB320_1807:
	v_lshrrev_b32_e32 v2, 24, v2
	s_movk_i32 s8, 0x80
	v_and_or_b32 v7, v2, s8, v3
.LBB320_1808:
	s_or_b64 exec, exec, s[10:11]
.LBB320_1809:
	s_or_b64 exec, exec, s[6:7]
	global_store_byte v[8:9], v7, off
.LBB320_1810:
	s_mov_b64 s[6:7], -1
.LBB320_1811:
	s_mov_b64 s[8:9], 0
.LBB320_1812:
	s_and_b64 vcc, exec, s[8:9]
	s_cbranch_vccz .LBB320_1852
; %bb.1813:
	s_cmp_gt_i32 s13, 22
	s_mov_b64 s[2:3], -1
	s_cbranch_scc0 .LBB320_1845
; %bb.1814:
	s_cmp_lt_i32 s13, 24
	s_cbranch_scc1 .LBB320_1834
; %bb.1815:
	s_cmp_gt_i32 s13, 24
	s_cbranch_scc0 .LBB320_1823
; %bb.1816:
	v_cvt_f32_f64_e32 v2, v[0:1]
	v_and_b32_e32 v3, 0x7fffffff, v2
	s_mov_b32 s2, 0x47800000
	v_cmp_gt_u32_e32 vcc, s2, v3
	v_mov_b32_e32 v7, 0x80
	s_and_saveexec_b64 s[2:3], vcc
	s_cbranch_execz .LBB320_1822
; %bb.1817:
	s_mov_b32 s6, 0x37ffffff
	v_cmp_lt_u32_e32 vcc, s6, v3
	s_mov_b64 s[6:7], 0
                                        ; implicit-def: $vgpr3
	s_and_saveexec_b64 s[8:9], vcc
	s_xor_b64 s[8:9], exec, s[8:9]
	s_cbranch_execz .LBB320_2033
; %bb.1818:
	v_bfe_u32 v3, v2, 21, 1
	s_mov_b32 s10, 0x88fffff
	v_add3_u32 v3, v2, v3, s10
	s_mov_b64 s[6:7], exec
	v_lshrrev_b32_e32 v3, 21, v3
	s_andn2_saveexec_b64 s[8:9], s[8:9]
	s_cbranch_execnz .LBB320_2034
.LBB320_1819:
	s_or_b64 exec, exec, s[8:9]
	v_mov_b32_e32 v7, 0
	s_and_saveexec_b64 s[8:9], s[6:7]
.LBB320_1820:
	v_lshrrev_b32_e32 v2, 24, v2
	s_movk_i32 s6, 0x80
	v_and_or_b32 v7, v2, s6, v3
.LBB320_1821:
	s_or_b64 exec, exec, s[8:9]
.LBB320_1822:
	s_or_b64 exec, exec, s[2:3]
	s_mov_b64 s[2:3], 0
	global_store_byte v[8:9], v7, off
.LBB320_1823:
	s_and_b64 vcc, exec, s[2:3]
	s_cbranch_vccz .LBB320_1833
; %bb.1824:
	v_cvt_f32_f64_e32 v2, v[0:1]
	v_and_b32_e32 v7, 0x7fffffff, v2
	s_mov_b32 s2, 0x43f00000
	v_cmp_gt_u32_e32 vcc, s2, v7
                                        ; implicit-def: $vgpr3
	s_and_saveexec_b64 s[2:3], vcc
	s_xor_b64 s[2:3], exec, s[2:3]
	s_cbranch_execz .LBB320_1830
; %bb.1825:
	s_mov_b32 s6, 0x3c7fffff
	v_cmp_lt_u32_e32 vcc, s6, v7
                                        ; implicit-def: $vgpr3
	s_and_saveexec_b64 s[6:7], vcc
	s_xor_b64 s[6:7], exec, s[6:7]
; %bb.1826:
	v_bfe_u32 v3, v2, 20, 1
	s_mov_b32 s8, 0x407ffff
	v_add3_u32 v3, v2, v3, s8
	v_lshrrev_b32_e32 v7, 20, v3
	v_and_b32_e32 v3, 0xff00000, v3
	s_mov_b32 s8, 0x7f00000
	v_mov_b32_e32 v14, 0x7e
	v_cmp_ne_u32_e32 vcc, s8, v3
	s_nop 1
	v_cndmask_b32_e32 v3, v14, v7, vcc
; %bb.1827:
	s_andn2_saveexec_b64 s[6:7], s[6:7]
; %bb.1828:
	s_mov_b32 s8, 0x46800000
	v_add_f32_e64 v3, |v2|, s8
; %bb.1829:
	s_or_b64 exec, exec, s[6:7]
                                        ; implicit-def: $vgpr7
.LBB320_1830:
	s_andn2_saveexec_b64 s[2:3], s[2:3]
; %bb.1831:
	s_mov_b32 s6, 0x7f800000
	v_mov_b32_e32 v3, 0x7e
	v_mov_b32_e32 v14, 0x7f
	v_cmp_lt_u32_e32 vcc, s6, v7
	s_nop 1
	v_cndmask_b32_e32 v3, v3, v14, vcc
; %bb.1832:
	s_or_b64 exec, exec, s[2:3]
	v_lshrrev_b32_e32 v2, 24, v2
	s_movk_i32 s2, 0x80
	v_and_or_b32 v2, v2, s2, v3
	global_store_byte v[8:9], v2, off
.LBB320_1833:
	s_mov_b64 s[2:3], 0
.LBB320_1834:
	s_andn2_b64 vcc, exec, s[2:3]
	s_cbranch_vccnz .LBB320_1844
; %bb.1835:
	v_cvt_f32_f64_e32 v2, v[0:1]
	v_and_b32_e32 v7, 0x7fffffff, v2
	s_mov_b32 s2, 0x47800000
	v_cmp_gt_u32_e32 vcc, s2, v7
                                        ; implicit-def: $vgpr3
	s_and_saveexec_b64 s[2:3], vcc
	s_xor_b64 s[2:3], exec, s[2:3]
	s_cbranch_execz .LBB320_1841
; %bb.1836:
	s_mov_b32 s6, 0x387fffff
	v_cmp_lt_u32_e32 vcc, s6, v7
                                        ; implicit-def: $vgpr3
	s_and_saveexec_b64 s[6:7], vcc
	s_xor_b64 s[6:7], exec, s[6:7]
; %bb.1837:
	v_bfe_u32 v3, v2, 21, 1
	s_mov_b32 s8, 0x80fffff
	v_add3_u32 v3, v2, v3, s8
	v_lshrrev_b32_e32 v3, 21, v3
; %bb.1838:
	s_andn2_saveexec_b64 s[6:7], s[6:7]
; %bb.1839:
	s_mov_b32 s8, 0x43000000
	v_add_f32_e64 v3, |v2|, s8
; %bb.1840:
	s_or_b64 exec, exec, s[6:7]
                                        ; implicit-def: $vgpr7
.LBB320_1841:
	s_andn2_saveexec_b64 s[2:3], s[2:3]
; %bb.1842:
	s_mov_b32 s6, 0x7f800000
	v_mov_b32_e32 v3, 0x7c
	v_mov_b32_e32 v14, 0x7f
	v_cmp_lt_u32_e32 vcc, s6, v7
	s_nop 1
	v_cndmask_b32_e32 v3, v3, v14, vcc
; %bb.1843:
	s_or_b64 exec, exec, s[2:3]
	v_lshrrev_b32_e32 v2, 24, v2
	s_movk_i32 s2, 0x80
	v_and_or_b32 v2, v2, s2, v3
	global_store_byte v[8:9], v2, off
.LBB320_1844:
	s_mov_b64 s[2:3], 0
	s_mov_b64 s[6:7], -1
.LBB320_1845:
	s_andn2_b64 vcc, exec, s[2:3]
	s_mov_b64 s[2:3], 0
	s_cbranch_vccnz .LBB320_1852
; %bb.1846:
	s_cmp_gt_i32 s13, 14
	s_mov_b64 s[8:9], -1
	s_cbranch_scc0 .LBB320_1850
; %bb.1847:
	s_cmp_eq_u32 s13, 15
	s_mov_b64 s[0:1], -1
	s_cbranch_scc0 .LBB320_1849
; %bb.1848:
	v_cvt_f32_f64_e32 v2, v[0:1]
	v_bfe_u32 v3, v2, 16, 1
	s_movk_i32 s0, 0x7fff
	v_add3_u32 v3, v2, v3, s0
	v_cmp_o_f32_e32 vcc, v2, v2
	v_mov_b32_e32 v2, 0x7fc0
	s_mov_b64 s[0:1], 0
	v_cndmask_b32_sdwa v2, v2, v3, vcc dst_sel:DWORD dst_unused:UNUSED_PAD src0_sel:DWORD src1_sel:WORD_1
	global_store_short v[8:9], v2, off
	s_mov_b64 s[6:7], -1
.LBB320_1849:
	s_mov_b64 s[8:9], 0
.LBB320_1850:
	s_and_b64 vcc, exec, s[8:9]
	s_cbranch_vccz .LBB320_1852
; %bb.1851:
	s_cmp_lg_u32 s13, 11
	s_mov_b64 s[2:3], -1
	s_cselect_b64 s[0:1], -1, 0
.LBB320_1852:
	s_and_b64 vcc, exec, s[0:1]
	s_cbranch_vccnz .LBB320_2032
; %bb.1853:
	s_andn2_b64 vcc, exec, s[2:3]
	s_cbranch_vccnz .LBB320_1855
.LBB320_1854:
	v_cmp_neq_f64_e32 vcc, 0, v[0:1]
	s_mov_b64 s[6:7], -1
	s_nop 0
	v_cndmask_b32_e64 v2, 0, 1, vcc
	global_store_byte v[8:9], v2, off
.LBB320_1855:
	s_mov_b64 s[0:1], 0
	s_branch .LBB320_1857
.LBB320_1856:
	s_mov_b64 s[0:1], -1
	s_mov_b64 s[6:7], 0
.LBB320_1857:
	s_and_b64 vcc, exec, s[0:1]
	s_cbranch_vccz .LBB320_1896
; %bb.1858:
	s_and_b32 s2, 0xffff, s20
	s_cmp_lt_i32 s2, 5
	s_mov_b64 s[0:1], -1
	s_cbranch_scc1 .LBB320_1879
; %bb.1859:
	s_cmp_lt_i32 s2, 8
	s_cbranch_scc1 .LBB320_1869
; %bb.1860:
	s_cmp_lt_i32 s2, 9
	s_cbranch_scc1 .LBB320_1866
; %bb.1861:
	s_cmp_gt_i32 s2, 9
	s_cbranch_scc0 .LBB320_1863
; %bb.1862:
	v_mov_b32_e32 v2, 0
	v_mov_b32_e32 v3, v2
	global_store_dwordx4 v[8:9], v[0:3], off
	s_mov_b64 s[0:1], 0
.LBB320_1863:
	s_andn2_b64 vcc, exec, s[0:1]
	s_cbranch_vccnz .LBB320_1865
; %bb.1864:
	v_cvt_f32_f64_e32 v2, v[0:1]
	v_mov_b32_e32 v3, 0
	global_store_dwordx2 v[8:9], v[2:3], off
.LBB320_1865:
	s_mov_b64 s[0:1], 0
.LBB320_1866:
	s_andn2_b64 vcc, exec, s[0:1]
	s_cbranch_vccnz .LBB320_1868
; %bb.1867:
	s_movk_i32 s0, 0x1ff
	v_and_or_b32 v2, v1, s0, v0
	v_cmp_ne_u32_e32 vcc, 0, v2
	v_lshrrev_b32_e32 v3, 8, v1
	s_movk_i32 s0, 0xffe
	v_cndmask_b32_e64 v2, 0, 1, vcc
	v_bfe_u32 v7, v1, 20, 11
	v_and_or_b32 v2, v3, s0, v2
	v_sub_u32_e32 v14, 0x3f1, v7
	v_or_b32_e32 v3, 0x1000, v2
	v_med3_i32 v14, v14, 0, 13
	v_lshrrev_b32_e32 v15, v14, v3
	v_lshlrev_b32_e32 v14, v14, v15
	v_cmp_ne_u32_e32 vcc, v14, v3
	v_add_u32_e32 v7, 0xfffffc10, v7
	v_lshl_or_b32 v14, v7, 12, v2
	v_cndmask_b32_e64 v3, 0, 1, vcc
	v_or_b32_e32 v3, v15, v3
	v_cmp_gt_i32_e32 vcc, 1, v7
	s_movk_i32 s0, 0x40f
	s_nop 0
	v_cndmask_b32_e32 v3, v14, v3, vcc
	v_and_b32_e32 v14, 7, v3
	v_cmp_lt_i32_e32 vcc, 5, v14
	v_lshrrev_b32_e32 v3, 2, v3
	s_nop 0
	v_cndmask_b32_e64 v15, 0, 1, vcc
	v_cmp_eq_u32_e32 vcc, 3, v14
	s_nop 1
	v_cndmask_b32_e64 v14, 0, 1, vcc
	v_or_b32_e32 v14, v14, v15
	v_add_u32_e32 v3, v3, v14
	v_mov_b32_e32 v14, 0x7c00
	v_cmp_gt_i32_e32 vcc, 31, v7
	v_mov_b32_e32 v15, 0x7e00
	s_nop 0
	v_cndmask_b32_e32 v3, v14, v3, vcc
	v_cmp_ne_u32_e32 vcc, 0, v2
	s_nop 1
	v_cndmask_b32_e32 v2, v14, v15, vcc
	v_cmp_eq_u32_e32 vcc, s0, v7
	s_mov_b32 s0, 0x8000
	s_nop 0
	v_cndmask_b32_e32 v2, v3, v2, vcc
	v_and_b32_sdwa v3, v1, s0 dst_sel:DWORD dst_unused:UNUSED_PAD src0_sel:WORD_1 src1_sel:DWORD
	s_mov_b32 s0, 0xffff
	v_bitop3_b32 v2, v3, s0, v2 bitop3:0xc8
	global_store_dword v[8:9], v2, off
.LBB320_1868:
	s_mov_b64 s[0:1], 0
.LBB320_1869:
	s_andn2_b64 vcc, exec, s[0:1]
	s_cbranch_vccnz .LBB320_1878
; %bb.1870:
	s_cmp_lt_i32 s2, 6
	s_mov_b64 s[0:1], -1
	s_cbranch_scc1 .LBB320_1876
; %bb.1871:
	s_cmp_gt_i32 s2, 6
	s_cbranch_scc0 .LBB320_1873
; %bb.1872:
	global_store_dwordx2 v[8:9], v[0:1], off
	s_mov_b64 s[0:1], 0
.LBB320_1873:
	s_andn2_b64 vcc, exec, s[0:1]
	s_cbranch_vccnz .LBB320_1875
; %bb.1874:
	v_cvt_f32_f64_e32 v2, v[0:1]
	global_store_dword v[8:9], v2, off
.LBB320_1875:
	s_mov_b64 s[0:1], 0
.LBB320_1876:
	s_andn2_b64 vcc, exec, s[0:1]
	s_cbranch_vccnz .LBB320_1878
; %bb.1877:
	s_movk_i32 s0, 0x1ff
	v_and_or_b32 v2, v1, s0, v0
	v_cmp_ne_u32_e32 vcc, 0, v2
	v_lshrrev_b32_e32 v3, 8, v1
	s_movk_i32 s0, 0xffe
	v_cndmask_b32_e64 v2, 0, 1, vcc
	v_bfe_u32 v7, v1, 20, 11
	v_and_or_b32 v2, v3, s0, v2
	v_sub_u32_e32 v14, 0x3f1, v7
	v_or_b32_e32 v3, 0x1000, v2
	v_med3_i32 v14, v14, 0, 13
	v_lshrrev_b32_e32 v15, v14, v3
	v_lshlrev_b32_e32 v14, v14, v15
	v_cmp_ne_u32_e32 vcc, v14, v3
	v_add_u32_e32 v7, 0xfffffc10, v7
	v_lshl_or_b32 v14, v7, 12, v2
	v_cndmask_b32_e64 v3, 0, 1, vcc
	v_or_b32_e32 v3, v15, v3
	v_cmp_gt_i32_e32 vcc, 1, v7
	s_movk_i32 s0, 0x40f
	s_nop 0
	v_cndmask_b32_e32 v3, v14, v3, vcc
	v_and_b32_e32 v14, 7, v3
	v_cmp_lt_i32_e32 vcc, 5, v14
	v_lshrrev_b32_e32 v3, 2, v3
	s_nop 0
	v_cndmask_b32_e64 v15, 0, 1, vcc
	v_cmp_eq_u32_e32 vcc, 3, v14
	s_nop 1
	v_cndmask_b32_e64 v14, 0, 1, vcc
	v_or_b32_e32 v14, v14, v15
	v_add_u32_e32 v3, v3, v14
	v_mov_b32_e32 v14, 0x7c00
	v_cmp_gt_i32_e32 vcc, 31, v7
	v_mov_b32_e32 v15, 0x7e00
	s_nop 0
	v_cndmask_b32_e32 v3, v14, v3, vcc
	v_cmp_ne_u32_e32 vcc, 0, v2
	s_nop 1
	v_cndmask_b32_e32 v2, v14, v15, vcc
	v_cmp_eq_u32_e32 vcc, s0, v7
	s_mov_b32 s0, 0x8000
	s_nop 0
	v_cndmask_b32_e32 v2, v3, v2, vcc
	v_lshrrev_b32_e32 v3, 16, v1
	v_and_or_b32 v2, v3, s0, v2
	global_store_short v[8:9], v2, off
.LBB320_1878:
	s_mov_b64 s[0:1], 0
.LBB320_1879:
	s_andn2_b64 vcc, exec, s[0:1]
	s_cbranch_vccnz .LBB320_1895
; %bb.1880:
	s_cmp_lt_i32 s2, 2
	s_mov_b64 s[0:1], -1
	s_cbranch_scc1 .LBB320_1890
; %bb.1881:
	s_cmp_lt_i32 s2, 3
	s_cbranch_scc1 .LBB320_1887
; %bb.1882:
	s_cmp_gt_i32 s2, 3
	s_cbranch_scc0 .LBB320_1884
; %bb.1883:
	v_trunc_f64_e32 v[2:3], v[0:1]
	s_movk_i32 s0, 0xffe0
	v_ldexp_f64 v[14:15], v[2:3], s0
	v_floor_f64_e32 v[14:15], v[14:15]
	v_fmac_f64_e32 v[2:3], 0xc1f00000, v[14:15]
	v_cvt_i32_f64_e32 v17, v[14:15]
	v_cvt_u32_f64_e32 v16, v[2:3]
	global_store_dwordx2 v[8:9], v[16:17], off
	s_mov_b64 s[0:1], 0
.LBB320_1884:
	s_andn2_b64 vcc, exec, s[0:1]
	s_cbranch_vccnz .LBB320_1886
; %bb.1885:
	v_cvt_i32_f64_e32 v2, v[0:1]
	global_store_dword v[8:9], v2, off
.LBB320_1886:
	s_mov_b64 s[0:1], 0
.LBB320_1887:
	s_andn2_b64 vcc, exec, s[0:1]
	s_cbranch_vccnz .LBB320_1889
; %bb.1888:
	v_cvt_i32_f64_e32 v2, v[0:1]
	global_store_short v[8:9], v2, off
.LBB320_1889:
	s_mov_b64 s[0:1], 0
.LBB320_1890:
	s_andn2_b64 vcc, exec, s[0:1]
	s_cbranch_vccnz .LBB320_1895
; %bb.1891:
	s_cmp_gt_i32 s2, 0
	s_mov_b64 s[0:1], -1
	s_cbranch_scc0 .LBB320_1893
; %bb.1892:
	v_cvt_i32_f64_e32 v2, v[0:1]
	global_store_byte v[8:9], v2, off
	s_mov_b64 s[0:1], 0
.LBB320_1893:
	s_andn2_b64 vcc, exec, s[0:1]
	s_cbranch_vccnz .LBB320_1895
; %bb.1894:
	v_trunc_f64_e32 v[0:1], v[0:1]
	s_movk_i32 s0, 0xffe0
	v_ldexp_f64 v[2:3], v[0:1], s0
	v_floor_f64_e32 v[2:3], v[2:3]
	v_fmac_f64_e32 v[0:1], 0xc1f00000, v[2:3]
	v_cvt_u32_f64_e32 v0, v[0:1]
	global_store_byte v[8:9], v0, off
.LBB320_1895:
	s_mov_b64 s[6:7], -1
.LBB320_1896:
	s_andn2_b64 vcc, exec, s[6:7]
	s_cbranch_vccnz .LBB320_1973
; %bb.1897:
	v_max_f64 v[0:1], v[4:5], v[4:5]
	v_max_f64 v[0:1], v[0:1], v[10:11]
	v_add_u32_e32 v2, s12, v6
	v_min_f64 v[0:1], v[0:1], v[12:13]
	v_cmp_u_f64_e32 vcc, v[4:5], v[4:5]
	v_ashrrev_i32_e32 v3, 31, v2
	s_cmp_lt_i32 s20, 11
	v_cndmask_b32_e32 v1, v1, v5, vcc
	v_cndmask_b32_e32 v0, v0, v4, vcc
	v_lshl_add_u64 v[4:5], s[4:5], 0, v[2:3]
	s_cbranch_scc1 .LBB320_2018
; %bb.1898:
	s_and_b32 s10, 0xffff, s20
	s_mov_b64 s[4:5], -1
	s_mov_b64 s[2:3], 0
	s_cmp_gt_i32 s10, 25
	s_mov_b64 s[0:1], 0
	s_cbranch_scc0 .LBB320_1931
; %bb.1899:
	s_cmp_gt_i32 s10, 28
	s_cbranch_scc0 .LBB320_1915
; %bb.1900:
	s_cmp_gt_i32 s10, 43
	;; [unrolled: 3-line block ×3, first 2 shown]
	s_cbranch_scc0 .LBB320_1905
; %bb.1902:
	s_cmp_eq_u32 s10, 46
	s_mov_b64 s[0:1], -1
	s_cbranch_scc0 .LBB320_1904
; %bb.1903:
	v_cvt_f32_f64_e32 v2, v[0:1]
	v_bfe_u32 v3, v2, 16, 1
	s_movk_i32 s0, 0x7fff
	v_add3_u32 v3, v2, v3, s0
	v_cmp_o_f32_e32 vcc, v2, v2
	v_mov_b32_e32 v2, 0x7fc0
	s_mov_b64 s[0:1], 0
	v_cndmask_b32_sdwa v2, v2, v3, vcc dst_sel:DWORD dst_unused:UNUSED_PAD src0_sel:DWORD src1_sel:WORD_1
	global_store_dword v[4:5], v2, off
.LBB320_1904:
	s_mov_b64 s[4:5], 0
.LBB320_1905:
	s_and_b64 vcc, exec, s[4:5]
	s_cbranch_vccz .LBB320_1910
; %bb.1906:
	s_cmp_eq_u32 s10, 44
	s_mov_b64 s[0:1], -1
	s_cbranch_scc0 .LBB320_1910
; %bb.1907:
	v_cvt_f32_f64_e32 v2, v[0:1]
	v_bfe_u32 v3, v2, 23, 8
	s_movk_i32 s0, 0xff
	v_cmp_ne_u32_e32 vcc, s0, v3
	v_mov_b32_e32 v6, 0xff
	s_and_saveexec_b64 s[4:5], vcc
; %bb.1908:
	s_mov_b32 s0, 0x3fffff
	v_lshrrev_b32_e32 v6, 23, v2
	v_and_b32_e32 v7, 0x400000, v2
	v_and_or_b32 v2, v2, s0, v3
	v_cmp_ne_u32_e32 vcc, 0, v7
	v_cmp_ne_u32_e64 s[0:1], 0, v2
	s_and_b64 s[0:1], vcc, s[0:1]
	s_nop 0
	v_cndmask_b32_e64 v2, 0, 1, s[0:1]
	v_add_u32_e32 v6, v6, v2
; %bb.1909:
	s_or_b64 exec, exec, s[4:5]
	s_mov_b64 s[0:1], 0
	global_store_byte v[4:5], v6, off
.LBB320_1910:
	s_mov_b64 s[4:5], 0
.LBB320_1911:
	s_and_b64 vcc, exec, s[4:5]
	s_cbranch_vccz .LBB320_1914
; %bb.1912:
	s_cmp_eq_u32 s10, 29
	s_mov_b64 s[0:1], -1
	s_cbranch_scc0 .LBB320_1914
; %bb.1913:
	v_trunc_f64_e32 v[2:3], v[0:1]
	s_movk_i32 s0, 0xffe0
	v_ldexp_f64 v[6:7], v[2:3], s0
	v_floor_f64_e32 v[6:7], v[6:7]
	v_fmac_f64_e32 v[2:3], 0xc1f00000, v[6:7]
	v_cvt_u32_f64_e32 v9, v[6:7]
	v_cvt_u32_f64_e32 v8, v[2:3]
	global_store_dwordx2 v[4:5], v[8:9], off
	s_mov_b64 s[0:1], 0
.LBB320_1914:
	s_mov_b64 s[4:5], 0
.LBB320_1915:
	s_and_b64 vcc, exec, s[4:5]
	s_cbranch_vccz .LBB320_1930
; %bb.1916:
	s_cmp_lt_i32 s10, 27
	s_mov_b64 s[4:5], -1
	s_cbranch_scc1 .LBB320_1922
; %bb.1917:
	s_cmp_gt_i32 s10, 27
	v_cvt_u32_f64_e32 v2, v[0:1]
	s_cbranch_scc0 .LBB320_1919
; %bb.1918:
	global_store_dword v[4:5], v2, off
	s_mov_b64 s[4:5], 0
.LBB320_1919:
	s_andn2_b64 vcc, exec, s[4:5]
	s_cbranch_vccnz .LBB320_1921
; %bb.1920:
	global_store_short v[4:5], v2, off
.LBB320_1921:
	s_mov_b64 s[4:5], 0
.LBB320_1922:
	s_andn2_b64 vcc, exec, s[4:5]
	s_cbranch_vccnz .LBB320_1930
; %bb.1923:
	v_cvt_f32_f64_e32 v2, v[0:1]
	v_and_b32_e32 v3, 0x7fffffff, v2
	s_mov_b32 s4, 0x43800000
	v_cmp_gt_u32_e32 vcc, s4, v3
	v_mov_b32_e32 v6, 0x80
	s_and_saveexec_b64 s[4:5], vcc
	s_cbranch_execz .LBB320_1929
; %bb.1924:
	s_mov_b32 s6, 0x3bffffff
	v_cmp_lt_u32_e32 vcc, s6, v3
	s_mov_b64 s[6:7], 0
                                        ; implicit-def: $vgpr3
	s_and_saveexec_b64 s[8:9], vcc
	s_xor_b64 s[8:9], exec, s[8:9]
	s_cbranch_execz .LBB320_2035
; %bb.1925:
	v_bfe_u32 v3, v2, 20, 1
	s_mov_b32 s11, 0x487ffff
	v_add3_u32 v3, v2, v3, s11
	s_mov_b64 s[6:7], exec
	v_lshrrev_b32_e32 v3, 20, v3
	s_andn2_saveexec_b64 s[8:9], s[8:9]
	s_cbranch_execnz .LBB320_2036
.LBB320_1926:
	s_or_b64 exec, exec, s[8:9]
	v_mov_b32_e32 v6, 0
	s_and_saveexec_b64 s[8:9], s[6:7]
.LBB320_1927:
	v_lshrrev_b32_e32 v2, 24, v2
	s_movk_i32 s6, 0x80
	v_and_or_b32 v6, v2, s6, v3
.LBB320_1928:
	s_or_b64 exec, exec, s[8:9]
.LBB320_1929:
	s_or_b64 exec, exec, s[4:5]
	global_store_byte v[4:5], v6, off
.LBB320_1930:
	s_mov_b64 s[4:5], 0
.LBB320_1931:
	s_and_b64 vcc, exec, s[4:5]
	s_cbranch_vccz .LBB320_1971
; %bb.1932:
	s_cmp_gt_i32 s10, 22
	s_mov_b64 s[2:3], -1
	s_cbranch_scc0 .LBB320_1964
; %bb.1933:
	s_cmp_lt_i32 s10, 24
	s_cbranch_scc1 .LBB320_1953
; %bb.1934:
	s_cmp_gt_i32 s10, 24
	s_cbranch_scc0 .LBB320_1942
; %bb.1935:
	v_cvt_f32_f64_e32 v2, v[0:1]
	v_and_b32_e32 v3, 0x7fffffff, v2
	s_mov_b32 s2, 0x47800000
	v_cmp_gt_u32_e32 vcc, s2, v3
	v_mov_b32_e32 v6, 0x80
	s_and_saveexec_b64 s[2:3], vcc
	s_cbranch_execz .LBB320_1941
; %bb.1936:
	s_mov_b32 s4, 0x37ffffff
	v_cmp_lt_u32_e32 vcc, s4, v3
	s_mov_b64 s[4:5], 0
                                        ; implicit-def: $vgpr3
	s_and_saveexec_b64 s[6:7], vcc
	s_xor_b64 s[6:7], exec, s[6:7]
	s_cbranch_execz .LBB320_2038
; %bb.1937:
	v_bfe_u32 v3, v2, 21, 1
	s_mov_b32 s8, 0x88fffff
	v_add3_u32 v3, v2, v3, s8
	s_mov_b64 s[4:5], exec
	v_lshrrev_b32_e32 v3, 21, v3
	s_andn2_saveexec_b64 s[6:7], s[6:7]
	s_cbranch_execnz .LBB320_2039
.LBB320_1938:
	s_or_b64 exec, exec, s[6:7]
	v_mov_b32_e32 v6, 0
	s_and_saveexec_b64 s[6:7], s[4:5]
.LBB320_1939:
	v_lshrrev_b32_e32 v2, 24, v2
	s_movk_i32 s4, 0x80
	v_and_or_b32 v6, v2, s4, v3
.LBB320_1940:
	s_or_b64 exec, exec, s[6:7]
.LBB320_1941:
	s_or_b64 exec, exec, s[2:3]
	s_mov_b64 s[2:3], 0
	global_store_byte v[4:5], v6, off
.LBB320_1942:
	s_and_b64 vcc, exec, s[2:3]
	s_cbranch_vccz .LBB320_1952
; %bb.1943:
	v_cvt_f32_f64_e32 v2, v[0:1]
	v_and_b32_e32 v6, 0x7fffffff, v2
	s_mov_b32 s2, 0x43f00000
	v_cmp_gt_u32_e32 vcc, s2, v6
                                        ; implicit-def: $vgpr3
	s_and_saveexec_b64 s[2:3], vcc
	s_xor_b64 s[2:3], exec, s[2:3]
	s_cbranch_execz .LBB320_1949
; %bb.1944:
	s_mov_b32 s4, 0x3c7fffff
	v_cmp_lt_u32_e32 vcc, s4, v6
                                        ; implicit-def: $vgpr3
	s_and_saveexec_b64 s[4:5], vcc
	s_xor_b64 s[4:5], exec, s[4:5]
; %bb.1945:
	v_bfe_u32 v3, v2, 20, 1
	s_mov_b32 s6, 0x407ffff
	v_add3_u32 v3, v2, v3, s6
	v_lshrrev_b32_e32 v6, 20, v3
	v_and_b32_e32 v3, 0xff00000, v3
	s_mov_b32 s6, 0x7f00000
	v_mov_b32_e32 v7, 0x7e
	v_cmp_ne_u32_e32 vcc, s6, v3
	s_nop 1
	v_cndmask_b32_e32 v3, v7, v6, vcc
; %bb.1946:
	s_andn2_saveexec_b64 s[4:5], s[4:5]
; %bb.1947:
	s_mov_b32 s6, 0x46800000
	v_add_f32_e64 v3, |v2|, s6
; %bb.1948:
	s_or_b64 exec, exec, s[4:5]
                                        ; implicit-def: $vgpr6
.LBB320_1949:
	s_andn2_saveexec_b64 s[2:3], s[2:3]
; %bb.1950:
	s_mov_b32 s4, 0x7f800000
	v_mov_b32_e32 v3, 0x7e
	v_mov_b32_e32 v7, 0x7f
	v_cmp_lt_u32_e32 vcc, s4, v6
	s_nop 1
	v_cndmask_b32_e32 v3, v3, v7, vcc
; %bb.1951:
	s_or_b64 exec, exec, s[2:3]
	v_lshrrev_b32_e32 v2, 24, v2
	s_movk_i32 s2, 0x80
	v_and_or_b32 v2, v2, s2, v3
	global_store_byte v[4:5], v2, off
.LBB320_1952:
	s_mov_b64 s[2:3], 0
.LBB320_1953:
	s_andn2_b64 vcc, exec, s[2:3]
	s_cbranch_vccnz .LBB320_1963
; %bb.1954:
	v_cvt_f32_f64_e32 v2, v[0:1]
	v_and_b32_e32 v6, 0x7fffffff, v2
	s_mov_b32 s2, 0x47800000
	v_cmp_gt_u32_e32 vcc, s2, v6
                                        ; implicit-def: $vgpr3
	s_and_saveexec_b64 s[2:3], vcc
	s_xor_b64 s[2:3], exec, s[2:3]
	s_cbranch_execz .LBB320_1960
; %bb.1955:
	s_mov_b32 s4, 0x387fffff
	v_cmp_lt_u32_e32 vcc, s4, v6
                                        ; implicit-def: $vgpr3
	s_and_saveexec_b64 s[4:5], vcc
	s_xor_b64 s[4:5], exec, s[4:5]
; %bb.1956:
	v_bfe_u32 v3, v2, 21, 1
	s_mov_b32 s6, 0x80fffff
	v_add3_u32 v3, v2, v3, s6
	v_lshrrev_b32_e32 v3, 21, v3
; %bb.1957:
	s_andn2_saveexec_b64 s[4:5], s[4:5]
; %bb.1958:
	s_mov_b32 s6, 0x43000000
	v_add_f32_e64 v3, |v2|, s6
; %bb.1959:
	s_or_b64 exec, exec, s[4:5]
                                        ; implicit-def: $vgpr6
.LBB320_1960:
	s_andn2_saveexec_b64 s[2:3], s[2:3]
; %bb.1961:
	s_mov_b32 s4, 0x7f800000
	v_mov_b32_e32 v3, 0x7c
	v_mov_b32_e32 v7, 0x7f
	v_cmp_lt_u32_e32 vcc, s4, v6
	s_nop 1
	v_cndmask_b32_e32 v3, v3, v7, vcc
; %bb.1962:
	s_or_b64 exec, exec, s[2:3]
	v_lshrrev_b32_e32 v2, 24, v2
	s_movk_i32 s2, 0x80
	v_and_or_b32 v2, v2, s2, v3
	global_store_byte v[4:5], v2, off
.LBB320_1963:
	s_mov_b64 s[2:3], 0
.LBB320_1964:
	s_andn2_b64 vcc, exec, s[2:3]
	s_mov_b64 s[2:3], 0
	s_cbranch_vccnz .LBB320_1971
; %bb.1965:
	s_cmp_gt_i32 s10, 14
	s_mov_b64 s[4:5], -1
	s_cbranch_scc0 .LBB320_1969
; %bb.1966:
	s_cmp_eq_u32 s10, 15
	s_mov_b64 s[0:1], -1
	s_cbranch_scc0 .LBB320_1968
; %bb.1967:
	v_cvt_f32_f64_e32 v2, v[0:1]
	v_bfe_u32 v3, v2, 16, 1
	s_movk_i32 s0, 0x7fff
	v_add3_u32 v3, v2, v3, s0
	v_cmp_o_f32_e32 vcc, v2, v2
	v_mov_b32_e32 v2, 0x7fc0
	s_mov_b64 s[0:1], 0
	v_cndmask_b32_sdwa v2, v2, v3, vcc dst_sel:DWORD dst_unused:UNUSED_PAD src0_sel:DWORD src1_sel:WORD_1
	global_store_short v[4:5], v2, off
.LBB320_1968:
	s_mov_b64 s[4:5], 0
.LBB320_1969:
	s_and_b64 vcc, exec, s[4:5]
	s_cbranch_vccz .LBB320_1971
; %bb.1970:
	s_cmp_lg_u32 s10, 11
	s_mov_b64 s[2:3], -1
	s_cselect_b64 s[0:1], -1, 0
.LBB320_1971:
	s_and_b64 vcc, exec, s[0:1]
	s_cbranch_vccnz .LBB320_2037
.LBB320_1972:
	s_mov_b64 s[0:1], 0
	s_branch .LBB320_1974
.LBB320_1973:
	s_mov_b64 s[0:1], 0
	s_mov_b64 s[2:3], 0
                                        ; implicit-def: $sgpr20
                                        ; implicit-def: $vgpr4_vgpr5
                                        ; implicit-def: $vgpr0_vgpr1
.LBB320_1974:
	s_andn2_b64 s[4:5], s[16:17], exec
	s_and_b64 s[6:7], s[18:19], exec
	s_and_b64 s[0:1], s[0:1], exec
	;; [unrolled: 1-line block ×3, first 2 shown]
	s_or_b64 s[16:17], s[4:5], s[6:7]
.LBB320_1975:
	s_or_b64 exec, exec, s[14:15]
	s_and_saveexec_b64 s[4:5], s[16:17]
	s_cbranch_execz .LBB320_1978
; %bb.1976:
	; divergent unreachable
	s_or_b64 exec, exec, s[4:5]
	s_and_saveexec_b64 s[4:5], s[2:3]
	s_xor_b64 s[2:3], exec, s[4:5]
	s_cbranch_execnz .LBB320_1979
.LBB320_1977:
	s_or_b64 exec, exec, s[2:3]
	s_and_saveexec_b64 s[2:3], s[0:1]
	s_cbranch_execnz .LBB320_1980
	s_branch .LBB320_2017
.LBB320_1978:
	s_or_b64 exec, exec, s[4:5]
	s_and_saveexec_b64 s[4:5], s[2:3]
	s_xor_b64 s[2:3], exec, s[4:5]
	s_cbranch_execz .LBB320_1977
.LBB320_1979:
	s_waitcnt vmcnt(0)
	v_cmp_neq_f64_e32 vcc, 0, v[0:1]
	s_nop 1
	v_cndmask_b32_e64 v2, 0, 1, vcc
	global_store_byte v[4:5], v2, off
	s_or_b64 exec, exec, s[2:3]
	s_and_saveexec_b64 s[2:3], s[0:1]
	s_cbranch_execz .LBB320_2017
.LBB320_1980:
	s_sext_i32_i16 s2, s20
	s_cmp_lt_i32 s2, 5
	s_mov_b64 s[0:1], -1
	s_cbranch_scc1 .LBB320_2001
; %bb.1981:
	s_cmp_lt_i32 s2, 8
	s_cbranch_scc1 .LBB320_1991
; %bb.1982:
	s_cmp_lt_i32 s2, 9
	s_cbranch_scc1 .LBB320_1988
; %bb.1983:
	s_cmp_gt_i32 s2, 9
	s_cbranch_scc0 .LBB320_1985
; %bb.1984:
	s_waitcnt vmcnt(0)
	v_mov_b32_e32 v2, 0
	v_mov_b32_e32 v3, v2
	global_store_dwordx4 v[4:5], v[0:3], off
	s_mov_b64 s[0:1], 0
.LBB320_1985:
	s_andn2_b64 vcc, exec, s[0:1]
	s_cbranch_vccnz .LBB320_1987
; %bb.1986:
	s_waitcnt vmcnt(0)
	v_cvt_f32_f64_e32 v2, v[0:1]
	v_mov_b32_e32 v3, 0
	global_store_dwordx2 v[4:5], v[2:3], off
.LBB320_1987:
	s_mov_b64 s[0:1], 0
.LBB320_1988:
	s_andn2_b64 vcc, exec, s[0:1]
	s_cbranch_vccnz .LBB320_1990
; %bb.1989:
	s_movk_i32 s0, 0x1ff
	s_waitcnt vmcnt(0)
	v_and_or_b32 v2, v1, s0, v0
	v_cmp_ne_u32_e32 vcc, 0, v2
	v_lshrrev_b32_e32 v3, 8, v1
	s_movk_i32 s0, 0xffe
	v_cndmask_b32_e64 v2, 0, 1, vcc
	v_bfe_u32 v6, v1, 20, 11
	v_and_or_b32 v2, v3, s0, v2
	v_sub_u32_e32 v7, 0x3f1, v6
	v_or_b32_e32 v3, 0x1000, v2
	v_med3_i32 v7, v7, 0, 13
	v_lshrrev_b32_e32 v8, v7, v3
	v_lshlrev_b32_e32 v7, v7, v8
	v_cmp_ne_u32_e32 vcc, v7, v3
	v_add_u32_e32 v6, 0xfffffc10, v6
	v_lshl_or_b32 v7, v6, 12, v2
	v_cndmask_b32_e64 v3, 0, 1, vcc
	v_or_b32_e32 v3, v8, v3
	v_cmp_gt_i32_e32 vcc, 1, v6
	s_movk_i32 s0, 0x40f
	s_nop 0
	v_cndmask_b32_e32 v3, v7, v3, vcc
	v_and_b32_e32 v7, 7, v3
	v_cmp_lt_i32_e32 vcc, 5, v7
	v_lshrrev_b32_e32 v3, 2, v3
	s_nop 0
	v_cndmask_b32_e64 v8, 0, 1, vcc
	v_cmp_eq_u32_e32 vcc, 3, v7
	s_nop 1
	v_cndmask_b32_e64 v7, 0, 1, vcc
	v_or_b32_e32 v7, v7, v8
	v_add_u32_e32 v3, v3, v7
	v_mov_b32_e32 v7, 0x7c00
	v_cmp_gt_i32_e32 vcc, 31, v6
	v_mov_b32_e32 v8, 0x7e00
	s_nop 0
	v_cndmask_b32_e32 v3, v7, v3, vcc
	v_cmp_ne_u32_e32 vcc, 0, v2
	s_nop 1
	v_cndmask_b32_e32 v2, v7, v8, vcc
	v_cmp_eq_u32_e32 vcc, s0, v6
	s_mov_b32 s0, 0x8000
	s_nop 0
	v_cndmask_b32_e32 v2, v3, v2, vcc
	v_and_b32_sdwa v3, v1, s0 dst_sel:DWORD dst_unused:UNUSED_PAD src0_sel:WORD_1 src1_sel:DWORD
	s_mov_b32 s0, 0xffff
	v_bitop3_b32 v2, v3, s0, v2 bitop3:0xc8
	global_store_dword v[4:5], v2, off
.LBB320_1990:
	s_mov_b64 s[0:1], 0
.LBB320_1991:
	s_andn2_b64 vcc, exec, s[0:1]
	s_cbranch_vccnz .LBB320_2000
; %bb.1992:
	s_sext_i32_i16 s2, s20
	s_cmp_lt_i32 s2, 6
	s_mov_b64 s[0:1], -1
	s_cbranch_scc1 .LBB320_1998
; %bb.1993:
	s_cmp_gt_i32 s2, 6
	s_cbranch_scc0 .LBB320_1995
; %bb.1994:
	s_waitcnt vmcnt(0)
	global_store_dwordx2 v[4:5], v[0:1], off
	s_mov_b64 s[0:1], 0
.LBB320_1995:
	s_andn2_b64 vcc, exec, s[0:1]
	s_cbranch_vccnz .LBB320_1997
; %bb.1996:
	s_waitcnt vmcnt(0)
	v_cvt_f32_f64_e32 v2, v[0:1]
	global_store_dword v[4:5], v2, off
.LBB320_1997:
	s_mov_b64 s[0:1], 0
.LBB320_1998:
	s_andn2_b64 vcc, exec, s[0:1]
	s_cbranch_vccnz .LBB320_2000
; %bb.1999:
	s_movk_i32 s0, 0x1ff
	s_waitcnt vmcnt(0)
	v_and_or_b32 v2, v1, s0, v0
	v_cmp_ne_u32_e32 vcc, 0, v2
	v_lshrrev_b32_e32 v3, 8, v1
	s_movk_i32 s0, 0xffe
	v_cndmask_b32_e64 v2, 0, 1, vcc
	v_bfe_u32 v6, v1, 20, 11
	v_and_or_b32 v2, v3, s0, v2
	v_sub_u32_e32 v7, 0x3f1, v6
	v_or_b32_e32 v3, 0x1000, v2
	v_med3_i32 v7, v7, 0, 13
	v_lshrrev_b32_e32 v8, v7, v3
	v_lshlrev_b32_e32 v7, v7, v8
	v_cmp_ne_u32_e32 vcc, v7, v3
	v_add_u32_e32 v6, 0xfffffc10, v6
	v_lshl_or_b32 v7, v6, 12, v2
	v_cndmask_b32_e64 v3, 0, 1, vcc
	v_or_b32_e32 v3, v8, v3
	v_cmp_gt_i32_e32 vcc, 1, v6
	s_movk_i32 s0, 0x40f
	s_nop 0
	v_cndmask_b32_e32 v3, v7, v3, vcc
	v_and_b32_e32 v7, 7, v3
	v_cmp_lt_i32_e32 vcc, 5, v7
	v_lshrrev_b32_e32 v3, 2, v3
	s_nop 0
	v_cndmask_b32_e64 v8, 0, 1, vcc
	v_cmp_eq_u32_e32 vcc, 3, v7
	s_nop 1
	v_cndmask_b32_e64 v7, 0, 1, vcc
	v_or_b32_e32 v7, v7, v8
	v_add_u32_e32 v3, v3, v7
	v_mov_b32_e32 v7, 0x7c00
	v_cmp_gt_i32_e32 vcc, 31, v6
	v_mov_b32_e32 v8, 0x7e00
	s_nop 0
	v_cndmask_b32_e32 v3, v7, v3, vcc
	v_cmp_ne_u32_e32 vcc, 0, v2
	s_nop 1
	v_cndmask_b32_e32 v2, v7, v8, vcc
	v_cmp_eq_u32_e32 vcc, s0, v6
	s_mov_b32 s0, 0x8000
	s_nop 0
	v_cndmask_b32_e32 v2, v3, v2, vcc
	v_lshrrev_b32_e32 v3, 16, v1
	v_and_or_b32 v2, v3, s0, v2
	global_store_short v[4:5], v2, off
.LBB320_2000:
	s_mov_b64 s[0:1], 0
.LBB320_2001:
	s_andn2_b64 vcc, exec, s[0:1]
	s_cbranch_vccnz .LBB320_2017
; %bb.2002:
	s_sext_i32_i16 s2, s20
	s_cmp_lt_i32 s2, 2
	s_mov_b64 s[0:1], -1
	s_cbranch_scc1 .LBB320_2012
; %bb.2003:
	s_cmp_lt_i32 s2, 3
	s_cbranch_scc1 .LBB320_2009
; %bb.2004:
	s_cmp_gt_i32 s2, 3
	s_cbranch_scc0 .LBB320_2006
; %bb.2005:
	s_waitcnt vmcnt(0)
	v_trunc_f64_e32 v[2:3], v[0:1]
	s_movk_i32 s0, 0xffe0
	v_ldexp_f64 v[6:7], v[2:3], s0
	v_floor_f64_e32 v[6:7], v[6:7]
	v_fmac_f64_e32 v[2:3], 0xc1f00000, v[6:7]
	v_cvt_i32_f64_e32 v9, v[6:7]
	v_cvt_u32_f64_e32 v8, v[2:3]
	global_store_dwordx2 v[4:5], v[8:9], off
	s_mov_b64 s[0:1], 0
.LBB320_2006:
	s_andn2_b64 vcc, exec, s[0:1]
	s_cbranch_vccnz .LBB320_2008
; %bb.2007:
	s_waitcnt vmcnt(0)
	v_cvt_i32_f64_e32 v2, v[0:1]
	global_store_dword v[4:5], v2, off
.LBB320_2008:
	s_mov_b64 s[0:1], 0
.LBB320_2009:
	s_andn2_b64 vcc, exec, s[0:1]
	s_cbranch_vccnz .LBB320_2011
; %bb.2010:
	s_waitcnt vmcnt(0)
	v_cvt_i32_f64_e32 v2, v[0:1]
	global_store_short v[4:5], v2, off
.LBB320_2011:
	s_mov_b64 s[0:1], 0
.LBB320_2012:
	s_andn2_b64 vcc, exec, s[0:1]
	s_cbranch_vccnz .LBB320_2017
; %bb.2013:
	s_sext_i32_i16 s0, s20
	s_cmp_gt_i32 s0, 0
	s_mov_b64 s[0:1], -1
	s_cbranch_scc0 .LBB320_2015
; %bb.2014:
	s_waitcnt vmcnt(0)
	v_cvt_i32_f64_e32 v2, v[0:1]
	global_store_byte v[4:5], v2, off
	s_mov_b64 s[0:1], 0
.LBB320_2015:
	s_andn2_b64 vcc, exec, s[0:1]
	s_cbranch_vccnz .LBB320_2017
; %bb.2016:
	s_waitcnt vmcnt(0)
	v_trunc_f64_e32 v[0:1], v[0:1]
	s_movk_i32 s0, 0xffe0
	v_ldexp_f64 v[2:3], v[0:1], s0
	v_floor_f64_e32 v[2:3], v[2:3]
	v_fmac_f64_e32 v[0:1], 0xc1f00000, v[2:3]
	v_cvt_u32_f64_e32 v0, v[0:1]
	global_store_byte v[4:5], v0, off
	s_endpgm
.LBB320_2017:
	s_endpgm
.LBB320_2018:
	s_mov_b64 s[2:3], 0
	s_mov_b64 s[0:1], -1
	s_branch .LBB320_1974
.LBB320_2019:
	s_trap 2
	s_or_b64 s[18:19], s[18:19], exec
	s_cbranch_execz .LBB320_1488
	s_branch .LBB320_1489
.LBB320_2020:
	s_andn2_saveexec_b64 s[10:11], s[10:11]
	s_cbranch_execz .LBB320_1568
.LBB320_2021:
	s_mov_b32 s21, 0x46000000
	v_add_f32_e64 v3, |v2|, s21
	v_and_b32_e32 v3, 0xff, v3
	v_cmp_ne_u32_e32 vcc, 0, v3
	s_andn2_b64 s[8:9], s[8:9], exec
	s_and_b64 s[22:23], vcc, exec
	s_or_b64 s[8:9], s[8:9], s[22:23]
	s_or_b64 exec, exec, s[10:11]
	v_mov_b32_e32 v15, 0
	s_and_saveexec_b64 s[10:11], s[8:9]
	s_cbranch_execnz .LBB320_1569
	s_branch .LBB320_1570
.LBB320_2022:
	s_trap 2
	s_or_b64 s[18:19], s[18:19], exec
	s_cbranch_execz .LBB320_1616
	s_branch .LBB320_1617
.LBB320_2023:
	s_andn2_saveexec_b64 s[8:9], s[8:9]
	s_cbranch_execz .LBB320_1581
.LBB320_2024:
	s_mov_b32 s10, 0x42800000
	v_add_f32_e64 v3, |v2|, s10
	v_and_b32_e32 v3, 0xff, v3
	v_cmp_ne_u32_e32 vcc, 0, v3
	s_andn2_b64 s[6:7], s[6:7], exec
	s_and_b64 s[10:11], vcc, exec
	s_or_b64 s[6:7], s[6:7], s[10:11]
	s_or_b64 exec, exec, s[8:9]
	v_mov_b32_e32 v15, 0
	s_and_saveexec_b64 s[8:9], s[6:7]
	s_cbranch_execnz .LBB320_1582
	s_branch .LBB320_1583
.LBB320_2025:
	s_andn2_saveexec_b64 s[10:11], s[10:11]
	s_cbranch_execz .LBB320_1687
.LBB320_2026:
	s_mov_b32 s21, 0x46000000
	v_add_f32_e64 v3, |v2|, s21
	v_and_b32_e32 v3, 0xff, v3
	v_cmp_ne_u32_e32 vcc, 0, v3
	s_andn2_b64 s[8:9], s[8:9], exec
	s_and_b64 s[22:23], vcc, exec
	s_or_b64 s[8:9], s[8:9], s[22:23]
	s_or_b64 exec, exec, s[10:11]
	v_mov_b32_e32 v9, 0
	s_and_saveexec_b64 s[10:11], s[8:9]
	s_cbranch_execnz .LBB320_1688
	s_branch .LBB320_1689
.LBB320_2027:
	s_trap 2
	s_or_b64 s[18:19], s[18:19], exec
	s_cbranch_execz .LBB320_1735
	s_branch .LBB320_1736
.LBB320_2028:
	s_andn2_saveexec_b64 s[8:9], s[8:9]
	s_cbranch_execz .LBB320_1700
.LBB320_2029:
	s_mov_b32 s10, 0x42800000
	v_add_f32_e64 v3, |v2|, s10
	v_and_b32_e32 v3, 0xff, v3
	v_cmp_ne_u32_e32 vcc, 0, v3
	s_andn2_b64 s[6:7], s[6:7], exec
	s_and_b64 s[10:11], vcc, exec
	s_or_b64 s[6:7], s[6:7], s[10:11]
	s_or_b64 exec, exec, s[8:9]
	v_mov_b32_e32 v9, 0
	s_and_saveexec_b64 s[8:9], s[6:7]
	s_cbranch_execnz .LBB320_1701
	s_branch .LBB320_1702
.LBB320_2030:
	s_andn2_saveexec_b64 s[10:11], s[10:11]
	s_cbranch_execz .LBB320_1806
.LBB320_2031:
	s_mov_b32 s21, 0x46000000
	v_add_f32_e64 v3, |v2|, s21
	v_and_b32_e32 v3, 0xff, v3
	v_cmp_ne_u32_e32 vcc, 0, v3
	s_andn2_b64 s[8:9], s[8:9], exec
	s_and_b64 s[22:23], vcc, exec
	s_or_b64 s[8:9], s[8:9], s[22:23]
	s_or_b64 exec, exec, s[10:11]
	v_mov_b32_e32 v7, 0
	s_and_saveexec_b64 s[10:11], s[8:9]
	s_cbranch_execnz .LBB320_1807
	s_branch .LBB320_1808
.LBB320_2032:
	s_trap 2
	s_or_b64 s[18:19], s[18:19], exec
	s_cbranch_execz .LBB320_1854
	s_branch .LBB320_1855
.LBB320_2033:
	s_andn2_saveexec_b64 s[8:9], s[8:9]
	s_cbranch_execz .LBB320_1819
.LBB320_2034:
	s_mov_b32 s10, 0x42800000
	v_add_f32_e64 v3, |v2|, s10
	v_and_b32_e32 v3, 0xff, v3
	v_cmp_ne_u32_e32 vcc, 0, v3
	s_andn2_b64 s[6:7], s[6:7], exec
	s_and_b64 s[10:11], vcc, exec
	s_or_b64 s[6:7], s[6:7], s[10:11]
	s_or_b64 exec, exec, s[8:9]
	v_mov_b32_e32 v7, 0
	s_and_saveexec_b64 s[8:9], s[6:7]
	s_cbranch_execnz .LBB320_1820
	s_branch .LBB320_1821
.LBB320_2035:
	s_andn2_saveexec_b64 s[8:9], s[8:9]
	s_cbranch_execz .LBB320_1926
.LBB320_2036:
	s_mov_b32 s11, 0x46000000
	v_add_f32_e64 v3, |v2|, s11
	v_and_b32_e32 v3, 0xff, v3
	v_cmp_ne_u32_e32 vcc, 0, v3
	s_andn2_b64 s[6:7], s[6:7], exec
	s_and_b64 s[12:13], vcc, exec
	s_or_b64 s[6:7], s[6:7], s[12:13]
	s_or_b64 exec, exec, s[8:9]
	v_mov_b32_e32 v6, 0
	s_and_saveexec_b64 s[8:9], s[6:7]
	s_cbranch_execnz .LBB320_1927
	s_branch .LBB320_1928
.LBB320_2037:
	s_mov_b64 s[2:3], 0
	s_or_b64 s[18:19], s[18:19], exec
	s_trap 2
	s_branch .LBB320_1972
.LBB320_2038:
	s_andn2_saveexec_b64 s[6:7], s[6:7]
	s_cbranch_execz .LBB320_1938
.LBB320_2039:
	s_mov_b32 s8, 0x42800000
	v_add_f32_e64 v3, |v2|, s8
	v_and_b32_e32 v3, 0xff, v3
	v_cmp_ne_u32_e32 vcc, 0, v3
	s_andn2_b64 s[4:5], s[4:5], exec
	s_and_b64 s[8:9], vcc, exec
	s_or_b64 s[4:5], s[4:5], s[8:9]
	s_or_b64 exec, exec, s[6:7]
	v_mov_b32_e32 v6, 0
	s_and_saveexec_b64 s[6:7], s[4:5]
	s_cbranch_execnz .LBB320_1939
	s_branch .LBB320_1940
	.section	.rodata,"a",@progbits
	.p2align	6, 0x0
	.amdhsa_kernel _ZN2at6native32elementwise_kernel_manual_unrollILi128ELi4EZNS0_15gpu_kernel_implIZZZNS0_17clamp_kernel_cudaERNS_18TensorIteratorBaseERKN3c106ScalarES8_ENKUlvE_clEvENKUlvE4_clEvEUldE_EEvS4_RKT_EUlibE_EEviT1_
		.amdhsa_group_segment_fixed_size 0
		.amdhsa_private_segment_fixed_size 0
		.amdhsa_kernarg_size 56
		.amdhsa_user_sgpr_count 2
		.amdhsa_user_sgpr_dispatch_ptr 0
		.amdhsa_user_sgpr_queue_ptr 0
		.amdhsa_user_sgpr_kernarg_segment_ptr 1
		.amdhsa_user_sgpr_dispatch_id 0
		.amdhsa_user_sgpr_kernarg_preload_length 0
		.amdhsa_user_sgpr_kernarg_preload_offset 0
		.amdhsa_user_sgpr_private_segment_size 0
		.amdhsa_uses_dynamic_stack 0
		.amdhsa_enable_private_segment 0
		.amdhsa_system_sgpr_workgroup_id_x 1
		.amdhsa_system_sgpr_workgroup_id_y 0
		.amdhsa_system_sgpr_workgroup_id_z 0
		.amdhsa_system_sgpr_workgroup_info 0
		.amdhsa_system_vgpr_workitem_id 0
		.amdhsa_next_free_vgpr 22
		.amdhsa_next_free_sgpr 48
		.amdhsa_accum_offset 24
		.amdhsa_reserve_vcc 1
		.amdhsa_float_round_mode_32 0
		.amdhsa_float_round_mode_16_64 0
		.amdhsa_float_denorm_mode_32 3
		.amdhsa_float_denorm_mode_16_64 3
		.amdhsa_dx10_clamp 1
		.amdhsa_ieee_mode 1
		.amdhsa_fp16_overflow 0
		.amdhsa_tg_split 0
		.amdhsa_exception_fp_ieee_invalid_op 0
		.amdhsa_exception_fp_denorm_src 0
		.amdhsa_exception_fp_ieee_div_zero 0
		.amdhsa_exception_fp_ieee_overflow 0
		.amdhsa_exception_fp_ieee_underflow 0
		.amdhsa_exception_fp_ieee_inexact 0
		.amdhsa_exception_int_div_zero 0
	.end_amdhsa_kernel
	.section	.text._ZN2at6native32elementwise_kernel_manual_unrollILi128ELi4EZNS0_15gpu_kernel_implIZZZNS0_17clamp_kernel_cudaERNS_18TensorIteratorBaseERKN3c106ScalarES8_ENKUlvE_clEvENKUlvE4_clEvEUldE_EEvS4_RKT_EUlibE_EEviT1_,"axG",@progbits,_ZN2at6native32elementwise_kernel_manual_unrollILi128ELi4EZNS0_15gpu_kernel_implIZZZNS0_17clamp_kernel_cudaERNS_18TensorIteratorBaseERKN3c106ScalarES8_ENKUlvE_clEvENKUlvE4_clEvEUldE_EEvS4_RKT_EUlibE_EEviT1_,comdat
.Lfunc_end320:
	.size	_ZN2at6native32elementwise_kernel_manual_unrollILi128ELi4EZNS0_15gpu_kernel_implIZZZNS0_17clamp_kernel_cudaERNS_18TensorIteratorBaseERKN3c106ScalarES8_ENKUlvE_clEvENKUlvE4_clEvEUldE_EEvS4_RKT_EUlibE_EEviT1_, .Lfunc_end320-_ZN2at6native32elementwise_kernel_manual_unrollILi128ELi4EZNS0_15gpu_kernel_implIZZZNS0_17clamp_kernel_cudaERNS_18TensorIteratorBaseERKN3c106ScalarES8_ENKUlvE_clEvENKUlvE4_clEvEUldE_EEvS4_RKT_EUlibE_EEviT1_
                                        ; -- End function
	.set _ZN2at6native32elementwise_kernel_manual_unrollILi128ELi4EZNS0_15gpu_kernel_implIZZZNS0_17clamp_kernel_cudaERNS_18TensorIteratorBaseERKN3c106ScalarES8_ENKUlvE_clEvENKUlvE4_clEvEUldE_EEvS4_RKT_EUlibE_EEviT1_.num_vgpr, 22
	.set _ZN2at6native32elementwise_kernel_manual_unrollILi128ELi4EZNS0_15gpu_kernel_implIZZZNS0_17clamp_kernel_cudaERNS_18TensorIteratorBaseERKN3c106ScalarES8_ENKUlvE_clEvENKUlvE4_clEvEUldE_EEvS4_RKT_EUlibE_EEviT1_.num_agpr, 0
	.set _ZN2at6native32elementwise_kernel_manual_unrollILi128ELi4EZNS0_15gpu_kernel_implIZZZNS0_17clamp_kernel_cudaERNS_18TensorIteratorBaseERKN3c106ScalarES8_ENKUlvE_clEvENKUlvE4_clEvEUldE_EEvS4_RKT_EUlibE_EEviT1_.numbered_sgpr, 48
	.set _ZN2at6native32elementwise_kernel_manual_unrollILi128ELi4EZNS0_15gpu_kernel_implIZZZNS0_17clamp_kernel_cudaERNS_18TensorIteratorBaseERKN3c106ScalarES8_ENKUlvE_clEvENKUlvE4_clEvEUldE_EEvS4_RKT_EUlibE_EEviT1_.num_named_barrier, 0
	.set _ZN2at6native32elementwise_kernel_manual_unrollILi128ELi4EZNS0_15gpu_kernel_implIZZZNS0_17clamp_kernel_cudaERNS_18TensorIteratorBaseERKN3c106ScalarES8_ENKUlvE_clEvENKUlvE4_clEvEUldE_EEvS4_RKT_EUlibE_EEviT1_.private_seg_size, 0
	.set _ZN2at6native32elementwise_kernel_manual_unrollILi128ELi4EZNS0_15gpu_kernel_implIZZZNS0_17clamp_kernel_cudaERNS_18TensorIteratorBaseERKN3c106ScalarES8_ENKUlvE_clEvENKUlvE4_clEvEUldE_EEvS4_RKT_EUlibE_EEviT1_.uses_vcc, 1
	.set _ZN2at6native32elementwise_kernel_manual_unrollILi128ELi4EZNS0_15gpu_kernel_implIZZZNS0_17clamp_kernel_cudaERNS_18TensorIteratorBaseERKN3c106ScalarES8_ENKUlvE_clEvENKUlvE4_clEvEUldE_EEvS4_RKT_EUlibE_EEviT1_.uses_flat_scratch, 0
	.set _ZN2at6native32elementwise_kernel_manual_unrollILi128ELi4EZNS0_15gpu_kernel_implIZZZNS0_17clamp_kernel_cudaERNS_18TensorIteratorBaseERKN3c106ScalarES8_ENKUlvE_clEvENKUlvE4_clEvEUldE_EEvS4_RKT_EUlibE_EEviT1_.has_dyn_sized_stack, 0
	.set _ZN2at6native32elementwise_kernel_manual_unrollILi128ELi4EZNS0_15gpu_kernel_implIZZZNS0_17clamp_kernel_cudaERNS_18TensorIteratorBaseERKN3c106ScalarES8_ENKUlvE_clEvENKUlvE4_clEvEUldE_EEvS4_RKT_EUlibE_EEviT1_.has_recursion, 0
	.set _ZN2at6native32elementwise_kernel_manual_unrollILi128ELi4EZNS0_15gpu_kernel_implIZZZNS0_17clamp_kernel_cudaERNS_18TensorIteratorBaseERKN3c106ScalarES8_ENKUlvE_clEvENKUlvE4_clEvEUldE_EEvS4_RKT_EUlibE_EEviT1_.has_indirect_call, 0
	.section	.AMDGPU.csdata,"",@progbits
; Kernel info:
; codeLenInByte = 36056
; TotalNumSgprs: 54
; NumVgprs: 22
; NumAgprs: 0
; TotalNumVgprs: 22
; ScratchSize: 0
; MemoryBound: 1
; FloatMode: 240
; IeeeMode: 1
; LDSByteSize: 0 bytes/workgroup (compile time only)
; SGPRBlocks: 6
; VGPRBlocks: 2
; NumSGPRsForWavesPerEU: 54
; NumVGPRsForWavesPerEU: 22
; AccumOffset: 24
; Occupancy: 8
; WaveLimiterHint : 0
; COMPUTE_PGM_RSRC2:SCRATCH_EN: 0
; COMPUTE_PGM_RSRC2:USER_SGPR: 2
; COMPUTE_PGM_RSRC2:TRAP_HANDLER: 0
; COMPUTE_PGM_RSRC2:TGID_X_EN: 1
; COMPUTE_PGM_RSRC2:TGID_Y_EN: 0
; COMPUTE_PGM_RSRC2:TGID_Z_EN: 0
; COMPUTE_PGM_RSRC2:TIDIG_COMP_CNT: 0
; COMPUTE_PGM_RSRC3_GFX90A:ACCUM_OFFSET: 5
; COMPUTE_PGM_RSRC3_GFX90A:TG_SPLIT: 0
	.section	.text._ZN2at6native32elementwise_kernel_manual_unrollILi128ELi4EZNS0_15gpu_kernel_implIZZZNS0_17clamp_kernel_cudaERNS_18TensorIteratorBaseERKN3c106ScalarES8_ENKUlvE_clEvENKUlvE4_clEvEUldE_EEvS4_RKT_EUlibE0_EEviT1_,"axG",@progbits,_ZN2at6native32elementwise_kernel_manual_unrollILi128ELi4EZNS0_15gpu_kernel_implIZZZNS0_17clamp_kernel_cudaERNS_18TensorIteratorBaseERKN3c106ScalarES8_ENKUlvE_clEvENKUlvE4_clEvEUldE_EEvS4_RKT_EUlibE0_EEviT1_,comdat
	.globl	_ZN2at6native32elementwise_kernel_manual_unrollILi128ELi4EZNS0_15gpu_kernel_implIZZZNS0_17clamp_kernel_cudaERNS_18TensorIteratorBaseERKN3c106ScalarES8_ENKUlvE_clEvENKUlvE4_clEvEUldE_EEvS4_RKT_EUlibE0_EEviT1_ ; -- Begin function _ZN2at6native32elementwise_kernel_manual_unrollILi128ELi4EZNS0_15gpu_kernel_implIZZZNS0_17clamp_kernel_cudaERNS_18TensorIteratorBaseERKN3c106ScalarES8_ENKUlvE_clEvENKUlvE4_clEvEUldE_EEvS4_RKT_EUlibE0_EEviT1_
	.p2align	8
	.type	_ZN2at6native32elementwise_kernel_manual_unrollILi128ELi4EZNS0_15gpu_kernel_implIZZZNS0_17clamp_kernel_cudaERNS_18TensorIteratorBaseERKN3c106ScalarES8_ENKUlvE_clEvENKUlvE4_clEvEUldE_EEvS4_RKT_EUlibE0_EEviT1_,@function
_ZN2at6native32elementwise_kernel_manual_unrollILi128ELi4EZNS0_15gpu_kernel_implIZZZNS0_17clamp_kernel_cudaERNS_18TensorIteratorBaseERKN3c106ScalarES8_ENKUlvE_clEvENKUlvE4_clEvEUldE_EEvS4_RKT_EUlibE0_EEviT1_: ; @_ZN2at6native32elementwise_kernel_manual_unrollILi128ELi4EZNS0_15gpu_kernel_implIZZZNS0_17clamp_kernel_cudaERNS_18TensorIteratorBaseERKN3c106ScalarES8_ENKUlvE_clEvENKUlvE4_clEvEUldE_EEvS4_RKT_EUlibE0_EEviT1_
; %bb.0:
	s_load_dword s74, s[0:1], 0x0
	s_load_dword s33, s[0:1], 0x8
	s_add_u32 s34, s0, 8
	s_addc_u32 s35, s1, 0
	v_lshl_or_b32 v10, s2, 9, v0
	v_or_b32_e32 v16, 0x180, v10
	s_waitcnt lgkmcnt(0)
	s_add_i32 s76, s33, -1
	s_cmp_gt_u32 s76, 1
	v_cmp_le_i32_e32 vcc, s74, v16
	s_cselect_b64 s[46:47], -1, 0
	s_mov_b64 s[44:45], 0
	s_mov_b64 s[24:25], 0
	s_and_saveexec_b64 s[2:3], vcc
	s_xor_b64 s[48:49], exec, s[2:3]
	s_cbranch_execz .LBB321_1090
; %bb.1:
	s_load_dwordx4 s[28:31], s[34:35], 0x4
	s_load_dwordx2 s[50:51], s[34:35], 0x14
	s_load_dword s77, s[34:35], 0x168
	s_cmp_lg_u32 s33, 0
	s_load_dwordx4 s[36:39], s[34:35], 0xc4
	s_load_dwordx8 s[4:11], s[34:35], 0x148
	s_cselect_b64 s[56:57], -1, 0
	s_add_u32 s54, s34, 0xc4
	s_addc_u32 s55, s35, 0
	s_min_u32 s79, s76, 15
	s_cmp_gt_u32 s33, 1
	s_cselect_b64 s[52:53], -1, 0
	s_waitcnt lgkmcnt(0)
	s_bfe_u32 s78, s77, 0x80008
	v_cmp_gt_i32_e32 vcc, s74, v10
	s_mov_b64 s[12:13], -1
	s_mov_b64 s[66:67], 0
	s_mov_b64 s[60:61], 0
	;; [unrolled: 1-line block ×3, first 2 shown]
	s_and_saveexec_b64 s[62:63], vcc
	s_cbranch_execz .LBB321_267
; %bb.2:
	s_andn2_b64 vcc, exec, s[46:47]
	s_cbranch_vccnz .LBB321_8
; %bb.3:
	s_andn2_b64 vcc, exec, s[56:57]
	s_cbranch_vccnz .LBB321_9
; %bb.4:
	s_add_i32 s61, s79, 1
	s_cmp_eq_u32 s76, 2
	s_cbranch_scc1 .LBB321_10
; %bb.5:
	s_and_b32 s60, s61, 28
	s_mov_b32 s64, 0
	v_mov_b32_e32 v2, 0
	v_mov_b32_e32 v0, 0
	s_mov_b64 s[2:3], s[34:35]
	s_mov_b64 s[58:59], s[54:55]
	v_mov_b32_e32 v4, v10
.LBB321_6:                              ; =>This Inner Loop Header: Depth=1
	s_load_dwordx8 s[20:27], s[2:3], 0x4
	s_load_dwordx4 s[40:43], s[2:3], 0x24
	s_load_dwordx8 s[12:19], s[58:59], 0x0
	s_add_u32 s2, s2, 48
	s_addc_u32 s3, s3, 0
	s_waitcnt lgkmcnt(0)
	v_mul_hi_u32 v1, s21, v4
	v_add_u32_e32 v1, v4, v1
	v_lshrrev_b32_e32 v1, s22, v1
	v_mul_lo_u32 v3, v1, s20
	v_mul_hi_u32 v5, s24, v1
	v_sub_u32_e32 v3, v4, v3
	v_add_u32_e32 v4, v1, v5
	v_lshrrev_b32_e32 v4, s25, v4
	v_mul_lo_u32 v6, v4, s23
	v_mul_hi_u32 v7, s27, v4
	v_sub_u32_e32 v1, v1, v6
	v_add_u32_e32 v6, v4, v7
	v_mul_lo_u32 v5, v3, s13
	v_mul_lo_u32 v3, v3, s12
	;; [unrolled: 1-line block ×4, first 2 shown]
	v_lshrrev_b32_e32 v6, s40, v6
	v_add3_u32 v1, v3, v2, v1
	v_mul_hi_u32 v3, s42, v6
	v_mul_lo_u32 v2, v6, s26
	v_add_u32_e32 v3, v6, v3
	v_sub_u32_e32 v2, v4, v2
	v_lshrrev_b32_e32 v4, s43, v3
	s_add_i32 s64, s64, 4
	v_mul_lo_u32 v3, v4, s41
	s_add_u32 s58, s58, 32
	v_sub_u32_e32 v3, v6, v3
	s_addc_u32 s59, s59, 0
	v_add3_u32 v0, v5, v0, v7
	v_mul_lo_u32 v5, v2, s16
	v_mul_lo_u32 v2, v2, s17
	;; [unrolled: 1-line block ×4, first 2 shown]
	s_cmp_lg_u32 s60, s64
	v_add3_u32 v0, v2, v0, v3
	v_add3_u32 v2, v5, v1, v6
	s_cbranch_scc1 .LBB321_6
; %bb.7:
	v_mov_b32_e32 v1, v0
	s_branch .LBB321_11
.LBB321_8:
                                        ; implicit-def: $vgpr0
                                        ; implicit-def: $vgpr2
	s_branch .LBB321_15
.LBB321_9:
	v_mov_b32_e32 v0, 0
	v_mov_b32_e32 v2, 0
	s_branch .LBB321_14
.LBB321_10:
	v_mov_b32_e32 v2, 0
	s_mov_b32 s60, 0
	v_mov_b32_e32 v1, v2
                                        ; implicit-def: $vgpr0
	v_mov_b32_e32 v4, v10
.LBB321_11:
	s_and_b32 s14, s61, 3
	s_cmp_eq_u32 s14, 0
	s_cbranch_scc1 .LBB321_14
; %bb.12:
	s_lshl_b32 s2, s60, 3
	s_add_u32 s2, s34, s2
	s_addc_u32 s3, s35, 0
	s_add_u32 s2, s2, 0xc4
	s_addc_u32 s3, s3, 0
	s_mul_i32 s12, s60, 12
	s_add_u32 s12, s34, s12
	s_addc_u32 s13, s35, 0
.LBB321_13:                             ; =>This Inner Loop Header: Depth=1
	s_load_dwordx2 s[16:17], s[12:13], 0x4
	s_load_dword s15, s[12:13], 0xc
	s_load_dwordx2 s[18:19], s[2:3], 0x0
	v_mov_b32_e32 v0, v1
	s_add_u32 s12, s12, 12
	s_waitcnt lgkmcnt(0)
	v_mul_hi_u32 v1, s17, v4
	v_add_u32_e32 v1, v4, v1
	v_lshrrev_b32_e32 v1, s15, v1
	s_addc_u32 s13, s13, 0
	v_mul_lo_u32 v3, v1, s16
	s_add_u32 s2, s2, 8
	v_sub_u32_e32 v3, v4, v3
	s_addc_u32 s3, s3, 0
	s_add_i32 s14, s14, -1
	v_mov_b32_e32 v4, v1
	v_mad_u64_u32 v[0:1], s[16:17], v3, s19, v[0:1]
	s_cmp_lg_u32 s14, 0
	v_mad_u64_u32 v[2:3], s[16:17], v3, s18, v[2:3]
	v_mov_b32_e32 v1, v0
	s_cbranch_scc1 .LBB321_13
.LBB321_14:
	s_cbranch_execnz .LBB321_17
.LBB321_15:
	v_mul_hi_u32 v0, s29, v10
	v_add_u32_e32 v0, v10, v0
	v_lshrrev_b32_e32 v1, s30, v0
	v_mul_lo_u32 v0, v1, s28
	v_sub_u32_e32 v2, v10, v0
	v_mul_lo_u32 v0, v2, s37
	s_andn2_b64 vcc, exec, s[52:53]
	v_mul_lo_u32 v2, v2, s36
	s_cbranch_vccnz .LBB321_17
; %bb.16:
	v_mul_hi_u32 v3, s50, v1
	v_add_u32_e32 v3, v1, v3
	v_lshrrev_b32_e32 v3, s51, v3
	v_mul_lo_u32 v3, v3, s31
	v_sub_u32_e32 v1, v1, v3
	v_mad_u64_u32 v[2:3], s[2:3], v1, s38, v[2:3]
	v_mad_u64_u32 v[0:1], s[2:3], v1, s39, v[0:1]
.LBB321_17:
	v_mov_b32_e32 v1, 0
	s_and_b32 s18, 0xffff, s78
	s_cmp_lt_i32 s18, 11
	v_lshl_add_u64 v[0:1], s[6:7], 0, v[0:1]
	s_cbranch_scc1 .LBB321_24
; %bb.18:
	s_cmp_gt_i32 s18, 25
	s_cbranch_scc0 .LBB321_33
; %bb.19:
	s_cmp_gt_i32 s18, 28
	s_cbranch_scc0 .LBB321_36
	;; [unrolled: 3-line block ×4, first 2 shown]
; %bb.22:
	s_cmp_eq_u32 s18, 46
	s_mov_b64 s[14:15], 0
	s_cbranch_scc0 .LBB321_42
; %bb.23:
	global_load_dword v3, v[0:1], off
	s_mov_b64 s[2:3], -1
	s_mov_b64 s[12:13], 0
	s_waitcnt vmcnt(0)
	v_lshlrev_b32_e32 v3, 16, v3
	v_cvt_f64_f32_e32 v[4:5], v3
	s_branch .LBB321_44
.LBB321_24:
	s_mov_b64 s[12:13], 0
                                        ; implicit-def: $vgpr4_vgpr5
	s_mov_b64 s[2:3], 0
	s_cbranch_execnz .LBB321_217
.LBB321_25:
	s_andn2_b64 vcc, exec, s[2:3]
	s_cbranch_vccnz .LBB321_264
.LBB321_26:
	v_max_f64 v[0:1], s[8:9], s[8:9]
	s_waitcnt vmcnt(0)
	v_max_f64 v[6:7], v[4:5], v[4:5]
	v_max_f64 v[0:1], v[6:7], v[0:1]
	;; [unrolled: 1-line block ×3, first 2 shown]
	v_min_f64 v[0:1], v[0:1], v[6:7]
	v_cmp_u_f64_e32 vcc, v[4:5], v[4:5]
	v_mov_b32_e32 v3, 0
	s_and_b32 s20, s77, 0xff
	v_cndmask_b32_e32 v1, v1, v5, vcc
	v_cndmask_b32_e32 v0, v0, v4, vcc
	s_cmp_lt_i32 s20, 11
	v_lshl_add_u64 v[4:5], s[4:5], 0, v[2:3]
	s_cbranch_scc1 .LBB321_34
; %bb.27:
	s_and_b32 s21, 0xffff, s20
	s_cmp_gt_i32 s21, 25
	s_cbranch_scc0 .LBB321_37
; %bb.28:
	s_cmp_gt_i32 s21, 28
	s_cbranch_scc0 .LBB321_39
; %bb.29:
	;; [unrolled: 3-line block ×4, first 2 shown]
	s_mov_b64 s[16:17], 0
	s_mov_b64 s[2:3], -1
	s_cmp_eq_u32 s21, 46
	s_mov_b64 s[14:15], 0
	s_cbranch_scc0 .LBB321_48
; %bb.32:
	v_cvt_f32_f64_e32 v2, v[0:1]
	v_bfe_u32 v3, v2, 16, 1
	s_movk_i32 s2, 0x7fff
	v_add3_u32 v3, v2, v3, s2
	v_cmp_o_f32_e32 vcc, v2, v2
	v_mov_b32_e32 v2, 0x7fc0
	s_mov_b64 s[14:15], -1
	v_cndmask_b32_sdwa v2, v2, v3, vcc dst_sel:DWORD dst_unused:UNUSED_PAD src0_sel:DWORD src1_sel:WORD_1
	global_store_dword v[4:5], v2, off
	s_mov_b64 s[2:3], 0
	s_branch .LBB321_48
.LBB321_33:
	s_mov_b64 s[12:13], 0
	s_mov_b64 s[2:3], 0
                                        ; implicit-def: $vgpr4_vgpr5
	s_cbranch_execnz .LBB321_184
	s_branch .LBB321_216
.LBB321_34:
	s_mov_b64 s[2:3], 0
	s_mov_b64 s[14:15], 0
	s_cbranch_execnz .LBB321_117
.LBB321_35:
	s_andn2_b64 vcc, exec, s[14:15]
	s_cbranch_vccnz .LBB321_265
	s_branch .LBB321_155
.LBB321_36:
	s_mov_b64 s[14:15], -1
	s_mov_b64 s[12:13], 0
	s_mov_b64 s[2:3], 0
                                        ; implicit-def: $vgpr4_vgpr5
	s_branch .LBB321_163
.LBB321_37:
	s_mov_b64 s[16:17], -1
	s_mov_b64 s[2:3], 0
	s_mov_b64 s[14:15], 0
	s_branch .LBB321_75
.LBB321_38:
	s_mov_b64 s[14:15], -1
	s_mov_b64 s[12:13], 0
	s_mov_b64 s[2:3], 0
                                        ; implicit-def: $vgpr4_vgpr5
	s_branch .LBB321_158
.LBB321_39:
	s_mov_b64 s[16:17], -1
	s_mov_b64 s[2:3], 0
	s_mov_b64 s[14:15], 0
	s_branch .LBB321_58
.LBB321_40:
	s_mov_b64 s[14:15], -1
	s_mov_b64 s[12:13], 0
	s_branch .LBB321_43
.LBB321_41:
	s_mov_b64 s[16:17], -1
	s_mov_b64 s[2:3], 0
	s_mov_b64 s[14:15], 0
	s_branch .LBB321_54
.LBB321_42:
	s_mov_b64 s[12:13], -1
.LBB321_43:
	s_mov_b64 s[2:3], 0
                                        ; implicit-def: $vgpr4_vgpr5
.LBB321_44:
	s_and_b64 vcc, exec, s[14:15]
	s_cbranch_vccz .LBB321_157
; %bb.45:
	s_cmp_eq_u32 s18, 44
	s_cbranch_scc0 .LBB321_156
; %bb.46:
	global_load_ubyte v3, v[0:1], off
	s_movk_i32 s12, 0xff
	v_bfrev_b32_e32 v6, 4
	v_mov_b32_e32 v7, 0x7ff80000
	v_bfrev_b32_e32 v8, 28
	s_mov_b64 s[2:3], -1
	s_waitcnt vmcnt(0)
	v_lshlrev_b32_e32 v4, 23, v3
	v_cvt_f64_f32_e32 v[4:5], v4
	v_cmp_ne_u32_e32 vcc, s12, v3
	s_mov_b64 s[12:13], 0
	s_nop 0
	v_cndmask_b32_e32 v4, v6, v4, vcc
	v_cndmask_b32_e32 v5, v7, v5, vcc
	v_cmp_ne_u32_e32 vcc, 0, v3
	s_nop 1
	v_cndmask_b32_e32 v5, v8, v5, vcc
	v_cndmask_b32_e32 v4, 0, v4, vcc
	s_branch .LBB321_157
.LBB321_47:
	s_mov_b64 s[16:17], -1
	s_mov_b64 s[2:3], 0
	s_mov_b64 s[14:15], 0
.LBB321_48:
	s_and_b64 vcc, exec, s[16:17]
	s_cbranch_vccz .LBB321_53
; %bb.49:
	s_cmp_eq_u32 s21, 44
	s_mov_b64 s[2:3], -1
	s_cbranch_scc0 .LBB321_53
; %bb.50:
	v_cvt_f32_f64_e32 v2, v[0:1]
	v_bfe_u32 v3, v2, 23, 8
	s_movk_i32 s2, 0xff
	v_cmp_ne_u32_e32 vcc, s2, v3
	v_mov_b32_e32 v6, 0xff
	s_and_saveexec_b64 s[14:15], vcc
; %bb.51:
	s_mov_b32 s2, 0x3fffff
	v_lshrrev_b32_e32 v6, 23, v2
	v_and_b32_e32 v7, 0x400000, v2
	v_and_or_b32 v2, v2, s2, v3
	v_cmp_ne_u32_e32 vcc, 0, v7
	v_cmp_ne_u32_e64 s[2:3], 0, v2
	s_and_b64 s[2:3], vcc, s[2:3]
	s_nop 0
	v_cndmask_b32_e64 v2, 0, 1, s[2:3]
	v_add_u32_e32 v6, v6, v2
; %bb.52:
	s_or_b64 exec, exec, s[14:15]
	s_mov_b64 s[14:15], -1
	s_mov_b64 s[2:3], 0
	global_store_byte v[4:5], v6, off
.LBB321_53:
	s_mov_b64 s[16:17], 0
.LBB321_54:
	s_and_b64 vcc, exec, s[16:17]
	s_cbranch_vccz .LBB321_57
; %bb.55:
	s_cmp_eq_u32 s21, 29
	s_mov_b64 s[2:3], -1
	s_cbranch_scc0 .LBB321_57
; %bb.56:
	v_trunc_f64_e32 v[2:3], v[0:1]
	s_movk_i32 s2, 0xffe0
	v_ldexp_f64 v[6:7], v[2:3], s2
	v_floor_f64_e32 v[6:7], v[6:7]
	v_fmac_f64_e32 v[2:3], 0xc1f00000, v[6:7]
	v_cvt_u32_f64_e32 v9, v[6:7]
	v_cvt_u32_f64_e32 v8, v[2:3]
	global_store_dwordx2 v[4:5], v[8:9], off
	s_mov_b64 s[14:15], -1
	s_mov_b64 s[2:3], 0
.LBB321_57:
	s_mov_b64 s[16:17], 0
.LBB321_58:
	s_and_b64 vcc, exec, s[16:17]
	s_cbranch_vccz .LBB321_74
; %bb.59:
	s_cmp_lt_i32 s21, 27
	s_mov_b64 s[14:15], -1
	s_cbranch_scc1 .LBB321_65
; %bb.60:
	s_cmp_gt_i32 s21, 27
	v_cvt_u32_f64_e32 v2, v[0:1]
	s_cbranch_scc0 .LBB321_62
; %bb.61:
	s_mov_b64 s[14:15], 0
	global_store_dword v[4:5], v2, off
.LBB321_62:
	s_andn2_b64 vcc, exec, s[14:15]
	s_cbranch_vccnz .LBB321_64
; %bb.63:
	global_store_short v[4:5], v2, off
.LBB321_64:
	s_mov_b64 s[14:15], 0
.LBB321_65:
	s_andn2_b64 vcc, exec, s[14:15]
	s_cbranch_vccnz .LBB321_73
; %bb.66:
	v_cvt_f32_f64_e32 v2, v[0:1]
	v_and_b32_e32 v3, 0x7fffffff, v2
	s_mov_b32 s14, 0x43800000
	v_cmp_gt_u32_e32 vcc, s14, v3
	v_mov_b32_e32 v6, 0x80
	s_and_saveexec_b64 s[14:15], vcc
	s_cbranch_execz .LBB321_72
; %bb.67:
	s_mov_b32 s16, 0x3bffffff
	v_cmp_lt_u32_e32 vcc, s16, v3
	s_mov_b64 s[16:17], 0
                                        ; implicit-def: $vgpr3
	s_and_saveexec_b64 s[18:19], vcc
	s_xor_b64 s[18:19], exec, s[18:19]
	s_cbranch_execz .LBB321_309
; %bb.68:
	v_bfe_u32 v3, v2, 20, 1
	s_mov_b32 s22, 0x487ffff
	v_add3_u32 v3, v2, v3, s22
	s_mov_b64 s[16:17], exec
	v_lshrrev_b32_e32 v3, 20, v3
	s_andn2_saveexec_b64 s[18:19], s[18:19]
	s_cbranch_execnz .LBB321_310
.LBB321_69:
	s_or_b64 exec, exec, s[18:19]
	v_mov_b32_e32 v6, 0
	s_and_saveexec_b64 s[18:19], s[16:17]
.LBB321_70:
	v_lshrrev_b32_e32 v2, 24, v2
	s_movk_i32 s16, 0x80
	v_and_or_b32 v6, v2, s16, v3
.LBB321_71:
	s_or_b64 exec, exec, s[18:19]
.LBB321_72:
	s_or_b64 exec, exec, s[14:15]
	global_store_byte v[4:5], v6, off
.LBB321_73:
	s_mov_b64 s[14:15], -1
.LBB321_74:
	s_mov_b64 s[16:17], 0
.LBB321_75:
	s_and_b64 vcc, exec, s[16:17]
	s_cbranch_vccz .LBB321_116
; %bb.76:
	s_cmp_gt_i32 s21, 22
	s_mov_b64 s[16:17], -1
	s_cbranch_scc0 .LBB321_108
; %bb.77:
	s_cmp_lt_i32 s21, 24
	s_mov_b64 s[14:15], -1
	s_cbranch_scc1 .LBB321_97
; %bb.78:
	s_cmp_gt_i32 s21, 24
	s_cbranch_scc0 .LBB321_86
; %bb.79:
	v_cvt_f32_f64_e32 v2, v[0:1]
	v_and_b32_e32 v3, 0x7fffffff, v2
	s_mov_b32 s14, 0x47800000
	v_cmp_gt_u32_e32 vcc, s14, v3
	v_mov_b32_e32 v6, 0x80
	s_and_saveexec_b64 s[14:15], vcc
	s_cbranch_execz .LBB321_85
; %bb.80:
	s_mov_b32 s16, 0x37ffffff
	v_cmp_lt_u32_e32 vcc, s16, v3
	s_mov_b64 s[16:17], 0
                                        ; implicit-def: $vgpr3
	s_and_saveexec_b64 s[18:19], vcc
	s_xor_b64 s[18:19], exec, s[18:19]
	s_cbranch_execz .LBB321_313
; %bb.81:
	v_bfe_u32 v3, v2, 21, 1
	s_mov_b32 s22, 0x88fffff
	v_add3_u32 v3, v2, v3, s22
	s_mov_b64 s[16:17], exec
	v_lshrrev_b32_e32 v3, 21, v3
	s_andn2_saveexec_b64 s[18:19], s[18:19]
	s_cbranch_execnz .LBB321_314
.LBB321_82:
	s_or_b64 exec, exec, s[18:19]
	v_mov_b32_e32 v6, 0
	s_and_saveexec_b64 s[18:19], s[16:17]
.LBB321_83:
	v_lshrrev_b32_e32 v2, 24, v2
	s_movk_i32 s16, 0x80
	v_and_or_b32 v6, v2, s16, v3
.LBB321_84:
	s_or_b64 exec, exec, s[18:19]
.LBB321_85:
	s_or_b64 exec, exec, s[14:15]
	s_mov_b64 s[14:15], 0
	global_store_byte v[4:5], v6, off
.LBB321_86:
	s_and_b64 vcc, exec, s[14:15]
	s_cbranch_vccz .LBB321_96
; %bb.87:
	v_cvt_f32_f64_e32 v2, v[0:1]
	v_and_b32_e32 v6, 0x7fffffff, v2
	s_mov_b32 s14, 0x43f00000
	v_cmp_gt_u32_e32 vcc, s14, v6
                                        ; implicit-def: $vgpr3
	s_and_saveexec_b64 s[14:15], vcc
	s_xor_b64 s[14:15], exec, s[14:15]
	s_cbranch_execz .LBB321_93
; %bb.88:
	s_mov_b32 s16, 0x3c7fffff
	v_cmp_lt_u32_e32 vcc, s16, v6
                                        ; implicit-def: $vgpr3
	s_and_saveexec_b64 s[16:17], vcc
	s_xor_b64 s[16:17], exec, s[16:17]
; %bb.89:
	v_bfe_u32 v3, v2, 20, 1
	s_mov_b32 s18, 0x407ffff
	v_add3_u32 v3, v2, v3, s18
	v_lshrrev_b32_e32 v6, 20, v3
	v_and_b32_e32 v3, 0xff00000, v3
	s_mov_b32 s18, 0x7f00000
	v_mov_b32_e32 v7, 0x7e
	v_cmp_ne_u32_e32 vcc, s18, v3
	s_nop 1
	v_cndmask_b32_e32 v3, v7, v6, vcc
; %bb.90:
	s_andn2_saveexec_b64 s[16:17], s[16:17]
; %bb.91:
	s_mov_b32 s18, 0x46800000
	v_add_f32_e64 v3, |v2|, s18
; %bb.92:
	s_or_b64 exec, exec, s[16:17]
                                        ; implicit-def: $vgpr6
.LBB321_93:
	s_andn2_saveexec_b64 s[14:15], s[14:15]
; %bb.94:
	s_mov_b32 s16, 0x7f800000
	v_mov_b32_e32 v3, 0x7e
	v_mov_b32_e32 v7, 0x7f
	v_cmp_lt_u32_e32 vcc, s16, v6
	s_nop 1
	v_cndmask_b32_e32 v3, v3, v7, vcc
; %bb.95:
	s_or_b64 exec, exec, s[14:15]
	v_lshrrev_b32_e32 v2, 24, v2
	s_movk_i32 s14, 0x80
	v_and_or_b32 v2, v2, s14, v3
	global_store_byte v[4:5], v2, off
.LBB321_96:
	s_mov_b64 s[14:15], 0
.LBB321_97:
	s_andn2_b64 vcc, exec, s[14:15]
	s_cbranch_vccnz .LBB321_107
; %bb.98:
	v_cvt_f32_f64_e32 v2, v[0:1]
	v_and_b32_e32 v6, 0x7fffffff, v2
	s_mov_b32 s14, 0x47800000
	v_cmp_gt_u32_e32 vcc, s14, v6
                                        ; implicit-def: $vgpr3
	s_and_saveexec_b64 s[14:15], vcc
	s_xor_b64 s[14:15], exec, s[14:15]
	s_cbranch_execz .LBB321_104
; %bb.99:
	s_mov_b32 s16, 0x387fffff
	v_cmp_lt_u32_e32 vcc, s16, v6
                                        ; implicit-def: $vgpr3
	s_and_saveexec_b64 s[16:17], vcc
	s_xor_b64 s[16:17], exec, s[16:17]
; %bb.100:
	v_bfe_u32 v3, v2, 21, 1
	s_mov_b32 s18, 0x80fffff
	v_add3_u32 v3, v2, v3, s18
	v_lshrrev_b32_e32 v3, 21, v3
; %bb.101:
	s_andn2_saveexec_b64 s[16:17], s[16:17]
; %bb.102:
	s_mov_b32 s18, 0x43000000
	v_add_f32_e64 v3, |v2|, s18
; %bb.103:
	s_or_b64 exec, exec, s[16:17]
                                        ; implicit-def: $vgpr6
.LBB321_104:
	s_andn2_saveexec_b64 s[14:15], s[14:15]
; %bb.105:
	s_mov_b32 s16, 0x7f800000
	v_mov_b32_e32 v3, 0x7c
	v_mov_b32_e32 v7, 0x7f
	v_cmp_lt_u32_e32 vcc, s16, v6
	s_nop 1
	v_cndmask_b32_e32 v3, v3, v7, vcc
; %bb.106:
	s_or_b64 exec, exec, s[14:15]
	v_lshrrev_b32_e32 v2, 24, v2
	s_movk_i32 s14, 0x80
	v_and_or_b32 v2, v2, s14, v3
	global_store_byte v[4:5], v2, off
.LBB321_107:
	s_mov_b64 s[16:17], 0
	s_mov_b64 s[14:15], -1
.LBB321_108:
	s_andn2_b64 vcc, exec, s[16:17]
	s_cbranch_vccnz .LBB321_116
; %bb.109:
	s_cmp_gt_i32 s21, 14
	s_mov_b64 s[16:17], -1
	s_cbranch_scc0 .LBB321_113
; %bb.110:
	s_cmp_eq_u32 s21, 15
	s_mov_b64 s[2:3], -1
	s_cbranch_scc0 .LBB321_112
; %bb.111:
	v_cvt_f32_f64_e32 v2, v[0:1]
	v_bfe_u32 v3, v2, 16, 1
	s_movk_i32 s2, 0x7fff
	v_add3_u32 v3, v2, v3, s2
	v_cmp_o_f32_e32 vcc, v2, v2
	v_mov_b32_e32 v2, 0x7fc0
	s_mov_b64 s[14:15], -1
	v_cndmask_b32_sdwa v2, v2, v3, vcc dst_sel:DWORD dst_unused:UNUSED_PAD src0_sel:DWORD src1_sel:WORD_1
	global_store_short v[4:5], v2, off
	s_mov_b64 s[2:3], 0
.LBB321_112:
	s_mov_b64 s[16:17], 0
.LBB321_113:
	s_and_b64 vcc, exec, s[16:17]
	s_cbranch_vccz .LBB321_116
; %bb.114:
	s_cmp_eq_u32 s21, 11
	s_mov_b64 s[2:3], -1
	s_cbranch_scc0 .LBB321_116
; %bb.115:
	v_cmp_neq_f64_e32 vcc, 0, v[0:1]
	s_mov_b64 s[2:3], 0
	s_mov_b64 s[14:15], -1
	v_cndmask_b32_e64 v2, 0, 1, vcc
	global_store_byte v[4:5], v2, off
.LBB321_116:
	s_branch .LBB321_35
.LBB321_117:
	s_and_b32 s16, 0xffff, s20
	s_cmp_lt_i32 s16, 5
	s_mov_b64 s[14:15], -1
	s_cbranch_scc1 .LBB321_138
; %bb.118:
	s_cmp_lt_i32 s16, 8
	s_cbranch_scc1 .LBB321_128
; %bb.119:
	s_cmp_lt_i32 s16, 9
	s_cbranch_scc1 .LBB321_125
; %bb.120:
	s_cmp_gt_i32 s16, 9
	s_cbranch_scc0 .LBB321_122
; %bb.121:
	v_mov_b32_e32 v2, 0
	v_mov_b32_e32 v3, v2
	global_store_dwordx4 v[4:5], v[0:3], off
	s_mov_b64 s[14:15], 0
.LBB321_122:
	s_andn2_b64 vcc, exec, s[14:15]
	s_cbranch_vccnz .LBB321_124
; %bb.123:
	v_cvt_f32_f64_e32 v2, v[0:1]
	v_mov_b32_e32 v3, 0
	global_store_dwordx2 v[4:5], v[2:3], off
.LBB321_124:
	s_mov_b64 s[14:15], 0
.LBB321_125:
	s_andn2_b64 vcc, exec, s[14:15]
	s_cbranch_vccnz .LBB321_127
; %bb.126:
	s_movk_i32 s14, 0x1ff
	v_and_or_b32 v2, v1, s14, v0
	v_cmp_ne_u32_e32 vcc, 0, v2
	v_lshrrev_b32_e32 v3, 8, v1
	s_movk_i32 s14, 0xffe
	v_cndmask_b32_e64 v2, 0, 1, vcc
	v_bfe_u32 v6, v1, 20, 11
	v_and_or_b32 v2, v3, s14, v2
	v_sub_u32_e32 v7, 0x3f1, v6
	v_or_b32_e32 v3, 0x1000, v2
	v_med3_i32 v7, v7, 0, 13
	v_lshrrev_b32_e32 v8, v7, v3
	v_lshlrev_b32_e32 v7, v7, v8
	v_cmp_ne_u32_e32 vcc, v7, v3
	v_add_u32_e32 v6, 0xfffffc10, v6
	v_lshl_or_b32 v7, v6, 12, v2
	v_cndmask_b32_e64 v3, 0, 1, vcc
	v_or_b32_e32 v3, v8, v3
	v_cmp_gt_i32_e32 vcc, 1, v6
	s_movk_i32 s14, 0x40f
	s_nop 0
	v_cndmask_b32_e32 v3, v7, v3, vcc
	v_and_b32_e32 v7, 7, v3
	v_cmp_lt_i32_e32 vcc, 5, v7
	v_lshrrev_b32_e32 v3, 2, v3
	s_nop 0
	v_cndmask_b32_e64 v8, 0, 1, vcc
	v_cmp_eq_u32_e32 vcc, 3, v7
	s_nop 1
	v_cndmask_b32_e64 v7, 0, 1, vcc
	v_or_b32_e32 v7, v7, v8
	v_add_u32_e32 v3, v3, v7
	v_mov_b32_e32 v7, 0x7c00
	v_cmp_gt_i32_e32 vcc, 31, v6
	v_mov_b32_e32 v8, 0x7e00
	s_nop 0
	v_cndmask_b32_e32 v3, v7, v3, vcc
	v_cmp_ne_u32_e32 vcc, 0, v2
	s_nop 1
	v_cndmask_b32_e32 v2, v7, v8, vcc
	v_cmp_eq_u32_e32 vcc, s14, v6
	s_mov_b32 s14, 0x8000
	s_nop 0
	v_cndmask_b32_e32 v2, v3, v2, vcc
	v_and_b32_sdwa v3, v1, s14 dst_sel:DWORD dst_unused:UNUSED_PAD src0_sel:WORD_1 src1_sel:DWORD
	s_mov_b32 s14, 0xffff
	v_bitop3_b32 v2, v3, s14, v2 bitop3:0xc8
	global_store_dword v[4:5], v2, off
.LBB321_127:
	s_mov_b64 s[14:15], 0
.LBB321_128:
	s_andn2_b64 vcc, exec, s[14:15]
	s_cbranch_vccnz .LBB321_137
; %bb.129:
	s_cmp_lt_i32 s16, 6
	s_mov_b64 s[14:15], -1
	s_cbranch_scc1 .LBB321_135
; %bb.130:
	s_cmp_gt_i32 s16, 6
	s_cbranch_scc0 .LBB321_132
; %bb.131:
	global_store_dwordx2 v[4:5], v[0:1], off
	s_mov_b64 s[14:15], 0
.LBB321_132:
	s_andn2_b64 vcc, exec, s[14:15]
	s_cbranch_vccnz .LBB321_134
; %bb.133:
	v_cvt_f32_f64_e32 v2, v[0:1]
	global_store_dword v[4:5], v2, off
.LBB321_134:
	s_mov_b64 s[14:15], 0
.LBB321_135:
	s_andn2_b64 vcc, exec, s[14:15]
	s_cbranch_vccnz .LBB321_137
; %bb.136:
	s_movk_i32 s14, 0x1ff
	v_and_or_b32 v2, v1, s14, v0
	v_cmp_ne_u32_e32 vcc, 0, v2
	v_lshrrev_b32_e32 v3, 8, v1
	s_movk_i32 s14, 0xffe
	v_cndmask_b32_e64 v2, 0, 1, vcc
	v_bfe_u32 v6, v1, 20, 11
	v_and_or_b32 v2, v3, s14, v2
	v_sub_u32_e32 v7, 0x3f1, v6
	v_or_b32_e32 v3, 0x1000, v2
	v_med3_i32 v7, v7, 0, 13
	v_lshrrev_b32_e32 v8, v7, v3
	v_lshlrev_b32_e32 v7, v7, v8
	v_cmp_ne_u32_e32 vcc, v7, v3
	v_add_u32_e32 v6, 0xfffffc10, v6
	v_lshl_or_b32 v7, v6, 12, v2
	v_cndmask_b32_e64 v3, 0, 1, vcc
	v_or_b32_e32 v3, v8, v3
	v_cmp_gt_i32_e32 vcc, 1, v6
	s_movk_i32 s14, 0x40f
	s_nop 0
	v_cndmask_b32_e32 v3, v7, v3, vcc
	v_and_b32_e32 v7, 7, v3
	v_cmp_lt_i32_e32 vcc, 5, v7
	v_lshrrev_b32_e32 v3, 2, v3
	s_nop 0
	v_cndmask_b32_e64 v8, 0, 1, vcc
	v_cmp_eq_u32_e32 vcc, 3, v7
	s_nop 1
	v_cndmask_b32_e64 v7, 0, 1, vcc
	v_or_b32_e32 v7, v7, v8
	v_add_u32_e32 v3, v3, v7
	v_mov_b32_e32 v7, 0x7c00
	v_cmp_gt_i32_e32 vcc, 31, v6
	v_mov_b32_e32 v8, 0x7e00
	s_nop 0
	v_cndmask_b32_e32 v3, v7, v3, vcc
	v_cmp_ne_u32_e32 vcc, 0, v2
	s_nop 1
	v_cndmask_b32_e32 v2, v7, v8, vcc
	v_cmp_eq_u32_e32 vcc, s14, v6
	s_mov_b32 s14, 0x8000
	s_nop 0
	v_cndmask_b32_e32 v2, v3, v2, vcc
	v_lshrrev_b32_e32 v3, 16, v1
	v_and_or_b32 v2, v3, s14, v2
	global_store_short v[4:5], v2, off
.LBB321_137:
	s_mov_b64 s[14:15], 0
.LBB321_138:
	s_andn2_b64 vcc, exec, s[14:15]
	s_cbranch_vccnz .LBB321_154
; %bb.139:
	s_cmp_lt_i32 s16, 2
	s_mov_b64 s[14:15], -1
	s_cbranch_scc1 .LBB321_149
; %bb.140:
	s_cmp_lt_i32 s16, 3
	s_cbranch_scc1 .LBB321_146
; %bb.141:
	s_cmp_gt_i32 s16, 3
	s_cbranch_scc0 .LBB321_143
; %bb.142:
	v_trunc_f64_e32 v[2:3], v[0:1]
	s_movk_i32 s14, 0xffe0
	v_ldexp_f64 v[6:7], v[2:3], s14
	v_floor_f64_e32 v[6:7], v[6:7]
	v_fmac_f64_e32 v[2:3], 0xc1f00000, v[6:7]
	v_cvt_i32_f64_e32 v9, v[6:7]
	v_cvt_u32_f64_e32 v8, v[2:3]
	global_store_dwordx2 v[4:5], v[8:9], off
	s_mov_b64 s[14:15], 0
.LBB321_143:
	s_andn2_b64 vcc, exec, s[14:15]
	s_cbranch_vccnz .LBB321_145
; %bb.144:
	v_cvt_i32_f64_e32 v2, v[0:1]
	global_store_dword v[4:5], v2, off
.LBB321_145:
	s_mov_b64 s[14:15], 0
.LBB321_146:
	s_andn2_b64 vcc, exec, s[14:15]
	s_cbranch_vccnz .LBB321_148
; %bb.147:
	v_cvt_i32_f64_e32 v2, v[0:1]
	global_store_short v[4:5], v2, off
.LBB321_148:
	s_mov_b64 s[14:15], 0
.LBB321_149:
	s_andn2_b64 vcc, exec, s[14:15]
	s_cbranch_vccnz .LBB321_154
; %bb.150:
	s_cmp_gt_i32 s16, 0
	s_mov_b64 s[14:15], -1
	s_cbranch_scc0 .LBB321_152
; %bb.151:
	v_cvt_i32_f64_e32 v2, v[0:1]
	global_store_byte v[4:5], v2, off
	s_mov_b64 s[14:15], 0
.LBB321_152:
	s_andn2_b64 vcc, exec, s[14:15]
	s_cbranch_vccnz .LBB321_154
; %bb.153:
	v_trunc_f64_e32 v[0:1], v[0:1]
	s_movk_i32 s14, 0xffe0
	v_ldexp_f64 v[2:3], v[0:1], s14
	v_floor_f64_e32 v[2:3], v[2:3]
	v_fmac_f64_e32 v[0:1], 0xc1f00000, v[2:3]
	v_cvt_u32_f64_e32 v0, v[0:1]
	global_store_byte v[4:5], v0, off
.LBB321_154:
.LBB321_155:
	v_add_u32_e32 v10, 0x80, v10
	s_mov_b64 s[14:15], -1
	s_branch .LBB321_266
.LBB321_156:
	s_mov_b64 s[12:13], -1
                                        ; implicit-def: $vgpr4_vgpr5
.LBB321_157:
	s_mov_b64 s[14:15], 0
.LBB321_158:
	s_and_b64 vcc, exec, s[14:15]
	s_cbranch_vccz .LBB321_162
; %bb.159:
	s_cmp_eq_u32 s18, 29
	s_cbranch_scc0 .LBB321_161
; %bb.160:
	global_load_dwordx2 v[4:5], v[0:1], off
	s_mov_b64 s[2:3], -1
	s_mov_b64 s[12:13], 0
	s_mov_b64 s[14:15], 0
	s_waitcnt vmcnt(0)
	v_cvt_f64_u32_e32 v[6:7], v5
	v_cvt_f64_u32_e32 v[4:5], v4
	v_ldexp_f64 v[6:7], v[6:7], 32
	v_add_f64 v[4:5], v[6:7], v[4:5]
	s_branch .LBB321_163
.LBB321_161:
	s_mov_b64 s[12:13], -1
                                        ; implicit-def: $vgpr4_vgpr5
.LBB321_162:
	s_mov_b64 s[14:15], 0
.LBB321_163:
	s_and_b64 vcc, exec, s[14:15]
	s_cbranch_vccz .LBB321_183
; %bb.164:
	s_cmp_lt_i32 s18, 27
	s_cbranch_scc1 .LBB321_167
; %bb.165:
	s_cmp_gt_i32 s18, 27
	s_cbranch_scc0 .LBB321_168
; %bb.166:
	global_load_dword v3, v[0:1], off
	s_mov_b64 s[2:3], 0
	s_waitcnt vmcnt(0)
	v_cvt_f64_u32_e32 v[4:5], v3
	s_branch .LBB321_169
.LBB321_167:
	s_mov_b64 s[2:3], -1
                                        ; implicit-def: $vgpr4_vgpr5
	s_branch .LBB321_172
.LBB321_168:
	s_mov_b64 s[2:3], -1
                                        ; implicit-def: $vgpr4_vgpr5
.LBB321_169:
	s_andn2_b64 vcc, exec, s[2:3]
	s_cbranch_vccnz .LBB321_171
; %bb.170:
	global_load_ushort v3, v[0:1], off
	s_waitcnt vmcnt(0)
	v_cvt_f64_u32_e32 v[4:5], v3
.LBB321_171:
	s_mov_b64 s[2:3], 0
.LBB321_172:
	s_andn2_b64 vcc, exec, s[2:3]
	s_cbranch_vccnz .LBB321_182
; %bb.173:
	global_load_ubyte v3, v[0:1], off
	s_movk_i32 s2, 0x7f
	s_waitcnt vmcnt(0)
	v_cmp_lt_i16_e32 vcc, s2, v3
	s_mov_b64 s[2:3], 0
	s_and_saveexec_b64 s[14:15], vcc
	s_xor_b64 s[14:15], exec, s[14:15]
	s_cbranch_execz .LBB321_177
; %bb.174:
	s_movk_i32 s2, 0x80
	v_cmp_eq_u16_e32 vcc, s2, v3
	s_mov_b64 s[2:3], -1
	s_and_saveexec_b64 s[16:17], vcc
; %bb.175:
	s_xor_b64 s[2:3], exec, -1
; %bb.176:
	s_or_b64 exec, exec, s[16:17]
	s_and_b64 s[2:3], s[2:3], exec
.LBB321_177:
	s_or_saveexec_b64 s[14:15], s[14:15]
	v_bfrev_b32_e32 v4, 4
	v_mov_b32_e32 v5, 0x7ff80000
	s_xor_b64 exec, exec, s[14:15]
; %bb.178:
	v_cmp_ne_u16_e32 vcc, 0, v3
	s_andn2_b64 s[2:3], s[2:3], exec
	s_and_b64 s[16:17], vcc, exec
	v_mov_b64_e32 v[4:5], 0
	s_or_b64 s[2:3], s[2:3], s[16:17]
; %bb.179:
	s_or_b64 exec, exec, s[14:15]
	s_and_saveexec_b64 s[14:15], s[2:3]
	s_cbranch_execz .LBB321_181
; %bb.180:
	v_lshlrev_b32_e32 v4, 24, v3
	v_and_b32_e32 v3, 0xffff, v3
	v_and_b32_e32 v5, 7, v3
	v_ffbh_u32_e32 v7, v5
	v_min_u32_e32 v7, 32, v7
	v_subrev_u32_e32 v8, 28, v7
	v_bfe_u32 v6, v3, 3, 4
	v_lshlrev_b32_e32 v3, v8, v3
	v_sub_u32_e32 v7, 29, v7
	v_and_b32_e32 v3, 7, v3
	v_cmp_eq_u32_e32 vcc, 0, v6
	v_and_b32_e32 v4, 0x80000000, v4
	s_nop 0
	v_cndmask_b32_e32 v6, v6, v7, vcc
	v_cndmask_b32_e32 v3, v5, v3, vcc
	v_mov_b32_e32 v5, 0x3b800000
	v_lshlrev_b32_e32 v3, 20, v3
	v_lshl_add_u32 v5, v6, 23, v5
	v_or3_b32 v3, v4, v5, v3
	v_cvt_f64_f32_e32 v[4:5], v3
.LBB321_181:
	s_or_b64 exec, exec, s[14:15]
.LBB321_182:
	s_mov_b64 s[2:3], -1
.LBB321_183:
	s_branch .LBB321_216
.LBB321_184:
	s_cmp_gt_i32 s18, 22
	s_cbranch_scc0 .LBB321_196
; %bb.185:
	s_cmp_lt_i32 s18, 24
	s_cbranch_scc1 .LBB321_197
; %bb.186:
	s_cmp_gt_i32 s18, 24
	s_cbranch_scc0 .LBB321_198
; %bb.187:
	global_load_ubyte v3, v[0:1], off
	s_movk_i32 s2, 0x7f
	s_waitcnt vmcnt(0)
	v_cmp_lt_i16_e32 vcc, s2, v3
	s_mov_b64 s[2:3], 0
	s_and_saveexec_b64 s[14:15], vcc
	s_xor_b64 s[14:15], exec, s[14:15]
	s_cbranch_execz .LBB321_191
; %bb.188:
	s_movk_i32 s2, 0x80
	v_cmp_eq_u16_e32 vcc, s2, v3
	s_mov_b64 s[2:3], -1
	s_and_saveexec_b64 s[16:17], vcc
; %bb.189:
	s_xor_b64 s[2:3], exec, -1
; %bb.190:
	s_or_b64 exec, exec, s[16:17]
	s_and_b64 s[2:3], s[2:3], exec
.LBB321_191:
	s_or_saveexec_b64 s[14:15], s[14:15]
	v_bfrev_b32_e32 v4, 4
	v_mov_b32_e32 v5, 0x7ff80000
	s_xor_b64 exec, exec, s[14:15]
; %bb.192:
	v_cmp_ne_u16_e32 vcc, 0, v3
	s_andn2_b64 s[2:3], s[2:3], exec
	s_and_b64 s[16:17], vcc, exec
	v_mov_b64_e32 v[4:5], 0
	s_or_b64 s[2:3], s[2:3], s[16:17]
; %bb.193:
	s_or_b64 exec, exec, s[14:15]
	s_and_saveexec_b64 s[14:15], s[2:3]
	s_cbranch_execz .LBB321_195
; %bb.194:
	v_lshlrev_b32_e32 v4, 24, v3
	v_and_b32_e32 v3, 0xffff, v3
	v_and_b32_e32 v5, 3, v3
	v_ffbh_u32_e32 v7, v5
	v_min_u32_e32 v7, 32, v7
	v_subrev_u32_e32 v8, 29, v7
	v_bfe_u32 v6, v3, 2, 5
	v_lshlrev_b32_e32 v3, v8, v3
	v_sub_u32_e32 v7, 30, v7
	v_and_b32_e32 v3, 3, v3
	v_cmp_eq_u32_e32 vcc, 0, v6
	v_and_b32_e32 v4, 0x80000000, v4
	s_nop 0
	v_cndmask_b32_e32 v6, v6, v7, vcc
	v_cndmask_b32_e32 v3, v5, v3, vcc
	v_mov_b32_e32 v5, 0x37800000
	v_lshlrev_b32_e32 v3, 21, v3
	v_lshl_add_u32 v5, v6, 23, v5
	v_or3_b32 v3, v4, v5, v3
	v_cvt_f64_f32_e32 v[4:5], v3
.LBB321_195:
	s_or_b64 exec, exec, s[14:15]
	s_mov_b64 s[2:3], 0
	s_branch .LBB321_199
.LBB321_196:
	s_mov_b64 s[14:15], -1
                                        ; implicit-def: $vgpr4_vgpr5
	s_branch .LBB321_205
.LBB321_197:
	s_mov_b64 s[2:3], -1
                                        ; implicit-def: $vgpr4_vgpr5
	s_branch .LBB321_202
.LBB321_198:
	s_mov_b64 s[2:3], -1
                                        ; implicit-def: $vgpr4_vgpr5
.LBB321_199:
	s_and_b64 vcc, exec, s[2:3]
	s_cbranch_vccz .LBB321_201
; %bb.200:
	global_load_ubyte v3, v[0:1], off
	s_mov_b32 s2, 0x7f800000
	s_waitcnt vmcnt(0)
	v_lshlrev_b32_e32 v3, 24, v3
	v_and_b32_e32 v4, 0x7f000000, v3
	v_ffbh_u32_e32 v5, v4
	v_min_u32_e32 v5, 32, v5
	v_sub_u32_e64 v5, v5, 4 clamp
	v_lshlrev_b32_e32 v7, v5, v4
	v_lshlrev_b32_e32 v5, 23, v5
	v_lshrrev_b32_e32 v7, 4, v7
	v_add_u32_e32 v6, 0x1000000, v4
	v_sub_u32_e32 v5, v7, v5
	v_ashrrev_i32_e32 v6, 8, v6
	v_add_u32_e32 v5, 0x3c000000, v5
	v_and_or_b32 v5, v6, s2, v5
	v_cmp_ne_u32_e32 vcc, 0, v4
	s_brev_b32 s2, 1
	s_nop 0
	v_cndmask_b32_e32 v4, 0, v5, vcc
	v_and_or_b32 v3, v3, s2, v4
	v_cvt_f64_f32_e32 v[4:5], v3
.LBB321_201:
	s_mov_b64 s[2:3], 0
.LBB321_202:
	s_andn2_b64 vcc, exec, s[2:3]
	s_cbranch_vccnz .LBB321_204
; %bb.203:
	global_load_ubyte v3, v[0:1], off
	s_movk_i32 s2, 0x7f00
	s_brev_b32 s3, 16
	s_waitcnt vmcnt(0)
	v_lshlrev_b16_e32 v4, 8, v3
	v_lshlrev_b32_e32 v3, 25, v3
	v_lshrrev_b32_e32 v5, 4, v3
	v_and_or_b32 v6, v4, s2, 0.5
	v_or_b32_e32 v5, 0x70000000, v5
	v_add_f32_e32 v6, -0.5, v6
	v_mul_f32_e32 v5, 0x7800000, v5
	v_cmp_gt_u32_e32 vcc, s3, v3
	v_bfe_i32 v4, v4, 0, 16
	s_brev_b32 s2, 1
	v_cndmask_b32_e32 v3, v5, v6, vcc
	v_and_or_b32 v3, v4, s2, v3
	v_cvt_f64_f32_e32 v[4:5], v3
.LBB321_204:
	s_mov_b64 s[14:15], 0
	s_mov_b64 s[2:3], -1
.LBB321_205:
	s_andn2_b64 vcc, exec, s[14:15]
	s_cbranch_vccnz .LBB321_216
; %bb.206:
	s_cmp_gt_i32 s18, 14
	s_cbranch_scc0 .LBB321_209
; %bb.207:
	s_cmp_eq_u32 s18, 15
	s_cbranch_scc0 .LBB321_210
; %bb.208:
	global_load_ushort v3, v[0:1], off
	s_mov_b64 s[2:3], -1
	s_mov_b64 s[12:13], 0
	s_waitcnt vmcnt(0)
	v_lshlrev_b32_e32 v3, 16, v3
	v_cvt_f64_f32_e32 v[4:5], v3
	s_branch .LBB321_211
.LBB321_209:
	s_mov_b64 s[14:15], -1
                                        ; implicit-def: $vgpr4_vgpr5
	s_branch .LBB321_212
.LBB321_210:
	s_mov_b64 s[12:13], -1
                                        ; implicit-def: $vgpr4_vgpr5
.LBB321_211:
	s_mov_b64 s[14:15], 0
.LBB321_212:
	s_and_b64 vcc, exec, s[14:15]
	s_cbranch_vccz .LBB321_216
; %bb.213:
	s_cmp_eq_u32 s18, 11
	s_cbranch_scc0 .LBB321_215
; %bb.214:
	global_load_ubyte v3, v[0:1], off
	v_mov_b32_e32 v5, 0x3ff00000
	v_mov_b32_e32 v4, 0
	s_mov_b64 s[2:3], -1
	s_mov_b64 s[12:13], 0
	s_waitcnt vmcnt(0)
	v_cmp_ne_u16_e32 vcc, 0, v3
	s_nop 1
	v_cndmask_b32_e32 v5, 0, v5, vcc
	s_branch .LBB321_216
.LBB321_215:
	s_mov_b64 s[12:13], -1
                                        ; implicit-def: $vgpr4_vgpr5
.LBB321_216:
	s_branch .LBB321_25
.LBB321_217:
	s_cmp_lt_i32 s18, 5
	s_cbranch_scc1 .LBB321_222
; %bb.218:
	s_cmp_lt_i32 s18, 8
	s_cbranch_scc1 .LBB321_223
; %bb.219:
	;; [unrolled: 3-line block ×3, first 2 shown]
	s_cmp_gt_i32 s18, 9
	s_cbranch_scc0 .LBB321_225
; %bb.221:
	global_load_dwordx2 v[4:5], v[0:1], off
	s_mov_b64 s[2:3], 0
	s_branch .LBB321_226
.LBB321_222:
                                        ; implicit-def: $vgpr4_vgpr5
	s_branch .LBB321_244
.LBB321_223:
	s_mov_b64 s[2:3], -1
                                        ; implicit-def: $vgpr4_vgpr5
	s_branch .LBB321_232
.LBB321_224:
	s_mov_b64 s[2:3], -1
                                        ; implicit-def: $vgpr4_vgpr5
	s_branch .LBB321_229
.LBB321_225:
	s_mov_b64 s[2:3], -1
                                        ; implicit-def: $vgpr4_vgpr5
.LBB321_226:
	s_andn2_b64 vcc, exec, s[2:3]
	s_cbranch_vccnz .LBB321_228
; %bb.227:
	global_load_dword v3, v[0:1], off
	s_waitcnt vmcnt(0)
	v_cvt_f64_f32_e32 v[4:5], v3
.LBB321_228:
	s_mov_b64 s[2:3], 0
.LBB321_229:
	s_andn2_b64 vcc, exec, s[2:3]
	s_cbranch_vccnz .LBB321_231
; %bb.230:
	global_load_dword v3, v[0:1], off
	s_waitcnt vmcnt(0)
	v_cvt_f32_f16_e32 v3, v3
	v_cvt_f64_f32_e32 v[4:5], v3
.LBB321_231:
	s_mov_b64 s[2:3], 0
.LBB321_232:
	s_andn2_b64 vcc, exec, s[2:3]
	s_cbranch_vccnz .LBB321_243
; %bb.233:
	s_cmp_lt_i32 s18, 6
	s_cbranch_scc1 .LBB321_236
; %bb.234:
	s_cmp_gt_i32 s18, 6
	s_cbranch_scc0 .LBB321_237
; %bb.235:
	global_load_dwordx2 v[4:5], v[0:1], off
	s_mov_b64 s[2:3], 0
	s_branch .LBB321_238
.LBB321_236:
	s_mov_b64 s[2:3], -1
                                        ; implicit-def: $vgpr4_vgpr5
	s_branch .LBB321_241
.LBB321_237:
	s_mov_b64 s[2:3], -1
                                        ; implicit-def: $vgpr4_vgpr5
.LBB321_238:
	s_andn2_b64 vcc, exec, s[2:3]
	s_cbranch_vccnz .LBB321_240
; %bb.239:
	global_load_dword v3, v[0:1], off
	s_waitcnt vmcnt(0)
	v_cvt_f64_f32_e32 v[4:5], v3
.LBB321_240:
	s_mov_b64 s[2:3], 0
.LBB321_241:
	s_andn2_b64 vcc, exec, s[2:3]
	s_cbranch_vccnz .LBB321_243
; %bb.242:
	global_load_ushort v3, v[0:1], off
	s_waitcnt vmcnt(0)
	v_cvt_f32_f16_e32 v3, v3
	v_cvt_f64_f32_e32 v[4:5], v3
.LBB321_243:
	s_cbranch_execnz .LBB321_263
.LBB321_244:
	s_cmp_lt_i32 s18, 2
	s_cbranch_scc1 .LBB321_248
; %bb.245:
	s_cmp_lt_i32 s18, 3
	s_cbranch_scc1 .LBB321_249
; %bb.246:
	s_cmp_gt_i32 s18, 3
	s_cbranch_scc0 .LBB321_250
; %bb.247:
	global_load_dwordx2 v[4:5], v[0:1], off
	s_mov_b64 s[2:3], 0
	s_waitcnt vmcnt(0)
	v_cvt_f64_i32_e32 v[6:7], v5
	v_cvt_f64_u32_e32 v[4:5], v4
	v_ldexp_f64 v[6:7], v[6:7], 32
	v_add_f64 v[4:5], v[6:7], v[4:5]
	s_branch .LBB321_251
.LBB321_248:
	s_mov_b64 s[2:3], -1
                                        ; implicit-def: $vgpr4_vgpr5
	s_branch .LBB321_257
.LBB321_249:
	s_mov_b64 s[2:3], -1
                                        ; implicit-def: $vgpr4_vgpr5
	s_branch .LBB321_254
.LBB321_250:
	s_mov_b64 s[2:3], -1
                                        ; implicit-def: $vgpr4_vgpr5
.LBB321_251:
	s_andn2_b64 vcc, exec, s[2:3]
	s_cbranch_vccnz .LBB321_253
; %bb.252:
	global_load_dword v3, v[0:1], off
	s_waitcnt vmcnt(0)
	v_cvt_f64_i32_e32 v[4:5], v3
.LBB321_253:
	s_mov_b64 s[2:3], 0
.LBB321_254:
	s_andn2_b64 vcc, exec, s[2:3]
	s_cbranch_vccnz .LBB321_256
; %bb.255:
	global_load_sshort v3, v[0:1], off
	s_waitcnt vmcnt(0)
	v_cvt_f64_i32_e32 v[4:5], v3
.LBB321_256:
	s_mov_b64 s[2:3], 0
.LBB321_257:
	s_andn2_b64 vcc, exec, s[2:3]
	s_cbranch_vccnz .LBB321_263
; %bb.258:
	s_cmp_gt_i32 s18, 0
	s_cbranch_scc0 .LBB321_260
; %bb.259:
	global_load_sbyte v3, v[0:1], off
	s_mov_b64 s[2:3], 0
	s_waitcnt vmcnt(0)
	v_cvt_f64_i32_e32 v[4:5], v3
	s_branch .LBB321_261
.LBB321_260:
	s_mov_b64 s[2:3], -1
                                        ; implicit-def: $vgpr4_vgpr5
.LBB321_261:
	s_andn2_b64 vcc, exec, s[2:3]
	s_cbranch_vccnz .LBB321_263
; %bb.262:
	global_load_ubyte v0, v[0:1], off
	s_waitcnt vmcnt(0)
	v_cvt_f64_u32_e32 v[4:5], v0
.LBB321_263:
	s_branch .LBB321_26
.LBB321_264:
	s_mov_b64 s[2:3], 0
.LBB321_265:
	s_mov_b64 s[14:15], 0
                                        ; implicit-def: $vgpr10
.LBB321_266:
	s_and_b64 s[58:59], s[2:3], exec
	s_and_b64 s[60:61], s[12:13], exec
	s_orn2_b64 s[12:13], s[14:15], exec
.LBB321_267:
	s_or_b64 exec, exec, s[62:63]
	s_mov_b64 s[14:15], 0
	s_mov_b64 s[2:3], 0
                                        ; implicit-def: $vgpr0_vgpr1
                                        ; implicit-def: $vgpr2
                                        ; implicit-def: $vgpr6_vgpr7
	s_and_saveexec_b64 s[62:63], s[12:13]
	s_cbranch_execz .LBB321_275
; %bb.268:
	v_cmp_gt_i32_e32 vcc, s74, v10
	s_mov_b64 s[2:3], -1
	s_mov_b64 s[64:65], s[60:61]
	s_mov_b64 s[66:67], s[58:59]
	s_and_saveexec_b64 s[68:69], vcc
	s_cbranch_execz .LBB321_544
; %bb.269:
	s_andn2_b64 vcc, exec, s[46:47]
	s_cbranch_vccnz .LBB321_278
; %bb.270:
	s_andn2_b64 vcc, exec, s[56:57]
	s_cbranch_vccnz .LBB321_279
; %bb.271:
	s_add_i32 s67, s79, 1
	s_cmp_eq_u32 s76, 2
	s_cbranch_scc1 .LBB321_280
; %bb.272:
	s_and_b32 s66, s67, 28
	s_mov_b32 s70, 0
	v_mov_b32_e32 v2, 0
	v_mov_b32_e32 v0, 0
	s_mov_b64 s[2:3], s[34:35]
	s_mov_b64 s[64:65], s[54:55]
	s_waitcnt vmcnt(0)
	v_mov_b32_e32 v4, v10
.LBB321_273:                            ; =>This Inner Loop Header: Depth=1
	s_load_dwordx8 s[20:27], s[2:3], 0x4
	s_load_dwordx4 s[40:43], s[2:3], 0x24
	s_load_dwordx8 s[12:19], s[64:65], 0x0
	s_add_u32 s2, s2, 48
	s_addc_u32 s3, s3, 0
	s_waitcnt lgkmcnt(0)
	v_mul_hi_u32 v1, s21, v4
	v_add_u32_e32 v1, v4, v1
	v_lshrrev_b32_e32 v1, s22, v1
	v_mul_lo_u32 v3, v1, s20
	v_mul_hi_u32 v5, s24, v1
	v_sub_u32_e32 v3, v4, v3
	v_add_u32_e32 v4, v1, v5
	v_lshrrev_b32_e32 v4, s25, v4
	v_mul_lo_u32 v6, v4, s23
	v_mul_hi_u32 v7, s27, v4
	v_sub_u32_e32 v1, v1, v6
	v_add_u32_e32 v6, v4, v7
	v_mul_lo_u32 v5, v3, s13
	v_mul_lo_u32 v3, v3, s12
	;; [unrolled: 1-line block ×4, first 2 shown]
	v_lshrrev_b32_e32 v6, s40, v6
	v_add3_u32 v1, v3, v2, v1
	v_mul_hi_u32 v3, s42, v6
	v_mul_lo_u32 v2, v6, s26
	v_add_u32_e32 v3, v6, v3
	v_sub_u32_e32 v2, v4, v2
	v_lshrrev_b32_e32 v4, s43, v3
	s_add_i32 s70, s70, 4
	v_mul_lo_u32 v3, v4, s41
	s_add_u32 s64, s64, 32
	v_sub_u32_e32 v3, v6, v3
	s_addc_u32 s65, s65, 0
	v_add3_u32 v0, v5, v0, v7
	v_mul_lo_u32 v5, v2, s16
	v_mul_lo_u32 v2, v2, s17
	;; [unrolled: 1-line block ×4, first 2 shown]
	s_cmp_eq_u32 s66, s70
	v_add3_u32 v0, v2, v0, v3
	v_add3_u32 v2, v5, v1, v6
	s_cbranch_scc0 .LBB321_273
; %bb.274:
	v_mov_b32_e32 v1, v0
	s_branch .LBB321_281
.LBB321_275:
	s_or_b64 exec, exec, s[62:63]
	s_mov_b64 s[6:7], 0
	s_and_saveexec_b64 s[12:13], s[60:61]
	s_cbranch_execnz .LBB321_922
.LBB321_276:
	s_or_b64 exec, exec, s[12:13]
	s_and_saveexec_b64 s[12:13], s[66:67]
	s_xor_b64 s[12:13], exec, s[12:13]
	s_cbranch_execz .LBB321_923
.LBB321_277:
	global_load_ubyte v3, v[0:1], off
	s_waitcnt vmcnt(1)
	v_mov_b32_e32 v4, 0x3ff00000
	v_mov_b32_e32 v6, 0
	s_or_b64 s[2:3], s[2:3], exec
	s_waitcnt vmcnt(0)
	v_cmp_ne_u16_e32 vcc, 0, v3
	s_nop 1
	v_cndmask_b32_e32 v7, 0, v4, vcc
	s_or_b64 exec, exec, s[12:13]
	s_and_saveexec_b64 s[12:13], s[14:15]
	s_cbranch_execz .LBB321_969
	s_branch .LBB321_924
.LBB321_278:
                                        ; implicit-def: $vgpr0
                                        ; implicit-def: $vgpr2
	s_andn2_b64 vcc, exec, s[2:3]
	s_cbranch_vccz .LBB321_285
	s_branch .LBB321_287
.LBB321_279:
	v_mov_b32_e32 v0, 0
	v_mov_b32_e32 v2, 0
	s_branch .LBB321_284
.LBB321_280:
	v_mov_b32_e32 v2, 0
	s_mov_b32 s66, 0
	v_mov_b32_e32 v1, v2
                                        ; implicit-def: $vgpr0
	s_waitcnt vmcnt(0)
	v_mov_b32_e32 v4, v10
.LBB321_281:
	s_and_b32 s14, s67, 3
	s_cmp_eq_u32 s14, 0
	s_cbranch_scc1 .LBB321_284
; %bb.282:
	s_lshl_b32 s2, s66, 3
	s_add_u32 s2, s34, s2
	s_addc_u32 s3, s35, 0
	s_add_u32 s2, s2, 0xc4
	s_addc_u32 s3, s3, 0
	s_mul_i32 s12, s66, 12
	s_add_u32 s12, s34, s12
	s_addc_u32 s13, s35, 0
.LBB321_283:                            ; =>This Inner Loop Header: Depth=1
	s_load_dwordx2 s[16:17], s[12:13], 0x4
	s_load_dword s15, s[12:13], 0xc
	s_load_dwordx2 s[18:19], s[2:3], 0x0
	v_mov_b32_e32 v0, v1
	s_add_u32 s12, s12, 12
	s_waitcnt lgkmcnt(0)
	v_mul_hi_u32 v1, s17, v4
	v_add_u32_e32 v1, v4, v1
	v_lshrrev_b32_e32 v1, s15, v1
	s_addc_u32 s13, s13, 0
	v_mul_lo_u32 v3, v1, s16
	s_add_u32 s2, s2, 8
	v_sub_u32_e32 v3, v4, v3
	s_addc_u32 s3, s3, 0
	s_add_i32 s14, s14, -1
	v_mov_b32_e32 v4, v1
	v_mad_u64_u32 v[0:1], s[16:17], v3, s19, v[0:1]
	s_cmp_lg_u32 s14, 0
	v_mad_u64_u32 v[2:3], s[16:17], v3, s18, v[2:3]
	v_mov_b32_e32 v1, v0
	s_cbranch_scc1 .LBB321_283
.LBB321_284:
	s_cbranch_execnz .LBB321_287
.LBB321_285:
	v_mul_hi_u32 v0, s29, v10
	v_add_u32_e32 v0, v10, v0
	v_lshrrev_b32_e32 v1, s30, v0
	v_mul_lo_u32 v0, v1, s28
	v_sub_u32_e32 v2, v10, v0
	v_mul_lo_u32 v0, v2, s37
	s_andn2_b64 vcc, exec, s[52:53]
	v_mul_lo_u32 v2, v2, s36
	s_cbranch_vccnz .LBB321_287
; %bb.286:
	v_mul_hi_u32 v3, s50, v1
	v_add_u32_e32 v3, v1, v3
	v_lshrrev_b32_e32 v3, s51, v3
	v_mul_lo_u32 v3, v3, s31
	v_sub_u32_e32 v1, v1, v3
	v_mad_u64_u32 v[2:3], s[2:3], v1, s38, v[2:3]
	v_mad_u64_u32 v[0:1], s[2:3], v1, s39, v[0:1]
.LBB321_287:
	v_mov_b32_e32 v1, 0
	s_and_b32 s18, 0xffff, s78
	s_cmp_lt_i32 s18, 11
	v_lshl_add_u64 v[0:1], s[6:7], 0, v[0:1]
	s_cbranch_scc1 .LBB321_294
; %bb.288:
	s_cmp_gt_i32 s18, 25
	s_cbranch_scc0 .LBB321_303
; %bb.289:
	s_cmp_gt_i32 s18, 28
	s_cbranch_scc0 .LBB321_305
	;; [unrolled: 3-line block ×4, first 2 shown]
; %bb.292:
	s_cmp_eq_u32 s18, 46
	s_mov_b64 s[14:15], 0
	s_cbranch_scc0 .LBB321_315
; %bb.293:
	global_load_dword v3, v[0:1], off
	s_mov_b64 s[2:3], -1
	s_mov_b64 s[12:13], 0
	s_waitcnt vmcnt(0)
	v_lshlrev_b32_e32 v3, 16, v3
	v_cvt_f64_f32_e32 v[4:5], v3
	s_branch .LBB321_316
.LBB321_294:
	s_mov_b64 s[2:3], 0
                                        ; implicit-def: $vgpr4_vgpr5
	s_mov_b64 s[12:13], s[60:61]
	s_cbranch_execnz .LBB321_493
.LBB321_295:
	s_andn2_b64 vcc, exec, s[2:3]
	s_cbranch_vccnz .LBB321_541
.LBB321_296:
	v_max_f64 v[0:1], s[8:9], s[8:9]
	s_waitcnt vmcnt(0)
	v_max_f64 v[6:7], v[4:5], v[4:5]
	v_max_f64 v[0:1], v[6:7], v[0:1]
	;; [unrolled: 1-line block ×3, first 2 shown]
	v_min_f64 v[0:1], v[0:1], v[6:7]
	v_cmp_u_f64_e32 vcc, v[4:5], v[4:5]
	v_mov_b32_e32 v3, 0
	s_and_b32 s20, s77, 0xff
	v_cndmask_b32_e32 v1, v1, v5, vcc
	v_cndmask_b32_e32 v0, v0, v4, vcc
	s_cmp_lt_i32 s20, 11
	v_lshl_add_u64 v[4:5], s[4:5], 0, v[2:3]
	s_cbranch_scc1 .LBB321_304
; %bb.297:
	s_and_b32 s21, 0xffff, s20
	s_cmp_gt_i32 s21, 25
	s_cbranch_scc0 .LBB321_306
; %bb.298:
	s_cmp_gt_i32 s21, 28
	s_cbranch_scc0 .LBB321_308
; %bb.299:
	;; [unrolled: 3-line block ×4, first 2 shown]
	s_mov_b64 s[16:17], 0
	s_mov_b64 s[2:3], -1
	s_cmp_eq_u32 s21, 46
	s_mov_b64 s[14:15], 0
	s_cbranch_scc0 .LBB321_320
; %bb.302:
	v_cvt_f32_f64_e32 v2, v[0:1]
	v_bfe_u32 v3, v2, 16, 1
	s_movk_i32 s2, 0x7fff
	v_add3_u32 v3, v2, v3, s2
	v_cmp_o_f32_e32 vcc, v2, v2
	v_mov_b32_e32 v2, 0x7fc0
	s_mov_b64 s[14:15], -1
	v_cndmask_b32_sdwa v2, v2, v3, vcc dst_sel:DWORD dst_unused:UNUSED_PAD src0_sel:DWORD src1_sel:WORD_1
	global_store_dword v[4:5], v2, off
	s_mov_b64 s[2:3], 0
	s_branch .LBB321_320
.LBB321_303:
	s_mov_b64 s[14:15], -1
	s_mov_b64 s[2:3], 0
	s_mov_b64 s[12:13], s[60:61]
                                        ; implicit-def: $vgpr4_vgpr5
	s_branch .LBB321_459
.LBB321_304:
	s_mov_b64 s[16:17], -1
	s_mov_b64 s[14:15], 0
	s_mov_b64 s[2:3], s[58:59]
	s_branch .LBB321_389
.LBB321_305:
	s_mov_b64 s[14:15], -1
	s_mov_b64 s[2:3], 0
	s_mov_b64 s[12:13], s[60:61]
                                        ; implicit-def: $vgpr4_vgpr5
	s_branch .LBB321_438
.LBB321_306:
	s_mov_b64 s[16:17], -1
	s_mov_b64 s[14:15], 0
	s_mov_b64 s[2:3], s[58:59]
	s_branch .LBB321_347
.LBB321_307:
	s_mov_b64 s[14:15], -1
	s_mov_b64 s[2:3], 0
	s_mov_b64 s[12:13], s[60:61]
                                        ; implicit-def: $vgpr4_vgpr5
	s_branch .LBB321_433
.LBB321_308:
	s_mov_b64 s[16:17], -1
	s_mov_b64 s[14:15], 0
	s_mov_b64 s[2:3], s[58:59]
	s_branch .LBB321_330
.LBB321_309:
	s_andn2_saveexec_b64 s[18:19], s[18:19]
	s_cbranch_execz .LBB321_69
.LBB321_310:
	s_mov_b32 s22, 0x46000000
	v_add_f32_e64 v3, |v2|, s22
	v_and_b32_e32 v3, 0xff, v3
	v_cmp_ne_u32_e32 vcc, 0, v3
	s_andn2_b64 s[16:17], s[16:17], exec
	s_and_b64 s[22:23], vcc, exec
	s_or_b64 s[16:17], s[16:17], s[22:23]
	s_or_b64 exec, exec, s[18:19]
	v_mov_b32_e32 v6, 0
	s_and_saveexec_b64 s[18:19], s[16:17]
	s_cbranch_execnz .LBB321_70
	s_branch .LBB321_71
.LBB321_311:
	s_mov_b64 s[14:15], -1
	s_mov_b64 s[2:3], 0
	s_mov_b64 s[12:13], s[60:61]
                                        ; implicit-def: $vgpr4_vgpr5
	s_branch .LBB321_316
.LBB321_312:
	s_mov_b64 s[16:17], -1
	s_mov_b64 s[14:15], 0
	s_mov_b64 s[2:3], s[58:59]
	s_branch .LBB321_326
.LBB321_313:
	s_andn2_saveexec_b64 s[18:19], s[18:19]
	s_cbranch_execz .LBB321_82
.LBB321_314:
	s_mov_b32 s22, 0x42800000
	v_add_f32_e64 v3, |v2|, s22
	v_and_b32_e32 v3, 0xff, v3
	v_cmp_ne_u32_e32 vcc, 0, v3
	s_andn2_b64 s[16:17], s[16:17], exec
	s_and_b64 s[22:23], vcc, exec
	s_or_b64 s[16:17], s[16:17], s[22:23]
	s_or_b64 exec, exec, s[18:19]
	v_mov_b32_e32 v6, 0
	s_and_saveexec_b64 s[18:19], s[16:17]
	s_cbranch_execnz .LBB321_83
	s_branch .LBB321_84
.LBB321_315:
	s_mov_b64 s[12:13], -1
                                        ; implicit-def: $vgpr4_vgpr5
	s_mov_b64 s[2:3], 0
.LBB321_316:
	s_and_b64 vcc, exec, s[14:15]
	s_cbranch_vccz .LBB321_432
; %bb.317:
	s_cmp_eq_u32 s18, 44
	s_cbranch_scc0 .LBB321_431
; %bb.318:
	global_load_ubyte v3, v[0:1], off
	s_movk_i32 s12, 0xff
	v_bfrev_b32_e32 v6, 4
	v_mov_b32_e32 v7, 0x7ff80000
	v_bfrev_b32_e32 v8, 28
	s_mov_b64 s[2:3], -1
	s_waitcnt vmcnt(0)
	v_lshlrev_b32_e32 v4, 23, v3
	v_cvt_f64_f32_e32 v[4:5], v4
	v_cmp_ne_u32_e32 vcc, s12, v3
	s_mov_b64 s[12:13], 0
	s_nop 0
	v_cndmask_b32_e32 v4, v6, v4, vcc
	v_cndmask_b32_e32 v5, v7, v5, vcc
	v_cmp_ne_u32_e32 vcc, 0, v3
	s_nop 1
	v_cndmask_b32_e32 v5, v8, v5, vcc
	v_cndmask_b32_e32 v4, 0, v4, vcc
	s_branch .LBB321_432
.LBB321_319:
	s_mov_b64 s[16:17], -1
	s_mov_b64 s[14:15], 0
	s_mov_b64 s[2:3], s[58:59]
.LBB321_320:
	s_and_b64 vcc, exec, s[16:17]
	s_cbranch_vccz .LBB321_325
; %bb.321:
	s_cmp_eq_u32 s21, 44
	s_mov_b64 s[2:3], -1
	s_cbranch_scc0 .LBB321_325
; %bb.322:
	v_cvt_f32_f64_e32 v2, v[0:1]
	v_bfe_u32 v3, v2, 23, 8
	s_movk_i32 s2, 0xff
	v_cmp_ne_u32_e32 vcc, s2, v3
	v_mov_b32_e32 v6, 0xff
	s_and_saveexec_b64 s[14:15], vcc
; %bb.323:
	s_mov_b32 s2, 0x3fffff
	v_lshrrev_b32_e32 v6, 23, v2
	v_and_b32_e32 v7, 0x400000, v2
	v_and_or_b32 v2, v2, s2, v3
	v_cmp_ne_u32_e32 vcc, 0, v7
	v_cmp_ne_u32_e64 s[2:3], 0, v2
	s_and_b64 s[2:3], vcc, s[2:3]
	s_nop 0
	v_cndmask_b32_e64 v2, 0, 1, s[2:3]
	v_add_u32_e32 v6, v6, v2
; %bb.324:
	s_or_b64 exec, exec, s[14:15]
	s_mov_b64 s[14:15], -1
	s_mov_b64 s[2:3], 0
	global_store_byte v[4:5], v6, off
.LBB321_325:
	s_mov_b64 s[16:17], 0
.LBB321_326:
	s_and_b64 vcc, exec, s[16:17]
	s_cbranch_vccz .LBB321_329
; %bb.327:
	s_cmp_eq_u32 s21, 29
	s_mov_b64 s[2:3], -1
	s_cbranch_scc0 .LBB321_329
; %bb.328:
	v_trunc_f64_e32 v[2:3], v[0:1]
	s_movk_i32 s2, 0xffe0
	v_ldexp_f64 v[6:7], v[2:3], s2
	v_floor_f64_e32 v[6:7], v[6:7]
	v_fmac_f64_e32 v[2:3], 0xc1f00000, v[6:7]
	v_cvt_u32_f64_e32 v9, v[6:7]
	v_cvt_u32_f64_e32 v8, v[2:3]
	global_store_dwordx2 v[4:5], v[8:9], off
	s_mov_b64 s[14:15], -1
	s_mov_b64 s[2:3], 0
.LBB321_329:
	s_mov_b64 s[16:17], 0
.LBB321_330:
	s_and_b64 vcc, exec, s[16:17]
	s_cbranch_vccz .LBB321_346
; %bb.331:
	s_cmp_lt_i32 s21, 27
	s_mov_b64 s[14:15], -1
	s_cbranch_scc1 .LBB321_337
; %bb.332:
	s_cmp_gt_i32 s21, 27
	v_cvt_u32_f64_e32 v2, v[0:1]
	s_cbranch_scc0 .LBB321_334
; %bb.333:
	s_mov_b64 s[14:15], 0
	global_store_dword v[4:5], v2, off
.LBB321_334:
	s_andn2_b64 vcc, exec, s[14:15]
	s_cbranch_vccnz .LBB321_336
; %bb.335:
	global_store_short v[4:5], v2, off
.LBB321_336:
	s_mov_b64 s[14:15], 0
.LBB321_337:
	s_andn2_b64 vcc, exec, s[14:15]
	s_cbranch_vccnz .LBB321_345
; %bb.338:
	v_cvt_f32_f64_e32 v2, v[0:1]
	v_and_b32_e32 v3, 0x7fffffff, v2
	s_mov_b32 s14, 0x43800000
	v_cmp_gt_u32_e32 vcc, s14, v3
	v_mov_b32_e32 v6, 0x80
	s_and_saveexec_b64 s[14:15], vcc
	s_cbranch_execz .LBB321_344
; %bb.339:
	s_mov_b32 s16, 0x3bffffff
	v_cmp_lt_u32_e32 vcc, s16, v3
	s_mov_b64 s[16:17], 0
                                        ; implicit-def: $vgpr3
	s_and_saveexec_b64 s[18:19], vcc
	s_xor_b64 s[18:19], exec, s[18:19]
	s_cbranch_execz .LBB321_573
; %bb.340:
	v_bfe_u32 v3, v2, 20, 1
	s_mov_b32 s22, 0x487ffff
	v_add3_u32 v3, v2, v3, s22
	s_mov_b64 s[16:17], exec
	v_lshrrev_b32_e32 v3, 20, v3
	s_andn2_saveexec_b64 s[18:19], s[18:19]
	s_cbranch_execnz .LBB321_574
.LBB321_341:
	s_or_b64 exec, exec, s[18:19]
	v_mov_b32_e32 v6, 0
	s_and_saveexec_b64 s[18:19], s[16:17]
.LBB321_342:
	v_lshrrev_b32_e32 v2, 24, v2
	s_movk_i32 s16, 0x80
	v_and_or_b32 v6, v2, s16, v3
.LBB321_343:
	s_or_b64 exec, exec, s[18:19]
.LBB321_344:
	s_or_b64 exec, exec, s[14:15]
	global_store_byte v[4:5], v6, off
.LBB321_345:
	s_mov_b64 s[14:15], -1
.LBB321_346:
	s_mov_b64 s[16:17], 0
.LBB321_347:
	s_and_b64 vcc, exec, s[16:17]
	s_cbranch_vccz .LBB321_388
; %bb.348:
	s_cmp_gt_i32 s21, 22
	s_mov_b64 s[16:17], -1
	s_cbranch_scc0 .LBB321_380
; %bb.349:
	s_cmp_lt_i32 s21, 24
	s_mov_b64 s[14:15], -1
	s_cbranch_scc1 .LBB321_369
; %bb.350:
	s_cmp_gt_i32 s21, 24
	s_cbranch_scc0 .LBB321_358
; %bb.351:
	v_cvt_f32_f64_e32 v2, v[0:1]
	v_and_b32_e32 v3, 0x7fffffff, v2
	s_mov_b32 s14, 0x47800000
	v_cmp_gt_u32_e32 vcc, s14, v3
	v_mov_b32_e32 v6, 0x80
	s_and_saveexec_b64 s[14:15], vcc
	s_cbranch_execz .LBB321_357
; %bb.352:
	s_mov_b32 s16, 0x37ffffff
	v_cmp_lt_u32_e32 vcc, s16, v3
	s_mov_b64 s[16:17], 0
                                        ; implicit-def: $vgpr3
	s_and_saveexec_b64 s[18:19], vcc
	s_xor_b64 s[18:19], exec, s[18:19]
	s_cbranch_execz .LBB321_576
; %bb.353:
	v_bfe_u32 v3, v2, 21, 1
	s_mov_b32 s22, 0x88fffff
	v_add3_u32 v3, v2, v3, s22
	s_mov_b64 s[16:17], exec
	v_lshrrev_b32_e32 v3, 21, v3
	s_andn2_saveexec_b64 s[18:19], s[18:19]
	s_cbranch_execnz .LBB321_577
.LBB321_354:
	s_or_b64 exec, exec, s[18:19]
	v_mov_b32_e32 v6, 0
	s_and_saveexec_b64 s[18:19], s[16:17]
.LBB321_355:
	v_lshrrev_b32_e32 v2, 24, v2
	s_movk_i32 s16, 0x80
	v_and_or_b32 v6, v2, s16, v3
.LBB321_356:
	s_or_b64 exec, exec, s[18:19]
.LBB321_357:
	s_or_b64 exec, exec, s[14:15]
	s_mov_b64 s[14:15], 0
	global_store_byte v[4:5], v6, off
.LBB321_358:
	s_and_b64 vcc, exec, s[14:15]
	s_cbranch_vccz .LBB321_368
; %bb.359:
	v_cvt_f32_f64_e32 v2, v[0:1]
	v_and_b32_e32 v6, 0x7fffffff, v2
	s_mov_b32 s14, 0x43f00000
	v_cmp_gt_u32_e32 vcc, s14, v6
                                        ; implicit-def: $vgpr3
	s_and_saveexec_b64 s[14:15], vcc
	s_xor_b64 s[14:15], exec, s[14:15]
	s_cbranch_execz .LBB321_365
; %bb.360:
	s_mov_b32 s16, 0x3c7fffff
	v_cmp_lt_u32_e32 vcc, s16, v6
                                        ; implicit-def: $vgpr3
	s_and_saveexec_b64 s[16:17], vcc
	s_xor_b64 s[16:17], exec, s[16:17]
; %bb.361:
	v_bfe_u32 v3, v2, 20, 1
	s_mov_b32 s18, 0x407ffff
	v_add3_u32 v3, v2, v3, s18
	v_lshrrev_b32_e32 v6, 20, v3
	v_and_b32_e32 v3, 0xff00000, v3
	s_mov_b32 s18, 0x7f00000
	v_mov_b32_e32 v7, 0x7e
	v_cmp_ne_u32_e32 vcc, s18, v3
	s_nop 1
	v_cndmask_b32_e32 v3, v7, v6, vcc
; %bb.362:
	s_andn2_saveexec_b64 s[16:17], s[16:17]
; %bb.363:
	s_mov_b32 s18, 0x46800000
	v_add_f32_e64 v3, |v2|, s18
; %bb.364:
	s_or_b64 exec, exec, s[16:17]
                                        ; implicit-def: $vgpr6
.LBB321_365:
	s_andn2_saveexec_b64 s[14:15], s[14:15]
; %bb.366:
	s_mov_b32 s16, 0x7f800000
	v_mov_b32_e32 v3, 0x7e
	v_mov_b32_e32 v7, 0x7f
	v_cmp_lt_u32_e32 vcc, s16, v6
	s_nop 1
	v_cndmask_b32_e32 v3, v3, v7, vcc
; %bb.367:
	s_or_b64 exec, exec, s[14:15]
	v_lshrrev_b32_e32 v2, 24, v2
	s_movk_i32 s14, 0x80
	v_and_or_b32 v2, v2, s14, v3
	global_store_byte v[4:5], v2, off
.LBB321_368:
	s_mov_b64 s[14:15], 0
.LBB321_369:
	s_andn2_b64 vcc, exec, s[14:15]
	s_cbranch_vccnz .LBB321_379
; %bb.370:
	v_cvt_f32_f64_e32 v2, v[0:1]
	v_and_b32_e32 v6, 0x7fffffff, v2
	s_mov_b32 s14, 0x47800000
	v_cmp_gt_u32_e32 vcc, s14, v6
                                        ; implicit-def: $vgpr3
	s_and_saveexec_b64 s[14:15], vcc
	s_xor_b64 s[14:15], exec, s[14:15]
	s_cbranch_execz .LBB321_376
; %bb.371:
	s_mov_b32 s16, 0x387fffff
	v_cmp_lt_u32_e32 vcc, s16, v6
                                        ; implicit-def: $vgpr3
	s_and_saveexec_b64 s[16:17], vcc
	s_xor_b64 s[16:17], exec, s[16:17]
; %bb.372:
	v_bfe_u32 v3, v2, 21, 1
	s_mov_b32 s18, 0x80fffff
	v_add3_u32 v3, v2, v3, s18
	v_lshrrev_b32_e32 v3, 21, v3
; %bb.373:
	s_andn2_saveexec_b64 s[16:17], s[16:17]
; %bb.374:
	s_mov_b32 s18, 0x43000000
	v_add_f32_e64 v3, |v2|, s18
; %bb.375:
	s_or_b64 exec, exec, s[16:17]
                                        ; implicit-def: $vgpr6
.LBB321_376:
	s_andn2_saveexec_b64 s[14:15], s[14:15]
; %bb.377:
	s_mov_b32 s16, 0x7f800000
	v_mov_b32_e32 v3, 0x7c
	v_mov_b32_e32 v7, 0x7f
	v_cmp_lt_u32_e32 vcc, s16, v6
	s_nop 1
	v_cndmask_b32_e32 v3, v3, v7, vcc
; %bb.378:
	s_or_b64 exec, exec, s[14:15]
	v_lshrrev_b32_e32 v2, 24, v2
	s_movk_i32 s14, 0x80
	v_and_or_b32 v2, v2, s14, v3
	global_store_byte v[4:5], v2, off
.LBB321_379:
	s_mov_b64 s[16:17], 0
	s_mov_b64 s[14:15], -1
.LBB321_380:
	s_andn2_b64 vcc, exec, s[16:17]
	s_cbranch_vccnz .LBB321_388
; %bb.381:
	s_cmp_gt_i32 s21, 14
	s_mov_b64 s[16:17], -1
	s_cbranch_scc0 .LBB321_385
; %bb.382:
	s_cmp_eq_u32 s21, 15
	s_mov_b64 s[2:3], -1
	s_cbranch_scc0 .LBB321_384
; %bb.383:
	v_cvt_f32_f64_e32 v2, v[0:1]
	v_bfe_u32 v3, v2, 16, 1
	s_movk_i32 s2, 0x7fff
	v_add3_u32 v3, v2, v3, s2
	v_cmp_o_f32_e32 vcc, v2, v2
	v_mov_b32_e32 v2, 0x7fc0
	s_mov_b64 s[14:15], -1
	v_cndmask_b32_sdwa v2, v2, v3, vcc dst_sel:DWORD dst_unused:UNUSED_PAD src0_sel:DWORD src1_sel:WORD_1
	global_store_short v[4:5], v2, off
	s_mov_b64 s[2:3], 0
.LBB321_384:
	s_mov_b64 s[16:17], 0
.LBB321_385:
	s_and_b64 vcc, exec, s[16:17]
	s_cbranch_vccz .LBB321_388
; %bb.386:
	s_cmp_eq_u32 s21, 11
	s_mov_b64 s[2:3], -1
	s_cbranch_scc0 .LBB321_388
; %bb.387:
	v_cmp_neq_f64_e32 vcc, 0, v[0:1]
	s_mov_b64 s[2:3], 0
	s_mov_b64 s[14:15], -1
	v_cndmask_b32_e64 v2, 0, 1, vcc
	global_store_byte v[4:5], v2, off
.LBB321_388:
	s_mov_b64 s[16:17], 0
.LBB321_389:
	s_and_b64 vcc, exec, s[16:17]
	s_cbranch_vccz .LBB321_428
; %bb.390:
	s_and_b32 s16, 0xffff, s20
	s_cmp_lt_i32 s16, 5
	s_mov_b64 s[14:15], -1
	s_cbranch_scc1 .LBB321_411
; %bb.391:
	s_cmp_lt_i32 s16, 8
	s_cbranch_scc1 .LBB321_401
; %bb.392:
	s_cmp_lt_i32 s16, 9
	s_cbranch_scc1 .LBB321_398
; %bb.393:
	s_cmp_gt_i32 s16, 9
	s_cbranch_scc0 .LBB321_395
; %bb.394:
	v_mov_b32_e32 v2, 0
	v_mov_b32_e32 v3, v2
	s_mov_b64 s[14:15], 0
	global_store_dwordx4 v[4:5], v[0:3], off
.LBB321_395:
	s_andn2_b64 vcc, exec, s[14:15]
	s_cbranch_vccnz .LBB321_397
; %bb.396:
	v_cvt_f32_f64_e32 v2, v[0:1]
	v_mov_b32_e32 v3, 0
	global_store_dwordx2 v[4:5], v[2:3], off
.LBB321_397:
	s_mov_b64 s[14:15], 0
.LBB321_398:
	s_andn2_b64 vcc, exec, s[14:15]
	s_cbranch_vccnz .LBB321_400
; %bb.399:
	s_movk_i32 s14, 0x1ff
	v_and_or_b32 v2, v1, s14, v0
	v_cmp_ne_u32_e32 vcc, 0, v2
	v_lshrrev_b32_e32 v3, 8, v1
	s_movk_i32 s14, 0xffe
	v_cndmask_b32_e64 v2, 0, 1, vcc
	v_bfe_u32 v6, v1, 20, 11
	v_and_or_b32 v2, v3, s14, v2
	v_sub_u32_e32 v7, 0x3f1, v6
	v_or_b32_e32 v3, 0x1000, v2
	v_med3_i32 v7, v7, 0, 13
	v_lshrrev_b32_e32 v8, v7, v3
	v_lshlrev_b32_e32 v7, v7, v8
	v_cmp_ne_u32_e32 vcc, v7, v3
	v_add_u32_e32 v6, 0xfffffc10, v6
	v_lshl_or_b32 v7, v6, 12, v2
	v_cndmask_b32_e64 v3, 0, 1, vcc
	v_or_b32_e32 v3, v8, v3
	v_cmp_gt_i32_e32 vcc, 1, v6
	s_movk_i32 s14, 0x40f
	s_nop 0
	v_cndmask_b32_e32 v3, v7, v3, vcc
	v_and_b32_e32 v7, 7, v3
	v_cmp_lt_i32_e32 vcc, 5, v7
	v_lshrrev_b32_e32 v3, 2, v3
	s_nop 0
	v_cndmask_b32_e64 v8, 0, 1, vcc
	v_cmp_eq_u32_e32 vcc, 3, v7
	s_nop 1
	v_cndmask_b32_e64 v7, 0, 1, vcc
	v_or_b32_e32 v7, v7, v8
	v_add_u32_e32 v3, v3, v7
	v_mov_b32_e32 v7, 0x7c00
	v_cmp_gt_i32_e32 vcc, 31, v6
	v_mov_b32_e32 v8, 0x7e00
	s_nop 0
	v_cndmask_b32_e32 v3, v7, v3, vcc
	v_cmp_ne_u32_e32 vcc, 0, v2
	s_nop 1
	v_cndmask_b32_e32 v2, v7, v8, vcc
	v_cmp_eq_u32_e32 vcc, s14, v6
	s_mov_b32 s14, 0x8000
	s_nop 0
	v_cndmask_b32_e32 v2, v3, v2, vcc
	v_and_b32_sdwa v3, v1, s14 dst_sel:DWORD dst_unused:UNUSED_PAD src0_sel:WORD_1 src1_sel:DWORD
	s_mov_b32 s14, 0xffff
	v_bitop3_b32 v2, v3, s14, v2 bitop3:0xc8
	global_store_dword v[4:5], v2, off
.LBB321_400:
	s_mov_b64 s[14:15], 0
.LBB321_401:
	s_andn2_b64 vcc, exec, s[14:15]
	s_cbranch_vccnz .LBB321_410
; %bb.402:
	s_cmp_lt_i32 s16, 6
	s_mov_b64 s[14:15], -1
	s_cbranch_scc1 .LBB321_408
; %bb.403:
	s_cmp_gt_i32 s16, 6
	s_cbranch_scc0 .LBB321_405
; %bb.404:
	s_mov_b64 s[14:15], 0
	global_store_dwordx2 v[4:5], v[0:1], off
.LBB321_405:
	s_andn2_b64 vcc, exec, s[14:15]
	s_cbranch_vccnz .LBB321_407
; %bb.406:
	v_cvt_f32_f64_e32 v2, v[0:1]
	global_store_dword v[4:5], v2, off
.LBB321_407:
	s_mov_b64 s[14:15], 0
.LBB321_408:
	s_andn2_b64 vcc, exec, s[14:15]
	s_cbranch_vccnz .LBB321_410
; %bb.409:
	s_movk_i32 s14, 0x1ff
	v_and_or_b32 v2, v1, s14, v0
	v_cmp_ne_u32_e32 vcc, 0, v2
	v_lshrrev_b32_e32 v3, 8, v1
	s_movk_i32 s14, 0xffe
	v_cndmask_b32_e64 v2, 0, 1, vcc
	v_bfe_u32 v6, v1, 20, 11
	v_and_or_b32 v2, v3, s14, v2
	v_sub_u32_e32 v7, 0x3f1, v6
	v_or_b32_e32 v3, 0x1000, v2
	v_med3_i32 v7, v7, 0, 13
	v_lshrrev_b32_e32 v8, v7, v3
	v_lshlrev_b32_e32 v7, v7, v8
	v_cmp_ne_u32_e32 vcc, v7, v3
	v_add_u32_e32 v6, 0xfffffc10, v6
	v_lshl_or_b32 v7, v6, 12, v2
	v_cndmask_b32_e64 v3, 0, 1, vcc
	v_or_b32_e32 v3, v8, v3
	v_cmp_gt_i32_e32 vcc, 1, v6
	s_movk_i32 s14, 0x40f
	s_nop 0
	v_cndmask_b32_e32 v3, v7, v3, vcc
	v_and_b32_e32 v7, 7, v3
	v_cmp_lt_i32_e32 vcc, 5, v7
	v_lshrrev_b32_e32 v3, 2, v3
	s_nop 0
	v_cndmask_b32_e64 v8, 0, 1, vcc
	v_cmp_eq_u32_e32 vcc, 3, v7
	s_nop 1
	v_cndmask_b32_e64 v7, 0, 1, vcc
	v_or_b32_e32 v7, v7, v8
	v_add_u32_e32 v3, v3, v7
	v_mov_b32_e32 v7, 0x7c00
	v_cmp_gt_i32_e32 vcc, 31, v6
	v_mov_b32_e32 v8, 0x7e00
	s_nop 0
	v_cndmask_b32_e32 v3, v7, v3, vcc
	v_cmp_ne_u32_e32 vcc, 0, v2
	s_nop 1
	v_cndmask_b32_e32 v2, v7, v8, vcc
	v_cmp_eq_u32_e32 vcc, s14, v6
	s_mov_b32 s14, 0x8000
	s_nop 0
	v_cndmask_b32_e32 v2, v3, v2, vcc
	v_lshrrev_b32_e32 v3, 16, v1
	v_and_or_b32 v2, v3, s14, v2
	global_store_short v[4:5], v2, off
.LBB321_410:
	s_mov_b64 s[14:15], 0
.LBB321_411:
	s_andn2_b64 vcc, exec, s[14:15]
	s_cbranch_vccnz .LBB321_427
; %bb.412:
	s_cmp_lt_i32 s16, 2
	s_mov_b64 s[14:15], -1
	s_cbranch_scc1 .LBB321_422
; %bb.413:
	s_cmp_lt_i32 s16, 3
	s_cbranch_scc1 .LBB321_419
; %bb.414:
	s_cmp_gt_i32 s16, 3
	s_cbranch_scc0 .LBB321_416
; %bb.415:
	v_trunc_f64_e32 v[2:3], v[0:1]
	s_movk_i32 s14, 0xffe0
	v_ldexp_f64 v[6:7], v[2:3], s14
	v_floor_f64_e32 v[6:7], v[6:7]
	v_fmac_f64_e32 v[2:3], 0xc1f00000, v[6:7]
	v_cvt_i32_f64_e32 v9, v[6:7]
	v_cvt_u32_f64_e32 v8, v[2:3]
	s_mov_b64 s[14:15], 0
	global_store_dwordx2 v[4:5], v[8:9], off
.LBB321_416:
	s_andn2_b64 vcc, exec, s[14:15]
	s_cbranch_vccnz .LBB321_418
; %bb.417:
	v_cvt_i32_f64_e32 v2, v[0:1]
	global_store_dword v[4:5], v2, off
.LBB321_418:
	s_mov_b64 s[14:15], 0
.LBB321_419:
	s_andn2_b64 vcc, exec, s[14:15]
	s_cbranch_vccnz .LBB321_421
; %bb.420:
	v_cvt_i32_f64_e32 v2, v[0:1]
	global_store_short v[4:5], v2, off
.LBB321_421:
	s_mov_b64 s[14:15], 0
.LBB321_422:
	s_andn2_b64 vcc, exec, s[14:15]
	s_cbranch_vccnz .LBB321_427
; %bb.423:
	s_cmp_gt_i32 s16, 0
	s_mov_b64 s[14:15], -1
	s_cbranch_scc0 .LBB321_425
; %bb.424:
	v_cvt_i32_f64_e32 v2, v[0:1]
	s_mov_b64 s[14:15], 0
	global_store_byte v[4:5], v2, off
.LBB321_425:
	s_andn2_b64 vcc, exec, s[14:15]
	s_cbranch_vccnz .LBB321_427
; %bb.426:
	v_trunc_f64_e32 v[0:1], v[0:1]
	s_movk_i32 s14, 0xffe0
	v_ldexp_f64 v[2:3], v[0:1], s14
	v_floor_f64_e32 v[2:3], v[2:3]
	v_fmac_f64_e32 v[0:1], 0xc1f00000, v[2:3]
	v_cvt_u32_f64_e32 v0, v[0:1]
	global_store_byte v[4:5], v0, off
.LBB321_427:
	s_mov_b64 s[14:15], -1
.LBB321_428:
	s_andn2_b64 vcc, exec, s[14:15]
	s_cbranch_vccnz .LBB321_430
; %bb.429:
	v_add_u32_e32 v10, 0x80, v10
	s_mov_b64 s[14:15], -1
	s_branch .LBB321_543
.LBB321_430:
	s_mov_b64 s[14:15], 0
	s_branch .LBB321_542
.LBB321_431:
	s_mov_b64 s[12:13], -1
                                        ; implicit-def: $vgpr4_vgpr5
.LBB321_432:
	s_mov_b64 s[14:15], 0
.LBB321_433:
	s_and_b64 vcc, exec, s[14:15]
	s_cbranch_vccz .LBB321_437
; %bb.434:
	s_cmp_eq_u32 s18, 29
	s_cbranch_scc0 .LBB321_436
; %bb.435:
	global_load_dwordx2 v[4:5], v[0:1], off
	s_mov_b64 s[2:3], -1
	s_mov_b64 s[12:13], 0
	s_mov_b64 s[14:15], 0
	s_waitcnt vmcnt(0)
	v_cvt_f64_u32_e32 v[6:7], v5
	v_cvt_f64_u32_e32 v[4:5], v4
	v_ldexp_f64 v[6:7], v[6:7], 32
	v_add_f64 v[4:5], v[6:7], v[4:5]
	s_branch .LBB321_438
.LBB321_436:
	s_mov_b64 s[12:13], -1
                                        ; implicit-def: $vgpr4_vgpr5
.LBB321_437:
	s_mov_b64 s[14:15], 0
.LBB321_438:
	s_and_b64 vcc, exec, s[14:15]
	s_cbranch_vccz .LBB321_458
; %bb.439:
	s_cmp_lt_i32 s18, 27
	s_cbranch_scc1 .LBB321_442
; %bb.440:
	s_cmp_gt_i32 s18, 27
	s_cbranch_scc0 .LBB321_443
; %bb.441:
	global_load_dword v3, v[0:1], off
	s_mov_b64 s[2:3], 0
	s_waitcnt vmcnt(0)
	v_cvt_f64_u32_e32 v[4:5], v3
	s_branch .LBB321_444
.LBB321_442:
	s_mov_b64 s[2:3], -1
                                        ; implicit-def: $vgpr4_vgpr5
	s_branch .LBB321_447
.LBB321_443:
	s_mov_b64 s[2:3], -1
                                        ; implicit-def: $vgpr4_vgpr5
.LBB321_444:
	s_andn2_b64 vcc, exec, s[2:3]
	s_cbranch_vccnz .LBB321_446
; %bb.445:
	global_load_ushort v3, v[0:1], off
	s_waitcnt vmcnt(0)
	v_cvt_f64_u32_e32 v[4:5], v3
.LBB321_446:
	s_mov_b64 s[2:3], 0
.LBB321_447:
	s_andn2_b64 vcc, exec, s[2:3]
	s_cbranch_vccnz .LBB321_457
; %bb.448:
	global_load_ubyte v3, v[0:1], off
	s_movk_i32 s2, 0x7f
	s_waitcnt vmcnt(0)
	v_cmp_lt_i16_e32 vcc, s2, v3
	s_mov_b64 s[2:3], 0
	s_and_saveexec_b64 s[14:15], vcc
	s_xor_b64 s[14:15], exec, s[14:15]
	s_cbranch_execz .LBB321_452
; %bb.449:
	s_movk_i32 s2, 0x80
	v_cmp_eq_u16_e32 vcc, s2, v3
	s_mov_b64 s[2:3], -1
	s_and_saveexec_b64 s[16:17], vcc
; %bb.450:
	s_xor_b64 s[2:3], exec, -1
; %bb.451:
	s_or_b64 exec, exec, s[16:17]
	s_and_b64 s[2:3], s[2:3], exec
.LBB321_452:
	s_or_saveexec_b64 s[14:15], s[14:15]
	v_bfrev_b32_e32 v4, 4
	v_mov_b32_e32 v5, 0x7ff80000
	s_xor_b64 exec, exec, s[14:15]
; %bb.453:
	v_cmp_ne_u16_e32 vcc, 0, v3
	s_andn2_b64 s[2:3], s[2:3], exec
	s_and_b64 s[16:17], vcc, exec
	v_mov_b64_e32 v[4:5], 0
	s_or_b64 s[2:3], s[2:3], s[16:17]
; %bb.454:
	s_or_b64 exec, exec, s[14:15]
	s_and_saveexec_b64 s[14:15], s[2:3]
	s_cbranch_execz .LBB321_456
; %bb.455:
	v_lshlrev_b32_e32 v4, 24, v3
	v_and_b32_e32 v3, 0xffff, v3
	v_and_b32_e32 v5, 7, v3
	v_ffbh_u32_e32 v7, v5
	v_min_u32_e32 v7, 32, v7
	v_subrev_u32_e32 v8, 28, v7
	v_bfe_u32 v6, v3, 3, 4
	v_lshlrev_b32_e32 v3, v8, v3
	v_sub_u32_e32 v7, 29, v7
	v_and_b32_e32 v3, 7, v3
	v_cmp_eq_u32_e32 vcc, 0, v6
	v_and_b32_e32 v4, 0x80000000, v4
	s_nop 0
	v_cndmask_b32_e32 v6, v6, v7, vcc
	v_cndmask_b32_e32 v3, v5, v3, vcc
	v_mov_b32_e32 v5, 0x3b800000
	v_lshlrev_b32_e32 v3, 20, v3
	v_lshl_add_u32 v5, v6, 23, v5
	v_or3_b32 v3, v4, v5, v3
	v_cvt_f64_f32_e32 v[4:5], v3
.LBB321_456:
	s_or_b64 exec, exec, s[14:15]
.LBB321_457:
	s_mov_b64 s[2:3], -1
.LBB321_458:
	s_mov_b64 s[14:15], 0
.LBB321_459:
	s_and_b64 vcc, exec, s[14:15]
	s_cbranch_vccz .LBB321_492
; %bb.460:
	s_cmp_gt_i32 s18, 22
	s_cbranch_scc0 .LBB321_472
; %bb.461:
	s_cmp_lt_i32 s18, 24
	s_cbranch_scc1 .LBB321_473
; %bb.462:
	s_cmp_gt_i32 s18, 24
	s_cbranch_scc0 .LBB321_474
; %bb.463:
	global_load_ubyte v3, v[0:1], off
	s_movk_i32 s2, 0x7f
	s_waitcnt vmcnt(0)
	v_cmp_lt_i16_e32 vcc, s2, v3
	s_mov_b64 s[2:3], 0
	s_and_saveexec_b64 s[14:15], vcc
	s_xor_b64 s[14:15], exec, s[14:15]
	s_cbranch_execz .LBB321_467
; %bb.464:
	s_movk_i32 s2, 0x80
	v_cmp_eq_u16_e32 vcc, s2, v3
	s_mov_b64 s[2:3], -1
	s_and_saveexec_b64 s[16:17], vcc
; %bb.465:
	s_xor_b64 s[2:3], exec, -1
; %bb.466:
	s_or_b64 exec, exec, s[16:17]
	s_and_b64 s[2:3], s[2:3], exec
.LBB321_467:
	s_or_saveexec_b64 s[14:15], s[14:15]
	v_bfrev_b32_e32 v4, 4
	v_mov_b32_e32 v5, 0x7ff80000
	s_xor_b64 exec, exec, s[14:15]
; %bb.468:
	v_cmp_ne_u16_e32 vcc, 0, v3
	s_andn2_b64 s[2:3], s[2:3], exec
	s_and_b64 s[16:17], vcc, exec
	v_mov_b64_e32 v[4:5], 0
	s_or_b64 s[2:3], s[2:3], s[16:17]
; %bb.469:
	s_or_b64 exec, exec, s[14:15]
	s_and_saveexec_b64 s[14:15], s[2:3]
	s_cbranch_execz .LBB321_471
; %bb.470:
	v_lshlrev_b32_e32 v4, 24, v3
	v_and_b32_e32 v3, 0xffff, v3
	v_and_b32_e32 v5, 3, v3
	v_ffbh_u32_e32 v7, v5
	v_min_u32_e32 v7, 32, v7
	v_subrev_u32_e32 v8, 29, v7
	v_bfe_u32 v6, v3, 2, 5
	v_lshlrev_b32_e32 v3, v8, v3
	v_sub_u32_e32 v7, 30, v7
	v_and_b32_e32 v3, 3, v3
	v_cmp_eq_u32_e32 vcc, 0, v6
	v_and_b32_e32 v4, 0x80000000, v4
	s_nop 0
	v_cndmask_b32_e32 v6, v6, v7, vcc
	v_cndmask_b32_e32 v3, v5, v3, vcc
	v_mov_b32_e32 v5, 0x37800000
	v_lshlrev_b32_e32 v3, 21, v3
	v_lshl_add_u32 v5, v6, 23, v5
	v_or3_b32 v3, v4, v5, v3
	v_cvt_f64_f32_e32 v[4:5], v3
.LBB321_471:
	s_or_b64 exec, exec, s[14:15]
	s_mov_b64 s[2:3], 0
	s_branch .LBB321_475
.LBB321_472:
	s_mov_b64 s[14:15], -1
                                        ; implicit-def: $vgpr4_vgpr5
	s_branch .LBB321_481
.LBB321_473:
	s_mov_b64 s[2:3], -1
                                        ; implicit-def: $vgpr4_vgpr5
	s_branch .LBB321_478
.LBB321_474:
	s_mov_b64 s[2:3], -1
                                        ; implicit-def: $vgpr4_vgpr5
.LBB321_475:
	s_and_b64 vcc, exec, s[2:3]
	s_cbranch_vccz .LBB321_477
; %bb.476:
	global_load_ubyte v3, v[0:1], off
	s_mov_b32 s2, 0x7f800000
	s_waitcnt vmcnt(0)
	v_lshlrev_b32_e32 v3, 24, v3
	v_and_b32_e32 v4, 0x7f000000, v3
	v_ffbh_u32_e32 v5, v4
	v_min_u32_e32 v5, 32, v5
	v_sub_u32_e64 v5, v5, 4 clamp
	v_lshlrev_b32_e32 v7, v5, v4
	v_lshlrev_b32_e32 v5, 23, v5
	v_lshrrev_b32_e32 v7, 4, v7
	v_add_u32_e32 v6, 0x1000000, v4
	v_sub_u32_e32 v5, v7, v5
	v_ashrrev_i32_e32 v6, 8, v6
	v_add_u32_e32 v5, 0x3c000000, v5
	v_and_or_b32 v5, v6, s2, v5
	v_cmp_ne_u32_e32 vcc, 0, v4
	s_brev_b32 s2, 1
	s_nop 0
	v_cndmask_b32_e32 v4, 0, v5, vcc
	v_and_or_b32 v3, v3, s2, v4
	v_cvt_f64_f32_e32 v[4:5], v3
.LBB321_477:
	s_mov_b64 s[2:3], 0
.LBB321_478:
	s_andn2_b64 vcc, exec, s[2:3]
	s_cbranch_vccnz .LBB321_480
; %bb.479:
	global_load_ubyte v3, v[0:1], off
	s_movk_i32 s2, 0x7f00
	s_brev_b32 s3, 16
	s_waitcnt vmcnt(0)
	v_lshlrev_b16_e32 v4, 8, v3
	v_lshlrev_b32_e32 v3, 25, v3
	v_lshrrev_b32_e32 v5, 4, v3
	v_and_or_b32 v6, v4, s2, 0.5
	v_or_b32_e32 v5, 0x70000000, v5
	v_add_f32_e32 v6, -0.5, v6
	v_mul_f32_e32 v5, 0x7800000, v5
	v_cmp_gt_u32_e32 vcc, s3, v3
	v_bfe_i32 v4, v4, 0, 16
	s_brev_b32 s2, 1
	v_cndmask_b32_e32 v3, v5, v6, vcc
	v_and_or_b32 v3, v4, s2, v3
	v_cvt_f64_f32_e32 v[4:5], v3
.LBB321_480:
	s_mov_b64 s[14:15], 0
	s_mov_b64 s[2:3], -1
.LBB321_481:
	s_andn2_b64 vcc, exec, s[14:15]
	s_cbranch_vccnz .LBB321_492
; %bb.482:
	s_cmp_gt_i32 s18, 14
	s_cbranch_scc0 .LBB321_485
; %bb.483:
	s_cmp_eq_u32 s18, 15
	s_cbranch_scc0 .LBB321_486
; %bb.484:
	global_load_ushort v3, v[0:1], off
	s_mov_b64 s[2:3], -1
	s_mov_b64 s[12:13], 0
	s_waitcnt vmcnt(0)
	v_lshlrev_b32_e32 v3, 16, v3
	v_cvt_f64_f32_e32 v[4:5], v3
	s_branch .LBB321_487
.LBB321_485:
	s_mov_b64 s[14:15], -1
                                        ; implicit-def: $vgpr4_vgpr5
	s_branch .LBB321_488
.LBB321_486:
	s_mov_b64 s[12:13], -1
                                        ; implicit-def: $vgpr4_vgpr5
.LBB321_487:
	s_mov_b64 s[14:15], 0
.LBB321_488:
	s_and_b64 vcc, exec, s[14:15]
	s_cbranch_vccz .LBB321_492
; %bb.489:
	s_cmp_eq_u32 s18, 11
	s_cbranch_scc0 .LBB321_491
; %bb.490:
	global_load_ubyte v3, v[0:1], off
	s_waitcnt vmcnt(1)
	v_mov_b32_e32 v5, 0x3ff00000
	v_mov_b32_e32 v4, 0
	s_mov_b64 s[2:3], -1
	s_mov_b64 s[12:13], 0
	s_waitcnt vmcnt(0)
	v_cmp_ne_u16_e32 vcc, 0, v3
	s_nop 1
	v_cndmask_b32_e32 v5, 0, v5, vcc
	s_branch .LBB321_492
.LBB321_491:
	s_mov_b64 s[12:13], -1
                                        ; implicit-def: $vgpr4_vgpr5
.LBB321_492:
	s_branch .LBB321_295
.LBB321_493:
	s_cmp_lt_i32 s18, 5
	s_cbranch_scc1 .LBB321_498
; %bb.494:
	s_cmp_lt_i32 s18, 8
	s_cbranch_scc1 .LBB321_499
; %bb.495:
	;; [unrolled: 3-line block ×3, first 2 shown]
	s_cmp_gt_i32 s18, 9
	s_cbranch_scc0 .LBB321_501
; %bb.497:
	global_load_dwordx2 v[4:5], v[0:1], off
	s_mov_b64 s[2:3], 0
	s_branch .LBB321_502
.LBB321_498:
	s_mov_b64 s[2:3], -1
                                        ; implicit-def: $vgpr4_vgpr5
	s_branch .LBB321_520
.LBB321_499:
	s_mov_b64 s[2:3], -1
                                        ; implicit-def: $vgpr4_vgpr5
	s_branch .LBB321_508
.LBB321_500:
	s_mov_b64 s[2:3], -1
                                        ; implicit-def: $vgpr4_vgpr5
	s_branch .LBB321_505
.LBB321_501:
	s_mov_b64 s[2:3], -1
                                        ; implicit-def: $vgpr4_vgpr5
.LBB321_502:
	s_andn2_b64 vcc, exec, s[2:3]
	s_cbranch_vccnz .LBB321_504
; %bb.503:
	global_load_dword v3, v[0:1], off
	s_waitcnt vmcnt(0)
	v_cvt_f64_f32_e32 v[4:5], v3
.LBB321_504:
	s_mov_b64 s[2:3], 0
.LBB321_505:
	s_andn2_b64 vcc, exec, s[2:3]
	s_cbranch_vccnz .LBB321_507
; %bb.506:
	global_load_dword v3, v[0:1], off
	s_waitcnt vmcnt(0)
	v_cvt_f32_f16_e32 v3, v3
	v_cvt_f64_f32_e32 v[4:5], v3
.LBB321_507:
	s_mov_b64 s[2:3], 0
.LBB321_508:
	s_andn2_b64 vcc, exec, s[2:3]
	s_cbranch_vccnz .LBB321_519
; %bb.509:
	s_cmp_lt_i32 s18, 6
	s_cbranch_scc1 .LBB321_512
; %bb.510:
	s_cmp_gt_i32 s18, 6
	s_cbranch_scc0 .LBB321_513
; %bb.511:
	global_load_dwordx2 v[4:5], v[0:1], off
	s_mov_b64 s[2:3], 0
	s_branch .LBB321_514
.LBB321_512:
	s_mov_b64 s[2:3], -1
                                        ; implicit-def: $vgpr4_vgpr5
	s_branch .LBB321_517
.LBB321_513:
	s_mov_b64 s[2:3], -1
                                        ; implicit-def: $vgpr4_vgpr5
.LBB321_514:
	s_andn2_b64 vcc, exec, s[2:3]
	s_cbranch_vccnz .LBB321_516
; %bb.515:
	global_load_dword v3, v[0:1], off
	s_waitcnt vmcnt(0)
	v_cvt_f64_f32_e32 v[4:5], v3
.LBB321_516:
	s_mov_b64 s[2:3], 0
.LBB321_517:
	s_andn2_b64 vcc, exec, s[2:3]
	s_cbranch_vccnz .LBB321_519
; %bb.518:
	global_load_ushort v3, v[0:1], off
	s_waitcnt vmcnt(0)
	v_cvt_f32_f16_e32 v3, v3
	v_cvt_f64_f32_e32 v[4:5], v3
.LBB321_519:
	s_mov_b64 s[2:3], 0
.LBB321_520:
	s_andn2_b64 vcc, exec, s[2:3]
	s_cbranch_vccnz .LBB321_540
; %bb.521:
	s_cmp_lt_i32 s18, 2
	s_cbranch_scc1 .LBB321_525
; %bb.522:
	s_cmp_lt_i32 s18, 3
	s_cbranch_scc1 .LBB321_526
; %bb.523:
	s_cmp_gt_i32 s18, 3
	s_cbranch_scc0 .LBB321_527
; %bb.524:
	global_load_dwordx2 v[4:5], v[0:1], off
	s_mov_b64 s[2:3], 0
	s_waitcnt vmcnt(0)
	v_cvt_f64_i32_e32 v[6:7], v5
	v_cvt_f64_u32_e32 v[4:5], v4
	v_ldexp_f64 v[6:7], v[6:7], 32
	v_add_f64 v[4:5], v[6:7], v[4:5]
	s_branch .LBB321_528
.LBB321_525:
	s_mov_b64 s[2:3], -1
                                        ; implicit-def: $vgpr4_vgpr5
	s_branch .LBB321_534
.LBB321_526:
	s_mov_b64 s[2:3], -1
                                        ; implicit-def: $vgpr4_vgpr5
	s_branch .LBB321_531
.LBB321_527:
	s_mov_b64 s[2:3], -1
                                        ; implicit-def: $vgpr4_vgpr5
.LBB321_528:
	s_andn2_b64 vcc, exec, s[2:3]
	s_cbranch_vccnz .LBB321_530
; %bb.529:
	global_load_dword v3, v[0:1], off
	s_waitcnt vmcnt(0)
	v_cvt_f64_i32_e32 v[4:5], v3
.LBB321_530:
	s_mov_b64 s[2:3], 0
.LBB321_531:
	s_andn2_b64 vcc, exec, s[2:3]
	s_cbranch_vccnz .LBB321_533
; %bb.532:
	global_load_sshort v3, v[0:1], off
	s_waitcnt vmcnt(0)
	v_cvt_f64_i32_e32 v[4:5], v3
.LBB321_533:
	s_mov_b64 s[2:3], 0
.LBB321_534:
	s_andn2_b64 vcc, exec, s[2:3]
	s_cbranch_vccnz .LBB321_540
; %bb.535:
	s_cmp_gt_i32 s18, 0
	s_cbranch_scc0 .LBB321_537
; %bb.536:
	global_load_sbyte v3, v[0:1], off
	s_mov_b64 s[2:3], 0
	s_waitcnt vmcnt(0)
	v_cvt_f64_i32_e32 v[4:5], v3
	s_branch .LBB321_538
.LBB321_537:
	s_mov_b64 s[2:3], -1
                                        ; implicit-def: $vgpr4_vgpr5
.LBB321_538:
	s_andn2_b64 vcc, exec, s[2:3]
	s_cbranch_vccnz .LBB321_540
; %bb.539:
	global_load_ubyte v0, v[0:1], off
	s_waitcnt vmcnt(0)
	v_cvt_f64_u32_e32 v[4:5], v0
.LBB321_540:
	s_branch .LBB321_296
.LBB321_541:
	s_mov_b64 s[14:15], 0
	s_mov_b64 s[2:3], s[58:59]
.LBB321_542:
                                        ; implicit-def: $vgpr10
.LBB321_543:
	s_andn2_b64 s[16:17], s[58:59], exec
	s_and_b64 s[2:3], s[2:3], exec
	s_or_b64 s[66:67], s[16:17], s[2:3]
	s_andn2_b64 s[2:3], s[60:61], exec
	s_and_b64 s[12:13], s[12:13], exec
	s_or_b64 s[64:65], s[2:3], s[12:13]
	s_orn2_b64 s[2:3], s[14:15], exec
.LBB321_544:
	s_or_b64 exec, exec, s[68:69]
	s_mov_b64 s[12:13], 0
	s_mov_b64 s[14:15], 0
	s_mov_b64 s[16:17], 0
                                        ; implicit-def: $vgpr0_vgpr1
                                        ; implicit-def: $vgpr2
                                        ; implicit-def: $vgpr6_vgpr7
	s_and_saveexec_b64 s[68:69], s[2:3]
	s_cbranch_execz .LBB321_921
; %bb.545:
	v_cmp_gt_i32_e32 vcc, s74, v10
	s_mov_b64 s[18:19], -1
	s_mov_b64 s[2:3], s[64:65]
	s_mov_b64 s[72:73], s[66:67]
	s_and_saveexec_b64 s[70:71], vcc
	s_cbranch_execz .LBB321_820
; %bb.546:
	s_andn2_b64 vcc, exec, s[46:47]
	s_cbranch_vccnz .LBB321_552
; %bb.547:
	s_andn2_b64 vcc, exec, s[56:57]
	s_cbranch_vccnz .LBB321_553
; %bb.548:
	s_add_i32 s80, s79, 1
	s_cmp_eq_u32 s76, 2
	s_cbranch_scc1 .LBB321_554
; %bb.549:
	s_and_b32 s75, s80, 28
	s_mov_b32 s81, 0
	v_mov_b32_e32 v2, 0
	v_mov_b32_e32 v0, 0
	s_mov_b64 s[2:3], s[34:35]
	s_mov_b64 s[72:73], s[54:55]
	s_waitcnt vmcnt(0)
	v_mov_b32_e32 v4, v10
.LBB321_550:                            ; =>This Inner Loop Header: Depth=1
	s_load_dwordx8 s[20:27], s[2:3], 0x4
	s_load_dwordx4 s[40:43], s[2:3], 0x24
	s_load_dwordx8 s[12:19], s[72:73], 0x0
	s_add_u32 s2, s2, 48
	s_addc_u32 s3, s3, 0
	s_waitcnt lgkmcnt(0)
	v_mul_hi_u32 v1, s21, v4
	v_add_u32_e32 v1, v4, v1
	v_lshrrev_b32_e32 v1, s22, v1
	v_mul_lo_u32 v3, v1, s20
	v_mul_hi_u32 v5, s24, v1
	v_sub_u32_e32 v3, v4, v3
	v_add_u32_e32 v4, v1, v5
	v_lshrrev_b32_e32 v4, s25, v4
	v_mul_lo_u32 v6, v4, s23
	v_mul_hi_u32 v7, s27, v4
	v_sub_u32_e32 v1, v1, v6
	v_add_u32_e32 v6, v4, v7
	v_mul_lo_u32 v5, v3, s13
	v_mul_lo_u32 v3, v3, s12
	;; [unrolled: 1-line block ×4, first 2 shown]
	v_lshrrev_b32_e32 v6, s40, v6
	v_add3_u32 v1, v3, v2, v1
	v_mul_hi_u32 v3, s42, v6
	v_mul_lo_u32 v2, v6, s26
	v_add_u32_e32 v3, v6, v3
	v_sub_u32_e32 v2, v4, v2
	v_lshrrev_b32_e32 v4, s43, v3
	s_add_i32 s81, s81, 4
	v_mul_lo_u32 v3, v4, s41
	s_add_u32 s72, s72, 32
	v_sub_u32_e32 v3, v6, v3
	s_addc_u32 s73, s73, 0
	v_add3_u32 v0, v5, v0, v7
	v_mul_lo_u32 v5, v2, s16
	v_mul_lo_u32 v2, v2, s17
	;; [unrolled: 1-line block ×4, first 2 shown]
	s_cmp_eq_u32 s75, s81
	v_add3_u32 v0, v2, v0, v3
	v_add3_u32 v2, v5, v1, v6
	s_cbranch_scc0 .LBB321_550
; %bb.551:
	v_mov_b32_e32 v1, v0
	s_branch .LBB321_555
.LBB321_552:
	s_mov_b64 s[2:3], -1
                                        ; implicit-def: $vgpr0
                                        ; implicit-def: $vgpr2
	s_branch .LBB321_559
.LBB321_553:
	v_mov_b32_e32 v0, 0
	v_mov_b32_e32 v2, 0
	s_branch .LBB321_558
.LBB321_554:
	v_mov_b32_e32 v2, 0
	s_mov_b32 s75, 0
	v_mov_b32_e32 v1, v2
                                        ; implicit-def: $vgpr0
	s_waitcnt vmcnt(0)
	v_mov_b32_e32 v4, v10
.LBB321_555:
	s_and_b32 s14, s80, 3
	s_cmp_eq_u32 s14, 0
	s_cbranch_scc1 .LBB321_558
; %bb.556:
	s_lshl_b32 s2, s75, 3
	s_add_u32 s2, s34, s2
	s_addc_u32 s3, s35, 0
	s_add_u32 s2, s2, 0xc4
	s_addc_u32 s3, s3, 0
	s_mul_i32 s12, s75, 12
	s_add_u32 s12, s34, s12
	s_addc_u32 s13, s35, 0
.LBB321_557:                            ; =>This Inner Loop Header: Depth=1
	s_load_dwordx2 s[16:17], s[12:13], 0x4
	s_load_dword s15, s[12:13], 0xc
	s_load_dwordx2 s[18:19], s[2:3], 0x0
	v_mov_b32_e32 v0, v1
	s_add_u32 s12, s12, 12
	s_waitcnt lgkmcnt(0)
	v_mul_hi_u32 v1, s17, v4
	v_add_u32_e32 v1, v4, v1
	v_lshrrev_b32_e32 v1, s15, v1
	s_addc_u32 s13, s13, 0
	v_mul_lo_u32 v3, v1, s16
	s_add_u32 s2, s2, 8
	v_sub_u32_e32 v3, v4, v3
	s_addc_u32 s3, s3, 0
	s_add_i32 s14, s14, -1
	v_mov_b32_e32 v4, v1
	v_mad_u64_u32 v[0:1], s[16:17], v3, s19, v[0:1]
	s_cmp_lg_u32 s14, 0
	v_mad_u64_u32 v[2:3], s[16:17], v3, s18, v[2:3]
	v_mov_b32_e32 v1, v0
	s_cbranch_scc1 .LBB321_557
.LBB321_558:
	s_mov_b64 s[2:3], 0
.LBB321_559:
	s_andn2_b64 vcc, exec, s[2:3]
	s_cbranch_vccnz .LBB321_562
; %bb.560:
	v_mul_hi_u32 v0, s29, v10
	v_add_u32_e32 v0, v10, v0
	v_lshrrev_b32_e32 v1, s30, v0
	v_mul_lo_u32 v0, v1, s28
	v_sub_u32_e32 v2, v10, v0
	v_mul_lo_u32 v0, v2, s37
	s_andn2_b64 vcc, exec, s[52:53]
	v_mul_lo_u32 v2, v2, s36
	s_cbranch_vccnz .LBB321_562
; %bb.561:
	v_mul_hi_u32 v3, s50, v1
	v_add_u32_e32 v3, v1, v3
	v_lshrrev_b32_e32 v3, s51, v3
	v_mul_lo_u32 v3, v3, s31
	v_sub_u32_e32 v1, v1, v3
	v_mad_u64_u32 v[2:3], s[2:3], v1, s38, v[2:3]
	v_mad_u64_u32 v[0:1], s[2:3], v1, s39, v[0:1]
.LBB321_562:
	v_mov_b32_e32 v1, 0
	s_and_b32 s18, 0xffff, s78
	s_cmp_lt_i32 s18, 11
	v_lshl_add_u64 v[0:1], s[6:7], 0, v[0:1]
	s_cbranch_scc1 .LBB321_569
; %bb.563:
	s_cmp_gt_i32 s18, 25
	s_cbranch_scc0 .LBB321_570
; %bb.564:
	s_cmp_gt_i32 s18, 28
	s_cbranch_scc0 .LBB321_571
	;; [unrolled: 3-line block ×4, first 2 shown]
; %bb.567:
	s_cmp_eq_u32 s18, 46
	s_mov_b64 s[14:15], 0
	s_cbranch_scc0 .LBB321_578
; %bb.568:
	global_load_dword v3, v[0:1], off
	s_mov_b64 s[2:3], -1
	s_mov_b64 s[12:13], 0
	s_waitcnt vmcnt(0)
	v_lshlrev_b32_e32 v3, 16, v3
	v_cvt_f64_f32_e32 v[4:5], v3
	s_branch .LBB321_579
.LBB321_569:
	s_mov_b64 s[14:15], -1
	s_mov_b64 s[2:3], 0
                                        ; implicit-def: $vgpr4_vgpr5
	s_mov_b64 s[12:13], s[64:65]
	s_branch .LBB321_644
.LBB321_570:
	s_mov_b64 s[14:15], -1
	s_mov_b64 s[2:3], 0
	s_mov_b64 s[12:13], s[64:65]
                                        ; implicit-def: $vgpr4_vgpr5
	s_branch .LBB321_610
.LBB321_571:
	s_mov_b64 s[14:15], -1
	s_mov_b64 s[2:3], 0
	s_mov_b64 s[12:13], s[64:65]
                                        ; implicit-def: $vgpr4_vgpr5
	s_branch .LBB321_589
.LBB321_572:
	s_mov_b64 s[14:15], -1
	s_mov_b64 s[2:3], 0
	s_mov_b64 s[12:13], s[64:65]
                                        ; implicit-def: $vgpr4_vgpr5
	s_branch .LBB321_584
.LBB321_573:
	s_andn2_saveexec_b64 s[18:19], s[18:19]
	s_cbranch_execz .LBB321_341
.LBB321_574:
	s_mov_b32 s22, 0x46000000
	v_add_f32_e64 v3, |v2|, s22
	v_and_b32_e32 v3, 0xff, v3
	v_cmp_ne_u32_e32 vcc, 0, v3
	s_andn2_b64 s[16:17], s[16:17], exec
	s_and_b64 s[22:23], vcc, exec
	s_or_b64 s[16:17], s[16:17], s[22:23]
	s_or_b64 exec, exec, s[18:19]
	v_mov_b32_e32 v6, 0
	s_and_saveexec_b64 s[18:19], s[16:17]
	s_cbranch_execnz .LBB321_342
	s_branch .LBB321_343
.LBB321_575:
	s_mov_b64 s[14:15], -1
	s_mov_b64 s[2:3], 0
	s_mov_b64 s[12:13], s[64:65]
                                        ; implicit-def: $vgpr4_vgpr5
	s_branch .LBB321_579
.LBB321_576:
	s_andn2_saveexec_b64 s[18:19], s[18:19]
	s_cbranch_execz .LBB321_354
.LBB321_577:
	s_mov_b32 s22, 0x42800000
	v_add_f32_e64 v3, |v2|, s22
	v_and_b32_e32 v3, 0xff, v3
	v_cmp_ne_u32_e32 vcc, 0, v3
	s_andn2_b64 s[16:17], s[16:17], exec
	s_and_b64 s[22:23], vcc, exec
	s_or_b64 s[16:17], s[16:17], s[22:23]
	s_or_b64 exec, exec, s[18:19]
	v_mov_b32_e32 v6, 0
	s_and_saveexec_b64 s[18:19], s[16:17]
	s_cbranch_execnz .LBB321_355
	s_branch .LBB321_356
.LBB321_578:
	s_mov_b64 s[12:13], -1
                                        ; implicit-def: $vgpr4_vgpr5
	s_mov_b64 s[2:3], 0
.LBB321_579:
	s_and_b64 vcc, exec, s[14:15]
	s_cbranch_vccz .LBB321_583
; %bb.580:
	s_cmp_eq_u32 s18, 44
	s_cbranch_scc0 .LBB321_582
; %bb.581:
	global_load_ubyte v3, v[0:1], off
	s_movk_i32 s12, 0xff
	v_bfrev_b32_e32 v6, 4
	v_mov_b32_e32 v7, 0x7ff80000
	v_bfrev_b32_e32 v8, 28
	s_mov_b64 s[2:3], -1
	s_waitcnt vmcnt(0)
	v_lshlrev_b32_e32 v4, 23, v3
	v_cvt_f64_f32_e32 v[4:5], v4
	v_cmp_ne_u32_e32 vcc, s12, v3
	s_mov_b64 s[12:13], 0
	s_nop 0
	v_cndmask_b32_e32 v4, v6, v4, vcc
	v_cndmask_b32_e32 v5, v7, v5, vcc
	v_cmp_ne_u32_e32 vcc, 0, v3
	s_nop 1
	v_cndmask_b32_e32 v5, v8, v5, vcc
	v_cndmask_b32_e32 v4, 0, v4, vcc
	s_branch .LBB321_583
.LBB321_582:
	s_mov_b64 s[12:13], -1
                                        ; implicit-def: $vgpr4_vgpr5
.LBB321_583:
	s_mov_b64 s[14:15], 0
.LBB321_584:
	s_and_b64 vcc, exec, s[14:15]
	s_cbranch_vccz .LBB321_588
; %bb.585:
	s_cmp_eq_u32 s18, 29
	s_cbranch_scc0 .LBB321_587
; %bb.586:
	global_load_dwordx2 v[4:5], v[0:1], off
	s_mov_b64 s[2:3], -1
	s_mov_b64 s[12:13], 0
	s_mov_b64 s[14:15], 0
	s_waitcnt vmcnt(0)
	v_cvt_f64_u32_e32 v[6:7], v5
	v_cvt_f64_u32_e32 v[4:5], v4
	v_ldexp_f64 v[6:7], v[6:7], 32
	v_add_f64 v[4:5], v[6:7], v[4:5]
	s_branch .LBB321_589
.LBB321_587:
	s_mov_b64 s[12:13], -1
                                        ; implicit-def: $vgpr4_vgpr5
.LBB321_588:
	s_mov_b64 s[14:15], 0
.LBB321_589:
	s_and_b64 vcc, exec, s[14:15]
	s_cbranch_vccz .LBB321_609
; %bb.590:
	s_cmp_lt_i32 s18, 27
	s_cbranch_scc1 .LBB321_593
; %bb.591:
	s_cmp_gt_i32 s18, 27
	s_cbranch_scc0 .LBB321_594
; %bb.592:
	global_load_dword v3, v[0:1], off
	s_mov_b64 s[2:3], 0
	s_waitcnt vmcnt(0)
	v_cvt_f64_u32_e32 v[4:5], v3
	s_branch .LBB321_595
.LBB321_593:
	s_mov_b64 s[2:3], -1
                                        ; implicit-def: $vgpr4_vgpr5
	s_branch .LBB321_598
.LBB321_594:
	s_mov_b64 s[2:3], -1
                                        ; implicit-def: $vgpr4_vgpr5
.LBB321_595:
	s_andn2_b64 vcc, exec, s[2:3]
	s_cbranch_vccnz .LBB321_597
; %bb.596:
	global_load_ushort v3, v[0:1], off
	s_waitcnt vmcnt(0)
	v_cvt_f64_u32_e32 v[4:5], v3
.LBB321_597:
	s_mov_b64 s[2:3], 0
.LBB321_598:
	s_andn2_b64 vcc, exec, s[2:3]
	s_cbranch_vccnz .LBB321_608
; %bb.599:
	global_load_ubyte v3, v[0:1], off
	s_movk_i32 s2, 0x7f
	s_waitcnt vmcnt(0)
	v_cmp_lt_i16_e32 vcc, s2, v3
	s_mov_b64 s[2:3], 0
	s_and_saveexec_b64 s[14:15], vcc
	s_xor_b64 s[14:15], exec, s[14:15]
	s_cbranch_execz .LBB321_603
; %bb.600:
	s_movk_i32 s2, 0x80
	v_cmp_eq_u16_e32 vcc, s2, v3
	s_mov_b64 s[2:3], -1
	s_and_saveexec_b64 s[16:17], vcc
; %bb.601:
	s_xor_b64 s[2:3], exec, -1
; %bb.602:
	s_or_b64 exec, exec, s[16:17]
	s_and_b64 s[2:3], s[2:3], exec
.LBB321_603:
	s_or_saveexec_b64 s[14:15], s[14:15]
	v_bfrev_b32_e32 v4, 4
	v_mov_b32_e32 v5, 0x7ff80000
	s_xor_b64 exec, exec, s[14:15]
; %bb.604:
	v_cmp_ne_u16_e32 vcc, 0, v3
	s_andn2_b64 s[2:3], s[2:3], exec
	s_and_b64 s[16:17], vcc, exec
	v_mov_b64_e32 v[4:5], 0
	s_or_b64 s[2:3], s[2:3], s[16:17]
; %bb.605:
	s_or_b64 exec, exec, s[14:15]
	s_and_saveexec_b64 s[14:15], s[2:3]
	s_cbranch_execz .LBB321_607
; %bb.606:
	v_lshlrev_b32_e32 v4, 24, v3
	v_and_b32_e32 v3, 0xffff, v3
	v_and_b32_e32 v5, 7, v3
	v_ffbh_u32_e32 v7, v5
	v_min_u32_e32 v7, 32, v7
	v_subrev_u32_e32 v8, 28, v7
	v_bfe_u32 v6, v3, 3, 4
	v_lshlrev_b32_e32 v3, v8, v3
	v_sub_u32_e32 v7, 29, v7
	v_and_b32_e32 v3, 7, v3
	v_cmp_eq_u32_e32 vcc, 0, v6
	v_and_b32_e32 v4, 0x80000000, v4
	s_nop 0
	v_cndmask_b32_e32 v6, v6, v7, vcc
	v_cndmask_b32_e32 v3, v5, v3, vcc
	v_mov_b32_e32 v5, 0x3b800000
	v_lshlrev_b32_e32 v3, 20, v3
	v_lshl_add_u32 v5, v6, 23, v5
	v_or3_b32 v3, v4, v5, v3
	v_cvt_f64_f32_e32 v[4:5], v3
.LBB321_607:
	s_or_b64 exec, exec, s[14:15]
.LBB321_608:
	s_mov_b64 s[2:3], -1
.LBB321_609:
	s_mov_b64 s[14:15], 0
.LBB321_610:
	s_and_b64 vcc, exec, s[14:15]
	s_cbranch_vccz .LBB321_643
; %bb.611:
	s_cmp_gt_i32 s18, 22
	s_cbranch_scc0 .LBB321_623
; %bb.612:
	s_cmp_lt_i32 s18, 24
	s_cbranch_scc1 .LBB321_624
; %bb.613:
	s_cmp_gt_i32 s18, 24
	s_cbranch_scc0 .LBB321_625
; %bb.614:
	global_load_ubyte v3, v[0:1], off
	s_movk_i32 s2, 0x7f
	s_waitcnt vmcnt(0)
	v_cmp_lt_i16_e32 vcc, s2, v3
	s_mov_b64 s[2:3], 0
	s_and_saveexec_b64 s[14:15], vcc
	s_xor_b64 s[14:15], exec, s[14:15]
	s_cbranch_execz .LBB321_618
; %bb.615:
	s_movk_i32 s2, 0x80
	v_cmp_eq_u16_e32 vcc, s2, v3
	s_mov_b64 s[2:3], -1
	s_and_saveexec_b64 s[16:17], vcc
; %bb.616:
	s_xor_b64 s[2:3], exec, -1
; %bb.617:
	s_or_b64 exec, exec, s[16:17]
	s_and_b64 s[2:3], s[2:3], exec
.LBB321_618:
	s_or_saveexec_b64 s[14:15], s[14:15]
	v_bfrev_b32_e32 v4, 4
	v_mov_b32_e32 v5, 0x7ff80000
	s_xor_b64 exec, exec, s[14:15]
; %bb.619:
	v_cmp_ne_u16_e32 vcc, 0, v3
	s_andn2_b64 s[2:3], s[2:3], exec
	s_and_b64 s[16:17], vcc, exec
	v_mov_b64_e32 v[4:5], 0
	s_or_b64 s[2:3], s[2:3], s[16:17]
; %bb.620:
	s_or_b64 exec, exec, s[14:15]
	s_and_saveexec_b64 s[14:15], s[2:3]
	s_cbranch_execz .LBB321_622
; %bb.621:
	v_lshlrev_b32_e32 v4, 24, v3
	v_and_b32_e32 v3, 0xffff, v3
	v_and_b32_e32 v5, 3, v3
	v_ffbh_u32_e32 v7, v5
	v_min_u32_e32 v7, 32, v7
	v_subrev_u32_e32 v8, 29, v7
	v_bfe_u32 v6, v3, 2, 5
	v_lshlrev_b32_e32 v3, v8, v3
	v_sub_u32_e32 v7, 30, v7
	v_and_b32_e32 v3, 3, v3
	v_cmp_eq_u32_e32 vcc, 0, v6
	v_and_b32_e32 v4, 0x80000000, v4
	s_nop 0
	v_cndmask_b32_e32 v6, v6, v7, vcc
	v_cndmask_b32_e32 v3, v5, v3, vcc
	v_mov_b32_e32 v5, 0x37800000
	v_lshlrev_b32_e32 v3, 21, v3
	v_lshl_add_u32 v5, v6, 23, v5
	v_or3_b32 v3, v4, v5, v3
	v_cvt_f64_f32_e32 v[4:5], v3
.LBB321_622:
	s_or_b64 exec, exec, s[14:15]
	s_mov_b64 s[2:3], 0
	s_branch .LBB321_626
.LBB321_623:
	s_mov_b64 s[14:15], -1
                                        ; implicit-def: $vgpr4_vgpr5
	s_branch .LBB321_632
.LBB321_624:
	s_mov_b64 s[2:3], -1
                                        ; implicit-def: $vgpr4_vgpr5
	s_branch .LBB321_629
.LBB321_625:
	s_mov_b64 s[2:3], -1
                                        ; implicit-def: $vgpr4_vgpr5
.LBB321_626:
	s_and_b64 vcc, exec, s[2:3]
	s_cbranch_vccz .LBB321_628
; %bb.627:
	global_load_ubyte v3, v[0:1], off
	s_mov_b32 s2, 0x7f800000
	s_waitcnt vmcnt(0)
	v_lshlrev_b32_e32 v3, 24, v3
	v_and_b32_e32 v4, 0x7f000000, v3
	v_ffbh_u32_e32 v5, v4
	v_min_u32_e32 v5, 32, v5
	v_sub_u32_e64 v5, v5, 4 clamp
	v_lshlrev_b32_e32 v7, v5, v4
	v_lshlrev_b32_e32 v5, 23, v5
	v_lshrrev_b32_e32 v7, 4, v7
	v_add_u32_e32 v6, 0x1000000, v4
	v_sub_u32_e32 v5, v7, v5
	v_ashrrev_i32_e32 v6, 8, v6
	v_add_u32_e32 v5, 0x3c000000, v5
	v_and_or_b32 v5, v6, s2, v5
	v_cmp_ne_u32_e32 vcc, 0, v4
	s_brev_b32 s2, 1
	s_nop 0
	v_cndmask_b32_e32 v4, 0, v5, vcc
	v_and_or_b32 v3, v3, s2, v4
	v_cvt_f64_f32_e32 v[4:5], v3
.LBB321_628:
	s_mov_b64 s[2:3], 0
.LBB321_629:
	s_andn2_b64 vcc, exec, s[2:3]
	s_cbranch_vccnz .LBB321_631
; %bb.630:
	global_load_ubyte v3, v[0:1], off
	s_movk_i32 s2, 0x7f00
	s_brev_b32 s3, 16
	s_waitcnt vmcnt(0)
	v_lshlrev_b16_e32 v4, 8, v3
	v_lshlrev_b32_e32 v3, 25, v3
	v_lshrrev_b32_e32 v5, 4, v3
	v_and_or_b32 v6, v4, s2, 0.5
	v_or_b32_e32 v5, 0x70000000, v5
	v_add_f32_e32 v6, -0.5, v6
	v_mul_f32_e32 v5, 0x7800000, v5
	v_cmp_gt_u32_e32 vcc, s3, v3
	v_bfe_i32 v4, v4, 0, 16
	s_brev_b32 s2, 1
	v_cndmask_b32_e32 v3, v5, v6, vcc
	v_and_or_b32 v3, v4, s2, v3
	v_cvt_f64_f32_e32 v[4:5], v3
.LBB321_631:
	s_mov_b64 s[14:15], 0
	s_mov_b64 s[2:3], -1
.LBB321_632:
	s_andn2_b64 vcc, exec, s[14:15]
	s_cbranch_vccnz .LBB321_643
; %bb.633:
	s_cmp_gt_i32 s18, 14
	s_cbranch_scc0 .LBB321_636
; %bb.634:
	s_cmp_eq_u32 s18, 15
	s_cbranch_scc0 .LBB321_637
; %bb.635:
	global_load_ushort v3, v[0:1], off
	s_mov_b64 s[2:3], -1
	s_mov_b64 s[12:13], 0
	s_waitcnt vmcnt(0)
	v_lshlrev_b32_e32 v3, 16, v3
	v_cvt_f64_f32_e32 v[4:5], v3
	s_branch .LBB321_638
.LBB321_636:
	s_mov_b64 s[14:15], -1
                                        ; implicit-def: $vgpr4_vgpr5
	s_branch .LBB321_639
.LBB321_637:
	s_mov_b64 s[12:13], -1
                                        ; implicit-def: $vgpr4_vgpr5
.LBB321_638:
	s_mov_b64 s[14:15], 0
.LBB321_639:
	s_and_b64 vcc, exec, s[14:15]
	s_cbranch_vccz .LBB321_643
; %bb.640:
	s_cmp_eq_u32 s18, 11
	s_cbranch_scc0 .LBB321_642
; %bb.641:
	global_load_ubyte v3, v[0:1], off
	s_waitcnt vmcnt(1)
	v_mov_b32_e32 v5, 0x3ff00000
	v_mov_b32_e32 v4, 0
	s_mov_b64 s[2:3], -1
	s_mov_b64 s[12:13], 0
	s_waitcnt vmcnt(0)
	v_cmp_ne_u16_e32 vcc, 0, v3
	s_nop 1
	v_cndmask_b32_e32 v5, 0, v5, vcc
	s_branch .LBB321_643
.LBB321_642:
	s_mov_b64 s[12:13], -1
                                        ; implicit-def: $vgpr4_vgpr5
.LBB321_643:
	s_mov_b64 s[14:15], 0
.LBB321_644:
	s_and_b64 vcc, exec, s[14:15]
	s_cbranch_vccz .LBB321_693
; %bb.645:
	s_cmp_lt_i32 s18, 5
	s_cbranch_scc1 .LBB321_650
; %bb.646:
	s_cmp_lt_i32 s18, 8
	s_cbranch_scc1 .LBB321_651
; %bb.647:
	s_cmp_lt_i32 s18, 9
	s_cbranch_scc1 .LBB321_652
; %bb.648:
	s_cmp_gt_i32 s18, 9
	s_cbranch_scc0 .LBB321_653
; %bb.649:
	global_load_dwordx2 v[4:5], v[0:1], off
	s_mov_b64 s[2:3], 0
	s_branch .LBB321_654
.LBB321_650:
	s_mov_b64 s[2:3], -1
                                        ; implicit-def: $vgpr4_vgpr5
	s_branch .LBB321_672
.LBB321_651:
	s_mov_b64 s[2:3], -1
                                        ; implicit-def: $vgpr4_vgpr5
	s_branch .LBB321_660
.LBB321_652:
	s_mov_b64 s[2:3], -1
                                        ; implicit-def: $vgpr4_vgpr5
	s_branch .LBB321_657
.LBB321_653:
	s_mov_b64 s[2:3], -1
                                        ; implicit-def: $vgpr4_vgpr5
.LBB321_654:
	s_andn2_b64 vcc, exec, s[2:3]
	s_cbranch_vccnz .LBB321_656
; %bb.655:
	global_load_dword v3, v[0:1], off
	s_waitcnt vmcnt(0)
	v_cvt_f64_f32_e32 v[4:5], v3
.LBB321_656:
	s_mov_b64 s[2:3], 0
.LBB321_657:
	s_andn2_b64 vcc, exec, s[2:3]
	s_cbranch_vccnz .LBB321_659
; %bb.658:
	global_load_dword v3, v[0:1], off
	s_waitcnt vmcnt(0)
	v_cvt_f32_f16_e32 v3, v3
	v_cvt_f64_f32_e32 v[4:5], v3
.LBB321_659:
	s_mov_b64 s[2:3], 0
.LBB321_660:
	s_andn2_b64 vcc, exec, s[2:3]
	s_cbranch_vccnz .LBB321_671
; %bb.661:
	s_cmp_lt_i32 s18, 6
	s_cbranch_scc1 .LBB321_664
; %bb.662:
	s_cmp_gt_i32 s18, 6
	s_cbranch_scc0 .LBB321_665
; %bb.663:
	global_load_dwordx2 v[4:5], v[0:1], off
	s_mov_b64 s[2:3], 0
	s_branch .LBB321_666
.LBB321_664:
	s_mov_b64 s[2:3], -1
                                        ; implicit-def: $vgpr4_vgpr5
	s_branch .LBB321_669
.LBB321_665:
	s_mov_b64 s[2:3], -1
                                        ; implicit-def: $vgpr4_vgpr5
.LBB321_666:
	s_andn2_b64 vcc, exec, s[2:3]
	s_cbranch_vccnz .LBB321_668
; %bb.667:
	global_load_dword v3, v[0:1], off
	s_waitcnt vmcnt(0)
	v_cvt_f64_f32_e32 v[4:5], v3
.LBB321_668:
	s_mov_b64 s[2:3], 0
.LBB321_669:
	s_andn2_b64 vcc, exec, s[2:3]
	s_cbranch_vccnz .LBB321_671
; %bb.670:
	global_load_ushort v3, v[0:1], off
	s_waitcnt vmcnt(0)
	v_cvt_f32_f16_e32 v3, v3
	v_cvt_f64_f32_e32 v[4:5], v3
.LBB321_671:
	s_mov_b64 s[2:3], 0
.LBB321_672:
	s_andn2_b64 vcc, exec, s[2:3]
	s_cbranch_vccnz .LBB321_692
; %bb.673:
	s_cmp_lt_i32 s18, 2
	s_cbranch_scc1 .LBB321_677
; %bb.674:
	s_cmp_lt_i32 s18, 3
	s_cbranch_scc1 .LBB321_678
; %bb.675:
	s_cmp_gt_i32 s18, 3
	s_cbranch_scc0 .LBB321_679
; %bb.676:
	global_load_dwordx2 v[4:5], v[0:1], off
	s_mov_b64 s[2:3], 0
	s_waitcnt vmcnt(0)
	v_cvt_f64_i32_e32 v[6:7], v5
	v_cvt_f64_u32_e32 v[4:5], v4
	v_ldexp_f64 v[6:7], v[6:7], 32
	v_add_f64 v[4:5], v[6:7], v[4:5]
	s_branch .LBB321_680
.LBB321_677:
	s_mov_b64 s[2:3], -1
                                        ; implicit-def: $vgpr4_vgpr5
	s_branch .LBB321_686
.LBB321_678:
	s_mov_b64 s[2:3], -1
                                        ; implicit-def: $vgpr4_vgpr5
	s_branch .LBB321_683
.LBB321_679:
	s_mov_b64 s[2:3], -1
                                        ; implicit-def: $vgpr4_vgpr5
.LBB321_680:
	s_andn2_b64 vcc, exec, s[2:3]
	s_cbranch_vccnz .LBB321_682
; %bb.681:
	global_load_dword v3, v[0:1], off
	s_waitcnt vmcnt(0)
	v_cvt_f64_i32_e32 v[4:5], v3
.LBB321_682:
	s_mov_b64 s[2:3], 0
.LBB321_683:
	s_andn2_b64 vcc, exec, s[2:3]
	s_cbranch_vccnz .LBB321_685
; %bb.684:
	global_load_sshort v3, v[0:1], off
	s_waitcnt vmcnt(0)
	v_cvt_f64_i32_e32 v[4:5], v3
.LBB321_685:
	s_mov_b64 s[2:3], 0
.LBB321_686:
	s_andn2_b64 vcc, exec, s[2:3]
	s_cbranch_vccnz .LBB321_692
; %bb.687:
	s_cmp_gt_i32 s18, 0
	s_cbranch_scc0 .LBB321_689
; %bb.688:
	global_load_sbyte v3, v[0:1], off
	s_mov_b64 s[2:3], 0
	s_waitcnt vmcnt(0)
	v_cvt_f64_i32_e32 v[4:5], v3
	s_branch .LBB321_690
.LBB321_689:
	s_mov_b64 s[2:3], -1
                                        ; implicit-def: $vgpr4_vgpr5
.LBB321_690:
	s_andn2_b64 vcc, exec, s[2:3]
	s_cbranch_vccnz .LBB321_692
; %bb.691:
	global_load_ubyte v0, v[0:1], off
	s_waitcnt vmcnt(0)
	v_cvt_f64_u32_e32 v[4:5], v0
.LBB321_692:
	s_mov_b64 s[2:3], -1
.LBB321_693:
	s_andn2_b64 vcc, exec, s[2:3]
	s_cbranch_vccnz .LBB321_701
; %bb.694:
	v_max_f64 v[0:1], s[8:9], s[8:9]
	s_waitcnt vmcnt(0)
	v_max_f64 v[6:7], v[4:5], v[4:5]
	v_max_f64 v[0:1], v[6:7], v[0:1]
	;; [unrolled: 1-line block ×3, first 2 shown]
	v_min_f64 v[0:1], v[0:1], v[6:7]
	v_cmp_u_f64_e32 vcc, v[4:5], v[4:5]
	v_mov_b32_e32 v3, 0
	s_and_b32 s20, s77, 0xff
	v_cndmask_b32_e32 v1, v1, v5, vcc
	v_cndmask_b32_e32 v0, v0, v4, vcc
	s_cmp_lt_i32 s20, 11
	v_lshl_add_u64 v[4:5], s[4:5], 0, v[2:3]
	s_cbranch_scc1 .LBB321_702
; %bb.695:
	s_and_b32 s21, 0xffff, s20
	s_cmp_gt_i32 s21, 25
	s_cbranch_scc0 .LBB321_703
; %bb.696:
	s_cmp_gt_i32 s21, 28
	s_cbranch_scc0 .LBB321_704
; %bb.697:
	s_cmp_gt_i32 s21, 43
	s_cbranch_scc0 .LBB321_705
; %bb.698:
	s_cmp_gt_i32 s21, 45
	s_cbranch_scc0 .LBB321_706
; %bb.699:
	s_mov_b64 s[16:17], 0
	s_mov_b64 s[2:3], -1
	s_cmp_eq_u32 s21, 46
	s_mov_b64 s[14:15], 0
	s_cbranch_scc0 .LBB321_707
; %bb.700:
	v_cvt_f32_f64_e32 v2, v[0:1]
	v_bfe_u32 v3, v2, 16, 1
	s_movk_i32 s2, 0x7fff
	v_add3_u32 v3, v2, v3, s2
	v_cmp_o_f32_e32 vcc, v2, v2
	v_mov_b32_e32 v2, 0x7fc0
	s_mov_b64 s[14:15], -1
	v_cndmask_b32_sdwa v2, v2, v3, vcc dst_sel:DWORD dst_unused:UNUSED_PAD src0_sel:DWORD src1_sel:WORD_1
	global_store_dword v[4:5], v2, off
	s_mov_b64 s[2:3], 0
	s_branch .LBB321_707
.LBB321_701:
	s_mov_b64 s[14:15], 0
	s_mov_b64 s[2:3], s[66:67]
	s_branch .LBB321_818
.LBB321_702:
	s_mov_b64 s[16:17], -1
	s_mov_b64 s[14:15], 0
	s_mov_b64 s[2:3], s[66:67]
	s_branch .LBB321_776
.LBB321_703:
	s_mov_b64 s[16:17], -1
	s_mov_b64 s[14:15], 0
	s_mov_b64 s[2:3], s[66:67]
	s_branch .LBB321_734
.LBB321_704:
	s_mov_b64 s[16:17], -1
	s_mov_b64 s[14:15], 0
	s_mov_b64 s[2:3], s[66:67]
	s_branch .LBB321_717
.LBB321_705:
	s_mov_b64 s[16:17], -1
	s_mov_b64 s[14:15], 0
	s_mov_b64 s[2:3], s[66:67]
	s_branch .LBB321_713
.LBB321_706:
	s_mov_b64 s[16:17], -1
	s_mov_b64 s[14:15], 0
	s_mov_b64 s[2:3], s[66:67]
.LBB321_707:
	s_and_b64 vcc, exec, s[16:17]
	s_cbranch_vccz .LBB321_712
; %bb.708:
	s_cmp_eq_u32 s21, 44
	s_mov_b64 s[2:3], -1
	s_cbranch_scc0 .LBB321_712
; %bb.709:
	v_cvt_f32_f64_e32 v2, v[0:1]
	v_bfe_u32 v3, v2, 23, 8
	s_movk_i32 s2, 0xff
	v_cmp_ne_u32_e32 vcc, s2, v3
	v_mov_b32_e32 v6, 0xff
	s_and_saveexec_b64 s[14:15], vcc
; %bb.710:
	s_mov_b32 s2, 0x3fffff
	v_lshrrev_b32_e32 v6, 23, v2
	v_and_b32_e32 v7, 0x400000, v2
	v_and_or_b32 v2, v2, s2, v3
	v_cmp_ne_u32_e32 vcc, 0, v7
	v_cmp_ne_u32_e64 s[2:3], 0, v2
	s_and_b64 s[2:3], vcc, s[2:3]
	s_nop 0
	v_cndmask_b32_e64 v2, 0, 1, s[2:3]
	v_add_u32_e32 v6, v6, v2
; %bb.711:
	s_or_b64 exec, exec, s[14:15]
	s_mov_b64 s[14:15], -1
	s_mov_b64 s[2:3], 0
	global_store_byte v[4:5], v6, off
.LBB321_712:
	s_mov_b64 s[16:17], 0
.LBB321_713:
	s_and_b64 vcc, exec, s[16:17]
	s_cbranch_vccz .LBB321_716
; %bb.714:
	s_cmp_eq_u32 s21, 29
	s_mov_b64 s[2:3], -1
	s_cbranch_scc0 .LBB321_716
; %bb.715:
	v_trunc_f64_e32 v[2:3], v[0:1]
	s_movk_i32 s2, 0xffe0
	v_ldexp_f64 v[6:7], v[2:3], s2
	v_floor_f64_e32 v[6:7], v[6:7]
	v_fmac_f64_e32 v[2:3], 0xc1f00000, v[6:7]
	v_cvt_u32_f64_e32 v9, v[6:7]
	v_cvt_u32_f64_e32 v8, v[2:3]
	global_store_dwordx2 v[4:5], v[8:9], off
	s_mov_b64 s[14:15], -1
	s_mov_b64 s[2:3], 0
.LBB321_716:
	s_mov_b64 s[16:17], 0
.LBB321_717:
	s_and_b64 vcc, exec, s[16:17]
	s_cbranch_vccz .LBB321_733
; %bb.718:
	s_cmp_lt_i32 s21, 27
	s_mov_b64 s[14:15], -1
	s_cbranch_scc1 .LBB321_724
; %bb.719:
	s_cmp_gt_i32 s21, 27
	v_cvt_u32_f64_e32 v2, v[0:1]
	s_cbranch_scc0 .LBB321_721
; %bb.720:
	s_mov_b64 s[14:15], 0
	global_store_dword v[4:5], v2, off
.LBB321_721:
	s_andn2_b64 vcc, exec, s[14:15]
	s_cbranch_vccnz .LBB321_723
; %bb.722:
	global_store_short v[4:5], v2, off
.LBB321_723:
	s_mov_b64 s[14:15], 0
.LBB321_724:
	s_andn2_b64 vcc, exec, s[14:15]
	s_cbranch_vccnz .LBB321_732
; %bb.725:
	v_cvt_f32_f64_e32 v2, v[0:1]
	v_and_b32_e32 v3, 0x7fffffff, v2
	s_mov_b32 s14, 0x43800000
	v_cmp_gt_u32_e32 vcc, s14, v3
	v_mov_b32_e32 v6, 0x80
	s_and_saveexec_b64 s[14:15], vcc
	s_cbranch_execz .LBB321_731
; %bb.726:
	s_mov_b32 s16, 0x3bffffff
	v_cmp_lt_u32_e32 vcc, s16, v3
	s_mov_b64 s[16:17], 0
                                        ; implicit-def: $vgpr3
	s_and_saveexec_b64 s[18:19], vcc
	s_xor_b64 s[18:19], exec, s[18:19]
	s_cbranch_execz .LBB321_849
; %bb.727:
	v_bfe_u32 v3, v2, 20, 1
	s_mov_b32 s22, 0x487ffff
	v_add3_u32 v3, v2, v3, s22
	s_mov_b64 s[16:17], exec
	v_lshrrev_b32_e32 v3, 20, v3
	s_andn2_saveexec_b64 s[18:19], s[18:19]
	s_cbranch_execnz .LBB321_850
.LBB321_728:
	s_or_b64 exec, exec, s[18:19]
	v_mov_b32_e32 v6, 0
	s_and_saveexec_b64 s[18:19], s[16:17]
.LBB321_729:
	v_lshrrev_b32_e32 v2, 24, v2
	s_movk_i32 s16, 0x80
	v_and_or_b32 v6, v2, s16, v3
.LBB321_730:
	s_or_b64 exec, exec, s[18:19]
.LBB321_731:
	s_or_b64 exec, exec, s[14:15]
	global_store_byte v[4:5], v6, off
.LBB321_732:
	s_mov_b64 s[14:15], -1
.LBB321_733:
	s_mov_b64 s[16:17], 0
.LBB321_734:
	s_and_b64 vcc, exec, s[16:17]
	s_cbranch_vccz .LBB321_775
; %bb.735:
	s_cmp_gt_i32 s21, 22
	s_mov_b64 s[16:17], -1
	s_cbranch_scc0 .LBB321_767
; %bb.736:
	s_cmp_lt_i32 s21, 24
	s_mov_b64 s[14:15], -1
	s_cbranch_scc1 .LBB321_756
; %bb.737:
	s_cmp_gt_i32 s21, 24
	s_cbranch_scc0 .LBB321_745
; %bb.738:
	v_cvt_f32_f64_e32 v2, v[0:1]
	v_and_b32_e32 v3, 0x7fffffff, v2
	s_mov_b32 s14, 0x47800000
	v_cmp_gt_u32_e32 vcc, s14, v3
	v_mov_b32_e32 v6, 0x80
	s_and_saveexec_b64 s[14:15], vcc
	s_cbranch_execz .LBB321_744
; %bb.739:
	s_mov_b32 s16, 0x37ffffff
	v_cmp_lt_u32_e32 vcc, s16, v3
	s_mov_b64 s[16:17], 0
                                        ; implicit-def: $vgpr3
	s_and_saveexec_b64 s[18:19], vcc
	s_xor_b64 s[18:19], exec, s[18:19]
	s_cbranch_execz .LBB321_852
; %bb.740:
	v_bfe_u32 v3, v2, 21, 1
	s_mov_b32 s22, 0x88fffff
	v_add3_u32 v3, v2, v3, s22
	s_mov_b64 s[16:17], exec
	v_lshrrev_b32_e32 v3, 21, v3
	s_andn2_saveexec_b64 s[18:19], s[18:19]
	s_cbranch_execnz .LBB321_853
.LBB321_741:
	s_or_b64 exec, exec, s[18:19]
	v_mov_b32_e32 v6, 0
	s_and_saveexec_b64 s[18:19], s[16:17]
.LBB321_742:
	v_lshrrev_b32_e32 v2, 24, v2
	s_movk_i32 s16, 0x80
	v_and_or_b32 v6, v2, s16, v3
.LBB321_743:
	s_or_b64 exec, exec, s[18:19]
.LBB321_744:
	s_or_b64 exec, exec, s[14:15]
	s_mov_b64 s[14:15], 0
	global_store_byte v[4:5], v6, off
.LBB321_745:
	s_and_b64 vcc, exec, s[14:15]
	s_cbranch_vccz .LBB321_755
; %bb.746:
	v_cvt_f32_f64_e32 v2, v[0:1]
	v_and_b32_e32 v6, 0x7fffffff, v2
	s_mov_b32 s14, 0x43f00000
	v_cmp_gt_u32_e32 vcc, s14, v6
                                        ; implicit-def: $vgpr3
	s_and_saveexec_b64 s[14:15], vcc
	s_xor_b64 s[14:15], exec, s[14:15]
	s_cbranch_execz .LBB321_752
; %bb.747:
	s_mov_b32 s16, 0x3c7fffff
	v_cmp_lt_u32_e32 vcc, s16, v6
                                        ; implicit-def: $vgpr3
	s_and_saveexec_b64 s[16:17], vcc
	s_xor_b64 s[16:17], exec, s[16:17]
; %bb.748:
	v_bfe_u32 v3, v2, 20, 1
	s_mov_b32 s18, 0x407ffff
	v_add3_u32 v3, v2, v3, s18
	v_lshrrev_b32_e32 v6, 20, v3
	v_and_b32_e32 v3, 0xff00000, v3
	s_mov_b32 s18, 0x7f00000
	v_mov_b32_e32 v7, 0x7e
	v_cmp_ne_u32_e32 vcc, s18, v3
	s_nop 1
	v_cndmask_b32_e32 v3, v7, v6, vcc
; %bb.749:
	s_andn2_saveexec_b64 s[16:17], s[16:17]
; %bb.750:
	s_mov_b32 s18, 0x46800000
	v_add_f32_e64 v3, |v2|, s18
; %bb.751:
	s_or_b64 exec, exec, s[16:17]
                                        ; implicit-def: $vgpr6
.LBB321_752:
	s_andn2_saveexec_b64 s[14:15], s[14:15]
; %bb.753:
	s_mov_b32 s16, 0x7f800000
	v_mov_b32_e32 v3, 0x7e
	v_mov_b32_e32 v7, 0x7f
	v_cmp_lt_u32_e32 vcc, s16, v6
	s_nop 1
	v_cndmask_b32_e32 v3, v3, v7, vcc
; %bb.754:
	s_or_b64 exec, exec, s[14:15]
	v_lshrrev_b32_e32 v2, 24, v2
	s_movk_i32 s14, 0x80
	v_and_or_b32 v2, v2, s14, v3
	global_store_byte v[4:5], v2, off
.LBB321_755:
	s_mov_b64 s[14:15], 0
.LBB321_756:
	s_andn2_b64 vcc, exec, s[14:15]
	s_cbranch_vccnz .LBB321_766
; %bb.757:
	v_cvt_f32_f64_e32 v2, v[0:1]
	v_and_b32_e32 v6, 0x7fffffff, v2
	s_mov_b32 s14, 0x47800000
	v_cmp_gt_u32_e32 vcc, s14, v6
                                        ; implicit-def: $vgpr3
	s_and_saveexec_b64 s[14:15], vcc
	s_xor_b64 s[14:15], exec, s[14:15]
	s_cbranch_execz .LBB321_763
; %bb.758:
	s_mov_b32 s16, 0x387fffff
	v_cmp_lt_u32_e32 vcc, s16, v6
                                        ; implicit-def: $vgpr3
	s_and_saveexec_b64 s[16:17], vcc
	s_xor_b64 s[16:17], exec, s[16:17]
; %bb.759:
	v_bfe_u32 v3, v2, 21, 1
	s_mov_b32 s18, 0x80fffff
	v_add3_u32 v3, v2, v3, s18
	v_lshrrev_b32_e32 v3, 21, v3
; %bb.760:
	s_andn2_saveexec_b64 s[16:17], s[16:17]
; %bb.761:
	s_mov_b32 s18, 0x43000000
	v_add_f32_e64 v3, |v2|, s18
; %bb.762:
	s_or_b64 exec, exec, s[16:17]
                                        ; implicit-def: $vgpr6
.LBB321_763:
	s_andn2_saveexec_b64 s[14:15], s[14:15]
; %bb.764:
	s_mov_b32 s16, 0x7f800000
	v_mov_b32_e32 v3, 0x7c
	v_mov_b32_e32 v7, 0x7f
	v_cmp_lt_u32_e32 vcc, s16, v6
	s_nop 1
	v_cndmask_b32_e32 v3, v3, v7, vcc
; %bb.765:
	s_or_b64 exec, exec, s[14:15]
	v_lshrrev_b32_e32 v2, 24, v2
	s_movk_i32 s14, 0x80
	v_and_or_b32 v2, v2, s14, v3
	global_store_byte v[4:5], v2, off
.LBB321_766:
	s_mov_b64 s[16:17], 0
	s_mov_b64 s[14:15], -1
.LBB321_767:
	s_andn2_b64 vcc, exec, s[16:17]
	s_cbranch_vccnz .LBB321_775
; %bb.768:
	s_cmp_gt_i32 s21, 14
	s_mov_b64 s[16:17], -1
	s_cbranch_scc0 .LBB321_772
; %bb.769:
	s_cmp_eq_u32 s21, 15
	s_mov_b64 s[2:3], -1
	s_cbranch_scc0 .LBB321_771
; %bb.770:
	v_cvt_f32_f64_e32 v2, v[0:1]
	v_bfe_u32 v3, v2, 16, 1
	s_movk_i32 s2, 0x7fff
	v_add3_u32 v3, v2, v3, s2
	v_cmp_o_f32_e32 vcc, v2, v2
	v_mov_b32_e32 v2, 0x7fc0
	s_mov_b64 s[14:15], -1
	v_cndmask_b32_sdwa v2, v2, v3, vcc dst_sel:DWORD dst_unused:UNUSED_PAD src0_sel:DWORD src1_sel:WORD_1
	global_store_short v[4:5], v2, off
	s_mov_b64 s[2:3], 0
.LBB321_771:
	s_mov_b64 s[16:17], 0
.LBB321_772:
	s_and_b64 vcc, exec, s[16:17]
	s_cbranch_vccz .LBB321_775
; %bb.773:
	s_cmp_eq_u32 s21, 11
	s_mov_b64 s[2:3], -1
	s_cbranch_scc0 .LBB321_775
; %bb.774:
	v_cmp_neq_f64_e32 vcc, 0, v[0:1]
	s_mov_b64 s[2:3], 0
	s_mov_b64 s[14:15], -1
	v_cndmask_b32_e64 v2, 0, 1, vcc
	global_store_byte v[4:5], v2, off
.LBB321_775:
	s_mov_b64 s[16:17], 0
.LBB321_776:
	s_and_b64 vcc, exec, s[16:17]
	s_cbranch_vccz .LBB321_815
; %bb.777:
	s_and_b32 s16, 0xffff, s20
	s_cmp_lt_i32 s16, 5
	s_mov_b64 s[14:15], -1
	s_cbranch_scc1 .LBB321_798
; %bb.778:
	s_cmp_lt_i32 s16, 8
	s_cbranch_scc1 .LBB321_788
; %bb.779:
	s_cmp_lt_i32 s16, 9
	s_cbranch_scc1 .LBB321_785
; %bb.780:
	s_cmp_gt_i32 s16, 9
	s_cbranch_scc0 .LBB321_782
; %bb.781:
	v_mov_b32_e32 v2, 0
	v_mov_b32_e32 v3, v2
	s_mov_b64 s[14:15], 0
	global_store_dwordx4 v[4:5], v[0:3], off
.LBB321_782:
	s_andn2_b64 vcc, exec, s[14:15]
	s_cbranch_vccnz .LBB321_784
; %bb.783:
	v_cvt_f32_f64_e32 v2, v[0:1]
	v_mov_b32_e32 v3, 0
	global_store_dwordx2 v[4:5], v[2:3], off
.LBB321_784:
	s_mov_b64 s[14:15], 0
.LBB321_785:
	s_andn2_b64 vcc, exec, s[14:15]
	s_cbranch_vccnz .LBB321_787
; %bb.786:
	s_movk_i32 s14, 0x1ff
	v_and_or_b32 v2, v1, s14, v0
	v_cmp_ne_u32_e32 vcc, 0, v2
	v_lshrrev_b32_e32 v3, 8, v1
	s_movk_i32 s14, 0xffe
	v_cndmask_b32_e64 v2, 0, 1, vcc
	v_bfe_u32 v6, v1, 20, 11
	v_and_or_b32 v2, v3, s14, v2
	v_sub_u32_e32 v7, 0x3f1, v6
	v_or_b32_e32 v3, 0x1000, v2
	v_med3_i32 v7, v7, 0, 13
	v_lshrrev_b32_e32 v8, v7, v3
	v_lshlrev_b32_e32 v7, v7, v8
	v_cmp_ne_u32_e32 vcc, v7, v3
	v_add_u32_e32 v6, 0xfffffc10, v6
	v_lshl_or_b32 v7, v6, 12, v2
	v_cndmask_b32_e64 v3, 0, 1, vcc
	v_or_b32_e32 v3, v8, v3
	v_cmp_gt_i32_e32 vcc, 1, v6
	s_movk_i32 s14, 0x40f
	s_nop 0
	v_cndmask_b32_e32 v3, v7, v3, vcc
	v_and_b32_e32 v7, 7, v3
	v_cmp_lt_i32_e32 vcc, 5, v7
	v_lshrrev_b32_e32 v3, 2, v3
	s_nop 0
	v_cndmask_b32_e64 v8, 0, 1, vcc
	v_cmp_eq_u32_e32 vcc, 3, v7
	s_nop 1
	v_cndmask_b32_e64 v7, 0, 1, vcc
	v_or_b32_e32 v7, v7, v8
	v_add_u32_e32 v3, v3, v7
	v_mov_b32_e32 v7, 0x7c00
	v_cmp_gt_i32_e32 vcc, 31, v6
	v_mov_b32_e32 v8, 0x7e00
	s_nop 0
	v_cndmask_b32_e32 v3, v7, v3, vcc
	v_cmp_ne_u32_e32 vcc, 0, v2
	s_nop 1
	v_cndmask_b32_e32 v2, v7, v8, vcc
	v_cmp_eq_u32_e32 vcc, s14, v6
	s_mov_b32 s14, 0x8000
	s_nop 0
	v_cndmask_b32_e32 v2, v3, v2, vcc
	v_and_b32_sdwa v3, v1, s14 dst_sel:DWORD dst_unused:UNUSED_PAD src0_sel:WORD_1 src1_sel:DWORD
	s_mov_b32 s14, 0xffff
	v_bitop3_b32 v2, v3, s14, v2 bitop3:0xc8
	global_store_dword v[4:5], v2, off
.LBB321_787:
	s_mov_b64 s[14:15], 0
.LBB321_788:
	s_andn2_b64 vcc, exec, s[14:15]
	s_cbranch_vccnz .LBB321_797
; %bb.789:
	s_cmp_lt_i32 s16, 6
	s_mov_b64 s[14:15], -1
	s_cbranch_scc1 .LBB321_795
; %bb.790:
	s_cmp_gt_i32 s16, 6
	s_cbranch_scc0 .LBB321_792
; %bb.791:
	s_mov_b64 s[14:15], 0
	global_store_dwordx2 v[4:5], v[0:1], off
.LBB321_792:
	s_andn2_b64 vcc, exec, s[14:15]
	s_cbranch_vccnz .LBB321_794
; %bb.793:
	v_cvt_f32_f64_e32 v2, v[0:1]
	global_store_dword v[4:5], v2, off
.LBB321_794:
	s_mov_b64 s[14:15], 0
.LBB321_795:
	s_andn2_b64 vcc, exec, s[14:15]
	s_cbranch_vccnz .LBB321_797
; %bb.796:
	s_movk_i32 s14, 0x1ff
	v_and_or_b32 v2, v1, s14, v0
	v_cmp_ne_u32_e32 vcc, 0, v2
	v_lshrrev_b32_e32 v3, 8, v1
	s_movk_i32 s14, 0xffe
	v_cndmask_b32_e64 v2, 0, 1, vcc
	v_bfe_u32 v6, v1, 20, 11
	v_and_or_b32 v2, v3, s14, v2
	v_sub_u32_e32 v7, 0x3f1, v6
	v_or_b32_e32 v3, 0x1000, v2
	v_med3_i32 v7, v7, 0, 13
	v_lshrrev_b32_e32 v8, v7, v3
	v_lshlrev_b32_e32 v7, v7, v8
	v_cmp_ne_u32_e32 vcc, v7, v3
	v_add_u32_e32 v6, 0xfffffc10, v6
	v_lshl_or_b32 v7, v6, 12, v2
	v_cndmask_b32_e64 v3, 0, 1, vcc
	v_or_b32_e32 v3, v8, v3
	v_cmp_gt_i32_e32 vcc, 1, v6
	s_movk_i32 s14, 0x40f
	s_nop 0
	v_cndmask_b32_e32 v3, v7, v3, vcc
	v_and_b32_e32 v7, 7, v3
	v_cmp_lt_i32_e32 vcc, 5, v7
	v_lshrrev_b32_e32 v3, 2, v3
	s_nop 0
	v_cndmask_b32_e64 v8, 0, 1, vcc
	v_cmp_eq_u32_e32 vcc, 3, v7
	s_nop 1
	v_cndmask_b32_e64 v7, 0, 1, vcc
	v_or_b32_e32 v7, v7, v8
	v_add_u32_e32 v3, v3, v7
	v_mov_b32_e32 v7, 0x7c00
	v_cmp_gt_i32_e32 vcc, 31, v6
	v_mov_b32_e32 v8, 0x7e00
	s_nop 0
	v_cndmask_b32_e32 v3, v7, v3, vcc
	v_cmp_ne_u32_e32 vcc, 0, v2
	s_nop 1
	v_cndmask_b32_e32 v2, v7, v8, vcc
	v_cmp_eq_u32_e32 vcc, s14, v6
	s_mov_b32 s14, 0x8000
	s_nop 0
	v_cndmask_b32_e32 v2, v3, v2, vcc
	v_lshrrev_b32_e32 v3, 16, v1
	v_and_or_b32 v2, v3, s14, v2
	global_store_short v[4:5], v2, off
.LBB321_797:
	s_mov_b64 s[14:15], 0
.LBB321_798:
	s_andn2_b64 vcc, exec, s[14:15]
	s_cbranch_vccnz .LBB321_814
; %bb.799:
	s_cmp_lt_i32 s16, 2
	s_mov_b64 s[14:15], -1
	s_cbranch_scc1 .LBB321_809
; %bb.800:
	s_cmp_lt_i32 s16, 3
	s_cbranch_scc1 .LBB321_806
; %bb.801:
	s_cmp_gt_i32 s16, 3
	s_cbranch_scc0 .LBB321_803
; %bb.802:
	v_trunc_f64_e32 v[2:3], v[0:1]
	s_movk_i32 s14, 0xffe0
	v_ldexp_f64 v[6:7], v[2:3], s14
	v_floor_f64_e32 v[6:7], v[6:7]
	v_fmac_f64_e32 v[2:3], 0xc1f00000, v[6:7]
	v_cvt_i32_f64_e32 v9, v[6:7]
	v_cvt_u32_f64_e32 v8, v[2:3]
	s_mov_b64 s[14:15], 0
	global_store_dwordx2 v[4:5], v[8:9], off
.LBB321_803:
	s_andn2_b64 vcc, exec, s[14:15]
	s_cbranch_vccnz .LBB321_805
; %bb.804:
	v_cvt_i32_f64_e32 v2, v[0:1]
	global_store_dword v[4:5], v2, off
.LBB321_805:
	s_mov_b64 s[14:15], 0
.LBB321_806:
	s_andn2_b64 vcc, exec, s[14:15]
	s_cbranch_vccnz .LBB321_808
; %bb.807:
	v_cvt_i32_f64_e32 v2, v[0:1]
	global_store_short v[4:5], v2, off
.LBB321_808:
	s_mov_b64 s[14:15], 0
.LBB321_809:
	s_andn2_b64 vcc, exec, s[14:15]
	s_cbranch_vccnz .LBB321_814
; %bb.810:
	s_cmp_gt_i32 s16, 0
	s_mov_b64 s[14:15], -1
	s_cbranch_scc0 .LBB321_812
; %bb.811:
	v_cvt_i32_f64_e32 v2, v[0:1]
	s_mov_b64 s[14:15], 0
	global_store_byte v[4:5], v2, off
.LBB321_812:
	s_andn2_b64 vcc, exec, s[14:15]
	s_cbranch_vccnz .LBB321_814
; %bb.813:
	v_trunc_f64_e32 v[0:1], v[0:1]
	s_movk_i32 s14, 0xffe0
	v_ldexp_f64 v[2:3], v[0:1], s14
	v_floor_f64_e32 v[2:3], v[2:3]
	v_fmac_f64_e32 v[0:1], 0xc1f00000, v[2:3]
	v_cvt_u32_f64_e32 v0, v[0:1]
	global_store_byte v[4:5], v0, off
.LBB321_814:
	s_mov_b64 s[14:15], -1
.LBB321_815:
	s_andn2_b64 vcc, exec, s[14:15]
	s_cbranch_vccnz .LBB321_817
; %bb.816:
	v_add_u32_e32 v10, 0x80, v10
	s_mov_b64 s[14:15], -1
	s_branch .LBB321_819
.LBB321_817:
	s_mov_b64 s[14:15], 0
.LBB321_818:
                                        ; implicit-def: $vgpr10
.LBB321_819:
	s_andn2_b64 s[16:17], s[66:67], exec
	s_and_b64 s[2:3], s[2:3], exec
	s_or_b64 s[72:73], s[16:17], s[2:3]
	s_andn2_b64 s[2:3], s[64:65], exec
	s_and_b64 s[12:13], s[12:13], exec
	s_or_b64 s[2:3], s[2:3], s[12:13]
	s_orn2_b64 s[18:19], s[14:15], exec
.LBB321_820:
	s_or_b64 exec, exec, s[70:71]
	s_mov_b64 s[12:13], 0
	s_mov_b64 s[14:15], 0
	;; [unrolled: 1-line block ×3, first 2 shown]
                                        ; implicit-def: $vgpr0_vgpr1
                                        ; implicit-def: $vgpr2
                                        ; implicit-def: $vgpr6_vgpr7
	s_and_saveexec_b64 s[70:71], s[18:19]
	s_cbranch_execz .LBB321_920
; %bb.821:
	v_cmp_gt_i32_e32 vcc, s74, v10
	s_mov_b64 s[18:19], s[2:3]
                                        ; implicit-def: $vgpr0_vgpr1
                                        ; implicit-def: $vgpr2
                                        ; implicit-def: $vgpr6_vgpr7
	s_and_saveexec_b64 s[74:75], vcc
	s_cbranch_execz .LBB321_919
; %bb.822:
	s_andn2_b64 vcc, exec, s[46:47]
	s_cbranch_vccnz .LBB321_828
; %bb.823:
	s_andn2_b64 vcc, exec, s[56:57]
	s_cbranch_vccnz .LBB321_829
; %bb.824:
	s_add_i32 s80, s79, 1
	s_cmp_eq_u32 s76, 2
	s_cbranch_scc1 .LBB321_830
; %bb.825:
	s_and_b32 s79, s80, 28
	s_mov_b32 s81, 0
	v_mov_b32_e32 v2, 0
	v_mov_b32_e32 v0, 0
	s_mov_b64 s[56:57], s[34:35]
	s_waitcnt vmcnt(0)
	v_mov_b32_e32 v4, v10
.LBB321_826:                            ; =>This Inner Loop Header: Depth=1
	s_load_dwordx8 s[20:27], s[56:57], 0x4
	s_load_dwordx4 s[40:43], s[56:57], 0x24
	s_load_dwordx8 s[12:19], s[54:55], 0x0
	s_add_u32 s56, s56, 48
	s_addc_u32 s57, s57, 0
	s_waitcnt lgkmcnt(0)
	v_mul_hi_u32 v1, s21, v4
	v_add_u32_e32 v1, v4, v1
	v_lshrrev_b32_e32 v1, s22, v1
	v_mul_lo_u32 v3, v1, s20
	v_mul_hi_u32 v5, s24, v1
	v_sub_u32_e32 v3, v4, v3
	v_add_u32_e32 v4, v1, v5
	v_lshrrev_b32_e32 v4, s25, v4
	v_mul_lo_u32 v6, v4, s23
	v_mul_hi_u32 v7, s27, v4
	v_sub_u32_e32 v1, v1, v6
	v_add_u32_e32 v6, v4, v7
	v_mul_lo_u32 v5, v3, s13
	v_mul_lo_u32 v3, v3, s12
	;; [unrolled: 1-line block ×4, first 2 shown]
	v_lshrrev_b32_e32 v6, s40, v6
	v_add3_u32 v1, v3, v2, v1
	v_mul_hi_u32 v3, s42, v6
	v_mul_lo_u32 v2, v6, s26
	v_add_u32_e32 v3, v6, v3
	v_sub_u32_e32 v2, v4, v2
	v_lshrrev_b32_e32 v4, s43, v3
	s_add_i32 s81, s81, 4
	v_mul_lo_u32 v3, v4, s41
	s_add_u32 s54, s54, 32
	v_sub_u32_e32 v3, v6, v3
	s_addc_u32 s55, s55, 0
	v_add3_u32 v0, v5, v0, v7
	v_mul_lo_u32 v5, v2, s16
	v_mul_lo_u32 v2, v2, s17
	;; [unrolled: 1-line block ×4, first 2 shown]
	s_cmp_eq_u32 s79, s81
	v_add3_u32 v0, v2, v0, v3
	v_add3_u32 v2, v5, v1, v6
	s_cbranch_scc0 .LBB321_826
; %bb.827:
	v_mov_b32_e32 v1, v0
	s_branch .LBB321_831
.LBB321_828:
	s_mov_b64 s[12:13], -1
                                        ; implicit-def: $vgpr0
                                        ; implicit-def: $vgpr2
	s_branch .LBB321_835
.LBB321_829:
	v_mov_b32_e32 v0, 0
	v_mov_b32_e32 v2, 0
	s_branch .LBB321_834
.LBB321_830:
	v_mov_b32_e32 v2, 0
	s_mov_b32 s79, 0
	v_mov_b32_e32 v1, v2
                                        ; implicit-def: $vgpr0
	s_waitcnt vmcnt(0)
	v_mov_b32_e32 v4, v10
.LBB321_831:
	s_and_b32 s16, s80, 3
	s_cmp_eq_u32 s16, 0
	s_cbranch_scc1 .LBB321_834
; %bb.832:
	s_lshl_b32 s12, s79, 3
	s_add_u32 s12, s34, s12
	s_addc_u32 s13, s35, 0
	s_add_u32 s12, s12, 0xc4
	s_addc_u32 s13, s13, 0
	s_mul_i32 s14, s79, 12
	s_add_u32 s14, s34, s14
	s_addc_u32 s15, s35, 0
.LBB321_833:                            ; =>This Inner Loop Header: Depth=1
	s_load_dwordx2 s[18:19], s[14:15], 0x4
	s_load_dword s17, s[14:15], 0xc
	s_load_dwordx2 s[20:21], s[12:13], 0x0
	v_mov_b32_e32 v0, v1
	s_add_u32 s14, s14, 12
	s_waitcnt lgkmcnt(0)
	v_mul_hi_u32 v1, s19, v4
	v_add_u32_e32 v1, v4, v1
	v_lshrrev_b32_e32 v1, s17, v1
	s_addc_u32 s15, s15, 0
	v_mul_lo_u32 v3, v1, s18
	s_add_u32 s12, s12, 8
	v_sub_u32_e32 v3, v4, v3
	s_addc_u32 s13, s13, 0
	s_add_i32 s16, s16, -1
	v_mov_b32_e32 v4, v1
	v_mad_u64_u32 v[0:1], s[18:19], v3, s21, v[0:1]
	s_cmp_lg_u32 s16, 0
	v_mad_u64_u32 v[2:3], s[18:19], v3, s20, v[2:3]
	v_mov_b32_e32 v1, v0
	s_cbranch_scc1 .LBB321_833
.LBB321_834:
	s_mov_b64 s[12:13], 0
.LBB321_835:
	s_andn2_b64 vcc, exec, s[12:13]
	s_cbranch_vccnz .LBB321_838
; %bb.836:
	v_mul_hi_u32 v0, s29, v10
	v_add_u32_e32 v0, v10, v0
	v_lshrrev_b32_e32 v1, s30, v0
	v_mul_lo_u32 v0, v1, s28
	v_sub_u32_e32 v2, v10, v0
	v_mul_lo_u32 v0, v2, s37
	s_andn2_b64 vcc, exec, s[52:53]
	v_mul_lo_u32 v2, v2, s36
	s_cbranch_vccnz .LBB321_838
; %bb.837:
	v_mul_hi_u32 v3, s50, v1
	v_add_u32_e32 v3, v1, v3
	v_lshrrev_b32_e32 v3, s51, v3
	v_mul_lo_u32 v3, v3, s31
	v_sub_u32_e32 v1, v1, v3
	v_mad_u64_u32 v[2:3], s[12:13], v1, s38, v[2:3]
	v_mad_u64_u32 v[0:1], s[12:13], v1, s39, v[0:1]
.LBB321_838:
	v_mov_b32_e32 v1, 0
	s_and_b32 s20, 0xffff, s78
	s_cmp_lt_i32 s20, 11
	v_lshl_add_u64 v[0:1], s[6:7], 0, v[0:1]
	s_cbranch_scc1 .LBB321_845
; %bb.839:
	s_cmp_gt_i32 s20, 25
	s_mov_b64 s[12:13], 0
	s_cbranch_scc0 .LBB321_846
; %bb.840:
	s_cmp_gt_i32 s20, 28
	s_cbranch_scc0 .LBB321_847
; %bb.841:
	s_cmp_gt_i32 s20, 43
	;; [unrolled: 3-line block ×3, first 2 shown]
	s_cbranch_scc0 .LBB321_851
; %bb.843:
	s_cmp_eq_u32 s20, 46
	s_mov_b64 s[16:17], 0
	s_cbranch_scc0 .LBB321_854
; %bb.844:
	global_load_dword v3, v[0:1], off
	s_mov_b64 s[6:7], 0
	s_mov_b64 s[14:15], -1
	s_waitcnt vmcnt(0)
	v_lshlrev_b32_e32 v3, 16, v3
	v_cvt_f64_f32_e32 v[6:7], v3
	s_branch .LBB321_855
.LBB321_845:
	s_mov_b64 s[18:19], -1
	s_mov_b64 s[14:15], 0
	s_mov_b64 s[12:13], 0
	;; [unrolled: 1-line block ×3, first 2 shown]
                                        ; implicit-def: $vgpr6_vgpr7
	s_branch .LBB321_918
.LBB321_846:
	s_mov_b64 s[16:17], -1
	s_mov_b64 s[14:15], 0
	s_mov_b64 s[6:7], s[2:3]
                                        ; implicit-def: $vgpr6_vgpr7
	s_branch .LBB321_886
.LBB321_847:
	s_mov_b64 s[16:17], -1
	s_mov_b64 s[14:15], 0
	s_mov_b64 s[6:7], s[2:3]
                                        ; implicit-def: $vgpr6_vgpr7
	s_branch .LBB321_865
.LBB321_848:
	s_mov_b64 s[16:17], -1
	s_mov_b64 s[14:15], 0
	s_mov_b64 s[6:7], s[2:3]
                                        ; implicit-def: $vgpr6_vgpr7
	s_branch .LBB321_860
.LBB321_849:
	s_andn2_saveexec_b64 s[18:19], s[18:19]
	s_cbranch_execz .LBB321_728
.LBB321_850:
	s_mov_b32 s22, 0x46000000
	v_add_f32_e64 v3, |v2|, s22
	v_and_b32_e32 v3, 0xff, v3
	v_cmp_ne_u32_e32 vcc, 0, v3
	s_andn2_b64 s[16:17], s[16:17], exec
	s_and_b64 s[22:23], vcc, exec
	s_or_b64 s[16:17], s[16:17], s[22:23]
	s_or_b64 exec, exec, s[18:19]
	v_mov_b32_e32 v6, 0
	s_and_saveexec_b64 s[18:19], s[16:17]
	s_cbranch_execnz .LBB321_729
	s_branch .LBB321_730
.LBB321_851:
	s_mov_b64 s[16:17], -1
	s_mov_b64 s[14:15], 0
	s_mov_b64 s[6:7], s[2:3]
                                        ; implicit-def: $vgpr6_vgpr7
	s_branch .LBB321_855
.LBB321_852:
	s_andn2_saveexec_b64 s[18:19], s[18:19]
	s_cbranch_execz .LBB321_741
.LBB321_853:
	s_mov_b32 s22, 0x42800000
	v_add_f32_e64 v3, |v2|, s22
	v_and_b32_e32 v3, 0xff, v3
	v_cmp_ne_u32_e32 vcc, 0, v3
	s_andn2_b64 s[16:17], s[16:17], exec
	s_and_b64 s[22:23], vcc, exec
	s_or_b64 s[16:17], s[16:17], s[22:23]
	s_or_b64 exec, exec, s[18:19]
	v_mov_b32_e32 v6, 0
	s_and_saveexec_b64 s[18:19], s[16:17]
	s_cbranch_execnz .LBB321_742
	s_branch .LBB321_743
.LBB321_854:
	s_mov_b64 s[6:7], -1
                                        ; implicit-def: $vgpr6_vgpr7
	s_mov_b64 s[14:15], 0
.LBB321_855:
	s_and_b64 vcc, exec, s[16:17]
	s_cbranch_vccz .LBB321_859
; %bb.856:
	s_cmp_eq_u32 s20, 44
	s_cbranch_scc0 .LBB321_858
; %bb.857:
	global_load_ubyte v3, v[0:1], off
	s_movk_i32 s14, 0xff
	v_bfrev_b32_e32 v6, 4
	v_mov_b32_e32 v7, 0x7ff80000
	v_bfrev_b32_e32 v8, 28
	s_mov_b64 s[6:7], 0
	s_waitcnt vmcnt(0)
	v_lshlrev_b32_e32 v4, 23, v3
	v_cvt_f64_f32_e32 v[4:5], v4
	v_cmp_ne_u32_e32 vcc, s14, v3
	s_mov_b64 s[14:15], -1
	s_nop 0
	v_cndmask_b32_e32 v4, v6, v4, vcc
	v_cndmask_b32_e32 v5, v7, v5, vcc
	v_cmp_ne_u32_e32 vcc, 0, v3
	s_nop 1
	v_cndmask_b32_e32 v7, v8, v5, vcc
	v_cndmask_b32_e32 v6, 0, v4, vcc
	s_branch .LBB321_859
.LBB321_858:
	s_mov_b64 s[6:7], -1
                                        ; implicit-def: $vgpr6_vgpr7
.LBB321_859:
	s_mov_b64 s[16:17], 0
.LBB321_860:
	s_and_b64 vcc, exec, s[16:17]
	s_cbranch_vccz .LBB321_864
; %bb.861:
	s_cmp_eq_u32 s20, 29
	s_cbranch_scc0 .LBB321_863
; %bb.862:
	global_load_dwordx2 v[4:5], v[0:1], off
	s_mov_b64 s[6:7], 0
	s_mov_b64 s[14:15], -1
	s_mov_b64 s[16:17], 0
	s_waitcnt vmcnt(0)
	v_cvt_f64_u32_e32 v[6:7], v5
	v_cvt_f64_u32_e32 v[4:5], v4
	v_ldexp_f64 v[6:7], v[6:7], 32
	v_add_f64 v[6:7], v[6:7], v[4:5]
	s_branch .LBB321_865
.LBB321_863:
	s_mov_b64 s[6:7], -1
                                        ; implicit-def: $vgpr6_vgpr7
.LBB321_864:
	s_mov_b64 s[16:17], 0
.LBB321_865:
	s_and_b64 vcc, exec, s[16:17]
	s_cbranch_vccz .LBB321_885
; %bb.866:
	s_cmp_lt_i32 s20, 27
	s_cbranch_scc1 .LBB321_869
; %bb.867:
	s_cmp_gt_i32 s20, 27
	s_cbranch_scc0 .LBB321_870
; %bb.868:
	global_load_dword v3, v[0:1], off
	s_mov_b64 s[14:15], 0
	s_waitcnt vmcnt(0)
	v_cvt_f64_u32_e32 v[6:7], v3
	s_branch .LBB321_871
.LBB321_869:
	s_mov_b64 s[14:15], -1
                                        ; implicit-def: $vgpr6_vgpr7
	s_branch .LBB321_874
.LBB321_870:
	s_mov_b64 s[14:15], -1
                                        ; implicit-def: $vgpr6_vgpr7
.LBB321_871:
	s_andn2_b64 vcc, exec, s[14:15]
	s_cbranch_vccnz .LBB321_873
; %bb.872:
	global_load_ushort v3, v[0:1], off
	s_waitcnt vmcnt(0)
	v_cvt_f64_u32_e32 v[6:7], v3
.LBB321_873:
	s_mov_b64 s[14:15], 0
.LBB321_874:
	s_andn2_b64 vcc, exec, s[14:15]
	s_cbranch_vccnz .LBB321_884
; %bb.875:
	global_load_ubyte v3, v[0:1], off
	s_movk_i32 s14, 0x7f
	s_waitcnt vmcnt(0)
	v_cmp_lt_i16_e32 vcc, s14, v3
	s_mov_b64 s[14:15], 0
	s_and_saveexec_b64 s[16:17], vcc
	s_xor_b64 s[16:17], exec, s[16:17]
	s_cbranch_execz .LBB321_879
; %bb.876:
	s_movk_i32 s14, 0x80
	v_cmp_eq_u16_e32 vcc, s14, v3
	s_mov_b64 s[14:15], -1
	s_and_saveexec_b64 s[18:19], vcc
; %bb.877:
	s_xor_b64 s[14:15], exec, -1
; %bb.878:
	s_or_b64 exec, exec, s[18:19]
	s_and_b64 s[14:15], s[14:15], exec
.LBB321_879:
	s_or_saveexec_b64 s[16:17], s[16:17]
	v_bfrev_b32_e32 v6, 4
	v_mov_b32_e32 v7, 0x7ff80000
	s_xor_b64 exec, exec, s[16:17]
; %bb.880:
	v_cmp_ne_u16_e32 vcc, 0, v3
	s_andn2_b64 s[14:15], s[14:15], exec
	s_and_b64 s[18:19], vcc, exec
	v_mov_b64_e32 v[6:7], 0
	s_or_b64 s[14:15], s[14:15], s[18:19]
; %bb.881:
	s_or_b64 exec, exec, s[16:17]
	s_and_saveexec_b64 s[16:17], s[14:15]
	s_cbranch_execz .LBB321_883
; %bb.882:
	v_lshlrev_b32_e32 v4, 24, v3
	v_and_b32_e32 v3, 0xffff, v3
	v_and_b32_e32 v5, 7, v3
	v_ffbh_u32_e32 v7, v5
	v_min_u32_e32 v7, 32, v7
	v_subrev_u32_e32 v8, 28, v7
	v_bfe_u32 v6, v3, 3, 4
	v_lshlrev_b32_e32 v3, v8, v3
	v_sub_u32_e32 v7, 29, v7
	v_and_b32_e32 v3, 7, v3
	v_cmp_eq_u32_e32 vcc, 0, v6
	v_and_b32_e32 v4, 0x80000000, v4
	s_nop 0
	v_cndmask_b32_e32 v6, v6, v7, vcc
	v_cndmask_b32_e32 v3, v5, v3, vcc
	v_mov_b32_e32 v5, 0x3b800000
	v_lshlrev_b32_e32 v3, 20, v3
	v_lshl_add_u32 v5, v6, 23, v5
	v_or3_b32 v3, v4, v5, v3
	v_cvt_f64_f32_e32 v[6:7], v3
.LBB321_883:
	s_or_b64 exec, exec, s[16:17]
.LBB321_884:
	s_mov_b64 s[14:15], -1
.LBB321_885:
	s_mov_b64 s[16:17], 0
.LBB321_886:
	s_and_b64 vcc, exec, s[16:17]
	s_cbranch_vccz .LBB321_917
; %bb.887:
	s_cmp_gt_i32 s20, 22
	s_cbranch_scc0 .LBB321_899
; %bb.888:
	s_cmp_lt_i32 s20, 24
	s_cbranch_scc1 .LBB321_900
; %bb.889:
	s_cmp_gt_i32 s20, 24
	s_cbranch_scc0 .LBB321_901
; %bb.890:
	global_load_ubyte v3, v[0:1], off
	s_movk_i32 s12, 0x7f
	s_waitcnt vmcnt(0)
	v_cmp_lt_i16_e32 vcc, s12, v3
	s_mov_b64 s[12:13], 0
	s_and_saveexec_b64 s[14:15], vcc
	s_xor_b64 s[14:15], exec, s[14:15]
	s_cbranch_execz .LBB321_894
; %bb.891:
	s_movk_i32 s12, 0x80
	v_cmp_eq_u16_e32 vcc, s12, v3
	s_mov_b64 s[12:13], -1
	s_and_saveexec_b64 s[16:17], vcc
; %bb.892:
	s_xor_b64 s[12:13], exec, -1
; %bb.893:
	s_or_b64 exec, exec, s[16:17]
	s_and_b64 s[12:13], s[12:13], exec
.LBB321_894:
	s_or_saveexec_b64 s[14:15], s[14:15]
	v_bfrev_b32_e32 v6, 4
	v_mov_b32_e32 v7, 0x7ff80000
	s_xor_b64 exec, exec, s[14:15]
; %bb.895:
	v_cmp_ne_u16_e32 vcc, 0, v3
	s_andn2_b64 s[12:13], s[12:13], exec
	s_and_b64 s[16:17], vcc, exec
	v_mov_b64_e32 v[6:7], 0
	s_or_b64 s[12:13], s[12:13], s[16:17]
; %bb.896:
	s_or_b64 exec, exec, s[14:15]
	s_and_saveexec_b64 s[14:15], s[12:13]
	s_cbranch_execz .LBB321_898
; %bb.897:
	v_lshlrev_b32_e32 v4, 24, v3
	v_and_b32_e32 v3, 0xffff, v3
	v_and_b32_e32 v5, 3, v3
	v_ffbh_u32_e32 v7, v5
	v_min_u32_e32 v7, 32, v7
	v_subrev_u32_e32 v8, 29, v7
	v_bfe_u32 v6, v3, 2, 5
	v_lshlrev_b32_e32 v3, v8, v3
	v_sub_u32_e32 v7, 30, v7
	v_and_b32_e32 v3, 3, v3
	v_cmp_eq_u32_e32 vcc, 0, v6
	v_and_b32_e32 v4, 0x80000000, v4
	s_nop 0
	v_cndmask_b32_e32 v6, v6, v7, vcc
	v_cndmask_b32_e32 v3, v5, v3, vcc
	v_mov_b32_e32 v5, 0x37800000
	v_lshlrev_b32_e32 v3, 21, v3
	v_lshl_add_u32 v5, v6, 23, v5
	v_or3_b32 v3, v4, v5, v3
	v_cvt_f64_f32_e32 v[6:7], v3
.LBB321_898:
	s_or_b64 exec, exec, s[14:15]
	s_mov_b64 s[12:13], 0
	s_branch .LBB321_902
.LBB321_899:
	s_mov_b64 s[12:13], -1
                                        ; implicit-def: $vgpr6_vgpr7
	s_branch .LBB321_908
.LBB321_900:
	s_mov_b64 s[12:13], -1
                                        ; implicit-def: $vgpr6_vgpr7
	s_branch .LBB321_905
.LBB321_901:
	s_mov_b64 s[12:13], -1
                                        ; implicit-def: $vgpr6_vgpr7
.LBB321_902:
	s_and_b64 vcc, exec, s[12:13]
	s_cbranch_vccz .LBB321_904
; %bb.903:
	global_load_ubyte v3, v[0:1], off
	s_mov_b32 s12, 0x7f800000
	s_waitcnt vmcnt(0)
	v_lshlrev_b32_e32 v3, 24, v3
	v_and_b32_e32 v4, 0x7f000000, v3
	v_ffbh_u32_e32 v5, v4
	v_min_u32_e32 v5, 32, v5
	v_sub_u32_e64 v5, v5, 4 clamp
	v_lshlrev_b32_e32 v7, v5, v4
	v_lshlrev_b32_e32 v5, 23, v5
	v_lshrrev_b32_e32 v7, 4, v7
	v_add_u32_e32 v6, 0x1000000, v4
	v_sub_u32_e32 v5, v7, v5
	v_ashrrev_i32_e32 v6, 8, v6
	v_add_u32_e32 v5, 0x3c000000, v5
	v_and_or_b32 v5, v6, s12, v5
	v_cmp_ne_u32_e32 vcc, 0, v4
	s_brev_b32 s12, 1
	s_nop 0
	v_cndmask_b32_e32 v4, 0, v5, vcc
	v_and_or_b32 v3, v3, s12, v4
	v_cvt_f64_f32_e32 v[6:7], v3
.LBB321_904:
	s_mov_b64 s[12:13], 0
.LBB321_905:
	s_andn2_b64 vcc, exec, s[12:13]
	s_cbranch_vccnz .LBB321_907
; %bb.906:
	global_load_ubyte v3, v[0:1], off
	s_movk_i32 s12, 0x7f00
	s_brev_b32 s13, 16
	s_waitcnt vmcnt(0)
	v_lshlrev_b16_e32 v4, 8, v3
	v_lshlrev_b32_e32 v3, 25, v3
	v_lshrrev_b32_e32 v5, 4, v3
	v_and_or_b32 v6, v4, s12, 0.5
	v_or_b32_e32 v5, 0x70000000, v5
	v_add_f32_e32 v6, -0.5, v6
	v_mul_f32_e32 v5, 0x7800000, v5
	v_cmp_gt_u32_e32 vcc, s13, v3
	v_bfe_i32 v4, v4, 0, 16
	s_brev_b32 s12, 1
	v_cndmask_b32_e32 v3, v5, v6, vcc
	v_and_or_b32 v3, v4, s12, v3
	v_cvt_f64_f32_e32 v[6:7], v3
.LBB321_907:
	s_mov_b64 s[12:13], 0
	s_mov_b64 s[14:15], -1
.LBB321_908:
	s_andn2_b64 vcc, exec, s[12:13]
	s_mov_b64 s[12:13], 0
	s_cbranch_vccnz .LBB321_917
; %bb.909:
	s_cmp_gt_i32 s20, 14
	s_cbranch_scc0 .LBB321_912
; %bb.910:
	s_cmp_eq_u32 s20, 15
	s_cbranch_scc0 .LBB321_913
; %bb.911:
	global_load_ushort v3, v[0:1], off
	s_mov_b64 s[6:7], 0
	s_mov_b64 s[14:15], -1
	s_waitcnt vmcnt(0)
	v_lshlrev_b32_e32 v3, 16, v3
	v_cvt_f64_f32_e32 v[6:7], v3
	s_branch .LBB321_914
.LBB321_912:
	s_mov_b64 s[16:17], -1
                                        ; implicit-def: $vgpr6_vgpr7
	s_branch .LBB321_915
.LBB321_913:
	s_mov_b64 s[6:7], -1
                                        ; implicit-def: $vgpr6_vgpr7
.LBB321_914:
	s_mov_b64 s[16:17], 0
.LBB321_915:
	s_and_b64 vcc, exec, s[16:17]
	s_cbranch_vccz .LBB321_917
; %bb.916:
	s_cmp_lg_u32 s20, 11
	s_cselect_b64 s[16:17], -1, 0
	s_andn2_b64 s[6:7], s[6:7], exec
	s_and_b64 s[16:17], s[16:17], exec
	s_mov_b64 s[12:13], -1
	s_or_b64 s[6:7], s[6:7], s[16:17]
.LBB321_917:
	s_mov_b64 s[18:19], 0
.LBB321_918:
	s_and_b64 s[16:17], s[14:15], exec
	s_and_b64 s[14:15], s[18:19], exec
	s_andn2_b64 s[18:19], s[2:3], exec
	s_and_b64 s[6:7], s[6:7], exec
	s_and_b64 s[12:13], s[12:13], exec
	s_or_b64 s[18:19], s[18:19], s[6:7]
.LBB321_919:
	s_or_b64 exec, exec, s[74:75]
	s_andn2_b64 s[2:3], s[2:3], exec
	s_and_b64 s[6:7], s[18:19], exec
	s_and_b64 s[16:17], s[16:17], exec
	;; [unrolled: 1-line block ×4, first 2 shown]
	s_or_b64 s[2:3], s[2:3], s[6:7]
.LBB321_920:
	s_or_b64 exec, exec, s[70:71]
	s_andn2_b64 s[6:7], s[66:67], exec
	s_and_b64 s[18:19], s[72:73], exec
	s_or_b64 s[66:67], s[6:7], s[18:19]
	s_andn2_b64 s[6:7], s[64:65], exec
	s_and_b64 s[2:3], s[2:3], exec
	s_and_b64 s[16:17], s[16:17], exec
	;; [unrolled: 1-line block ×4, first 2 shown]
	s_or_b64 s[64:65], s[6:7], s[2:3]
.LBB321_921:
	s_or_b64 exec, exec, s[68:69]
	s_andn2_b64 s[2:3], s[58:59], exec
	s_and_b64 s[6:7], s[66:67], exec
	s_or_b64 s[58:59], s[2:3], s[6:7]
	s_and_b64 s[66:67], s[12:13], exec
	s_andn2_b64 s[6:7], s[60:61], exec
	s_and_b64 s[12:13], s[64:65], exec
	s_and_b64 s[2:3], s[16:17], exec
	s_and_b64 s[14:15], s[14:15], exec
	s_or_b64 s[60:61], s[6:7], s[12:13]
	s_or_b64 exec, exec, s[62:63]
	s_mov_b64 s[6:7], 0
	s_and_saveexec_b64 s[12:13], s[60:61]
	s_cbranch_execz .LBB321_276
.LBB321_922:
	s_mov_b64 s[6:7], exec
	s_andn2_b64 s[66:67], s[66:67], exec
	s_trap 2
	s_or_b64 exec, exec, s[12:13]
	s_and_saveexec_b64 s[12:13], s[66:67]
	s_xor_b64 s[12:13], exec, s[12:13]
	s_cbranch_execnz .LBB321_277
.LBB321_923:
	s_or_b64 exec, exec, s[12:13]
	s_and_saveexec_b64 s[12:13], s[14:15]
	s_cbranch_execz .LBB321_969
.LBB321_924:
	s_sext_i32_i16 s14, s78
	s_cmp_lt_i32 s14, 5
	s_cbranch_scc1 .LBB321_929
; %bb.925:
	s_cmp_lt_i32 s14, 8
	s_cbranch_scc1 .LBB321_930
; %bb.926:
	s_cmp_lt_i32 s14, 9
	s_cbranch_scc1 .LBB321_931
; %bb.927:
	s_cmp_gt_i32 s14, 9
	s_cbranch_scc0 .LBB321_932
; %bb.928:
	global_load_dwordx2 v[6:7], v[0:1], off
	s_mov_b64 s[14:15], 0
	s_branch .LBB321_933
.LBB321_929:
                                        ; implicit-def: $vgpr6_vgpr7
	s_branch .LBB321_950
.LBB321_930:
                                        ; implicit-def: $vgpr6_vgpr7
	s_branch .LBB321_939
.LBB321_931:
	s_mov_b64 s[14:15], -1
                                        ; implicit-def: $vgpr6_vgpr7
	s_branch .LBB321_936
.LBB321_932:
	s_mov_b64 s[14:15], -1
                                        ; implicit-def: $vgpr6_vgpr7
.LBB321_933:
	s_andn2_b64 vcc, exec, s[14:15]
	s_cbranch_vccnz .LBB321_935
; %bb.934:
	global_load_dword v3, v[0:1], off
	s_waitcnt vmcnt(0)
	v_cvt_f64_f32_e32 v[6:7], v3
.LBB321_935:
	s_mov_b64 s[14:15], 0
.LBB321_936:
	s_andn2_b64 vcc, exec, s[14:15]
	s_cbranch_vccnz .LBB321_938
; %bb.937:
	global_load_dword v3, v[0:1], off
	s_waitcnt vmcnt(0)
	v_cvt_f32_f16_e32 v3, v3
	v_cvt_f64_f32_e32 v[6:7], v3
.LBB321_938:
	s_cbranch_execnz .LBB321_949
.LBB321_939:
	s_sext_i32_i16 s14, s78
	s_cmp_lt_i32 s14, 6
	s_cbranch_scc1 .LBB321_942
; %bb.940:
	s_cmp_gt_i32 s14, 6
	s_cbranch_scc0 .LBB321_943
; %bb.941:
	global_load_dwordx2 v[6:7], v[0:1], off
	s_mov_b64 s[14:15], 0
	s_branch .LBB321_944
.LBB321_942:
	s_mov_b64 s[14:15], -1
                                        ; implicit-def: $vgpr6_vgpr7
	s_branch .LBB321_947
.LBB321_943:
	s_mov_b64 s[14:15], -1
                                        ; implicit-def: $vgpr6_vgpr7
.LBB321_944:
	s_andn2_b64 vcc, exec, s[14:15]
	s_cbranch_vccnz .LBB321_946
; %bb.945:
	global_load_dword v3, v[0:1], off
	s_waitcnt vmcnt(0)
	v_cvt_f64_f32_e32 v[6:7], v3
.LBB321_946:
	s_mov_b64 s[14:15], 0
.LBB321_947:
	s_andn2_b64 vcc, exec, s[14:15]
	s_cbranch_vccnz .LBB321_949
; %bb.948:
	global_load_ushort v3, v[0:1], off
	s_waitcnt vmcnt(0)
	v_cvt_f32_f16_e32 v3, v3
	v_cvt_f64_f32_e32 v[6:7], v3
.LBB321_949:
	s_cbranch_execnz .LBB321_968
.LBB321_950:
	s_sext_i32_i16 s14, s78
	s_cmp_lt_i32 s14, 2
	s_cbranch_scc1 .LBB321_954
; %bb.951:
	s_cmp_lt_i32 s14, 3
	s_cbranch_scc1 .LBB321_955
; %bb.952:
	s_cmp_gt_i32 s14, 3
	s_cbranch_scc0 .LBB321_956
; %bb.953:
	global_load_dwordx2 v[4:5], v[0:1], off
	s_mov_b64 s[14:15], 0
	s_waitcnt vmcnt(0)
	v_cvt_f64_i32_e32 v[6:7], v5
	v_cvt_f64_u32_e32 v[4:5], v4
	v_ldexp_f64 v[6:7], v[6:7], 32
	v_add_f64 v[6:7], v[6:7], v[4:5]
	s_branch .LBB321_957
.LBB321_954:
                                        ; implicit-def: $vgpr6_vgpr7
	s_branch .LBB321_963
.LBB321_955:
	s_mov_b64 s[14:15], -1
                                        ; implicit-def: $vgpr6_vgpr7
	s_branch .LBB321_960
.LBB321_956:
	s_mov_b64 s[14:15], -1
                                        ; implicit-def: $vgpr6_vgpr7
.LBB321_957:
	s_andn2_b64 vcc, exec, s[14:15]
	s_cbranch_vccnz .LBB321_959
; %bb.958:
	global_load_dword v3, v[0:1], off
	s_waitcnt vmcnt(0)
	v_cvt_f64_i32_e32 v[6:7], v3
.LBB321_959:
	s_mov_b64 s[14:15], 0
.LBB321_960:
	s_andn2_b64 vcc, exec, s[14:15]
	s_cbranch_vccnz .LBB321_962
; %bb.961:
	global_load_sshort v3, v[0:1], off
	s_waitcnt vmcnt(0)
	v_cvt_f64_i32_e32 v[6:7], v3
.LBB321_962:
	s_cbranch_execnz .LBB321_968
.LBB321_963:
	s_sext_i32_i16 s14, s78
	s_cmp_gt_i32 s14, 0
	s_cbranch_scc0 .LBB321_965
; %bb.964:
	global_load_sbyte v3, v[0:1], off
	s_mov_b64 s[14:15], 0
	s_waitcnt vmcnt(0)
	v_cvt_f64_i32_e32 v[6:7], v3
	s_branch .LBB321_966
.LBB321_965:
	s_mov_b64 s[14:15], -1
                                        ; implicit-def: $vgpr6_vgpr7
.LBB321_966:
	s_andn2_b64 vcc, exec, s[14:15]
	s_cbranch_vccnz .LBB321_968
; %bb.967:
	global_load_ubyte v0, v[0:1], off
	s_waitcnt vmcnt(0)
	v_cvt_f64_u32_e32 v[6:7], v0
.LBB321_968:
	s_or_b64 s[2:3], s[2:3], exec
.LBB321_969:
	s_or_b64 exec, exec, s[12:13]
	s_mov_b64 s[16:17], 0
	s_mov_b64 s[14:15], 0
                                        ; implicit-def: $sgpr18
                                        ; implicit-def: $vgpr4_vgpr5
                                        ; implicit-def: $vgpr0_vgpr1
	s_and_saveexec_b64 s[12:13], s[2:3]
	s_cbranch_execz .LBB321_1044
; %bb.970:
	v_max_f64 v[0:1], s[8:9], s[8:9]
	s_waitcnt vmcnt(0)
	v_max_f64 v[4:5], v[6:7], v[6:7]
	v_max_f64 v[0:1], v[4:5], v[0:1]
	;; [unrolled: 1-line block ×3, first 2 shown]
	v_min_f64 v[0:1], v[0:1], v[4:5]
	v_cmp_u_f64_e32 vcc, v[6:7], v[6:7]
	v_mov_b32_e32 v3, 0
	s_and_b32 s18, s77, 0xff
	v_cndmask_b32_e32 v1, v1, v7, vcc
	v_cndmask_b32_e32 v0, v0, v6, vcc
	s_cmp_lt_i32 s18, 11
	v_lshl_add_u64 v[4:5], s[4:5], 0, v[2:3]
	s_cbranch_scc1 .LBB321_1047
; %bb.971:
	s_and_b32 s16, 0xffff, s18
	s_mov_b64 s[8:9], -1
	s_cmp_gt_i32 s16, 25
	s_mov_b64 s[2:3], s[58:59]
	s_cbranch_scc0 .LBB321_1004
; %bb.972:
	s_mov_b64 s[4:5], -1
	s_cmp_gt_i32 s16, 28
	s_mov_b64 s[2:3], s[58:59]
	s_cbranch_scc0 .LBB321_988
; %bb.973:
	s_cmp_gt_i32 s16, 43
	s_mov_b64 s[2:3], s[58:59]
	s_cbranch_scc0 .LBB321_984
; %bb.974:
	;; [unrolled: 4-line block ×3, first 2 shown]
	s_cmp_eq_u32 s16, 46
	s_mov_b64 s[2:3], -1
	s_cbranch_scc0 .LBB321_977
; %bb.976:
	v_cvt_f32_f64_e32 v2, v[0:1]
	v_bfe_u32 v3, v2, 16, 1
	s_movk_i32 s2, 0x7fff
	v_add3_u32 v3, v2, v3, s2
	v_cmp_o_f32_e32 vcc, v2, v2
	v_mov_b32_e32 v2, 0x7fc0
	s_mov_b64 s[2:3], 0
	v_cndmask_b32_sdwa v2, v2, v3, vcc dst_sel:DWORD dst_unused:UNUSED_PAD src0_sel:DWORD src1_sel:WORD_1
	global_store_dword v[4:5], v2, off
.LBB321_977:
	s_mov_b64 s[4:5], 0
.LBB321_978:
	s_and_b64 vcc, exec, s[4:5]
	s_cbranch_vccz .LBB321_983
; %bb.979:
	s_cmp_eq_u32 s16, 44
	s_mov_b64 s[2:3], -1
	s_cbranch_scc0 .LBB321_983
; %bb.980:
	v_cvt_f32_f64_e32 v2, v[0:1]
	v_bfe_u32 v3, v2, 23, 8
	s_movk_i32 s2, 0xff
	v_cmp_ne_u32_e32 vcc, s2, v3
	v_mov_b32_e32 v6, 0xff
	s_and_saveexec_b64 s[4:5], vcc
; %bb.981:
	s_mov_b32 s2, 0x3fffff
	v_lshrrev_b32_e32 v6, 23, v2
	v_and_b32_e32 v7, 0x400000, v2
	v_and_or_b32 v2, v2, s2, v3
	v_cmp_ne_u32_e32 vcc, 0, v7
	v_cmp_ne_u32_e64 s[2:3], 0, v2
	s_and_b64 s[2:3], vcc, s[2:3]
	s_nop 0
	v_cndmask_b32_e64 v2, 0, 1, s[2:3]
	v_add_u32_e32 v6, v6, v2
; %bb.982:
	s_or_b64 exec, exec, s[4:5]
	s_mov_b64 s[2:3], 0
	global_store_byte v[4:5], v6, off
.LBB321_983:
	s_mov_b64 s[4:5], 0
.LBB321_984:
	s_and_b64 vcc, exec, s[4:5]
	s_cbranch_vccz .LBB321_987
; %bb.985:
	s_cmp_eq_u32 s16, 29
	s_mov_b64 s[2:3], -1
	s_cbranch_scc0 .LBB321_987
; %bb.986:
	v_trunc_f64_e32 v[2:3], v[0:1]
	s_movk_i32 s2, 0xffe0
	v_ldexp_f64 v[6:7], v[2:3], s2
	v_floor_f64_e32 v[6:7], v[6:7]
	v_fmac_f64_e32 v[2:3], 0xc1f00000, v[6:7]
	v_cvt_u32_f64_e32 v9, v[6:7]
	v_cvt_u32_f64_e32 v8, v[2:3]
	global_store_dwordx2 v[4:5], v[8:9], off
	s_mov_b64 s[2:3], 0
.LBB321_987:
	s_mov_b64 s[4:5], 0
.LBB321_988:
	s_and_b64 vcc, exec, s[4:5]
	s_cbranch_vccz .LBB321_1003
; %bb.989:
	s_cmp_lt_i32 s16, 27
	s_mov_b64 s[4:5], -1
	s_cbranch_scc1 .LBB321_995
; %bb.990:
	s_cmp_gt_i32 s16, 27
	s_cbranch_scc0 .LBB321_992
; %bb.991:
	v_cvt_u32_f64_e32 v2, v[0:1]
	s_mov_b64 s[4:5], 0
	global_store_dword v[4:5], v2, off
.LBB321_992:
	s_andn2_b64 vcc, exec, s[4:5]
	s_cbranch_vccnz .LBB321_994
; %bb.993:
	v_cvt_u32_f64_e32 v2, v[0:1]
	global_store_short v[4:5], v2, off
.LBB321_994:
	s_mov_b64 s[4:5], 0
.LBB321_995:
	s_andn2_b64 vcc, exec, s[4:5]
	s_cbranch_vccnz .LBB321_1003
; %bb.996:
	v_cvt_f32_f64_e32 v2, v[0:1]
	v_and_b32_e32 v3, 0x7fffffff, v2
	s_mov_b32 s4, 0x43800000
	v_cmp_gt_u32_e32 vcc, s4, v3
	v_mov_b32_e32 v6, 0x80
	s_and_saveexec_b64 s[4:5], vcc
	s_cbranch_execz .LBB321_1002
; %bb.997:
	s_mov_b32 s8, 0x3bffffff
	v_cmp_lt_u32_e32 vcc, s8, v3
	s_mov_b64 s[8:9], 0
                                        ; implicit-def: $vgpr3
	s_and_saveexec_b64 s[10:11], vcc
	s_xor_b64 s[10:11], exec, s[10:11]
	s_cbranch_execz .LBB321_1160
; %bb.998:
	v_bfe_u32 v3, v2, 20, 1
	s_mov_b32 s14, 0x487ffff
	v_add3_u32 v3, v2, v3, s14
	s_mov_b64 s[8:9], exec
	v_lshrrev_b32_e32 v3, 20, v3
	s_andn2_saveexec_b64 s[10:11], s[10:11]
	s_cbranch_execnz .LBB321_1161
.LBB321_999:
	s_or_b64 exec, exec, s[10:11]
	v_mov_b32_e32 v6, 0
	s_and_saveexec_b64 s[10:11], s[8:9]
.LBB321_1000:
	v_lshrrev_b32_e32 v2, 24, v2
	s_movk_i32 s8, 0x80
	v_and_or_b32 v6, v2, s8, v3
.LBB321_1001:
	s_or_b64 exec, exec, s[10:11]
.LBB321_1002:
	s_or_b64 exec, exec, s[4:5]
	global_store_byte v[4:5], v6, off
.LBB321_1003:
	s_mov_b64 s[8:9], 0
.LBB321_1004:
	s_mov_b64 s[4:5], 0
	s_and_b64 vcc, exec, s[8:9]
	s_cbranch_vccz .LBB321_1048
; %bb.1005:
	s_cmp_gt_i32 s16, 22
	s_mov_b64 s[8:9], -1
	s_cbranch_scc0 .LBB321_1037
; %bb.1006:
	s_cmp_lt_i32 s16, 24
	s_cbranch_scc1 .LBB321_1026
; %bb.1007:
	s_cmp_gt_i32 s16, 24
	s_cbranch_scc0 .LBB321_1015
; %bb.1008:
	v_cvt_f32_f64_e32 v2, v[0:1]
	v_and_b32_e32 v3, 0x7fffffff, v2
	s_mov_b32 s8, 0x47800000
	v_cmp_gt_u32_e32 vcc, s8, v3
	v_mov_b32_e32 v6, 0x80
	s_and_saveexec_b64 s[8:9], vcc
	s_cbranch_execz .LBB321_1014
; %bb.1009:
	s_mov_b32 s10, 0x37ffffff
	v_cmp_lt_u32_e32 vcc, s10, v3
	s_mov_b64 s[10:11], 0
                                        ; implicit-def: $vgpr3
	s_and_saveexec_b64 s[14:15], vcc
	s_xor_b64 s[14:15], exec, s[14:15]
	s_cbranch_execz .LBB321_1285
; %bb.1010:
	v_bfe_u32 v3, v2, 21, 1
	s_mov_b32 s17, 0x88fffff
	v_add3_u32 v3, v2, v3, s17
	s_mov_b64 s[10:11], exec
	v_lshrrev_b32_e32 v3, 21, v3
	s_andn2_saveexec_b64 s[14:15], s[14:15]
	s_cbranch_execnz .LBB321_1286
.LBB321_1011:
	s_or_b64 exec, exec, s[14:15]
	v_mov_b32_e32 v6, 0
	s_and_saveexec_b64 s[14:15], s[10:11]
.LBB321_1012:
	v_lshrrev_b32_e32 v2, 24, v2
	s_movk_i32 s10, 0x80
	v_and_or_b32 v6, v2, s10, v3
.LBB321_1013:
	s_or_b64 exec, exec, s[14:15]
.LBB321_1014:
	s_or_b64 exec, exec, s[8:9]
	s_mov_b64 s[8:9], 0
	global_store_byte v[4:5], v6, off
.LBB321_1015:
	s_and_b64 vcc, exec, s[8:9]
	s_cbranch_vccz .LBB321_1025
; %bb.1016:
	v_cvt_f32_f64_e32 v2, v[0:1]
	v_and_b32_e32 v6, 0x7fffffff, v2
	s_mov_b32 s8, 0x43f00000
	v_cmp_gt_u32_e32 vcc, s8, v6
                                        ; implicit-def: $vgpr3
	s_and_saveexec_b64 s[8:9], vcc
	s_xor_b64 s[8:9], exec, s[8:9]
	s_cbranch_execz .LBB321_1022
; %bb.1017:
	s_mov_b32 s10, 0x3c7fffff
	v_cmp_lt_u32_e32 vcc, s10, v6
                                        ; implicit-def: $vgpr3
	s_and_saveexec_b64 s[10:11], vcc
	s_xor_b64 s[10:11], exec, s[10:11]
; %bb.1018:
	v_bfe_u32 v3, v2, 20, 1
	s_mov_b32 s14, 0x407ffff
	v_add3_u32 v3, v2, v3, s14
	v_lshrrev_b32_e32 v6, 20, v3
	v_and_b32_e32 v3, 0xff00000, v3
	s_mov_b32 s14, 0x7f00000
	v_mov_b32_e32 v7, 0x7e
	v_cmp_ne_u32_e32 vcc, s14, v3
	s_nop 1
	v_cndmask_b32_e32 v3, v7, v6, vcc
; %bb.1019:
	s_andn2_saveexec_b64 s[10:11], s[10:11]
; %bb.1020:
	s_mov_b32 s14, 0x46800000
	v_add_f32_e64 v3, |v2|, s14
; %bb.1021:
	s_or_b64 exec, exec, s[10:11]
                                        ; implicit-def: $vgpr6
.LBB321_1022:
	s_andn2_saveexec_b64 s[8:9], s[8:9]
; %bb.1023:
	s_mov_b32 s10, 0x7f800000
	v_mov_b32_e32 v3, 0x7e
	v_mov_b32_e32 v7, 0x7f
	v_cmp_lt_u32_e32 vcc, s10, v6
	s_nop 1
	v_cndmask_b32_e32 v3, v3, v7, vcc
; %bb.1024:
	s_or_b64 exec, exec, s[8:9]
	v_lshrrev_b32_e32 v2, 24, v2
	s_movk_i32 s8, 0x80
	v_and_or_b32 v2, v2, s8, v3
	global_store_byte v[4:5], v2, off
.LBB321_1025:
	s_mov_b64 s[8:9], 0
.LBB321_1026:
	s_andn2_b64 vcc, exec, s[8:9]
	s_cbranch_vccnz .LBB321_1036
; %bb.1027:
	v_cvt_f32_f64_e32 v2, v[0:1]
	v_and_b32_e32 v6, 0x7fffffff, v2
	s_mov_b32 s8, 0x47800000
	v_cmp_gt_u32_e32 vcc, s8, v6
                                        ; implicit-def: $vgpr3
	s_and_saveexec_b64 s[8:9], vcc
	s_xor_b64 s[8:9], exec, s[8:9]
	s_cbranch_execz .LBB321_1033
; %bb.1028:
	s_mov_b32 s10, 0x387fffff
	v_cmp_lt_u32_e32 vcc, s10, v6
                                        ; implicit-def: $vgpr3
	s_and_saveexec_b64 s[10:11], vcc
	s_xor_b64 s[10:11], exec, s[10:11]
; %bb.1029:
	v_bfe_u32 v3, v2, 21, 1
	s_mov_b32 s14, 0x80fffff
	v_add3_u32 v3, v2, v3, s14
	v_lshrrev_b32_e32 v3, 21, v3
; %bb.1030:
	s_andn2_saveexec_b64 s[10:11], s[10:11]
; %bb.1031:
	s_mov_b32 s14, 0x43000000
	v_add_f32_e64 v3, |v2|, s14
; %bb.1032:
	s_or_b64 exec, exec, s[10:11]
                                        ; implicit-def: $vgpr6
.LBB321_1033:
	s_andn2_saveexec_b64 s[8:9], s[8:9]
; %bb.1034:
	s_mov_b32 s10, 0x7f800000
	v_mov_b32_e32 v3, 0x7c
	v_mov_b32_e32 v7, 0x7f
	v_cmp_lt_u32_e32 vcc, s10, v6
	s_nop 1
	v_cndmask_b32_e32 v3, v3, v7, vcc
; %bb.1035:
	s_or_b64 exec, exec, s[8:9]
	v_lshrrev_b32_e32 v2, 24, v2
	s_movk_i32 s8, 0x80
	v_and_or_b32 v2, v2, s8, v3
	global_store_byte v[4:5], v2, off
.LBB321_1036:
	s_mov_b64 s[8:9], 0
.LBB321_1037:
	s_andn2_b64 vcc, exec, s[8:9]
	s_mov_b64 s[8:9], 0
	s_cbranch_vccnz .LBB321_1049
; %bb.1038:
	s_cmp_gt_i32 s16, 14
	s_mov_b64 s[10:11], -1
	s_cbranch_scc0 .LBB321_1042
; %bb.1039:
	s_cmp_eq_u32 s16, 15
	s_mov_b64 s[2:3], -1
	s_cbranch_scc0 .LBB321_1041
; %bb.1040:
	v_cvt_f32_f64_e32 v2, v[0:1]
	v_bfe_u32 v3, v2, 16, 1
	s_movk_i32 s2, 0x7fff
	v_add3_u32 v3, v2, v3, s2
	v_cmp_o_f32_e32 vcc, v2, v2
	v_mov_b32_e32 v2, 0x7fc0
	s_mov_b64 s[2:3], 0
	v_cndmask_b32_sdwa v2, v2, v3, vcc dst_sel:DWORD dst_unused:UNUSED_PAD src0_sel:DWORD src1_sel:WORD_1
	global_store_short v[4:5], v2, off
.LBB321_1041:
	s_mov_b64 s[10:11], 0
.LBB321_1042:
	s_and_b64 vcc, exec, s[10:11]
	s_cbranch_vccz .LBB321_1049
; %bb.1043:
	s_cmp_lg_u32 s16, 11
	s_cselect_b64 s[10:11], -1, 0
	s_andn2_b64 s[2:3], s[2:3], exec
	s_and_b64 s[10:11], s[10:11], exec
	s_mov_b64 s[8:9], -1
	s_or_b64 s[2:3], s[2:3], s[10:11]
	s_branch .LBB321_1049
.LBB321_1044:
	s_or_b64 exec, exec, s[12:13]
	s_and_saveexec_b64 s[2:3], s[58:59]
	s_cbranch_execnz .LBB321_1050
.LBB321_1045:
	s_or_b64 exec, exec, s[2:3]
	s_and_saveexec_b64 s[2:3], s[16:17]
	s_xor_b64 s[2:3], exec, s[2:3]
	s_cbranch_execz .LBB321_1051
.LBB321_1046:
	v_cmp_neq_f64_e32 vcc, 0, v[0:1]
	s_nop 1
	v_cndmask_b32_e64 v2, 0, 1, vcc
	s_waitcnt vmcnt(0)
	global_store_byte v[4:5], v2, off
	s_or_b64 exec, exec, s[2:3]
	s_and_saveexec_b64 s[2:3], s[14:15]
	s_xor_b64 s[2:3], exec, s[2:3]
	s_cbranch_execz .LBB321_1089
	s_branch .LBB321_1052
.LBB321_1047:
	s_mov_b64 s[8:9], 0
	s_mov_b64 s[4:5], -1
	s_mov_b64 s[2:3], s[58:59]
	s_branch .LBB321_1049
.LBB321_1048:
	s_mov_b64 s[8:9], 0
.LBB321_1049:
	s_and_b64 s[14:15], s[4:5], exec
	s_andn2_b64 s[4:5], s[58:59], exec
	s_and_b64 s[2:3], s[2:3], exec
	s_and_b64 s[16:17], s[8:9], exec
	s_or_b64 s[58:59], s[4:5], s[2:3]
	s_or_b64 exec, exec, s[12:13]
	s_and_saveexec_b64 s[2:3], s[58:59]
	s_cbranch_execz .LBB321_1045
.LBB321_1050:
	s_or_b64 s[6:7], s[6:7], exec
	s_andn2_b64 s[16:17], s[16:17], exec
	s_trap 2
	s_or_b64 exec, exec, s[2:3]
	s_and_saveexec_b64 s[2:3], s[16:17]
	s_xor_b64 s[2:3], exec, s[2:3]
	s_cbranch_execnz .LBB321_1046
.LBB321_1051:
	s_or_b64 exec, exec, s[2:3]
	s_and_saveexec_b64 s[2:3], s[14:15]
	s_xor_b64 s[2:3], exec, s[2:3]
	s_cbranch_execz .LBB321_1089
.LBB321_1052:
	s_sext_i32_i16 s8, s18
	s_cmp_lt_i32 s8, 5
	s_mov_b64 s[4:5], -1
	s_cbranch_scc1 .LBB321_1073
; %bb.1053:
	s_cmp_lt_i32 s8, 8
	s_cbranch_scc1 .LBB321_1063
; %bb.1054:
	s_cmp_lt_i32 s8, 9
	s_cbranch_scc1 .LBB321_1060
; %bb.1055:
	s_cmp_gt_i32 s8, 9
	s_cbranch_scc0 .LBB321_1057
; %bb.1056:
	v_mov_b32_e32 v2, 0
	v_mov_b32_e32 v3, v2
	s_mov_b64 s[4:5], 0
	s_waitcnt vmcnt(0)
	global_store_dwordx4 v[4:5], v[0:3], off
.LBB321_1057:
	s_andn2_b64 vcc, exec, s[4:5]
	s_cbranch_vccnz .LBB321_1059
; %bb.1058:
	v_cvt_f32_f64_e32 v2, v[0:1]
	v_mov_b32_e32 v3, 0
	s_waitcnt vmcnt(0)
	global_store_dwordx2 v[4:5], v[2:3], off
.LBB321_1059:
	s_mov_b64 s[4:5], 0
.LBB321_1060:
	s_andn2_b64 vcc, exec, s[4:5]
	s_cbranch_vccnz .LBB321_1062
; %bb.1061:
	s_movk_i32 s4, 0x1ff
	v_and_or_b32 v2, v1, s4, v0
	v_cmp_ne_u32_e32 vcc, 0, v2
	v_lshrrev_b32_e32 v3, 8, v1
	s_movk_i32 s4, 0xffe
	v_cndmask_b32_e64 v2, 0, 1, vcc
	s_waitcnt vmcnt(0)
	v_bfe_u32 v6, v1, 20, 11
	v_and_or_b32 v2, v3, s4, v2
	v_sub_u32_e32 v7, 0x3f1, v6
	v_or_b32_e32 v3, 0x1000, v2
	v_med3_i32 v7, v7, 0, 13
	v_lshrrev_b32_e32 v8, v7, v3
	v_lshlrev_b32_e32 v7, v7, v8
	v_cmp_ne_u32_e32 vcc, v7, v3
	v_add_u32_e32 v6, 0xfffffc10, v6
	v_lshl_or_b32 v7, v6, 12, v2
	v_cndmask_b32_e64 v3, 0, 1, vcc
	v_or_b32_e32 v3, v8, v3
	v_cmp_gt_i32_e32 vcc, 1, v6
	s_movk_i32 s4, 0x40f
	s_nop 0
	v_cndmask_b32_e32 v3, v7, v3, vcc
	v_and_b32_e32 v7, 7, v3
	v_cmp_lt_i32_e32 vcc, 5, v7
	v_lshrrev_b32_e32 v3, 2, v3
	s_nop 0
	v_cndmask_b32_e64 v8, 0, 1, vcc
	v_cmp_eq_u32_e32 vcc, 3, v7
	s_nop 1
	v_cndmask_b32_e64 v7, 0, 1, vcc
	v_or_b32_e32 v7, v7, v8
	v_add_u32_e32 v3, v3, v7
	v_mov_b32_e32 v7, 0x7c00
	v_cmp_gt_i32_e32 vcc, 31, v6
	v_mov_b32_e32 v8, 0x7e00
	s_nop 0
	v_cndmask_b32_e32 v3, v7, v3, vcc
	v_cmp_ne_u32_e32 vcc, 0, v2
	s_nop 1
	v_cndmask_b32_e32 v2, v7, v8, vcc
	v_cmp_eq_u32_e32 vcc, s4, v6
	s_mov_b32 s4, 0x8000
	s_nop 0
	v_cndmask_b32_e32 v2, v3, v2, vcc
	v_and_b32_sdwa v3, v1, s4 dst_sel:DWORD dst_unused:UNUSED_PAD src0_sel:WORD_1 src1_sel:DWORD
	s_mov_b32 s4, 0xffff
	v_bitop3_b32 v2, v3, s4, v2 bitop3:0xc8
	global_store_dword v[4:5], v2, off
.LBB321_1062:
	s_mov_b64 s[4:5], 0
.LBB321_1063:
	s_andn2_b64 vcc, exec, s[4:5]
	s_cbranch_vccnz .LBB321_1072
; %bb.1064:
	s_sext_i32_i16 s8, s18
	s_cmp_lt_i32 s8, 6
	s_mov_b64 s[4:5], -1
	s_cbranch_scc1 .LBB321_1070
; %bb.1065:
	s_cmp_gt_i32 s8, 6
	s_cbranch_scc0 .LBB321_1067
; %bb.1066:
	s_mov_b64 s[4:5], 0
	s_waitcnt vmcnt(0)
	global_store_dwordx2 v[4:5], v[0:1], off
.LBB321_1067:
	s_andn2_b64 vcc, exec, s[4:5]
	s_cbranch_vccnz .LBB321_1069
; %bb.1068:
	v_cvt_f32_f64_e32 v2, v[0:1]
	s_waitcnt vmcnt(0)
	global_store_dword v[4:5], v2, off
.LBB321_1069:
	s_mov_b64 s[4:5], 0
.LBB321_1070:
	s_andn2_b64 vcc, exec, s[4:5]
	s_cbranch_vccnz .LBB321_1072
; %bb.1071:
	s_movk_i32 s4, 0x1ff
	v_and_or_b32 v2, v1, s4, v0
	v_cmp_ne_u32_e32 vcc, 0, v2
	v_lshrrev_b32_e32 v3, 8, v1
	s_movk_i32 s4, 0xffe
	v_cndmask_b32_e64 v2, 0, 1, vcc
	s_waitcnt vmcnt(0)
	v_bfe_u32 v6, v1, 20, 11
	v_and_or_b32 v2, v3, s4, v2
	v_sub_u32_e32 v7, 0x3f1, v6
	v_or_b32_e32 v3, 0x1000, v2
	v_med3_i32 v7, v7, 0, 13
	v_lshrrev_b32_e32 v8, v7, v3
	v_lshlrev_b32_e32 v7, v7, v8
	v_cmp_ne_u32_e32 vcc, v7, v3
	v_add_u32_e32 v6, 0xfffffc10, v6
	v_lshl_or_b32 v7, v6, 12, v2
	v_cndmask_b32_e64 v3, 0, 1, vcc
	v_or_b32_e32 v3, v8, v3
	v_cmp_gt_i32_e32 vcc, 1, v6
	s_movk_i32 s4, 0x40f
	s_nop 0
	v_cndmask_b32_e32 v3, v7, v3, vcc
	v_and_b32_e32 v7, 7, v3
	v_cmp_lt_i32_e32 vcc, 5, v7
	v_lshrrev_b32_e32 v3, 2, v3
	s_nop 0
	v_cndmask_b32_e64 v8, 0, 1, vcc
	v_cmp_eq_u32_e32 vcc, 3, v7
	s_nop 1
	v_cndmask_b32_e64 v7, 0, 1, vcc
	v_or_b32_e32 v7, v7, v8
	v_add_u32_e32 v3, v3, v7
	v_mov_b32_e32 v7, 0x7c00
	v_cmp_gt_i32_e32 vcc, 31, v6
	v_mov_b32_e32 v8, 0x7e00
	s_nop 0
	v_cndmask_b32_e32 v3, v7, v3, vcc
	v_cmp_ne_u32_e32 vcc, 0, v2
	s_nop 1
	v_cndmask_b32_e32 v2, v7, v8, vcc
	v_cmp_eq_u32_e32 vcc, s4, v6
	s_mov_b32 s4, 0x8000
	s_nop 0
	v_cndmask_b32_e32 v2, v3, v2, vcc
	v_lshrrev_b32_e32 v3, 16, v1
	v_and_or_b32 v2, v3, s4, v2
	global_store_short v[4:5], v2, off
.LBB321_1072:
	s_mov_b64 s[4:5], 0
.LBB321_1073:
	s_andn2_b64 vcc, exec, s[4:5]
	s_cbranch_vccnz .LBB321_1089
; %bb.1074:
	s_sext_i32_i16 s8, s18
	s_cmp_lt_i32 s8, 2
	s_mov_b64 s[4:5], -1
	s_cbranch_scc1 .LBB321_1084
; %bb.1075:
	s_cmp_lt_i32 s8, 3
	s_cbranch_scc1 .LBB321_1081
; %bb.1076:
	s_cmp_gt_i32 s8, 3
	s_cbranch_scc0 .LBB321_1078
; %bb.1077:
	v_trunc_f64_e32 v[2:3], v[0:1]
	s_movk_i32 s4, 0xffe0
	s_waitcnt vmcnt(0)
	v_ldexp_f64 v[6:7], v[2:3], s4
	v_floor_f64_e32 v[6:7], v[6:7]
	v_fmac_f64_e32 v[2:3], 0xc1f00000, v[6:7]
	v_cvt_i32_f64_e32 v9, v[6:7]
	v_cvt_u32_f64_e32 v8, v[2:3]
	s_mov_b64 s[4:5], 0
	global_store_dwordx2 v[4:5], v[8:9], off
.LBB321_1078:
	s_andn2_b64 vcc, exec, s[4:5]
	s_cbranch_vccnz .LBB321_1080
; %bb.1079:
	v_cvt_i32_f64_e32 v2, v[0:1]
	s_waitcnt vmcnt(0)
	global_store_dword v[4:5], v2, off
.LBB321_1080:
	s_mov_b64 s[4:5], 0
.LBB321_1081:
	s_andn2_b64 vcc, exec, s[4:5]
	s_cbranch_vccnz .LBB321_1083
; %bb.1082:
	v_cvt_i32_f64_e32 v2, v[0:1]
	s_waitcnt vmcnt(0)
	global_store_short v[4:5], v2, off
.LBB321_1083:
	s_mov_b64 s[4:5], 0
.LBB321_1084:
	s_andn2_b64 vcc, exec, s[4:5]
	s_cbranch_vccnz .LBB321_1089
; %bb.1085:
	s_sext_i32_i16 s4, s18
	s_cmp_gt_i32 s4, 0
	s_mov_b64 s[4:5], -1
	s_cbranch_scc0 .LBB321_1087
; %bb.1086:
	v_cvt_i32_f64_e32 v2, v[0:1]
	s_mov_b64 s[4:5], 0
	s_waitcnt vmcnt(0)
	global_store_byte v[4:5], v2, off
.LBB321_1087:
	s_andn2_b64 vcc, exec, s[4:5]
	s_cbranch_vccnz .LBB321_1089
; %bb.1088:
	v_trunc_f64_e32 v[0:1], v[0:1]
	s_movk_i32 s4, 0xffe0
	v_ldexp_f64 v[2:3], v[0:1], s4
	v_floor_f64_e32 v[2:3], v[2:3]
	v_fmac_f64_e32 v[0:1], 0xc1f00000, v[2:3]
	v_cvt_u32_f64_e32 v0, v[0:1]
	s_waitcnt vmcnt(0)
	global_store_byte v[4:5], v0, off
.LBB321_1089:
	s_or_b64 exec, exec, s[2:3]
	s_and_b64 s[24:25], s[6:7], exec
                                        ; implicit-def: $vgpr16
                                        ; implicit-def: $vgpr10
.LBB321_1090:
	s_or_saveexec_b64 s[26:27], s[48:49]
	s_mov_b64 s[6:7], 0
                                        ; implicit-def: $vgpr4_vgpr5
                                        ; implicit-def: $sgpr14
                                        ; implicit-def: $vgpr0_vgpr1
	s_xor_b64 exec, exec, s[26:27]
	s_cbranch_execz .LBB321_2094
; %bb.1091:
	v_cndmask_b32_e64 v0, 0, 1, s[46:47]
	v_cmp_ne_u32_e64 s[2:3], 1, v0
	s_andn2_b64 vcc, exec, s[46:47]
	s_cbranch_vccnz .LBB321_1097
; %bb.1092:
	s_cmp_lg_u32 s33, 0
	s_mov_b32 s36, 0
	s_cbranch_scc0 .LBB321_1098
; %bb.1093:
	s_min_u32 s37, s76, 15
	s_add_i32 s37, s37, 1
	s_cmp_eq_u32 s76, 2
	s_cbranch_scc1 .LBB321_1099
; %bb.1094:
	s_and_b32 s36, s37, 28
	s_add_u32 s28, s34, 0xc4
	s_addc_u32 s29, s35, 0
	s_mov_b32 s38, 0
	v_mov_b32_e32 v2, 0
	v_mov_b32_e32 v0, 0
	s_mov_b64 s[30:31], s[34:35]
	s_waitcnt vmcnt(0)
	v_mov_b32_e32 v4, v10
.LBB321_1095:                           ; =>This Inner Loop Header: Depth=1
	s_load_dwordx8 s[12:19], s[30:31], 0x4
	s_load_dwordx4 s[20:23], s[30:31], 0x24
	s_load_dwordx8 s[4:11], s[28:29], 0x0
	s_add_u32 s30, s30, 48
	s_addc_u32 s31, s31, 0
	s_waitcnt lgkmcnt(0)
	v_mul_hi_u32 v1, s13, v4
	v_add_u32_e32 v1, v4, v1
	v_lshrrev_b32_e32 v1, s14, v1
	v_mul_lo_u32 v3, v1, s12
	v_mul_hi_u32 v5, s16, v1
	v_sub_u32_e32 v3, v4, v3
	v_add_u32_e32 v4, v1, v5
	v_lshrrev_b32_e32 v4, s17, v4
	v_mul_lo_u32 v6, v4, s15
	v_mul_hi_u32 v7, s19, v4
	v_sub_u32_e32 v1, v1, v6
	v_add_u32_e32 v6, v4, v7
	v_mul_lo_u32 v5, v3, s5
	v_mul_lo_u32 v3, v3, s4
	;; [unrolled: 1-line block ×4, first 2 shown]
	v_lshrrev_b32_e32 v6, s20, v6
	v_add3_u32 v1, v3, v2, v1
	v_mul_hi_u32 v3, s22, v6
	v_mul_lo_u32 v2, v6, s18
	v_add_u32_e32 v3, v6, v3
	v_sub_u32_e32 v2, v4, v2
	v_lshrrev_b32_e32 v4, s23, v3
	s_add_i32 s38, s38, 4
	v_mul_lo_u32 v3, v4, s21
	s_add_u32 s28, s28, 32
	v_sub_u32_e32 v3, v6, v3
	s_addc_u32 s29, s29, 0
	v_add3_u32 v0, v5, v0, v7
	v_mul_lo_u32 v5, v2, s8
	v_mul_lo_u32 v2, v2, s9
	v_mul_lo_u32 v6, v3, s10
	v_mul_lo_u32 v3, v3, s11
	s_cmp_lg_u32 s36, s38
	v_add3_u32 v0, v2, v0, v3
	v_add3_u32 v2, v5, v1, v6
	s_cbranch_scc1 .LBB321_1095
; %bb.1096:
	v_mov_b32_e32 v1, v0
	s_and_b32 s8, s37, 3
	s_cmp_eq_u32 s8, 0
	s_cbranch_scc0 .LBB321_1100
	s_branch .LBB321_1102
.LBB321_1097:
                                        ; implicit-def: $vgpr0
                                        ; implicit-def: $vgpr2
	s_branch .LBB321_1103
.LBB321_1098:
	v_mov_b32_e32 v0, 0
	v_mov_b32_e32 v2, 0
	s_branch .LBB321_1102
.LBB321_1099:
	v_mov_b32_e32 v2, 0
                                        ; implicit-def: $vgpr0
	v_mov_b32_e32 v1, v2
	s_waitcnt vmcnt(0)
	v_mov_b32_e32 v4, v10
	s_and_b32 s8, s37, 3
	s_cmp_eq_u32 s8, 0
	s_cbranch_scc1 .LBB321_1102
.LBB321_1100:
	s_lshl_b32 s4, s36, 3
	s_add_u32 s4, s34, s4
	s_addc_u32 s5, s35, 0
	s_add_u32 s4, s4, 0xc4
	s_addc_u32 s5, s5, 0
	s_mul_i32 s6, s36, 12
	s_add_u32 s6, s34, s6
	s_addc_u32 s7, s35, 0
.LBB321_1101:                           ; =>This Inner Loop Header: Depth=1
	s_load_dwordx2 s[10:11], s[6:7], 0x4
	s_load_dword s9, s[6:7], 0xc
	s_load_dwordx2 s[12:13], s[4:5], 0x0
	v_mov_b32_e32 v0, v1
	s_add_u32 s6, s6, 12
	s_waitcnt lgkmcnt(0)
	v_mul_hi_u32 v1, s11, v4
	v_add_u32_e32 v1, v4, v1
	v_lshrrev_b32_e32 v1, s9, v1
	s_addc_u32 s7, s7, 0
	v_mul_lo_u32 v3, v1, s10
	s_add_u32 s4, s4, 8
	v_sub_u32_e32 v3, v4, v3
	s_addc_u32 s5, s5, 0
	s_add_i32 s8, s8, -1
	v_mov_b32_e32 v4, v1
	v_mad_u64_u32 v[0:1], s[10:11], v3, s13, v[0:1]
	s_cmp_lg_u32 s8, 0
	v_mad_u64_u32 v[2:3], s[10:11], v3, s12, v[2:3]
	v_mov_b32_e32 v1, v0
	s_cbranch_scc1 .LBB321_1101
.LBB321_1102:
	s_cbranch_execnz .LBB321_1105
.LBB321_1103:
	s_load_dwordx4 s[4:7], s[34:35], 0x4
	s_load_dwordx2 s[8:9], s[34:35], 0xc4
	s_cmp_lt_u32 s33, 2
	s_waitcnt lgkmcnt(0)
	v_mul_hi_u32 v0, s5, v10
	v_add_u32_e32 v0, v10, v0
	v_lshrrev_b32_e32 v1, s6, v0
	v_mul_lo_u32 v0, v1, s4
	v_sub_u32_e32 v2, v10, v0
	v_mul_lo_u32 v0, v2, s9
	v_mul_lo_u32 v2, v2, s8
	s_cbranch_scc1 .LBB321_1105
; %bb.1104:
	s_load_dwordx4 s[4:7], s[34:35], 0x10
	s_load_dwordx2 s[8:9], s[34:35], 0xcc
	s_waitcnt lgkmcnt(0)
	v_mul_hi_u32 v3, s5, v1
	v_add_u32_e32 v3, v1, v3
	v_lshrrev_b32_e32 v3, s6, v3
	v_mul_lo_u32 v3, v3, s4
	v_sub_u32_e32 v1, v1, v3
	v_mad_u64_u32 v[2:3], s[4:5], v1, s8, v[2:3]
	v_mad_u64_u32 v[0:1], s[4:5], v1, s9, v[0:1]
.LBB321_1105:
	s_and_b64 vcc, exec, s[2:3]
	v_add_u32_e32 v3, 0x80, v10
	s_cbranch_vccnz .LBB321_1111
; %bb.1106:
	s_cmp_lg_u32 s33, 0
	s_mov_b32 s36, 0
	s_cbranch_scc0 .LBB321_1112
; %bb.1107:
	s_min_u32 s37, s76, 15
	s_add_i32 s37, s37, 1
	s_cmp_eq_u32 s76, 2
	s_cbranch_scc1 .LBB321_1113
; %bb.1108:
	s_and_b32 s36, s37, 28
	s_add_u32 s28, s34, 0xc4
	s_addc_u32 s29, s35, 0
	s_mov_b32 s38, 0
	v_mov_b32_e32 v8, 0
	v_mov_b32_e32 v14, 0
	s_mov_b64 s[30:31], s[34:35]
	s_waitcnt vmcnt(0)
	v_mov_b32_e32 v4, v3
.LBB321_1109:                           ; =>This Inner Loop Header: Depth=1
	s_load_dwordx8 s[12:19], s[30:31], 0x4
	s_load_dwordx4 s[20:23], s[30:31], 0x24
	s_load_dwordx8 s[4:11], s[28:29], 0x0
	s_add_u32 s30, s30, 48
	s_addc_u32 s31, s31, 0
	s_waitcnt lgkmcnt(0)
	v_mul_hi_u32 v1, s13, v4
	v_add_u32_e32 v1, v4, v1
	v_lshrrev_b32_e32 v1, s14, v1
	v_mul_lo_u32 v5, v1, s12
	v_mul_hi_u32 v6, s16, v1
	v_sub_u32_e32 v4, v4, v5
	v_add_u32_e32 v5, v1, v6
	v_lshrrev_b32_e32 v5, s17, v5
	v_mul_lo_u32 v7, v5, s15
	v_mul_hi_u32 v9, s19, v5
	v_sub_u32_e32 v1, v1, v7
	v_add_u32_e32 v7, v5, v9
	v_mul_lo_u32 v6, v4, s5
	v_mul_lo_u32 v4, v4, s4
	;; [unrolled: 1-line block ×4, first 2 shown]
	v_lshrrev_b32_e32 v7, s20, v7
	v_add3_u32 v1, v4, v8, v1
	v_mul_lo_u32 v4, v7, s18
	v_mul_hi_u32 v8, s22, v7
	v_sub_u32_e32 v4, v5, v4
	v_add_u32_e32 v5, v7, v8
	v_add3_u32 v6, v6, v14, v9
	v_mul_lo_u32 v8, v4, s8
	v_mul_lo_u32 v9, v4, s9
	v_lshrrev_b32_e32 v4, s23, v5
	s_add_i32 s38, s38, 4
	v_mul_lo_u32 v5, v4, s21
	s_add_u32 s28, s28, 32
	v_sub_u32_e32 v5, v7, v5
	s_addc_u32 s29, s29, 0
	v_mul_lo_u32 v7, v5, s10
	v_mul_lo_u32 v5, v5, s11
	s_cmp_lg_u32 s36, s38
	v_add3_u32 v14, v9, v6, v5
	v_add3_u32 v8, v8, v1, v7
	s_cbranch_scc1 .LBB321_1109
; %bb.1110:
	v_mov_b32_e32 v1, v14
	s_and_b32 s8, s37, 3
	s_cmp_eq_u32 s8, 0
	s_cbranch_scc0 .LBB321_1114
	s_branch .LBB321_1116
.LBB321_1111:
                                        ; implicit-def: $vgpr14
                                        ; implicit-def: $vgpr8
	s_branch .LBB321_1117
.LBB321_1112:
	v_mov_b32_e32 v14, 0
	v_mov_b32_e32 v8, 0
	s_branch .LBB321_1116
.LBB321_1113:
	v_mov_b32_e32 v8, 0
                                        ; implicit-def: $vgpr14
	v_mov_b32_e32 v1, v8
	s_waitcnt vmcnt(0)
	v_mov_b32_e32 v4, v3
	s_and_b32 s8, s37, 3
	s_cmp_eq_u32 s8, 0
	s_cbranch_scc1 .LBB321_1116
.LBB321_1114:
	s_lshl_b32 s4, s36, 3
	s_add_u32 s4, s34, s4
	s_addc_u32 s5, s35, 0
	s_add_u32 s4, s4, 0xc4
	s_addc_u32 s5, s5, 0
	s_mul_i32 s6, s36, 12
	s_add_u32 s6, s34, s6
	s_addc_u32 s7, s35, 0
.LBB321_1115:                           ; =>This Inner Loop Header: Depth=1
	s_load_dwordx2 s[10:11], s[6:7], 0x4
	s_load_dword s9, s[6:7], 0xc
	s_load_dwordx2 s[12:13], s[4:5], 0x0
	v_mov_b32_e32 v6, v1
	s_add_u32 s6, s6, 12
	s_waitcnt lgkmcnt(0)
	v_mul_hi_u32 v1, s11, v4
	v_add_u32_e32 v1, v4, v1
	v_lshrrev_b32_e32 v1, s9, v1
	s_addc_u32 s7, s7, 0
	v_mul_lo_u32 v5, v1, s10
	s_add_u32 s4, s4, 8
	v_sub_u32_e32 v5, v4, v5
	s_addc_u32 s5, s5, 0
	s_add_i32 s8, s8, -1
	v_mad_u64_u32 v[14:15], s[10:11], v5, s13, v[6:7]
	s_cmp_lg_u32 s8, 0
	v_mov_b32_e32 v4, v1
	v_mad_u64_u32 v[8:9], s[10:11], v5, s12, v[8:9]
	v_mov_b32_e32 v1, v14
	s_cbranch_scc1 .LBB321_1115
.LBB321_1116:
	s_cbranch_execnz .LBB321_1119
.LBB321_1117:
	s_load_dwordx4 s[4:7], s[34:35], 0x4
	s_load_dwordx2 s[8:9], s[34:35], 0xc4
	s_cmp_lt_u32 s33, 2
	s_waitcnt lgkmcnt(0)
	v_mul_hi_u32 v1, s5, v3
	v_add_u32_e32 v1, v3, v1
	v_lshrrev_b32_e32 v1, s6, v1
	s_waitcnt vmcnt(0)
	v_mul_lo_u32 v4, v1, s4
	v_sub_u32_e32 v3, v3, v4
	v_mul_lo_u32 v14, v3, s9
	v_mul_lo_u32 v8, v3, s8
	s_cbranch_scc1 .LBB321_1119
; %bb.1118:
	s_load_dwordx4 s[4:7], s[34:35], 0x10
	s_load_dwordx2 s[8:9], s[34:35], 0xcc
	s_waitcnt lgkmcnt(0)
	v_mul_hi_u32 v3, s5, v1
	v_add_u32_e32 v3, v1, v3
	v_lshrrev_b32_e32 v3, s6, v3
	v_mul_lo_u32 v3, v3, s4
	v_sub_u32_e32 v1, v1, v3
	v_mad_u64_u32 v[8:9], s[4:5], v1, s8, v[8:9]
	v_mad_u64_u32 v[14:15], s[4:5], v1, s9, v[14:15]
.LBB321_1119:
	s_and_b64 vcc, exec, s[2:3]
	v_add_u32_e32 v3, 0x100, v10
	s_cbranch_vccnz .LBB321_1125
; %bb.1120:
	s_cmp_lg_u32 s33, 0
	s_mov_b32 s36, 0
	s_cbranch_scc0 .LBB321_1126
; %bb.1121:
	s_min_u32 s37, s76, 15
	s_add_i32 s37, s37, 1
	s_cmp_eq_u32 s76, 2
	s_cbranch_scc1 .LBB321_1127
; %bb.1122:
	s_and_b32 s36, s37, 28
	s_add_u32 s28, s34, 0xc4
	s_addc_u32 s29, s35, 0
	s_mov_b32 s38, 0
	s_waitcnt vmcnt(0)
	v_mov_b32_e32 v6, 0
	v_mov_b32_e32 v12, 0
	s_mov_b64 s[30:31], s[34:35]
	v_mov_b32_e32 v4, v3
.LBB321_1123:                           ; =>This Inner Loop Header: Depth=1
	s_load_dwordx8 s[12:19], s[30:31], 0x4
	s_load_dwordx4 s[20:23], s[30:31], 0x24
	s_load_dwordx8 s[4:11], s[28:29], 0x0
	s_add_u32 s30, s30, 48
	s_addc_u32 s31, s31, 0
	s_waitcnt lgkmcnt(0)
	v_mul_hi_u32 v1, s13, v4
	v_add_u32_e32 v1, v4, v1
	v_lshrrev_b32_e32 v1, s14, v1
	v_mul_lo_u32 v5, v1, s12
	v_mul_hi_u32 v7, s16, v1
	v_sub_u32_e32 v4, v4, v5
	v_add_u32_e32 v5, v1, v7
	v_lshrrev_b32_e32 v5, s17, v5
	v_mul_lo_u32 v9, v5, s15
	v_mul_hi_u32 v10, s19, v5
	v_sub_u32_e32 v1, v1, v9
	v_add_u32_e32 v9, v5, v10
	v_mul_lo_u32 v7, v4, s5
	v_mul_lo_u32 v4, v4, s4
	v_mul_lo_u32 v10, v1, s7
	v_mul_lo_u32 v1, v1, s6
	v_lshrrev_b32_e32 v9, s20, v9
	v_add3_u32 v1, v4, v6, v1
	v_add3_u32 v6, v7, v12, v10
	v_mul_lo_u32 v4, v9, s18
	v_mul_hi_u32 v7, s22, v9
	v_sub_u32_e32 v4, v5, v4
	v_add_u32_e32 v5, v9, v7
	v_mul_lo_u32 v7, v4, s8
	v_mul_lo_u32 v10, v4, s9
	v_lshrrev_b32_e32 v4, s23, v5
	s_add_i32 s38, s38, 4
	v_mul_lo_u32 v5, v4, s21
	s_add_u32 s28, s28, 32
	v_sub_u32_e32 v5, v9, v5
	s_addc_u32 s29, s29, 0
	v_mul_lo_u32 v9, v5, s10
	v_mul_lo_u32 v5, v5, s11
	s_cmp_lg_u32 s36, s38
	v_add3_u32 v12, v10, v6, v5
	v_add3_u32 v6, v7, v1, v9
	s_cbranch_scc1 .LBB321_1123
; %bb.1124:
	v_mov_b32_e32 v1, v12
	s_and_b32 s8, s37, 3
	s_cmp_eq_u32 s8, 0
	s_cbranch_scc0 .LBB321_1128
	s_branch .LBB321_1130
.LBB321_1125:
                                        ; implicit-def: $vgpr12
                                        ; implicit-def: $vgpr6
	s_branch .LBB321_1131
.LBB321_1126:
	v_mov_b32_e32 v12, 0
	s_waitcnt vmcnt(0)
	v_mov_b32_e32 v6, 0
	s_branch .LBB321_1130
.LBB321_1127:
	s_waitcnt vmcnt(0)
	v_mov_b32_e32 v6, 0
                                        ; implicit-def: $vgpr12
	v_mov_b32_e32 v1, v6
	v_mov_b32_e32 v4, v3
	s_and_b32 s8, s37, 3
	s_cmp_eq_u32 s8, 0
	s_cbranch_scc1 .LBB321_1130
.LBB321_1128:
	s_lshl_b32 s4, s36, 3
	s_add_u32 s4, s34, s4
	s_addc_u32 s5, s35, 0
	s_add_u32 s4, s4, 0xc4
	s_addc_u32 s5, s5, 0
	s_mul_i32 s6, s36, 12
	s_add_u32 s6, s34, s6
	s_addc_u32 s7, s35, 0
.LBB321_1129:                           ; =>This Inner Loop Header: Depth=1
	s_load_dwordx2 s[10:11], s[6:7], 0x4
	s_load_dword s9, s[6:7], 0xc
	s_load_dwordx2 s[12:13], s[4:5], 0x0
	v_mov_b32_e32 v10, v1
	s_add_u32 s6, s6, 12
	s_waitcnt lgkmcnt(0)
	v_mul_hi_u32 v1, s11, v4
	v_add_u32_e32 v1, v4, v1
	v_lshrrev_b32_e32 v1, s9, v1
	s_addc_u32 s7, s7, 0
	v_mul_lo_u32 v5, v1, s10
	s_add_u32 s4, s4, 8
	v_sub_u32_e32 v5, v4, v5
	s_addc_u32 s5, s5, 0
	s_add_i32 s8, s8, -1
	v_mad_u64_u32 v[12:13], s[10:11], v5, s13, v[10:11]
	s_cmp_lg_u32 s8, 0
	v_mov_b32_e32 v4, v1
	v_mad_u64_u32 v[6:7], s[10:11], v5, s12, v[6:7]
	v_mov_b32_e32 v1, v12
	s_cbranch_scc1 .LBB321_1129
.LBB321_1130:
	s_cbranch_execnz .LBB321_1133
.LBB321_1131:
	s_load_dwordx4 s[4:7], s[34:35], 0x4
	s_load_dwordx2 s[8:9], s[34:35], 0xc4
	s_cmp_lt_u32 s33, 2
	s_waitcnt lgkmcnt(0)
	v_mul_hi_u32 v1, s5, v3
	v_add_u32_e32 v1, v3, v1
	v_lshrrev_b32_e32 v1, s6, v1
	s_waitcnt vmcnt(0)
	v_mul_lo_u32 v4, v1, s4
	v_sub_u32_e32 v3, v3, v4
	v_mul_lo_u32 v12, v3, s9
	v_mul_lo_u32 v6, v3, s8
	s_cbranch_scc1 .LBB321_1133
; %bb.1132:
	s_load_dwordx4 s[4:7], s[34:35], 0x10
	s_load_dwordx2 s[8:9], s[34:35], 0xcc
	s_waitcnt lgkmcnt(0)
	v_mul_hi_u32 v3, s5, v1
	v_add_u32_e32 v3, v1, v3
	v_lshrrev_b32_e32 v3, s6, v3
	v_mul_lo_u32 v3, v3, s4
	v_sub_u32_e32 v1, v1, v3
	v_mad_u64_u32 v[6:7], s[4:5], v1, s8, v[6:7]
	v_mad_u64_u32 v[12:13], s[4:5], v1, s9, v[12:13]
.LBB321_1133:
	s_and_b64 vcc, exec, s[2:3]
	s_cbranch_vccnz .LBB321_1139
; %bb.1134:
	s_cmp_lg_u32 s33, 0
	s_mov_b32 s30, 0
	s_cbranch_scc0 .LBB321_1140
; %bb.1135:
	s_min_u32 s31, s76, 15
	s_add_i32 s31, s31, 1
	s_cmp_eq_u32 s76, 2
	s_cbranch_scc1 .LBB321_1141
; %bb.1136:
	s_and_b32 s30, s31, 28
	s_add_u32 s2, s34, 0xc4
	s_addc_u32 s3, s35, 0
	s_mov_b32 s36, 0
	s_waitcnt vmcnt(0)
	v_mov_b32_e32 v4, 0
	v_mov_b32_e32 v10, 0
	s_mov_b64 s[28:29], s[34:35]
	v_mov_b32_e32 v3, v16
.LBB321_1137:                           ; =>This Inner Loop Header: Depth=1
	s_load_dwordx8 s[12:19], s[28:29], 0x4
	s_load_dwordx4 s[20:23], s[28:29], 0x24
	s_load_dwordx8 s[4:11], s[2:3], 0x0
	s_add_u32 s28, s28, 48
	s_addc_u32 s29, s29, 0
	s_waitcnt lgkmcnt(0)
	v_mul_hi_u32 v1, s13, v3
	v_add_u32_e32 v1, v3, v1
	v_lshrrev_b32_e32 v1, s14, v1
	v_mul_lo_u32 v5, v1, s12
	v_mul_hi_u32 v7, s16, v1
	v_sub_u32_e32 v3, v3, v5
	v_add_u32_e32 v5, v1, v7
	v_lshrrev_b32_e32 v5, s17, v5
	v_mul_lo_u32 v9, v5, s15
	v_mul_hi_u32 v11, s19, v5
	v_sub_u32_e32 v1, v1, v9
	v_add_u32_e32 v9, v5, v11
	v_mul_lo_u32 v7, v3, s5
	v_mul_lo_u32 v3, v3, s4
	;; [unrolled: 1-line block ×4, first 2 shown]
	v_lshrrev_b32_e32 v9, s20, v9
	v_add3_u32 v1, v3, v4, v1
	v_add3_u32 v4, v7, v10, v11
	v_mul_lo_u32 v3, v9, s18
	v_mul_hi_u32 v7, s22, v9
	v_sub_u32_e32 v3, v5, v3
	v_add_u32_e32 v5, v9, v7
	v_mul_lo_u32 v7, v3, s8
	v_mul_lo_u32 v10, v3, s9
	v_lshrrev_b32_e32 v3, s23, v5
	s_add_i32 s36, s36, 4
	v_mul_lo_u32 v5, v3, s21
	s_add_u32 s2, s2, 32
	v_sub_u32_e32 v5, v9, v5
	s_addc_u32 s3, s3, 0
	v_mul_lo_u32 v9, v5, s10
	v_mul_lo_u32 v5, v5, s11
	s_cmp_lg_u32 s30, s36
	v_add3_u32 v10, v10, v4, v5
	v_add3_u32 v4, v7, v1, v9
	s_cbranch_scc1 .LBB321_1137
; %bb.1138:
	v_mov_b32_e32 v1, v10
	s_and_b32 s6, s31, 3
	s_cmp_eq_u32 s6, 0
	s_cbranch_scc0 .LBB321_1142
	s_branch .LBB321_1144
.LBB321_1139:
                                        ; implicit-def: $vgpr10
                                        ; implicit-def: $vgpr4
	s_branch .LBB321_1145
.LBB321_1140:
	v_mov_b32_e32 v10, 0
	s_waitcnt vmcnt(0)
	v_mov_b32_e32 v4, 0
	s_branch .LBB321_1144
.LBB321_1141:
	s_waitcnt vmcnt(0)
	v_mov_b32_e32 v4, 0
                                        ; implicit-def: $vgpr10
	v_mov_b32_e32 v1, v4
	v_mov_b32_e32 v3, v16
	s_and_b32 s6, s31, 3
	s_cmp_eq_u32 s6, 0
	s_cbranch_scc1 .LBB321_1144
.LBB321_1142:
	s_lshl_b32 s2, s30, 3
	s_add_u32 s2, s34, s2
	s_addc_u32 s3, s35, 0
	s_add_u32 s2, s2, 0xc4
	s_addc_u32 s3, s3, 0
	s_mul_i32 s4, s30, 12
	s_add_u32 s4, s34, s4
	s_addc_u32 s5, s35, 0
.LBB321_1143:                           ; =>This Inner Loop Header: Depth=1
	s_load_dwordx2 s[8:9], s[4:5], 0x4
	s_load_dword s7, s[4:5], 0xc
	s_load_dwordx2 s[10:11], s[2:3], 0x0
	v_mov_b32_e32 v10, v1
	s_add_u32 s4, s4, 12
	s_waitcnt lgkmcnt(0)
	v_mul_hi_u32 v1, s9, v3
	v_add_u32_e32 v1, v3, v1
	v_lshrrev_b32_e32 v1, s7, v1
	s_addc_u32 s5, s5, 0
	v_mul_lo_u32 v5, v1, s8
	s_add_u32 s2, s2, 8
	v_sub_u32_e32 v5, v3, v5
	s_addc_u32 s3, s3, 0
	s_add_i32 s6, s6, -1
	v_mad_u64_u32 v[10:11], s[8:9], v5, s11, v[10:11]
	s_cmp_lg_u32 s6, 0
	v_mov_b32_e32 v3, v1
	v_mad_u64_u32 v[4:5], s[8:9], v5, s10, v[4:5]
	v_mov_b32_e32 v1, v10
	s_cbranch_scc1 .LBB321_1143
.LBB321_1144:
	s_cbranch_execnz .LBB321_1147
.LBB321_1145:
	s_load_dwordx4 s[4:7], s[34:35], 0x4
	s_load_dwordx2 s[2:3], s[34:35], 0xc4
	s_cmp_lt_u32 s33, 2
	s_waitcnt lgkmcnt(0)
	v_mul_hi_u32 v1, s5, v16
	v_add_u32_e32 v1, v16, v1
	v_lshrrev_b32_e32 v1, s6, v1
	v_mul_lo_u32 v3, v1, s4
	v_sub_u32_e32 v3, v16, v3
	v_mul_lo_u32 v10, v3, s3
	s_waitcnt vmcnt(0)
	v_mul_lo_u32 v4, v3, s2
	s_cbranch_scc1 .LBB321_1147
; %bb.1146:
	s_load_dwordx4 s[4:7], s[34:35], 0x10
	s_load_dwordx2 s[2:3], s[34:35], 0xcc
	s_waitcnt lgkmcnt(0)
	v_mul_hi_u32 v3, s5, v1
	v_add_u32_e32 v3, v1, v3
	v_lshrrev_b32_e32 v3, s6, v3
	v_mul_lo_u32 v3, v3, s4
	v_sub_u32_e32 v1, v1, v3
	v_mad_u64_u32 v[4:5], s[4:5], v1, s2, v[4:5]
	v_mad_u64_u32 v[10:11], s[2:3], v1, s3, v[10:11]
.LBB321_1147:
	s_load_dword s18, s[0:1], 0x170
	s_load_dwordx8 s[4:11], s[34:35], 0x148
	v_mov_b32_e32 v1, 0
	s_waitcnt lgkmcnt(0)
	s_bfe_u32 s19, s18, 0x80008
	s_cmp_lt_i32 s19, 11
	v_lshl_add_u64 v[16:17], s[6:7], 0, v[0:1]
	s_cbranch_scc1 .LBB321_1154
; %bb.1148:
	s_and_b32 s20, 0xffff, s19
	s_cmp_gt_i32 s20, 25
	s_mov_b64 s[12:13], 0
	s_cbranch_scc0 .LBB321_1156
; %bb.1149:
	s_cmp_gt_i32 s20, 28
	s_cbranch_scc0 .LBB321_1157
; %bb.1150:
	s_cmp_gt_i32 s20, 43
	;; [unrolled: 3-line block ×3, first 2 shown]
	s_cbranch_scc0 .LBB321_1159
; %bb.1152:
	s_cmp_eq_u32 s20, 46
	s_mov_b64 s[2:3], 0
	s_cbranch_scc0 .LBB321_1162
; %bb.1153:
	global_load_dword v0, v[16:17], off
	s_mov_b64 s[0:1], 0
	s_mov_b64 s[14:15], -1
	s_waitcnt vmcnt(0)
	v_lshlrev_b32_e32 v0, 16, v0
	v_cvt_f64_f32_e32 v[0:1], v0
	s_branch .LBB321_1163
.LBB321_1154:
	s_mov_b64 s[14:15], 0
                                        ; implicit-def: $vgpr0_vgpr1
	s_mov_b64 s[2:3], s[24:25]
	s_cbranch_execnz .LBB321_1226
.LBB321_1155:
	s_andn2_b64 vcc, exec, s[14:15]
	s_cbranch_vccz .LBB321_1271
	s_branch .LBB321_2092
.LBB321_1156:
	s_mov_b64 s[14:15], 0
	s_mov_b64 s[0:1], 0
                                        ; implicit-def: $vgpr0_vgpr1
	s_cbranch_execnz .LBB321_1193
	s_branch .LBB321_1222
.LBB321_1157:
	s_mov_b64 s[2:3], -1
	s_mov_b64 s[14:15], 0
	s_mov_b64 s[0:1], 0
                                        ; implicit-def: $vgpr0_vgpr1
	s_branch .LBB321_1172
.LBB321_1158:
	s_mov_b64 s[14:15], 0
	s_mov_b64 s[0:1], 0
                                        ; implicit-def: $vgpr0_vgpr1
	s_cbranch_execnz .LBB321_1168
	s_branch .LBB321_1171
.LBB321_1159:
	s_mov_b64 s[2:3], -1
	s_mov_b64 s[14:15], 0
	s_mov_b64 s[0:1], 0
                                        ; implicit-def: $vgpr0_vgpr1
	s_branch .LBB321_1163
.LBB321_1160:
	s_andn2_saveexec_b64 s[10:11], s[10:11]
	s_cbranch_execz .LBB321_999
.LBB321_1161:
	s_mov_b32 s14, 0x46000000
	v_add_f32_e64 v3, |v2|, s14
	v_and_b32_e32 v3, 0xff, v3
	v_cmp_ne_u32_e32 vcc, 0, v3
	s_andn2_b64 s[8:9], s[8:9], exec
	s_and_b64 s[14:15], vcc, exec
	s_or_b64 s[8:9], s[8:9], s[14:15]
	s_or_b64 exec, exec, s[10:11]
	v_mov_b32_e32 v6, 0
	s_and_saveexec_b64 s[10:11], s[8:9]
	s_cbranch_execnz .LBB321_1000
	s_branch .LBB321_1001
.LBB321_1162:
	s_mov_b64 s[0:1], -1
                                        ; implicit-def: $vgpr0_vgpr1
	s_mov_b64 s[14:15], 0
.LBB321_1163:
	s_and_b64 vcc, exec, s[2:3]
	s_cbranch_vccz .LBB321_1166
; %bb.1164:
	s_cmp_eq_u32 s20, 44
	s_cbranch_scc0 .LBB321_1167
; %bb.1165:
	global_load_ubyte v3, v[16:17], off
	s_movk_i32 s2, 0xff
	s_waitcnt vmcnt(1)
	v_bfrev_b32_e32 v5, 4
	v_mov_b32_e32 v7, 0x7ff80000
	v_bfrev_b32_e32 v9, 28
	s_mov_b64 s[0:1], 0
	s_mov_b64 s[14:15], -1
	s_waitcnt vmcnt(0)
	v_lshlrev_b32_e32 v0, 23, v3
	v_cvt_f64_f32_e32 v[0:1], v0
	v_cmp_ne_u32_e32 vcc, s2, v3
	s_nop 1
	v_cndmask_b32_e32 v0, v5, v0, vcc
	v_cndmask_b32_e32 v1, v7, v1, vcc
	v_cmp_ne_u32_e32 vcc, 0, v3
	s_nop 1
	v_cndmask_b32_e32 v1, v9, v1, vcc
	v_cndmask_b32_e32 v0, 0, v0, vcc
.LBB321_1166:
	s_branch .LBB321_1171
.LBB321_1167:
	s_mov_b64 s[0:1], -1
                                        ; implicit-def: $vgpr0_vgpr1
	s_branch .LBB321_1171
.LBB321_1168:
	s_cmp_eq_u32 s20, 29
	s_cbranch_scc0 .LBB321_1170
; %bb.1169:
	global_load_dwordx2 v[0:1], v[16:17], off
	s_mov_b64 s[0:1], 0
	s_mov_b64 s[14:15], -1
	s_mov_b64 s[2:3], 0
	s_waitcnt vmcnt(0)
	v_cvt_f64_u32_e32 v[18:19], v1
	v_cvt_f64_u32_e32 v[0:1], v0
	v_ldexp_f64 v[18:19], v[18:19], 32
	v_add_f64 v[0:1], v[18:19], v[0:1]
	s_branch .LBB321_1172
.LBB321_1170:
	s_mov_b64 s[0:1], -1
                                        ; implicit-def: $vgpr0_vgpr1
.LBB321_1171:
	s_mov_b64 s[2:3], 0
.LBB321_1172:
	s_and_b64 vcc, exec, s[2:3]
	s_cbranch_vccz .LBB321_1192
; %bb.1173:
	s_cmp_lt_i32 s20, 27
	s_cbranch_scc1 .LBB321_1176
; %bb.1174:
	s_cmp_gt_i32 s20, 27
	s_cbranch_scc0 .LBB321_1177
; %bb.1175:
	global_load_dword v0, v[16:17], off
	s_mov_b64 s[2:3], 0
	s_waitcnt vmcnt(0)
	v_cvt_f64_u32_e32 v[0:1], v0
	s_branch .LBB321_1178
.LBB321_1176:
	s_mov_b64 s[2:3], -1
                                        ; implicit-def: $vgpr0_vgpr1
	s_branch .LBB321_1181
.LBB321_1177:
	s_mov_b64 s[2:3], -1
                                        ; implicit-def: $vgpr0_vgpr1
.LBB321_1178:
	s_andn2_b64 vcc, exec, s[2:3]
	s_cbranch_vccnz .LBB321_1180
; %bb.1179:
	global_load_ushort v0, v[16:17], off
	s_waitcnt vmcnt(0)
	v_cvt_f64_u32_e32 v[0:1], v0
.LBB321_1180:
	s_mov_b64 s[2:3], 0
.LBB321_1181:
	s_andn2_b64 vcc, exec, s[2:3]
	s_cbranch_vccnz .LBB321_1191
; %bb.1182:
	global_load_ubyte v3, v[16:17], off
	s_movk_i32 s2, 0x7f
	s_waitcnt vmcnt(0)
	v_cmp_lt_i16_e32 vcc, s2, v3
	s_mov_b64 s[2:3], 0
	s_and_saveexec_b64 s[14:15], vcc
	s_xor_b64 s[14:15], exec, s[14:15]
	s_cbranch_execz .LBB321_1186
; %bb.1183:
	s_movk_i32 s2, 0x80
	v_cmp_eq_u16_e32 vcc, s2, v3
	s_mov_b64 s[2:3], -1
	s_and_saveexec_b64 s[16:17], vcc
; %bb.1184:
	s_xor_b64 s[2:3], exec, -1
; %bb.1185:
	s_or_b64 exec, exec, s[16:17]
	s_and_b64 s[2:3], s[2:3], exec
.LBB321_1186:
	s_or_saveexec_b64 s[14:15], s[14:15]
	v_bfrev_b32_e32 v0, 4
	v_mov_b32_e32 v1, 0x7ff80000
	s_xor_b64 exec, exec, s[14:15]
; %bb.1187:
	v_cmp_ne_u16_e32 vcc, 0, v3
	s_andn2_b64 s[2:3], s[2:3], exec
	s_and_b64 s[16:17], vcc, exec
	v_mov_b64_e32 v[0:1], 0
	s_or_b64 s[2:3], s[2:3], s[16:17]
; %bb.1188:
	s_or_b64 exec, exec, s[14:15]
	s_and_saveexec_b64 s[14:15], s[2:3]
	s_cbranch_execz .LBB321_1190
; %bb.1189:
	v_and_b32_e32 v1, 0xffff, v3
	v_lshlrev_b32_e32 v0, 24, v3
	v_and_b32_e32 v3, 7, v1
	v_ffbh_u32_e32 v7, v3
	v_min_u32_e32 v7, 32, v7
	v_subrev_u32_e32 v9, 28, v7
	v_bfe_u32 v5, v1, 3, 4
	v_lshlrev_b32_e32 v1, v9, v1
	v_sub_u32_e32 v7, 29, v7
	v_and_b32_e32 v1, 7, v1
	v_cmp_eq_u32_e32 vcc, 0, v5
	v_and_b32_e32 v0, 0x80000000, v0
	s_nop 0
	v_cndmask_b32_e32 v5, v5, v7, vcc
	v_cndmask_b32_e32 v1, v3, v1, vcc
	v_mov_b32_e32 v3, 0x3b800000
	v_lshlrev_b32_e32 v1, 20, v1
	v_lshl_add_u32 v3, v5, 23, v3
	v_or3_b32 v0, v0, v3, v1
	v_cvt_f64_f32_e32 v[0:1], v0
.LBB321_1190:
	s_or_b64 exec, exec, s[14:15]
.LBB321_1191:
	s_mov_b64 s[14:15], -1
.LBB321_1192:
	s_branch .LBB321_1222
.LBB321_1193:
	s_cmp_gt_i32 s20, 22
	s_cbranch_scc0 .LBB321_1205
; %bb.1194:
	s_cmp_lt_i32 s20, 24
	s_cbranch_scc1 .LBB321_1206
; %bb.1195:
	s_cmp_gt_i32 s20, 24
	s_cbranch_scc0 .LBB321_1207
; %bb.1196:
	global_load_ubyte v3, v[16:17], off
	s_movk_i32 s2, 0x7f
	s_waitcnt vmcnt(0)
	v_cmp_lt_i16_e32 vcc, s2, v3
	s_mov_b64 s[2:3], 0
	s_and_saveexec_b64 s[12:13], vcc
	s_xor_b64 s[12:13], exec, s[12:13]
	s_cbranch_execz .LBB321_1200
; %bb.1197:
	s_movk_i32 s2, 0x80
	v_cmp_eq_u16_e32 vcc, s2, v3
	s_mov_b64 s[2:3], -1
	s_and_saveexec_b64 s[14:15], vcc
; %bb.1198:
	s_xor_b64 s[2:3], exec, -1
; %bb.1199:
	s_or_b64 exec, exec, s[14:15]
	s_and_b64 s[2:3], s[2:3], exec
.LBB321_1200:
	s_or_saveexec_b64 s[12:13], s[12:13]
	v_bfrev_b32_e32 v0, 4
	v_mov_b32_e32 v1, 0x7ff80000
	s_xor_b64 exec, exec, s[12:13]
; %bb.1201:
	v_cmp_ne_u16_e32 vcc, 0, v3
	s_andn2_b64 s[2:3], s[2:3], exec
	s_and_b64 s[14:15], vcc, exec
	v_mov_b64_e32 v[0:1], 0
	s_or_b64 s[2:3], s[2:3], s[14:15]
; %bb.1202:
	s_or_b64 exec, exec, s[12:13]
	s_and_saveexec_b64 s[12:13], s[2:3]
	s_cbranch_execz .LBB321_1204
; %bb.1203:
	v_and_b32_e32 v1, 0xffff, v3
	v_lshlrev_b32_e32 v0, 24, v3
	v_and_b32_e32 v3, 3, v1
	v_ffbh_u32_e32 v7, v3
	v_min_u32_e32 v7, 32, v7
	v_subrev_u32_e32 v9, 29, v7
	v_bfe_u32 v5, v1, 2, 5
	v_lshlrev_b32_e32 v1, v9, v1
	v_sub_u32_e32 v7, 30, v7
	v_and_b32_e32 v1, 3, v1
	v_cmp_eq_u32_e32 vcc, 0, v5
	v_and_b32_e32 v0, 0x80000000, v0
	s_nop 0
	v_cndmask_b32_e32 v5, v5, v7, vcc
	v_cndmask_b32_e32 v1, v3, v1, vcc
	v_mov_b32_e32 v3, 0x37800000
	v_lshlrev_b32_e32 v1, 21, v1
	v_lshl_add_u32 v3, v5, 23, v3
	v_or3_b32 v0, v0, v3, v1
	v_cvt_f64_f32_e32 v[0:1], v0
.LBB321_1204:
	s_or_b64 exec, exec, s[12:13]
	s_mov_b64 s[2:3], 0
	s_branch .LBB321_1208
.LBB321_1205:
                                        ; implicit-def: $vgpr0_vgpr1
	s_mov_b64 s[12:13], 0
	s_branch .LBB321_1214
.LBB321_1206:
	s_mov_b64 s[2:3], -1
                                        ; implicit-def: $vgpr0_vgpr1
	s_branch .LBB321_1211
.LBB321_1207:
	s_mov_b64 s[2:3], -1
                                        ; implicit-def: $vgpr0_vgpr1
.LBB321_1208:
	s_and_b64 vcc, exec, s[2:3]
	s_cbranch_vccz .LBB321_1210
; %bb.1209:
	global_load_ubyte v0, v[16:17], off
	s_mov_b32 s2, 0x7f800000
	s_waitcnt vmcnt(0)
	v_lshlrev_b32_e32 v0, 24, v0
	v_and_b32_e32 v1, 0x7f000000, v0
	v_ffbh_u32_e32 v3, v1
	v_min_u32_e32 v3, 32, v3
	v_sub_u32_e64 v3, v3, 4 clamp
	v_lshlrev_b32_e32 v7, v3, v1
	v_lshlrev_b32_e32 v3, 23, v3
	v_lshrrev_b32_e32 v7, 4, v7
	v_add_u32_e32 v5, 0x1000000, v1
	v_sub_u32_e32 v3, v7, v3
	v_ashrrev_i32_e32 v5, 8, v5
	v_add_u32_e32 v3, 0x3c000000, v3
	v_and_or_b32 v3, v5, s2, v3
	v_cmp_ne_u32_e32 vcc, 0, v1
	s_brev_b32 s2, 1
	s_nop 0
	v_cndmask_b32_e32 v1, 0, v3, vcc
	v_and_or_b32 v0, v0, s2, v1
	v_cvt_f64_f32_e32 v[0:1], v0
.LBB321_1210:
	s_mov_b64 s[2:3], 0
.LBB321_1211:
	s_andn2_b64 vcc, exec, s[2:3]
	s_cbranch_vccnz .LBB321_1213
; %bb.1212:
	global_load_ubyte v0, v[16:17], off
	s_movk_i32 s2, 0x7f00
	s_brev_b32 s3, 16
	s_waitcnt vmcnt(0)
	v_lshlrev_b16_e32 v1, 8, v0
	v_lshlrev_b32_e32 v0, 25, v0
	v_lshrrev_b32_e32 v3, 4, v0
	v_and_or_b32 v5, v1, s2, 0.5
	v_or_b32_e32 v3, 0x70000000, v3
	v_add_f32_e32 v5, -0.5, v5
	v_mul_f32_e32 v3, 0x7800000, v3
	v_cmp_gt_u32_e32 vcc, s3, v0
	v_bfe_i32 v1, v1, 0, 16
	s_brev_b32 s2, 1
	v_cndmask_b32_e32 v0, v3, v5, vcc
	v_and_or_b32 v0, v1, s2, v0
	v_cvt_f64_f32_e32 v[0:1], v0
.LBB321_1213:
	s_mov_b64 s[14:15], -1
	s_mov_b64 s[12:13], 0
	s_cbranch_execnz .LBB321_1222
.LBB321_1214:
	s_cmp_gt_i32 s20, 14
	s_cbranch_scc0 .LBB321_1217
; %bb.1215:
	s_cmp_eq_u32 s20, 15
	s_cbranch_scc0 .LBB321_1218
; %bb.1216:
	global_load_ushort v0, v[16:17], off
	s_mov_b64 s[0:1], 0
	s_mov_b64 s[14:15], -1
	s_waitcnt vmcnt(0)
	v_lshlrev_b32_e32 v0, 16, v0
	v_cvt_f64_f32_e32 v[0:1], v0
	s_branch .LBB321_1219
.LBB321_1217:
	s_mov_b64 s[2:3], -1
                                        ; implicit-def: $vgpr0_vgpr1
	s_branch .LBB321_1220
.LBB321_1218:
	s_mov_b64 s[0:1], -1
                                        ; implicit-def: $vgpr0_vgpr1
.LBB321_1219:
	s_mov_b64 s[2:3], 0
.LBB321_1220:
	s_and_b64 vcc, exec, s[2:3]
	s_cbranch_vccz .LBB321_1222
; %bb.1221:
	s_cmp_lg_u32 s20, 11
	s_mov_b64 s[12:13], -1
	s_cselect_b64 s[0:1], -1, 0
.LBB321_1222:
	s_and_b64 vcc, exec, s[0:1]
	s_mov_b64 s[2:3], s[24:25]
	s_cbranch_vccnz .LBB321_1283
; %bb.1223:
	s_andn2_b64 vcc, exec, s[12:13]
	s_cbranch_vccnz .LBB321_1225
.LBB321_1224:
	global_load_ubyte v1, v[16:17], off
	v_mov_b32_e32 v3, 0x3ff00000
	v_mov_b32_e32 v0, 0
	s_mov_b64 s[14:15], -1
	s_waitcnt vmcnt(0)
	v_cmp_ne_u16_e32 vcc, 0, v1
	s_nop 1
	v_cndmask_b32_e32 v1, 0, v3, vcc
.LBB321_1225:
	s_branch .LBB321_1155
.LBB321_1226:
	s_and_b32 s12, 0xffff, s19
	s_cmp_lt_i32 s12, 5
	s_cbranch_scc1 .LBB321_1231
; %bb.1227:
	s_cmp_lt_i32 s12, 8
	s_cbranch_scc1 .LBB321_1232
; %bb.1228:
	;; [unrolled: 3-line block ×3, first 2 shown]
	s_cmp_gt_i32 s12, 9
	s_cbranch_scc0 .LBB321_1234
; %bb.1230:
	global_load_dwordx2 v[0:1], v[16:17], off
	s_mov_b64 s[0:1], 0
	s_branch .LBB321_1235
.LBB321_1231:
                                        ; implicit-def: $vgpr0_vgpr1
	s_branch .LBB321_1252
.LBB321_1232:
                                        ; implicit-def: $vgpr0_vgpr1
	s_branch .LBB321_1241
.LBB321_1233:
	s_mov_b64 s[0:1], -1
                                        ; implicit-def: $vgpr0_vgpr1
	s_branch .LBB321_1238
.LBB321_1234:
	s_mov_b64 s[0:1], -1
                                        ; implicit-def: $vgpr0_vgpr1
.LBB321_1235:
	s_andn2_b64 vcc, exec, s[0:1]
	s_cbranch_vccnz .LBB321_1237
; %bb.1236:
	global_load_dword v0, v[16:17], off
	s_waitcnt vmcnt(0)
	v_cvt_f64_f32_e32 v[0:1], v0
.LBB321_1237:
	s_mov_b64 s[0:1], 0
.LBB321_1238:
	s_andn2_b64 vcc, exec, s[0:1]
	s_cbranch_vccnz .LBB321_1240
; %bb.1239:
	global_load_dword v0, v[16:17], off
	s_waitcnt vmcnt(0)
	v_cvt_f32_f16_e32 v0, v0
	v_cvt_f64_f32_e32 v[0:1], v0
.LBB321_1240:
	s_cbranch_execnz .LBB321_1251
.LBB321_1241:
	s_cmp_lt_i32 s12, 6
	s_cbranch_scc1 .LBB321_1244
; %bb.1242:
	s_cmp_gt_i32 s12, 6
	s_cbranch_scc0 .LBB321_1245
; %bb.1243:
	global_load_dwordx2 v[0:1], v[16:17], off
	s_mov_b64 s[0:1], 0
	s_branch .LBB321_1246
.LBB321_1244:
	s_mov_b64 s[0:1], -1
                                        ; implicit-def: $vgpr0_vgpr1
	s_branch .LBB321_1249
.LBB321_1245:
	s_mov_b64 s[0:1], -1
                                        ; implicit-def: $vgpr0_vgpr1
.LBB321_1246:
	s_andn2_b64 vcc, exec, s[0:1]
	s_cbranch_vccnz .LBB321_1248
; %bb.1247:
	global_load_dword v0, v[16:17], off
	s_waitcnt vmcnt(0)
	v_cvt_f64_f32_e32 v[0:1], v0
.LBB321_1248:
	s_mov_b64 s[0:1], 0
.LBB321_1249:
	s_andn2_b64 vcc, exec, s[0:1]
	s_cbranch_vccnz .LBB321_1251
; %bb.1250:
	global_load_ushort v0, v[16:17], off
	s_waitcnt vmcnt(0)
	v_cvt_f32_f16_e32 v0, v0
	v_cvt_f64_f32_e32 v[0:1], v0
.LBB321_1251:
	s_cbranch_execnz .LBB321_1270
.LBB321_1252:
	s_cmp_lt_i32 s12, 2
	s_cbranch_scc1 .LBB321_1256
; %bb.1253:
	s_cmp_lt_i32 s12, 3
	s_cbranch_scc1 .LBB321_1257
; %bb.1254:
	s_cmp_gt_i32 s12, 3
	s_cbranch_scc0 .LBB321_1258
; %bb.1255:
	global_load_dwordx2 v[0:1], v[16:17], off
	s_mov_b64 s[0:1], 0
	s_waitcnt vmcnt(0)
	v_cvt_f64_i32_e32 v[18:19], v1
	v_cvt_f64_u32_e32 v[0:1], v0
	v_ldexp_f64 v[18:19], v[18:19], 32
	v_add_f64 v[0:1], v[18:19], v[0:1]
	s_branch .LBB321_1259
.LBB321_1256:
                                        ; implicit-def: $vgpr0_vgpr1
	s_branch .LBB321_1265
.LBB321_1257:
	s_mov_b64 s[0:1], -1
                                        ; implicit-def: $vgpr0_vgpr1
	s_branch .LBB321_1262
.LBB321_1258:
	s_mov_b64 s[0:1], -1
                                        ; implicit-def: $vgpr0_vgpr1
.LBB321_1259:
	s_andn2_b64 vcc, exec, s[0:1]
	s_cbranch_vccnz .LBB321_1261
; %bb.1260:
	global_load_dword v0, v[16:17], off
	s_waitcnt vmcnt(0)
	v_cvt_f64_i32_e32 v[0:1], v0
.LBB321_1261:
	s_mov_b64 s[0:1], 0
.LBB321_1262:
	s_andn2_b64 vcc, exec, s[0:1]
	s_cbranch_vccnz .LBB321_1264
; %bb.1263:
	global_load_sshort v0, v[16:17], off
	s_waitcnt vmcnt(0)
	v_cvt_f64_i32_e32 v[0:1], v0
.LBB321_1264:
	s_cbranch_execnz .LBB321_1270
.LBB321_1265:
	s_cmp_gt_i32 s12, 0
	s_cbranch_scc0 .LBB321_1267
; %bb.1266:
	global_load_sbyte v0, v[16:17], off
	s_mov_b64 s[0:1], 0
	s_waitcnt vmcnt(0)
	v_cvt_f64_i32_e32 v[0:1], v0
	s_branch .LBB321_1268
.LBB321_1267:
	s_mov_b64 s[0:1], -1
                                        ; implicit-def: $vgpr0_vgpr1
.LBB321_1268:
	s_andn2_b64 vcc, exec, s[0:1]
	s_cbranch_vccnz .LBB321_1270
; %bb.1269:
	global_load_ubyte v0, v[16:17], off
	s_waitcnt vmcnt(0)
	v_cvt_f64_u32_e32 v[0:1], v0
.LBB321_1270:
.LBB321_1271:
	s_lshr_b32 s0, s18, 8
	v_mov_b32_e32 v15, 0
	s_and_b32 s20, s0, 0xff
	s_cmp_lt_i32 s20, 11
	v_lshl_add_u64 v[16:17], s[6:7], 0, v[14:15]
	s_cbranch_scc1 .LBB321_1278
; %bb.1272:
	s_and_b32 s21, 0xffff, s20
	s_cmp_gt_i32 s21, 25
	s_mov_b64 s[12:13], 0
	s_cbranch_scc0 .LBB321_1280
; %bb.1273:
	s_cmp_gt_i32 s21, 28
	s_cbranch_scc0 .LBB321_1281
; %bb.1274:
	s_cmp_gt_i32 s21, 43
	;; [unrolled: 3-line block ×3, first 2 shown]
	s_cbranch_scc0 .LBB321_1284
; %bb.1276:
	s_cmp_eq_u32 s21, 46
	s_mov_b64 s[16:17], 0
	s_cbranch_scc0 .LBB321_1287
; %bb.1277:
	global_load_dword v3, v[16:17], off
	s_mov_b64 s[0:1], 0
	s_mov_b64 s[14:15], -1
	s_waitcnt vmcnt(0)
	v_lshlrev_b32_e32 v3, 16, v3
	v_cvt_f64_f32_e32 v[14:15], v3
	s_branch .LBB321_1288
.LBB321_1278:
	s_mov_b64 s[14:15], 0
                                        ; implicit-def: $vgpr14_vgpr15
	s_cbranch_execnz .LBB321_1353
.LBB321_1279:
	s_andn2_b64 vcc, exec, s[14:15]
	s_cbranch_vccnz .LBB321_2092
	s_branch .LBB321_1400
.LBB321_1280:
	s_mov_b64 s[14:15], 0
	s_mov_b64 s[0:1], 0
                                        ; implicit-def: $vgpr14_vgpr15
	s_cbranch_execnz .LBB321_1319
	s_branch .LBB321_1349
.LBB321_1281:
	s_mov_b64 s[16:17], -1
	s_mov_b64 s[14:15], 0
	s_mov_b64 s[0:1], 0
                                        ; implicit-def: $vgpr14_vgpr15
	s_branch .LBB321_1298
.LBB321_1282:
	s_mov_b64 s[16:17], -1
	s_mov_b64 s[14:15], 0
	s_mov_b64 s[0:1], 0
                                        ; implicit-def: $vgpr14_vgpr15
	s_branch .LBB321_1293
.LBB321_1283:
	s_or_b64 s[2:3], s[24:25], exec
	s_trap 2
	s_cbranch_execz .LBB321_1224
	s_branch .LBB321_1225
.LBB321_1284:
	s_mov_b64 s[16:17], -1
	s_mov_b64 s[14:15], 0
	s_mov_b64 s[0:1], 0
                                        ; implicit-def: $vgpr14_vgpr15
	s_branch .LBB321_1288
.LBB321_1285:
	s_andn2_saveexec_b64 s[14:15], s[14:15]
	s_cbranch_execz .LBB321_1011
.LBB321_1286:
	s_mov_b32 s17, 0x42800000
	v_add_f32_e64 v3, |v2|, s17
	v_and_b32_e32 v3, 0xff, v3
	v_cmp_ne_u32_e32 vcc, 0, v3
	s_andn2_b64 s[10:11], s[10:11], exec
	s_and_b64 s[20:21], vcc, exec
	s_or_b64 s[10:11], s[10:11], s[20:21]
	s_or_b64 exec, exec, s[14:15]
	v_mov_b32_e32 v6, 0
	s_and_saveexec_b64 s[14:15], s[10:11]
	s_cbranch_execnz .LBB321_1012
	s_branch .LBB321_1013
.LBB321_1287:
	s_mov_b64 s[0:1], -1
                                        ; implicit-def: $vgpr14_vgpr15
	s_mov_b64 s[14:15], 0
.LBB321_1288:
	s_and_b64 vcc, exec, s[16:17]
	s_cbranch_vccz .LBB321_1292
; %bb.1289:
	s_cmp_eq_u32 s21, 44
	s_cbranch_scc0 .LBB321_1291
; %bb.1290:
	global_load_ubyte v3, v[16:17], off
	s_movk_i32 s14, 0xff
	s_waitcnt vmcnt(1)
	v_bfrev_b32_e32 v5, 4
	v_mov_b32_e32 v7, 0x7ff80000
	v_bfrev_b32_e32 v9, 28
	s_mov_b64 s[0:1], 0
	s_waitcnt vmcnt(0)
	v_lshlrev_b32_e32 v11, 23, v3
	v_cvt_f64_f32_e32 v[14:15], v11
	v_cmp_ne_u32_e32 vcc, s14, v3
	s_mov_b64 s[14:15], -1
	s_nop 0
	v_cndmask_b32_e32 v5, v5, v14, vcc
	v_cndmask_b32_e32 v7, v7, v15, vcc
	v_cmp_ne_u32_e32 vcc, 0, v3
	s_nop 1
	v_cndmask_b32_e32 v15, v9, v7, vcc
	v_cndmask_b32_e32 v14, 0, v5, vcc
	s_branch .LBB321_1292
.LBB321_1291:
	s_mov_b64 s[0:1], -1
                                        ; implicit-def: $vgpr14_vgpr15
.LBB321_1292:
	s_mov_b64 s[16:17], 0
.LBB321_1293:
	s_and_b64 vcc, exec, s[16:17]
	s_cbranch_vccz .LBB321_1297
; %bb.1294:
	s_cmp_eq_u32 s21, 29
	s_cbranch_scc0 .LBB321_1296
; %bb.1295:
	global_load_dwordx2 v[14:15], v[16:17], off
	s_mov_b64 s[0:1], 0
	s_mov_b64 s[14:15], -1
	s_mov_b64 s[16:17], 0
	s_waitcnt vmcnt(0)
	v_cvt_f64_u32_e32 v[18:19], v15
	v_cvt_f64_u32_e32 v[14:15], v14
	v_ldexp_f64 v[18:19], v[18:19], 32
	v_add_f64 v[14:15], v[18:19], v[14:15]
	s_branch .LBB321_1298
.LBB321_1296:
	s_mov_b64 s[0:1], -1
                                        ; implicit-def: $vgpr14_vgpr15
.LBB321_1297:
	s_mov_b64 s[16:17], 0
.LBB321_1298:
	s_and_b64 vcc, exec, s[16:17]
	s_cbranch_vccz .LBB321_1318
; %bb.1299:
	s_cmp_lt_i32 s21, 27
	s_cbranch_scc1 .LBB321_1302
; %bb.1300:
	s_cmp_gt_i32 s21, 27
	s_cbranch_scc0 .LBB321_1303
; %bb.1301:
	global_load_dword v3, v[16:17], off
	s_mov_b64 s[14:15], 0
	s_waitcnt vmcnt(0)
	v_cvt_f64_u32_e32 v[14:15], v3
	s_branch .LBB321_1304
.LBB321_1302:
	s_mov_b64 s[14:15], -1
                                        ; implicit-def: $vgpr14_vgpr15
	s_branch .LBB321_1307
.LBB321_1303:
	s_mov_b64 s[14:15], -1
                                        ; implicit-def: $vgpr14_vgpr15
.LBB321_1304:
	s_andn2_b64 vcc, exec, s[14:15]
	s_cbranch_vccnz .LBB321_1306
; %bb.1305:
	global_load_ushort v3, v[16:17], off
	s_waitcnt vmcnt(0)
	v_cvt_f64_u32_e32 v[14:15], v3
.LBB321_1306:
	s_mov_b64 s[14:15], 0
.LBB321_1307:
	s_andn2_b64 vcc, exec, s[14:15]
	s_cbranch_vccnz .LBB321_1317
; %bb.1308:
	global_load_ubyte v3, v[16:17], off
	s_movk_i32 s14, 0x7f
	s_waitcnt vmcnt(0)
	v_cmp_lt_i16_e32 vcc, s14, v3
	s_mov_b64 s[14:15], 0
	s_and_saveexec_b64 s[16:17], vcc
	s_xor_b64 s[16:17], exec, s[16:17]
	s_cbranch_execz .LBB321_1312
; %bb.1309:
	s_movk_i32 s14, 0x80
	v_cmp_eq_u16_e32 vcc, s14, v3
	s_mov_b64 s[14:15], -1
	s_and_saveexec_b64 s[18:19], vcc
; %bb.1310:
	s_xor_b64 s[14:15], exec, -1
; %bb.1311:
	s_or_b64 exec, exec, s[18:19]
	s_and_b64 s[14:15], s[14:15], exec
.LBB321_1312:
	s_or_saveexec_b64 s[16:17], s[16:17]
	v_bfrev_b32_e32 v14, 4
	v_mov_b32_e32 v15, 0x7ff80000
	s_xor_b64 exec, exec, s[16:17]
; %bb.1313:
	v_cmp_ne_u16_e32 vcc, 0, v3
	s_andn2_b64 s[14:15], s[14:15], exec
	s_and_b64 s[18:19], vcc, exec
	v_mov_b64_e32 v[14:15], 0
	s_or_b64 s[14:15], s[14:15], s[18:19]
; %bb.1314:
	s_or_b64 exec, exec, s[16:17]
	s_and_saveexec_b64 s[16:17], s[14:15]
	s_cbranch_execz .LBB321_1316
; %bb.1315:
	v_lshlrev_b32_e32 v5, 24, v3
	v_and_b32_e32 v3, 0xffff, v3
	v_and_b32_e32 v7, 7, v3
	v_ffbh_u32_e32 v11, v7
	v_min_u32_e32 v11, 32, v11
	v_subrev_u32_e32 v13, 28, v11
	v_bfe_u32 v9, v3, 3, 4
	v_lshlrev_b32_e32 v3, v13, v3
	v_sub_u32_e32 v11, 29, v11
	v_and_b32_e32 v3, 7, v3
	v_cmp_eq_u32_e32 vcc, 0, v9
	v_and_b32_e32 v5, 0x80000000, v5
	s_nop 0
	v_cndmask_b32_e32 v9, v9, v11, vcc
	v_cndmask_b32_e32 v3, v7, v3, vcc
	v_mov_b32_e32 v7, 0x3b800000
	v_lshlrev_b32_e32 v3, 20, v3
	v_lshl_add_u32 v7, v9, 23, v7
	v_or3_b32 v3, v5, v7, v3
	v_cvt_f64_f32_e32 v[14:15], v3
.LBB321_1316:
	s_or_b64 exec, exec, s[16:17]
.LBB321_1317:
	s_mov_b64 s[14:15], -1
.LBB321_1318:
	s_branch .LBB321_1349
.LBB321_1319:
	s_cmp_gt_i32 s21, 22
	s_cbranch_scc0 .LBB321_1331
; %bb.1320:
	s_cmp_lt_i32 s21, 24
	s_cbranch_scc1 .LBB321_1332
; %bb.1321:
	s_cmp_gt_i32 s21, 24
	s_cbranch_scc0 .LBB321_1333
; %bb.1322:
	global_load_ubyte v3, v[16:17], off
	s_movk_i32 s12, 0x7f
	s_waitcnt vmcnt(0)
	v_cmp_lt_i16_e32 vcc, s12, v3
	s_mov_b64 s[12:13], 0
	s_and_saveexec_b64 s[14:15], vcc
	s_xor_b64 s[14:15], exec, s[14:15]
	s_cbranch_execz .LBB321_1326
; %bb.1323:
	s_movk_i32 s12, 0x80
	v_cmp_eq_u16_e32 vcc, s12, v3
	s_mov_b64 s[12:13], -1
	s_and_saveexec_b64 s[16:17], vcc
; %bb.1324:
	s_xor_b64 s[12:13], exec, -1
; %bb.1325:
	s_or_b64 exec, exec, s[16:17]
	s_and_b64 s[12:13], s[12:13], exec
.LBB321_1326:
	s_or_saveexec_b64 s[14:15], s[14:15]
	v_bfrev_b32_e32 v14, 4
	v_mov_b32_e32 v15, 0x7ff80000
	s_xor_b64 exec, exec, s[14:15]
; %bb.1327:
	v_cmp_ne_u16_e32 vcc, 0, v3
	s_andn2_b64 s[12:13], s[12:13], exec
	s_and_b64 s[16:17], vcc, exec
	v_mov_b64_e32 v[14:15], 0
	s_or_b64 s[12:13], s[12:13], s[16:17]
; %bb.1328:
	s_or_b64 exec, exec, s[14:15]
	s_and_saveexec_b64 s[14:15], s[12:13]
	s_cbranch_execz .LBB321_1330
; %bb.1329:
	v_lshlrev_b32_e32 v5, 24, v3
	v_and_b32_e32 v3, 0xffff, v3
	v_and_b32_e32 v7, 3, v3
	v_ffbh_u32_e32 v11, v7
	v_min_u32_e32 v11, 32, v11
	v_subrev_u32_e32 v13, 29, v11
	v_bfe_u32 v9, v3, 2, 5
	v_lshlrev_b32_e32 v3, v13, v3
	v_sub_u32_e32 v11, 30, v11
	v_and_b32_e32 v3, 3, v3
	v_cmp_eq_u32_e32 vcc, 0, v9
	v_and_b32_e32 v5, 0x80000000, v5
	s_nop 0
	v_cndmask_b32_e32 v9, v9, v11, vcc
	v_cndmask_b32_e32 v3, v7, v3, vcc
	v_mov_b32_e32 v7, 0x37800000
	v_lshlrev_b32_e32 v3, 21, v3
	v_lshl_add_u32 v7, v9, 23, v7
	v_or3_b32 v3, v5, v7, v3
	v_cvt_f64_f32_e32 v[14:15], v3
.LBB321_1330:
	s_or_b64 exec, exec, s[14:15]
	s_mov_b64 s[12:13], 0
	s_branch .LBB321_1334
.LBB321_1331:
	s_mov_b64 s[12:13], -1
                                        ; implicit-def: $vgpr14_vgpr15
	s_branch .LBB321_1340
.LBB321_1332:
	s_mov_b64 s[12:13], -1
                                        ; implicit-def: $vgpr14_vgpr15
	s_branch .LBB321_1337
.LBB321_1333:
	s_mov_b64 s[12:13], -1
                                        ; implicit-def: $vgpr14_vgpr15
.LBB321_1334:
	s_and_b64 vcc, exec, s[12:13]
	s_cbranch_vccz .LBB321_1336
; %bb.1335:
	global_load_ubyte v3, v[16:17], off
	s_mov_b32 s12, 0x7f800000
	s_waitcnt vmcnt(0)
	v_lshlrev_b32_e32 v3, 24, v3
	v_and_b32_e32 v5, 0x7f000000, v3
	v_ffbh_u32_e32 v7, v5
	v_min_u32_e32 v7, 32, v7
	v_sub_u32_e64 v7, v7, 4 clamp
	v_lshlrev_b32_e32 v11, v7, v5
	v_lshlrev_b32_e32 v7, 23, v7
	v_lshrrev_b32_e32 v11, 4, v11
	v_add_u32_e32 v9, 0x1000000, v5
	v_sub_u32_e32 v7, v11, v7
	v_ashrrev_i32_e32 v9, 8, v9
	v_add_u32_e32 v7, 0x3c000000, v7
	v_and_or_b32 v7, v9, s12, v7
	v_cmp_ne_u32_e32 vcc, 0, v5
	s_brev_b32 s12, 1
	s_nop 0
	v_cndmask_b32_e32 v5, 0, v7, vcc
	v_and_or_b32 v3, v3, s12, v5
	v_cvt_f64_f32_e32 v[14:15], v3
.LBB321_1336:
	s_mov_b64 s[12:13], 0
.LBB321_1337:
	s_andn2_b64 vcc, exec, s[12:13]
	s_cbranch_vccnz .LBB321_1339
; %bb.1338:
	global_load_ubyte v3, v[16:17], off
	s_movk_i32 s12, 0x7f00
	s_brev_b32 s13, 16
	s_waitcnt vmcnt(0)
	v_lshlrev_b16_e32 v5, 8, v3
	v_lshlrev_b32_e32 v3, 25, v3
	v_lshrrev_b32_e32 v7, 4, v3
	v_and_or_b32 v9, v5, s12, 0.5
	v_or_b32_e32 v7, 0x70000000, v7
	v_add_f32_e32 v9, -0.5, v9
	v_mul_f32_e32 v7, 0x7800000, v7
	v_cmp_gt_u32_e32 vcc, s13, v3
	v_bfe_i32 v5, v5, 0, 16
	s_brev_b32 s12, 1
	v_cndmask_b32_e32 v3, v7, v9, vcc
	v_and_or_b32 v3, v5, s12, v3
	v_cvt_f64_f32_e32 v[14:15], v3
.LBB321_1339:
	s_mov_b64 s[12:13], 0
	s_mov_b64 s[14:15], -1
.LBB321_1340:
	s_andn2_b64 vcc, exec, s[12:13]
	s_mov_b64 s[12:13], 0
	s_cbranch_vccnz .LBB321_1349
; %bb.1341:
	s_cmp_gt_i32 s21, 14
	s_cbranch_scc0 .LBB321_1344
; %bb.1342:
	s_cmp_eq_u32 s21, 15
	s_cbranch_scc0 .LBB321_1345
; %bb.1343:
	global_load_ushort v3, v[16:17], off
	s_mov_b64 s[0:1], 0
	s_mov_b64 s[14:15], -1
	s_waitcnt vmcnt(0)
	v_lshlrev_b32_e32 v3, 16, v3
	v_cvt_f64_f32_e32 v[14:15], v3
	s_branch .LBB321_1346
.LBB321_1344:
	s_mov_b64 s[16:17], -1
                                        ; implicit-def: $vgpr14_vgpr15
	s_branch .LBB321_1347
.LBB321_1345:
	s_mov_b64 s[0:1], -1
                                        ; implicit-def: $vgpr14_vgpr15
.LBB321_1346:
	s_mov_b64 s[16:17], 0
.LBB321_1347:
	s_and_b64 vcc, exec, s[16:17]
	s_cbranch_vccz .LBB321_1349
; %bb.1348:
	s_cmp_lg_u32 s21, 11
	s_mov_b64 s[12:13], -1
	s_cselect_b64 s[0:1], -1, 0
.LBB321_1349:
	s_and_b64 vcc, exec, s[0:1]
	s_cbranch_vccnz .LBB321_1412
; %bb.1350:
	s_andn2_b64 vcc, exec, s[12:13]
	s_cbranch_vccnz .LBB321_1352
.LBB321_1351:
	global_load_ubyte v3, v[16:17], off
	s_waitcnt vmcnt(1)
	v_mov_b32_e32 v5, 0x3ff00000
	v_mov_b32_e32 v14, 0
	s_mov_b64 s[14:15], -1
	s_waitcnt vmcnt(0)
	v_cmp_ne_u16_e32 vcc, 0, v3
	s_nop 1
	v_cndmask_b32_e32 v15, 0, v5, vcc
.LBB321_1352:
	s_branch .LBB321_1279
.LBB321_1353:
	s_and_b32 s12, 0xffff, s20
	s_cmp_lt_i32 s12, 5
	s_cbranch_scc1 .LBB321_1358
; %bb.1354:
	s_cmp_lt_i32 s12, 8
	s_cbranch_scc1 .LBB321_1359
; %bb.1355:
	s_cmp_lt_i32 s12, 9
	s_cbranch_scc1 .LBB321_1360
; %bb.1356:
	s_cmp_gt_i32 s12, 9
	s_cbranch_scc0 .LBB321_1361
; %bb.1357:
	global_load_dwordx2 v[14:15], v[16:17], off
	s_mov_b64 s[0:1], 0
	s_branch .LBB321_1362
.LBB321_1358:
                                        ; implicit-def: $vgpr14_vgpr15
	s_branch .LBB321_1380
.LBB321_1359:
	s_mov_b64 s[0:1], -1
                                        ; implicit-def: $vgpr14_vgpr15
	s_branch .LBB321_1368
.LBB321_1360:
	s_mov_b64 s[0:1], -1
                                        ; implicit-def: $vgpr14_vgpr15
	s_branch .LBB321_1365
.LBB321_1361:
	s_mov_b64 s[0:1], -1
                                        ; implicit-def: $vgpr14_vgpr15
.LBB321_1362:
	s_andn2_b64 vcc, exec, s[0:1]
	s_cbranch_vccnz .LBB321_1364
; %bb.1363:
	global_load_dword v3, v[16:17], off
	s_waitcnt vmcnt(0)
	v_cvt_f64_f32_e32 v[14:15], v3
.LBB321_1364:
	s_mov_b64 s[0:1], 0
.LBB321_1365:
	s_andn2_b64 vcc, exec, s[0:1]
	s_cbranch_vccnz .LBB321_1367
; %bb.1366:
	global_load_dword v3, v[16:17], off
	s_waitcnt vmcnt(0)
	v_cvt_f32_f16_e32 v3, v3
	v_cvt_f64_f32_e32 v[14:15], v3
.LBB321_1367:
	s_mov_b64 s[0:1], 0
.LBB321_1368:
	s_andn2_b64 vcc, exec, s[0:1]
	s_cbranch_vccnz .LBB321_1379
; %bb.1369:
	s_cmp_lt_i32 s12, 6
	s_cbranch_scc1 .LBB321_1372
; %bb.1370:
	s_cmp_gt_i32 s12, 6
	s_cbranch_scc0 .LBB321_1373
; %bb.1371:
	global_load_dwordx2 v[14:15], v[16:17], off
	s_mov_b64 s[0:1], 0
	s_branch .LBB321_1374
.LBB321_1372:
	s_mov_b64 s[0:1], -1
                                        ; implicit-def: $vgpr14_vgpr15
	s_branch .LBB321_1377
.LBB321_1373:
	s_mov_b64 s[0:1], -1
                                        ; implicit-def: $vgpr14_vgpr15
.LBB321_1374:
	s_andn2_b64 vcc, exec, s[0:1]
	s_cbranch_vccnz .LBB321_1376
; %bb.1375:
	global_load_dword v3, v[16:17], off
	s_waitcnt vmcnt(0)
	v_cvt_f64_f32_e32 v[14:15], v3
.LBB321_1376:
	s_mov_b64 s[0:1], 0
.LBB321_1377:
	s_andn2_b64 vcc, exec, s[0:1]
	s_cbranch_vccnz .LBB321_1379
; %bb.1378:
	global_load_ushort v3, v[16:17], off
	s_waitcnt vmcnt(0)
	v_cvt_f32_f16_e32 v3, v3
	v_cvt_f64_f32_e32 v[14:15], v3
.LBB321_1379:
	s_cbranch_execnz .LBB321_1399
.LBB321_1380:
	s_cmp_lt_i32 s12, 2
	s_cbranch_scc1 .LBB321_1384
; %bb.1381:
	s_cmp_lt_i32 s12, 3
	s_cbranch_scc1 .LBB321_1385
; %bb.1382:
	s_cmp_gt_i32 s12, 3
	s_cbranch_scc0 .LBB321_1386
; %bb.1383:
	global_load_dwordx2 v[14:15], v[16:17], off
	s_mov_b64 s[0:1], 0
	s_waitcnt vmcnt(0)
	v_cvt_f64_i32_e32 v[18:19], v15
	v_cvt_f64_u32_e32 v[14:15], v14
	v_ldexp_f64 v[18:19], v[18:19], 32
	v_add_f64 v[14:15], v[18:19], v[14:15]
	s_branch .LBB321_1387
.LBB321_1384:
	s_mov_b64 s[0:1], -1
                                        ; implicit-def: $vgpr14_vgpr15
	s_branch .LBB321_1393
.LBB321_1385:
	s_mov_b64 s[0:1], -1
                                        ; implicit-def: $vgpr14_vgpr15
	s_branch .LBB321_1390
.LBB321_1386:
	s_mov_b64 s[0:1], -1
                                        ; implicit-def: $vgpr14_vgpr15
.LBB321_1387:
	s_andn2_b64 vcc, exec, s[0:1]
	s_cbranch_vccnz .LBB321_1389
; %bb.1388:
	global_load_dword v3, v[16:17], off
	s_waitcnt vmcnt(0)
	v_cvt_f64_i32_e32 v[14:15], v3
.LBB321_1389:
	s_mov_b64 s[0:1], 0
.LBB321_1390:
	s_andn2_b64 vcc, exec, s[0:1]
	s_cbranch_vccnz .LBB321_1392
; %bb.1391:
	global_load_sshort v3, v[16:17], off
	s_waitcnt vmcnt(0)
	v_cvt_f64_i32_e32 v[14:15], v3
.LBB321_1392:
	s_mov_b64 s[0:1], 0
.LBB321_1393:
	s_andn2_b64 vcc, exec, s[0:1]
	s_cbranch_vccnz .LBB321_1399
; %bb.1394:
	s_cmp_gt_i32 s12, 0
	s_cbranch_scc0 .LBB321_1396
; %bb.1395:
	global_load_sbyte v3, v[16:17], off
	s_mov_b64 s[0:1], 0
	s_waitcnt vmcnt(0)
	v_cvt_f64_i32_e32 v[14:15], v3
	s_branch .LBB321_1397
.LBB321_1396:
	s_mov_b64 s[0:1], -1
                                        ; implicit-def: $vgpr14_vgpr15
.LBB321_1397:
	s_andn2_b64 vcc, exec, s[0:1]
	s_cbranch_vccnz .LBB321_1399
; %bb.1398:
	global_load_ubyte v3, v[16:17], off
	s_waitcnt vmcnt(0)
	v_cvt_f64_u32_e32 v[14:15], v3
.LBB321_1399:
.LBB321_1400:
	v_mov_b32_e32 v13, 0
	s_cmp_lt_i32 s20, 11
	v_lshl_add_u64 v[16:17], s[6:7], 0, v[12:13]
	s_cbranch_scc1 .LBB321_1407
; %bb.1401:
	s_and_b32 s21, 0xffff, s20
	s_cmp_gt_i32 s21, 25
	s_mov_b64 s[12:13], 0
	s_cbranch_scc0 .LBB321_1409
; %bb.1402:
	s_cmp_gt_i32 s21, 28
	s_cbranch_scc0 .LBB321_1410
; %bb.1403:
	s_cmp_gt_i32 s21, 43
	s_cbranch_scc0 .LBB321_1411
; %bb.1404:
	s_cmp_gt_i32 s21, 45
	s_cbranch_scc0 .LBB321_1413
; %bb.1405:
	s_cmp_eq_u32 s21, 46
	s_mov_b64 s[16:17], 0
	s_cbranch_scc0 .LBB321_1414
; %bb.1406:
	global_load_dword v3, v[16:17], off
	s_mov_b64 s[0:1], 0
	s_mov_b64 s[14:15], -1
	s_waitcnt vmcnt(0)
	v_lshlrev_b32_e32 v3, 16, v3
	v_cvt_f64_f32_e32 v[12:13], v3
	s_branch .LBB321_1415
.LBB321_1407:
	s_mov_b64 s[14:15], 0
                                        ; implicit-def: $vgpr12_vgpr13
	s_cbranch_execnz .LBB321_1481
.LBB321_1408:
	s_andn2_b64 vcc, exec, s[14:15]
	s_cbranch_vccnz .LBB321_2092
	s_branch .LBB321_1529
.LBB321_1409:
	s_mov_b64 s[16:17], -1
	s_mov_b64 s[14:15], 0
	s_mov_b64 s[0:1], 0
                                        ; implicit-def: $vgpr12_vgpr13
	s_branch .LBB321_1446
.LBB321_1410:
	s_mov_b64 s[16:17], -1
	s_mov_b64 s[14:15], 0
	s_mov_b64 s[0:1], 0
                                        ; implicit-def: $vgpr12_vgpr13
	s_branch .LBB321_1425
.LBB321_1411:
	s_mov_b64 s[16:17], -1
	s_mov_b64 s[14:15], 0
	s_mov_b64 s[0:1], 0
                                        ; implicit-def: $vgpr12_vgpr13
	s_branch .LBB321_1420
.LBB321_1412:
	s_trap 2
	s_or_b64 s[2:3], s[2:3], exec
	s_cbranch_execz .LBB321_1351
	s_branch .LBB321_1352
.LBB321_1413:
	s_mov_b64 s[16:17], -1
	s_mov_b64 s[14:15], 0
	s_mov_b64 s[0:1], 0
                                        ; implicit-def: $vgpr12_vgpr13
	s_branch .LBB321_1415
.LBB321_1414:
	s_mov_b64 s[0:1], -1
                                        ; implicit-def: $vgpr12_vgpr13
	s_mov_b64 s[14:15], 0
.LBB321_1415:
	s_and_b64 vcc, exec, s[16:17]
	s_cbranch_vccz .LBB321_1419
; %bb.1416:
	s_cmp_eq_u32 s21, 44
	s_cbranch_scc0 .LBB321_1418
; %bb.1417:
	global_load_ubyte v3, v[16:17], off
	s_movk_i32 s14, 0xff
	s_waitcnt vmcnt(1)
	v_bfrev_b32_e32 v5, 4
	v_mov_b32_e32 v7, 0x7ff80000
	v_bfrev_b32_e32 v9, 28
	s_mov_b64 s[0:1], 0
	s_waitcnt vmcnt(0)
	v_lshlrev_b32_e32 v11, 23, v3
	v_cvt_f64_f32_e32 v[12:13], v11
	v_cmp_ne_u32_e32 vcc, s14, v3
	s_mov_b64 s[14:15], -1
	s_nop 0
	v_cndmask_b32_e32 v5, v5, v12, vcc
	v_cndmask_b32_e32 v7, v7, v13, vcc
	v_cmp_ne_u32_e32 vcc, 0, v3
	s_nop 1
	v_cndmask_b32_e32 v13, v9, v7, vcc
	v_cndmask_b32_e32 v12, 0, v5, vcc
	s_branch .LBB321_1419
.LBB321_1418:
	s_mov_b64 s[0:1], -1
                                        ; implicit-def: $vgpr12_vgpr13
.LBB321_1419:
	s_mov_b64 s[16:17], 0
.LBB321_1420:
	s_and_b64 vcc, exec, s[16:17]
	s_cbranch_vccz .LBB321_1424
; %bb.1421:
	s_cmp_eq_u32 s21, 29
	s_cbranch_scc0 .LBB321_1423
; %bb.1422:
	global_load_dwordx2 v[12:13], v[16:17], off
	s_mov_b64 s[0:1], 0
	s_mov_b64 s[14:15], -1
	s_mov_b64 s[16:17], 0
	s_waitcnt vmcnt(0)
	v_cvt_f64_u32_e32 v[18:19], v13
	v_cvt_f64_u32_e32 v[12:13], v12
	v_ldexp_f64 v[18:19], v[18:19], 32
	v_add_f64 v[12:13], v[18:19], v[12:13]
	s_branch .LBB321_1425
.LBB321_1423:
	s_mov_b64 s[0:1], -1
                                        ; implicit-def: $vgpr12_vgpr13
.LBB321_1424:
	s_mov_b64 s[16:17], 0
.LBB321_1425:
	s_and_b64 vcc, exec, s[16:17]
	s_cbranch_vccz .LBB321_1445
; %bb.1426:
	s_cmp_lt_i32 s21, 27
	s_cbranch_scc1 .LBB321_1429
; %bb.1427:
	s_cmp_gt_i32 s21, 27
	s_cbranch_scc0 .LBB321_1430
; %bb.1428:
	global_load_dword v3, v[16:17], off
	s_mov_b64 s[14:15], 0
	s_waitcnt vmcnt(0)
	v_cvt_f64_u32_e32 v[12:13], v3
	s_branch .LBB321_1431
.LBB321_1429:
	s_mov_b64 s[14:15], -1
                                        ; implicit-def: $vgpr12_vgpr13
	s_branch .LBB321_1434
.LBB321_1430:
	s_mov_b64 s[14:15], -1
                                        ; implicit-def: $vgpr12_vgpr13
.LBB321_1431:
	s_andn2_b64 vcc, exec, s[14:15]
	s_cbranch_vccnz .LBB321_1433
; %bb.1432:
	global_load_ushort v3, v[16:17], off
	s_waitcnt vmcnt(0)
	v_cvt_f64_u32_e32 v[12:13], v3
.LBB321_1433:
	s_mov_b64 s[14:15], 0
.LBB321_1434:
	s_andn2_b64 vcc, exec, s[14:15]
	s_cbranch_vccnz .LBB321_1444
; %bb.1435:
	global_load_ubyte v3, v[16:17], off
	s_movk_i32 s14, 0x7f
	s_waitcnt vmcnt(0)
	v_cmp_lt_i16_e32 vcc, s14, v3
	s_mov_b64 s[14:15], 0
	s_and_saveexec_b64 s[16:17], vcc
	s_xor_b64 s[16:17], exec, s[16:17]
	s_cbranch_execz .LBB321_1439
; %bb.1436:
	s_movk_i32 s14, 0x80
	v_cmp_eq_u16_e32 vcc, s14, v3
	s_mov_b64 s[14:15], -1
	s_and_saveexec_b64 s[18:19], vcc
; %bb.1437:
	s_xor_b64 s[14:15], exec, -1
; %bb.1438:
	s_or_b64 exec, exec, s[18:19]
	s_and_b64 s[14:15], s[14:15], exec
.LBB321_1439:
	s_or_saveexec_b64 s[16:17], s[16:17]
	v_bfrev_b32_e32 v12, 4
	v_mov_b32_e32 v13, 0x7ff80000
	s_xor_b64 exec, exec, s[16:17]
; %bb.1440:
	v_cmp_ne_u16_e32 vcc, 0, v3
	s_andn2_b64 s[14:15], s[14:15], exec
	s_and_b64 s[18:19], vcc, exec
	v_mov_b64_e32 v[12:13], 0
	s_or_b64 s[14:15], s[14:15], s[18:19]
; %bb.1441:
	s_or_b64 exec, exec, s[16:17]
	s_and_saveexec_b64 s[16:17], s[14:15]
	s_cbranch_execz .LBB321_1443
; %bb.1442:
	v_lshlrev_b32_e32 v5, 24, v3
	v_and_b32_e32 v3, 0xffff, v3
	v_and_b32_e32 v7, 7, v3
	v_ffbh_u32_e32 v11, v7
	v_min_u32_e32 v11, 32, v11
	v_subrev_u32_e32 v12, 28, v11
	v_bfe_u32 v9, v3, 3, 4
	v_lshlrev_b32_e32 v3, v12, v3
	v_sub_u32_e32 v11, 29, v11
	v_and_b32_e32 v3, 7, v3
	v_cmp_eq_u32_e32 vcc, 0, v9
	v_and_b32_e32 v5, 0x80000000, v5
	s_nop 0
	v_cndmask_b32_e32 v9, v9, v11, vcc
	v_cndmask_b32_e32 v3, v7, v3, vcc
	v_mov_b32_e32 v7, 0x3b800000
	v_lshlrev_b32_e32 v3, 20, v3
	v_lshl_add_u32 v7, v9, 23, v7
	v_or3_b32 v3, v5, v7, v3
	v_cvt_f64_f32_e32 v[12:13], v3
.LBB321_1443:
	s_or_b64 exec, exec, s[16:17]
.LBB321_1444:
	s_mov_b64 s[14:15], -1
.LBB321_1445:
	s_mov_b64 s[16:17], 0
.LBB321_1446:
	s_and_b64 vcc, exec, s[16:17]
	s_cbranch_vccz .LBB321_1477
; %bb.1447:
	s_cmp_gt_i32 s21, 22
	s_cbranch_scc0 .LBB321_1459
; %bb.1448:
	s_cmp_lt_i32 s21, 24
	s_cbranch_scc1 .LBB321_1460
; %bb.1449:
	s_cmp_gt_i32 s21, 24
	s_cbranch_scc0 .LBB321_1461
; %bb.1450:
	global_load_ubyte v3, v[16:17], off
	s_movk_i32 s12, 0x7f
	s_waitcnt vmcnt(0)
	v_cmp_lt_i16_e32 vcc, s12, v3
	s_mov_b64 s[12:13], 0
	s_and_saveexec_b64 s[14:15], vcc
	s_xor_b64 s[14:15], exec, s[14:15]
	s_cbranch_execz .LBB321_1454
; %bb.1451:
	s_movk_i32 s12, 0x80
	v_cmp_eq_u16_e32 vcc, s12, v3
	s_mov_b64 s[12:13], -1
	s_and_saveexec_b64 s[16:17], vcc
; %bb.1452:
	s_xor_b64 s[12:13], exec, -1
; %bb.1453:
	s_or_b64 exec, exec, s[16:17]
	s_and_b64 s[12:13], s[12:13], exec
.LBB321_1454:
	s_or_saveexec_b64 s[14:15], s[14:15]
	v_bfrev_b32_e32 v12, 4
	v_mov_b32_e32 v13, 0x7ff80000
	s_xor_b64 exec, exec, s[14:15]
; %bb.1455:
	v_cmp_ne_u16_e32 vcc, 0, v3
	s_andn2_b64 s[12:13], s[12:13], exec
	s_and_b64 s[16:17], vcc, exec
	v_mov_b64_e32 v[12:13], 0
	s_or_b64 s[12:13], s[12:13], s[16:17]
; %bb.1456:
	s_or_b64 exec, exec, s[14:15]
	s_and_saveexec_b64 s[14:15], s[12:13]
	s_cbranch_execz .LBB321_1458
; %bb.1457:
	v_lshlrev_b32_e32 v5, 24, v3
	v_and_b32_e32 v3, 0xffff, v3
	v_and_b32_e32 v7, 3, v3
	v_ffbh_u32_e32 v11, v7
	v_min_u32_e32 v11, 32, v11
	v_subrev_u32_e32 v12, 29, v11
	v_bfe_u32 v9, v3, 2, 5
	v_lshlrev_b32_e32 v3, v12, v3
	v_sub_u32_e32 v11, 30, v11
	v_and_b32_e32 v3, 3, v3
	v_cmp_eq_u32_e32 vcc, 0, v9
	v_and_b32_e32 v5, 0x80000000, v5
	s_nop 0
	v_cndmask_b32_e32 v9, v9, v11, vcc
	v_cndmask_b32_e32 v3, v7, v3, vcc
	v_mov_b32_e32 v7, 0x37800000
	v_lshlrev_b32_e32 v3, 21, v3
	v_lshl_add_u32 v7, v9, 23, v7
	v_or3_b32 v3, v5, v7, v3
	v_cvt_f64_f32_e32 v[12:13], v3
.LBB321_1458:
	s_or_b64 exec, exec, s[14:15]
	s_mov_b64 s[12:13], 0
	s_branch .LBB321_1462
.LBB321_1459:
	s_mov_b64 s[12:13], -1
                                        ; implicit-def: $vgpr12_vgpr13
	s_branch .LBB321_1468
.LBB321_1460:
	s_mov_b64 s[12:13], -1
                                        ; implicit-def: $vgpr12_vgpr13
	s_branch .LBB321_1465
.LBB321_1461:
	s_mov_b64 s[12:13], -1
                                        ; implicit-def: $vgpr12_vgpr13
.LBB321_1462:
	s_and_b64 vcc, exec, s[12:13]
	s_cbranch_vccz .LBB321_1464
; %bb.1463:
	global_load_ubyte v3, v[16:17], off
	s_mov_b32 s12, 0x7f800000
	s_waitcnt vmcnt(0)
	v_lshlrev_b32_e32 v3, 24, v3
	v_and_b32_e32 v5, 0x7f000000, v3
	v_ffbh_u32_e32 v7, v5
	v_min_u32_e32 v7, 32, v7
	v_sub_u32_e64 v7, v7, 4 clamp
	v_lshlrev_b32_e32 v11, v7, v5
	v_lshlrev_b32_e32 v7, 23, v7
	v_lshrrev_b32_e32 v11, 4, v11
	v_add_u32_e32 v9, 0x1000000, v5
	v_sub_u32_e32 v7, v11, v7
	v_ashrrev_i32_e32 v9, 8, v9
	v_add_u32_e32 v7, 0x3c000000, v7
	v_and_or_b32 v7, v9, s12, v7
	v_cmp_ne_u32_e32 vcc, 0, v5
	s_brev_b32 s12, 1
	s_nop 0
	v_cndmask_b32_e32 v5, 0, v7, vcc
	v_and_or_b32 v3, v3, s12, v5
	v_cvt_f64_f32_e32 v[12:13], v3
.LBB321_1464:
	s_mov_b64 s[12:13], 0
.LBB321_1465:
	s_andn2_b64 vcc, exec, s[12:13]
	s_cbranch_vccnz .LBB321_1467
; %bb.1466:
	global_load_ubyte v3, v[16:17], off
	s_movk_i32 s12, 0x7f00
	s_brev_b32 s13, 16
	s_waitcnt vmcnt(0)
	v_lshlrev_b16_e32 v5, 8, v3
	v_lshlrev_b32_e32 v3, 25, v3
	v_lshrrev_b32_e32 v7, 4, v3
	v_and_or_b32 v9, v5, s12, 0.5
	v_or_b32_e32 v7, 0x70000000, v7
	v_add_f32_e32 v9, -0.5, v9
	v_mul_f32_e32 v7, 0x7800000, v7
	v_cmp_gt_u32_e32 vcc, s13, v3
	v_bfe_i32 v5, v5, 0, 16
	s_brev_b32 s12, 1
	v_cndmask_b32_e32 v3, v7, v9, vcc
	v_and_or_b32 v3, v5, s12, v3
	v_cvt_f64_f32_e32 v[12:13], v3
.LBB321_1467:
	s_mov_b64 s[12:13], 0
	s_mov_b64 s[14:15], -1
.LBB321_1468:
	s_andn2_b64 vcc, exec, s[12:13]
	s_mov_b64 s[12:13], 0
	s_cbranch_vccnz .LBB321_1477
; %bb.1469:
	s_cmp_gt_i32 s21, 14
	s_cbranch_scc0 .LBB321_1472
; %bb.1470:
	s_cmp_eq_u32 s21, 15
	s_cbranch_scc0 .LBB321_1473
; %bb.1471:
	global_load_ushort v3, v[16:17], off
	s_mov_b64 s[0:1], 0
	s_mov_b64 s[14:15], -1
	s_waitcnt vmcnt(0)
	v_lshlrev_b32_e32 v3, 16, v3
	v_cvt_f64_f32_e32 v[12:13], v3
	s_branch .LBB321_1474
.LBB321_1472:
	s_mov_b64 s[16:17], -1
                                        ; implicit-def: $vgpr12_vgpr13
	s_branch .LBB321_1475
.LBB321_1473:
	s_mov_b64 s[0:1], -1
                                        ; implicit-def: $vgpr12_vgpr13
.LBB321_1474:
	s_mov_b64 s[16:17], 0
.LBB321_1475:
	s_and_b64 vcc, exec, s[16:17]
	s_cbranch_vccz .LBB321_1477
; %bb.1476:
	s_cmp_lg_u32 s21, 11
	s_mov_b64 s[12:13], -1
	s_cselect_b64 s[0:1], -1, 0
.LBB321_1477:
	s_and_b64 vcc, exec, s[0:1]
	s_cbranch_vccnz .LBB321_1540
; %bb.1478:
	s_andn2_b64 vcc, exec, s[12:13]
	s_cbranch_vccnz .LBB321_1480
.LBB321_1479:
	global_load_ubyte v3, v[16:17], off
	s_waitcnt vmcnt(1)
	v_mov_b32_e32 v5, 0x3ff00000
	v_mov_b32_e32 v12, 0
	s_mov_b64 s[14:15], -1
	s_waitcnt vmcnt(0)
	v_cmp_ne_u16_e32 vcc, 0, v3
	s_nop 1
	v_cndmask_b32_e32 v13, 0, v5, vcc
.LBB321_1480:
	s_branch .LBB321_1408
.LBB321_1481:
	s_and_b32 s12, 0xffff, s20
	s_cmp_lt_i32 s12, 5
	s_cbranch_scc1 .LBB321_1486
; %bb.1482:
	s_cmp_lt_i32 s12, 8
	s_cbranch_scc1 .LBB321_1487
; %bb.1483:
	;; [unrolled: 3-line block ×3, first 2 shown]
	s_cmp_gt_i32 s12, 9
	s_cbranch_scc0 .LBB321_1489
; %bb.1485:
	global_load_dwordx2 v[12:13], v[16:17], off
	s_mov_b64 s[0:1], 0
	s_branch .LBB321_1490
.LBB321_1486:
	s_mov_b64 s[0:1], -1
                                        ; implicit-def: $vgpr12_vgpr13
	s_branch .LBB321_1508
.LBB321_1487:
	s_mov_b64 s[0:1], -1
                                        ; implicit-def: $vgpr12_vgpr13
	s_branch .LBB321_1496
.LBB321_1488:
	s_mov_b64 s[0:1], -1
                                        ; implicit-def: $vgpr12_vgpr13
	s_branch .LBB321_1493
.LBB321_1489:
	s_mov_b64 s[0:1], -1
                                        ; implicit-def: $vgpr12_vgpr13
.LBB321_1490:
	s_andn2_b64 vcc, exec, s[0:1]
	s_cbranch_vccnz .LBB321_1492
; %bb.1491:
	global_load_dword v3, v[16:17], off
	s_waitcnt vmcnt(0)
	v_cvt_f64_f32_e32 v[12:13], v3
.LBB321_1492:
	s_mov_b64 s[0:1], 0
.LBB321_1493:
	s_andn2_b64 vcc, exec, s[0:1]
	s_cbranch_vccnz .LBB321_1495
; %bb.1494:
	global_load_dword v3, v[16:17], off
	s_waitcnt vmcnt(0)
	v_cvt_f32_f16_e32 v3, v3
	v_cvt_f64_f32_e32 v[12:13], v3
.LBB321_1495:
	s_mov_b64 s[0:1], 0
.LBB321_1496:
	s_andn2_b64 vcc, exec, s[0:1]
	s_cbranch_vccnz .LBB321_1507
; %bb.1497:
	s_cmp_lt_i32 s12, 6
	s_cbranch_scc1 .LBB321_1500
; %bb.1498:
	s_cmp_gt_i32 s12, 6
	s_cbranch_scc0 .LBB321_1501
; %bb.1499:
	global_load_dwordx2 v[12:13], v[16:17], off
	s_mov_b64 s[0:1], 0
	s_branch .LBB321_1502
.LBB321_1500:
	s_mov_b64 s[0:1], -1
                                        ; implicit-def: $vgpr12_vgpr13
	s_branch .LBB321_1505
.LBB321_1501:
	s_mov_b64 s[0:1], -1
                                        ; implicit-def: $vgpr12_vgpr13
.LBB321_1502:
	s_andn2_b64 vcc, exec, s[0:1]
	s_cbranch_vccnz .LBB321_1504
; %bb.1503:
	global_load_dword v3, v[16:17], off
	s_waitcnt vmcnt(0)
	v_cvt_f64_f32_e32 v[12:13], v3
.LBB321_1504:
	s_mov_b64 s[0:1], 0
.LBB321_1505:
	s_andn2_b64 vcc, exec, s[0:1]
	s_cbranch_vccnz .LBB321_1507
; %bb.1506:
	global_load_ushort v3, v[16:17], off
	s_waitcnt vmcnt(0)
	v_cvt_f32_f16_e32 v3, v3
	v_cvt_f64_f32_e32 v[12:13], v3
.LBB321_1507:
	s_mov_b64 s[0:1], 0
.LBB321_1508:
	s_andn2_b64 vcc, exec, s[0:1]
	s_cbranch_vccnz .LBB321_1528
; %bb.1509:
	s_cmp_lt_i32 s12, 2
	s_cbranch_scc1 .LBB321_1513
; %bb.1510:
	s_cmp_lt_i32 s12, 3
	s_cbranch_scc1 .LBB321_1514
; %bb.1511:
	s_cmp_gt_i32 s12, 3
	s_cbranch_scc0 .LBB321_1515
; %bb.1512:
	global_load_dwordx2 v[12:13], v[16:17], off
	s_mov_b64 s[0:1], 0
	s_waitcnt vmcnt(0)
	v_cvt_f64_i32_e32 v[18:19], v13
	v_cvt_f64_u32_e32 v[12:13], v12
	v_ldexp_f64 v[18:19], v[18:19], 32
	v_add_f64 v[12:13], v[18:19], v[12:13]
	s_branch .LBB321_1516
.LBB321_1513:
	s_mov_b64 s[0:1], -1
                                        ; implicit-def: $vgpr12_vgpr13
	s_branch .LBB321_1522
.LBB321_1514:
	s_mov_b64 s[0:1], -1
                                        ; implicit-def: $vgpr12_vgpr13
	s_branch .LBB321_1519
.LBB321_1515:
	s_mov_b64 s[0:1], -1
                                        ; implicit-def: $vgpr12_vgpr13
.LBB321_1516:
	s_andn2_b64 vcc, exec, s[0:1]
	s_cbranch_vccnz .LBB321_1518
; %bb.1517:
	global_load_dword v3, v[16:17], off
	s_waitcnt vmcnt(0)
	v_cvt_f64_i32_e32 v[12:13], v3
.LBB321_1518:
	s_mov_b64 s[0:1], 0
.LBB321_1519:
	s_andn2_b64 vcc, exec, s[0:1]
	s_cbranch_vccnz .LBB321_1521
; %bb.1520:
	global_load_sshort v3, v[16:17], off
	s_waitcnt vmcnt(0)
	v_cvt_f64_i32_e32 v[12:13], v3
.LBB321_1521:
	s_mov_b64 s[0:1], 0
.LBB321_1522:
	s_andn2_b64 vcc, exec, s[0:1]
	s_cbranch_vccnz .LBB321_1528
; %bb.1523:
	s_cmp_gt_i32 s12, 0
	s_cbranch_scc0 .LBB321_1525
; %bb.1524:
	global_load_sbyte v3, v[16:17], off
	s_mov_b64 s[0:1], 0
	s_waitcnt vmcnt(0)
	v_cvt_f64_i32_e32 v[12:13], v3
	s_branch .LBB321_1526
.LBB321_1525:
	s_mov_b64 s[0:1], -1
                                        ; implicit-def: $vgpr12_vgpr13
.LBB321_1526:
	s_andn2_b64 vcc, exec, s[0:1]
	s_cbranch_vccnz .LBB321_1528
; %bb.1527:
	global_load_ubyte v3, v[16:17], off
	s_waitcnt vmcnt(0)
	v_cvt_f64_u32_e32 v[12:13], v3
.LBB321_1528:
.LBB321_1529:
	v_mov_b32_e32 v11, 0
	s_cmp_lt_i32 s20, 11
	v_lshl_add_u64 v[16:17], s[6:7], 0, v[10:11]
	s_cbranch_scc1 .LBB321_1536
; %bb.1530:
	s_and_b32 s18, 0xffff, s20
	s_cmp_gt_i32 s18, 25
	s_mov_b64 s[6:7], 0
	s_cbranch_scc0 .LBB321_1537
; %bb.1531:
	s_cmp_gt_i32 s18, 28
	s_cbranch_scc0 .LBB321_1538
; %bb.1532:
	s_cmp_gt_i32 s18, 43
	;; [unrolled: 3-line block ×3, first 2 shown]
	s_cbranch_scc0 .LBB321_1541
; %bb.1534:
	s_cmp_eq_u32 s18, 46
	s_mov_b64 s[14:15], 0
	s_cbranch_scc0 .LBB321_1542
; %bb.1535:
	global_load_dword v3, v[16:17], off
	s_mov_b64 s[0:1], 0
	s_mov_b64 s[12:13], -1
	s_waitcnt vmcnt(0)
	v_lshlrev_b32_e32 v3, 16, v3
	v_cvt_f64_f32_e32 v[10:11], v3
	s_branch .LBB321_1543
.LBB321_1536:
	s_mov_b64 s[0:1], -1
	s_mov_b64 s[12:13], 0
                                        ; implicit-def: $vgpr10_vgpr11
	s_branch .LBB321_1609
.LBB321_1537:
	s_mov_b64 s[14:15], -1
	s_mov_b64 s[12:13], 0
	s_mov_b64 s[0:1], 0
                                        ; implicit-def: $vgpr10_vgpr11
	s_branch .LBB321_1574
.LBB321_1538:
	s_mov_b64 s[14:15], -1
	s_mov_b64 s[12:13], 0
	s_mov_b64 s[0:1], 0
                                        ; implicit-def: $vgpr10_vgpr11
	s_branch .LBB321_1553
.LBB321_1539:
	s_mov_b64 s[14:15], -1
	s_mov_b64 s[12:13], 0
	s_mov_b64 s[0:1], 0
                                        ; implicit-def: $vgpr10_vgpr11
	s_branch .LBB321_1548
.LBB321_1540:
	s_trap 2
	s_or_b64 s[2:3], s[2:3], exec
	s_cbranch_execz .LBB321_1479
	s_branch .LBB321_1480
.LBB321_1541:
	s_mov_b64 s[14:15], -1
	s_mov_b64 s[12:13], 0
	s_mov_b64 s[0:1], 0
                                        ; implicit-def: $vgpr10_vgpr11
	s_branch .LBB321_1543
.LBB321_1542:
	s_mov_b64 s[0:1], -1
                                        ; implicit-def: $vgpr10_vgpr11
	s_mov_b64 s[12:13], 0
.LBB321_1543:
	s_and_b64 vcc, exec, s[14:15]
	s_cbranch_vccz .LBB321_1547
; %bb.1544:
	s_cmp_eq_u32 s18, 44
	s_cbranch_scc0 .LBB321_1546
; %bb.1545:
	global_load_ubyte v3, v[16:17], off
	s_movk_i32 s12, 0xff
	s_waitcnt vmcnt(1)
	v_bfrev_b32_e32 v5, 4
	v_mov_b32_e32 v7, 0x7ff80000
	v_bfrev_b32_e32 v9, 28
	s_mov_b64 s[0:1], 0
	s_waitcnt vmcnt(0)
	v_lshlrev_b32_e32 v10, 23, v3
	v_cvt_f64_f32_e32 v[10:11], v10
	v_cmp_ne_u32_e32 vcc, s12, v3
	s_mov_b64 s[12:13], -1
	s_nop 0
	v_cndmask_b32_e32 v5, v5, v10, vcc
	v_cndmask_b32_e32 v7, v7, v11, vcc
	v_cmp_ne_u32_e32 vcc, 0, v3
	s_nop 1
	v_cndmask_b32_e32 v11, v9, v7, vcc
	v_cndmask_b32_e32 v10, 0, v5, vcc
	s_branch .LBB321_1547
.LBB321_1546:
	s_mov_b64 s[0:1], -1
                                        ; implicit-def: $vgpr10_vgpr11
.LBB321_1547:
	s_mov_b64 s[14:15], 0
.LBB321_1548:
	s_and_b64 vcc, exec, s[14:15]
	s_cbranch_vccz .LBB321_1552
; %bb.1549:
	s_cmp_eq_u32 s18, 29
	s_cbranch_scc0 .LBB321_1551
; %bb.1550:
	global_load_dwordx2 v[10:11], v[16:17], off
	s_mov_b64 s[0:1], 0
	s_mov_b64 s[12:13], -1
	s_mov_b64 s[14:15], 0
	s_waitcnt vmcnt(0)
	v_cvt_f64_u32_e32 v[18:19], v11
	v_cvt_f64_u32_e32 v[10:11], v10
	v_ldexp_f64 v[18:19], v[18:19], 32
	v_add_f64 v[10:11], v[18:19], v[10:11]
	s_branch .LBB321_1553
.LBB321_1551:
	s_mov_b64 s[0:1], -1
                                        ; implicit-def: $vgpr10_vgpr11
.LBB321_1552:
	s_mov_b64 s[14:15], 0
.LBB321_1553:
	s_and_b64 vcc, exec, s[14:15]
	s_cbranch_vccz .LBB321_1573
; %bb.1554:
	s_cmp_lt_i32 s18, 27
	s_cbranch_scc1 .LBB321_1557
; %bb.1555:
	s_cmp_gt_i32 s18, 27
	s_cbranch_scc0 .LBB321_1558
; %bb.1556:
	global_load_dword v3, v[16:17], off
	s_mov_b64 s[12:13], 0
	s_waitcnt vmcnt(0)
	v_cvt_f64_u32_e32 v[10:11], v3
	s_branch .LBB321_1559
.LBB321_1557:
	s_mov_b64 s[12:13], -1
                                        ; implicit-def: $vgpr10_vgpr11
	s_branch .LBB321_1562
.LBB321_1558:
	s_mov_b64 s[12:13], -1
                                        ; implicit-def: $vgpr10_vgpr11
.LBB321_1559:
	s_andn2_b64 vcc, exec, s[12:13]
	s_cbranch_vccnz .LBB321_1561
; %bb.1560:
	global_load_ushort v3, v[16:17], off
	s_waitcnt vmcnt(0)
	v_cvt_f64_u32_e32 v[10:11], v3
.LBB321_1561:
	s_mov_b64 s[12:13], 0
.LBB321_1562:
	s_andn2_b64 vcc, exec, s[12:13]
	s_cbranch_vccnz .LBB321_1572
; %bb.1563:
	global_load_ubyte v3, v[16:17], off
	s_movk_i32 s12, 0x7f
	s_waitcnt vmcnt(0)
	v_cmp_lt_i16_e32 vcc, s12, v3
	s_mov_b64 s[12:13], 0
	s_and_saveexec_b64 s[14:15], vcc
	s_xor_b64 s[14:15], exec, s[14:15]
	s_cbranch_execz .LBB321_1567
; %bb.1564:
	s_movk_i32 s12, 0x80
	v_cmp_eq_u16_e32 vcc, s12, v3
	s_mov_b64 s[12:13], -1
	s_and_saveexec_b64 s[16:17], vcc
; %bb.1565:
	s_xor_b64 s[12:13], exec, -1
; %bb.1566:
	s_or_b64 exec, exec, s[16:17]
	s_and_b64 s[12:13], s[12:13], exec
.LBB321_1567:
	s_or_saveexec_b64 s[14:15], s[14:15]
	v_bfrev_b32_e32 v10, 4
	v_mov_b32_e32 v11, 0x7ff80000
	s_xor_b64 exec, exec, s[14:15]
; %bb.1568:
	v_cmp_ne_u16_e32 vcc, 0, v3
	s_andn2_b64 s[12:13], s[12:13], exec
	s_and_b64 s[16:17], vcc, exec
	v_mov_b64_e32 v[10:11], 0
	s_or_b64 s[12:13], s[12:13], s[16:17]
; %bb.1569:
	s_or_b64 exec, exec, s[14:15]
	s_and_saveexec_b64 s[14:15], s[12:13]
	s_cbranch_execz .LBB321_1571
; %bb.1570:
	v_lshlrev_b32_e32 v5, 24, v3
	v_and_b32_e32 v3, 0xffff, v3
	v_and_b32_e32 v7, 7, v3
	v_ffbh_u32_e32 v10, v7
	v_min_u32_e32 v10, 32, v10
	v_subrev_u32_e32 v11, 28, v10
	v_bfe_u32 v9, v3, 3, 4
	v_lshlrev_b32_e32 v3, v11, v3
	v_sub_u32_e32 v10, 29, v10
	v_and_b32_e32 v3, 7, v3
	v_cmp_eq_u32_e32 vcc, 0, v9
	v_and_b32_e32 v5, 0x80000000, v5
	s_nop 0
	v_cndmask_b32_e32 v9, v9, v10, vcc
	v_cndmask_b32_e32 v3, v7, v3, vcc
	v_mov_b32_e32 v7, 0x3b800000
	v_lshlrev_b32_e32 v3, 20, v3
	v_lshl_add_u32 v7, v9, 23, v7
	v_or3_b32 v3, v5, v7, v3
	v_cvt_f64_f32_e32 v[10:11], v3
.LBB321_1571:
	s_or_b64 exec, exec, s[14:15]
.LBB321_1572:
	s_mov_b64 s[12:13], -1
.LBB321_1573:
	s_mov_b64 s[14:15], 0
.LBB321_1574:
	s_and_b64 vcc, exec, s[14:15]
	s_cbranch_vccz .LBB321_1605
; %bb.1575:
	s_cmp_gt_i32 s18, 22
	s_cbranch_scc0 .LBB321_1587
; %bb.1576:
	s_cmp_lt_i32 s18, 24
	s_cbranch_scc1 .LBB321_1588
; %bb.1577:
	s_cmp_gt_i32 s18, 24
	s_cbranch_scc0 .LBB321_1589
; %bb.1578:
	global_load_ubyte v3, v[16:17], off
	s_movk_i32 s6, 0x7f
	s_waitcnt vmcnt(0)
	v_cmp_lt_i16_e32 vcc, s6, v3
	s_mov_b64 s[6:7], 0
	s_and_saveexec_b64 s[12:13], vcc
	s_xor_b64 s[12:13], exec, s[12:13]
	s_cbranch_execz .LBB321_1582
; %bb.1579:
	s_movk_i32 s6, 0x80
	v_cmp_eq_u16_e32 vcc, s6, v3
	s_mov_b64 s[6:7], -1
	s_and_saveexec_b64 s[14:15], vcc
; %bb.1580:
	s_xor_b64 s[6:7], exec, -1
; %bb.1581:
	s_or_b64 exec, exec, s[14:15]
	s_and_b64 s[6:7], s[6:7], exec
.LBB321_1582:
	s_or_saveexec_b64 s[12:13], s[12:13]
	v_bfrev_b32_e32 v10, 4
	v_mov_b32_e32 v11, 0x7ff80000
	s_xor_b64 exec, exec, s[12:13]
; %bb.1583:
	v_cmp_ne_u16_e32 vcc, 0, v3
	s_andn2_b64 s[6:7], s[6:7], exec
	s_and_b64 s[14:15], vcc, exec
	v_mov_b64_e32 v[10:11], 0
	s_or_b64 s[6:7], s[6:7], s[14:15]
; %bb.1584:
	s_or_b64 exec, exec, s[12:13]
	s_and_saveexec_b64 s[12:13], s[6:7]
	s_cbranch_execz .LBB321_1586
; %bb.1585:
	v_lshlrev_b32_e32 v5, 24, v3
	v_and_b32_e32 v3, 0xffff, v3
	v_and_b32_e32 v7, 3, v3
	v_ffbh_u32_e32 v10, v7
	v_min_u32_e32 v10, 32, v10
	v_subrev_u32_e32 v11, 29, v10
	v_bfe_u32 v9, v3, 2, 5
	v_lshlrev_b32_e32 v3, v11, v3
	v_sub_u32_e32 v10, 30, v10
	v_and_b32_e32 v3, 3, v3
	v_cmp_eq_u32_e32 vcc, 0, v9
	v_and_b32_e32 v5, 0x80000000, v5
	s_nop 0
	v_cndmask_b32_e32 v9, v9, v10, vcc
	v_cndmask_b32_e32 v3, v7, v3, vcc
	v_mov_b32_e32 v7, 0x37800000
	v_lshlrev_b32_e32 v3, 21, v3
	v_lshl_add_u32 v7, v9, 23, v7
	v_or3_b32 v3, v5, v7, v3
	v_cvt_f64_f32_e32 v[10:11], v3
.LBB321_1586:
	s_or_b64 exec, exec, s[12:13]
	s_mov_b64 s[6:7], 0
	s_branch .LBB321_1590
.LBB321_1587:
	s_mov_b64 s[6:7], -1
                                        ; implicit-def: $vgpr10_vgpr11
	s_branch .LBB321_1596
.LBB321_1588:
	s_mov_b64 s[6:7], -1
                                        ; implicit-def: $vgpr10_vgpr11
	s_branch .LBB321_1593
.LBB321_1589:
	s_mov_b64 s[6:7], -1
                                        ; implicit-def: $vgpr10_vgpr11
.LBB321_1590:
	s_and_b64 vcc, exec, s[6:7]
	s_cbranch_vccz .LBB321_1592
; %bb.1591:
	global_load_ubyte v3, v[16:17], off
	s_mov_b32 s6, 0x7f800000
	s_waitcnt vmcnt(0)
	v_lshlrev_b32_e32 v3, 24, v3
	v_and_b32_e32 v5, 0x7f000000, v3
	v_ffbh_u32_e32 v7, v5
	v_min_u32_e32 v7, 32, v7
	v_sub_u32_e64 v7, v7, 4 clamp
	v_lshlrev_b32_e32 v10, v7, v5
	v_lshlrev_b32_e32 v7, 23, v7
	v_lshrrev_b32_e32 v10, 4, v10
	v_add_u32_e32 v9, 0x1000000, v5
	v_sub_u32_e32 v7, v10, v7
	v_ashrrev_i32_e32 v9, 8, v9
	v_add_u32_e32 v7, 0x3c000000, v7
	v_and_or_b32 v7, v9, s6, v7
	v_cmp_ne_u32_e32 vcc, 0, v5
	s_brev_b32 s6, 1
	s_nop 0
	v_cndmask_b32_e32 v5, 0, v7, vcc
	v_and_or_b32 v3, v3, s6, v5
	v_cvt_f64_f32_e32 v[10:11], v3
.LBB321_1592:
	s_mov_b64 s[6:7], 0
.LBB321_1593:
	s_andn2_b64 vcc, exec, s[6:7]
	s_cbranch_vccnz .LBB321_1595
; %bb.1594:
	global_load_ubyte v3, v[16:17], off
	s_movk_i32 s6, 0x7f00
	s_brev_b32 s7, 16
	s_waitcnt vmcnt(0)
	v_lshlrev_b16_e32 v5, 8, v3
	v_lshlrev_b32_e32 v3, 25, v3
	v_lshrrev_b32_e32 v7, 4, v3
	v_and_or_b32 v9, v5, s6, 0.5
	v_or_b32_e32 v7, 0x70000000, v7
	v_add_f32_e32 v9, -0.5, v9
	v_mul_f32_e32 v7, 0x7800000, v7
	v_cmp_gt_u32_e32 vcc, s7, v3
	v_bfe_i32 v5, v5, 0, 16
	s_brev_b32 s6, 1
	v_cndmask_b32_e32 v3, v7, v9, vcc
	v_and_or_b32 v3, v5, s6, v3
	v_cvt_f64_f32_e32 v[10:11], v3
.LBB321_1595:
	s_mov_b64 s[6:7], 0
	s_mov_b64 s[12:13], -1
.LBB321_1596:
	s_andn2_b64 vcc, exec, s[6:7]
	s_mov_b64 s[6:7], 0
	s_cbranch_vccnz .LBB321_1605
; %bb.1597:
	s_cmp_gt_i32 s18, 14
	s_cbranch_scc0 .LBB321_1600
; %bb.1598:
	s_cmp_eq_u32 s18, 15
	s_cbranch_scc0 .LBB321_1601
; %bb.1599:
	global_load_ushort v3, v[16:17], off
	s_mov_b64 s[0:1], 0
	s_mov_b64 s[12:13], -1
	s_waitcnt vmcnt(0)
	v_lshlrev_b32_e32 v3, 16, v3
	v_cvt_f64_f32_e32 v[10:11], v3
	s_branch .LBB321_1602
.LBB321_1600:
	s_mov_b64 s[14:15], -1
                                        ; implicit-def: $vgpr10_vgpr11
	s_branch .LBB321_1603
.LBB321_1601:
	s_mov_b64 s[0:1], -1
                                        ; implicit-def: $vgpr10_vgpr11
.LBB321_1602:
	s_mov_b64 s[14:15], 0
.LBB321_1603:
	s_and_b64 vcc, exec, s[14:15]
	s_cbranch_vccz .LBB321_1605
; %bb.1604:
	s_cmp_lg_u32 s18, 11
	s_mov_b64 s[6:7], -1
	s_cselect_b64 s[0:1], -1, 0
.LBB321_1605:
	s_and_b64 vcc, exec, s[0:1]
	s_cbranch_vccnz .LBB321_2138
; %bb.1606:
	s_andn2_b64 vcc, exec, s[6:7]
	s_cbranch_vccnz .LBB321_1608
.LBB321_1607:
	global_load_ubyte v3, v[16:17], off
	s_waitcnt vmcnt(1)
	v_mov_b32_e32 v5, 0x3ff00000
	v_mov_b32_e32 v10, 0
	s_mov_b64 s[12:13], -1
	s_waitcnt vmcnt(0)
	v_cmp_ne_u16_e32 vcc, 0, v3
	s_nop 1
	v_cndmask_b32_e32 v11, 0, v5, vcc
.LBB321_1608:
	s_mov_b64 s[0:1], 0
.LBB321_1609:
	s_and_b64 vcc, exec, s[0:1]
	s_cbranch_vccz .LBB321_1658
; %bb.1610:
	s_and_b32 s6, 0xffff, s20
	s_cmp_lt_i32 s6, 5
	s_cbranch_scc1 .LBB321_1615
; %bb.1611:
	s_cmp_lt_i32 s6, 8
	s_cbranch_scc1 .LBB321_1616
; %bb.1612:
	;; [unrolled: 3-line block ×3, first 2 shown]
	s_cmp_gt_i32 s6, 9
	s_cbranch_scc0 .LBB321_1618
; %bb.1614:
	global_load_dwordx2 v[10:11], v[16:17], off
	s_mov_b64 s[0:1], 0
	s_branch .LBB321_1619
.LBB321_1615:
	s_mov_b64 s[0:1], -1
                                        ; implicit-def: $vgpr10_vgpr11
	s_branch .LBB321_1637
.LBB321_1616:
	s_mov_b64 s[0:1], -1
                                        ; implicit-def: $vgpr10_vgpr11
	s_branch .LBB321_1625
.LBB321_1617:
	s_mov_b64 s[0:1], -1
                                        ; implicit-def: $vgpr10_vgpr11
	s_branch .LBB321_1622
.LBB321_1618:
	s_mov_b64 s[0:1], -1
                                        ; implicit-def: $vgpr10_vgpr11
.LBB321_1619:
	s_andn2_b64 vcc, exec, s[0:1]
	s_cbranch_vccnz .LBB321_1621
; %bb.1620:
	global_load_dword v3, v[16:17], off
	s_waitcnt vmcnt(0)
	v_cvt_f64_f32_e32 v[10:11], v3
.LBB321_1621:
	s_mov_b64 s[0:1], 0
.LBB321_1622:
	s_andn2_b64 vcc, exec, s[0:1]
	s_cbranch_vccnz .LBB321_1624
; %bb.1623:
	global_load_dword v3, v[16:17], off
	s_waitcnt vmcnt(0)
	v_cvt_f32_f16_e32 v3, v3
	v_cvt_f64_f32_e32 v[10:11], v3
.LBB321_1624:
	s_mov_b64 s[0:1], 0
.LBB321_1625:
	s_andn2_b64 vcc, exec, s[0:1]
	s_cbranch_vccnz .LBB321_1636
; %bb.1626:
	s_cmp_lt_i32 s6, 6
	s_cbranch_scc1 .LBB321_1629
; %bb.1627:
	s_cmp_gt_i32 s6, 6
	s_cbranch_scc0 .LBB321_1630
; %bb.1628:
	global_load_dwordx2 v[10:11], v[16:17], off
	s_mov_b64 s[0:1], 0
	s_branch .LBB321_1631
.LBB321_1629:
	s_mov_b64 s[0:1], -1
                                        ; implicit-def: $vgpr10_vgpr11
	s_branch .LBB321_1634
.LBB321_1630:
	s_mov_b64 s[0:1], -1
                                        ; implicit-def: $vgpr10_vgpr11
.LBB321_1631:
	s_andn2_b64 vcc, exec, s[0:1]
	s_cbranch_vccnz .LBB321_1633
; %bb.1632:
	global_load_dword v3, v[16:17], off
	s_waitcnt vmcnt(0)
	v_cvt_f64_f32_e32 v[10:11], v3
.LBB321_1633:
	s_mov_b64 s[0:1], 0
.LBB321_1634:
	s_andn2_b64 vcc, exec, s[0:1]
	s_cbranch_vccnz .LBB321_1636
; %bb.1635:
	global_load_ushort v3, v[16:17], off
	s_waitcnt vmcnt(0)
	v_cvt_f32_f16_e32 v3, v3
	v_cvt_f64_f32_e32 v[10:11], v3
.LBB321_1636:
	s_mov_b64 s[0:1], 0
.LBB321_1637:
	s_andn2_b64 vcc, exec, s[0:1]
	s_cbranch_vccnz .LBB321_1657
; %bb.1638:
	s_cmp_lt_i32 s6, 2
	s_cbranch_scc1 .LBB321_1642
; %bb.1639:
	s_cmp_lt_i32 s6, 3
	s_cbranch_scc1 .LBB321_1643
; %bb.1640:
	s_cmp_gt_i32 s6, 3
	s_cbranch_scc0 .LBB321_1644
; %bb.1641:
	global_load_dwordx2 v[10:11], v[16:17], off
	s_mov_b64 s[0:1], 0
	s_waitcnt vmcnt(0)
	v_cvt_f64_i32_e32 v[18:19], v11
	v_cvt_f64_u32_e32 v[10:11], v10
	v_ldexp_f64 v[18:19], v[18:19], 32
	v_add_f64 v[10:11], v[18:19], v[10:11]
	s_branch .LBB321_1645
.LBB321_1642:
	s_mov_b64 s[0:1], -1
                                        ; implicit-def: $vgpr10_vgpr11
	s_branch .LBB321_1651
.LBB321_1643:
	s_mov_b64 s[0:1], -1
                                        ; implicit-def: $vgpr10_vgpr11
	s_branch .LBB321_1648
.LBB321_1644:
	s_mov_b64 s[0:1], -1
                                        ; implicit-def: $vgpr10_vgpr11
.LBB321_1645:
	s_andn2_b64 vcc, exec, s[0:1]
	s_cbranch_vccnz .LBB321_1647
; %bb.1646:
	global_load_dword v3, v[16:17], off
	s_waitcnt vmcnt(0)
	v_cvt_f64_i32_e32 v[10:11], v3
.LBB321_1647:
	s_mov_b64 s[0:1], 0
.LBB321_1648:
	s_andn2_b64 vcc, exec, s[0:1]
	s_cbranch_vccnz .LBB321_1650
; %bb.1649:
	global_load_sshort v3, v[16:17], off
	s_waitcnt vmcnt(0)
	v_cvt_f64_i32_e32 v[10:11], v3
.LBB321_1650:
	s_mov_b64 s[0:1], 0
.LBB321_1651:
	s_andn2_b64 vcc, exec, s[0:1]
	s_cbranch_vccnz .LBB321_1657
; %bb.1652:
	s_cmp_gt_i32 s6, 0
	s_cbranch_scc0 .LBB321_1654
; %bb.1653:
	global_load_sbyte v3, v[16:17], off
	s_mov_b64 s[0:1], 0
	s_waitcnt vmcnt(0)
	v_cvt_f64_i32_e32 v[10:11], v3
	s_branch .LBB321_1655
.LBB321_1654:
	s_mov_b64 s[0:1], -1
                                        ; implicit-def: $vgpr10_vgpr11
.LBB321_1655:
	s_andn2_b64 vcc, exec, s[0:1]
	s_cbranch_vccnz .LBB321_1657
; %bb.1656:
	global_load_ubyte v3, v[16:17], off
	s_waitcnt vmcnt(0)
	v_cvt_f64_u32_e32 v[10:11], v3
.LBB321_1657:
	s_mov_b64 s[12:13], -1
.LBB321_1658:
	s_andn2_b64 vcc, exec, s[12:13]
	s_cbranch_vccnz .LBB321_2092
; %bb.1659:
	s_load_dword s0, s[34:35], 0x168
	v_max_f64 v[16:17], s[8:9], s[8:9]
	s_waitcnt vmcnt(0)
	v_max_f64 v[20:21], v[0:1], v[0:1]
	v_max_f64 v[18:19], s[10:11], s[10:11]
	;; [unrolled: 1-line block ×3, first 2 shown]
	s_waitcnt lgkmcnt(0)
	s_and_b32 s14, s0, 0xff
	v_min_f64 v[20:21], v[20:21], v[18:19]
	v_cmp_u_f64_e32 vcc, v[0:1], v[0:1]
	v_mov_b32_e32 v3, 0
	s_cmp_lt_i32 s14, 11
	v_cndmask_b32_e32 v1, v21, v1, vcc
	v_cndmask_b32_e32 v0, v20, v0, vcc
	v_lshl_add_u64 v[20:21], s[4:5], 0, v[2:3]
	s_cbranch_scc1 .LBB321_1737
; %bb.1660:
	s_and_b32 s15, 0xffff, s14
	s_mov_b64 s[10:11], -1
	s_mov_b64 s[6:7], 0
	s_cmp_gt_i32 s15, 25
	s_mov_b64 s[8:9], 0
	s_mov_b64 s[0:1], 0
	s_cbranch_scc0 .LBB321_1693
; %bb.1661:
	s_cmp_gt_i32 s15, 28
	s_cbranch_scc0 .LBB321_1676
; %bb.1662:
	s_cmp_gt_i32 s15, 43
	;; [unrolled: 3-line block ×3, first 2 shown]
	s_cbranch_scc0 .LBB321_1666
; %bb.1664:
	s_mov_b64 s[0:1], -1
	s_mov_b64 s[10:11], 0
	s_cmp_eq_u32 s15, 46
	s_cbranch_scc0 .LBB321_1666
; %bb.1665:
	v_cvt_f32_f64_e32 v2, v[0:1]
	v_bfe_u32 v3, v2, 16, 1
	s_movk_i32 s0, 0x7fff
	v_add3_u32 v3, v2, v3, s0
	v_cmp_o_f32_e32 vcc, v2, v2
	v_mov_b32_e32 v2, 0x7fc0
	s_mov_b64 s[0:1], 0
	v_cndmask_b32_sdwa v2, v2, v3, vcc dst_sel:DWORD dst_unused:UNUSED_PAD src0_sel:DWORD src1_sel:WORD_1
	global_store_dword v[20:21], v2, off
	s_mov_b64 s[8:9], -1
.LBB321_1666:
	s_and_b64 vcc, exec, s[10:11]
	s_cbranch_vccz .LBB321_1671
; %bb.1667:
	s_cmp_eq_u32 s15, 44
	s_mov_b64 s[0:1], -1
	s_cbranch_scc0 .LBB321_1671
; %bb.1668:
	v_cvt_f32_f64_e32 v2, v[0:1]
	v_bfe_u32 v3, v2, 23, 8
	s_movk_i32 s0, 0xff
	v_cmp_ne_u32_e32 vcc, s0, v3
	v_mov_b32_e32 v5, 0xff
	s_and_saveexec_b64 s[8:9], vcc
; %bb.1669:
	s_mov_b32 s0, 0x3fffff
	v_lshrrev_b32_e32 v5, 23, v2
	v_and_b32_e32 v7, 0x400000, v2
	v_and_or_b32 v2, v2, s0, v3
	v_cmp_ne_u32_e32 vcc, 0, v7
	v_cmp_ne_u32_e64 s[0:1], 0, v2
	s_and_b64 s[0:1], vcc, s[0:1]
	s_nop 0
	v_cndmask_b32_e64 v2, 0, 1, s[0:1]
	v_add_u32_e32 v5, v5, v2
; %bb.1670:
	s_or_b64 exec, exec, s[8:9]
	s_mov_b64 s[0:1], 0
	s_mov_b64 s[8:9], -1
	global_store_byte v[20:21], v5, off
.LBB321_1671:
	s_mov_b64 s[10:11], 0
.LBB321_1672:
	s_and_b64 vcc, exec, s[10:11]
	s_cbranch_vccz .LBB321_1675
; %bb.1673:
	s_cmp_eq_u32 s15, 29
	s_mov_b64 s[0:1], -1
	s_cbranch_scc0 .LBB321_1675
; %bb.1674:
	v_trunc_f64_e32 v[2:3], v[0:1]
	s_movk_i32 s0, 0xffe0
	v_ldexp_f64 v[22:23], v[2:3], s0
	v_floor_f64_e32 v[22:23], v[22:23]
	v_fmac_f64_e32 v[2:3], 0xc1f00000, v[22:23]
	v_cvt_u32_f64_e32 v25, v[22:23]
	v_cvt_u32_f64_e32 v24, v[2:3]
	global_store_dwordx2 v[20:21], v[24:25], off
	s_mov_b64 s[0:1], 0
	s_mov_b64 s[8:9], -1
.LBB321_1675:
	s_mov_b64 s[10:11], 0
.LBB321_1676:
	s_and_b64 vcc, exec, s[10:11]
	s_cbranch_vccz .LBB321_1692
; %bb.1677:
	s_cmp_lt_i32 s15, 27
	s_mov_b64 s[8:9], -1
	s_cbranch_scc1 .LBB321_1683
; %bb.1678:
	s_cmp_gt_i32 s15, 27
	v_cvt_u32_f64_e32 v2, v[0:1]
	s_cbranch_scc0 .LBB321_1680
; %bb.1679:
	s_mov_b64 s[8:9], 0
	global_store_dword v[20:21], v2, off
.LBB321_1680:
	s_andn2_b64 vcc, exec, s[8:9]
	s_cbranch_vccnz .LBB321_1682
; %bb.1681:
	global_store_short v[20:21], v2, off
.LBB321_1682:
	s_mov_b64 s[8:9], 0
.LBB321_1683:
	s_andn2_b64 vcc, exec, s[8:9]
	s_cbranch_vccnz .LBB321_1691
; %bb.1684:
	v_cvt_f32_f64_e32 v2, v[0:1]
	v_and_b32_e32 v3, 0x7fffffff, v2
	s_mov_b32 s8, 0x43800000
	v_cmp_gt_u32_e32 vcc, s8, v3
	v_mov_b32_e32 v5, 0x80
	s_and_saveexec_b64 s[8:9], vcc
	s_cbranch_execz .LBB321_1690
; %bb.1685:
	s_mov_b32 s10, 0x3bffffff
	v_cmp_lt_u32_e32 vcc, s10, v3
	s_mov_b64 s[10:11], 0
                                        ; implicit-def: $vgpr3
	s_and_saveexec_b64 s[12:13], vcc
	s_xor_b64 s[12:13], exec, s[12:13]
	s_cbranch_execz .LBB321_2139
; %bb.1686:
	v_bfe_u32 v3, v2, 20, 1
	s_mov_b32 s16, 0x487ffff
	v_add3_u32 v3, v2, v3, s16
	s_mov_b64 s[10:11], exec
	v_lshrrev_b32_e32 v3, 20, v3
	s_andn2_saveexec_b64 s[12:13], s[12:13]
	s_cbranch_execnz .LBB321_2140
.LBB321_1687:
	s_or_b64 exec, exec, s[12:13]
	v_mov_b32_e32 v5, 0
	s_and_saveexec_b64 s[12:13], s[10:11]
.LBB321_1688:
	v_lshrrev_b32_e32 v2, 24, v2
	s_movk_i32 s10, 0x80
	v_and_or_b32 v5, v2, s10, v3
.LBB321_1689:
	s_or_b64 exec, exec, s[12:13]
.LBB321_1690:
	s_or_b64 exec, exec, s[8:9]
	global_store_byte v[20:21], v5, off
.LBB321_1691:
	s_mov_b64 s[8:9], -1
.LBB321_1692:
	s_mov_b64 s[10:11], 0
.LBB321_1693:
	s_and_b64 vcc, exec, s[10:11]
	s_cbranch_vccz .LBB321_1733
; %bb.1694:
	s_cmp_gt_i32 s15, 22
	s_mov_b64 s[6:7], -1
	s_cbranch_scc0 .LBB321_1726
; %bb.1695:
	s_cmp_lt_i32 s15, 24
	s_cbranch_scc1 .LBB321_1715
; %bb.1696:
	s_cmp_gt_i32 s15, 24
	s_cbranch_scc0 .LBB321_1704
; %bb.1697:
	v_cvt_f32_f64_e32 v2, v[0:1]
	v_and_b32_e32 v3, 0x7fffffff, v2
	s_mov_b32 s6, 0x47800000
	v_cmp_gt_u32_e32 vcc, s6, v3
	v_mov_b32_e32 v5, 0x80
	s_and_saveexec_b64 s[6:7], vcc
	s_cbranch_execz .LBB321_1703
; %bb.1698:
	s_mov_b32 s8, 0x37ffffff
	v_cmp_lt_u32_e32 vcc, s8, v3
	s_mov_b64 s[8:9], 0
                                        ; implicit-def: $vgpr3
	s_and_saveexec_b64 s[10:11], vcc
	s_xor_b64 s[10:11], exec, s[10:11]
	s_cbranch_execz .LBB321_2142
; %bb.1699:
	v_bfe_u32 v3, v2, 21, 1
	s_mov_b32 s12, 0x88fffff
	v_add3_u32 v3, v2, v3, s12
	s_mov_b64 s[8:9], exec
	v_lshrrev_b32_e32 v3, 21, v3
	s_andn2_saveexec_b64 s[10:11], s[10:11]
	s_cbranch_execnz .LBB321_2143
.LBB321_1700:
	s_or_b64 exec, exec, s[10:11]
	v_mov_b32_e32 v5, 0
	s_and_saveexec_b64 s[10:11], s[8:9]
.LBB321_1701:
	v_lshrrev_b32_e32 v2, 24, v2
	s_movk_i32 s8, 0x80
	v_and_or_b32 v5, v2, s8, v3
.LBB321_1702:
	s_or_b64 exec, exec, s[10:11]
.LBB321_1703:
	s_or_b64 exec, exec, s[6:7]
	s_mov_b64 s[6:7], 0
	global_store_byte v[20:21], v5, off
.LBB321_1704:
	s_and_b64 vcc, exec, s[6:7]
	s_cbranch_vccz .LBB321_1714
; %bb.1705:
	v_cvt_f32_f64_e32 v2, v[0:1]
	v_and_b32_e32 v5, 0x7fffffff, v2
	s_mov_b32 s6, 0x43f00000
	v_cmp_gt_u32_e32 vcc, s6, v5
                                        ; implicit-def: $vgpr3
	s_and_saveexec_b64 s[6:7], vcc
	s_xor_b64 s[6:7], exec, s[6:7]
	s_cbranch_execz .LBB321_1711
; %bb.1706:
	s_mov_b32 s8, 0x3c7fffff
	v_cmp_lt_u32_e32 vcc, s8, v5
                                        ; implicit-def: $vgpr3
	s_and_saveexec_b64 s[8:9], vcc
	s_xor_b64 s[8:9], exec, s[8:9]
; %bb.1707:
	v_bfe_u32 v3, v2, 20, 1
	s_mov_b32 s10, 0x407ffff
	v_add3_u32 v3, v2, v3, s10
	v_lshrrev_b32_e32 v5, 20, v3
	v_and_b32_e32 v3, 0xff00000, v3
	s_mov_b32 s10, 0x7f00000
	v_mov_b32_e32 v7, 0x7e
	v_cmp_ne_u32_e32 vcc, s10, v3
	s_nop 1
	v_cndmask_b32_e32 v3, v7, v5, vcc
; %bb.1708:
	s_andn2_saveexec_b64 s[8:9], s[8:9]
; %bb.1709:
	s_mov_b32 s10, 0x46800000
	v_add_f32_e64 v3, |v2|, s10
; %bb.1710:
	s_or_b64 exec, exec, s[8:9]
                                        ; implicit-def: $vgpr5
.LBB321_1711:
	s_andn2_saveexec_b64 s[6:7], s[6:7]
; %bb.1712:
	s_mov_b32 s8, 0x7f800000
	v_mov_b32_e32 v3, 0x7e
	v_mov_b32_e32 v7, 0x7f
	v_cmp_lt_u32_e32 vcc, s8, v5
	s_nop 1
	v_cndmask_b32_e32 v3, v3, v7, vcc
; %bb.1713:
	s_or_b64 exec, exec, s[6:7]
	v_lshrrev_b32_e32 v2, 24, v2
	s_movk_i32 s6, 0x80
	v_and_or_b32 v2, v2, s6, v3
	global_store_byte v[20:21], v2, off
.LBB321_1714:
	s_mov_b64 s[6:7], 0
.LBB321_1715:
	s_andn2_b64 vcc, exec, s[6:7]
	s_cbranch_vccnz .LBB321_1725
; %bb.1716:
	v_cvt_f32_f64_e32 v2, v[0:1]
	v_and_b32_e32 v5, 0x7fffffff, v2
	s_mov_b32 s6, 0x47800000
	v_cmp_gt_u32_e32 vcc, s6, v5
                                        ; implicit-def: $vgpr3
	s_and_saveexec_b64 s[6:7], vcc
	s_xor_b64 s[6:7], exec, s[6:7]
	s_cbranch_execz .LBB321_1722
; %bb.1717:
	s_mov_b32 s8, 0x387fffff
	v_cmp_lt_u32_e32 vcc, s8, v5
                                        ; implicit-def: $vgpr3
	s_and_saveexec_b64 s[8:9], vcc
	s_xor_b64 s[8:9], exec, s[8:9]
; %bb.1718:
	v_bfe_u32 v3, v2, 21, 1
	s_mov_b32 s10, 0x80fffff
	v_add3_u32 v3, v2, v3, s10
	v_lshrrev_b32_e32 v3, 21, v3
; %bb.1719:
	s_andn2_saveexec_b64 s[8:9], s[8:9]
; %bb.1720:
	s_mov_b32 s10, 0x43000000
	v_add_f32_e64 v3, |v2|, s10
; %bb.1721:
	s_or_b64 exec, exec, s[8:9]
                                        ; implicit-def: $vgpr5
.LBB321_1722:
	s_andn2_saveexec_b64 s[6:7], s[6:7]
; %bb.1723:
	s_mov_b32 s8, 0x7f800000
	v_mov_b32_e32 v3, 0x7c
	v_mov_b32_e32 v7, 0x7f
	v_cmp_lt_u32_e32 vcc, s8, v5
	s_nop 1
	v_cndmask_b32_e32 v3, v3, v7, vcc
; %bb.1724:
	s_or_b64 exec, exec, s[6:7]
	v_lshrrev_b32_e32 v2, 24, v2
	s_movk_i32 s6, 0x80
	v_and_or_b32 v2, v2, s6, v3
	global_store_byte v[20:21], v2, off
.LBB321_1725:
	s_mov_b64 s[6:7], 0
	s_mov_b64 s[8:9], -1
.LBB321_1726:
	s_andn2_b64 vcc, exec, s[6:7]
	s_mov_b64 s[6:7], 0
	s_cbranch_vccnz .LBB321_1733
; %bb.1727:
	s_cmp_gt_i32 s15, 14
	s_mov_b64 s[10:11], -1
	s_cbranch_scc0 .LBB321_1731
; %bb.1728:
	s_cmp_eq_u32 s15, 15
	s_mov_b64 s[0:1], -1
	s_cbranch_scc0 .LBB321_1730
; %bb.1729:
	v_cvt_f32_f64_e32 v2, v[0:1]
	v_bfe_u32 v3, v2, 16, 1
	s_movk_i32 s0, 0x7fff
	v_add3_u32 v3, v2, v3, s0
	v_cmp_o_f32_e32 vcc, v2, v2
	v_mov_b32_e32 v2, 0x7fc0
	s_mov_b64 s[0:1], 0
	v_cndmask_b32_sdwa v2, v2, v3, vcc dst_sel:DWORD dst_unused:UNUSED_PAD src0_sel:DWORD src1_sel:WORD_1
	global_store_short v[20:21], v2, off
	s_mov_b64 s[8:9], -1
.LBB321_1730:
	s_mov_b64 s[10:11], 0
.LBB321_1731:
	s_and_b64 vcc, exec, s[10:11]
	s_cbranch_vccz .LBB321_1733
; %bb.1732:
	s_cmp_lg_u32 s15, 11
	s_mov_b64 s[6:7], -1
	s_cselect_b64 s[0:1], -1, 0
.LBB321_1733:
	s_and_b64 vcc, exec, s[0:1]
	s_cbranch_vccnz .LBB321_2141
; %bb.1734:
	s_andn2_b64 vcc, exec, s[6:7]
	s_cbranch_vccnz .LBB321_1736
.LBB321_1735:
	v_cmp_neq_f64_e32 vcc, 0, v[0:1]
	s_mov_b64 s[8:9], -1
	s_nop 0
	v_cndmask_b32_e64 v2, 0, 1, vcc
	global_store_byte v[20:21], v2, off
.LBB321_1736:
	s_mov_b64 s[0:1], 0
	s_branch .LBB321_1738
.LBB321_1737:
	s_mov_b64 s[0:1], -1
	s_mov_b64 s[8:9], 0
.LBB321_1738:
	s_and_b64 vcc, exec, s[0:1]
	s_cbranch_vccz .LBB321_1777
; %bb.1739:
	s_and_b32 s6, 0xffff, s14
	s_cmp_lt_i32 s6, 5
	s_mov_b64 s[0:1], -1
	s_cbranch_scc1 .LBB321_1760
; %bb.1740:
	s_cmp_lt_i32 s6, 8
	s_cbranch_scc1 .LBB321_1750
; %bb.1741:
	s_cmp_lt_i32 s6, 9
	s_cbranch_scc1 .LBB321_1747
; %bb.1742:
	s_cmp_gt_i32 s6, 9
	s_cbranch_scc0 .LBB321_1744
; %bb.1743:
	v_mov_b32_e32 v2, 0
	v_mov_b32_e32 v3, v2
	global_store_dwordx4 v[20:21], v[0:3], off
	s_mov_b64 s[0:1], 0
.LBB321_1744:
	s_andn2_b64 vcc, exec, s[0:1]
	s_cbranch_vccnz .LBB321_1746
; %bb.1745:
	v_cvt_f32_f64_e32 v2, v[0:1]
	v_mov_b32_e32 v3, 0
	global_store_dwordx2 v[20:21], v[2:3], off
.LBB321_1746:
	s_mov_b64 s[0:1], 0
.LBB321_1747:
	s_andn2_b64 vcc, exec, s[0:1]
	s_cbranch_vccnz .LBB321_1749
; %bb.1748:
	s_movk_i32 s0, 0x1ff
	v_and_or_b32 v2, v1, s0, v0
	v_cmp_ne_u32_e32 vcc, 0, v2
	v_lshrrev_b32_e32 v3, 8, v1
	s_movk_i32 s0, 0xffe
	v_cndmask_b32_e64 v2, 0, 1, vcc
	v_bfe_u32 v5, v1, 20, 11
	v_and_or_b32 v2, v3, s0, v2
	v_sub_u32_e32 v7, 0x3f1, v5
	v_or_b32_e32 v3, 0x1000, v2
	v_med3_i32 v7, v7, 0, 13
	v_lshrrev_b32_e32 v9, v7, v3
	v_lshlrev_b32_e32 v7, v7, v9
	v_cmp_ne_u32_e32 vcc, v7, v3
	v_add_u32_e32 v5, 0xfffffc10, v5
	v_lshl_or_b32 v7, v5, 12, v2
	v_cndmask_b32_e64 v3, 0, 1, vcc
	v_or_b32_e32 v3, v9, v3
	v_cmp_gt_i32_e32 vcc, 1, v5
	s_movk_i32 s0, 0x40f
	s_nop 0
	v_cndmask_b32_e32 v3, v7, v3, vcc
	v_and_b32_e32 v7, 7, v3
	v_cmp_lt_i32_e32 vcc, 5, v7
	v_lshrrev_b32_e32 v3, 2, v3
	s_nop 0
	v_cndmask_b32_e64 v9, 0, 1, vcc
	v_cmp_eq_u32_e32 vcc, 3, v7
	s_nop 1
	v_cndmask_b32_e64 v7, 0, 1, vcc
	v_or_b32_e32 v7, v7, v9
	v_add_u32_e32 v3, v3, v7
	v_mov_b32_e32 v7, 0x7c00
	v_cmp_gt_i32_e32 vcc, 31, v5
	v_mov_b32_e32 v9, 0x7e00
	s_nop 0
	v_cndmask_b32_e32 v3, v7, v3, vcc
	v_cmp_ne_u32_e32 vcc, 0, v2
	s_nop 1
	v_cndmask_b32_e32 v2, v7, v9, vcc
	v_cmp_eq_u32_e32 vcc, s0, v5
	s_mov_b32 s0, 0x8000
	s_nop 0
	v_cndmask_b32_e32 v2, v3, v2, vcc
	v_and_b32_sdwa v3, v1, s0 dst_sel:DWORD dst_unused:UNUSED_PAD src0_sel:WORD_1 src1_sel:DWORD
	s_mov_b32 s0, 0xffff
	v_bitop3_b32 v2, v3, s0, v2 bitop3:0xc8
	global_store_dword v[20:21], v2, off
.LBB321_1749:
	s_mov_b64 s[0:1], 0
.LBB321_1750:
	s_andn2_b64 vcc, exec, s[0:1]
	s_cbranch_vccnz .LBB321_1759
; %bb.1751:
	s_cmp_lt_i32 s6, 6
	s_mov_b64 s[0:1], -1
	s_cbranch_scc1 .LBB321_1757
; %bb.1752:
	s_cmp_gt_i32 s6, 6
	s_cbranch_scc0 .LBB321_1754
; %bb.1753:
	global_store_dwordx2 v[20:21], v[0:1], off
	s_mov_b64 s[0:1], 0
.LBB321_1754:
	s_andn2_b64 vcc, exec, s[0:1]
	s_cbranch_vccnz .LBB321_1756
; %bb.1755:
	v_cvt_f32_f64_e32 v2, v[0:1]
	global_store_dword v[20:21], v2, off
.LBB321_1756:
	s_mov_b64 s[0:1], 0
.LBB321_1757:
	s_andn2_b64 vcc, exec, s[0:1]
	s_cbranch_vccnz .LBB321_1759
; %bb.1758:
	s_movk_i32 s0, 0x1ff
	v_and_or_b32 v2, v1, s0, v0
	v_cmp_ne_u32_e32 vcc, 0, v2
	v_lshrrev_b32_e32 v3, 8, v1
	s_movk_i32 s0, 0xffe
	v_cndmask_b32_e64 v2, 0, 1, vcc
	v_bfe_u32 v5, v1, 20, 11
	v_and_or_b32 v2, v3, s0, v2
	v_sub_u32_e32 v7, 0x3f1, v5
	v_or_b32_e32 v3, 0x1000, v2
	v_med3_i32 v7, v7, 0, 13
	v_lshrrev_b32_e32 v9, v7, v3
	v_lshlrev_b32_e32 v7, v7, v9
	v_cmp_ne_u32_e32 vcc, v7, v3
	v_add_u32_e32 v5, 0xfffffc10, v5
	v_lshl_or_b32 v7, v5, 12, v2
	v_cndmask_b32_e64 v3, 0, 1, vcc
	v_or_b32_e32 v3, v9, v3
	v_cmp_gt_i32_e32 vcc, 1, v5
	s_movk_i32 s0, 0x40f
	s_nop 0
	v_cndmask_b32_e32 v3, v7, v3, vcc
	v_and_b32_e32 v7, 7, v3
	v_cmp_lt_i32_e32 vcc, 5, v7
	v_lshrrev_b32_e32 v3, 2, v3
	s_nop 0
	v_cndmask_b32_e64 v9, 0, 1, vcc
	v_cmp_eq_u32_e32 vcc, 3, v7
	s_nop 1
	v_cndmask_b32_e64 v7, 0, 1, vcc
	v_or_b32_e32 v7, v7, v9
	v_add_u32_e32 v3, v3, v7
	v_mov_b32_e32 v7, 0x7c00
	v_cmp_gt_i32_e32 vcc, 31, v5
	v_mov_b32_e32 v9, 0x7e00
	s_nop 0
	v_cndmask_b32_e32 v3, v7, v3, vcc
	v_cmp_ne_u32_e32 vcc, 0, v2
	s_nop 1
	v_cndmask_b32_e32 v2, v7, v9, vcc
	v_cmp_eq_u32_e32 vcc, s0, v5
	s_mov_b32 s0, 0x8000
	s_nop 0
	v_cndmask_b32_e32 v2, v3, v2, vcc
	v_lshrrev_b32_e32 v3, 16, v1
	v_and_or_b32 v2, v3, s0, v2
	global_store_short v[20:21], v2, off
.LBB321_1759:
	s_mov_b64 s[0:1], 0
.LBB321_1760:
	s_andn2_b64 vcc, exec, s[0:1]
	s_cbranch_vccnz .LBB321_1776
; %bb.1761:
	s_cmp_lt_i32 s6, 2
	s_mov_b64 s[0:1], -1
	s_cbranch_scc1 .LBB321_1771
; %bb.1762:
	s_cmp_lt_i32 s6, 3
	s_cbranch_scc1 .LBB321_1768
; %bb.1763:
	s_cmp_gt_i32 s6, 3
	s_cbranch_scc0 .LBB321_1765
; %bb.1764:
	v_trunc_f64_e32 v[2:3], v[0:1]
	s_movk_i32 s0, 0xffe0
	v_ldexp_f64 v[22:23], v[2:3], s0
	v_floor_f64_e32 v[22:23], v[22:23]
	v_fmac_f64_e32 v[2:3], 0xc1f00000, v[22:23]
	v_cvt_i32_f64_e32 v25, v[22:23]
	v_cvt_u32_f64_e32 v24, v[2:3]
	global_store_dwordx2 v[20:21], v[24:25], off
	s_mov_b64 s[0:1], 0
.LBB321_1765:
	s_andn2_b64 vcc, exec, s[0:1]
	s_cbranch_vccnz .LBB321_1767
; %bb.1766:
	v_cvt_i32_f64_e32 v2, v[0:1]
	global_store_dword v[20:21], v2, off
.LBB321_1767:
	s_mov_b64 s[0:1], 0
.LBB321_1768:
	s_andn2_b64 vcc, exec, s[0:1]
	s_cbranch_vccnz .LBB321_1770
; %bb.1769:
	v_cvt_i32_f64_e32 v2, v[0:1]
	global_store_short v[20:21], v2, off
.LBB321_1770:
	s_mov_b64 s[0:1], 0
.LBB321_1771:
	s_andn2_b64 vcc, exec, s[0:1]
	s_cbranch_vccnz .LBB321_1776
; %bb.1772:
	s_cmp_gt_i32 s6, 0
	s_mov_b64 s[0:1], -1
	s_cbranch_scc0 .LBB321_1774
; %bb.1773:
	v_cvt_i32_f64_e32 v2, v[0:1]
	global_store_byte v[20:21], v2, off
	s_mov_b64 s[0:1], 0
.LBB321_1774:
	s_andn2_b64 vcc, exec, s[0:1]
	s_cbranch_vccnz .LBB321_1776
; %bb.1775:
	v_trunc_f64_e32 v[0:1], v[0:1]
	s_movk_i32 s0, 0xffe0
	v_ldexp_f64 v[2:3], v[0:1], s0
	v_floor_f64_e32 v[2:3], v[2:3]
	v_fmac_f64_e32 v[0:1], 0xc1f00000, v[2:3]
	v_cvt_u32_f64_e32 v0, v[0:1]
	global_store_byte v[20:21], v0, off
.LBB321_1776:
	s_mov_b64 s[8:9], -1
.LBB321_1777:
	s_andn2_b64 vcc, exec, s[8:9]
	s_cbranch_vccnz .LBB321_2092
; %bb.1778:
	v_max_f64 v[0:1], v[14:15], v[14:15]
	v_max_f64 v[0:1], v[0:1], v[16:17]
	v_min_f64 v[0:1], v[0:1], v[18:19]
	v_cmp_u_f64_e32 vcc, v[14:15], v[14:15]
	v_mov_b32_e32 v9, 0
	s_and_b32 s15, 0xffff, s14
	v_cndmask_b32_e32 v1, v1, v15, vcc
	v_cndmask_b32_e32 v0, v0, v14, vcc
	s_cmp_lt_i32 s15, 11
	v_lshl_add_u64 v[8:9], s[4:5], 0, v[8:9]
	s_cbranch_scc1 .LBB321_1856
; %bb.1779:
	s_mov_b64 s[10:11], -1
	s_mov_b64 s[6:7], 0
	s_cmp_gt_i32 s15, 25
	s_mov_b64 s[8:9], 0
	s_mov_b64 s[0:1], 0
	s_cbranch_scc0 .LBB321_1812
; %bb.1780:
	s_cmp_gt_i32 s15, 28
	s_cbranch_scc0 .LBB321_1795
; %bb.1781:
	s_cmp_gt_i32 s15, 43
	;; [unrolled: 3-line block ×3, first 2 shown]
	s_cbranch_scc0 .LBB321_1785
; %bb.1783:
	s_mov_b64 s[0:1], -1
	s_mov_b64 s[10:11], 0
	s_cmp_eq_u32 s15, 46
	s_cbranch_scc0 .LBB321_1785
; %bb.1784:
	v_cvt_f32_f64_e32 v2, v[0:1]
	v_bfe_u32 v3, v2, 16, 1
	s_movk_i32 s0, 0x7fff
	v_add3_u32 v3, v2, v3, s0
	v_cmp_o_f32_e32 vcc, v2, v2
	v_mov_b32_e32 v2, 0x7fc0
	s_mov_b64 s[0:1], 0
	v_cndmask_b32_sdwa v2, v2, v3, vcc dst_sel:DWORD dst_unused:UNUSED_PAD src0_sel:DWORD src1_sel:WORD_1
	global_store_dword v[8:9], v2, off
	s_mov_b64 s[8:9], -1
.LBB321_1785:
	s_and_b64 vcc, exec, s[10:11]
	s_cbranch_vccz .LBB321_1790
; %bb.1786:
	s_cmp_eq_u32 s15, 44
	s_mov_b64 s[0:1], -1
	s_cbranch_scc0 .LBB321_1790
; %bb.1787:
	v_cvt_f32_f64_e32 v2, v[0:1]
	v_bfe_u32 v3, v2, 23, 8
	s_movk_i32 s0, 0xff
	v_cmp_ne_u32_e32 vcc, s0, v3
	v_mov_b32_e32 v5, 0xff
	s_and_saveexec_b64 s[8:9], vcc
; %bb.1788:
	s_mov_b32 s0, 0x3fffff
	v_lshrrev_b32_e32 v5, 23, v2
	v_and_b32_e32 v7, 0x400000, v2
	v_and_or_b32 v2, v2, s0, v3
	v_cmp_ne_u32_e32 vcc, 0, v7
	v_cmp_ne_u32_e64 s[0:1], 0, v2
	s_and_b64 s[0:1], vcc, s[0:1]
	s_nop 0
	v_cndmask_b32_e64 v2, 0, 1, s[0:1]
	v_add_u32_e32 v5, v5, v2
; %bb.1789:
	s_or_b64 exec, exec, s[8:9]
	s_mov_b64 s[0:1], 0
	s_mov_b64 s[8:9], -1
	global_store_byte v[8:9], v5, off
.LBB321_1790:
	s_mov_b64 s[10:11], 0
.LBB321_1791:
	s_and_b64 vcc, exec, s[10:11]
	s_cbranch_vccz .LBB321_1794
; %bb.1792:
	s_cmp_eq_u32 s15, 29
	s_mov_b64 s[0:1], -1
	s_cbranch_scc0 .LBB321_1794
; %bb.1793:
	v_trunc_f64_e32 v[2:3], v[0:1]
	s_movk_i32 s0, 0xffe0
	v_ldexp_f64 v[14:15], v[2:3], s0
	v_floor_f64_e32 v[14:15], v[14:15]
	v_fmac_f64_e32 v[2:3], 0xc1f00000, v[14:15]
	v_cvt_u32_f64_e32 v21, v[14:15]
	v_cvt_u32_f64_e32 v20, v[2:3]
	global_store_dwordx2 v[8:9], v[20:21], off
	s_mov_b64 s[0:1], 0
	s_mov_b64 s[8:9], -1
.LBB321_1794:
	s_mov_b64 s[10:11], 0
.LBB321_1795:
	s_and_b64 vcc, exec, s[10:11]
	s_cbranch_vccz .LBB321_1811
; %bb.1796:
	s_cmp_lt_i32 s15, 27
	s_mov_b64 s[8:9], -1
	s_cbranch_scc1 .LBB321_1802
; %bb.1797:
	s_cmp_gt_i32 s15, 27
	s_cbranch_scc0 .LBB321_1799
; %bb.1798:
	v_cvt_u32_f64_e32 v2, v[0:1]
	s_mov_b64 s[8:9], 0
	global_store_dword v[8:9], v2, off
.LBB321_1799:
	s_andn2_b64 vcc, exec, s[8:9]
	s_cbranch_vccnz .LBB321_1801
; %bb.1800:
	v_cvt_u32_f64_e32 v2, v[0:1]
	global_store_short v[8:9], v2, off
.LBB321_1801:
	s_mov_b64 s[8:9], 0
.LBB321_1802:
	s_andn2_b64 vcc, exec, s[8:9]
	s_cbranch_vccnz .LBB321_1810
; %bb.1803:
	v_cvt_f32_f64_e32 v2, v[0:1]
	v_and_b32_e32 v3, 0x7fffffff, v2
	s_mov_b32 s8, 0x43800000
	v_cmp_gt_u32_e32 vcc, s8, v3
	v_mov_b32_e32 v5, 0x80
	s_and_saveexec_b64 s[8:9], vcc
	s_cbranch_execz .LBB321_1809
; %bb.1804:
	s_mov_b32 s10, 0x3bffffff
	v_cmp_lt_u32_e32 vcc, s10, v3
	s_mov_b64 s[10:11], 0
                                        ; implicit-def: $vgpr3
	s_and_saveexec_b64 s[12:13], vcc
	s_xor_b64 s[12:13], exec, s[12:13]
	s_cbranch_execz .LBB321_2144
; %bb.1805:
	v_bfe_u32 v3, v2, 20, 1
	s_mov_b32 s16, 0x487ffff
	v_add3_u32 v3, v2, v3, s16
	s_mov_b64 s[10:11], exec
	v_lshrrev_b32_e32 v3, 20, v3
	s_andn2_saveexec_b64 s[12:13], s[12:13]
	s_cbranch_execnz .LBB321_2145
.LBB321_1806:
	s_or_b64 exec, exec, s[12:13]
	v_mov_b32_e32 v5, 0
	s_and_saveexec_b64 s[12:13], s[10:11]
.LBB321_1807:
	v_lshrrev_b32_e32 v2, 24, v2
	s_movk_i32 s10, 0x80
	v_and_or_b32 v5, v2, s10, v3
.LBB321_1808:
	s_or_b64 exec, exec, s[12:13]
.LBB321_1809:
	s_or_b64 exec, exec, s[8:9]
	global_store_byte v[8:9], v5, off
.LBB321_1810:
	s_mov_b64 s[8:9], -1
.LBB321_1811:
	s_mov_b64 s[10:11], 0
.LBB321_1812:
	s_and_b64 vcc, exec, s[10:11]
	s_cbranch_vccz .LBB321_1852
; %bb.1813:
	s_cmp_gt_i32 s15, 22
	s_mov_b64 s[6:7], -1
	s_cbranch_scc0 .LBB321_1845
; %bb.1814:
	s_cmp_lt_i32 s15, 24
	s_cbranch_scc1 .LBB321_1834
; %bb.1815:
	s_cmp_gt_i32 s15, 24
	s_cbranch_scc0 .LBB321_1823
; %bb.1816:
	v_cvt_f32_f64_e32 v2, v[0:1]
	v_and_b32_e32 v3, 0x7fffffff, v2
	s_mov_b32 s6, 0x47800000
	v_cmp_gt_u32_e32 vcc, s6, v3
	v_mov_b32_e32 v5, 0x80
	s_and_saveexec_b64 s[6:7], vcc
	s_cbranch_execz .LBB321_1822
; %bb.1817:
	s_mov_b32 s8, 0x37ffffff
	v_cmp_lt_u32_e32 vcc, s8, v3
	s_mov_b64 s[8:9], 0
                                        ; implicit-def: $vgpr3
	s_and_saveexec_b64 s[10:11], vcc
	s_xor_b64 s[10:11], exec, s[10:11]
	s_cbranch_execz .LBB321_2147
; %bb.1818:
	v_bfe_u32 v3, v2, 21, 1
	s_mov_b32 s12, 0x88fffff
	v_add3_u32 v3, v2, v3, s12
	s_mov_b64 s[8:9], exec
	v_lshrrev_b32_e32 v3, 21, v3
	s_andn2_saveexec_b64 s[10:11], s[10:11]
	s_cbranch_execnz .LBB321_2148
.LBB321_1819:
	s_or_b64 exec, exec, s[10:11]
	v_mov_b32_e32 v5, 0
	s_and_saveexec_b64 s[10:11], s[8:9]
.LBB321_1820:
	v_lshrrev_b32_e32 v2, 24, v2
	s_movk_i32 s8, 0x80
	v_and_or_b32 v5, v2, s8, v3
.LBB321_1821:
	s_or_b64 exec, exec, s[10:11]
.LBB321_1822:
	s_or_b64 exec, exec, s[6:7]
	s_mov_b64 s[6:7], 0
	global_store_byte v[8:9], v5, off
.LBB321_1823:
	s_and_b64 vcc, exec, s[6:7]
	s_cbranch_vccz .LBB321_1833
; %bb.1824:
	v_cvt_f32_f64_e32 v2, v[0:1]
	v_and_b32_e32 v5, 0x7fffffff, v2
	s_mov_b32 s6, 0x43f00000
	v_cmp_gt_u32_e32 vcc, s6, v5
                                        ; implicit-def: $vgpr3
	s_and_saveexec_b64 s[6:7], vcc
	s_xor_b64 s[6:7], exec, s[6:7]
	s_cbranch_execz .LBB321_1830
; %bb.1825:
	s_mov_b32 s8, 0x3c7fffff
	v_cmp_lt_u32_e32 vcc, s8, v5
                                        ; implicit-def: $vgpr3
	s_and_saveexec_b64 s[8:9], vcc
	s_xor_b64 s[8:9], exec, s[8:9]
; %bb.1826:
	v_bfe_u32 v3, v2, 20, 1
	s_mov_b32 s10, 0x407ffff
	v_add3_u32 v3, v2, v3, s10
	v_lshrrev_b32_e32 v5, 20, v3
	v_and_b32_e32 v3, 0xff00000, v3
	s_mov_b32 s10, 0x7f00000
	v_mov_b32_e32 v7, 0x7e
	v_cmp_ne_u32_e32 vcc, s10, v3
	s_nop 1
	v_cndmask_b32_e32 v3, v7, v5, vcc
; %bb.1827:
	s_andn2_saveexec_b64 s[8:9], s[8:9]
; %bb.1828:
	s_mov_b32 s10, 0x46800000
	v_add_f32_e64 v3, |v2|, s10
; %bb.1829:
	s_or_b64 exec, exec, s[8:9]
                                        ; implicit-def: $vgpr5
.LBB321_1830:
	s_andn2_saveexec_b64 s[6:7], s[6:7]
; %bb.1831:
	s_mov_b32 s8, 0x7f800000
	v_mov_b32_e32 v3, 0x7e
	v_mov_b32_e32 v7, 0x7f
	v_cmp_lt_u32_e32 vcc, s8, v5
	s_nop 1
	v_cndmask_b32_e32 v3, v3, v7, vcc
; %bb.1832:
	s_or_b64 exec, exec, s[6:7]
	v_lshrrev_b32_e32 v2, 24, v2
	s_movk_i32 s6, 0x80
	v_and_or_b32 v2, v2, s6, v3
	global_store_byte v[8:9], v2, off
.LBB321_1833:
	s_mov_b64 s[6:7], 0
.LBB321_1834:
	s_andn2_b64 vcc, exec, s[6:7]
	s_cbranch_vccnz .LBB321_1844
; %bb.1835:
	v_cvt_f32_f64_e32 v2, v[0:1]
	v_and_b32_e32 v5, 0x7fffffff, v2
	s_mov_b32 s6, 0x47800000
	v_cmp_gt_u32_e32 vcc, s6, v5
                                        ; implicit-def: $vgpr3
	s_and_saveexec_b64 s[6:7], vcc
	s_xor_b64 s[6:7], exec, s[6:7]
	s_cbranch_execz .LBB321_1841
; %bb.1836:
	s_mov_b32 s8, 0x387fffff
	v_cmp_lt_u32_e32 vcc, s8, v5
                                        ; implicit-def: $vgpr3
	s_and_saveexec_b64 s[8:9], vcc
	s_xor_b64 s[8:9], exec, s[8:9]
; %bb.1837:
	v_bfe_u32 v3, v2, 21, 1
	s_mov_b32 s10, 0x80fffff
	v_add3_u32 v3, v2, v3, s10
	v_lshrrev_b32_e32 v3, 21, v3
; %bb.1838:
	s_andn2_saveexec_b64 s[8:9], s[8:9]
; %bb.1839:
	s_mov_b32 s10, 0x43000000
	v_add_f32_e64 v3, |v2|, s10
; %bb.1840:
	s_or_b64 exec, exec, s[8:9]
                                        ; implicit-def: $vgpr5
.LBB321_1841:
	s_andn2_saveexec_b64 s[6:7], s[6:7]
; %bb.1842:
	s_mov_b32 s8, 0x7f800000
	v_mov_b32_e32 v3, 0x7c
	v_mov_b32_e32 v7, 0x7f
	v_cmp_lt_u32_e32 vcc, s8, v5
	s_nop 1
	v_cndmask_b32_e32 v3, v3, v7, vcc
; %bb.1843:
	s_or_b64 exec, exec, s[6:7]
	v_lshrrev_b32_e32 v2, 24, v2
	s_movk_i32 s6, 0x80
	v_and_or_b32 v2, v2, s6, v3
	global_store_byte v[8:9], v2, off
.LBB321_1844:
	s_mov_b64 s[6:7], 0
	s_mov_b64 s[8:9], -1
.LBB321_1845:
	s_andn2_b64 vcc, exec, s[6:7]
	s_mov_b64 s[6:7], 0
	s_cbranch_vccnz .LBB321_1852
; %bb.1846:
	s_cmp_gt_i32 s15, 14
	s_mov_b64 s[10:11], -1
	s_cbranch_scc0 .LBB321_1850
; %bb.1847:
	s_cmp_eq_u32 s15, 15
	s_mov_b64 s[0:1], -1
	s_cbranch_scc0 .LBB321_1849
; %bb.1848:
	v_cvt_f32_f64_e32 v2, v[0:1]
	v_bfe_u32 v3, v2, 16, 1
	s_movk_i32 s0, 0x7fff
	v_add3_u32 v3, v2, v3, s0
	v_cmp_o_f32_e32 vcc, v2, v2
	v_mov_b32_e32 v2, 0x7fc0
	s_mov_b64 s[0:1], 0
	v_cndmask_b32_sdwa v2, v2, v3, vcc dst_sel:DWORD dst_unused:UNUSED_PAD src0_sel:DWORD src1_sel:WORD_1
	global_store_short v[8:9], v2, off
	s_mov_b64 s[8:9], -1
.LBB321_1849:
	s_mov_b64 s[10:11], 0
.LBB321_1850:
	s_and_b64 vcc, exec, s[10:11]
	s_cbranch_vccz .LBB321_1852
; %bb.1851:
	s_cmp_lg_u32 s15, 11
	s_mov_b64 s[6:7], -1
	s_cselect_b64 s[0:1], -1, 0
.LBB321_1852:
	s_and_b64 vcc, exec, s[0:1]
	s_cbranch_vccnz .LBB321_2146
; %bb.1853:
	s_andn2_b64 vcc, exec, s[6:7]
	s_cbranch_vccnz .LBB321_1855
.LBB321_1854:
	v_cmp_neq_f64_e32 vcc, 0, v[0:1]
	s_mov_b64 s[8:9], -1
	s_nop 0
	v_cndmask_b32_e64 v2, 0, 1, vcc
	global_store_byte v[8:9], v2, off
.LBB321_1855:
	s_mov_b64 s[0:1], 0
	s_branch .LBB321_1857
.LBB321_1856:
	s_mov_b64 s[0:1], -1
	s_mov_b64 s[8:9], 0
.LBB321_1857:
	s_and_b64 vcc, exec, s[0:1]
	s_cbranch_vccz .LBB321_1896
; %bb.1858:
	s_cmp_lt_i32 s15, 5
	s_mov_b64 s[0:1], -1
	s_cbranch_scc1 .LBB321_1879
; %bb.1859:
	s_cmp_lt_i32 s15, 8
	s_cbranch_scc1 .LBB321_1869
; %bb.1860:
	s_cmp_lt_i32 s15, 9
	s_cbranch_scc1 .LBB321_1866
; %bb.1861:
	s_cmp_gt_i32 s15, 9
	s_cbranch_scc0 .LBB321_1863
; %bb.1862:
	v_mov_b32_e32 v2, 0
	v_mov_b32_e32 v3, v2
	global_store_dwordx4 v[8:9], v[0:3], off
	s_mov_b64 s[0:1], 0
.LBB321_1863:
	s_andn2_b64 vcc, exec, s[0:1]
	s_cbranch_vccnz .LBB321_1865
; %bb.1864:
	v_cvt_f32_f64_e32 v2, v[0:1]
	v_mov_b32_e32 v3, 0
	global_store_dwordx2 v[8:9], v[2:3], off
.LBB321_1865:
	s_mov_b64 s[0:1], 0
.LBB321_1866:
	s_andn2_b64 vcc, exec, s[0:1]
	s_cbranch_vccnz .LBB321_1868
; %bb.1867:
	s_movk_i32 s0, 0x1ff
	v_and_or_b32 v2, v1, s0, v0
	v_cmp_ne_u32_e32 vcc, 0, v2
	v_lshrrev_b32_e32 v3, 8, v1
	s_movk_i32 s0, 0xffe
	v_cndmask_b32_e64 v2, 0, 1, vcc
	v_bfe_u32 v5, v1, 20, 11
	v_and_or_b32 v2, v3, s0, v2
	v_sub_u32_e32 v7, 0x3f1, v5
	v_or_b32_e32 v3, 0x1000, v2
	v_med3_i32 v7, v7, 0, 13
	v_lshrrev_b32_e32 v14, v7, v3
	v_lshlrev_b32_e32 v7, v7, v14
	v_cmp_ne_u32_e32 vcc, v7, v3
	v_add_u32_e32 v5, 0xfffffc10, v5
	v_lshl_or_b32 v7, v5, 12, v2
	v_cndmask_b32_e64 v3, 0, 1, vcc
	v_or_b32_e32 v3, v14, v3
	v_cmp_gt_i32_e32 vcc, 1, v5
	s_movk_i32 s0, 0x40f
	s_nop 0
	v_cndmask_b32_e32 v3, v7, v3, vcc
	v_and_b32_e32 v7, 7, v3
	v_cmp_lt_i32_e32 vcc, 5, v7
	v_lshrrev_b32_e32 v3, 2, v3
	s_nop 0
	v_cndmask_b32_e64 v14, 0, 1, vcc
	v_cmp_eq_u32_e32 vcc, 3, v7
	s_nop 1
	v_cndmask_b32_e64 v7, 0, 1, vcc
	v_or_b32_e32 v7, v7, v14
	v_add_u32_e32 v3, v3, v7
	v_mov_b32_e32 v7, 0x7c00
	v_cmp_gt_i32_e32 vcc, 31, v5
	v_mov_b32_e32 v14, 0x7e00
	s_nop 0
	v_cndmask_b32_e32 v3, v7, v3, vcc
	v_cmp_ne_u32_e32 vcc, 0, v2
	s_nop 1
	v_cndmask_b32_e32 v2, v7, v14, vcc
	v_cmp_eq_u32_e32 vcc, s0, v5
	s_mov_b32 s0, 0x8000
	s_nop 0
	v_cndmask_b32_e32 v2, v3, v2, vcc
	v_and_b32_sdwa v3, v1, s0 dst_sel:DWORD dst_unused:UNUSED_PAD src0_sel:WORD_1 src1_sel:DWORD
	s_mov_b32 s0, 0xffff
	v_bitop3_b32 v2, v3, s0, v2 bitop3:0xc8
	global_store_dword v[8:9], v2, off
.LBB321_1868:
	s_mov_b64 s[0:1], 0
.LBB321_1869:
	s_andn2_b64 vcc, exec, s[0:1]
	s_cbranch_vccnz .LBB321_1878
; %bb.1870:
	s_cmp_lt_i32 s15, 6
	s_mov_b64 s[0:1], -1
	s_cbranch_scc1 .LBB321_1876
; %bb.1871:
	s_cmp_gt_i32 s15, 6
	s_cbranch_scc0 .LBB321_1873
; %bb.1872:
	global_store_dwordx2 v[8:9], v[0:1], off
	s_mov_b64 s[0:1], 0
.LBB321_1873:
	s_andn2_b64 vcc, exec, s[0:1]
	s_cbranch_vccnz .LBB321_1875
; %bb.1874:
	v_cvt_f32_f64_e32 v2, v[0:1]
	global_store_dword v[8:9], v2, off
.LBB321_1875:
	s_mov_b64 s[0:1], 0
.LBB321_1876:
	s_andn2_b64 vcc, exec, s[0:1]
	s_cbranch_vccnz .LBB321_1878
; %bb.1877:
	s_movk_i32 s0, 0x1ff
	v_and_or_b32 v2, v1, s0, v0
	v_cmp_ne_u32_e32 vcc, 0, v2
	v_lshrrev_b32_e32 v3, 8, v1
	s_movk_i32 s0, 0xffe
	v_cndmask_b32_e64 v2, 0, 1, vcc
	v_bfe_u32 v5, v1, 20, 11
	v_and_or_b32 v2, v3, s0, v2
	v_sub_u32_e32 v7, 0x3f1, v5
	v_or_b32_e32 v3, 0x1000, v2
	v_med3_i32 v7, v7, 0, 13
	v_lshrrev_b32_e32 v14, v7, v3
	v_lshlrev_b32_e32 v7, v7, v14
	v_cmp_ne_u32_e32 vcc, v7, v3
	v_add_u32_e32 v5, 0xfffffc10, v5
	v_lshl_or_b32 v7, v5, 12, v2
	v_cndmask_b32_e64 v3, 0, 1, vcc
	v_or_b32_e32 v3, v14, v3
	v_cmp_gt_i32_e32 vcc, 1, v5
	s_movk_i32 s0, 0x40f
	s_nop 0
	v_cndmask_b32_e32 v3, v7, v3, vcc
	v_and_b32_e32 v7, 7, v3
	v_cmp_lt_i32_e32 vcc, 5, v7
	v_lshrrev_b32_e32 v3, 2, v3
	s_nop 0
	v_cndmask_b32_e64 v14, 0, 1, vcc
	v_cmp_eq_u32_e32 vcc, 3, v7
	s_nop 1
	v_cndmask_b32_e64 v7, 0, 1, vcc
	v_or_b32_e32 v7, v7, v14
	v_add_u32_e32 v3, v3, v7
	v_mov_b32_e32 v7, 0x7c00
	v_cmp_gt_i32_e32 vcc, 31, v5
	v_mov_b32_e32 v14, 0x7e00
	s_nop 0
	v_cndmask_b32_e32 v3, v7, v3, vcc
	v_cmp_ne_u32_e32 vcc, 0, v2
	s_nop 1
	v_cndmask_b32_e32 v2, v7, v14, vcc
	v_cmp_eq_u32_e32 vcc, s0, v5
	s_mov_b32 s0, 0x8000
	s_nop 0
	v_cndmask_b32_e32 v2, v3, v2, vcc
	v_lshrrev_b32_e32 v3, 16, v1
	v_and_or_b32 v2, v3, s0, v2
	global_store_short v[8:9], v2, off
.LBB321_1878:
	s_mov_b64 s[0:1], 0
.LBB321_1879:
	s_andn2_b64 vcc, exec, s[0:1]
	s_cbranch_vccnz .LBB321_1895
; %bb.1880:
	s_cmp_lt_i32 s15, 2
	s_mov_b64 s[0:1], -1
	s_cbranch_scc1 .LBB321_1890
; %bb.1881:
	s_cmp_lt_i32 s15, 3
	s_cbranch_scc1 .LBB321_1887
; %bb.1882:
	s_cmp_gt_i32 s15, 3
	s_cbranch_scc0 .LBB321_1884
; %bb.1883:
	v_trunc_f64_e32 v[2:3], v[0:1]
	s_movk_i32 s0, 0xffe0
	v_ldexp_f64 v[14:15], v[2:3], s0
	v_floor_f64_e32 v[14:15], v[14:15]
	v_fmac_f64_e32 v[2:3], 0xc1f00000, v[14:15]
	v_cvt_i32_f64_e32 v21, v[14:15]
	v_cvt_u32_f64_e32 v20, v[2:3]
	global_store_dwordx2 v[8:9], v[20:21], off
	s_mov_b64 s[0:1], 0
.LBB321_1884:
	s_andn2_b64 vcc, exec, s[0:1]
	s_cbranch_vccnz .LBB321_1886
; %bb.1885:
	v_cvt_i32_f64_e32 v2, v[0:1]
	global_store_dword v[8:9], v2, off
.LBB321_1886:
	s_mov_b64 s[0:1], 0
.LBB321_1887:
	s_andn2_b64 vcc, exec, s[0:1]
	s_cbranch_vccnz .LBB321_1889
; %bb.1888:
	v_cvt_i32_f64_e32 v2, v[0:1]
	global_store_short v[8:9], v2, off
.LBB321_1889:
	s_mov_b64 s[0:1], 0
.LBB321_1890:
	s_andn2_b64 vcc, exec, s[0:1]
	s_cbranch_vccnz .LBB321_1895
; %bb.1891:
	s_cmp_gt_i32 s15, 0
	s_mov_b64 s[0:1], -1
	s_cbranch_scc0 .LBB321_1893
; %bb.1892:
	v_cvt_i32_f64_e32 v2, v[0:1]
	global_store_byte v[8:9], v2, off
	s_mov_b64 s[0:1], 0
.LBB321_1893:
	s_andn2_b64 vcc, exec, s[0:1]
	s_cbranch_vccnz .LBB321_1895
; %bb.1894:
	v_trunc_f64_e32 v[0:1], v[0:1]
	s_movk_i32 s0, 0xffe0
	v_ldexp_f64 v[2:3], v[0:1], s0
	v_floor_f64_e32 v[2:3], v[2:3]
	v_fmac_f64_e32 v[0:1], 0xc1f00000, v[2:3]
	v_cvt_u32_f64_e32 v0, v[0:1]
	global_store_byte v[8:9], v0, off
.LBB321_1895:
	s_mov_b64 s[8:9], -1
.LBB321_1896:
	s_andn2_b64 vcc, exec, s[8:9]
	s_cbranch_vccnz .LBB321_2092
; %bb.1897:
	v_max_f64 v[0:1], v[12:13], v[12:13]
	v_max_f64 v[0:1], v[0:1], v[16:17]
	v_min_f64 v[0:1], v[0:1], v[18:19]
	v_cmp_u_f64_e32 vcc, v[12:13], v[12:13]
	v_mov_b32_e32 v7, 0
	s_cmp_lt_i32 s15, 11
	v_cndmask_b32_e32 v1, v1, v13, vcc
	v_cndmask_b32_e32 v0, v0, v12, vcc
	v_lshl_add_u64 v[6:7], s[4:5], 0, v[6:7]
	s_cbranch_scc1 .LBB321_1975
; %bb.1898:
	s_mov_b64 s[10:11], -1
	s_mov_b64 s[6:7], 0
	s_cmp_gt_i32 s15, 25
	s_mov_b64 s[8:9], 0
	s_mov_b64 s[0:1], 0
	s_cbranch_scc0 .LBB321_1931
; %bb.1899:
	s_cmp_gt_i32 s15, 28
	s_cbranch_scc0 .LBB321_1914
; %bb.1900:
	s_cmp_gt_i32 s15, 43
	;; [unrolled: 3-line block ×3, first 2 shown]
	s_cbranch_scc0 .LBB321_1904
; %bb.1902:
	s_mov_b64 s[0:1], -1
	s_mov_b64 s[10:11], 0
	s_cmp_eq_u32 s15, 46
	s_cbranch_scc0 .LBB321_1904
; %bb.1903:
	v_cvt_f32_f64_e32 v2, v[0:1]
	v_bfe_u32 v3, v2, 16, 1
	s_movk_i32 s0, 0x7fff
	v_add3_u32 v3, v2, v3, s0
	v_cmp_o_f32_e32 vcc, v2, v2
	v_mov_b32_e32 v2, 0x7fc0
	s_mov_b64 s[0:1], 0
	v_cndmask_b32_sdwa v2, v2, v3, vcc dst_sel:DWORD dst_unused:UNUSED_PAD src0_sel:DWORD src1_sel:WORD_1
	global_store_dword v[6:7], v2, off
	s_mov_b64 s[8:9], -1
.LBB321_1904:
	s_and_b64 vcc, exec, s[10:11]
	s_cbranch_vccz .LBB321_1909
; %bb.1905:
	s_cmp_eq_u32 s15, 44
	s_mov_b64 s[0:1], -1
	s_cbranch_scc0 .LBB321_1909
; %bb.1906:
	v_cvt_f32_f64_e32 v2, v[0:1]
	v_bfe_u32 v3, v2, 23, 8
	s_movk_i32 s0, 0xff
	v_cmp_ne_u32_e32 vcc, s0, v3
	v_mov_b32_e32 v5, 0xff
	s_and_saveexec_b64 s[8:9], vcc
; %bb.1907:
	s_mov_b32 s0, 0x3fffff
	v_lshrrev_b32_e32 v5, 23, v2
	v_and_b32_e32 v8, 0x400000, v2
	v_and_or_b32 v2, v2, s0, v3
	v_cmp_ne_u32_e32 vcc, 0, v8
	v_cmp_ne_u32_e64 s[0:1], 0, v2
	s_and_b64 s[0:1], vcc, s[0:1]
	s_nop 0
	v_cndmask_b32_e64 v2, 0, 1, s[0:1]
	v_add_u32_e32 v5, v5, v2
; %bb.1908:
	s_or_b64 exec, exec, s[8:9]
	s_mov_b64 s[0:1], 0
	s_mov_b64 s[8:9], -1
	global_store_byte v[6:7], v5, off
.LBB321_1909:
	s_mov_b64 s[10:11], 0
.LBB321_1910:
	s_and_b64 vcc, exec, s[10:11]
	s_cbranch_vccz .LBB321_1913
; %bb.1911:
	s_cmp_eq_u32 s15, 29
	s_mov_b64 s[0:1], -1
	s_cbranch_scc0 .LBB321_1913
; %bb.1912:
	v_trunc_f64_e32 v[2:3], v[0:1]
	s_movk_i32 s0, 0xffe0
	v_ldexp_f64 v[8:9], v[2:3], s0
	v_floor_f64_e32 v[8:9], v[8:9]
	v_fmac_f64_e32 v[2:3], 0xc1f00000, v[8:9]
	v_cvt_u32_f64_e32 v13, v[8:9]
	v_cvt_u32_f64_e32 v12, v[2:3]
	global_store_dwordx2 v[6:7], v[12:13], off
	s_mov_b64 s[0:1], 0
	s_mov_b64 s[8:9], -1
.LBB321_1913:
	s_mov_b64 s[10:11], 0
.LBB321_1914:
	s_and_b64 vcc, exec, s[10:11]
	s_cbranch_vccz .LBB321_1930
; %bb.1915:
	s_cmp_lt_i32 s15, 27
	s_mov_b64 s[8:9], -1
	s_cbranch_scc1 .LBB321_1921
; %bb.1916:
	s_cmp_gt_i32 s15, 27
	v_cvt_u32_f64_e32 v2, v[0:1]
	s_cbranch_scc0 .LBB321_1918
; %bb.1917:
	s_mov_b64 s[8:9], 0
	global_store_dword v[6:7], v2, off
.LBB321_1918:
	s_andn2_b64 vcc, exec, s[8:9]
	s_cbranch_vccnz .LBB321_1920
; %bb.1919:
	global_store_short v[6:7], v2, off
.LBB321_1920:
	s_mov_b64 s[8:9], 0
.LBB321_1921:
	s_andn2_b64 vcc, exec, s[8:9]
	s_cbranch_vccnz .LBB321_1929
; %bb.1922:
	v_cvt_f32_f64_e32 v2, v[0:1]
	v_and_b32_e32 v3, 0x7fffffff, v2
	s_mov_b32 s8, 0x43800000
	v_cmp_gt_u32_e32 vcc, s8, v3
	v_mov_b32_e32 v5, 0x80
	s_and_saveexec_b64 s[8:9], vcc
	s_cbranch_execz .LBB321_1928
; %bb.1923:
	s_mov_b32 s10, 0x3bffffff
	v_cmp_lt_u32_e32 vcc, s10, v3
	s_mov_b64 s[10:11], 0
                                        ; implicit-def: $vgpr3
	s_and_saveexec_b64 s[12:13], vcc
	s_xor_b64 s[12:13], exec, s[12:13]
	s_cbranch_execz .LBB321_2149
; %bb.1924:
	v_bfe_u32 v3, v2, 20, 1
	s_mov_b32 s16, 0x487ffff
	v_add3_u32 v3, v2, v3, s16
	s_mov_b64 s[10:11], exec
	v_lshrrev_b32_e32 v3, 20, v3
	s_andn2_saveexec_b64 s[12:13], s[12:13]
	s_cbranch_execnz .LBB321_2150
.LBB321_1925:
	s_or_b64 exec, exec, s[12:13]
	v_mov_b32_e32 v5, 0
	s_and_saveexec_b64 s[12:13], s[10:11]
.LBB321_1926:
	v_lshrrev_b32_e32 v2, 24, v2
	s_movk_i32 s10, 0x80
	v_and_or_b32 v5, v2, s10, v3
.LBB321_1927:
	s_or_b64 exec, exec, s[12:13]
.LBB321_1928:
	s_or_b64 exec, exec, s[8:9]
	global_store_byte v[6:7], v5, off
.LBB321_1929:
	s_mov_b64 s[8:9], -1
.LBB321_1930:
	s_mov_b64 s[10:11], 0
.LBB321_1931:
	s_and_b64 vcc, exec, s[10:11]
	s_cbranch_vccz .LBB321_1971
; %bb.1932:
	s_cmp_gt_i32 s15, 22
	s_mov_b64 s[6:7], -1
	s_cbranch_scc0 .LBB321_1964
; %bb.1933:
	s_cmp_lt_i32 s15, 24
	s_cbranch_scc1 .LBB321_1953
; %bb.1934:
	s_cmp_gt_i32 s15, 24
	s_cbranch_scc0 .LBB321_1942
; %bb.1935:
	v_cvt_f32_f64_e32 v2, v[0:1]
	v_and_b32_e32 v3, 0x7fffffff, v2
	s_mov_b32 s6, 0x47800000
	v_cmp_gt_u32_e32 vcc, s6, v3
	v_mov_b32_e32 v5, 0x80
	s_and_saveexec_b64 s[6:7], vcc
	s_cbranch_execz .LBB321_1941
; %bb.1936:
	s_mov_b32 s8, 0x37ffffff
	v_cmp_lt_u32_e32 vcc, s8, v3
	s_mov_b64 s[8:9], 0
                                        ; implicit-def: $vgpr3
	s_and_saveexec_b64 s[10:11], vcc
	s_xor_b64 s[10:11], exec, s[10:11]
	s_cbranch_execz .LBB321_2152
; %bb.1937:
	v_bfe_u32 v3, v2, 21, 1
	s_mov_b32 s12, 0x88fffff
	v_add3_u32 v3, v2, v3, s12
	s_mov_b64 s[8:9], exec
	v_lshrrev_b32_e32 v3, 21, v3
	s_andn2_saveexec_b64 s[10:11], s[10:11]
	s_cbranch_execnz .LBB321_2153
.LBB321_1938:
	s_or_b64 exec, exec, s[10:11]
	v_mov_b32_e32 v5, 0
	s_and_saveexec_b64 s[10:11], s[8:9]
.LBB321_1939:
	v_lshrrev_b32_e32 v2, 24, v2
	s_movk_i32 s8, 0x80
	v_and_or_b32 v5, v2, s8, v3
.LBB321_1940:
	s_or_b64 exec, exec, s[10:11]
.LBB321_1941:
	s_or_b64 exec, exec, s[6:7]
	s_mov_b64 s[6:7], 0
	global_store_byte v[6:7], v5, off
.LBB321_1942:
	s_and_b64 vcc, exec, s[6:7]
	s_cbranch_vccz .LBB321_1952
; %bb.1943:
	v_cvt_f32_f64_e32 v2, v[0:1]
	v_and_b32_e32 v5, 0x7fffffff, v2
	s_mov_b32 s6, 0x43f00000
	v_cmp_gt_u32_e32 vcc, s6, v5
                                        ; implicit-def: $vgpr3
	s_and_saveexec_b64 s[6:7], vcc
	s_xor_b64 s[6:7], exec, s[6:7]
	s_cbranch_execz .LBB321_1949
; %bb.1944:
	s_mov_b32 s8, 0x3c7fffff
	v_cmp_lt_u32_e32 vcc, s8, v5
                                        ; implicit-def: $vgpr3
	s_and_saveexec_b64 s[8:9], vcc
	s_xor_b64 s[8:9], exec, s[8:9]
; %bb.1945:
	v_bfe_u32 v3, v2, 20, 1
	s_mov_b32 s10, 0x407ffff
	v_add3_u32 v3, v2, v3, s10
	v_lshrrev_b32_e32 v5, 20, v3
	v_and_b32_e32 v3, 0xff00000, v3
	s_mov_b32 s10, 0x7f00000
	v_mov_b32_e32 v8, 0x7e
	v_cmp_ne_u32_e32 vcc, s10, v3
	s_nop 1
	v_cndmask_b32_e32 v3, v8, v5, vcc
; %bb.1946:
	s_andn2_saveexec_b64 s[8:9], s[8:9]
; %bb.1947:
	s_mov_b32 s10, 0x46800000
	v_add_f32_e64 v3, |v2|, s10
; %bb.1948:
	s_or_b64 exec, exec, s[8:9]
                                        ; implicit-def: $vgpr5
.LBB321_1949:
	s_andn2_saveexec_b64 s[6:7], s[6:7]
; %bb.1950:
	s_mov_b32 s8, 0x7f800000
	v_mov_b32_e32 v3, 0x7e
	v_mov_b32_e32 v8, 0x7f
	v_cmp_lt_u32_e32 vcc, s8, v5
	s_nop 1
	v_cndmask_b32_e32 v3, v3, v8, vcc
; %bb.1951:
	s_or_b64 exec, exec, s[6:7]
	v_lshrrev_b32_e32 v2, 24, v2
	s_movk_i32 s6, 0x80
	v_and_or_b32 v2, v2, s6, v3
	global_store_byte v[6:7], v2, off
.LBB321_1952:
	s_mov_b64 s[6:7], 0
.LBB321_1953:
	s_andn2_b64 vcc, exec, s[6:7]
	s_cbranch_vccnz .LBB321_1963
; %bb.1954:
	v_cvt_f32_f64_e32 v2, v[0:1]
	v_and_b32_e32 v5, 0x7fffffff, v2
	s_mov_b32 s6, 0x47800000
	v_cmp_gt_u32_e32 vcc, s6, v5
                                        ; implicit-def: $vgpr3
	s_and_saveexec_b64 s[6:7], vcc
	s_xor_b64 s[6:7], exec, s[6:7]
	s_cbranch_execz .LBB321_1960
; %bb.1955:
	s_mov_b32 s8, 0x387fffff
	v_cmp_lt_u32_e32 vcc, s8, v5
                                        ; implicit-def: $vgpr3
	s_and_saveexec_b64 s[8:9], vcc
	s_xor_b64 s[8:9], exec, s[8:9]
; %bb.1956:
	v_bfe_u32 v3, v2, 21, 1
	s_mov_b32 s10, 0x80fffff
	v_add3_u32 v3, v2, v3, s10
	v_lshrrev_b32_e32 v3, 21, v3
; %bb.1957:
	s_andn2_saveexec_b64 s[8:9], s[8:9]
; %bb.1958:
	s_mov_b32 s10, 0x43000000
	v_add_f32_e64 v3, |v2|, s10
; %bb.1959:
	s_or_b64 exec, exec, s[8:9]
                                        ; implicit-def: $vgpr5
.LBB321_1960:
	s_andn2_saveexec_b64 s[6:7], s[6:7]
; %bb.1961:
	s_mov_b32 s8, 0x7f800000
	v_mov_b32_e32 v3, 0x7c
	v_mov_b32_e32 v8, 0x7f
	v_cmp_lt_u32_e32 vcc, s8, v5
	s_nop 1
	v_cndmask_b32_e32 v3, v3, v8, vcc
; %bb.1962:
	s_or_b64 exec, exec, s[6:7]
	v_lshrrev_b32_e32 v2, 24, v2
	s_movk_i32 s6, 0x80
	v_and_or_b32 v2, v2, s6, v3
	global_store_byte v[6:7], v2, off
.LBB321_1963:
	s_mov_b64 s[6:7], 0
	s_mov_b64 s[8:9], -1
.LBB321_1964:
	s_andn2_b64 vcc, exec, s[6:7]
	s_mov_b64 s[6:7], 0
	s_cbranch_vccnz .LBB321_1971
; %bb.1965:
	s_cmp_gt_i32 s15, 14
	s_mov_b64 s[10:11], -1
	s_cbranch_scc0 .LBB321_1969
; %bb.1966:
	s_cmp_eq_u32 s15, 15
	s_mov_b64 s[0:1], -1
	s_cbranch_scc0 .LBB321_1968
; %bb.1967:
	v_cvt_f32_f64_e32 v2, v[0:1]
	v_bfe_u32 v3, v2, 16, 1
	s_movk_i32 s0, 0x7fff
	v_add3_u32 v3, v2, v3, s0
	v_cmp_o_f32_e32 vcc, v2, v2
	v_mov_b32_e32 v2, 0x7fc0
	s_mov_b64 s[0:1], 0
	v_cndmask_b32_sdwa v2, v2, v3, vcc dst_sel:DWORD dst_unused:UNUSED_PAD src0_sel:DWORD src1_sel:WORD_1
	global_store_short v[6:7], v2, off
	s_mov_b64 s[8:9], -1
.LBB321_1968:
	s_mov_b64 s[10:11], 0
.LBB321_1969:
	s_and_b64 vcc, exec, s[10:11]
	s_cbranch_vccz .LBB321_1971
; %bb.1970:
	s_cmp_lg_u32 s15, 11
	s_mov_b64 s[6:7], -1
	s_cselect_b64 s[0:1], -1, 0
.LBB321_1971:
	s_and_b64 vcc, exec, s[0:1]
	s_cbranch_vccnz .LBB321_2151
; %bb.1972:
	s_andn2_b64 vcc, exec, s[6:7]
	s_cbranch_vccnz .LBB321_1974
.LBB321_1973:
	v_cmp_neq_f64_e32 vcc, 0, v[0:1]
	s_mov_b64 s[8:9], -1
	s_nop 0
	v_cndmask_b32_e64 v2, 0, 1, vcc
	global_store_byte v[6:7], v2, off
.LBB321_1974:
	s_mov_b64 s[0:1], 0
	s_branch .LBB321_1976
.LBB321_1975:
	s_mov_b64 s[0:1], -1
	s_mov_b64 s[8:9], 0
.LBB321_1976:
	s_and_b64 vcc, exec, s[0:1]
	s_cbranch_vccz .LBB321_2015
; %bb.1977:
	s_cmp_lt_i32 s15, 5
	s_mov_b64 s[0:1], -1
	s_cbranch_scc1 .LBB321_1998
; %bb.1978:
	s_cmp_lt_i32 s15, 8
	s_cbranch_scc1 .LBB321_1988
; %bb.1979:
	s_cmp_lt_i32 s15, 9
	s_cbranch_scc1 .LBB321_1985
; %bb.1980:
	s_cmp_gt_i32 s15, 9
	s_cbranch_scc0 .LBB321_1982
; %bb.1981:
	v_mov_b32_e32 v2, 0
	v_mov_b32_e32 v3, v2
	global_store_dwordx4 v[6:7], v[0:3], off
	s_mov_b64 s[0:1], 0
.LBB321_1982:
	s_andn2_b64 vcc, exec, s[0:1]
	s_cbranch_vccnz .LBB321_1984
; %bb.1983:
	v_cvt_f32_f64_e32 v2, v[0:1]
	v_mov_b32_e32 v3, 0
	global_store_dwordx2 v[6:7], v[2:3], off
.LBB321_1984:
	s_mov_b64 s[0:1], 0
.LBB321_1985:
	s_andn2_b64 vcc, exec, s[0:1]
	s_cbranch_vccnz .LBB321_1987
; %bb.1986:
	s_movk_i32 s0, 0x1ff
	v_and_or_b32 v2, v1, s0, v0
	v_cmp_ne_u32_e32 vcc, 0, v2
	v_lshrrev_b32_e32 v3, 8, v1
	s_movk_i32 s0, 0xffe
	v_cndmask_b32_e64 v2, 0, 1, vcc
	v_bfe_u32 v5, v1, 20, 11
	v_and_or_b32 v2, v3, s0, v2
	v_sub_u32_e32 v8, 0x3f1, v5
	v_or_b32_e32 v3, 0x1000, v2
	v_med3_i32 v8, v8, 0, 13
	v_lshrrev_b32_e32 v9, v8, v3
	v_lshlrev_b32_e32 v8, v8, v9
	v_cmp_ne_u32_e32 vcc, v8, v3
	v_add_u32_e32 v5, 0xfffffc10, v5
	v_lshl_or_b32 v8, v5, 12, v2
	v_cndmask_b32_e64 v3, 0, 1, vcc
	v_or_b32_e32 v3, v9, v3
	v_cmp_gt_i32_e32 vcc, 1, v5
	s_movk_i32 s0, 0x40f
	s_nop 0
	v_cndmask_b32_e32 v3, v8, v3, vcc
	v_and_b32_e32 v8, 7, v3
	v_cmp_lt_i32_e32 vcc, 5, v8
	v_lshrrev_b32_e32 v3, 2, v3
	s_nop 0
	v_cndmask_b32_e64 v9, 0, 1, vcc
	v_cmp_eq_u32_e32 vcc, 3, v8
	s_nop 1
	v_cndmask_b32_e64 v8, 0, 1, vcc
	v_or_b32_e32 v8, v8, v9
	v_add_u32_e32 v3, v3, v8
	v_mov_b32_e32 v8, 0x7c00
	v_cmp_gt_i32_e32 vcc, 31, v5
	v_mov_b32_e32 v9, 0x7e00
	s_nop 0
	v_cndmask_b32_e32 v3, v8, v3, vcc
	v_cmp_ne_u32_e32 vcc, 0, v2
	s_nop 1
	v_cndmask_b32_e32 v2, v8, v9, vcc
	v_cmp_eq_u32_e32 vcc, s0, v5
	s_mov_b32 s0, 0x8000
	s_nop 0
	v_cndmask_b32_e32 v2, v3, v2, vcc
	v_and_b32_sdwa v3, v1, s0 dst_sel:DWORD dst_unused:UNUSED_PAD src0_sel:WORD_1 src1_sel:DWORD
	s_mov_b32 s0, 0xffff
	v_bitop3_b32 v2, v3, s0, v2 bitop3:0xc8
	global_store_dword v[6:7], v2, off
.LBB321_1987:
	s_mov_b64 s[0:1], 0
.LBB321_1988:
	s_andn2_b64 vcc, exec, s[0:1]
	s_cbranch_vccnz .LBB321_1997
; %bb.1989:
	s_cmp_lt_i32 s15, 6
	s_mov_b64 s[0:1], -1
	s_cbranch_scc1 .LBB321_1995
; %bb.1990:
	s_cmp_gt_i32 s15, 6
	s_cbranch_scc0 .LBB321_1992
; %bb.1991:
	global_store_dwordx2 v[6:7], v[0:1], off
	s_mov_b64 s[0:1], 0
.LBB321_1992:
	s_andn2_b64 vcc, exec, s[0:1]
	s_cbranch_vccnz .LBB321_1994
; %bb.1993:
	v_cvt_f32_f64_e32 v2, v[0:1]
	global_store_dword v[6:7], v2, off
.LBB321_1994:
	s_mov_b64 s[0:1], 0
.LBB321_1995:
	s_andn2_b64 vcc, exec, s[0:1]
	s_cbranch_vccnz .LBB321_1997
; %bb.1996:
	s_movk_i32 s0, 0x1ff
	v_and_or_b32 v2, v1, s0, v0
	v_cmp_ne_u32_e32 vcc, 0, v2
	v_lshrrev_b32_e32 v3, 8, v1
	s_movk_i32 s0, 0xffe
	v_cndmask_b32_e64 v2, 0, 1, vcc
	v_bfe_u32 v5, v1, 20, 11
	v_and_or_b32 v2, v3, s0, v2
	v_sub_u32_e32 v8, 0x3f1, v5
	v_or_b32_e32 v3, 0x1000, v2
	v_med3_i32 v8, v8, 0, 13
	v_lshrrev_b32_e32 v9, v8, v3
	v_lshlrev_b32_e32 v8, v8, v9
	v_cmp_ne_u32_e32 vcc, v8, v3
	v_add_u32_e32 v5, 0xfffffc10, v5
	v_lshl_or_b32 v8, v5, 12, v2
	v_cndmask_b32_e64 v3, 0, 1, vcc
	v_or_b32_e32 v3, v9, v3
	v_cmp_gt_i32_e32 vcc, 1, v5
	s_movk_i32 s0, 0x40f
	s_nop 0
	v_cndmask_b32_e32 v3, v8, v3, vcc
	v_and_b32_e32 v8, 7, v3
	v_cmp_lt_i32_e32 vcc, 5, v8
	v_lshrrev_b32_e32 v3, 2, v3
	s_nop 0
	v_cndmask_b32_e64 v9, 0, 1, vcc
	v_cmp_eq_u32_e32 vcc, 3, v8
	s_nop 1
	v_cndmask_b32_e64 v8, 0, 1, vcc
	v_or_b32_e32 v8, v8, v9
	v_add_u32_e32 v3, v3, v8
	v_mov_b32_e32 v8, 0x7c00
	v_cmp_gt_i32_e32 vcc, 31, v5
	v_mov_b32_e32 v9, 0x7e00
	s_nop 0
	v_cndmask_b32_e32 v3, v8, v3, vcc
	v_cmp_ne_u32_e32 vcc, 0, v2
	s_nop 1
	v_cndmask_b32_e32 v2, v8, v9, vcc
	v_cmp_eq_u32_e32 vcc, s0, v5
	s_mov_b32 s0, 0x8000
	s_nop 0
	v_cndmask_b32_e32 v2, v3, v2, vcc
	v_lshrrev_b32_e32 v3, 16, v1
	v_and_or_b32 v2, v3, s0, v2
	global_store_short v[6:7], v2, off
.LBB321_1997:
	s_mov_b64 s[0:1], 0
.LBB321_1998:
	s_andn2_b64 vcc, exec, s[0:1]
	s_cbranch_vccnz .LBB321_2014
; %bb.1999:
	s_cmp_lt_i32 s15, 2
	s_mov_b64 s[0:1], -1
	s_cbranch_scc1 .LBB321_2009
; %bb.2000:
	s_cmp_lt_i32 s15, 3
	s_cbranch_scc1 .LBB321_2006
; %bb.2001:
	s_cmp_gt_i32 s15, 3
	s_cbranch_scc0 .LBB321_2003
; %bb.2002:
	v_trunc_f64_e32 v[2:3], v[0:1]
	s_movk_i32 s0, 0xffe0
	v_ldexp_f64 v[8:9], v[2:3], s0
	v_floor_f64_e32 v[8:9], v[8:9]
	v_fmac_f64_e32 v[2:3], 0xc1f00000, v[8:9]
	v_cvt_i32_f64_e32 v13, v[8:9]
	v_cvt_u32_f64_e32 v12, v[2:3]
	global_store_dwordx2 v[6:7], v[12:13], off
	s_mov_b64 s[0:1], 0
.LBB321_2003:
	s_andn2_b64 vcc, exec, s[0:1]
	s_cbranch_vccnz .LBB321_2005
; %bb.2004:
	v_cvt_i32_f64_e32 v2, v[0:1]
	global_store_dword v[6:7], v2, off
.LBB321_2005:
	s_mov_b64 s[0:1], 0
.LBB321_2006:
	s_andn2_b64 vcc, exec, s[0:1]
	s_cbranch_vccnz .LBB321_2008
; %bb.2007:
	v_cvt_i32_f64_e32 v2, v[0:1]
	global_store_short v[6:7], v2, off
.LBB321_2008:
	s_mov_b64 s[0:1], 0
.LBB321_2009:
	s_andn2_b64 vcc, exec, s[0:1]
	s_cbranch_vccnz .LBB321_2014
; %bb.2010:
	s_cmp_gt_i32 s15, 0
	s_mov_b64 s[0:1], -1
	s_cbranch_scc0 .LBB321_2012
; %bb.2011:
	v_cvt_i32_f64_e32 v2, v[0:1]
	global_store_byte v[6:7], v2, off
	s_mov_b64 s[0:1], 0
.LBB321_2012:
	s_andn2_b64 vcc, exec, s[0:1]
	s_cbranch_vccnz .LBB321_2014
; %bb.2013:
	v_trunc_f64_e32 v[0:1], v[0:1]
	s_movk_i32 s0, 0xffe0
	v_ldexp_f64 v[2:3], v[0:1], s0
	v_floor_f64_e32 v[2:3], v[2:3]
	v_fmac_f64_e32 v[0:1], 0xc1f00000, v[2:3]
	v_cvt_u32_f64_e32 v0, v[0:1]
	global_store_byte v[6:7], v0, off
.LBB321_2014:
	s_mov_b64 s[8:9], -1
.LBB321_2015:
	s_andn2_b64 vcc, exec, s[8:9]
	s_cbranch_vccnz .LBB321_2092
; %bb.2016:
	v_max_f64 v[0:1], v[10:11], v[10:11]
	v_max_f64 v[0:1], v[0:1], v[16:17]
	v_min_f64 v[0:1], v[0:1], v[18:19]
	v_cmp_u_f64_e32 vcc, v[10:11], v[10:11]
	v_mov_b32_e32 v5, 0
	s_cmp_lt_i32 s15, 11
	v_cndmask_b32_e32 v1, v1, v11, vcc
	v_cndmask_b32_e32 v0, v0, v10, vcc
	v_lshl_add_u64 v[4:5], s[4:5], 0, v[4:5]
	s_cbranch_scc1 .LBB321_2137
; %bb.2017:
	s_mov_b64 s[6:7], -1
	s_mov_b64 s[4:5], 0
	s_cmp_gt_i32 s15, 25
	s_mov_b64 s[0:1], 0
	s_cbranch_scc0 .LBB321_2050
; %bb.2018:
	s_cmp_gt_i32 s15, 28
	s_cbranch_scc0 .LBB321_2034
; %bb.2019:
	s_cmp_gt_i32 s15, 43
	;; [unrolled: 3-line block ×3, first 2 shown]
	s_cbranch_scc0 .LBB321_2024
; %bb.2021:
	s_cmp_eq_u32 s15, 46
	s_mov_b64 s[0:1], -1
	s_cbranch_scc0 .LBB321_2023
; %bb.2022:
	v_cvt_f32_f64_e32 v2, v[0:1]
	v_bfe_u32 v3, v2, 16, 1
	s_movk_i32 s0, 0x7fff
	v_add3_u32 v3, v2, v3, s0
	v_cmp_o_f32_e32 vcc, v2, v2
	v_mov_b32_e32 v2, 0x7fc0
	s_mov_b64 s[0:1], 0
	v_cndmask_b32_sdwa v2, v2, v3, vcc dst_sel:DWORD dst_unused:UNUSED_PAD src0_sel:DWORD src1_sel:WORD_1
	global_store_dword v[4:5], v2, off
.LBB321_2023:
	s_mov_b64 s[6:7], 0
.LBB321_2024:
	s_and_b64 vcc, exec, s[6:7]
	s_cbranch_vccz .LBB321_2029
; %bb.2025:
	s_cmp_eq_u32 s15, 44
	s_mov_b64 s[0:1], -1
	s_cbranch_scc0 .LBB321_2029
; %bb.2026:
	v_cvt_f32_f64_e32 v2, v[0:1]
	v_bfe_u32 v3, v2, 23, 8
	s_movk_i32 s0, 0xff
	v_cmp_ne_u32_e32 vcc, s0, v3
	v_mov_b32_e32 v6, 0xff
	s_and_saveexec_b64 s[6:7], vcc
; %bb.2027:
	s_mov_b32 s0, 0x3fffff
	v_lshrrev_b32_e32 v6, 23, v2
	v_and_b32_e32 v7, 0x400000, v2
	v_and_or_b32 v2, v2, s0, v3
	v_cmp_ne_u32_e32 vcc, 0, v7
	v_cmp_ne_u32_e64 s[0:1], 0, v2
	s_and_b64 s[0:1], vcc, s[0:1]
	s_nop 0
	v_cndmask_b32_e64 v2, 0, 1, s[0:1]
	v_add_u32_e32 v6, v6, v2
; %bb.2028:
	s_or_b64 exec, exec, s[6:7]
	s_mov_b64 s[0:1], 0
	global_store_byte v[4:5], v6, off
.LBB321_2029:
	s_mov_b64 s[6:7], 0
.LBB321_2030:
	s_and_b64 vcc, exec, s[6:7]
	s_cbranch_vccz .LBB321_2033
; %bb.2031:
	s_cmp_eq_u32 s15, 29
	s_mov_b64 s[0:1], -1
	s_cbranch_scc0 .LBB321_2033
; %bb.2032:
	v_trunc_f64_e32 v[2:3], v[0:1]
	s_movk_i32 s0, 0xffe0
	v_ldexp_f64 v[6:7], v[2:3], s0
	v_floor_f64_e32 v[6:7], v[6:7]
	v_fmac_f64_e32 v[2:3], 0xc1f00000, v[6:7]
	v_cvt_u32_f64_e32 v9, v[6:7]
	v_cvt_u32_f64_e32 v8, v[2:3]
	global_store_dwordx2 v[4:5], v[8:9], off
	s_mov_b64 s[0:1], 0
.LBB321_2033:
	s_mov_b64 s[6:7], 0
.LBB321_2034:
	s_and_b64 vcc, exec, s[6:7]
	s_cbranch_vccz .LBB321_2049
; %bb.2035:
	s_cmp_lt_i32 s15, 27
	s_mov_b64 s[6:7], -1
	s_cbranch_scc1 .LBB321_2041
; %bb.2036:
	s_cmp_gt_i32 s15, 27
	s_cbranch_scc0 .LBB321_2038
; %bb.2037:
	v_cvt_u32_f64_e32 v2, v[0:1]
	global_store_dword v[4:5], v2, off
	s_mov_b64 s[6:7], 0
.LBB321_2038:
	s_andn2_b64 vcc, exec, s[6:7]
	s_cbranch_vccnz .LBB321_2040
; %bb.2039:
	v_cvt_u32_f64_e32 v2, v[0:1]
	global_store_short v[4:5], v2, off
.LBB321_2040:
	s_mov_b64 s[6:7], 0
.LBB321_2041:
	s_andn2_b64 vcc, exec, s[6:7]
	s_cbranch_vccnz .LBB321_2049
; %bb.2042:
	v_cvt_f32_f64_e32 v2, v[0:1]
	v_and_b32_e32 v3, 0x7fffffff, v2
	s_mov_b32 s6, 0x43800000
	v_cmp_gt_u32_e32 vcc, s6, v3
	v_mov_b32_e32 v6, 0x80
	s_and_saveexec_b64 s[6:7], vcc
	s_cbranch_execz .LBB321_2048
; %bb.2043:
	s_mov_b32 s8, 0x3bffffff
	v_cmp_lt_u32_e32 vcc, s8, v3
	s_mov_b64 s[8:9], 0
                                        ; implicit-def: $vgpr3
	s_and_saveexec_b64 s[10:11], vcc
	s_xor_b64 s[10:11], exec, s[10:11]
	s_cbranch_execz .LBB321_2154
; %bb.2044:
	v_bfe_u32 v3, v2, 20, 1
	s_mov_b32 s12, 0x487ffff
	v_add3_u32 v3, v2, v3, s12
	s_mov_b64 s[8:9], exec
	v_lshrrev_b32_e32 v3, 20, v3
	s_andn2_saveexec_b64 s[10:11], s[10:11]
	s_cbranch_execnz .LBB321_2155
.LBB321_2045:
	s_or_b64 exec, exec, s[10:11]
	v_mov_b32_e32 v6, 0
	s_and_saveexec_b64 s[10:11], s[8:9]
.LBB321_2046:
	v_lshrrev_b32_e32 v2, 24, v2
	s_movk_i32 s8, 0x80
	v_and_or_b32 v6, v2, s8, v3
.LBB321_2047:
	s_or_b64 exec, exec, s[10:11]
.LBB321_2048:
	s_or_b64 exec, exec, s[6:7]
	global_store_byte v[4:5], v6, off
.LBB321_2049:
	s_mov_b64 s[6:7], 0
.LBB321_2050:
	s_and_b64 vcc, exec, s[6:7]
	s_cbranch_vccz .LBB321_2090
; %bb.2051:
	s_cmp_gt_i32 s15, 22
	s_mov_b64 s[4:5], -1
	s_cbranch_scc0 .LBB321_2083
; %bb.2052:
	s_cmp_lt_i32 s15, 24
	s_cbranch_scc1 .LBB321_2072
; %bb.2053:
	s_cmp_gt_i32 s15, 24
	s_cbranch_scc0 .LBB321_2061
; %bb.2054:
	v_cvt_f32_f64_e32 v2, v[0:1]
	v_and_b32_e32 v3, 0x7fffffff, v2
	s_mov_b32 s4, 0x47800000
	v_cmp_gt_u32_e32 vcc, s4, v3
	v_mov_b32_e32 v6, 0x80
	s_and_saveexec_b64 s[4:5], vcc
	s_cbranch_execz .LBB321_2060
; %bb.2055:
	s_mov_b32 s6, 0x37ffffff
	v_cmp_lt_u32_e32 vcc, s6, v3
	s_mov_b64 s[6:7], 0
                                        ; implicit-def: $vgpr3
	s_and_saveexec_b64 s[8:9], vcc
	s_xor_b64 s[8:9], exec, s[8:9]
	s_cbranch_execz .LBB321_2157
; %bb.2056:
	v_bfe_u32 v3, v2, 21, 1
	s_mov_b32 s10, 0x88fffff
	v_add3_u32 v3, v2, v3, s10
	s_mov_b64 s[6:7], exec
	v_lshrrev_b32_e32 v3, 21, v3
	s_andn2_saveexec_b64 s[8:9], s[8:9]
	s_cbranch_execnz .LBB321_2158
.LBB321_2057:
	s_or_b64 exec, exec, s[8:9]
	v_mov_b32_e32 v6, 0
	s_and_saveexec_b64 s[8:9], s[6:7]
.LBB321_2058:
	v_lshrrev_b32_e32 v2, 24, v2
	s_movk_i32 s6, 0x80
	v_and_or_b32 v6, v2, s6, v3
.LBB321_2059:
	s_or_b64 exec, exec, s[8:9]
.LBB321_2060:
	s_or_b64 exec, exec, s[4:5]
	s_mov_b64 s[4:5], 0
	global_store_byte v[4:5], v6, off
.LBB321_2061:
	s_and_b64 vcc, exec, s[4:5]
	s_cbranch_vccz .LBB321_2071
; %bb.2062:
	v_cvt_f32_f64_e32 v2, v[0:1]
	v_and_b32_e32 v6, 0x7fffffff, v2
	s_mov_b32 s4, 0x43f00000
	v_cmp_gt_u32_e32 vcc, s4, v6
                                        ; implicit-def: $vgpr3
	s_and_saveexec_b64 s[4:5], vcc
	s_xor_b64 s[4:5], exec, s[4:5]
	s_cbranch_execz .LBB321_2068
; %bb.2063:
	s_mov_b32 s6, 0x3c7fffff
	v_cmp_lt_u32_e32 vcc, s6, v6
                                        ; implicit-def: $vgpr3
	s_and_saveexec_b64 s[6:7], vcc
	s_xor_b64 s[6:7], exec, s[6:7]
; %bb.2064:
	v_bfe_u32 v3, v2, 20, 1
	s_mov_b32 s8, 0x407ffff
	v_add3_u32 v3, v2, v3, s8
	v_lshrrev_b32_e32 v6, 20, v3
	v_and_b32_e32 v3, 0xff00000, v3
	s_mov_b32 s8, 0x7f00000
	v_mov_b32_e32 v7, 0x7e
	v_cmp_ne_u32_e32 vcc, s8, v3
	s_nop 1
	v_cndmask_b32_e32 v3, v7, v6, vcc
; %bb.2065:
	s_andn2_saveexec_b64 s[6:7], s[6:7]
; %bb.2066:
	s_mov_b32 s8, 0x46800000
	v_add_f32_e64 v3, |v2|, s8
; %bb.2067:
	s_or_b64 exec, exec, s[6:7]
                                        ; implicit-def: $vgpr6
.LBB321_2068:
	s_andn2_saveexec_b64 s[4:5], s[4:5]
; %bb.2069:
	s_mov_b32 s6, 0x7f800000
	v_mov_b32_e32 v3, 0x7e
	v_mov_b32_e32 v7, 0x7f
	v_cmp_lt_u32_e32 vcc, s6, v6
	s_nop 1
	v_cndmask_b32_e32 v3, v3, v7, vcc
; %bb.2070:
	s_or_b64 exec, exec, s[4:5]
	v_lshrrev_b32_e32 v2, 24, v2
	s_movk_i32 s4, 0x80
	v_and_or_b32 v2, v2, s4, v3
	global_store_byte v[4:5], v2, off
.LBB321_2071:
	s_mov_b64 s[4:5], 0
.LBB321_2072:
	s_andn2_b64 vcc, exec, s[4:5]
	s_cbranch_vccnz .LBB321_2082
; %bb.2073:
	v_cvt_f32_f64_e32 v2, v[0:1]
	v_and_b32_e32 v6, 0x7fffffff, v2
	s_mov_b32 s4, 0x47800000
	v_cmp_gt_u32_e32 vcc, s4, v6
                                        ; implicit-def: $vgpr3
	s_and_saveexec_b64 s[4:5], vcc
	s_xor_b64 s[4:5], exec, s[4:5]
	s_cbranch_execz .LBB321_2079
; %bb.2074:
	s_mov_b32 s6, 0x387fffff
	v_cmp_lt_u32_e32 vcc, s6, v6
                                        ; implicit-def: $vgpr3
	s_and_saveexec_b64 s[6:7], vcc
	s_xor_b64 s[6:7], exec, s[6:7]
; %bb.2075:
	v_bfe_u32 v3, v2, 21, 1
	s_mov_b32 s8, 0x80fffff
	v_add3_u32 v3, v2, v3, s8
	v_lshrrev_b32_e32 v3, 21, v3
; %bb.2076:
	s_andn2_saveexec_b64 s[6:7], s[6:7]
; %bb.2077:
	s_mov_b32 s8, 0x43000000
	v_add_f32_e64 v3, |v2|, s8
; %bb.2078:
	s_or_b64 exec, exec, s[6:7]
                                        ; implicit-def: $vgpr6
.LBB321_2079:
	s_andn2_saveexec_b64 s[4:5], s[4:5]
; %bb.2080:
	s_mov_b32 s6, 0x7f800000
	v_mov_b32_e32 v3, 0x7c
	v_mov_b32_e32 v7, 0x7f
	v_cmp_lt_u32_e32 vcc, s6, v6
	s_nop 1
	v_cndmask_b32_e32 v3, v3, v7, vcc
; %bb.2081:
	s_or_b64 exec, exec, s[4:5]
	v_lshrrev_b32_e32 v2, 24, v2
	s_movk_i32 s4, 0x80
	v_and_or_b32 v2, v2, s4, v3
	global_store_byte v[4:5], v2, off
.LBB321_2082:
	s_mov_b64 s[4:5], 0
.LBB321_2083:
	s_andn2_b64 vcc, exec, s[4:5]
	s_mov_b64 s[4:5], 0
	s_cbranch_vccnz .LBB321_2090
; %bb.2084:
	s_cmp_gt_i32 s15, 14
	s_mov_b64 s[6:7], -1
	s_cbranch_scc0 .LBB321_2088
; %bb.2085:
	s_cmp_eq_u32 s15, 15
	s_mov_b64 s[0:1], -1
	s_cbranch_scc0 .LBB321_2087
; %bb.2086:
	v_cvt_f32_f64_e32 v2, v[0:1]
	v_bfe_u32 v3, v2, 16, 1
	s_movk_i32 s0, 0x7fff
	v_add3_u32 v3, v2, v3, s0
	v_cmp_o_f32_e32 vcc, v2, v2
	v_mov_b32_e32 v2, 0x7fc0
	s_mov_b64 s[0:1], 0
	v_cndmask_b32_sdwa v2, v2, v3, vcc dst_sel:DWORD dst_unused:UNUSED_PAD src0_sel:DWORD src1_sel:WORD_1
	global_store_short v[4:5], v2, off
.LBB321_2087:
	s_mov_b64 s[6:7], 0
.LBB321_2088:
	s_and_b64 vcc, exec, s[6:7]
	s_cbranch_vccz .LBB321_2090
; %bb.2089:
	s_cmp_lg_u32 s15, 11
	s_mov_b64 s[4:5], -1
	s_cselect_b64 s[0:1], -1, 0
.LBB321_2090:
	s_and_b64 vcc, exec, s[0:1]
	s_cbranch_vccnz .LBB321_2156
.LBB321_2091:
	s_mov_b64 s[0:1], 0
	s_branch .LBB321_2093
.LBB321_2092:
	s_mov_b64 s[0:1], 0
	s_mov_b64 s[4:5], 0
                                        ; implicit-def: $vgpr4_vgpr5
                                        ; implicit-def: $sgpr14
                                        ; implicit-def: $vgpr0_vgpr1
.LBB321_2093:
	s_and_b64 s[6:7], s[0:1], exec
	s_andn2_b64 s[0:1], s[24:25], exec
	s_and_b64 s[2:3], s[2:3], exec
	s_and_b64 s[44:45], s[4:5], exec
	s_or_b64 s[24:25], s[0:1], s[2:3]
.LBB321_2094:
	s_or_b64 exec, exec, s[26:27]
	s_and_saveexec_b64 s[0:1], s[24:25]
	s_cbranch_execz .LBB321_2097
; %bb.2095:
	; divergent unreachable
	s_or_b64 exec, exec, s[0:1]
	s_and_saveexec_b64 s[0:1], s[44:45]
	s_xor_b64 s[0:1], exec, s[0:1]
	s_cbranch_execnz .LBB321_2098
.LBB321_2096:
	s_or_b64 exec, exec, s[0:1]
	s_and_saveexec_b64 s[0:1], s[6:7]
	s_cbranch_execnz .LBB321_2099
	s_branch .LBB321_2136
.LBB321_2097:
	s_or_b64 exec, exec, s[0:1]
	s_and_saveexec_b64 s[0:1], s[44:45]
	s_xor_b64 s[0:1], exec, s[0:1]
	s_cbranch_execz .LBB321_2096
.LBB321_2098:
	s_waitcnt vmcnt(0)
	v_cmp_neq_f64_e32 vcc, 0, v[0:1]
	s_nop 1
	v_cndmask_b32_e64 v2, 0, 1, vcc
	global_store_byte v[4:5], v2, off
	s_or_b64 exec, exec, s[0:1]
	s_and_saveexec_b64 s[0:1], s[6:7]
	s_cbranch_execz .LBB321_2136
.LBB321_2099:
	s_sext_i32_i16 s2, s14
	s_cmp_lt_i32 s2, 5
	s_mov_b64 s[0:1], -1
	s_cbranch_scc1 .LBB321_2120
; %bb.2100:
	s_cmp_lt_i32 s2, 8
	s_cbranch_scc1 .LBB321_2110
; %bb.2101:
	s_cmp_lt_i32 s2, 9
	s_cbranch_scc1 .LBB321_2107
; %bb.2102:
	s_cmp_gt_i32 s2, 9
	s_cbranch_scc0 .LBB321_2104
; %bb.2103:
	v_mov_b32_e32 v2, 0
	v_mov_b32_e32 v3, v2
	s_waitcnt vmcnt(0)
	global_store_dwordx4 v[4:5], v[0:3], off
	s_mov_b64 s[0:1], 0
.LBB321_2104:
	s_andn2_b64 vcc, exec, s[0:1]
	s_cbranch_vccnz .LBB321_2106
; %bb.2105:
	s_waitcnt vmcnt(0)
	v_cvt_f32_f64_e32 v2, v[0:1]
	v_mov_b32_e32 v3, 0
	global_store_dwordx2 v[4:5], v[2:3], off
.LBB321_2106:
	s_mov_b64 s[0:1], 0
.LBB321_2107:
	s_andn2_b64 vcc, exec, s[0:1]
	s_cbranch_vccnz .LBB321_2109
; %bb.2108:
	s_movk_i32 s0, 0x1ff
	s_waitcnt vmcnt(0)
	v_and_or_b32 v2, v1, s0, v0
	v_cmp_ne_u32_e32 vcc, 0, v2
	v_lshrrev_b32_e32 v3, 8, v1
	s_movk_i32 s0, 0xffe
	v_cndmask_b32_e64 v2, 0, 1, vcc
	v_bfe_u32 v6, v1, 20, 11
	v_and_or_b32 v2, v3, s0, v2
	v_sub_u32_e32 v7, 0x3f1, v6
	v_or_b32_e32 v3, 0x1000, v2
	v_med3_i32 v7, v7, 0, 13
	v_lshrrev_b32_e32 v8, v7, v3
	v_lshlrev_b32_e32 v7, v7, v8
	v_cmp_ne_u32_e32 vcc, v7, v3
	v_add_u32_e32 v6, 0xfffffc10, v6
	v_lshl_or_b32 v7, v6, 12, v2
	v_cndmask_b32_e64 v3, 0, 1, vcc
	v_or_b32_e32 v3, v8, v3
	v_cmp_gt_i32_e32 vcc, 1, v6
	s_movk_i32 s0, 0x40f
	s_nop 0
	v_cndmask_b32_e32 v3, v7, v3, vcc
	v_and_b32_e32 v7, 7, v3
	v_cmp_lt_i32_e32 vcc, 5, v7
	v_lshrrev_b32_e32 v3, 2, v3
	s_nop 0
	v_cndmask_b32_e64 v8, 0, 1, vcc
	v_cmp_eq_u32_e32 vcc, 3, v7
	s_nop 1
	v_cndmask_b32_e64 v7, 0, 1, vcc
	v_or_b32_e32 v7, v7, v8
	v_add_u32_e32 v3, v3, v7
	v_mov_b32_e32 v7, 0x7c00
	v_cmp_gt_i32_e32 vcc, 31, v6
	v_mov_b32_e32 v8, 0x7e00
	s_nop 0
	v_cndmask_b32_e32 v3, v7, v3, vcc
	v_cmp_ne_u32_e32 vcc, 0, v2
	s_nop 1
	v_cndmask_b32_e32 v2, v7, v8, vcc
	v_cmp_eq_u32_e32 vcc, s0, v6
	s_mov_b32 s0, 0x8000
	s_nop 0
	v_cndmask_b32_e32 v2, v3, v2, vcc
	v_and_b32_sdwa v3, v1, s0 dst_sel:DWORD dst_unused:UNUSED_PAD src0_sel:WORD_1 src1_sel:DWORD
	s_mov_b32 s0, 0xffff
	v_bitop3_b32 v2, v3, s0, v2 bitop3:0xc8
	global_store_dword v[4:5], v2, off
.LBB321_2109:
	s_mov_b64 s[0:1], 0
.LBB321_2110:
	s_andn2_b64 vcc, exec, s[0:1]
	s_cbranch_vccnz .LBB321_2119
; %bb.2111:
	s_sext_i32_i16 s2, s14
	s_cmp_lt_i32 s2, 6
	s_mov_b64 s[0:1], -1
	s_cbranch_scc1 .LBB321_2117
; %bb.2112:
	s_cmp_gt_i32 s2, 6
	s_cbranch_scc0 .LBB321_2114
; %bb.2113:
	s_waitcnt vmcnt(0)
	global_store_dwordx2 v[4:5], v[0:1], off
	s_mov_b64 s[0:1], 0
.LBB321_2114:
	s_andn2_b64 vcc, exec, s[0:1]
	s_cbranch_vccnz .LBB321_2116
; %bb.2115:
	s_waitcnt vmcnt(0)
	v_cvt_f32_f64_e32 v2, v[0:1]
	global_store_dword v[4:5], v2, off
.LBB321_2116:
	s_mov_b64 s[0:1], 0
.LBB321_2117:
	s_andn2_b64 vcc, exec, s[0:1]
	s_cbranch_vccnz .LBB321_2119
; %bb.2118:
	s_movk_i32 s0, 0x1ff
	s_waitcnt vmcnt(0)
	v_and_or_b32 v2, v1, s0, v0
	v_cmp_ne_u32_e32 vcc, 0, v2
	v_lshrrev_b32_e32 v3, 8, v1
	s_movk_i32 s0, 0xffe
	v_cndmask_b32_e64 v2, 0, 1, vcc
	v_bfe_u32 v6, v1, 20, 11
	v_and_or_b32 v2, v3, s0, v2
	v_sub_u32_e32 v7, 0x3f1, v6
	v_or_b32_e32 v3, 0x1000, v2
	v_med3_i32 v7, v7, 0, 13
	v_lshrrev_b32_e32 v8, v7, v3
	v_lshlrev_b32_e32 v7, v7, v8
	v_cmp_ne_u32_e32 vcc, v7, v3
	v_add_u32_e32 v6, 0xfffffc10, v6
	v_lshl_or_b32 v7, v6, 12, v2
	v_cndmask_b32_e64 v3, 0, 1, vcc
	v_or_b32_e32 v3, v8, v3
	v_cmp_gt_i32_e32 vcc, 1, v6
	s_movk_i32 s0, 0x40f
	s_nop 0
	v_cndmask_b32_e32 v3, v7, v3, vcc
	v_and_b32_e32 v7, 7, v3
	v_cmp_lt_i32_e32 vcc, 5, v7
	v_lshrrev_b32_e32 v3, 2, v3
	s_nop 0
	v_cndmask_b32_e64 v8, 0, 1, vcc
	v_cmp_eq_u32_e32 vcc, 3, v7
	s_nop 1
	v_cndmask_b32_e64 v7, 0, 1, vcc
	v_or_b32_e32 v7, v7, v8
	v_add_u32_e32 v3, v3, v7
	v_mov_b32_e32 v7, 0x7c00
	v_cmp_gt_i32_e32 vcc, 31, v6
	v_mov_b32_e32 v8, 0x7e00
	s_nop 0
	v_cndmask_b32_e32 v3, v7, v3, vcc
	v_cmp_ne_u32_e32 vcc, 0, v2
	s_nop 1
	v_cndmask_b32_e32 v2, v7, v8, vcc
	v_cmp_eq_u32_e32 vcc, s0, v6
	s_mov_b32 s0, 0x8000
	s_nop 0
	v_cndmask_b32_e32 v2, v3, v2, vcc
	v_lshrrev_b32_e32 v3, 16, v1
	v_and_or_b32 v2, v3, s0, v2
	global_store_short v[4:5], v2, off
.LBB321_2119:
	s_mov_b64 s[0:1], 0
.LBB321_2120:
	s_andn2_b64 vcc, exec, s[0:1]
	s_cbranch_vccnz .LBB321_2136
; %bb.2121:
	s_sext_i32_i16 s2, s14
	s_cmp_lt_i32 s2, 2
	s_mov_b64 s[0:1], -1
	s_cbranch_scc1 .LBB321_2131
; %bb.2122:
	s_cmp_lt_i32 s2, 3
	s_cbranch_scc1 .LBB321_2128
; %bb.2123:
	s_cmp_gt_i32 s2, 3
	s_cbranch_scc0 .LBB321_2125
; %bb.2124:
	s_waitcnt vmcnt(0)
	v_trunc_f64_e32 v[2:3], v[0:1]
	s_movk_i32 s0, 0xffe0
	v_ldexp_f64 v[6:7], v[2:3], s0
	v_floor_f64_e32 v[6:7], v[6:7]
	v_fmac_f64_e32 v[2:3], 0xc1f00000, v[6:7]
	v_cvt_i32_f64_e32 v9, v[6:7]
	v_cvt_u32_f64_e32 v8, v[2:3]
	global_store_dwordx2 v[4:5], v[8:9], off
	s_mov_b64 s[0:1], 0
.LBB321_2125:
	s_andn2_b64 vcc, exec, s[0:1]
	s_cbranch_vccnz .LBB321_2127
; %bb.2126:
	s_waitcnt vmcnt(0)
	v_cvt_i32_f64_e32 v2, v[0:1]
	global_store_dword v[4:5], v2, off
.LBB321_2127:
	s_mov_b64 s[0:1], 0
.LBB321_2128:
	s_andn2_b64 vcc, exec, s[0:1]
	s_cbranch_vccnz .LBB321_2130
; %bb.2129:
	s_waitcnt vmcnt(0)
	v_cvt_i32_f64_e32 v2, v[0:1]
	global_store_short v[4:5], v2, off
.LBB321_2130:
	s_mov_b64 s[0:1], 0
.LBB321_2131:
	s_andn2_b64 vcc, exec, s[0:1]
	s_cbranch_vccnz .LBB321_2136
; %bb.2132:
	s_sext_i32_i16 s0, s14
	s_cmp_gt_i32 s0, 0
	s_mov_b64 s[0:1], -1
	s_cbranch_scc0 .LBB321_2134
; %bb.2133:
	s_waitcnt vmcnt(0)
	v_cvt_i32_f64_e32 v2, v[0:1]
	global_store_byte v[4:5], v2, off
	s_mov_b64 s[0:1], 0
.LBB321_2134:
	s_andn2_b64 vcc, exec, s[0:1]
	s_cbranch_vccnz .LBB321_2136
; %bb.2135:
	s_waitcnt vmcnt(0)
	v_trunc_f64_e32 v[0:1], v[0:1]
	s_movk_i32 s0, 0xffe0
	v_ldexp_f64 v[2:3], v[0:1], s0
	v_floor_f64_e32 v[2:3], v[2:3]
	v_fmac_f64_e32 v[0:1], 0xc1f00000, v[2:3]
	v_cvt_u32_f64_e32 v0, v[0:1]
	global_store_byte v[4:5], v0, off
	s_endpgm
.LBB321_2136:
	s_endpgm
.LBB321_2137:
	s_mov_b64 s[4:5], 0
	s_mov_b64 s[0:1], -1
	s_branch .LBB321_2093
.LBB321_2138:
	s_trap 2
	s_or_b64 s[2:3], s[2:3], exec
	s_cbranch_execz .LBB321_1607
	s_branch .LBB321_1608
.LBB321_2139:
	s_andn2_saveexec_b64 s[12:13], s[12:13]
	s_cbranch_execz .LBB321_1687
.LBB321_2140:
	s_mov_b32 s16, 0x46000000
	v_add_f32_e64 v3, |v2|, s16
	v_and_b32_e32 v3, 0xff, v3
	v_cmp_ne_u32_e32 vcc, 0, v3
	s_andn2_b64 s[10:11], s[10:11], exec
	s_and_b64 s[16:17], vcc, exec
	s_or_b64 s[10:11], s[10:11], s[16:17]
	s_or_b64 exec, exec, s[12:13]
	v_mov_b32_e32 v5, 0
	s_and_saveexec_b64 s[12:13], s[10:11]
	s_cbranch_execnz .LBB321_1688
	s_branch .LBB321_1689
.LBB321_2141:
	s_trap 2
	s_or_b64 s[2:3], s[2:3], exec
	s_cbranch_execz .LBB321_1735
	s_branch .LBB321_1736
.LBB321_2142:
	s_andn2_saveexec_b64 s[10:11], s[10:11]
	s_cbranch_execz .LBB321_1700
.LBB321_2143:
	s_mov_b32 s12, 0x42800000
	v_add_f32_e64 v3, |v2|, s12
	v_and_b32_e32 v3, 0xff, v3
	v_cmp_ne_u32_e32 vcc, 0, v3
	s_andn2_b64 s[8:9], s[8:9], exec
	s_and_b64 s[12:13], vcc, exec
	s_or_b64 s[8:9], s[8:9], s[12:13]
	s_or_b64 exec, exec, s[10:11]
	v_mov_b32_e32 v5, 0
	s_and_saveexec_b64 s[10:11], s[8:9]
	s_cbranch_execnz .LBB321_1701
	s_branch .LBB321_1702
.LBB321_2144:
	s_andn2_saveexec_b64 s[12:13], s[12:13]
	s_cbranch_execz .LBB321_1806
.LBB321_2145:
	s_mov_b32 s16, 0x46000000
	v_add_f32_e64 v3, |v2|, s16
	v_and_b32_e32 v3, 0xff, v3
	v_cmp_ne_u32_e32 vcc, 0, v3
	s_andn2_b64 s[10:11], s[10:11], exec
	s_and_b64 s[16:17], vcc, exec
	s_or_b64 s[10:11], s[10:11], s[16:17]
	s_or_b64 exec, exec, s[12:13]
	v_mov_b32_e32 v5, 0
	s_and_saveexec_b64 s[12:13], s[10:11]
	s_cbranch_execnz .LBB321_1807
	s_branch .LBB321_1808
.LBB321_2146:
	s_trap 2
	s_or_b64 s[2:3], s[2:3], exec
	s_cbranch_execz .LBB321_1854
	s_branch .LBB321_1855
.LBB321_2147:
	s_andn2_saveexec_b64 s[10:11], s[10:11]
	s_cbranch_execz .LBB321_1819
.LBB321_2148:
	s_mov_b32 s12, 0x42800000
	v_add_f32_e64 v3, |v2|, s12
	v_and_b32_e32 v3, 0xff, v3
	v_cmp_ne_u32_e32 vcc, 0, v3
	s_andn2_b64 s[8:9], s[8:9], exec
	s_and_b64 s[12:13], vcc, exec
	s_or_b64 s[8:9], s[8:9], s[12:13]
	s_or_b64 exec, exec, s[10:11]
	v_mov_b32_e32 v5, 0
	s_and_saveexec_b64 s[10:11], s[8:9]
	s_cbranch_execnz .LBB321_1820
	s_branch .LBB321_1821
.LBB321_2149:
	s_andn2_saveexec_b64 s[12:13], s[12:13]
	s_cbranch_execz .LBB321_1925
.LBB321_2150:
	s_mov_b32 s16, 0x46000000
	v_add_f32_e64 v3, |v2|, s16
	v_and_b32_e32 v3, 0xff, v3
	v_cmp_ne_u32_e32 vcc, 0, v3
	s_andn2_b64 s[10:11], s[10:11], exec
	s_and_b64 s[16:17], vcc, exec
	s_or_b64 s[10:11], s[10:11], s[16:17]
	s_or_b64 exec, exec, s[12:13]
	v_mov_b32_e32 v5, 0
	s_and_saveexec_b64 s[12:13], s[10:11]
	s_cbranch_execnz .LBB321_1926
	s_branch .LBB321_1927
.LBB321_2151:
	s_trap 2
	s_or_b64 s[2:3], s[2:3], exec
	s_cbranch_execz .LBB321_1973
	s_branch .LBB321_1974
.LBB321_2152:
	s_andn2_saveexec_b64 s[10:11], s[10:11]
	s_cbranch_execz .LBB321_1938
.LBB321_2153:
	s_mov_b32 s12, 0x42800000
	v_add_f32_e64 v3, |v2|, s12
	v_and_b32_e32 v3, 0xff, v3
	v_cmp_ne_u32_e32 vcc, 0, v3
	s_andn2_b64 s[8:9], s[8:9], exec
	s_and_b64 s[12:13], vcc, exec
	s_or_b64 s[8:9], s[8:9], s[12:13]
	s_or_b64 exec, exec, s[10:11]
	v_mov_b32_e32 v5, 0
	s_and_saveexec_b64 s[10:11], s[8:9]
	s_cbranch_execnz .LBB321_1939
	s_branch .LBB321_1940
.LBB321_2154:
	s_andn2_saveexec_b64 s[10:11], s[10:11]
	s_cbranch_execz .LBB321_2045
.LBB321_2155:
	s_mov_b32 s12, 0x46000000
	v_add_f32_e64 v3, |v2|, s12
	v_and_b32_e32 v3, 0xff, v3
	v_cmp_ne_u32_e32 vcc, 0, v3
	s_andn2_b64 s[8:9], s[8:9], exec
	s_and_b64 s[12:13], vcc, exec
	s_or_b64 s[8:9], s[8:9], s[12:13]
	s_or_b64 exec, exec, s[10:11]
	v_mov_b32_e32 v6, 0
	s_and_saveexec_b64 s[10:11], s[8:9]
	s_cbranch_execnz .LBB321_2046
	s_branch .LBB321_2047
.LBB321_2156:
	s_mov_b64 s[4:5], 0
	s_or_b64 s[2:3], s[2:3], exec
	s_trap 2
	s_branch .LBB321_2091
.LBB321_2157:
	s_andn2_saveexec_b64 s[8:9], s[8:9]
	s_cbranch_execz .LBB321_2057
.LBB321_2158:
	s_mov_b32 s10, 0x42800000
	v_add_f32_e64 v3, |v2|, s10
	v_and_b32_e32 v3, 0xff, v3
	v_cmp_ne_u32_e32 vcc, 0, v3
	s_andn2_b64 s[6:7], s[6:7], exec
	s_and_b64 s[10:11], vcc, exec
	s_or_b64 s[6:7], s[6:7], s[10:11]
	s_or_b64 exec, exec, s[8:9]
	v_mov_b32_e32 v6, 0
	s_and_saveexec_b64 s[8:9], s[6:7]
	s_cbranch_execnz .LBB321_2058
	s_branch .LBB321_2059
	.section	.rodata,"a",@progbits
	.p2align	6, 0x0
	.amdhsa_kernel _ZN2at6native32elementwise_kernel_manual_unrollILi128ELi4EZNS0_15gpu_kernel_implIZZZNS0_17clamp_kernel_cudaERNS_18TensorIteratorBaseERKN3c106ScalarES8_ENKUlvE_clEvENKUlvE4_clEvEUldE_EEvS4_RKT_EUlibE0_EEviT1_
		.amdhsa_group_segment_fixed_size 0
		.amdhsa_private_segment_fixed_size 0
		.amdhsa_kernarg_size 376
		.amdhsa_user_sgpr_count 2
		.amdhsa_user_sgpr_dispatch_ptr 0
		.amdhsa_user_sgpr_queue_ptr 0
		.amdhsa_user_sgpr_kernarg_segment_ptr 1
		.amdhsa_user_sgpr_dispatch_id 0
		.amdhsa_user_sgpr_kernarg_preload_length 0
		.amdhsa_user_sgpr_kernarg_preload_offset 0
		.amdhsa_user_sgpr_private_segment_size 0
		.amdhsa_uses_dynamic_stack 0
		.amdhsa_enable_private_segment 0
		.amdhsa_system_sgpr_workgroup_id_x 1
		.amdhsa_system_sgpr_workgroup_id_y 0
		.amdhsa_system_sgpr_workgroup_id_z 0
		.amdhsa_system_sgpr_workgroup_info 0
		.amdhsa_system_vgpr_workitem_id 0
		.amdhsa_next_free_vgpr 26
		.amdhsa_next_free_sgpr 82
		.amdhsa_accum_offset 28
		.amdhsa_reserve_vcc 1
		.amdhsa_float_round_mode_32 0
		.amdhsa_float_round_mode_16_64 0
		.amdhsa_float_denorm_mode_32 3
		.amdhsa_float_denorm_mode_16_64 3
		.amdhsa_dx10_clamp 1
		.amdhsa_ieee_mode 1
		.amdhsa_fp16_overflow 0
		.amdhsa_tg_split 0
		.amdhsa_exception_fp_ieee_invalid_op 0
		.amdhsa_exception_fp_denorm_src 0
		.amdhsa_exception_fp_ieee_div_zero 0
		.amdhsa_exception_fp_ieee_overflow 0
		.amdhsa_exception_fp_ieee_underflow 0
		.amdhsa_exception_fp_ieee_inexact 0
		.amdhsa_exception_int_div_zero 0
	.end_amdhsa_kernel
	.section	.text._ZN2at6native32elementwise_kernel_manual_unrollILi128ELi4EZNS0_15gpu_kernel_implIZZZNS0_17clamp_kernel_cudaERNS_18TensorIteratorBaseERKN3c106ScalarES8_ENKUlvE_clEvENKUlvE4_clEvEUldE_EEvS4_RKT_EUlibE0_EEviT1_,"axG",@progbits,_ZN2at6native32elementwise_kernel_manual_unrollILi128ELi4EZNS0_15gpu_kernel_implIZZZNS0_17clamp_kernel_cudaERNS_18TensorIteratorBaseERKN3c106ScalarES8_ENKUlvE_clEvENKUlvE4_clEvEUldE_EEvS4_RKT_EUlibE0_EEviT1_,comdat
.Lfunc_end321:
	.size	_ZN2at6native32elementwise_kernel_manual_unrollILi128ELi4EZNS0_15gpu_kernel_implIZZZNS0_17clamp_kernel_cudaERNS_18TensorIteratorBaseERKN3c106ScalarES8_ENKUlvE_clEvENKUlvE4_clEvEUldE_EEvS4_RKT_EUlibE0_EEviT1_, .Lfunc_end321-_ZN2at6native32elementwise_kernel_manual_unrollILi128ELi4EZNS0_15gpu_kernel_implIZZZNS0_17clamp_kernel_cudaERNS_18TensorIteratorBaseERKN3c106ScalarES8_ENKUlvE_clEvENKUlvE4_clEvEUldE_EEvS4_RKT_EUlibE0_EEviT1_
                                        ; -- End function
	.set _ZN2at6native32elementwise_kernel_manual_unrollILi128ELi4EZNS0_15gpu_kernel_implIZZZNS0_17clamp_kernel_cudaERNS_18TensorIteratorBaseERKN3c106ScalarES8_ENKUlvE_clEvENKUlvE4_clEvEUldE_EEvS4_RKT_EUlibE0_EEviT1_.num_vgpr, 26
	.set _ZN2at6native32elementwise_kernel_manual_unrollILi128ELi4EZNS0_15gpu_kernel_implIZZZNS0_17clamp_kernel_cudaERNS_18TensorIteratorBaseERKN3c106ScalarES8_ENKUlvE_clEvENKUlvE4_clEvEUldE_EEvS4_RKT_EUlibE0_EEviT1_.num_agpr, 0
	.set _ZN2at6native32elementwise_kernel_manual_unrollILi128ELi4EZNS0_15gpu_kernel_implIZZZNS0_17clamp_kernel_cudaERNS_18TensorIteratorBaseERKN3c106ScalarES8_ENKUlvE_clEvENKUlvE4_clEvEUldE_EEvS4_RKT_EUlibE0_EEviT1_.numbered_sgpr, 82
	.set _ZN2at6native32elementwise_kernel_manual_unrollILi128ELi4EZNS0_15gpu_kernel_implIZZZNS0_17clamp_kernel_cudaERNS_18TensorIteratorBaseERKN3c106ScalarES8_ENKUlvE_clEvENKUlvE4_clEvEUldE_EEvS4_RKT_EUlibE0_EEviT1_.num_named_barrier, 0
	.set _ZN2at6native32elementwise_kernel_manual_unrollILi128ELi4EZNS0_15gpu_kernel_implIZZZNS0_17clamp_kernel_cudaERNS_18TensorIteratorBaseERKN3c106ScalarES8_ENKUlvE_clEvENKUlvE4_clEvEUldE_EEvS4_RKT_EUlibE0_EEviT1_.private_seg_size, 0
	.set _ZN2at6native32elementwise_kernel_manual_unrollILi128ELi4EZNS0_15gpu_kernel_implIZZZNS0_17clamp_kernel_cudaERNS_18TensorIteratorBaseERKN3c106ScalarES8_ENKUlvE_clEvENKUlvE4_clEvEUldE_EEvS4_RKT_EUlibE0_EEviT1_.uses_vcc, 1
	.set _ZN2at6native32elementwise_kernel_manual_unrollILi128ELi4EZNS0_15gpu_kernel_implIZZZNS0_17clamp_kernel_cudaERNS_18TensorIteratorBaseERKN3c106ScalarES8_ENKUlvE_clEvENKUlvE4_clEvEUldE_EEvS4_RKT_EUlibE0_EEviT1_.uses_flat_scratch, 0
	.set _ZN2at6native32elementwise_kernel_manual_unrollILi128ELi4EZNS0_15gpu_kernel_implIZZZNS0_17clamp_kernel_cudaERNS_18TensorIteratorBaseERKN3c106ScalarES8_ENKUlvE_clEvENKUlvE4_clEvEUldE_EEvS4_RKT_EUlibE0_EEviT1_.has_dyn_sized_stack, 0
	.set _ZN2at6native32elementwise_kernel_manual_unrollILi128ELi4EZNS0_15gpu_kernel_implIZZZNS0_17clamp_kernel_cudaERNS_18TensorIteratorBaseERKN3c106ScalarES8_ENKUlvE_clEvENKUlvE4_clEvEUldE_EEvS4_RKT_EUlibE0_EEviT1_.has_recursion, 0
	.set _ZN2at6native32elementwise_kernel_manual_unrollILi128ELi4EZNS0_15gpu_kernel_implIZZZNS0_17clamp_kernel_cudaERNS_18TensorIteratorBaseERKN3c106ScalarES8_ENKUlvE_clEvENKUlvE4_clEvEUldE_EEvS4_RKT_EUlibE0_EEviT1_.has_indirect_call, 0
	.section	.AMDGPU.csdata,"",@progbits
; Kernel info:
; codeLenInByte = 41568
; TotalNumSgprs: 88
; NumVgprs: 26
; NumAgprs: 0
; TotalNumVgprs: 26
; ScratchSize: 0
; MemoryBound: 1
; FloatMode: 240
; IeeeMode: 1
; LDSByteSize: 0 bytes/workgroup (compile time only)
; SGPRBlocks: 10
; VGPRBlocks: 3
; NumSGPRsForWavesPerEU: 88
; NumVGPRsForWavesPerEU: 26
; AccumOffset: 28
; Occupancy: 8
; WaveLimiterHint : 1
; COMPUTE_PGM_RSRC2:SCRATCH_EN: 0
; COMPUTE_PGM_RSRC2:USER_SGPR: 2
; COMPUTE_PGM_RSRC2:TRAP_HANDLER: 0
; COMPUTE_PGM_RSRC2:TGID_X_EN: 1
; COMPUTE_PGM_RSRC2:TGID_Y_EN: 0
; COMPUTE_PGM_RSRC2:TGID_Z_EN: 0
; COMPUTE_PGM_RSRC2:TIDIG_COMP_CNT: 0
; COMPUTE_PGM_RSRC3_GFX90A:ACCUM_OFFSET: 6
; COMPUTE_PGM_RSRC3_GFX90A:TG_SPLIT: 0
	.section	.text._ZN2at6native29vectorized_elementwise_kernelILi16EZZZNS0_17clamp_kernel_cudaERNS_18TensorIteratorBaseERKN3c106ScalarES7_ENKUlvE_clEvENKUlvE5_clEvEUlfE_St5arrayIPcLm2EEEEviT0_T1_,"axG",@progbits,_ZN2at6native29vectorized_elementwise_kernelILi16EZZZNS0_17clamp_kernel_cudaERNS_18TensorIteratorBaseERKN3c106ScalarES7_ENKUlvE_clEvENKUlvE5_clEvEUlfE_St5arrayIPcLm2EEEEviT0_T1_,comdat
	.globl	_ZN2at6native29vectorized_elementwise_kernelILi16EZZZNS0_17clamp_kernel_cudaERNS_18TensorIteratorBaseERKN3c106ScalarES7_ENKUlvE_clEvENKUlvE5_clEvEUlfE_St5arrayIPcLm2EEEEviT0_T1_ ; -- Begin function _ZN2at6native29vectorized_elementwise_kernelILi16EZZZNS0_17clamp_kernel_cudaERNS_18TensorIteratorBaseERKN3c106ScalarES7_ENKUlvE_clEvENKUlvE5_clEvEUlfE_St5arrayIPcLm2EEEEviT0_T1_
	.p2align	8
	.type	_ZN2at6native29vectorized_elementwise_kernelILi16EZZZNS0_17clamp_kernel_cudaERNS_18TensorIteratorBaseERKN3c106ScalarES7_ENKUlvE_clEvENKUlvE5_clEvEUlfE_St5arrayIPcLm2EEEEviT0_T1_,@function
_ZN2at6native29vectorized_elementwise_kernelILi16EZZZNS0_17clamp_kernel_cudaERNS_18TensorIteratorBaseERKN3c106ScalarES7_ENKUlvE_clEvENKUlvE5_clEvEUlfE_St5arrayIPcLm2EEEEviT0_T1_: ; @_ZN2at6native29vectorized_elementwise_kernelILi16EZZZNS0_17clamp_kernel_cudaERNS_18TensorIteratorBaseERKN3c106ScalarES7_ENKUlvE_clEvENKUlvE5_clEvEUlfE_St5arrayIPcLm2EEEEviT0_T1_
; %bb.0:
	s_load_dwordx8 s[4:11], s[0:1], 0x0
	s_lshl_b32 s2, s2, 10
	s_mov_b64 s[0:1], -1
	s_waitcnt lgkmcnt(0)
	s_sub_i32 s7, s4, s2
	s_cmpk_gt_i32 s7, 0x3ff
	v_max_f32_e64 v1, s5, s5
	v_max_f32_e64 v4, s6, s6
	s_cbranch_scc0 .LBB322_2
; %bb.1:
	s_ashr_i32 s3, s2, 31
	s_lshl_b64 s[0:1], s[2:3], 2
	s_add_u32 s4, s10, s0
	s_addc_u32 s5, s11, s1
	v_lshlrev_b32_e32 v2, 4, v0
	global_load_dwordx4 v[6:9], v2, s[4:5]
	s_add_u32 s0, s8, s0
	s_addc_u32 s1, s9, s1
	s_waitcnt vmcnt(0)
	v_max_f32_e32 v5, v7, v7
	v_max_f32_e32 v3, v6, v6
	;; [unrolled: 1-line block ×5, first 2 shown]
	v_min_f32_e32 v5, v5, v4
	v_cmp_u_f32_e32 vcc, v7, v7
	v_max_f32_e32 v10, v8, v8
	v_max_f32_e32 v11, v11, v1
	v_min_f32_e32 v3, v3, v4
	v_cndmask_b32_e32 v7, v5, v7, vcc
	v_cmp_u_f32_e32 vcc, v6, v6
	v_max_f32_e32 v10, v10, v1
	v_min_f32_e32 v11, v11, v4
	v_cndmask_b32_e32 v6, v3, v6, vcc
	v_cmp_u_f32_e32 vcc, v9, v9
	v_min_f32_e32 v10, v10, v4
	s_nop 0
	v_cndmask_b32_e32 v9, v11, v9, vcc
	v_cmp_u_f32_e32 vcc, v8, v8
	s_nop 1
	v_cndmask_b32_e32 v8, v10, v8, vcc
	global_store_dwordx4 v2, v[6:9], s[0:1]
	s_mov_b64 s[0:1], 0
.LBB322_2:
	s_andn2_b64 vcc, exec, s[0:1]
	s_cbranch_vccnz .LBB322_16
; %bb.3:
	v_cmp_gt_i32_e32 vcc, s7, v0
	v_mov_b32_e32 v5, 0
	v_or_b32_e32 v2, s2, v0
	v_mov_b32_e32 v3, 0
	v_mov_b32_e32 v6, v0
	s_and_saveexec_b64 s[0:1], vcc
	s_cbranch_execz .LBB322_5
; %bb.4:
	v_mov_b32_e32 v3, 0
	v_lshl_add_u64 v[6:7], v[2:3], 2, s[10:11]
	global_load_dword v3, v[6:7], off
	v_or_b32_e32 v6, 0x100, v0
.LBB322_5:
	s_or_b64 exec, exec, s[0:1]
	v_cmp_gt_i32_e64 s[0:1], s7, v6
	s_and_saveexec_b64 s[4:5], s[0:1]
	s_cbranch_execz .LBB322_7
; %bb.6:
	v_add_u32_e32 v8, s2, v6
	v_mov_b32_e32 v9, 0
	v_lshl_add_u64 v[8:9], v[8:9], 2, s[10:11]
	global_load_dword v5, v[8:9], off
	v_add_u32_e32 v6, 0x100, v6
.LBB322_7:
	s_or_b64 exec, exec, s[4:5]
	v_cmp_gt_i32_e64 s[0:1], s7, v6
	v_mov_b32_e32 v7, 0
	v_mov_b32_e32 v8, 0
	s_and_saveexec_b64 s[4:5], s[0:1]
	s_cbranch_execz .LBB322_9
; %bb.8:
	v_add_u32_e32 v8, s2, v6
	v_mov_b32_e32 v9, 0
	v_lshl_add_u64 v[8:9], v[8:9], 2, s[10:11]
	global_load_dword v8, v[8:9], off
	v_add_u32_e32 v6, 0x100, v6
.LBB322_9:
	s_or_b64 exec, exec, s[4:5]
	v_cmp_gt_i32_e64 s[0:1], s7, v6
	s_and_saveexec_b64 s[4:5], s[0:1]
	s_cbranch_execz .LBB322_11
; %bb.10:
	v_add_u32_e32 v6, s2, v6
	v_mov_b32_e32 v7, 0
	v_lshl_add_u64 v[6:7], v[6:7], 2, s[10:11]
	global_load_dword v7, v[6:7], off
.LBB322_11:
	s_or_b64 exec, exec, s[4:5]
	s_waitcnt vmcnt(0)
	v_max_f32_e32 v6, v3, v3
	v_max_f32_e32 v6, v6, v1
	v_min_f32_e32 v6, v6, v4
	v_cmp_u_f32_e64 s[0:1], v3, v3
	v_or_b32_e32 v9, 0x100, v0
	s_nop 0
	v_cndmask_b32_e64 v3, v6, v3, s[0:1]
	v_cndmask_b32_e32 v10, 0, v3, vcc
	v_max_f32_e32 v3, v5, v5
	v_max_f32_e32 v3, v3, v1
	v_min_f32_e32 v3, v3, v4
	v_cmp_u_f32_e64 s[0:1], v5, v5
	s_nop 1
	v_cndmask_b32_e64 v3, v3, v5, s[0:1]
	v_max_f32_e32 v5, v8, v8
	v_cmp_gt_i32_e64 s[0:1], s7, v9
	v_max_f32_e32 v5, v5, v1
	v_min_f32_e32 v5, v5, v4
	v_cndmask_b32_e64 v6, 0, v3, s[0:1]
	v_cmp_u_f32_e64 s[0:1], v8, v8
	v_or_b32_e32 v3, 0x200, v0
	s_nop 0
	v_cndmask_b32_e64 v5, v5, v8, s[0:1]
	v_max_f32_e32 v8, v7, v7
	v_cmp_gt_i32_e64 s[0:1], s7, v3
	v_max_f32_e32 v1, v8, v1
	v_or_b32_e32 v3, 0x300, v0
	v_cndmask_b32_e64 v5, 0, v5, s[0:1]
	v_min_f32_e32 v1, v1, v4
	v_cmp_u_f32_e64 s[0:1], v7, v7
	s_nop 1
	v_cndmask_b32_e64 v1, v1, v7, s[0:1]
	v_cmp_gt_i32_e64 s[0:1], s7, v3
	s_nop 1
	v_cndmask_b32_e64 v1, 0, v1, s[0:1]
	s_and_saveexec_b64 s[0:1], vcc
	s_cbranch_execnz .LBB322_17
; %bb.12:
	s_or_b64 exec, exec, s[0:1]
	v_cmp_gt_i32_e32 vcc, s7, v0
	s_and_saveexec_b64 s[0:1], vcc
	s_cbranch_execnz .LBB322_18
.LBB322_13:
	s_or_b64 exec, exec, s[0:1]
	v_cmp_gt_i32_e32 vcc, s7, v0
	s_and_saveexec_b64 s[0:1], vcc
	s_cbranch_execnz .LBB322_19
.LBB322_14:
	s_or_b64 exec, exec, s[0:1]
	v_cmp_gt_i32_e32 vcc, s7, v0
	s_and_saveexec_b64 s[0:1], vcc
	s_cbranch_execz .LBB322_16
.LBB322_15:
	v_add_u32_e32 v2, s2, v0
	v_mov_b32_e32 v3, 0
	v_lshl_add_u64 v[2:3], v[2:3], 2, s[8:9]
	global_store_dword v[2:3], v1, off
.LBB322_16:
	s_endpgm
.LBB322_17:
	v_mov_b32_e32 v3, 0
	v_lshl_add_u64 v[2:3], v[2:3], 2, s[8:9]
	v_mov_b32_e32 v0, v9
	global_store_dword v[2:3], v10, off
	s_or_b64 exec, exec, s[0:1]
	v_cmp_gt_i32_e32 vcc, s7, v0
	s_and_saveexec_b64 s[0:1], vcc
	s_cbranch_execz .LBB322_13
.LBB322_18:
	v_add_u32_e32 v2, s2, v0
	v_mov_b32_e32 v3, 0
	v_lshl_add_u64 v[2:3], v[2:3], 2, s[8:9]
	v_add_u32_e32 v0, 0x100, v0
	global_store_dword v[2:3], v6, off
	s_or_b64 exec, exec, s[0:1]
	v_cmp_gt_i32_e32 vcc, s7, v0
	s_and_saveexec_b64 s[0:1], vcc
	s_cbranch_execz .LBB322_14
.LBB322_19:
	v_add_u32_e32 v2, s2, v0
	v_mov_b32_e32 v3, 0
	v_lshl_add_u64 v[2:3], v[2:3], 2, s[8:9]
	v_add_u32_e32 v0, 0x100, v0
	global_store_dword v[2:3], v5, off
	s_or_b64 exec, exec, s[0:1]
	v_cmp_gt_i32_e32 vcc, s7, v0
	s_and_saveexec_b64 s[0:1], vcc
	s_cbranch_execnz .LBB322_15
	s_branch .LBB322_16
	.section	.rodata,"a",@progbits
	.p2align	6, 0x0
	.amdhsa_kernel _ZN2at6native29vectorized_elementwise_kernelILi16EZZZNS0_17clamp_kernel_cudaERNS_18TensorIteratorBaseERKN3c106ScalarES7_ENKUlvE_clEvENKUlvE5_clEvEUlfE_St5arrayIPcLm2EEEEviT0_T1_
		.amdhsa_group_segment_fixed_size 0
		.amdhsa_private_segment_fixed_size 0
		.amdhsa_kernarg_size 32
		.amdhsa_user_sgpr_count 2
		.amdhsa_user_sgpr_dispatch_ptr 0
		.amdhsa_user_sgpr_queue_ptr 0
		.amdhsa_user_sgpr_kernarg_segment_ptr 1
		.amdhsa_user_sgpr_dispatch_id 0
		.amdhsa_user_sgpr_kernarg_preload_length 0
		.amdhsa_user_sgpr_kernarg_preload_offset 0
		.amdhsa_user_sgpr_private_segment_size 0
		.amdhsa_uses_dynamic_stack 0
		.amdhsa_enable_private_segment 0
		.amdhsa_system_sgpr_workgroup_id_x 1
		.amdhsa_system_sgpr_workgroup_id_y 0
		.amdhsa_system_sgpr_workgroup_id_z 0
		.amdhsa_system_sgpr_workgroup_info 0
		.amdhsa_system_vgpr_workitem_id 0
		.amdhsa_next_free_vgpr 12
		.amdhsa_next_free_sgpr 12
		.amdhsa_accum_offset 12
		.amdhsa_reserve_vcc 1
		.amdhsa_float_round_mode_32 0
		.amdhsa_float_round_mode_16_64 0
		.amdhsa_float_denorm_mode_32 3
		.amdhsa_float_denorm_mode_16_64 3
		.amdhsa_dx10_clamp 1
		.amdhsa_ieee_mode 1
		.amdhsa_fp16_overflow 0
		.amdhsa_tg_split 0
		.amdhsa_exception_fp_ieee_invalid_op 0
		.amdhsa_exception_fp_denorm_src 0
		.amdhsa_exception_fp_ieee_div_zero 0
		.amdhsa_exception_fp_ieee_overflow 0
		.amdhsa_exception_fp_ieee_underflow 0
		.amdhsa_exception_fp_ieee_inexact 0
		.amdhsa_exception_int_div_zero 0
	.end_amdhsa_kernel
	.section	.text._ZN2at6native29vectorized_elementwise_kernelILi16EZZZNS0_17clamp_kernel_cudaERNS_18TensorIteratorBaseERKN3c106ScalarES7_ENKUlvE_clEvENKUlvE5_clEvEUlfE_St5arrayIPcLm2EEEEviT0_T1_,"axG",@progbits,_ZN2at6native29vectorized_elementwise_kernelILi16EZZZNS0_17clamp_kernel_cudaERNS_18TensorIteratorBaseERKN3c106ScalarES7_ENKUlvE_clEvENKUlvE5_clEvEUlfE_St5arrayIPcLm2EEEEviT0_T1_,comdat
.Lfunc_end322:
	.size	_ZN2at6native29vectorized_elementwise_kernelILi16EZZZNS0_17clamp_kernel_cudaERNS_18TensorIteratorBaseERKN3c106ScalarES7_ENKUlvE_clEvENKUlvE5_clEvEUlfE_St5arrayIPcLm2EEEEviT0_T1_, .Lfunc_end322-_ZN2at6native29vectorized_elementwise_kernelILi16EZZZNS0_17clamp_kernel_cudaERNS_18TensorIteratorBaseERKN3c106ScalarES7_ENKUlvE_clEvENKUlvE5_clEvEUlfE_St5arrayIPcLm2EEEEviT0_T1_
                                        ; -- End function
	.set _ZN2at6native29vectorized_elementwise_kernelILi16EZZZNS0_17clamp_kernel_cudaERNS_18TensorIteratorBaseERKN3c106ScalarES7_ENKUlvE_clEvENKUlvE5_clEvEUlfE_St5arrayIPcLm2EEEEviT0_T1_.num_vgpr, 12
	.set _ZN2at6native29vectorized_elementwise_kernelILi16EZZZNS0_17clamp_kernel_cudaERNS_18TensorIteratorBaseERKN3c106ScalarES7_ENKUlvE_clEvENKUlvE5_clEvEUlfE_St5arrayIPcLm2EEEEviT0_T1_.num_agpr, 0
	.set _ZN2at6native29vectorized_elementwise_kernelILi16EZZZNS0_17clamp_kernel_cudaERNS_18TensorIteratorBaseERKN3c106ScalarES7_ENKUlvE_clEvENKUlvE5_clEvEUlfE_St5arrayIPcLm2EEEEviT0_T1_.numbered_sgpr, 12
	.set _ZN2at6native29vectorized_elementwise_kernelILi16EZZZNS0_17clamp_kernel_cudaERNS_18TensorIteratorBaseERKN3c106ScalarES7_ENKUlvE_clEvENKUlvE5_clEvEUlfE_St5arrayIPcLm2EEEEviT0_T1_.num_named_barrier, 0
	.set _ZN2at6native29vectorized_elementwise_kernelILi16EZZZNS0_17clamp_kernel_cudaERNS_18TensorIteratorBaseERKN3c106ScalarES7_ENKUlvE_clEvENKUlvE5_clEvEUlfE_St5arrayIPcLm2EEEEviT0_T1_.private_seg_size, 0
	.set _ZN2at6native29vectorized_elementwise_kernelILi16EZZZNS0_17clamp_kernel_cudaERNS_18TensorIteratorBaseERKN3c106ScalarES7_ENKUlvE_clEvENKUlvE5_clEvEUlfE_St5arrayIPcLm2EEEEviT0_T1_.uses_vcc, 1
	.set _ZN2at6native29vectorized_elementwise_kernelILi16EZZZNS0_17clamp_kernel_cudaERNS_18TensorIteratorBaseERKN3c106ScalarES7_ENKUlvE_clEvENKUlvE5_clEvEUlfE_St5arrayIPcLm2EEEEviT0_T1_.uses_flat_scratch, 0
	.set _ZN2at6native29vectorized_elementwise_kernelILi16EZZZNS0_17clamp_kernel_cudaERNS_18TensorIteratorBaseERKN3c106ScalarES7_ENKUlvE_clEvENKUlvE5_clEvEUlfE_St5arrayIPcLm2EEEEviT0_T1_.has_dyn_sized_stack, 0
	.set _ZN2at6native29vectorized_elementwise_kernelILi16EZZZNS0_17clamp_kernel_cudaERNS_18TensorIteratorBaseERKN3c106ScalarES7_ENKUlvE_clEvENKUlvE5_clEvEUlfE_St5arrayIPcLm2EEEEviT0_T1_.has_recursion, 0
	.set _ZN2at6native29vectorized_elementwise_kernelILi16EZZZNS0_17clamp_kernel_cudaERNS_18TensorIteratorBaseERKN3c106ScalarES7_ENKUlvE_clEvENKUlvE5_clEvEUlfE_St5arrayIPcLm2EEEEviT0_T1_.has_indirect_call, 0
	.section	.AMDGPU.csdata,"",@progbits
; Kernel info:
; codeLenInByte = 848
; TotalNumSgprs: 18
; NumVgprs: 12
; NumAgprs: 0
; TotalNumVgprs: 12
; ScratchSize: 0
; MemoryBound: 0
; FloatMode: 240
; IeeeMode: 1
; LDSByteSize: 0 bytes/workgroup (compile time only)
; SGPRBlocks: 2
; VGPRBlocks: 1
; NumSGPRsForWavesPerEU: 18
; NumVGPRsForWavesPerEU: 12
; AccumOffset: 12
; Occupancy: 8
; WaveLimiterHint : 0
; COMPUTE_PGM_RSRC2:SCRATCH_EN: 0
; COMPUTE_PGM_RSRC2:USER_SGPR: 2
; COMPUTE_PGM_RSRC2:TRAP_HANDLER: 0
; COMPUTE_PGM_RSRC2:TGID_X_EN: 1
; COMPUTE_PGM_RSRC2:TGID_Y_EN: 0
; COMPUTE_PGM_RSRC2:TGID_Z_EN: 0
; COMPUTE_PGM_RSRC2:TIDIG_COMP_CNT: 0
; COMPUTE_PGM_RSRC3_GFX90A:ACCUM_OFFSET: 2
; COMPUTE_PGM_RSRC3_GFX90A:TG_SPLIT: 0
	.section	.text._ZN2at6native29vectorized_elementwise_kernelILi8EZZZNS0_17clamp_kernel_cudaERNS_18TensorIteratorBaseERKN3c106ScalarES7_ENKUlvE_clEvENKUlvE5_clEvEUlfE_St5arrayIPcLm2EEEEviT0_T1_,"axG",@progbits,_ZN2at6native29vectorized_elementwise_kernelILi8EZZZNS0_17clamp_kernel_cudaERNS_18TensorIteratorBaseERKN3c106ScalarES7_ENKUlvE_clEvENKUlvE5_clEvEUlfE_St5arrayIPcLm2EEEEviT0_T1_,comdat
	.globl	_ZN2at6native29vectorized_elementwise_kernelILi8EZZZNS0_17clamp_kernel_cudaERNS_18TensorIteratorBaseERKN3c106ScalarES7_ENKUlvE_clEvENKUlvE5_clEvEUlfE_St5arrayIPcLm2EEEEviT0_T1_ ; -- Begin function _ZN2at6native29vectorized_elementwise_kernelILi8EZZZNS0_17clamp_kernel_cudaERNS_18TensorIteratorBaseERKN3c106ScalarES7_ENKUlvE_clEvENKUlvE5_clEvEUlfE_St5arrayIPcLm2EEEEviT0_T1_
	.p2align	8
	.type	_ZN2at6native29vectorized_elementwise_kernelILi8EZZZNS0_17clamp_kernel_cudaERNS_18TensorIteratorBaseERKN3c106ScalarES7_ENKUlvE_clEvENKUlvE5_clEvEUlfE_St5arrayIPcLm2EEEEviT0_T1_,@function
_ZN2at6native29vectorized_elementwise_kernelILi8EZZZNS0_17clamp_kernel_cudaERNS_18TensorIteratorBaseERKN3c106ScalarES7_ENKUlvE_clEvENKUlvE5_clEvEUlfE_St5arrayIPcLm2EEEEviT0_T1_: ; @_ZN2at6native29vectorized_elementwise_kernelILi8EZZZNS0_17clamp_kernel_cudaERNS_18TensorIteratorBaseERKN3c106ScalarES7_ENKUlvE_clEvENKUlvE5_clEvEUlfE_St5arrayIPcLm2EEEEviT0_T1_
; %bb.0:
	s_load_dwordx8 s[4:11], s[0:1], 0x0
	s_lshl_b32 s2, s2, 10
	s_mov_b64 s[0:1], -1
	s_waitcnt lgkmcnt(0)
	s_sub_i32 s7, s4, s2
	s_cmpk_gt_i32 s7, 0x3ff
	v_max_f32_e64 v1, s5, s5
	v_max_f32_e64 v4, s6, s6
	s_cbranch_scc0 .LBB323_2
; %bb.1:
	s_ashr_i32 s3, s2, 31
	s_lshl_b64 s[0:1], s[2:3], 2
	s_add_u32 s4, s10, s0
	s_addc_u32 s5, s11, s1
	v_lshlrev_b32_e32 v2, 4, v0
	global_load_dwordx4 v[6:9], v2, s[4:5]
	s_add_u32 s0, s8, s0
	s_addc_u32 s1, s9, s1
	s_waitcnt vmcnt(0)
	v_max_f32_e32 v5, v7, v7
	v_max_f32_e32 v3, v6, v6
	;; [unrolled: 1-line block ×5, first 2 shown]
	v_min_f32_e32 v5, v5, v4
	v_cmp_u_f32_e32 vcc, v7, v7
	v_max_f32_e32 v10, v8, v8
	v_max_f32_e32 v11, v11, v1
	v_min_f32_e32 v3, v3, v4
	v_cndmask_b32_e32 v7, v5, v7, vcc
	v_cmp_u_f32_e32 vcc, v6, v6
	v_max_f32_e32 v10, v10, v1
	v_min_f32_e32 v11, v11, v4
	v_cndmask_b32_e32 v6, v3, v6, vcc
	v_cmp_u_f32_e32 vcc, v9, v9
	v_min_f32_e32 v10, v10, v4
	s_nop 0
	v_cndmask_b32_e32 v9, v11, v9, vcc
	v_cmp_u_f32_e32 vcc, v8, v8
	s_nop 1
	v_cndmask_b32_e32 v8, v10, v8, vcc
	global_store_dwordx4 v2, v[6:9], s[0:1]
	s_mov_b64 s[0:1], 0
.LBB323_2:
	s_andn2_b64 vcc, exec, s[0:1]
	s_cbranch_vccnz .LBB323_16
; %bb.3:
	v_cmp_gt_i32_e32 vcc, s7, v0
	v_mov_b32_e32 v5, 0
	v_or_b32_e32 v2, s2, v0
	v_mov_b32_e32 v3, 0
	v_mov_b32_e32 v6, v0
	s_and_saveexec_b64 s[0:1], vcc
	s_cbranch_execz .LBB323_5
; %bb.4:
	v_mov_b32_e32 v3, 0
	v_lshl_add_u64 v[6:7], v[2:3], 2, s[10:11]
	global_load_dword v3, v[6:7], off
	v_or_b32_e32 v6, 0x100, v0
.LBB323_5:
	s_or_b64 exec, exec, s[0:1]
	v_cmp_gt_i32_e64 s[0:1], s7, v6
	s_and_saveexec_b64 s[4:5], s[0:1]
	s_cbranch_execz .LBB323_7
; %bb.6:
	v_add_u32_e32 v8, s2, v6
	v_mov_b32_e32 v9, 0
	v_lshl_add_u64 v[8:9], v[8:9], 2, s[10:11]
	global_load_dword v5, v[8:9], off
	v_add_u32_e32 v6, 0x100, v6
.LBB323_7:
	s_or_b64 exec, exec, s[4:5]
	v_cmp_gt_i32_e64 s[0:1], s7, v6
	v_mov_b32_e32 v7, 0
	v_mov_b32_e32 v8, 0
	s_and_saveexec_b64 s[4:5], s[0:1]
	s_cbranch_execz .LBB323_9
; %bb.8:
	v_add_u32_e32 v8, s2, v6
	v_mov_b32_e32 v9, 0
	v_lshl_add_u64 v[8:9], v[8:9], 2, s[10:11]
	global_load_dword v8, v[8:9], off
	v_add_u32_e32 v6, 0x100, v6
.LBB323_9:
	s_or_b64 exec, exec, s[4:5]
	v_cmp_gt_i32_e64 s[0:1], s7, v6
	s_and_saveexec_b64 s[4:5], s[0:1]
	s_cbranch_execz .LBB323_11
; %bb.10:
	v_add_u32_e32 v6, s2, v6
	v_mov_b32_e32 v7, 0
	v_lshl_add_u64 v[6:7], v[6:7], 2, s[10:11]
	global_load_dword v7, v[6:7], off
.LBB323_11:
	s_or_b64 exec, exec, s[4:5]
	s_waitcnt vmcnt(0)
	v_max_f32_e32 v6, v3, v3
	v_max_f32_e32 v6, v6, v1
	v_min_f32_e32 v6, v6, v4
	v_cmp_u_f32_e64 s[0:1], v3, v3
	v_or_b32_e32 v9, 0x100, v0
	s_nop 0
	v_cndmask_b32_e64 v3, v6, v3, s[0:1]
	v_cndmask_b32_e32 v10, 0, v3, vcc
	v_max_f32_e32 v3, v5, v5
	v_max_f32_e32 v3, v3, v1
	v_min_f32_e32 v3, v3, v4
	v_cmp_u_f32_e64 s[0:1], v5, v5
	s_nop 1
	v_cndmask_b32_e64 v3, v3, v5, s[0:1]
	v_max_f32_e32 v5, v8, v8
	v_cmp_gt_i32_e64 s[0:1], s7, v9
	v_max_f32_e32 v5, v5, v1
	v_min_f32_e32 v5, v5, v4
	v_cndmask_b32_e64 v6, 0, v3, s[0:1]
	v_cmp_u_f32_e64 s[0:1], v8, v8
	v_or_b32_e32 v3, 0x200, v0
	s_nop 0
	v_cndmask_b32_e64 v5, v5, v8, s[0:1]
	v_max_f32_e32 v8, v7, v7
	v_cmp_gt_i32_e64 s[0:1], s7, v3
	v_max_f32_e32 v1, v8, v1
	v_or_b32_e32 v3, 0x300, v0
	v_cndmask_b32_e64 v5, 0, v5, s[0:1]
	v_min_f32_e32 v1, v1, v4
	v_cmp_u_f32_e64 s[0:1], v7, v7
	s_nop 1
	v_cndmask_b32_e64 v1, v1, v7, s[0:1]
	v_cmp_gt_i32_e64 s[0:1], s7, v3
	s_nop 1
	v_cndmask_b32_e64 v1, 0, v1, s[0:1]
	s_and_saveexec_b64 s[0:1], vcc
	s_cbranch_execnz .LBB323_17
; %bb.12:
	s_or_b64 exec, exec, s[0:1]
	v_cmp_gt_i32_e32 vcc, s7, v0
	s_and_saveexec_b64 s[0:1], vcc
	s_cbranch_execnz .LBB323_18
.LBB323_13:
	s_or_b64 exec, exec, s[0:1]
	v_cmp_gt_i32_e32 vcc, s7, v0
	s_and_saveexec_b64 s[0:1], vcc
	s_cbranch_execnz .LBB323_19
.LBB323_14:
	s_or_b64 exec, exec, s[0:1]
	v_cmp_gt_i32_e32 vcc, s7, v0
	s_and_saveexec_b64 s[0:1], vcc
	s_cbranch_execz .LBB323_16
.LBB323_15:
	v_add_u32_e32 v2, s2, v0
	v_mov_b32_e32 v3, 0
	v_lshl_add_u64 v[2:3], v[2:3], 2, s[8:9]
	global_store_dword v[2:3], v1, off
.LBB323_16:
	s_endpgm
.LBB323_17:
	v_mov_b32_e32 v3, 0
	v_lshl_add_u64 v[2:3], v[2:3], 2, s[8:9]
	v_mov_b32_e32 v0, v9
	global_store_dword v[2:3], v10, off
	s_or_b64 exec, exec, s[0:1]
	v_cmp_gt_i32_e32 vcc, s7, v0
	s_and_saveexec_b64 s[0:1], vcc
	s_cbranch_execz .LBB323_13
.LBB323_18:
	v_add_u32_e32 v2, s2, v0
	v_mov_b32_e32 v3, 0
	v_lshl_add_u64 v[2:3], v[2:3], 2, s[8:9]
	v_add_u32_e32 v0, 0x100, v0
	global_store_dword v[2:3], v6, off
	s_or_b64 exec, exec, s[0:1]
	v_cmp_gt_i32_e32 vcc, s7, v0
	s_and_saveexec_b64 s[0:1], vcc
	s_cbranch_execz .LBB323_14
.LBB323_19:
	v_add_u32_e32 v2, s2, v0
	v_mov_b32_e32 v3, 0
	v_lshl_add_u64 v[2:3], v[2:3], 2, s[8:9]
	v_add_u32_e32 v0, 0x100, v0
	global_store_dword v[2:3], v5, off
	s_or_b64 exec, exec, s[0:1]
	v_cmp_gt_i32_e32 vcc, s7, v0
	s_and_saveexec_b64 s[0:1], vcc
	s_cbranch_execnz .LBB323_15
	s_branch .LBB323_16
	.section	.rodata,"a",@progbits
	.p2align	6, 0x0
	.amdhsa_kernel _ZN2at6native29vectorized_elementwise_kernelILi8EZZZNS0_17clamp_kernel_cudaERNS_18TensorIteratorBaseERKN3c106ScalarES7_ENKUlvE_clEvENKUlvE5_clEvEUlfE_St5arrayIPcLm2EEEEviT0_T1_
		.amdhsa_group_segment_fixed_size 0
		.amdhsa_private_segment_fixed_size 0
		.amdhsa_kernarg_size 32
		.amdhsa_user_sgpr_count 2
		.amdhsa_user_sgpr_dispatch_ptr 0
		.amdhsa_user_sgpr_queue_ptr 0
		.amdhsa_user_sgpr_kernarg_segment_ptr 1
		.amdhsa_user_sgpr_dispatch_id 0
		.amdhsa_user_sgpr_kernarg_preload_length 0
		.amdhsa_user_sgpr_kernarg_preload_offset 0
		.amdhsa_user_sgpr_private_segment_size 0
		.amdhsa_uses_dynamic_stack 0
		.amdhsa_enable_private_segment 0
		.amdhsa_system_sgpr_workgroup_id_x 1
		.amdhsa_system_sgpr_workgroup_id_y 0
		.amdhsa_system_sgpr_workgroup_id_z 0
		.amdhsa_system_sgpr_workgroup_info 0
		.amdhsa_system_vgpr_workitem_id 0
		.amdhsa_next_free_vgpr 12
		.amdhsa_next_free_sgpr 12
		.amdhsa_accum_offset 12
		.amdhsa_reserve_vcc 1
		.amdhsa_float_round_mode_32 0
		.amdhsa_float_round_mode_16_64 0
		.amdhsa_float_denorm_mode_32 3
		.amdhsa_float_denorm_mode_16_64 3
		.amdhsa_dx10_clamp 1
		.amdhsa_ieee_mode 1
		.amdhsa_fp16_overflow 0
		.amdhsa_tg_split 0
		.amdhsa_exception_fp_ieee_invalid_op 0
		.amdhsa_exception_fp_denorm_src 0
		.amdhsa_exception_fp_ieee_div_zero 0
		.amdhsa_exception_fp_ieee_overflow 0
		.amdhsa_exception_fp_ieee_underflow 0
		.amdhsa_exception_fp_ieee_inexact 0
		.amdhsa_exception_int_div_zero 0
	.end_amdhsa_kernel
	.section	.text._ZN2at6native29vectorized_elementwise_kernelILi8EZZZNS0_17clamp_kernel_cudaERNS_18TensorIteratorBaseERKN3c106ScalarES7_ENKUlvE_clEvENKUlvE5_clEvEUlfE_St5arrayIPcLm2EEEEviT0_T1_,"axG",@progbits,_ZN2at6native29vectorized_elementwise_kernelILi8EZZZNS0_17clamp_kernel_cudaERNS_18TensorIteratorBaseERKN3c106ScalarES7_ENKUlvE_clEvENKUlvE5_clEvEUlfE_St5arrayIPcLm2EEEEviT0_T1_,comdat
.Lfunc_end323:
	.size	_ZN2at6native29vectorized_elementwise_kernelILi8EZZZNS0_17clamp_kernel_cudaERNS_18TensorIteratorBaseERKN3c106ScalarES7_ENKUlvE_clEvENKUlvE5_clEvEUlfE_St5arrayIPcLm2EEEEviT0_T1_, .Lfunc_end323-_ZN2at6native29vectorized_elementwise_kernelILi8EZZZNS0_17clamp_kernel_cudaERNS_18TensorIteratorBaseERKN3c106ScalarES7_ENKUlvE_clEvENKUlvE5_clEvEUlfE_St5arrayIPcLm2EEEEviT0_T1_
                                        ; -- End function
	.set _ZN2at6native29vectorized_elementwise_kernelILi8EZZZNS0_17clamp_kernel_cudaERNS_18TensorIteratorBaseERKN3c106ScalarES7_ENKUlvE_clEvENKUlvE5_clEvEUlfE_St5arrayIPcLm2EEEEviT0_T1_.num_vgpr, 12
	.set _ZN2at6native29vectorized_elementwise_kernelILi8EZZZNS0_17clamp_kernel_cudaERNS_18TensorIteratorBaseERKN3c106ScalarES7_ENKUlvE_clEvENKUlvE5_clEvEUlfE_St5arrayIPcLm2EEEEviT0_T1_.num_agpr, 0
	.set _ZN2at6native29vectorized_elementwise_kernelILi8EZZZNS0_17clamp_kernel_cudaERNS_18TensorIteratorBaseERKN3c106ScalarES7_ENKUlvE_clEvENKUlvE5_clEvEUlfE_St5arrayIPcLm2EEEEviT0_T1_.numbered_sgpr, 12
	.set _ZN2at6native29vectorized_elementwise_kernelILi8EZZZNS0_17clamp_kernel_cudaERNS_18TensorIteratorBaseERKN3c106ScalarES7_ENKUlvE_clEvENKUlvE5_clEvEUlfE_St5arrayIPcLm2EEEEviT0_T1_.num_named_barrier, 0
	.set _ZN2at6native29vectorized_elementwise_kernelILi8EZZZNS0_17clamp_kernel_cudaERNS_18TensorIteratorBaseERKN3c106ScalarES7_ENKUlvE_clEvENKUlvE5_clEvEUlfE_St5arrayIPcLm2EEEEviT0_T1_.private_seg_size, 0
	.set _ZN2at6native29vectorized_elementwise_kernelILi8EZZZNS0_17clamp_kernel_cudaERNS_18TensorIteratorBaseERKN3c106ScalarES7_ENKUlvE_clEvENKUlvE5_clEvEUlfE_St5arrayIPcLm2EEEEviT0_T1_.uses_vcc, 1
	.set _ZN2at6native29vectorized_elementwise_kernelILi8EZZZNS0_17clamp_kernel_cudaERNS_18TensorIteratorBaseERKN3c106ScalarES7_ENKUlvE_clEvENKUlvE5_clEvEUlfE_St5arrayIPcLm2EEEEviT0_T1_.uses_flat_scratch, 0
	.set _ZN2at6native29vectorized_elementwise_kernelILi8EZZZNS0_17clamp_kernel_cudaERNS_18TensorIteratorBaseERKN3c106ScalarES7_ENKUlvE_clEvENKUlvE5_clEvEUlfE_St5arrayIPcLm2EEEEviT0_T1_.has_dyn_sized_stack, 0
	.set _ZN2at6native29vectorized_elementwise_kernelILi8EZZZNS0_17clamp_kernel_cudaERNS_18TensorIteratorBaseERKN3c106ScalarES7_ENKUlvE_clEvENKUlvE5_clEvEUlfE_St5arrayIPcLm2EEEEviT0_T1_.has_recursion, 0
	.set _ZN2at6native29vectorized_elementwise_kernelILi8EZZZNS0_17clamp_kernel_cudaERNS_18TensorIteratorBaseERKN3c106ScalarES7_ENKUlvE_clEvENKUlvE5_clEvEUlfE_St5arrayIPcLm2EEEEviT0_T1_.has_indirect_call, 0
	.section	.AMDGPU.csdata,"",@progbits
; Kernel info:
; codeLenInByte = 848
; TotalNumSgprs: 18
; NumVgprs: 12
; NumAgprs: 0
; TotalNumVgprs: 12
; ScratchSize: 0
; MemoryBound: 0
; FloatMode: 240
; IeeeMode: 1
; LDSByteSize: 0 bytes/workgroup (compile time only)
; SGPRBlocks: 2
; VGPRBlocks: 1
; NumSGPRsForWavesPerEU: 18
; NumVGPRsForWavesPerEU: 12
; AccumOffset: 12
; Occupancy: 8
; WaveLimiterHint : 0
; COMPUTE_PGM_RSRC2:SCRATCH_EN: 0
; COMPUTE_PGM_RSRC2:USER_SGPR: 2
; COMPUTE_PGM_RSRC2:TRAP_HANDLER: 0
; COMPUTE_PGM_RSRC2:TGID_X_EN: 1
; COMPUTE_PGM_RSRC2:TGID_Y_EN: 0
; COMPUTE_PGM_RSRC2:TGID_Z_EN: 0
; COMPUTE_PGM_RSRC2:TIDIG_COMP_CNT: 0
; COMPUTE_PGM_RSRC3_GFX90A:ACCUM_OFFSET: 2
; COMPUTE_PGM_RSRC3_GFX90A:TG_SPLIT: 0
	.section	.text._ZN2at6native29vectorized_elementwise_kernelILi4EZZZNS0_17clamp_kernel_cudaERNS_18TensorIteratorBaseERKN3c106ScalarES7_ENKUlvE_clEvENKUlvE5_clEvEUlfE_St5arrayIPcLm2EEEEviT0_T1_,"axG",@progbits,_ZN2at6native29vectorized_elementwise_kernelILi4EZZZNS0_17clamp_kernel_cudaERNS_18TensorIteratorBaseERKN3c106ScalarES7_ENKUlvE_clEvENKUlvE5_clEvEUlfE_St5arrayIPcLm2EEEEviT0_T1_,comdat
	.globl	_ZN2at6native29vectorized_elementwise_kernelILi4EZZZNS0_17clamp_kernel_cudaERNS_18TensorIteratorBaseERKN3c106ScalarES7_ENKUlvE_clEvENKUlvE5_clEvEUlfE_St5arrayIPcLm2EEEEviT0_T1_ ; -- Begin function _ZN2at6native29vectorized_elementwise_kernelILi4EZZZNS0_17clamp_kernel_cudaERNS_18TensorIteratorBaseERKN3c106ScalarES7_ENKUlvE_clEvENKUlvE5_clEvEUlfE_St5arrayIPcLm2EEEEviT0_T1_
	.p2align	8
	.type	_ZN2at6native29vectorized_elementwise_kernelILi4EZZZNS0_17clamp_kernel_cudaERNS_18TensorIteratorBaseERKN3c106ScalarES7_ENKUlvE_clEvENKUlvE5_clEvEUlfE_St5arrayIPcLm2EEEEviT0_T1_,@function
_ZN2at6native29vectorized_elementwise_kernelILi4EZZZNS0_17clamp_kernel_cudaERNS_18TensorIteratorBaseERKN3c106ScalarES7_ENKUlvE_clEvENKUlvE5_clEvEUlfE_St5arrayIPcLm2EEEEviT0_T1_: ; @_ZN2at6native29vectorized_elementwise_kernelILi4EZZZNS0_17clamp_kernel_cudaERNS_18TensorIteratorBaseERKN3c106ScalarES7_ENKUlvE_clEvENKUlvE5_clEvEUlfE_St5arrayIPcLm2EEEEviT0_T1_
; %bb.0:
	s_load_dwordx8 s[4:11], s[0:1], 0x0
	s_lshl_b32 s2, s2, 10
	s_mov_b64 s[0:1], -1
	s_waitcnt lgkmcnt(0)
	s_sub_i32 s7, s4, s2
	s_cmpk_gt_i32 s7, 0x3ff
	v_max_f32_e64 v1, s5, s5
	v_max_f32_e64 v4, s6, s6
	s_cbranch_scc0 .LBB324_2
; %bb.1:
	s_ashr_i32 s3, s2, 31
	s_lshl_b64 s[0:1], s[2:3], 2
	s_add_u32 s4, s10, s0
	s_addc_u32 s5, s11, s1
	v_lshlrev_b32_e32 v2, 4, v0
	global_load_dwordx4 v[6:9], v2, s[4:5]
	s_add_u32 s0, s8, s0
	s_addc_u32 s1, s9, s1
	s_waitcnt vmcnt(0)
	v_max_f32_e32 v5, v7, v7
	v_max_f32_e32 v3, v6, v6
	v_max_f32_e32 v5, v5, v1
	v_max_f32_e32 v11, v9, v9
	v_max_f32_e32 v3, v3, v1
	v_min_f32_e32 v5, v5, v4
	v_cmp_u_f32_e32 vcc, v7, v7
	v_max_f32_e32 v10, v8, v8
	v_max_f32_e32 v11, v11, v1
	v_min_f32_e32 v3, v3, v4
	v_cndmask_b32_e32 v7, v5, v7, vcc
	v_cmp_u_f32_e32 vcc, v6, v6
	v_max_f32_e32 v10, v10, v1
	v_min_f32_e32 v11, v11, v4
	v_cndmask_b32_e32 v6, v3, v6, vcc
	v_cmp_u_f32_e32 vcc, v9, v9
	v_min_f32_e32 v10, v10, v4
	s_nop 0
	v_cndmask_b32_e32 v9, v11, v9, vcc
	v_cmp_u_f32_e32 vcc, v8, v8
	s_nop 1
	v_cndmask_b32_e32 v8, v10, v8, vcc
	global_store_dwordx4 v2, v[6:9], s[0:1]
	s_mov_b64 s[0:1], 0
.LBB324_2:
	s_andn2_b64 vcc, exec, s[0:1]
	s_cbranch_vccnz .LBB324_16
; %bb.3:
	v_cmp_gt_i32_e32 vcc, s7, v0
	v_mov_b32_e32 v5, 0
	v_or_b32_e32 v2, s2, v0
	v_mov_b32_e32 v3, 0
	v_mov_b32_e32 v6, v0
	s_and_saveexec_b64 s[0:1], vcc
	s_cbranch_execz .LBB324_5
; %bb.4:
	v_mov_b32_e32 v3, 0
	v_lshl_add_u64 v[6:7], v[2:3], 2, s[10:11]
	global_load_dword v3, v[6:7], off
	v_or_b32_e32 v6, 0x100, v0
.LBB324_5:
	s_or_b64 exec, exec, s[0:1]
	v_cmp_gt_i32_e64 s[0:1], s7, v6
	s_and_saveexec_b64 s[4:5], s[0:1]
	s_cbranch_execz .LBB324_7
; %bb.6:
	v_add_u32_e32 v8, s2, v6
	v_mov_b32_e32 v9, 0
	v_lshl_add_u64 v[8:9], v[8:9], 2, s[10:11]
	global_load_dword v5, v[8:9], off
	v_add_u32_e32 v6, 0x100, v6
.LBB324_7:
	s_or_b64 exec, exec, s[4:5]
	v_cmp_gt_i32_e64 s[0:1], s7, v6
	v_mov_b32_e32 v7, 0
	v_mov_b32_e32 v8, 0
	s_and_saveexec_b64 s[4:5], s[0:1]
	s_cbranch_execz .LBB324_9
; %bb.8:
	v_add_u32_e32 v8, s2, v6
	v_mov_b32_e32 v9, 0
	v_lshl_add_u64 v[8:9], v[8:9], 2, s[10:11]
	global_load_dword v8, v[8:9], off
	v_add_u32_e32 v6, 0x100, v6
.LBB324_9:
	s_or_b64 exec, exec, s[4:5]
	v_cmp_gt_i32_e64 s[0:1], s7, v6
	s_and_saveexec_b64 s[4:5], s[0:1]
	s_cbranch_execz .LBB324_11
; %bb.10:
	v_add_u32_e32 v6, s2, v6
	v_mov_b32_e32 v7, 0
	v_lshl_add_u64 v[6:7], v[6:7], 2, s[10:11]
	global_load_dword v7, v[6:7], off
.LBB324_11:
	s_or_b64 exec, exec, s[4:5]
	s_waitcnt vmcnt(0)
	v_max_f32_e32 v6, v3, v3
	v_max_f32_e32 v6, v6, v1
	v_min_f32_e32 v6, v6, v4
	v_cmp_u_f32_e64 s[0:1], v3, v3
	v_or_b32_e32 v9, 0x100, v0
	s_nop 0
	v_cndmask_b32_e64 v3, v6, v3, s[0:1]
	v_cndmask_b32_e32 v10, 0, v3, vcc
	v_max_f32_e32 v3, v5, v5
	v_max_f32_e32 v3, v3, v1
	v_min_f32_e32 v3, v3, v4
	v_cmp_u_f32_e64 s[0:1], v5, v5
	s_nop 1
	v_cndmask_b32_e64 v3, v3, v5, s[0:1]
	v_max_f32_e32 v5, v8, v8
	v_cmp_gt_i32_e64 s[0:1], s7, v9
	v_max_f32_e32 v5, v5, v1
	v_min_f32_e32 v5, v5, v4
	v_cndmask_b32_e64 v6, 0, v3, s[0:1]
	v_cmp_u_f32_e64 s[0:1], v8, v8
	v_or_b32_e32 v3, 0x200, v0
	s_nop 0
	v_cndmask_b32_e64 v5, v5, v8, s[0:1]
	v_max_f32_e32 v8, v7, v7
	v_cmp_gt_i32_e64 s[0:1], s7, v3
	v_max_f32_e32 v1, v8, v1
	v_or_b32_e32 v3, 0x300, v0
	v_cndmask_b32_e64 v5, 0, v5, s[0:1]
	v_min_f32_e32 v1, v1, v4
	v_cmp_u_f32_e64 s[0:1], v7, v7
	s_nop 1
	v_cndmask_b32_e64 v1, v1, v7, s[0:1]
	v_cmp_gt_i32_e64 s[0:1], s7, v3
	s_nop 1
	v_cndmask_b32_e64 v1, 0, v1, s[0:1]
	s_and_saveexec_b64 s[0:1], vcc
	s_cbranch_execnz .LBB324_17
; %bb.12:
	s_or_b64 exec, exec, s[0:1]
	v_cmp_gt_i32_e32 vcc, s7, v0
	s_and_saveexec_b64 s[0:1], vcc
	s_cbranch_execnz .LBB324_18
.LBB324_13:
	s_or_b64 exec, exec, s[0:1]
	v_cmp_gt_i32_e32 vcc, s7, v0
	s_and_saveexec_b64 s[0:1], vcc
	s_cbranch_execnz .LBB324_19
.LBB324_14:
	s_or_b64 exec, exec, s[0:1]
	v_cmp_gt_i32_e32 vcc, s7, v0
	s_and_saveexec_b64 s[0:1], vcc
	s_cbranch_execz .LBB324_16
.LBB324_15:
	v_add_u32_e32 v2, s2, v0
	v_mov_b32_e32 v3, 0
	v_lshl_add_u64 v[2:3], v[2:3], 2, s[8:9]
	global_store_dword v[2:3], v1, off
.LBB324_16:
	s_endpgm
.LBB324_17:
	v_mov_b32_e32 v3, 0
	v_lshl_add_u64 v[2:3], v[2:3], 2, s[8:9]
	v_mov_b32_e32 v0, v9
	global_store_dword v[2:3], v10, off
	s_or_b64 exec, exec, s[0:1]
	v_cmp_gt_i32_e32 vcc, s7, v0
	s_and_saveexec_b64 s[0:1], vcc
	s_cbranch_execz .LBB324_13
.LBB324_18:
	v_add_u32_e32 v2, s2, v0
	v_mov_b32_e32 v3, 0
	v_lshl_add_u64 v[2:3], v[2:3], 2, s[8:9]
	v_add_u32_e32 v0, 0x100, v0
	global_store_dword v[2:3], v6, off
	s_or_b64 exec, exec, s[0:1]
	v_cmp_gt_i32_e32 vcc, s7, v0
	s_and_saveexec_b64 s[0:1], vcc
	s_cbranch_execz .LBB324_14
.LBB324_19:
	v_add_u32_e32 v2, s2, v0
	v_mov_b32_e32 v3, 0
	v_lshl_add_u64 v[2:3], v[2:3], 2, s[8:9]
	v_add_u32_e32 v0, 0x100, v0
	global_store_dword v[2:3], v5, off
	s_or_b64 exec, exec, s[0:1]
	v_cmp_gt_i32_e32 vcc, s7, v0
	s_and_saveexec_b64 s[0:1], vcc
	s_cbranch_execnz .LBB324_15
	s_branch .LBB324_16
	.section	.rodata,"a",@progbits
	.p2align	6, 0x0
	.amdhsa_kernel _ZN2at6native29vectorized_elementwise_kernelILi4EZZZNS0_17clamp_kernel_cudaERNS_18TensorIteratorBaseERKN3c106ScalarES7_ENKUlvE_clEvENKUlvE5_clEvEUlfE_St5arrayIPcLm2EEEEviT0_T1_
		.amdhsa_group_segment_fixed_size 0
		.amdhsa_private_segment_fixed_size 0
		.amdhsa_kernarg_size 32
		.amdhsa_user_sgpr_count 2
		.amdhsa_user_sgpr_dispatch_ptr 0
		.amdhsa_user_sgpr_queue_ptr 0
		.amdhsa_user_sgpr_kernarg_segment_ptr 1
		.amdhsa_user_sgpr_dispatch_id 0
		.amdhsa_user_sgpr_kernarg_preload_length 0
		.amdhsa_user_sgpr_kernarg_preload_offset 0
		.amdhsa_user_sgpr_private_segment_size 0
		.amdhsa_uses_dynamic_stack 0
		.amdhsa_enable_private_segment 0
		.amdhsa_system_sgpr_workgroup_id_x 1
		.amdhsa_system_sgpr_workgroup_id_y 0
		.amdhsa_system_sgpr_workgroup_id_z 0
		.amdhsa_system_sgpr_workgroup_info 0
		.amdhsa_system_vgpr_workitem_id 0
		.amdhsa_next_free_vgpr 12
		.amdhsa_next_free_sgpr 12
		.amdhsa_accum_offset 12
		.amdhsa_reserve_vcc 1
		.amdhsa_float_round_mode_32 0
		.amdhsa_float_round_mode_16_64 0
		.amdhsa_float_denorm_mode_32 3
		.amdhsa_float_denorm_mode_16_64 3
		.amdhsa_dx10_clamp 1
		.amdhsa_ieee_mode 1
		.amdhsa_fp16_overflow 0
		.amdhsa_tg_split 0
		.amdhsa_exception_fp_ieee_invalid_op 0
		.amdhsa_exception_fp_denorm_src 0
		.amdhsa_exception_fp_ieee_div_zero 0
		.amdhsa_exception_fp_ieee_overflow 0
		.amdhsa_exception_fp_ieee_underflow 0
		.amdhsa_exception_fp_ieee_inexact 0
		.amdhsa_exception_int_div_zero 0
	.end_amdhsa_kernel
	.section	.text._ZN2at6native29vectorized_elementwise_kernelILi4EZZZNS0_17clamp_kernel_cudaERNS_18TensorIteratorBaseERKN3c106ScalarES7_ENKUlvE_clEvENKUlvE5_clEvEUlfE_St5arrayIPcLm2EEEEviT0_T1_,"axG",@progbits,_ZN2at6native29vectorized_elementwise_kernelILi4EZZZNS0_17clamp_kernel_cudaERNS_18TensorIteratorBaseERKN3c106ScalarES7_ENKUlvE_clEvENKUlvE5_clEvEUlfE_St5arrayIPcLm2EEEEviT0_T1_,comdat
.Lfunc_end324:
	.size	_ZN2at6native29vectorized_elementwise_kernelILi4EZZZNS0_17clamp_kernel_cudaERNS_18TensorIteratorBaseERKN3c106ScalarES7_ENKUlvE_clEvENKUlvE5_clEvEUlfE_St5arrayIPcLm2EEEEviT0_T1_, .Lfunc_end324-_ZN2at6native29vectorized_elementwise_kernelILi4EZZZNS0_17clamp_kernel_cudaERNS_18TensorIteratorBaseERKN3c106ScalarES7_ENKUlvE_clEvENKUlvE5_clEvEUlfE_St5arrayIPcLm2EEEEviT0_T1_
                                        ; -- End function
	.set _ZN2at6native29vectorized_elementwise_kernelILi4EZZZNS0_17clamp_kernel_cudaERNS_18TensorIteratorBaseERKN3c106ScalarES7_ENKUlvE_clEvENKUlvE5_clEvEUlfE_St5arrayIPcLm2EEEEviT0_T1_.num_vgpr, 12
	.set _ZN2at6native29vectorized_elementwise_kernelILi4EZZZNS0_17clamp_kernel_cudaERNS_18TensorIteratorBaseERKN3c106ScalarES7_ENKUlvE_clEvENKUlvE5_clEvEUlfE_St5arrayIPcLm2EEEEviT0_T1_.num_agpr, 0
	.set _ZN2at6native29vectorized_elementwise_kernelILi4EZZZNS0_17clamp_kernel_cudaERNS_18TensorIteratorBaseERKN3c106ScalarES7_ENKUlvE_clEvENKUlvE5_clEvEUlfE_St5arrayIPcLm2EEEEviT0_T1_.numbered_sgpr, 12
	.set _ZN2at6native29vectorized_elementwise_kernelILi4EZZZNS0_17clamp_kernel_cudaERNS_18TensorIteratorBaseERKN3c106ScalarES7_ENKUlvE_clEvENKUlvE5_clEvEUlfE_St5arrayIPcLm2EEEEviT0_T1_.num_named_barrier, 0
	.set _ZN2at6native29vectorized_elementwise_kernelILi4EZZZNS0_17clamp_kernel_cudaERNS_18TensorIteratorBaseERKN3c106ScalarES7_ENKUlvE_clEvENKUlvE5_clEvEUlfE_St5arrayIPcLm2EEEEviT0_T1_.private_seg_size, 0
	.set _ZN2at6native29vectorized_elementwise_kernelILi4EZZZNS0_17clamp_kernel_cudaERNS_18TensorIteratorBaseERKN3c106ScalarES7_ENKUlvE_clEvENKUlvE5_clEvEUlfE_St5arrayIPcLm2EEEEviT0_T1_.uses_vcc, 1
	.set _ZN2at6native29vectorized_elementwise_kernelILi4EZZZNS0_17clamp_kernel_cudaERNS_18TensorIteratorBaseERKN3c106ScalarES7_ENKUlvE_clEvENKUlvE5_clEvEUlfE_St5arrayIPcLm2EEEEviT0_T1_.uses_flat_scratch, 0
	.set _ZN2at6native29vectorized_elementwise_kernelILi4EZZZNS0_17clamp_kernel_cudaERNS_18TensorIteratorBaseERKN3c106ScalarES7_ENKUlvE_clEvENKUlvE5_clEvEUlfE_St5arrayIPcLm2EEEEviT0_T1_.has_dyn_sized_stack, 0
	.set _ZN2at6native29vectorized_elementwise_kernelILi4EZZZNS0_17clamp_kernel_cudaERNS_18TensorIteratorBaseERKN3c106ScalarES7_ENKUlvE_clEvENKUlvE5_clEvEUlfE_St5arrayIPcLm2EEEEviT0_T1_.has_recursion, 0
	.set _ZN2at6native29vectorized_elementwise_kernelILi4EZZZNS0_17clamp_kernel_cudaERNS_18TensorIteratorBaseERKN3c106ScalarES7_ENKUlvE_clEvENKUlvE5_clEvEUlfE_St5arrayIPcLm2EEEEviT0_T1_.has_indirect_call, 0
	.section	.AMDGPU.csdata,"",@progbits
; Kernel info:
; codeLenInByte = 848
; TotalNumSgprs: 18
; NumVgprs: 12
; NumAgprs: 0
; TotalNumVgprs: 12
; ScratchSize: 0
; MemoryBound: 0
; FloatMode: 240
; IeeeMode: 1
; LDSByteSize: 0 bytes/workgroup (compile time only)
; SGPRBlocks: 2
; VGPRBlocks: 1
; NumSGPRsForWavesPerEU: 18
; NumVGPRsForWavesPerEU: 12
; AccumOffset: 12
; Occupancy: 8
; WaveLimiterHint : 0
; COMPUTE_PGM_RSRC2:SCRATCH_EN: 0
; COMPUTE_PGM_RSRC2:USER_SGPR: 2
; COMPUTE_PGM_RSRC2:TRAP_HANDLER: 0
; COMPUTE_PGM_RSRC2:TGID_X_EN: 1
; COMPUTE_PGM_RSRC2:TGID_Y_EN: 0
; COMPUTE_PGM_RSRC2:TGID_Z_EN: 0
; COMPUTE_PGM_RSRC2:TIDIG_COMP_CNT: 0
; COMPUTE_PGM_RSRC3_GFX90A:ACCUM_OFFSET: 2
; COMPUTE_PGM_RSRC3_GFX90A:TG_SPLIT: 0
	.section	.text._ZN2at6native29vectorized_elementwise_kernelILi2EZZZNS0_17clamp_kernel_cudaERNS_18TensorIteratorBaseERKN3c106ScalarES7_ENKUlvE_clEvENKUlvE5_clEvEUlfE_St5arrayIPcLm2EEEEviT0_T1_,"axG",@progbits,_ZN2at6native29vectorized_elementwise_kernelILi2EZZZNS0_17clamp_kernel_cudaERNS_18TensorIteratorBaseERKN3c106ScalarES7_ENKUlvE_clEvENKUlvE5_clEvEUlfE_St5arrayIPcLm2EEEEviT0_T1_,comdat
	.globl	_ZN2at6native29vectorized_elementwise_kernelILi2EZZZNS0_17clamp_kernel_cudaERNS_18TensorIteratorBaseERKN3c106ScalarES7_ENKUlvE_clEvENKUlvE5_clEvEUlfE_St5arrayIPcLm2EEEEviT0_T1_ ; -- Begin function _ZN2at6native29vectorized_elementwise_kernelILi2EZZZNS0_17clamp_kernel_cudaERNS_18TensorIteratorBaseERKN3c106ScalarES7_ENKUlvE_clEvENKUlvE5_clEvEUlfE_St5arrayIPcLm2EEEEviT0_T1_
	.p2align	8
	.type	_ZN2at6native29vectorized_elementwise_kernelILi2EZZZNS0_17clamp_kernel_cudaERNS_18TensorIteratorBaseERKN3c106ScalarES7_ENKUlvE_clEvENKUlvE5_clEvEUlfE_St5arrayIPcLm2EEEEviT0_T1_,@function
_ZN2at6native29vectorized_elementwise_kernelILi2EZZZNS0_17clamp_kernel_cudaERNS_18TensorIteratorBaseERKN3c106ScalarES7_ENKUlvE_clEvENKUlvE5_clEvEUlfE_St5arrayIPcLm2EEEEviT0_T1_: ; @_ZN2at6native29vectorized_elementwise_kernelILi2EZZZNS0_17clamp_kernel_cudaERNS_18TensorIteratorBaseERKN3c106ScalarES7_ENKUlvE_clEvENKUlvE5_clEvEUlfE_St5arrayIPcLm2EEEEviT0_T1_
; %bb.0:
	s_load_dwordx8 s[4:11], s[0:1], 0x0
	s_lshl_b32 s2, s2, 10
	s_mov_b64 s[0:1], -1
	s_waitcnt lgkmcnt(0)
	s_sub_i32 s7, s4, s2
	s_cmpk_gt_i32 s7, 0x3ff
	v_max_f32_e64 v1, s5, s5
	v_max_f32_e64 v4, s6, s6
	s_cbranch_scc0 .LBB325_2
; %bb.1:
	s_ashr_i32 s3, s2, 31
	s_lshl_b64 s[0:1], s[2:3], 2
	s_add_u32 s4, s10, s0
	s_addc_u32 s5, s11, s1
	v_lshlrev_b32_e32 v5, 3, v0
	global_load_dwordx2 v[2:3], v5, s[4:5]
	global_load_dwordx2 v[6:7], v5, s[4:5] offset:2048
	s_add_u32 s0, s8, s0
	s_addc_u32 s1, s9, s1
	s_waitcnt vmcnt(1)
	v_max_f32_e32 v9, v3, v3
	v_max_f32_e32 v8, v2, v2
	;; [unrolled: 1-line block ×3, first 2 shown]
	s_waitcnt vmcnt(0)
	v_max_f32_e32 v11, v7, v7
	v_max_f32_e32 v8, v8, v1
	v_min_f32_e32 v9, v9, v4
	v_cmp_u_f32_e32 vcc, v3, v3
	v_max_f32_e32 v10, v6, v6
	v_max_f32_e32 v11, v11, v1
	v_min_f32_e32 v8, v8, v4
	v_cndmask_b32_e32 v3, v9, v3, vcc
	v_cmp_u_f32_e32 vcc, v2, v2
	v_max_f32_e32 v10, v10, v1
	v_min_f32_e32 v11, v11, v4
	v_cndmask_b32_e32 v2, v8, v2, vcc
	v_cmp_u_f32_e32 vcc, v7, v7
	v_min_f32_e32 v10, v10, v4
	s_nop 0
	v_cndmask_b32_e32 v7, v11, v7, vcc
	v_cmp_u_f32_e32 vcc, v6, v6
	s_nop 1
	v_cndmask_b32_e32 v6, v10, v6, vcc
	global_store_dwordx2 v5, v[2:3], s[0:1]
	global_store_dwordx2 v5, v[6:7], s[0:1] offset:2048
	s_mov_b64 s[0:1], 0
.LBB325_2:
	s_andn2_b64 vcc, exec, s[0:1]
	s_cbranch_vccnz .LBB325_16
; %bb.3:
	v_cmp_gt_i32_e32 vcc, s7, v0
	v_mov_b32_e32 v5, 0
	v_or_b32_e32 v2, s2, v0
	v_mov_b32_e32 v3, 0
	v_mov_b32_e32 v6, v0
	s_and_saveexec_b64 s[0:1], vcc
	s_cbranch_execz .LBB325_5
; %bb.4:
	v_mov_b32_e32 v3, 0
	v_lshl_add_u64 v[6:7], v[2:3], 2, s[10:11]
	global_load_dword v3, v[6:7], off
	v_or_b32_e32 v6, 0x100, v0
.LBB325_5:
	s_or_b64 exec, exec, s[0:1]
	v_cmp_gt_i32_e64 s[0:1], s7, v6
	s_and_saveexec_b64 s[4:5], s[0:1]
	s_cbranch_execz .LBB325_7
; %bb.6:
	v_add_u32_e32 v8, s2, v6
	v_mov_b32_e32 v9, 0
	v_lshl_add_u64 v[8:9], v[8:9], 2, s[10:11]
	global_load_dword v5, v[8:9], off
	v_add_u32_e32 v6, 0x100, v6
.LBB325_7:
	s_or_b64 exec, exec, s[4:5]
	v_cmp_gt_i32_e64 s[0:1], s7, v6
	v_mov_b32_e32 v7, 0
	v_mov_b32_e32 v8, 0
	s_and_saveexec_b64 s[4:5], s[0:1]
	s_cbranch_execz .LBB325_9
; %bb.8:
	v_add_u32_e32 v8, s2, v6
	v_mov_b32_e32 v9, 0
	v_lshl_add_u64 v[8:9], v[8:9], 2, s[10:11]
	global_load_dword v8, v[8:9], off
	v_add_u32_e32 v6, 0x100, v6
.LBB325_9:
	s_or_b64 exec, exec, s[4:5]
	v_cmp_gt_i32_e64 s[0:1], s7, v6
	s_and_saveexec_b64 s[4:5], s[0:1]
	s_cbranch_execz .LBB325_11
; %bb.10:
	v_add_u32_e32 v6, s2, v6
	v_mov_b32_e32 v7, 0
	v_lshl_add_u64 v[6:7], v[6:7], 2, s[10:11]
	global_load_dword v7, v[6:7], off
.LBB325_11:
	s_or_b64 exec, exec, s[4:5]
	s_waitcnt vmcnt(0)
	v_max_f32_e32 v6, v3, v3
	v_max_f32_e32 v6, v6, v1
	v_min_f32_e32 v6, v6, v4
	v_cmp_u_f32_e64 s[0:1], v3, v3
	v_or_b32_e32 v9, 0x100, v0
	s_nop 0
	v_cndmask_b32_e64 v3, v6, v3, s[0:1]
	v_cndmask_b32_e32 v10, 0, v3, vcc
	v_max_f32_e32 v3, v5, v5
	v_max_f32_e32 v3, v3, v1
	v_min_f32_e32 v3, v3, v4
	v_cmp_u_f32_e64 s[0:1], v5, v5
	s_nop 1
	v_cndmask_b32_e64 v3, v3, v5, s[0:1]
	v_max_f32_e32 v5, v8, v8
	v_cmp_gt_i32_e64 s[0:1], s7, v9
	v_max_f32_e32 v5, v5, v1
	v_min_f32_e32 v5, v5, v4
	v_cndmask_b32_e64 v6, 0, v3, s[0:1]
	v_cmp_u_f32_e64 s[0:1], v8, v8
	v_or_b32_e32 v3, 0x200, v0
	s_nop 0
	v_cndmask_b32_e64 v5, v5, v8, s[0:1]
	v_max_f32_e32 v8, v7, v7
	v_cmp_gt_i32_e64 s[0:1], s7, v3
	v_max_f32_e32 v1, v8, v1
	v_or_b32_e32 v3, 0x300, v0
	v_cndmask_b32_e64 v5, 0, v5, s[0:1]
	v_min_f32_e32 v1, v1, v4
	v_cmp_u_f32_e64 s[0:1], v7, v7
	s_nop 1
	v_cndmask_b32_e64 v1, v1, v7, s[0:1]
	v_cmp_gt_i32_e64 s[0:1], s7, v3
	s_nop 1
	v_cndmask_b32_e64 v1, 0, v1, s[0:1]
	s_and_saveexec_b64 s[0:1], vcc
	s_cbranch_execnz .LBB325_17
; %bb.12:
	s_or_b64 exec, exec, s[0:1]
	v_cmp_gt_i32_e32 vcc, s7, v0
	s_and_saveexec_b64 s[0:1], vcc
	s_cbranch_execnz .LBB325_18
.LBB325_13:
	s_or_b64 exec, exec, s[0:1]
	v_cmp_gt_i32_e32 vcc, s7, v0
	s_and_saveexec_b64 s[0:1], vcc
	s_cbranch_execnz .LBB325_19
.LBB325_14:
	s_or_b64 exec, exec, s[0:1]
	v_cmp_gt_i32_e32 vcc, s7, v0
	s_and_saveexec_b64 s[0:1], vcc
	s_cbranch_execz .LBB325_16
.LBB325_15:
	v_add_u32_e32 v2, s2, v0
	v_mov_b32_e32 v3, 0
	v_lshl_add_u64 v[2:3], v[2:3], 2, s[8:9]
	global_store_dword v[2:3], v1, off
.LBB325_16:
	s_endpgm
.LBB325_17:
	v_mov_b32_e32 v3, 0
	v_lshl_add_u64 v[2:3], v[2:3], 2, s[8:9]
	v_mov_b32_e32 v0, v9
	global_store_dword v[2:3], v10, off
	s_or_b64 exec, exec, s[0:1]
	v_cmp_gt_i32_e32 vcc, s7, v0
	s_and_saveexec_b64 s[0:1], vcc
	s_cbranch_execz .LBB325_13
.LBB325_18:
	v_add_u32_e32 v2, s2, v0
	v_mov_b32_e32 v3, 0
	v_lshl_add_u64 v[2:3], v[2:3], 2, s[8:9]
	v_add_u32_e32 v0, 0x100, v0
	global_store_dword v[2:3], v6, off
	s_or_b64 exec, exec, s[0:1]
	v_cmp_gt_i32_e32 vcc, s7, v0
	s_and_saveexec_b64 s[0:1], vcc
	s_cbranch_execz .LBB325_14
.LBB325_19:
	v_add_u32_e32 v2, s2, v0
	v_mov_b32_e32 v3, 0
	v_lshl_add_u64 v[2:3], v[2:3], 2, s[8:9]
	v_add_u32_e32 v0, 0x100, v0
	global_store_dword v[2:3], v5, off
	s_or_b64 exec, exec, s[0:1]
	v_cmp_gt_i32_e32 vcc, s7, v0
	s_and_saveexec_b64 s[0:1], vcc
	s_cbranch_execnz .LBB325_15
	s_branch .LBB325_16
	.section	.rodata,"a",@progbits
	.p2align	6, 0x0
	.amdhsa_kernel _ZN2at6native29vectorized_elementwise_kernelILi2EZZZNS0_17clamp_kernel_cudaERNS_18TensorIteratorBaseERKN3c106ScalarES7_ENKUlvE_clEvENKUlvE5_clEvEUlfE_St5arrayIPcLm2EEEEviT0_T1_
		.amdhsa_group_segment_fixed_size 0
		.amdhsa_private_segment_fixed_size 0
		.amdhsa_kernarg_size 32
		.amdhsa_user_sgpr_count 2
		.amdhsa_user_sgpr_dispatch_ptr 0
		.amdhsa_user_sgpr_queue_ptr 0
		.amdhsa_user_sgpr_kernarg_segment_ptr 1
		.amdhsa_user_sgpr_dispatch_id 0
		.amdhsa_user_sgpr_kernarg_preload_length 0
		.amdhsa_user_sgpr_kernarg_preload_offset 0
		.amdhsa_user_sgpr_private_segment_size 0
		.amdhsa_uses_dynamic_stack 0
		.amdhsa_enable_private_segment 0
		.amdhsa_system_sgpr_workgroup_id_x 1
		.amdhsa_system_sgpr_workgroup_id_y 0
		.amdhsa_system_sgpr_workgroup_id_z 0
		.amdhsa_system_sgpr_workgroup_info 0
		.amdhsa_system_vgpr_workitem_id 0
		.amdhsa_next_free_vgpr 12
		.amdhsa_next_free_sgpr 12
		.amdhsa_accum_offset 12
		.amdhsa_reserve_vcc 1
		.amdhsa_float_round_mode_32 0
		.amdhsa_float_round_mode_16_64 0
		.amdhsa_float_denorm_mode_32 3
		.amdhsa_float_denorm_mode_16_64 3
		.amdhsa_dx10_clamp 1
		.amdhsa_ieee_mode 1
		.amdhsa_fp16_overflow 0
		.amdhsa_tg_split 0
		.amdhsa_exception_fp_ieee_invalid_op 0
		.amdhsa_exception_fp_denorm_src 0
		.amdhsa_exception_fp_ieee_div_zero 0
		.amdhsa_exception_fp_ieee_overflow 0
		.amdhsa_exception_fp_ieee_underflow 0
		.amdhsa_exception_fp_ieee_inexact 0
		.amdhsa_exception_int_div_zero 0
	.end_amdhsa_kernel
	.section	.text._ZN2at6native29vectorized_elementwise_kernelILi2EZZZNS0_17clamp_kernel_cudaERNS_18TensorIteratorBaseERKN3c106ScalarES7_ENKUlvE_clEvENKUlvE5_clEvEUlfE_St5arrayIPcLm2EEEEviT0_T1_,"axG",@progbits,_ZN2at6native29vectorized_elementwise_kernelILi2EZZZNS0_17clamp_kernel_cudaERNS_18TensorIteratorBaseERKN3c106ScalarES7_ENKUlvE_clEvENKUlvE5_clEvEUlfE_St5arrayIPcLm2EEEEviT0_T1_,comdat
.Lfunc_end325:
	.size	_ZN2at6native29vectorized_elementwise_kernelILi2EZZZNS0_17clamp_kernel_cudaERNS_18TensorIteratorBaseERKN3c106ScalarES7_ENKUlvE_clEvENKUlvE5_clEvEUlfE_St5arrayIPcLm2EEEEviT0_T1_, .Lfunc_end325-_ZN2at6native29vectorized_elementwise_kernelILi2EZZZNS0_17clamp_kernel_cudaERNS_18TensorIteratorBaseERKN3c106ScalarES7_ENKUlvE_clEvENKUlvE5_clEvEUlfE_St5arrayIPcLm2EEEEviT0_T1_
                                        ; -- End function
	.set _ZN2at6native29vectorized_elementwise_kernelILi2EZZZNS0_17clamp_kernel_cudaERNS_18TensorIteratorBaseERKN3c106ScalarES7_ENKUlvE_clEvENKUlvE5_clEvEUlfE_St5arrayIPcLm2EEEEviT0_T1_.num_vgpr, 12
	.set _ZN2at6native29vectorized_elementwise_kernelILi2EZZZNS0_17clamp_kernel_cudaERNS_18TensorIteratorBaseERKN3c106ScalarES7_ENKUlvE_clEvENKUlvE5_clEvEUlfE_St5arrayIPcLm2EEEEviT0_T1_.num_agpr, 0
	.set _ZN2at6native29vectorized_elementwise_kernelILi2EZZZNS0_17clamp_kernel_cudaERNS_18TensorIteratorBaseERKN3c106ScalarES7_ENKUlvE_clEvENKUlvE5_clEvEUlfE_St5arrayIPcLm2EEEEviT0_T1_.numbered_sgpr, 12
	.set _ZN2at6native29vectorized_elementwise_kernelILi2EZZZNS0_17clamp_kernel_cudaERNS_18TensorIteratorBaseERKN3c106ScalarES7_ENKUlvE_clEvENKUlvE5_clEvEUlfE_St5arrayIPcLm2EEEEviT0_T1_.num_named_barrier, 0
	.set _ZN2at6native29vectorized_elementwise_kernelILi2EZZZNS0_17clamp_kernel_cudaERNS_18TensorIteratorBaseERKN3c106ScalarES7_ENKUlvE_clEvENKUlvE5_clEvEUlfE_St5arrayIPcLm2EEEEviT0_T1_.private_seg_size, 0
	.set _ZN2at6native29vectorized_elementwise_kernelILi2EZZZNS0_17clamp_kernel_cudaERNS_18TensorIteratorBaseERKN3c106ScalarES7_ENKUlvE_clEvENKUlvE5_clEvEUlfE_St5arrayIPcLm2EEEEviT0_T1_.uses_vcc, 1
	.set _ZN2at6native29vectorized_elementwise_kernelILi2EZZZNS0_17clamp_kernel_cudaERNS_18TensorIteratorBaseERKN3c106ScalarES7_ENKUlvE_clEvENKUlvE5_clEvEUlfE_St5arrayIPcLm2EEEEviT0_T1_.uses_flat_scratch, 0
	.set _ZN2at6native29vectorized_elementwise_kernelILi2EZZZNS0_17clamp_kernel_cudaERNS_18TensorIteratorBaseERKN3c106ScalarES7_ENKUlvE_clEvENKUlvE5_clEvEUlfE_St5arrayIPcLm2EEEEviT0_T1_.has_dyn_sized_stack, 0
	.set _ZN2at6native29vectorized_elementwise_kernelILi2EZZZNS0_17clamp_kernel_cudaERNS_18TensorIteratorBaseERKN3c106ScalarES7_ENKUlvE_clEvENKUlvE5_clEvEUlfE_St5arrayIPcLm2EEEEviT0_T1_.has_recursion, 0
	.set _ZN2at6native29vectorized_elementwise_kernelILi2EZZZNS0_17clamp_kernel_cudaERNS_18TensorIteratorBaseERKN3c106ScalarES7_ENKUlvE_clEvENKUlvE5_clEvEUlfE_St5arrayIPcLm2EEEEviT0_T1_.has_indirect_call, 0
	.section	.AMDGPU.csdata,"",@progbits
; Kernel info:
; codeLenInByte = 868
; TotalNumSgprs: 18
; NumVgprs: 12
; NumAgprs: 0
; TotalNumVgprs: 12
; ScratchSize: 0
; MemoryBound: 0
; FloatMode: 240
; IeeeMode: 1
; LDSByteSize: 0 bytes/workgroup (compile time only)
; SGPRBlocks: 2
; VGPRBlocks: 1
; NumSGPRsForWavesPerEU: 18
; NumVGPRsForWavesPerEU: 12
; AccumOffset: 12
; Occupancy: 8
; WaveLimiterHint : 1
; COMPUTE_PGM_RSRC2:SCRATCH_EN: 0
; COMPUTE_PGM_RSRC2:USER_SGPR: 2
; COMPUTE_PGM_RSRC2:TRAP_HANDLER: 0
; COMPUTE_PGM_RSRC2:TGID_X_EN: 1
; COMPUTE_PGM_RSRC2:TGID_Y_EN: 0
; COMPUTE_PGM_RSRC2:TGID_Z_EN: 0
; COMPUTE_PGM_RSRC2:TIDIG_COMP_CNT: 0
; COMPUTE_PGM_RSRC3_GFX90A:ACCUM_OFFSET: 2
; COMPUTE_PGM_RSRC3_GFX90A:TG_SPLIT: 0
	.section	.text._ZN2at6native27unrolled_elementwise_kernelIZZZNS0_17clamp_kernel_cudaERNS_18TensorIteratorBaseERKN3c106ScalarES7_ENKUlvE_clEvENKUlvE5_clEvEUlfE_St5arrayIPcLm2EELi4E23TrivialOffsetCalculatorILi1EjESF_NS0_6memory15LoadWithoutCastENSG_16StoreWithoutCastEEEviT_T0_T2_T3_T4_T5_,"axG",@progbits,_ZN2at6native27unrolled_elementwise_kernelIZZZNS0_17clamp_kernel_cudaERNS_18TensorIteratorBaseERKN3c106ScalarES7_ENKUlvE_clEvENKUlvE5_clEvEUlfE_St5arrayIPcLm2EELi4E23TrivialOffsetCalculatorILi1EjESF_NS0_6memory15LoadWithoutCastENSG_16StoreWithoutCastEEEviT_T0_T2_T3_T4_T5_,comdat
	.globl	_ZN2at6native27unrolled_elementwise_kernelIZZZNS0_17clamp_kernel_cudaERNS_18TensorIteratorBaseERKN3c106ScalarES7_ENKUlvE_clEvENKUlvE5_clEvEUlfE_St5arrayIPcLm2EELi4E23TrivialOffsetCalculatorILi1EjESF_NS0_6memory15LoadWithoutCastENSG_16StoreWithoutCastEEEviT_T0_T2_T3_T4_T5_ ; -- Begin function _ZN2at6native27unrolled_elementwise_kernelIZZZNS0_17clamp_kernel_cudaERNS_18TensorIteratorBaseERKN3c106ScalarES7_ENKUlvE_clEvENKUlvE5_clEvEUlfE_St5arrayIPcLm2EELi4E23TrivialOffsetCalculatorILi1EjESF_NS0_6memory15LoadWithoutCastENSG_16StoreWithoutCastEEEviT_T0_T2_T3_T4_T5_
	.p2align	8
	.type	_ZN2at6native27unrolled_elementwise_kernelIZZZNS0_17clamp_kernel_cudaERNS_18TensorIteratorBaseERKN3c106ScalarES7_ENKUlvE_clEvENKUlvE5_clEvEUlfE_St5arrayIPcLm2EELi4E23TrivialOffsetCalculatorILi1EjESF_NS0_6memory15LoadWithoutCastENSG_16StoreWithoutCastEEEviT_T0_T2_T3_T4_T5_,@function
_ZN2at6native27unrolled_elementwise_kernelIZZZNS0_17clamp_kernel_cudaERNS_18TensorIteratorBaseERKN3c106ScalarES7_ENKUlvE_clEvENKUlvE5_clEvEUlfE_St5arrayIPcLm2EELi4E23TrivialOffsetCalculatorILi1EjESF_NS0_6memory15LoadWithoutCastENSG_16StoreWithoutCastEEEviT_T0_T2_T3_T4_T5_: ; @_ZN2at6native27unrolled_elementwise_kernelIZZZNS0_17clamp_kernel_cudaERNS_18TensorIteratorBaseERKN3c106ScalarES7_ENKUlvE_clEvENKUlvE5_clEvEUlfE_St5arrayIPcLm2EELi4E23TrivialOffsetCalculatorILi1EjESF_NS0_6memory15LoadWithoutCastENSG_16StoreWithoutCastEEEviT_T0_T2_T3_T4_T5_
; %bb.0:
	s_load_dwordx8 s[4:11], s[0:1], 0x0
	s_waitcnt lgkmcnt(0)
	s_lshl_b32 s7, s2, 10
	v_mov_b32_e32 v1, 0
	v_or_b32_e32 v2, s7, v0
	v_mov_b32_e32 v3, 0
	s_sub_i32 s4, s4, s7
	v_cmp_gt_i32_e32 vcc, s4, v0
	v_mov_b32_e32 v5, v0
	s_and_saveexec_b64 s[0:1], vcc
	s_cbranch_execz .LBB326_2
; %bb.1:
	v_mov_b32_e32 v3, 0
	v_lshl_add_u64 v[4:5], v[2:3], 2, s[10:11]
	global_load_dword v3, v[4:5], off
	v_or_b32_e32 v5, 0x100, v0
.LBB326_2:
	s_or_b64 exec, exec, s[0:1]
	v_cmp_gt_i32_e64 s[0:1], s4, v5
	s_and_saveexec_b64 s[2:3], s[0:1]
	s_cbranch_execz .LBB326_4
; %bb.3:
	v_add_u32_e32 v6, s7, v5
	v_mov_b32_e32 v7, 0
	v_lshl_add_u64 v[6:7], v[6:7], 2, s[10:11]
	global_load_dword v1, v[6:7], off
	v_add_u32_e32 v5, 0x100, v5
.LBB326_4:
	s_or_b64 exec, exec, s[2:3]
	v_cmp_gt_i32_e64 s[0:1], s4, v5
	v_mov_b32_e32 v4, 0
	v_mov_b32_e32 v6, 0
	s_and_saveexec_b64 s[2:3], s[0:1]
	s_cbranch_execz .LBB326_6
; %bb.5:
	v_add_u32_e32 v6, s7, v5
	v_mov_b32_e32 v7, 0
	v_lshl_add_u64 v[6:7], v[6:7], 2, s[10:11]
	global_load_dword v6, v[6:7], off
	v_add_u32_e32 v5, 0x100, v5
.LBB326_6:
	s_or_b64 exec, exec, s[2:3]
	v_cmp_gt_i32_e64 s[0:1], s4, v5
	s_and_saveexec_b64 s[2:3], s[0:1]
	s_cbranch_execz .LBB326_8
; %bb.7:
	v_add_u32_e32 v4, s7, v5
	v_mov_b32_e32 v5, 0
	v_lshl_add_u64 v[4:5], v[4:5], 2, s[10:11]
	global_load_dword v4, v[4:5], off
.LBB326_8:
	s_or_b64 exec, exec, s[2:3]
	s_waitcnt vmcnt(0)
	v_max_f32_e32 v5, v3, v3
	v_max_f32_e64 v10, s5, s5
	v_max_f32_e32 v5, v5, v10
	v_max_f32_e64 v11, s6, s6
	v_min_f32_e32 v5, v5, v11
	v_cmp_u_f32_e64 s[0:1], v3, v3
	v_or_b32_e32 v8, 0x100, v0
	s_nop 0
	v_cndmask_b32_e64 v3, v5, v3, s[0:1]
	v_cndmask_b32_e32 v9, 0, v3, vcc
	v_max_f32_e32 v3, v1, v1
	v_max_f32_e32 v3, v3, v10
	v_min_f32_e32 v3, v3, v11
	v_cmp_u_f32_e64 s[0:1], v1, v1
	s_nop 1
	v_cndmask_b32_e64 v1, v3, v1, s[0:1]
	v_max_f32_e32 v3, v6, v6
	v_cmp_gt_i32_e64 s[0:1], s4, v8
	v_max_f32_e32 v3, v3, v10
	v_min_f32_e32 v3, v3, v11
	v_cndmask_b32_e64 v7, 0, v1, s[0:1]
	v_or_b32_e32 v1, 0x200, v0
	v_cmp_u_f32_e64 s[0:1], v6, v6
	s_nop 1
	v_cndmask_b32_e64 v3, v3, v6, s[0:1]
	v_cmp_gt_i32_e64 s[0:1], s4, v1
	v_or_b32_e32 v1, 0x300, v0
	s_nop 0
	v_cndmask_b32_e64 v5, 0, v3, s[0:1]
	v_max_f32_e32 v3, v4, v4
	v_max_f32_e32 v3, v3, v10
	v_min_f32_e32 v3, v3, v11
	v_cmp_u_f32_e64 s[0:1], v4, v4
	s_nop 1
	v_cndmask_b32_e64 v3, v3, v4, s[0:1]
	v_cmp_gt_i32_e64 s[0:1], s4, v1
	s_nop 1
	v_cndmask_b32_e64 v1, 0, v3, s[0:1]
	s_and_saveexec_b64 s[0:1], vcc
	s_cbranch_execnz .LBB326_13
; %bb.9:
	s_or_b64 exec, exec, s[0:1]
	v_cmp_gt_i32_e32 vcc, s4, v0
	s_and_saveexec_b64 s[0:1], vcc
	s_cbranch_execnz .LBB326_14
.LBB326_10:
	s_or_b64 exec, exec, s[0:1]
	v_cmp_gt_i32_e32 vcc, s4, v0
	s_and_saveexec_b64 s[0:1], vcc
	s_cbranch_execnz .LBB326_15
.LBB326_11:
	s_or_b64 exec, exec, s[0:1]
	v_cmp_gt_i32_e32 vcc, s4, v0
	s_and_saveexec_b64 s[0:1], vcc
	s_cbranch_execnz .LBB326_16
.LBB326_12:
	s_endpgm
.LBB326_13:
	v_mov_b32_e32 v3, 0
	v_lshl_add_u64 v[2:3], v[2:3], 2, s[8:9]
	v_mov_b32_e32 v0, v8
	global_store_dword v[2:3], v9, off
	s_or_b64 exec, exec, s[0:1]
	v_cmp_gt_i32_e32 vcc, s4, v0
	s_and_saveexec_b64 s[0:1], vcc
	s_cbranch_execz .LBB326_10
.LBB326_14:
	v_add_u32_e32 v4, 0x100, v0
	v_add_u32_e32 v2, s7, v0
	v_mov_b32_e32 v3, 0
	v_lshl_add_u64 v[2:3], v[2:3], 2, s[8:9]
	v_mov_b32_e32 v0, v4
	global_store_dword v[2:3], v7, off
	s_or_b64 exec, exec, s[0:1]
	v_cmp_gt_i32_e32 vcc, s4, v0
	s_and_saveexec_b64 s[0:1], vcc
	s_cbranch_execz .LBB326_11
.LBB326_15:
	v_add_u32_e32 v4, 0x100, v0
	v_add_u32_e32 v2, s7, v0
	v_mov_b32_e32 v3, 0
	v_lshl_add_u64 v[2:3], v[2:3], 2, s[8:9]
	v_mov_b32_e32 v0, v4
	global_store_dword v[2:3], v5, off
	s_or_b64 exec, exec, s[0:1]
	v_cmp_gt_i32_e32 vcc, s4, v0
	s_and_saveexec_b64 s[0:1], vcc
	s_cbranch_execz .LBB326_12
.LBB326_16:
	v_add_u32_e32 v2, s7, v0
	v_mov_b32_e32 v3, 0
	v_lshl_add_u64 v[2:3], v[2:3], 2, s[8:9]
	global_store_dword v[2:3], v1, off
	s_endpgm
	.section	.rodata,"a",@progbits
	.p2align	6, 0x0
	.amdhsa_kernel _ZN2at6native27unrolled_elementwise_kernelIZZZNS0_17clamp_kernel_cudaERNS_18TensorIteratorBaseERKN3c106ScalarES7_ENKUlvE_clEvENKUlvE5_clEvEUlfE_St5arrayIPcLm2EELi4E23TrivialOffsetCalculatorILi1EjESF_NS0_6memory15LoadWithoutCastENSG_16StoreWithoutCastEEEviT_T0_T2_T3_T4_T5_
		.amdhsa_group_segment_fixed_size 0
		.amdhsa_private_segment_fixed_size 0
		.amdhsa_kernarg_size 36
		.amdhsa_user_sgpr_count 2
		.amdhsa_user_sgpr_dispatch_ptr 0
		.amdhsa_user_sgpr_queue_ptr 0
		.amdhsa_user_sgpr_kernarg_segment_ptr 1
		.amdhsa_user_sgpr_dispatch_id 0
		.amdhsa_user_sgpr_kernarg_preload_length 0
		.amdhsa_user_sgpr_kernarg_preload_offset 0
		.amdhsa_user_sgpr_private_segment_size 0
		.amdhsa_uses_dynamic_stack 0
		.amdhsa_enable_private_segment 0
		.amdhsa_system_sgpr_workgroup_id_x 1
		.amdhsa_system_sgpr_workgroup_id_y 0
		.amdhsa_system_sgpr_workgroup_id_z 0
		.amdhsa_system_sgpr_workgroup_info 0
		.amdhsa_system_vgpr_workitem_id 0
		.amdhsa_next_free_vgpr 12
		.amdhsa_next_free_sgpr 12
		.amdhsa_accum_offset 12
		.amdhsa_reserve_vcc 1
		.amdhsa_float_round_mode_32 0
		.amdhsa_float_round_mode_16_64 0
		.amdhsa_float_denorm_mode_32 3
		.amdhsa_float_denorm_mode_16_64 3
		.amdhsa_dx10_clamp 1
		.amdhsa_ieee_mode 1
		.amdhsa_fp16_overflow 0
		.amdhsa_tg_split 0
		.amdhsa_exception_fp_ieee_invalid_op 0
		.amdhsa_exception_fp_denorm_src 0
		.amdhsa_exception_fp_ieee_div_zero 0
		.amdhsa_exception_fp_ieee_overflow 0
		.amdhsa_exception_fp_ieee_underflow 0
		.amdhsa_exception_fp_ieee_inexact 0
		.amdhsa_exception_int_div_zero 0
	.end_amdhsa_kernel
	.section	.text._ZN2at6native27unrolled_elementwise_kernelIZZZNS0_17clamp_kernel_cudaERNS_18TensorIteratorBaseERKN3c106ScalarES7_ENKUlvE_clEvENKUlvE5_clEvEUlfE_St5arrayIPcLm2EELi4E23TrivialOffsetCalculatorILi1EjESF_NS0_6memory15LoadWithoutCastENSG_16StoreWithoutCastEEEviT_T0_T2_T3_T4_T5_,"axG",@progbits,_ZN2at6native27unrolled_elementwise_kernelIZZZNS0_17clamp_kernel_cudaERNS_18TensorIteratorBaseERKN3c106ScalarES7_ENKUlvE_clEvENKUlvE5_clEvEUlfE_St5arrayIPcLm2EELi4E23TrivialOffsetCalculatorILi1EjESF_NS0_6memory15LoadWithoutCastENSG_16StoreWithoutCastEEEviT_T0_T2_T3_T4_T5_,comdat
.Lfunc_end326:
	.size	_ZN2at6native27unrolled_elementwise_kernelIZZZNS0_17clamp_kernel_cudaERNS_18TensorIteratorBaseERKN3c106ScalarES7_ENKUlvE_clEvENKUlvE5_clEvEUlfE_St5arrayIPcLm2EELi4E23TrivialOffsetCalculatorILi1EjESF_NS0_6memory15LoadWithoutCastENSG_16StoreWithoutCastEEEviT_T0_T2_T3_T4_T5_, .Lfunc_end326-_ZN2at6native27unrolled_elementwise_kernelIZZZNS0_17clamp_kernel_cudaERNS_18TensorIteratorBaseERKN3c106ScalarES7_ENKUlvE_clEvENKUlvE5_clEvEUlfE_St5arrayIPcLm2EELi4E23TrivialOffsetCalculatorILi1EjESF_NS0_6memory15LoadWithoutCastENSG_16StoreWithoutCastEEEviT_T0_T2_T3_T4_T5_
                                        ; -- End function
	.set _ZN2at6native27unrolled_elementwise_kernelIZZZNS0_17clamp_kernel_cudaERNS_18TensorIteratorBaseERKN3c106ScalarES7_ENKUlvE_clEvENKUlvE5_clEvEUlfE_St5arrayIPcLm2EELi4E23TrivialOffsetCalculatorILi1EjESF_NS0_6memory15LoadWithoutCastENSG_16StoreWithoutCastEEEviT_T0_T2_T3_T4_T5_.num_vgpr, 12
	.set _ZN2at6native27unrolled_elementwise_kernelIZZZNS0_17clamp_kernel_cudaERNS_18TensorIteratorBaseERKN3c106ScalarES7_ENKUlvE_clEvENKUlvE5_clEvEUlfE_St5arrayIPcLm2EELi4E23TrivialOffsetCalculatorILi1EjESF_NS0_6memory15LoadWithoutCastENSG_16StoreWithoutCastEEEviT_T0_T2_T3_T4_T5_.num_agpr, 0
	.set _ZN2at6native27unrolled_elementwise_kernelIZZZNS0_17clamp_kernel_cudaERNS_18TensorIteratorBaseERKN3c106ScalarES7_ENKUlvE_clEvENKUlvE5_clEvEUlfE_St5arrayIPcLm2EELi4E23TrivialOffsetCalculatorILi1EjESF_NS0_6memory15LoadWithoutCastENSG_16StoreWithoutCastEEEviT_T0_T2_T3_T4_T5_.numbered_sgpr, 12
	.set _ZN2at6native27unrolled_elementwise_kernelIZZZNS0_17clamp_kernel_cudaERNS_18TensorIteratorBaseERKN3c106ScalarES7_ENKUlvE_clEvENKUlvE5_clEvEUlfE_St5arrayIPcLm2EELi4E23TrivialOffsetCalculatorILi1EjESF_NS0_6memory15LoadWithoutCastENSG_16StoreWithoutCastEEEviT_T0_T2_T3_T4_T5_.num_named_barrier, 0
	.set _ZN2at6native27unrolled_elementwise_kernelIZZZNS0_17clamp_kernel_cudaERNS_18TensorIteratorBaseERKN3c106ScalarES7_ENKUlvE_clEvENKUlvE5_clEvEUlfE_St5arrayIPcLm2EELi4E23TrivialOffsetCalculatorILi1EjESF_NS0_6memory15LoadWithoutCastENSG_16StoreWithoutCastEEEviT_T0_T2_T3_T4_T5_.private_seg_size, 0
	.set _ZN2at6native27unrolled_elementwise_kernelIZZZNS0_17clamp_kernel_cudaERNS_18TensorIteratorBaseERKN3c106ScalarES7_ENKUlvE_clEvENKUlvE5_clEvEUlfE_St5arrayIPcLm2EELi4E23TrivialOffsetCalculatorILi1EjESF_NS0_6memory15LoadWithoutCastENSG_16StoreWithoutCastEEEviT_T0_T2_T3_T4_T5_.uses_vcc, 1
	.set _ZN2at6native27unrolled_elementwise_kernelIZZZNS0_17clamp_kernel_cudaERNS_18TensorIteratorBaseERKN3c106ScalarES7_ENKUlvE_clEvENKUlvE5_clEvEUlfE_St5arrayIPcLm2EELi4E23TrivialOffsetCalculatorILi1EjESF_NS0_6memory15LoadWithoutCastENSG_16StoreWithoutCastEEEviT_T0_T2_T3_T4_T5_.uses_flat_scratch, 0
	.set _ZN2at6native27unrolled_elementwise_kernelIZZZNS0_17clamp_kernel_cudaERNS_18TensorIteratorBaseERKN3c106ScalarES7_ENKUlvE_clEvENKUlvE5_clEvEUlfE_St5arrayIPcLm2EELi4E23TrivialOffsetCalculatorILi1EjESF_NS0_6memory15LoadWithoutCastENSG_16StoreWithoutCastEEEviT_T0_T2_T3_T4_T5_.has_dyn_sized_stack, 0
	.set _ZN2at6native27unrolled_elementwise_kernelIZZZNS0_17clamp_kernel_cudaERNS_18TensorIteratorBaseERKN3c106ScalarES7_ENKUlvE_clEvENKUlvE5_clEvEUlfE_St5arrayIPcLm2EELi4E23TrivialOffsetCalculatorILi1EjESF_NS0_6memory15LoadWithoutCastENSG_16StoreWithoutCastEEEviT_T0_T2_T3_T4_T5_.has_recursion, 0
	.set _ZN2at6native27unrolled_elementwise_kernelIZZZNS0_17clamp_kernel_cudaERNS_18TensorIteratorBaseERKN3c106ScalarES7_ENKUlvE_clEvENKUlvE5_clEvEUlfE_St5arrayIPcLm2EELi4E23TrivialOffsetCalculatorILi1EjESF_NS0_6memory15LoadWithoutCastENSG_16StoreWithoutCastEEEviT_T0_T2_T3_T4_T5_.has_indirect_call, 0
	.section	.AMDGPU.csdata,"",@progbits
; Kernel info:
; codeLenInByte = 700
; TotalNumSgprs: 18
; NumVgprs: 12
; NumAgprs: 0
; TotalNumVgprs: 12
; ScratchSize: 0
; MemoryBound: 0
; FloatMode: 240
; IeeeMode: 1
; LDSByteSize: 0 bytes/workgroup (compile time only)
; SGPRBlocks: 2
; VGPRBlocks: 1
; NumSGPRsForWavesPerEU: 18
; NumVGPRsForWavesPerEU: 12
; AccumOffset: 12
; Occupancy: 8
; WaveLimiterHint : 0
; COMPUTE_PGM_RSRC2:SCRATCH_EN: 0
; COMPUTE_PGM_RSRC2:USER_SGPR: 2
; COMPUTE_PGM_RSRC2:TRAP_HANDLER: 0
; COMPUTE_PGM_RSRC2:TGID_X_EN: 1
; COMPUTE_PGM_RSRC2:TGID_Y_EN: 0
; COMPUTE_PGM_RSRC2:TGID_Z_EN: 0
; COMPUTE_PGM_RSRC2:TIDIG_COMP_CNT: 0
; COMPUTE_PGM_RSRC3_GFX90A:ACCUM_OFFSET: 2
; COMPUTE_PGM_RSRC3_GFX90A:TG_SPLIT: 0
	.section	.text._ZN2at6native32elementwise_kernel_manual_unrollILi128ELi4EZNS0_22gpu_kernel_impl_nocastIZZZNS0_17clamp_kernel_cudaERNS_18TensorIteratorBaseERKN3c106ScalarES8_ENKUlvE_clEvENKUlvE5_clEvEUlfE_EEvS4_RKT_EUlibE_EEviT1_,"axG",@progbits,_ZN2at6native32elementwise_kernel_manual_unrollILi128ELi4EZNS0_22gpu_kernel_impl_nocastIZZZNS0_17clamp_kernel_cudaERNS_18TensorIteratorBaseERKN3c106ScalarES8_ENKUlvE_clEvENKUlvE5_clEvEUlfE_EEvS4_RKT_EUlibE_EEviT1_,comdat
	.globl	_ZN2at6native32elementwise_kernel_manual_unrollILi128ELi4EZNS0_22gpu_kernel_impl_nocastIZZZNS0_17clamp_kernel_cudaERNS_18TensorIteratorBaseERKN3c106ScalarES8_ENKUlvE_clEvENKUlvE5_clEvEUlfE_EEvS4_RKT_EUlibE_EEviT1_ ; -- Begin function _ZN2at6native32elementwise_kernel_manual_unrollILi128ELi4EZNS0_22gpu_kernel_impl_nocastIZZZNS0_17clamp_kernel_cudaERNS_18TensorIteratorBaseERKN3c106ScalarES8_ENKUlvE_clEvENKUlvE5_clEvEUlfE_EEvS4_RKT_EUlibE_EEviT1_
	.p2align	8
	.type	_ZN2at6native32elementwise_kernel_manual_unrollILi128ELi4EZNS0_22gpu_kernel_impl_nocastIZZZNS0_17clamp_kernel_cudaERNS_18TensorIteratorBaseERKN3c106ScalarES8_ENKUlvE_clEvENKUlvE5_clEvEUlfE_EEvS4_RKT_EUlibE_EEviT1_,@function
_ZN2at6native32elementwise_kernel_manual_unrollILi128ELi4EZNS0_22gpu_kernel_impl_nocastIZZZNS0_17clamp_kernel_cudaERNS_18TensorIteratorBaseERKN3c106ScalarES8_ENKUlvE_clEvENKUlvE5_clEvEUlfE_EEvS4_RKT_EUlibE_EEviT1_: ; @_ZN2at6native32elementwise_kernel_manual_unrollILi128ELi4EZNS0_22gpu_kernel_impl_nocastIZZZNS0_17clamp_kernel_cudaERNS_18TensorIteratorBaseERKN3c106ScalarES8_ENKUlvE_clEvENKUlvE5_clEvEUlfE_EEvS4_RKT_EUlibE_EEviT1_
; %bb.0:
	s_load_dword s57, s[0:1], 0x0
	s_load_dword s33, s[0:1], 0x8
	s_add_u32 s34, s0, 8
	s_addc_u32 s35, s1, 0
	v_lshl_or_b32 v8, s2, 9, v0
	v_or_b32_e32 v16, 0x180, v8
	s_waitcnt lgkmcnt(0)
	s_add_i32 s56, s33, -1
	s_cmp_gt_u32 s56, 1
	v_cmp_le_i32_e32 vcc, s57, v16
	s_cselect_b64 s[36:37], -1, 0
	s_and_saveexec_b64 s[0:1], vcc
	s_xor_b64 s[38:39], exec, s[0:1]
	s_cbranch_execz .LBB327_8
; %bb.1:
	s_load_dwordx4 s[24:27], s[34:35], 0x4
	s_load_dwordx2 s[42:43], s[34:35], 0x14
	s_load_dwordx4 s[20:23], s[34:35], 0xc4
	s_load_dwordx4 s[16:19], s[34:35], 0x148
	s_load_dwordx2 s[40:41], s[34:35], 0x158
	s_cmp_lg_u32 s33, 0
	s_cselect_b64 s[48:49], -1, 0
	s_add_u32 s46, s34, 0xc4
	s_addc_u32 s47, s35, 0
	s_min_u32 s58, s56, 15
	s_cmp_gt_u32 s33, 1
	s_cselect_b64 s[44:45], -1, 0
	v_cmp_gt_i32_e32 vcc, s57, v8
	s_and_saveexec_b64 s[50:51], vcc
	s_cbranch_execz .LBB327_15
; %bb.2:
	s_andn2_b64 vcc, exec, s[36:37]
	s_cbranch_vccnz .LBB327_23
; %bb.3:
	s_andn2_b64 vcc, exec, s[48:49]
	s_cbranch_vccnz .LBB327_75
; %bb.4:
	s_add_i32 s60, s58, 1
	s_cmp_eq_u32 s56, 2
	s_cbranch_scc1 .LBB327_77
; %bb.5:
	s_and_b32 s59, s60, 28
	s_mov_b32 s61, 0
	v_mov_b32_e32 v0, 0
	v_mov_b32_e32 v2, 0
	s_mov_b64 s[52:53], s[34:35]
	s_mov_b64 s[54:55], s[46:47]
	v_mov_b32_e32 v4, v8
.LBB327_6:                              ; =>This Inner Loop Header: Depth=1
	s_load_dwordx8 s[8:15], s[52:53], 0x4
	s_load_dwordx4 s[28:31], s[52:53], 0x24
	s_load_dwordx8 s[0:7], s[54:55], 0x0
	s_add_u32 s52, s52, 48
	s_addc_u32 s53, s53, 0
	s_waitcnt lgkmcnt(0)
	v_mul_hi_u32 v1, s9, v4
	v_add_u32_e32 v1, v4, v1
	v_lshrrev_b32_e32 v1, s10, v1
	v_mul_lo_u32 v3, v1, s8
	v_mul_hi_u32 v5, s12, v1
	v_sub_u32_e32 v3, v4, v3
	v_add_u32_e32 v4, v1, v5
	v_lshrrev_b32_e32 v4, s13, v4
	v_mul_lo_u32 v6, v4, s11
	v_mul_hi_u32 v7, s15, v4
	v_sub_u32_e32 v1, v1, v6
	v_add_u32_e32 v6, v4, v7
	v_mul_lo_u32 v5, v3, s1
	v_mul_lo_u32 v3, v3, s0
	;; [unrolled: 1-line block ×4, first 2 shown]
	v_lshrrev_b32_e32 v6, s28, v6
	v_add3_u32 v0, v3, v0, v1
	v_mul_hi_u32 v3, s30, v6
	v_add3_u32 v1, v5, v2, v7
	v_mul_lo_u32 v2, v6, s14
	v_add_u32_e32 v3, v6, v3
	v_sub_u32_e32 v2, v4, v2
	v_lshrrev_b32_e32 v4, s31, v3
	s_add_i32 s61, s61, 4
	v_mul_lo_u32 v3, v4, s29
	s_add_u32 s54, s54, 32
	v_sub_u32_e32 v3, v6, v3
	s_addc_u32 s55, s55, 0
	v_mul_lo_u32 v5, v2, s4
	v_mul_lo_u32 v2, v2, s5
	;; [unrolled: 1-line block ×4, first 2 shown]
	s_cmp_lg_u32 s59, s61
	v_add3_u32 v2, v2, v1, v3
	v_add3_u32 v0, v5, v0, v6
	s_cbranch_scc1 .LBB327_6
; %bb.7:
	v_mov_b32_e32 v1, v2
	s_branch .LBB327_78
.LBB327_8:
	s_andn2_saveexec_b64 s[0:1], s[38:39]
	s_cbranch_execz .LBB327_104
.LBB327_9:
	v_cndmask_b32_e64 v0, 0, 1, s[36:37]
	v_cmp_ne_u32_e64 s[0:1], 1, v0
	s_andn2_b64 vcc, exec, s[36:37]
	s_cbranch_vccnz .LBB327_22
; %bb.10:
	s_cmp_lg_u32 s33, 0
	s_waitcnt lgkmcnt(0)
	s_mov_b32 s26, 0
	s_cbranch_scc0 .LBB327_25
; %bb.11:
	s_min_u32 s27, s56, 15
	s_add_i32 s27, s27, 1
	s_cmp_eq_u32 s56, 2
	s_cbranch_scc1 .LBB327_26
; %bb.12:
	s_and_b32 s26, s27, 28
	s_add_u32 s2, s34, 0xc4
	s_addc_u32 s3, s35, 0
	s_mov_b32 s28, 0
	v_mov_b32_e32 v0, 0
	v_mov_b32_e32 v2, 0
	s_mov_b64 s[24:25], s[34:35]
	v_mov_b32_e32 v4, v8
.LBB327_13:                             ; =>This Inner Loop Header: Depth=1
	s_load_dwordx8 s[12:19], s[24:25], 0x4
	s_load_dwordx4 s[20:23], s[24:25], 0x24
	s_load_dwordx8 s[4:11], s[2:3], 0x0
	s_add_u32 s24, s24, 48
	s_addc_u32 s25, s25, 0
	s_waitcnt lgkmcnt(0)
	v_mul_hi_u32 v1, s13, v4
	v_add_u32_e32 v1, v4, v1
	v_lshrrev_b32_e32 v1, s14, v1
	v_mul_lo_u32 v3, v1, s12
	v_mul_hi_u32 v5, s16, v1
	v_sub_u32_e32 v3, v4, v3
	v_add_u32_e32 v4, v1, v5
	v_lshrrev_b32_e32 v4, s17, v4
	v_mul_lo_u32 v6, v4, s15
	v_mul_hi_u32 v7, s19, v4
	v_sub_u32_e32 v1, v1, v6
	v_add_u32_e32 v6, v4, v7
	v_mul_lo_u32 v5, v3, s5
	v_mul_lo_u32 v3, v3, s4
	;; [unrolled: 1-line block ×4, first 2 shown]
	v_lshrrev_b32_e32 v6, s20, v6
	v_add3_u32 v0, v3, v0, v1
	v_mul_hi_u32 v3, s22, v6
	v_add3_u32 v1, v5, v2, v7
	v_mul_lo_u32 v2, v6, s18
	v_add_u32_e32 v3, v6, v3
	v_sub_u32_e32 v2, v4, v2
	v_lshrrev_b32_e32 v4, s23, v3
	s_add_i32 s28, s28, 4
	v_mul_lo_u32 v3, v4, s21
	s_add_u32 s2, s2, 32
	v_sub_u32_e32 v3, v6, v3
	s_addc_u32 s3, s3, 0
	v_mul_lo_u32 v5, v2, s8
	v_mul_lo_u32 v2, v2, s9
	;; [unrolled: 1-line block ×4, first 2 shown]
	s_cmp_lg_u32 s26, s28
	v_add3_u32 v2, v2, v1, v3
	v_add3_u32 v0, v5, v0, v6
	s_cbranch_scc1 .LBB327_13
; %bb.14:
	v_mov_b32_e32 v1, v2
	s_and_b32 s6, s27, 3
	s_cmp_eq_u32 s6, 0
	s_cbranch_scc0 .LBB327_27
	s_branch .LBB327_29
.LBB327_15:
	s_or_b64 exec, exec, s[50:51]
	v_cmp_gt_i32_e32 vcc, s57, v8
	s_and_saveexec_b64 s[50:51], vcc
	s_cbranch_execz .LBB327_85
.LBB327_16:
	s_andn2_b64 vcc, exec, s[36:37]
	s_cbranch_vccnz .LBB327_24
; %bb.17:
	s_andn2_b64 vcc, exec, s[48:49]
	s_cbranch_vccnz .LBB327_76
; %bb.18:
	s_add_i32 s60, s58, 1
	s_cmp_eq_u32 s56, 2
	s_cbranch_scc1 .LBB327_94
; %bb.19:
	s_and_b32 s59, s60, 28
	s_mov_b32 s61, 0
	v_mov_b32_e32 v0, 0
	v_mov_b32_e32 v2, 0
	s_mov_b64 s[52:53], s[34:35]
	s_mov_b64 s[54:55], s[46:47]
	v_mov_b32_e32 v4, v8
.LBB327_20:                             ; =>This Inner Loop Header: Depth=1
	s_load_dwordx8 s[8:15], s[52:53], 0x4
	s_load_dwordx4 s[28:31], s[52:53], 0x24
	s_load_dwordx8 s[0:7], s[54:55], 0x0
	s_add_u32 s52, s52, 48
	s_addc_u32 s53, s53, 0
	s_waitcnt lgkmcnt(0)
	v_mul_hi_u32 v1, s9, v4
	v_add_u32_e32 v1, v4, v1
	v_lshrrev_b32_e32 v1, s10, v1
	v_mul_lo_u32 v3, v1, s8
	v_mul_hi_u32 v5, s12, v1
	v_sub_u32_e32 v3, v4, v3
	v_add_u32_e32 v4, v1, v5
	v_lshrrev_b32_e32 v4, s13, v4
	v_mul_lo_u32 v6, v4, s11
	v_mul_hi_u32 v7, s15, v4
	v_sub_u32_e32 v1, v1, v6
	v_add_u32_e32 v6, v4, v7
	v_mul_lo_u32 v5, v3, s1
	v_mul_lo_u32 v3, v3, s0
	;; [unrolled: 1-line block ×4, first 2 shown]
	v_lshrrev_b32_e32 v6, s28, v6
	v_add3_u32 v0, v3, v0, v1
	v_mul_hi_u32 v3, s30, v6
	v_add3_u32 v1, v5, v2, v7
	v_mul_lo_u32 v2, v6, s14
	v_add_u32_e32 v3, v6, v3
	v_sub_u32_e32 v2, v4, v2
	v_lshrrev_b32_e32 v4, s31, v3
	s_add_i32 s61, s61, 4
	v_mul_lo_u32 v3, v4, s29
	s_add_u32 s54, s54, 32
	v_sub_u32_e32 v3, v6, v3
	s_addc_u32 s55, s55, 0
	v_mul_lo_u32 v5, v2, s4
	v_mul_lo_u32 v2, v2, s5
	;; [unrolled: 1-line block ×4, first 2 shown]
	s_cmp_eq_u32 s59, s61
	v_add3_u32 v2, v2, v1, v3
	v_add3_u32 v0, v5, v0, v6
	s_cbranch_scc0 .LBB327_20
; %bb.21:
	v_mov_b32_e32 v1, v2
	s_branch .LBB327_95
.LBB327_22:
                                        ; implicit-def: $vgpr2
                                        ; implicit-def: $vgpr0
	s_branch .LBB327_30
.LBB327_23:
                                        ; implicit-def: $vgpr2
                                        ; implicit-def: $vgpr0
	s_branch .LBB327_82
.LBB327_24:
                                        ; implicit-def: $vgpr2
                                        ; implicit-def: $vgpr0
	s_branch .LBB327_99
.LBB327_25:
	v_mov_b32_e32 v2, 0
	v_mov_b32_e32 v0, 0
	s_branch .LBB327_29
.LBB327_26:
	v_mov_b32_e32 v0, 0
                                        ; implicit-def: $vgpr2
	v_mov_b32_e32 v1, v0
	v_mov_b32_e32 v4, v8
	s_and_b32 s6, s27, 3
	s_cmp_eq_u32 s6, 0
	s_cbranch_scc1 .LBB327_29
.LBB327_27:
	s_lshl_b32 s2, s26, 3
	s_add_u32 s2, s34, s2
	s_addc_u32 s3, s35, 0
	s_add_u32 s2, s2, 0xc4
	s_addc_u32 s3, s3, 0
	s_mul_i32 s4, s26, 12
	s_add_u32 s4, s34, s4
	s_addc_u32 s5, s35, 0
.LBB327_28:                             ; =>This Inner Loop Header: Depth=1
	s_load_dwordx2 s[8:9], s[4:5], 0x4
	s_load_dword s7, s[4:5], 0xc
	s_load_dwordx2 s[10:11], s[2:3], 0x0
	v_mov_b32_e32 v2, v1
	s_add_u32 s4, s4, 12
	s_waitcnt lgkmcnt(0)
	v_mul_hi_u32 v1, s9, v4
	v_add_u32_e32 v1, v4, v1
	v_lshrrev_b32_e32 v1, s7, v1
	s_addc_u32 s5, s5, 0
	v_mul_lo_u32 v3, v1, s8
	s_add_u32 s2, s2, 8
	v_sub_u32_e32 v5, v4, v3
	s_addc_u32 s3, s3, 0
	s_add_i32 s6, s6, -1
	v_mov_b32_e32 v4, v1
	v_mad_u64_u32 v[2:3], s[8:9], v5, s11, v[2:3]
	v_mad_u64_u32 v[0:1], s[8:9], v5, s10, v[0:1]
	s_cmp_lg_u32 s6, 0
	v_mov_b32_e32 v1, v2
	s_cbranch_scc1 .LBB327_28
.LBB327_29:
	s_cbranch_execnz .LBB327_32
.LBB327_30:
	s_load_dwordx4 s[4:7], s[34:35], 0x4
	s_load_dwordx2 s[2:3], s[34:35], 0xc4
	s_cmp_lt_u32 s33, 2
	s_waitcnt lgkmcnt(0)
	v_mul_hi_u32 v0, s5, v8
	v_add_u32_e32 v0, v8, v0
	v_lshrrev_b32_e32 v1, s6, v0
	v_mul_lo_u32 v0, v1, s4
	v_sub_u32_e32 v0, v8, v0
	v_mul_lo_u32 v2, v0, s3
	v_mul_lo_u32 v0, v0, s2
	s_cbranch_scc1 .LBB327_32
; %bb.31:
	s_load_dwordx4 s[4:7], s[34:35], 0x10
	s_load_dwordx2 s[2:3], s[34:35], 0xcc
	s_waitcnt lgkmcnt(0)
	v_mul_hi_u32 v3, s5, v1
	v_add_u32_e32 v3, v1, v3
	v_lshrrev_b32_e32 v3, s6, v3
	v_mul_lo_u32 v3, v3, s4
	v_sub_u32_e32 v3, v1, v3
	v_mad_u64_u32 v[0:1], s[4:5], v3, s2, v[0:1]
	v_mad_u64_u32 v[2:3], s[2:3], v3, s3, v[2:3]
.LBB327_32:
	s_and_b64 vcc, exec, s[0:1]
	v_add_u32_e32 v3, 0x80, v8
	s_cbranch_vccnz .LBB327_38
; %bb.33:
	s_cmp_lg_u32 s33, 0
	s_waitcnt lgkmcnt(0)
	s_mov_b32 s26, 0
	s_cbranch_scc0 .LBB327_39
; %bb.34:
	s_min_u32 s27, s56, 15
	s_add_i32 s27, s27, 1
	s_cmp_eq_u32 s56, 2
	s_cbranch_scc1 .LBB327_40
; %bb.35:
	s_and_b32 s26, s27, 28
	s_add_u32 s2, s34, 0xc4
	s_addc_u32 s3, s35, 0
	s_mov_b32 s28, 0
	v_mov_b32_e32 v4, 0
	v_mov_b32_e32 v6, 0
	s_mov_b64 s[24:25], s[34:35]
	v_mov_b32_e32 v9, v3
.LBB327_36:                             ; =>This Inner Loop Header: Depth=1
	s_load_dwordx8 s[12:19], s[24:25], 0x4
	s_load_dwordx4 s[20:23], s[24:25], 0x24
	s_load_dwordx8 s[4:11], s[2:3], 0x0
	s_add_u32 s24, s24, 48
	s_addc_u32 s25, s25, 0
	s_waitcnt lgkmcnt(0)
	v_mul_hi_u32 v1, s13, v9
	v_add_u32_e32 v1, v9, v1
	v_lshrrev_b32_e32 v1, s14, v1
	v_mul_hi_u32 v7, s16, v1
	v_add_u32_e32 v7, v1, v7
	v_lshrrev_b32_e32 v7, s17, v7
	v_mul_lo_u32 v5, v1, s12
	v_mul_lo_u32 v10, v7, s15
	v_mul_hi_u32 v11, s19, v7
	v_sub_u32_e32 v5, v9, v5
	v_sub_u32_e32 v1, v1, v10
	v_add_u32_e32 v10, v7, v11
	v_mul_lo_u32 v9, v5, s5
	v_mul_lo_u32 v5, v5, s4
	v_mul_lo_u32 v11, v1, s7
	v_mul_lo_u32 v1, v1, s6
	v_lshrrev_b32_e32 v10, s20, v10
	v_add3_u32 v1, v5, v4, v1
	v_add3_u32 v4, v9, v6, v11
	v_mul_hi_u32 v6, s22, v10
	v_add_u32_e32 v6, v10, v6
	v_lshrrev_b32_e32 v9, s23, v6
	s_add_i32 s28, s28, 4
	v_mul_lo_u32 v5, v10, s18
	v_mul_lo_u32 v6, v9, s21
	s_add_u32 s2, s2, 32
	v_sub_u32_e32 v5, v7, v5
	v_sub_u32_e32 v6, v10, v6
	s_addc_u32 s3, s3, 0
	v_mul_lo_u32 v7, v5, s8
	v_mul_lo_u32 v5, v5, s9
	;; [unrolled: 1-line block ×4, first 2 shown]
	s_cmp_lg_u32 s26, s28
	v_add3_u32 v6, v5, v4, v6
	v_add3_u32 v4, v7, v1, v10
	s_cbranch_scc1 .LBB327_36
; %bb.37:
	v_mov_b32_e32 v1, v6
	s_and_b32 s6, s27, 3
	s_cmp_eq_u32 s6, 0
	s_cbranch_scc0 .LBB327_41
	s_branch .LBB327_43
.LBB327_38:
                                        ; implicit-def: $vgpr6
                                        ; implicit-def: $vgpr4
	s_branch .LBB327_44
.LBB327_39:
	v_mov_b32_e32 v6, 0
	v_mov_b32_e32 v4, 0
	s_branch .LBB327_43
.LBB327_40:
	v_mov_b32_e32 v4, 0
                                        ; implicit-def: $vgpr6
	v_mov_b32_e32 v1, v4
	v_mov_b32_e32 v9, v3
	s_and_b32 s6, s27, 3
	s_cmp_eq_u32 s6, 0
	s_cbranch_scc1 .LBB327_43
.LBB327_41:
	s_lshl_b32 s2, s26, 3
	s_add_u32 s2, s34, s2
	s_addc_u32 s3, s35, 0
	s_add_u32 s2, s2, 0xc4
	s_addc_u32 s3, s3, 0
	s_mul_i32 s4, s26, 12
	s_add_u32 s4, s34, s4
	s_addc_u32 s5, s35, 0
.LBB327_42:                             ; =>This Inner Loop Header: Depth=1
	s_load_dwordx2 s[8:9], s[4:5], 0x4
	s_load_dword s7, s[4:5], 0xc
	s_load_dwordx2 s[10:11], s[2:3], 0x0
	v_mov_b32_e32 v6, v1
	s_add_u32 s4, s4, 12
	s_waitcnt lgkmcnt(0)
	v_mul_hi_u32 v1, s9, v9
	v_add_u32_e32 v1, v9, v1
	v_lshrrev_b32_e32 v1, s7, v1
	s_addc_u32 s5, s5, 0
	v_mul_lo_u32 v5, v1, s8
	s_add_u32 s2, s2, 8
	v_sub_u32_e32 v5, v9, v5
	s_addc_u32 s3, s3, 0
	s_add_i32 s6, s6, -1
	v_mad_u64_u32 v[6:7], s[8:9], v5, s11, v[6:7]
	s_cmp_lg_u32 s6, 0
	v_mov_b32_e32 v9, v1
	v_mad_u64_u32 v[4:5], s[8:9], v5, s10, v[4:5]
	v_mov_b32_e32 v1, v6
	s_cbranch_scc1 .LBB327_42
.LBB327_43:
	s_cbranch_execnz .LBB327_46
.LBB327_44:
	s_load_dwordx4 s[4:7], s[34:35], 0x4
	s_load_dwordx2 s[2:3], s[34:35], 0xc4
	s_cmp_lt_u32 s33, 2
	s_waitcnt lgkmcnt(0)
	v_mul_hi_u32 v1, s5, v3
	v_add_u32_e32 v1, v3, v1
	v_lshrrev_b32_e32 v1, s6, v1
	v_mul_lo_u32 v4, v1, s4
	v_sub_u32_e32 v3, v3, v4
	v_mul_lo_u32 v6, v3, s3
	v_mul_lo_u32 v4, v3, s2
	s_cbranch_scc1 .LBB327_46
; %bb.45:
	s_load_dwordx4 s[4:7], s[34:35], 0x10
	s_load_dwordx2 s[2:3], s[34:35], 0xcc
	s_waitcnt lgkmcnt(0)
	v_mul_hi_u32 v3, s5, v1
	v_add_u32_e32 v3, v1, v3
	v_lshrrev_b32_e32 v3, s6, v3
	v_mul_lo_u32 v3, v3, s4
	v_sub_u32_e32 v1, v1, v3
	v_mad_u64_u32 v[4:5], s[4:5], v1, s2, v[4:5]
	v_mad_u64_u32 v[6:7], s[2:3], v1, s3, v[6:7]
.LBB327_46:
	s_and_b64 vcc, exec, s[0:1]
	v_add_u32_e32 v3, 0x100, v8
	s_cbranch_vccnz .LBB327_52
; %bb.47:
	s_cmp_lg_u32 s33, 0
	s_waitcnt lgkmcnt(0)
	s_mov_b32 s26, 0
	s_cbranch_scc0 .LBB327_53
; %bb.48:
	s_min_u32 s27, s56, 15
	s_add_i32 s27, s27, 1
	s_cmp_eq_u32 s56, 2
	s_cbranch_scc1 .LBB327_54
; %bb.49:
	s_and_b32 s26, s27, 28
	s_add_u32 s2, s34, 0xc4
	s_addc_u32 s3, s35, 0
	s_mov_b32 s28, 0
	v_mov_b32_e32 v8, 0
	v_mov_b32_e32 v10, 0
	s_mov_b64 s[24:25], s[34:35]
	v_mov_b32_e32 v5, v3
.LBB327_50:                             ; =>This Inner Loop Header: Depth=1
	s_load_dwordx8 s[12:19], s[24:25], 0x4
	s_load_dwordx4 s[20:23], s[24:25], 0x24
	s_load_dwordx8 s[4:11], s[2:3], 0x0
	s_add_u32 s24, s24, 48
	s_addc_u32 s25, s25, 0
	s_waitcnt lgkmcnt(0)
	v_mul_hi_u32 v1, s13, v5
	v_add_u32_e32 v1, v5, v1
	v_lshrrev_b32_e32 v1, s14, v1
	v_mul_lo_u32 v7, v1, s12
	v_mul_hi_u32 v9, s16, v1
	v_sub_u32_e32 v5, v5, v7
	v_add_u32_e32 v7, v1, v9
	v_lshrrev_b32_e32 v7, s17, v7
	v_mul_lo_u32 v11, v7, s15
	v_mul_hi_u32 v12, s19, v7
	v_sub_u32_e32 v1, v1, v11
	v_add_u32_e32 v11, v7, v12
	v_mul_lo_u32 v9, v5, s5
	v_mul_lo_u32 v5, v5, s4
	;; [unrolled: 1-line block ×4, first 2 shown]
	v_lshrrev_b32_e32 v11, s20, v11
	v_add3_u32 v1, v5, v8, v1
	v_add3_u32 v8, v9, v10, v12
	v_mul_lo_u32 v5, v11, s18
	v_mul_hi_u32 v9, s22, v11
	v_sub_u32_e32 v5, v7, v5
	v_add_u32_e32 v7, v11, v9
	v_mul_lo_u32 v9, v5, s8
	v_mul_lo_u32 v10, v5, s9
	v_lshrrev_b32_e32 v5, s23, v7
	s_add_i32 s28, s28, 4
	v_mul_lo_u32 v7, v5, s21
	s_add_u32 s2, s2, 32
	v_sub_u32_e32 v7, v11, v7
	s_addc_u32 s3, s3, 0
	v_mul_lo_u32 v11, v7, s10
	v_mul_lo_u32 v7, v7, s11
	s_cmp_lg_u32 s26, s28
	v_add3_u32 v10, v10, v8, v7
	v_add3_u32 v8, v9, v1, v11
	s_cbranch_scc1 .LBB327_50
; %bb.51:
	v_mov_b32_e32 v1, v10
	s_and_b32 s6, s27, 3
	s_cmp_eq_u32 s6, 0
	s_cbranch_scc0 .LBB327_55
	s_branch .LBB327_57
.LBB327_52:
                                        ; implicit-def: $vgpr10
                                        ; implicit-def: $vgpr8
	s_branch .LBB327_58
.LBB327_53:
	v_mov_b32_e32 v10, 0
	v_mov_b32_e32 v8, 0
	s_branch .LBB327_57
.LBB327_54:
	v_mov_b32_e32 v8, 0
                                        ; implicit-def: $vgpr10
	v_mov_b32_e32 v1, v8
	v_mov_b32_e32 v5, v3
	s_and_b32 s6, s27, 3
	s_cmp_eq_u32 s6, 0
	s_cbranch_scc1 .LBB327_57
.LBB327_55:
	s_lshl_b32 s2, s26, 3
	s_add_u32 s2, s34, s2
	s_addc_u32 s3, s35, 0
	s_add_u32 s2, s2, 0xc4
	s_addc_u32 s3, s3, 0
	s_mul_i32 s4, s26, 12
	s_add_u32 s4, s34, s4
	s_addc_u32 s5, s35, 0
.LBB327_56:                             ; =>This Inner Loop Header: Depth=1
	s_load_dwordx2 s[8:9], s[4:5], 0x4
	s_load_dword s7, s[4:5], 0xc
	s_load_dwordx2 s[10:11], s[2:3], 0x0
	v_mov_b32_e32 v10, v1
	s_add_u32 s4, s4, 12
	s_waitcnt lgkmcnt(0)
	v_mul_hi_u32 v1, s9, v5
	v_add_u32_e32 v1, v5, v1
	v_lshrrev_b32_e32 v1, s7, v1
	s_addc_u32 s5, s5, 0
	v_mul_lo_u32 v7, v1, s8
	s_add_u32 s2, s2, 8
	v_sub_u32_e32 v7, v5, v7
	s_addc_u32 s3, s3, 0
	s_add_i32 s6, s6, -1
	v_mad_u64_u32 v[10:11], s[8:9], v7, s11, v[10:11]
	s_cmp_lg_u32 s6, 0
	v_mov_b32_e32 v5, v1
	v_mad_u64_u32 v[8:9], s[8:9], v7, s10, v[8:9]
	v_mov_b32_e32 v1, v10
	s_cbranch_scc1 .LBB327_56
.LBB327_57:
	s_cbranch_execnz .LBB327_60
.LBB327_58:
	s_load_dwordx4 s[4:7], s[34:35], 0x4
	s_load_dwordx2 s[2:3], s[34:35], 0xc4
	s_cmp_lt_u32 s33, 2
	s_waitcnt lgkmcnt(0)
	v_mul_hi_u32 v1, s5, v3
	v_add_u32_e32 v1, v3, v1
	v_lshrrev_b32_e32 v1, s6, v1
	v_mul_lo_u32 v5, v1, s4
	v_sub_u32_e32 v3, v3, v5
	v_mul_lo_u32 v10, v3, s3
	v_mul_lo_u32 v8, v3, s2
	s_cbranch_scc1 .LBB327_60
; %bb.59:
	s_load_dwordx4 s[4:7], s[34:35], 0x10
	s_load_dwordx2 s[2:3], s[34:35], 0xcc
	s_waitcnt lgkmcnt(0)
	v_mul_hi_u32 v3, s5, v1
	v_add_u32_e32 v3, v1, v3
	v_lshrrev_b32_e32 v3, s6, v3
	v_mul_lo_u32 v3, v3, s4
	v_sub_u32_e32 v1, v1, v3
	v_mad_u64_u32 v[8:9], s[4:5], v1, s2, v[8:9]
	v_mad_u64_u32 v[10:11], s[2:3], v1, s3, v[10:11]
.LBB327_60:
	s_and_b64 vcc, exec, s[0:1]
	s_cbranch_vccnz .LBB327_66
; %bb.61:
	s_cmp_lg_u32 s33, 0
	s_waitcnt lgkmcnt(0)
	s_mov_b32 s24, 0
	s_cbranch_scc0 .LBB327_67
; %bb.62:
	s_min_u32 s25, s56, 15
	s_add_i32 s25, s25, 1
	s_cmp_eq_u32 s56, 2
	s_cbranch_scc1 .LBB327_68
; %bb.63:
	s_and_b32 s24, s25, 28
	s_add_u32 s20, s34, 0xc4
	s_addc_u32 s21, s35, 0
	s_mov_b32 s26, 0
	v_mov_b32_e32 v12, 0
	v_mov_b32_e32 v14, 0
	s_mov_b64 s[22:23], s[34:35]
	v_mov_b32_e32 v3, v16
.LBB327_64:                             ; =>This Inner Loop Header: Depth=1
	s_load_dwordx8 s[8:15], s[22:23], 0x4
	s_load_dwordx4 s[16:19], s[22:23], 0x24
	s_load_dwordx8 s[0:7], s[20:21], 0x0
	s_add_u32 s22, s22, 48
	s_addc_u32 s23, s23, 0
	s_waitcnt lgkmcnt(0)
	v_mul_hi_u32 v1, s9, v3
	v_add_u32_e32 v1, v3, v1
	v_lshrrev_b32_e32 v1, s10, v1
	v_mul_lo_u32 v5, v1, s8
	v_mul_hi_u32 v7, s12, v1
	v_sub_u32_e32 v3, v3, v5
	v_add_u32_e32 v5, v1, v7
	v_lshrrev_b32_e32 v5, s13, v5
	v_mul_lo_u32 v9, v5, s11
	v_mul_hi_u32 v11, s15, v5
	v_sub_u32_e32 v1, v1, v9
	v_add_u32_e32 v9, v5, v11
	v_mul_lo_u32 v7, v3, s1
	v_mul_lo_u32 v3, v3, s0
	;; [unrolled: 1-line block ×4, first 2 shown]
	v_lshrrev_b32_e32 v9, s16, v9
	v_add3_u32 v1, v3, v12, v1
	v_add3_u32 v7, v7, v14, v11
	v_mul_lo_u32 v3, v9, s14
	v_mul_hi_u32 v11, s18, v9
	v_sub_u32_e32 v3, v5, v3
	v_add_u32_e32 v5, v9, v11
	v_mul_lo_u32 v11, v3, s4
	v_mul_lo_u32 v12, v3, s5
	v_lshrrev_b32_e32 v3, s19, v5
	s_add_i32 s26, s26, 4
	v_mul_lo_u32 v5, v3, s17
	s_add_u32 s20, s20, 32
	v_sub_u32_e32 v5, v9, v5
	s_addc_u32 s21, s21, 0
	v_mul_lo_u32 v9, v5, s6
	v_mul_lo_u32 v5, v5, s7
	s_cmp_lg_u32 s24, s26
	v_add3_u32 v14, v12, v7, v5
	v_add3_u32 v12, v11, v1, v9
	s_cbranch_scc1 .LBB327_64
; %bb.65:
	v_mov_b32_e32 v1, v14
	s_and_b32 s4, s25, 3
	s_cmp_eq_u32 s4, 0
	s_cbranch_scc0 .LBB327_69
	s_branch .LBB327_71
.LBB327_66:
                                        ; implicit-def: $vgpr14
                                        ; implicit-def: $vgpr12
	s_branch .LBB327_72
.LBB327_67:
	v_mov_b32_e32 v14, 0
	v_mov_b32_e32 v12, 0
	s_branch .LBB327_71
.LBB327_68:
	v_mov_b32_e32 v12, 0
                                        ; implicit-def: $vgpr14
	v_mov_b32_e32 v1, v12
	v_mov_b32_e32 v3, v16
	s_and_b32 s4, s25, 3
	s_cmp_eq_u32 s4, 0
	s_cbranch_scc1 .LBB327_71
.LBB327_69:
	s_lshl_b32 s0, s24, 3
	s_add_u32 s0, s34, s0
	s_addc_u32 s1, s35, 0
	s_add_u32 s0, s0, 0xc4
	s_addc_u32 s1, s1, 0
	s_mul_i32 s2, s24, 12
	s_add_u32 s2, s34, s2
	s_addc_u32 s3, s35, 0
.LBB327_70:                             ; =>This Inner Loop Header: Depth=1
	s_load_dwordx2 s[6:7], s[2:3], 0x4
	s_load_dword s5, s[2:3], 0xc
	s_load_dwordx2 s[8:9], s[0:1], 0x0
	v_mov_b32_e32 v14, v1
	s_add_u32 s2, s2, 12
	s_waitcnt lgkmcnt(0)
	v_mul_hi_u32 v1, s7, v3
	v_add_u32_e32 v1, v3, v1
	v_lshrrev_b32_e32 v1, s5, v1
	s_addc_u32 s3, s3, 0
	v_mul_lo_u32 v5, v1, s6
	s_add_u32 s0, s0, 8
	v_sub_u32_e32 v5, v3, v5
	s_addc_u32 s1, s1, 0
	s_add_i32 s4, s4, -1
	v_mad_u64_u32 v[14:15], s[6:7], v5, s9, v[14:15]
	s_cmp_lg_u32 s4, 0
	v_mov_b32_e32 v3, v1
	v_mad_u64_u32 v[12:13], s[6:7], v5, s8, v[12:13]
	v_mov_b32_e32 v1, v14
	s_cbranch_scc1 .LBB327_70
.LBB327_71:
	s_cbranch_execnz .LBB327_74
.LBB327_72:
	s_load_dwordx4 s[0:3], s[34:35], 0x4
	s_load_dwordx2 s[4:5], s[34:35], 0xc4
	s_cmp_lt_u32 s33, 2
	s_waitcnt lgkmcnt(0)
	v_mul_hi_u32 v1, s1, v16
	v_add_u32_e32 v1, v16, v1
	v_lshrrev_b32_e32 v1, s2, v1
	v_mul_lo_u32 v3, v1, s0
	v_sub_u32_e32 v3, v16, v3
	v_mul_lo_u32 v14, v3, s5
	v_mul_lo_u32 v12, v3, s4
	s_cbranch_scc1 .LBB327_74
; %bb.73:
	s_load_dwordx4 s[0:3], s[34:35], 0x10
	s_load_dwordx2 s[4:5], s[34:35], 0xcc
	s_waitcnt lgkmcnt(0)
	v_mul_hi_u32 v3, s1, v1
	v_add_u32_e32 v3, v1, v3
	v_lshrrev_b32_e32 v3, s2, v3
	v_mul_lo_u32 v3, v3, s0
	v_sub_u32_e32 v1, v1, v3
	v_mad_u64_u32 v[12:13], s[0:1], v1, s4, v[12:13]
	v_mad_u64_u32 v[14:15], s[0:1], v1, s5, v[14:15]
.LBB327_74:
	s_load_dwordx4 s[0:3], s[34:35], 0x148
	s_load_dwordx2 s[4:5], s[34:35], 0x158
	s_waitcnt lgkmcnt(0)
	global_load_dword v1, v2, s[2:3]
	global_load_dword v3, v6, s[2:3]
	;; [unrolled: 1-line block ×4, first 2 shown]
	v_max_f32_e64 v2, s4, s4
	v_max_f32_e64 v6, s5, s5
	s_waitcnt vmcnt(3)
	v_max_f32_e32 v9, v1, v1
	s_waitcnt vmcnt(2)
	v_max_f32_e32 v10, v3, v3
	v_max_f32_e32 v9, v9, v2
	s_waitcnt vmcnt(1)
	v_max_f32_e32 v11, v5, v5
	v_max_f32_e32 v10, v10, v2
	v_min_f32_e32 v9, v9, v6
	v_cmp_u_f32_e32 vcc, v1, v1
	s_waitcnt vmcnt(0)
	v_max_f32_e32 v13, v7, v7
	v_max_f32_e32 v11, v11, v2
	v_min_f32_e32 v10, v10, v6
	v_cndmask_b32_e32 v1, v9, v1, vcc
	v_cmp_u_f32_e32 vcc, v3, v3
	v_max_f32_e32 v2, v13, v2
	v_min_f32_e32 v11, v11, v6
	v_cndmask_b32_e32 v3, v10, v3, vcc
	v_cmp_u_f32_e32 vcc, v5, v5
	v_min_f32_e32 v2, v2, v6
	s_nop 0
	v_cndmask_b32_e32 v5, v11, v5, vcc
	v_cmp_u_f32_e32 vcc, v7, v7
	s_nop 1
	v_cndmask_b32_e32 v2, v2, v7, vcc
	global_store_dword v0, v1, s[0:1]
	global_store_dword v4, v3, s[0:1]
	;; [unrolled: 1-line block ×4, first 2 shown]
	s_endpgm
.LBB327_75:
	v_mov_b32_e32 v2, 0
	v_mov_b32_e32 v0, 0
	s_branch .LBB327_81
.LBB327_76:
	v_mov_b32_e32 v2, 0
	v_mov_b32_e32 v0, 0
	s_branch .LBB327_98
.LBB327_77:
	v_mov_b32_e32 v0, 0
	s_mov_b32 s59, 0
	v_mov_b32_e32 v1, v0
                                        ; implicit-def: $vgpr2
	v_mov_b32_e32 v4, v8
.LBB327_78:
	s_and_b32 s4, s60, 3
	s_cmp_eq_u32 s4, 0
	s_cbranch_scc1 .LBB327_81
; %bb.79:
	s_lshl_b32 s0, s59, 3
	s_add_u32 s0, s34, s0
	s_addc_u32 s1, s35, 0
	s_add_u32 s0, s0, 0xc4
	s_addc_u32 s1, s1, 0
	s_mul_i32 s2, s59, 12
	s_add_u32 s2, s34, s2
	s_addc_u32 s3, s35, 0
.LBB327_80:                             ; =>This Inner Loop Header: Depth=1
	s_load_dwordx2 s[6:7], s[2:3], 0x4
	s_load_dword s5, s[2:3], 0xc
	s_load_dwordx2 s[8:9], s[0:1], 0x0
	v_mov_b32_e32 v2, v1
	s_add_u32 s2, s2, 12
	s_waitcnt lgkmcnt(0)
	v_mul_hi_u32 v1, s7, v4
	v_add_u32_e32 v1, v4, v1
	v_lshrrev_b32_e32 v1, s5, v1
	s_addc_u32 s3, s3, 0
	v_mul_lo_u32 v3, v1, s6
	s_add_u32 s0, s0, 8
	v_sub_u32_e32 v5, v4, v3
	s_addc_u32 s1, s1, 0
	s_add_i32 s4, s4, -1
	v_mov_b32_e32 v4, v1
	v_mad_u64_u32 v[2:3], s[6:7], v5, s9, v[2:3]
	v_mad_u64_u32 v[0:1], s[6:7], v5, s8, v[0:1]
	s_cmp_lg_u32 s4, 0
	v_mov_b32_e32 v1, v2
	s_cbranch_scc1 .LBB327_80
.LBB327_81:
	s_cbranch_execnz .LBB327_84
.LBB327_82:
	s_waitcnt lgkmcnt(0)
	v_mul_hi_u32 v0, s25, v8
	v_add_u32_e32 v0, v8, v0
	v_lshrrev_b32_e32 v1, s26, v0
	v_mul_lo_u32 v0, v1, s24
	v_sub_u32_e32 v0, v8, v0
	v_mul_lo_u32 v2, v0, s21
	s_andn2_b64 vcc, exec, s[44:45]
	v_mul_lo_u32 v0, v0, s20
	s_cbranch_vccnz .LBB327_84
; %bb.83:
	v_mul_hi_u32 v3, s42, v1
	v_add_u32_e32 v3, v1, v3
	v_lshrrev_b32_e32 v3, s43, v3
	v_mul_lo_u32 v3, v3, s27
	v_sub_u32_e32 v3, v1, v3
	v_mad_u64_u32 v[0:1], s[0:1], v3, s22, v[0:1]
	v_mad_u64_u32 v[2:3], s[0:1], v3, s23, v[2:3]
.LBB327_84:
	s_waitcnt lgkmcnt(0)
	global_load_dword v1, v2, s[18:19]
	v_max_f32_e64 v2, s40, s40
	v_max_f32_e64 v3, s41, s41
	v_add_u32_e32 v8, 0x80, v8
	s_waitcnt vmcnt(0)
	v_max_f32_e32 v4, v1, v1
	v_max_f32_e32 v2, v4, v2
	v_min_f32_e32 v2, v2, v3
	v_cmp_u_f32_e32 vcc, v1, v1
	s_nop 1
	v_cndmask_b32_e32 v1, v2, v1, vcc
	global_store_dword v0, v1, s[16:17]
	s_or_b64 exec, exec, s[50:51]
	v_cmp_gt_i32_e32 vcc, s57, v8
	s_and_saveexec_b64 s[50:51], vcc
	s_cbranch_execnz .LBB327_16
.LBB327_85:
	s_or_b64 exec, exec, s[50:51]
	v_cmp_gt_i32_e32 vcc, s57, v8
	s_and_saveexec_b64 s[50:51], vcc
	s_cbranch_execz .LBB327_102
.LBB327_86:
	s_andn2_b64 vcc, exec, s[36:37]
	s_cbranch_vccnz .LBB327_92
; %bb.87:
	s_andn2_b64 vcc, exec, s[48:49]
	s_cbranch_vccnz .LBB327_93
; %bb.88:
	s_add_i32 s60, s58, 1
	s_cmp_eq_u32 s56, 2
	s_cbranch_scc1 .LBB327_105
; %bb.89:
	s_and_b32 s59, s60, 28
	s_mov_b32 s61, 0
	v_mov_b32_e32 v0, 0
	v_mov_b32_e32 v2, 0
	s_mov_b64 s[52:53], s[34:35]
	s_mov_b64 s[54:55], s[46:47]
	v_mov_b32_e32 v4, v8
.LBB327_90:                             ; =>This Inner Loop Header: Depth=1
	s_load_dwordx8 s[8:15], s[52:53], 0x4
	s_load_dwordx4 s[28:31], s[52:53], 0x24
	s_load_dwordx8 s[0:7], s[54:55], 0x0
	s_add_u32 s52, s52, 48
	s_addc_u32 s53, s53, 0
	s_waitcnt lgkmcnt(0)
	v_mul_hi_u32 v1, s9, v4
	v_add_u32_e32 v1, v4, v1
	v_lshrrev_b32_e32 v1, s10, v1
	v_mul_lo_u32 v3, v1, s8
	v_mul_hi_u32 v5, s12, v1
	v_sub_u32_e32 v3, v4, v3
	v_add_u32_e32 v4, v1, v5
	v_lshrrev_b32_e32 v4, s13, v4
	v_mul_lo_u32 v6, v4, s11
	v_mul_hi_u32 v7, s15, v4
	v_sub_u32_e32 v1, v1, v6
	v_add_u32_e32 v6, v4, v7
	v_mul_lo_u32 v5, v3, s1
	v_mul_lo_u32 v3, v3, s0
	;; [unrolled: 1-line block ×4, first 2 shown]
	v_lshrrev_b32_e32 v6, s28, v6
	v_add3_u32 v0, v3, v0, v1
	v_mul_hi_u32 v3, s30, v6
	v_add3_u32 v1, v5, v2, v7
	v_mul_lo_u32 v2, v6, s14
	v_add_u32_e32 v3, v6, v3
	v_sub_u32_e32 v2, v4, v2
	v_lshrrev_b32_e32 v4, s31, v3
	s_add_i32 s61, s61, 4
	v_mul_lo_u32 v3, v4, s29
	s_add_u32 s54, s54, 32
	v_sub_u32_e32 v3, v6, v3
	s_addc_u32 s55, s55, 0
	v_mul_lo_u32 v5, v2, s4
	v_mul_lo_u32 v2, v2, s5
	v_mul_lo_u32 v6, v3, s6
	v_mul_lo_u32 v3, v3, s7
	s_cmp_eq_u32 s59, s61
	v_add3_u32 v2, v2, v1, v3
	v_add3_u32 v0, v5, v0, v6
	s_cbranch_scc0 .LBB327_90
; %bb.91:
	v_mov_b32_e32 v1, v2
	s_branch .LBB327_106
.LBB327_92:
                                        ; implicit-def: $vgpr2
                                        ; implicit-def: $vgpr0
	s_branch .LBB327_110
.LBB327_93:
	v_mov_b32_e32 v2, 0
	v_mov_b32_e32 v0, 0
	s_branch .LBB327_109
.LBB327_94:
	v_mov_b32_e32 v0, 0
	s_mov_b32 s59, 0
	v_mov_b32_e32 v1, v0
                                        ; implicit-def: $vgpr2
	v_mov_b32_e32 v4, v8
.LBB327_95:
	s_and_b32 s4, s60, 3
	s_cmp_eq_u32 s4, 0
	s_cbranch_scc1 .LBB327_98
; %bb.96:
	s_lshl_b32 s0, s59, 3
	s_add_u32 s0, s34, s0
	s_addc_u32 s1, s35, 0
	s_add_u32 s0, s0, 0xc4
	s_addc_u32 s1, s1, 0
	s_mul_i32 s2, s59, 12
	s_add_u32 s2, s34, s2
	s_addc_u32 s3, s35, 0
.LBB327_97:                             ; =>This Inner Loop Header: Depth=1
	s_load_dwordx2 s[6:7], s[2:3], 0x4
	s_load_dword s5, s[2:3], 0xc
	s_load_dwordx2 s[8:9], s[0:1], 0x0
	v_mov_b32_e32 v2, v1
	s_add_u32 s2, s2, 12
	s_waitcnt lgkmcnt(0)
	v_mul_hi_u32 v1, s7, v4
	v_add_u32_e32 v1, v4, v1
	v_lshrrev_b32_e32 v1, s5, v1
	s_addc_u32 s3, s3, 0
	v_mul_lo_u32 v3, v1, s6
	s_add_u32 s0, s0, 8
	v_sub_u32_e32 v5, v4, v3
	s_addc_u32 s1, s1, 0
	s_add_i32 s4, s4, -1
	v_mov_b32_e32 v4, v1
	v_mad_u64_u32 v[2:3], s[6:7], v5, s9, v[2:3]
	v_mad_u64_u32 v[0:1], s[6:7], v5, s8, v[0:1]
	s_cmp_lg_u32 s4, 0
	v_mov_b32_e32 v1, v2
	s_cbranch_scc1 .LBB327_97
.LBB327_98:
	s_cbranch_execnz .LBB327_101
.LBB327_99:
	s_waitcnt lgkmcnt(0)
	v_mul_hi_u32 v0, s25, v8
	v_add_u32_e32 v0, v8, v0
	v_lshrrev_b32_e32 v1, s26, v0
	v_mul_lo_u32 v0, v1, s24
	v_sub_u32_e32 v0, v8, v0
	v_mul_lo_u32 v2, v0, s21
	s_andn2_b64 vcc, exec, s[44:45]
	v_mul_lo_u32 v0, v0, s20
	s_cbranch_vccnz .LBB327_101
; %bb.100:
	v_mul_hi_u32 v3, s42, v1
	v_add_u32_e32 v3, v1, v3
	v_lshrrev_b32_e32 v3, s43, v3
	v_mul_lo_u32 v3, v3, s27
	v_sub_u32_e32 v3, v1, v3
	v_mad_u64_u32 v[0:1], s[0:1], v3, s22, v[0:1]
	v_mad_u64_u32 v[2:3], s[0:1], v3, s23, v[2:3]
.LBB327_101:
	s_waitcnt lgkmcnt(0)
	global_load_dword v1, v2, s[18:19]
	v_max_f32_e64 v2, s40, s40
	v_max_f32_e64 v3, s41, s41
	v_add_u32_e32 v8, 0x80, v8
	s_waitcnt vmcnt(0)
	v_max_f32_e32 v4, v1, v1
	v_max_f32_e32 v2, v4, v2
	v_min_f32_e32 v2, v2, v3
	v_cmp_u_f32_e32 vcc, v1, v1
	s_nop 1
	v_cndmask_b32_e32 v1, v2, v1, vcc
	global_store_dword v0, v1, s[16:17]
	s_or_b64 exec, exec, s[50:51]
	v_cmp_gt_i32_e32 vcc, s57, v8
	s_and_saveexec_b64 s[50:51], vcc
	s_cbranch_execnz .LBB327_86
.LBB327_102:
	s_or_b64 exec, exec, s[50:51]
	v_cmp_gt_i32_e32 vcc, s57, v8
	s_and_saveexec_b64 s[50:51], vcc
	s_cbranch_execnz .LBB327_113
.LBB327_103:
	s_or_b64 exec, exec, s[50:51]
                                        ; implicit-def: $vgpr16
                                        ; implicit-def: $vgpr8
	s_andn2_saveexec_b64 s[0:1], s[38:39]
	s_cbranch_execnz .LBB327_9
.LBB327_104:
	s_endpgm
.LBB327_105:
	v_mov_b32_e32 v0, 0
	s_mov_b32 s59, 0
	v_mov_b32_e32 v1, v0
                                        ; implicit-def: $vgpr2
	v_mov_b32_e32 v4, v8
.LBB327_106:
	s_and_b32 s4, s60, 3
	s_cmp_eq_u32 s4, 0
	s_cbranch_scc1 .LBB327_109
; %bb.107:
	s_lshl_b32 s0, s59, 3
	s_add_u32 s0, s34, s0
	s_addc_u32 s1, s35, 0
	s_add_u32 s0, s0, 0xc4
	s_addc_u32 s1, s1, 0
	s_mul_i32 s2, s59, 12
	s_add_u32 s2, s34, s2
	s_addc_u32 s3, s35, 0
.LBB327_108:                            ; =>This Inner Loop Header: Depth=1
	s_load_dwordx2 s[6:7], s[2:3], 0x4
	s_load_dword s5, s[2:3], 0xc
	s_load_dwordx2 s[8:9], s[0:1], 0x0
	v_mov_b32_e32 v2, v1
	s_add_u32 s2, s2, 12
	s_waitcnt lgkmcnt(0)
	v_mul_hi_u32 v1, s7, v4
	v_add_u32_e32 v1, v4, v1
	v_lshrrev_b32_e32 v1, s5, v1
	s_addc_u32 s3, s3, 0
	v_mul_lo_u32 v3, v1, s6
	s_add_u32 s0, s0, 8
	v_sub_u32_e32 v5, v4, v3
	s_addc_u32 s1, s1, 0
	s_add_i32 s4, s4, -1
	v_mov_b32_e32 v4, v1
	v_mad_u64_u32 v[2:3], s[6:7], v5, s9, v[2:3]
	v_mad_u64_u32 v[0:1], s[6:7], v5, s8, v[0:1]
	s_cmp_lg_u32 s4, 0
	v_mov_b32_e32 v1, v2
	s_cbranch_scc1 .LBB327_108
.LBB327_109:
	s_cbranch_execnz .LBB327_112
.LBB327_110:
	s_waitcnt lgkmcnt(0)
	v_mul_hi_u32 v0, s25, v8
	v_add_u32_e32 v0, v8, v0
	v_lshrrev_b32_e32 v1, s26, v0
	v_mul_lo_u32 v0, v1, s24
	v_sub_u32_e32 v0, v8, v0
	v_mul_lo_u32 v2, v0, s21
	s_andn2_b64 vcc, exec, s[44:45]
	v_mul_lo_u32 v0, v0, s20
	s_cbranch_vccnz .LBB327_112
; %bb.111:
	v_mul_hi_u32 v3, s42, v1
	v_add_u32_e32 v3, v1, v3
	v_lshrrev_b32_e32 v3, s43, v3
	v_mul_lo_u32 v3, v3, s27
	v_sub_u32_e32 v3, v1, v3
	v_mad_u64_u32 v[0:1], s[0:1], v3, s22, v[0:1]
	v_mad_u64_u32 v[2:3], s[0:1], v3, s23, v[2:3]
.LBB327_112:
	s_waitcnt lgkmcnt(0)
	global_load_dword v1, v2, s[18:19]
	v_max_f32_e64 v2, s40, s40
	v_max_f32_e64 v3, s41, s41
	v_add_u32_e32 v8, 0x80, v8
	s_waitcnt vmcnt(0)
	v_max_f32_e32 v4, v1, v1
	v_max_f32_e32 v2, v4, v2
	v_min_f32_e32 v2, v2, v3
	v_cmp_u_f32_e32 vcc, v1, v1
	s_nop 1
	v_cndmask_b32_e32 v1, v2, v1, vcc
	global_store_dword v0, v1, s[16:17]
	s_or_b64 exec, exec, s[50:51]
	v_cmp_gt_i32_e32 vcc, s57, v8
	s_and_saveexec_b64 s[50:51], vcc
	s_cbranch_execz .LBB327_103
.LBB327_113:
	s_andn2_b64 vcc, exec, s[36:37]
	s_cbranch_vccnz .LBB327_119
; %bb.114:
	s_andn2_b64 vcc, exec, s[48:49]
	s_cbranch_vccnz .LBB327_120
; %bb.115:
	s_add_i32 s58, s58, 1
	s_cmp_eq_u32 s56, 2
	s_cbranch_scc1 .LBB327_121
; %bb.116:
	s_and_b32 s52, s58, 28
	s_mov_b32 s53, 0
	v_mov_b32_e32 v0, 0
	v_mov_b32_e32 v2, 0
	s_mov_b64 s[48:49], s[34:35]
	v_mov_b32_e32 v4, v8
.LBB327_117:                            ; =>This Inner Loop Header: Depth=1
	s_load_dwordx8 s[8:15], s[48:49], 0x4
	s_load_dwordx4 s[28:31], s[48:49], 0x24
	s_load_dwordx8 s[0:7], s[46:47], 0x0
	s_add_u32 s48, s48, 48
	s_addc_u32 s49, s49, 0
	s_waitcnt lgkmcnt(0)
	v_mul_hi_u32 v1, s9, v4
	v_add_u32_e32 v1, v4, v1
	v_lshrrev_b32_e32 v1, s10, v1
	v_mul_lo_u32 v3, v1, s8
	v_mul_hi_u32 v5, s12, v1
	v_sub_u32_e32 v3, v4, v3
	v_add_u32_e32 v4, v1, v5
	v_lshrrev_b32_e32 v4, s13, v4
	v_mul_lo_u32 v6, v4, s11
	v_mul_hi_u32 v7, s15, v4
	v_sub_u32_e32 v1, v1, v6
	v_add_u32_e32 v6, v4, v7
	v_mul_lo_u32 v5, v3, s1
	v_mul_lo_u32 v3, v3, s0
	;; [unrolled: 1-line block ×4, first 2 shown]
	v_lshrrev_b32_e32 v6, s28, v6
	v_add3_u32 v0, v3, v0, v1
	v_mul_hi_u32 v3, s30, v6
	v_add3_u32 v1, v5, v2, v7
	v_mul_lo_u32 v2, v6, s14
	v_add_u32_e32 v3, v6, v3
	v_sub_u32_e32 v2, v4, v2
	v_lshrrev_b32_e32 v4, s31, v3
	s_add_i32 s53, s53, 4
	v_mul_lo_u32 v3, v4, s29
	s_add_u32 s46, s46, 32
	v_sub_u32_e32 v3, v6, v3
	s_addc_u32 s47, s47, 0
	v_mul_lo_u32 v5, v2, s4
	v_mul_lo_u32 v2, v2, s5
	;; [unrolled: 1-line block ×4, first 2 shown]
	s_cmp_eq_u32 s52, s53
	v_add3_u32 v2, v2, v1, v3
	v_add3_u32 v0, v5, v0, v6
	s_cbranch_scc0 .LBB327_117
; %bb.118:
	v_mov_b32_e32 v1, v2
	s_branch .LBB327_122
.LBB327_119:
                                        ; implicit-def: $vgpr2
                                        ; implicit-def: $vgpr0
	s_branch .LBB327_126
.LBB327_120:
	v_mov_b32_e32 v2, 0
	v_mov_b32_e32 v0, 0
	s_branch .LBB327_125
.LBB327_121:
	v_mov_b32_e32 v0, 0
	s_mov_b32 s52, 0
	v_mov_b32_e32 v1, v0
                                        ; implicit-def: $vgpr2
	v_mov_b32_e32 v4, v8
.LBB327_122:
	s_and_b32 s4, s58, 3
	s_cmp_eq_u32 s4, 0
	s_cbranch_scc1 .LBB327_125
; %bb.123:
	s_lshl_b32 s0, s52, 3
	s_add_u32 s0, s34, s0
	s_addc_u32 s1, s35, 0
	s_add_u32 s0, s0, 0xc4
	s_addc_u32 s1, s1, 0
	s_mul_i32 s2, s52, 12
	s_add_u32 s2, s34, s2
	s_addc_u32 s3, s35, 0
.LBB327_124:                            ; =>This Inner Loop Header: Depth=1
	s_load_dwordx2 s[6:7], s[2:3], 0x4
	s_load_dword s5, s[2:3], 0xc
	s_load_dwordx2 s[8:9], s[0:1], 0x0
	v_mov_b32_e32 v2, v1
	s_add_u32 s2, s2, 12
	s_waitcnt lgkmcnt(0)
	v_mul_hi_u32 v1, s7, v4
	v_add_u32_e32 v1, v4, v1
	v_lshrrev_b32_e32 v1, s5, v1
	s_addc_u32 s3, s3, 0
	v_mul_lo_u32 v3, v1, s6
	s_add_u32 s0, s0, 8
	v_sub_u32_e32 v5, v4, v3
	s_addc_u32 s1, s1, 0
	s_add_i32 s4, s4, -1
	v_mov_b32_e32 v4, v1
	v_mad_u64_u32 v[2:3], s[6:7], v5, s9, v[2:3]
	v_mad_u64_u32 v[0:1], s[6:7], v5, s8, v[0:1]
	s_cmp_lg_u32 s4, 0
	v_mov_b32_e32 v1, v2
	s_cbranch_scc1 .LBB327_124
.LBB327_125:
	s_cbranch_execnz .LBB327_128
.LBB327_126:
	s_waitcnt lgkmcnt(0)
	v_mul_hi_u32 v0, s25, v8
	v_add_u32_e32 v0, v8, v0
	v_lshrrev_b32_e32 v1, s26, v0
	v_mul_lo_u32 v0, v1, s24
	v_sub_u32_e32 v0, v8, v0
	v_mul_lo_u32 v2, v0, s21
	s_andn2_b64 vcc, exec, s[44:45]
	v_mul_lo_u32 v0, v0, s20
	s_cbranch_vccnz .LBB327_128
; %bb.127:
	v_mul_hi_u32 v3, s42, v1
	v_add_u32_e32 v3, v1, v3
	v_lshrrev_b32_e32 v3, s43, v3
	v_mul_lo_u32 v3, v3, s27
	v_sub_u32_e32 v3, v1, v3
	v_mad_u64_u32 v[0:1], s[0:1], v3, s22, v[0:1]
	v_mad_u64_u32 v[2:3], s[0:1], v3, s23, v[2:3]
.LBB327_128:
	s_waitcnt lgkmcnt(0)
	global_load_dword v1, v2, s[18:19]
	v_max_f32_e64 v2, s40, s40
	v_max_f32_e64 v3, s41, s41
	s_waitcnt vmcnt(0)
	v_max_f32_e32 v4, v1, v1
	v_max_f32_e32 v2, v4, v2
	v_min_f32_e32 v2, v2, v3
	v_cmp_u_f32_e32 vcc, v1, v1
	s_nop 1
	v_cndmask_b32_e32 v1, v2, v1, vcc
	global_store_dword v0, v1, s[16:17]
	s_or_b64 exec, exec, s[50:51]
                                        ; implicit-def: $vgpr16
                                        ; implicit-def: $vgpr8
	s_andn2_saveexec_b64 s[0:1], s[38:39]
	s_cbranch_execz .LBB327_104
	s_branch .LBB327_9
	.section	.rodata,"a",@progbits
	.p2align	6, 0x0
	.amdhsa_kernel _ZN2at6native32elementwise_kernel_manual_unrollILi128ELi4EZNS0_22gpu_kernel_impl_nocastIZZZNS0_17clamp_kernel_cudaERNS_18TensorIteratorBaseERKN3c106ScalarES8_ENKUlvE_clEvENKUlvE5_clEvEUlfE_EEvS4_RKT_EUlibE_EEviT1_
		.amdhsa_group_segment_fixed_size 0
		.amdhsa_private_segment_fixed_size 0
		.amdhsa_kernarg_size 360
		.amdhsa_user_sgpr_count 2
		.amdhsa_user_sgpr_dispatch_ptr 0
		.amdhsa_user_sgpr_queue_ptr 0
		.amdhsa_user_sgpr_kernarg_segment_ptr 1
		.amdhsa_user_sgpr_dispatch_id 0
		.amdhsa_user_sgpr_kernarg_preload_length 0
		.amdhsa_user_sgpr_kernarg_preload_offset 0
		.amdhsa_user_sgpr_private_segment_size 0
		.amdhsa_uses_dynamic_stack 0
		.amdhsa_enable_private_segment 0
		.amdhsa_system_sgpr_workgroup_id_x 1
		.amdhsa_system_sgpr_workgroup_id_y 0
		.amdhsa_system_sgpr_workgroup_id_z 0
		.amdhsa_system_sgpr_workgroup_info 0
		.amdhsa_system_vgpr_workitem_id 0
		.amdhsa_next_free_vgpr 17
		.amdhsa_next_free_sgpr 62
		.amdhsa_accum_offset 20
		.amdhsa_reserve_vcc 1
		.amdhsa_float_round_mode_32 0
		.amdhsa_float_round_mode_16_64 0
		.amdhsa_float_denorm_mode_32 3
		.amdhsa_float_denorm_mode_16_64 3
		.amdhsa_dx10_clamp 1
		.amdhsa_ieee_mode 1
		.amdhsa_fp16_overflow 0
		.amdhsa_tg_split 0
		.amdhsa_exception_fp_ieee_invalid_op 0
		.amdhsa_exception_fp_denorm_src 0
		.amdhsa_exception_fp_ieee_div_zero 0
		.amdhsa_exception_fp_ieee_overflow 0
		.amdhsa_exception_fp_ieee_underflow 0
		.amdhsa_exception_fp_ieee_inexact 0
		.amdhsa_exception_int_div_zero 0
	.end_amdhsa_kernel
	.section	.text._ZN2at6native32elementwise_kernel_manual_unrollILi128ELi4EZNS0_22gpu_kernel_impl_nocastIZZZNS0_17clamp_kernel_cudaERNS_18TensorIteratorBaseERKN3c106ScalarES8_ENKUlvE_clEvENKUlvE5_clEvEUlfE_EEvS4_RKT_EUlibE_EEviT1_,"axG",@progbits,_ZN2at6native32elementwise_kernel_manual_unrollILi128ELi4EZNS0_22gpu_kernel_impl_nocastIZZZNS0_17clamp_kernel_cudaERNS_18TensorIteratorBaseERKN3c106ScalarES8_ENKUlvE_clEvENKUlvE5_clEvEUlfE_EEvS4_RKT_EUlibE_EEviT1_,comdat
.Lfunc_end327:
	.size	_ZN2at6native32elementwise_kernel_manual_unrollILi128ELi4EZNS0_22gpu_kernel_impl_nocastIZZZNS0_17clamp_kernel_cudaERNS_18TensorIteratorBaseERKN3c106ScalarES8_ENKUlvE_clEvENKUlvE5_clEvEUlfE_EEvS4_RKT_EUlibE_EEviT1_, .Lfunc_end327-_ZN2at6native32elementwise_kernel_manual_unrollILi128ELi4EZNS0_22gpu_kernel_impl_nocastIZZZNS0_17clamp_kernel_cudaERNS_18TensorIteratorBaseERKN3c106ScalarES8_ENKUlvE_clEvENKUlvE5_clEvEUlfE_EEvS4_RKT_EUlibE_EEviT1_
                                        ; -- End function
	.set _ZN2at6native32elementwise_kernel_manual_unrollILi128ELi4EZNS0_22gpu_kernel_impl_nocastIZZZNS0_17clamp_kernel_cudaERNS_18TensorIteratorBaseERKN3c106ScalarES8_ENKUlvE_clEvENKUlvE5_clEvEUlfE_EEvS4_RKT_EUlibE_EEviT1_.num_vgpr, 17
	.set _ZN2at6native32elementwise_kernel_manual_unrollILi128ELi4EZNS0_22gpu_kernel_impl_nocastIZZZNS0_17clamp_kernel_cudaERNS_18TensorIteratorBaseERKN3c106ScalarES8_ENKUlvE_clEvENKUlvE5_clEvEUlfE_EEvS4_RKT_EUlibE_EEviT1_.num_agpr, 0
	.set _ZN2at6native32elementwise_kernel_manual_unrollILi128ELi4EZNS0_22gpu_kernel_impl_nocastIZZZNS0_17clamp_kernel_cudaERNS_18TensorIteratorBaseERKN3c106ScalarES8_ENKUlvE_clEvENKUlvE5_clEvEUlfE_EEvS4_RKT_EUlibE_EEviT1_.numbered_sgpr, 62
	.set _ZN2at6native32elementwise_kernel_manual_unrollILi128ELi4EZNS0_22gpu_kernel_impl_nocastIZZZNS0_17clamp_kernel_cudaERNS_18TensorIteratorBaseERKN3c106ScalarES8_ENKUlvE_clEvENKUlvE5_clEvEUlfE_EEvS4_RKT_EUlibE_EEviT1_.num_named_barrier, 0
	.set _ZN2at6native32elementwise_kernel_manual_unrollILi128ELi4EZNS0_22gpu_kernel_impl_nocastIZZZNS0_17clamp_kernel_cudaERNS_18TensorIteratorBaseERKN3c106ScalarES8_ENKUlvE_clEvENKUlvE5_clEvEUlfE_EEvS4_RKT_EUlibE_EEviT1_.private_seg_size, 0
	.set _ZN2at6native32elementwise_kernel_manual_unrollILi128ELi4EZNS0_22gpu_kernel_impl_nocastIZZZNS0_17clamp_kernel_cudaERNS_18TensorIteratorBaseERKN3c106ScalarES8_ENKUlvE_clEvENKUlvE5_clEvEUlfE_EEvS4_RKT_EUlibE_EEviT1_.uses_vcc, 1
	.set _ZN2at6native32elementwise_kernel_manual_unrollILi128ELi4EZNS0_22gpu_kernel_impl_nocastIZZZNS0_17clamp_kernel_cudaERNS_18TensorIteratorBaseERKN3c106ScalarES8_ENKUlvE_clEvENKUlvE5_clEvEUlfE_EEvS4_RKT_EUlibE_EEviT1_.uses_flat_scratch, 0
	.set _ZN2at6native32elementwise_kernel_manual_unrollILi128ELi4EZNS0_22gpu_kernel_impl_nocastIZZZNS0_17clamp_kernel_cudaERNS_18TensorIteratorBaseERKN3c106ScalarES8_ENKUlvE_clEvENKUlvE5_clEvEUlfE_EEvS4_RKT_EUlibE_EEviT1_.has_dyn_sized_stack, 0
	.set _ZN2at6native32elementwise_kernel_manual_unrollILi128ELi4EZNS0_22gpu_kernel_impl_nocastIZZZNS0_17clamp_kernel_cudaERNS_18TensorIteratorBaseERKN3c106ScalarES8_ENKUlvE_clEvENKUlvE5_clEvEUlfE_EEvS4_RKT_EUlibE_EEviT1_.has_recursion, 0
	.set _ZN2at6native32elementwise_kernel_manual_unrollILi128ELi4EZNS0_22gpu_kernel_impl_nocastIZZZNS0_17clamp_kernel_cudaERNS_18TensorIteratorBaseERKN3c106ScalarES8_ENKUlvE_clEvENKUlvE5_clEvEUlfE_EEvS4_RKT_EUlibE_EEviT1_.has_indirect_call, 0
	.section	.AMDGPU.csdata,"",@progbits
; Kernel info:
; codeLenInByte = 6056
; TotalNumSgprs: 68
; NumVgprs: 17
; NumAgprs: 0
; TotalNumVgprs: 17
; ScratchSize: 0
; MemoryBound: 0
; FloatMode: 240
; IeeeMode: 1
; LDSByteSize: 0 bytes/workgroup (compile time only)
; SGPRBlocks: 8
; VGPRBlocks: 2
; NumSGPRsForWavesPerEU: 68
; NumVGPRsForWavesPerEU: 17
; AccumOffset: 20
; Occupancy: 8
; WaveLimiterHint : 1
; COMPUTE_PGM_RSRC2:SCRATCH_EN: 0
; COMPUTE_PGM_RSRC2:USER_SGPR: 2
; COMPUTE_PGM_RSRC2:TRAP_HANDLER: 0
; COMPUTE_PGM_RSRC2:TGID_X_EN: 1
; COMPUTE_PGM_RSRC2:TGID_Y_EN: 0
; COMPUTE_PGM_RSRC2:TGID_Z_EN: 0
; COMPUTE_PGM_RSRC2:TIDIG_COMP_CNT: 0
; COMPUTE_PGM_RSRC3_GFX90A:ACCUM_OFFSET: 4
; COMPUTE_PGM_RSRC3_GFX90A:TG_SPLIT: 0
	.section	.text._ZN2at6native32elementwise_kernel_manual_unrollILi128ELi4EZNS0_15gpu_kernel_implIZZZNS0_17clamp_kernel_cudaERNS_18TensorIteratorBaseERKN3c106ScalarES8_ENKUlvE_clEvENKUlvE5_clEvEUlfE_EEvS4_RKT_EUlibE_EEviT1_,"axG",@progbits,_ZN2at6native32elementwise_kernel_manual_unrollILi128ELi4EZNS0_15gpu_kernel_implIZZZNS0_17clamp_kernel_cudaERNS_18TensorIteratorBaseERKN3c106ScalarES8_ENKUlvE_clEvENKUlvE5_clEvEUlfE_EEvS4_RKT_EUlibE_EEviT1_,comdat
	.globl	_ZN2at6native32elementwise_kernel_manual_unrollILi128ELi4EZNS0_15gpu_kernel_implIZZZNS0_17clamp_kernel_cudaERNS_18TensorIteratorBaseERKN3c106ScalarES8_ENKUlvE_clEvENKUlvE5_clEvEUlfE_EEvS4_RKT_EUlibE_EEviT1_ ; -- Begin function _ZN2at6native32elementwise_kernel_manual_unrollILi128ELi4EZNS0_15gpu_kernel_implIZZZNS0_17clamp_kernel_cudaERNS_18TensorIteratorBaseERKN3c106ScalarES8_ENKUlvE_clEvENKUlvE5_clEvEUlfE_EEvS4_RKT_EUlibE_EEviT1_
	.p2align	8
	.type	_ZN2at6native32elementwise_kernel_manual_unrollILi128ELi4EZNS0_15gpu_kernel_implIZZZNS0_17clamp_kernel_cudaERNS_18TensorIteratorBaseERKN3c106ScalarES8_ENKUlvE_clEvENKUlvE5_clEvEUlfE_EEvS4_RKT_EUlibE_EEviT1_,@function
_ZN2at6native32elementwise_kernel_manual_unrollILi128ELi4EZNS0_15gpu_kernel_implIZZZNS0_17clamp_kernel_cudaERNS_18TensorIteratorBaseERKN3c106ScalarES8_ENKUlvE_clEvENKUlvE5_clEvEUlfE_EEvS4_RKT_EUlibE_EEviT1_: ; @_ZN2at6native32elementwise_kernel_manual_unrollILi128ELi4EZNS0_15gpu_kernel_implIZZZNS0_17clamp_kernel_cudaERNS_18TensorIteratorBaseERKN3c106ScalarES8_ENKUlvE_clEvENKUlvE5_clEvEUlfE_EEvS4_RKT_EUlibE_EEviT1_
; %bb.0:
	s_load_dword s33, s[0:1], 0x28
	s_load_dword s40, s[0:1], 0x0
	s_load_dwordx8 s[4:11], s[0:1], 0x8
	v_lshl_or_b32 v5, s2, 9, v0
	v_or_b32_e32 v0, 0x180, v5
	s_waitcnt lgkmcnt(0)
	s_bfe_u32 s44, s33, 0x80008
	v_cmp_le_i32_e32 vcc, s40, v0
	s_mov_b64 s[2:3], 0
	s_mov_b64 s[14:15], 0
	s_and_saveexec_b64 s[0:1], vcc
	s_xor_b64 s[12:13], exec, s[0:1]
	s_cbranch_execz .LBB328_1027
; %bb.1:
	v_cmp_gt_i32_e32 vcc, s40, v5
	s_mov_b64 s[20:21], -1
	s_mov_b64 s[22:23], 0
	s_mov_b64 s[16:17], 0
	s_and_saveexec_b64 s[18:19], vcc
	s_cbranch_execz .LBB328_252
; %bb.2:
	v_mul_lo_u32 v0, v5, s9
	v_ashrrev_i32_e32 v1, 31, v0
	s_and_b32 s24, 0xffff, s44
	s_cmp_lt_i32 s24, 11
	v_lshl_add_u64 v[0:1], s[6:7], 0, v[0:1]
	s_cbranch_scc1 .LBB328_9
; %bb.3:
	s_cmp_gt_i32 s24, 25
	s_cbranch_scc0 .LBB328_18
; %bb.4:
	s_cmp_gt_i32 s24, 28
	s_cbranch_scc0 .LBB328_22
	;; [unrolled: 3-line block ×4, first 2 shown]
; %bb.7:
	s_cmp_eq_u32 s24, 46
	s_cbranch_scc0 .LBB328_28
; %bb.8:
	global_load_dword v2, v[0:1], off
	s_mov_b64 s[0:1], -1
	s_waitcnt vmcnt(0)
	v_lshlrev_b32_e32 v2, 16, v2
	s_branch .LBB328_30
.LBB328_9:
                                        ; implicit-def: $vgpr2
	s_mov_b64 s[0:1], 0
	s_cbranch_execnz .LBB328_203
.LBB328_10:
	s_andn2_b64 vcc, exec, s[0:1]
	s_cbranch_vccnz .LBB328_250
.LBB328_11:
	v_max_f32_e64 v0, s10, s10
	s_waitcnt vmcnt(0)
	v_max_f32_e32 v1, v2, v2
	v_max_f32_e32 v0, v1, v0
	v_max_f32_e64 v1, s11, s11
	v_min_f32_e32 v0, v0, v1
	v_cmp_u_f32_e32 vcc, v2, v2
	s_and_b32 s26, s33, 0xff
	s_cmp_lt_i32 s26, 11
	v_cndmask_b32_e32 v2, v0, v2, vcc
	v_mul_lo_u32 v0, v5, s8
	v_ashrrev_i32_e32 v1, 31, v0
	v_lshl_add_u64 v[0:1], s[4:5], 0, v[0:1]
	s_cbranch_scc1 .LBB328_19
; %bb.12:
	s_and_b32 s27, 0xffff, s26
	s_cmp_gt_i32 s27, 25
	s_cbranch_scc0 .LBB328_23
; %bb.13:
	s_cmp_gt_i32 s27, 28
	s_cbranch_scc0 .LBB328_25
; %bb.14:
	;; [unrolled: 3-line block ×4, first 2 shown]
	s_mov_b64 s[20:21], 0
	s_mov_b64 s[0:1], -1
	s_cmp_eq_u32 s27, 46
	s_mov_b64 s[14:15], 0
	s_cbranch_scc0 .LBB328_34
; %bb.17:
	v_bfe_u32 v3, v2, 16, 1
	s_movk_i32 s0, 0x7fff
	v_add3_u32 v3, v2, v3, s0
	v_cmp_o_f32_e32 vcc, v2, v2
	v_mov_b32_e32 v4, 0x7fc0
	s_mov_b64 s[14:15], -1
	v_cndmask_b32_sdwa v3, v4, v3, vcc dst_sel:DWORD dst_unused:UNUSED_PAD src0_sel:DWORD src1_sel:WORD_1
	global_store_dword v[0:1], v3, off
	s_mov_b64 s[0:1], 0
	s_branch .LBB328_34
.LBB328_18:
	s_mov_b64 s[0:1], 0
                                        ; implicit-def: $vgpr2
	s_cbranch_execnz .LBB328_168
	s_branch .LBB328_202
.LBB328_19:
	s_mov_b64 s[0:1], 0
	s_mov_b64 s[14:15], 0
	s_cbranch_execnz .LBB328_103
.LBB328_20:
	s_andn2_b64 vcc, exec, s[14:15]
	s_cbranch_vccnz .LBB328_141
.LBB328_21:
	v_add_u32_e32 v5, 0x80, v5
	s_mov_b64 s[20:21], -1
	s_branch .LBB328_251
.LBB328_22:
	s_mov_b64 s[14:15], -1
	s_mov_b64 s[0:1], 0
                                        ; implicit-def: $vgpr2
	s_branch .LBB328_149
.LBB328_23:
	s_mov_b64 s[20:21], -1
	s_mov_b64 s[0:1], 0
	s_mov_b64 s[14:15], 0
	s_branch .LBB328_61
.LBB328_24:
	s_mov_b64 s[14:15], -1
	s_mov_b64 s[0:1], 0
                                        ; implicit-def: $vgpr2
	s_branch .LBB328_144
.LBB328_25:
	s_mov_b64 s[20:21], -1
	s_mov_b64 s[0:1], 0
	s_mov_b64 s[14:15], 0
	s_branch .LBB328_44
.LBB328_26:
	s_mov_b64 s[14:15], -1
	s_branch .LBB328_29
.LBB328_27:
	s_mov_b64 s[20:21], -1
	s_mov_b64 s[0:1], 0
	s_mov_b64 s[14:15], 0
	s_branch .LBB328_40
.LBB328_28:
	s_mov_b64 s[16:17], -1
.LBB328_29:
	s_mov_b64 s[0:1], 0
                                        ; implicit-def: $vgpr2
.LBB328_30:
	s_and_b64 vcc, exec, s[14:15]
	s_cbranch_vccz .LBB328_143
; %bb.31:
	s_cmp_eq_u32 s24, 44
	s_cbranch_scc0 .LBB328_142
; %bb.32:
	global_load_ubyte v2, v[0:1], off
	s_movk_i32 s14, 0xff
	v_mov_b32_e32 v3, 0x7f800001
	v_mov_b32_e32 v4, 0x400000
	s_mov_b64 s[0:1], -1
	s_mov_b64 s[16:17], 0
	s_waitcnt vmcnt(0)
	v_lshlrev_b32_e32 v6, 23, v2
	v_cmp_ne_u32_e32 vcc, s14, v2
	s_nop 1
	v_cndmask_b32_e32 v3, v3, v6, vcc
	v_cmp_ne_u32_e32 vcc, 0, v2
	s_nop 1
	v_cndmask_b32_e32 v2, v4, v3, vcc
	s_branch .LBB328_143
.LBB328_33:
	s_mov_b64 s[20:21], -1
	s_mov_b64 s[0:1], 0
	s_mov_b64 s[14:15], 0
.LBB328_34:
	s_and_b64 vcc, exec, s[20:21]
	s_cbranch_vccz .LBB328_39
; %bb.35:
	s_cmp_eq_u32 s27, 44
	s_mov_b64 s[0:1], -1
	s_cbranch_scc0 .LBB328_39
; %bb.36:
	v_bfe_u32 v3, v2, 23, 8
	s_movk_i32 s0, 0xff
	v_cmp_ne_u32_e32 vcc, s0, v3
	v_mov_b32_e32 v4, 0xff
	s_and_saveexec_b64 s[14:15], vcc
; %bb.37:
	s_mov_b32 s0, 0x3fffff
	v_and_b32_e32 v6, 0x400000, v2
	v_and_or_b32 v3, v2, s0, v3
	v_cmp_ne_u32_e32 vcc, 0, v6
	v_cmp_ne_u32_e64 s[0:1], 0, v3
	s_and_b64 s[0:1], vcc, s[0:1]
	v_lshrrev_b32_e32 v4, 23, v2
	v_cndmask_b32_e64 v3, 0, 1, s[0:1]
	v_add_u32_e32 v4, v4, v3
; %bb.38:
	s_or_b64 exec, exec, s[14:15]
	s_mov_b64 s[14:15], -1
	s_mov_b64 s[0:1], 0
	global_store_byte v[0:1], v4, off
.LBB328_39:
	s_mov_b64 s[20:21], 0
.LBB328_40:
	s_and_b64 vcc, exec, s[20:21]
	s_cbranch_vccz .LBB328_43
; %bb.41:
	s_cmp_eq_u32 s27, 29
	s_mov_b64 s[0:1], -1
	s_cbranch_scc0 .LBB328_43
; %bb.42:
	v_trunc_f32_e32 v3, v2
	v_mul_f32_e32 v4, 0x2f800000, v3
	v_floor_f32_e32 v4, v4
	v_fmamk_f32 v3, v4, 0xcf800000, v3
	v_cvt_u32_f32_e32 v7, v4
	v_cvt_u32_f32_e32 v6, v3
	s_mov_b64 s[14:15], -1
	s_mov_b64 s[0:1], 0
	s_mov_b64 s[20:21], 0
	global_store_dwordx2 v[0:1], v[6:7], off
	s_branch .LBB328_44
.LBB328_43:
	s_mov_b64 s[20:21], 0
.LBB328_44:
	s_and_b64 vcc, exec, s[20:21]
	s_cbranch_vccz .LBB328_60
; %bb.45:
	s_cmp_lt_i32 s27, 27
	s_mov_b64 s[14:15], -1
	s_cbranch_scc1 .LBB328_51
; %bb.46:
	v_cvt_u32_f32_e32 v3, v2
	s_cmp_gt_i32 s27, 27
	s_cbranch_scc0 .LBB328_48
; %bb.47:
	s_mov_b64 s[14:15], 0
	global_store_dword v[0:1], v3, off
.LBB328_48:
	s_andn2_b64 vcc, exec, s[14:15]
	s_cbranch_vccnz .LBB328_50
; %bb.49:
	global_store_short v[0:1], v3, off
.LBB328_50:
	s_mov_b64 s[14:15], 0
.LBB328_51:
	s_andn2_b64 vcc, exec, s[14:15]
	s_cbranch_vccnz .LBB328_59
; %bb.52:
	v_and_b32_e32 v3, 0x7fffffff, v2
	s_mov_b32 s14, 0x43800000
	v_cmp_gt_u32_e32 vcc, s14, v3
	v_mov_b32_e32 v4, 0x80
	s_and_saveexec_b64 s[14:15], vcc
	s_cbranch_execz .LBB328_58
; %bb.53:
	s_mov_b32 s20, 0x3bffffff
	v_cmp_lt_u32_e32 vcc, s20, v3
	s_mov_b64 s[20:21], 0
                                        ; implicit-def: $vgpr3
	s_and_saveexec_b64 s[24:25], vcc
	s_xor_b64 s[24:25], exec, s[24:25]
	s_cbranch_execz .LBB328_279
; %bb.54:
	v_bfe_u32 v3, v2, 20, 1
	s_mov_b32 s28, 0x487ffff
	v_add3_u32 v3, v2, v3, s28
	s_mov_b64 s[20:21], exec
	v_lshrrev_b32_e32 v3, 20, v3
	s_andn2_saveexec_b64 s[24:25], s[24:25]
	s_cbranch_execnz .LBB328_280
.LBB328_55:
	s_or_b64 exec, exec, s[24:25]
	v_mov_b32_e32 v4, 0
	s_and_saveexec_b64 s[24:25], s[20:21]
.LBB328_56:
	v_lshrrev_b32_e32 v4, 24, v2
	s_movk_i32 s20, 0x80
	v_and_or_b32 v4, v4, s20, v3
.LBB328_57:
	s_or_b64 exec, exec, s[24:25]
.LBB328_58:
	s_or_b64 exec, exec, s[14:15]
	global_store_byte v[0:1], v4, off
.LBB328_59:
	s_mov_b64 s[14:15], -1
.LBB328_60:
	s_mov_b64 s[20:21], 0
.LBB328_61:
	s_and_b64 vcc, exec, s[20:21]
	s_cbranch_vccz .LBB328_102
; %bb.62:
	s_cmp_gt_i32 s27, 22
	s_mov_b64 s[20:21], -1
	s_cbranch_scc0 .LBB328_94
; %bb.63:
	s_cmp_lt_i32 s27, 24
	s_mov_b64 s[14:15], -1
	s_cbranch_scc1 .LBB328_83
; %bb.64:
	s_cmp_gt_i32 s27, 24
	s_cbranch_scc0 .LBB328_72
; %bb.65:
	v_and_b32_e32 v3, 0x7fffffff, v2
	s_mov_b32 s14, 0x47800000
	v_cmp_gt_u32_e32 vcc, s14, v3
	v_mov_b32_e32 v4, 0x80
	s_and_saveexec_b64 s[14:15], vcc
	s_cbranch_execz .LBB328_71
; %bb.66:
	s_mov_b32 s20, 0x37ffffff
	v_cmp_lt_u32_e32 vcc, s20, v3
	s_mov_b64 s[20:21], 0
                                        ; implicit-def: $vgpr3
	s_and_saveexec_b64 s[24:25], vcc
	s_xor_b64 s[24:25], exec, s[24:25]
	s_cbranch_execz .LBB328_283
; %bb.67:
	v_bfe_u32 v3, v2, 21, 1
	s_mov_b32 s28, 0x88fffff
	v_add3_u32 v3, v2, v3, s28
	s_mov_b64 s[20:21], exec
	v_lshrrev_b32_e32 v3, 21, v3
	s_andn2_saveexec_b64 s[24:25], s[24:25]
	s_cbranch_execnz .LBB328_284
.LBB328_68:
	s_or_b64 exec, exec, s[24:25]
	v_mov_b32_e32 v4, 0
	s_and_saveexec_b64 s[24:25], s[20:21]
.LBB328_69:
	v_lshrrev_b32_e32 v4, 24, v2
	s_movk_i32 s20, 0x80
	v_and_or_b32 v4, v4, s20, v3
.LBB328_70:
	s_or_b64 exec, exec, s[24:25]
.LBB328_71:
	s_or_b64 exec, exec, s[14:15]
	s_mov_b64 s[14:15], 0
	global_store_byte v[0:1], v4, off
.LBB328_72:
	s_and_b64 vcc, exec, s[14:15]
	s_cbranch_vccz .LBB328_82
; %bb.73:
	v_and_b32_e32 v4, 0x7fffffff, v2
	s_mov_b32 s14, 0x43f00000
	v_cmp_gt_u32_e32 vcc, s14, v4
                                        ; implicit-def: $vgpr3
	s_and_saveexec_b64 s[14:15], vcc
	s_xor_b64 s[14:15], exec, s[14:15]
	s_cbranch_execz .LBB328_79
; %bb.74:
	s_mov_b32 s20, 0x3c7fffff
	v_cmp_lt_u32_e32 vcc, s20, v4
                                        ; implicit-def: $vgpr3
	s_and_saveexec_b64 s[20:21], vcc
	s_xor_b64 s[20:21], exec, s[20:21]
; %bb.75:
	v_bfe_u32 v3, v2, 20, 1
	s_mov_b32 s24, 0x407ffff
	v_add3_u32 v3, v2, v3, s24
	v_lshrrev_b32_e32 v4, 20, v3
	v_and_b32_e32 v3, 0xff00000, v3
	s_mov_b32 s24, 0x7f00000
	v_mov_b32_e32 v6, 0x7e
	v_cmp_ne_u32_e32 vcc, s24, v3
	s_nop 1
	v_cndmask_b32_e32 v3, v6, v4, vcc
; %bb.76:
	s_andn2_saveexec_b64 s[20:21], s[20:21]
; %bb.77:
	s_mov_b32 s24, 0x46800000
	v_add_f32_e64 v3, |v2|, s24
; %bb.78:
	s_or_b64 exec, exec, s[20:21]
                                        ; implicit-def: $vgpr4
.LBB328_79:
	s_andn2_saveexec_b64 s[14:15], s[14:15]
; %bb.80:
	s_mov_b32 s20, 0x7f800000
	v_mov_b32_e32 v3, 0x7e
	v_mov_b32_e32 v6, 0x7f
	v_cmp_lt_u32_e32 vcc, s20, v4
	s_nop 1
	v_cndmask_b32_e32 v3, v3, v6, vcc
; %bb.81:
	s_or_b64 exec, exec, s[14:15]
	v_lshrrev_b32_e32 v4, 24, v2
	s_movk_i32 s14, 0x80
	v_and_or_b32 v3, v4, s14, v3
	global_store_byte v[0:1], v3, off
.LBB328_82:
	s_mov_b64 s[14:15], 0
.LBB328_83:
	s_andn2_b64 vcc, exec, s[14:15]
	s_cbranch_vccnz .LBB328_93
; %bb.84:
	v_and_b32_e32 v4, 0x7fffffff, v2
	s_mov_b32 s14, 0x47800000
	v_cmp_gt_u32_e32 vcc, s14, v4
                                        ; implicit-def: $vgpr3
	s_and_saveexec_b64 s[14:15], vcc
	s_xor_b64 s[14:15], exec, s[14:15]
	s_cbranch_execz .LBB328_90
; %bb.85:
	s_mov_b32 s20, 0x387fffff
	v_cmp_lt_u32_e32 vcc, s20, v4
                                        ; implicit-def: $vgpr3
	s_and_saveexec_b64 s[20:21], vcc
	s_xor_b64 s[20:21], exec, s[20:21]
; %bb.86:
	v_bfe_u32 v3, v2, 21, 1
	s_mov_b32 s24, 0x80fffff
	v_add3_u32 v3, v2, v3, s24
	v_lshrrev_b32_e32 v3, 21, v3
; %bb.87:
	s_andn2_saveexec_b64 s[20:21], s[20:21]
; %bb.88:
	s_mov_b32 s24, 0x43000000
	v_add_f32_e64 v3, |v2|, s24
; %bb.89:
	s_or_b64 exec, exec, s[20:21]
                                        ; implicit-def: $vgpr4
.LBB328_90:
	s_andn2_saveexec_b64 s[14:15], s[14:15]
; %bb.91:
	s_mov_b32 s20, 0x7f800000
	v_mov_b32_e32 v3, 0x7c
	v_mov_b32_e32 v6, 0x7f
	v_cmp_lt_u32_e32 vcc, s20, v4
	s_nop 1
	v_cndmask_b32_e32 v3, v3, v6, vcc
; %bb.92:
	s_or_b64 exec, exec, s[14:15]
	v_lshrrev_b32_e32 v4, 24, v2
	s_movk_i32 s14, 0x80
	v_and_or_b32 v3, v4, s14, v3
	global_store_byte v[0:1], v3, off
.LBB328_93:
	s_mov_b64 s[20:21], 0
	s_mov_b64 s[14:15], -1
.LBB328_94:
	s_andn2_b64 vcc, exec, s[20:21]
	s_cbranch_vccnz .LBB328_102
; %bb.95:
	s_cmp_gt_i32 s27, 14
	s_mov_b64 s[20:21], -1
	s_cbranch_scc0 .LBB328_99
; %bb.96:
	s_cmp_eq_u32 s27, 15
	s_mov_b64 s[0:1], -1
	s_cbranch_scc0 .LBB328_98
; %bb.97:
	v_bfe_u32 v3, v2, 16, 1
	s_movk_i32 s0, 0x7fff
	v_add3_u32 v3, v2, v3, s0
	v_cmp_o_f32_e32 vcc, v2, v2
	v_mov_b32_e32 v4, 0x7fc0
	s_mov_b64 s[14:15], -1
	v_cndmask_b32_sdwa v3, v4, v3, vcc dst_sel:DWORD dst_unused:UNUSED_PAD src0_sel:DWORD src1_sel:WORD_1
	global_store_short v[0:1], v3, off
	s_mov_b64 s[0:1], 0
.LBB328_98:
	s_mov_b64 s[20:21], 0
.LBB328_99:
	s_and_b64 vcc, exec, s[20:21]
	s_cbranch_vccz .LBB328_102
; %bb.100:
	s_cmp_eq_u32 s27, 11
	s_mov_b64 s[0:1], -1
	s_cbranch_scc0 .LBB328_102
; %bb.101:
	v_cmp_neq_f32_e32 vcc, 0, v2
	s_mov_b64 s[14:15], -1
	s_mov_b64 s[0:1], 0
	v_cndmask_b32_e64 v3, 0, 1, vcc
	global_store_byte v[0:1], v3, off
.LBB328_102:
	s_branch .LBB328_20
.LBB328_103:
	s_and_b32 s20, 0xffff, s26
	s_cmp_lt_i32 s20, 5
	s_mov_b64 s[14:15], -1
	s_cbranch_scc1 .LBB328_124
; %bb.104:
	s_cmp_lt_i32 s20, 8
	s_cbranch_scc1 .LBB328_114
; %bb.105:
	s_cmp_lt_i32 s20, 9
	s_cbranch_scc1 .LBB328_111
; %bb.106:
	s_cmp_gt_i32 s20, 9
	s_cbranch_scc0 .LBB328_108
; %bb.107:
	v_mov_b32_e32 v8, 0
	v_cvt_f64_f32_e32 v[6:7], v2
	v_mov_b32_e32 v9, v8
	global_store_dwordx4 v[0:1], v[6:9], off
	s_mov_b64 s[14:15], 0
.LBB328_108:
	s_andn2_b64 vcc, exec, s[14:15]
	s_cbranch_vccnz .LBB328_110
; %bb.109:
	v_mov_b32_e32 v3, 0
	global_store_dwordx2 v[0:1], v[2:3], off
.LBB328_110:
	s_mov_b64 s[14:15], 0
.LBB328_111:
	s_andn2_b64 vcc, exec, s[14:15]
	s_cbranch_vccnz .LBB328_113
; %bb.112:
	v_cvt_f16_f32_e32 v3, v2
	global_store_dword v[0:1], v3, off
.LBB328_113:
	s_mov_b64 s[14:15], 0
.LBB328_114:
	s_andn2_b64 vcc, exec, s[14:15]
	s_cbranch_vccnz .LBB328_123
; %bb.115:
	s_cmp_lt_i32 s20, 6
	s_mov_b64 s[14:15], -1
	s_cbranch_scc1 .LBB328_121
; %bb.116:
	s_cmp_gt_i32 s20, 6
	s_cbranch_scc0 .LBB328_118
; %bb.117:
	v_cvt_f64_f32_e32 v[6:7], v2
	global_store_dwordx2 v[0:1], v[6:7], off
	s_mov_b64 s[14:15], 0
.LBB328_118:
	s_andn2_b64 vcc, exec, s[14:15]
	s_cbranch_vccnz .LBB328_120
; %bb.119:
	global_store_dword v[0:1], v2, off
.LBB328_120:
	s_mov_b64 s[14:15], 0
.LBB328_121:
	s_andn2_b64 vcc, exec, s[14:15]
	s_cbranch_vccnz .LBB328_123
; %bb.122:
	v_cvt_f16_f32_e32 v3, v2
	global_store_short v[0:1], v3, off
.LBB328_123:
	s_mov_b64 s[14:15], 0
.LBB328_124:
	s_andn2_b64 vcc, exec, s[14:15]
	s_cbranch_vccnz .LBB328_140
; %bb.125:
	s_cmp_lt_i32 s20, 2
	s_mov_b64 s[14:15], -1
	s_cbranch_scc1 .LBB328_135
; %bb.126:
	s_cmp_lt_i32 s20, 3
	s_cbranch_scc1 .LBB328_132
; %bb.127:
	s_cmp_gt_i32 s20, 3
	s_cbranch_scc0 .LBB328_129
; %bb.128:
	v_trunc_f32_e32 v3, v2
	s_mov_b32 s14, 0x2f800000
	v_mul_f32_e64 v4, |v3|, s14
	v_floor_f32_e32 v4, v4
	s_mov_b32 s14, 0xcf800000
	v_cvt_u32_f32_e32 v6, v4
	v_fma_f32 v4, v4, s14, |v3|
	v_cvt_u32_f32_e32 v4, v4
	v_ashrrev_i32_e32 v3, 31, v3
	v_xor_b32_e32 v7, v6, v3
	s_mov_b64 s[14:15], 0
	v_xor_b32_e32 v4, v4, v3
	v_sub_co_u32_e32 v6, vcc, v4, v3
	s_nop 1
	v_subb_co_u32_e32 v7, vcc, v7, v3, vcc
	global_store_dwordx2 v[0:1], v[6:7], off
.LBB328_129:
	s_andn2_b64 vcc, exec, s[14:15]
	s_cbranch_vccnz .LBB328_131
; %bb.130:
	v_cvt_i32_f32_e32 v3, v2
	global_store_dword v[0:1], v3, off
.LBB328_131:
	s_mov_b64 s[14:15], 0
.LBB328_132:
	s_andn2_b64 vcc, exec, s[14:15]
	s_cbranch_vccnz .LBB328_134
; %bb.133:
	v_cvt_i32_f32_e32 v3, v2
	global_store_short v[0:1], v3, off
.LBB328_134:
	s_mov_b64 s[14:15], 0
.LBB328_135:
	s_andn2_b64 vcc, exec, s[14:15]
	s_cbranch_vccnz .LBB328_140
; %bb.136:
	s_cmp_gt_i32 s20, 0
	s_mov_b64 s[14:15], -1
	s_cbranch_scc0 .LBB328_138
; %bb.137:
	v_cvt_i32_f32_e32 v3, v2
	s_mov_b64 s[14:15], 0
	global_store_byte v[0:1], v3, off
.LBB328_138:
	s_andn2_b64 vcc, exec, s[14:15]
	s_cbranch_vccnz .LBB328_140
; %bb.139:
	v_trunc_f32_e32 v2, v2
	s_mov_b32 s14, 0x2f800000
	v_mul_f32_e64 v3, |v2|, s14
	v_floor_f32_e32 v3, v3
	s_mov_b32 s14, 0xcf800000
	v_fma_f32 v3, v3, s14, |v2|
	v_cvt_u32_f32_e32 v3, v3
	v_ashrrev_i32_e32 v2, 31, v2
	v_xor_b32_e32 v3, v3, v2
	v_sub_u32_e32 v2, v3, v2
	global_store_byte v[0:1], v2, off
.LBB328_140:
	s_branch .LBB328_21
.LBB328_141:
	s_mov_b64 s[20:21], 0
                                        ; implicit-def: $vgpr5
	s_branch .LBB328_251
.LBB328_142:
	s_mov_b64 s[16:17], -1
                                        ; implicit-def: $vgpr2
.LBB328_143:
	s_mov_b64 s[14:15], 0
.LBB328_144:
	s_and_b64 vcc, exec, s[14:15]
	s_cbranch_vccz .LBB328_148
; %bb.145:
	s_cmp_eq_u32 s24, 29
	s_cbranch_scc0 .LBB328_147
; %bb.146:
	global_load_dwordx2 v[2:3], v[0:1], off
	s_mov_b64 s[0:1], -1
	s_mov_b64 s[16:17], 0
	s_mov_b64 s[14:15], 0
	s_waitcnt vmcnt(0)
	v_ffbh_u32_e32 v4, v3
	v_min_u32_e32 v4, 32, v4
	v_lshlrev_b64 v[2:3], v4, v[2:3]
	v_min_u32_e32 v2, 1, v2
	v_or_b32_e32 v2, v3, v2
	v_cvt_f32_u32_e32 v2, v2
	v_sub_u32_e32 v3, 32, v4
	v_ldexp_f32 v2, v2, v3
	s_branch .LBB328_149
.LBB328_147:
	s_mov_b64 s[16:17], -1
                                        ; implicit-def: $vgpr2
.LBB328_148:
	s_mov_b64 s[14:15], 0
.LBB328_149:
	s_and_b64 vcc, exec, s[14:15]
	s_cbranch_vccz .LBB328_167
; %bb.150:
	s_cmp_lt_i32 s24, 27
	s_cbranch_scc1 .LBB328_153
; %bb.151:
	s_cmp_gt_i32 s24, 27
	s_cbranch_scc0 .LBB328_154
; %bb.152:
	global_load_dword v2, v[0:1], off
	s_mov_b64 s[0:1], 0
	s_waitcnt vmcnt(0)
	v_cvt_f32_u32_e32 v2, v2
	s_branch .LBB328_155
.LBB328_153:
	s_mov_b64 s[0:1], -1
                                        ; implicit-def: $vgpr2
	s_branch .LBB328_158
.LBB328_154:
	s_mov_b64 s[0:1], -1
                                        ; implicit-def: $vgpr2
.LBB328_155:
	s_andn2_b64 vcc, exec, s[0:1]
	s_cbranch_vccnz .LBB328_157
; %bb.156:
	global_load_ushort v2, v[0:1], off
	s_waitcnt vmcnt(0)
	v_cvt_f32_u32_e32 v2, v2
.LBB328_157:
	s_mov_b64 s[0:1], 0
.LBB328_158:
	s_andn2_b64 vcc, exec, s[0:1]
	s_cbranch_vccnz .LBB328_166
; %bb.159:
	global_load_ubyte v3, v[0:1], off
	s_movk_i32 s0, 0x7f
	s_waitcnt vmcnt(0)
	v_cmp_lt_i16_e32 vcc, s0, v3
	s_mov_b64 s[0:1], 0
	s_and_saveexec_b64 s[14:15], vcc
	s_xor_b64 s[14:15], exec, s[14:15]
	s_cbranch_execz .LBB328_179
; %bb.160:
	s_movk_i32 s0, 0x80
	v_cmp_eq_u16_e32 vcc, s0, v3
	s_mov_b64 s[0:1], -1
	s_and_saveexec_b64 s[20:21], vcc
; %bb.161:
	s_xor_b64 s[0:1], exec, -1
; %bb.162:
	s_or_b64 exec, exec, s[20:21]
	s_and_b64 s[0:1], s[0:1], exec
	s_or_saveexec_b64 s[14:15], s[14:15]
	v_mov_b32_e32 v2, 0x7f800001
	s_xor_b64 exec, exec, s[14:15]
	s_cbranch_execnz .LBB328_180
.LBB328_163:
	s_or_b64 exec, exec, s[14:15]
	s_and_saveexec_b64 s[14:15], s[0:1]
	s_cbranch_execz .LBB328_165
.LBB328_164:
	v_lshlrev_b32_e32 v2, 24, v3
	v_and_b32_e32 v3, 0xffff, v3
	v_and_b32_e32 v4, 7, v3
	v_ffbh_u32_e32 v7, v4
	v_min_u32_e32 v7, 32, v7
	v_subrev_u32_e32 v8, 28, v7
	v_bfe_u32 v6, v3, 3, 4
	v_lshlrev_b32_e32 v3, v8, v3
	v_sub_u32_e32 v7, 29, v7
	v_and_b32_e32 v3, 7, v3
	v_cmp_eq_u32_e32 vcc, 0, v6
	v_and_b32_e32 v2, 0x80000000, v2
	s_nop 0
	v_cndmask_b32_e32 v6, v6, v7, vcc
	v_cndmask_b32_e32 v3, v4, v3, vcc
	v_mov_b32_e32 v4, 0x3b800000
	v_lshlrev_b32_e32 v3, 20, v3
	v_lshl_add_u32 v4, v6, 23, v4
	v_or3_b32 v2, v2, v4, v3
.LBB328_165:
	s_or_b64 exec, exec, s[14:15]
.LBB328_166:
	s_mov_b64 s[0:1], -1
.LBB328_167:
	s_branch .LBB328_202
.LBB328_168:
	s_cmp_gt_i32 s24, 22
	s_cbranch_scc0 .LBB328_178
; %bb.169:
	s_cmp_lt_i32 s24, 24
	s_cbranch_scc1 .LBB328_181
; %bb.170:
	s_cmp_gt_i32 s24, 24
	s_cbranch_scc0 .LBB328_182
; %bb.171:
	global_load_ubyte v3, v[0:1], off
	s_movk_i32 s0, 0x7f
	s_waitcnt vmcnt(0)
	v_cmp_lt_i16_e32 vcc, s0, v3
	s_mov_b64 s[0:1], 0
	s_and_saveexec_b64 s[14:15], vcc
	s_xor_b64 s[14:15], exec, s[14:15]
	s_cbranch_execz .LBB328_194
; %bb.172:
	s_movk_i32 s0, 0x80
	v_cmp_eq_u16_e32 vcc, s0, v3
	s_mov_b64 s[0:1], -1
	s_and_saveexec_b64 s[20:21], vcc
; %bb.173:
	s_xor_b64 s[0:1], exec, -1
; %bb.174:
	s_or_b64 exec, exec, s[20:21]
	s_and_b64 s[0:1], s[0:1], exec
	s_or_saveexec_b64 s[14:15], s[14:15]
	v_mov_b32_e32 v2, 0x7f800001
	s_xor_b64 exec, exec, s[14:15]
	s_cbranch_execnz .LBB328_195
.LBB328_175:
	s_or_b64 exec, exec, s[14:15]
	s_and_saveexec_b64 s[14:15], s[0:1]
	s_cbranch_execz .LBB328_177
.LBB328_176:
	v_lshlrev_b32_e32 v2, 24, v3
	v_and_b32_e32 v3, 0xffff, v3
	v_and_b32_e32 v4, 3, v3
	v_ffbh_u32_e32 v7, v4
	v_min_u32_e32 v7, 32, v7
	v_subrev_u32_e32 v8, 29, v7
	v_bfe_u32 v6, v3, 2, 5
	v_lshlrev_b32_e32 v3, v8, v3
	v_sub_u32_e32 v7, 30, v7
	v_and_b32_e32 v3, 3, v3
	v_cmp_eq_u32_e32 vcc, 0, v6
	v_and_b32_e32 v2, 0x80000000, v2
	s_nop 0
	v_cndmask_b32_e32 v6, v6, v7, vcc
	v_cndmask_b32_e32 v3, v4, v3, vcc
	v_mov_b32_e32 v4, 0x37800000
	v_lshlrev_b32_e32 v3, 21, v3
	v_lshl_add_u32 v4, v6, 23, v4
	v_or3_b32 v2, v2, v4, v3
.LBB328_177:
	s_or_b64 exec, exec, s[14:15]
	s_mov_b64 s[0:1], 0
	s_branch .LBB328_183
.LBB328_178:
	s_mov_b64 s[14:15], -1
                                        ; implicit-def: $vgpr2
	s_branch .LBB328_189
.LBB328_179:
	s_or_saveexec_b64 s[14:15], s[14:15]
	v_mov_b32_e32 v2, 0x7f800001
	s_xor_b64 exec, exec, s[14:15]
	s_cbranch_execz .LBB328_163
.LBB328_180:
	v_cmp_ne_u16_e32 vcc, 0, v3
	s_andn2_b64 s[0:1], s[0:1], exec
	s_and_b64 s[20:21], vcc, exec
	v_mov_b32_e32 v2, 0
	s_or_b64 s[0:1], s[0:1], s[20:21]
	s_or_b64 exec, exec, s[14:15]
	s_and_saveexec_b64 s[14:15], s[0:1]
	s_cbranch_execnz .LBB328_164
	s_branch .LBB328_165
.LBB328_181:
	s_mov_b64 s[0:1], -1
                                        ; implicit-def: $vgpr2
	s_branch .LBB328_186
.LBB328_182:
	s_mov_b64 s[0:1], -1
                                        ; implicit-def: $vgpr2
.LBB328_183:
	s_and_b64 vcc, exec, s[0:1]
	s_cbranch_vccz .LBB328_185
; %bb.184:
	global_load_ubyte v2, v[0:1], off
	s_mov_b32 s0, 0x7f800000
	s_waitcnt vmcnt(0)
	v_lshlrev_b32_e32 v2, 24, v2
	v_and_b32_e32 v3, 0x7f000000, v2
	v_ffbh_u32_e32 v4, v3
	v_min_u32_e32 v4, 32, v4
	v_sub_u32_e64 v4, v4, 4 clamp
	v_lshlrev_b32_e32 v7, v4, v3
	v_lshlrev_b32_e32 v4, 23, v4
	v_lshrrev_b32_e32 v7, 4, v7
	v_add_u32_e32 v6, 0x1000000, v3
	v_sub_u32_e32 v4, v7, v4
	v_ashrrev_i32_e32 v6, 8, v6
	v_add_u32_e32 v4, 0x3c000000, v4
	v_and_or_b32 v4, v6, s0, v4
	v_cmp_ne_u32_e32 vcc, 0, v3
	s_brev_b32 s0, 1
	s_nop 0
	v_cndmask_b32_e32 v3, 0, v4, vcc
	v_and_or_b32 v2, v2, s0, v3
.LBB328_185:
	s_mov_b64 s[0:1], 0
.LBB328_186:
	s_andn2_b64 vcc, exec, s[0:1]
	s_cbranch_vccnz .LBB328_188
; %bb.187:
	global_load_ubyte v2, v[0:1], off
	s_movk_i32 s0, 0x7f00
	s_brev_b32 s1, 16
	s_waitcnt vmcnt(0)
	v_lshlrev_b16_e32 v3, 8, v2
	v_lshlrev_b32_e32 v2, 25, v2
	v_lshrrev_b32_e32 v4, 4, v2
	v_and_or_b32 v6, v3, s0, 0.5
	v_or_b32_e32 v4, 0x70000000, v4
	v_add_f32_e32 v6, -0.5, v6
	v_mul_f32_e32 v4, 0x7800000, v4
	v_cmp_gt_u32_e32 vcc, s1, v2
	v_bfe_i32 v3, v3, 0, 16
	s_brev_b32 s0, 1
	v_cndmask_b32_e32 v2, v4, v6, vcc
	v_and_or_b32 v2, v3, s0, v2
.LBB328_188:
	s_mov_b64 s[14:15], 0
	s_mov_b64 s[0:1], -1
.LBB328_189:
	s_andn2_b64 vcc, exec, s[14:15]
	s_cbranch_vccnz .LBB328_202
; %bb.190:
	s_cmp_gt_i32 s24, 14
	s_cbranch_scc0 .LBB328_193
; %bb.191:
	s_cmp_eq_u32 s24, 15
	s_cbranch_scc0 .LBB328_196
; %bb.192:
	global_load_ushort v2, v[0:1], off
	s_mov_b64 s[0:1], -1
	s_mov_b64 s[16:17], 0
	s_waitcnt vmcnt(0)
	v_lshlrev_b32_e32 v2, 16, v2
	s_branch .LBB328_197
.LBB328_193:
	s_mov_b64 s[14:15], -1
                                        ; implicit-def: $vgpr2
	s_branch .LBB328_198
.LBB328_194:
	s_or_saveexec_b64 s[14:15], s[14:15]
	v_mov_b32_e32 v2, 0x7f800001
	s_xor_b64 exec, exec, s[14:15]
	s_cbranch_execz .LBB328_175
.LBB328_195:
	v_cmp_ne_u16_e32 vcc, 0, v3
	s_andn2_b64 s[0:1], s[0:1], exec
	s_and_b64 s[20:21], vcc, exec
	v_mov_b32_e32 v2, 0
	s_or_b64 s[0:1], s[0:1], s[20:21]
	s_or_b64 exec, exec, s[14:15]
	s_and_saveexec_b64 s[14:15], s[0:1]
	s_cbranch_execnz .LBB328_176
	s_branch .LBB328_177
.LBB328_196:
	s_mov_b64 s[16:17], -1
                                        ; implicit-def: $vgpr2
.LBB328_197:
	s_mov_b64 s[14:15], 0
.LBB328_198:
	s_and_b64 vcc, exec, s[14:15]
	s_cbranch_vccz .LBB328_202
; %bb.199:
	s_cmp_eq_u32 s24, 11
	s_cbranch_scc0 .LBB328_201
; %bb.200:
	global_load_ubyte v2, v[0:1], off
	s_mov_b64 s[0:1], -1
	s_mov_b64 s[16:17], 0
	s_waitcnt vmcnt(0)
	v_cmp_ne_u16_e32 vcc, 0, v2
	s_nop 1
	v_cndmask_b32_e64 v2, 0, 1.0, vcc
	s_branch .LBB328_202
.LBB328_201:
	s_mov_b64 s[16:17], -1
                                        ; implicit-def: $vgpr2
.LBB328_202:
	s_branch .LBB328_10
.LBB328_203:
	s_cmp_lt_i32 s24, 5
	s_cbranch_scc1 .LBB328_208
; %bb.204:
	s_cmp_lt_i32 s24, 8
	s_cbranch_scc1 .LBB328_209
; %bb.205:
	s_cmp_lt_i32 s24, 9
	s_cbranch_scc1 .LBB328_210
; %bb.206:
	s_cmp_gt_i32 s24, 9
	s_cbranch_scc0 .LBB328_211
; %bb.207:
	global_load_dwordx2 v[2:3], v[0:1], off
	s_mov_b64 s[0:1], 0
	s_waitcnt vmcnt(0)
	v_cvt_f32_f64_e32 v2, v[2:3]
	s_branch .LBB328_212
.LBB328_208:
                                        ; implicit-def: $vgpr2
	s_branch .LBB328_230
.LBB328_209:
	s_mov_b64 s[0:1], -1
                                        ; implicit-def: $vgpr2
	s_branch .LBB328_218
.LBB328_210:
	s_mov_b64 s[0:1], -1
                                        ; implicit-def: $vgpr2
	s_branch .LBB328_215
.LBB328_211:
	s_mov_b64 s[0:1], -1
                                        ; implicit-def: $vgpr2
.LBB328_212:
	s_andn2_b64 vcc, exec, s[0:1]
	s_cbranch_vccnz .LBB328_214
; %bb.213:
	global_load_dword v2, v[0:1], off
.LBB328_214:
	s_mov_b64 s[0:1], 0
.LBB328_215:
	s_andn2_b64 vcc, exec, s[0:1]
	s_cbranch_vccnz .LBB328_217
; %bb.216:
	global_load_dword v2, v[0:1], off
	s_waitcnt vmcnt(0)
	v_cvt_f32_f16_e32 v2, v2
.LBB328_217:
	s_mov_b64 s[0:1], 0
.LBB328_218:
	s_andn2_b64 vcc, exec, s[0:1]
	s_cbranch_vccnz .LBB328_229
; %bb.219:
	s_cmp_lt_i32 s24, 6
	s_cbranch_scc1 .LBB328_222
; %bb.220:
	s_cmp_gt_i32 s24, 6
	s_cbranch_scc0 .LBB328_223
; %bb.221:
	global_load_dwordx2 v[2:3], v[0:1], off
	s_mov_b64 s[0:1], 0
	s_waitcnt vmcnt(0)
	v_cvt_f32_f64_e32 v2, v[2:3]
	s_branch .LBB328_224
.LBB328_222:
	s_mov_b64 s[0:1], -1
                                        ; implicit-def: $vgpr2
	s_branch .LBB328_227
.LBB328_223:
	s_mov_b64 s[0:1], -1
                                        ; implicit-def: $vgpr2
.LBB328_224:
	s_andn2_b64 vcc, exec, s[0:1]
	s_cbranch_vccnz .LBB328_226
; %bb.225:
	global_load_dword v2, v[0:1], off
.LBB328_226:
	s_mov_b64 s[0:1], 0
.LBB328_227:
	s_andn2_b64 vcc, exec, s[0:1]
	s_cbranch_vccnz .LBB328_229
; %bb.228:
	global_load_ushort v2, v[0:1], off
	s_waitcnt vmcnt(0)
	v_cvt_f32_f16_e32 v2, v2
.LBB328_229:
	s_cbranch_execnz .LBB328_249
.LBB328_230:
	s_cmp_lt_i32 s24, 2
	s_cbranch_scc1 .LBB328_234
; %bb.231:
	s_cmp_lt_i32 s24, 3
	s_cbranch_scc1 .LBB328_235
; %bb.232:
	s_cmp_gt_i32 s24, 3
	s_cbranch_scc0 .LBB328_236
; %bb.233:
	global_load_dwordx2 v[2:3], v[0:1], off
	s_mov_b64 s[0:1], 0
	s_waitcnt vmcnt(0)
	v_xor_b32_e32 v6, v2, v3
	v_ffbh_i32_e32 v4, v3
	v_ashrrev_i32_e32 v6, 31, v6
	v_add_u32_e32 v4, -1, v4
	v_add_u32_e32 v6, 32, v6
	v_min_u32_e32 v4, v4, v6
	v_lshlrev_b64 v[2:3], v4, v[2:3]
	v_min_u32_e32 v2, 1, v2
	v_or_b32_e32 v2, v3, v2
	v_cvt_f32_i32_e32 v2, v2
	v_sub_u32_e32 v3, 32, v4
	v_ldexp_f32 v2, v2, v3
	s_branch .LBB328_237
.LBB328_234:
	s_mov_b64 s[0:1], -1
                                        ; implicit-def: $vgpr2
	s_branch .LBB328_243
.LBB328_235:
	s_mov_b64 s[0:1], -1
                                        ; implicit-def: $vgpr2
	s_branch .LBB328_240
.LBB328_236:
	s_mov_b64 s[0:1], -1
                                        ; implicit-def: $vgpr2
.LBB328_237:
	s_andn2_b64 vcc, exec, s[0:1]
	s_cbranch_vccnz .LBB328_239
; %bb.238:
	global_load_dword v2, v[0:1], off
	s_waitcnt vmcnt(0)
	v_cvt_f32_i32_e32 v2, v2
.LBB328_239:
	s_mov_b64 s[0:1], 0
.LBB328_240:
	s_andn2_b64 vcc, exec, s[0:1]
	s_cbranch_vccnz .LBB328_242
; %bb.241:
	global_load_sshort v2, v[0:1], off
	s_waitcnt vmcnt(0)
	v_cvt_f32_i32_e32 v2, v2
.LBB328_242:
	s_mov_b64 s[0:1], 0
.LBB328_243:
	s_andn2_b64 vcc, exec, s[0:1]
	s_cbranch_vccnz .LBB328_249
; %bb.244:
	s_cmp_gt_i32 s24, 0
	s_cbranch_scc0 .LBB328_246
; %bb.245:
	global_load_sbyte v2, v[0:1], off
	s_mov_b64 s[0:1], 0
	s_waitcnt vmcnt(0)
	v_cvt_f32_i32_e32 v2, v2
	s_branch .LBB328_247
.LBB328_246:
	s_mov_b64 s[0:1], -1
                                        ; implicit-def: $vgpr2
.LBB328_247:
	s_andn2_b64 vcc, exec, s[0:1]
	s_cbranch_vccnz .LBB328_249
; %bb.248:
	global_load_ubyte v0, v[0:1], off
	s_waitcnt vmcnt(0)
	v_cvt_f32_ubyte0_e32 v2, v0
.LBB328_249:
	s_branch .LBB328_11
.LBB328_250:
	s_mov_b64 s[0:1], 0
                                        ; implicit-def: $vgpr5
	s_mov_b64 s[20:21], 0
.LBB328_251:
	s_and_b64 s[14:15], s[0:1], exec
	s_and_b64 s[16:17], s[16:17], exec
	s_orn2_b64 s[20:21], s[20:21], exec
.LBB328_252:
	s_or_b64 exec, exec, s[18:19]
	s_mov_b64 s[24:25], 0
	s_mov_b64 s[0:1], 0
                                        ; implicit-def: $vgpr0_vgpr1
                                        ; implicit-def: $vgpr3
	s_and_saveexec_b64 s[18:19], s[20:21]
	s_cbranch_execz .LBB328_261
; %bb.253:
	v_cmp_gt_i32_e32 vcc, s40, v5
	s_mov_b64 s[0:1], -1
	s_mov_b64 s[20:21], s[16:17]
	s_mov_b64 s[22:23], s[14:15]
	s_and_saveexec_b64 s[24:25], vcc
	s_cbranch_execz .LBB328_513
; %bb.254:
	v_mul_lo_u32 v0, v5, s9
	v_ashrrev_i32_e32 v1, 31, v0
	s_and_b32 s28, 0xffff, s44
	s_cmp_lt_i32 s28, 11
	v_lshl_add_u64 v[0:1], s[6:7], 0, v[0:1]
	s_cbranch_scc1 .LBB328_264
; %bb.255:
	s_cmp_gt_i32 s28, 25
	s_cbranch_scc0 .LBB328_273
; %bb.256:
	s_cmp_gt_i32 s28, 28
	s_cbranch_scc0 .LBB328_275
	;; [unrolled: 3-line block ×4, first 2 shown]
; %bb.259:
	s_cmp_eq_u32 s28, 46
	s_mov_b64 s[22:23], 0
	s_cbranch_scc0 .LBB328_285
; %bb.260:
	global_load_dword v2, v[0:1], off
	s_mov_b64 s[20:21], 0
	s_waitcnt vmcnt(0)
	v_lshlrev_b32_e32 v2, 16, v2
	s_branch .LBB328_286
.LBB328_261:
	s_or_b64 exec, exec, s[18:19]
	s_mov_b64 s[18:19], 0
	s_and_saveexec_b64 s[20:21], s[16:17]
	s_cbranch_execnz .LBB328_859
.LBB328_262:
	s_or_b64 exec, exec, s[20:21]
	s_and_saveexec_b64 s[16:17], s[22:23]
	s_xor_b64 s[16:17], exec, s[16:17]
	s_cbranch_execz .LBB328_860
.LBB328_263:
	global_load_ubyte v2, v[0:1], off
	s_or_b64 s[0:1], s[0:1], exec
	s_waitcnt vmcnt(0)
	v_cmp_ne_u16_e32 vcc, 0, v2
	s_nop 1
	v_cndmask_b32_e64 v3, 0, 1.0, vcc
	s_or_b64 exec, exec, s[16:17]
	s_and_saveexec_b64 s[16:17], s[24:25]
	s_cbranch_execz .LBB328_906
	s_branch .LBB328_861
.LBB328_264:
	s_mov_b64 s[0:1], 0
                                        ; implicit-def: $vgpr2
	s_mov_b64 s[20:21], s[16:17]
	s_cbranch_execnz .LBB328_463
.LBB328_265:
	s_andn2_b64 vcc, exec, s[0:1]
	s_cbranch_vccnz .LBB328_511
.LBB328_266:
	v_max_f32_e64 v0, s10, s10
	s_waitcnt vmcnt(0)
	v_max_f32_e32 v1, v2, v2
	v_max_f32_e32 v0, v1, v0
	v_max_f32_e64 v1, s11, s11
	v_min_f32_e32 v0, v0, v1
	v_cmp_u_f32_e32 vcc, v2, v2
	s_and_b32 s30, s33, 0xff
	s_cmp_lt_i32 s30, 11
	v_cndmask_b32_e32 v2, v0, v2, vcc
	v_mul_lo_u32 v0, v5, s8
	v_ashrrev_i32_e32 v1, 31, v0
	v_lshl_add_u64 v[0:1], s[4:5], 0, v[0:1]
	s_cbranch_scc1 .LBB328_274
; %bb.267:
	s_and_b32 s31, 0xffff, s30
	s_cmp_gt_i32 s31, 25
	s_cbranch_scc0 .LBB328_276
; %bb.268:
	s_cmp_gt_i32 s31, 28
	s_cbranch_scc0 .LBB328_278
; %bb.269:
	;; [unrolled: 3-line block ×4, first 2 shown]
	s_mov_b64 s[26:27], 0
	s_mov_b64 s[0:1], -1
	s_cmp_eq_u32 s31, 46
	s_mov_b64 s[22:23], 0
	s_cbranch_scc0 .LBB328_290
; %bb.272:
	v_bfe_u32 v3, v2, 16, 1
	s_movk_i32 s0, 0x7fff
	v_add3_u32 v3, v2, v3, s0
	v_cmp_o_f32_e32 vcc, v2, v2
	v_mov_b32_e32 v4, 0x7fc0
	s_mov_b64 s[22:23], -1
	v_cndmask_b32_sdwa v3, v4, v3, vcc dst_sel:DWORD dst_unused:UNUSED_PAD src0_sel:DWORD src1_sel:WORD_1
	global_store_dword v[0:1], v3, off
	s_mov_b64 s[0:1], 0
	s_branch .LBB328_290
.LBB328_273:
	s_mov_b64 s[22:23], -1
	s_mov_b64 s[0:1], 0
	s_mov_b64 s[20:21], s[16:17]
                                        ; implicit-def: $vgpr2
	s_branch .LBB328_427
.LBB328_274:
	s_mov_b64 s[26:27], -1
	s_mov_b64 s[22:23], 0
	s_mov_b64 s[0:1], s[14:15]
	s_branch .LBB328_359
.LBB328_275:
	s_mov_b64 s[22:23], -1
	s_mov_b64 s[0:1], 0
	s_mov_b64 s[20:21], s[16:17]
                                        ; implicit-def: $vgpr2
	s_branch .LBB328_408
.LBB328_276:
	s_mov_b64 s[26:27], -1
	s_mov_b64 s[22:23], 0
	s_mov_b64 s[0:1], s[14:15]
	s_branch .LBB328_317
.LBB328_277:
	s_mov_b64 s[22:23], -1
	s_mov_b64 s[0:1], 0
	s_mov_b64 s[20:21], s[16:17]
                                        ; implicit-def: $vgpr2
	s_branch .LBB328_403
.LBB328_278:
	s_mov_b64 s[26:27], -1
	s_mov_b64 s[22:23], 0
	s_mov_b64 s[0:1], s[14:15]
	s_branch .LBB328_300
.LBB328_279:
	s_andn2_saveexec_b64 s[24:25], s[24:25]
	s_cbranch_execz .LBB328_55
.LBB328_280:
	s_mov_b32 s28, 0x46000000
	v_add_f32_e64 v3, |v2|, s28
	v_and_b32_e32 v3, 0xff, v3
	v_cmp_ne_u32_e32 vcc, 0, v3
	s_andn2_b64 s[20:21], s[20:21], exec
	s_and_b64 s[28:29], vcc, exec
	s_or_b64 s[20:21], s[20:21], s[28:29]
	s_or_b64 exec, exec, s[24:25]
	v_mov_b32_e32 v4, 0
	s_and_saveexec_b64 s[24:25], s[20:21]
	s_cbranch_execnz .LBB328_56
	s_branch .LBB328_57
.LBB328_281:
	s_mov_b64 s[22:23], -1
	s_mov_b64 s[0:1], 0
	s_mov_b64 s[20:21], s[16:17]
                                        ; implicit-def: $vgpr2
	s_branch .LBB328_286
.LBB328_282:
	s_mov_b64 s[26:27], -1
	s_mov_b64 s[22:23], 0
	s_mov_b64 s[0:1], s[14:15]
	s_branch .LBB328_296
.LBB328_283:
	s_andn2_saveexec_b64 s[24:25], s[24:25]
	s_cbranch_execz .LBB328_68
.LBB328_284:
	s_mov_b32 s28, 0x42800000
	v_add_f32_e64 v3, |v2|, s28
	v_and_b32_e32 v3, 0xff, v3
	v_cmp_ne_u32_e32 vcc, 0, v3
	s_andn2_b64 s[20:21], s[20:21], exec
	s_and_b64 s[28:29], vcc, exec
	s_or_b64 s[20:21], s[20:21], s[28:29]
	s_or_b64 exec, exec, s[24:25]
	v_mov_b32_e32 v4, 0
	s_and_saveexec_b64 s[24:25], s[20:21]
	s_cbranch_execnz .LBB328_69
	s_branch .LBB328_70
.LBB328_285:
	s_mov_b64 s[20:21], -1
                                        ; implicit-def: $vgpr2
	s_mov_b64 s[0:1], 0
.LBB328_286:
	s_and_b64 vcc, exec, s[22:23]
	s_cbranch_vccz .LBB328_402
; %bb.287:
	s_cmp_eq_u32 s28, 44
	s_cbranch_scc0 .LBB328_401
; %bb.288:
	global_load_ubyte v2, v[0:1], off
	s_movk_i32 s20, 0xff
	v_mov_b32_e32 v3, 0x7f800001
	v_mov_b32_e32 v4, 0x400000
	s_mov_b64 s[0:1], -1
	s_waitcnt vmcnt(0)
	v_lshlrev_b32_e32 v6, 23, v2
	v_cmp_ne_u32_e32 vcc, s20, v2
	s_mov_b64 s[20:21], 0
	s_nop 0
	v_cndmask_b32_e32 v3, v3, v6, vcc
	v_cmp_ne_u32_e32 vcc, 0, v2
	s_nop 1
	v_cndmask_b32_e32 v2, v4, v3, vcc
	s_branch .LBB328_402
.LBB328_289:
	s_mov_b64 s[26:27], -1
	s_mov_b64 s[22:23], 0
	s_mov_b64 s[0:1], s[14:15]
.LBB328_290:
	s_and_b64 vcc, exec, s[26:27]
	s_cbranch_vccz .LBB328_295
; %bb.291:
	s_cmp_eq_u32 s31, 44
	s_mov_b64 s[0:1], -1
	s_cbranch_scc0 .LBB328_295
; %bb.292:
	v_bfe_u32 v3, v2, 23, 8
	s_movk_i32 s0, 0xff
	v_cmp_ne_u32_e32 vcc, s0, v3
	v_mov_b32_e32 v4, 0xff
	s_and_saveexec_b64 s[22:23], vcc
; %bb.293:
	s_mov_b32 s0, 0x3fffff
	v_and_b32_e32 v6, 0x400000, v2
	v_and_or_b32 v3, v2, s0, v3
	v_cmp_ne_u32_e32 vcc, 0, v6
	v_cmp_ne_u32_e64 s[0:1], 0, v3
	s_and_b64 s[0:1], vcc, s[0:1]
	v_lshrrev_b32_e32 v4, 23, v2
	v_cndmask_b32_e64 v3, 0, 1, s[0:1]
	v_add_u32_e32 v4, v4, v3
; %bb.294:
	s_or_b64 exec, exec, s[22:23]
	s_mov_b64 s[22:23], -1
	s_mov_b64 s[0:1], 0
	global_store_byte v[0:1], v4, off
.LBB328_295:
	s_mov_b64 s[26:27], 0
.LBB328_296:
	s_and_b64 vcc, exec, s[26:27]
	s_cbranch_vccz .LBB328_299
; %bb.297:
	s_cmp_eq_u32 s31, 29
	s_mov_b64 s[0:1], -1
	s_cbranch_scc0 .LBB328_299
; %bb.298:
	v_trunc_f32_e32 v3, v2
	v_mul_f32_e32 v4, 0x2f800000, v3
	v_floor_f32_e32 v4, v4
	v_fmamk_f32 v3, v4, 0xcf800000, v3
	v_cvt_u32_f32_e32 v7, v4
	v_cvt_u32_f32_e32 v6, v3
	s_mov_b64 s[22:23], -1
	s_mov_b64 s[0:1], 0
	s_mov_b64 s[26:27], 0
	global_store_dwordx2 v[0:1], v[6:7], off
	s_branch .LBB328_300
.LBB328_299:
	s_mov_b64 s[26:27], 0
.LBB328_300:
	s_and_b64 vcc, exec, s[26:27]
	s_cbranch_vccz .LBB328_316
; %bb.301:
	s_cmp_lt_i32 s31, 27
	s_mov_b64 s[22:23], -1
	s_cbranch_scc1 .LBB328_307
; %bb.302:
	v_cvt_u32_f32_e32 v3, v2
	s_cmp_gt_i32 s31, 27
	s_cbranch_scc0 .LBB328_304
; %bb.303:
	s_mov_b64 s[22:23], 0
	global_store_dword v[0:1], v3, off
.LBB328_304:
	s_andn2_b64 vcc, exec, s[22:23]
	s_cbranch_vccnz .LBB328_306
; %bb.305:
	global_store_short v[0:1], v3, off
.LBB328_306:
	s_mov_b64 s[22:23], 0
.LBB328_307:
	s_andn2_b64 vcc, exec, s[22:23]
	s_cbranch_vccnz .LBB328_315
; %bb.308:
	v_and_b32_e32 v3, 0x7fffffff, v2
	s_mov_b32 s22, 0x43800000
	v_cmp_gt_u32_e32 vcc, s22, v3
	v_mov_b32_e32 v4, 0x80
	s_and_saveexec_b64 s[22:23], vcc
	s_cbranch_execz .LBB328_314
; %bb.309:
	s_mov_b32 s26, 0x3bffffff
	v_cmp_lt_u32_e32 vcc, s26, v3
	s_mov_b64 s[26:27], 0
                                        ; implicit-def: $vgpr3
	s_and_saveexec_b64 s[28:29], vcc
	s_xor_b64 s[28:29], exec, s[28:29]
	s_cbranch_execz .LBB328_526
; %bb.310:
	v_bfe_u32 v3, v2, 20, 1
	s_mov_b32 s34, 0x487ffff
	v_add3_u32 v3, v2, v3, s34
	s_mov_b64 s[26:27], exec
	v_lshrrev_b32_e32 v3, 20, v3
	s_andn2_saveexec_b64 s[28:29], s[28:29]
	s_cbranch_execnz .LBB328_527
.LBB328_311:
	s_or_b64 exec, exec, s[28:29]
	v_mov_b32_e32 v4, 0
	s_and_saveexec_b64 s[28:29], s[26:27]
.LBB328_312:
	v_lshrrev_b32_e32 v4, 24, v2
	s_movk_i32 s26, 0x80
	v_and_or_b32 v4, v4, s26, v3
.LBB328_313:
	s_or_b64 exec, exec, s[28:29]
.LBB328_314:
	s_or_b64 exec, exec, s[22:23]
	global_store_byte v[0:1], v4, off
.LBB328_315:
	s_mov_b64 s[22:23], -1
.LBB328_316:
	s_mov_b64 s[26:27], 0
.LBB328_317:
	s_and_b64 vcc, exec, s[26:27]
	s_cbranch_vccz .LBB328_358
; %bb.318:
	s_cmp_gt_i32 s31, 22
	s_mov_b64 s[26:27], -1
	s_cbranch_scc0 .LBB328_350
; %bb.319:
	s_cmp_lt_i32 s31, 24
	s_mov_b64 s[22:23], -1
	s_cbranch_scc1 .LBB328_339
; %bb.320:
	s_cmp_gt_i32 s31, 24
	s_cbranch_scc0 .LBB328_328
; %bb.321:
	v_and_b32_e32 v3, 0x7fffffff, v2
	s_mov_b32 s22, 0x47800000
	v_cmp_gt_u32_e32 vcc, s22, v3
	v_mov_b32_e32 v4, 0x80
	s_and_saveexec_b64 s[22:23], vcc
	s_cbranch_execz .LBB328_327
; %bb.322:
	s_mov_b32 s26, 0x37ffffff
	v_cmp_lt_u32_e32 vcc, s26, v3
	s_mov_b64 s[26:27], 0
                                        ; implicit-def: $vgpr3
	s_and_saveexec_b64 s[28:29], vcc
	s_xor_b64 s[28:29], exec, s[28:29]
	s_cbranch_execz .LBB328_529
; %bb.323:
	v_bfe_u32 v3, v2, 21, 1
	s_mov_b32 s34, 0x88fffff
	v_add3_u32 v3, v2, v3, s34
	s_mov_b64 s[26:27], exec
	v_lshrrev_b32_e32 v3, 21, v3
	s_andn2_saveexec_b64 s[28:29], s[28:29]
	s_cbranch_execnz .LBB328_530
.LBB328_324:
	s_or_b64 exec, exec, s[28:29]
	v_mov_b32_e32 v4, 0
	s_and_saveexec_b64 s[28:29], s[26:27]
.LBB328_325:
	v_lshrrev_b32_e32 v4, 24, v2
	s_movk_i32 s26, 0x80
	v_and_or_b32 v4, v4, s26, v3
.LBB328_326:
	s_or_b64 exec, exec, s[28:29]
.LBB328_327:
	s_or_b64 exec, exec, s[22:23]
	s_mov_b64 s[22:23], 0
	global_store_byte v[0:1], v4, off
.LBB328_328:
	s_and_b64 vcc, exec, s[22:23]
	s_cbranch_vccz .LBB328_338
; %bb.329:
	v_and_b32_e32 v4, 0x7fffffff, v2
	s_mov_b32 s22, 0x43f00000
	v_cmp_gt_u32_e32 vcc, s22, v4
                                        ; implicit-def: $vgpr3
	s_and_saveexec_b64 s[22:23], vcc
	s_xor_b64 s[22:23], exec, s[22:23]
	s_cbranch_execz .LBB328_335
; %bb.330:
	s_mov_b32 s26, 0x3c7fffff
	v_cmp_lt_u32_e32 vcc, s26, v4
                                        ; implicit-def: $vgpr3
	s_and_saveexec_b64 s[26:27], vcc
	s_xor_b64 s[26:27], exec, s[26:27]
; %bb.331:
	v_bfe_u32 v3, v2, 20, 1
	s_mov_b32 s28, 0x407ffff
	v_add3_u32 v3, v2, v3, s28
	v_lshrrev_b32_e32 v4, 20, v3
	v_and_b32_e32 v3, 0xff00000, v3
	s_mov_b32 s28, 0x7f00000
	v_mov_b32_e32 v6, 0x7e
	v_cmp_ne_u32_e32 vcc, s28, v3
	s_nop 1
	v_cndmask_b32_e32 v3, v6, v4, vcc
; %bb.332:
	s_andn2_saveexec_b64 s[26:27], s[26:27]
; %bb.333:
	s_mov_b32 s28, 0x46800000
	v_add_f32_e64 v3, |v2|, s28
; %bb.334:
	s_or_b64 exec, exec, s[26:27]
                                        ; implicit-def: $vgpr4
.LBB328_335:
	s_andn2_saveexec_b64 s[22:23], s[22:23]
; %bb.336:
	s_mov_b32 s26, 0x7f800000
	v_mov_b32_e32 v3, 0x7e
	v_mov_b32_e32 v6, 0x7f
	v_cmp_lt_u32_e32 vcc, s26, v4
	s_nop 1
	v_cndmask_b32_e32 v3, v3, v6, vcc
; %bb.337:
	s_or_b64 exec, exec, s[22:23]
	v_lshrrev_b32_e32 v4, 24, v2
	s_movk_i32 s22, 0x80
	v_and_or_b32 v3, v4, s22, v3
	global_store_byte v[0:1], v3, off
.LBB328_338:
	s_mov_b64 s[22:23], 0
.LBB328_339:
	s_andn2_b64 vcc, exec, s[22:23]
	s_cbranch_vccnz .LBB328_349
; %bb.340:
	v_and_b32_e32 v4, 0x7fffffff, v2
	s_mov_b32 s22, 0x47800000
	v_cmp_gt_u32_e32 vcc, s22, v4
                                        ; implicit-def: $vgpr3
	s_and_saveexec_b64 s[22:23], vcc
	s_xor_b64 s[22:23], exec, s[22:23]
	s_cbranch_execz .LBB328_346
; %bb.341:
	s_mov_b32 s26, 0x387fffff
	v_cmp_lt_u32_e32 vcc, s26, v4
                                        ; implicit-def: $vgpr3
	s_and_saveexec_b64 s[26:27], vcc
	s_xor_b64 s[26:27], exec, s[26:27]
; %bb.342:
	v_bfe_u32 v3, v2, 21, 1
	s_mov_b32 s28, 0x80fffff
	v_add3_u32 v3, v2, v3, s28
	v_lshrrev_b32_e32 v3, 21, v3
; %bb.343:
	s_andn2_saveexec_b64 s[26:27], s[26:27]
; %bb.344:
	s_mov_b32 s28, 0x43000000
	v_add_f32_e64 v3, |v2|, s28
; %bb.345:
	s_or_b64 exec, exec, s[26:27]
                                        ; implicit-def: $vgpr4
.LBB328_346:
	s_andn2_saveexec_b64 s[22:23], s[22:23]
; %bb.347:
	s_mov_b32 s26, 0x7f800000
	v_mov_b32_e32 v3, 0x7c
	v_mov_b32_e32 v6, 0x7f
	v_cmp_lt_u32_e32 vcc, s26, v4
	s_nop 1
	v_cndmask_b32_e32 v3, v3, v6, vcc
; %bb.348:
	s_or_b64 exec, exec, s[22:23]
	v_lshrrev_b32_e32 v4, 24, v2
	s_movk_i32 s22, 0x80
	v_and_or_b32 v3, v4, s22, v3
	global_store_byte v[0:1], v3, off
.LBB328_349:
	s_mov_b64 s[26:27], 0
	s_mov_b64 s[22:23], -1
.LBB328_350:
	s_andn2_b64 vcc, exec, s[26:27]
	s_cbranch_vccnz .LBB328_358
; %bb.351:
	s_cmp_gt_i32 s31, 14
	s_mov_b64 s[26:27], -1
	s_cbranch_scc0 .LBB328_355
; %bb.352:
	s_cmp_eq_u32 s31, 15
	s_mov_b64 s[0:1], -1
	s_cbranch_scc0 .LBB328_354
; %bb.353:
	v_bfe_u32 v3, v2, 16, 1
	s_movk_i32 s0, 0x7fff
	v_add3_u32 v3, v2, v3, s0
	v_cmp_o_f32_e32 vcc, v2, v2
	v_mov_b32_e32 v4, 0x7fc0
	s_mov_b64 s[22:23], -1
	v_cndmask_b32_sdwa v3, v4, v3, vcc dst_sel:DWORD dst_unused:UNUSED_PAD src0_sel:DWORD src1_sel:WORD_1
	global_store_short v[0:1], v3, off
	s_mov_b64 s[0:1], 0
.LBB328_354:
	s_mov_b64 s[26:27], 0
.LBB328_355:
	s_and_b64 vcc, exec, s[26:27]
	s_cbranch_vccz .LBB328_358
; %bb.356:
	s_cmp_eq_u32 s31, 11
	s_mov_b64 s[0:1], -1
	s_cbranch_scc0 .LBB328_358
; %bb.357:
	v_cmp_neq_f32_e32 vcc, 0, v2
	s_mov_b64 s[22:23], -1
	s_mov_b64 s[0:1], 0
	v_cndmask_b32_e64 v3, 0, 1, vcc
	global_store_byte v[0:1], v3, off
.LBB328_358:
	s_mov_b64 s[26:27], 0
.LBB328_359:
	s_and_b64 vcc, exec, s[26:27]
	s_cbranch_vccz .LBB328_398
; %bb.360:
	s_and_b32 s26, 0xffff, s30
	s_cmp_lt_i32 s26, 5
	s_mov_b64 s[22:23], -1
	s_cbranch_scc1 .LBB328_381
; %bb.361:
	s_cmp_lt_i32 s26, 8
	s_cbranch_scc1 .LBB328_371
; %bb.362:
	s_cmp_lt_i32 s26, 9
	s_cbranch_scc1 .LBB328_368
; %bb.363:
	s_cmp_gt_i32 s26, 9
	s_cbranch_scc0 .LBB328_365
; %bb.364:
	v_mov_b32_e32 v8, 0
	v_cvt_f64_f32_e32 v[6:7], v2
	v_mov_b32_e32 v9, v8
	s_mov_b64 s[22:23], 0
	global_store_dwordx4 v[0:1], v[6:9], off
.LBB328_365:
	s_andn2_b64 vcc, exec, s[22:23]
	s_cbranch_vccnz .LBB328_367
; %bb.366:
	v_mov_b32_e32 v3, 0
	global_store_dwordx2 v[0:1], v[2:3], off
.LBB328_367:
	s_mov_b64 s[22:23], 0
.LBB328_368:
	s_andn2_b64 vcc, exec, s[22:23]
	s_cbranch_vccnz .LBB328_370
; %bb.369:
	v_cvt_f16_f32_e32 v3, v2
	global_store_dword v[0:1], v3, off
.LBB328_370:
	s_mov_b64 s[22:23], 0
.LBB328_371:
	s_andn2_b64 vcc, exec, s[22:23]
	s_cbranch_vccnz .LBB328_380
; %bb.372:
	s_cmp_lt_i32 s26, 6
	s_mov_b64 s[22:23], -1
	s_cbranch_scc1 .LBB328_378
; %bb.373:
	s_cmp_gt_i32 s26, 6
	s_cbranch_scc0 .LBB328_375
; %bb.374:
	v_cvt_f64_f32_e32 v[6:7], v2
	s_mov_b64 s[22:23], 0
	global_store_dwordx2 v[0:1], v[6:7], off
.LBB328_375:
	s_andn2_b64 vcc, exec, s[22:23]
	s_cbranch_vccnz .LBB328_377
; %bb.376:
	global_store_dword v[0:1], v2, off
.LBB328_377:
	s_mov_b64 s[22:23], 0
.LBB328_378:
	s_andn2_b64 vcc, exec, s[22:23]
	s_cbranch_vccnz .LBB328_380
; %bb.379:
	v_cvt_f16_f32_e32 v3, v2
	global_store_short v[0:1], v3, off
.LBB328_380:
	s_mov_b64 s[22:23], 0
.LBB328_381:
	s_andn2_b64 vcc, exec, s[22:23]
	s_cbranch_vccnz .LBB328_397
; %bb.382:
	s_cmp_lt_i32 s26, 2
	s_mov_b64 s[22:23], -1
	s_cbranch_scc1 .LBB328_392
; %bb.383:
	s_cmp_lt_i32 s26, 3
	s_cbranch_scc1 .LBB328_389
; %bb.384:
	s_cmp_gt_i32 s26, 3
	s_cbranch_scc0 .LBB328_386
; %bb.385:
	v_trunc_f32_e32 v3, v2
	s_mov_b32 s22, 0x2f800000
	v_mul_f32_e64 v4, |v3|, s22
	v_floor_f32_e32 v4, v4
	s_mov_b32 s22, 0xcf800000
	v_cvt_u32_f32_e32 v6, v4
	v_fma_f32 v4, v4, s22, |v3|
	v_cvt_u32_f32_e32 v4, v4
	v_ashrrev_i32_e32 v3, 31, v3
	v_xor_b32_e32 v7, v6, v3
	s_mov_b64 s[22:23], 0
	v_xor_b32_e32 v4, v4, v3
	v_sub_co_u32_e32 v6, vcc, v4, v3
	s_nop 1
	v_subb_co_u32_e32 v7, vcc, v7, v3, vcc
	global_store_dwordx2 v[0:1], v[6:7], off
.LBB328_386:
	s_andn2_b64 vcc, exec, s[22:23]
	s_cbranch_vccnz .LBB328_388
; %bb.387:
	v_cvt_i32_f32_e32 v3, v2
	global_store_dword v[0:1], v3, off
.LBB328_388:
	s_mov_b64 s[22:23], 0
.LBB328_389:
	s_andn2_b64 vcc, exec, s[22:23]
	s_cbranch_vccnz .LBB328_391
; %bb.390:
	v_cvt_i32_f32_e32 v3, v2
	global_store_short v[0:1], v3, off
.LBB328_391:
	s_mov_b64 s[22:23], 0
.LBB328_392:
	s_andn2_b64 vcc, exec, s[22:23]
	s_cbranch_vccnz .LBB328_397
; %bb.393:
	s_cmp_gt_i32 s26, 0
	s_mov_b64 s[22:23], -1
	s_cbranch_scc0 .LBB328_395
; %bb.394:
	v_cvt_i32_f32_e32 v3, v2
	s_mov_b64 s[22:23], 0
	global_store_byte v[0:1], v3, off
.LBB328_395:
	s_andn2_b64 vcc, exec, s[22:23]
	s_cbranch_vccnz .LBB328_397
; %bb.396:
	v_trunc_f32_e32 v2, v2
	s_mov_b32 s22, 0x2f800000
	v_mul_f32_e64 v3, |v2|, s22
	v_floor_f32_e32 v3, v3
	s_mov_b32 s22, 0xcf800000
	v_fma_f32 v3, v3, s22, |v2|
	v_cvt_u32_f32_e32 v3, v3
	v_ashrrev_i32_e32 v2, 31, v2
	v_xor_b32_e32 v3, v3, v2
	v_sub_u32_e32 v2, v3, v2
	global_store_byte v[0:1], v2, off
.LBB328_397:
	s_mov_b64 s[22:23], -1
.LBB328_398:
	s_andn2_b64 vcc, exec, s[22:23]
	s_cbranch_vccnz .LBB328_400
; %bb.399:
	v_add_u32_e32 v5, 0x80, v5
	s_mov_b64 s[26:27], -1
	s_branch .LBB328_512
.LBB328_400:
	s_mov_b64 s[26:27], 0
                                        ; implicit-def: $vgpr5
	s_branch .LBB328_512
.LBB328_401:
	s_mov_b64 s[20:21], -1
                                        ; implicit-def: $vgpr2
.LBB328_402:
	s_mov_b64 s[22:23], 0
.LBB328_403:
	s_and_b64 vcc, exec, s[22:23]
	s_cbranch_vccz .LBB328_407
; %bb.404:
	s_cmp_eq_u32 s28, 29
	s_cbranch_scc0 .LBB328_406
; %bb.405:
	global_load_dwordx2 v[2:3], v[0:1], off
	s_mov_b64 s[0:1], -1
	s_mov_b64 s[20:21], 0
	s_mov_b64 s[22:23], 0
	s_waitcnt vmcnt(0)
	v_ffbh_u32_e32 v4, v3
	v_min_u32_e32 v4, 32, v4
	v_lshlrev_b64 v[2:3], v4, v[2:3]
	v_min_u32_e32 v2, 1, v2
	v_or_b32_e32 v2, v3, v2
	v_cvt_f32_u32_e32 v2, v2
	v_sub_u32_e32 v3, 32, v4
	v_ldexp_f32 v2, v2, v3
	s_branch .LBB328_408
.LBB328_406:
	s_mov_b64 s[20:21], -1
                                        ; implicit-def: $vgpr2
.LBB328_407:
	s_mov_b64 s[22:23], 0
.LBB328_408:
	s_and_b64 vcc, exec, s[22:23]
	s_cbranch_vccz .LBB328_426
; %bb.409:
	s_cmp_lt_i32 s28, 27
	s_cbranch_scc1 .LBB328_412
; %bb.410:
	s_cmp_gt_i32 s28, 27
	s_cbranch_scc0 .LBB328_413
; %bb.411:
	global_load_dword v2, v[0:1], off
	s_mov_b64 s[0:1], 0
	s_waitcnt vmcnt(0)
	v_cvt_f32_u32_e32 v2, v2
	s_branch .LBB328_414
.LBB328_412:
	s_mov_b64 s[0:1], -1
                                        ; implicit-def: $vgpr2
	s_branch .LBB328_417
.LBB328_413:
	s_mov_b64 s[0:1], -1
                                        ; implicit-def: $vgpr2
.LBB328_414:
	s_andn2_b64 vcc, exec, s[0:1]
	s_cbranch_vccnz .LBB328_416
; %bb.415:
	global_load_ushort v2, v[0:1], off
	s_waitcnt vmcnt(0)
	v_cvt_f32_u32_e32 v2, v2
.LBB328_416:
	s_mov_b64 s[0:1], 0
.LBB328_417:
	s_andn2_b64 vcc, exec, s[0:1]
	s_cbranch_vccnz .LBB328_425
; %bb.418:
	global_load_ubyte v3, v[0:1], off
	s_movk_i32 s0, 0x7f
	s_waitcnt vmcnt(0)
	v_cmp_lt_i16_e32 vcc, s0, v3
	s_mov_b64 s[0:1], 0
	s_and_saveexec_b64 s[22:23], vcc
	s_xor_b64 s[22:23], exec, s[22:23]
	s_cbranch_execz .LBB328_439
; %bb.419:
	s_movk_i32 s0, 0x80
	v_cmp_eq_u16_e32 vcc, s0, v3
	s_mov_b64 s[0:1], -1
	s_and_saveexec_b64 s[26:27], vcc
; %bb.420:
	s_xor_b64 s[0:1], exec, -1
; %bb.421:
	s_or_b64 exec, exec, s[26:27]
	s_and_b64 s[0:1], s[0:1], exec
	s_or_saveexec_b64 s[22:23], s[22:23]
	v_mov_b32_e32 v2, 0x7f800001
	s_xor_b64 exec, exec, s[22:23]
	s_cbranch_execnz .LBB328_440
.LBB328_422:
	s_or_b64 exec, exec, s[22:23]
	s_and_saveexec_b64 s[22:23], s[0:1]
	s_cbranch_execz .LBB328_424
.LBB328_423:
	v_lshlrev_b32_e32 v2, 24, v3
	v_and_b32_e32 v3, 0xffff, v3
	v_and_b32_e32 v4, 7, v3
	v_ffbh_u32_e32 v7, v4
	v_min_u32_e32 v7, 32, v7
	v_subrev_u32_e32 v8, 28, v7
	v_bfe_u32 v6, v3, 3, 4
	v_lshlrev_b32_e32 v3, v8, v3
	v_sub_u32_e32 v7, 29, v7
	v_and_b32_e32 v3, 7, v3
	v_cmp_eq_u32_e32 vcc, 0, v6
	v_and_b32_e32 v2, 0x80000000, v2
	s_nop 0
	v_cndmask_b32_e32 v6, v6, v7, vcc
	v_cndmask_b32_e32 v3, v4, v3, vcc
	v_mov_b32_e32 v4, 0x3b800000
	v_lshlrev_b32_e32 v3, 20, v3
	v_lshl_add_u32 v4, v6, 23, v4
	v_or3_b32 v2, v2, v4, v3
.LBB328_424:
	s_or_b64 exec, exec, s[22:23]
.LBB328_425:
	s_mov_b64 s[0:1], -1
.LBB328_426:
	s_mov_b64 s[22:23], 0
.LBB328_427:
	s_and_b64 vcc, exec, s[22:23]
	s_cbranch_vccz .LBB328_462
; %bb.428:
	s_cmp_gt_i32 s28, 22
	s_cbranch_scc0 .LBB328_438
; %bb.429:
	s_cmp_lt_i32 s28, 24
	s_cbranch_scc1 .LBB328_441
; %bb.430:
	s_cmp_gt_i32 s28, 24
	s_cbranch_scc0 .LBB328_442
; %bb.431:
	global_load_ubyte v3, v[0:1], off
	s_movk_i32 s0, 0x7f
	s_waitcnt vmcnt(0)
	v_cmp_lt_i16_e32 vcc, s0, v3
	s_mov_b64 s[0:1], 0
	s_and_saveexec_b64 s[22:23], vcc
	s_xor_b64 s[22:23], exec, s[22:23]
	s_cbranch_execz .LBB328_454
; %bb.432:
	s_movk_i32 s0, 0x80
	v_cmp_eq_u16_e32 vcc, s0, v3
	s_mov_b64 s[0:1], -1
	s_and_saveexec_b64 s[26:27], vcc
; %bb.433:
	s_xor_b64 s[0:1], exec, -1
; %bb.434:
	s_or_b64 exec, exec, s[26:27]
	s_and_b64 s[0:1], s[0:1], exec
	s_or_saveexec_b64 s[22:23], s[22:23]
	v_mov_b32_e32 v2, 0x7f800001
	s_xor_b64 exec, exec, s[22:23]
	s_cbranch_execnz .LBB328_455
.LBB328_435:
	s_or_b64 exec, exec, s[22:23]
	s_and_saveexec_b64 s[22:23], s[0:1]
	s_cbranch_execz .LBB328_437
.LBB328_436:
	v_lshlrev_b32_e32 v2, 24, v3
	v_and_b32_e32 v3, 0xffff, v3
	v_and_b32_e32 v4, 3, v3
	v_ffbh_u32_e32 v7, v4
	v_min_u32_e32 v7, 32, v7
	v_subrev_u32_e32 v8, 29, v7
	v_bfe_u32 v6, v3, 2, 5
	v_lshlrev_b32_e32 v3, v8, v3
	v_sub_u32_e32 v7, 30, v7
	v_and_b32_e32 v3, 3, v3
	v_cmp_eq_u32_e32 vcc, 0, v6
	v_and_b32_e32 v2, 0x80000000, v2
	s_nop 0
	v_cndmask_b32_e32 v6, v6, v7, vcc
	v_cndmask_b32_e32 v3, v4, v3, vcc
	v_mov_b32_e32 v4, 0x37800000
	v_lshlrev_b32_e32 v3, 21, v3
	v_lshl_add_u32 v4, v6, 23, v4
	v_or3_b32 v2, v2, v4, v3
.LBB328_437:
	s_or_b64 exec, exec, s[22:23]
	s_mov_b64 s[0:1], 0
	s_branch .LBB328_443
.LBB328_438:
	s_mov_b64 s[22:23], -1
                                        ; implicit-def: $vgpr2
	s_branch .LBB328_449
.LBB328_439:
	s_or_saveexec_b64 s[22:23], s[22:23]
	v_mov_b32_e32 v2, 0x7f800001
	s_xor_b64 exec, exec, s[22:23]
	s_cbranch_execz .LBB328_422
.LBB328_440:
	v_cmp_ne_u16_e32 vcc, 0, v3
	s_andn2_b64 s[0:1], s[0:1], exec
	s_and_b64 s[26:27], vcc, exec
	v_mov_b32_e32 v2, 0
	s_or_b64 s[0:1], s[0:1], s[26:27]
	s_or_b64 exec, exec, s[22:23]
	s_and_saveexec_b64 s[22:23], s[0:1]
	s_cbranch_execnz .LBB328_423
	s_branch .LBB328_424
.LBB328_441:
	s_mov_b64 s[0:1], -1
                                        ; implicit-def: $vgpr2
	s_branch .LBB328_446
.LBB328_442:
	s_mov_b64 s[0:1], -1
                                        ; implicit-def: $vgpr2
.LBB328_443:
	s_and_b64 vcc, exec, s[0:1]
	s_cbranch_vccz .LBB328_445
; %bb.444:
	global_load_ubyte v2, v[0:1], off
	s_mov_b32 s0, 0x7f800000
	s_waitcnt vmcnt(0)
	v_lshlrev_b32_e32 v2, 24, v2
	v_and_b32_e32 v3, 0x7f000000, v2
	v_ffbh_u32_e32 v4, v3
	v_min_u32_e32 v4, 32, v4
	v_sub_u32_e64 v4, v4, 4 clamp
	v_lshlrev_b32_e32 v7, v4, v3
	v_lshlrev_b32_e32 v4, 23, v4
	v_lshrrev_b32_e32 v7, 4, v7
	v_add_u32_e32 v6, 0x1000000, v3
	v_sub_u32_e32 v4, v7, v4
	v_ashrrev_i32_e32 v6, 8, v6
	v_add_u32_e32 v4, 0x3c000000, v4
	v_and_or_b32 v4, v6, s0, v4
	v_cmp_ne_u32_e32 vcc, 0, v3
	s_brev_b32 s0, 1
	s_nop 0
	v_cndmask_b32_e32 v3, 0, v4, vcc
	v_and_or_b32 v2, v2, s0, v3
.LBB328_445:
	s_mov_b64 s[0:1], 0
.LBB328_446:
	s_andn2_b64 vcc, exec, s[0:1]
	s_cbranch_vccnz .LBB328_448
; %bb.447:
	global_load_ubyte v2, v[0:1], off
	s_movk_i32 s0, 0x7f00
	s_brev_b32 s1, 16
	s_waitcnt vmcnt(0)
	v_lshlrev_b16_e32 v3, 8, v2
	v_lshlrev_b32_e32 v2, 25, v2
	v_lshrrev_b32_e32 v4, 4, v2
	v_and_or_b32 v6, v3, s0, 0.5
	v_or_b32_e32 v4, 0x70000000, v4
	v_add_f32_e32 v6, -0.5, v6
	v_mul_f32_e32 v4, 0x7800000, v4
	v_cmp_gt_u32_e32 vcc, s1, v2
	v_bfe_i32 v3, v3, 0, 16
	s_brev_b32 s0, 1
	v_cndmask_b32_e32 v2, v4, v6, vcc
	v_and_or_b32 v2, v3, s0, v2
.LBB328_448:
	s_mov_b64 s[22:23], 0
	s_mov_b64 s[0:1], -1
.LBB328_449:
	s_andn2_b64 vcc, exec, s[22:23]
	s_cbranch_vccnz .LBB328_462
; %bb.450:
	s_cmp_gt_i32 s28, 14
	s_cbranch_scc0 .LBB328_453
; %bb.451:
	s_cmp_eq_u32 s28, 15
	s_cbranch_scc0 .LBB328_456
; %bb.452:
	global_load_ushort v2, v[0:1], off
	s_mov_b64 s[0:1], -1
	s_mov_b64 s[20:21], 0
	s_waitcnt vmcnt(0)
	v_lshlrev_b32_e32 v2, 16, v2
	s_branch .LBB328_457
.LBB328_453:
	s_mov_b64 s[22:23], -1
                                        ; implicit-def: $vgpr2
	s_branch .LBB328_458
.LBB328_454:
	s_or_saveexec_b64 s[22:23], s[22:23]
	v_mov_b32_e32 v2, 0x7f800001
	s_xor_b64 exec, exec, s[22:23]
	s_cbranch_execz .LBB328_435
.LBB328_455:
	v_cmp_ne_u16_e32 vcc, 0, v3
	s_andn2_b64 s[0:1], s[0:1], exec
	s_and_b64 s[26:27], vcc, exec
	v_mov_b32_e32 v2, 0
	s_or_b64 s[0:1], s[0:1], s[26:27]
	s_or_b64 exec, exec, s[22:23]
	s_and_saveexec_b64 s[22:23], s[0:1]
	s_cbranch_execnz .LBB328_436
	s_branch .LBB328_437
.LBB328_456:
	s_mov_b64 s[20:21], -1
                                        ; implicit-def: $vgpr2
.LBB328_457:
	s_mov_b64 s[22:23], 0
.LBB328_458:
	s_and_b64 vcc, exec, s[22:23]
	s_cbranch_vccz .LBB328_462
; %bb.459:
	s_cmp_eq_u32 s28, 11
	s_cbranch_scc0 .LBB328_461
; %bb.460:
	global_load_ubyte v2, v[0:1], off
	s_mov_b64 s[0:1], -1
	s_mov_b64 s[20:21], 0
	s_waitcnt vmcnt(0)
	v_cmp_ne_u16_e32 vcc, 0, v2
	s_nop 1
	v_cndmask_b32_e64 v2, 0, 1.0, vcc
	s_branch .LBB328_462
.LBB328_461:
	s_mov_b64 s[20:21], -1
                                        ; implicit-def: $vgpr2
.LBB328_462:
	s_branch .LBB328_265
.LBB328_463:
	s_cmp_lt_i32 s28, 5
	s_cbranch_scc1 .LBB328_468
; %bb.464:
	s_cmp_lt_i32 s28, 8
	s_cbranch_scc1 .LBB328_469
; %bb.465:
	;; [unrolled: 3-line block ×3, first 2 shown]
	s_cmp_gt_i32 s28, 9
	s_cbranch_scc0 .LBB328_471
; %bb.467:
	global_load_dwordx2 v[2:3], v[0:1], off
	s_mov_b64 s[0:1], 0
	s_waitcnt vmcnt(0)
	v_cvt_f32_f64_e32 v2, v[2:3]
	s_branch .LBB328_472
.LBB328_468:
	s_mov_b64 s[0:1], -1
                                        ; implicit-def: $vgpr2
	s_branch .LBB328_490
.LBB328_469:
	s_mov_b64 s[0:1], -1
                                        ; implicit-def: $vgpr2
	s_branch .LBB328_478
.LBB328_470:
	s_mov_b64 s[0:1], -1
                                        ; implicit-def: $vgpr2
	s_branch .LBB328_475
.LBB328_471:
	s_mov_b64 s[0:1], -1
                                        ; implicit-def: $vgpr2
.LBB328_472:
	s_andn2_b64 vcc, exec, s[0:1]
	s_cbranch_vccnz .LBB328_474
; %bb.473:
	global_load_dword v2, v[0:1], off
.LBB328_474:
	s_mov_b64 s[0:1], 0
.LBB328_475:
	s_andn2_b64 vcc, exec, s[0:1]
	s_cbranch_vccnz .LBB328_477
; %bb.476:
	global_load_dword v2, v[0:1], off
	s_waitcnt vmcnt(0)
	v_cvt_f32_f16_e32 v2, v2
.LBB328_477:
	s_mov_b64 s[0:1], 0
.LBB328_478:
	s_andn2_b64 vcc, exec, s[0:1]
	s_cbranch_vccnz .LBB328_489
; %bb.479:
	s_cmp_lt_i32 s28, 6
	s_cbranch_scc1 .LBB328_482
; %bb.480:
	s_cmp_gt_i32 s28, 6
	s_cbranch_scc0 .LBB328_483
; %bb.481:
	global_load_dwordx2 v[2:3], v[0:1], off
	s_mov_b64 s[0:1], 0
	s_waitcnt vmcnt(0)
	v_cvt_f32_f64_e32 v2, v[2:3]
	s_branch .LBB328_484
.LBB328_482:
	s_mov_b64 s[0:1], -1
                                        ; implicit-def: $vgpr2
	s_branch .LBB328_487
.LBB328_483:
	s_mov_b64 s[0:1], -1
                                        ; implicit-def: $vgpr2
.LBB328_484:
	s_andn2_b64 vcc, exec, s[0:1]
	s_cbranch_vccnz .LBB328_486
; %bb.485:
	global_load_dword v2, v[0:1], off
.LBB328_486:
	s_mov_b64 s[0:1], 0
.LBB328_487:
	s_andn2_b64 vcc, exec, s[0:1]
	s_cbranch_vccnz .LBB328_489
; %bb.488:
	global_load_ushort v2, v[0:1], off
	s_waitcnt vmcnt(0)
	v_cvt_f32_f16_e32 v2, v2
.LBB328_489:
	s_mov_b64 s[0:1], 0
.LBB328_490:
	s_andn2_b64 vcc, exec, s[0:1]
	s_cbranch_vccnz .LBB328_510
; %bb.491:
	s_cmp_lt_i32 s28, 2
	s_cbranch_scc1 .LBB328_495
; %bb.492:
	s_cmp_lt_i32 s28, 3
	s_cbranch_scc1 .LBB328_496
; %bb.493:
	s_cmp_gt_i32 s28, 3
	s_cbranch_scc0 .LBB328_497
; %bb.494:
	global_load_dwordx2 v[2:3], v[0:1], off
	s_mov_b64 s[0:1], 0
	s_waitcnt vmcnt(0)
	v_xor_b32_e32 v6, v2, v3
	v_ffbh_i32_e32 v4, v3
	v_ashrrev_i32_e32 v6, 31, v6
	v_add_u32_e32 v4, -1, v4
	v_add_u32_e32 v6, 32, v6
	v_min_u32_e32 v4, v4, v6
	v_lshlrev_b64 v[2:3], v4, v[2:3]
	v_min_u32_e32 v2, 1, v2
	v_or_b32_e32 v2, v3, v2
	v_cvt_f32_i32_e32 v2, v2
	v_sub_u32_e32 v3, 32, v4
	v_ldexp_f32 v2, v2, v3
	s_branch .LBB328_498
.LBB328_495:
	s_mov_b64 s[0:1], -1
                                        ; implicit-def: $vgpr2
	s_branch .LBB328_504
.LBB328_496:
	s_mov_b64 s[0:1], -1
                                        ; implicit-def: $vgpr2
	s_branch .LBB328_501
.LBB328_497:
	s_mov_b64 s[0:1], -1
                                        ; implicit-def: $vgpr2
.LBB328_498:
	s_andn2_b64 vcc, exec, s[0:1]
	s_cbranch_vccnz .LBB328_500
; %bb.499:
	global_load_dword v2, v[0:1], off
	s_waitcnt vmcnt(0)
	v_cvt_f32_i32_e32 v2, v2
.LBB328_500:
	s_mov_b64 s[0:1], 0
.LBB328_501:
	s_andn2_b64 vcc, exec, s[0:1]
	s_cbranch_vccnz .LBB328_503
; %bb.502:
	global_load_sshort v2, v[0:1], off
	s_waitcnt vmcnt(0)
	v_cvt_f32_i32_e32 v2, v2
.LBB328_503:
	s_mov_b64 s[0:1], 0
.LBB328_504:
	s_andn2_b64 vcc, exec, s[0:1]
	s_cbranch_vccnz .LBB328_510
; %bb.505:
	s_cmp_gt_i32 s28, 0
	s_cbranch_scc0 .LBB328_507
; %bb.506:
	global_load_sbyte v2, v[0:1], off
	s_mov_b64 s[0:1], 0
	s_waitcnt vmcnt(0)
	v_cvt_f32_i32_e32 v2, v2
	s_branch .LBB328_508
.LBB328_507:
	s_mov_b64 s[0:1], -1
                                        ; implicit-def: $vgpr2
.LBB328_508:
	s_andn2_b64 vcc, exec, s[0:1]
	s_cbranch_vccnz .LBB328_510
; %bb.509:
	global_load_ubyte v0, v[0:1], off
	s_waitcnt vmcnt(0)
	v_cvt_f32_ubyte0_e32 v2, v0
.LBB328_510:
	s_branch .LBB328_266
.LBB328_511:
	s_mov_b64 s[26:27], 0
                                        ; implicit-def: $vgpr5
	s_mov_b64 s[0:1], s[14:15]
.LBB328_512:
	s_andn2_b64 s[22:23], s[14:15], exec
	s_and_b64 s[0:1], s[0:1], exec
	s_or_b64 s[22:23], s[22:23], s[0:1]
	s_andn2_b64 s[0:1], s[16:17], exec
	s_and_b64 s[20:21], s[20:21], exec
	s_or_b64 s[20:21], s[0:1], s[20:21]
	s_orn2_b64 s[0:1], s[26:27], exec
.LBB328_513:
	s_or_b64 exec, exec, s[24:25]
	s_mov_b64 s[26:27], 0
	s_mov_b64 s[28:29], 0
	;; [unrolled: 1-line block ×3, first 2 shown]
                                        ; implicit-def: $vgpr0_vgpr1
                                        ; implicit-def: $vgpr3
	s_and_saveexec_b64 s[24:25], s[0:1]
	s_cbranch_execz .LBB328_858
; %bb.514:
	v_cmp_gt_i32_e32 vcc, s40, v5
	s_mov_b64 s[36:37], -1
	s_mov_b64 s[0:1], s[20:21]
	s_mov_b64 s[30:31], s[22:23]
	s_and_saveexec_b64 s[26:27], vcc
	s_cbranch_execz .LBB328_772
; %bb.515:
	v_mul_lo_u32 v0, v5, s9
	v_ashrrev_i32_e32 v1, 31, v0
	s_and_b32 s36, 0xffff, s44
	s_cmp_lt_i32 s36, 11
	v_lshl_add_u64 v[0:1], s[6:7], 0, v[0:1]
	s_cbranch_scc1 .LBB328_522
; %bb.516:
	s_cmp_gt_i32 s36, 25
	s_cbranch_scc0 .LBB328_523
; %bb.517:
	s_cmp_gt_i32 s36, 28
	s_cbranch_scc0 .LBB328_524
	;; [unrolled: 3-line block ×4, first 2 shown]
; %bb.520:
	s_cmp_eq_u32 s36, 46
	s_mov_b64 s[30:31], 0
	s_cbranch_scc0 .LBB328_531
; %bb.521:
	global_load_dword v2, v[0:1], off
	s_mov_b64 s[0:1], -1
	s_waitcnt vmcnt(0)
	v_lshlrev_b32_e32 v2, 16, v2
	s_branch .LBB328_532
.LBB328_522:
	s_mov_b64 s[30:31], -1
	s_mov_b64 s[0:1], 0
                                        ; implicit-def: $vgpr2
	s_mov_b64 s[28:29], s[20:21]
	s_branch .LBB328_597
.LBB328_523:
	s_mov_b64 s[30:31], -1
	s_mov_b64 s[0:1], 0
	s_mov_b64 s[28:29], s[20:21]
                                        ; implicit-def: $vgpr2
	s_branch .LBB328_561
.LBB328_524:
	s_mov_b64 s[30:31], -1
	s_mov_b64 s[0:1], 0
	s_mov_b64 s[28:29], s[20:21]
                                        ; implicit-def: $vgpr2
	s_branch .LBB328_542
.LBB328_525:
	s_mov_b64 s[30:31], -1
	s_mov_b64 s[0:1], 0
	s_mov_b64 s[28:29], s[20:21]
                                        ; implicit-def: $vgpr2
	s_branch .LBB328_537
.LBB328_526:
	s_andn2_saveexec_b64 s[28:29], s[28:29]
	s_cbranch_execz .LBB328_311
.LBB328_527:
	s_mov_b32 s34, 0x46000000
	v_add_f32_e64 v3, |v2|, s34
	v_and_b32_e32 v3, 0xff, v3
	v_cmp_ne_u32_e32 vcc, 0, v3
	s_andn2_b64 s[26:27], s[26:27], exec
	s_and_b64 s[34:35], vcc, exec
	s_or_b64 s[26:27], s[26:27], s[34:35]
	s_or_b64 exec, exec, s[28:29]
	v_mov_b32_e32 v4, 0
	s_and_saveexec_b64 s[28:29], s[26:27]
	s_cbranch_execnz .LBB328_312
	s_branch .LBB328_313
.LBB328_528:
	s_mov_b64 s[30:31], -1
	s_mov_b64 s[0:1], 0
	s_mov_b64 s[28:29], s[20:21]
                                        ; implicit-def: $vgpr2
	s_branch .LBB328_532
.LBB328_529:
	s_andn2_saveexec_b64 s[28:29], s[28:29]
	s_cbranch_execz .LBB328_324
.LBB328_530:
	s_mov_b32 s34, 0x42800000
	v_add_f32_e64 v3, |v2|, s34
	v_and_b32_e32 v3, 0xff, v3
	v_cmp_ne_u32_e32 vcc, 0, v3
	s_andn2_b64 s[26:27], s[26:27], exec
	s_and_b64 s[34:35], vcc, exec
	s_or_b64 s[26:27], s[26:27], s[34:35]
	s_or_b64 exec, exec, s[28:29]
	v_mov_b32_e32 v4, 0
	s_and_saveexec_b64 s[28:29], s[26:27]
	s_cbranch_execnz .LBB328_325
	s_branch .LBB328_326
.LBB328_531:
	s_mov_b64 s[28:29], -1
                                        ; implicit-def: $vgpr2
	s_mov_b64 s[0:1], 0
.LBB328_532:
	s_and_b64 vcc, exec, s[30:31]
	s_cbranch_vccz .LBB328_536
; %bb.533:
	s_cmp_eq_u32 s36, 44
	s_cbranch_scc0 .LBB328_535
; %bb.534:
	global_load_ubyte v2, v[0:1], off
	s_movk_i32 s28, 0xff
	v_mov_b32_e32 v3, 0x7f800001
	v_mov_b32_e32 v4, 0x400000
	s_mov_b64 s[0:1], -1
	s_waitcnt vmcnt(0)
	v_lshlrev_b32_e32 v6, 23, v2
	v_cmp_ne_u32_e32 vcc, s28, v2
	s_mov_b64 s[28:29], 0
	s_nop 0
	v_cndmask_b32_e32 v3, v3, v6, vcc
	v_cmp_ne_u32_e32 vcc, 0, v2
	s_nop 1
	v_cndmask_b32_e32 v2, v4, v3, vcc
	s_branch .LBB328_536
.LBB328_535:
	s_mov_b64 s[28:29], -1
                                        ; implicit-def: $vgpr2
.LBB328_536:
	s_mov_b64 s[30:31], 0
.LBB328_537:
	s_and_b64 vcc, exec, s[30:31]
	s_cbranch_vccz .LBB328_541
; %bb.538:
	s_cmp_eq_u32 s36, 29
	s_cbranch_scc0 .LBB328_540
; %bb.539:
	global_load_dwordx2 v[2:3], v[0:1], off
	s_mov_b64 s[0:1], -1
	s_mov_b64 s[28:29], 0
	s_mov_b64 s[30:31], 0
	s_waitcnt vmcnt(0)
	v_ffbh_u32_e32 v4, v3
	v_min_u32_e32 v4, 32, v4
	v_lshlrev_b64 v[2:3], v4, v[2:3]
	v_min_u32_e32 v2, 1, v2
	v_or_b32_e32 v2, v3, v2
	v_cvt_f32_u32_e32 v2, v2
	v_sub_u32_e32 v3, 32, v4
	v_ldexp_f32 v2, v2, v3
	s_branch .LBB328_542
.LBB328_540:
	s_mov_b64 s[28:29], -1
                                        ; implicit-def: $vgpr2
.LBB328_541:
	s_mov_b64 s[30:31], 0
.LBB328_542:
	s_and_b64 vcc, exec, s[30:31]
	s_cbranch_vccz .LBB328_560
; %bb.543:
	s_cmp_lt_i32 s36, 27
	s_cbranch_scc1 .LBB328_546
; %bb.544:
	s_cmp_gt_i32 s36, 27
	s_cbranch_scc0 .LBB328_547
; %bb.545:
	global_load_dword v2, v[0:1], off
	s_mov_b64 s[0:1], 0
	s_waitcnt vmcnt(0)
	v_cvt_f32_u32_e32 v2, v2
	s_branch .LBB328_548
.LBB328_546:
	s_mov_b64 s[0:1], -1
                                        ; implicit-def: $vgpr2
	s_branch .LBB328_551
.LBB328_547:
	s_mov_b64 s[0:1], -1
                                        ; implicit-def: $vgpr2
.LBB328_548:
	s_andn2_b64 vcc, exec, s[0:1]
	s_cbranch_vccnz .LBB328_550
; %bb.549:
	global_load_ushort v2, v[0:1], off
	s_waitcnt vmcnt(0)
	v_cvt_f32_u32_e32 v2, v2
.LBB328_550:
	s_mov_b64 s[0:1], 0
.LBB328_551:
	s_andn2_b64 vcc, exec, s[0:1]
	s_cbranch_vccnz .LBB328_559
; %bb.552:
	global_load_ubyte v3, v[0:1], off
	s_movk_i32 s0, 0x7f
	s_waitcnt vmcnt(0)
	v_cmp_lt_i16_e32 vcc, s0, v3
	s_mov_b64 s[0:1], 0
	s_and_saveexec_b64 s[30:31], vcc
	s_xor_b64 s[30:31], exec, s[30:31]
	s_cbranch_execz .LBB328_573
; %bb.553:
	s_movk_i32 s0, 0x80
	v_cmp_eq_u16_e32 vcc, s0, v3
	s_mov_b64 s[0:1], -1
	s_and_saveexec_b64 s[34:35], vcc
; %bb.554:
	s_xor_b64 s[0:1], exec, -1
; %bb.555:
	s_or_b64 exec, exec, s[34:35]
	s_and_b64 s[0:1], s[0:1], exec
	s_or_saveexec_b64 s[30:31], s[30:31]
	v_mov_b32_e32 v2, 0x7f800001
	s_xor_b64 exec, exec, s[30:31]
	s_cbranch_execnz .LBB328_574
.LBB328_556:
	s_or_b64 exec, exec, s[30:31]
	s_and_saveexec_b64 s[30:31], s[0:1]
	s_cbranch_execz .LBB328_558
.LBB328_557:
	v_lshlrev_b32_e32 v2, 24, v3
	v_and_b32_e32 v3, 0xffff, v3
	v_and_b32_e32 v4, 7, v3
	v_ffbh_u32_e32 v7, v4
	v_min_u32_e32 v7, 32, v7
	v_subrev_u32_e32 v8, 28, v7
	v_bfe_u32 v6, v3, 3, 4
	v_lshlrev_b32_e32 v3, v8, v3
	v_sub_u32_e32 v7, 29, v7
	v_and_b32_e32 v3, 7, v3
	v_cmp_eq_u32_e32 vcc, 0, v6
	v_and_b32_e32 v2, 0x80000000, v2
	s_nop 0
	v_cndmask_b32_e32 v6, v6, v7, vcc
	v_cndmask_b32_e32 v3, v4, v3, vcc
	v_mov_b32_e32 v4, 0x3b800000
	v_lshlrev_b32_e32 v3, 20, v3
	v_lshl_add_u32 v4, v6, 23, v4
	v_or3_b32 v2, v2, v4, v3
.LBB328_558:
	s_or_b64 exec, exec, s[30:31]
.LBB328_559:
	s_mov_b64 s[0:1], -1
.LBB328_560:
	s_mov_b64 s[30:31], 0
.LBB328_561:
	s_and_b64 vcc, exec, s[30:31]
	s_cbranch_vccz .LBB328_596
; %bb.562:
	s_cmp_gt_i32 s36, 22
	s_cbranch_scc0 .LBB328_572
; %bb.563:
	s_cmp_lt_i32 s36, 24
	s_cbranch_scc1 .LBB328_575
; %bb.564:
	s_cmp_gt_i32 s36, 24
	s_cbranch_scc0 .LBB328_576
; %bb.565:
	global_load_ubyte v3, v[0:1], off
	s_movk_i32 s0, 0x7f
	s_waitcnt vmcnt(0)
	v_cmp_lt_i16_e32 vcc, s0, v3
	s_mov_b64 s[0:1], 0
	s_and_saveexec_b64 s[30:31], vcc
	s_xor_b64 s[30:31], exec, s[30:31]
	s_cbranch_execz .LBB328_588
; %bb.566:
	s_movk_i32 s0, 0x80
	v_cmp_eq_u16_e32 vcc, s0, v3
	s_mov_b64 s[0:1], -1
	s_and_saveexec_b64 s[34:35], vcc
; %bb.567:
	s_xor_b64 s[0:1], exec, -1
; %bb.568:
	s_or_b64 exec, exec, s[34:35]
	s_and_b64 s[0:1], s[0:1], exec
	s_or_saveexec_b64 s[30:31], s[30:31]
	v_mov_b32_e32 v2, 0x7f800001
	s_xor_b64 exec, exec, s[30:31]
	s_cbranch_execnz .LBB328_589
.LBB328_569:
	s_or_b64 exec, exec, s[30:31]
	s_and_saveexec_b64 s[30:31], s[0:1]
	s_cbranch_execz .LBB328_571
.LBB328_570:
	v_lshlrev_b32_e32 v2, 24, v3
	v_and_b32_e32 v3, 0xffff, v3
	v_and_b32_e32 v4, 3, v3
	v_ffbh_u32_e32 v7, v4
	v_min_u32_e32 v7, 32, v7
	v_subrev_u32_e32 v8, 29, v7
	v_bfe_u32 v6, v3, 2, 5
	v_lshlrev_b32_e32 v3, v8, v3
	v_sub_u32_e32 v7, 30, v7
	v_and_b32_e32 v3, 3, v3
	v_cmp_eq_u32_e32 vcc, 0, v6
	v_and_b32_e32 v2, 0x80000000, v2
	s_nop 0
	v_cndmask_b32_e32 v6, v6, v7, vcc
	v_cndmask_b32_e32 v3, v4, v3, vcc
	v_mov_b32_e32 v4, 0x37800000
	v_lshlrev_b32_e32 v3, 21, v3
	v_lshl_add_u32 v4, v6, 23, v4
	v_or3_b32 v2, v2, v4, v3
.LBB328_571:
	s_or_b64 exec, exec, s[30:31]
	s_mov_b64 s[0:1], 0
	s_branch .LBB328_577
.LBB328_572:
	s_mov_b64 s[30:31], -1
                                        ; implicit-def: $vgpr2
	s_branch .LBB328_583
.LBB328_573:
	s_or_saveexec_b64 s[30:31], s[30:31]
	v_mov_b32_e32 v2, 0x7f800001
	s_xor_b64 exec, exec, s[30:31]
	s_cbranch_execz .LBB328_556
.LBB328_574:
	v_cmp_ne_u16_e32 vcc, 0, v3
	s_andn2_b64 s[0:1], s[0:1], exec
	s_and_b64 s[34:35], vcc, exec
	v_mov_b32_e32 v2, 0
	s_or_b64 s[0:1], s[0:1], s[34:35]
	s_or_b64 exec, exec, s[30:31]
	s_and_saveexec_b64 s[30:31], s[0:1]
	s_cbranch_execnz .LBB328_557
	s_branch .LBB328_558
.LBB328_575:
	s_mov_b64 s[0:1], -1
                                        ; implicit-def: $vgpr2
	s_branch .LBB328_580
.LBB328_576:
	s_mov_b64 s[0:1], -1
                                        ; implicit-def: $vgpr2
.LBB328_577:
	s_and_b64 vcc, exec, s[0:1]
	s_cbranch_vccz .LBB328_579
; %bb.578:
	global_load_ubyte v2, v[0:1], off
	s_mov_b32 s0, 0x7f800000
	s_waitcnt vmcnt(0)
	v_lshlrev_b32_e32 v2, 24, v2
	v_and_b32_e32 v3, 0x7f000000, v2
	v_ffbh_u32_e32 v4, v3
	v_min_u32_e32 v4, 32, v4
	v_sub_u32_e64 v4, v4, 4 clamp
	v_lshlrev_b32_e32 v7, v4, v3
	v_lshlrev_b32_e32 v4, 23, v4
	v_lshrrev_b32_e32 v7, 4, v7
	v_add_u32_e32 v6, 0x1000000, v3
	v_sub_u32_e32 v4, v7, v4
	v_ashrrev_i32_e32 v6, 8, v6
	v_add_u32_e32 v4, 0x3c000000, v4
	v_and_or_b32 v4, v6, s0, v4
	v_cmp_ne_u32_e32 vcc, 0, v3
	s_brev_b32 s0, 1
	s_nop 0
	v_cndmask_b32_e32 v3, 0, v4, vcc
	v_and_or_b32 v2, v2, s0, v3
.LBB328_579:
	s_mov_b64 s[0:1], 0
.LBB328_580:
	s_andn2_b64 vcc, exec, s[0:1]
	s_cbranch_vccnz .LBB328_582
; %bb.581:
	global_load_ubyte v2, v[0:1], off
	s_movk_i32 s0, 0x7f00
	s_brev_b32 s1, 16
	s_waitcnt vmcnt(0)
	v_lshlrev_b16_e32 v3, 8, v2
	v_lshlrev_b32_e32 v2, 25, v2
	v_lshrrev_b32_e32 v4, 4, v2
	v_and_or_b32 v6, v3, s0, 0.5
	v_or_b32_e32 v4, 0x70000000, v4
	v_add_f32_e32 v6, -0.5, v6
	v_mul_f32_e32 v4, 0x7800000, v4
	v_cmp_gt_u32_e32 vcc, s1, v2
	v_bfe_i32 v3, v3, 0, 16
	s_brev_b32 s0, 1
	v_cndmask_b32_e32 v2, v4, v6, vcc
	v_and_or_b32 v2, v3, s0, v2
.LBB328_582:
	s_mov_b64 s[30:31], 0
	s_mov_b64 s[0:1], -1
.LBB328_583:
	s_andn2_b64 vcc, exec, s[30:31]
	s_cbranch_vccnz .LBB328_596
; %bb.584:
	s_cmp_gt_i32 s36, 14
	s_cbranch_scc0 .LBB328_587
; %bb.585:
	s_cmp_eq_u32 s36, 15
	s_cbranch_scc0 .LBB328_590
; %bb.586:
	global_load_ushort v2, v[0:1], off
	s_mov_b64 s[0:1], -1
	s_mov_b64 s[28:29], 0
	s_waitcnt vmcnt(0)
	v_lshlrev_b32_e32 v2, 16, v2
	s_branch .LBB328_591
.LBB328_587:
	s_mov_b64 s[30:31], -1
                                        ; implicit-def: $vgpr2
	s_branch .LBB328_592
.LBB328_588:
	s_or_saveexec_b64 s[30:31], s[30:31]
	v_mov_b32_e32 v2, 0x7f800001
	s_xor_b64 exec, exec, s[30:31]
	s_cbranch_execz .LBB328_569
.LBB328_589:
	v_cmp_ne_u16_e32 vcc, 0, v3
	s_andn2_b64 s[0:1], s[0:1], exec
	s_and_b64 s[34:35], vcc, exec
	v_mov_b32_e32 v2, 0
	s_or_b64 s[0:1], s[0:1], s[34:35]
	s_or_b64 exec, exec, s[30:31]
	s_and_saveexec_b64 s[30:31], s[0:1]
	s_cbranch_execnz .LBB328_570
	s_branch .LBB328_571
.LBB328_590:
	s_mov_b64 s[28:29], -1
                                        ; implicit-def: $vgpr2
.LBB328_591:
	s_mov_b64 s[30:31], 0
.LBB328_592:
	s_and_b64 vcc, exec, s[30:31]
	s_cbranch_vccz .LBB328_596
; %bb.593:
	s_cmp_eq_u32 s36, 11
	s_cbranch_scc0 .LBB328_595
; %bb.594:
	global_load_ubyte v2, v[0:1], off
	s_mov_b64 s[0:1], -1
	s_mov_b64 s[28:29], 0
	s_waitcnt vmcnt(0)
	v_cmp_ne_u16_e32 vcc, 0, v2
	s_nop 1
	v_cndmask_b32_e64 v2, 0, 1.0, vcc
	s_branch .LBB328_596
.LBB328_595:
	s_mov_b64 s[28:29], -1
                                        ; implicit-def: $vgpr2
.LBB328_596:
	s_mov_b64 s[30:31], 0
.LBB328_597:
	s_and_b64 vcc, exec, s[30:31]
	s_cbranch_vccz .LBB328_646
; %bb.598:
	s_cmp_lt_i32 s36, 5
	s_cbranch_scc1 .LBB328_603
; %bb.599:
	s_cmp_lt_i32 s36, 8
	s_cbranch_scc1 .LBB328_604
	;; [unrolled: 3-line block ×3, first 2 shown]
; %bb.601:
	s_cmp_gt_i32 s36, 9
	s_cbranch_scc0 .LBB328_606
; %bb.602:
	global_load_dwordx2 v[2:3], v[0:1], off
	s_mov_b64 s[0:1], 0
	s_waitcnt vmcnt(0)
	v_cvt_f32_f64_e32 v2, v[2:3]
	s_branch .LBB328_607
.LBB328_603:
	s_mov_b64 s[0:1], -1
                                        ; implicit-def: $vgpr2
	s_branch .LBB328_625
.LBB328_604:
	s_mov_b64 s[0:1], -1
                                        ; implicit-def: $vgpr2
	s_branch .LBB328_613
.LBB328_605:
	s_mov_b64 s[0:1], -1
                                        ; implicit-def: $vgpr2
	s_branch .LBB328_610
.LBB328_606:
	s_mov_b64 s[0:1], -1
                                        ; implicit-def: $vgpr2
.LBB328_607:
	s_andn2_b64 vcc, exec, s[0:1]
	s_cbranch_vccnz .LBB328_609
; %bb.608:
	global_load_dword v2, v[0:1], off
.LBB328_609:
	s_mov_b64 s[0:1], 0
.LBB328_610:
	s_andn2_b64 vcc, exec, s[0:1]
	s_cbranch_vccnz .LBB328_612
; %bb.611:
	global_load_dword v2, v[0:1], off
	s_waitcnt vmcnt(0)
	v_cvt_f32_f16_e32 v2, v2
.LBB328_612:
	s_mov_b64 s[0:1], 0
.LBB328_613:
	s_andn2_b64 vcc, exec, s[0:1]
	s_cbranch_vccnz .LBB328_624
; %bb.614:
	s_cmp_lt_i32 s36, 6
	s_cbranch_scc1 .LBB328_617
; %bb.615:
	s_cmp_gt_i32 s36, 6
	s_cbranch_scc0 .LBB328_618
; %bb.616:
	global_load_dwordx2 v[2:3], v[0:1], off
	s_mov_b64 s[0:1], 0
	s_waitcnt vmcnt(0)
	v_cvt_f32_f64_e32 v2, v[2:3]
	s_branch .LBB328_619
.LBB328_617:
	s_mov_b64 s[0:1], -1
                                        ; implicit-def: $vgpr2
	s_branch .LBB328_622
.LBB328_618:
	s_mov_b64 s[0:1], -1
                                        ; implicit-def: $vgpr2
.LBB328_619:
	s_andn2_b64 vcc, exec, s[0:1]
	s_cbranch_vccnz .LBB328_621
; %bb.620:
	global_load_dword v2, v[0:1], off
.LBB328_621:
	s_mov_b64 s[0:1], 0
.LBB328_622:
	s_andn2_b64 vcc, exec, s[0:1]
	s_cbranch_vccnz .LBB328_624
; %bb.623:
	global_load_ushort v2, v[0:1], off
	s_waitcnt vmcnt(0)
	v_cvt_f32_f16_e32 v2, v2
.LBB328_624:
	s_mov_b64 s[0:1], 0
.LBB328_625:
	s_andn2_b64 vcc, exec, s[0:1]
	s_cbranch_vccnz .LBB328_645
; %bb.626:
	s_cmp_lt_i32 s36, 2
	s_cbranch_scc1 .LBB328_630
; %bb.627:
	s_cmp_lt_i32 s36, 3
	s_cbranch_scc1 .LBB328_631
; %bb.628:
	s_cmp_gt_i32 s36, 3
	s_cbranch_scc0 .LBB328_632
; %bb.629:
	global_load_dwordx2 v[2:3], v[0:1], off
	s_mov_b64 s[0:1], 0
	s_waitcnt vmcnt(0)
	v_xor_b32_e32 v6, v2, v3
	v_ffbh_i32_e32 v4, v3
	v_ashrrev_i32_e32 v6, 31, v6
	v_add_u32_e32 v4, -1, v4
	v_add_u32_e32 v6, 32, v6
	v_min_u32_e32 v4, v4, v6
	v_lshlrev_b64 v[2:3], v4, v[2:3]
	v_min_u32_e32 v2, 1, v2
	v_or_b32_e32 v2, v3, v2
	v_cvt_f32_i32_e32 v2, v2
	v_sub_u32_e32 v3, 32, v4
	v_ldexp_f32 v2, v2, v3
	s_branch .LBB328_633
.LBB328_630:
	s_mov_b64 s[0:1], -1
                                        ; implicit-def: $vgpr2
	s_branch .LBB328_639
.LBB328_631:
	s_mov_b64 s[0:1], -1
                                        ; implicit-def: $vgpr2
	s_branch .LBB328_636
.LBB328_632:
	s_mov_b64 s[0:1], -1
                                        ; implicit-def: $vgpr2
.LBB328_633:
	s_andn2_b64 vcc, exec, s[0:1]
	s_cbranch_vccnz .LBB328_635
; %bb.634:
	global_load_dword v2, v[0:1], off
	s_waitcnt vmcnt(0)
	v_cvt_f32_i32_e32 v2, v2
.LBB328_635:
	s_mov_b64 s[0:1], 0
.LBB328_636:
	s_andn2_b64 vcc, exec, s[0:1]
	s_cbranch_vccnz .LBB328_638
; %bb.637:
	global_load_sshort v2, v[0:1], off
	s_waitcnt vmcnt(0)
	v_cvt_f32_i32_e32 v2, v2
.LBB328_638:
	s_mov_b64 s[0:1], 0
.LBB328_639:
	s_andn2_b64 vcc, exec, s[0:1]
	s_cbranch_vccnz .LBB328_645
; %bb.640:
	s_cmp_gt_i32 s36, 0
	s_cbranch_scc0 .LBB328_642
; %bb.641:
	global_load_sbyte v2, v[0:1], off
	s_mov_b64 s[0:1], 0
	s_waitcnt vmcnt(0)
	v_cvt_f32_i32_e32 v2, v2
	s_branch .LBB328_643
.LBB328_642:
	s_mov_b64 s[0:1], -1
                                        ; implicit-def: $vgpr2
.LBB328_643:
	s_andn2_b64 vcc, exec, s[0:1]
	s_cbranch_vccnz .LBB328_645
; %bb.644:
	global_load_ubyte v0, v[0:1], off
	s_waitcnt vmcnt(0)
	v_cvt_f32_ubyte0_e32 v2, v0
.LBB328_645:
	s_mov_b64 s[0:1], -1
.LBB328_646:
	s_andn2_b64 vcc, exec, s[0:1]
	s_cbranch_vccnz .LBB328_654
; %bb.647:
	v_max_f32_e64 v0, s10, s10
	s_waitcnt vmcnt(0)
	v_max_f32_e32 v1, v2, v2
	v_max_f32_e32 v0, v1, v0
	v_max_f32_e64 v1, s11, s11
	v_min_f32_e32 v0, v0, v1
	v_cmp_u_f32_e32 vcc, v2, v2
	s_and_b32 s38, s33, 0xff
	s_cmp_lt_i32 s38, 11
	v_cndmask_b32_e32 v2, v0, v2, vcc
	v_mul_lo_u32 v0, v5, s8
	v_ashrrev_i32_e32 v1, 31, v0
	v_lshl_add_u64 v[0:1], s[4:5], 0, v[0:1]
	s_cbranch_scc1 .LBB328_655
; %bb.648:
	s_and_b32 s39, 0xffff, s38
	s_cmp_gt_i32 s39, 25
	s_cbranch_scc0 .LBB328_656
; %bb.649:
	s_cmp_gt_i32 s39, 28
	s_cbranch_scc0 .LBB328_657
; %bb.650:
	;; [unrolled: 3-line block ×4, first 2 shown]
	s_mov_b64 s[34:35], 0
	s_mov_b64 s[0:1], -1
	s_cmp_eq_u32 s39, 46
	s_mov_b64 s[30:31], 0
	s_cbranch_scc0 .LBB328_660
; %bb.653:
	v_bfe_u32 v3, v2, 16, 1
	s_movk_i32 s0, 0x7fff
	v_add3_u32 v3, v2, v3, s0
	v_cmp_o_f32_e32 vcc, v2, v2
	v_mov_b32_e32 v4, 0x7fc0
	s_mov_b64 s[30:31], -1
	v_cndmask_b32_sdwa v3, v4, v3, vcc dst_sel:DWORD dst_unused:UNUSED_PAD src0_sel:DWORD src1_sel:WORD_1
	global_store_dword v[0:1], v3, off
	s_mov_b64 s[0:1], 0
	s_branch .LBB328_660
.LBB328_654:
	s_mov_b64 s[34:35], 0
                                        ; implicit-def: $vgpr5
	s_mov_b64 s[0:1], s[22:23]
	s_branch .LBB328_771
.LBB328_655:
	s_mov_b64 s[34:35], -1
	s_mov_b64 s[30:31], 0
	s_mov_b64 s[0:1], s[22:23]
	s_branch .LBB328_729
.LBB328_656:
	s_mov_b64 s[34:35], -1
	s_mov_b64 s[30:31], 0
	s_mov_b64 s[0:1], s[22:23]
	s_branch .LBB328_687
.LBB328_657:
	s_mov_b64 s[34:35], -1
	s_mov_b64 s[30:31], 0
	s_mov_b64 s[0:1], s[22:23]
	s_branch .LBB328_670
.LBB328_658:
	s_mov_b64 s[34:35], -1
	s_mov_b64 s[30:31], 0
	s_mov_b64 s[0:1], s[22:23]
	s_branch .LBB328_666
.LBB328_659:
	s_mov_b64 s[34:35], -1
	s_mov_b64 s[30:31], 0
	s_mov_b64 s[0:1], s[22:23]
.LBB328_660:
	s_and_b64 vcc, exec, s[34:35]
	s_cbranch_vccz .LBB328_665
; %bb.661:
	s_cmp_eq_u32 s39, 44
	s_mov_b64 s[0:1], -1
	s_cbranch_scc0 .LBB328_665
; %bb.662:
	v_bfe_u32 v3, v2, 23, 8
	s_movk_i32 s0, 0xff
	v_cmp_ne_u32_e32 vcc, s0, v3
	v_mov_b32_e32 v4, 0xff
	s_and_saveexec_b64 s[30:31], vcc
; %bb.663:
	s_mov_b32 s0, 0x3fffff
	v_and_b32_e32 v6, 0x400000, v2
	v_and_or_b32 v3, v2, s0, v3
	v_cmp_ne_u32_e32 vcc, 0, v6
	v_cmp_ne_u32_e64 s[0:1], 0, v3
	s_and_b64 s[0:1], vcc, s[0:1]
	v_lshrrev_b32_e32 v4, 23, v2
	v_cndmask_b32_e64 v3, 0, 1, s[0:1]
	v_add_u32_e32 v4, v4, v3
; %bb.664:
	s_or_b64 exec, exec, s[30:31]
	s_mov_b64 s[30:31], -1
	s_mov_b64 s[0:1], 0
	global_store_byte v[0:1], v4, off
.LBB328_665:
	s_mov_b64 s[34:35], 0
.LBB328_666:
	s_and_b64 vcc, exec, s[34:35]
	s_cbranch_vccz .LBB328_669
; %bb.667:
	s_cmp_eq_u32 s39, 29
	s_mov_b64 s[0:1], -1
	s_cbranch_scc0 .LBB328_669
; %bb.668:
	v_trunc_f32_e32 v3, v2
	v_mul_f32_e32 v4, 0x2f800000, v3
	v_floor_f32_e32 v4, v4
	v_fmamk_f32 v3, v4, 0xcf800000, v3
	v_cvt_u32_f32_e32 v7, v4
	v_cvt_u32_f32_e32 v6, v3
	s_mov_b64 s[30:31], -1
	s_mov_b64 s[0:1], 0
	s_mov_b64 s[34:35], 0
	global_store_dwordx2 v[0:1], v[6:7], off
	s_branch .LBB328_670
.LBB328_669:
	s_mov_b64 s[34:35], 0
.LBB328_670:
	s_and_b64 vcc, exec, s[34:35]
	s_cbranch_vccz .LBB328_686
; %bb.671:
	s_cmp_lt_i32 s39, 27
	s_mov_b64 s[30:31], -1
	s_cbranch_scc1 .LBB328_677
; %bb.672:
	v_cvt_u32_f32_e32 v3, v2
	s_cmp_gt_i32 s39, 27
	s_cbranch_scc0 .LBB328_674
; %bb.673:
	s_mov_b64 s[30:31], 0
	global_store_dword v[0:1], v3, off
.LBB328_674:
	s_andn2_b64 vcc, exec, s[30:31]
	s_cbranch_vccnz .LBB328_676
; %bb.675:
	global_store_short v[0:1], v3, off
.LBB328_676:
	s_mov_b64 s[30:31], 0
.LBB328_677:
	s_andn2_b64 vcc, exec, s[30:31]
	s_cbranch_vccnz .LBB328_685
; %bb.678:
	v_and_b32_e32 v3, 0x7fffffff, v2
	s_mov_b32 s30, 0x43800000
	v_cmp_gt_u32_e32 vcc, s30, v3
	v_mov_b32_e32 v4, 0x80
	s_and_saveexec_b64 s[30:31], vcc
	s_cbranch_execz .LBB328_684
; %bb.679:
	s_mov_b32 s34, 0x3bffffff
	v_cmp_lt_u32_e32 vcc, s34, v3
	s_mov_b64 s[34:35], 0
                                        ; implicit-def: $vgpr3
	s_and_saveexec_b64 s[36:37], vcc
	s_xor_b64 s[36:37], exec, s[36:37]
	s_cbranch_execz .LBB328_785
; %bb.680:
	v_bfe_u32 v3, v2, 20, 1
	s_mov_b32 s41, 0x487ffff
	v_add3_u32 v3, v2, v3, s41
	s_mov_b64 s[34:35], exec
	v_lshrrev_b32_e32 v3, 20, v3
	s_andn2_saveexec_b64 s[36:37], s[36:37]
	s_cbranch_execnz .LBB328_786
.LBB328_681:
	s_or_b64 exec, exec, s[36:37]
	v_mov_b32_e32 v4, 0
	s_and_saveexec_b64 s[36:37], s[34:35]
.LBB328_682:
	v_lshrrev_b32_e32 v4, 24, v2
	s_movk_i32 s34, 0x80
	v_and_or_b32 v4, v4, s34, v3
.LBB328_683:
	s_or_b64 exec, exec, s[36:37]
.LBB328_684:
	s_or_b64 exec, exec, s[30:31]
	global_store_byte v[0:1], v4, off
.LBB328_685:
	s_mov_b64 s[30:31], -1
.LBB328_686:
	s_mov_b64 s[34:35], 0
.LBB328_687:
	s_and_b64 vcc, exec, s[34:35]
	s_cbranch_vccz .LBB328_728
; %bb.688:
	s_cmp_gt_i32 s39, 22
	s_mov_b64 s[34:35], -1
	s_cbranch_scc0 .LBB328_720
; %bb.689:
	s_cmp_lt_i32 s39, 24
	s_mov_b64 s[30:31], -1
	s_cbranch_scc1 .LBB328_709
; %bb.690:
	s_cmp_gt_i32 s39, 24
	s_cbranch_scc0 .LBB328_698
; %bb.691:
	v_and_b32_e32 v3, 0x7fffffff, v2
	s_mov_b32 s30, 0x47800000
	v_cmp_gt_u32_e32 vcc, s30, v3
	v_mov_b32_e32 v4, 0x80
	s_and_saveexec_b64 s[30:31], vcc
	s_cbranch_execz .LBB328_697
; %bb.692:
	s_mov_b32 s34, 0x37ffffff
	v_cmp_lt_u32_e32 vcc, s34, v3
	s_mov_b64 s[34:35], 0
                                        ; implicit-def: $vgpr3
	s_and_saveexec_b64 s[36:37], vcc
	s_xor_b64 s[36:37], exec, s[36:37]
	s_cbranch_execz .LBB328_788
; %bb.693:
	v_bfe_u32 v3, v2, 21, 1
	s_mov_b32 s41, 0x88fffff
	v_add3_u32 v3, v2, v3, s41
	s_mov_b64 s[34:35], exec
	v_lshrrev_b32_e32 v3, 21, v3
	s_andn2_saveexec_b64 s[36:37], s[36:37]
	s_cbranch_execnz .LBB328_789
.LBB328_694:
	s_or_b64 exec, exec, s[36:37]
	v_mov_b32_e32 v4, 0
	s_and_saveexec_b64 s[36:37], s[34:35]
.LBB328_695:
	v_lshrrev_b32_e32 v4, 24, v2
	s_movk_i32 s34, 0x80
	v_and_or_b32 v4, v4, s34, v3
.LBB328_696:
	s_or_b64 exec, exec, s[36:37]
.LBB328_697:
	s_or_b64 exec, exec, s[30:31]
	s_mov_b64 s[30:31], 0
	global_store_byte v[0:1], v4, off
.LBB328_698:
	s_and_b64 vcc, exec, s[30:31]
	s_cbranch_vccz .LBB328_708
; %bb.699:
	v_and_b32_e32 v4, 0x7fffffff, v2
	s_mov_b32 s30, 0x43f00000
	v_cmp_gt_u32_e32 vcc, s30, v4
                                        ; implicit-def: $vgpr3
	s_and_saveexec_b64 s[30:31], vcc
	s_xor_b64 s[30:31], exec, s[30:31]
	s_cbranch_execz .LBB328_705
; %bb.700:
	s_mov_b32 s34, 0x3c7fffff
	v_cmp_lt_u32_e32 vcc, s34, v4
                                        ; implicit-def: $vgpr3
	s_and_saveexec_b64 s[34:35], vcc
	s_xor_b64 s[34:35], exec, s[34:35]
; %bb.701:
	v_bfe_u32 v3, v2, 20, 1
	s_mov_b32 s36, 0x407ffff
	v_add3_u32 v3, v2, v3, s36
	v_lshrrev_b32_e32 v4, 20, v3
	v_and_b32_e32 v3, 0xff00000, v3
	s_mov_b32 s36, 0x7f00000
	v_mov_b32_e32 v6, 0x7e
	v_cmp_ne_u32_e32 vcc, s36, v3
	s_nop 1
	v_cndmask_b32_e32 v3, v6, v4, vcc
; %bb.702:
	s_andn2_saveexec_b64 s[34:35], s[34:35]
; %bb.703:
	s_mov_b32 s36, 0x46800000
	v_add_f32_e64 v3, |v2|, s36
; %bb.704:
	s_or_b64 exec, exec, s[34:35]
                                        ; implicit-def: $vgpr4
.LBB328_705:
	s_andn2_saveexec_b64 s[30:31], s[30:31]
; %bb.706:
	s_mov_b32 s34, 0x7f800000
	v_mov_b32_e32 v3, 0x7e
	v_mov_b32_e32 v6, 0x7f
	v_cmp_lt_u32_e32 vcc, s34, v4
	s_nop 1
	v_cndmask_b32_e32 v3, v3, v6, vcc
; %bb.707:
	s_or_b64 exec, exec, s[30:31]
	v_lshrrev_b32_e32 v4, 24, v2
	s_movk_i32 s30, 0x80
	v_and_or_b32 v3, v4, s30, v3
	global_store_byte v[0:1], v3, off
.LBB328_708:
	s_mov_b64 s[30:31], 0
.LBB328_709:
	s_andn2_b64 vcc, exec, s[30:31]
	s_cbranch_vccnz .LBB328_719
; %bb.710:
	v_and_b32_e32 v4, 0x7fffffff, v2
	s_mov_b32 s30, 0x47800000
	v_cmp_gt_u32_e32 vcc, s30, v4
                                        ; implicit-def: $vgpr3
	s_and_saveexec_b64 s[30:31], vcc
	s_xor_b64 s[30:31], exec, s[30:31]
	s_cbranch_execz .LBB328_716
; %bb.711:
	s_mov_b32 s34, 0x387fffff
	v_cmp_lt_u32_e32 vcc, s34, v4
                                        ; implicit-def: $vgpr3
	s_and_saveexec_b64 s[34:35], vcc
	s_xor_b64 s[34:35], exec, s[34:35]
; %bb.712:
	v_bfe_u32 v3, v2, 21, 1
	s_mov_b32 s36, 0x80fffff
	v_add3_u32 v3, v2, v3, s36
	v_lshrrev_b32_e32 v3, 21, v3
; %bb.713:
	s_andn2_saveexec_b64 s[34:35], s[34:35]
; %bb.714:
	s_mov_b32 s36, 0x43000000
	v_add_f32_e64 v3, |v2|, s36
; %bb.715:
	s_or_b64 exec, exec, s[34:35]
                                        ; implicit-def: $vgpr4
.LBB328_716:
	s_andn2_saveexec_b64 s[30:31], s[30:31]
; %bb.717:
	s_mov_b32 s34, 0x7f800000
	v_mov_b32_e32 v3, 0x7c
	v_mov_b32_e32 v6, 0x7f
	v_cmp_lt_u32_e32 vcc, s34, v4
	s_nop 1
	v_cndmask_b32_e32 v3, v3, v6, vcc
; %bb.718:
	s_or_b64 exec, exec, s[30:31]
	v_lshrrev_b32_e32 v4, 24, v2
	s_movk_i32 s30, 0x80
	v_and_or_b32 v3, v4, s30, v3
	global_store_byte v[0:1], v3, off
.LBB328_719:
	s_mov_b64 s[34:35], 0
	s_mov_b64 s[30:31], -1
.LBB328_720:
	s_andn2_b64 vcc, exec, s[34:35]
	s_cbranch_vccnz .LBB328_728
; %bb.721:
	s_cmp_gt_i32 s39, 14
	s_mov_b64 s[34:35], -1
	s_cbranch_scc0 .LBB328_725
; %bb.722:
	s_cmp_eq_u32 s39, 15
	s_mov_b64 s[0:1], -1
	s_cbranch_scc0 .LBB328_724
; %bb.723:
	v_bfe_u32 v3, v2, 16, 1
	s_movk_i32 s0, 0x7fff
	v_add3_u32 v3, v2, v3, s0
	v_cmp_o_f32_e32 vcc, v2, v2
	v_mov_b32_e32 v4, 0x7fc0
	s_mov_b64 s[30:31], -1
	v_cndmask_b32_sdwa v3, v4, v3, vcc dst_sel:DWORD dst_unused:UNUSED_PAD src0_sel:DWORD src1_sel:WORD_1
	global_store_short v[0:1], v3, off
	s_mov_b64 s[0:1], 0
.LBB328_724:
	s_mov_b64 s[34:35], 0
.LBB328_725:
	s_and_b64 vcc, exec, s[34:35]
	s_cbranch_vccz .LBB328_728
; %bb.726:
	s_cmp_eq_u32 s39, 11
	s_mov_b64 s[0:1], -1
	s_cbranch_scc0 .LBB328_728
; %bb.727:
	v_cmp_neq_f32_e32 vcc, 0, v2
	s_mov_b64 s[30:31], -1
	s_mov_b64 s[0:1], 0
	v_cndmask_b32_e64 v3, 0, 1, vcc
	global_store_byte v[0:1], v3, off
.LBB328_728:
	s_mov_b64 s[34:35], 0
.LBB328_729:
	s_and_b64 vcc, exec, s[34:35]
	s_cbranch_vccz .LBB328_768
; %bb.730:
	s_and_b32 s34, 0xffff, s38
	s_cmp_lt_i32 s34, 5
	s_mov_b64 s[30:31], -1
	s_cbranch_scc1 .LBB328_751
; %bb.731:
	s_cmp_lt_i32 s34, 8
	s_cbranch_scc1 .LBB328_741
; %bb.732:
	s_cmp_lt_i32 s34, 9
	s_cbranch_scc1 .LBB328_738
; %bb.733:
	s_cmp_gt_i32 s34, 9
	s_cbranch_scc0 .LBB328_735
; %bb.734:
	v_mov_b32_e32 v8, 0
	v_cvt_f64_f32_e32 v[6:7], v2
	v_mov_b32_e32 v9, v8
	s_mov_b64 s[30:31], 0
	global_store_dwordx4 v[0:1], v[6:9], off
.LBB328_735:
	s_andn2_b64 vcc, exec, s[30:31]
	s_cbranch_vccnz .LBB328_737
; %bb.736:
	v_mov_b32_e32 v3, 0
	global_store_dwordx2 v[0:1], v[2:3], off
.LBB328_737:
	s_mov_b64 s[30:31], 0
.LBB328_738:
	s_andn2_b64 vcc, exec, s[30:31]
	s_cbranch_vccnz .LBB328_740
; %bb.739:
	v_cvt_f16_f32_e32 v3, v2
	global_store_dword v[0:1], v3, off
.LBB328_740:
	s_mov_b64 s[30:31], 0
.LBB328_741:
	s_andn2_b64 vcc, exec, s[30:31]
	s_cbranch_vccnz .LBB328_750
; %bb.742:
	s_cmp_lt_i32 s34, 6
	s_mov_b64 s[30:31], -1
	s_cbranch_scc1 .LBB328_748
; %bb.743:
	s_cmp_gt_i32 s34, 6
	s_cbranch_scc0 .LBB328_745
; %bb.744:
	v_cvt_f64_f32_e32 v[6:7], v2
	s_mov_b64 s[30:31], 0
	global_store_dwordx2 v[0:1], v[6:7], off
.LBB328_745:
	s_andn2_b64 vcc, exec, s[30:31]
	s_cbranch_vccnz .LBB328_747
; %bb.746:
	global_store_dword v[0:1], v2, off
.LBB328_747:
	s_mov_b64 s[30:31], 0
.LBB328_748:
	s_andn2_b64 vcc, exec, s[30:31]
	s_cbranch_vccnz .LBB328_750
; %bb.749:
	v_cvt_f16_f32_e32 v3, v2
	global_store_short v[0:1], v3, off
.LBB328_750:
	s_mov_b64 s[30:31], 0
.LBB328_751:
	s_andn2_b64 vcc, exec, s[30:31]
	s_cbranch_vccnz .LBB328_767
; %bb.752:
	s_cmp_lt_i32 s34, 2
	s_mov_b64 s[30:31], -1
	s_cbranch_scc1 .LBB328_762
; %bb.753:
	s_cmp_lt_i32 s34, 3
	s_cbranch_scc1 .LBB328_759
; %bb.754:
	s_cmp_gt_i32 s34, 3
	s_cbranch_scc0 .LBB328_756
; %bb.755:
	v_trunc_f32_e32 v3, v2
	s_mov_b32 s30, 0x2f800000
	v_mul_f32_e64 v4, |v3|, s30
	v_floor_f32_e32 v4, v4
	s_mov_b32 s30, 0xcf800000
	v_cvt_u32_f32_e32 v6, v4
	v_fma_f32 v4, v4, s30, |v3|
	v_cvt_u32_f32_e32 v4, v4
	v_ashrrev_i32_e32 v3, 31, v3
	v_xor_b32_e32 v7, v6, v3
	s_mov_b64 s[30:31], 0
	v_xor_b32_e32 v4, v4, v3
	v_sub_co_u32_e32 v6, vcc, v4, v3
	s_nop 1
	v_subb_co_u32_e32 v7, vcc, v7, v3, vcc
	global_store_dwordx2 v[0:1], v[6:7], off
.LBB328_756:
	s_andn2_b64 vcc, exec, s[30:31]
	s_cbranch_vccnz .LBB328_758
; %bb.757:
	v_cvt_i32_f32_e32 v3, v2
	global_store_dword v[0:1], v3, off
.LBB328_758:
	s_mov_b64 s[30:31], 0
.LBB328_759:
	s_andn2_b64 vcc, exec, s[30:31]
	s_cbranch_vccnz .LBB328_761
; %bb.760:
	v_cvt_i32_f32_e32 v3, v2
	global_store_short v[0:1], v3, off
.LBB328_761:
	s_mov_b64 s[30:31], 0
.LBB328_762:
	s_andn2_b64 vcc, exec, s[30:31]
	s_cbranch_vccnz .LBB328_767
; %bb.763:
	s_cmp_gt_i32 s34, 0
	s_mov_b64 s[30:31], -1
	s_cbranch_scc0 .LBB328_765
; %bb.764:
	v_cvt_i32_f32_e32 v3, v2
	s_mov_b64 s[30:31], 0
	global_store_byte v[0:1], v3, off
.LBB328_765:
	s_andn2_b64 vcc, exec, s[30:31]
	s_cbranch_vccnz .LBB328_767
; %bb.766:
	v_trunc_f32_e32 v2, v2
	s_mov_b32 s30, 0x2f800000
	v_mul_f32_e64 v3, |v2|, s30
	v_floor_f32_e32 v3, v3
	s_mov_b32 s30, 0xcf800000
	v_fma_f32 v3, v3, s30, |v2|
	v_cvt_u32_f32_e32 v3, v3
	v_ashrrev_i32_e32 v2, 31, v2
	v_xor_b32_e32 v3, v3, v2
	v_sub_u32_e32 v2, v3, v2
	global_store_byte v[0:1], v2, off
.LBB328_767:
	s_mov_b64 s[30:31], -1
.LBB328_768:
	s_andn2_b64 vcc, exec, s[30:31]
	s_cbranch_vccnz .LBB328_770
; %bb.769:
	v_add_u32_e32 v5, 0x80, v5
	s_mov_b64 s[34:35], -1
	s_branch .LBB328_771
.LBB328_770:
	s_mov_b64 s[34:35], 0
                                        ; implicit-def: $vgpr5
.LBB328_771:
	s_andn2_b64 s[30:31], s[22:23], exec
	s_and_b64 s[0:1], s[0:1], exec
	s_or_b64 s[30:31], s[30:31], s[0:1]
	s_andn2_b64 s[0:1], s[20:21], exec
	s_and_b64 s[28:29], s[28:29], exec
	s_or_b64 s[0:1], s[0:1], s[28:29]
	s_orn2_b64 s[36:37], s[34:35], exec
.LBB328_772:
	s_or_b64 exec, exec, s[26:27]
	s_mov_b64 s[34:35], 0
	s_mov_b64 s[28:29], 0
	;; [unrolled: 1-line block ×3, first 2 shown]
                                        ; implicit-def: $vgpr0_vgpr1
                                        ; implicit-def: $vgpr3
	s_and_saveexec_b64 s[26:27], s[36:37]
	s_cbranch_execz .LBB328_857
; %bb.773:
	v_cmp_gt_i32_e32 vcc, s40, v5
	s_mov_b64 s[36:37], 0
	s_mov_b64 s[40:41], s[0:1]
	;; [unrolled: 1-line block ×3, first 2 shown]
                                        ; implicit-def: $vgpr0_vgpr1
                                        ; implicit-def: $vgpr3
	s_and_saveexec_b64 s[28:29], vcc
	s_cbranch_execz .LBB328_856
; %bb.774:
	v_mul_lo_u32 v0, v5, s9
	v_ashrrev_i32_e32 v1, 31, v0
	s_and_b32 s45, 0xffff, s44
	s_cmp_lt_i32 s45, 11
	v_lshl_add_u64 v[0:1], s[6:7], 0, v[0:1]
	s_cbranch_scc1 .LBB328_781
; %bb.775:
	s_cmp_gt_i32 s45, 25
	s_cbranch_scc0 .LBB328_782
; %bb.776:
	s_cmp_gt_i32 s45, 28
	s_cbranch_scc0 .LBB328_783
	;; [unrolled: 3-line block ×4, first 2 shown]
; %bb.779:
	s_cmp_eq_u32 s45, 46
	s_mov_b64 s[40:41], 0
	s_cbranch_scc0 .LBB328_790
; %bb.780:
	global_load_dword v2, v[0:1], off
	s_mov_b64 s[38:39], -1
	s_waitcnt vmcnt(0)
	v_lshlrev_b32_e32 v3, 16, v2
	s_branch .LBB328_792
.LBB328_781:
	s_mov_b64 s[40:41], -1
                                        ; implicit-def: $vgpr3
	s_mov_b64 s[34:35], s[0:1]
	s_branch .LBB328_855
.LBB328_782:
	s_mov_b64 s[40:41], -1
	s_mov_b64 s[34:35], s[0:1]
                                        ; implicit-def: $vgpr3
	s_branch .LBB328_821
.LBB328_783:
	s_mov_b64 s[40:41], -1
	s_mov_b64 s[34:35], s[0:1]
                                        ; implicit-def: $vgpr3
	s_branch .LBB328_802
.LBB328_784:
	s_mov_b64 s[40:41], -1
	s_mov_b64 s[34:35], s[0:1]
                                        ; implicit-def: $vgpr3
	s_branch .LBB328_797
.LBB328_785:
	s_andn2_saveexec_b64 s[36:37], s[36:37]
	s_cbranch_execz .LBB328_681
.LBB328_786:
	s_mov_b32 s41, 0x46000000
	v_add_f32_e64 v3, |v2|, s41
	v_and_b32_e32 v3, 0xff, v3
	v_cmp_ne_u32_e32 vcc, 0, v3
	s_andn2_b64 s[34:35], s[34:35], exec
	s_and_b64 s[42:43], vcc, exec
	s_or_b64 s[34:35], s[34:35], s[42:43]
	s_or_b64 exec, exec, s[36:37]
	v_mov_b32_e32 v4, 0
	s_and_saveexec_b64 s[36:37], s[34:35]
	s_cbranch_execnz .LBB328_682
	s_branch .LBB328_683
.LBB328_787:
	s_mov_b64 s[40:41], -1
	s_mov_b64 s[34:35], s[0:1]
	s_branch .LBB328_791
.LBB328_788:
	s_andn2_saveexec_b64 s[36:37], s[36:37]
	s_cbranch_execz .LBB328_694
.LBB328_789:
	s_mov_b32 s41, 0x42800000
	v_add_f32_e64 v3, |v2|, s41
	v_and_b32_e32 v3, 0xff, v3
	v_cmp_ne_u32_e32 vcc, 0, v3
	s_andn2_b64 s[34:35], s[34:35], exec
	s_and_b64 s[42:43], vcc, exec
	s_or_b64 s[34:35], s[34:35], s[42:43]
	s_or_b64 exec, exec, s[36:37]
	v_mov_b32_e32 v4, 0
	s_and_saveexec_b64 s[36:37], s[34:35]
	s_cbranch_execnz .LBB328_695
	s_branch .LBB328_696
.LBB328_790:
	s_mov_b64 s[34:35], -1
.LBB328_791:
                                        ; implicit-def: $vgpr3
.LBB328_792:
	s_and_b64 vcc, exec, s[40:41]
	s_cbranch_vccz .LBB328_796
; %bb.793:
	s_cmp_eq_u32 s45, 44
	s_cbranch_scc0 .LBB328_795
; %bb.794:
	global_load_ubyte v2, v[0:1], off
	s_movk_i32 s38, 0xff
	v_mov_b32_e32 v3, 0x7f800001
	v_mov_b32_e32 v4, 0x400000
	s_mov_b64 s[34:35], 0
	s_waitcnt vmcnt(0)
	v_lshlrev_b32_e32 v6, 23, v2
	v_cmp_ne_u32_e32 vcc, s38, v2
	s_mov_b64 s[38:39], -1
	s_nop 0
	v_cndmask_b32_e32 v3, v3, v6, vcc
	v_cmp_ne_u32_e32 vcc, 0, v2
	s_nop 1
	v_cndmask_b32_e32 v3, v4, v3, vcc
	s_branch .LBB328_796
.LBB328_795:
	s_mov_b64 s[34:35], -1
                                        ; implicit-def: $vgpr3
.LBB328_796:
	s_mov_b64 s[40:41], 0
.LBB328_797:
	s_and_b64 vcc, exec, s[40:41]
	s_cbranch_vccz .LBB328_801
; %bb.798:
	s_cmp_eq_u32 s45, 29
	s_cbranch_scc0 .LBB328_800
; %bb.799:
	global_load_dwordx2 v[2:3], v[0:1], off
	s_mov_b64 s[34:35], 0
	s_mov_b64 s[38:39], -1
	s_mov_b64 s[40:41], 0
	s_waitcnt vmcnt(0)
	v_ffbh_u32_e32 v4, v3
	v_min_u32_e32 v4, 32, v4
	v_lshlrev_b64 v[2:3], v4, v[2:3]
	v_min_u32_e32 v2, 1, v2
	v_or_b32_e32 v2, v3, v2
	v_cvt_f32_u32_e32 v2, v2
	v_sub_u32_e32 v3, 32, v4
	v_ldexp_f32 v3, v2, v3
	s_branch .LBB328_802
.LBB328_800:
	s_mov_b64 s[34:35], -1
                                        ; implicit-def: $vgpr3
.LBB328_801:
	s_mov_b64 s[40:41], 0
.LBB328_802:
	s_and_b64 vcc, exec, s[40:41]
	s_cbranch_vccz .LBB328_820
; %bb.803:
	s_cmp_lt_i32 s45, 27
	s_cbranch_scc1 .LBB328_806
; %bb.804:
	s_cmp_gt_i32 s45, 27
	s_cbranch_scc0 .LBB328_807
; %bb.805:
	global_load_dword v2, v[0:1], off
	s_mov_b64 s[38:39], 0
	s_waitcnt vmcnt(0)
	v_cvt_f32_u32_e32 v3, v2
	s_branch .LBB328_808
.LBB328_806:
	s_mov_b64 s[38:39], -1
                                        ; implicit-def: $vgpr3
	s_branch .LBB328_811
.LBB328_807:
	s_mov_b64 s[38:39], -1
                                        ; implicit-def: $vgpr3
.LBB328_808:
	s_andn2_b64 vcc, exec, s[38:39]
	s_cbranch_vccnz .LBB328_810
; %bb.809:
	global_load_ushort v2, v[0:1], off
	s_waitcnt vmcnt(0)
	v_cvt_f32_u32_e32 v3, v2
.LBB328_810:
	s_mov_b64 s[38:39], 0
.LBB328_811:
	s_andn2_b64 vcc, exec, s[38:39]
	s_cbranch_vccnz .LBB328_819
; %bb.812:
	global_load_ubyte v2, v[0:1], off
	s_movk_i32 s38, 0x7f
	s_waitcnt vmcnt(0)
	v_cmp_lt_i16_e32 vcc, s38, v2
	s_mov_b64 s[38:39], 0
	s_and_saveexec_b64 s[40:41], vcc
	s_xor_b64 s[40:41], exec, s[40:41]
	s_cbranch_execz .LBB328_833
; %bb.813:
	s_movk_i32 s38, 0x80
	v_cmp_eq_u16_e32 vcc, s38, v2
	s_mov_b64 s[38:39], -1
	s_and_saveexec_b64 s[42:43], vcc
; %bb.814:
	s_xor_b64 s[38:39], exec, -1
; %bb.815:
	s_or_b64 exec, exec, s[42:43]
	s_and_b64 s[38:39], s[38:39], exec
	s_or_saveexec_b64 s[40:41], s[40:41]
	v_mov_b32_e32 v3, 0x7f800001
	s_xor_b64 exec, exec, s[40:41]
	s_cbranch_execnz .LBB328_834
.LBB328_816:
	s_or_b64 exec, exec, s[40:41]
	s_and_saveexec_b64 s[40:41], s[38:39]
	s_cbranch_execz .LBB328_818
.LBB328_817:
	v_lshlrev_b32_e32 v3, 24, v2
	v_and_b32_e32 v2, 0xffff, v2
	v_and_b32_e32 v4, 7, v2
	v_ffbh_u32_e32 v7, v4
	v_min_u32_e32 v7, 32, v7
	v_subrev_u32_e32 v8, 28, v7
	v_bfe_u32 v6, v2, 3, 4
	v_lshlrev_b32_e32 v2, v8, v2
	v_sub_u32_e32 v7, 29, v7
	v_and_b32_e32 v2, 7, v2
	v_cmp_eq_u32_e32 vcc, 0, v6
	v_and_b32_e32 v3, 0x80000000, v3
	s_nop 0
	v_cndmask_b32_e32 v6, v6, v7, vcc
	v_cndmask_b32_e32 v2, v4, v2, vcc
	v_mov_b32_e32 v4, 0x3b800000
	v_lshlrev_b32_e32 v2, 20, v2
	v_lshl_add_u32 v4, v6, 23, v4
	v_or3_b32 v3, v3, v4, v2
.LBB328_818:
	s_or_b64 exec, exec, s[40:41]
.LBB328_819:
	s_mov_b64 s[38:39], -1
.LBB328_820:
	s_mov_b64 s[40:41], 0
.LBB328_821:
	s_and_b64 vcc, exec, s[40:41]
	s_cbranch_vccz .LBB328_854
; %bb.822:
	s_cmp_gt_i32 s45, 22
	s_cbranch_scc0 .LBB328_832
; %bb.823:
	s_cmp_lt_i32 s45, 24
	s_cbranch_scc1 .LBB328_835
; %bb.824:
	s_cmp_gt_i32 s45, 24
	s_cbranch_scc0 .LBB328_836
; %bb.825:
	global_load_ubyte v2, v[0:1], off
	s_movk_i32 s36, 0x7f
	s_waitcnt vmcnt(0)
	v_cmp_lt_i16_e32 vcc, s36, v2
	s_mov_b64 s[36:37], 0
	s_and_saveexec_b64 s[38:39], vcc
	s_xor_b64 s[38:39], exec, s[38:39]
	s_cbranch_execz .LBB328_848
; %bb.826:
	s_movk_i32 s36, 0x80
	v_cmp_eq_u16_e32 vcc, s36, v2
	s_mov_b64 s[36:37], -1
	s_and_saveexec_b64 s[40:41], vcc
; %bb.827:
	s_xor_b64 s[36:37], exec, -1
; %bb.828:
	s_or_b64 exec, exec, s[40:41]
	s_and_b64 s[36:37], s[36:37], exec
	s_or_saveexec_b64 s[38:39], s[38:39]
	v_mov_b32_e32 v3, 0x7f800001
	s_xor_b64 exec, exec, s[38:39]
	s_cbranch_execnz .LBB328_849
.LBB328_829:
	s_or_b64 exec, exec, s[38:39]
	s_and_saveexec_b64 s[38:39], s[36:37]
	s_cbranch_execz .LBB328_831
.LBB328_830:
	v_lshlrev_b32_e32 v3, 24, v2
	v_and_b32_e32 v2, 0xffff, v2
	v_and_b32_e32 v4, 3, v2
	v_ffbh_u32_e32 v7, v4
	v_min_u32_e32 v7, 32, v7
	v_subrev_u32_e32 v8, 29, v7
	v_bfe_u32 v6, v2, 2, 5
	v_lshlrev_b32_e32 v2, v8, v2
	v_sub_u32_e32 v7, 30, v7
	v_and_b32_e32 v2, 3, v2
	v_cmp_eq_u32_e32 vcc, 0, v6
	v_and_b32_e32 v3, 0x80000000, v3
	s_nop 0
	v_cndmask_b32_e32 v6, v6, v7, vcc
	v_cndmask_b32_e32 v2, v4, v2, vcc
	v_mov_b32_e32 v4, 0x37800000
	v_lshlrev_b32_e32 v2, 21, v2
	v_lshl_add_u32 v4, v6, 23, v4
	v_or3_b32 v3, v3, v4, v2
.LBB328_831:
	s_or_b64 exec, exec, s[38:39]
	s_mov_b64 s[36:37], 0
	s_branch .LBB328_837
.LBB328_832:
	s_mov_b64 s[36:37], -1
                                        ; implicit-def: $vgpr3
	s_branch .LBB328_843
.LBB328_833:
	s_or_saveexec_b64 s[40:41], s[40:41]
	v_mov_b32_e32 v3, 0x7f800001
	s_xor_b64 exec, exec, s[40:41]
	s_cbranch_execz .LBB328_816
.LBB328_834:
	v_cmp_ne_u16_e32 vcc, 0, v2
	s_andn2_b64 s[38:39], s[38:39], exec
	s_and_b64 s[42:43], vcc, exec
	v_mov_b32_e32 v3, 0
	s_or_b64 s[38:39], s[38:39], s[42:43]
	s_or_b64 exec, exec, s[40:41]
	s_and_saveexec_b64 s[40:41], s[38:39]
	s_cbranch_execnz .LBB328_817
	s_branch .LBB328_818
.LBB328_835:
	s_mov_b64 s[36:37], -1
                                        ; implicit-def: $vgpr3
	s_branch .LBB328_840
.LBB328_836:
	s_mov_b64 s[36:37], -1
                                        ; implicit-def: $vgpr3
.LBB328_837:
	s_and_b64 vcc, exec, s[36:37]
	s_cbranch_vccz .LBB328_839
; %bb.838:
	global_load_ubyte v2, v[0:1], off
	s_mov_b32 s36, 0x7f800000
	s_waitcnt vmcnt(0)
	v_lshlrev_b32_e32 v2, 24, v2
	v_and_b32_e32 v3, 0x7f000000, v2
	v_ffbh_u32_e32 v4, v3
	v_min_u32_e32 v4, 32, v4
	v_sub_u32_e64 v4, v4, 4 clamp
	v_lshlrev_b32_e32 v7, v4, v3
	v_lshlrev_b32_e32 v4, 23, v4
	v_lshrrev_b32_e32 v7, 4, v7
	v_add_u32_e32 v6, 0x1000000, v3
	v_sub_u32_e32 v4, v7, v4
	v_ashrrev_i32_e32 v6, 8, v6
	v_add_u32_e32 v4, 0x3c000000, v4
	v_and_or_b32 v4, v6, s36, v4
	v_cmp_ne_u32_e32 vcc, 0, v3
	s_brev_b32 s36, 1
	s_nop 0
	v_cndmask_b32_e32 v3, 0, v4, vcc
	v_and_or_b32 v3, v2, s36, v3
.LBB328_839:
	s_mov_b64 s[36:37], 0
.LBB328_840:
	s_andn2_b64 vcc, exec, s[36:37]
	s_cbranch_vccnz .LBB328_842
; %bb.841:
	global_load_ubyte v2, v[0:1], off
	s_movk_i32 s36, 0x7f00
	s_brev_b32 s37, 16
	s_waitcnt vmcnt(0)
	v_lshlrev_b16_e32 v3, 8, v2
	v_lshlrev_b32_e32 v2, 25, v2
	v_lshrrev_b32_e32 v4, 4, v2
	v_and_or_b32 v6, v3, s36, 0.5
	v_or_b32_e32 v4, 0x70000000, v4
	v_add_f32_e32 v6, -0.5, v6
	v_mul_f32_e32 v4, 0x7800000, v4
	v_cmp_gt_u32_e32 vcc, s37, v2
	v_bfe_i32 v3, v3, 0, 16
	s_brev_b32 s36, 1
	v_cndmask_b32_e32 v2, v4, v6, vcc
	v_and_or_b32 v3, v3, s36, v2
.LBB328_842:
	s_mov_b64 s[36:37], 0
	s_mov_b64 s[38:39], -1
.LBB328_843:
	s_andn2_b64 vcc, exec, s[36:37]
	s_mov_b64 s[36:37], 0
	s_cbranch_vccnz .LBB328_854
; %bb.844:
	s_cmp_gt_i32 s45, 14
	s_cbranch_scc0 .LBB328_847
; %bb.845:
	s_cmp_eq_u32 s45, 15
	s_cbranch_scc0 .LBB328_850
; %bb.846:
	global_load_ushort v2, v[0:1], off
	s_mov_b64 s[34:35], 0
	s_mov_b64 s[38:39], -1
	s_waitcnt vmcnt(0)
	v_lshlrev_b32_e32 v3, 16, v2
	s_branch .LBB328_851
.LBB328_847:
	s_mov_b64 s[40:41], -1
                                        ; implicit-def: $vgpr3
	s_branch .LBB328_852
.LBB328_848:
	s_or_saveexec_b64 s[38:39], s[38:39]
	v_mov_b32_e32 v3, 0x7f800001
	s_xor_b64 exec, exec, s[38:39]
	s_cbranch_execz .LBB328_829
.LBB328_849:
	v_cmp_ne_u16_e32 vcc, 0, v2
	s_andn2_b64 s[36:37], s[36:37], exec
	s_and_b64 s[40:41], vcc, exec
	v_mov_b32_e32 v3, 0
	s_or_b64 s[36:37], s[36:37], s[40:41]
	s_or_b64 exec, exec, s[38:39]
	s_and_saveexec_b64 s[38:39], s[36:37]
	s_cbranch_execnz .LBB328_830
	s_branch .LBB328_831
.LBB328_850:
	s_mov_b64 s[34:35], -1
                                        ; implicit-def: $vgpr3
.LBB328_851:
	s_mov_b64 s[40:41], 0
.LBB328_852:
	s_and_b64 vcc, exec, s[40:41]
	s_cbranch_vccz .LBB328_854
; %bb.853:
	s_cmp_lg_u32 s45, 11
	s_cselect_b64 s[40:41], -1, 0
	s_andn2_b64 s[34:35], s[34:35], exec
	s_and_b64 s[40:41], s[40:41], exec
	s_mov_b64 s[36:37], -1
	s_or_b64 s[34:35], s[34:35], s[40:41]
.LBB328_854:
	s_mov_b64 s[40:41], 0
.LBB328_855:
	s_and_b64 s[42:43], s[40:41], exec
	s_andn2_b64 s[40:41], s[0:1], exec
	s_and_b64 s[34:35], s[34:35], exec
	s_and_b64 s[38:39], s[38:39], exec
	;; [unrolled: 1-line block ×3, first 2 shown]
	s_or_b64 s[40:41], s[40:41], s[34:35]
.LBB328_856:
	s_or_b64 exec, exec, s[28:29]
	s_and_b64 s[34:35], s[36:37], exec
	s_andn2_b64 s[0:1], s[0:1], exec
	s_and_b64 s[36:37], s[40:41], exec
	s_and_b64 s[38:39], s[38:39], exec
	;; [unrolled: 1-line block ×3, first 2 shown]
	s_or_b64 s[0:1], s[0:1], s[36:37]
.LBB328_857:
	s_or_b64 exec, exec, s[26:27]
	s_andn2_b64 s[22:23], s[22:23], exec
	s_and_b64 s[26:27], s[30:31], exec
	s_andn2_b64 s[20:21], s[20:21], exec
	s_and_b64 s[0:1], s[0:1], exec
	s_or_b64 s[22:23], s[22:23], s[26:27]
	s_and_b64 s[30:31], s[38:39], exec
	s_and_b64 s[28:29], s[28:29], exec
	;; [unrolled: 1-line block ×3, first 2 shown]
	s_or_b64 s[20:21], s[20:21], s[0:1]
.LBB328_858:
	s_or_b64 exec, exec, s[24:25]
	s_andn2_b64 s[0:1], s[14:15], exec
	s_and_b64 s[14:15], s[22:23], exec
	s_andn2_b64 s[16:17], s[16:17], exec
	s_and_b64 s[20:21], s[20:21], exec
	s_or_b64 s[14:15], s[0:1], s[14:15]
	s_and_b64 s[0:1], s[30:31], exec
	s_and_b64 s[24:25], s[28:29], exec
	;; [unrolled: 1-line block ×3, first 2 shown]
	s_or_b64 s[16:17], s[16:17], s[20:21]
	s_or_b64 exec, exec, s[18:19]
	s_mov_b64 s[18:19], 0
	s_and_saveexec_b64 s[20:21], s[16:17]
	s_cbranch_execz .LBB328_262
.LBB328_859:
	s_mov_b64 s[18:19], exec
	s_andn2_b64 s[22:23], s[22:23], exec
	s_trap 2
	s_or_b64 exec, exec, s[20:21]
	s_and_saveexec_b64 s[16:17], s[22:23]
	s_xor_b64 s[16:17], exec, s[16:17]
	s_cbranch_execnz .LBB328_263
.LBB328_860:
	s_or_b64 exec, exec, s[16:17]
	s_and_saveexec_b64 s[16:17], s[24:25]
	s_cbranch_execz .LBB328_906
.LBB328_861:
	s_sext_i32_i16 s20, s44
	s_cmp_lt_i32 s20, 5
	s_cbranch_scc1 .LBB328_866
; %bb.862:
	s_cmp_lt_i32 s20, 8
	s_cbranch_scc1 .LBB328_867
; %bb.863:
	;; [unrolled: 3-line block ×3, first 2 shown]
	s_cmp_gt_i32 s20, 9
	s_cbranch_scc0 .LBB328_869
; %bb.865:
	global_load_dwordx2 v[2:3], v[0:1], off
	s_mov_b64 s[20:21], 0
	s_waitcnt vmcnt(0)
	v_cvt_f32_f64_e32 v3, v[2:3]
	s_branch .LBB328_870
.LBB328_866:
                                        ; implicit-def: $vgpr3
	s_branch .LBB328_887
.LBB328_867:
                                        ; implicit-def: $vgpr3
	s_branch .LBB328_876
.LBB328_868:
	s_mov_b64 s[20:21], -1
                                        ; implicit-def: $vgpr3
	s_branch .LBB328_873
.LBB328_869:
	s_mov_b64 s[20:21], -1
                                        ; implicit-def: $vgpr3
.LBB328_870:
	s_andn2_b64 vcc, exec, s[20:21]
	s_cbranch_vccnz .LBB328_872
; %bb.871:
	global_load_dword v3, v[0:1], off
.LBB328_872:
	s_mov_b64 s[20:21], 0
.LBB328_873:
	s_andn2_b64 vcc, exec, s[20:21]
	s_cbranch_vccnz .LBB328_875
; %bb.874:
	global_load_dword v2, v[0:1], off
	s_waitcnt vmcnt(0)
	v_cvt_f32_f16_e32 v3, v2
.LBB328_875:
	s_cbranch_execnz .LBB328_886
.LBB328_876:
	s_sext_i32_i16 s20, s44
	s_cmp_lt_i32 s20, 6
	s_cbranch_scc1 .LBB328_879
; %bb.877:
	s_cmp_gt_i32 s20, 6
	s_cbranch_scc0 .LBB328_880
; %bb.878:
	global_load_dwordx2 v[2:3], v[0:1], off
	s_mov_b64 s[20:21], 0
	s_waitcnt vmcnt(0)
	v_cvt_f32_f64_e32 v3, v[2:3]
	s_branch .LBB328_881
.LBB328_879:
	s_mov_b64 s[20:21], -1
                                        ; implicit-def: $vgpr3
	s_branch .LBB328_884
.LBB328_880:
	s_mov_b64 s[20:21], -1
                                        ; implicit-def: $vgpr3
.LBB328_881:
	s_andn2_b64 vcc, exec, s[20:21]
	s_cbranch_vccnz .LBB328_883
; %bb.882:
	global_load_dword v3, v[0:1], off
.LBB328_883:
	s_mov_b64 s[20:21], 0
.LBB328_884:
	s_andn2_b64 vcc, exec, s[20:21]
	s_cbranch_vccnz .LBB328_886
; %bb.885:
	global_load_ushort v2, v[0:1], off
	s_waitcnt vmcnt(0)
	v_cvt_f32_f16_e32 v3, v2
.LBB328_886:
	s_cbranch_execnz .LBB328_905
.LBB328_887:
	s_sext_i32_i16 s20, s44
	s_cmp_lt_i32 s20, 2
	s_cbranch_scc1 .LBB328_891
; %bb.888:
	s_cmp_lt_i32 s20, 3
	s_cbranch_scc1 .LBB328_892
; %bb.889:
	s_cmp_gt_i32 s20, 3
	s_cbranch_scc0 .LBB328_893
; %bb.890:
	global_load_dwordx2 v[2:3], v[0:1], off
	s_mov_b64 s[20:21], 0
	s_waitcnt vmcnt(0)
	v_xor_b32_e32 v6, v2, v3
	v_ffbh_i32_e32 v4, v3
	v_ashrrev_i32_e32 v6, 31, v6
	v_add_u32_e32 v4, -1, v4
	v_add_u32_e32 v6, 32, v6
	v_min_u32_e32 v4, v4, v6
	v_lshlrev_b64 v[2:3], v4, v[2:3]
	v_min_u32_e32 v2, 1, v2
	v_or_b32_e32 v2, v3, v2
	v_cvt_f32_i32_e32 v2, v2
	v_sub_u32_e32 v3, 32, v4
	v_ldexp_f32 v3, v2, v3
	s_branch .LBB328_894
.LBB328_891:
                                        ; implicit-def: $vgpr3
	s_branch .LBB328_900
.LBB328_892:
	s_mov_b64 s[20:21], -1
                                        ; implicit-def: $vgpr3
	s_branch .LBB328_897
.LBB328_893:
	s_mov_b64 s[20:21], -1
                                        ; implicit-def: $vgpr3
.LBB328_894:
	s_andn2_b64 vcc, exec, s[20:21]
	s_cbranch_vccnz .LBB328_896
; %bb.895:
	global_load_dword v2, v[0:1], off
	s_waitcnt vmcnt(0)
	v_cvt_f32_i32_e32 v3, v2
.LBB328_896:
	s_mov_b64 s[20:21], 0
.LBB328_897:
	s_andn2_b64 vcc, exec, s[20:21]
	s_cbranch_vccnz .LBB328_899
; %bb.898:
	global_load_sshort v2, v[0:1], off
	s_waitcnt vmcnt(0)
	v_cvt_f32_i32_e32 v3, v2
.LBB328_899:
	s_cbranch_execnz .LBB328_905
.LBB328_900:
	s_sext_i32_i16 s20, s44
	s_cmp_gt_i32 s20, 0
	s_cbranch_scc0 .LBB328_902
; %bb.901:
	global_load_sbyte v2, v[0:1], off
	s_mov_b64 s[20:21], 0
	s_waitcnt vmcnt(0)
	v_cvt_f32_i32_e32 v3, v2
	s_branch .LBB328_903
.LBB328_902:
	s_mov_b64 s[20:21], -1
                                        ; implicit-def: $vgpr3
.LBB328_903:
	s_andn2_b64 vcc, exec, s[20:21]
	s_cbranch_vccnz .LBB328_905
; %bb.904:
	global_load_ubyte v0, v[0:1], off
	s_waitcnt vmcnt(0)
	v_cvt_f32_ubyte0_e32 v3, v0
.LBB328_905:
	s_or_b64 s[0:1], s[0:1], exec
.LBB328_906:
	s_or_b64 exec, exec, s[16:17]
	s_mov_b64 s[22:23], 0
	s_mov_b64 s[20:21], 0
                                        ; implicit-def: $sgpr28
                                        ; implicit-def: $vgpr0_vgpr1
                                        ; implicit-def: $vgpr2
	s_and_saveexec_b64 s[16:17], s[0:1]
	s_cbranch_execz .LBB328_924
; %bb.907:
	v_max_f32_e64 v0, s10, s10
	s_waitcnt vmcnt(0)
	v_max_f32_e32 v1, v3, v3
	v_max_f32_e32 v0, v1, v0
	v_max_f32_e64 v1, s11, s11
	v_min_f32_e32 v0, v0, v1
	v_cmp_u_f32_e32 vcc, v3, v3
	s_and_b32 s28, s33, 0xff
	s_cmp_lt_i32 s28, 11
	v_cndmask_b32_e32 v2, v0, v3, vcc
	v_mul_lo_u32 v0, v5, s8
	v_ashrrev_i32_e32 v1, 31, v0
	v_lshl_add_u64 v[0:1], s[4:5], 0, v[0:1]
	s_cbranch_scc1 .LBB328_927
; %bb.908:
	s_and_b32 s29, 0xffff, s28
	s_mov_b64 s[22:23], -1
	s_cmp_gt_i32 s29, 25
	s_mov_b64 s[0:1], s[14:15]
	s_cbranch_scc0 .LBB328_945
; %bb.909:
	s_mov_b64 s[20:21], -1
	s_cmp_gt_i32 s29, 28
	s_mov_b64 s[0:1], s[14:15]
	s_cbranch_scc0 .LBB328_929
; %bb.910:
	s_cmp_gt_i32 s29, 43
	s_mov_b64 s[0:1], s[14:15]
	s_cbranch_scc0 .LBB328_921
; %bb.911:
	;; [unrolled: 4-line block ×3, first 2 shown]
	s_cmp_eq_u32 s29, 46
	s_mov_b64 s[0:1], -1
	s_cbranch_scc0 .LBB328_914
; %bb.913:
	v_bfe_u32 v3, v2, 16, 1
	s_movk_i32 s0, 0x7fff
	v_add3_u32 v3, v2, v3, s0
	v_cmp_o_f32_e32 vcc, v2, v2
	v_mov_b32_e32 v4, 0x7fc0
	s_mov_b64 s[0:1], 0
	v_cndmask_b32_sdwa v3, v4, v3, vcc dst_sel:DWORD dst_unused:UNUSED_PAD src0_sel:DWORD src1_sel:WORD_1
	global_store_dword v[0:1], v3, off
.LBB328_914:
	s_mov_b64 s[20:21], 0
.LBB328_915:
	s_and_b64 vcc, exec, s[20:21]
	s_cbranch_vccz .LBB328_920
; %bb.916:
	s_cmp_eq_u32 s29, 44
	s_mov_b64 s[0:1], -1
	s_cbranch_scc0 .LBB328_920
; %bb.917:
	v_bfe_u32 v3, v2, 23, 8
	s_movk_i32 s0, 0xff
	v_cmp_ne_u32_e32 vcc, s0, v3
	v_mov_b32_e32 v4, 0xff
	s_and_saveexec_b64 s[20:21], vcc
; %bb.918:
	s_mov_b32 s0, 0x3fffff
	v_and_b32_e32 v5, 0x400000, v2
	v_and_or_b32 v3, v2, s0, v3
	v_cmp_ne_u32_e32 vcc, 0, v5
	v_cmp_ne_u32_e64 s[0:1], 0, v3
	s_and_b64 s[0:1], vcc, s[0:1]
	v_lshrrev_b32_e32 v4, 23, v2
	v_cndmask_b32_e64 v3, 0, 1, s[0:1]
	v_add_u32_e32 v4, v4, v3
; %bb.919:
	s_or_b64 exec, exec, s[20:21]
	s_mov_b64 s[0:1], 0
	global_store_byte v[0:1], v4, off
.LBB328_920:
	s_mov_b64 s[20:21], 0
.LBB328_921:
	s_and_b64 vcc, exec, s[20:21]
	s_cbranch_vccz .LBB328_928
; %bb.922:
	s_cmp_eq_u32 s29, 29
	s_mov_b64 s[0:1], -1
	s_cbranch_scc0 .LBB328_928
; %bb.923:
	v_trunc_f32_e32 v3, v2
	v_mul_f32_e32 v4, 0x2f800000, v3
	v_floor_f32_e32 v4, v4
	v_fmamk_f32 v3, v4, 0xcf800000, v3
	v_cvt_u32_f32_e32 v5, v4
	v_cvt_u32_f32_e32 v4, v3
	s_mov_b64 s[0:1], 0
	s_mov_b64 s[20:21], 0
	global_store_dwordx2 v[0:1], v[4:5], off
	s_branch .LBB328_929
.LBB328_924:
	s_or_b64 exec, exec, s[16:17]
	s_and_saveexec_b64 s[0:1], s[14:15]
	s_cbranch_execnz .LBB328_987
.LBB328_925:
	s_or_b64 exec, exec, s[0:1]
	s_and_saveexec_b64 s[0:1], s[22:23]
	s_xor_b64 s[0:1], exec, s[0:1]
	s_cbranch_execz .LBB328_988
.LBB328_926:
	s_waitcnt vmcnt(0)
	v_cmp_neq_f32_e32 vcc, 0, v2
	s_nop 1
	v_cndmask_b32_e64 v3, 0, 1, vcc
	global_store_byte v[0:1], v3, off
	s_or_b64 exec, exec, s[0:1]
	s_and_saveexec_b64 s[0:1], s[20:21]
	s_xor_b64 s[0:1], exec, s[0:1]
	s_cbranch_execz .LBB328_1026
	s_branch .LBB328_989
.LBB328_927:
	s_mov_b64 s[20:21], -1
	s_mov_b64 s[0:1], s[14:15]
	s_branch .LBB328_986
.LBB328_928:
	s_mov_b64 s[20:21], 0
.LBB328_929:
	s_and_b64 vcc, exec, s[20:21]
	s_cbranch_vccz .LBB328_944
; %bb.930:
	s_cmp_lt_i32 s29, 27
	s_mov_b64 s[20:21], -1
	s_cbranch_scc1 .LBB328_936
; %bb.931:
	v_cvt_u32_f32_e32 v3, v2
	s_cmp_gt_i32 s29, 27
	s_cbranch_scc0 .LBB328_933
; %bb.932:
	s_mov_b64 s[20:21], 0
	global_store_dword v[0:1], v3, off
.LBB328_933:
	s_andn2_b64 vcc, exec, s[20:21]
	s_cbranch_vccnz .LBB328_935
; %bb.934:
	global_store_short v[0:1], v3, off
.LBB328_935:
	s_mov_b64 s[20:21], 0
.LBB328_936:
	s_andn2_b64 vcc, exec, s[20:21]
	s_cbranch_vccnz .LBB328_944
; %bb.937:
	v_and_b32_e32 v3, 0x7fffffff, v2
	s_mov_b32 s20, 0x43800000
	v_cmp_gt_u32_e32 vcc, s20, v3
	v_mov_b32_e32 v4, 0x80
	s_and_saveexec_b64 s[20:21], vcc
	s_cbranch_execz .LBB328_943
; %bb.938:
	s_mov_b32 s22, 0x3bffffff
	v_cmp_lt_u32_e32 vcc, s22, v3
	s_mov_b64 s[22:23], 0
                                        ; implicit-def: $vgpr3
	s_and_saveexec_b64 s[24:25], vcc
	s_xor_b64 s[24:25], exec, s[24:25]
	s_cbranch_execz .LBB328_1041
; %bb.939:
	v_bfe_u32 v3, v2, 20, 1
	s_mov_b32 s26, 0x487ffff
	v_add3_u32 v3, v2, v3, s26
	s_mov_b64 s[22:23], exec
	v_lshrrev_b32_e32 v3, 20, v3
	s_andn2_saveexec_b64 s[24:25], s[24:25]
	s_cbranch_execnz .LBB328_1042
.LBB328_940:
	s_or_b64 exec, exec, s[24:25]
	v_mov_b32_e32 v4, 0
	s_and_saveexec_b64 s[24:25], s[22:23]
.LBB328_941:
	v_lshrrev_b32_e32 v4, 24, v2
	s_movk_i32 s22, 0x80
	v_and_or_b32 v4, v4, s22, v3
.LBB328_942:
	s_or_b64 exec, exec, s[24:25]
.LBB328_943:
	s_or_b64 exec, exec, s[20:21]
	global_store_byte v[0:1], v4, off
.LBB328_944:
	s_mov_b64 s[22:23], 0
.LBB328_945:
	s_mov_b64 s[20:21], 0
	s_and_b64 vcc, exec, s[22:23]
	s_cbranch_vccz .LBB328_985
; %bb.946:
	s_cmp_gt_i32 s29, 22
	s_mov_b64 s[22:23], -1
	s_cbranch_scc0 .LBB328_978
; %bb.947:
	s_cmp_lt_i32 s29, 24
	s_cbranch_scc1 .LBB328_967
; %bb.948:
	s_cmp_gt_i32 s29, 24
	s_cbranch_scc0 .LBB328_956
; %bb.949:
	v_and_b32_e32 v3, 0x7fffffff, v2
	s_mov_b32 s22, 0x47800000
	v_cmp_gt_u32_e32 vcc, s22, v3
	v_mov_b32_e32 v4, 0x80
	s_and_saveexec_b64 s[22:23], vcc
	s_cbranch_execz .LBB328_955
; %bb.950:
	s_mov_b32 s24, 0x37ffffff
	v_cmp_lt_u32_e32 vcc, s24, v3
	s_mov_b64 s[24:25], 0
                                        ; implicit-def: $vgpr3
	s_and_saveexec_b64 s[26:27], vcc
	s_xor_b64 s[26:27], exec, s[26:27]
	s_cbranch_execz .LBB328_1166
; %bb.951:
	v_bfe_u32 v3, v2, 21, 1
	s_mov_b32 s30, 0x88fffff
	v_add3_u32 v3, v2, v3, s30
	s_mov_b64 s[24:25], exec
	v_lshrrev_b32_e32 v3, 21, v3
	s_andn2_saveexec_b64 s[26:27], s[26:27]
	s_cbranch_execnz .LBB328_1167
.LBB328_952:
	s_or_b64 exec, exec, s[26:27]
	v_mov_b32_e32 v4, 0
	s_and_saveexec_b64 s[26:27], s[24:25]
.LBB328_953:
	v_lshrrev_b32_e32 v4, 24, v2
	s_movk_i32 s24, 0x80
	v_and_or_b32 v4, v4, s24, v3
.LBB328_954:
	s_or_b64 exec, exec, s[26:27]
.LBB328_955:
	s_or_b64 exec, exec, s[22:23]
	s_mov_b64 s[22:23], 0
	global_store_byte v[0:1], v4, off
.LBB328_956:
	s_and_b64 vcc, exec, s[22:23]
	s_cbranch_vccz .LBB328_966
; %bb.957:
	v_and_b32_e32 v4, 0x7fffffff, v2
	s_mov_b32 s22, 0x43f00000
	v_cmp_gt_u32_e32 vcc, s22, v4
                                        ; implicit-def: $vgpr3
	s_and_saveexec_b64 s[22:23], vcc
	s_xor_b64 s[22:23], exec, s[22:23]
	s_cbranch_execz .LBB328_963
; %bb.958:
	s_mov_b32 s24, 0x3c7fffff
	v_cmp_lt_u32_e32 vcc, s24, v4
                                        ; implicit-def: $vgpr3
	s_and_saveexec_b64 s[24:25], vcc
	s_xor_b64 s[24:25], exec, s[24:25]
; %bb.959:
	v_bfe_u32 v3, v2, 20, 1
	s_mov_b32 s26, 0x407ffff
	v_add3_u32 v3, v2, v3, s26
	v_lshrrev_b32_e32 v4, 20, v3
	v_and_b32_e32 v3, 0xff00000, v3
	s_mov_b32 s26, 0x7f00000
	v_mov_b32_e32 v5, 0x7e
	v_cmp_ne_u32_e32 vcc, s26, v3
	s_nop 1
	v_cndmask_b32_e32 v3, v5, v4, vcc
; %bb.960:
	s_andn2_saveexec_b64 s[24:25], s[24:25]
; %bb.961:
	s_mov_b32 s26, 0x46800000
	v_add_f32_e64 v3, |v2|, s26
; %bb.962:
	s_or_b64 exec, exec, s[24:25]
                                        ; implicit-def: $vgpr4
.LBB328_963:
	s_andn2_saveexec_b64 s[22:23], s[22:23]
; %bb.964:
	s_mov_b32 s24, 0x7f800000
	v_mov_b32_e32 v3, 0x7e
	v_mov_b32_e32 v5, 0x7f
	v_cmp_lt_u32_e32 vcc, s24, v4
	s_nop 1
	v_cndmask_b32_e32 v3, v3, v5, vcc
; %bb.965:
	s_or_b64 exec, exec, s[22:23]
	v_lshrrev_b32_e32 v4, 24, v2
	s_movk_i32 s22, 0x80
	v_and_or_b32 v3, v4, s22, v3
	global_store_byte v[0:1], v3, off
.LBB328_966:
	s_mov_b64 s[22:23], 0
.LBB328_967:
	s_andn2_b64 vcc, exec, s[22:23]
	s_cbranch_vccnz .LBB328_977
; %bb.968:
	v_and_b32_e32 v4, 0x7fffffff, v2
	s_mov_b32 s22, 0x47800000
	v_cmp_gt_u32_e32 vcc, s22, v4
                                        ; implicit-def: $vgpr3
	s_and_saveexec_b64 s[22:23], vcc
	s_xor_b64 s[22:23], exec, s[22:23]
	s_cbranch_execz .LBB328_974
; %bb.969:
	s_mov_b32 s24, 0x387fffff
	v_cmp_lt_u32_e32 vcc, s24, v4
                                        ; implicit-def: $vgpr3
	s_and_saveexec_b64 s[24:25], vcc
	s_xor_b64 s[24:25], exec, s[24:25]
; %bb.970:
	v_bfe_u32 v3, v2, 21, 1
	s_mov_b32 s26, 0x80fffff
	v_add3_u32 v3, v2, v3, s26
	v_lshrrev_b32_e32 v3, 21, v3
; %bb.971:
	s_andn2_saveexec_b64 s[24:25], s[24:25]
; %bb.972:
	s_mov_b32 s26, 0x43000000
	v_add_f32_e64 v3, |v2|, s26
; %bb.973:
	s_or_b64 exec, exec, s[24:25]
                                        ; implicit-def: $vgpr4
.LBB328_974:
	s_andn2_saveexec_b64 s[22:23], s[22:23]
; %bb.975:
	s_mov_b32 s24, 0x7f800000
	v_mov_b32_e32 v3, 0x7c
	v_mov_b32_e32 v5, 0x7f
	v_cmp_lt_u32_e32 vcc, s24, v4
	s_nop 1
	v_cndmask_b32_e32 v3, v3, v5, vcc
; %bb.976:
	s_or_b64 exec, exec, s[22:23]
	v_lshrrev_b32_e32 v4, 24, v2
	s_movk_i32 s22, 0x80
	v_and_or_b32 v3, v4, s22, v3
	global_store_byte v[0:1], v3, off
.LBB328_977:
	s_mov_b64 s[22:23], 0
.LBB328_978:
	s_andn2_b64 vcc, exec, s[22:23]
	s_mov_b64 s[22:23], 0
	s_cbranch_vccnz .LBB328_986
; %bb.979:
	s_cmp_gt_i32 s29, 14
	s_mov_b64 s[24:25], -1
	s_cbranch_scc0 .LBB328_983
; %bb.980:
	s_cmp_eq_u32 s29, 15
	s_mov_b64 s[0:1], -1
	s_cbranch_scc0 .LBB328_982
; %bb.981:
	v_bfe_u32 v3, v2, 16, 1
	s_movk_i32 s0, 0x7fff
	v_add3_u32 v3, v2, v3, s0
	v_cmp_o_f32_e32 vcc, v2, v2
	v_mov_b32_e32 v4, 0x7fc0
	s_mov_b64 s[0:1], 0
	v_cndmask_b32_sdwa v3, v4, v3, vcc dst_sel:DWORD dst_unused:UNUSED_PAD src0_sel:DWORD src1_sel:WORD_1
	global_store_short v[0:1], v3, off
.LBB328_982:
	s_mov_b64 s[24:25], 0
.LBB328_983:
	s_and_b64 vcc, exec, s[24:25]
	s_cbranch_vccz .LBB328_986
; %bb.984:
	s_cmp_lg_u32 s29, 11
	s_cselect_b64 s[24:25], -1, 0
	s_andn2_b64 s[0:1], s[0:1], exec
	s_and_b64 s[24:25], s[24:25], exec
	s_mov_b64 s[22:23], -1
	s_or_b64 s[0:1], s[0:1], s[24:25]
	s_branch .LBB328_986
.LBB328_985:
	s_mov_b64 s[22:23], 0
.LBB328_986:
	s_andn2_b64 s[14:15], s[14:15], exec
	s_and_b64 s[0:1], s[0:1], exec
	s_and_b64 s[20:21], s[20:21], exec
	;; [unrolled: 1-line block ×3, first 2 shown]
	s_or_b64 s[14:15], s[14:15], s[0:1]
	s_or_b64 exec, exec, s[16:17]
	s_and_saveexec_b64 s[0:1], s[14:15]
	s_cbranch_execz .LBB328_925
.LBB328_987:
	s_or_b64 s[18:19], s[18:19], exec
	s_andn2_b64 s[22:23], s[22:23], exec
	s_trap 2
	s_or_b64 exec, exec, s[0:1]
	s_and_saveexec_b64 s[0:1], s[22:23]
	s_xor_b64 s[0:1], exec, s[0:1]
	s_cbranch_execnz .LBB328_926
.LBB328_988:
	s_or_b64 exec, exec, s[0:1]
	s_and_saveexec_b64 s[0:1], s[20:21]
	s_xor_b64 s[0:1], exec, s[0:1]
	s_cbranch_execz .LBB328_1026
.LBB328_989:
	s_sext_i32_i16 s16, s28
	s_cmp_lt_i32 s16, 5
	s_mov_b64 s[14:15], -1
	s_cbranch_scc1 .LBB328_1010
; %bb.990:
	s_cmp_lt_i32 s16, 8
	s_cbranch_scc1 .LBB328_1000
; %bb.991:
	s_cmp_lt_i32 s16, 9
	s_cbranch_scc1 .LBB328_997
; %bb.992:
	s_cmp_gt_i32 s16, 9
	s_cbranch_scc0 .LBB328_994
; %bb.993:
	v_mov_b32_e32 v6, 0
	s_waitcnt vmcnt(0)
	v_cvt_f64_f32_e32 v[4:5], v2
	v_mov_b32_e32 v7, v6
	s_mov_b64 s[14:15], 0
	global_store_dwordx4 v[0:1], v[4:7], off
.LBB328_994:
	s_andn2_b64 vcc, exec, s[14:15]
	s_cbranch_vccnz .LBB328_996
; %bb.995:
	s_waitcnt vmcnt(0)
	v_mov_b32_e32 v3, 0
	global_store_dwordx2 v[0:1], v[2:3], off
.LBB328_996:
	s_mov_b64 s[14:15], 0
.LBB328_997:
	s_andn2_b64 vcc, exec, s[14:15]
	s_cbranch_vccnz .LBB328_999
; %bb.998:
	s_waitcnt vmcnt(0)
	v_cvt_f16_f32_e32 v3, v2
	global_store_dword v[0:1], v3, off
.LBB328_999:
	s_mov_b64 s[14:15], 0
.LBB328_1000:
	s_andn2_b64 vcc, exec, s[14:15]
	s_cbranch_vccnz .LBB328_1009
; %bb.1001:
	s_sext_i32_i16 s16, s28
	s_cmp_lt_i32 s16, 6
	s_mov_b64 s[14:15], -1
	s_cbranch_scc1 .LBB328_1007
; %bb.1002:
	s_cmp_gt_i32 s16, 6
	s_cbranch_scc0 .LBB328_1004
; %bb.1003:
	s_waitcnt vmcnt(0)
	v_cvt_f64_f32_e32 v[4:5], v2
	s_mov_b64 s[14:15], 0
	global_store_dwordx2 v[0:1], v[4:5], off
.LBB328_1004:
	s_andn2_b64 vcc, exec, s[14:15]
	s_cbranch_vccnz .LBB328_1006
; %bb.1005:
	s_waitcnt vmcnt(0)
	global_store_dword v[0:1], v2, off
.LBB328_1006:
	s_mov_b64 s[14:15], 0
.LBB328_1007:
	s_andn2_b64 vcc, exec, s[14:15]
	s_cbranch_vccnz .LBB328_1009
; %bb.1008:
	s_waitcnt vmcnt(0)
	v_cvt_f16_f32_e32 v3, v2
	global_store_short v[0:1], v3, off
.LBB328_1009:
	s_mov_b64 s[14:15], 0
.LBB328_1010:
	s_andn2_b64 vcc, exec, s[14:15]
	s_cbranch_vccnz .LBB328_1026
; %bb.1011:
	s_sext_i32_i16 s16, s28
	s_cmp_lt_i32 s16, 2
	s_mov_b64 s[14:15], -1
	s_cbranch_scc1 .LBB328_1021
; %bb.1012:
	s_cmp_lt_i32 s16, 3
	s_cbranch_scc1 .LBB328_1018
; %bb.1013:
	s_cmp_gt_i32 s16, 3
	s_cbranch_scc0 .LBB328_1015
; %bb.1014:
	s_waitcnt vmcnt(0)
	v_trunc_f32_e32 v3, v2
	s_mov_b32 s14, 0x2f800000
	v_mul_f32_e64 v4, |v3|, s14
	v_floor_f32_e32 v4, v4
	s_mov_b32 s14, 0xcf800000
	v_cvt_u32_f32_e32 v5, v4
	v_fma_f32 v4, v4, s14, |v3|
	v_cvt_u32_f32_e32 v4, v4
	v_ashrrev_i32_e32 v3, 31, v3
	v_xor_b32_e32 v5, v5, v3
	s_mov_b64 s[14:15], 0
	v_xor_b32_e32 v4, v4, v3
	v_sub_co_u32_e32 v4, vcc, v4, v3
	s_nop 1
	v_subb_co_u32_e32 v5, vcc, v5, v3, vcc
	global_store_dwordx2 v[0:1], v[4:5], off
.LBB328_1015:
	s_andn2_b64 vcc, exec, s[14:15]
	s_cbranch_vccnz .LBB328_1017
; %bb.1016:
	s_waitcnt vmcnt(0)
	v_cvt_i32_f32_e32 v3, v2
	global_store_dword v[0:1], v3, off
.LBB328_1017:
	s_mov_b64 s[14:15], 0
.LBB328_1018:
	s_andn2_b64 vcc, exec, s[14:15]
	s_cbranch_vccnz .LBB328_1020
; %bb.1019:
	s_waitcnt vmcnt(0)
	v_cvt_i32_f32_e32 v3, v2
	global_store_short v[0:1], v3, off
.LBB328_1020:
	s_mov_b64 s[14:15], 0
.LBB328_1021:
	s_andn2_b64 vcc, exec, s[14:15]
	s_cbranch_vccnz .LBB328_1026
; %bb.1022:
	s_sext_i32_i16 s14, s28
	s_cmp_gt_i32 s14, 0
	s_mov_b64 s[14:15], -1
	s_cbranch_scc0 .LBB328_1024
; %bb.1023:
	s_waitcnt vmcnt(0)
	v_cvt_i32_f32_e32 v3, v2
	s_mov_b64 s[14:15], 0
	global_store_byte v[0:1], v3, off
.LBB328_1024:
	s_andn2_b64 vcc, exec, s[14:15]
	s_cbranch_vccnz .LBB328_1026
; %bb.1025:
	s_waitcnt vmcnt(0)
	v_trunc_f32_e32 v2, v2
	s_mov_b32 s14, 0x2f800000
	v_mul_f32_e64 v3, |v2|, s14
	v_floor_f32_e32 v3, v3
	s_mov_b32 s14, 0xcf800000
	v_fma_f32 v3, v3, s14, |v2|
	v_cvt_u32_f32_e32 v3, v3
	v_ashrrev_i32_e32 v2, 31, v2
	v_xor_b32_e32 v3, v3, v2
	v_sub_u32_e32 v2, v3, v2
	global_store_byte v[0:1], v2, off
.LBB328_1026:
	s_or_b64 exec, exec, s[0:1]
	s_and_b64 s[14:15], s[18:19], exec
                                        ; implicit-def: $vgpr5
.LBB328_1027:
	s_or_saveexec_b64 s[12:13], s[12:13]
	s_mov_b64 s[0:1], 0
                                        ; implicit-def: $sgpr20
                                        ; implicit-def: $vgpr0_vgpr1
                                        ; implicit-def: $vgpr2
	s_xor_b64 exec, exec, s[12:13]
	s_cbranch_execz .LBB328_1975
; %bb.1028:
	v_mul_lo_u32 v0, s9, v5
	v_ashrrev_i32_e32 v1, 31, v0
	s_and_b32 s24, 0xffff, s44
	s_cmp_lt_i32 s24, 11
	s_waitcnt vmcnt(0)
	v_lshl_add_u64 v[2:3], s[6:7], 0, v[0:1]
	s_cbranch_scc1 .LBB328_1035
; %bb.1029:
	s_cmp_gt_i32 s24, 25
	s_cbranch_scc0 .LBB328_1037
; %bb.1030:
	s_cmp_gt_i32 s24, 28
	s_cbranch_scc0 .LBB328_1038
	;; [unrolled: 3-line block ×4, first 2 shown]
; %bb.1033:
	s_cmp_eq_u32 s24, 46
	s_mov_b64 s[16:17], 0
	s_cbranch_scc0 .LBB328_1043
; %bb.1034:
	global_load_dword v1, v[2:3], off
	s_mov_b64 s[18:19], -1
	s_waitcnt vmcnt(0)
	v_lshlrev_b32_e32 v4, 16, v1
	s_branch .LBB328_1044
.LBB328_1035:
	s_mov_b64 s[18:19], 0
                                        ; implicit-def: $vgpr4
	s_mov_b64 s[16:17], s[14:15]
	s_cbranch_execnz .LBB328_1107
.LBB328_1036:
	s_andn2_b64 vcc, exec, s[18:19]
	s_cbranch_vccz .LBB328_1152
	s_branch .LBB328_1973
.LBB328_1037:
	s_mov_b64 s[18:19], 0
                                        ; implicit-def: $vgpr4
	s_cbranch_execnz .LBB328_1072
	s_branch .LBB328_1103
.LBB328_1038:
	s_mov_b64 s[16:17], -1
	s_mov_b64 s[18:19], 0
                                        ; implicit-def: $vgpr4
	s_branch .LBB328_1053
.LBB328_1039:
	s_mov_b64 s[18:19], 0
                                        ; implicit-def: $vgpr4
	s_cbranch_execnz .LBB328_1049
	s_branch .LBB328_1052
.LBB328_1040:
	s_mov_b64 s[16:17], -1
	s_mov_b64 s[18:19], 0
                                        ; implicit-def: $vgpr4
	s_branch .LBB328_1044
.LBB328_1041:
	s_andn2_saveexec_b64 s[24:25], s[24:25]
	s_cbranch_execz .LBB328_940
.LBB328_1042:
	s_mov_b32 s26, 0x46000000
	v_add_f32_e64 v3, |v2|, s26
	v_and_b32_e32 v3, 0xff, v3
	v_cmp_ne_u32_e32 vcc, 0, v3
	s_andn2_b64 s[22:23], s[22:23], exec
	s_and_b64 s[26:27], vcc, exec
	s_or_b64 s[22:23], s[22:23], s[26:27]
	s_or_b64 exec, exec, s[24:25]
	v_mov_b32_e32 v4, 0
	s_and_saveexec_b64 s[24:25], s[22:23]
	s_cbranch_execnz .LBB328_941
	s_branch .LBB328_942
.LBB328_1043:
	s_mov_b64 s[0:1], -1
                                        ; implicit-def: $vgpr4
	s_mov_b64 s[18:19], 0
.LBB328_1044:
	s_and_b64 vcc, exec, s[16:17]
	s_cbranch_vccz .LBB328_1047
; %bb.1045:
	s_cmp_eq_u32 s24, 44
	s_cbranch_scc0 .LBB328_1048
; %bb.1046:
	global_load_ubyte v1, v[2:3], off
	s_movk_i32 s16, 0xff
	v_mov_b32_e32 v4, 0x7f800001
	v_mov_b32_e32 v6, 0x400000
	s_mov_b64 s[0:1], 0
	s_mov_b64 s[18:19], -1
	s_waitcnt vmcnt(0)
	v_lshlrev_b32_e32 v7, 23, v1
	v_cmp_ne_u32_e32 vcc, s16, v1
	s_nop 1
	v_cndmask_b32_e32 v4, v4, v7, vcc
	v_cmp_ne_u32_e32 vcc, 0, v1
	s_nop 1
	v_cndmask_b32_e32 v4, v6, v4, vcc
.LBB328_1047:
	s_branch .LBB328_1052
.LBB328_1048:
	s_mov_b64 s[0:1], -1
                                        ; implicit-def: $vgpr4
	s_branch .LBB328_1052
.LBB328_1049:
	s_cmp_eq_u32 s24, 29
	s_cbranch_scc0 .LBB328_1051
; %bb.1050:
	global_load_dwordx2 v[6:7], v[2:3], off
	s_mov_b64 s[0:1], 0
	s_mov_b64 s[18:19], -1
	s_mov_b64 s[16:17], 0
	s_waitcnt vmcnt(0)
	v_ffbh_u32_e32 v1, v7
	v_min_u32_e32 v1, 32, v1
	v_lshlrev_b64 v[6:7], v1, v[6:7]
	v_min_u32_e32 v4, 1, v6
	v_or_b32_e32 v4, v7, v4
	v_cvt_f32_u32_e32 v4, v4
	v_sub_u32_e32 v1, 32, v1
	v_ldexp_f32 v4, v4, v1
	s_branch .LBB328_1053
.LBB328_1051:
	s_mov_b64 s[0:1], -1
                                        ; implicit-def: $vgpr4
.LBB328_1052:
	s_mov_b64 s[16:17], 0
.LBB328_1053:
	s_and_b64 vcc, exec, s[16:17]
	s_cbranch_vccz .LBB328_1071
; %bb.1054:
	s_cmp_lt_i32 s24, 27
	s_cbranch_scc1 .LBB328_1057
; %bb.1055:
	s_cmp_gt_i32 s24, 27
	s_cbranch_scc0 .LBB328_1058
; %bb.1056:
	global_load_dword v1, v[2:3], off
	s_mov_b64 s[16:17], 0
	s_waitcnt vmcnt(0)
	v_cvt_f32_u32_e32 v4, v1
	s_branch .LBB328_1059
.LBB328_1057:
	s_mov_b64 s[16:17], -1
                                        ; implicit-def: $vgpr4
	s_branch .LBB328_1062
.LBB328_1058:
	s_mov_b64 s[16:17], -1
                                        ; implicit-def: $vgpr4
.LBB328_1059:
	s_andn2_b64 vcc, exec, s[16:17]
	s_cbranch_vccnz .LBB328_1061
; %bb.1060:
	global_load_ushort v1, v[2:3], off
	s_waitcnt vmcnt(0)
	v_cvt_f32_u32_e32 v4, v1
.LBB328_1061:
	s_mov_b64 s[16:17], 0
.LBB328_1062:
	s_andn2_b64 vcc, exec, s[16:17]
	s_cbranch_vccnz .LBB328_1070
; %bb.1063:
	global_load_ubyte v1, v[2:3], off
	s_movk_i32 s16, 0x7f
	s_waitcnt vmcnt(0)
	v_cmp_lt_i16_e32 vcc, s16, v1
	s_mov_b64 s[16:17], 0
	s_and_saveexec_b64 s[18:19], vcc
	s_xor_b64 s[18:19], exec, s[18:19]
	s_cbranch_execz .LBB328_1083
; %bb.1064:
	s_movk_i32 s16, 0x80
	v_cmp_eq_u16_e32 vcc, s16, v1
	s_mov_b64 s[16:17], -1
	s_and_saveexec_b64 s[20:21], vcc
; %bb.1065:
	s_xor_b64 s[16:17], exec, -1
; %bb.1066:
	s_or_b64 exec, exec, s[20:21]
	s_and_b64 s[16:17], s[16:17], exec
	s_or_saveexec_b64 s[18:19], s[18:19]
	v_mov_b32_e32 v4, 0x7f800001
	s_xor_b64 exec, exec, s[18:19]
	s_cbranch_execnz .LBB328_1084
.LBB328_1067:
	s_or_b64 exec, exec, s[18:19]
	s_and_saveexec_b64 s[18:19], s[16:17]
	s_cbranch_execz .LBB328_1069
.LBB328_1068:
	v_lshlrev_b32_e32 v4, 24, v1
	v_and_b32_e32 v1, 0xffff, v1
	v_and_b32_e32 v6, 7, v1
	v_ffbh_u32_e32 v8, v6
	v_min_u32_e32 v8, 32, v8
	v_subrev_u32_e32 v9, 28, v8
	v_bfe_u32 v7, v1, 3, 4
	v_lshlrev_b32_e32 v1, v9, v1
	v_sub_u32_e32 v8, 29, v8
	v_and_b32_e32 v1, 7, v1
	v_cmp_eq_u32_e32 vcc, 0, v7
	v_and_b32_e32 v4, 0x80000000, v4
	s_nop 0
	v_cndmask_b32_e32 v7, v7, v8, vcc
	v_cndmask_b32_e32 v1, v6, v1, vcc
	v_mov_b32_e32 v6, 0x3b800000
	v_lshlrev_b32_e32 v1, 20, v1
	v_lshl_add_u32 v6, v7, 23, v6
	v_or3_b32 v4, v4, v6, v1
.LBB328_1069:
	s_or_b64 exec, exec, s[18:19]
.LBB328_1070:
	s_mov_b64 s[18:19], -1
.LBB328_1071:
	s_branch .LBB328_1103
.LBB328_1072:
	s_cmp_gt_i32 s24, 22
	s_cbranch_scc0 .LBB328_1082
; %bb.1073:
	s_cmp_lt_i32 s24, 24
	s_cbranch_scc1 .LBB328_1085
; %bb.1074:
	s_cmp_gt_i32 s24, 24
	s_cbranch_scc0 .LBB328_1086
; %bb.1075:
	global_load_ubyte v1, v[2:3], off
	s_movk_i32 s2, 0x7f
	s_waitcnt vmcnt(0)
	v_cmp_lt_i16_e32 vcc, s2, v1
	s_mov_b64 s[2:3], 0
	s_and_saveexec_b64 s[16:17], vcc
	s_xor_b64 s[16:17], exec, s[16:17]
	s_cbranch_execz .LBB328_1097
; %bb.1076:
	s_movk_i32 s2, 0x80
	v_cmp_eq_u16_e32 vcc, s2, v1
	s_mov_b64 s[2:3], -1
	s_and_saveexec_b64 s[18:19], vcc
; %bb.1077:
	s_xor_b64 s[2:3], exec, -1
; %bb.1078:
	s_or_b64 exec, exec, s[18:19]
	s_and_b64 s[2:3], s[2:3], exec
	s_or_saveexec_b64 s[16:17], s[16:17]
	v_mov_b32_e32 v4, 0x7f800001
	s_xor_b64 exec, exec, s[16:17]
	s_cbranch_execnz .LBB328_1098
.LBB328_1079:
	s_or_b64 exec, exec, s[16:17]
	s_and_saveexec_b64 s[16:17], s[2:3]
	s_cbranch_execz .LBB328_1081
.LBB328_1080:
	v_lshlrev_b32_e32 v4, 24, v1
	v_and_b32_e32 v1, 0xffff, v1
	v_and_b32_e32 v6, 3, v1
	v_ffbh_u32_e32 v8, v6
	v_min_u32_e32 v8, 32, v8
	v_subrev_u32_e32 v9, 29, v8
	v_bfe_u32 v7, v1, 2, 5
	v_lshlrev_b32_e32 v1, v9, v1
	v_sub_u32_e32 v8, 30, v8
	v_and_b32_e32 v1, 3, v1
	v_cmp_eq_u32_e32 vcc, 0, v7
	v_and_b32_e32 v4, 0x80000000, v4
	s_nop 0
	v_cndmask_b32_e32 v7, v7, v8, vcc
	v_cndmask_b32_e32 v1, v6, v1, vcc
	v_mov_b32_e32 v6, 0x37800000
	v_lshlrev_b32_e32 v1, 21, v1
	v_lshl_add_u32 v6, v7, 23, v6
	v_or3_b32 v4, v4, v6, v1
.LBB328_1081:
	s_or_b64 exec, exec, s[16:17]
	s_mov_b64 s[2:3], 0
	s_branch .LBB328_1087
.LBB328_1082:
                                        ; implicit-def: $vgpr4
	s_mov_b64 s[2:3], 0
	s_branch .LBB328_1093
.LBB328_1083:
	s_or_saveexec_b64 s[18:19], s[18:19]
	v_mov_b32_e32 v4, 0x7f800001
	s_xor_b64 exec, exec, s[18:19]
	s_cbranch_execz .LBB328_1067
.LBB328_1084:
	v_cmp_ne_u16_e32 vcc, 0, v1
	s_andn2_b64 s[16:17], s[16:17], exec
	s_and_b64 s[20:21], vcc, exec
	v_mov_b32_e32 v4, 0
	s_or_b64 s[16:17], s[16:17], s[20:21]
	s_or_b64 exec, exec, s[18:19]
	s_and_saveexec_b64 s[18:19], s[16:17]
	s_cbranch_execnz .LBB328_1068
	s_branch .LBB328_1069
.LBB328_1085:
	s_mov_b64 s[2:3], -1
                                        ; implicit-def: $vgpr4
	s_branch .LBB328_1090
.LBB328_1086:
	s_mov_b64 s[2:3], -1
                                        ; implicit-def: $vgpr4
.LBB328_1087:
	s_and_b64 vcc, exec, s[2:3]
	s_cbranch_vccz .LBB328_1089
; %bb.1088:
	global_load_ubyte v1, v[2:3], off
	s_mov_b32 s2, 0x7f800000
	s_waitcnt vmcnt(0)
	v_lshlrev_b32_e32 v1, 24, v1
	v_and_b32_e32 v4, 0x7f000000, v1
	v_ffbh_u32_e32 v6, v4
	v_min_u32_e32 v6, 32, v6
	v_sub_u32_e64 v6, v6, 4 clamp
	v_lshlrev_b32_e32 v8, v6, v4
	v_lshlrev_b32_e32 v6, 23, v6
	v_lshrrev_b32_e32 v8, 4, v8
	v_add_u32_e32 v7, 0x1000000, v4
	v_sub_u32_e32 v6, v8, v6
	v_ashrrev_i32_e32 v7, 8, v7
	v_add_u32_e32 v6, 0x3c000000, v6
	v_and_or_b32 v6, v7, s2, v6
	v_cmp_ne_u32_e32 vcc, 0, v4
	s_brev_b32 s2, 1
	s_nop 0
	v_cndmask_b32_e32 v4, 0, v6, vcc
	v_and_or_b32 v4, v1, s2, v4
.LBB328_1089:
	s_mov_b64 s[2:3], 0
.LBB328_1090:
	s_andn2_b64 vcc, exec, s[2:3]
	s_cbranch_vccnz .LBB328_1092
; %bb.1091:
	global_load_ubyte v1, v[2:3], off
	s_movk_i32 s2, 0x7f00
	s_brev_b32 s3, 16
	s_waitcnt vmcnt(0)
	v_lshlrev_b16_e32 v4, 8, v1
	v_lshlrev_b32_e32 v1, 25, v1
	v_lshrrev_b32_e32 v6, 4, v1
	v_and_or_b32 v7, v4, s2, 0.5
	v_or_b32_e32 v6, 0x70000000, v6
	v_add_f32_e32 v7, -0.5, v7
	v_mul_f32_e32 v6, 0x7800000, v6
	v_cmp_gt_u32_e32 vcc, s3, v1
	v_bfe_i32 v4, v4, 0, 16
	s_brev_b32 s2, 1
	v_cndmask_b32_e32 v1, v6, v7, vcc
	v_and_or_b32 v4, v4, s2, v1
.LBB328_1092:
	s_mov_b64 s[18:19], -1
	s_mov_b64 s[2:3], 0
	s_cbranch_execnz .LBB328_1103
.LBB328_1093:
	s_cmp_gt_i32 s24, 14
	s_cbranch_scc0 .LBB328_1096
; %bb.1094:
	s_cmp_eq_u32 s24, 15
	s_cbranch_scc0 .LBB328_1099
; %bb.1095:
	global_load_ushort v1, v[2:3], off
	s_mov_b64 s[0:1], 0
	s_mov_b64 s[18:19], -1
	s_waitcnt vmcnt(0)
	v_lshlrev_b32_e32 v4, 16, v1
	s_branch .LBB328_1100
.LBB328_1096:
	s_mov_b64 s[16:17], -1
                                        ; implicit-def: $vgpr4
	s_branch .LBB328_1101
.LBB328_1097:
	s_or_saveexec_b64 s[16:17], s[16:17]
	v_mov_b32_e32 v4, 0x7f800001
	s_xor_b64 exec, exec, s[16:17]
	s_cbranch_execz .LBB328_1079
.LBB328_1098:
	v_cmp_ne_u16_e32 vcc, 0, v1
	s_andn2_b64 s[2:3], s[2:3], exec
	s_and_b64 s[18:19], vcc, exec
	v_mov_b32_e32 v4, 0
	s_or_b64 s[2:3], s[2:3], s[18:19]
	s_or_b64 exec, exec, s[16:17]
	s_and_saveexec_b64 s[16:17], s[2:3]
	s_cbranch_execnz .LBB328_1080
	s_branch .LBB328_1081
.LBB328_1099:
	s_mov_b64 s[0:1], -1
                                        ; implicit-def: $vgpr4
.LBB328_1100:
	s_mov_b64 s[16:17], 0
.LBB328_1101:
	s_and_b64 vcc, exec, s[16:17]
	s_cbranch_vccz .LBB328_1103
; %bb.1102:
	s_cmp_lg_u32 s24, 11
	s_mov_b64 s[2:3], -1
	s_cselect_b64 s[0:1], -1, 0
.LBB328_1103:
	s_and_b64 vcc, exec, s[0:1]
	s_mov_b64 s[16:17], s[14:15]
	s_cbranch_vccnz .LBB328_1164
; %bb.1104:
	s_andn2_b64 vcc, exec, s[2:3]
	s_cbranch_vccnz .LBB328_1106
.LBB328_1105:
	global_load_ubyte v1, v[2:3], off
	s_mov_b64 s[18:19], -1
	s_waitcnt vmcnt(0)
	v_cmp_ne_u16_e32 vcc, 0, v1
	s_nop 1
	v_cndmask_b32_e64 v4, 0, 1.0, vcc
.LBB328_1106:
	s_branch .LBB328_1036
.LBB328_1107:
	s_cmp_lt_i32 s24, 5
	s_cbranch_scc1 .LBB328_1112
; %bb.1108:
	s_cmp_lt_i32 s24, 8
	s_cbranch_scc1 .LBB328_1113
; %bb.1109:
	;; [unrolled: 3-line block ×3, first 2 shown]
	s_cmp_gt_i32 s24, 9
	s_cbranch_scc0 .LBB328_1115
; %bb.1111:
	global_load_dwordx2 v[6:7], v[2:3], off
	s_mov_b64 s[0:1], 0
	s_waitcnt vmcnt(0)
	v_cvt_f32_f64_e32 v4, v[6:7]
	s_branch .LBB328_1116
.LBB328_1112:
                                        ; implicit-def: $vgpr4
	s_branch .LBB328_1133
.LBB328_1113:
                                        ; implicit-def: $vgpr4
	s_branch .LBB328_1122
.LBB328_1114:
	s_mov_b64 s[0:1], -1
                                        ; implicit-def: $vgpr4
	s_branch .LBB328_1119
.LBB328_1115:
	s_mov_b64 s[0:1], -1
                                        ; implicit-def: $vgpr4
.LBB328_1116:
	s_andn2_b64 vcc, exec, s[0:1]
	s_cbranch_vccnz .LBB328_1118
; %bb.1117:
	global_load_dword v4, v[2:3], off
.LBB328_1118:
	s_mov_b64 s[0:1], 0
.LBB328_1119:
	s_andn2_b64 vcc, exec, s[0:1]
	s_cbranch_vccnz .LBB328_1121
; %bb.1120:
	global_load_dword v1, v[2:3], off
	s_waitcnt vmcnt(0)
	v_cvt_f32_f16_e32 v4, v1
.LBB328_1121:
	s_cbranch_execnz .LBB328_1132
.LBB328_1122:
	s_cmp_lt_i32 s24, 6
	s_cbranch_scc1 .LBB328_1125
; %bb.1123:
	s_cmp_gt_i32 s24, 6
	s_cbranch_scc0 .LBB328_1126
; %bb.1124:
	global_load_dwordx2 v[6:7], v[2:3], off
	s_mov_b64 s[0:1], 0
	s_waitcnt vmcnt(0)
	v_cvt_f32_f64_e32 v4, v[6:7]
	s_branch .LBB328_1127
.LBB328_1125:
	s_mov_b64 s[0:1], -1
                                        ; implicit-def: $vgpr4
	s_branch .LBB328_1130
.LBB328_1126:
	s_mov_b64 s[0:1], -1
                                        ; implicit-def: $vgpr4
.LBB328_1127:
	s_andn2_b64 vcc, exec, s[0:1]
	s_cbranch_vccnz .LBB328_1129
; %bb.1128:
	global_load_dword v4, v[2:3], off
.LBB328_1129:
	s_mov_b64 s[0:1], 0
.LBB328_1130:
	s_andn2_b64 vcc, exec, s[0:1]
	s_cbranch_vccnz .LBB328_1132
; %bb.1131:
	global_load_ushort v1, v[2:3], off
	s_waitcnt vmcnt(0)
	v_cvt_f32_f16_e32 v4, v1
.LBB328_1132:
	s_cbranch_execnz .LBB328_1151
.LBB328_1133:
	s_cmp_lt_i32 s24, 2
	s_cbranch_scc1 .LBB328_1137
; %bb.1134:
	s_cmp_lt_i32 s24, 3
	s_cbranch_scc1 .LBB328_1138
; %bb.1135:
	s_cmp_gt_i32 s24, 3
	s_cbranch_scc0 .LBB328_1139
; %bb.1136:
	global_load_dwordx2 v[6:7], v[2:3], off
	s_mov_b64 s[0:1], 0
	s_waitcnt vmcnt(0)
	v_xor_b32_e32 v4, v6, v7
	v_ffbh_i32_e32 v1, v7
	v_ashrrev_i32_e32 v4, 31, v4
	v_add_u32_e32 v1, -1, v1
	v_add_u32_e32 v4, 32, v4
	v_min_u32_e32 v1, v1, v4
	v_lshlrev_b64 v[6:7], v1, v[6:7]
	v_min_u32_e32 v4, 1, v6
	v_or_b32_e32 v4, v7, v4
	v_cvt_f32_i32_e32 v4, v4
	v_sub_u32_e32 v1, 32, v1
	v_ldexp_f32 v4, v4, v1
	s_branch .LBB328_1140
.LBB328_1137:
                                        ; implicit-def: $vgpr4
	s_branch .LBB328_1146
.LBB328_1138:
	s_mov_b64 s[0:1], -1
                                        ; implicit-def: $vgpr4
	s_branch .LBB328_1143
.LBB328_1139:
	s_mov_b64 s[0:1], -1
                                        ; implicit-def: $vgpr4
.LBB328_1140:
	s_andn2_b64 vcc, exec, s[0:1]
	s_cbranch_vccnz .LBB328_1142
; %bb.1141:
	global_load_dword v1, v[2:3], off
	s_waitcnt vmcnt(0)
	v_cvt_f32_i32_e32 v4, v1
.LBB328_1142:
	s_mov_b64 s[0:1], 0
.LBB328_1143:
	s_andn2_b64 vcc, exec, s[0:1]
	s_cbranch_vccnz .LBB328_1145
; %bb.1144:
	global_load_sshort v1, v[2:3], off
	s_waitcnt vmcnt(0)
	v_cvt_f32_i32_e32 v4, v1
.LBB328_1145:
	s_cbranch_execnz .LBB328_1151
.LBB328_1146:
	s_cmp_gt_i32 s24, 0
	s_cbranch_scc0 .LBB328_1148
; %bb.1147:
	global_load_sbyte v1, v[2:3], off
	s_mov_b64 s[0:1], 0
	s_waitcnt vmcnt(0)
	v_cvt_f32_i32_e32 v4, v1
	s_branch .LBB328_1149
.LBB328_1148:
	s_mov_b64 s[0:1], -1
                                        ; implicit-def: $vgpr4
.LBB328_1149:
	s_andn2_b64 vcc, exec, s[0:1]
	s_cbranch_vccnz .LBB328_1151
; %bb.1150:
	global_load_ubyte v1, v[2:3], off
	s_waitcnt vmcnt(0)
	v_cvt_f32_ubyte0_e32 v4, v1
.LBB328_1151:
.LBB328_1152:
	s_lshl_b32 s9, s9, 7
	v_add_u32_e32 v0, s9, v0
	v_ashrrev_i32_e32 v1, 31, v0
	s_cmp_lt_i32 s24, 11
	v_lshl_add_u64 v[2:3], s[6:7], 0, v[0:1]
	s_cbranch_scc1 .LBB328_1159
; %bb.1153:
	s_cmp_gt_i32 s24, 25
	s_mov_b64 s[2:3], 0
	s_cbranch_scc0 .LBB328_1161
; %bb.1154:
	s_cmp_gt_i32 s24, 28
	s_cbranch_scc0 .LBB328_1162
; %bb.1155:
	s_cmp_gt_i32 s24, 43
	;; [unrolled: 3-line block ×3, first 2 shown]
	s_cbranch_scc0 .LBB328_1165
; %bb.1157:
	s_cmp_eq_u32 s24, 46
	s_mov_b64 s[20:21], 0
	s_cbranch_scc0 .LBB328_1168
; %bb.1158:
	global_load_dword v1, v[2:3], off
	s_mov_b64 s[0:1], 0
	s_mov_b64 s[18:19], -1
	s_waitcnt vmcnt(0)
	v_lshlrev_b32_e32 v6, 16, v1
	s_branch .LBB328_1169
.LBB328_1159:
	s_mov_b64 s[18:19], 0
                                        ; implicit-def: $vgpr6
	s_cbranch_execnz .LBB328_1234
.LBB328_1160:
	s_andn2_b64 vcc, exec, s[18:19]
	s_cbranch_vccnz .LBB328_1973
	s_branch .LBB328_1281
.LBB328_1161:
	s_mov_b64 s[18:19], 0
	s_mov_b64 s[0:1], 0
                                        ; implicit-def: $vgpr6
	s_cbranch_execnz .LBB328_1198
	s_branch .LBB328_1230
.LBB328_1162:
	s_mov_b64 s[20:21], -1
	s_mov_b64 s[18:19], 0
	s_mov_b64 s[0:1], 0
                                        ; implicit-def: $vgpr6
	s_branch .LBB328_1179
.LBB328_1163:
	s_mov_b64 s[20:21], -1
	s_mov_b64 s[18:19], 0
	s_mov_b64 s[0:1], 0
                                        ; implicit-def: $vgpr6
	s_branch .LBB328_1174
.LBB328_1164:
	s_or_b64 s[16:17], s[14:15], exec
	s_trap 2
	s_cbranch_execz .LBB328_1105
	s_branch .LBB328_1106
.LBB328_1165:
	s_mov_b64 s[20:21], -1
	s_mov_b64 s[18:19], 0
	s_mov_b64 s[0:1], 0
                                        ; implicit-def: $vgpr6
	s_branch .LBB328_1169
.LBB328_1166:
	s_andn2_saveexec_b64 s[26:27], s[26:27]
	s_cbranch_execz .LBB328_952
.LBB328_1167:
	s_mov_b32 s30, 0x42800000
	v_add_f32_e64 v3, |v2|, s30
	v_and_b32_e32 v3, 0xff, v3
	v_cmp_ne_u32_e32 vcc, 0, v3
	s_andn2_b64 s[24:25], s[24:25], exec
	s_and_b64 s[30:31], vcc, exec
	s_or_b64 s[24:25], s[24:25], s[30:31]
	s_or_b64 exec, exec, s[26:27]
	v_mov_b32_e32 v4, 0
	s_and_saveexec_b64 s[26:27], s[24:25]
	s_cbranch_execnz .LBB328_953
	s_branch .LBB328_954
.LBB328_1168:
	s_mov_b64 s[0:1], -1
                                        ; implicit-def: $vgpr6
	s_mov_b64 s[18:19], 0
.LBB328_1169:
	s_and_b64 vcc, exec, s[20:21]
	s_cbranch_vccz .LBB328_1173
; %bb.1170:
	s_cmp_eq_u32 s24, 44
	s_cbranch_scc0 .LBB328_1172
; %bb.1171:
	global_load_ubyte v1, v[2:3], off
	s_movk_i32 s18, 0xff
	v_mov_b32_e32 v6, 0x7f800001
	v_mov_b32_e32 v7, 0x400000
	s_mov_b64 s[0:1], 0
	s_waitcnt vmcnt(0)
	v_lshlrev_b32_e32 v8, 23, v1
	v_cmp_ne_u32_e32 vcc, s18, v1
	s_mov_b64 s[18:19], -1
	s_nop 0
	v_cndmask_b32_e32 v6, v6, v8, vcc
	v_cmp_ne_u32_e32 vcc, 0, v1
	s_nop 1
	v_cndmask_b32_e32 v6, v7, v6, vcc
	s_branch .LBB328_1173
.LBB328_1172:
	s_mov_b64 s[0:1], -1
                                        ; implicit-def: $vgpr6
.LBB328_1173:
	s_mov_b64 s[20:21], 0
.LBB328_1174:
	s_and_b64 vcc, exec, s[20:21]
	s_cbranch_vccz .LBB328_1178
; %bb.1175:
	s_cmp_eq_u32 s24, 29
	s_cbranch_scc0 .LBB328_1177
; %bb.1176:
	global_load_dwordx2 v[6:7], v[2:3], off
	s_mov_b64 s[0:1], 0
	s_mov_b64 s[18:19], -1
	s_mov_b64 s[20:21], 0
	s_waitcnt vmcnt(0)
	v_ffbh_u32_e32 v1, v7
	v_min_u32_e32 v1, 32, v1
	v_lshlrev_b64 v[6:7], v1, v[6:7]
	v_min_u32_e32 v6, 1, v6
	v_or_b32_e32 v6, v7, v6
	v_cvt_f32_u32_e32 v6, v6
	v_sub_u32_e32 v1, 32, v1
	v_ldexp_f32 v6, v6, v1
	s_branch .LBB328_1179
.LBB328_1177:
	s_mov_b64 s[0:1], -1
                                        ; implicit-def: $vgpr6
.LBB328_1178:
	s_mov_b64 s[20:21], 0
.LBB328_1179:
	s_and_b64 vcc, exec, s[20:21]
	s_cbranch_vccz .LBB328_1197
; %bb.1180:
	s_cmp_lt_i32 s24, 27
	s_cbranch_scc1 .LBB328_1183
; %bb.1181:
	s_cmp_gt_i32 s24, 27
	s_cbranch_scc0 .LBB328_1184
; %bb.1182:
	global_load_dword v1, v[2:3], off
	s_mov_b64 s[18:19], 0
	s_waitcnt vmcnt(0)
	v_cvt_f32_u32_e32 v6, v1
	s_branch .LBB328_1185
.LBB328_1183:
	s_mov_b64 s[18:19], -1
                                        ; implicit-def: $vgpr6
	s_branch .LBB328_1188
.LBB328_1184:
	s_mov_b64 s[18:19], -1
                                        ; implicit-def: $vgpr6
.LBB328_1185:
	s_andn2_b64 vcc, exec, s[18:19]
	s_cbranch_vccnz .LBB328_1187
; %bb.1186:
	global_load_ushort v1, v[2:3], off
	s_waitcnt vmcnt(0)
	v_cvt_f32_u32_e32 v6, v1
.LBB328_1187:
	s_mov_b64 s[18:19], 0
.LBB328_1188:
	s_andn2_b64 vcc, exec, s[18:19]
	s_cbranch_vccnz .LBB328_1196
; %bb.1189:
	global_load_ubyte v1, v[2:3], off
	s_movk_i32 s18, 0x7f
	s_waitcnt vmcnt(0)
	v_cmp_lt_i16_e32 vcc, s18, v1
	s_mov_b64 s[18:19], 0
	s_and_saveexec_b64 s[20:21], vcc
	s_xor_b64 s[20:21], exec, s[20:21]
	s_cbranch_execz .LBB328_1209
; %bb.1190:
	s_movk_i32 s18, 0x80
	v_cmp_eq_u16_e32 vcc, s18, v1
	s_mov_b64 s[18:19], -1
	s_and_saveexec_b64 s[22:23], vcc
; %bb.1191:
	s_xor_b64 s[18:19], exec, -1
; %bb.1192:
	s_or_b64 exec, exec, s[22:23]
	s_and_b64 s[18:19], s[18:19], exec
	s_or_saveexec_b64 s[20:21], s[20:21]
	v_mov_b32_e32 v6, 0x7f800001
	s_xor_b64 exec, exec, s[20:21]
	s_cbranch_execnz .LBB328_1210
.LBB328_1193:
	s_or_b64 exec, exec, s[20:21]
	s_and_saveexec_b64 s[20:21], s[18:19]
	s_cbranch_execz .LBB328_1195
.LBB328_1194:
	v_lshlrev_b32_e32 v6, 24, v1
	v_and_b32_e32 v1, 0xffff, v1
	v_and_b32_e32 v7, 7, v1
	v_ffbh_u32_e32 v9, v7
	v_min_u32_e32 v9, 32, v9
	v_subrev_u32_e32 v10, 28, v9
	v_bfe_u32 v8, v1, 3, 4
	v_lshlrev_b32_e32 v1, v10, v1
	v_sub_u32_e32 v9, 29, v9
	v_and_b32_e32 v1, 7, v1
	v_cmp_eq_u32_e32 vcc, 0, v8
	v_and_b32_e32 v6, 0x80000000, v6
	s_nop 0
	v_cndmask_b32_e32 v8, v8, v9, vcc
	v_cndmask_b32_e32 v1, v7, v1, vcc
	v_mov_b32_e32 v7, 0x3b800000
	v_lshlrev_b32_e32 v1, 20, v1
	v_lshl_add_u32 v7, v8, 23, v7
	v_or3_b32 v6, v6, v7, v1
.LBB328_1195:
	s_or_b64 exec, exec, s[20:21]
.LBB328_1196:
	s_mov_b64 s[18:19], -1
.LBB328_1197:
	s_branch .LBB328_1230
.LBB328_1198:
	s_cmp_gt_i32 s24, 22
	s_cbranch_scc0 .LBB328_1208
; %bb.1199:
	s_cmp_lt_i32 s24, 24
	s_cbranch_scc1 .LBB328_1211
; %bb.1200:
	s_cmp_gt_i32 s24, 24
	s_cbranch_scc0 .LBB328_1212
; %bb.1201:
	global_load_ubyte v1, v[2:3], off
	s_movk_i32 s2, 0x7f
	s_waitcnt vmcnt(0)
	v_cmp_lt_i16_e32 vcc, s2, v1
	s_mov_b64 s[2:3], 0
	s_and_saveexec_b64 s[18:19], vcc
	s_xor_b64 s[18:19], exec, s[18:19]
	s_cbranch_execz .LBB328_1224
; %bb.1202:
	s_movk_i32 s2, 0x80
	v_cmp_eq_u16_e32 vcc, s2, v1
	s_mov_b64 s[2:3], -1
	s_and_saveexec_b64 s[20:21], vcc
; %bb.1203:
	s_xor_b64 s[2:3], exec, -1
; %bb.1204:
	s_or_b64 exec, exec, s[20:21]
	s_and_b64 s[2:3], s[2:3], exec
	s_or_saveexec_b64 s[18:19], s[18:19]
	v_mov_b32_e32 v6, 0x7f800001
	s_xor_b64 exec, exec, s[18:19]
	s_cbranch_execnz .LBB328_1225
.LBB328_1205:
	s_or_b64 exec, exec, s[18:19]
	s_and_saveexec_b64 s[18:19], s[2:3]
	s_cbranch_execz .LBB328_1207
.LBB328_1206:
	v_lshlrev_b32_e32 v6, 24, v1
	v_and_b32_e32 v1, 0xffff, v1
	v_and_b32_e32 v7, 3, v1
	v_ffbh_u32_e32 v9, v7
	v_min_u32_e32 v9, 32, v9
	v_subrev_u32_e32 v10, 29, v9
	v_bfe_u32 v8, v1, 2, 5
	v_lshlrev_b32_e32 v1, v10, v1
	v_sub_u32_e32 v9, 30, v9
	v_and_b32_e32 v1, 3, v1
	v_cmp_eq_u32_e32 vcc, 0, v8
	v_and_b32_e32 v6, 0x80000000, v6
	s_nop 0
	v_cndmask_b32_e32 v8, v8, v9, vcc
	v_cndmask_b32_e32 v1, v7, v1, vcc
	v_mov_b32_e32 v7, 0x37800000
	v_lshlrev_b32_e32 v1, 21, v1
	v_lshl_add_u32 v7, v8, 23, v7
	v_or3_b32 v6, v6, v7, v1
.LBB328_1207:
	s_or_b64 exec, exec, s[18:19]
	s_mov_b64 s[2:3], 0
	s_branch .LBB328_1213
.LBB328_1208:
	s_mov_b64 s[2:3], -1
                                        ; implicit-def: $vgpr6
	s_branch .LBB328_1219
.LBB328_1209:
	s_or_saveexec_b64 s[20:21], s[20:21]
	v_mov_b32_e32 v6, 0x7f800001
	s_xor_b64 exec, exec, s[20:21]
	s_cbranch_execz .LBB328_1193
.LBB328_1210:
	v_cmp_ne_u16_e32 vcc, 0, v1
	s_andn2_b64 s[18:19], s[18:19], exec
	s_and_b64 s[22:23], vcc, exec
	v_mov_b32_e32 v6, 0
	s_or_b64 s[18:19], s[18:19], s[22:23]
	s_or_b64 exec, exec, s[20:21]
	s_and_saveexec_b64 s[20:21], s[18:19]
	s_cbranch_execnz .LBB328_1194
	s_branch .LBB328_1195
.LBB328_1211:
	s_mov_b64 s[2:3], -1
                                        ; implicit-def: $vgpr6
	s_branch .LBB328_1216
.LBB328_1212:
	s_mov_b64 s[2:3], -1
                                        ; implicit-def: $vgpr6
.LBB328_1213:
	s_and_b64 vcc, exec, s[2:3]
	s_cbranch_vccz .LBB328_1215
; %bb.1214:
	global_load_ubyte v1, v[2:3], off
	s_mov_b32 s2, 0x7f800000
	s_waitcnt vmcnt(0)
	v_lshlrev_b32_e32 v1, 24, v1
	v_and_b32_e32 v6, 0x7f000000, v1
	v_ffbh_u32_e32 v7, v6
	v_min_u32_e32 v7, 32, v7
	v_sub_u32_e64 v7, v7, 4 clamp
	v_lshlrev_b32_e32 v9, v7, v6
	v_lshlrev_b32_e32 v7, 23, v7
	v_lshrrev_b32_e32 v9, 4, v9
	v_add_u32_e32 v8, 0x1000000, v6
	v_sub_u32_e32 v7, v9, v7
	v_ashrrev_i32_e32 v8, 8, v8
	v_add_u32_e32 v7, 0x3c000000, v7
	v_and_or_b32 v7, v8, s2, v7
	v_cmp_ne_u32_e32 vcc, 0, v6
	s_brev_b32 s2, 1
	s_nop 0
	v_cndmask_b32_e32 v6, 0, v7, vcc
	v_and_or_b32 v6, v1, s2, v6
.LBB328_1215:
	s_mov_b64 s[2:3], 0
.LBB328_1216:
	s_andn2_b64 vcc, exec, s[2:3]
	s_cbranch_vccnz .LBB328_1218
; %bb.1217:
	global_load_ubyte v1, v[2:3], off
	s_movk_i32 s2, 0x7f00
	s_brev_b32 s3, 16
	s_waitcnt vmcnt(0)
	v_lshlrev_b16_e32 v6, 8, v1
	v_lshlrev_b32_e32 v1, 25, v1
	v_lshrrev_b32_e32 v7, 4, v1
	v_and_or_b32 v8, v6, s2, 0.5
	v_or_b32_e32 v7, 0x70000000, v7
	v_add_f32_e32 v8, -0.5, v8
	v_mul_f32_e32 v7, 0x7800000, v7
	v_cmp_gt_u32_e32 vcc, s3, v1
	v_bfe_i32 v6, v6, 0, 16
	s_brev_b32 s2, 1
	v_cndmask_b32_e32 v1, v7, v8, vcc
	v_and_or_b32 v6, v6, s2, v1
.LBB328_1218:
	s_mov_b64 s[2:3], 0
	s_mov_b64 s[18:19], -1
.LBB328_1219:
	s_andn2_b64 vcc, exec, s[2:3]
	s_mov_b64 s[2:3], 0
	s_cbranch_vccnz .LBB328_1230
; %bb.1220:
	s_cmp_gt_i32 s24, 14
	s_cbranch_scc0 .LBB328_1223
; %bb.1221:
	s_cmp_eq_u32 s24, 15
	s_cbranch_scc0 .LBB328_1226
; %bb.1222:
	global_load_ushort v1, v[2:3], off
	s_mov_b64 s[0:1], 0
	s_mov_b64 s[18:19], -1
	s_waitcnt vmcnt(0)
	v_lshlrev_b32_e32 v6, 16, v1
	s_branch .LBB328_1227
.LBB328_1223:
	s_mov_b64 s[20:21], -1
                                        ; implicit-def: $vgpr6
	s_branch .LBB328_1228
.LBB328_1224:
	s_or_saveexec_b64 s[18:19], s[18:19]
	v_mov_b32_e32 v6, 0x7f800001
	s_xor_b64 exec, exec, s[18:19]
	s_cbranch_execz .LBB328_1205
.LBB328_1225:
	v_cmp_ne_u16_e32 vcc, 0, v1
	s_andn2_b64 s[2:3], s[2:3], exec
	s_and_b64 s[20:21], vcc, exec
	v_mov_b32_e32 v6, 0
	s_or_b64 s[2:3], s[2:3], s[20:21]
	s_or_b64 exec, exec, s[18:19]
	s_and_saveexec_b64 s[18:19], s[2:3]
	s_cbranch_execnz .LBB328_1206
	s_branch .LBB328_1207
.LBB328_1226:
	s_mov_b64 s[0:1], -1
                                        ; implicit-def: $vgpr6
.LBB328_1227:
	s_mov_b64 s[20:21], 0
.LBB328_1228:
	s_and_b64 vcc, exec, s[20:21]
	s_cbranch_vccz .LBB328_1230
; %bb.1229:
	s_cmp_lg_u32 s24, 11
	s_mov_b64 s[2:3], -1
	s_cselect_b64 s[0:1], -1, 0
.LBB328_1230:
	s_and_b64 vcc, exec, s[0:1]
	s_cbranch_vccnz .LBB328_1293
; %bb.1231:
	s_andn2_b64 vcc, exec, s[2:3]
	s_cbranch_vccnz .LBB328_1233
.LBB328_1232:
	global_load_ubyte v1, v[2:3], off
	s_mov_b64 s[18:19], -1
	s_waitcnt vmcnt(0)
	v_cmp_ne_u16_e32 vcc, 0, v1
	s_nop 1
	v_cndmask_b32_e64 v6, 0, 1.0, vcc
.LBB328_1233:
	s_branch .LBB328_1160
.LBB328_1234:
	s_cmp_lt_i32 s24, 5
	s_cbranch_scc1 .LBB328_1239
; %bb.1235:
	s_cmp_lt_i32 s24, 8
	s_cbranch_scc1 .LBB328_1240
; %bb.1236:
	;; [unrolled: 3-line block ×3, first 2 shown]
	s_cmp_gt_i32 s24, 9
	s_cbranch_scc0 .LBB328_1242
; %bb.1238:
	global_load_dwordx2 v[6:7], v[2:3], off
	s_mov_b64 s[0:1], 0
	s_waitcnt vmcnt(0)
	v_cvt_f32_f64_e32 v6, v[6:7]
	s_branch .LBB328_1243
.LBB328_1239:
                                        ; implicit-def: $vgpr6
	s_branch .LBB328_1261
.LBB328_1240:
	s_mov_b64 s[0:1], -1
                                        ; implicit-def: $vgpr6
	s_branch .LBB328_1249
.LBB328_1241:
	s_mov_b64 s[0:1], -1
                                        ; implicit-def: $vgpr6
	s_branch .LBB328_1246
.LBB328_1242:
	s_mov_b64 s[0:1], -1
                                        ; implicit-def: $vgpr6
.LBB328_1243:
	s_andn2_b64 vcc, exec, s[0:1]
	s_cbranch_vccnz .LBB328_1245
; %bb.1244:
	global_load_dword v6, v[2:3], off
.LBB328_1245:
	s_mov_b64 s[0:1], 0
.LBB328_1246:
	s_andn2_b64 vcc, exec, s[0:1]
	s_cbranch_vccnz .LBB328_1248
; %bb.1247:
	global_load_dword v1, v[2:3], off
	s_waitcnt vmcnt(0)
	v_cvt_f32_f16_e32 v6, v1
.LBB328_1248:
	s_mov_b64 s[0:1], 0
.LBB328_1249:
	s_andn2_b64 vcc, exec, s[0:1]
	s_cbranch_vccnz .LBB328_1260
; %bb.1250:
	s_cmp_lt_i32 s24, 6
	s_cbranch_scc1 .LBB328_1253
; %bb.1251:
	s_cmp_gt_i32 s24, 6
	s_cbranch_scc0 .LBB328_1254
; %bb.1252:
	global_load_dwordx2 v[6:7], v[2:3], off
	s_mov_b64 s[0:1], 0
	s_waitcnt vmcnt(0)
	v_cvt_f32_f64_e32 v6, v[6:7]
	s_branch .LBB328_1255
.LBB328_1253:
	s_mov_b64 s[0:1], -1
                                        ; implicit-def: $vgpr6
	s_branch .LBB328_1258
.LBB328_1254:
	s_mov_b64 s[0:1], -1
                                        ; implicit-def: $vgpr6
.LBB328_1255:
	s_andn2_b64 vcc, exec, s[0:1]
	s_cbranch_vccnz .LBB328_1257
; %bb.1256:
	global_load_dword v6, v[2:3], off
.LBB328_1257:
	s_mov_b64 s[0:1], 0
.LBB328_1258:
	s_andn2_b64 vcc, exec, s[0:1]
	s_cbranch_vccnz .LBB328_1260
; %bb.1259:
	global_load_ushort v1, v[2:3], off
	s_waitcnt vmcnt(0)
	v_cvt_f32_f16_e32 v6, v1
.LBB328_1260:
	s_cbranch_execnz .LBB328_1280
.LBB328_1261:
	s_cmp_lt_i32 s24, 2
	s_cbranch_scc1 .LBB328_1265
; %bb.1262:
	s_cmp_lt_i32 s24, 3
	s_cbranch_scc1 .LBB328_1266
; %bb.1263:
	s_cmp_gt_i32 s24, 3
	s_cbranch_scc0 .LBB328_1267
; %bb.1264:
	global_load_dwordx2 v[6:7], v[2:3], off
	s_mov_b64 s[0:1], 0
	s_waitcnt vmcnt(0)
	v_xor_b32_e32 v8, v6, v7
	v_ffbh_i32_e32 v1, v7
	v_ashrrev_i32_e32 v8, 31, v8
	v_add_u32_e32 v1, -1, v1
	v_add_u32_e32 v8, 32, v8
	v_min_u32_e32 v1, v1, v8
	v_lshlrev_b64 v[6:7], v1, v[6:7]
	v_min_u32_e32 v6, 1, v6
	v_or_b32_e32 v6, v7, v6
	v_cvt_f32_i32_e32 v6, v6
	v_sub_u32_e32 v1, 32, v1
	v_ldexp_f32 v6, v6, v1
	s_branch .LBB328_1268
.LBB328_1265:
	s_mov_b64 s[0:1], -1
                                        ; implicit-def: $vgpr6
	s_branch .LBB328_1274
.LBB328_1266:
	s_mov_b64 s[0:1], -1
                                        ; implicit-def: $vgpr6
	s_branch .LBB328_1271
.LBB328_1267:
	s_mov_b64 s[0:1], -1
                                        ; implicit-def: $vgpr6
.LBB328_1268:
	s_andn2_b64 vcc, exec, s[0:1]
	s_cbranch_vccnz .LBB328_1270
; %bb.1269:
	global_load_dword v1, v[2:3], off
	s_waitcnt vmcnt(0)
	v_cvt_f32_i32_e32 v6, v1
.LBB328_1270:
	s_mov_b64 s[0:1], 0
.LBB328_1271:
	s_andn2_b64 vcc, exec, s[0:1]
	s_cbranch_vccnz .LBB328_1273
; %bb.1272:
	global_load_sshort v1, v[2:3], off
	s_waitcnt vmcnt(0)
	v_cvt_f32_i32_e32 v6, v1
.LBB328_1273:
	s_mov_b64 s[0:1], 0
.LBB328_1274:
	s_andn2_b64 vcc, exec, s[0:1]
	s_cbranch_vccnz .LBB328_1280
; %bb.1275:
	s_cmp_gt_i32 s24, 0
	s_cbranch_scc0 .LBB328_1277
; %bb.1276:
	global_load_sbyte v1, v[2:3], off
	s_mov_b64 s[0:1], 0
	s_waitcnt vmcnt(0)
	v_cvt_f32_i32_e32 v6, v1
	s_branch .LBB328_1278
.LBB328_1277:
	s_mov_b64 s[0:1], -1
                                        ; implicit-def: $vgpr6
.LBB328_1278:
	s_andn2_b64 vcc, exec, s[0:1]
	s_cbranch_vccnz .LBB328_1280
; %bb.1279:
	global_load_ubyte v1, v[2:3], off
	s_waitcnt vmcnt(0)
	v_cvt_f32_ubyte0_e32 v6, v1
.LBB328_1280:
.LBB328_1281:
	v_add_u32_e32 v0, s9, v0
	v_ashrrev_i32_e32 v1, 31, v0
	s_cmp_lt_i32 s24, 11
	v_lshl_add_u64 v[2:3], s[6:7], 0, v[0:1]
	s_cbranch_scc1 .LBB328_1288
; %bb.1282:
	s_cmp_gt_i32 s24, 25
	s_mov_b64 s[2:3], 0
	s_cbranch_scc0 .LBB328_1290
; %bb.1283:
	s_cmp_gt_i32 s24, 28
	s_cbranch_scc0 .LBB328_1291
; %bb.1284:
	s_cmp_gt_i32 s24, 43
	;; [unrolled: 3-line block ×3, first 2 shown]
	s_cbranch_scc0 .LBB328_1294
; %bb.1286:
	s_cmp_eq_u32 s24, 46
	s_mov_b64 s[20:21], 0
	s_cbranch_scc0 .LBB328_1295
; %bb.1287:
	global_load_dword v1, v[2:3], off
	s_mov_b64 s[0:1], 0
	s_mov_b64 s[18:19], -1
	s_waitcnt vmcnt(0)
	v_lshlrev_b32_e32 v7, 16, v1
	s_branch .LBB328_1296
.LBB328_1288:
	s_mov_b64 s[18:19], 0
                                        ; implicit-def: $vgpr7
	s_cbranch_execnz .LBB328_1362
.LBB328_1289:
	s_andn2_b64 vcc, exec, s[18:19]
	s_cbranch_vccnz .LBB328_1973
	s_branch .LBB328_1410
.LBB328_1290:
	s_mov_b64 s[20:21], -1
	s_mov_b64 s[18:19], 0
	s_mov_b64 s[0:1], 0
                                        ; implicit-def: $vgpr7
	s_branch .LBB328_1325
.LBB328_1291:
	s_mov_b64 s[20:21], -1
	s_mov_b64 s[18:19], 0
	s_mov_b64 s[0:1], 0
                                        ; implicit-def: $vgpr7
	s_branch .LBB328_1306
.LBB328_1292:
	s_mov_b64 s[20:21], -1
	s_mov_b64 s[18:19], 0
	s_mov_b64 s[0:1], 0
                                        ; implicit-def: $vgpr7
	s_branch .LBB328_1301
.LBB328_1293:
	s_trap 2
	s_or_b64 s[16:17], s[16:17], exec
	s_cbranch_execz .LBB328_1232
	s_branch .LBB328_1233
.LBB328_1294:
	s_mov_b64 s[20:21], -1
	s_mov_b64 s[18:19], 0
	s_mov_b64 s[0:1], 0
                                        ; implicit-def: $vgpr7
	s_branch .LBB328_1296
.LBB328_1295:
	s_mov_b64 s[0:1], -1
                                        ; implicit-def: $vgpr7
	s_mov_b64 s[18:19], 0
.LBB328_1296:
	s_and_b64 vcc, exec, s[20:21]
	s_cbranch_vccz .LBB328_1300
; %bb.1297:
	s_cmp_eq_u32 s24, 44
	s_cbranch_scc0 .LBB328_1299
; %bb.1298:
	global_load_ubyte v1, v[2:3], off
	s_movk_i32 s18, 0xff
	v_mov_b32_e32 v7, 0x7f800001
	v_mov_b32_e32 v8, 0x400000
	s_mov_b64 s[0:1], 0
	s_waitcnt vmcnt(0)
	v_lshlrev_b32_e32 v9, 23, v1
	v_cmp_ne_u32_e32 vcc, s18, v1
	s_mov_b64 s[18:19], -1
	s_nop 0
	v_cndmask_b32_e32 v7, v7, v9, vcc
	v_cmp_ne_u32_e32 vcc, 0, v1
	s_nop 1
	v_cndmask_b32_e32 v7, v8, v7, vcc
	s_branch .LBB328_1300
.LBB328_1299:
	s_mov_b64 s[0:1], -1
                                        ; implicit-def: $vgpr7
.LBB328_1300:
	s_mov_b64 s[20:21], 0
.LBB328_1301:
	s_and_b64 vcc, exec, s[20:21]
	s_cbranch_vccz .LBB328_1305
; %bb.1302:
	s_cmp_eq_u32 s24, 29
	s_cbranch_scc0 .LBB328_1304
; %bb.1303:
	global_load_dwordx2 v[8:9], v[2:3], off
	s_mov_b64 s[0:1], 0
	s_mov_b64 s[18:19], -1
	s_mov_b64 s[20:21], 0
	s_waitcnt vmcnt(0)
	v_ffbh_u32_e32 v1, v9
	v_min_u32_e32 v1, 32, v1
	v_lshlrev_b64 v[8:9], v1, v[8:9]
	v_min_u32_e32 v7, 1, v8
	v_or_b32_e32 v7, v9, v7
	v_cvt_f32_u32_e32 v7, v7
	v_sub_u32_e32 v1, 32, v1
	v_ldexp_f32 v7, v7, v1
	s_branch .LBB328_1306
.LBB328_1304:
	s_mov_b64 s[0:1], -1
                                        ; implicit-def: $vgpr7
.LBB328_1305:
	s_mov_b64 s[20:21], 0
.LBB328_1306:
	s_and_b64 vcc, exec, s[20:21]
	s_cbranch_vccz .LBB328_1324
; %bb.1307:
	s_cmp_lt_i32 s24, 27
	s_cbranch_scc1 .LBB328_1310
; %bb.1308:
	s_cmp_gt_i32 s24, 27
	s_cbranch_scc0 .LBB328_1311
; %bb.1309:
	global_load_dword v1, v[2:3], off
	s_mov_b64 s[18:19], 0
	s_waitcnt vmcnt(0)
	v_cvt_f32_u32_e32 v7, v1
	s_branch .LBB328_1312
.LBB328_1310:
	s_mov_b64 s[18:19], -1
                                        ; implicit-def: $vgpr7
	s_branch .LBB328_1315
.LBB328_1311:
	s_mov_b64 s[18:19], -1
                                        ; implicit-def: $vgpr7
.LBB328_1312:
	s_andn2_b64 vcc, exec, s[18:19]
	s_cbranch_vccnz .LBB328_1314
; %bb.1313:
	global_load_ushort v1, v[2:3], off
	s_waitcnt vmcnt(0)
	v_cvt_f32_u32_e32 v7, v1
.LBB328_1314:
	s_mov_b64 s[18:19], 0
.LBB328_1315:
	s_andn2_b64 vcc, exec, s[18:19]
	s_cbranch_vccnz .LBB328_1323
; %bb.1316:
	global_load_ubyte v1, v[2:3], off
	s_movk_i32 s18, 0x7f
	s_waitcnt vmcnt(0)
	v_cmp_lt_i16_e32 vcc, s18, v1
	s_mov_b64 s[18:19], 0
	s_and_saveexec_b64 s[20:21], vcc
	s_xor_b64 s[20:21], exec, s[20:21]
	s_cbranch_execz .LBB328_1337
; %bb.1317:
	s_movk_i32 s18, 0x80
	v_cmp_eq_u16_e32 vcc, s18, v1
	s_mov_b64 s[18:19], -1
	s_and_saveexec_b64 s[22:23], vcc
; %bb.1318:
	s_xor_b64 s[18:19], exec, -1
; %bb.1319:
	s_or_b64 exec, exec, s[22:23]
	s_and_b64 s[18:19], s[18:19], exec
	s_or_saveexec_b64 s[20:21], s[20:21]
	v_mov_b32_e32 v7, 0x7f800001
	s_xor_b64 exec, exec, s[20:21]
	s_cbranch_execnz .LBB328_1338
.LBB328_1320:
	s_or_b64 exec, exec, s[20:21]
	s_and_saveexec_b64 s[20:21], s[18:19]
	s_cbranch_execz .LBB328_1322
.LBB328_1321:
	v_lshlrev_b32_e32 v7, 24, v1
	v_and_b32_e32 v1, 0xffff, v1
	v_and_b32_e32 v8, 7, v1
	v_ffbh_u32_e32 v10, v8
	v_min_u32_e32 v10, 32, v10
	v_subrev_u32_e32 v11, 28, v10
	v_bfe_u32 v9, v1, 3, 4
	v_lshlrev_b32_e32 v1, v11, v1
	v_sub_u32_e32 v10, 29, v10
	v_and_b32_e32 v1, 7, v1
	v_cmp_eq_u32_e32 vcc, 0, v9
	v_and_b32_e32 v7, 0x80000000, v7
	s_nop 0
	v_cndmask_b32_e32 v9, v9, v10, vcc
	v_cndmask_b32_e32 v1, v8, v1, vcc
	v_mov_b32_e32 v8, 0x3b800000
	v_lshlrev_b32_e32 v1, 20, v1
	v_lshl_add_u32 v8, v9, 23, v8
	v_or3_b32 v7, v7, v8, v1
.LBB328_1322:
	s_or_b64 exec, exec, s[20:21]
.LBB328_1323:
	s_mov_b64 s[18:19], -1
.LBB328_1324:
	s_mov_b64 s[20:21], 0
.LBB328_1325:
	s_and_b64 vcc, exec, s[20:21]
	s_cbranch_vccz .LBB328_1358
; %bb.1326:
	s_cmp_gt_i32 s24, 22
	s_cbranch_scc0 .LBB328_1336
; %bb.1327:
	s_cmp_lt_i32 s24, 24
	s_cbranch_scc1 .LBB328_1339
; %bb.1328:
	s_cmp_gt_i32 s24, 24
	s_cbranch_scc0 .LBB328_1340
; %bb.1329:
	global_load_ubyte v1, v[2:3], off
	s_movk_i32 s2, 0x7f
	s_waitcnt vmcnt(0)
	v_cmp_lt_i16_e32 vcc, s2, v1
	s_mov_b64 s[2:3], 0
	s_and_saveexec_b64 s[18:19], vcc
	s_xor_b64 s[18:19], exec, s[18:19]
	s_cbranch_execz .LBB328_1352
; %bb.1330:
	s_movk_i32 s2, 0x80
	v_cmp_eq_u16_e32 vcc, s2, v1
	s_mov_b64 s[2:3], -1
	s_and_saveexec_b64 s[20:21], vcc
; %bb.1331:
	s_xor_b64 s[2:3], exec, -1
; %bb.1332:
	s_or_b64 exec, exec, s[20:21]
	s_and_b64 s[2:3], s[2:3], exec
	s_or_saveexec_b64 s[18:19], s[18:19]
	v_mov_b32_e32 v7, 0x7f800001
	s_xor_b64 exec, exec, s[18:19]
	s_cbranch_execnz .LBB328_1353
.LBB328_1333:
	s_or_b64 exec, exec, s[18:19]
	s_and_saveexec_b64 s[18:19], s[2:3]
	s_cbranch_execz .LBB328_1335
.LBB328_1334:
	v_lshlrev_b32_e32 v7, 24, v1
	v_and_b32_e32 v1, 0xffff, v1
	v_and_b32_e32 v8, 3, v1
	v_ffbh_u32_e32 v10, v8
	v_min_u32_e32 v10, 32, v10
	v_subrev_u32_e32 v11, 29, v10
	v_bfe_u32 v9, v1, 2, 5
	v_lshlrev_b32_e32 v1, v11, v1
	v_sub_u32_e32 v10, 30, v10
	v_and_b32_e32 v1, 3, v1
	v_cmp_eq_u32_e32 vcc, 0, v9
	v_and_b32_e32 v7, 0x80000000, v7
	s_nop 0
	v_cndmask_b32_e32 v9, v9, v10, vcc
	v_cndmask_b32_e32 v1, v8, v1, vcc
	v_mov_b32_e32 v8, 0x37800000
	v_lshlrev_b32_e32 v1, 21, v1
	v_lshl_add_u32 v8, v9, 23, v8
	v_or3_b32 v7, v7, v8, v1
.LBB328_1335:
	s_or_b64 exec, exec, s[18:19]
	s_mov_b64 s[2:3], 0
	s_branch .LBB328_1341
.LBB328_1336:
	s_mov_b64 s[2:3], -1
                                        ; implicit-def: $vgpr7
	s_branch .LBB328_1347
.LBB328_1337:
	s_or_saveexec_b64 s[20:21], s[20:21]
	v_mov_b32_e32 v7, 0x7f800001
	s_xor_b64 exec, exec, s[20:21]
	s_cbranch_execz .LBB328_1320
.LBB328_1338:
	v_cmp_ne_u16_e32 vcc, 0, v1
	s_andn2_b64 s[18:19], s[18:19], exec
	s_and_b64 s[22:23], vcc, exec
	v_mov_b32_e32 v7, 0
	s_or_b64 s[18:19], s[18:19], s[22:23]
	s_or_b64 exec, exec, s[20:21]
	s_and_saveexec_b64 s[20:21], s[18:19]
	s_cbranch_execnz .LBB328_1321
	s_branch .LBB328_1322
.LBB328_1339:
	s_mov_b64 s[2:3], -1
                                        ; implicit-def: $vgpr7
	s_branch .LBB328_1344
.LBB328_1340:
	s_mov_b64 s[2:3], -1
                                        ; implicit-def: $vgpr7
.LBB328_1341:
	s_and_b64 vcc, exec, s[2:3]
	s_cbranch_vccz .LBB328_1343
; %bb.1342:
	global_load_ubyte v1, v[2:3], off
	s_mov_b32 s2, 0x7f800000
	s_waitcnt vmcnt(0)
	v_lshlrev_b32_e32 v1, 24, v1
	v_and_b32_e32 v7, 0x7f000000, v1
	v_ffbh_u32_e32 v8, v7
	v_min_u32_e32 v8, 32, v8
	v_sub_u32_e64 v8, v8, 4 clamp
	v_lshlrev_b32_e32 v10, v8, v7
	v_lshlrev_b32_e32 v8, 23, v8
	v_lshrrev_b32_e32 v10, 4, v10
	v_add_u32_e32 v9, 0x1000000, v7
	v_sub_u32_e32 v8, v10, v8
	v_ashrrev_i32_e32 v9, 8, v9
	v_add_u32_e32 v8, 0x3c000000, v8
	v_and_or_b32 v8, v9, s2, v8
	v_cmp_ne_u32_e32 vcc, 0, v7
	s_brev_b32 s2, 1
	s_nop 0
	v_cndmask_b32_e32 v7, 0, v8, vcc
	v_and_or_b32 v7, v1, s2, v7
.LBB328_1343:
	s_mov_b64 s[2:3], 0
.LBB328_1344:
	s_andn2_b64 vcc, exec, s[2:3]
	s_cbranch_vccnz .LBB328_1346
; %bb.1345:
	global_load_ubyte v1, v[2:3], off
	s_movk_i32 s2, 0x7f00
	s_brev_b32 s3, 16
	s_waitcnt vmcnt(0)
	v_lshlrev_b16_e32 v7, 8, v1
	v_lshlrev_b32_e32 v1, 25, v1
	v_lshrrev_b32_e32 v8, 4, v1
	v_and_or_b32 v9, v7, s2, 0.5
	v_or_b32_e32 v8, 0x70000000, v8
	v_add_f32_e32 v9, -0.5, v9
	v_mul_f32_e32 v8, 0x7800000, v8
	v_cmp_gt_u32_e32 vcc, s3, v1
	v_bfe_i32 v7, v7, 0, 16
	s_brev_b32 s2, 1
	v_cndmask_b32_e32 v1, v8, v9, vcc
	v_and_or_b32 v7, v7, s2, v1
.LBB328_1346:
	s_mov_b64 s[2:3], 0
	s_mov_b64 s[18:19], -1
.LBB328_1347:
	s_andn2_b64 vcc, exec, s[2:3]
	s_mov_b64 s[2:3], 0
	s_cbranch_vccnz .LBB328_1358
; %bb.1348:
	s_cmp_gt_i32 s24, 14
	s_cbranch_scc0 .LBB328_1351
; %bb.1349:
	s_cmp_eq_u32 s24, 15
	s_cbranch_scc0 .LBB328_1354
; %bb.1350:
	global_load_ushort v1, v[2:3], off
	s_mov_b64 s[0:1], 0
	s_mov_b64 s[18:19], -1
	s_waitcnt vmcnt(0)
	v_lshlrev_b32_e32 v7, 16, v1
	s_branch .LBB328_1355
.LBB328_1351:
	s_mov_b64 s[20:21], -1
                                        ; implicit-def: $vgpr7
	s_branch .LBB328_1356
.LBB328_1352:
	s_or_saveexec_b64 s[18:19], s[18:19]
	v_mov_b32_e32 v7, 0x7f800001
	s_xor_b64 exec, exec, s[18:19]
	s_cbranch_execz .LBB328_1333
.LBB328_1353:
	v_cmp_ne_u16_e32 vcc, 0, v1
	s_andn2_b64 s[2:3], s[2:3], exec
	s_and_b64 s[20:21], vcc, exec
	v_mov_b32_e32 v7, 0
	s_or_b64 s[2:3], s[2:3], s[20:21]
	s_or_b64 exec, exec, s[18:19]
	s_and_saveexec_b64 s[18:19], s[2:3]
	s_cbranch_execnz .LBB328_1334
	s_branch .LBB328_1335
.LBB328_1354:
	s_mov_b64 s[0:1], -1
                                        ; implicit-def: $vgpr7
.LBB328_1355:
	s_mov_b64 s[20:21], 0
.LBB328_1356:
	s_and_b64 vcc, exec, s[20:21]
	s_cbranch_vccz .LBB328_1358
; %bb.1357:
	s_cmp_lg_u32 s24, 11
	s_mov_b64 s[2:3], -1
	s_cselect_b64 s[0:1], -1, 0
.LBB328_1358:
	s_and_b64 vcc, exec, s[0:1]
	s_cbranch_vccnz .LBB328_1421
; %bb.1359:
	s_andn2_b64 vcc, exec, s[2:3]
	s_cbranch_vccnz .LBB328_1361
.LBB328_1360:
	global_load_ubyte v1, v[2:3], off
	s_mov_b64 s[18:19], -1
	s_waitcnt vmcnt(0)
	v_cmp_ne_u16_e32 vcc, 0, v1
	s_nop 1
	v_cndmask_b32_e64 v7, 0, 1.0, vcc
.LBB328_1361:
	s_branch .LBB328_1289
.LBB328_1362:
	s_cmp_lt_i32 s24, 5
	s_cbranch_scc1 .LBB328_1367
; %bb.1363:
	s_cmp_lt_i32 s24, 8
	s_cbranch_scc1 .LBB328_1368
; %bb.1364:
	s_cmp_lt_i32 s24, 9
	s_cbranch_scc1 .LBB328_1369
; %bb.1365:
	s_cmp_gt_i32 s24, 9
	s_cbranch_scc0 .LBB328_1370
; %bb.1366:
	global_load_dwordx2 v[8:9], v[2:3], off
	s_mov_b64 s[0:1], 0
	s_waitcnt vmcnt(0)
	v_cvt_f32_f64_e32 v7, v[8:9]
	s_branch .LBB328_1371
.LBB328_1367:
	s_mov_b64 s[0:1], -1
                                        ; implicit-def: $vgpr7
	s_branch .LBB328_1389
.LBB328_1368:
	s_mov_b64 s[0:1], -1
                                        ; implicit-def: $vgpr7
	s_branch .LBB328_1377
.LBB328_1369:
	s_mov_b64 s[0:1], -1
                                        ; implicit-def: $vgpr7
	s_branch .LBB328_1374
.LBB328_1370:
	s_mov_b64 s[0:1], -1
                                        ; implicit-def: $vgpr7
.LBB328_1371:
	s_andn2_b64 vcc, exec, s[0:1]
	s_cbranch_vccnz .LBB328_1373
; %bb.1372:
	global_load_dword v7, v[2:3], off
.LBB328_1373:
	s_mov_b64 s[0:1], 0
.LBB328_1374:
	s_andn2_b64 vcc, exec, s[0:1]
	s_cbranch_vccnz .LBB328_1376
; %bb.1375:
	global_load_dword v1, v[2:3], off
	s_waitcnt vmcnt(0)
	v_cvt_f32_f16_e32 v7, v1
.LBB328_1376:
	s_mov_b64 s[0:1], 0
.LBB328_1377:
	s_andn2_b64 vcc, exec, s[0:1]
	s_cbranch_vccnz .LBB328_1388
; %bb.1378:
	s_cmp_lt_i32 s24, 6
	s_cbranch_scc1 .LBB328_1381
; %bb.1379:
	s_cmp_gt_i32 s24, 6
	s_cbranch_scc0 .LBB328_1382
; %bb.1380:
	global_load_dwordx2 v[8:9], v[2:3], off
	s_mov_b64 s[0:1], 0
	s_waitcnt vmcnt(0)
	v_cvt_f32_f64_e32 v7, v[8:9]
	s_branch .LBB328_1383
.LBB328_1381:
	s_mov_b64 s[0:1], -1
                                        ; implicit-def: $vgpr7
	s_branch .LBB328_1386
.LBB328_1382:
	s_mov_b64 s[0:1], -1
                                        ; implicit-def: $vgpr7
.LBB328_1383:
	s_andn2_b64 vcc, exec, s[0:1]
	s_cbranch_vccnz .LBB328_1385
; %bb.1384:
	global_load_dword v7, v[2:3], off
.LBB328_1385:
	s_mov_b64 s[0:1], 0
.LBB328_1386:
	s_andn2_b64 vcc, exec, s[0:1]
	s_cbranch_vccnz .LBB328_1388
; %bb.1387:
	global_load_ushort v1, v[2:3], off
	s_waitcnt vmcnt(0)
	v_cvt_f32_f16_e32 v7, v1
.LBB328_1388:
	s_mov_b64 s[0:1], 0
.LBB328_1389:
	s_andn2_b64 vcc, exec, s[0:1]
	s_cbranch_vccnz .LBB328_1409
; %bb.1390:
	s_cmp_lt_i32 s24, 2
	s_cbranch_scc1 .LBB328_1394
; %bb.1391:
	s_cmp_lt_i32 s24, 3
	s_cbranch_scc1 .LBB328_1395
; %bb.1392:
	s_cmp_gt_i32 s24, 3
	s_cbranch_scc0 .LBB328_1396
; %bb.1393:
	global_load_dwordx2 v[8:9], v[2:3], off
	s_mov_b64 s[0:1], 0
	s_waitcnt vmcnt(0)
	v_xor_b32_e32 v7, v8, v9
	v_ffbh_i32_e32 v1, v9
	v_ashrrev_i32_e32 v7, 31, v7
	v_add_u32_e32 v1, -1, v1
	v_add_u32_e32 v7, 32, v7
	v_min_u32_e32 v1, v1, v7
	v_lshlrev_b64 v[8:9], v1, v[8:9]
	v_min_u32_e32 v7, 1, v8
	v_or_b32_e32 v7, v9, v7
	v_cvt_f32_i32_e32 v7, v7
	v_sub_u32_e32 v1, 32, v1
	v_ldexp_f32 v7, v7, v1
	s_branch .LBB328_1397
.LBB328_1394:
	s_mov_b64 s[0:1], -1
                                        ; implicit-def: $vgpr7
	s_branch .LBB328_1403
.LBB328_1395:
	s_mov_b64 s[0:1], -1
                                        ; implicit-def: $vgpr7
	s_branch .LBB328_1400
.LBB328_1396:
	s_mov_b64 s[0:1], -1
                                        ; implicit-def: $vgpr7
.LBB328_1397:
	s_andn2_b64 vcc, exec, s[0:1]
	s_cbranch_vccnz .LBB328_1399
; %bb.1398:
	global_load_dword v1, v[2:3], off
	s_waitcnt vmcnt(0)
	v_cvt_f32_i32_e32 v7, v1
.LBB328_1399:
	s_mov_b64 s[0:1], 0
.LBB328_1400:
	s_andn2_b64 vcc, exec, s[0:1]
	s_cbranch_vccnz .LBB328_1402
; %bb.1401:
	global_load_sshort v1, v[2:3], off
	s_waitcnt vmcnt(0)
	v_cvt_f32_i32_e32 v7, v1
.LBB328_1402:
	s_mov_b64 s[0:1], 0
.LBB328_1403:
	s_andn2_b64 vcc, exec, s[0:1]
	s_cbranch_vccnz .LBB328_1409
; %bb.1404:
	s_cmp_gt_i32 s24, 0
	s_cbranch_scc0 .LBB328_1406
; %bb.1405:
	global_load_sbyte v1, v[2:3], off
	s_mov_b64 s[0:1], 0
	s_waitcnt vmcnt(0)
	v_cvt_f32_i32_e32 v7, v1
	s_branch .LBB328_1407
.LBB328_1406:
	s_mov_b64 s[0:1], -1
                                        ; implicit-def: $vgpr7
.LBB328_1407:
	s_andn2_b64 vcc, exec, s[0:1]
	s_cbranch_vccnz .LBB328_1409
; %bb.1408:
	global_load_ubyte v1, v[2:3], off
	s_waitcnt vmcnt(0)
	v_cvt_f32_ubyte0_e32 v7, v1
.LBB328_1409:
.LBB328_1410:
	v_add_u32_e32 v0, s9, v0
	v_ashrrev_i32_e32 v1, 31, v0
	s_cmp_lt_i32 s24, 11
	v_lshl_add_u64 v[0:1], s[6:7], 0, v[0:1]
	s_cbranch_scc1 .LBB328_1417
; %bb.1411:
	s_cmp_gt_i32 s24, 25
	s_mov_b64 s[2:3], 0
	s_cbranch_scc0 .LBB328_1418
; %bb.1412:
	s_cmp_gt_i32 s24, 28
	s_cbranch_scc0 .LBB328_1419
; %bb.1413:
	s_cmp_gt_i32 s24, 43
	;; [unrolled: 3-line block ×3, first 2 shown]
	s_cbranch_scc0 .LBB328_1422
; %bb.1415:
	s_cmp_eq_u32 s24, 46
	s_mov_b64 s[18:19], 0
	s_cbranch_scc0 .LBB328_1423
; %bb.1416:
	global_load_dword v2, v[0:1], off
	s_mov_b64 s[0:1], 0
	s_mov_b64 s[6:7], -1
	s_waitcnt vmcnt(0)
	v_lshlrev_b32_e32 v8, 16, v2
	s_branch .LBB328_1424
.LBB328_1417:
	s_mov_b64 s[0:1], -1
	s_mov_b64 s[6:7], 0
                                        ; implicit-def: $vgpr8
	s_branch .LBB328_1490
.LBB328_1418:
	s_mov_b64 s[18:19], -1
	s_mov_b64 s[6:7], 0
	s_mov_b64 s[0:1], 0
                                        ; implicit-def: $vgpr8
	s_branch .LBB328_1453
.LBB328_1419:
	s_mov_b64 s[18:19], -1
	s_mov_b64 s[6:7], 0
	s_mov_b64 s[0:1], 0
                                        ; implicit-def: $vgpr8
	s_branch .LBB328_1434
.LBB328_1420:
	s_mov_b64 s[18:19], -1
	s_mov_b64 s[6:7], 0
	s_mov_b64 s[0:1], 0
                                        ; implicit-def: $vgpr8
	s_branch .LBB328_1429
.LBB328_1421:
	s_trap 2
	s_or_b64 s[16:17], s[16:17], exec
	s_cbranch_execz .LBB328_1360
	s_branch .LBB328_1361
.LBB328_1422:
	s_mov_b64 s[18:19], -1
	s_mov_b64 s[6:7], 0
	s_mov_b64 s[0:1], 0
                                        ; implicit-def: $vgpr8
	s_branch .LBB328_1424
.LBB328_1423:
	s_mov_b64 s[0:1], -1
                                        ; implicit-def: $vgpr8
	s_mov_b64 s[6:7], 0
.LBB328_1424:
	s_and_b64 vcc, exec, s[18:19]
	s_cbranch_vccz .LBB328_1428
; %bb.1425:
	s_cmp_eq_u32 s24, 44
	s_cbranch_scc0 .LBB328_1427
; %bb.1426:
	global_load_ubyte v2, v[0:1], off
	s_movk_i32 s6, 0xff
	v_mov_b32_e32 v3, 0x7f800001
	v_mov_b32_e32 v8, 0x400000
	s_mov_b64 s[0:1], 0
	s_waitcnt vmcnt(0)
	v_lshlrev_b32_e32 v9, 23, v2
	v_cmp_ne_u32_e32 vcc, s6, v2
	s_mov_b64 s[6:7], -1
	s_nop 0
	v_cndmask_b32_e32 v3, v3, v9, vcc
	v_cmp_ne_u32_e32 vcc, 0, v2
	s_nop 1
	v_cndmask_b32_e32 v8, v8, v3, vcc
	s_branch .LBB328_1428
.LBB328_1427:
	s_mov_b64 s[0:1], -1
                                        ; implicit-def: $vgpr8
.LBB328_1428:
	s_mov_b64 s[18:19], 0
.LBB328_1429:
	s_and_b64 vcc, exec, s[18:19]
	s_cbranch_vccz .LBB328_1433
; %bb.1430:
	s_cmp_eq_u32 s24, 29
	s_cbranch_scc0 .LBB328_1432
; %bb.1431:
	global_load_dwordx2 v[2:3], v[0:1], off
	s_mov_b64 s[0:1], 0
	s_mov_b64 s[6:7], -1
	s_mov_b64 s[18:19], 0
	s_waitcnt vmcnt(0)
	v_ffbh_u32_e32 v8, v3
	v_min_u32_e32 v8, 32, v8
	v_lshlrev_b64 v[2:3], v8, v[2:3]
	v_min_u32_e32 v2, 1, v2
	v_or_b32_e32 v2, v3, v2
	v_cvt_f32_u32_e32 v2, v2
	v_sub_u32_e32 v3, 32, v8
	v_ldexp_f32 v8, v2, v3
	s_branch .LBB328_1434
.LBB328_1432:
	s_mov_b64 s[0:1], -1
                                        ; implicit-def: $vgpr8
.LBB328_1433:
	s_mov_b64 s[18:19], 0
.LBB328_1434:
	s_and_b64 vcc, exec, s[18:19]
	s_cbranch_vccz .LBB328_1452
; %bb.1435:
	s_cmp_lt_i32 s24, 27
	s_cbranch_scc1 .LBB328_1438
; %bb.1436:
	s_cmp_gt_i32 s24, 27
	s_cbranch_scc0 .LBB328_1439
; %bb.1437:
	global_load_dword v2, v[0:1], off
	s_mov_b64 s[6:7], 0
	s_waitcnt vmcnt(0)
	v_cvt_f32_u32_e32 v8, v2
	s_branch .LBB328_1440
.LBB328_1438:
	s_mov_b64 s[6:7], -1
                                        ; implicit-def: $vgpr8
	s_branch .LBB328_1443
.LBB328_1439:
	s_mov_b64 s[6:7], -1
                                        ; implicit-def: $vgpr8
.LBB328_1440:
	s_andn2_b64 vcc, exec, s[6:7]
	s_cbranch_vccnz .LBB328_1442
; %bb.1441:
	global_load_ushort v2, v[0:1], off
	s_waitcnt vmcnt(0)
	v_cvt_f32_u32_e32 v8, v2
.LBB328_1442:
	s_mov_b64 s[6:7], 0
.LBB328_1443:
	s_andn2_b64 vcc, exec, s[6:7]
	s_cbranch_vccnz .LBB328_1451
; %bb.1444:
	global_load_ubyte v2, v[0:1], off
	s_movk_i32 s6, 0x7f
	s_waitcnt vmcnt(0)
	v_cmp_lt_i16_e32 vcc, s6, v2
	s_mov_b64 s[6:7], 0
	s_and_saveexec_b64 s[18:19], vcc
	s_xor_b64 s[18:19], exec, s[18:19]
	s_cbranch_execz .LBB328_1465
; %bb.1445:
	s_movk_i32 s6, 0x80
	v_cmp_eq_u16_e32 vcc, s6, v2
	s_mov_b64 s[6:7], -1
	s_and_saveexec_b64 s[20:21], vcc
; %bb.1446:
	s_xor_b64 s[6:7], exec, -1
; %bb.1447:
	s_or_b64 exec, exec, s[20:21]
	s_and_b64 s[6:7], s[6:7], exec
	s_or_saveexec_b64 s[18:19], s[18:19]
	v_mov_b32_e32 v8, 0x7f800001
	s_xor_b64 exec, exec, s[18:19]
	s_cbranch_execnz .LBB328_1466
.LBB328_1448:
	s_or_b64 exec, exec, s[18:19]
	s_and_saveexec_b64 s[18:19], s[6:7]
	s_cbranch_execz .LBB328_1450
.LBB328_1449:
	v_lshlrev_b32_e32 v3, 24, v2
	v_and_b32_e32 v2, 0xffff, v2
	v_and_b32_e32 v8, 7, v2
	v_ffbh_u32_e32 v10, v8
	v_min_u32_e32 v10, 32, v10
	v_subrev_u32_e32 v11, 28, v10
	v_bfe_u32 v9, v2, 3, 4
	v_lshlrev_b32_e32 v2, v11, v2
	v_sub_u32_e32 v10, 29, v10
	v_and_b32_e32 v2, 7, v2
	v_cmp_eq_u32_e32 vcc, 0, v9
	v_and_b32_e32 v3, 0x80000000, v3
	s_nop 0
	v_cndmask_b32_e32 v9, v9, v10, vcc
	v_cndmask_b32_e32 v2, v8, v2, vcc
	v_mov_b32_e32 v8, 0x3b800000
	v_lshlrev_b32_e32 v2, 20, v2
	v_lshl_add_u32 v8, v9, 23, v8
	v_or3_b32 v8, v3, v8, v2
.LBB328_1450:
	s_or_b64 exec, exec, s[18:19]
.LBB328_1451:
	s_mov_b64 s[6:7], -1
.LBB328_1452:
	s_mov_b64 s[18:19], 0
.LBB328_1453:
	s_and_b64 vcc, exec, s[18:19]
	s_cbranch_vccz .LBB328_1486
; %bb.1454:
	s_cmp_gt_i32 s24, 22
	s_cbranch_scc0 .LBB328_1464
; %bb.1455:
	s_cmp_lt_i32 s24, 24
	s_cbranch_scc1 .LBB328_1467
; %bb.1456:
	s_cmp_gt_i32 s24, 24
	s_cbranch_scc0 .LBB328_1468
; %bb.1457:
	global_load_ubyte v2, v[0:1], off
	s_movk_i32 s2, 0x7f
	s_waitcnt vmcnt(0)
	v_cmp_lt_i16_e32 vcc, s2, v2
	s_mov_b64 s[2:3], 0
	s_and_saveexec_b64 s[6:7], vcc
	s_xor_b64 s[6:7], exec, s[6:7]
	s_cbranch_execz .LBB328_1480
; %bb.1458:
	s_movk_i32 s2, 0x80
	v_cmp_eq_u16_e32 vcc, s2, v2
	s_mov_b64 s[2:3], -1
	s_and_saveexec_b64 s[18:19], vcc
; %bb.1459:
	s_xor_b64 s[2:3], exec, -1
; %bb.1460:
	s_or_b64 exec, exec, s[18:19]
	s_and_b64 s[2:3], s[2:3], exec
	s_or_saveexec_b64 s[6:7], s[6:7]
	v_mov_b32_e32 v8, 0x7f800001
	s_xor_b64 exec, exec, s[6:7]
	s_cbranch_execnz .LBB328_1481
.LBB328_1461:
	s_or_b64 exec, exec, s[6:7]
	s_and_saveexec_b64 s[6:7], s[2:3]
	s_cbranch_execz .LBB328_1463
.LBB328_1462:
	v_lshlrev_b32_e32 v3, 24, v2
	v_and_b32_e32 v2, 0xffff, v2
	v_and_b32_e32 v8, 3, v2
	v_ffbh_u32_e32 v10, v8
	v_min_u32_e32 v10, 32, v10
	v_subrev_u32_e32 v11, 29, v10
	v_bfe_u32 v9, v2, 2, 5
	v_lshlrev_b32_e32 v2, v11, v2
	v_sub_u32_e32 v10, 30, v10
	v_and_b32_e32 v2, 3, v2
	v_cmp_eq_u32_e32 vcc, 0, v9
	v_and_b32_e32 v3, 0x80000000, v3
	s_nop 0
	v_cndmask_b32_e32 v9, v9, v10, vcc
	v_cndmask_b32_e32 v2, v8, v2, vcc
	v_mov_b32_e32 v8, 0x37800000
	v_lshlrev_b32_e32 v2, 21, v2
	v_lshl_add_u32 v8, v9, 23, v8
	v_or3_b32 v8, v3, v8, v2
.LBB328_1463:
	s_or_b64 exec, exec, s[6:7]
	s_mov_b64 s[2:3], 0
	s_branch .LBB328_1469
.LBB328_1464:
	s_mov_b64 s[2:3], -1
                                        ; implicit-def: $vgpr8
	s_branch .LBB328_1475
.LBB328_1465:
	s_or_saveexec_b64 s[18:19], s[18:19]
	v_mov_b32_e32 v8, 0x7f800001
	s_xor_b64 exec, exec, s[18:19]
	s_cbranch_execz .LBB328_1448
.LBB328_1466:
	v_cmp_ne_u16_e32 vcc, 0, v2
	s_andn2_b64 s[6:7], s[6:7], exec
	s_and_b64 s[20:21], vcc, exec
	v_mov_b32_e32 v8, 0
	s_or_b64 s[6:7], s[6:7], s[20:21]
	s_or_b64 exec, exec, s[18:19]
	s_and_saveexec_b64 s[18:19], s[6:7]
	s_cbranch_execnz .LBB328_1449
	s_branch .LBB328_1450
.LBB328_1467:
	s_mov_b64 s[2:3], -1
                                        ; implicit-def: $vgpr8
	s_branch .LBB328_1472
.LBB328_1468:
	s_mov_b64 s[2:3], -1
                                        ; implicit-def: $vgpr8
.LBB328_1469:
	s_and_b64 vcc, exec, s[2:3]
	s_cbranch_vccz .LBB328_1471
; %bb.1470:
	global_load_ubyte v2, v[0:1], off
	s_mov_b32 s2, 0x7f800000
	s_waitcnt vmcnt(0)
	v_lshlrev_b32_e32 v2, 24, v2
	v_and_b32_e32 v3, 0x7f000000, v2
	v_ffbh_u32_e32 v8, v3
	v_min_u32_e32 v8, 32, v8
	v_sub_u32_e64 v8, v8, 4 clamp
	v_lshlrev_b32_e32 v10, v8, v3
	v_lshlrev_b32_e32 v8, 23, v8
	v_lshrrev_b32_e32 v10, 4, v10
	v_add_u32_e32 v9, 0x1000000, v3
	v_sub_u32_e32 v8, v10, v8
	v_ashrrev_i32_e32 v9, 8, v9
	v_add_u32_e32 v8, 0x3c000000, v8
	v_and_or_b32 v8, v9, s2, v8
	v_cmp_ne_u32_e32 vcc, 0, v3
	s_brev_b32 s2, 1
	s_nop 0
	v_cndmask_b32_e32 v3, 0, v8, vcc
	v_and_or_b32 v8, v2, s2, v3
.LBB328_1471:
	s_mov_b64 s[2:3], 0
.LBB328_1472:
	s_andn2_b64 vcc, exec, s[2:3]
	s_cbranch_vccnz .LBB328_1474
; %bb.1473:
	global_load_ubyte v2, v[0:1], off
	s_movk_i32 s2, 0x7f00
	s_brev_b32 s3, 16
	s_waitcnt vmcnt(0)
	v_lshlrev_b16_e32 v3, 8, v2
	v_lshlrev_b32_e32 v2, 25, v2
	v_lshrrev_b32_e32 v8, 4, v2
	v_and_or_b32 v9, v3, s2, 0.5
	v_or_b32_e32 v8, 0x70000000, v8
	v_add_f32_e32 v9, -0.5, v9
	v_mul_f32_e32 v8, 0x7800000, v8
	v_cmp_gt_u32_e32 vcc, s3, v2
	v_bfe_i32 v3, v3, 0, 16
	s_brev_b32 s2, 1
	v_cndmask_b32_e32 v2, v8, v9, vcc
	v_and_or_b32 v8, v3, s2, v2
.LBB328_1474:
	s_mov_b64 s[2:3], 0
	s_mov_b64 s[6:7], -1
.LBB328_1475:
	s_andn2_b64 vcc, exec, s[2:3]
	s_mov_b64 s[2:3], 0
	s_cbranch_vccnz .LBB328_1486
; %bb.1476:
	s_cmp_gt_i32 s24, 14
	s_cbranch_scc0 .LBB328_1479
; %bb.1477:
	s_cmp_eq_u32 s24, 15
	s_cbranch_scc0 .LBB328_1482
; %bb.1478:
	global_load_ushort v2, v[0:1], off
	s_mov_b64 s[0:1], 0
	s_mov_b64 s[6:7], -1
	s_waitcnt vmcnt(0)
	v_lshlrev_b32_e32 v8, 16, v2
	s_branch .LBB328_1483
.LBB328_1479:
	s_mov_b64 s[18:19], -1
                                        ; implicit-def: $vgpr8
	s_branch .LBB328_1484
.LBB328_1480:
	s_or_saveexec_b64 s[6:7], s[6:7]
	v_mov_b32_e32 v8, 0x7f800001
	s_xor_b64 exec, exec, s[6:7]
	s_cbranch_execz .LBB328_1461
.LBB328_1481:
	v_cmp_ne_u16_e32 vcc, 0, v2
	s_andn2_b64 s[2:3], s[2:3], exec
	s_and_b64 s[18:19], vcc, exec
	v_mov_b32_e32 v8, 0
	s_or_b64 s[2:3], s[2:3], s[18:19]
	s_or_b64 exec, exec, s[6:7]
	s_and_saveexec_b64 s[6:7], s[2:3]
	s_cbranch_execnz .LBB328_1462
	s_branch .LBB328_1463
.LBB328_1482:
	s_mov_b64 s[0:1], -1
                                        ; implicit-def: $vgpr8
.LBB328_1483:
	s_mov_b64 s[18:19], 0
.LBB328_1484:
	s_and_b64 vcc, exec, s[18:19]
	s_cbranch_vccz .LBB328_1486
; %bb.1485:
	s_cmp_lg_u32 s24, 11
	s_mov_b64 s[2:3], -1
	s_cselect_b64 s[0:1], -1, 0
.LBB328_1486:
	s_and_b64 vcc, exec, s[0:1]
	s_cbranch_vccnz .LBB328_2019
; %bb.1487:
	s_andn2_b64 vcc, exec, s[2:3]
	s_cbranch_vccnz .LBB328_1489
.LBB328_1488:
	global_load_ubyte v2, v[0:1], off
	s_mov_b64 s[6:7], -1
	s_waitcnt vmcnt(0)
	v_cmp_ne_u16_e32 vcc, 0, v2
	s_nop 1
	v_cndmask_b32_e64 v8, 0, 1.0, vcc
.LBB328_1489:
	s_mov_b64 s[0:1], 0
.LBB328_1490:
	s_and_b64 vcc, exec, s[0:1]
	s_cbranch_vccz .LBB328_1539
; %bb.1491:
	s_cmp_lt_i32 s24, 5
	s_cbranch_scc1 .LBB328_1496
; %bb.1492:
	s_cmp_lt_i32 s24, 8
	s_cbranch_scc1 .LBB328_1497
	;; [unrolled: 3-line block ×3, first 2 shown]
; %bb.1494:
	s_cmp_gt_i32 s24, 9
	s_cbranch_scc0 .LBB328_1499
; %bb.1495:
	global_load_dwordx2 v[2:3], v[0:1], off
	s_mov_b64 s[0:1], 0
	s_waitcnt vmcnt(0)
	v_cvt_f32_f64_e32 v8, v[2:3]
	s_branch .LBB328_1500
.LBB328_1496:
	s_mov_b64 s[0:1], -1
                                        ; implicit-def: $vgpr8
	s_branch .LBB328_1518
.LBB328_1497:
	s_mov_b64 s[0:1], -1
                                        ; implicit-def: $vgpr8
	s_branch .LBB328_1506
.LBB328_1498:
	s_mov_b64 s[0:1], -1
                                        ; implicit-def: $vgpr8
	s_branch .LBB328_1503
.LBB328_1499:
	s_mov_b64 s[0:1], -1
                                        ; implicit-def: $vgpr8
.LBB328_1500:
	s_andn2_b64 vcc, exec, s[0:1]
	s_cbranch_vccnz .LBB328_1502
; %bb.1501:
	global_load_dword v8, v[0:1], off
.LBB328_1502:
	s_mov_b64 s[0:1], 0
.LBB328_1503:
	s_andn2_b64 vcc, exec, s[0:1]
	s_cbranch_vccnz .LBB328_1505
; %bb.1504:
	global_load_dword v2, v[0:1], off
	s_waitcnt vmcnt(0)
	v_cvt_f32_f16_e32 v8, v2
.LBB328_1505:
	s_mov_b64 s[0:1], 0
.LBB328_1506:
	s_andn2_b64 vcc, exec, s[0:1]
	s_cbranch_vccnz .LBB328_1517
; %bb.1507:
	s_cmp_lt_i32 s24, 6
	s_cbranch_scc1 .LBB328_1510
; %bb.1508:
	s_cmp_gt_i32 s24, 6
	s_cbranch_scc0 .LBB328_1511
; %bb.1509:
	global_load_dwordx2 v[2:3], v[0:1], off
	s_mov_b64 s[0:1], 0
	s_waitcnt vmcnt(0)
	v_cvt_f32_f64_e32 v8, v[2:3]
	s_branch .LBB328_1512
.LBB328_1510:
	s_mov_b64 s[0:1], -1
                                        ; implicit-def: $vgpr8
	s_branch .LBB328_1515
.LBB328_1511:
	s_mov_b64 s[0:1], -1
                                        ; implicit-def: $vgpr8
.LBB328_1512:
	s_andn2_b64 vcc, exec, s[0:1]
	s_cbranch_vccnz .LBB328_1514
; %bb.1513:
	global_load_dword v8, v[0:1], off
.LBB328_1514:
	s_mov_b64 s[0:1], 0
.LBB328_1515:
	s_andn2_b64 vcc, exec, s[0:1]
	s_cbranch_vccnz .LBB328_1517
; %bb.1516:
	global_load_ushort v2, v[0:1], off
	s_waitcnt vmcnt(0)
	v_cvt_f32_f16_e32 v8, v2
.LBB328_1517:
	s_mov_b64 s[0:1], 0
.LBB328_1518:
	s_andn2_b64 vcc, exec, s[0:1]
	s_cbranch_vccnz .LBB328_1538
; %bb.1519:
	s_cmp_lt_i32 s24, 2
	s_cbranch_scc1 .LBB328_1523
; %bb.1520:
	s_cmp_lt_i32 s24, 3
	s_cbranch_scc1 .LBB328_1524
; %bb.1521:
	s_cmp_gt_i32 s24, 3
	s_cbranch_scc0 .LBB328_1525
; %bb.1522:
	global_load_dwordx2 v[2:3], v[0:1], off
	s_mov_b64 s[0:1], 0
	s_waitcnt vmcnt(0)
	v_xor_b32_e32 v9, v2, v3
	v_ffbh_i32_e32 v8, v3
	v_ashrrev_i32_e32 v9, 31, v9
	v_add_u32_e32 v8, -1, v8
	v_add_u32_e32 v9, 32, v9
	v_min_u32_e32 v8, v8, v9
	v_lshlrev_b64 v[2:3], v8, v[2:3]
	v_min_u32_e32 v2, 1, v2
	v_or_b32_e32 v2, v3, v2
	v_cvt_f32_i32_e32 v2, v2
	v_sub_u32_e32 v3, 32, v8
	v_ldexp_f32 v8, v2, v3
	s_branch .LBB328_1526
.LBB328_1523:
	s_mov_b64 s[0:1], -1
                                        ; implicit-def: $vgpr8
	s_branch .LBB328_1532
.LBB328_1524:
	s_mov_b64 s[0:1], -1
                                        ; implicit-def: $vgpr8
	s_branch .LBB328_1529
.LBB328_1525:
	s_mov_b64 s[0:1], -1
                                        ; implicit-def: $vgpr8
.LBB328_1526:
	s_andn2_b64 vcc, exec, s[0:1]
	s_cbranch_vccnz .LBB328_1528
; %bb.1527:
	global_load_dword v2, v[0:1], off
	s_waitcnt vmcnt(0)
	v_cvt_f32_i32_e32 v8, v2
.LBB328_1528:
	s_mov_b64 s[0:1], 0
.LBB328_1529:
	s_andn2_b64 vcc, exec, s[0:1]
	s_cbranch_vccnz .LBB328_1531
; %bb.1530:
	global_load_sshort v2, v[0:1], off
	s_waitcnt vmcnt(0)
	v_cvt_f32_i32_e32 v8, v2
.LBB328_1531:
	s_mov_b64 s[0:1], 0
.LBB328_1532:
	s_andn2_b64 vcc, exec, s[0:1]
	s_cbranch_vccnz .LBB328_1538
; %bb.1533:
	s_cmp_gt_i32 s24, 0
	s_cbranch_scc0 .LBB328_1535
; %bb.1534:
	global_load_sbyte v2, v[0:1], off
	s_mov_b64 s[0:1], 0
	s_waitcnt vmcnt(0)
	v_cvt_f32_i32_e32 v8, v2
	s_branch .LBB328_1536
.LBB328_1535:
	s_mov_b64 s[0:1], -1
                                        ; implicit-def: $vgpr8
.LBB328_1536:
	s_andn2_b64 vcc, exec, s[0:1]
	s_cbranch_vccnz .LBB328_1538
; %bb.1537:
	global_load_ubyte v0, v[0:1], off
	s_waitcnt vmcnt(0)
	v_cvt_f32_ubyte0_e32 v8, v0
.LBB328_1538:
	s_mov_b64 s[6:7], -1
.LBB328_1539:
	s_andn2_b64 vcc, exec, s[6:7]
	s_cbranch_vccnz .LBB328_1973
; %bb.1540:
	v_max_f32_e64 v9, s10, s10
	s_waitcnt vmcnt(0)
	v_max_f32_e32 v0, v4, v4
	v_max_f32_e32 v0, v0, v9
	v_max_f32_e64 v10, s11, s11
	v_min_f32_e32 v0, v0, v10
	v_cmp_u_f32_e32 vcc, v4, v4
	s_and_b32 s20, s33, 0xff
	s_cmp_lt_i32 s20, 11
	v_cndmask_b32_e32 v4, v0, v4, vcc
	v_mul_lo_u32 v0, s8, v5
	v_ashrrev_i32_e32 v1, 31, v0
	v_lshl_add_u64 v[2:3], s[4:5], 0, v[0:1]
	s_cbranch_scc1 .LBB328_1618
; %bb.1541:
	s_and_b32 s9, 0xffff, s20
	s_mov_b64 s[10:11], -1
	s_mov_b64 s[2:3], 0
	s_cmp_gt_i32 s9, 25
	s_mov_b64 s[6:7], 0
	s_mov_b64 s[0:1], 0
	s_cbranch_scc0 .LBB328_1574
; %bb.1542:
	s_cmp_gt_i32 s9, 28
	s_cbranch_scc0 .LBB328_1557
; %bb.1543:
	s_cmp_gt_i32 s9, 43
	;; [unrolled: 3-line block ×3, first 2 shown]
	s_cbranch_scc0 .LBB328_1547
; %bb.1545:
	s_mov_b64 s[0:1], -1
	s_mov_b64 s[10:11], 0
	s_cmp_eq_u32 s9, 46
	s_cbranch_scc0 .LBB328_1547
; %bb.1546:
	v_bfe_u32 v1, v4, 16, 1
	s_movk_i32 s0, 0x7fff
	v_add3_u32 v1, v4, v1, s0
	v_cmp_o_f32_e32 vcc, v4, v4
	v_mov_b32_e32 v5, 0x7fc0
	s_mov_b64 s[0:1], 0
	v_cndmask_b32_sdwa v1, v5, v1, vcc dst_sel:DWORD dst_unused:UNUSED_PAD src0_sel:DWORD src1_sel:WORD_1
	global_store_dword v[2:3], v1, off
	s_mov_b64 s[6:7], -1
.LBB328_1547:
	s_and_b64 vcc, exec, s[10:11]
	s_cbranch_vccz .LBB328_1552
; %bb.1548:
	s_cmp_eq_u32 s9, 44
	s_mov_b64 s[0:1], -1
	s_cbranch_scc0 .LBB328_1552
; %bb.1549:
	v_bfe_u32 v1, v4, 23, 8
	s_movk_i32 s0, 0xff
	v_cmp_ne_u32_e32 vcc, s0, v1
	v_mov_b32_e32 v5, 0xff
	s_and_saveexec_b64 s[6:7], vcc
; %bb.1550:
	s_mov_b32 s0, 0x3fffff
	v_and_b32_e32 v11, 0x400000, v4
	v_and_or_b32 v1, v4, s0, v1
	v_cmp_ne_u32_e32 vcc, 0, v11
	v_cmp_ne_u32_e64 s[0:1], 0, v1
	s_and_b64 s[0:1], vcc, s[0:1]
	v_lshrrev_b32_e32 v5, 23, v4
	v_cndmask_b32_e64 v1, 0, 1, s[0:1]
	v_add_u32_e32 v5, v5, v1
; %bb.1551:
	s_or_b64 exec, exec, s[6:7]
	s_mov_b64 s[0:1], 0
	s_mov_b64 s[6:7], -1
	global_store_byte v[2:3], v5, off
.LBB328_1552:
	s_mov_b64 s[10:11], 0
.LBB328_1553:
	s_and_b64 vcc, exec, s[10:11]
	s_cbranch_vccz .LBB328_1556
; %bb.1554:
	s_cmp_eq_u32 s9, 29
	s_mov_b64 s[0:1], -1
	s_cbranch_scc0 .LBB328_1556
; %bb.1555:
	v_trunc_f32_e32 v1, v4
	v_mul_f32_e32 v5, 0x2f800000, v1
	v_floor_f32_e32 v5, v5
	v_fmamk_f32 v1, v5, 0xcf800000, v1
	v_cvt_u32_f32_e32 v13, v5
	v_cvt_u32_f32_e32 v12, v1
	s_mov_b64 s[0:1], 0
	s_mov_b64 s[6:7], -1
	global_store_dwordx2 v[2:3], v[12:13], off
.LBB328_1556:
	s_mov_b64 s[10:11], 0
.LBB328_1557:
	s_and_b64 vcc, exec, s[10:11]
	s_cbranch_vccz .LBB328_1573
; %bb.1558:
	s_cmp_lt_i32 s9, 27
	s_mov_b64 s[6:7], -1
	s_cbranch_scc1 .LBB328_1564
; %bb.1559:
	v_cvt_u32_f32_e32 v1, v4
	s_cmp_gt_i32 s9, 27
	s_cbranch_scc0 .LBB328_1561
; %bb.1560:
	s_mov_b64 s[6:7], 0
	global_store_dword v[2:3], v1, off
.LBB328_1561:
	s_andn2_b64 vcc, exec, s[6:7]
	s_cbranch_vccnz .LBB328_1563
; %bb.1562:
	global_store_short v[2:3], v1, off
.LBB328_1563:
	s_mov_b64 s[6:7], 0
.LBB328_1564:
	s_andn2_b64 vcc, exec, s[6:7]
	s_cbranch_vccnz .LBB328_1572
; %bb.1565:
	v_and_b32_e32 v1, 0x7fffffff, v4
	s_mov_b32 s6, 0x43800000
	v_cmp_gt_u32_e32 vcc, s6, v1
	v_mov_b32_e32 v5, 0x80
	s_and_saveexec_b64 s[6:7], vcc
	s_cbranch_execz .LBB328_1571
; %bb.1566:
	s_mov_b32 s10, 0x3bffffff
	v_cmp_lt_u32_e32 vcc, s10, v1
	s_mov_b64 s[10:11], 0
                                        ; implicit-def: $vgpr1
	s_and_saveexec_b64 s[18:19], vcc
	s_xor_b64 s[18:19], exec, s[18:19]
	s_cbranch_execz .LBB328_2020
; %bb.1567:
	v_bfe_u32 v1, v4, 20, 1
	s_mov_b32 s21, 0x487ffff
	v_add3_u32 v1, v4, v1, s21
	s_mov_b64 s[10:11], exec
	v_lshrrev_b32_e32 v1, 20, v1
	s_andn2_saveexec_b64 s[18:19], s[18:19]
	s_cbranch_execnz .LBB328_2021
.LBB328_1568:
	s_or_b64 exec, exec, s[18:19]
	v_mov_b32_e32 v5, 0
	s_and_saveexec_b64 s[18:19], s[10:11]
.LBB328_1569:
	v_lshrrev_b32_e32 v5, 24, v4
	s_movk_i32 s10, 0x80
	v_and_or_b32 v5, v5, s10, v1
.LBB328_1570:
	s_or_b64 exec, exec, s[18:19]
.LBB328_1571:
	s_or_b64 exec, exec, s[6:7]
	global_store_byte v[2:3], v5, off
.LBB328_1572:
	s_mov_b64 s[6:7], -1
.LBB328_1573:
	s_mov_b64 s[10:11], 0
.LBB328_1574:
	s_and_b64 vcc, exec, s[10:11]
	s_cbranch_vccz .LBB328_1614
; %bb.1575:
	s_cmp_gt_i32 s9, 22
	s_mov_b64 s[2:3], -1
	s_cbranch_scc0 .LBB328_1607
; %bb.1576:
	s_cmp_lt_i32 s9, 24
	s_cbranch_scc1 .LBB328_1596
; %bb.1577:
	s_cmp_gt_i32 s9, 24
	s_cbranch_scc0 .LBB328_1585
; %bb.1578:
	v_and_b32_e32 v1, 0x7fffffff, v4
	s_mov_b32 s2, 0x47800000
	v_cmp_gt_u32_e32 vcc, s2, v1
	v_mov_b32_e32 v5, 0x80
	s_and_saveexec_b64 s[2:3], vcc
	s_cbranch_execz .LBB328_1584
; %bb.1579:
	s_mov_b32 s6, 0x37ffffff
	v_cmp_lt_u32_e32 vcc, s6, v1
	s_mov_b64 s[6:7], 0
                                        ; implicit-def: $vgpr1
	s_and_saveexec_b64 s[10:11], vcc
	s_xor_b64 s[10:11], exec, s[10:11]
	s_cbranch_execz .LBB328_2023
; %bb.1580:
	v_bfe_u32 v1, v4, 21, 1
	s_mov_b32 s18, 0x88fffff
	v_add3_u32 v1, v4, v1, s18
	s_mov_b64 s[6:7], exec
	v_lshrrev_b32_e32 v1, 21, v1
	s_andn2_saveexec_b64 s[10:11], s[10:11]
	s_cbranch_execnz .LBB328_2024
.LBB328_1581:
	s_or_b64 exec, exec, s[10:11]
	v_mov_b32_e32 v5, 0
	s_and_saveexec_b64 s[10:11], s[6:7]
.LBB328_1582:
	v_lshrrev_b32_e32 v5, 24, v4
	s_movk_i32 s6, 0x80
	v_and_or_b32 v5, v5, s6, v1
.LBB328_1583:
	s_or_b64 exec, exec, s[10:11]
.LBB328_1584:
	s_or_b64 exec, exec, s[2:3]
	s_mov_b64 s[2:3], 0
	global_store_byte v[2:3], v5, off
.LBB328_1585:
	s_and_b64 vcc, exec, s[2:3]
	s_cbranch_vccz .LBB328_1595
; %bb.1586:
	v_and_b32_e32 v5, 0x7fffffff, v4
	s_mov_b32 s2, 0x43f00000
	v_cmp_gt_u32_e32 vcc, s2, v5
                                        ; implicit-def: $vgpr1
	s_and_saveexec_b64 s[2:3], vcc
	s_xor_b64 s[2:3], exec, s[2:3]
	s_cbranch_execz .LBB328_1592
; %bb.1587:
	s_mov_b32 s6, 0x3c7fffff
	v_cmp_lt_u32_e32 vcc, s6, v5
                                        ; implicit-def: $vgpr1
	s_and_saveexec_b64 s[6:7], vcc
	s_xor_b64 s[6:7], exec, s[6:7]
; %bb.1588:
	v_bfe_u32 v1, v4, 20, 1
	s_mov_b32 s10, 0x407ffff
	v_add3_u32 v1, v4, v1, s10
	v_lshrrev_b32_e32 v5, 20, v1
	v_and_b32_e32 v1, 0xff00000, v1
	s_mov_b32 s10, 0x7f00000
	v_mov_b32_e32 v11, 0x7e
	v_cmp_ne_u32_e32 vcc, s10, v1
	s_nop 1
	v_cndmask_b32_e32 v1, v11, v5, vcc
; %bb.1589:
	s_andn2_saveexec_b64 s[6:7], s[6:7]
; %bb.1590:
	s_mov_b32 s10, 0x46800000
	v_add_f32_e64 v1, |v4|, s10
; %bb.1591:
	s_or_b64 exec, exec, s[6:7]
                                        ; implicit-def: $vgpr5
.LBB328_1592:
	s_andn2_saveexec_b64 s[2:3], s[2:3]
; %bb.1593:
	s_mov_b32 s6, 0x7f800000
	v_mov_b32_e32 v1, 0x7e
	v_mov_b32_e32 v11, 0x7f
	v_cmp_lt_u32_e32 vcc, s6, v5
	s_nop 1
	v_cndmask_b32_e32 v1, v1, v11, vcc
; %bb.1594:
	s_or_b64 exec, exec, s[2:3]
	v_lshrrev_b32_e32 v5, 24, v4
	s_movk_i32 s2, 0x80
	v_and_or_b32 v1, v5, s2, v1
	global_store_byte v[2:3], v1, off
.LBB328_1595:
	s_mov_b64 s[2:3], 0
.LBB328_1596:
	s_andn2_b64 vcc, exec, s[2:3]
	s_cbranch_vccnz .LBB328_1606
; %bb.1597:
	v_and_b32_e32 v5, 0x7fffffff, v4
	s_mov_b32 s2, 0x47800000
	v_cmp_gt_u32_e32 vcc, s2, v5
                                        ; implicit-def: $vgpr1
	s_and_saveexec_b64 s[2:3], vcc
	s_xor_b64 s[2:3], exec, s[2:3]
	s_cbranch_execz .LBB328_1603
; %bb.1598:
	s_mov_b32 s6, 0x387fffff
	v_cmp_lt_u32_e32 vcc, s6, v5
                                        ; implicit-def: $vgpr1
	s_and_saveexec_b64 s[6:7], vcc
	s_xor_b64 s[6:7], exec, s[6:7]
; %bb.1599:
	v_bfe_u32 v1, v4, 21, 1
	s_mov_b32 s10, 0x80fffff
	v_add3_u32 v1, v4, v1, s10
	v_lshrrev_b32_e32 v1, 21, v1
; %bb.1600:
	s_andn2_saveexec_b64 s[6:7], s[6:7]
; %bb.1601:
	s_mov_b32 s10, 0x43000000
	v_add_f32_e64 v1, |v4|, s10
; %bb.1602:
	s_or_b64 exec, exec, s[6:7]
                                        ; implicit-def: $vgpr5
.LBB328_1603:
	s_andn2_saveexec_b64 s[2:3], s[2:3]
; %bb.1604:
	s_mov_b32 s6, 0x7f800000
	v_mov_b32_e32 v1, 0x7c
	v_mov_b32_e32 v11, 0x7f
	v_cmp_lt_u32_e32 vcc, s6, v5
	s_nop 1
	v_cndmask_b32_e32 v1, v1, v11, vcc
; %bb.1605:
	s_or_b64 exec, exec, s[2:3]
	v_lshrrev_b32_e32 v5, 24, v4
	s_movk_i32 s2, 0x80
	v_and_or_b32 v1, v5, s2, v1
	global_store_byte v[2:3], v1, off
.LBB328_1606:
	s_mov_b64 s[2:3], 0
	s_mov_b64 s[6:7], -1
.LBB328_1607:
	s_andn2_b64 vcc, exec, s[2:3]
	s_mov_b64 s[2:3], 0
	s_cbranch_vccnz .LBB328_1614
; %bb.1608:
	s_cmp_gt_i32 s9, 14
	s_mov_b64 s[10:11], -1
	s_cbranch_scc0 .LBB328_1612
; %bb.1609:
	s_cmp_eq_u32 s9, 15
	s_mov_b64 s[0:1], -1
	s_cbranch_scc0 .LBB328_1611
; %bb.1610:
	v_bfe_u32 v1, v4, 16, 1
	s_movk_i32 s0, 0x7fff
	v_add3_u32 v1, v4, v1, s0
	v_cmp_o_f32_e32 vcc, v4, v4
	v_mov_b32_e32 v5, 0x7fc0
	s_mov_b64 s[0:1], 0
	v_cndmask_b32_sdwa v1, v5, v1, vcc dst_sel:DWORD dst_unused:UNUSED_PAD src0_sel:DWORD src1_sel:WORD_1
	global_store_short v[2:3], v1, off
	s_mov_b64 s[6:7], -1
.LBB328_1611:
	s_mov_b64 s[10:11], 0
.LBB328_1612:
	s_and_b64 vcc, exec, s[10:11]
	s_cbranch_vccz .LBB328_1614
; %bb.1613:
	s_cmp_lg_u32 s9, 11
	s_mov_b64 s[2:3], -1
	s_cselect_b64 s[0:1], -1, 0
.LBB328_1614:
	s_and_b64 vcc, exec, s[0:1]
	s_cbranch_vccnz .LBB328_2022
; %bb.1615:
	s_andn2_b64 vcc, exec, s[2:3]
	s_cbranch_vccnz .LBB328_1617
.LBB328_1616:
	v_cmp_neq_f32_e32 vcc, 0, v4
	s_mov_b64 s[6:7], -1
	s_nop 0
	v_cndmask_b32_e64 v1, 0, 1, vcc
	global_store_byte v[2:3], v1, off
.LBB328_1617:
	s_mov_b64 s[0:1], 0
	s_branch .LBB328_1619
.LBB328_1618:
	s_mov_b64 s[0:1], -1
	s_mov_b64 s[6:7], 0
.LBB328_1619:
	s_and_b64 vcc, exec, s[0:1]
	s_cbranch_vccz .LBB328_1658
; %bb.1620:
	s_and_b32 s2, 0xffff, s20
	s_cmp_lt_i32 s2, 5
	s_mov_b64 s[0:1], -1
	s_cbranch_scc1 .LBB328_1641
; %bb.1621:
	s_cmp_lt_i32 s2, 8
	s_cbranch_scc1 .LBB328_1631
; %bb.1622:
	s_cmp_lt_i32 s2, 9
	s_cbranch_scc1 .LBB328_1628
; %bb.1623:
	s_cmp_gt_i32 s2, 9
	s_cbranch_scc0 .LBB328_1625
; %bb.1624:
	v_mov_b32_e32 v14, 0
	v_cvt_f64_f32_e32 v[12:13], v4
	v_mov_b32_e32 v15, v14
	global_store_dwordx4 v[2:3], v[12:15], off
	s_mov_b64 s[0:1], 0
.LBB328_1625:
	s_andn2_b64 vcc, exec, s[0:1]
	s_cbranch_vccnz .LBB328_1627
; %bb.1626:
	v_mov_b32_e32 v5, 0
	global_store_dwordx2 v[2:3], v[4:5], off
.LBB328_1627:
	s_mov_b64 s[0:1], 0
.LBB328_1628:
	s_andn2_b64 vcc, exec, s[0:1]
	s_cbranch_vccnz .LBB328_1630
; %bb.1629:
	v_cvt_f16_f32_e32 v1, v4
	global_store_dword v[2:3], v1, off
.LBB328_1630:
	s_mov_b64 s[0:1], 0
.LBB328_1631:
	s_andn2_b64 vcc, exec, s[0:1]
	s_cbranch_vccnz .LBB328_1640
; %bb.1632:
	s_cmp_lt_i32 s2, 6
	s_mov_b64 s[0:1], -1
	s_cbranch_scc1 .LBB328_1638
; %bb.1633:
	s_cmp_gt_i32 s2, 6
	s_cbranch_scc0 .LBB328_1635
; %bb.1634:
	v_cvt_f64_f32_e32 v[12:13], v4
	global_store_dwordx2 v[2:3], v[12:13], off
	s_mov_b64 s[0:1], 0
.LBB328_1635:
	s_andn2_b64 vcc, exec, s[0:1]
	s_cbranch_vccnz .LBB328_1637
; %bb.1636:
	global_store_dword v[2:3], v4, off
.LBB328_1637:
	s_mov_b64 s[0:1], 0
.LBB328_1638:
	s_andn2_b64 vcc, exec, s[0:1]
	s_cbranch_vccnz .LBB328_1640
; %bb.1639:
	v_cvt_f16_f32_e32 v1, v4
	global_store_short v[2:3], v1, off
.LBB328_1640:
	s_mov_b64 s[0:1], 0
.LBB328_1641:
	s_andn2_b64 vcc, exec, s[0:1]
	s_cbranch_vccnz .LBB328_1657
; %bb.1642:
	s_cmp_lt_i32 s2, 2
	s_mov_b64 s[0:1], -1
	s_cbranch_scc1 .LBB328_1652
; %bb.1643:
	s_cmp_lt_i32 s2, 3
	s_cbranch_scc1 .LBB328_1649
; %bb.1644:
	s_cmp_gt_i32 s2, 3
	s_cbranch_scc0 .LBB328_1646
; %bb.1645:
	v_trunc_f32_e32 v1, v4
	s_mov_b32 s0, 0x2f800000
	v_mul_f32_e64 v5, |v1|, s0
	v_floor_f32_e32 v5, v5
	s_mov_b32 s0, 0xcf800000
	v_cvt_u32_f32_e32 v11, v5
	v_fma_f32 v5, v5, s0, |v1|
	v_cvt_u32_f32_e32 v5, v5
	v_ashrrev_i32_e32 v1, 31, v1
	v_xor_b32_e32 v11, v11, v1
	s_mov_b64 s[0:1], 0
	v_xor_b32_e32 v5, v5, v1
	v_sub_co_u32_e32 v12, vcc, v5, v1
	s_nop 1
	v_subb_co_u32_e32 v13, vcc, v11, v1, vcc
	global_store_dwordx2 v[2:3], v[12:13], off
.LBB328_1646:
	s_andn2_b64 vcc, exec, s[0:1]
	s_cbranch_vccnz .LBB328_1648
; %bb.1647:
	v_cvt_i32_f32_e32 v1, v4
	global_store_dword v[2:3], v1, off
.LBB328_1648:
	s_mov_b64 s[0:1], 0
.LBB328_1649:
	s_andn2_b64 vcc, exec, s[0:1]
	s_cbranch_vccnz .LBB328_1651
; %bb.1650:
	v_cvt_i32_f32_e32 v1, v4
	global_store_short v[2:3], v1, off
.LBB328_1651:
	s_mov_b64 s[0:1], 0
.LBB328_1652:
	s_andn2_b64 vcc, exec, s[0:1]
	s_cbranch_vccnz .LBB328_1657
; %bb.1653:
	s_cmp_gt_i32 s2, 0
	s_mov_b64 s[0:1], -1
	s_cbranch_scc0 .LBB328_1655
; %bb.1654:
	v_cvt_i32_f32_e32 v1, v4
	s_mov_b64 s[0:1], 0
	global_store_byte v[2:3], v1, off
.LBB328_1655:
	s_andn2_b64 vcc, exec, s[0:1]
	s_cbranch_vccnz .LBB328_1657
; %bb.1656:
	v_trunc_f32_e32 v1, v4
	s_mov_b32 s0, 0x2f800000
	v_mul_f32_e64 v4, |v1|, s0
	v_floor_f32_e32 v4, v4
	s_mov_b32 s0, 0xcf800000
	v_fma_f32 v4, v4, s0, |v1|
	v_cvt_u32_f32_e32 v4, v4
	v_ashrrev_i32_e32 v1, 31, v1
	v_xor_b32_e32 v4, v4, v1
	v_sub_u32_e32 v1, v4, v1
	global_store_byte v[2:3], v1, off
.LBB328_1657:
	s_mov_b64 s[6:7], -1
.LBB328_1658:
	s_andn2_b64 vcc, exec, s[6:7]
	s_cbranch_vccnz .LBB328_1973
; %bb.1659:
	v_max_f32_e32 v1, v6, v6
	v_max_f32_e32 v1, v1, v9
	s_lshl_b32 s18, s8, 7
	v_min_f32_e32 v1, v1, v10
	v_cmp_u_f32_e32 vcc, v6, v6
	v_add_u32_e32 v0, s18, v0
	s_cmp_lt_i32 s20, 11
	v_cndmask_b32_e32 v4, v1, v6, vcc
	v_ashrrev_i32_e32 v1, 31, v0
	v_lshl_add_u64 v[2:3], s[4:5], 0, v[0:1]
	s_cbranch_scc1 .LBB328_1737
; %bb.1660:
	s_and_b32 s19, 0xffff, s20
	s_mov_b64 s[8:9], -1
	s_mov_b64 s[2:3], 0
	s_cmp_gt_i32 s19, 25
	s_mov_b64 s[6:7], 0
	s_mov_b64 s[0:1], 0
	s_cbranch_scc0 .LBB328_1693
; %bb.1661:
	s_cmp_gt_i32 s19, 28
	s_cbranch_scc0 .LBB328_1676
; %bb.1662:
	s_cmp_gt_i32 s19, 43
	;; [unrolled: 3-line block ×3, first 2 shown]
	s_cbranch_scc0 .LBB328_1666
; %bb.1664:
	s_mov_b64 s[0:1], -1
	s_mov_b64 s[8:9], 0
	s_cmp_eq_u32 s19, 46
	s_cbranch_scc0 .LBB328_1666
; %bb.1665:
	v_bfe_u32 v1, v4, 16, 1
	s_movk_i32 s0, 0x7fff
	v_add3_u32 v1, v4, v1, s0
	v_cmp_o_f32_e32 vcc, v4, v4
	v_mov_b32_e32 v5, 0x7fc0
	s_mov_b64 s[0:1], 0
	v_cndmask_b32_sdwa v1, v5, v1, vcc dst_sel:DWORD dst_unused:UNUSED_PAD src0_sel:DWORD src1_sel:WORD_1
	global_store_dword v[2:3], v1, off
	s_mov_b64 s[6:7], -1
.LBB328_1666:
	s_and_b64 vcc, exec, s[8:9]
	s_cbranch_vccz .LBB328_1671
; %bb.1667:
	s_cmp_eq_u32 s19, 44
	s_mov_b64 s[0:1], -1
	s_cbranch_scc0 .LBB328_1671
; %bb.1668:
	v_bfe_u32 v1, v4, 23, 8
	s_movk_i32 s0, 0xff
	v_cmp_ne_u32_e32 vcc, s0, v1
	v_mov_b32_e32 v5, 0xff
	s_and_saveexec_b64 s[6:7], vcc
; %bb.1669:
	s_mov_b32 s0, 0x3fffff
	v_and_b32_e32 v6, 0x400000, v4
	v_and_or_b32 v1, v4, s0, v1
	v_cmp_ne_u32_e32 vcc, 0, v6
	v_cmp_ne_u32_e64 s[0:1], 0, v1
	s_and_b64 s[0:1], vcc, s[0:1]
	v_lshrrev_b32_e32 v5, 23, v4
	v_cndmask_b32_e64 v1, 0, 1, s[0:1]
	v_add_u32_e32 v5, v5, v1
; %bb.1670:
	s_or_b64 exec, exec, s[6:7]
	s_mov_b64 s[0:1], 0
	s_mov_b64 s[6:7], -1
	global_store_byte v[2:3], v5, off
.LBB328_1671:
	s_mov_b64 s[8:9], 0
.LBB328_1672:
	s_and_b64 vcc, exec, s[8:9]
	s_cbranch_vccz .LBB328_1675
; %bb.1673:
	s_cmp_eq_u32 s19, 29
	s_mov_b64 s[0:1], -1
	s_cbranch_scc0 .LBB328_1675
; %bb.1674:
	v_trunc_f32_e32 v1, v4
	v_mul_f32_e32 v5, 0x2f800000, v1
	v_floor_f32_e32 v5, v5
	v_fmamk_f32 v1, v5, 0xcf800000, v1
	v_cvt_u32_f32_e32 v13, v5
	v_cvt_u32_f32_e32 v12, v1
	s_mov_b64 s[0:1], 0
	s_mov_b64 s[6:7], -1
	global_store_dwordx2 v[2:3], v[12:13], off
.LBB328_1675:
	s_mov_b64 s[8:9], 0
.LBB328_1676:
	s_and_b64 vcc, exec, s[8:9]
	s_cbranch_vccz .LBB328_1692
; %bb.1677:
	s_cmp_lt_i32 s19, 27
	s_mov_b64 s[6:7], -1
	s_cbranch_scc1 .LBB328_1683
; %bb.1678:
	v_cvt_u32_f32_e32 v1, v4
	s_cmp_gt_i32 s19, 27
	s_cbranch_scc0 .LBB328_1680
; %bb.1679:
	s_mov_b64 s[6:7], 0
	global_store_dword v[2:3], v1, off
.LBB328_1680:
	s_andn2_b64 vcc, exec, s[6:7]
	s_cbranch_vccnz .LBB328_1682
; %bb.1681:
	global_store_short v[2:3], v1, off
.LBB328_1682:
	s_mov_b64 s[6:7], 0
.LBB328_1683:
	s_andn2_b64 vcc, exec, s[6:7]
	s_cbranch_vccnz .LBB328_1691
; %bb.1684:
	v_and_b32_e32 v1, 0x7fffffff, v4
	s_mov_b32 s6, 0x43800000
	v_cmp_gt_u32_e32 vcc, s6, v1
	v_mov_b32_e32 v5, 0x80
	s_and_saveexec_b64 s[6:7], vcc
	s_cbranch_execz .LBB328_1690
; %bb.1685:
	s_mov_b32 s8, 0x3bffffff
	v_cmp_lt_u32_e32 vcc, s8, v1
	s_mov_b64 s[8:9], 0
                                        ; implicit-def: $vgpr1
	s_and_saveexec_b64 s[10:11], vcc
	s_xor_b64 s[10:11], exec, s[10:11]
	s_cbranch_execz .LBB328_2025
; %bb.1686:
	v_bfe_u32 v1, v4, 20, 1
	s_mov_b32 s21, 0x487ffff
	v_add3_u32 v1, v4, v1, s21
	s_mov_b64 s[8:9], exec
	v_lshrrev_b32_e32 v1, 20, v1
	s_andn2_saveexec_b64 s[10:11], s[10:11]
	s_cbranch_execnz .LBB328_2026
.LBB328_1687:
	s_or_b64 exec, exec, s[10:11]
	v_mov_b32_e32 v5, 0
	s_and_saveexec_b64 s[10:11], s[8:9]
.LBB328_1688:
	v_lshrrev_b32_e32 v5, 24, v4
	s_movk_i32 s8, 0x80
	v_and_or_b32 v5, v5, s8, v1
.LBB328_1689:
	s_or_b64 exec, exec, s[10:11]
.LBB328_1690:
	s_or_b64 exec, exec, s[6:7]
	global_store_byte v[2:3], v5, off
.LBB328_1691:
	s_mov_b64 s[6:7], -1
.LBB328_1692:
	s_mov_b64 s[8:9], 0
.LBB328_1693:
	s_and_b64 vcc, exec, s[8:9]
	s_cbranch_vccz .LBB328_1733
; %bb.1694:
	s_cmp_gt_i32 s19, 22
	s_mov_b64 s[2:3], -1
	s_cbranch_scc0 .LBB328_1726
; %bb.1695:
	s_cmp_lt_i32 s19, 24
	s_cbranch_scc1 .LBB328_1715
; %bb.1696:
	s_cmp_gt_i32 s19, 24
	s_cbranch_scc0 .LBB328_1704
; %bb.1697:
	v_and_b32_e32 v1, 0x7fffffff, v4
	s_mov_b32 s2, 0x47800000
	v_cmp_gt_u32_e32 vcc, s2, v1
	v_mov_b32_e32 v5, 0x80
	s_and_saveexec_b64 s[2:3], vcc
	s_cbranch_execz .LBB328_1703
; %bb.1698:
	s_mov_b32 s6, 0x37ffffff
	v_cmp_lt_u32_e32 vcc, s6, v1
	s_mov_b64 s[6:7], 0
                                        ; implicit-def: $vgpr1
	s_and_saveexec_b64 s[8:9], vcc
	s_xor_b64 s[8:9], exec, s[8:9]
	s_cbranch_execz .LBB328_2028
; %bb.1699:
	v_bfe_u32 v1, v4, 21, 1
	s_mov_b32 s10, 0x88fffff
	v_add3_u32 v1, v4, v1, s10
	s_mov_b64 s[6:7], exec
	v_lshrrev_b32_e32 v1, 21, v1
	s_andn2_saveexec_b64 s[8:9], s[8:9]
	s_cbranch_execnz .LBB328_2029
.LBB328_1700:
	s_or_b64 exec, exec, s[8:9]
	v_mov_b32_e32 v5, 0
	s_and_saveexec_b64 s[8:9], s[6:7]
.LBB328_1701:
	v_lshrrev_b32_e32 v5, 24, v4
	s_movk_i32 s6, 0x80
	v_and_or_b32 v5, v5, s6, v1
.LBB328_1702:
	s_or_b64 exec, exec, s[8:9]
.LBB328_1703:
	s_or_b64 exec, exec, s[2:3]
	s_mov_b64 s[2:3], 0
	global_store_byte v[2:3], v5, off
.LBB328_1704:
	s_and_b64 vcc, exec, s[2:3]
	s_cbranch_vccz .LBB328_1714
; %bb.1705:
	v_and_b32_e32 v5, 0x7fffffff, v4
	s_mov_b32 s2, 0x43f00000
	v_cmp_gt_u32_e32 vcc, s2, v5
                                        ; implicit-def: $vgpr1
	s_and_saveexec_b64 s[2:3], vcc
	s_xor_b64 s[2:3], exec, s[2:3]
	s_cbranch_execz .LBB328_1711
; %bb.1706:
	s_mov_b32 s6, 0x3c7fffff
	v_cmp_lt_u32_e32 vcc, s6, v5
                                        ; implicit-def: $vgpr1
	s_and_saveexec_b64 s[6:7], vcc
	s_xor_b64 s[6:7], exec, s[6:7]
; %bb.1707:
	v_bfe_u32 v1, v4, 20, 1
	s_mov_b32 s8, 0x407ffff
	v_add3_u32 v1, v4, v1, s8
	v_lshrrev_b32_e32 v5, 20, v1
	v_and_b32_e32 v1, 0xff00000, v1
	s_mov_b32 s8, 0x7f00000
	v_mov_b32_e32 v6, 0x7e
	v_cmp_ne_u32_e32 vcc, s8, v1
	s_nop 1
	v_cndmask_b32_e32 v1, v6, v5, vcc
; %bb.1708:
	s_andn2_saveexec_b64 s[6:7], s[6:7]
; %bb.1709:
	s_mov_b32 s8, 0x46800000
	v_add_f32_e64 v1, |v4|, s8
; %bb.1710:
	s_or_b64 exec, exec, s[6:7]
                                        ; implicit-def: $vgpr5
.LBB328_1711:
	s_andn2_saveexec_b64 s[2:3], s[2:3]
; %bb.1712:
	s_mov_b32 s6, 0x7f800000
	v_mov_b32_e32 v1, 0x7e
	v_mov_b32_e32 v6, 0x7f
	v_cmp_lt_u32_e32 vcc, s6, v5
	s_nop 1
	v_cndmask_b32_e32 v1, v1, v6, vcc
; %bb.1713:
	s_or_b64 exec, exec, s[2:3]
	v_lshrrev_b32_e32 v5, 24, v4
	s_movk_i32 s2, 0x80
	v_and_or_b32 v1, v5, s2, v1
	global_store_byte v[2:3], v1, off
.LBB328_1714:
	s_mov_b64 s[2:3], 0
.LBB328_1715:
	s_andn2_b64 vcc, exec, s[2:3]
	s_cbranch_vccnz .LBB328_1725
; %bb.1716:
	v_and_b32_e32 v5, 0x7fffffff, v4
	s_mov_b32 s2, 0x47800000
	v_cmp_gt_u32_e32 vcc, s2, v5
                                        ; implicit-def: $vgpr1
	s_and_saveexec_b64 s[2:3], vcc
	s_xor_b64 s[2:3], exec, s[2:3]
	s_cbranch_execz .LBB328_1722
; %bb.1717:
	s_mov_b32 s6, 0x387fffff
	v_cmp_lt_u32_e32 vcc, s6, v5
                                        ; implicit-def: $vgpr1
	s_and_saveexec_b64 s[6:7], vcc
	s_xor_b64 s[6:7], exec, s[6:7]
; %bb.1718:
	v_bfe_u32 v1, v4, 21, 1
	s_mov_b32 s8, 0x80fffff
	v_add3_u32 v1, v4, v1, s8
	v_lshrrev_b32_e32 v1, 21, v1
; %bb.1719:
	s_andn2_saveexec_b64 s[6:7], s[6:7]
; %bb.1720:
	s_mov_b32 s8, 0x43000000
	v_add_f32_e64 v1, |v4|, s8
; %bb.1721:
	s_or_b64 exec, exec, s[6:7]
                                        ; implicit-def: $vgpr5
.LBB328_1722:
	s_andn2_saveexec_b64 s[2:3], s[2:3]
; %bb.1723:
	s_mov_b32 s6, 0x7f800000
	v_mov_b32_e32 v1, 0x7c
	v_mov_b32_e32 v6, 0x7f
	v_cmp_lt_u32_e32 vcc, s6, v5
	s_nop 1
	v_cndmask_b32_e32 v1, v1, v6, vcc
; %bb.1724:
	s_or_b64 exec, exec, s[2:3]
	v_lshrrev_b32_e32 v5, 24, v4
	s_movk_i32 s2, 0x80
	v_and_or_b32 v1, v5, s2, v1
	global_store_byte v[2:3], v1, off
.LBB328_1725:
	s_mov_b64 s[2:3], 0
	s_mov_b64 s[6:7], -1
.LBB328_1726:
	s_andn2_b64 vcc, exec, s[2:3]
	s_mov_b64 s[2:3], 0
	s_cbranch_vccnz .LBB328_1733
; %bb.1727:
	s_cmp_gt_i32 s19, 14
	s_mov_b64 s[8:9], -1
	s_cbranch_scc0 .LBB328_1731
; %bb.1728:
	s_cmp_eq_u32 s19, 15
	s_mov_b64 s[0:1], -1
	s_cbranch_scc0 .LBB328_1730
; %bb.1729:
	v_bfe_u32 v1, v4, 16, 1
	s_movk_i32 s0, 0x7fff
	v_add3_u32 v1, v4, v1, s0
	v_cmp_o_f32_e32 vcc, v4, v4
	v_mov_b32_e32 v5, 0x7fc0
	s_mov_b64 s[0:1], 0
	v_cndmask_b32_sdwa v1, v5, v1, vcc dst_sel:DWORD dst_unused:UNUSED_PAD src0_sel:DWORD src1_sel:WORD_1
	global_store_short v[2:3], v1, off
	s_mov_b64 s[6:7], -1
.LBB328_1730:
	s_mov_b64 s[8:9], 0
.LBB328_1731:
	s_and_b64 vcc, exec, s[8:9]
	s_cbranch_vccz .LBB328_1733
; %bb.1732:
	s_cmp_lg_u32 s19, 11
	s_mov_b64 s[2:3], -1
	s_cselect_b64 s[0:1], -1, 0
.LBB328_1733:
	s_and_b64 vcc, exec, s[0:1]
	s_cbranch_vccnz .LBB328_2027
; %bb.1734:
	s_andn2_b64 vcc, exec, s[2:3]
	s_cbranch_vccnz .LBB328_1736
.LBB328_1735:
	v_cmp_neq_f32_e32 vcc, 0, v4
	s_mov_b64 s[6:7], -1
	s_nop 0
	v_cndmask_b32_e64 v1, 0, 1, vcc
	global_store_byte v[2:3], v1, off
.LBB328_1736:
	s_mov_b64 s[0:1], 0
	s_branch .LBB328_1738
.LBB328_1737:
	s_mov_b64 s[0:1], -1
	s_mov_b64 s[6:7], 0
.LBB328_1738:
	s_and_b64 vcc, exec, s[0:1]
	s_cbranch_vccz .LBB328_1777
; %bb.1739:
	s_and_b32 s2, 0xffff, s20
	s_cmp_lt_i32 s2, 5
	s_mov_b64 s[0:1], -1
	s_cbranch_scc1 .LBB328_1760
; %bb.1740:
	s_cmp_lt_i32 s2, 8
	s_cbranch_scc1 .LBB328_1750
; %bb.1741:
	s_cmp_lt_i32 s2, 9
	s_cbranch_scc1 .LBB328_1747
; %bb.1742:
	s_cmp_gt_i32 s2, 9
	s_cbranch_scc0 .LBB328_1744
; %bb.1743:
	v_mov_b32_e32 v14, 0
	v_cvt_f64_f32_e32 v[12:13], v4
	v_mov_b32_e32 v15, v14
	global_store_dwordx4 v[2:3], v[12:15], off
	s_mov_b64 s[0:1], 0
.LBB328_1744:
	s_andn2_b64 vcc, exec, s[0:1]
	s_cbranch_vccnz .LBB328_1746
; %bb.1745:
	v_mov_b32_e32 v5, 0
	global_store_dwordx2 v[2:3], v[4:5], off
.LBB328_1746:
	s_mov_b64 s[0:1], 0
.LBB328_1747:
	s_andn2_b64 vcc, exec, s[0:1]
	s_cbranch_vccnz .LBB328_1749
; %bb.1748:
	v_cvt_f16_f32_e32 v1, v4
	global_store_dword v[2:3], v1, off
.LBB328_1749:
	s_mov_b64 s[0:1], 0
.LBB328_1750:
	s_andn2_b64 vcc, exec, s[0:1]
	s_cbranch_vccnz .LBB328_1759
; %bb.1751:
	s_cmp_lt_i32 s2, 6
	s_mov_b64 s[0:1], -1
	s_cbranch_scc1 .LBB328_1757
; %bb.1752:
	s_cmp_gt_i32 s2, 6
	s_cbranch_scc0 .LBB328_1754
; %bb.1753:
	v_cvt_f64_f32_e32 v[12:13], v4
	global_store_dwordx2 v[2:3], v[12:13], off
	s_mov_b64 s[0:1], 0
.LBB328_1754:
	s_andn2_b64 vcc, exec, s[0:1]
	s_cbranch_vccnz .LBB328_1756
; %bb.1755:
	global_store_dword v[2:3], v4, off
.LBB328_1756:
	s_mov_b64 s[0:1], 0
.LBB328_1757:
	s_andn2_b64 vcc, exec, s[0:1]
	s_cbranch_vccnz .LBB328_1759
; %bb.1758:
	v_cvt_f16_f32_e32 v1, v4
	global_store_short v[2:3], v1, off
.LBB328_1759:
	s_mov_b64 s[0:1], 0
.LBB328_1760:
	s_andn2_b64 vcc, exec, s[0:1]
	s_cbranch_vccnz .LBB328_1776
; %bb.1761:
	s_cmp_lt_i32 s2, 2
	s_mov_b64 s[0:1], -1
	s_cbranch_scc1 .LBB328_1771
; %bb.1762:
	s_cmp_lt_i32 s2, 3
	s_cbranch_scc1 .LBB328_1768
; %bb.1763:
	s_cmp_gt_i32 s2, 3
	s_cbranch_scc0 .LBB328_1765
; %bb.1764:
	v_trunc_f32_e32 v1, v4
	s_mov_b32 s0, 0x2f800000
	v_mul_f32_e64 v5, |v1|, s0
	v_floor_f32_e32 v5, v5
	s_mov_b32 s0, 0xcf800000
	v_cvt_u32_f32_e32 v6, v5
	v_fma_f32 v5, v5, s0, |v1|
	v_cvt_u32_f32_e32 v5, v5
	v_ashrrev_i32_e32 v1, 31, v1
	v_xor_b32_e32 v6, v6, v1
	s_mov_b64 s[0:1], 0
	v_xor_b32_e32 v5, v5, v1
	v_sub_co_u32_e32 v12, vcc, v5, v1
	s_nop 1
	v_subb_co_u32_e32 v13, vcc, v6, v1, vcc
	global_store_dwordx2 v[2:3], v[12:13], off
.LBB328_1765:
	s_andn2_b64 vcc, exec, s[0:1]
	s_cbranch_vccnz .LBB328_1767
; %bb.1766:
	v_cvt_i32_f32_e32 v1, v4
	global_store_dword v[2:3], v1, off
.LBB328_1767:
	s_mov_b64 s[0:1], 0
.LBB328_1768:
	s_andn2_b64 vcc, exec, s[0:1]
	s_cbranch_vccnz .LBB328_1770
; %bb.1769:
	v_cvt_i32_f32_e32 v1, v4
	global_store_short v[2:3], v1, off
.LBB328_1770:
	s_mov_b64 s[0:1], 0
.LBB328_1771:
	s_andn2_b64 vcc, exec, s[0:1]
	s_cbranch_vccnz .LBB328_1776
; %bb.1772:
	s_cmp_gt_i32 s2, 0
	s_mov_b64 s[0:1], -1
	s_cbranch_scc0 .LBB328_1774
; %bb.1773:
	v_cvt_i32_f32_e32 v1, v4
	s_mov_b64 s[0:1], 0
	global_store_byte v[2:3], v1, off
.LBB328_1774:
	s_andn2_b64 vcc, exec, s[0:1]
	s_cbranch_vccnz .LBB328_1776
; %bb.1775:
	v_trunc_f32_e32 v1, v4
	s_mov_b32 s0, 0x2f800000
	v_mul_f32_e64 v4, |v1|, s0
	v_floor_f32_e32 v4, v4
	s_mov_b32 s0, 0xcf800000
	v_fma_f32 v4, v4, s0, |v1|
	v_cvt_u32_f32_e32 v4, v4
	v_ashrrev_i32_e32 v1, 31, v1
	v_xor_b32_e32 v4, v4, v1
	v_sub_u32_e32 v1, v4, v1
	global_store_byte v[2:3], v1, off
.LBB328_1776:
	s_mov_b64 s[6:7], -1
.LBB328_1777:
	s_andn2_b64 vcc, exec, s[6:7]
	s_cbranch_vccnz .LBB328_1973
; %bb.1778:
	v_max_f32_e32 v1, v7, v7
	v_max_f32_e32 v1, v1, v9
	v_min_f32_e32 v1, v1, v10
	v_cmp_u_f32_e32 vcc, v7, v7
	v_add_u32_e32 v0, s18, v0
	s_cmp_lt_i32 s20, 11
	v_cndmask_b32_e32 v4, v1, v7, vcc
	v_ashrrev_i32_e32 v1, 31, v0
	v_lshl_add_u64 v[2:3], s[4:5], 0, v[0:1]
	s_cbranch_scc1 .LBB328_1856
; %bb.1779:
	s_and_b32 s19, 0xffff, s20
	s_mov_b64 s[8:9], -1
	s_mov_b64 s[2:3], 0
	s_cmp_gt_i32 s19, 25
	s_mov_b64 s[6:7], 0
	s_mov_b64 s[0:1], 0
	s_cbranch_scc0 .LBB328_1812
; %bb.1780:
	s_cmp_gt_i32 s19, 28
	s_cbranch_scc0 .LBB328_1795
; %bb.1781:
	s_cmp_gt_i32 s19, 43
	;; [unrolled: 3-line block ×3, first 2 shown]
	s_cbranch_scc0 .LBB328_1785
; %bb.1783:
	s_mov_b64 s[0:1], -1
	s_mov_b64 s[8:9], 0
	s_cmp_eq_u32 s19, 46
	s_cbranch_scc0 .LBB328_1785
; %bb.1784:
	v_bfe_u32 v1, v4, 16, 1
	s_movk_i32 s0, 0x7fff
	v_add3_u32 v1, v4, v1, s0
	v_cmp_o_f32_e32 vcc, v4, v4
	v_mov_b32_e32 v5, 0x7fc0
	s_mov_b64 s[0:1], 0
	v_cndmask_b32_sdwa v1, v5, v1, vcc dst_sel:DWORD dst_unused:UNUSED_PAD src0_sel:DWORD src1_sel:WORD_1
	global_store_dword v[2:3], v1, off
	s_mov_b64 s[6:7], -1
.LBB328_1785:
	s_and_b64 vcc, exec, s[8:9]
	s_cbranch_vccz .LBB328_1790
; %bb.1786:
	s_cmp_eq_u32 s19, 44
	s_mov_b64 s[0:1], -1
	s_cbranch_scc0 .LBB328_1790
; %bb.1787:
	v_bfe_u32 v1, v4, 23, 8
	s_movk_i32 s0, 0xff
	v_cmp_ne_u32_e32 vcc, s0, v1
	v_mov_b32_e32 v5, 0xff
	s_and_saveexec_b64 s[6:7], vcc
; %bb.1788:
	s_mov_b32 s0, 0x3fffff
	v_and_b32_e32 v6, 0x400000, v4
	v_and_or_b32 v1, v4, s0, v1
	v_cmp_ne_u32_e32 vcc, 0, v6
	v_cmp_ne_u32_e64 s[0:1], 0, v1
	s_and_b64 s[0:1], vcc, s[0:1]
	v_lshrrev_b32_e32 v5, 23, v4
	v_cndmask_b32_e64 v1, 0, 1, s[0:1]
	v_add_u32_e32 v5, v5, v1
; %bb.1789:
	s_or_b64 exec, exec, s[6:7]
	s_mov_b64 s[0:1], 0
	s_mov_b64 s[6:7], -1
	global_store_byte v[2:3], v5, off
.LBB328_1790:
	s_mov_b64 s[8:9], 0
.LBB328_1791:
	s_and_b64 vcc, exec, s[8:9]
	s_cbranch_vccz .LBB328_1794
; %bb.1792:
	s_cmp_eq_u32 s19, 29
	s_mov_b64 s[0:1], -1
	s_cbranch_scc0 .LBB328_1794
; %bb.1793:
	v_trunc_f32_e32 v1, v4
	v_mul_f32_e32 v5, 0x2f800000, v1
	v_floor_f32_e32 v5, v5
	v_fmamk_f32 v1, v5, 0xcf800000, v1
	v_cvt_u32_f32_e32 v7, v5
	v_cvt_u32_f32_e32 v6, v1
	s_mov_b64 s[0:1], 0
	s_mov_b64 s[6:7], -1
	global_store_dwordx2 v[2:3], v[6:7], off
.LBB328_1794:
	s_mov_b64 s[8:9], 0
.LBB328_1795:
	s_and_b64 vcc, exec, s[8:9]
	s_cbranch_vccz .LBB328_1811
; %bb.1796:
	s_cmp_lt_i32 s19, 27
	s_mov_b64 s[6:7], -1
	s_cbranch_scc1 .LBB328_1802
; %bb.1797:
	v_cvt_u32_f32_e32 v1, v4
	s_cmp_gt_i32 s19, 27
	s_cbranch_scc0 .LBB328_1799
; %bb.1798:
	s_mov_b64 s[6:7], 0
	global_store_dword v[2:3], v1, off
.LBB328_1799:
	s_andn2_b64 vcc, exec, s[6:7]
	s_cbranch_vccnz .LBB328_1801
; %bb.1800:
	global_store_short v[2:3], v1, off
.LBB328_1801:
	s_mov_b64 s[6:7], 0
.LBB328_1802:
	s_andn2_b64 vcc, exec, s[6:7]
	s_cbranch_vccnz .LBB328_1810
; %bb.1803:
	v_and_b32_e32 v1, 0x7fffffff, v4
	s_mov_b32 s6, 0x43800000
	v_cmp_gt_u32_e32 vcc, s6, v1
	v_mov_b32_e32 v5, 0x80
	s_and_saveexec_b64 s[6:7], vcc
	s_cbranch_execz .LBB328_1809
; %bb.1804:
	s_mov_b32 s8, 0x3bffffff
	v_cmp_lt_u32_e32 vcc, s8, v1
	s_mov_b64 s[8:9], 0
                                        ; implicit-def: $vgpr1
	s_and_saveexec_b64 s[10:11], vcc
	s_xor_b64 s[10:11], exec, s[10:11]
	s_cbranch_execz .LBB328_2030
; %bb.1805:
	v_bfe_u32 v1, v4, 20, 1
	s_mov_b32 s21, 0x487ffff
	v_add3_u32 v1, v4, v1, s21
	s_mov_b64 s[8:9], exec
	v_lshrrev_b32_e32 v1, 20, v1
	s_andn2_saveexec_b64 s[10:11], s[10:11]
	s_cbranch_execnz .LBB328_2031
.LBB328_1806:
	s_or_b64 exec, exec, s[10:11]
	v_mov_b32_e32 v5, 0
	s_and_saveexec_b64 s[10:11], s[8:9]
.LBB328_1807:
	v_lshrrev_b32_e32 v5, 24, v4
	s_movk_i32 s8, 0x80
	v_and_or_b32 v5, v5, s8, v1
.LBB328_1808:
	s_or_b64 exec, exec, s[10:11]
.LBB328_1809:
	s_or_b64 exec, exec, s[6:7]
	global_store_byte v[2:3], v5, off
.LBB328_1810:
	s_mov_b64 s[6:7], -1
.LBB328_1811:
	s_mov_b64 s[8:9], 0
.LBB328_1812:
	s_and_b64 vcc, exec, s[8:9]
	s_cbranch_vccz .LBB328_1852
; %bb.1813:
	s_cmp_gt_i32 s19, 22
	s_mov_b64 s[2:3], -1
	s_cbranch_scc0 .LBB328_1845
; %bb.1814:
	s_cmp_lt_i32 s19, 24
	s_cbranch_scc1 .LBB328_1834
; %bb.1815:
	s_cmp_gt_i32 s19, 24
	s_cbranch_scc0 .LBB328_1823
; %bb.1816:
	v_and_b32_e32 v1, 0x7fffffff, v4
	s_mov_b32 s2, 0x47800000
	v_cmp_gt_u32_e32 vcc, s2, v1
	v_mov_b32_e32 v5, 0x80
	s_and_saveexec_b64 s[2:3], vcc
	s_cbranch_execz .LBB328_1822
; %bb.1817:
	s_mov_b32 s6, 0x37ffffff
	v_cmp_lt_u32_e32 vcc, s6, v1
	s_mov_b64 s[6:7], 0
                                        ; implicit-def: $vgpr1
	s_and_saveexec_b64 s[8:9], vcc
	s_xor_b64 s[8:9], exec, s[8:9]
	s_cbranch_execz .LBB328_2033
; %bb.1818:
	v_bfe_u32 v1, v4, 21, 1
	s_mov_b32 s10, 0x88fffff
	v_add3_u32 v1, v4, v1, s10
	s_mov_b64 s[6:7], exec
	v_lshrrev_b32_e32 v1, 21, v1
	s_andn2_saveexec_b64 s[8:9], s[8:9]
	s_cbranch_execnz .LBB328_2034
.LBB328_1819:
	s_or_b64 exec, exec, s[8:9]
	v_mov_b32_e32 v5, 0
	s_and_saveexec_b64 s[8:9], s[6:7]
.LBB328_1820:
	v_lshrrev_b32_e32 v5, 24, v4
	s_movk_i32 s6, 0x80
	v_and_or_b32 v5, v5, s6, v1
.LBB328_1821:
	s_or_b64 exec, exec, s[8:9]
.LBB328_1822:
	s_or_b64 exec, exec, s[2:3]
	s_mov_b64 s[2:3], 0
	global_store_byte v[2:3], v5, off
.LBB328_1823:
	s_and_b64 vcc, exec, s[2:3]
	s_cbranch_vccz .LBB328_1833
; %bb.1824:
	v_and_b32_e32 v5, 0x7fffffff, v4
	s_mov_b32 s2, 0x43f00000
	v_cmp_gt_u32_e32 vcc, s2, v5
                                        ; implicit-def: $vgpr1
	s_and_saveexec_b64 s[2:3], vcc
	s_xor_b64 s[2:3], exec, s[2:3]
	s_cbranch_execz .LBB328_1830
; %bb.1825:
	s_mov_b32 s6, 0x3c7fffff
	v_cmp_lt_u32_e32 vcc, s6, v5
                                        ; implicit-def: $vgpr1
	s_and_saveexec_b64 s[6:7], vcc
	s_xor_b64 s[6:7], exec, s[6:7]
; %bb.1826:
	v_bfe_u32 v1, v4, 20, 1
	s_mov_b32 s8, 0x407ffff
	v_add3_u32 v1, v4, v1, s8
	v_lshrrev_b32_e32 v5, 20, v1
	v_and_b32_e32 v1, 0xff00000, v1
	s_mov_b32 s8, 0x7f00000
	v_mov_b32_e32 v6, 0x7e
	v_cmp_ne_u32_e32 vcc, s8, v1
	s_nop 1
	v_cndmask_b32_e32 v1, v6, v5, vcc
; %bb.1827:
	s_andn2_saveexec_b64 s[6:7], s[6:7]
; %bb.1828:
	s_mov_b32 s8, 0x46800000
	v_add_f32_e64 v1, |v4|, s8
; %bb.1829:
	s_or_b64 exec, exec, s[6:7]
                                        ; implicit-def: $vgpr5
.LBB328_1830:
	s_andn2_saveexec_b64 s[2:3], s[2:3]
; %bb.1831:
	s_mov_b32 s6, 0x7f800000
	v_mov_b32_e32 v1, 0x7e
	v_mov_b32_e32 v6, 0x7f
	v_cmp_lt_u32_e32 vcc, s6, v5
	s_nop 1
	v_cndmask_b32_e32 v1, v1, v6, vcc
; %bb.1832:
	s_or_b64 exec, exec, s[2:3]
	v_lshrrev_b32_e32 v5, 24, v4
	s_movk_i32 s2, 0x80
	v_and_or_b32 v1, v5, s2, v1
	global_store_byte v[2:3], v1, off
.LBB328_1833:
	s_mov_b64 s[2:3], 0
.LBB328_1834:
	s_andn2_b64 vcc, exec, s[2:3]
	s_cbranch_vccnz .LBB328_1844
; %bb.1835:
	v_and_b32_e32 v5, 0x7fffffff, v4
	s_mov_b32 s2, 0x47800000
	v_cmp_gt_u32_e32 vcc, s2, v5
                                        ; implicit-def: $vgpr1
	s_and_saveexec_b64 s[2:3], vcc
	s_xor_b64 s[2:3], exec, s[2:3]
	s_cbranch_execz .LBB328_1841
; %bb.1836:
	s_mov_b32 s6, 0x387fffff
	v_cmp_lt_u32_e32 vcc, s6, v5
                                        ; implicit-def: $vgpr1
	s_and_saveexec_b64 s[6:7], vcc
	s_xor_b64 s[6:7], exec, s[6:7]
; %bb.1837:
	v_bfe_u32 v1, v4, 21, 1
	s_mov_b32 s8, 0x80fffff
	v_add3_u32 v1, v4, v1, s8
	v_lshrrev_b32_e32 v1, 21, v1
; %bb.1838:
	s_andn2_saveexec_b64 s[6:7], s[6:7]
; %bb.1839:
	s_mov_b32 s8, 0x43000000
	v_add_f32_e64 v1, |v4|, s8
; %bb.1840:
	s_or_b64 exec, exec, s[6:7]
                                        ; implicit-def: $vgpr5
.LBB328_1841:
	s_andn2_saveexec_b64 s[2:3], s[2:3]
; %bb.1842:
	s_mov_b32 s6, 0x7f800000
	v_mov_b32_e32 v1, 0x7c
	v_mov_b32_e32 v6, 0x7f
	v_cmp_lt_u32_e32 vcc, s6, v5
	s_nop 1
	v_cndmask_b32_e32 v1, v1, v6, vcc
; %bb.1843:
	s_or_b64 exec, exec, s[2:3]
	v_lshrrev_b32_e32 v5, 24, v4
	s_movk_i32 s2, 0x80
	v_and_or_b32 v1, v5, s2, v1
	global_store_byte v[2:3], v1, off
.LBB328_1844:
	s_mov_b64 s[2:3], 0
	s_mov_b64 s[6:7], -1
.LBB328_1845:
	s_andn2_b64 vcc, exec, s[2:3]
	s_mov_b64 s[2:3], 0
	s_cbranch_vccnz .LBB328_1852
; %bb.1846:
	s_cmp_gt_i32 s19, 14
	s_mov_b64 s[8:9], -1
	s_cbranch_scc0 .LBB328_1850
; %bb.1847:
	s_cmp_eq_u32 s19, 15
	s_mov_b64 s[0:1], -1
	s_cbranch_scc0 .LBB328_1849
; %bb.1848:
	v_bfe_u32 v1, v4, 16, 1
	s_movk_i32 s0, 0x7fff
	v_add3_u32 v1, v4, v1, s0
	v_cmp_o_f32_e32 vcc, v4, v4
	v_mov_b32_e32 v5, 0x7fc0
	s_mov_b64 s[0:1], 0
	v_cndmask_b32_sdwa v1, v5, v1, vcc dst_sel:DWORD dst_unused:UNUSED_PAD src0_sel:DWORD src1_sel:WORD_1
	global_store_short v[2:3], v1, off
	s_mov_b64 s[6:7], -1
.LBB328_1849:
	s_mov_b64 s[8:9], 0
.LBB328_1850:
	s_and_b64 vcc, exec, s[8:9]
	s_cbranch_vccz .LBB328_1852
; %bb.1851:
	s_cmp_lg_u32 s19, 11
	s_mov_b64 s[2:3], -1
	s_cselect_b64 s[0:1], -1, 0
.LBB328_1852:
	s_and_b64 vcc, exec, s[0:1]
	s_cbranch_vccnz .LBB328_2032
; %bb.1853:
	s_andn2_b64 vcc, exec, s[2:3]
	s_cbranch_vccnz .LBB328_1855
.LBB328_1854:
	v_cmp_neq_f32_e32 vcc, 0, v4
	s_mov_b64 s[6:7], -1
	s_nop 0
	v_cndmask_b32_e64 v1, 0, 1, vcc
	global_store_byte v[2:3], v1, off
.LBB328_1855:
	s_mov_b64 s[0:1], 0
	s_branch .LBB328_1857
.LBB328_1856:
	s_mov_b64 s[0:1], -1
	s_mov_b64 s[6:7], 0
.LBB328_1857:
	s_and_b64 vcc, exec, s[0:1]
	s_cbranch_vccz .LBB328_1896
; %bb.1858:
	s_and_b32 s2, 0xffff, s20
	s_cmp_lt_i32 s2, 5
	s_mov_b64 s[0:1], -1
	s_cbranch_scc1 .LBB328_1879
; %bb.1859:
	s_cmp_lt_i32 s2, 8
	s_cbranch_scc1 .LBB328_1869
; %bb.1860:
	s_cmp_lt_i32 s2, 9
	s_cbranch_scc1 .LBB328_1866
; %bb.1861:
	s_cmp_gt_i32 s2, 9
	s_cbranch_scc0 .LBB328_1863
; %bb.1862:
	v_mov_b32_e32 v14, 0
	v_cvt_f64_f32_e32 v[12:13], v4
	v_mov_b32_e32 v15, v14
	global_store_dwordx4 v[2:3], v[12:15], off
	s_mov_b64 s[0:1], 0
.LBB328_1863:
	s_andn2_b64 vcc, exec, s[0:1]
	s_cbranch_vccnz .LBB328_1865
; %bb.1864:
	v_mov_b32_e32 v5, 0
	global_store_dwordx2 v[2:3], v[4:5], off
.LBB328_1865:
	s_mov_b64 s[0:1], 0
.LBB328_1866:
	s_andn2_b64 vcc, exec, s[0:1]
	s_cbranch_vccnz .LBB328_1868
; %bb.1867:
	v_cvt_f16_f32_e32 v1, v4
	global_store_dword v[2:3], v1, off
.LBB328_1868:
	s_mov_b64 s[0:1], 0
.LBB328_1869:
	s_andn2_b64 vcc, exec, s[0:1]
	s_cbranch_vccnz .LBB328_1878
; %bb.1870:
	s_cmp_lt_i32 s2, 6
	s_mov_b64 s[0:1], -1
	s_cbranch_scc1 .LBB328_1876
; %bb.1871:
	s_cmp_gt_i32 s2, 6
	s_cbranch_scc0 .LBB328_1873
; %bb.1872:
	v_cvt_f64_f32_e32 v[6:7], v4
	global_store_dwordx2 v[2:3], v[6:7], off
	s_mov_b64 s[0:1], 0
.LBB328_1873:
	s_andn2_b64 vcc, exec, s[0:1]
	s_cbranch_vccnz .LBB328_1875
; %bb.1874:
	global_store_dword v[2:3], v4, off
.LBB328_1875:
	s_mov_b64 s[0:1], 0
.LBB328_1876:
	s_andn2_b64 vcc, exec, s[0:1]
	s_cbranch_vccnz .LBB328_1878
; %bb.1877:
	v_cvt_f16_f32_e32 v1, v4
	global_store_short v[2:3], v1, off
.LBB328_1878:
	s_mov_b64 s[0:1], 0
.LBB328_1879:
	s_andn2_b64 vcc, exec, s[0:1]
	s_cbranch_vccnz .LBB328_1895
; %bb.1880:
	s_cmp_lt_i32 s2, 2
	s_mov_b64 s[0:1], -1
	s_cbranch_scc1 .LBB328_1890
; %bb.1881:
	s_cmp_lt_i32 s2, 3
	s_cbranch_scc1 .LBB328_1887
; %bb.1882:
	s_cmp_gt_i32 s2, 3
	s_cbranch_scc0 .LBB328_1884
; %bb.1883:
	v_trunc_f32_e32 v1, v4
	s_mov_b32 s0, 0x2f800000
	v_mul_f32_e64 v5, |v1|, s0
	v_floor_f32_e32 v5, v5
	s_mov_b32 s0, 0xcf800000
	v_cvt_u32_f32_e32 v6, v5
	v_fma_f32 v5, v5, s0, |v1|
	v_cvt_u32_f32_e32 v5, v5
	v_ashrrev_i32_e32 v1, 31, v1
	v_xor_b32_e32 v7, v6, v1
	s_mov_b64 s[0:1], 0
	v_xor_b32_e32 v5, v5, v1
	v_sub_co_u32_e32 v6, vcc, v5, v1
	s_nop 1
	v_subb_co_u32_e32 v7, vcc, v7, v1, vcc
	global_store_dwordx2 v[2:3], v[6:7], off
.LBB328_1884:
	s_andn2_b64 vcc, exec, s[0:1]
	s_cbranch_vccnz .LBB328_1886
; %bb.1885:
	v_cvt_i32_f32_e32 v1, v4
	global_store_dword v[2:3], v1, off
.LBB328_1886:
	s_mov_b64 s[0:1], 0
.LBB328_1887:
	s_andn2_b64 vcc, exec, s[0:1]
	s_cbranch_vccnz .LBB328_1889
; %bb.1888:
	v_cvt_i32_f32_e32 v1, v4
	global_store_short v[2:3], v1, off
.LBB328_1889:
	s_mov_b64 s[0:1], 0
.LBB328_1890:
	s_andn2_b64 vcc, exec, s[0:1]
	s_cbranch_vccnz .LBB328_1895
; %bb.1891:
	s_cmp_gt_i32 s2, 0
	s_mov_b64 s[0:1], -1
	s_cbranch_scc0 .LBB328_1893
; %bb.1892:
	v_cvt_i32_f32_e32 v1, v4
	s_mov_b64 s[0:1], 0
	global_store_byte v[2:3], v1, off
.LBB328_1893:
	s_andn2_b64 vcc, exec, s[0:1]
	s_cbranch_vccnz .LBB328_1895
; %bb.1894:
	v_trunc_f32_e32 v1, v4
	s_mov_b32 s0, 0x2f800000
	v_mul_f32_e64 v4, |v1|, s0
	v_floor_f32_e32 v4, v4
	s_mov_b32 s0, 0xcf800000
	v_fma_f32 v4, v4, s0, |v1|
	v_cvt_u32_f32_e32 v4, v4
	v_ashrrev_i32_e32 v1, 31, v1
	v_xor_b32_e32 v4, v4, v1
	v_sub_u32_e32 v1, v4, v1
	global_store_byte v[2:3], v1, off
.LBB328_1895:
	s_mov_b64 s[6:7], -1
.LBB328_1896:
	s_andn2_b64 vcc, exec, s[6:7]
	s_cbranch_vccnz .LBB328_1973
; %bb.1897:
	v_max_f32_e32 v1, v8, v8
	v_max_f32_e32 v1, v1, v9
	v_min_f32_e32 v1, v1, v10
	v_cmp_u_f32_e32 vcc, v8, v8
	v_add_u32_e32 v0, s18, v0
	s_cmp_lt_i32 s20, 11
	v_cndmask_b32_e32 v2, v1, v8, vcc
	v_ashrrev_i32_e32 v1, 31, v0
	v_lshl_add_u64 v[0:1], s[4:5], 0, v[0:1]
	s_cbranch_scc1 .LBB328_2018
; %bb.1898:
	s_and_b32 s10, 0xffff, s20
	s_mov_b64 s[4:5], -1
	s_mov_b64 s[2:3], 0
	s_cmp_gt_i32 s10, 25
	s_mov_b64 s[0:1], 0
	s_cbranch_scc0 .LBB328_1931
; %bb.1899:
	s_cmp_gt_i32 s10, 28
	s_cbranch_scc0 .LBB328_1915
; %bb.1900:
	s_cmp_gt_i32 s10, 43
	;; [unrolled: 3-line block ×3, first 2 shown]
	s_cbranch_scc0 .LBB328_1905
; %bb.1902:
	s_cmp_eq_u32 s10, 46
	s_mov_b64 s[0:1], -1
	s_cbranch_scc0 .LBB328_1904
; %bb.1903:
	v_bfe_u32 v3, v2, 16, 1
	s_movk_i32 s0, 0x7fff
	v_add3_u32 v3, v2, v3, s0
	v_cmp_o_f32_e32 vcc, v2, v2
	v_mov_b32_e32 v4, 0x7fc0
	s_mov_b64 s[0:1], 0
	v_cndmask_b32_sdwa v3, v4, v3, vcc dst_sel:DWORD dst_unused:UNUSED_PAD src0_sel:DWORD src1_sel:WORD_1
	global_store_dword v[0:1], v3, off
.LBB328_1904:
	s_mov_b64 s[4:5], 0
.LBB328_1905:
	s_and_b64 vcc, exec, s[4:5]
	s_cbranch_vccz .LBB328_1910
; %bb.1906:
	s_cmp_eq_u32 s10, 44
	s_mov_b64 s[0:1], -1
	s_cbranch_scc0 .LBB328_1910
; %bb.1907:
	v_bfe_u32 v3, v2, 23, 8
	s_movk_i32 s0, 0xff
	v_cmp_ne_u32_e32 vcc, s0, v3
	v_mov_b32_e32 v4, 0xff
	s_and_saveexec_b64 s[4:5], vcc
; %bb.1908:
	s_mov_b32 s0, 0x3fffff
	v_and_b32_e32 v5, 0x400000, v2
	v_and_or_b32 v3, v2, s0, v3
	v_cmp_ne_u32_e32 vcc, 0, v5
	v_cmp_ne_u32_e64 s[0:1], 0, v3
	s_and_b64 s[0:1], vcc, s[0:1]
	v_lshrrev_b32_e32 v4, 23, v2
	v_cndmask_b32_e64 v3, 0, 1, s[0:1]
	v_add_u32_e32 v4, v4, v3
; %bb.1909:
	s_or_b64 exec, exec, s[4:5]
	s_mov_b64 s[0:1], 0
	global_store_byte v[0:1], v4, off
.LBB328_1910:
	s_mov_b64 s[4:5], 0
.LBB328_1911:
	s_and_b64 vcc, exec, s[4:5]
	s_cbranch_vccz .LBB328_1914
; %bb.1912:
	s_cmp_eq_u32 s10, 29
	s_mov_b64 s[0:1], -1
	s_cbranch_scc0 .LBB328_1914
; %bb.1913:
	v_trunc_f32_e32 v3, v2
	v_mul_f32_e32 v4, 0x2f800000, v3
	v_floor_f32_e32 v4, v4
	v_fmamk_f32 v3, v4, 0xcf800000, v3
	v_cvt_u32_f32_e32 v5, v4
	v_cvt_u32_f32_e32 v4, v3
	s_mov_b64 s[0:1], 0
	global_store_dwordx2 v[0:1], v[4:5], off
.LBB328_1914:
	s_mov_b64 s[4:5], 0
.LBB328_1915:
	s_and_b64 vcc, exec, s[4:5]
	s_cbranch_vccz .LBB328_1930
; %bb.1916:
	s_cmp_lt_i32 s10, 27
	s_mov_b64 s[4:5], -1
	s_cbranch_scc1 .LBB328_1922
; %bb.1917:
	v_cvt_u32_f32_e32 v3, v2
	s_cmp_gt_i32 s10, 27
	s_cbranch_scc0 .LBB328_1919
; %bb.1918:
	global_store_dword v[0:1], v3, off
	s_mov_b64 s[4:5], 0
.LBB328_1919:
	s_andn2_b64 vcc, exec, s[4:5]
	s_cbranch_vccnz .LBB328_1921
; %bb.1920:
	global_store_short v[0:1], v3, off
.LBB328_1921:
	s_mov_b64 s[4:5], 0
.LBB328_1922:
	s_andn2_b64 vcc, exec, s[4:5]
	s_cbranch_vccnz .LBB328_1930
; %bb.1923:
	v_and_b32_e32 v3, 0x7fffffff, v2
	s_mov_b32 s4, 0x43800000
	v_cmp_gt_u32_e32 vcc, s4, v3
	v_mov_b32_e32 v4, 0x80
	s_and_saveexec_b64 s[4:5], vcc
	s_cbranch_execz .LBB328_1929
; %bb.1924:
	s_mov_b32 s6, 0x3bffffff
	v_cmp_lt_u32_e32 vcc, s6, v3
	s_mov_b64 s[6:7], 0
                                        ; implicit-def: $vgpr3
	s_and_saveexec_b64 s[8:9], vcc
	s_xor_b64 s[8:9], exec, s[8:9]
	s_cbranch_execz .LBB328_2035
; %bb.1925:
	v_bfe_u32 v3, v2, 20, 1
	s_mov_b32 s11, 0x487ffff
	v_add3_u32 v3, v2, v3, s11
	s_mov_b64 s[6:7], exec
	v_lshrrev_b32_e32 v3, 20, v3
	s_andn2_saveexec_b64 s[8:9], s[8:9]
	s_cbranch_execnz .LBB328_2036
.LBB328_1926:
	s_or_b64 exec, exec, s[8:9]
	v_mov_b32_e32 v4, 0
	s_and_saveexec_b64 s[8:9], s[6:7]
.LBB328_1927:
	v_lshrrev_b32_e32 v4, 24, v2
	s_movk_i32 s6, 0x80
	v_and_or_b32 v4, v4, s6, v3
.LBB328_1928:
	s_or_b64 exec, exec, s[8:9]
.LBB328_1929:
	s_or_b64 exec, exec, s[4:5]
	global_store_byte v[0:1], v4, off
.LBB328_1930:
	s_mov_b64 s[4:5], 0
.LBB328_1931:
	s_and_b64 vcc, exec, s[4:5]
	s_cbranch_vccz .LBB328_1971
; %bb.1932:
	s_cmp_gt_i32 s10, 22
	s_mov_b64 s[2:3], -1
	s_cbranch_scc0 .LBB328_1964
; %bb.1933:
	s_cmp_lt_i32 s10, 24
	s_cbranch_scc1 .LBB328_1953
; %bb.1934:
	s_cmp_gt_i32 s10, 24
	s_cbranch_scc0 .LBB328_1942
; %bb.1935:
	v_and_b32_e32 v3, 0x7fffffff, v2
	s_mov_b32 s2, 0x47800000
	v_cmp_gt_u32_e32 vcc, s2, v3
	v_mov_b32_e32 v4, 0x80
	s_and_saveexec_b64 s[2:3], vcc
	s_cbranch_execz .LBB328_1941
; %bb.1936:
	s_mov_b32 s4, 0x37ffffff
	v_cmp_lt_u32_e32 vcc, s4, v3
	s_mov_b64 s[4:5], 0
                                        ; implicit-def: $vgpr3
	s_and_saveexec_b64 s[6:7], vcc
	s_xor_b64 s[6:7], exec, s[6:7]
	s_cbranch_execz .LBB328_2038
; %bb.1937:
	v_bfe_u32 v3, v2, 21, 1
	s_mov_b32 s8, 0x88fffff
	v_add3_u32 v3, v2, v3, s8
	s_mov_b64 s[4:5], exec
	v_lshrrev_b32_e32 v3, 21, v3
	s_andn2_saveexec_b64 s[6:7], s[6:7]
	s_cbranch_execnz .LBB328_2039
.LBB328_1938:
	s_or_b64 exec, exec, s[6:7]
	v_mov_b32_e32 v4, 0
	s_and_saveexec_b64 s[6:7], s[4:5]
.LBB328_1939:
	v_lshrrev_b32_e32 v4, 24, v2
	s_movk_i32 s4, 0x80
	v_and_or_b32 v4, v4, s4, v3
.LBB328_1940:
	s_or_b64 exec, exec, s[6:7]
.LBB328_1941:
	s_or_b64 exec, exec, s[2:3]
	s_mov_b64 s[2:3], 0
	global_store_byte v[0:1], v4, off
.LBB328_1942:
	s_and_b64 vcc, exec, s[2:3]
	s_cbranch_vccz .LBB328_1952
; %bb.1943:
	v_and_b32_e32 v4, 0x7fffffff, v2
	s_mov_b32 s2, 0x43f00000
	v_cmp_gt_u32_e32 vcc, s2, v4
                                        ; implicit-def: $vgpr3
	s_and_saveexec_b64 s[2:3], vcc
	s_xor_b64 s[2:3], exec, s[2:3]
	s_cbranch_execz .LBB328_1949
; %bb.1944:
	s_mov_b32 s4, 0x3c7fffff
	v_cmp_lt_u32_e32 vcc, s4, v4
                                        ; implicit-def: $vgpr3
	s_and_saveexec_b64 s[4:5], vcc
	s_xor_b64 s[4:5], exec, s[4:5]
; %bb.1945:
	v_bfe_u32 v3, v2, 20, 1
	s_mov_b32 s6, 0x407ffff
	v_add3_u32 v3, v2, v3, s6
	v_lshrrev_b32_e32 v4, 20, v3
	v_and_b32_e32 v3, 0xff00000, v3
	s_mov_b32 s6, 0x7f00000
	v_mov_b32_e32 v5, 0x7e
	v_cmp_ne_u32_e32 vcc, s6, v3
	s_nop 1
	v_cndmask_b32_e32 v3, v5, v4, vcc
; %bb.1946:
	s_andn2_saveexec_b64 s[4:5], s[4:5]
; %bb.1947:
	s_mov_b32 s6, 0x46800000
	v_add_f32_e64 v3, |v2|, s6
; %bb.1948:
	s_or_b64 exec, exec, s[4:5]
                                        ; implicit-def: $vgpr4
.LBB328_1949:
	s_andn2_saveexec_b64 s[2:3], s[2:3]
; %bb.1950:
	s_mov_b32 s4, 0x7f800000
	v_mov_b32_e32 v3, 0x7e
	v_mov_b32_e32 v5, 0x7f
	v_cmp_lt_u32_e32 vcc, s4, v4
	s_nop 1
	v_cndmask_b32_e32 v3, v3, v5, vcc
; %bb.1951:
	s_or_b64 exec, exec, s[2:3]
	v_lshrrev_b32_e32 v4, 24, v2
	s_movk_i32 s2, 0x80
	v_and_or_b32 v3, v4, s2, v3
	global_store_byte v[0:1], v3, off
.LBB328_1952:
	s_mov_b64 s[2:3], 0
.LBB328_1953:
	s_andn2_b64 vcc, exec, s[2:3]
	s_cbranch_vccnz .LBB328_1963
; %bb.1954:
	v_and_b32_e32 v4, 0x7fffffff, v2
	s_mov_b32 s2, 0x47800000
	v_cmp_gt_u32_e32 vcc, s2, v4
                                        ; implicit-def: $vgpr3
	s_and_saveexec_b64 s[2:3], vcc
	s_xor_b64 s[2:3], exec, s[2:3]
	s_cbranch_execz .LBB328_1960
; %bb.1955:
	s_mov_b32 s4, 0x387fffff
	v_cmp_lt_u32_e32 vcc, s4, v4
                                        ; implicit-def: $vgpr3
	s_and_saveexec_b64 s[4:5], vcc
	s_xor_b64 s[4:5], exec, s[4:5]
; %bb.1956:
	v_bfe_u32 v3, v2, 21, 1
	s_mov_b32 s6, 0x80fffff
	v_add3_u32 v3, v2, v3, s6
	v_lshrrev_b32_e32 v3, 21, v3
; %bb.1957:
	s_andn2_saveexec_b64 s[4:5], s[4:5]
; %bb.1958:
	s_mov_b32 s6, 0x43000000
	v_add_f32_e64 v3, |v2|, s6
; %bb.1959:
	s_or_b64 exec, exec, s[4:5]
                                        ; implicit-def: $vgpr4
.LBB328_1960:
	s_andn2_saveexec_b64 s[2:3], s[2:3]
; %bb.1961:
	s_mov_b32 s4, 0x7f800000
	v_mov_b32_e32 v3, 0x7c
	v_mov_b32_e32 v5, 0x7f
	v_cmp_lt_u32_e32 vcc, s4, v4
	s_nop 1
	v_cndmask_b32_e32 v3, v3, v5, vcc
; %bb.1962:
	s_or_b64 exec, exec, s[2:3]
	v_lshrrev_b32_e32 v4, 24, v2
	s_movk_i32 s2, 0x80
	v_and_or_b32 v3, v4, s2, v3
	global_store_byte v[0:1], v3, off
.LBB328_1963:
	s_mov_b64 s[2:3], 0
.LBB328_1964:
	s_andn2_b64 vcc, exec, s[2:3]
	s_mov_b64 s[2:3], 0
	s_cbranch_vccnz .LBB328_1971
; %bb.1965:
	s_cmp_gt_i32 s10, 14
	s_mov_b64 s[4:5], -1
	s_cbranch_scc0 .LBB328_1969
; %bb.1966:
	s_cmp_eq_u32 s10, 15
	s_mov_b64 s[0:1], -1
	s_cbranch_scc0 .LBB328_1968
; %bb.1967:
	v_bfe_u32 v3, v2, 16, 1
	s_movk_i32 s0, 0x7fff
	v_add3_u32 v3, v2, v3, s0
	v_cmp_o_f32_e32 vcc, v2, v2
	v_mov_b32_e32 v4, 0x7fc0
	s_mov_b64 s[0:1], 0
	v_cndmask_b32_sdwa v3, v4, v3, vcc dst_sel:DWORD dst_unused:UNUSED_PAD src0_sel:DWORD src1_sel:WORD_1
	global_store_short v[0:1], v3, off
.LBB328_1968:
	s_mov_b64 s[4:5], 0
.LBB328_1969:
	s_and_b64 vcc, exec, s[4:5]
	s_cbranch_vccz .LBB328_1971
; %bb.1970:
	s_cmp_lg_u32 s10, 11
	s_mov_b64 s[2:3], -1
	s_cselect_b64 s[0:1], -1, 0
.LBB328_1971:
	s_and_b64 vcc, exec, s[0:1]
	s_cbranch_vccnz .LBB328_2037
.LBB328_1972:
	s_mov_b64 s[0:1], 0
	s_branch .LBB328_1974
.LBB328_1973:
	s_mov_b64 s[0:1], 0
	s_mov_b64 s[2:3], 0
                                        ; implicit-def: $sgpr20
                                        ; implicit-def: $vgpr0_vgpr1
                                        ; implicit-def: $vgpr2
.LBB328_1974:
	s_andn2_b64 s[4:5], s[14:15], exec
	s_and_b64 s[6:7], s[16:17], exec
	s_and_b64 s[0:1], s[0:1], exec
	;; [unrolled: 1-line block ×3, first 2 shown]
	s_or_b64 s[14:15], s[4:5], s[6:7]
.LBB328_1975:
	s_or_b64 exec, exec, s[12:13]
	s_and_saveexec_b64 s[4:5], s[14:15]
	s_cbranch_execz .LBB328_1978
; %bb.1976:
	; divergent unreachable
	s_or_b64 exec, exec, s[4:5]
	s_and_saveexec_b64 s[4:5], s[2:3]
	s_xor_b64 s[2:3], exec, s[4:5]
	s_cbranch_execnz .LBB328_1979
.LBB328_1977:
	s_or_b64 exec, exec, s[2:3]
	s_and_saveexec_b64 s[2:3], s[0:1]
	s_cbranch_execnz .LBB328_1980
	s_branch .LBB328_2017
.LBB328_1978:
	s_or_b64 exec, exec, s[4:5]
	s_and_saveexec_b64 s[4:5], s[2:3]
	s_xor_b64 s[2:3], exec, s[4:5]
	s_cbranch_execz .LBB328_1977
.LBB328_1979:
	s_waitcnt vmcnt(0)
	v_cmp_neq_f32_e32 vcc, 0, v2
	s_nop 1
	v_cndmask_b32_e64 v3, 0, 1, vcc
	global_store_byte v[0:1], v3, off
	s_or_b64 exec, exec, s[2:3]
	s_and_saveexec_b64 s[2:3], s[0:1]
	s_cbranch_execz .LBB328_2017
.LBB328_1980:
	s_sext_i32_i16 s2, s20
	s_cmp_lt_i32 s2, 5
	s_mov_b64 s[0:1], -1
	s_cbranch_scc1 .LBB328_2001
; %bb.1981:
	s_cmp_lt_i32 s2, 8
	s_cbranch_scc1 .LBB328_1991
; %bb.1982:
	s_cmp_lt_i32 s2, 9
	s_cbranch_scc1 .LBB328_1988
; %bb.1983:
	s_cmp_gt_i32 s2, 9
	s_cbranch_scc0 .LBB328_1985
; %bb.1984:
	s_waitcnt vmcnt(0)
	v_mov_b32_e32 v6, 0
	v_cvt_f64_f32_e32 v[4:5], v2
	v_mov_b32_e32 v7, v6
	global_store_dwordx4 v[0:1], v[4:7], off
	s_mov_b64 s[0:1], 0
.LBB328_1985:
	s_andn2_b64 vcc, exec, s[0:1]
	s_cbranch_vccnz .LBB328_1987
; %bb.1986:
	s_waitcnt vmcnt(0)
	v_mov_b32_e32 v3, 0
	global_store_dwordx2 v[0:1], v[2:3], off
.LBB328_1987:
	s_mov_b64 s[0:1], 0
.LBB328_1988:
	s_andn2_b64 vcc, exec, s[0:1]
	s_cbranch_vccnz .LBB328_1990
; %bb.1989:
	s_waitcnt vmcnt(0)
	v_cvt_f16_f32_e32 v3, v2
	global_store_dword v[0:1], v3, off
.LBB328_1990:
	s_mov_b64 s[0:1], 0
.LBB328_1991:
	s_andn2_b64 vcc, exec, s[0:1]
	s_cbranch_vccnz .LBB328_2000
; %bb.1992:
	s_sext_i32_i16 s2, s20
	s_cmp_lt_i32 s2, 6
	s_mov_b64 s[0:1], -1
	s_cbranch_scc1 .LBB328_1998
; %bb.1993:
	s_cmp_gt_i32 s2, 6
	s_cbranch_scc0 .LBB328_1995
; %bb.1994:
	s_waitcnt vmcnt(0)
	v_cvt_f64_f32_e32 v[4:5], v2
	global_store_dwordx2 v[0:1], v[4:5], off
	s_mov_b64 s[0:1], 0
.LBB328_1995:
	s_andn2_b64 vcc, exec, s[0:1]
	s_cbranch_vccnz .LBB328_1997
; %bb.1996:
	s_waitcnt vmcnt(0)
	global_store_dword v[0:1], v2, off
.LBB328_1997:
	s_mov_b64 s[0:1], 0
.LBB328_1998:
	s_andn2_b64 vcc, exec, s[0:1]
	s_cbranch_vccnz .LBB328_2000
; %bb.1999:
	s_waitcnt vmcnt(0)
	v_cvt_f16_f32_e32 v3, v2
	global_store_short v[0:1], v3, off
.LBB328_2000:
	s_mov_b64 s[0:1], 0
.LBB328_2001:
	s_andn2_b64 vcc, exec, s[0:1]
	s_cbranch_vccnz .LBB328_2017
; %bb.2002:
	s_sext_i32_i16 s2, s20
	s_cmp_lt_i32 s2, 2
	s_mov_b64 s[0:1], -1
	s_cbranch_scc1 .LBB328_2012
; %bb.2003:
	s_cmp_lt_i32 s2, 3
	s_cbranch_scc1 .LBB328_2009
; %bb.2004:
	s_cmp_gt_i32 s2, 3
	s_cbranch_scc0 .LBB328_2006
; %bb.2005:
	s_waitcnt vmcnt(0)
	v_trunc_f32_e32 v3, v2
	s_mov_b32 s0, 0x2f800000
	v_mul_f32_e64 v4, |v3|, s0
	v_floor_f32_e32 v4, v4
	s_mov_b32 s0, 0xcf800000
	v_cvt_u32_f32_e32 v5, v4
	v_fma_f32 v4, v4, s0, |v3|
	v_cvt_u32_f32_e32 v4, v4
	v_ashrrev_i32_e32 v3, 31, v3
	v_xor_b32_e32 v5, v5, v3
	s_mov_b64 s[0:1], 0
	v_xor_b32_e32 v4, v4, v3
	v_sub_co_u32_e32 v4, vcc, v4, v3
	s_nop 1
	v_subb_co_u32_e32 v5, vcc, v5, v3, vcc
	global_store_dwordx2 v[0:1], v[4:5], off
.LBB328_2006:
	s_andn2_b64 vcc, exec, s[0:1]
	s_cbranch_vccnz .LBB328_2008
; %bb.2007:
	s_waitcnt vmcnt(0)
	v_cvt_i32_f32_e32 v3, v2
	global_store_dword v[0:1], v3, off
.LBB328_2008:
	s_mov_b64 s[0:1], 0
.LBB328_2009:
	s_andn2_b64 vcc, exec, s[0:1]
	s_cbranch_vccnz .LBB328_2011
; %bb.2010:
	s_waitcnt vmcnt(0)
	v_cvt_i32_f32_e32 v3, v2
	global_store_short v[0:1], v3, off
.LBB328_2011:
	s_mov_b64 s[0:1], 0
.LBB328_2012:
	s_andn2_b64 vcc, exec, s[0:1]
	s_cbranch_vccnz .LBB328_2017
; %bb.2013:
	s_sext_i32_i16 s0, s20
	s_cmp_gt_i32 s0, 0
	s_mov_b64 s[0:1], -1
	s_cbranch_scc0 .LBB328_2015
; %bb.2014:
	s_waitcnt vmcnt(0)
	v_cvt_i32_f32_e32 v3, v2
	s_mov_b64 s[0:1], 0
	global_store_byte v[0:1], v3, off
.LBB328_2015:
	s_andn2_b64 vcc, exec, s[0:1]
	s_cbranch_vccnz .LBB328_2017
; %bb.2016:
	s_waitcnt vmcnt(0)
	v_trunc_f32_e32 v2, v2
	s_mov_b32 s0, 0x2f800000
	v_mul_f32_e64 v3, |v2|, s0
	v_floor_f32_e32 v3, v3
	s_mov_b32 s0, 0xcf800000
	v_fma_f32 v3, v3, s0, |v2|
	v_cvt_u32_f32_e32 v3, v3
	v_ashrrev_i32_e32 v2, 31, v2
	v_xor_b32_e32 v3, v3, v2
	v_sub_u32_e32 v2, v3, v2
	global_store_byte v[0:1], v2, off
	s_endpgm
.LBB328_2017:
	s_endpgm
.LBB328_2018:
	s_mov_b64 s[2:3], 0
	s_mov_b64 s[0:1], -1
	s_branch .LBB328_1974
.LBB328_2019:
	s_trap 2
	s_or_b64 s[16:17], s[16:17], exec
	s_cbranch_execz .LBB328_1488
	s_branch .LBB328_1489
.LBB328_2020:
	s_andn2_saveexec_b64 s[18:19], s[18:19]
	s_cbranch_execz .LBB328_1568
.LBB328_2021:
	s_mov_b32 s21, 0x46000000
	v_add_f32_e64 v1, |v4|, s21
	v_and_b32_e32 v1, 0xff, v1
	v_cmp_ne_u32_e32 vcc, 0, v1
	s_andn2_b64 s[10:11], s[10:11], exec
	s_and_b64 s[22:23], vcc, exec
	s_or_b64 s[10:11], s[10:11], s[22:23]
	s_or_b64 exec, exec, s[18:19]
	v_mov_b32_e32 v5, 0
	s_and_saveexec_b64 s[18:19], s[10:11]
	s_cbranch_execnz .LBB328_1569
	s_branch .LBB328_1570
.LBB328_2022:
	s_trap 2
	s_or_b64 s[16:17], s[16:17], exec
	s_cbranch_execz .LBB328_1616
	s_branch .LBB328_1617
.LBB328_2023:
	s_andn2_saveexec_b64 s[10:11], s[10:11]
	s_cbranch_execz .LBB328_1581
.LBB328_2024:
	s_mov_b32 s18, 0x42800000
	v_add_f32_e64 v1, |v4|, s18
	v_and_b32_e32 v1, 0xff, v1
	v_cmp_ne_u32_e32 vcc, 0, v1
	s_andn2_b64 s[6:7], s[6:7], exec
	s_and_b64 s[18:19], vcc, exec
	s_or_b64 s[6:7], s[6:7], s[18:19]
	s_or_b64 exec, exec, s[10:11]
	v_mov_b32_e32 v5, 0
	s_and_saveexec_b64 s[10:11], s[6:7]
	s_cbranch_execnz .LBB328_1582
	s_branch .LBB328_1583
.LBB328_2025:
	s_andn2_saveexec_b64 s[10:11], s[10:11]
	s_cbranch_execz .LBB328_1687
.LBB328_2026:
	s_mov_b32 s21, 0x46000000
	v_add_f32_e64 v1, |v4|, s21
	v_and_b32_e32 v1, 0xff, v1
	v_cmp_ne_u32_e32 vcc, 0, v1
	s_andn2_b64 s[8:9], s[8:9], exec
	s_and_b64 s[22:23], vcc, exec
	s_or_b64 s[8:9], s[8:9], s[22:23]
	s_or_b64 exec, exec, s[10:11]
	v_mov_b32_e32 v5, 0
	s_and_saveexec_b64 s[10:11], s[8:9]
	s_cbranch_execnz .LBB328_1688
	s_branch .LBB328_1689
.LBB328_2027:
	s_trap 2
	s_or_b64 s[16:17], s[16:17], exec
	s_cbranch_execz .LBB328_1735
	s_branch .LBB328_1736
.LBB328_2028:
	s_andn2_saveexec_b64 s[8:9], s[8:9]
	s_cbranch_execz .LBB328_1700
.LBB328_2029:
	s_mov_b32 s10, 0x42800000
	v_add_f32_e64 v1, |v4|, s10
	v_and_b32_e32 v1, 0xff, v1
	v_cmp_ne_u32_e32 vcc, 0, v1
	s_andn2_b64 s[6:7], s[6:7], exec
	s_and_b64 s[10:11], vcc, exec
	s_or_b64 s[6:7], s[6:7], s[10:11]
	s_or_b64 exec, exec, s[8:9]
	v_mov_b32_e32 v5, 0
	s_and_saveexec_b64 s[8:9], s[6:7]
	s_cbranch_execnz .LBB328_1701
	s_branch .LBB328_1702
.LBB328_2030:
	s_andn2_saveexec_b64 s[10:11], s[10:11]
	s_cbranch_execz .LBB328_1806
.LBB328_2031:
	s_mov_b32 s21, 0x46000000
	v_add_f32_e64 v1, |v4|, s21
	v_and_b32_e32 v1, 0xff, v1
	v_cmp_ne_u32_e32 vcc, 0, v1
	s_andn2_b64 s[8:9], s[8:9], exec
	s_and_b64 s[22:23], vcc, exec
	s_or_b64 s[8:9], s[8:9], s[22:23]
	s_or_b64 exec, exec, s[10:11]
	v_mov_b32_e32 v5, 0
	s_and_saveexec_b64 s[10:11], s[8:9]
	s_cbranch_execnz .LBB328_1807
	s_branch .LBB328_1808
.LBB328_2032:
	s_trap 2
	s_or_b64 s[16:17], s[16:17], exec
	s_cbranch_execz .LBB328_1854
	s_branch .LBB328_1855
.LBB328_2033:
	s_andn2_saveexec_b64 s[8:9], s[8:9]
	s_cbranch_execz .LBB328_1819
.LBB328_2034:
	s_mov_b32 s10, 0x42800000
	v_add_f32_e64 v1, |v4|, s10
	v_and_b32_e32 v1, 0xff, v1
	v_cmp_ne_u32_e32 vcc, 0, v1
	s_andn2_b64 s[6:7], s[6:7], exec
	s_and_b64 s[10:11], vcc, exec
	s_or_b64 s[6:7], s[6:7], s[10:11]
	s_or_b64 exec, exec, s[8:9]
	v_mov_b32_e32 v5, 0
	s_and_saveexec_b64 s[8:9], s[6:7]
	s_cbranch_execnz .LBB328_1820
	s_branch .LBB328_1821
.LBB328_2035:
	s_andn2_saveexec_b64 s[8:9], s[8:9]
	s_cbranch_execz .LBB328_1926
.LBB328_2036:
	s_mov_b32 s11, 0x46000000
	v_add_f32_e64 v3, |v2|, s11
	v_and_b32_e32 v3, 0xff, v3
	v_cmp_ne_u32_e32 vcc, 0, v3
	s_andn2_b64 s[6:7], s[6:7], exec
	s_and_b64 s[18:19], vcc, exec
	s_or_b64 s[6:7], s[6:7], s[18:19]
	s_or_b64 exec, exec, s[8:9]
	v_mov_b32_e32 v4, 0
	s_and_saveexec_b64 s[8:9], s[6:7]
	s_cbranch_execnz .LBB328_1927
	s_branch .LBB328_1928
.LBB328_2037:
	s_mov_b64 s[2:3], 0
	s_or_b64 s[16:17], s[16:17], exec
	s_trap 2
	s_branch .LBB328_1972
.LBB328_2038:
	s_andn2_saveexec_b64 s[6:7], s[6:7]
	s_cbranch_execz .LBB328_1938
.LBB328_2039:
	s_mov_b32 s8, 0x42800000
	v_add_f32_e64 v3, |v2|, s8
	v_and_b32_e32 v3, 0xff, v3
	v_cmp_ne_u32_e32 vcc, 0, v3
	s_andn2_b64 s[4:5], s[4:5], exec
	s_and_b64 s[8:9], vcc, exec
	s_or_b64 s[4:5], s[4:5], s[8:9]
	s_or_b64 exec, exec, s[6:7]
	v_mov_b32_e32 v4, 0
	s_and_saveexec_b64 s[6:7], s[4:5]
	s_cbranch_execnz .LBB328_1939
	s_branch .LBB328_1940
	.section	.rodata,"a",@progbits
	.p2align	6, 0x0
	.amdhsa_kernel _ZN2at6native32elementwise_kernel_manual_unrollILi128ELi4EZNS0_15gpu_kernel_implIZZZNS0_17clamp_kernel_cudaERNS_18TensorIteratorBaseERKN3c106ScalarES8_ENKUlvE_clEvENKUlvE5_clEvEUlfE_EEvS4_RKT_EUlibE_EEviT1_
		.amdhsa_group_segment_fixed_size 0
		.amdhsa_private_segment_fixed_size 0
		.amdhsa_kernarg_size 48
		.amdhsa_user_sgpr_count 2
		.amdhsa_user_sgpr_dispatch_ptr 0
		.amdhsa_user_sgpr_queue_ptr 0
		.amdhsa_user_sgpr_kernarg_segment_ptr 1
		.amdhsa_user_sgpr_dispatch_id 0
		.amdhsa_user_sgpr_kernarg_preload_length 0
		.amdhsa_user_sgpr_kernarg_preload_offset 0
		.amdhsa_user_sgpr_private_segment_size 0
		.amdhsa_uses_dynamic_stack 0
		.amdhsa_enable_private_segment 0
		.amdhsa_system_sgpr_workgroup_id_x 1
		.amdhsa_system_sgpr_workgroup_id_y 0
		.amdhsa_system_sgpr_workgroup_id_z 0
		.amdhsa_system_sgpr_workgroup_info 0
		.amdhsa_system_vgpr_workitem_id 0
		.amdhsa_next_free_vgpr 16
		.amdhsa_next_free_sgpr 46
		.amdhsa_accum_offset 16
		.amdhsa_reserve_vcc 1
		.amdhsa_float_round_mode_32 0
		.amdhsa_float_round_mode_16_64 0
		.amdhsa_float_denorm_mode_32 3
		.amdhsa_float_denorm_mode_16_64 3
		.amdhsa_dx10_clamp 1
		.amdhsa_ieee_mode 1
		.amdhsa_fp16_overflow 0
		.amdhsa_tg_split 0
		.amdhsa_exception_fp_ieee_invalid_op 0
		.amdhsa_exception_fp_denorm_src 0
		.amdhsa_exception_fp_ieee_div_zero 0
		.amdhsa_exception_fp_ieee_overflow 0
		.amdhsa_exception_fp_ieee_underflow 0
		.amdhsa_exception_fp_ieee_inexact 0
		.amdhsa_exception_int_div_zero 0
	.end_amdhsa_kernel
	.section	.text._ZN2at6native32elementwise_kernel_manual_unrollILi128ELi4EZNS0_15gpu_kernel_implIZZZNS0_17clamp_kernel_cudaERNS_18TensorIteratorBaseERKN3c106ScalarES8_ENKUlvE_clEvENKUlvE5_clEvEUlfE_EEvS4_RKT_EUlibE_EEviT1_,"axG",@progbits,_ZN2at6native32elementwise_kernel_manual_unrollILi128ELi4EZNS0_15gpu_kernel_implIZZZNS0_17clamp_kernel_cudaERNS_18TensorIteratorBaseERKN3c106ScalarES8_ENKUlvE_clEvENKUlvE5_clEvEUlfE_EEvS4_RKT_EUlibE_EEviT1_,comdat
.Lfunc_end328:
	.size	_ZN2at6native32elementwise_kernel_manual_unrollILi128ELi4EZNS0_15gpu_kernel_implIZZZNS0_17clamp_kernel_cudaERNS_18TensorIteratorBaseERKN3c106ScalarES8_ENKUlvE_clEvENKUlvE5_clEvEUlfE_EEvS4_RKT_EUlibE_EEviT1_, .Lfunc_end328-_ZN2at6native32elementwise_kernel_manual_unrollILi128ELi4EZNS0_15gpu_kernel_implIZZZNS0_17clamp_kernel_cudaERNS_18TensorIteratorBaseERKN3c106ScalarES8_ENKUlvE_clEvENKUlvE5_clEvEUlfE_EEvS4_RKT_EUlibE_EEviT1_
                                        ; -- End function
	.set _ZN2at6native32elementwise_kernel_manual_unrollILi128ELi4EZNS0_15gpu_kernel_implIZZZNS0_17clamp_kernel_cudaERNS_18TensorIteratorBaseERKN3c106ScalarES8_ENKUlvE_clEvENKUlvE5_clEvEUlfE_EEvS4_RKT_EUlibE_EEviT1_.num_vgpr, 16
	.set _ZN2at6native32elementwise_kernel_manual_unrollILi128ELi4EZNS0_15gpu_kernel_implIZZZNS0_17clamp_kernel_cudaERNS_18TensorIteratorBaseERKN3c106ScalarES8_ENKUlvE_clEvENKUlvE5_clEvEUlfE_EEvS4_RKT_EUlibE_EEviT1_.num_agpr, 0
	.set _ZN2at6native32elementwise_kernel_manual_unrollILi128ELi4EZNS0_15gpu_kernel_implIZZZNS0_17clamp_kernel_cudaERNS_18TensorIteratorBaseERKN3c106ScalarES8_ENKUlvE_clEvENKUlvE5_clEvEUlfE_EEvS4_RKT_EUlibE_EEviT1_.numbered_sgpr, 46
	.set _ZN2at6native32elementwise_kernel_manual_unrollILi128ELi4EZNS0_15gpu_kernel_implIZZZNS0_17clamp_kernel_cudaERNS_18TensorIteratorBaseERKN3c106ScalarES8_ENKUlvE_clEvENKUlvE5_clEvEUlfE_EEvS4_RKT_EUlibE_EEviT1_.num_named_barrier, 0
	.set _ZN2at6native32elementwise_kernel_manual_unrollILi128ELi4EZNS0_15gpu_kernel_implIZZZNS0_17clamp_kernel_cudaERNS_18TensorIteratorBaseERKN3c106ScalarES8_ENKUlvE_clEvENKUlvE5_clEvEUlfE_EEvS4_RKT_EUlibE_EEviT1_.private_seg_size, 0
	.set _ZN2at6native32elementwise_kernel_manual_unrollILi128ELi4EZNS0_15gpu_kernel_implIZZZNS0_17clamp_kernel_cudaERNS_18TensorIteratorBaseERKN3c106ScalarES8_ENKUlvE_clEvENKUlvE5_clEvEUlfE_EEvS4_RKT_EUlibE_EEviT1_.uses_vcc, 1
	.set _ZN2at6native32elementwise_kernel_manual_unrollILi128ELi4EZNS0_15gpu_kernel_implIZZZNS0_17clamp_kernel_cudaERNS_18TensorIteratorBaseERKN3c106ScalarES8_ENKUlvE_clEvENKUlvE5_clEvEUlfE_EEvS4_RKT_EUlibE_EEviT1_.uses_flat_scratch, 0
	.set _ZN2at6native32elementwise_kernel_manual_unrollILi128ELi4EZNS0_15gpu_kernel_implIZZZNS0_17clamp_kernel_cudaERNS_18TensorIteratorBaseERKN3c106ScalarES8_ENKUlvE_clEvENKUlvE5_clEvEUlfE_EEvS4_RKT_EUlibE_EEviT1_.has_dyn_sized_stack, 0
	.set _ZN2at6native32elementwise_kernel_manual_unrollILi128ELi4EZNS0_15gpu_kernel_implIZZZNS0_17clamp_kernel_cudaERNS_18TensorIteratorBaseERKN3c106ScalarES8_ENKUlvE_clEvENKUlvE5_clEvEUlfE_EEvS4_RKT_EUlibE_EEviT1_.has_recursion, 0
	.set _ZN2at6native32elementwise_kernel_manual_unrollILi128ELi4EZNS0_15gpu_kernel_implIZZZNS0_17clamp_kernel_cudaERNS_18TensorIteratorBaseERKN3c106ScalarES8_ENKUlvE_clEvENKUlvE5_clEvEUlfE_EEvS4_RKT_EUlibE_EEviT1_.has_indirect_call, 0
	.section	.AMDGPU.csdata,"",@progbits
; Kernel info:
; codeLenInByte = 32668
; TotalNumSgprs: 52
; NumVgprs: 16
; NumAgprs: 0
; TotalNumVgprs: 16
; ScratchSize: 0
; MemoryBound: 1
; FloatMode: 240
; IeeeMode: 1
; LDSByteSize: 0 bytes/workgroup (compile time only)
; SGPRBlocks: 6
; VGPRBlocks: 1
; NumSGPRsForWavesPerEU: 52
; NumVGPRsForWavesPerEU: 16
; AccumOffset: 16
; Occupancy: 8
; WaveLimiterHint : 0
; COMPUTE_PGM_RSRC2:SCRATCH_EN: 0
; COMPUTE_PGM_RSRC2:USER_SGPR: 2
; COMPUTE_PGM_RSRC2:TRAP_HANDLER: 0
; COMPUTE_PGM_RSRC2:TGID_X_EN: 1
; COMPUTE_PGM_RSRC2:TGID_Y_EN: 0
; COMPUTE_PGM_RSRC2:TGID_Z_EN: 0
; COMPUTE_PGM_RSRC2:TIDIG_COMP_CNT: 0
; COMPUTE_PGM_RSRC3_GFX90A:ACCUM_OFFSET: 3
; COMPUTE_PGM_RSRC3_GFX90A:TG_SPLIT: 0
	.section	.text._ZN2at6native32elementwise_kernel_manual_unrollILi128ELi4EZNS0_15gpu_kernel_implIZZZNS0_17clamp_kernel_cudaERNS_18TensorIteratorBaseERKN3c106ScalarES8_ENKUlvE_clEvENKUlvE5_clEvEUlfE_EEvS4_RKT_EUlibE0_EEviT1_,"axG",@progbits,_ZN2at6native32elementwise_kernel_manual_unrollILi128ELi4EZNS0_15gpu_kernel_implIZZZNS0_17clamp_kernel_cudaERNS_18TensorIteratorBaseERKN3c106ScalarES8_ENKUlvE_clEvENKUlvE5_clEvEUlfE_EEvS4_RKT_EUlibE0_EEviT1_,comdat
	.globl	_ZN2at6native32elementwise_kernel_manual_unrollILi128ELi4EZNS0_15gpu_kernel_implIZZZNS0_17clamp_kernel_cudaERNS_18TensorIteratorBaseERKN3c106ScalarES8_ENKUlvE_clEvENKUlvE5_clEvEUlfE_EEvS4_RKT_EUlibE0_EEviT1_ ; -- Begin function _ZN2at6native32elementwise_kernel_manual_unrollILi128ELi4EZNS0_15gpu_kernel_implIZZZNS0_17clamp_kernel_cudaERNS_18TensorIteratorBaseERKN3c106ScalarES8_ENKUlvE_clEvENKUlvE5_clEvEUlfE_EEvS4_RKT_EUlibE0_EEviT1_
	.p2align	8
	.type	_ZN2at6native32elementwise_kernel_manual_unrollILi128ELi4EZNS0_15gpu_kernel_implIZZZNS0_17clamp_kernel_cudaERNS_18TensorIteratorBaseERKN3c106ScalarES8_ENKUlvE_clEvENKUlvE5_clEvEUlfE_EEvS4_RKT_EUlibE0_EEviT1_,@function
_ZN2at6native32elementwise_kernel_manual_unrollILi128ELi4EZNS0_15gpu_kernel_implIZZZNS0_17clamp_kernel_cudaERNS_18TensorIteratorBaseERKN3c106ScalarES8_ENKUlvE_clEvENKUlvE5_clEvEUlfE_EEvS4_RKT_EUlibE0_EEviT1_: ; @_ZN2at6native32elementwise_kernel_manual_unrollILi128ELi4EZNS0_15gpu_kernel_implIZZZNS0_17clamp_kernel_cudaERNS_18TensorIteratorBaseERKN3c106ScalarES8_ENKUlvE_clEvENKUlvE5_clEvEUlfE_EEvS4_RKT_EUlibE0_EEviT1_
; %bb.0:
	s_load_dword s72, s[0:1], 0x0
	s_load_dword s33, s[0:1], 0x8
	s_add_u32 s34, s0, 8
	s_addc_u32 s35, s1, 0
	v_lshl_or_b32 v8, s2, 9, v0
	v_or_b32_e32 v16, 0x180, v8
	s_waitcnt lgkmcnt(0)
	s_add_i32 s74, s33, -1
	s_cmp_gt_u32 s74, 1
	v_cmp_le_i32_e32 vcc, s72, v16
	s_cselect_b64 s[42:43], -1, 0
	s_mov_b64 s[40:41], 0
	s_mov_b64 s[24:25], 0
	s_and_saveexec_b64 s[2:3], vcc
	s_xor_b64 s[44:45], exec, s[2:3]
	s_cbranch_execz .LBB329_1090
; %bb.1:
	s_load_dwordx4 s[24:27], s[34:35], 0x4
	s_load_dwordx2 s[48:49], s[34:35], 0x14
	s_load_dwordx2 s[46:47], s[34:35], 0x158
	s_load_dword s75, s[34:35], 0x160
	s_cmp_lg_u32 s33, 0
	s_load_dwordx4 s[28:31], s[34:35], 0xc4
	s_load_dwordx4 s[20:23], s[34:35], 0x148
	s_cselect_b64 s[54:55], -1, 0
	s_add_u32 s52, s34, 0xc4
	s_addc_u32 s53, s35, 0
	s_min_u32 s77, s74, 15
	s_cmp_gt_u32 s33, 1
	s_cselect_b64 s[50:51], -1, 0
	s_waitcnt lgkmcnt(0)
	s_bfe_u32 s76, s75, 0x80008
	v_cmp_gt_i32_e32 vcc, s72, v8
	s_mov_b64 s[4:5], -1
	s_mov_b64 s[64:65], 0
	s_mov_b64 s[58:59], 0
	;; [unrolled: 1-line block ×3, first 2 shown]
	s_and_saveexec_b64 s[60:61], vcc
	s_cbranch_execz .LBB329_267
; %bb.2:
	s_andn2_b64 vcc, exec, s[42:43]
	s_cbranch_vccnz .LBB329_8
; %bb.3:
	s_andn2_b64 vcc, exec, s[54:55]
	s_cbranch_vccnz .LBB329_9
; %bb.4:
	s_add_i32 s59, s77, 1
	s_cmp_eq_u32 s74, 2
	s_cbranch_scc1 .LBB329_10
; %bb.5:
	s_and_b32 s58, s59, 28
	s_mov_b32 s62, 0
	v_mov_b32_e32 v0, 0
	v_mov_b32_e32 v2, 0
	s_mov_b64 s[2:3], s[34:35]
	s_mov_b64 s[56:57], s[52:53]
	v_mov_b32_e32 v4, v8
.LBB329_6:                              ; =>This Inner Loop Header: Depth=1
	s_load_dwordx8 s[12:19], s[2:3], 0x4
	s_load_dwordx4 s[36:39], s[2:3], 0x24
	s_load_dwordx8 s[4:11], s[56:57], 0x0
	s_add_u32 s2, s2, 48
	s_addc_u32 s3, s3, 0
	s_waitcnt lgkmcnt(0)
	v_mul_hi_u32 v1, s13, v4
	v_add_u32_e32 v1, v4, v1
	v_lshrrev_b32_e32 v1, s14, v1
	v_mul_lo_u32 v3, v1, s12
	v_mul_hi_u32 v5, s16, v1
	v_sub_u32_e32 v3, v4, v3
	v_add_u32_e32 v4, v1, v5
	v_lshrrev_b32_e32 v4, s17, v4
	v_mul_lo_u32 v6, v4, s15
	v_mul_hi_u32 v7, s19, v4
	v_sub_u32_e32 v1, v1, v6
	v_add_u32_e32 v6, v4, v7
	v_mul_lo_u32 v5, v3, s5
	v_mul_lo_u32 v3, v3, s4
	;; [unrolled: 1-line block ×4, first 2 shown]
	v_lshrrev_b32_e32 v6, s36, v6
	v_add3_u32 v0, v3, v0, v1
	v_mul_hi_u32 v3, s38, v6
	v_add3_u32 v1, v5, v2, v7
	v_mul_lo_u32 v2, v6, s18
	v_add_u32_e32 v3, v6, v3
	v_sub_u32_e32 v2, v4, v2
	v_lshrrev_b32_e32 v4, s39, v3
	s_add_i32 s62, s62, 4
	v_mul_lo_u32 v3, v4, s37
	s_add_u32 s56, s56, 32
	v_sub_u32_e32 v3, v6, v3
	s_addc_u32 s57, s57, 0
	v_mul_lo_u32 v5, v2, s8
	v_mul_lo_u32 v2, v2, s9
	;; [unrolled: 1-line block ×4, first 2 shown]
	s_cmp_lg_u32 s58, s62
	v_add3_u32 v2, v2, v1, v3
	v_add3_u32 v0, v5, v0, v6
	s_cbranch_scc1 .LBB329_6
; %bb.7:
	v_mov_b32_e32 v1, v2
	s_branch .LBB329_11
.LBB329_8:
                                        ; implicit-def: $vgpr2
                                        ; implicit-def: $vgpr0
	s_branch .LBB329_15
.LBB329_9:
	v_mov_b32_e32 v2, 0
	v_mov_b32_e32 v0, 0
	s_branch .LBB329_14
.LBB329_10:
	v_mov_b32_e32 v0, 0
	s_mov_b32 s58, 0
	v_mov_b32_e32 v1, v0
                                        ; implicit-def: $vgpr2
	v_mov_b32_e32 v4, v8
.LBB329_11:
	s_and_b32 s6, s59, 3
	s_cmp_eq_u32 s6, 0
	s_cbranch_scc1 .LBB329_14
; %bb.12:
	s_lshl_b32 s2, s58, 3
	s_add_u32 s2, s34, s2
	s_addc_u32 s3, s35, 0
	s_add_u32 s2, s2, 0xc4
	s_addc_u32 s3, s3, 0
	s_mul_i32 s4, s58, 12
	s_add_u32 s4, s34, s4
	s_addc_u32 s5, s35, 0
.LBB329_13:                             ; =>This Inner Loop Header: Depth=1
	s_load_dwordx2 s[8:9], s[4:5], 0x4
	s_load_dword s7, s[4:5], 0xc
	s_load_dwordx2 s[10:11], s[2:3], 0x0
	v_mov_b32_e32 v2, v1
	s_add_u32 s4, s4, 12
	s_waitcnt lgkmcnt(0)
	v_mul_hi_u32 v1, s9, v4
	v_add_u32_e32 v1, v4, v1
	v_lshrrev_b32_e32 v1, s7, v1
	s_addc_u32 s5, s5, 0
	v_mul_lo_u32 v3, v1, s8
	s_add_u32 s2, s2, 8
	v_sub_u32_e32 v5, v4, v3
	s_addc_u32 s3, s3, 0
	s_add_i32 s6, s6, -1
	v_mov_b32_e32 v4, v1
	v_mad_u64_u32 v[2:3], s[8:9], v5, s11, v[2:3]
	v_mad_u64_u32 v[0:1], s[8:9], v5, s10, v[0:1]
	s_cmp_lg_u32 s6, 0
	v_mov_b32_e32 v1, v2
	s_cbranch_scc1 .LBB329_13
.LBB329_14:
	s_cbranch_execnz .LBB329_17
.LBB329_15:
	v_mul_hi_u32 v0, s25, v8
	v_add_u32_e32 v0, v8, v0
	v_lshrrev_b32_e32 v1, s26, v0
	v_mul_lo_u32 v0, v1, s24
	v_sub_u32_e32 v0, v8, v0
	v_mul_lo_u32 v2, v0, s29
	s_andn2_b64 vcc, exec, s[50:51]
	v_mul_lo_u32 v0, v0, s28
	s_cbranch_vccnz .LBB329_17
; %bb.16:
	v_mul_hi_u32 v3, s48, v1
	v_add_u32_e32 v3, v1, v3
	v_lshrrev_b32_e32 v3, s49, v3
	v_mul_lo_u32 v3, v3, s27
	v_sub_u32_e32 v3, v1, v3
	v_mad_u64_u32 v[0:1], s[2:3], v3, s30, v[0:1]
	v_mad_u64_u32 v[2:3], s[2:3], v3, s31, v[2:3]
.LBB329_17:
	v_mov_b32_e32 v3, 0
	s_and_b32 s10, 0xffff, s76
	s_cmp_lt_i32 s10, 11
	v_lshl_add_u64 v[2:3], s[22:23], 0, v[2:3]
	s_cbranch_scc1 .LBB329_24
; %bb.18:
	s_cmp_gt_i32 s10, 25
	s_cbranch_scc0 .LBB329_33
; %bb.19:
	s_cmp_gt_i32 s10, 28
	s_cbranch_scc0 .LBB329_36
	;; [unrolled: 3-line block ×4, first 2 shown]
; %bb.22:
	s_cmp_eq_u32 s10, 46
	s_mov_b64 s[6:7], 0
	s_cbranch_scc0 .LBB329_42
; %bb.23:
	global_load_dword v1, v[2:3], off
	s_mov_b64 s[2:3], -1
	s_mov_b64 s[4:5], 0
	s_waitcnt vmcnt(0)
	v_lshlrev_b32_e32 v1, 16, v1
	s_branch .LBB329_44
.LBB329_24:
	s_mov_b64 s[4:5], 0
                                        ; implicit-def: $vgpr1
	s_mov_b64 s[2:3], 0
	s_cbranch_execnz .LBB329_217
.LBB329_25:
	s_andn2_b64 vcc, exec, s[2:3]
	s_cbranch_vccnz .LBB329_264
.LBB329_26:
	v_max_f32_e64 v2, s46, s46
	s_waitcnt vmcnt(0)
	v_max_f32_e32 v3, v1, v1
	v_max_f32_e32 v2, v3, v2
	v_max_f32_e64 v3, s47, s47
	v_min_f32_e32 v2, v2, v3
	v_cmp_u_f32_e32 vcc, v1, v1
	s_and_b32 s12, s75, 0xff
	s_cmp_lt_i32 s12, 11
	v_cndmask_b32_e32 v2, v2, v1, vcc
	v_mov_b32_e32 v1, 0
	v_lshl_add_u64 v[0:1], s[20:21], 0, v[0:1]
	s_cbranch_scc1 .LBB329_34
; %bb.27:
	s_and_b32 s13, 0xffff, s12
	s_cmp_gt_i32 s13, 25
	s_cbranch_scc0 .LBB329_37
; %bb.28:
	s_cmp_gt_i32 s13, 28
	s_cbranch_scc0 .LBB329_39
; %bb.29:
	s_cmp_gt_i32 s13, 43
	s_cbranch_scc0 .LBB329_41
; %bb.30:
	s_cmp_gt_i32 s13, 45
	s_cbranch_scc0 .LBB329_47
; %bb.31:
	s_mov_b64 s[8:9], 0
	s_mov_b64 s[2:3], -1
	s_cmp_eq_u32 s13, 46
	s_mov_b64 s[6:7], 0
	s_cbranch_scc0 .LBB329_48
; %bb.32:
	v_bfe_u32 v3, v2, 16, 1
	s_movk_i32 s2, 0x7fff
	v_add3_u32 v3, v2, v3, s2
	v_cmp_o_f32_e32 vcc, v2, v2
	v_mov_b32_e32 v4, 0x7fc0
	s_mov_b64 s[6:7], -1
	v_cndmask_b32_sdwa v3, v4, v3, vcc dst_sel:DWORD dst_unused:UNUSED_PAD src0_sel:DWORD src1_sel:WORD_1
	global_store_dword v[0:1], v3, off
	s_mov_b64 s[2:3], 0
	s_branch .LBB329_48
.LBB329_33:
	s_mov_b64 s[4:5], 0
	s_mov_b64 s[2:3], 0
                                        ; implicit-def: $vgpr1
	s_cbranch_execnz .LBB329_182
	s_branch .LBB329_216
.LBB329_34:
	s_mov_b64 s[2:3], 0
	s_mov_b64 s[6:7], 0
	s_cbranch_execnz .LBB329_117
.LBB329_35:
	s_andn2_b64 vcc, exec, s[6:7]
	s_cbranch_vccnz .LBB329_265
	s_branch .LBB329_155
.LBB329_36:
	s_mov_b64 s[6:7], -1
	s_mov_b64 s[4:5], 0
	s_mov_b64 s[2:3], 0
                                        ; implicit-def: $vgpr1
	s_branch .LBB329_163
.LBB329_37:
	s_mov_b64 s[8:9], -1
	s_mov_b64 s[2:3], 0
	s_mov_b64 s[6:7], 0
	s_branch .LBB329_75
.LBB329_38:
	s_mov_b64 s[6:7], -1
	s_mov_b64 s[4:5], 0
	s_mov_b64 s[2:3], 0
                                        ; implicit-def: $vgpr1
	s_branch .LBB329_158
.LBB329_39:
	s_mov_b64 s[8:9], -1
	s_mov_b64 s[2:3], 0
	s_mov_b64 s[6:7], 0
	s_branch .LBB329_58
.LBB329_40:
	s_mov_b64 s[6:7], -1
	s_mov_b64 s[4:5], 0
	s_branch .LBB329_43
.LBB329_41:
	s_mov_b64 s[8:9], -1
	s_mov_b64 s[2:3], 0
	s_mov_b64 s[6:7], 0
	s_branch .LBB329_54
.LBB329_42:
	s_mov_b64 s[4:5], -1
.LBB329_43:
	s_mov_b64 s[2:3], 0
                                        ; implicit-def: $vgpr1
.LBB329_44:
	s_and_b64 vcc, exec, s[6:7]
	s_cbranch_vccz .LBB329_157
; %bb.45:
	s_cmp_eq_u32 s10, 44
	s_cbranch_scc0 .LBB329_156
; %bb.46:
	global_load_ubyte v1, v[2:3], off
	s_movk_i32 s4, 0xff
	v_mov_b32_e32 v4, 0x7f800001
	v_mov_b32_e32 v5, 0x400000
	s_mov_b64 s[2:3], -1
	s_waitcnt vmcnt(0)
	v_lshlrev_b32_e32 v6, 23, v1
	v_cmp_ne_u32_e32 vcc, s4, v1
	s_mov_b64 s[4:5], 0
	s_nop 0
	v_cndmask_b32_e32 v4, v4, v6, vcc
	v_cmp_ne_u32_e32 vcc, 0, v1
	s_nop 1
	v_cndmask_b32_e32 v1, v5, v4, vcc
	s_branch .LBB329_157
.LBB329_47:
	s_mov_b64 s[8:9], -1
	s_mov_b64 s[2:3], 0
	s_mov_b64 s[6:7], 0
.LBB329_48:
	s_and_b64 vcc, exec, s[8:9]
	s_cbranch_vccz .LBB329_53
; %bb.49:
	s_cmp_eq_u32 s13, 44
	s_mov_b64 s[2:3], -1
	s_cbranch_scc0 .LBB329_53
; %bb.50:
	v_bfe_u32 v3, v2, 23, 8
	s_movk_i32 s2, 0xff
	v_cmp_ne_u32_e32 vcc, s2, v3
	v_mov_b32_e32 v4, 0xff
	s_and_saveexec_b64 s[6:7], vcc
; %bb.51:
	s_mov_b32 s2, 0x3fffff
	v_and_b32_e32 v5, 0x400000, v2
	v_and_or_b32 v3, v2, s2, v3
	v_cmp_ne_u32_e32 vcc, 0, v5
	v_cmp_ne_u32_e64 s[2:3], 0, v3
	s_and_b64 s[2:3], vcc, s[2:3]
	v_lshrrev_b32_e32 v4, 23, v2
	v_cndmask_b32_e64 v3, 0, 1, s[2:3]
	v_add_u32_e32 v4, v4, v3
; %bb.52:
	s_or_b64 exec, exec, s[6:7]
	s_mov_b64 s[6:7], -1
	s_mov_b64 s[2:3], 0
	global_store_byte v[0:1], v4, off
.LBB329_53:
	s_mov_b64 s[8:9], 0
.LBB329_54:
	s_and_b64 vcc, exec, s[8:9]
	s_cbranch_vccz .LBB329_57
; %bb.55:
	s_cmp_eq_u32 s13, 29
	s_mov_b64 s[2:3], -1
	s_cbranch_scc0 .LBB329_57
; %bb.56:
	v_trunc_f32_e32 v3, v2
	v_mul_f32_e32 v4, 0x2f800000, v3
	v_floor_f32_e32 v4, v4
	v_fmamk_f32 v3, v4, 0xcf800000, v3
	v_cvt_u32_f32_e32 v5, v4
	v_cvt_u32_f32_e32 v4, v3
	s_mov_b64 s[6:7], -1
	s_mov_b64 s[2:3], 0
	s_mov_b64 s[8:9], 0
	global_store_dwordx2 v[0:1], v[4:5], off
	s_branch .LBB329_58
.LBB329_57:
	s_mov_b64 s[8:9], 0
.LBB329_58:
	s_and_b64 vcc, exec, s[8:9]
	s_cbranch_vccz .LBB329_74
; %bb.59:
	s_cmp_lt_i32 s13, 27
	s_mov_b64 s[6:7], -1
	s_cbranch_scc1 .LBB329_65
; %bb.60:
	v_cvt_u32_f32_e32 v3, v2
	s_cmp_gt_i32 s13, 27
	s_cbranch_scc0 .LBB329_62
; %bb.61:
	s_mov_b64 s[6:7], 0
	global_store_dword v[0:1], v3, off
.LBB329_62:
	s_andn2_b64 vcc, exec, s[6:7]
	s_cbranch_vccnz .LBB329_64
; %bb.63:
	global_store_short v[0:1], v3, off
.LBB329_64:
	s_mov_b64 s[6:7], 0
.LBB329_65:
	s_andn2_b64 vcc, exec, s[6:7]
	s_cbranch_vccnz .LBB329_73
; %bb.66:
	v_and_b32_e32 v3, 0x7fffffff, v2
	s_mov_b32 s6, 0x43800000
	v_cmp_gt_u32_e32 vcc, s6, v3
	v_mov_b32_e32 v4, 0x80
	s_and_saveexec_b64 s[6:7], vcc
	s_cbranch_execz .LBB329_72
; %bb.67:
	s_mov_b32 s8, 0x3bffffff
	v_cmp_lt_u32_e32 vcc, s8, v3
	s_mov_b64 s[8:9], 0
                                        ; implicit-def: $vgpr3
	s_and_saveexec_b64 s[10:11], vcc
	s_xor_b64 s[10:11], exec, s[10:11]
	s_cbranch_execz .LBB329_309
; %bb.68:
	v_bfe_u32 v3, v2, 20, 1
	s_mov_b32 s14, 0x487ffff
	v_add3_u32 v3, v2, v3, s14
	s_mov_b64 s[8:9], exec
	v_lshrrev_b32_e32 v3, 20, v3
	s_andn2_saveexec_b64 s[10:11], s[10:11]
	s_cbranch_execnz .LBB329_310
.LBB329_69:
	s_or_b64 exec, exec, s[10:11]
	v_mov_b32_e32 v4, 0
	s_and_saveexec_b64 s[10:11], s[8:9]
.LBB329_70:
	v_lshrrev_b32_e32 v4, 24, v2
	s_movk_i32 s8, 0x80
	v_and_or_b32 v4, v4, s8, v3
.LBB329_71:
	s_or_b64 exec, exec, s[10:11]
.LBB329_72:
	s_or_b64 exec, exec, s[6:7]
	global_store_byte v[0:1], v4, off
.LBB329_73:
	s_mov_b64 s[6:7], -1
.LBB329_74:
	s_mov_b64 s[8:9], 0
.LBB329_75:
	s_and_b64 vcc, exec, s[8:9]
	s_cbranch_vccz .LBB329_116
; %bb.76:
	s_cmp_gt_i32 s13, 22
	s_mov_b64 s[8:9], -1
	s_cbranch_scc0 .LBB329_108
; %bb.77:
	s_cmp_lt_i32 s13, 24
	s_mov_b64 s[6:7], -1
	s_cbranch_scc1 .LBB329_97
; %bb.78:
	s_cmp_gt_i32 s13, 24
	s_cbranch_scc0 .LBB329_86
; %bb.79:
	v_and_b32_e32 v3, 0x7fffffff, v2
	s_mov_b32 s6, 0x47800000
	v_cmp_gt_u32_e32 vcc, s6, v3
	v_mov_b32_e32 v4, 0x80
	s_and_saveexec_b64 s[6:7], vcc
	s_cbranch_execz .LBB329_85
; %bb.80:
	s_mov_b32 s8, 0x37ffffff
	v_cmp_lt_u32_e32 vcc, s8, v3
	s_mov_b64 s[8:9], 0
                                        ; implicit-def: $vgpr3
	s_and_saveexec_b64 s[10:11], vcc
	s_xor_b64 s[10:11], exec, s[10:11]
	s_cbranch_execz .LBB329_313
; %bb.81:
	v_bfe_u32 v3, v2, 21, 1
	s_mov_b32 s14, 0x88fffff
	v_add3_u32 v3, v2, v3, s14
	s_mov_b64 s[8:9], exec
	v_lshrrev_b32_e32 v3, 21, v3
	s_andn2_saveexec_b64 s[10:11], s[10:11]
	s_cbranch_execnz .LBB329_314
.LBB329_82:
	s_or_b64 exec, exec, s[10:11]
	v_mov_b32_e32 v4, 0
	s_and_saveexec_b64 s[10:11], s[8:9]
.LBB329_83:
	v_lshrrev_b32_e32 v4, 24, v2
	s_movk_i32 s8, 0x80
	v_and_or_b32 v4, v4, s8, v3
.LBB329_84:
	s_or_b64 exec, exec, s[10:11]
.LBB329_85:
	s_or_b64 exec, exec, s[6:7]
	s_mov_b64 s[6:7], 0
	global_store_byte v[0:1], v4, off
.LBB329_86:
	s_and_b64 vcc, exec, s[6:7]
	s_cbranch_vccz .LBB329_96
; %bb.87:
	v_and_b32_e32 v4, 0x7fffffff, v2
	s_mov_b32 s6, 0x43f00000
	v_cmp_gt_u32_e32 vcc, s6, v4
                                        ; implicit-def: $vgpr3
	s_and_saveexec_b64 s[6:7], vcc
	s_xor_b64 s[6:7], exec, s[6:7]
	s_cbranch_execz .LBB329_93
; %bb.88:
	s_mov_b32 s8, 0x3c7fffff
	v_cmp_lt_u32_e32 vcc, s8, v4
                                        ; implicit-def: $vgpr3
	s_and_saveexec_b64 s[8:9], vcc
	s_xor_b64 s[8:9], exec, s[8:9]
; %bb.89:
	v_bfe_u32 v3, v2, 20, 1
	s_mov_b32 s10, 0x407ffff
	v_add3_u32 v3, v2, v3, s10
	v_lshrrev_b32_e32 v4, 20, v3
	v_and_b32_e32 v3, 0xff00000, v3
	s_mov_b32 s10, 0x7f00000
	v_mov_b32_e32 v5, 0x7e
	v_cmp_ne_u32_e32 vcc, s10, v3
	s_nop 1
	v_cndmask_b32_e32 v3, v5, v4, vcc
; %bb.90:
	s_andn2_saveexec_b64 s[8:9], s[8:9]
; %bb.91:
	s_mov_b32 s10, 0x46800000
	v_add_f32_e64 v3, |v2|, s10
; %bb.92:
	s_or_b64 exec, exec, s[8:9]
                                        ; implicit-def: $vgpr4
.LBB329_93:
	s_andn2_saveexec_b64 s[6:7], s[6:7]
; %bb.94:
	s_mov_b32 s8, 0x7f800000
	v_mov_b32_e32 v3, 0x7e
	v_mov_b32_e32 v5, 0x7f
	v_cmp_lt_u32_e32 vcc, s8, v4
	s_nop 1
	v_cndmask_b32_e32 v3, v3, v5, vcc
; %bb.95:
	s_or_b64 exec, exec, s[6:7]
	v_lshrrev_b32_e32 v4, 24, v2
	s_movk_i32 s6, 0x80
	v_and_or_b32 v3, v4, s6, v3
	global_store_byte v[0:1], v3, off
.LBB329_96:
	s_mov_b64 s[6:7], 0
.LBB329_97:
	s_andn2_b64 vcc, exec, s[6:7]
	s_cbranch_vccnz .LBB329_107
; %bb.98:
	v_and_b32_e32 v4, 0x7fffffff, v2
	s_mov_b32 s6, 0x47800000
	v_cmp_gt_u32_e32 vcc, s6, v4
                                        ; implicit-def: $vgpr3
	s_and_saveexec_b64 s[6:7], vcc
	s_xor_b64 s[6:7], exec, s[6:7]
	s_cbranch_execz .LBB329_104
; %bb.99:
	s_mov_b32 s8, 0x387fffff
	v_cmp_lt_u32_e32 vcc, s8, v4
                                        ; implicit-def: $vgpr3
	s_and_saveexec_b64 s[8:9], vcc
	s_xor_b64 s[8:9], exec, s[8:9]
; %bb.100:
	v_bfe_u32 v3, v2, 21, 1
	s_mov_b32 s10, 0x80fffff
	v_add3_u32 v3, v2, v3, s10
	v_lshrrev_b32_e32 v3, 21, v3
; %bb.101:
	s_andn2_saveexec_b64 s[8:9], s[8:9]
; %bb.102:
	s_mov_b32 s10, 0x43000000
	v_add_f32_e64 v3, |v2|, s10
; %bb.103:
	s_or_b64 exec, exec, s[8:9]
                                        ; implicit-def: $vgpr4
.LBB329_104:
	s_andn2_saveexec_b64 s[6:7], s[6:7]
; %bb.105:
	s_mov_b32 s8, 0x7f800000
	v_mov_b32_e32 v3, 0x7c
	v_mov_b32_e32 v5, 0x7f
	v_cmp_lt_u32_e32 vcc, s8, v4
	s_nop 1
	v_cndmask_b32_e32 v3, v3, v5, vcc
; %bb.106:
	s_or_b64 exec, exec, s[6:7]
	v_lshrrev_b32_e32 v4, 24, v2
	s_movk_i32 s6, 0x80
	v_and_or_b32 v3, v4, s6, v3
	global_store_byte v[0:1], v3, off
.LBB329_107:
	s_mov_b64 s[8:9], 0
	s_mov_b64 s[6:7], -1
.LBB329_108:
	s_andn2_b64 vcc, exec, s[8:9]
	s_cbranch_vccnz .LBB329_116
; %bb.109:
	s_cmp_gt_i32 s13, 14
	s_mov_b64 s[8:9], -1
	s_cbranch_scc0 .LBB329_113
; %bb.110:
	s_cmp_eq_u32 s13, 15
	s_mov_b64 s[2:3], -1
	s_cbranch_scc0 .LBB329_112
; %bb.111:
	v_bfe_u32 v3, v2, 16, 1
	s_movk_i32 s2, 0x7fff
	v_add3_u32 v3, v2, v3, s2
	v_cmp_o_f32_e32 vcc, v2, v2
	v_mov_b32_e32 v4, 0x7fc0
	s_mov_b64 s[6:7], -1
	v_cndmask_b32_sdwa v3, v4, v3, vcc dst_sel:DWORD dst_unused:UNUSED_PAD src0_sel:DWORD src1_sel:WORD_1
	global_store_short v[0:1], v3, off
	s_mov_b64 s[2:3], 0
.LBB329_112:
	s_mov_b64 s[8:9], 0
.LBB329_113:
	s_and_b64 vcc, exec, s[8:9]
	s_cbranch_vccz .LBB329_116
; %bb.114:
	s_cmp_eq_u32 s13, 11
	s_mov_b64 s[2:3], -1
	s_cbranch_scc0 .LBB329_116
; %bb.115:
	v_cmp_neq_f32_e32 vcc, 0, v2
	s_mov_b64 s[6:7], -1
	s_mov_b64 s[2:3], 0
	v_cndmask_b32_e64 v3, 0, 1, vcc
	global_store_byte v[0:1], v3, off
.LBB329_116:
	s_branch .LBB329_35
.LBB329_117:
	s_and_b32 s8, 0xffff, s12
	s_cmp_lt_i32 s8, 5
	s_mov_b64 s[6:7], -1
	s_cbranch_scc1 .LBB329_138
; %bb.118:
	s_cmp_lt_i32 s8, 8
	s_cbranch_scc1 .LBB329_128
; %bb.119:
	s_cmp_lt_i32 s8, 9
	s_cbranch_scc1 .LBB329_125
; %bb.120:
	s_cmp_gt_i32 s8, 9
	s_cbranch_scc0 .LBB329_122
; %bb.121:
	v_mov_b32_e32 v6, 0
	v_cvt_f64_f32_e32 v[4:5], v2
	v_mov_b32_e32 v7, v6
	global_store_dwordx4 v[0:1], v[4:7], off
	s_mov_b64 s[6:7], 0
.LBB329_122:
	s_andn2_b64 vcc, exec, s[6:7]
	s_cbranch_vccnz .LBB329_124
; %bb.123:
	v_mov_b32_e32 v3, 0
	global_store_dwordx2 v[0:1], v[2:3], off
.LBB329_124:
	s_mov_b64 s[6:7], 0
.LBB329_125:
	s_andn2_b64 vcc, exec, s[6:7]
	s_cbranch_vccnz .LBB329_127
; %bb.126:
	v_cvt_f16_f32_e32 v3, v2
	global_store_dword v[0:1], v3, off
.LBB329_127:
	s_mov_b64 s[6:7], 0
.LBB329_128:
	s_andn2_b64 vcc, exec, s[6:7]
	s_cbranch_vccnz .LBB329_137
; %bb.129:
	s_cmp_lt_i32 s8, 6
	s_mov_b64 s[6:7], -1
	s_cbranch_scc1 .LBB329_135
; %bb.130:
	s_cmp_gt_i32 s8, 6
	s_cbranch_scc0 .LBB329_132
; %bb.131:
	v_cvt_f64_f32_e32 v[4:5], v2
	global_store_dwordx2 v[0:1], v[4:5], off
	s_mov_b64 s[6:7], 0
.LBB329_132:
	s_andn2_b64 vcc, exec, s[6:7]
	s_cbranch_vccnz .LBB329_134
; %bb.133:
	global_store_dword v[0:1], v2, off
.LBB329_134:
	s_mov_b64 s[6:7], 0
.LBB329_135:
	s_andn2_b64 vcc, exec, s[6:7]
	s_cbranch_vccnz .LBB329_137
; %bb.136:
	v_cvt_f16_f32_e32 v3, v2
	global_store_short v[0:1], v3, off
.LBB329_137:
	s_mov_b64 s[6:7], 0
.LBB329_138:
	s_andn2_b64 vcc, exec, s[6:7]
	s_cbranch_vccnz .LBB329_154
; %bb.139:
	s_cmp_lt_i32 s8, 2
	s_mov_b64 s[6:7], -1
	s_cbranch_scc1 .LBB329_149
; %bb.140:
	s_cmp_lt_i32 s8, 3
	s_cbranch_scc1 .LBB329_146
; %bb.141:
	s_cmp_gt_i32 s8, 3
	s_cbranch_scc0 .LBB329_143
; %bb.142:
	v_trunc_f32_e32 v3, v2
	s_mov_b32 s6, 0x2f800000
	v_mul_f32_e64 v4, |v3|, s6
	v_floor_f32_e32 v4, v4
	s_mov_b32 s6, 0xcf800000
	v_cvt_u32_f32_e32 v5, v4
	v_fma_f32 v4, v4, s6, |v3|
	v_cvt_u32_f32_e32 v4, v4
	v_ashrrev_i32_e32 v3, 31, v3
	v_xor_b32_e32 v5, v5, v3
	s_mov_b64 s[6:7], 0
	v_xor_b32_e32 v4, v4, v3
	v_sub_co_u32_e32 v4, vcc, v4, v3
	s_nop 1
	v_subb_co_u32_e32 v5, vcc, v5, v3, vcc
	global_store_dwordx2 v[0:1], v[4:5], off
.LBB329_143:
	s_andn2_b64 vcc, exec, s[6:7]
	s_cbranch_vccnz .LBB329_145
; %bb.144:
	v_cvt_i32_f32_e32 v3, v2
	global_store_dword v[0:1], v3, off
.LBB329_145:
	s_mov_b64 s[6:7], 0
.LBB329_146:
	s_andn2_b64 vcc, exec, s[6:7]
	s_cbranch_vccnz .LBB329_148
; %bb.147:
	v_cvt_i32_f32_e32 v3, v2
	global_store_short v[0:1], v3, off
.LBB329_148:
	s_mov_b64 s[6:7], 0
.LBB329_149:
	s_andn2_b64 vcc, exec, s[6:7]
	s_cbranch_vccnz .LBB329_154
; %bb.150:
	s_cmp_gt_i32 s8, 0
	s_mov_b64 s[6:7], -1
	s_cbranch_scc0 .LBB329_152
; %bb.151:
	v_cvt_i32_f32_e32 v3, v2
	s_mov_b64 s[6:7], 0
	global_store_byte v[0:1], v3, off
.LBB329_152:
	s_andn2_b64 vcc, exec, s[6:7]
	s_cbranch_vccnz .LBB329_154
; %bb.153:
	v_trunc_f32_e32 v2, v2
	s_mov_b32 s6, 0x2f800000
	v_mul_f32_e64 v3, |v2|, s6
	v_floor_f32_e32 v3, v3
	s_mov_b32 s6, 0xcf800000
	v_fma_f32 v3, v3, s6, |v2|
	v_cvt_u32_f32_e32 v3, v3
	v_ashrrev_i32_e32 v2, 31, v2
	v_xor_b32_e32 v3, v3, v2
	v_sub_u32_e32 v2, v3, v2
	global_store_byte v[0:1], v2, off
.LBB329_154:
.LBB329_155:
	v_add_u32_e32 v8, 0x80, v8
	s_mov_b64 s[6:7], -1
	s_branch .LBB329_266
.LBB329_156:
	s_mov_b64 s[4:5], -1
                                        ; implicit-def: $vgpr1
.LBB329_157:
	s_mov_b64 s[6:7], 0
.LBB329_158:
	s_and_b64 vcc, exec, s[6:7]
	s_cbranch_vccz .LBB329_162
; %bb.159:
	s_cmp_eq_u32 s10, 29
	s_cbranch_scc0 .LBB329_161
; %bb.160:
	global_load_dwordx2 v[4:5], v[2:3], off
	s_mov_b64 s[2:3], -1
	s_mov_b64 s[4:5], 0
	s_mov_b64 s[6:7], 0
	s_waitcnt vmcnt(0)
	v_ffbh_u32_e32 v1, v5
	v_min_u32_e32 v1, 32, v1
	v_lshlrev_b64 v[4:5], v1, v[4:5]
	v_min_u32_e32 v4, 1, v4
	v_or_b32_e32 v4, v5, v4
	v_cvt_f32_u32_e32 v4, v4
	v_sub_u32_e32 v1, 32, v1
	v_ldexp_f32 v1, v4, v1
	s_branch .LBB329_163
.LBB329_161:
	s_mov_b64 s[4:5], -1
                                        ; implicit-def: $vgpr1
.LBB329_162:
	s_mov_b64 s[6:7], 0
.LBB329_163:
	s_and_b64 vcc, exec, s[6:7]
	s_cbranch_vccz .LBB329_181
; %bb.164:
	s_cmp_lt_i32 s10, 27
	s_cbranch_scc1 .LBB329_167
; %bb.165:
	s_cmp_gt_i32 s10, 27
	s_cbranch_scc0 .LBB329_168
; %bb.166:
	global_load_dword v1, v[2:3], off
	s_mov_b64 s[2:3], 0
	s_waitcnt vmcnt(0)
	v_cvt_f32_u32_e32 v1, v1
	s_branch .LBB329_169
.LBB329_167:
	s_mov_b64 s[2:3], -1
                                        ; implicit-def: $vgpr1
	s_branch .LBB329_172
.LBB329_168:
	s_mov_b64 s[2:3], -1
                                        ; implicit-def: $vgpr1
.LBB329_169:
	s_andn2_b64 vcc, exec, s[2:3]
	s_cbranch_vccnz .LBB329_171
; %bb.170:
	global_load_ushort v1, v[2:3], off
	s_waitcnt vmcnt(0)
	v_cvt_f32_u32_e32 v1, v1
.LBB329_171:
	s_mov_b64 s[2:3], 0
.LBB329_172:
	s_andn2_b64 vcc, exec, s[2:3]
	s_cbranch_vccnz .LBB329_180
; %bb.173:
	global_load_ubyte v4, v[2:3], off
	s_movk_i32 s2, 0x7f
	s_waitcnt vmcnt(0)
	v_cmp_lt_i16_e32 vcc, s2, v4
	s_mov_b64 s[2:3], 0
	s_and_saveexec_b64 s[6:7], vcc
	s_xor_b64 s[6:7], exec, s[6:7]
	s_cbranch_execz .LBB329_193
; %bb.174:
	s_movk_i32 s2, 0x80
	v_cmp_eq_u16_e32 vcc, s2, v4
	s_mov_b64 s[2:3], -1
	s_and_saveexec_b64 s[8:9], vcc
; %bb.175:
	s_xor_b64 s[2:3], exec, -1
; %bb.176:
	s_or_b64 exec, exec, s[8:9]
	s_and_b64 s[2:3], s[2:3], exec
	s_or_saveexec_b64 s[6:7], s[6:7]
	v_mov_b32_e32 v1, 0x7f800001
	s_xor_b64 exec, exec, s[6:7]
	s_cbranch_execnz .LBB329_194
.LBB329_177:
	s_or_b64 exec, exec, s[6:7]
	s_and_saveexec_b64 s[6:7], s[2:3]
	s_cbranch_execz .LBB329_179
.LBB329_178:
	v_lshlrev_b32_e32 v1, 24, v4
	v_and_b32_e32 v4, 0xffff, v4
	v_and_b32_e32 v5, 7, v4
	v_ffbh_u32_e32 v7, v5
	v_min_u32_e32 v7, 32, v7
	v_subrev_u32_e32 v9, 28, v7
	v_bfe_u32 v6, v4, 3, 4
	v_lshlrev_b32_e32 v4, v9, v4
	v_sub_u32_e32 v7, 29, v7
	v_and_b32_e32 v4, 7, v4
	v_cmp_eq_u32_e32 vcc, 0, v6
	v_and_b32_e32 v1, 0x80000000, v1
	s_nop 0
	v_cndmask_b32_e32 v6, v6, v7, vcc
	v_cndmask_b32_e32 v4, v5, v4, vcc
	v_mov_b32_e32 v5, 0x3b800000
	v_lshlrev_b32_e32 v4, 20, v4
	v_lshl_add_u32 v5, v6, 23, v5
	v_or3_b32 v1, v1, v5, v4
.LBB329_179:
	s_or_b64 exec, exec, s[6:7]
.LBB329_180:
	s_mov_b64 s[2:3], -1
.LBB329_181:
	s_branch .LBB329_216
.LBB329_182:
	s_cmp_gt_i32 s10, 22
	s_cbranch_scc0 .LBB329_192
; %bb.183:
	s_cmp_lt_i32 s10, 24
	s_cbranch_scc1 .LBB329_195
; %bb.184:
	s_cmp_gt_i32 s10, 24
	s_cbranch_scc0 .LBB329_196
; %bb.185:
	global_load_ubyte v4, v[2:3], off
	s_movk_i32 s2, 0x7f
	s_waitcnt vmcnt(0)
	v_cmp_lt_i16_e32 vcc, s2, v4
	s_mov_b64 s[2:3], 0
	s_and_saveexec_b64 s[6:7], vcc
	s_xor_b64 s[6:7], exec, s[6:7]
	s_cbranch_execz .LBB329_208
; %bb.186:
	s_movk_i32 s2, 0x80
	v_cmp_eq_u16_e32 vcc, s2, v4
	s_mov_b64 s[2:3], -1
	s_and_saveexec_b64 s[8:9], vcc
; %bb.187:
	s_xor_b64 s[2:3], exec, -1
; %bb.188:
	s_or_b64 exec, exec, s[8:9]
	s_and_b64 s[2:3], s[2:3], exec
	s_or_saveexec_b64 s[6:7], s[6:7]
	v_mov_b32_e32 v1, 0x7f800001
	s_xor_b64 exec, exec, s[6:7]
	s_cbranch_execnz .LBB329_209
.LBB329_189:
	s_or_b64 exec, exec, s[6:7]
	s_and_saveexec_b64 s[6:7], s[2:3]
	s_cbranch_execz .LBB329_191
.LBB329_190:
	v_lshlrev_b32_e32 v1, 24, v4
	v_and_b32_e32 v4, 0xffff, v4
	v_and_b32_e32 v5, 3, v4
	v_ffbh_u32_e32 v7, v5
	v_min_u32_e32 v7, 32, v7
	v_subrev_u32_e32 v9, 29, v7
	v_bfe_u32 v6, v4, 2, 5
	v_lshlrev_b32_e32 v4, v9, v4
	v_sub_u32_e32 v7, 30, v7
	v_and_b32_e32 v4, 3, v4
	v_cmp_eq_u32_e32 vcc, 0, v6
	v_and_b32_e32 v1, 0x80000000, v1
	s_nop 0
	v_cndmask_b32_e32 v6, v6, v7, vcc
	v_cndmask_b32_e32 v4, v5, v4, vcc
	v_mov_b32_e32 v5, 0x37800000
	v_lshlrev_b32_e32 v4, 21, v4
	v_lshl_add_u32 v5, v6, 23, v5
	v_or3_b32 v1, v1, v5, v4
.LBB329_191:
	s_or_b64 exec, exec, s[6:7]
	s_mov_b64 s[2:3], 0
	s_branch .LBB329_197
.LBB329_192:
	s_mov_b64 s[6:7], -1
                                        ; implicit-def: $vgpr1
	s_branch .LBB329_203
.LBB329_193:
	s_or_saveexec_b64 s[6:7], s[6:7]
	v_mov_b32_e32 v1, 0x7f800001
	s_xor_b64 exec, exec, s[6:7]
	s_cbranch_execz .LBB329_177
.LBB329_194:
	v_cmp_ne_u16_e32 vcc, 0, v4
	s_andn2_b64 s[2:3], s[2:3], exec
	s_and_b64 s[8:9], vcc, exec
	v_mov_b32_e32 v1, 0
	s_or_b64 s[2:3], s[2:3], s[8:9]
	s_or_b64 exec, exec, s[6:7]
	s_and_saveexec_b64 s[6:7], s[2:3]
	s_cbranch_execnz .LBB329_178
	s_branch .LBB329_179
.LBB329_195:
	s_mov_b64 s[2:3], -1
                                        ; implicit-def: $vgpr1
	s_branch .LBB329_200
.LBB329_196:
	s_mov_b64 s[2:3], -1
                                        ; implicit-def: $vgpr1
.LBB329_197:
	s_and_b64 vcc, exec, s[2:3]
	s_cbranch_vccz .LBB329_199
; %bb.198:
	global_load_ubyte v1, v[2:3], off
	s_mov_b32 s2, 0x7f800000
	s_waitcnt vmcnt(0)
	v_lshlrev_b32_e32 v1, 24, v1
	v_and_b32_e32 v4, 0x7f000000, v1
	v_ffbh_u32_e32 v5, v4
	v_min_u32_e32 v5, 32, v5
	v_sub_u32_e64 v5, v5, 4 clamp
	v_lshlrev_b32_e32 v7, v5, v4
	v_lshlrev_b32_e32 v5, 23, v5
	v_lshrrev_b32_e32 v7, 4, v7
	v_add_u32_e32 v6, 0x1000000, v4
	v_sub_u32_e32 v5, v7, v5
	v_ashrrev_i32_e32 v6, 8, v6
	v_add_u32_e32 v5, 0x3c000000, v5
	v_and_or_b32 v5, v6, s2, v5
	v_cmp_ne_u32_e32 vcc, 0, v4
	s_brev_b32 s2, 1
	s_nop 0
	v_cndmask_b32_e32 v4, 0, v5, vcc
	v_and_or_b32 v1, v1, s2, v4
.LBB329_199:
	s_mov_b64 s[2:3], 0
.LBB329_200:
	s_andn2_b64 vcc, exec, s[2:3]
	s_cbranch_vccnz .LBB329_202
; %bb.201:
	global_load_ubyte v1, v[2:3], off
	s_movk_i32 s2, 0x7f00
	s_brev_b32 s3, 16
	s_waitcnt vmcnt(0)
	v_lshlrev_b16_e32 v4, 8, v1
	v_lshlrev_b32_e32 v1, 25, v1
	v_lshrrev_b32_e32 v5, 4, v1
	v_and_or_b32 v6, v4, s2, 0.5
	v_or_b32_e32 v5, 0x70000000, v5
	v_add_f32_e32 v6, -0.5, v6
	v_mul_f32_e32 v5, 0x7800000, v5
	v_cmp_gt_u32_e32 vcc, s3, v1
	v_bfe_i32 v4, v4, 0, 16
	s_brev_b32 s2, 1
	v_cndmask_b32_e32 v1, v5, v6, vcc
	v_and_or_b32 v1, v4, s2, v1
.LBB329_202:
	s_mov_b64 s[6:7], 0
	s_mov_b64 s[2:3], -1
.LBB329_203:
	s_andn2_b64 vcc, exec, s[6:7]
	s_cbranch_vccnz .LBB329_216
; %bb.204:
	s_cmp_gt_i32 s10, 14
	s_cbranch_scc0 .LBB329_207
; %bb.205:
	s_cmp_eq_u32 s10, 15
	s_cbranch_scc0 .LBB329_210
; %bb.206:
	global_load_ushort v1, v[2:3], off
	s_mov_b64 s[2:3], -1
	s_mov_b64 s[4:5], 0
	s_waitcnt vmcnt(0)
	v_lshlrev_b32_e32 v1, 16, v1
	s_branch .LBB329_211
.LBB329_207:
	s_mov_b64 s[6:7], -1
                                        ; implicit-def: $vgpr1
	s_branch .LBB329_212
.LBB329_208:
	s_or_saveexec_b64 s[6:7], s[6:7]
	v_mov_b32_e32 v1, 0x7f800001
	s_xor_b64 exec, exec, s[6:7]
	s_cbranch_execz .LBB329_189
.LBB329_209:
	v_cmp_ne_u16_e32 vcc, 0, v4
	s_andn2_b64 s[2:3], s[2:3], exec
	s_and_b64 s[8:9], vcc, exec
	v_mov_b32_e32 v1, 0
	s_or_b64 s[2:3], s[2:3], s[8:9]
	s_or_b64 exec, exec, s[6:7]
	s_and_saveexec_b64 s[6:7], s[2:3]
	s_cbranch_execnz .LBB329_190
	s_branch .LBB329_191
.LBB329_210:
	s_mov_b64 s[4:5], -1
                                        ; implicit-def: $vgpr1
.LBB329_211:
	s_mov_b64 s[6:7], 0
.LBB329_212:
	s_and_b64 vcc, exec, s[6:7]
	s_cbranch_vccz .LBB329_216
; %bb.213:
	s_cmp_eq_u32 s10, 11
	s_cbranch_scc0 .LBB329_215
; %bb.214:
	global_load_ubyte v1, v[2:3], off
	s_mov_b64 s[2:3], -1
	s_mov_b64 s[4:5], 0
	s_waitcnt vmcnt(0)
	v_cmp_ne_u16_e32 vcc, 0, v1
	s_nop 1
	v_cndmask_b32_e64 v1, 0, 1.0, vcc
	s_branch .LBB329_216
.LBB329_215:
	s_mov_b64 s[4:5], -1
                                        ; implicit-def: $vgpr1
.LBB329_216:
	s_branch .LBB329_25
.LBB329_217:
	s_cmp_lt_i32 s10, 5
	s_cbranch_scc1 .LBB329_222
; %bb.218:
	s_cmp_lt_i32 s10, 8
	s_cbranch_scc1 .LBB329_223
; %bb.219:
	;; [unrolled: 3-line block ×3, first 2 shown]
	s_cmp_gt_i32 s10, 9
	s_cbranch_scc0 .LBB329_225
; %bb.221:
	global_load_dwordx2 v[4:5], v[2:3], off
	s_mov_b64 s[2:3], 0
	s_waitcnt vmcnt(0)
	v_cvt_f32_f64_e32 v1, v[4:5]
	s_branch .LBB329_226
.LBB329_222:
                                        ; implicit-def: $vgpr1
	s_branch .LBB329_244
.LBB329_223:
	s_mov_b64 s[2:3], -1
                                        ; implicit-def: $vgpr1
	s_branch .LBB329_232
.LBB329_224:
	s_mov_b64 s[2:3], -1
                                        ; implicit-def: $vgpr1
	s_branch .LBB329_229
.LBB329_225:
	s_mov_b64 s[2:3], -1
                                        ; implicit-def: $vgpr1
.LBB329_226:
	s_andn2_b64 vcc, exec, s[2:3]
	s_cbranch_vccnz .LBB329_228
; %bb.227:
	global_load_dword v1, v[2:3], off
.LBB329_228:
	s_mov_b64 s[2:3], 0
.LBB329_229:
	s_andn2_b64 vcc, exec, s[2:3]
	s_cbranch_vccnz .LBB329_231
; %bb.230:
	global_load_dword v1, v[2:3], off
	s_waitcnt vmcnt(0)
	v_cvt_f32_f16_e32 v1, v1
.LBB329_231:
	s_mov_b64 s[2:3], 0
.LBB329_232:
	s_andn2_b64 vcc, exec, s[2:3]
	s_cbranch_vccnz .LBB329_243
; %bb.233:
	s_cmp_lt_i32 s10, 6
	s_cbranch_scc1 .LBB329_236
; %bb.234:
	s_cmp_gt_i32 s10, 6
	s_cbranch_scc0 .LBB329_237
; %bb.235:
	global_load_dwordx2 v[4:5], v[2:3], off
	s_mov_b64 s[2:3], 0
	s_waitcnt vmcnt(0)
	v_cvt_f32_f64_e32 v1, v[4:5]
	s_branch .LBB329_238
.LBB329_236:
	s_mov_b64 s[2:3], -1
                                        ; implicit-def: $vgpr1
	s_branch .LBB329_241
.LBB329_237:
	s_mov_b64 s[2:3], -1
                                        ; implicit-def: $vgpr1
.LBB329_238:
	s_andn2_b64 vcc, exec, s[2:3]
	s_cbranch_vccnz .LBB329_240
; %bb.239:
	global_load_dword v1, v[2:3], off
.LBB329_240:
	s_mov_b64 s[2:3], 0
.LBB329_241:
	s_andn2_b64 vcc, exec, s[2:3]
	s_cbranch_vccnz .LBB329_243
; %bb.242:
	global_load_ushort v1, v[2:3], off
	s_waitcnt vmcnt(0)
	v_cvt_f32_f16_e32 v1, v1
.LBB329_243:
	s_cbranch_execnz .LBB329_263
.LBB329_244:
	s_cmp_lt_i32 s10, 2
	s_cbranch_scc1 .LBB329_248
; %bb.245:
	s_cmp_lt_i32 s10, 3
	s_cbranch_scc1 .LBB329_249
; %bb.246:
	s_cmp_gt_i32 s10, 3
	s_cbranch_scc0 .LBB329_250
; %bb.247:
	global_load_dwordx2 v[4:5], v[2:3], off
	s_mov_b64 s[2:3], 0
	s_waitcnt vmcnt(0)
	v_xor_b32_e32 v6, v4, v5
	v_ffbh_i32_e32 v1, v5
	v_ashrrev_i32_e32 v6, 31, v6
	v_add_u32_e32 v1, -1, v1
	v_add_u32_e32 v6, 32, v6
	v_min_u32_e32 v1, v1, v6
	v_lshlrev_b64 v[4:5], v1, v[4:5]
	v_min_u32_e32 v4, 1, v4
	v_or_b32_e32 v4, v5, v4
	v_cvt_f32_i32_e32 v4, v4
	v_sub_u32_e32 v1, 32, v1
	v_ldexp_f32 v1, v4, v1
	s_branch .LBB329_251
.LBB329_248:
	s_mov_b64 s[2:3], -1
                                        ; implicit-def: $vgpr1
	s_branch .LBB329_257
.LBB329_249:
	s_mov_b64 s[2:3], -1
                                        ; implicit-def: $vgpr1
	s_branch .LBB329_254
.LBB329_250:
	s_mov_b64 s[2:3], -1
                                        ; implicit-def: $vgpr1
.LBB329_251:
	s_andn2_b64 vcc, exec, s[2:3]
	s_cbranch_vccnz .LBB329_253
; %bb.252:
	global_load_dword v1, v[2:3], off
	s_waitcnt vmcnt(0)
	v_cvt_f32_i32_e32 v1, v1
.LBB329_253:
	s_mov_b64 s[2:3], 0
.LBB329_254:
	s_andn2_b64 vcc, exec, s[2:3]
	s_cbranch_vccnz .LBB329_256
; %bb.255:
	global_load_sshort v1, v[2:3], off
	s_waitcnt vmcnt(0)
	v_cvt_f32_i32_e32 v1, v1
.LBB329_256:
	s_mov_b64 s[2:3], 0
.LBB329_257:
	s_andn2_b64 vcc, exec, s[2:3]
	s_cbranch_vccnz .LBB329_263
; %bb.258:
	s_cmp_gt_i32 s10, 0
	s_cbranch_scc0 .LBB329_260
; %bb.259:
	global_load_sbyte v1, v[2:3], off
	s_mov_b64 s[2:3], 0
	s_waitcnt vmcnt(0)
	v_cvt_f32_i32_e32 v1, v1
	s_branch .LBB329_261
.LBB329_260:
	s_mov_b64 s[2:3], -1
                                        ; implicit-def: $vgpr1
.LBB329_261:
	s_andn2_b64 vcc, exec, s[2:3]
	s_cbranch_vccnz .LBB329_263
; %bb.262:
	global_load_ubyte v1, v[2:3], off
	s_waitcnt vmcnt(0)
	v_cvt_f32_ubyte0_e32 v1, v1
.LBB329_263:
	s_branch .LBB329_26
.LBB329_264:
	s_mov_b64 s[2:3], 0
.LBB329_265:
	s_mov_b64 s[6:7], 0
                                        ; implicit-def: $vgpr8
.LBB329_266:
	s_and_b64 s[56:57], s[2:3], exec
	s_and_b64 s[58:59], s[4:5], exec
	s_orn2_b64 s[4:5], s[6:7], exec
.LBB329_267:
	s_or_b64 exec, exec, s[60:61]
	s_mov_b64 s[8:9], 0
	s_mov_b64 s[2:3], 0
                                        ; implicit-def: $vgpr2_vgpr3
                                        ; implicit-def: $vgpr0
                                        ; implicit-def: $vgpr1
	s_and_saveexec_b64 s[60:61], s[4:5]
	s_cbranch_execz .LBB329_275
; %bb.268:
	v_cmp_gt_i32_e32 vcc, s72, v8
	s_mov_b64 s[2:3], -1
	s_mov_b64 s[62:63], s[58:59]
	s_mov_b64 s[64:65], s[56:57]
	s_and_saveexec_b64 s[66:67], vcc
	s_cbranch_execz .LBB329_544
; %bb.269:
	s_andn2_b64 vcc, exec, s[42:43]
	s_cbranch_vccnz .LBB329_278
; %bb.270:
	s_andn2_b64 vcc, exec, s[54:55]
	s_cbranch_vccnz .LBB329_279
; %bb.271:
	s_add_i32 s65, s77, 1
	s_cmp_eq_u32 s74, 2
	s_cbranch_scc1 .LBB329_280
; %bb.272:
	s_and_b32 s64, s65, 28
	s_mov_b32 s68, 0
	v_mov_b32_e32 v0, 0
	v_mov_b32_e32 v2, 0
	s_mov_b64 s[2:3], s[34:35]
	s_mov_b64 s[62:63], s[52:53]
	v_mov_b32_e32 v4, v8
.LBB329_273:                            ; =>This Inner Loop Header: Depth=1
	s_load_dwordx8 s[12:19], s[2:3], 0x4
	s_load_dwordx4 s[36:39], s[2:3], 0x24
	s_load_dwordx8 s[4:11], s[62:63], 0x0
	s_add_u32 s2, s2, 48
	s_addc_u32 s3, s3, 0
	s_waitcnt vmcnt(0) lgkmcnt(0)
	v_mul_hi_u32 v1, s13, v4
	v_add_u32_e32 v1, v4, v1
	v_lshrrev_b32_e32 v1, s14, v1
	v_mul_lo_u32 v3, v1, s12
	v_mul_hi_u32 v5, s16, v1
	v_sub_u32_e32 v3, v4, v3
	v_add_u32_e32 v4, v1, v5
	v_lshrrev_b32_e32 v4, s17, v4
	v_mul_lo_u32 v6, v4, s15
	v_mul_hi_u32 v7, s19, v4
	v_sub_u32_e32 v1, v1, v6
	v_add_u32_e32 v6, v4, v7
	v_mul_lo_u32 v5, v3, s5
	v_mul_lo_u32 v3, v3, s4
	v_mul_lo_u32 v7, v1, s7
	v_mul_lo_u32 v1, v1, s6
	v_lshrrev_b32_e32 v6, s36, v6
	v_add3_u32 v0, v3, v0, v1
	v_mul_hi_u32 v3, s38, v6
	v_add3_u32 v1, v5, v2, v7
	v_mul_lo_u32 v2, v6, s18
	v_add_u32_e32 v3, v6, v3
	v_sub_u32_e32 v2, v4, v2
	v_lshrrev_b32_e32 v4, s39, v3
	s_add_i32 s68, s68, 4
	v_mul_lo_u32 v3, v4, s37
	s_add_u32 s62, s62, 32
	v_sub_u32_e32 v3, v6, v3
	s_addc_u32 s63, s63, 0
	v_mul_lo_u32 v5, v2, s8
	v_mul_lo_u32 v2, v2, s9
	;; [unrolled: 1-line block ×4, first 2 shown]
	s_cmp_eq_u32 s64, s68
	v_add3_u32 v2, v2, v1, v3
	v_add3_u32 v0, v5, v0, v6
	s_cbranch_scc0 .LBB329_273
; %bb.274:
	v_mov_b32_e32 v1, v2
	s_branch .LBB329_281
.LBB329_275:
	s_or_b64 exec, exec, s[60:61]
	s_mov_b64 s[4:5], 0
	s_and_saveexec_b64 s[6:7], s[58:59]
	s_cbranch_execnz .LBB329_922
.LBB329_276:
	s_or_b64 exec, exec, s[6:7]
	s_and_saveexec_b64 s[6:7], s[64:65]
	s_xor_b64 s[6:7], exec, s[6:7]
	s_cbranch_execz .LBB329_923
.LBB329_277:
	global_load_ubyte v1, v[2:3], off
	s_or_b64 s[2:3], s[2:3], exec
	s_waitcnt vmcnt(0)
	v_cmp_ne_u16_e32 vcc, 0, v1
	s_nop 1
	v_cndmask_b32_e64 v1, 0, 1.0, vcc
	s_or_b64 exec, exec, s[6:7]
	s_and_saveexec_b64 s[6:7], s[8:9]
	s_cbranch_execz .LBB329_969
	s_branch .LBB329_924
.LBB329_278:
                                        ; implicit-def: $vgpr2
                                        ; implicit-def: $vgpr0
	s_andn2_b64 vcc, exec, s[2:3]
	s_cbranch_vccz .LBB329_285
	s_branch .LBB329_287
.LBB329_279:
	v_mov_b32_e32 v2, 0
	v_mov_b32_e32 v0, 0
	s_branch .LBB329_284
.LBB329_280:
	v_mov_b32_e32 v0, 0
	s_mov_b32 s64, 0
	s_waitcnt vmcnt(0)
	v_mov_b32_e32 v1, v0
                                        ; implicit-def: $vgpr2
	v_mov_b32_e32 v4, v8
.LBB329_281:
	s_and_b32 s6, s65, 3
	s_cmp_eq_u32 s6, 0
	s_cbranch_scc1 .LBB329_284
; %bb.282:
	s_lshl_b32 s2, s64, 3
	s_add_u32 s2, s34, s2
	s_addc_u32 s3, s35, 0
	s_add_u32 s2, s2, 0xc4
	s_addc_u32 s3, s3, 0
	s_mul_i32 s4, s64, 12
	s_add_u32 s4, s34, s4
	s_addc_u32 s5, s35, 0
.LBB329_283:                            ; =>This Inner Loop Header: Depth=1
	s_load_dwordx2 s[8:9], s[4:5], 0x4
	s_load_dword s7, s[4:5], 0xc
	s_load_dwordx2 s[10:11], s[2:3], 0x0
	v_mov_b32_e32 v2, v1
	s_add_u32 s4, s4, 12
	s_waitcnt lgkmcnt(0)
	v_mul_hi_u32 v1, s9, v4
	v_add_u32_e32 v1, v4, v1
	v_lshrrev_b32_e32 v1, s7, v1
	s_addc_u32 s5, s5, 0
	v_mul_lo_u32 v3, v1, s8
	s_add_u32 s2, s2, 8
	v_sub_u32_e32 v5, v4, v3
	s_addc_u32 s3, s3, 0
	s_add_i32 s6, s6, -1
	v_mov_b32_e32 v4, v1
	v_mad_u64_u32 v[2:3], s[8:9], v5, s11, v[2:3]
	v_mad_u64_u32 v[0:1], s[8:9], v5, s10, v[0:1]
	s_cmp_lg_u32 s6, 0
	v_mov_b32_e32 v1, v2
	s_cbranch_scc1 .LBB329_283
.LBB329_284:
	s_cbranch_execnz .LBB329_287
.LBB329_285:
	v_mul_hi_u32 v0, s25, v8
	v_add_u32_e32 v0, v8, v0
	s_waitcnt vmcnt(0)
	v_lshrrev_b32_e32 v1, s26, v0
	v_mul_lo_u32 v0, v1, s24
	v_sub_u32_e32 v0, v8, v0
	v_mul_lo_u32 v2, v0, s29
	s_andn2_b64 vcc, exec, s[50:51]
	v_mul_lo_u32 v0, v0, s28
	s_cbranch_vccnz .LBB329_287
; %bb.286:
	v_mul_hi_u32 v3, s48, v1
	v_add_u32_e32 v3, v1, v3
	v_lshrrev_b32_e32 v3, s49, v3
	v_mul_lo_u32 v3, v3, s27
	v_sub_u32_e32 v3, v1, v3
	v_mad_u64_u32 v[0:1], s[2:3], v3, s30, v[0:1]
	v_mad_u64_u32 v[2:3], s[2:3], v3, s31, v[2:3]
.LBB329_287:
	v_mov_b32_e32 v3, 0
	s_and_b32 s10, 0xffff, s76
	s_cmp_lt_i32 s10, 11
	v_lshl_add_u64 v[2:3], s[22:23], 0, v[2:3]
	s_cbranch_scc1 .LBB329_294
; %bb.288:
	s_cmp_gt_i32 s10, 25
	s_cbranch_scc0 .LBB329_303
; %bb.289:
	s_cmp_gt_i32 s10, 28
	s_cbranch_scc0 .LBB329_305
	;; [unrolled: 3-line block ×4, first 2 shown]
; %bb.292:
	s_cmp_eq_u32 s10, 46
	s_mov_b64 s[6:7], 0
	s_cbranch_scc0 .LBB329_315
; %bb.293:
	global_load_dword v1, v[2:3], off
	s_mov_b64 s[2:3], -1
	s_mov_b64 s[4:5], 0
	s_waitcnt vmcnt(0)
	v_lshlrev_b32_e32 v1, 16, v1
	s_branch .LBB329_316
.LBB329_294:
	s_mov_b64 s[2:3], 0
                                        ; implicit-def: $vgpr1
	s_mov_b64 s[4:5], s[58:59]
	s_cbranch_execnz .LBB329_493
.LBB329_295:
	s_andn2_b64 vcc, exec, s[2:3]
	s_cbranch_vccnz .LBB329_541
.LBB329_296:
	v_max_f32_e64 v2, s46, s46
	s_waitcnt vmcnt(0)
	v_max_f32_e32 v3, v1, v1
	v_max_f32_e32 v2, v3, v2
	v_max_f32_e64 v3, s47, s47
	v_min_f32_e32 v2, v2, v3
	v_cmp_u_f32_e32 vcc, v1, v1
	s_and_b32 s12, s75, 0xff
	s_cmp_lt_i32 s12, 11
	v_cndmask_b32_e32 v2, v2, v1, vcc
	v_mov_b32_e32 v1, 0
	v_lshl_add_u64 v[0:1], s[20:21], 0, v[0:1]
	s_cbranch_scc1 .LBB329_304
; %bb.297:
	s_and_b32 s13, 0xffff, s12
	s_cmp_gt_i32 s13, 25
	s_cbranch_scc0 .LBB329_306
; %bb.298:
	s_cmp_gt_i32 s13, 28
	s_cbranch_scc0 .LBB329_308
; %bb.299:
	;; [unrolled: 3-line block ×4, first 2 shown]
	s_mov_b64 s[8:9], 0
	s_mov_b64 s[2:3], -1
	s_cmp_eq_u32 s13, 46
	s_mov_b64 s[6:7], 0
	s_cbranch_scc0 .LBB329_320
; %bb.302:
	v_bfe_u32 v3, v2, 16, 1
	s_movk_i32 s2, 0x7fff
	v_add3_u32 v3, v2, v3, s2
	v_cmp_o_f32_e32 vcc, v2, v2
	v_mov_b32_e32 v4, 0x7fc0
	s_mov_b64 s[6:7], -1
	v_cndmask_b32_sdwa v3, v4, v3, vcc dst_sel:DWORD dst_unused:UNUSED_PAD src0_sel:DWORD src1_sel:WORD_1
	global_store_dword v[0:1], v3, off
	s_mov_b64 s[2:3], 0
	s_branch .LBB329_320
.LBB329_303:
	s_mov_b64 s[6:7], -1
	s_mov_b64 s[2:3], 0
	s_mov_b64 s[4:5], s[58:59]
                                        ; implicit-def: $vgpr1
	s_branch .LBB329_457
.LBB329_304:
	s_mov_b64 s[8:9], -1
	s_mov_b64 s[6:7], 0
	s_mov_b64 s[2:3], s[56:57]
	s_branch .LBB329_389
.LBB329_305:
	s_mov_b64 s[6:7], -1
	s_mov_b64 s[2:3], 0
	s_mov_b64 s[4:5], s[58:59]
                                        ; implicit-def: $vgpr1
	s_branch .LBB329_438
.LBB329_306:
	s_mov_b64 s[8:9], -1
	s_mov_b64 s[6:7], 0
	s_mov_b64 s[2:3], s[56:57]
	s_branch .LBB329_347
.LBB329_307:
	s_mov_b64 s[6:7], -1
	s_mov_b64 s[2:3], 0
	s_mov_b64 s[4:5], s[58:59]
                                        ; implicit-def: $vgpr1
	s_branch .LBB329_433
.LBB329_308:
	s_mov_b64 s[8:9], -1
	s_mov_b64 s[6:7], 0
	s_mov_b64 s[2:3], s[56:57]
	s_branch .LBB329_330
.LBB329_309:
	s_andn2_saveexec_b64 s[10:11], s[10:11]
	s_cbranch_execz .LBB329_69
.LBB329_310:
	s_mov_b32 s14, 0x46000000
	v_add_f32_e64 v3, |v2|, s14
	v_and_b32_e32 v3, 0xff, v3
	v_cmp_ne_u32_e32 vcc, 0, v3
	s_andn2_b64 s[8:9], s[8:9], exec
	s_and_b64 s[14:15], vcc, exec
	s_or_b64 s[8:9], s[8:9], s[14:15]
	s_or_b64 exec, exec, s[10:11]
	v_mov_b32_e32 v4, 0
	s_and_saveexec_b64 s[10:11], s[8:9]
	s_cbranch_execnz .LBB329_70
	s_branch .LBB329_71
.LBB329_311:
	s_mov_b64 s[6:7], -1
	s_mov_b64 s[2:3], 0
	s_mov_b64 s[4:5], s[58:59]
                                        ; implicit-def: $vgpr1
	s_branch .LBB329_316
.LBB329_312:
	s_mov_b64 s[8:9], -1
	s_mov_b64 s[6:7], 0
	s_mov_b64 s[2:3], s[56:57]
	s_branch .LBB329_326
.LBB329_313:
	s_andn2_saveexec_b64 s[10:11], s[10:11]
	s_cbranch_execz .LBB329_82
.LBB329_314:
	s_mov_b32 s14, 0x42800000
	v_add_f32_e64 v3, |v2|, s14
	v_and_b32_e32 v3, 0xff, v3
	v_cmp_ne_u32_e32 vcc, 0, v3
	s_andn2_b64 s[8:9], s[8:9], exec
	s_and_b64 s[14:15], vcc, exec
	s_or_b64 s[8:9], s[8:9], s[14:15]
	s_or_b64 exec, exec, s[10:11]
	v_mov_b32_e32 v4, 0
	s_and_saveexec_b64 s[10:11], s[8:9]
	s_cbranch_execnz .LBB329_83
	s_branch .LBB329_84
.LBB329_315:
	s_mov_b64 s[4:5], -1
                                        ; implicit-def: $vgpr1
	s_mov_b64 s[2:3], 0
.LBB329_316:
	s_and_b64 vcc, exec, s[6:7]
	s_cbranch_vccz .LBB329_432
; %bb.317:
	s_cmp_eq_u32 s10, 44
	s_cbranch_scc0 .LBB329_431
; %bb.318:
	global_load_ubyte v1, v[2:3], off
	s_movk_i32 s4, 0xff
	v_mov_b32_e32 v4, 0x7f800001
	v_mov_b32_e32 v5, 0x400000
	s_mov_b64 s[2:3], -1
	s_waitcnt vmcnt(0)
	v_lshlrev_b32_e32 v6, 23, v1
	v_cmp_ne_u32_e32 vcc, s4, v1
	s_mov_b64 s[4:5], 0
	s_nop 0
	v_cndmask_b32_e32 v4, v4, v6, vcc
	v_cmp_ne_u32_e32 vcc, 0, v1
	s_nop 1
	v_cndmask_b32_e32 v1, v5, v4, vcc
	s_branch .LBB329_432
.LBB329_319:
	s_mov_b64 s[8:9], -1
	s_mov_b64 s[6:7], 0
	s_mov_b64 s[2:3], s[56:57]
.LBB329_320:
	s_and_b64 vcc, exec, s[8:9]
	s_cbranch_vccz .LBB329_325
; %bb.321:
	s_cmp_eq_u32 s13, 44
	s_mov_b64 s[2:3], -1
	s_cbranch_scc0 .LBB329_325
; %bb.322:
	v_bfe_u32 v3, v2, 23, 8
	s_movk_i32 s2, 0xff
	v_cmp_ne_u32_e32 vcc, s2, v3
	v_mov_b32_e32 v4, 0xff
	s_and_saveexec_b64 s[6:7], vcc
; %bb.323:
	s_mov_b32 s2, 0x3fffff
	v_and_b32_e32 v5, 0x400000, v2
	v_and_or_b32 v3, v2, s2, v3
	v_cmp_ne_u32_e32 vcc, 0, v5
	v_cmp_ne_u32_e64 s[2:3], 0, v3
	s_and_b64 s[2:3], vcc, s[2:3]
	v_lshrrev_b32_e32 v4, 23, v2
	v_cndmask_b32_e64 v3, 0, 1, s[2:3]
	v_add_u32_e32 v4, v4, v3
; %bb.324:
	s_or_b64 exec, exec, s[6:7]
	s_mov_b64 s[6:7], -1
	s_mov_b64 s[2:3], 0
	global_store_byte v[0:1], v4, off
.LBB329_325:
	s_mov_b64 s[8:9], 0
.LBB329_326:
	s_and_b64 vcc, exec, s[8:9]
	s_cbranch_vccz .LBB329_329
; %bb.327:
	s_cmp_eq_u32 s13, 29
	s_mov_b64 s[2:3], -1
	s_cbranch_scc0 .LBB329_329
; %bb.328:
	v_trunc_f32_e32 v3, v2
	v_mul_f32_e32 v4, 0x2f800000, v3
	v_floor_f32_e32 v4, v4
	v_fmamk_f32 v3, v4, 0xcf800000, v3
	v_cvt_u32_f32_e32 v5, v4
	v_cvt_u32_f32_e32 v4, v3
	s_mov_b64 s[6:7], -1
	s_mov_b64 s[2:3], 0
	s_mov_b64 s[8:9], 0
	global_store_dwordx2 v[0:1], v[4:5], off
	s_branch .LBB329_330
.LBB329_329:
	s_mov_b64 s[8:9], 0
.LBB329_330:
	s_and_b64 vcc, exec, s[8:9]
	s_cbranch_vccz .LBB329_346
; %bb.331:
	s_cmp_lt_i32 s13, 27
	s_mov_b64 s[6:7], -1
	s_cbranch_scc1 .LBB329_337
; %bb.332:
	v_cvt_u32_f32_e32 v3, v2
	s_cmp_gt_i32 s13, 27
	s_cbranch_scc0 .LBB329_334
; %bb.333:
	s_mov_b64 s[6:7], 0
	global_store_dword v[0:1], v3, off
.LBB329_334:
	s_andn2_b64 vcc, exec, s[6:7]
	s_cbranch_vccnz .LBB329_336
; %bb.335:
	global_store_short v[0:1], v3, off
.LBB329_336:
	s_mov_b64 s[6:7], 0
.LBB329_337:
	s_andn2_b64 vcc, exec, s[6:7]
	s_cbranch_vccnz .LBB329_345
; %bb.338:
	v_and_b32_e32 v3, 0x7fffffff, v2
	s_mov_b32 s6, 0x43800000
	v_cmp_gt_u32_e32 vcc, s6, v3
	v_mov_b32_e32 v4, 0x80
	s_and_saveexec_b64 s[6:7], vcc
	s_cbranch_execz .LBB329_344
; %bb.339:
	s_mov_b32 s8, 0x3bffffff
	v_cmp_lt_u32_e32 vcc, s8, v3
	s_mov_b64 s[8:9], 0
                                        ; implicit-def: $vgpr3
	s_and_saveexec_b64 s[10:11], vcc
	s_xor_b64 s[10:11], exec, s[10:11]
	s_cbranch_execz .LBB329_573
; %bb.340:
	v_bfe_u32 v3, v2, 20, 1
	s_mov_b32 s14, 0x487ffff
	v_add3_u32 v3, v2, v3, s14
	s_mov_b64 s[8:9], exec
	v_lshrrev_b32_e32 v3, 20, v3
	s_andn2_saveexec_b64 s[10:11], s[10:11]
	s_cbranch_execnz .LBB329_574
.LBB329_341:
	s_or_b64 exec, exec, s[10:11]
	v_mov_b32_e32 v4, 0
	s_and_saveexec_b64 s[10:11], s[8:9]
.LBB329_342:
	v_lshrrev_b32_e32 v4, 24, v2
	s_movk_i32 s8, 0x80
	v_and_or_b32 v4, v4, s8, v3
.LBB329_343:
	s_or_b64 exec, exec, s[10:11]
.LBB329_344:
	s_or_b64 exec, exec, s[6:7]
	global_store_byte v[0:1], v4, off
.LBB329_345:
	s_mov_b64 s[6:7], -1
.LBB329_346:
	s_mov_b64 s[8:9], 0
.LBB329_347:
	s_and_b64 vcc, exec, s[8:9]
	s_cbranch_vccz .LBB329_388
; %bb.348:
	s_cmp_gt_i32 s13, 22
	s_mov_b64 s[8:9], -1
	s_cbranch_scc0 .LBB329_380
; %bb.349:
	s_cmp_lt_i32 s13, 24
	s_mov_b64 s[6:7], -1
	s_cbranch_scc1 .LBB329_369
; %bb.350:
	s_cmp_gt_i32 s13, 24
	s_cbranch_scc0 .LBB329_358
; %bb.351:
	v_and_b32_e32 v3, 0x7fffffff, v2
	s_mov_b32 s6, 0x47800000
	v_cmp_gt_u32_e32 vcc, s6, v3
	v_mov_b32_e32 v4, 0x80
	s_and_saveexec_b64 s[6:7], vcc
	s_cbranch_execz .LBB329_357
; %bb.352:
	s_mov_b32 s8, 0x37ffffff
	v_cmp_lt_u32_e32 vcc, s8, v3
	s_mov_b64 s[8:9], 0
                                        ; implicit-def: $vgpr3
	s_and_saveexec_b64 s[10:11], vcc
	s_xor_b64 s[10:11], exec, s[10:11]
	s_cbranch_execz .LBB329_576
; %bb.353:
	v_bfe_u32 v3, v2, 21, 1
	s_mov_b32 s14, 0x88fffff
	v_add3_u32 v3, v2, v3, s14
	s_mov_b64 s[8:9], exec
	v_lshrrev_b32_e32 v3, 21, v3
	s_andn2_saveexec_b64 s[10:11], s[10:11]
	s_cbranch_execnz .LBB329_577
.LBB329_354:
	s_or_b64 exec, exec, s[10:11]
	v_mov_b32_e32 v4, 0
	s_and_saveexec_b64 s[10:11], s[8:9]
.LBB329_355:
	v_lshrrev_b32_e32 v4, 24, v2
	s_movk_i32 s8, 0x80
	v_and_or_b32 v4, v4, s8, v3
.LBB329_356:
	s_or_b64 exec, exec, s[10:11]
.LBB329_357:
	s_or_b64 exec, exec, s[6:7]
	s_mov_b64 s[6:7], 0
	global_store_byte v[0:1], v4, off
.LBB329_358:
	s_and_b64 vcc, exec, s[6:7]
	s_cbranch_vccz .LBB329_368
; %bb.359:
	v_and_b32_e32 v4, 0x7fffffff, v2
	s_mov_b32 s6, 0x43f00000
	v_cmp_gt_u32_e32 vcc, s6, v4
                                        ; implicit-def: $vgpr3
	s_and_saveexec_b64 s[6:7], vcc
	s_xor_b64 s[6:7], exec, s[6:7]
	s_cbranch_execz .LBB329_365
; %bb.360:
	s_mov_b32 s8, 0x3c7fffff
	v_cmp_lt_u32_e32 vcc, s8, v4
                                        ; implicit-def: $vgpr3
	s_and_saveexec_b64 s[8:9], vcc
	s_xor_b64 s[8:9], exec, s[8:9]
; %bb.361:
	v_bfe_u32 v3, v2, 20, 1
	s_mov_b32 s10, 0x407ffff
	v_add3_u32 v3, v2, v3, s10
	v_lshrrev_b32_e32 v4, 20, v3
	v_and_b32_e32 v3, 0xff00000, v3
	s_mov_b32 s10, 0x7f00000
	v_mov_b32_e32 v5, 0x7e
	v_cmp_ne_u32_e32 vcc, s10, v3
	s_nop 1
	v_cndmask_b32_e32 v3, v5, v4, vcc
; %bb.362:
	s_andn2_saveexec_b64 s[8:9], s[8:9]
; %bb.363:
	s_mov_b32 s10, 0x46800000
	v_add_f32_e64 v3, |v2|, s10
; %bb.364:
	s_or_b64 exec, exec, s[8:9]
                                        ; implicit-def: $vgpr4
.LBB329_365:
	s_andn2_saveexec_b64 s[6:7], s[6:7]
; %bb.366:
	s_mov_b32 s8, 0x7f800000
	v_mov_b32_e32 v3, 0x7e
	v_mov_b32_e32 v5, 0x7f
	v_cmp_lt_u32_e32 vcc, s8, v4
	s_nop 1
	v_cndmask_b32_e32 v3, v3, v5, vcc
; %bb.367:
	s_or_b64 exec, exec, s[6:7]
	v_lshrrev_b32_e32 v4, 24, v2
	s_movk_i32 s6, 0x80
	v_and_or_b32 v3, v4, s6, v3
	global_store_byte v[0:1], v3, off
.LBB329_368:
	s_mov_b64 s[6:7], 0
.LBB329_369:
	s_andn2_b64 vcc, exec, s[6:7]
	s_cbranch_vccnz .LBB329_379
; %bb.370:
	v_and_b32_e32 v4, 0x7fffffff, v2
	s_mov_b32 s6, 0x47800000
	v_cmp_gt_u32_e32 vcc, s6, v4
                                        ; implicit-def: $vgpr3
	s_and_saveexec_b64 s[6:7], vcc
	s_xor_b64 s[6:7], exec, s[6:7]
	s_cbranch_execz .LBB329_376
; %bb.371:
	s_mov_b32 s8, 0x387fffff
	v_cmp_lt_u32_e32 vcc, s8, v4
                                        ; implicit-def: $vgpr3
	s_and_saveexec_b64 s[8:9], vcc
	s_xor_b64 s[8:9], exec, s[8:9]
; %bb.372:
	v_bfe_u32 v3, v2, 21, 1
	s_mov_b32 s10, 0x80fffff
	v_add3_u32 v3, v2, v3, s10
	v_lshrrev_b32_e32 v3, 21, v3
; %bb.373:
	s_andn2_saveexec_b64 s[8:9], s[8:9]
; %bb.374:
	s_mov_b32 s10, 0x43000000
	v_add_f32_e64 v3, |v2|, s10
; %bb.375:
	s_or_b64 exec, exec, s[8:9]
                                        ; implicit-def: $vgpr4
.LBB329_376:
	s_andn2_saveexec_b64 s[6:7], s[6:7]
; %bb.377:
	s_mov_b32 s8, 0x7f800000
	v_mov_b32_e32 v3, 0x7c
	v_mov_b32_e32 v5, 0x7f
	v_cmp_lt_u32_e32 vcc, s8, v4
	s_nop 1
	v_cndmask_b32_e32 v3, v3, v5, vcc
; %bb.378:
	s_or_b64 exec, exec, s[6:7]
	v_lshrrev_b32_e32 v4, 24, v2
	s_movk_i32 s6, 0x80
	v_and_or_b32 v3, v4, s6, v3
	global_store_byte v[0:1], v3, off
.LBB329_379:
	s_mov_b64 s[8:9], 0
	s_mov_b64 s[6:7], -1
.LBB329_380:
	s_andn2_b64 vcc, exec, s[8:9]
	s_cbranch_vccnz .LBB329_388
; %bb.381:
	s_cmp_gt_i32 s13, 14
	s_mov_b64 s[8:9], -1
	s_cbranch_scc0 .LBB329_385
; %bb.382:
	s_cmp_eq_u32 s13, 15
	s_mov_b64 s[2:3], -1
	s_cbranch_scc0 .LBB329_384
; %bb.383:
	v_bfe_u32 v3, v2, 16, 1
	s_movk_i32 s2, 0x7fff
	v_add3_u32 v3, v2, v3, s2
	v_cmp_o_f32_e32 vcc, v2, v2
	v_mov_b32_e32 v4, 0x7fc0
	s_mov_b64 s[6:7], -1
	v_cndmask_b32_sdwa v3, v4, v3, vcc dst_sel:DWORD dst_unused:UNUSED_PAD src0_sel:DWORD src1_sel:WORD_1
	global_store_short v[0:1], v3, off
	s_mov_b64 s[2:3], 0
.LBB329_384:
	s_mov_b64 s[8:9], 0
.LBB329_385:
	s_and_b64 vcc, exec, s[8:9]
	s_cbranch_vccz .LBB329_388
; %bb.386:
	s_cmp_eq_u32 s13, 11
	s_mov_b64 s[2:3], -1
	s_cbranch_scc0 .LBB329_388
; %bb.387:
	v_cmp_neq_f32_e32 vcc, 0, v2
	s_mov_b64 s[6:7], -1
	s_mov_b64 s[2:3], 0
	v_cndmask_b32_e64 v3, 0, 1, vcc
	global_store_byte v[0:1], v3, off
.LBB329_388:
	s_mov_b64 s[8:9], 0
.LBB329_389:
	s_and_b64 vcc, exec, s[8:9]
	s_cbranch_vccz .LBB329_428
; %bb.390:
	s_and_b32 s8, 0xffff, s12
	s_cmp_lt_i32 s8, 5
	s_mov_b64 s[6:7], -1
	s_cbranch_scc1 .LBB329_411
; %bb.391:
	s_cmp_lt_i32 s8, 8
	s_cbranch_scc1 .LBB329_401
; %bb.392:
	s_cmp_lt_i32 s8, 9
	s_cbranch_scc1 .LBB329_398
; %bb.393:
	s_cmp_gt_i32 s8, 9
	s_cbranch_scc0 .LBB329_395
; %bb.394:
	v_mov_b32_e32 v6, 0
	v_cvt_f64_f32_e32 v[4:5], v2
	v_mov_b32_e32 v7, v6
	s_mov_b64 s[6:7], 0
	global_store_dwordx4 v[0:1], v[4:7], off
.LBB329_395:
	s_andn2_b64 vcc, exec, s[6:7]
	s_cbranch_vccnz .LBB329_397
; %bb.396:
	v_mov_b32_e32 v3, 0
	global_store_dwordx2 v[0:1], v[2:3], off
.LBB329_397:
	s_mov_b64 s[6:7], 0
.LBB329_398:
	s_andn2_b64 vcc, exec, s[6:7]
	s_cbranch_vccnz .LBB329_400
; %bb.399:
	v_cvt_f16_f32_e32 v3, v2
	global_store_dword v[0:1], v3, off
.LBB329_400:
	s_mov_b64 s[6:7], 0
.LBB329_401:
	s_andn2_b64 vcc, exec, s[6:7]
	s_cbranch_vccnz .LBB329_410
; %bb.402:
	s_cmp_lt_i32 s8, 6
	s_mov_b64 s[6:7], -1
	s_cbranch_scc1 .LBB329_408
; %bb.403:
	s_cmp_gt_i32 s8, 6
	s_cbranch_scc0 .LBB329_405
; %bb.404:
	v_cvt_f64_f32_e32 v[4:5], v2
	s_mov_b64 s[6:7], 0
	global_store_dwordx2 v[0:1], v[4:5], off
.LBB329_405:
	s_andn2_b64 vcc, exec, s[6:7]
	s_cbranch_vccnz .LBB329_407
; %bb.406:
	global_store_dword v[0:1], v2, off
.LBB329_407:
	s_mov_b64 s[6:7], 0
.LBB329_408:
	s_andn2_b64 vcc, exec, s[6:7]
	s_cbranch_vccnz .LBB329_410
; %bb.409:
	v_cvt_f16_f32_e32 v3, v2
	global_store_short v[0:1], v3, off
.LBB329_410:
	s_mov_b64 s[6:7], 0
.LBB329_411:
	s_andn2_b64 vcc, exec, s[6:7]
	s_cbranch_vccnz .LBB329_427
; %bb.412:
	s_cmp_lt_i32 s8, 2
	s_mov_b64 s[6:7], -1
	s_cbranch_scc1 .LBB329_422
; %bb.413:
	s_cmp_lt_i32 s8, 3
	s_cbranch_scc1 .LBB329_419
; %bb.414:
	s_cmp_gt_i32 s8, 3
	s_cbranch_scc0 .LBB329_416
; %bb.415:
	v_trunc_f32_e32 v3, v2
	s_mov_b32 s6, 0x2f800000
	v_mul_f32_e64 v4, |v3|, s6
	v_floor_f32_e32 v4, v4
	s_mov_b32 s6, 0xcf800000
	v_cvt_u32_f32_e32 v5, v4
	v_fma_f32 v4, v4, s6, |v3|
	v_cvt_u32_f32_e32 v4, v4
	v_ashrrev_i32_e32 v3, 31, v3
	v_xor_b32_e32 v5, v5, v3
	s_mov_b64 s[6:7], 0
	v_xor_b32_e32 v4, v4, v3
	v_sub_co_u32_e32 v4, vcc, v4, v3
	s_nop 1
	v_subb_co_u32_e32 v5, vcc, v5, v3, vcc
	global_store_dwordx2 v[0:1], v[4:5], off
.LBB329_416:
	s_andn2_b64 vcc, exec, s[6:7]
	s_cbranch_vccnz .LBB329_418
; %bb.417:
	v_cvt_i32_f32_e32 v3, v2
	global_store_dword v[0:1], v3, off
.LBB329_418:
	s_mov_b64 s[6:7], 0
.LBB329_419:
	s_andn2_b64 vcc, exec, s[6:7]
	s_cbranch_vccnz .LBB329_421
; %bb.420:
	v_cvt_i32_f32_e32 v3, v2
	global_store_short v[0:1], v3, off
.LBB329_421:
	s_mov_b64 s[6:7], 0
.LBB329_422:
	s_andn2_b64 vcc, exec, s[6:7]
	s_cbranch_vccnz .LBB329_427
; %bb.423:
	s_cmp_gt_i32 s8, 0
	s_mov_b64 s[6:7], -1
	s_cbranch_scc0 .LBB329_425
; %bb.424:
	v_cvt_i32_f32_e32 v3, v2
	s_mov_b64 s[6:7], 0
	global_store_byte v[0:1], v3, off
.LBB329_425:
	s_andn2_b64 vcc, exec, s[6:7]
	s_cbranch_vccnz .LBB329_427
; %bb.426:
	v_trunc_f32_e32 v2, v2
	s_mov_b32 s6, 0x2f800000
	v_mul_f32_e64 v3, |v2|, s6
	v_floor_f32_e32 v3, v3
	s_mov_b32 s6, 0xcf800000
	v_fma_f32 v3, v3, s6, |v2|
	v_cvt_u32_f32_e32 v3, v3
	v_ashrrev_i32_e32 v2, 31, v2
	v_xor_b32_e32 v3, v3, v2
	v_sub_u32_e32 v2, v3, v2
	global_store_byte v[0:1], v2, off
.LBB329_427:
	s_mov_b64 s[6:7], -1
.LBB329_428:
	s_andn2_b64 vcc, exec, s[6:7]
	s_cbranch_vccnz .LBB329_430
; %bb.429:
	v_add_u32_e32 v8, 0x80, v8
	s_mov_b64 s[6:7], -1
	s_branch .LBB329_543
.LBB329_430:
	s_mov_b64 s[6:7], 0
	s_branch .LBB329_542
.LBB329_431:
	s_mov_b64 s[4:5], -1
                                        ; implicit-def: $vgpr1
.LBB329_432:
	s_mov_b64 s[6:7], 0
.LBB329_433:
	s_and_b64 vcc, exec, s[6:7]
	s_cbranch_vccz .LBB329_437
; %bb.434:
	s_cmp_eq_u32 s10, 29
	s_cbranch_scc0 .LBB329_436
; %bb.435:
	global_load_dwordx2 v[4:5], v[2:3], off
	s_mov_b64 s[2:3], -1
	s_mov_b64 s[4:5], 0
	s_mov_b64 s[6:7], 0
	s_waitcnt vmcnt(0)
	v_ffbh_u32_e32 v1, v5
	v_min_u32_e32 v1, 32, v1
	v_lshlrev_b64 v[4:5], v1, v[4:5]
	v_min_u32_e32 v4, 1, v4
	v_or_b32_e32 v4, v5, v4
	v_cvt_f32_u32_e32 v4, v4
	v_sub_u32_e32 v1, 32, v1
	v_ldexp_f32 v1, v4, v1
	s_branch .LBB329_438
.LBB329_436:
	s_mov_b64 s[4:5], -1
                                        ; implicit-def: $vgpr1
.LBB329_437:
	s_mov_b64 s[6:7], 0
.LBB329_438:
	s_and_b64 vcc, exec, s[6:7]
	s_cbranch_vccz .LBB329_456
; %bb.439:
	s_cmp_lt_i32 s10, 27
	s_cbranch_scc1 .LBB329_442
; %bb.440:
	s_cmp_gt_i32 s10, 27
	s_cbranch_scc0 .LBB329_443
; %bb.441:
	global_load_dword v1, v[2:3], off
	s_mov_b64 s[2:3], 0
	s_waitcnt vmcnt(0)
	v_cvt_f32_u32_e32 v1, v1
	s_branch .LBB329_444
.LBB329_442:
	s_mov_b64 s[2:3], -1
                                        ; implicit-def: $vgpr1
	s_branch .LBB329_447
.LBB329_443:
	s_mov_b64 s[2:3], -1
                                        ; implicit-def: $vgpr1
.LBB329_444:
	s_andn2_b64 vcc, exec, s[2:3]
	s_cbranch_vccnz .LBB329_446
; %bb.445:
	global_load_ushort v1, v[2:3], off
	s_waitcnt vmcnt(0)
	v_cvt_f32_u32_e32 v1, v1
.LBB329_446:
	s_mov_b64 s[2:3], 0
.LBB329_447:
	s_andn2_b64 vcc, exec, s[2:3]
	s_cbranch_vccnz .LBB329_455
; %bb.448:
	global_load_ubyte v4, v[2:3], off
	s_movk_i32 s2, 0x7f
	s_waitcnt vmcnt(0)
	v_cmp_lt_i16_e32 vcc, s2, v4
	s_mov_b64 s[2:3], 0
	s_and_saveexec_b64 s[6:7], vcc
	s_xor_b64 s[6:7], exec, s[6:7]
	s_cbranch_execz .LBB329_469
; %bb.449:
	s_movk_i32 s2, 0x80
	v_cmp_eq_u16_e32 vcc, s2, v4
	s_mov_b64 s[2:3], -1
	s_and_saveexec_b64 s[8:9], vcc
; %bb.450:
	s_xor_b64 s[2:3], exec, -1
; %bb.451:
	s_or_b64 exec, exec, s[8:9]
	s_and_b64 s[2:3], s[2:3], exec
	s_or_saveexec_b64 s[6:7], s[6:7]
	v_mov_b32_e32 v1, 0x7f800001
	s_xor_b64 exec, exec, s[6:7]
	s_cbranch_execnz .LBB329_470
.LBB329_452:
	s_or_b64 exec, exec, s[6:7]
	s_and_saveexec_b64 s[6:7], s[2:3]
	s_cbranch_execz .LBB329_454
.LBB329_453:
	v_lshlrev_b32_e32 v1, 24, v4
	v_and_b32_e32 v4, 0xffff, v4
	v_and_b32_e32 v5, 7, v4
	v_ffbh_u32_e32 v7, v5
	v_min_u32_e32 v7, 32, v7
	v_subrev_u32_e32 v9, 28, v7
	v_bfe_u32 v6, v4, 3, 4
	v_lshlrev_b32_e32 v4, v9, v4
	v_sub_u32_e32 v7, 29, v7
	v_and_b32_e32 v4, 7, v4
	v_cmp_eq_u32_e32 vcc, 0, v6
	v_and_b32_e32 v1, 0x80000000, v1
	s_nop 0
	v_cndmask_b32_e32 v6, v6, v7, vcc
	v_cndmask_b32_e32 v4, v5, v4, vcc
	v_mov_b32_e32 v5, 0x3b800000
	v_lshlrev_b32_e32 v4, 20, v4
	v_lshl_add_u32 v5, v6, 23, v5
	v_or3_b32 v1, v1, v5, v4
.LBB329_454:
	s_or_b64 exec, exec, s[6:7]
.LBB329_455:
	s_mov_b64 s[2:3], -1
.LBB329_456:
	s_mov_b64 s[6:7], 0
.LBB329_457:
	s_and_b64 vcc, exec, s[6:7]
	s_cbranch_vccz .LBB329_492
; %bb.458:
	s_cmp_gt_i32 s10, 22
	s_cbranch_scc0 .LBB329_468
; %bb.459:
	s_cmp_lt_i32 s10, 24
	s_cbranch_scc1 .LBB329_471
; %bb.460:
	s_cmp_gt_i32 s10, 24
	s_cbranch_scc0 .LBB329_472
; %bb.461:
	global_load_ubyte v4, v[2:3], off
	s_movk_i32 s2, 0x7f
	s_waitcnt vmcnt(0)
	v_cmp_lt_i16_e32 vcc, s2, v4
	s_mov_b64 s[2:3], 0
	s_and_saveexec_b64 s[6:7], vcc
	s_xor_b64 s[6:7], exec, s[6:7]
	s_cbranch_execz .LBB329_484
; %bb.462:
	s_movk_i32 s2, 0x80
	v_cmp_eq_u16_e32 vcc, s2, v4
	s_mov_b64 s[2:3], -1
	s_and_saveexec_b64 s[8:9], vcc
; %bb.463:
	s_xor_b64 s[2:3], exec, -1
; %bb.464:
	s_or_b64 exec, exec, s[8:9]
	s_and_b64 s[2:3], s[2:3], exec
	s_or_saveexec_b64 s[6:7], s[6:7]
	v_mov_b32_e32 v1, 0x7f800001
	s_xor_b64 exec, exec, s[6:7]
	s_cbranch_execnz .LBB329_485
.LBB329_465:
	s_or_b64 exec, exec, s[6:7]
	s_and_saveexec_b64 s[6:7], s[2:3]
	s_cbranch_execz .LBB329_467
.LBB329_466:
	v_lshlrev_b32_e32 v1, 24, v4
	v_and_b32_e32 v4, 0xffff, v4
	v_and_b32_e32 v5, 3, v4
	v_ffbh_u32_e32 v7, v5
	v_min_u32_e32 v7, 32, v7
	v_subrev_u32_e32 v9, 29, v7
	v_bfe_u32 v6, v4, 2, 5
	v_lshlrev_b32_e32 v4, v9, v4
	v_sub_u32_e32 v7, 30, v7
	v_and_b32_e32 v4, 3, v4
	v_cmp_eq_u32_e32 vcc, 0, v6
	v_and_b32_e32 v1, 0x80000000, v1
	s_nop 0
	v_cndmask_b32_e32 v6, v6, v7, vcc
	v_cndmask_b32_e32 v4, v5, v4, vcc
	v_mov_b32_e32 v5, 0x37800000
	v_lshlrev_b32_e32 v4, 21, v4
	v_lshl_add_u32 v5, v6, 23, v5
	v_or3_b32 v1, v1, v5, v4
.LBB329_467:
	s_or_b64 exec, exec, s[6:7]
	s_mov_b64 s[2:3], 0
	s_branch .LBB329_473
.LBB329_468:
	s_mov_b64 s[6:7], -1
                                        ; implicit-def: $vgpr1
	s_branch .LBB329_479
.LBB329_469:
	s_or_saveexec_b64 s[6:7], s[6:7]
	v_mov_b32_e32 v1, 0x7f800001
	s_xor_b64 exec, exec, s[6:7]
	s_cbranch_execz .LBB329_452
.LBB329_470:
	v_cmp_ne_u16_e32 vcc, 0, v4
	s_andn2_b64 s[2:3], s[2:3], exec
	s_and_b64 s[8:9], vcc, exec
	v_mov_b32_e32 v1, 0
	s_or_b64 s[2:3], s[2:3], s[8:9]
	s_or_b64 exec, exec, s[6:7]
	s_and_saveexec_b64 s[6:7], s[2:3]
	s_cbranch_execnz .LBB329_453
	s_branch .LBB329_454
.LBB329_471:
	s_mov_b64 s[2:3], -1
                                        ; implicit-def: $vgpr1
	s_branch .LBB329_476
.LBB329_472:
	s_mov_b64 s[2:3], -1
                                        ; implicit-def: $vgpr1
.LBB329_473:
	s_and_b64 vcc, exec, s[2:3]
	s_cbranch_vccz .LBB329_475
; %bb.474:
	global_load_ubyte v1, v[2:3], off
	s_mov_b32 s2, 0x7f800000
	s_waitcnt vmcnt(0)
	v_lshlrev_b32_e32 v1, 24, v1
	v_and_b32_e32 v4, 0x7f000000, v1
	v_ffbh_u32_e32 v5, v4
	v_min_u32_e32 v5, 32, v5
	v_sub_u32_e64 v5, v5, 4 clamp
	v_lshlrev_b32_e32 v7, v5, v4
	v_lshlrev_b32_e32 v5, 23, v5
	v_lshrrev_b32_e32 v7, 4, v7
	v_add_u32_e32 v6, 0x1000000, v4
	v_sub_u32_e32 v5, v7, v5
	v_ashrrev_i32_e32 v6, 8, v6
	v_add_u32_e32 v5, 0x3c000000, v5
	v_and_or_b32 v5, v6, s2, v5
	v_cmp_ne_u32_e32 vcc, 0, v4
	s_brev_b32 s2, 1
	s_nop 0
	v_cndmask_b32_e32 v4, 0, v5, vcc
	v_and_or_b32 v1, v1, s2, v4
.LBB329_475:
	s_mov_b64 s[2:3], 0
.LBB329_476:
	s_andn2_b64 vcc, exec, s[2:3]
	s_cbranch_vccnz .LBB329_478
; %bb.477:
	global_load_ubyte v1, v[2:3], off
	s_movk_i32 s2, 0x7f00
	s_brev_b32 s3, 16
	s_waitcnt vmcnt(0)
	v_lshlrev_b16_e32 v4, 8, v1
	v_lshlrev_b32_e32 v1, 25, v1
	v_lshrrev_b32_e32 v5, 4, v1
	v_and_or_b32 v6, v4, s2, 0.5
	v_or_b32_e32 v5, 0x70000000, v5
	v_add_f32_e32 v6, -0.5, v6
	v_mul_f32_e32 v5, 0x7800000, v5
	v_cmp_gt_u32_e32 vcc, s3, v1
	v_bfe_i32 v4, v4, 0, 16
	s_brev_b32 s2, 1
	v_cndmask_b32_e32 v1, v5, v6, vcc
	v_and_or_b32 v1, v4, s2, v1
.LBB329_478:
	s_mov_b64 s[6:7], 0
	s_mov_b64 s[2:3], -1
.LBB329_479:
	s_andn2_b64 vcc, exec, s[6:7]
	s_cbranch_vccnz .LBB329_492
; %bb.480:
	s_cmp_gt_i32 s10, 14
	s_cbranch_scc0 .LBB329_483
; %bb.481:
	s_cmp_eq_u32 s10, 15
	s_cbranch_scc0 .LBB329_486
; %bb.482:
	global_load_ushort v1, v[2:3], off
	s_mov_b64 s[2:3], -1
	s_mov_b64 s[4:5], 0
	s_waitcnt vmcnt(0)
	v_lshlrev_b32_e32 v1, 16, v1
	s_branch .LBB329_487
.LBB329_483:
	s_mov_b64 s[6:7], -1
                                        ; implicit-def: $vgpr1
	s_branch .LBB329_488
.LBB329_484:
	s_or_saveexec_b64 s[6:7], s[6:7]
	v_mov_b32_e32 v1, 0x7f800001
	s_xor_b64 exec, exec, s[6:7]
	s_cbranch_execz .LBB329_465
.LBB329_485:
	v_cmp_ne_u16_e32 vcc, 0, v4
	s_andn2_b64 s[2:3], s[2:3], exec
	s_and_b64 s[8:9], vcc, exec
	v_mov_b32_e32 v1, 0
	s_or_b64 s[2:3], s[2:3], s[8:9]
	s_or_b64 exec, exec, s[6:7]
	s_and_saveexec_b64 s[6:7], s[2:3]
	s_cbranch_execnz .LBB329_466
	s_branch .LBB329_467
.LBB329_486:
	s_mov_b64 s[4:5], -1
                                        ; implicit-def: $vgpr1
.LBB329_487:
	s_mov_b64 s[6:7], 0
.LBB329_488:
	s_and_b64 vcc, exec, s[6:7]
	s_cbranch_vccz .LBB329_492
; %bb.489:
	s_cmp_eq_u32 s10, 11
	s_cbranch_scc0 .LBB329_491
; %bb.490:
	global_load_ubyte v1, v[2:3], off
	s_mov_b64 s[2:3], -1
	s_mov_b64 s[4:5], 0
	s_waitcnt vmcnt(0)
	v_cmp_ne_u16_e32 vcc, 0, v1
	s_nop 1
	v_cndmask_b32_e64 v1, 0, 1.0, vcc
	s_branch .LBB329_492
.LBB329_491:
	s_mov_b64 s[4:5], -1
                                        ; implicit-def: $vgpr1
.LBB329_492:
	s_branch .LBB329_295
.LBB329_493:
	s_cmp_lt_i32 s10, 5
	s_cbranch_scc1 .LBB329_498
; %bb.494:
	s_cmp_lt_i32 s10, 8
	s_cbranch_scc1 .LBB329_499
; %bb.495:
	;; [unrolled: 3-line block ×3, first 2 shown]
	s_cmp_gt_i32 s10, 9
	s_cbranch_scc0 .LBB329_501
; %bb.497:
	global_load_dwordx2 v[4:5], v[2:3], off
	s_mov_b64 s[2:3], 0
	s_waitcnt vmcnt(0)
	v_cvt_f32_f64_e32 v1, v[4:5]
	s_branch .LBB329_502
.LBB329_498:
	s_mov_b64 s[2:3], -1
                                        ; implicit-def: $vgpr1
	s_branch .LBB329_520
.LBB329_499:
	s_mov_b64 s[2:3], -1
                                        ; implicit-def: $vgpr1
	s_branch .LBB329_508
.LBB329_500:
	s_mov_b64 s[2:3], -1
                                        ; implicit-def: $vgpr1
	s_branch .LBB329_505
.LBB329_501:
	s_mov_b64 s[2:3], -1
                                        ; implicit-def: $vgpr1
.LBB329_502:
	s_andn2_b64 vcc, exec, s[2:3]
	s_cbranch_vccnz .LBB329_504
; %bb.503:
	global_load_dword v1, v[2:3], off
.LBB329_504:
	s_mov_b64 s[2:3], 0
.LBB329_505:
	s_andn2_b64 vcc, exec, s[2:3]
	s_cbranch_vccnz .LBB329_507
; %bb.506:
	global_load_dword v1, v[2:3], off
	s_waitcnt vmcnt(0)
	v_cvt_f32_f16_e32 v1, v1
.LBB329_507:
	s_mov_b64 s[2:3], 0
.LBB329_508:
	s_andn2_b64 vcc, exec, s[2:3]
	s_cbranch_vccnz .LBB329_519
; %bb.509:
	s_cmp_lt_i32 s10, 6
	s_cbranch_scc1 .LBB329_512
; %bb.510:
	s_cmp_gt_i32 s10, 6
	s_cbranch_scc0 .LBB329_513
; %bb.511:
	global_load_dwordx2 v[4:5], v[2:3], off
	s_mov_b64 s[2:3], 0
	s_waitcnt vmcnt(0)
	v_cvt_f32_f64_e32 v1, v[4:5]
	s_branch .LBB329_514
.LBB329_512:
	s_mov_b64 s[2:3], -1
                                        ; implicit-def: $vgpr1
	s_branch .LBB329_517
.LBB329_513:
	s_mov_b64 s[2:3], -1
                                        ; implicit-def: $vgpr1
.LBB329_514:
	s_andn2_b64 vcc, exec, s[2:3]
	s_cbranch_vccnz .LBB329_516
; %bb.515:
	global_load_dword v1, v[2:3], off
.LBB329_516:
	s_mov_b64 s[2:3], 0
.LBB329_517:
	s_andn2_b64 vcc, exec, s[2:3]
	s_cbranch_vccnz .LBB329_519
; %bb.518:
	global_load_ushort v1, v[2:3], off
	s_waitcnt vmcnt(0)
	v_cvt_f32_f16_e32 v1, v1
.LBB329_519:
	s_mov_b64 s[2:3], 0
.LBB329_520:
	s_andn2_b64 vcc, exec, s[2:3]
	s_cbranch_vccnz .LBB329_540
; %bb.521:
	s_cmp_lt_i32 s10, 2
	s_cbranch_scc1 .LBB329_525
; %bb.522:
	s_cmp_lt_i32 s10, 3
	s_cbranch_scc1 .LBB329_526
; %bb.523:
	s_cmp_gt_i32 s10, 3
	s_cbranch_scc0 .LBB329_527
; %bb.524:
	global_load_dwordx2 v[4:5], v[2:3], off
	s_mov_b64 s[2:3], 0
	s_waitcnt vmcnt(0)
	v_xor_b32_e32 v6, v4, v5
	v_ffbh_i32_e32 v1, v5
	v_ashrrev_i32_e32 v6, 31, v6
	v_add_u32_e32 v1, -1, v1
	v_add_u32_e32 v6, 32, v6
	v_min_u32_e32 v1, v1, v6
	v_lshlrev_b64 v[4:5], v1, v[4:5]
	v_min_u32_e32 v4, 1, v4
	v_or_b32_e32 v4, v5, v4
	v_cvt_f32_i32_e32 v4, v4
	v_sub_u32_e32 v1, 32, v1
	v_ldexp_f32 v1, v4, v1
	s_branch .LBB329_528
.LBB329_525:
	s_mov_b64 s[2:3], -1
                                        ; implicit-def: $vgpr1
	s_branch .LBB329_534
.LBB329_526:
	s_mov_b64 s[2:3], -1
                                        ; implicit-def: $vgpr1
	s_branch .LBB329_531
.LBB329_527:
	s_mov_b64 s[2:3], -1
                                        ; implicit-def: $vgpr1
.LBB329_528:
	s_andn2_b64 vcc, exec, s[2:3]
	s_cbranch_vccnz .LBB329_530
; %bb.529:
	global_load_dword v1, v[2:3], off
	s_waitcnt vmcnt(0)
	v_cvt_f32_i32_e32 v1, v1
.LBB329_530:
	s_mov_b64 s[2:3], 0
.LBB329_531:
	s_andn2_b64 vcc, exec, s[2:3]
	s_cbranch_vccnz .LBB329_533
; %bb.532:
	global_load_sshort v1, v[2:3], off
	s_waitcnt vmcnt(0)
	v_cvt_f32_i32_e32 v1, v1
.LBB329_533:
	s_mov_b64 s[2:3], 0
.LBB329_534:
	s_andn2_b64 vcc, exec, s[2:3]
	s_cbranch_vccnz .LBB329_540
; %bb.535:
	s_cmp_gt_i32 s10, 0
	s_cbranch_scc0 .LBB329_537
; %bb.536:
	global_load_sbyte v1, v[2:3], off
	s_mov_b64 s[2:3], 0
	s_waitcnt vmcnt(0)
	v_cvt_f32_i32_e32 v1, v1
	s_branch .LBB329_538
.LBB329_537:
	s_mov_b64 s[2:3], -1
                                        ; implicit-def: $vgpr1
.LBB329_538:
	s_andn2_b64 vcc, exec, s[2:3]
	s_cbranch_vccnz .LBB329_540
; %bb.539:
	global_load_ubyte v1, v[2:3], off
	s_waitcnt vmcnt(0)
	v_cvt_f32_ubyte0_e32 v1, v1
.LBB329_540:
	s_branch .LBB329_296
.LBB329_541:
	s_mov_b64 s[6:7], 0
	s_mov_b64 s[2:3], s[56:57]
.LBB329_542:
                                        ; implicit-def: $vgpr8
.LBB329_543:
	s_andn2_b64 s[8:9], s[56:57], exec
	s_and_b64 s[2:3], s[2:3], exec
	s_or_b64 s[64:65], s[8:9], s[2:3]
	s_andn2_b64 s[2:3], s[58:59], exec
	s_and_b64 s[4:5], s[4:5], exec
	s_or_b64 s[62:63], s[2:3], s[4:5]
	s_orn2_b64 s[2:3], s[6:7], exec
.LBB329_544:
	s_or_b64 exec, exec, s[66:67]
	s_mov_b64 s[4:5], 0
	s_mov_b64 s[6:7], 0
	;; [unrolled: 1-line block ×3, first 2 shown]
                                        ; implicit-def: $vgpr2_vgpr3
                                        ; implicit-def: $vgpr0
                                        ; implicit-def: $vgpr1
	s_and_saveexec_b64 s[66:67], s[2:3]
	s_cbranch_execz .LBB329_921
; %bb.545:
	v_cmp_gt_i32_e32 vcc, s72, v8
	s_mov_b64 s[6:7], -1
	s_mov_b64 s[2:3], s[62:63]
	s_mov_b64 s[70:71], s[64:65]
	s_and_saveexec_b64 s[68:69], vcc
	s_cbranch_execz .LBB329_820
; %bb.546:
	s_andn2_b64 vcc, exec, s[42:43]
	s_cbranch_vccnz .LBB329_552
; %bb.547:
	s_andn2_b64 vcc, exec, s[54:55]
	s_cbranch_vccnz .LBB329_553
; %bb.548:
	s_add_i32 s78, s77, 1
	s_cmp_eq_u32 s74, 2
	s_cbranch_scc1 .LBB329_554
; %bb.549:
	s_and_b32 s73, s78, 28
	s_mov_b32 s79, 0
	v_mov_b32_e32 v0, 0
	v_mov_b32_e32 v2, 0
	s_mov_b64 s[2:3], s[34:35]
	s_mov_b64 s[70:71], s[52:53]
	v_mov_b32_e32 v4, v8
.LBB329_550:                            ; =>This Inner Loop Header: Depth=1
	s_load_dwordx8 s[12:19], s[2:3], 0x4
	s_load_dwordx4 s[36:39], s[2:3], 0x24
	s_load_dwordx8 s[4:11], s[70:71], 0x0
	s_add_u32 s2, s2, 48
	s_addc_u32 s3, s3, 0
	s_waitcnt vmcnt(0) lgkmcnt(0)
	v_mul_hi_u32 v1, s13, v4
	v_add_u32_e32 v1, v4, v1
	v_lshrrev_b32_e32 v1, s14, v1
	v_mul_lo_u32 v3, v1, s12
	v_mul_hi_u32 v5, s16, v1
	v_sub_u32_e32 v3, v4, v3
	v_add_u32_e32 v4, v1, v5
	v_lshrrev_b32_e32 v4, s17, v4
	v_mul_lo_u32 v6, v4, s15
	v_mul_hi_u32 v7, s19, v4
	v_sub_u32_e32 v1, v1, v6
	v_add_u32_e32 v6, v4, v7
	v_mul_lo_u32 v5, v3, s5
	v_mul_lo_u32 v3, v3, s4
	;; [unrolled: 1-line block ×4, first 2 shown]
	v_lshrrev_b32_e32 v6, s36, v6
	v_add3_u32 v0, v3, v0, v1
	v_mul_hi_u32 v3, s38, v6
	v_add3_u32 v1, v5, v2, v7
	v_mul_lo_u32 v2, v6, s18
	v_add_u32_e32 v3, v6, v3
	v_sub_u32_e32 v2, v4, v2
	v_lshrrev_b32_e32 v4, s39, v3
	s_add_i32 s79, s79, 4
	v_mul_lo_u32 v3, v4, s37
	s_add_u32 s70, s70, 32
	v_sub_u32_e32 v3, v6, v3
	s_addc_u32 s71, s71, 0
	v_mul_lo_u32 v5, v2, s8
	v_mul_lo_u32 v2, v2, s9
	;; [unrolled: 1-line block ×4, first 2 shown]
	s_cmp_eq_u32 s73, s79
	v_add3_u32 v2, v2, v1, v3
	v_add3_u32 v0, v5, v0, v6
	s_cbranch_scc0 .LBB329_550
; %bb.551:
	v_mov_b32_e32 v1, v2
	s_branch .LBB329_555
.LBB329_552:
	s_mov_b64 s[2:3], -1
                                        ; implicit-def: $vgpr2
                                        ; implicit-def: $vgpr0
	s_branch .LBB329_559
.LBB329_553:
	v_mov_b32_e32 v2, 0
	v_mov_b32_e32 v0, 0
	s_branch .LBB329_558
.LBB329_554:
	v_mov_b32_e32 v0, 0
	s_mov_b32 s73, 0
	s_waitcnt vmcnt(0)
	v_mov_b32_e32 v1, v0
                                        ; implicit-def: $vgpr2
	v_mov_b32_e32 v4, v8
.LBB329_555:
	s_and_b32 s6, s78, 3
	s_cmp_eq_u32 s6, 0
	s_cbranch_scc1 .LBB329_558
; %bb.556:
	s_lshl_b32 s2, s73, 3
	s_add_u32 s2, s34, s2
	s_addc_u32 s3, s35, 0
	s_add_u32 s2, s2, 0xc4
	s_addc_u32 s3, s3, 0
	s_mul_i32 s4, s73, 12
	s_add_u32 s4, s34, s4
	s_addc_u32 s5, s35, 0
.LBB329_557:                            ; =>This Inner Loop Header: Depth=1
	s_load_dwordx2 s[8:9], s[4:5], 0x4
	s_load_dword s7, s[4:5], 0xc
	s_load_dwordx2 s[10:11], s[2:3], 0x0
	v_mov_b32_e32 v2, v1
	s_add_u32 s4, s4, 12
	s_waitcnt lgkmcnt(0)
	v_mul_hi_u32 v1, s9, v4
	v_add_u32_e32 v1, v4, v1
	v_lshrrev_b32_e32 v1, s7, v1
	s_addc_u32 s5, s5, 0
	v_mul_lo_u32 v3, v1, s8
	s_add_u32 s2, s2, 8
	v_sub_u32_e32 v5, v4, v3
	s_addc_u32 s3, s3, 0
	s_add_i32 s6, s6, -1
	v_mov_b32_e32 v4, v1
	v_mad_u64_u32 v[2:3], s[8:9], v5, s11, v[2:3]
	v_mad_u64_u32 v[0:1], s[8:9], v5, s10, v[0:1]
	s_cmp_lg_u32 s6, 0
	v_mov_b32_e32 v1, v2
	s_cbranch_scc1 .LBB329_557
.LBB329_558:
	s_mov_b64 s[2:3], 0
.LBB329_559:
	s_andn2_b64 vcc, exec, s[2:3]
	s_cbranch_vccnz .LBB329_562
; %bb.560:
	v_mul_hi_u32 v0, s25, v8
	v_add_u32_e32 v0, v8, v0
	s_waitcnt vmcnt(0)
	v_lshrrev_b32_e32 v1, s26, v0
	v_mul_lo_u32 v0, v1, s24
	v_sub_u32_e32 v0, v8, v0
	v_mul_lo_u32 v2, v0, s29
	s_andn2_b64 vcc, exec, s[50:51]
	v_mul_lo_u32 v0, v0, s28
	s_cbranch_vccnz .LBB329_562
; %bb.561:
	v_mul_hi_u32 v3, s48, v1
	v_add_u32_e32 v3, v1, v3
	v_lshrrev_b32_e32 v3, s49, v3
	v_mul_lo_u32 v3, v3, s27
	v_sub_u32_e32 v3, v1, v3
	v_mad_u64_u32 v[0:1], s[2:3], v3, s30, v[0:1]
	v_mad_u64_u32 v[2:3], s[2:3], v3, s31, v[2:3]
.LBB329_562:
	v_mov_b32_e32 v3, 0
	s_and_b32 s10, 0xffff, s76
	s_cmp_lt_i32 s10, 11
	v_lshl_add_u64 v[2:3], s[22:23], 0, v[2:3]
	s_cbranch_scc1 .LBB329_569
; %bb.563:
	s_cmp_gt_i32 s10, 25
	s_cbranch_scc0 .LBB329_570
; %bb.564:
	s_cmp_gt_i32 s10, 28
	s_cbranch_scc0 .LBB329_571
	;; [unrolled: 3-line block ×4, first 2 shown]
; %bb.567:
	s_cmp_eq_u32 s10, 46
	s_mov_b64 s[6:7], 0
	s_cbranch_scc0 .LBB329_578
; %bb.568:
	global_load_dword v1, v[2:3], off
	s_mov_b64 s[2:3], -1
	s_mov_b64 s[4:5], 0
	s_waitcnt vmcnt(0)
	v_lshlrev_b32_e32 v1, 16, v1
	s_branch .LBB329_579
.LBB329_569:
	s_mov_b64 s[6:7], -1
	s_mov_b64 s[2:3], 0
                                        ; implicit-def: $vgpr1
	s_mov_b64 s[4:5], s[62:63]
	s_branch .LBB329_644
.LBB329_570:
	s_mov_b64 s[6:7], -1
	s_mov_b64 s[2:3], 0
	s_mov_b64 s[4:5], s[62:63]
                                        ; implicit-def: $vgpr1
	s_branch .LBB329_608
.LBB329_571:
	s_mov_b64 s[6:7], -1
	s_mov_b64 s[2:3], 0
	s_mov_b64 s[4:5], s[62:63]
                                        ; implicit-def: $vgpr1
	s_branch .LBB329_589
.LBB329_572:
	s_mov_b64 s[6:7], -1
	s_mov_b64 s[2:3], 0
	s_mov_b64 s[4:5], s[62:63]
                                        ; implicit-def: $vgpr1
	s_branch .LBB329_584
.LBB329_573:
	s_andn2_saveexec_b64 s[10:11], s[10:11]
	s_cbranch_execz .LBB329_341
.LBB329_574:
	s_mov_b32 s14, 0x46000000
	v_add_f32_e64 v3, |v2|, s14
	v_and_b32_e32 v3, 0xff, v3
	v_cmp_ne_u32_e32 vcc, 0, v3
	s_andn2_b64 s[8:9], s[8:9], exec
	s_and_b64 s[14:15], vcc, exec
	s_or_b64 s[8:9], s[8:9], s[14:15]
	s_or_b64 exec, exec, s[10:11]
	v_mov_b32_e32 v4, 0
	s_and_saveexec_b64 s[10:11], s[8:9]
	s_cbranch_execnz .LBB329_342
	s_branch .LBB329_343
.LBB329_575:
	s_mov_b64 s[6:7], -1
	s_mov_b64 s[2:3], 0
	s_mov_b64 s[4:5], s[62:63]
                                        ; implicit-def: $vgpr1
	s_branch .LBB329_579
.LBB329_576:
	s_andn2_saveexec_b64 s[10:11], s[10:11]
	s_cbranch_execz .LBB329_354
.LBB329_577:
	s_mov_b32 s14, 0x42800000
	v_add_f32_e64 v3, |v2|, s14
	v_and_b32_e32 v3, 0xff, v3
	v_cmp_ne_u32_e32 vcc, 0, v3
	s_andn2_b64 s[8:9], s[8:9], exec
	s_and_b64 s[14:15], vcc, exec
	s_or_b64 s[8:9], s[8:9], s[14:15]
	s_or_b64 exec, exec, s[10:11]
	v_mov_b32_e32 v4, 0
	s_and_saveexec_b64 s[10:11], s[8:9]
	s_cbranch_execnz .LBB329_355
	s_branch .LBB329_356
.LBB329_578:
	s_mov_b64 s[4:5], -1
                                        ; implicit-def: $vgpr1
	s_mov_b64 s[2:3], 0
.LBB329_579:
	s_and_b64 vcc, exec, s[6:7]
	s_cbranch_vccz .LBB329_583
; %bb.580:
	s_cmp_eq_u32 s10, 44
	s_cbranch_scc0 .LBB329_582
; %bb.581:
	global_load_ubyte v1, v[2:3], off
	s_movk_i32 s4, 0xff
	v_mov_b32_e32 v4, 0x7f800001
	v_mov_b32_e32 v5, 0x400000
	s_mov_b64 s[2:3], -1
	s_waitcnt vmcnt(0)
	v_lshlrev_b32_e32 v6, 23, v1
	v_cmp_ne_u32_e32 vcc, s4, v1
	s_mov_b64 s[4:5], 0
	s_nop 0
	v_cndmask_b32_e32 v4, v4, v6, vcc
	v_cmp_ne_u32_e32 vcc, 0, v1
	s_nop 1
	v_cndmask_b32_e32 v1, v5, v4, vcc
	s_branch .LBB329_583
.LBB329_582:
	s_mov_b64 s[4:5], -1
                                        ; implicit-def: $vgpr1
.LBB329_583:
	s_mov_b64 s[6:7], 0
.LBB329_584:
	s_and_b64 vcc, exec, s[6:7]
	s_cbranch_vccz .LBB329_588
; %bb.585:
	s_cmp_eq_u32 s10, 29
	s_cbranch_scc0 .LBB329_587
; %bb.586:
	global_load_dwordx2 v[4:5], v[2:3], off
	s_mov_b64 s[2:3], -1
	s_mov_b64 s[4:5], 0
	s_mov_b64 s[6:7], 0
	s_waitcnt vmcnt(0)
	v_ffbh_u32_e32 v1, v5
	v_min_u32_e32 v1, 32, v1
	v_lshlrev_b64 v[4:5], v1, v[4:5]
	v_min_u32_e32 v4, 1, v4
	v_or_b32_e32 v4, v5, v4
	v_cvt_f32_u32_e32 v4, v4
	v_sub_u32_e32 v1, 32, v1
	v_ldexp_f32 v1, v4, v1
	s_branch .LBB329_589
.LBB329_587:
	s_mov_b64 s[4:5], -1
                                        ; implicit-def: $vgpr1
.LBB329_588:
	s_mov_b64 s[6:7], 0
.LBB329_589:
	s_and_b64 vcc, exec, s[6:7]
	s_cbranch_vccz .LBB329_607
; %bb.590:
	s_cmp_lt_i32 s10, 27
	s_cbranch_scc1 .LBB329_593
; %bb.591:
	s_cmp_gt_i32 s10, 27
	s_cbranch_scc0 .LBB329_594
; %bb.592:
	global_load_dword v1, v[2:3], off
	s_mov_b64 s[2:3], 0
	s_waitcnt vmcnt(0)
	v_cvt_f32_u32_e32 v1, v1
	s_branch .LBB329_595
.LBB329_593:
	s_mov_b64 s[2:3], -1
                                        ; implicit-def: $vgpr1
	s_branch .LBB329_598
.LBB329_594:
	s_mov_b64 s[2:3], -1
                                        ; implicit-def: $vgpr1
.LBB329_595:
	s_andn2_b64 vcc, exec, s[2:3]
	s_cbranch_vccnz .LBB329_597
; %bb.596:
	global_load_ushort v1, v[2:3], off
	s_waitcnt vmcnt(0)
	v_cvt_f32_u32_e32 v1, v1
.LBB329_597:
	s_mov_b64 s[2:3], 0
.LBB329_598:
	s_andn2_b64 vcc, exec, s[2:3]
	s_cbranch_vccnz .LBB329_606
; %bb.599:
	global_load_ubyte v4, v[2:3], off
	s_movk_i32 s2, 0x7f
	s_waitcnt vmcnt(0)
	v_cmp_lt_i16_e32 vcc, s2, v4
	s_mov_b64 s[2:3], 0
	s_and_saveexec_b64 s[6:7], vcc
	s_xor_b64 s[6:7], exec, s[6:7]
	s_cbranch_execz .LBB329_620
; %bb.600:
	s_movk_i32 s2, 0x80
	v_cmp_eq_u16_e32 vcc, s2, v4
	s_mov_b64 s[2:3], -1
	s_and_saveexec_b64 s[8:9], vcc
; %bb.601:
	s_xor_b64 s[2:3], exec, -1
; %bb.602:
	s_or_b64 exec, exec, s[8:9]
	s_and_b64 s[2:3], s[2:3], exec
	s_or_saveexec_b64 s[6:7], s[6:7]
	v_mov_b32_e32 v1, 0x7f800001
	s_xor_b64 exec, exec, s[6:7]
	s_cbranch_execnz .LBB329_621
.LBB329_603:
	s_or_b64 exec, exec, s[6:7]
	s_and_saveexec_b64 s[6:7], s[2:3]
	s_cbranch_execz .LBB329_605
.LBB329_604:
	v_lshlrev_b32_e32 v1, 24, v4
	v_and_b32_e32 v4, 0xffff, v4
	v_and_b32_e32 v5, 7, v4
	v_ffbh_u32_e32 v7, v5
	v_min_u32_e32 v7, 32, v7
	v_subrev_u32_e32 v9, 28, v7
	v_bfe_u32 v6, v4, 3, 4
	v_lshlrev_b32_e32 v4, v9, v4
	v_sub_u32_e32 v7, 29, v7
	v_and_b32_e32 v4, 7, v4
	v_cmp_eq_u32_e32 vcc, 0, v6
	v_and_b32_e32 v1, 0x80000000, v1
	s_nop 0
	v_cndmask_b32_e32 v6, v6, v7, vcc
	v_cndmask_b32_e32 v4, v5, v4, vcc
	v_mov_b32_e32 v5, 0x3b800000
	v_lshlrev_b32_e32 v4, 20, v4
	v_lshl_add_u32 v5, v6, 23, v5
	v_or3_b32 v1, v1, v5, v4
.LBB329_605:
	s_or_b64 exec, exec, s[6:7]
.LBB329_606:
	s_mov_b64 s[2:3], -1
.LBB329_607:
	s_mov_b64 s[6:7], 0
.LBB329_608:
	s_and_b64 vcc, exec, s[6:7]
	s_cbranch_vccz .LBB329_643
; %bb.609:
	s_cmp_gt_i32 s10, 22
	s_cbranch_scc0 .LBB329_619
; %bb.610:
	s_cmp_lt_i32 s10, 24
	s_cbranch_scc1 .LBB329_622
; %bb.611:
	s_cmp_gt_i32 s10, 24
	s_cbranch_scc0 .LBB329_623
; %bb.612:
	global_load_ubyte v4, v[2:3], off
	s_movk_i32 s2, 0x7f
	s_waitcnt vmcnt(0)
	v_cmp_lt_i16_e32 vcc, s2, v4
	s_mov_b64 s[2:3], 0
	s_and_saveexec_b64 s[6:7], vcc
	s_xor_b64 s[6:7], exec, s[6:7]
	s_cbranch_execz .LBB329_635
; %bb.613:
	s_movk_i32 s2, 0x80
	v_cmp_eq_u16_e32 vcc, s2, v4
	s_mov_b64 s[2:3], -1
	s_and_saveexec_b64 s[8:9], vcc
; %bb.614:
	s_xor_b64 s[2:3], exec, -1
; %bb.615:
	s_or_b64 exec, exec, s[8:9]
	s_and_b64 s[2:3], s[2:3], exec
	s_or_saveexec_b64 s[6:7], s[6:7]
	v_mov_b32_e32 v1, 0x7f800001
	s_xor_b64 exec, exec, s[6:7]
	s_cbranch_execnz .LBB329_636
.LBB329_616:
	s_or_b64 exec, exec, s[6:7]
	s_and_saveexec_b64 s[6:7], s[2:3]
	s_cbranch_execz .LBB329_618
.LBB329_617:
	v_lshlrev_b32_e32 v1, 24, v4
	v_and_b32_e32 v4, 0xffff, v4
	v_and_b32_e32 v5, 3, v4
	v_ffbh_u32_e32 v7, v5
	v_min_u32_e32 v7, 32, v7
	v_subrev_u32_e32 v9, 29, v7
	v_bfe_u32 v6, v4, 2, 5
	v_lshlrev_b32_e32 v4, v9, v4
	v_sub_u32_e32 v7, 30, v7
	v_and_b32_e32 v4, 3, v4
	v_cmp_eq_u32_e32 vcc, 0, v6
	v_and_b32_e32 v1, 0x80000000, v1
	s_nop 0
	v_cndmask_b32_e32 v6, v6, v7, vcc
	v_cndmask_b32_e32 v4, v5, v4, vcc
	v_mov_b32_e32 v5, 0x37800000
	v_lshlrev_b32_e32 v4, 21, v4
	v_lshl_add_u32 v5, v6, 23, v5
	v_or3_b32 v1, v1, v5, v4
.LBB329_618:
	s_or_b64 exec, exec, s[6:7]
	s_mov_b64 s[2:3], 0
	s_branch .LBB329_624
.LBB329_619:
	s_mov_b64 s[6:7], -1
                                        ; implicit-def: $vgpr1
	s_branch .LBB329_630
.LBB329_620:
	s_or_saveexec_b64 s[6:7], s[6:7]
	v_mov_b32_e32 v1, 0x7f800001
	s_xor_b64 exec, exec, s[6:7]
	s_cbranch_execz .LBB329_603
.LBB329_621:
	v_cmp_ne_u16_e32 vcc, 0, v4
	s_andn2_b64 s[2:3], s[2:3], exec
	s_and_b64 s[8:9], vcc, exec
	v_mov_b32_e32 v1, 0
	s_or_b64 s[2:3], s[2:3], s[8:9]
	s_or_b64 exec, exec, s[6:7]
	s_and_saveexec_b64 s[6:7], s[2:3]
	s_cbranch_execnz .LBB329_604
	s_branch .LBB329_605
.LBB329_622:
	s_mov_b64 s[2:3], -1
                                        ; implicit-def: $vgpr1
	s_branch .LBB329_627
.LBB329_623:
	s_mov_b64 s[2:3], -1
                                        ; implicit-def: $vgpr1
.LBB329_624:
	s_and_b64 vcc, exec, s[2:3]
	s_cbranch_vccz .LBB329_626
; %bb.625:
	global_load_ubyte v1, v[2:3], off
	s_mov_b32 s2, 0x7f800000
	s_waitcnt vmcnt(0)
	v_lshlrev_b32_e32 v1, 24, v1
	v_and_b32_e32 v4, 0x7f000000, v1
	v_ffbh_u32_e32 v5, v4
	v_min_u32_e32 v5, 32, v5
	v_sub_u32_e64 v5, v5, 4 clamp
	v_lshlrev_b32_e32 v7, v5, v4
	v_lshlrev_b32_e32 v5, 23, v5
	v_lshrrev_b32_e32 v7, 4, v7
	v_add_u32_e32 v6, 0x1000000, v4
	v_sub_u32_e32 v5, v7, v5
	v_ashrrev_i32_e32 v6, 8, v6
	v_add_u32_e32 v5, 0x3c000000, v5
	v_and_or_b32 v5, v6, s2, v5
	v_cmp_ne_u32_e32 vcc, 0, v4
	s_brev_b32 s2, 1
	s_nop 0
	v_cndmask_b32_e32 v4, 0, v5, vcc
	v_and_or_b32 v1, v1, s2, v4
.LBB329_626:
	s_mov_b64 s[2:3], 0
.LBB329_627:
	s_andn2_b64 vcc, exec, s[2:3]
	s_cbranch_vccnz .LBB329_629
; %bb.628:
	global_load_ubyte v1, v[2:3], off
	s_movk_i32 s2, 0x7f00
	s_brev_b32 s3, 16
	s_waitcnt vmcnt(0)
	v_lshlrev_b16_e32 v4, 8, v1
	v_lshlrev_b32_e32 v1, 25, v1
	v_lshrrev_b32_e32 v5, 4, v1
	v_and_or_b32 v6, v4, s2, 0.5
	v_or_b32_e32 v5, 0x70000000, v5
	v_add_f32_e32 v6, -0.5, v6
	v_mul_f32_e32 v5, 0x7800000, v5
	v_cmp_gt_u32_e32 vcc, s3, v1
	v_bfe_i32 v4, v4, 0, 16
	s_brev_b32 s2, 1
	v_cndmask_b32_e32 v1, v5, v6, vcc
	v_and_or_b32 v1, v4, s2, v1
.LBB329_629:
	s_mov_b64 s[6:7], 0
	s_mov_b64 s[2:3], -1
.LBB329_630:
	s_andn2_b64 vcc, exec, s[6:7]
	s_cbranch_vccnz .LBB329_643
; %bb.631:
	s_cmp_gt_i32 s10, 14
	s_cbranch_scc0 .LBB329_634
; %bb.632:
	s_cmp_eq_u32 s10, 15
	s_cbranch_scc0 .LBB329_637
; %bb.633:
	global_load_ushort v1, v[2:3], off
	s_mov_b64 s[2:3], -1
	s_mov_b64 s[4:5], 0
	s_waitcnt vmcnt(0)
	v_lshlrev_b32_e32 v1, 16, v1
	s_branch .LBB329_638
.LBB329_634:
	s_mov_b64 s[6:7], -1
                                        ; implicit-def: $vgpr1
	s_branch .LBB329_639
.LBB329_635:
	s_or_saveexec_b64 s[6:7], s[6:7]
	v_mov_b32_e32 v1, 0x7f800001
	s_xor_b64 exec, exec, s[6:7]
	s_cbranch_execz .LBB329_616
.LBB329_636:
	v_cmp_ne_u16_e32 vcc, 0, v4
	s_andn2_b64 s[2:3], s[2:3], exec
	s_and_b64 s[8:9], vcc, exec
	v_mov_b32_e32 v1, 0
	s_or_b64 s[2:3], s[2:3], s[8:9]
	s_or_b64 exec, exec, s[6:7]
	s_and_saveexec_b64 s[6:7], s[2:3]
	s_cbranch_execnz .LBB329_617
	s_branch .LBB329_618
.LBB329_637:
	s_mov_b64 s[4:5], -1
                                        ; implicit-def: $vgpr1
.LBB329_638:
	s_mov_b64 s[6:7], 0
.LBB329_639:
	s_and_b64 vcc, exec, s[6:7]
	s_cbranch_vccz .LBB329_643
; %bb.640:
	s_cmp_eq_u32 s10, 11
	s_cbranch_scc0 .LBB329_642
; %bb.641:
	global_load_ubyte v1, v[2:3], off
	s_mov_b64 s[2:3], -1
	s_mov_b64 s[4:5], 0
	s_waitcnt vmcnt(0)
	v_cmp_ne_u16_e32 vcc, 0, v1
	s_nop 1
	v_cndmask_b32_e64 v1, 0, 1.0, vcc
	s_branch .LBB329_643
.LBB329_642:
	s_mov_b64 s[4:5], -1
                                        ; implicit-def: $vgpr1
.LBB329_643:
	s_mov_b64 s[6:7], 0
.LBB329_644:
	s_and_b64 vcc, exec, s[6:7]
	s_cbranch_vccz .LBB329_693
; %bb.645:
	s_cmp_lt_i32 s10, 5
	s_cbranch_scc1 .LBB329_650
; %bb.646:
	s_cmp_lt_i32 s10, 8
	s_cbranch_scc1 .LBB329_651
	;; [unrolled: 3-line block ×3, first 2 shown]
; %bb.648:
	s_cmp_gt_i32 s10, 9
	s_cbranch_scc0 .LBB329_653
; %bb.649:
	global_load_dwordx2 v[4:5], v[2:3], off
	s_mov_b64 s[2:3], 0
	s_waitcnt vmcnt(0)
	v_cvt_f32_f64_e32 v1, v[4:5]
	s_branch .LBB329_654
.LBB329_650:
	s_mov_b64 s[2:3], -1
                                        ; implicit-def: $vgpr1
	s_branch .LBB329_672
.LBB329_651:
	s_mov_b64 s[2:3], -1
                                        ; implicit-def: $vgpr1
	s_branch .LBB329_660
.LBB329_652:
	s_mov_b64 s[2:3], -1
                                        ; implicit-def: $vgpr1
	s_branch .LBB329_657
.LBB329_653:
	s_mov_b64 s[2:3], -1
                                        ; implicit-def: $vgpr1
.LBB329_654:
	s_andn2_b64 vcc, exec, s[2:3]
	s_cbranch_vccnz .LBB329_656
; %bb.655:
	global_load_dword v1, v[2:3], off
.LBB329_656:
	s_mov_b64 s[2:3], 0
.LBB329_657:
	s_andn2_b64 vcc, exec, s[2:3]
	s_cbranch_vccnz .LBB329_659
; %bb.658:
	global_load_dword v1, v[2:3], off
	s_waitcnt vmcnt(0)
	v_cvt_f32_f16_e32 v1, v1
.LBB329_659:
	s_mov_b64 s[2:3], 0
.LBB329_660:
	s_andn2_b64 vcc, exec, s[2:3]
	s_cbranch_vccnz .LBB329_671
; %bb.661:
	s_cmp_lt_i32 s10, 6
	s_cbranch_scc1 .LBB329_664
; %bb.662:
	s_cmp_gt_i32 s10, 6
	s_cbranch_scc0 .LBB329_665
; %bb.663:
	global_load_dwordx2 v[4:5], v[2:3], off
	s_mov_b64 s[2:3], 0
	s_waitcnt vmcnt(0)
	v_cvt_f32_f64_e32 v1, v[4:5]
	s_branch .LBB329_666
.LBB329_664:
	s_mov_b64 s[2:3], -1
                                        ; implicit-def: $vgpr1
	s_branch .LBB329_669
.LBB329_665:
	s_mov_b64 s[2:3], -1
                                        ; implicit-def: $vgpr1
.LBB329_666:
	s_andn2_b64 vcc, exec, s[2:3]
	s_cbranch_vccnz .LBB329_668
; %bb.667:
	global_load_dword v1, v[2:3], off
.LBB329_668:
	s_mov_b64 s[2:3], 0
.LBB329_669:
	s_andn2_b64 vcc, exec, s[2:3]
	s_cbranch_vccnz .LBB329_671
; %bb.670:
	global_load_ushort v1, v[2:3], off
	s_waitcnt vmcnt(0)
	v_cvt_f32_f16_e32 v1, v1
.LBB329_671:
	s_mov_b64 s[2:3], 0
.LBB329_672:
	s_andn2_b64 vcc, exec, s[2:3]
	s_cbranch_vccnz .LBB329_692
; %bb.673:
	s_cmp_lt_i32 s10, 2
	s_cbranch_scc1 .LBB329_677
; %bb.674:
	s_cmp_lt_i32 s10, 3
	s_cbranch_scc1 .LBB329_678
; %bb.675:
	s_cmp_gt_i32 s10, 3
	s_cbranch_scc0 .LBB329_679
; %bb.676:
	global_load_dwordx2 v[4:5], v[2:3], off
	s_mov_b64 s[2:3], 0
	s_waitcnt vmcnt(0)
	v_xor_b32_e32 v6, v4, v5
	v_ffbh_i32_e32 v1, v5
	v_ashrrev_i32_e32 v6, 31, v6
	v_add_u32_e32 v1, -1, v1
	v_add_u32_e32 v6, 32, v6
	v_min_u32_e32 v1, v1, v6
	v_lshlrev_b64 v[4:5], v1, v[4:5]
	v_min_u32_e32 v4, 1, v4
	v_or_b32_e32 v4, v5, v4
	v_cvt_f32_i32_e32 v4, v4
	v_sub_u32_e32 v1, 32, v1
	v_ldexp_f32 v1, v4, v1
	s_branch .LBB329_680
.LBB329_677:
	s_mov_b64 s[2:3], -1
                                        ; implicit-def: $vgpr1
	s_branch .LBB329_686
.LBB329_678:
	s_mov_b64 s[2:3], -1
                                        ; implicit-def: $vgpr1
	s_branch .LBB329_683
.LBB329_679:
	s_mov_b64 s[2:3], -1
                                        ; implicit-def: $vgpr1
.LBB329_680:
	s_andn2_b64 vcc, exec, s[2:3]
	s_cbranch_vccnz .LBB329_682
; %bb.681:
	global_load_dword v1, v[2:3], off
	s_waitcnt vmcnt(0)
	v_cvt_f32_i32_e32 v1, v1
.LBB329_682:
	s_mov_b64 s[2:3], 0
.LBB329_683:
	s_andn2_b64 vcc, exec, s[2:3]
	s_cbranch_vccnz .LBB329_685
; %bb.684:
	global_load_sshort v1, v[2:3], off
	s_waitcnt vmcnt(0)
	v_cvt_f32_i32_e32 v1, v1
.LBB329_685:
	s_mov_b64 s[2:3], 0
.LBB329_686:
	s_andn2_b64 vcc, exec, s[2:3]
	s_cbranch_vccnz .LBB329_692
; %bb.687:
	s_cmp_gt_i32 s10, 0
	s_cbranch_scc0 .LBB329_689
; %bb.688:
	global_load_sbyte v1, v[2:3], off
	s_mov_b64 s[2:3], 0
	s_waitcnt vmcnt(0)
	v_cvt_f32_i32_e32 v1, v1
	s_branch .LBB329_690
.LBB329_689:
	s_mov_b64 s[2:3], -1
                                        ; implicit-def: $vgpr1
.LBB329_690:
	s_andn2_b64 vcc, exec, s[2:3]
	s_cbranch_vccnz .LBB329_692
; %bb.691:
	global_load_ubyte v1, v[2:3], off
	s_waitcnt vmcnt(0)
	v_cvt_f32_ubyte0_e32 v1, v1
.LBB329_692:
	s_mov_b64 s[2:3], -1
.LBB329_693:
	s_andn2_b64 vcc, exec, s[2:3]
	s_cbranch_vccnz .LBB329_701
; %bb.694:
	v_max_f32_e64 v2, s46, s46
	s_waitcnt vmcnt(0)
	v_max_f32_e32 v3, v1, v1
	v_max_f32_e32 v2, v3, v2
	v_max_f32_e64 v3, s47, s47
	v_min_f32_e32 v2, v2, v3
	v_cmp_u_f32_e32 vcc, v1, v1
	s_and_b32 s12, s75, 0xff
	s_cmp_lt_i32 s12, 11
	v_cndmask_b32_e32 v2, v2, v1, vcc
	v_mov_b32_e32 v1, 0
	v_lshl_add_u64 v[0:1], s[20:21], 0, v[0:1]
	s_cbranch_scc1 .LBB329_702
; %bb.695:
	s_and_b32 s13, 0xffff, s12
	s_cmp_gt_i32 s13, 25
	s_cbranch_scc0 .LBB329_703
; %bb.696:
	s_cmp_gt_i32 s13, 28
	s_cbranch_scc0 .LBB329_704
; %bb.697:
	;; [unrolled: 3-line block ×4, first 2 shown]
	s_mov_b64 s[8:9], 0
	s_mov_b64 s[2:3], -1
	s_cmp_eq_u32 s13, 46
	s_mov_b64 s[6:7], 0
	s_cbranch_scc0 .LBB329_707
; %bb.700:
	v_bfe_u32 v3, v2, 16, 1
	s_movk_i32 s2, 0x7fff
	v_add3_u32 v3, v2, v3, s2
	v_cmp_o_f32_e32 vcc, v2, v2
	v_mov_b32_e32 v4, 0x7fc0
	s_mov_b64 s[6:7], -1
	v_cndmask_b32_sdwa v3, v4, v3, vcc dst_sel:DWORD dst_unused:UNUSED_PAD src0_sel:DWORD src1_sel:WORD_1
	global_store_dword v[0:1], v3, off
	s_mov_b64 s[2:3], 0
	s_branch .LBB329_707
.LBB329_701:
	s_mov_b64 s[6:7], 0
	s_mov_b64 s[2:3], s[64:65]
	s_branch .LBB329_818
.LBB329_702:
	s_mov_b64 s[8:9], -1
	s_mov_b64 s[6:7], 0
	s_mov_b64 s[2:3], s[64:65]
	s_branch .LBB329_776
.LBB329_703:
	s_mov_b64 s[8:9], -1
	s_mov_b64 s[6:7], 0
	s_mov_b64 s[2:3], s[64:65]
	s_branch .LBB329_734
.LBB329_704:
	s_mov_b64 s[8:9], -1
	s_mov_b64 s[6:7], 0
	s_mov_b64 s[2:3], s[64:65]
	s_branch .LBB329_717
.LBB329_705:
	s_mov_b64 s[8:9], -1
	s_mov_b64 s[6:7], 0
	s_mov_b64 s[2:3], s[64:65]
	s_branch .LBB329_713
.LBB329_706:
	s_mov_b64 s[8:9], -1
	s_mov_b64 s[6:7], 0
	s_mov_b64 s[2:3], s[64:65]
.LBB329_707:
	s_and_b64 vcc, exec, s[8:9]
	s_cbranch_vccz .LBB329_712
; %bb.708:
	s_cmp_eq_u32 s13, 44
	s_mov_b64 s[2:3], -1
	s_cbranch_scc0 .LBB329_712
; %bb.709:
	v_bfe_u32 v3, v2, 23, 8
	s_movk_i32 s2, 0xff
	v_cmp_ne_u32_e32 vcc, s2, v3
	v_mov_b32_e32 v4, 0xff
	s_and_saveexec_b64 s[6:7], vcc
; %bb.710:
	s_mov_b32 s2, 0x3fffff
	v_and_b32_e32 v5, 0x400000, v2
	v_and_or_b32 v3, v2, s2, v3
	v_cmp_ne_u32_e32 vcc, 0, v5
	v_cmp_ne_u32_e64 s[2:3], 0, v3
	s_and_b64 s[2:3], vcc, s[2:3]
	v_lshrrev_b32_e32 v4, 23, v2
	v_cndmask_b32_e64 v3, 0, 1, s[2:3]
	v_add_u32_e32 v4, v4, v3
; %bb.711:
	s_or_b64 exec, exec, s[6:7]
	s_mov_b64 s[6:7], -1
	s_mov_b64 s[2:3], 0
	global_store_byte v[0:1], v4, off
.LBB329_712:
	s_mov_b64 s[8:9], 0
.LBB329_713:
	s_and_b64 vcc, exec, s[8:9]
	s_cbranch_vccz .LBB329_716
; %bb.714:
	s_cmp_eq_u32 s13, 29
	s_mov_b64 s[2:3], -1
	s_cbranch_scc0 .LBB329_716
; %bb.715:
	v_trunc_f32_e32 v3, v2
	v_mul_f32_e32 v4, 0x2f800000, v3
	v_floor_f32_e32 v4, v4
	v_fmamk_f32 v3, v4, 0xcf800000, v3
	v_cvt_u32_f32_e32 v5, v4
	v_cvt_u32_f32_e32 v4, v3
	s_mov_b64 s[6:7], -1
	s_mov_b64 s[2:3], 0
	s_mov_b64 s[8:9], 0
	global_store_dwordx2 v[0:1], v[4:5], off
	s_branch .LBB329_717
.LBB329_716:
	s_mov_b64 s[8:9], 0
.LBB329_717:
	s_and_b64 vcc, exec, s[8:9]
	s_cbranch_vccz .LBB329_733
; %bb.718:
	s_cmp_lt_i32 s13, 27
	s_mov_b64 s[6:7], -1
	s_cbranch_scc1 .LBB329_724
; %bb.719:
	v_cvt_u32_f32_e32 v3, v2
	s_cmp_gt_i32 s13, 27
	s_cbranch_scc0 .LBB329_721
; %bb.720:
	s_mov_b64 s[6:7], 0
	global_store_dword v[0:1], v3, off
.LBB329_721:
	s_andn2_b64 vcc, exec, s[6:7]
	s_cbranch_vccnz .LBB329_723
; %bb.722:
	global_store_short v[0:1], v3, off
.LBB329_723:
	s_mov_b64 s[6:7], 0
.LBB329_724:
	s_andn2_b64 vcc, exec, s[6:7]
	s_cbranch_vccnz .LBB329_732
; %bb.725:
	v_and_b32_e32 v3, 0x7fffffff, v2
	s_mov_b32 s6, 0x43800000
	v_cmp_gt_u32_e32 vcc, s6, v3
	v_mov_b32_e32 v4, 0x80
	s_and_saveexec_b64 s[6:7], vcc
	s_cbranch_execz .LBB329_731
; %bb.726:
	s_mov_b32 s8, 0x3bffffff
	v_cmp_lt_u32_e32 vcc, s8, v3
	s_mov_b64 s[8:9], 0
                                        ; implicit-def: $vgpr3
	s_and_saveexec_b64 s[10:11], vcc
	s_xor_b64 s[10:11], exec, s[10:11]
	s_cbranch_execz .LBB329_849
; %bb.727:
	v_bfe_u32 v3, v2, 20, 1
	s_mov_b32 s14, 0x487ffff
	v_add3_u32 v3, v2, v3, s14
	s_mov_b64 s[8:9], exec
	v_lshrrev_b32_e32 v3, 20, v3
	s_andn2_saveexec_b64 s[10:11], s[10:11]
	s_cbranch_execnz .LBB329_850
.LBB329_728:
	s_or_b64 exec, exec, s[10:11]
	v_mov_b32_e32 v4, 0
	s_and_saveexec_b64 s[10:11], s[8:9]
.LBB329_729:
	v_lshrrev_b32_e32 v4, 24, v2
	s_movk_i32 s8, 0x80
	v_and_or_b32 v4, v4, s8, v3
.LBB329_730:
	s_or_b64 exec, exec, s[10:11]
.LBB329_731:
	s_or_b64 exec, exec, s[6:7]
	global_store_byte v[0:1], v4, off
.LBB329_732:
	s_mov_b64 s[6:7], -1
.LBB329_733:
	s_mov_b64 s[8:9], 0
.LBB329_734:
	s_and_b64 vcc, exec, s[8:9]
	s_cbranch_vccz .LBB329_775
; %bb.735:
	s_cmp_gt_i32 s13, 22
	s_mov_b64 s[8:9], -1
	s_cbranch_scc0 .LBB329_767
; %bb.736:
	s_cmp_lt_i32 s13, 24
	s_mov_b64 s[6:7], -1
	s_cbranch_scc1 .LBB329_756
; %bb.737:
	s_cmp_gt_i32 s13, 24
	s_cbranch_scc0 .LBB329_745
; %bb.738:
	v_and_b32_e32 v3, 0x7fffffff, v2
	s_mov_b32 s6, 0x47800000
	v_cmp_gt_u32_e32 vcc, s6, v3
	v_mov_b32_e32 v4, 0x80
	s_and_saveexec_b64 s[6:7], vcc
	s_cbranch_execz .LBB329_744
; %bb.739:
	s_mov_b32 s8, 0x37ffffff
	v_cmp_lt_u32_e32 vcc, s8, v3
	s_mov_b64 s[8:9], 0
                                        ; implicit-def: $vgpr3
	s_and_saveexec_b64 s[10:11], vcc
	s_xor_b64 s[10:11], exec, s[10:11]
	s_cbranch_execz .LBB329_852
; %bb.740:
	v_bfe_u32 v3, v2, 21, 1
	s_mov_b32 s14, 0x88fffff
	v_add3_u32 v3, v2, v3, s14
	s_mov_b64 s[8:9], exec
	v_lshrrev_b32_e32 v3, 21, v3
	s_andn2_saveexec_b64 s[10:11], s[10:11]
	s_cbranch_execnz .LBB329_853
.LBB329_741:
	s_or_b64 exec, exec, s[10:11]
	v_mov_b32_e32 v4, 0
	s_and_saveexec_b64 s[10:11], s[8:9]
.LBB329_742:
	v_lshrrev_b32_e32 v4, 24, v2
	s_movk_i32 s8, 0x80
	v_and_or_b32 v4, v4, s8, v3
.LBB329_743:
	s_or_b64 exec, exec, s[10:11]
.LBB329_744:
	s_or_b64 exec, exec, s[6:7]
	s_mov_b64 s[6:7], 0
	global_store_byte v[0:1], v4, off
.LBB329_745:
	s_and_b64 vcc, exec, s[6:7]
	s_cbranch_vccz .LBB329_755
; %bb.746:
	v_and_b32_e32 v4, 0x7fffffff, v2
	s_mov_b32 s6, 0x43f00000
	v_cmp_gt_u32_e32 vcc, s6, v4
                                        ; implicit-def: $vgpr3
	s_and_saveexec_b64 s[6:7], vcc
	s_xor_b64 s[6:7], exec, s[6:7]
	s_cbranch_execz .LBB329_752
; %bb.747:
	s_mov_b32 s8, 0x3c7fffff
	v_cmp_lt_u32_e32 vcc, s8, v4
                                        ; implicit-def: $vgpr3
	s_and_saveexec_b64 s[8:9], vcc
	s_xor_b64 s[8:9], exec, s[8:9]
; %bb.748:
	v_bfe_u32 v3, v2, 20, 1
	s_mov_b32 s10, 0x407ffff
	v_add3_u32 v3, v2, v3, s10
	v_lshrrev_b32_e32 v4, 20, v3
	v_and_b32_e32 v3, 0xff00000, v3
	s_mov_b32 s10, 0x7f00000
	v_mov_b32_e32 v5, 0x7e
	v_cmp_ne_u32_e32 vcc, s10, v3
	s_nop 1
	v_cndmask_b32_e32 v3, v5, v4, vcc
; %bb.749:
	s_andn2_saveexec_b64 s[8:9], s[8:9]
; %bb.750:
	s_mov_b32 s10, 0x46800000
	v_add_f32_e64 v3, |v2|, s10
; %bb.751:
	s_or_b64 exec, exec, s[8:9]
                                        ; implicit-def: $vgpr4
.LBB329_752:
	s_andn2_saveexec_b64 s[6:7], s[6:7]
; %bb.753:
	s_mov_b32 s8, 0x7f800000
	v_mov_b32_e32 v3, 0x7e
	v_mov_b32_e32 v5, 0x7f
	v_cmp_lt_u32_e32 vcc, s8, v4
	s_nop 1
	v_cndmask_b32_e32 v3, v3, v5, vcc
; %bb.754:
	s_or_b64 exec, exec, s[6:7]
	v_lshrrev_b32_e32 v4, 24, v2
	s_movk_i32 s6, 0x80
	v_and_or_b32 v3, v4, s6, v3
	global_store_byte v[0:1], v3, off
.LBB329_755:
	s_mov_b64 s[6:7], 0
.LBB329_756:
	s_andn2_b64 vcc, exec, s[6:7]
	s_cbranch_vccnz .LBB329_766
; %bb.757:
	v_and_b32_e32 v4, 0x7fffffff, v2
	s_mov_b32 s6, 0x47800000
	v_cmp_gt_u32_e32 vcc, s6, v4
                                        ; implicit-def: $vgpr3
	s_and_saveexec_b64 s[6:7], vcc
	s_xor_b64 s[6:7], exec, s[6:7]
	s_cbranch_execz .LBB329_763
; %bb.758:
	s_mov_b32 s8, 0x387fffff
	v_cmp_lt_u32_e32 vcc, s8, v4
                                        ; implicit-def: $vgpr3
	s_and_saveexec_b64 s[8:9], vcc
	s_xor_b64 s[8:9], exec, s[8:9]
; %bb.759:
	v_bfe_u32 v3, v2, 21, 1
	s_mov_b32 s10, 0x80fffff
	v_add3_u32 v3, v2, v3, s10
	v_lshrrev_b32_e32 v3, 21, v3
; %bb.760:
	s_andn2_saveexec_b64 s[8:9], s[8:9]
; %bb.761:
	s_mov_b32 s10, 0x43000000
	v_add_f32_e64 v3, |v2|, s10
; %bb.762:
	s_or_b64 exec, exec, s[8:9]
                                        ; implicit-def: $vgpr4
.LBB329_763:
	s_andn2_saveexec_b64 s[6:7], s[6:7]
; %bb.764:
	s_mov_b32 s8, 0x7f800000
	v_mov_b32_e32 v3, 0x7c
	v_mov_b32_e32 v5, 0x7f
	v_cmp_lt_u32_e32 vcc, s8, v4
	s_nop 1
	v_cndmask_b32_e32 v3, v3, v5, vcc
; %bb.765:
	s_or_b64 exec, exec, s[6:7]
	v_lshrrev_b32_e32 v4, 24, v2
	s_movk_i32 s6, 0x80
	v_and_or_b32 v3, v4, s6, v3
	global_store_byte v[0:1], v3, off
.LBB329_766:
	s_mov_b64 s[8:9], 0
	s_mov_b64 s[6:7], -1
.LBB329_767:
	s_andn2_b64 vcc, exec, s[8:9]
	s_cbranch_vccnz .LBB329_775
; %bb.768:
	s_cmp_gt_i32 s13, 14
	s_mov_b64 s[8:9], -1
	s_cbranch_scc0 .LBB329_772
; %bb.769:
	s_cmp_eq_u32 s13, 15
	s_mov_b64 s[2:3], -1
	s_cbranch_scc0 .LBB329_771
; %bb.770:
	v_bfe_u32 v3, v2, 16, 1
	s_movk_i32 s2, 0x7fff
	v_add3_u32 v3, v2, v3, s2
	v_cmp_o_f32_e32 vcc, v2, v2
	v_mov_b32_e32 v4, 0x7fc0
	s_mov_b64 s[6:7], -1
	v_cndmask_b32_sdwa v3, v4, v3, vcc dst_sel:DWORD dst_unused:UNUSED_PAD src0_sel:DWORD src1_sel:WORD_1
	global_store_short v[0:1], v3, off
	s_mov_b64 s[2:3], 0
.LBB329_771:
	s_mov_b64 s[8:9], 0
.LBB329_772:
	s_and_b64 vcc, exec, s[8:9]
	s_cbranch_vccz .LBB329_775
; %bb.773:
	s_cmp_eq_u32 s13, 11
	s_mov_b64 s[2:3], -1
	s_cbranch_scc0 .LBB329_775
; %bb.774:
	v_cmp_neq_f32_e32 vcc, 0, v2
	s_mov_b64 s[6:7], -1
	s_mov_b64 s[2:3], 0
	v_cndmask_b32_e64 v3, 0, 1, vcc
	global_store_byte v[0:1], v3, off
.LBB329_775:
	s_mov_b64 s[8:9], 0
.LBB329_776:
	s_and_b64 vcc, exec, s[8:9]
	s_cbranch_vccz .LBB329_815
; %bb.777:
	s_and_b32 s8, 0xffff, s12
	s_cmp_lt_i32 s8, 5
	s_mov_b64 s[6:7], -1
	s_cbranch_scc1 .LBB329_798
; %bb.778:
	s_cmp_lt_i32 s8, 8
	s_cbranch_scc1 .LBB329_788
; %bb.779:
	s_cmp_lt_i32 s8, 9
	s_cbranch_scc1 .LBB329_785
; %bb.780:
	s_cmp_gt_i32 s8, 9
	s_cbranch_scc0 .LBB329_782
; %bb.781:
	v_mov_b32_e32 v6, 0
	v_cvt_f64_f32_e32 v[4:5], v2
	v_mov_b32_e32 v7, v6
	s_mov_b64 s[6:7], 0
	global_store_dwordx4 v[0:1], v[4:7], off
.LBB329_782:
	s_andn2_b64 vcc, exec, s[6:7]
	s_cbranch_vccnz .LBB329_784
; %bb.783:
	v_mov_b32_e32 v3, 0
	global_store_dwordx2 v[0:1], v[2:3], off
.LBB329_784:
	s_mov_b64 s[6:7], 0
.LBB329_785:
	s_andn2_b64 vcc, exec, s[6:7]
	s_cbranch_vccnz .LBB329_787
; %bb.786:
	v_cvt_f16_f32_e32 v3, v2
	global_store_dword v[0:1], v3, off
.LBB329_787:
	s_mov_b64 s[6:7], 0
.LBB329_788:
	s_andn2_b64 vcc, exec, s[6:7]
	s_cbranch_vccnz .LBB329_797
; %bb.789:
	s_cmp_lt_i32 s8, 6
	s_mov_b64 s[6:7], -1
	s_cbranch_scc1 .LBB329_795
; %bb.790:
	s_cmp_gt_i32 s8, 6
	s_cbranch_scc0 .LBB329_792
; %bb.791:
	v_cvt_f64_f32_e32 v[4:5], v2
	s_mov_b64 s[6:7], 0
	global_store_dwordx2 v[0:1], v[4:5], off
.LBB329_792:
	s_andn2_b64 vcc, exec, s[6:7]
	s_cbranch_vccnz .LBB329_794
; %bb.793:
	global_store_dword v[0:1], v2, off
.LBB329_794:
	s_mov_b64 s[6:7], 0
.LBB329_795:
	s_andn2_b64 vcc, exec, s[6:7]
	s_cbranch_vccnz .LBB329_797
; %bb.796:
	v_cvt_f16_f32_e32 v3, v2
	global_store_short v[0:1], v3, off
.LBB329_797:
	s_mov_b64 s[6:7], 0
.LBB329_798:
	s_andn2_b64 vcc, exec, s[6:7]
	s_cbranch_vccnz .LBB329_814
; %bb.799:
	s_cmp_lt_i32 s8, 2
	s_mov_b64 s[6:7], -1
	s_cbranch_scc1 .LBB329_809
; %bb.800:
	s_cmp_lt_i32 s8, 3
	s_cbranch_scc1 .LBB329_806
; %bb.801:
	s_cmp_gt_i32 s8, 3
	s_cbranch_scc0 .LBB329_803
; %bb.802:
	v_trunc_f32_e32 v3, v2
	s_mov_b32 s6, 0x2f800000
	v_mul_f32_e64 v4, |v3|, s6
	v_floor_f32_e32 v4, v4
	s_mov_b32 s6, 0xcf800000
	v_cvt_u32_f32_e32 v5, v4
	v_fma_f32 v4, v4, s6, |v3|
	v_cvt_u32_f32_e32 v4, v4
	v_ashrrev_i32_e32 v3, 31, v3
	v_xor_b32_e32 v5, v5, v3
	s_mov_b64 s[6:7], 0
	v_xor_b32_e32 v4, v4, v3
	v_sub_co_u32_e32 v4, vcc, v4, v3
	s_nop 1
	v_subb_co_u32_e32 v5, vcc, v5, v3, vcc
	global_store_dwordx2 v[0:1], v[4:5], off
.LBB329_803:
	s_andn2_b64 vcc, exec, s[6:7]
	s_cbranch_vccnz .LBB329_805
; %bb.804:
	v_cvt_i32_f32_e32 v3, v2
	global_store_dword v[0:1], v3, off
.LBB329_805:
	s_mov_b64 s[6:7], 0
.LBB329_806:
	s_andn2_b64 vcc, exec, s[6:7]
	s_cbranch_vccnz .LBB329_808
; %bb.807:
	v_cvt_i32_f32_e32 v3, v2
	global_store_short v[0:1], v3, off
.LBB329_808:
	s_mov_b64 s[6:7], 0
.LBB329_809:
	s_andn2_b64 vcc, exec, s[6:7]
	s_cbranch_vccnz .LBB329_814
; %bb.810:
	s_cmp_gt_i32 s8, 0
	s_mov_b64 s[6:7], -1
	s_cbranch_scc0 .LBB329_812
; %bb.811:
	v_cvt_i32_f32_e32 v3, v2
	s_mov_b64 s[6:7], 0
	global_store_byte v[0:1], v3, off
.LBB329_812:
	s_andn2_b64 vcc, exec, s[6:7]
	s_cbranch_vccnz .LBB329_814
; %bb.813:
	v_trunc_f32_e32 v2, v2
	s_mov_b32 s6, 0x2f800000
	v_mul_f32_e64 v3, |v2|, s6
	v_floor_f32_e32 v3, v3
	s_mov_b32 s6, 0xcf800000
	v_fma_f32 v3, v3, s6, |v2|
	v_cvt_u32_f32_e32 v3, v3
	v_ashrrev_i32_e32 v2, 31, v2
	v_xor_b32_e32 v3, v3, v2
	v_sub_u32_e32 v2, v3, v2
	global_store_byte v[0:1], v2, off
.LBB329_814:
	s_mov_b64 s[6:7], -1
.LBB329_815:
	s_andn2_b64 vcc, exec, s[6:7]
	s_cbranch_vccnz .LBB329_817
; %bb.816:
	v_add_u32_e32 v8, 0x80, v8
	s_mov_b64 s[6:7], -1
	s_branch .LBB329_819
.LBB329_817:
	s_mov_b64 s[6:7], 0
.LBB329_818:
                                        ; implicit-def: $vgpr8
.LBB329_819:
	s_andn2_b64 s[8:9], s[64:65], exec
	s_and_b64 s[2:3], s[2:3], exec
	s_or_b64 s[70:71], s[8:9], s[2:3]
	s_andn2_b64 s[2:3], s[62:63], exec
	s_and_b64 s[4:5], s[4:5], exec
	s_or_b64 s[2:3], s[2:3], s[4:5]
	s_orn2_b64 s[6:7], s[6:7], exec
.LBB329_820:
	s_or_b64 exec, exec, s[68:69]
	s_mov_b64 s[4:5], 0
	s_mov_b64 s[10:11], 0
	;; [unrolled: 1-line block ×3, first 2 shown]
                                        ; implicit-def: $vgpr2_vgpr3
                                        ; implicit-def: $vgpr0
                                        ; implicit-def: $vgpr1
	s_and_saveexec_b64 s[68:69], s[6:7]
	s_cbranch_execz .LBB329_920
; %bb.821:
	v_cmp_gt_i32_e32 vcc, s72, v8
	s_mov_b64 s[6:7], 0
	s_mov_b64 s[12:13], s[2:3]
                                        ; implicit-def: $vgpr2_vgpr3
                                        ; implicit-def: $vgpr0
                                        ; implicit-def: $vgpr1
	s_and_saveexec_b64 s[72:73], vcc
	s_cbranch_execz .LBB329_919
; %bb.822:
	s_andn2_b64 vcc, exec, s[42:43]
	s_cbranch_vccnz .LBB329_828
; %bb.823:
	s_andn2_b64 vcc, exec, s[54:55]
	s_cbranch_vccnz .LBB329_829
; %bb.824:
	s_add_i32 s78, s77, 1
	s_cmp_eq_u32 s74, 2
	s_cbranch_scc1 .LBB329_830
; %bb.825:
	s_and_b32 s77, s78, 28
	s_mov_b32 s79, 0
	v_mov_b32_e32 v0, 0
	v_mov_b32_e32 v2, 0
	s_mov_b64 s[54:55], s[34:35]
	v_mov_b32_e32 v4, v8
.LBB329_826:                            ; =>This Inner Loop Header: Depth=1
	s_load_dwordx8 s[12:19], s[54:55], 0x4
	s_load_dwordx4 s[36:39], s[54:55], 0x24
	s_load_dwordx8 s[4:11], s[52:53], 0x0
	s_add_u32 s54, s54, 48
	s_addc_u32 s55, s55, 0
	s_waitcnt vmcnt(0) lgkmcnt(0)
	v_mul_hi_u32 v1, s13, v4
	v_add_u32_e32 v1, v4, v1
	v_lshrrev_b32_e32 v1, s14, v1
	v_mul_lo_u32 v3, v1, s12
	v_mul_hi_u32 v5, s16, v1
	v_sub_u32_e32 v3, v4, v3
	v_add_u32_e32 v4, v1, v5
	v_lshrrev_b32_e32 v4, s17, v4
	v_mul_lo_u32 v6, v4, s15
	v_mul_hi_u32 v7, s19, v4
	v_sub_u32_e32 v1, v1, v6
	v_add_u32_e32 v6, v4, v7
	v_mul_lo_u32 v5, v3, s5
	v_mul_lo_u32 v3, v3, s4
	;; [unrolled: 1-line block ×4, first 2 shown]
	v_lshrrev_b32_e32 v6, s36, v6
	v_add3_u32 v0, v3, v0, v1
	v_mul_hi_u32 v3, s38, v6
	v_add3_u32 v1, v5, v2, v7
	v_mul_lo_u32 v2, v6, s18
	v_add_u32_e32 v3, v6, v3
	v_sub_u32_e32 v2, v4, v2
	v_lshrrev_b32_e32 v4, s39, v3
	s_add_i32 s79, s79, 4
	v_mul_lo_u32 v3, v4, s37
	s_add_u32 s52, s52, 32
	v_sub_u32_e32 v3, v6, v3
	s_addc_u32 s53, s53, 0
	v_mul_lo_u32 v5, v2, s8
	v_mul_lo_u32 v2, v2, s9
	;; [unrolled: 1-line block ×4, first 2 shown]
	s_cmp_eq_u32 s77, s79
	v_add3_u32 v2, v2, v1, v3
	v_add3_u32 v0, v5, v0, v6
	s_cbranch_scc0 .LBB329_826
; %bb.827:
	v_mov_b32_e32 v1, v2
	s_branch .LBB329_831
.LBB329_828:
	s_mov_b64 s[4:5], -1
                                        ; implicit-def: $vgpr2
                                        ; implicit-def: $vgpr0
	s_branch .LBB329_835
.LBB329_829:
	v_mov_b32_e32 v2, 0
	v_mov_b32_e32 v0, 0
	s_branch .LBB329_834
.LBB329_830:
	v_mov_b32_e32 v0, 0
	s_mov_b32 s77, 0
	s_waitcnt vmcnt(0)
	v_mov_b32_e32 v1, v0
                                        ; implicit-def: $vgpr2
	v_mov_b32_e32 v4, v8
.LBB329_831:
	s_and_b32 s8, s78, 3
	s_cmp_eq_u32 s8, 0
	s_cbranch_scc1 .LBB329_834
; %bb.832:
	s_lshl_b32 s4, s77, 3
	s_add_u32 s4, s34, s4
	s_addc_u32 s5, s35, 0
	s_add_u32 s4, s4, 0xc4
	s_addc_u32 s5, s5, 0
	s_mul_i32 s6, s77, 12
	s_add_u32 s6, s34, s6
	s_addc_u32 s7, s35, 0
.LBB329_833:                            ; =>This Inner Loop Header: Depth=1
	s_load_dwordx2 s[10:11], s[6:7], 0x4
	s_load_dword s9, s[6:7], 0xc
	s_load_dwordx2 s[12:13], s[4:5], 0x0
	v_mov_b32_e32 v2, v1
	s_add_u32 s6, s6, 12
	s_waitcnt lgkmcnt(0)
	v_mul_hi_u32 v1, s11, v4
	v_add_u32_e32 v1, v4, v1
	v_lshrrev_b32_e32 v1, s9, v1
	s_addc_u32 s7, s7, 0
	v_mul_lo_u32 v3, v1, s10
	s_add_u32 s4, s4, 8
	v_sub_u32_e32 v5, v4, v3
	s_addc_u32 s5, s5, 0
	s_add_i32 s8, s8, -1
	v_mov_b32_e32 v4, v1
	v_mad_u64_u32 v[2:3], s[10:11], v5, s13, v[2:3]
	v_mad_u64_u32 v[0:1], s[10:11], v5, s12, v[0:1]
	s_cmp_lg_u32 s8, 0
	v_mov_b32_e32 v1, v2
	s_cbranch_scc1 .LBB329_833
.LBB329_834:
	s_mov_b64 s[4:5], 0
.LBB329_835:
	s_andn2_b64 vcc, exec, s[4:5]
	s_cbranch_vccnz .LBB329_838
; %bb.836:
	v_mul_hi_u32 v0, s25, v8
	v_add_u32_e32 v0, v8, v0
	s_waitcnt vmcnt(0)
	v_lshrrev_b32_e32 v1, s26, v0
	v_mul_lo_u32 v0, v1, s24
	v_sub_u32_e32 v0, v8, v0
	v_mul_lo_u32 v2, v0, s29
	s_andn2_b64 vcc, exec, s[50:51]
	v_mul_lo_u32 v0, v0, s28
	s_cbranch_vccnz .LBB329_838
; %bb.837:
	v_mul_hi_u32 v3, s48, v1
	v_add_u32_e32 v3, v1, v3
	v_lshrrev_b32_e32 v3, s49, v3
	v_mul_lo_u32 v3, v3, s27
	v_sub_u32_e32 v3, v1, v3
	v_mad_u64_u32 v[0:1], s[4:5], v3, s30, v[0:1]
	v_mad_u64_u32 v[2:3], s[4:5], v3, s31, v[2:3]
.LBB329_838:
	v_mov_b32_e32 v3, 0
	s_and_b32 s14, 0xffff, s76
	s_cmp_lt_i32 s14, 11
	v_lshl_add_u64 v[2:3], s[22:23], 0, v[2:3]
	s_cbranch_scc1 .LBB329_845
; %bb.839:
	s_cmp_gt_i32 s14, 25
	s_mov_b64 s[6:7], 0
	s_cbranch_scc0 .LBB329_846
; %bb.840:
	s_cmp_gt_i32 s14, 28
	s_cbranch_scc0 .LBB329_847
; %bb.841:
	s_cmp_gt_i32 s14, 43
	;; [unrolled: 3-line block ×3, first 2 shown]
	s_cbranch_scc0 .LBB329_851
; %bb.843:
	s_cmp_eq_u32 s14, 46
	s_mov_b64 s[10:11], 0
	s_cbranch_scc0 .LBB329_854
; %bb.844:
	global_load_dword v1, v[2:3], off
	s_mov_b64 s[4:5], 0
	s_mov_b64 s[8:9], -1
	s_waitcnt vmcnt(0)
	v_lshlrev_b32_e32 v1, 16, v1
	s_branch .LBB329_855
.LBB329_845:
	s_mov_b64 s[10:11], -1
	s_mov_b64 s[8:9], 0
	s_mov_b64 s[6:7], 0
	;; [unrolled: 1-line block ×3, first 2 shown]
                                        ; implicit-def: $vgpr1
	s_branch .LBB329_918
.LBB329_846:
	s_mov_b64 s[10:11], -1
	s_mov_b64 s[8:9], 0
	s_mov_b64 s[4:5], s[2:3]
                                        ; implicit-def: $vgpr1
	s_branch .LBB329_884
.LBB329_847:
	s_mov_b64 s[10:11], -1
	s_mov_b64 s[8:9], 0
	s_mov_b64 s[4:5], s[2:3]
                                        ; implicit-def: $vgpr1
	s_branch .LBB329_865
.LBB329_848:
	s_mov_b64 s[10:11], -1
	s_mov_b64 s[8:9], 0
	s_mov_b64 s[4:5], s[2:3]
                                        ; implicit-def: $vgpr1
	s_branch .LBB329_860
.LBB329_849:
	s_andn2_saveexec_b64 s[10:11], s[10:11]
	s_cbranch_execz .LBB329_728
.LBB329_850:
	s_mov_b32 s14, 0x46000000
	v_add_f32_e64 v3, |v2|, s14
	v_and_b32_e32 v3, 0xff, v3
	v_cmp_ne_u32_e32 vcc, 0, v3
	s_andn2_b64 s[8:9], s[8:9], exec
	s_and_b64 s[14:15], vcc, exec
	s_or_b64 s[8:9], s[8:9], s[14:15]
	s_or_b64 exec, exec, s[10:11]
	v_mov_b32_e32 v4, 0
	s_and_saveexec_b64 s[10:11], s[8:9]
	s_cbranch_execnz .LBB329_729
	s_branch .LBB329_730
.LBB329_851:
	s_mov_b64 s[10:11], -1
	s_mov_b64 s[8:9], 0
	s_mov_b64 s[4:5], s[2:3]
                                        ; implicit-def: $vgpr1
	s_branch .LBB329_855
.LBB329_852:
	s_andn2_saveexec_b64 s[10:11], s[10:11]
	s_cbranch_execz .LBB329_741
.LBB329_853:
	s_mov_b32 s14, 0x42800000
	v_add_f32_e64 v3, |v2|, s14
	v_and_b32_e32 v3, 0xff, v3
	v_cmp_ne_u32_e32 vcc, 0, v3
	s_andn2_b64 s[8:9], s[8:9], exec
	s_and_b64 s[14:15], vcc, exec
	s_or_b64 s[8:9], s[8:9], s[14:15]
	s_or_b64 exec, exec, s[10:11]
	v_mov_b32_e32 v4, 0
	s_and_saveexec_b64 s[10:11], s[8:9]
	s_cbranch_execnz .LBB329_742
	s_branch .LBB329_743
.LBB329_854:
	s_mov_b64 s[4:5], -1
                                        ; implicit-def: $vgpr1
	s_mov_b64 s[8:9], 0
.LBB329_855:
	s_and_b64 vcc, exec, s[10:11]
	s_cbranch_vccz .LBB329_859
; %bb.856:
	s_cmp_eq_u32 s14, 44
	s_cbranch_scc0 .LBB329_858
; %bb.857:
	global_load_ubyte v1, v[2:3], off
	s_movk_i32 s8, 0xff
	v_mov_b32_e32 v4, 0x7f800001
	v_mov_b32_e32 v5, 0x400000
	s_mov_b64 s[4:5], 0
	s_waitcnt vmcnt(0)
	v_lshlrev_b32_e32 v6, 23, v1
	v_cmp_ne_u32_e32 vcc, s8, v1
	s_mov_b64 s[8:9], -1
	s_nop 0
	v_cndmask_b32_e32 v4, v4, v6, vcc
	v_cmp_ne_u32_e32 vcc, 0, v1
	s_nop 1
	v_cndmask_b32_e32 v1, v5, v4, vcc
	s_branch .LBB329_859
.LBB329_858:
	s_mov_b64 s[4:5], -1
                                        ; implicit-def: $vgpr1
.LBB329_859:
	s_mov_b64 s[10:11], 0
.LBB329_860:
	s_and_b64 vcc, exec, s[10:11]
	s_cbranch_vccz .LBB329_864
; %bb.861:
	s_cmp_eq_u32 s14, 29
	s_cbranch_scc0 .LBB329_863
; %bb.862:
	global_load_dwordx2 v[4:5], v[2:3], off
	s_mov_b64 s[4:5], 0
	s_mov_b64 s[8:9], -1
	s_mov_b64 s[10:11], 0
	s_waitcnt vmcnt(0)
	v_ffbh_u32_e32 v1, v5
	v_min_u32_e32 v1, 32, v1
	v_lshlrev_b64 v[4:5], v1, v[4:5]
	v_min_u32_e32 v4, 1, v4
	v_or_b32_e32 v4, v5, v4
	v_cvt_f32_u32_e32 v4, v4
	v_sub_u32_e32 v1, 32, v1
	v_ldexp_f32 v1, v4, v1
	s_branch .LBB329_865
.LBB329_863:
	s_mov_b64 s[4:5], -1
                                        ; implicit-def: $vgpr1
.LBB329_864:
	s_mov_b64 s[10:11], 0
.LBB329_865:
	s_and_b64 vcc, exec, s[10:11]
	s_cbranch_vccz .LBB329_883
; %bb.866:
	s_cmp_lt_i32 s14, 27
	s_cbranch_scc1 .LBB329_869
; %bb.867:
	s_cmp_gt_i32 s14, 27
	s_cbranch_scc0 .LBB329_870
; %bb.868:
	global_load_dword v1, v[2:3], off
	s_mov_b64 s[8:9], 0
	s_waitcnt vmcnt(0)
	v_cvt_f32_u32_e32 v1, v1
	s_branch .LBB329_871
.LBB329_869:
	s_mov_b64 s[8:9], -1
                                        ; implicit-def: $vgpr1
	s_branch .LBB329_874
.LBB329_870:
	s_mov_b64 s[8:9], -1
                                        ; implicit-def: $vgpr1
.LBB329_871:
	s_andn2_b64 vcc, exec, s[8:9]
	s_cbranch_vccnz .LBB329_873
; %bb.872:
	global_load_ushort v1, v[2:3], off
	s_waitcnt vmcnt(0)
	v_cvt_f32_u32_e32 v1, v1
.LBB329_873:
	s_mov_b64 s[8:9], 0
.LBB329_874:
	s_andn2_b64 vcc, exec, s[8:9]
	s_cbranch_vccnz .LBB329_882
; %bb.875:
	global_load_ubyte v4, v[2:3], off
	s_movk_i32 s8, 0x7f
	s_waitcnt vmcnt(0)
	v_cmp_lt_i16_e32 vcc, s8, v4
	s_mov_b64 s[8:9], 0
	s_and_saveexec_b64 s[10:11], vcc
	s_xor_b64 s[10:11], exec, s[10:11]
	s_cbranch_execz .LBB329_896
; %bb.876:
	s_movk_i32 s8, 0x80
	v_cmp_eq_u16_e32 vcc, s8, v4
	s_mov_b64 s[8:9], -1
	s_and_saveexec_b64 s[12:13], vcc
; %bb.877:
	s_xor_b64 s[8:9], exec, -1
; %bb.878:
	s_or_b64 exec, exec, s[12:13]
	s_and_b64 s[8:9], s[8:9], exec
	s_or_saveexec_b64 s[10:11], s[10:11]
	v_mov_b32_e32 v1, 0x7f800001
	s_xor_b64 exec, exec, s[10:11]
	s_cbranch_execnz .LBB329_897
.LBB329_879:
	s_or_b64 exec, exec, s[10:11]
	s_and_saveexec_b64 s[10:11], s[8:9]
	s_cbranch_execz .LBB329_881
.LBB329_880:
	v_lshlrev_b32_e32 v1, 24, v4
	v_and_b32_e32 v4, 0xffff, v4
	v_and_b32_e32 v5, 7, v4
	v_ffbh_u32_e32 v7, v5
	v_min_u32_e32 v7, 32, v7
	v_subrev_u32_e32 v8, 28, v7
	v_bfe_u32 v6, v4, 3, 4
	v_lshlrev_b32_e32 v4, v8, v4
	v_sub_u32_e32 v7, 29, v7
	v_and_b32_e32 v4, 7, v4
	v_cmp_eq_u32_e32 vcc, 0, v6
	v_and_b32_e32 v1, 0x80000000, v1
	s_nop 0
	v_cndmask_b32_e32 v6, v6, v7, vcc
	v_cndmask_b32_e32 v4, v5, v4, vcc
	v_mov_b32_e32 v5, 0x3b800000
	v_lshlrev_b32_e32 v4, 20, v4
	v_lshl_add_u32 v5, v6, 23, v5
	v_or3_b32 v1, v1, v5, v4
.LBB329_881:
	s_or_b64 exec, exec, s[10:11]
.LBB329_882:
	s_mov_b64 s[8:9], -1
.LBB329_883:
	s_mov_b64 s[10:11], 0
.LBB329_884:
	s_and_b64 vcc, exec, s[10:11]
	s_cbranch_vccz .LBB329_917
; %bb.885:
	s_cmp_gt_i32 s14, 22
	s_cbranch_scc0 .LBB329_895
; %bb.886:
	s_cmp_lt_i32 s14, 24
	s_cbranch_scc1 .LBB329_898
; %bb.887:
	s_cmp_gt_i32 s14, 24
	s_cbranch_scc0 .LBB329_899
; %bb.888:
	global_load_ubyte v4, v[2:3], off
	s_movk_i32 s6, 0x7f
	s_waitcnt vmcnt(0)
	v_cmp_lt_i16_e32 vcc, s6, v4
	s_mov_b64 s[6:7], 0
	s_and_saveexec_b64 s[8:9], vcc
	s_xor_b64 s[8:9], exec, s[8:9]
	s_cbranch_execz .LBB329_911
; %bb.889:
	s_movk_i32 s6, 0x80
	v_cmp_eq_u16_e32 vcc, s6, v4
	s_mov_b64 s[6:7], -1
	s_and_saveexec_b64 s[10:11], vcc
; %bb.890:
	s_xor_b64 s[6:7], exec, -1
; %bb.891:
	s_or_b64 exec, exec, s[10:11]
	s_and_b64 s[6:7], s[6:7], exec
	s_or_saveexec_b64 s[8:9], s[8:9]
	v_mov_b32_e32 v1, 0x7f800001
	s_xor_b64 exec, exec, s[8:9]
	s_cbranch_execnz .LBB329_912
.LBB329_892:
	s_or_b64 exec, exec, s[8:9]
	s_and_saveexec_b64 s[8:9], s[6:7]
	s_cbranch_execz .LBB329_894
.LBB329_893:
	v_lshlrev_b32_e32 v1, 24, v4
	v_and_b32_e32 v4, 0xffff, v4
	v_and_b32_e32 v5, 3, v4
	v_ffbh_u32_e32 v7, v5
	v_min_u32_e32 v7, 32, v7
	v_subrev_u32_e32 v8, 29, v7
	v_bfe_u32 v6, v4, 2, 5
	v_lshlrev_b32_e32 v4, v8, v4
	v_sub_u32_e32 v7, 30, v7
	v_and_b32_e32 v4, 3, v4
	v_cmp_eq_u32_e32 vcc, 0, v6
	v_and_b32_e32 v1, 0x80000000, v1
	s_nop 0
	v_cndmask_b32_e32 v6, v6, v7, vcc
	v_cndmask_b32_e32 v4, v5, v4, vcc
	v_mov_b32_e32 v5, 0x37800000
	v_lshlrev_b32_e32 v4, 21, v4
	v_lshl_add_u32 v5, v6, 23, v5
	v_or3_b32 v1, v1, v5, v4
.LBB329_894:
	s_or_b64 exec, exec, s[8:9]
	s_mov_b64 s[6:7], 0
	s_branch .LBB329_900
.LBB329_895:
	s_mov_b64 s[6:7], -1
                                        ; implicit-def: $vgpr1
	s_branch .LBB329_906
.LBB329_896:
	s_or_saveexec_b64 s[10:11], s[10:11]
	v_mov_b32_e32 v1, 0x7f800001
	s_xor_b64 exec, exec, s[10:11]
	s_cbranch_execz .LBB329_879
.LBB329_897:
	v_cmp_ne_u16_e32 vcc, 0, v4
	s_andn2_b64 s[8:9], s[8:9], exec
	s_and_b64 s[12:13], vcc, exec
	v_mov_b32_e32 v1, 0
	s_or_b64 s[8:9], s[8:9], s[12:13]
	s_or_b64 exec, exec, s[10:11]
	s_and_saveexec_b64 s[10:11], s[8:9]
	s_cbranch_execnz .LBB329_880
	s_branch .LBB329_881
.LBB329_898:
	s_mov_b64 s[6:7], -1
                                        ; implicit-def: $vgpr1
	s_branch .LBB329_903
.LBB329_899:
	s_mov_b64 s[6:7], -1
                                        ; implicit-def: $vgpr1
.LBB329_900:
	s_and_b64 vcc, exec, s[6:7]
	s_cbranch_vccz .LBB329_902
; %bb.901:
	global_load_ubyte v1, v[2:3], off
	s_mov_b32 s6, 0x7f800000
	s_waitcnt vmcnt(0)
	v_lshlrev_b32_e32 v1, 24, v1
	v_and_b32_e32 v4, 0x7f000000, v1
	v_ffbh_u32_e32 v5, v4
	v_min_u32_e32 v5, 32, v5
	v_sub_u32_e64 v5, v5, 4 clamp
	v_lshlrev_b32_e32 v7, v5, v4
	v_lshlrev_b32_e32 v5, 23, v5
	v_lshrrev_b32_e32 v7, 4, v7
	v_add_u32_e32 v6, 0x1000000, v4
	v_sub_u32_e32 v5, v7, v5
	v_ashrrev_i32_e32 v6, 8, v6
	v_add_u32_e32 v5, 0x3c000000, v5
	v_and_or_b32 v5, v6, s6, v5
	v_cmp_ne_u32_e32 vcc, 0, v4
	s_brev_b32 s6, 1
	s_nop 0
	v_cndmask_b32_e32 v4, 0, v5, vcc
	v_and_or_b32 v1, v1, s6, v4
.LBB329_902:
	s_mov_b64 s[6:7], 0
.LBB329_903:
	s_andn2_b64 vcc, exec, s[6:7]
	s_cbranch_vccnz .LBB329_905
; %bb.904:
	global_load_ubyte v1, v[2:3], off
	s_movk_i32 s6, 0x7f00
	s_brev_b32 s7, 16
	s_waitcnt vmcnt(0)
	v_lshlrev_b16_e32 v4, 8, v1
	v_lshlrev_b32_e32 v1, 25, v1
	v_lshrrev_b32_e32 v5, 4, v1
	v_and_or_b32 v6, v4, s6, 0.5
	v_or_b32_e32 v5, 0x70000000, v5
	v_add_f32_e32 v6, -0.5, v6
	v_mul_f32_e32 v5, 0x7800000, v5
	v_cmp_gt_u32_e32 vcc, s7, v1
	v_bfe_i32 v4, v4, 0, 16
	s_brev_b32 s6, 1
	v_cndmask_b32_e32 v1, v5, v6, vcc
	v_and_or_b32 v1, v4, s6, v1
.LBB329_905:
	s_mov_b64 s[6:7], 0
	s_mov_b64 s[8:9], -1
.LBB329_906:
	s_andn2_b64 vcc, exec, s[6:7]
	s_mov_b64 s[6:7], 0
	s_cbranch_vccnz .LBB329_917
; %bb.907:
	s_cmp_gt_i32 s14, 14
	s_cbranch_scc0 .LBB329_910
; %bb.908:
	s_cmp_eq_u32 s14, 15
	s_cbranch_scc0 .LBB329_913
; %bb.909:
	global_load_ushort v1, v[2:3], off
	s_mov_b64 s[4:5], 0
	s_mov_b64 s[8:9], -1
	s_waitcnt vmcnt(0)
	v_lshlrev_b32_e32 v1, 16, v1
	s_branch .LBB329_914
.LBB329_910:
	s_mov_b64 s[10:11], -1
                                        ; implicit-def: $vgpr1
	s_branch .LBB329_915
.LBB329_911:
	s_or_saveexec_b64 s[8:9], s[8:9]
	v_mov_b32_e32 v1, 0x7f800001
	s_xor_b64 exec, exec, s[8:9]
	s_cbranch_execz .LBB329_892
.LBB329_912:
	v_cmp_ne_u16_e32 vcc, 0, v4
	s_andn2_b64 s[6:7], s[6:7], exec
	s_and_b64 s[10:11], vcc, exec
	v_mov_b32_e32 v1, 0
	s_or_b64 s[6:7], s[6:7], s[10:11]
	s_or_b64 exec, exec, s[8:9]
	s_and_saveexec_b64 s[8:9], s[6:7]
	s_cbranch_execnz .LBB329_893
	s_branch .LBB329_894
.LBB329_913:
	s_mov_b64 s[4:5], -1
                                        ; implicit-def: $vgpr1
.LBB329_914:
	s_mov_b64 s[10:11], 0
.LBB329_915:
	s_and_b64 vcc, exec, s[10:11]
	s_cbranch_vccz .LBB329_917
; %bb.916:
	s_cmp_lg_u32 s14, 11
	s_cselect_b64 s[10:11], -1, 0
	s_andn2_b64 s[4:5], s[4:5], exec
	s_and_b64 s[10:11], s[10:11], exec
	s_mov_b64 s[6:7], -1
	s_or_b64 s[4:5], s[4:5], s[10:11]
.LBB329_917:
	s_mov_b64 s[10:11], 0
.LBB329_918:
	s_andn2_b64 s[12:13], s[2:3], exec
	s_and_b64 s[4:5], s[4:5], exec
	s_and_b64 s[8:9], s[8:9], exec
	;; [unrolled: 1-line block ×4, first 2 shown]
	s_or_b64 s[12:13], s[12:13], s[4:5]
.LBB329_919:
	s_or_b64 exec, exec, s[72:73]
	s_and_b64 s[4:5], s[6:7], exec
	s_andn2_b64 s[2:3], s[2:3], exec
	s_and_b64 s[6:7], s[12:13], exec
	s_and_b64 s[8:9], s[8:9], exec
	;; [unrolled: 1-line block ×3, first 2 shown]
	s_or_b64 s[2:3], s[2:3], s[6:7]
.LBB329_920:
	s_or_b64 exec, exec, s[68:69]
	s_andn2_b64 s[6:7], s[64:65], exec
	s_and_b64 s[12:13], s[70:71], exec
	s_or_b64 s[64:65], s[6:7], s[12:13]
	s_and_b64 s[6:7], s[10:11], exec
	s_andn2_b64 s[10:11], s[62:63], exec
	s_and_b64 s[2:3], s[2:3], exec
	s_and_b64 s[8:9], s[8:9], exec
	s_and_b64 s[4:5], s[4:5], exec
	s_or_b64 s[62:63], s[10:11], s[2:3]
.LBB329_921:
	s_or_b64 exec, exec, s[66:67]
	s_andn2_b64 s[2:3], s[56:57], exec
	s_and_b64 s[10:11], s[64:65], exec
	s_or_b64 s[56:57], s[2:3], s[10:11]
	s_and_b64 s[2:3], s[8:9], exec
	s_and_b64 s[8:9], s[6:7], exec
	;; [unrolled: 1-line block ×3, first 2 shown]
	s_andn2_b64 s[4:5], s[58:59], exec
	s_and_b64 s[6:7], s[62:63], exec
	s_or_b64 s[58:59], s[4:5], s[6:7]
	s_or_b64 exec, exec, s[60:61]
	s_mov_b64 s[4:5], 0
	s_and_saveexec_b64 s[6:7], s[58:59]
	s_cbranch_execz .LBB329_276
.LBB329_922:
	s_mov_b64 s[4:5], exec
	s_andn2_b64 s[64:65], s[64:65], exec
	s_trap 2
	s_or_b64 exec, exec, s[6:7]
	s_and_saveexec_b64 s[6:7], s[64:65]
	s_xor_b64 s[6:7], exec, s[6:7]
	s_cbranch_execnz .LBB329_277
.LBB329_923:
	s_or_b64 exec, exec, s[6:7]
	s_and_saveexec_b64 s[6:7], s[8:9]
	s_cbranch_execz .LBB329_969
.LBB329_924:
	s_sext_i32_i16 s8, s76
	s_cmp_lt_i32 s8, 5
	s_cbranch_scc1 .LBB329_929
; %bb.925:
	s_cmp_lt_i32 s8, 8
	s_cbranch_scc1 .LBB329_930
; %bb.926:
	;; [unrolled: 3-line block ×3, first 2 shown]
	s_cmp_gt_i32 s8, 9
	s_cbranch_scc0 .LBB329_932
; %bb.928:
	global_load_dwordx2 v[4:5], v[2:3], off
	s_mov_b64 s[8:9], 0
	s_waitcnt vmcnt(0)
	v_cvt_f32_f64_e32 v1, v[4:5]
	s_branch .LBB329_933
.LBB329_929:
                                        ; implicit-def: $vgpr1
	s_branch .LBB329_950
.LBB329_930:
                                        ; implicit-def: $vgpr1
	s_branch .LBB329_939
.LBB329_931:
	s_mov_b64 s[8:9], -1
                                        ; implicit-def: $vgpr1
	s_branch .LBB329_936
.LBB329_932:
	s_mov_b64 s[8:9], -1
                                        ; implicit-def: $vgpr1
.LBB329_933:
	s_andn2_b64 vcc, exec, s[8:9]
	s_cbranch_vccnz .LBB329_935
; %bb.934:
	global_load_dword v1, v[2:3], off
.LBB329_935:
	s_mov_b64 s[8:9], 0
.LBB329_936:
	s_andn2_b64 vcc, exec, s[8:9]
	s_cbranch_vccnz .LBB329_938
; %bb.937:
	global_load_dword v1, v[2:3], off
	s_waitcnt vmcnt(0)
	v_cvt_f32_f16_e32 v1, v1
.LBB329_938:
	s_cbranch_execnz .LBB329_949
.LBB329_939:
	s_sext_i32_i16 s8, s76
	s_cmp_lt_i32 s8, 6
	s_cbranch_scc1 .LBB329_942
; %bb.940:
	s_cmp_gt_i32 s8, 6
	s_cbranch_scc0 .LBB329_943
; %bb.941:
	global_load_dwordx2 v[4:5], v[2:3], off
	s_mov_b64 s[8:9], 0
	s_waitcnt vmcnt(0)
	v_cvt_f32_f64_e32 v1, v[4:5]
	s_branch .LBB329_944
.LBB329_942:
	s_mov_b64 s[8:9], -1
                                        ; implicit-def: $vgpr1
	s_branch .LBB329_947
.LBB329_943:
	s_mov_b64 s[8:9], -1
                                        ; implicit-def: $vgpr1
.LBB329_944:
	s_andn2_b64 vcc, exec, s[8:9]
	s_cbranch_vccnz .LBB329_946
; %bb.945:
	global_load_dword v1, v[2:3], off
.LBB329_946:
	s_mov_b64 s[8:9], 0
.LBB329_947:
	s_andn2_b64 vcc, exec, s[8:9]
	s_cbranch_vccnz .LBB329_949
; %bb.948:
	global_load_ushort v1, v[2:3], off
	s_waitcnt vmcnt(0)
	v_cvt_f32_f16_e32 v1, v1
.LBB329_949:
	s_cbranch_execnz .LBB329_968
.LBB329_950:
	s_sext_i32_i16 s8, s76
	s_cmp_lt_i32 s8, 2
	s_cbranch_scc1 .LBB329_954
; %bb.951:
	s_cmp_lt_i32 s8, 3
	s_cbranch_scc1 .LBB329_955
; %bb.952:
	s_cmp_gt_i32 s8, 3
	s_cbranch_scc0 .LBB329_956
; %bb.953:
	global_load_dwordx2 v[4:5], v[2:3], off
	s_mov_b64 s[8:9], 0
	s_waitcnt vmcnt(0)
	v_xor_b32_e32 v6, v4, v5
	v_ffbh_i32_e32 v1, v5
	v_ashrrev_i32_e32 v6, 31, v6
	v_add_u32_e32 v1, -1, v1
	v_add_u32_e32 v6, 32, v6
	v_min_u32_e32 v1, v1, v6
	v_lshlrev_b64 v[4:5], v1, v[4:5]
	v_min_u32_e32 v4, 1, v4
	v_or_b32_e32 v4, v5, v4
	v_cvt_f32_i32_e32 v4, v4
	v_sub_u32_e32 v1, 32, v1
	v_ldexp_f32 v1, v4, v1
	s_branch .LBB329_957
.LBB329_954:
                                        ; implicit-def: $vgpr1
	s_branch .LBB329_963
.LBB329_955:
	s_mov_b64 s[8:9], -1
                                        ; implicit-def: $vgpr1
	s_branch .LBB329_960
.LBB329_956:
	s_mov_b64 s[8:9], -1
                                        ; implicit-def: $vgpr1
.LBB329_957:
	s_andn2_b64 vcc, exec, s[8:9]
	s_cbranch_vccnz .LBB329_959
; %bb.958:
	global_load_dword v1, v[2:3], off
	s_waitcnt vmcnt(0)
	v_cvt_f32_i32_e32 v1, v1
.LBB329_959:
	s_mov_b64 s[8:9], 0
.LBB329_960:
	s_andn2_b64 vcc, exec, s[8:9]
	s_cbranch_vccnz .LBB329_962
; %bb.961:
	global_load_sshort v1, v[2:3], off
	s_waitcnt vmcnt(0)
	v_cvt_f32_i32_e32 v1, v1
.LBB329_962:
	s_cbranch_execnz .LBB329_968
.LBB329_963:
	s_sext_i32_i16 s8, s76
	s_cmp_gt_i32 s8, 0
	s_cbranch_scc0 .LBB329_965
; %bb.964:
	global_load_sbyte v1, v[2:3], off
	s_mov_b64 s[8:9], 0
	s_waitcnt vmcnt(0)
	v_cvt_f32_i32_e32 v1, v1
	s_branch .LBB329_966
.LBB329_965:
	s_mov_b64 s[8:9], -1
                                        ; implicit-def: $vgpr1
.LBB329_966:
	s_andn2_b64 vcc, exec, s[8:9]
	s_cbranch_vccnz .LBB329_968
; %bb.967:
	global_load_ubyte v1, v[2:3], off
	s_waitcnt vmcnt(0)
	v_cvt_f32_ubyte0_e32 v1, v1
.LBB329_968:
	s_or_b64 s[2:3], s[2:3], exec
.LBB329_969:
	s_or_b64 exec, exec, s[6:7]
	s_mov_b64 s[10:11], 0
	s_mov_b64 s[8:9], 0
                                        ; implicit-def: $sgpr16
                                        ; implicit-def: $vgpr2_vgpr3
                                        ; implicit-def: $vgpr4
	s_and_saveexec_b64 s[6:7], s[2:3]
	s_cbranch_execz .LBB329_987
; %bb.970:
	v_max_f32_e64 v2, s46, s46
	s_waitcnt vmcnt(0)
	v_max_f32_e32 v3, v1, v1
	v_max_f32_e32 v2, v3, v2
	v_max_f32_e64 v3, s47, s47
	v_min_f32_e32 v2, v2, v3
	v_cmp_u_f32_e32 vcc, v1, v1
	s_and_b32 s16, s75, 0xff
	s_cmp_lt_i32 s16, 11
	v_cndmask_b32_e32 v4, v2, v1, vcc
	v_mov_b32_e32 v1, 0
	v_lshl_add_u64 v[2:3], s[20:21], 0, v[0:1]
	s_cbranch_scc1 .LBB329_990
; %bb.971:
	s_and_b32 s17, 0xffff, s16
	s_mov_b64 s[10:11], -1
	s_cmp_gt_i32 s17, 25
	s_mov_b64 s[2:3], s[56:57]
	s_cbranch_scc0 .LBB329_1008
; %bb.972:
	s_mov_b64 s[8:9], -1
	s_cmp_gt_i32 s17, 28
	s_mov_b64 s[2:3], s[56:57]
	s_cbranch_scc0 .LBB329_992
; %bb.973:
	s_cmp_gt_i32 s17, 43
	s_mov_b64 s[2:3], s[56:57]
	s_cbranch_scc0 .LBB329_984
; %bb.974:
	;; [unrolled: 4-line block ×3, first 2 shown]
	s_cmp_eq_u32 s17, 46
	s_mov_b64 s[2:3], -1
	s_cbranch_scc0 .LBB329_977
; %bb.976:
	v_bfe_u32 v0, v4, 16, 1
	s_movk_i32 s2, 0x7fff
	v_add3_u32 v0, v4, v0, s2
	v_cmp_o_f32_e32 vcc, v4, v4
	v_mov_b32_e32 v1, 0x7fc0
	s_mov_b64 s[2:3], 0
	v_cndmask_b32_sdwa v0, v1, v0, vcc dst_sel:DWORD dst_unused:UNUSED_PAD src0_sel:DWORD src1_sel:WORD_1
	global_store_dword v[2:3], v0, off
.LBB329_977:
	s_mov_b64 s[8:9], 0
.LBB329_978:
	s_and_b64 vcc, exec, s[8:9]
	s_cbranch_vccz .LBB329_983
; %bb.979:
	s_cmp_eq_u32 s17, 44
	s_mov_b64 s[2:3], -1
	s_cbranch_scc0 .LBB329_983
; %bb.980:
	v_bfe_u32 v0, v4, 23, 8
	s_movk_i32 s2, 0xff
	v_cmp_ne_u32_e32 vcc, s2, v0
	v_mov_b32_e32 v1, 0xff
	s_and_saveexec_b64 s[8:9], vcc
; %bb.981:
	s_mov_b32 s2, 0x3fffff
	v_and_b32_e32 v5, 0x400000, v4
	v_and_or_b32 v0, v4, s2, v0
	v_cmp_ne_u32_e32 vcc, 0, v5
	v_cmp_ne_u32_e64 s[2:3], 0, v0
	s_and_b64 s[2:3], vcc, s[2:3]
	v_lshrrev_b32_e32 v1, 23, v4
	v_cndmask_b32_e64 v0, 0, 1, s[2:3]
	v_add_u32_e32 v1, v1, v0
; %bb.982:
	s_or_b64 exec, exec, s[8:9]
	s_mov_b64 s[2:3], 0
	global_store_byte v[2:3], v1, off
.LBB329_983:
	s_mov_b64 s[8:9], 0
.LBB329_984:
	s_and_b64 vcc, exec, s[8:9]
	s_cbranch_vccz .LBB329_991
; %bb.985:
	s_cmp_eq_u32 s17, 29
	s_mov_b64 s[2:3], -1
	s_cbranch_scc0 .LBB329_991
; %bb.986:
	v_trunc_f32_e32 v0, v4
	v_mul_f32_e32 v1, 0x2f800000, v0
	v_floor_f32_e32 v5, v1
	v_fmamk_f32 v0, v5, 0xcf800000, v0
	v_cvt_u32_f32_e32 v1, v5
	v_cvt_u32_f32_e32 v0, v0
	s_mov_b64 s[2:3], 0
	s_mov_b64 s[8:9], 0
	global_store_dwordx2 v[2:3], v[0:1], off
	s_branch .LBB329_992
.LBB329_987:
	s_or_b64 exec, exec, s[6:7]
	s_and_saveexec_b64 s[2:3], s[56:57]
	s_cbranch_execnz .LBB329_1050
.LBB329_988:
	s_or_b64 exec, exec, s[2:3]
	s_and_saveexec_b64 s[2:3], s[10:11]
	s_xor_b64 s[2:3], exec, s[2:3]
	s_cbranch_execz .LBB329_1051
.LBB329_989:
	v_cmp_neq_f32_e32 vcc, 0, v4
	s_nop 1
	v_cndmask_b32_e64 v0, 0, 1, vcc
	global_store_byte v[2:3], v0, off
	s_or_b64 exec, exec, s[2:3]
	s_and_saveexec_b64 s[2:3], s[8:9]
	s_xor_b64 s[2:3], exec, s[2:3]
	s_cbranch_execz .LBB329_1089
	s_branch .LBB329_1052
.LBB329_990:
	s_mov_b64 s[8:9], -1
	s_mov_b64 s[2:3], s[56:57]
	s_branch .LBB329_1049
.LBB329_991:
	s_mov_b64 s[8:9], 0
.LBB329_992:
	s_and_b64 vcc, exec, s[8:9]
	s_cbranch_vccz .LBB329_1007
; %bb.993:
	s_cmp_lt_i32 s17, 27
	s_mov_b64 s[8:9], -1
	s_cbranch_scc1 .LBB329_999
; %bb.994:
	s_cmp_gt_i32 s17, 27
	s_cbranch_scc0 .LBB329_996
; %bb.995:
	v_cvt_u32_f32_e32 v0, v4
	s_mov_b64 s[8:9], 0
	global_store_dword v[2:3], v0, off
.LBB329_996:
	s_andn2_b64 vcc, exec, s[8:9]
	s_cbranch_vccnz .LBB329_998
; %bb.997:
	v_cvt_u32_f32_e32 v0, v4
	global_store_short v[2:3], v0, off
.LBB329_998:
	s_mov_b64 s[8:9], 0
.LBB329_999:
	s_andn2_b64 vcc, exec, s[8:9]
	s_cbranch_vccnz .LBB329_1007
; %bb.1000:
	v_and_b32_e32 v0, 0x7fffffff, v4
	s_mov_b32 s8, 0x43800000
	v_cmp_gt_u32_e32 vcc, s8, v0
	v_mov_b32_e32 v1, 0x80
	s_and_saveexec_b64 s[8:9], vcc
	s_cbranch_execz .LBB329_1006
; %bb.1001:
	s_mov_b32 s10, 0x3bffffff
	v_cmp_lt_u32_e32 vcc, s10, v0
	s_mov_b64 s[10:11], 0
                                        ; implicit-def: $vgpr0
	s_and_saveexec_b64 s[12:13], vcc
	s_xor_b64 s[12:13], exec, s[12:13]
	s_cbranch_execz .LBB329_1160
; %bb.1002:
	v_bfe_u32 v0, v4, 20, 1
	s_mov_b32 s14, 0x487ffff
	v_add3_u32 v0, v4, v0, s14
	s_mov_b64 s[10:11], exec
	v_lshrrev_b32_e32 v0, 20, v0
	s_andn2_saveexec_b64 s[12:13], s[12:13]
	s_cbranch_execnz .LBB329_1161
.LBB329_1003:
	s_or_b64 exec, exec, s[12:13]
	v_mov_b32_e32 v1, 0
	s_and_saveexec_b64 s[12:13], s[10:11]
.LBB329_1004:
	v_lshrrev_b32_e32 v1, 24, v4
	s_movk_i32 s10, 0x80
	v_and_or_b32 v1, v1, s10, v0
.LBB329_1005:
	s_or_b64 exec, exec, s[12:13]
.LBB329_1006:
	s_or_b64 exec, exec, s[8:9]
	global_store_byte v[2:3], v1, off
.LBB329_1007:
	s_mov_b64 s[10:11], 0
.LBB329_1008:
	s_mov_b64 s[8:9], 0
	s_and_b64 vcc, exec, s[10:11]
	s_cbranch_vccz .LBB329_1048
; %bb.1009:
	s_cmp_gt_i32 s17, 22
	s_mov_b64 s[10:11], -1
	s_cbranch_scc0 .LBB329_1041
; %bb.1010:
	s_cmp_lt_i32 s17, 24
	s_cbranch_scc1 .LBB329_1030
; %bb.1011:
	s_cmp_gt_i32 s17, 24
	s_cbranch_scc0 .LBB329_1019
; %bb.1012:
	v_and_b32_e32 v0, 0x7fffffff, v4
	s_mov_b32 s10, 0x47800000
	v_cmp_gt_u32_e32 vcc, s10, v0
	v_mov_b32_e32 v1, 0x80
	s_and_saveexec_b64 s[10:11], vcc
	s_cbranch_execz .LBB329_1018
; %bb.1013:
	s_mov_b32 s12, 0x37ffffff
	v_cmp_lt_u32_e32 vcc, s12, v0
	s_mov_b64 s[12:13], 0
                                        ; implicit-def: $vgpr0
	s_and_saveexec_b64 s[14:15], vcc
	s_xor_b64 s[14:15], exec, s[14:15]
	s_cbranch_execz .LBB329_1285
; %bb.1014:
	v_bfe_u32 v0, v4, 21, 1
	s_mov_b32 s18, 0x88fffff
	v_add3_u32 v0, v4, v0, s18
	s_mov_b64 s[12:13], exec
	v_lshrrev_b32_e32 v0, 21, v0
	s_andn2_saveexec_b64 s[14:15], s[14:15]
	s_cbranch_execnz .LBB329_1286
.LBB329_1015:
	s_or_b64 exec, exec, s[14:15]
	v_mov_b32_e32 v1, 0
	s_and_saveexec_b64 s[14:15], s[12:13]
.LBB329_1016:
	v_lshrrev_b32_e32 v1, 24, v4
	s_movk_i32 s12, 0x80
	v_and_or_b32 v1, v1, s12, v0
.LBB329_1017:
	s_or_b64 exec, exec, s[14:15]
.LBB329_1018:
	s_or_b64 exec, exec, s[10:11]
	s_mov_b64 s[10:11], 0
	global_store_byte v[2:3], v1, off
.LBB329_1019:
	s_and_b64 vcc, exec, s[10:11]
	s_cbranch_vccz .LBB329_1029
; %bb.1020:
	v_and_b32_e32 v1, 0x7fffffff, v4
	s_mov_b32 s10, 0x43f00000
	v_cmp_gt_u32_e32 vcc, s10, v1
                                        ; implicit-def: $vgpr0
	s_and_saveexec_b64 s[10:11], vcc
	s_xor_b64 s[10:11], exec, s[10:11]
	s_cbranch_execz .LBB329_1026
; %bb.1021:
	s_mov_b32 s12, 0x3c7fffff
	v_cmp_lt_u32_e32 vcc, s12, v1
                                        ; implicit-def: $vgpr0
	s_and_saveexec_b64 s[12:13], vcc
	s_xor_b64 s[12:13], exec, s[12:13]
; %bb.1022:
	v_bfe_u32 v0, v4, 20, 1
	s_mov_b32 s14, 0x407ffff
	v_add3_u32 v0, v4, v0, s14
	v_lshrrev_b32_e32 v1, 20, v0
	v_and_b32_e32 v0, 0xff00000, v0
	s_mov_b32 s14, 0x7f00000
	v_mov_b32_e32 v5, 0x7e
	v_cmp_ne_u32_e32 vcc, s14, v0
	s_nop 1
	v_cndmask_b32_e32 v0, v5, v1, vcc
; %bb.1023:
	s_andn2_saveexec_b64 s[12:13], s[12:13]
; %bb.1024:
	s_mov_b32 s14, 0x46800000
	v_add_f32_e64 v0, |v4|, s14
; %bb.1025:
	s_or_b64 exec, exec, s[12:13]
                                        ; implicit-def: $vgpr1
.LBB329_1026:
	s_andn2_saveexec_b64 s[10:11], s[10:11]
; %bb.1027:
	s_mov_b32 s12, 0x7f800000
	v_mov_b32_e32 v0, 0x7e
	v_mov_b32_e32 v5, 0x7f
	v_cmp_lt_u32_e32 vcc, s12, v1
	s_nop 1
	v_cndmask_b32_e32 v0, v0, v5, vcc
; %bb.1028:
	s_or_b64 exec, exec, s[10:11]
	v_lshrrev_b32_e32 v1, 24, v4
	s_movk_i32 s10, 0x80
	v_and_or_b32 v0, v1, s10, v0
	global_store_byte v[2:3], v0, off
.LBB329_1029:
	s_mov_b64 s[10:11], 0
.LBB329_1030:
	s_andn2_b64 vcc, exec, s[10:11]
	s_cbranch_vccnz .LBB329_1040
; %bb.1031:
	v_and_b32_e32 v1, 0x7fffffff, v4
	s_mov_b32 s10, 0x47800000
	v_cmp_gt_u32_e32 vcc, s10, v1
                                        ; implicit-def: $vgpr0
	s_and_saveexec_b64 s[10:11], vcc
	s_xor_b64 s[10:11], exec, s[10:11]
	s_cbranch_execz .LBB329_1037
; %bb.1032:
	s_mov_b32 s12, 0x387fffff
	v_cmp_lt_u32_e32 vcc, s12, v1
                                        ; implicit-def: $vgpr0
	s_and_saveexec_b64 s[12:13], vcc
	s_xor_b64 s[12:13], exec, s[12:13]
; %bb.1033:
	v_bfe_u32 v0, v4, 21, 1
	s_mov_b32 s14, 0x80fffff
	v_add3_u32 v0, v4, v0, s14
	v_lshrrev_b32_e32 v0, 21, v0
; %bb.1034:
	s_andn2_saveexec_b64 s[12:13], s[12:13]
; %bb.1035:
	s_mov_b32 s14, 0x43000000
	v_add_f32_e64 v0, |v4|, s14
; %bb.1036:
	s_or_b64 exec, exec, s[12:13]
                                        ; implicit-def: $vgpr1
.LBB329_1037:
	s_andn2_saveexec_b64 s[10:11], s[10:11]
; %bb.1038:
	s_mov_b32 s12, 0x7f800000
	v_mov_b32_e32 v0, 0x7c
	v_mov_b32_e32 v5, 0x7f
	v_cmp_lt_u32_e32 vcc, s12, v1
	s_nop 1
	v_cndmask_b32_e32 v0, v0, v5, vcc
; %bb.1039:
	s_or_b64 exec, exec, s[10:11]
	v_lshrrev_b32_e32 v1, 24, v4
	s_movk_i32 s10, 0x80
	v_and_or_b32 v0, v1, s10, v0
	global_store_byte v[2:3], v0, off
.LBB329_1040:
	s_mov_b64 s[10:11], 0
.LBB329_1041:
	s_andn2_b64 vcc, exec, s[10:11]
	s_mov_b64 s[10:11], 0
	s_cbranch_vccnz .LBB329_1049
; %bb.1042:
	s_cmp_gt_i32 s17, 14
	s_mov_b64 s[12:13], -1
	s_cbranch_scc0 .LBB329_1046
; %bb.1043:
	s_cmp_eq_u32 s17, 15
	s_mov_b64 s[2:3], -1
	s_cbranch_scc0 .LBB329_1045
; %bb.1044:
	v_bfe_u32 v0, v4, 16, 1
	s_movk_i32 s2, 0x7fff
	v_add3_u32 v0, v4, v0, s2
	v_cmp_o_f32_e32 vcc, v4, v4
	v_mov_b32_e32 v1, 0x7fc0
	s_mov_b64 s[2:3], 0
	v_cndmask_b32_sdwa v0, v1, v0, vcc dst_sel:DWORD dst_unused:UNUSED_PAD src0_sel:DWORD src1_sel:WORD_1
	global_store_short v[2:3], v0, off
.LBB329_1045:
	s_mov_b64 s[12:13], 0
.LBB329_1046:
	s_and_b64 vcc, exec, s[12:13]
	s_cbranch_vccz .LBB329_1049
; %bb.1047:
	s_cmp_lg_u32 s17, 11
	s_cselect_b64 s[12:13], -1, 0
	s_andn2_b64 s[2:3], s[2:3], exec
	s_and_b64 s[12:13], s[12:13], exec
	s_mov_b64 s[10:11], -1
	s_or_b64 s[2:3], s[2:3], s[12:13]
	s_branch .LBB329_1049
.LBB329_1048:
	s_mov_b64 s[10:11], 0
.LBB329_1049:
	s_andn2_b64 s[12:13], s[56:57], exec
	s_and_b64 s[2:3], s[2:3], exec
	s_and_b64 s[8:9], s[8:9], exec
	;; [unrolled: 1-line block ×3, first 2 shown]
	s_or_b64 s[56:57], s[12:13], s[2:3]
	s_or_b64 exec, exec, s[6:7]
	s_and_saveexec_b64 s[2:3], s[56:57]
	s_cbranch_execz .LBB329_988
.LBB329_1050:
	s_or_b64 s[4:5], s[4:5], exec
	s_andn2_b64 s[10:11], s[10:11], exec
	s_trap 2
	s_or_b64 exec, exec, s[2:3]
	s_and_saveexec_b64 s[2:3], s[10:11]
	s_xor_b64 s[2:3], exec, s[2:3]
	s_cbranch_execnz .LBB329_989
.LBB329_1051:
	s_or_b64 exec, exec, s[2:3]
	s_and_saveexec_b64 s[2:3], s[8:9]
	s_xor_b64 s[2:3], exec, s[2:3]
	s_cbranch_execz .LBB329_1089
.LBB329_1052:
	s_sext_i32_i16 s8, s16
	s_cmp_lt_i32 s8, 5
	s_mov_b64 s[6:7], -1
	s_cbranch_scc1 .LBB329_1073
; %bb.1053:
	s_cmp_lt_i32 s8, 8
	s_cbranch_scc1 .LBB329_1063
; %bb.1054:
	s_cmp_lt_i32 s8, 9
	s_cbranch_scc1 .LBB329_1060
; %bb.1055:
	s_cmp_gt_i32 s8, 9
	s_cbranch_scc0 .LBB329_1057
; %bb.1056:
	v_mov_b32_e32 v8, 0
	v_cvt_f64_f32_e32 v[6:7], v4
	v_mov_b32_e32 v9, v8
	s_mov_b64 s[6:7], 0
	global_store_dwordx4 v[2:3], v[6:9], off
.LBB329_1057:
	s_andn2_b64 vcc, exec, s[6:7]
	s_cbranch_vccnz .LBB329_1059
; %bb.1058:
	v_mov_b32_e32 v5, 0
	global_store_dwordx2 v[2:3], v[4:5], off
.LBB329_1059:
	s_mov_b64 s[6:7], 0
.LBB329_1060:
	s_andn2_b64 vcc, exec, s[6:7]
	s_cbranch_vccnz .LBB329_1062
; %bb.1061:
	v_cvt_f16_f32_e32 v0, v4
	global_store_dword v[2:3], v0, off
.LBB329_1062:
	s_mov_b64 s[6:7], 0
.LBB329_1063:
	s_andn2_b64 vcc, exec, s[6:7]
	s_cbranch_vccnz .LBB329_1072
; %bb.1064:
	s_sext_i32_i16 s8, s16
	s_cmp_lt_i32 s8, 6
	s_mov_b64 s[6:7], -1
	s_cbranch_scc1 .LBB329_1070
; %bb.1065:
	s_cmp_gt_i32 s8, 6
	s_cbranch_scc0 .LBB329_1067
; %bb.1066:
	s_waitcnt vmcnt(0)
	v_cvt_f64_f32_e32 v[0:1], v4
	s_mov_b64 s[6:7], 0
	global_store_dwordx2 v[2:3], v[0:1], off
.LBB329_1067:
	s_andn2_b64 vcc, exec, s[6:7]
	s_cbranch_vccnz .LBB329_1069
; %bb.1068:
	global_store_dword v[2:3], v4, off
.LBB329_1069:
	s_mov_b64 s[6:7], 0
.LBB329_1070:
	s_andn2_b64 vcc, exec, s[6:7]
	s_cbranch_vccnz .LBB329_1072
; %bb.1071:
	v_cvt_f16_f32_e32 v0, v4
	global_store_short v[2:3], v0, off
.LBB329_1072:
	s_mov_b64 s[6:7], 0
.LBB329_1073:
	s_andn2_b64 vcc, exec, s[6:7]
	s_cbranch_vccnz .LBB329_1089
; %bb.1074:
	s_sext_i32_i16 s8, s16
	s_cmp_lt_i32 s8, 2
	s_mov_b64 s[6:7], -1
	s_cbranch_scc1 .LBB329_1084
; %bb.1075:
	s_cmp_lt_i32 s8, 3
	s_cbranch_scc1 .LBB329_1081
; %bb.1076:
	s_cmp_gt_i32 s8, 3
	s_cbranch_scc0 .LBB329_1078
; %bb.1077:
	v_trunc_f32_e32 v0, v4
	s_mov_b32 s6, 0x2f800000
	s_waitcnt vmcnt(0)
	v_mul_f32_e64 v1, |v0|, s6
	v_floor_f32_e32 v1, v1
	s_mov_b32 s6, 0xcf800000
	v_cvt_u32_f32_e32 v5, v1
	v_fma_f32 v1, v1, s6, |v0|
	v_cvt_u32_f32_e32 v1, v1
	v_ashrrev_i32_e32 v6, 31, v0
	v_xor_b32_e32 v5, v5, v6
	s_mov_b64 s[6:7], 0
	v_xor_b32_e32 v0, v1, v6
	v_sub_co_u32_e32 v0, vcc, v0, v6
	s_nop 1
	v_subb_co_u32_e32 v1, vcc, v5, v6, vcc
	global_store_dwordx2 v[2:3], v[0:1], off
.LBB329_1078:
	s_andn2_b64 vcc, exec, s[6:7]
	s_cbranch_vccnz .LBB329_1080
; %bb.1079:
	v_cvt_i32_f32_e32 v0, v4
	global_store_dword v[2:3], v0, off
.LBB329_1080:
	s_mov_b64 s[6:7], 0
.LBB329_1081:
	s_andn2_b64 vcc, exec, s[6:7]
	s_cbranch_vccnz .LBB329_1083
; %bb.1082:
	v_cvt_i32_f32_e32 v0, v4
	global_store_short v[2:3], v0, off
.LBB329_1083:
	s_mov_b64 s[6:7], 0
.LBB329_1084:
	s_andn2_b64 vcc, exec, s[6:7]
	s_cbranch_vccnz .LBB329_1089
; %bb.1085:
	s_sext_i32_i16 s6, s16
	s_cmp_gt_i32 s6, 0
	s_mov_b64 s[6:7], -1
	s_cbranch_scc0 .LBB329_1087
; %bb.1086:
	v_cvt_i32_f32_e32 v0, v4
	s_mov_b64 s[6:7], 0
	global_store_byte v[2:3], v0, off
.LBB329_1087:
	s_andn2_b64 vcc, exec, s[6:7]
	s_cbranch_vccnz .LBB329_1089
; %bb.1088:
	v_trunc_f32_e32 v0, v4
	s_mov_b32 s6, 0x2f800000
	s_waitcnt vmcnt(0)
	v_mul_f32_e64 v1, |v0|, s6
	v_floor_f32_e32 v1, v1
	s_mov_b32 s6, 0xcf800000
	v_fma_f32 v1, v1, s6, |v0|
	v_cvt_u32_f32_e32 v1, v1
	v_ashrrev_i32_e32 v0, 31, v0
	v_xor_b32_e32 v1, v1, v0
	v_sub_u32_e32 v0, v1, v0
	global_store_byte v[2:3], v0, off
.LBB329_1089:
	s_or_b64 exec, exec, s[2:3]
	s_and_b64 s[24:25], s[4:5], exec
                                        ; implicit-def: $vgpr16
                                        ; implicit-def: $vgpr8
.LBB329_1090:
	s_or_saveexec_b64 s[26:27], s[44:45]
	s_mov_b64 s[6:7], 0
                                        ; implicit-def: $vgpr0_vgpr1
                                        ; implicit-def: $sgpr14
                                        ; implicit-def: $vgpr2
	s_xor_b64 exec, exec, s[26:27]
	s_cbranch_execz .LBB329_2094
; %bb.1091:
	v_cndmask_b32_e64 v0, 0, 1, s[42:43]
	v_cmp_ne_u32_e64 s[2:3], 1, v0
	s_andn2_b64 vcc, exec, s[42:43]
	s_cbranch_vccnz .LBB329_1097
; %bb.1092:
	s_cmp_lg_u32 s33, 0
	s_mov_b32 s36, 0
	s_cbranch_scc0 .LBB329_1098
; %bb.1093:
	s_min_u32 s37, s74, 15
	s_add_i32 s37, s37, 1
	s_cmp_eq_u32 s74, 2
	s_cbranch_scc1 .LBB329_1099
; %bb.1094:
	s_and_b32 s36, s37, 28
	s_add_u32 s28, s34, 0xc4
	s_addc_u32 s29, s35, 0
	s_mov_b32 s38, 0
	v_mov_b32_e32 v6, 0
	v_mov_b32_e32 v14, 0
	s_mov_b64 s[30:31], s[34:35]
	v_mov_b32_e32 v0, v8
.LBB329_1095:                           ; =>This Inner Loop Header: Depth=1
	s_load_dwordx8 s[12:19], s[30:31], 0x4
	s_load_dwordx4 s[20:23], s[30:31], 0x24
	s_load_dwordx8 s[4:11], s[28:29], 0x0
	s_add_u32 s30, s30, 48
	s_addc_u32 s31, s31, 0
	s_waitcnt vmcnt(0) lgkmcnt(0)
	v_mul_hi_u32 v1, s13, v0
	v_add_u32_e32 v1, v0, v1
	v_lshrrev_b32_e32 v1, s14, v1
	v_mul_lo_u32 v2, v1, s12
	v_mul_hi_u32 v3, s16, v1
	v_sub_u32_e32 v0, v0, v2
	v_add_u32_e32 v2, v1, v3
	v_lshrrev_b32_e32 v2, s17, v2
	v_mul_lo_u32 v4, v2, s15
	v_mul_hi_u32 v5, s19, v2
	v_sub_u32_e32 v1, v1, v4
	v_add_u32_e32 v4, v2, v5
	v_mul_lo_u32 v3, v0, s5
	v_mul_lo_u32 v0, v0, s4
	;; [unrolled: 1-line block ×4, first 2 shown]
	v_lshrrev_b32_e32 v4, s20, v4
	v_add3_u32 v1, v0, v6, v1
	v_add3_u32 v3, v3, v14, v5
	v_mul_lo_u32 v0, v4, s18
	v_mul_hi_u32 v5, s22, v4
	v_sub_u32_e32 v0, v2, v0
	v_add_u32_e32 v2, v4, v5
	v_mul_lo_u32 v5, v0, s8
	v_mul_lo_u32 v6, v0, s9
	v_lshrrev_b32_e32 v0, s23, v2
	s_add_i32 s38, s38, 4
	v_mul_lo_u32 v2, v0, s21
	s_add_u32 s28, s28, 32
	v_sub_u32_e32 v2, v4, v2
	s_addc_u32 s29, s29, 0
	v_mul_lo_u32 v4, v2, s10
	v_mul_lo_u32 v2, v2, s11
	s_cmp_lg_u32 s36, s38
	v_add3_u32 v14, v6, v3, v2
	v_add3_u32 v6, v5, v1, v4
	s_cbranch_scc1 .LBB329_1095
; %bb.1096:
	v_mov_b32_e32 v1, v14
	s_and_b32 s8, s37, 3
	s_cmp_eq_u32 s8, 0
	s_cbranch_scc0 .LBB329_1100
	s_branch .LBB329_1102
.LBB329_1097:
                                        ; implicit-def: $vgpr14
                                        ; implicit-def: $vgpr6
	s_branch .LBB329_1103
.LBB329_1098:
	v_mov_b32_e32 v14, 0
	v_mov_b32_e32 v6, 0
	s_branch .LBB329_1102
.LBB329_1099:
	v_mov_b32_e32 v6, 0
                                        ; implicit-def: $vgpr14
	s_waitcnt vmcnt(0)
	v_mov_b32_e32 v1, v6
	v_mov_b32_e32 v0, v8
	s_and_b32 s8, s37, 3
	s_cmp_eq_u32 s8, 0
	s_cbranch_scc1 .LBB329_1102
.LBB329_1100:
	s_lshl_b32 s4, s36, 3
	s_add_u32 s4, s34, s4
	s_addc_u32 s5, s35, 0
	s_add_u32 s4, s4, 0xc4
	s_addc_u32 s5, s5, 0
	s_mul_i32 s6, s36, 12
	s_add_u32 s6, s34, s6
	s_addc_u32 s7, s35, 0
.LBB329_1101:                           ; =>This Inner Loop Header: Depth=1
	s_load_dwordx2 s[10:11], s[6:7], 0x4
	s_load_dword s9, s[6:7], 0xc
	s_load_dwordx2 s[12:13], s[4:5], 0x0
	v_mov_b32_e32 v2, v1
	s_add_u32 s6, s6, 12
	s_waitcnt lgkmcnt(0)
	v_mul_hi_u32 v1, s11, v0
	v_add_u32_e32 v1, v0, v1
	v_lshrrev_b32_e32 v1, s9, v1
	s_addc_u32 s7, s7, 0
	v_mul_lo_u32 v3, v1, s10
	s_add_u32 s4, s4, 8
	v_sub_u32_e32 v3, v0, v3
	s_addc_u32 s5, s5, 0
	s_add_i32 s8, s8, -1
	v_mad_u64_u32 v[14:15], s[10:11], v3, s13, v[2:3]
	s_cmp_lg_u32 s8, 0
	v_mov_b32_e32 v0, v1
	v_mad_u64_u32 v[6:7], s[10:11], v3, s12, v[6:7]
	v_mov_b32_e32 v1, v14
	s_cbranch_scc1 .LBB329_1101
.LBB329_1102:
	s_cbranch_execnz .LBB329_1105
.LBB329_1103:
	s_load_dwordx4 s[4:7], s[34:35], 0x4
	s_load_dwordx2 s[8:9], s[34:35], 0xc4
	s_cmp_lt_u32 s33, 2
	s_waitcnt lgkmcnt(0)
	v_mul_hi_u32 v0, s5, v8
	v_add_u32_e32 v0, v8, v0
	v_lshrrev_b32_e32 v0, s6, v0
	s_waitcnt vmcnt(0)
	v_mul_lo_u32 v1, v0, s4
	v_sub_u32_e32 v1, v8, v1
	v_mul_lo_u32 v14, v1, s9
	v_mul_lo_u32 v6, v1, s8
	s_cbranch_scc1 .LBB329_1105
; %bb.1104:
	s_load_dwordx4 s[4:7], s[34:35], 0x10
	s_load_dwordx2 s[8:9], s[34:35], 0xcc
	s_waitcnt lgkmcnt(0)
	v_mul_hi_u32 v1, s5, v0
	v_add_u32_e32 v1, v0, v1
	v_lshrrev_b32_e32 v1, s6, v1
	v_mul_lo_u32 v1, v1, s4
	v_sub_u32_e32 v0, v0, v1
	v_mad_u64_u32 v[6:7], s[4:5], v0, s8, v[6:7]
	v_mad_u64_u32 v[14:15], s[4:5], v0, s9, v[14:15]
.LBB329_1105:
	s_and_b64 vcc, exec, s[2:3]
	v_add_u32_e32 v0, 0x80, v8
	s_cbranch_vccnz .LBB329_1111
; %bb.1106:
	s_cmp_lg_u32 s33, 0
	s_mov_b32 s36, 0
	s_cbranch_scc0 .LBB329_1112
; %bb.1107:
	s_min_u32 s37, s74, 15
	s_add_i32 s37, s37, 1
	s_cmp_eq_u32 s74, 2
	s_cbranch_scc1 .LBB329_1113
; %bb.1108:
	s_and_b32 s36, s37, 28
	s_add_u32 s28, s34, 0xc4
	s_addc_u32 s29, s35, 0
	s_mov_b32 s38, 0
	v_mov_b32_e32 v4, 0
	v_mov_b32_e32 v12, 0
	s_mov_b64 s[30:31], s[34:35]
	v_mov_b32_e32 v2, v0
.LBB329_1109:                           ; =>This Inner Loop Header: Depth=1
	s_load_dwordx8 s[12:19], s[30:31], 0x4
	s_load_dwordx4 s[20:23], s[30:31], 0x24
	s_load_dwordx8 s[4:11], s[28:29], 0x0
	s_add_u32 s30, s30, 48
	s_addc_u32 s31, s31, 0
	s_waitcnt vmcnt(0) lgkmcnt(0)
	v_mul_hi_u32 v1, s13, v2
	v_add_u32_e32 v1, v2, v1
	v_lshrrev_b32_e32 v1, s14, v1
	v_mul_lo_u32 v3, v1, s12
	v_mul_hi_u32 v5, s16, v1
	v_sub_u32_e32 v2, v2, v3
	v_add_u32_e32 v3, v1, v5
	v_lshrrev_b32_e32 v3, s17, v3
	v_mul_lo_u32 v7, v3, s15
	v_mul_hi_u32 v9, s19, v3
	v_sub_u32_e32 v1, v1, v7
	v_add_u32_e32 v7, v3, v9
	v_mul_lo_u32 v5, v2, s5
	v_mul_lo_u32 v2, v2, s4
	;; [unrolled: 1-line block ×4, first 2 shown]
	v_lshrrev_b32_e32 v7, s20, v7
	v_add3_u32 v1, v2, v4, v1
	v_add3_u32 v4, v5, v12, v9
	v_mul_lo_u32 v2, v7, s18
	v_mul_hi_u32 v5, s22, v7
	v_sub_u32_e32 v2, v3, v2
	v_add_u32_e32 v3, v7, v5
	v_mul_lo_u32 v5, v2, s8
	v_mul_lo_u32 v9, v2, s9
	v_lshrrev_b32_e32 v2, s23, v3
	s_add_i32 s38, s38, 4
	v_mul_lo_u32 v3, v2, s21
	s_add_u32 s28, s28, 32
	v_sub_u32_e32 v3, v7, v3
	s_addc_u32 s29, s29, 0
	v_mul_lo_u32 v7, v3, s10
	v_mul_lo_u32 v3, v3, s11
	s_cmp_lg_u32 s36, s38
	v_add3_u32 v12, v9, v4, v3
	v_add3_u32 v4, v5, v1, v7
	s_cbranch_scc1 .LBB329_1109
; %bb.1110:
	v_mov_b32_e32 v1, v12
	s_and_b32 s8, s37, 3
	s_cmp_eq_u32 s8, 0
	s_cbranch_scc0 .LBB329_1114
	s_branch .LBB329_1116
.LBB329_1111:
                                        ; implicit-def: $vgpr12
                                        ; implicit-def: $vgpr4
	s_branch .LBB329_1117
.LBB329_1112:
	v_mov_b32_e32 v12, 0
	v_mov_b32_e32 v4, 0
	s_branch .LBB329_1116
.LBB329_1113:
	v_mov_b32_e32 v4, 0
                                        ; implicit-def: $vgpr12
	s_waitcnt vmcnt(0)
	v_mov_b32_e32 v1, v4
	v_mov_b32_e32 v2, v0
	s_and_b32 s8, s37, 3
	s_cmp_eq_u32 s8, 0
	s_cbranch_scc1 .LBB329_1116
.LBB329_1114:
	s_lshl_b32 s4, s36, 3
	s_add_u32 s4, s34, s4
	s_addc_u32 s5, s35, 0
	s_add_u32 s4, s4, 0xc4
	s_addc_u32 s5, s5, 0
	s_mul_i32 s6, s36, 12
	s_add_u32 s6, s34, s6
	s_addc_u32 s7, s35, 0
.LBB329_1115:                           ; =>This Inner Loop Header: Depth=1
	s_load_dwordx2 s[10:11], s[6:7], 0x4
	s_load_dword s9, s[6:7], 0xc
	s_load_dwordx2 s[12:13], s[4:5], 0x0
	v_mov_b32_e32 v10, v1
	s_add_u32 s6, s6, 12
	s_waitcnt lgkmcnt(0)
	v_mul_hi_u32 v1, s11, v2
	v_add_u32_e32 v1, v2, v1
	v_lshrrev_b32_e32 v1, s9, v1
	s_addc_u32 s7, s7, 0
	v_mul_lo_u32 v3, v1, s10
	s_add_u32 s4, s4, 8
	v_sub_u32_e32 v3, v2, v3
	s_addc_u32 s5, s5, 0
	s_add_i32 s8, s8, -1
	v_mad_u64_u32 v[12:13], s[10:11], v3, s13, v[10:11]
	s_cmp_lg_u32 s8, 0
	v_mov_b32_e32 v2, v1
	v_mad_u64_u32 v[4:5], s[10:11], v3, s12, v[4:5]
	v_mov_b32_e32 v1, v12
	s_cbranch_scc1 .LBB329_1115
.LBB329_1116:
	s_cbranch_execnz .LBB329_1119
.LBB329_1117:
	s_load_dwordx4 s[4:7], s[34:35], 0x4
	s_load_dwordx2 s[8:9], s[34:35], 0xc4
	s_cmp_lt_u32 s33, 2
	s_waitcnt vmcnt(0) lgkmcnt(0)
	v_mul_hi_u32 v1, s5, v0
	v_add_u32_e32 v1, v0, v1
	v_lshrrev_b32_e32 v1, s6, v1
	v_mul_lo_u32 v2, v1, s4
	v_sub_u32_e32 v0, v0, v2
	v_mul_lo_u32 v12, v0, s9
	v_mul_lo_u32 v4, v0, s8
	s_cbranch_scc1 .LBB329_1119
; %bb.1118:
	s_load_dwordx4 s[4:7], s[34:35], 0x10
	s_load_dwordx2 s[8:9], s[34:35], 0xcc
	s_waitcnt lgkmcnt(0)
	v_mul_hi_u32 v0, s5, v1
	v_add_u32_e32 v0, v1, v0
	v_lshrrev_b32_e32 v0, s6, v0
	v_mul_lo_u32 v0, v0, s4
	v_sub_u32_e32 v0, v1, v0
	v_mad_u64_u32 v[4:5], s[4:5], v0, s8, v[4:5]
	v_mad_u64_u32 v[12:13], s[4:5], v0, s9, v[12:13]
.LBB329_1119:
	s_and_b64 vcc, exec, s[2:3]
	v_add_u32_e32 v0, 0x100, v8
	s_cbranch_vccnz .LBB329_1125
; %bb.1120:
	s_cmp_lg_u32 s33, 0
	s_mov_b32 s36, 0
	s_cbranch_scc0 .LBB329_1126
; %bb.1121:
	s_min_u32 s37, s74, 15
	s_add_i32 s37, s37, 1
	s_cmp_eq_u32 s74, 2
	s_cbranch_scc1 .LBB329_1127
; %bb.1122:
	s_and_b32 s36, s37, 28
	s_add_u32 s28, s34, 0xc4
	s_addc_u32 s29, s35, 0
	s_mov_b32 s38, 0
	v_mov_b32_e32 v2, 0
	v_mov_b32_e32 v10, 0
	s_mov_b64 s[30:31], s[34:35]
	v_mov_b32_e32 v5, v0
.LBB329_1123:                           ; =>This Inner Loop Header: Depth=1
	s_load_dwordx8 s[12:19], s[30:31], 0x4
	s_load_dwordx4 s[20:23], s[30:31], 0x24
	s_load_dwordx8 s[4:11], s[28:29], 0x0
	s_add_u32 s30, s30, 48
	s_addc_u32 s31, s31, 0
	s_waitcnt vmcnt(0) lgkmcnt(0)
	v_mul_hi_u32 v1, s13, v5
	v_add_u32_e32 v1, v5, v1
	v_lshrrev_b32_e32 v1, s14, v1
	v_mul_lo_u32 v3, v1, s12
	v_mul_hi_u32 v7, s16, v1
	v_sub_u32_e32 v3, v5, v3
	v_add_u32_e32 v5, v1, v7
	v_lshrrev_b32_e32 v5, s17, v5
	v_mul_lo_u32 v8, v5, s15
	v_mul_hi_u32 v9, s19, v5
	v_sub_u32_e32 v1, v1, v8
	v_add_u32_e32 v8, v5, v9
	v_mul_lo_u32 v7, v3, s5
	v_mul_lo_u32 v3, v3, s4
	;; [unrolled: 1-line block ×4, first 2 shown]
	v_lshrrev_b32_e32 v8, s20, v8
	v_add3_u32 v1, v3, v2, v1
	v_add3_u32 v2, v7, v10, v9
	v_mul_lo_u32 v3, v8, s18
	v_mul_hi_u32 v7, s22, v8
	v_sub_u32_e32 v3, v5, v3
	v_add_u32_e32 v5, v8, v7
	v_lshrrev_b32_e32 v5, s23, v5
	s_add_i32 s38, s38, 4
	v_mul_lo_u32 v9, v5, s21
	s_add_u32 s28, s28, 32
	v_sub_u32_e32 v8, v8, v9
	s_addc_u32 s29, s29, 0
	v_mul_lo_u32 v7, v3, s8
	v_mul_lo_u32 v3, v3, s9
	;; [unrolled: 1-line block ×4, first 2 shown]
	s_cmp_lg_u32 s36, s38
	v_add3_u32 v10, v3, v2, v8
	v_add3_u32 v2, v7, v1, v9
	s_cbranch_scc1 .LBB329_1123
; %bb.1124:
	v_mov_b32_e32 v1, v10
	s_and_b32 s8, s37, 3
	s_cmp_eq_u32 s8, 0
	s_cbranch_scc0 .LBB329_1128
	s_branch .LBB329_1130
.LBB329_1125:
                                        ; implicit-def: $vgpr10
                                        ; implicit-def: $vgpr2
	s_branch .LBB329_1131
.LBB329_1126:
	v_mov_b32_e32 v10, 0
	v_mov_b32_e32 v2, 0
	s_branch .LBB329_1130
.LBB329_1127:
	v_mov_b32_e32 v2, 0
                                        ; implicit-def: $vgpr10
	s_waitcnt vmcnt(0)
	v_mov_b32_e32 v1, v2
	v_mov_b32_e32 v5, v0
	s_and_b32 s8, s37, 3
	s_cmp_eq_u32 s8, 0
	s_cbranch_scc1 .LBB329_1130
.LBB329_1128:
	s_lshl_b32 s4, s36, 3
	s_add_u32 s4, s34, s4
	s_addc_u32 s5, s35, 0
	s_add_u32 s4, s4, 0xc4
	s_addc_u32 s5, s5, 0
	s_mul_i32 s6, s36, 12
	s_add_u32 s6, s34, s6
	s_addc_u32 s7, s35, 0
.LBB329_1129:                           ; =>This Inner Loop Header: Depth=1
	s_load_dwordx2 s[10:11], s[6:7], 0x4
	s_load_dword s9, s[6:7], 0xc
	s_load_dwordx2 s[12:13], s[4:5], 0x0
	v_mov_b32_e32 v8, v1
	s_add_u32 s6, s6, 12
	s_waitcnt lgkmcnt(0)
	v_mul_hi_u32 v1, s11, v5
	v_add_u32_e32 v1, v5, v1
	v_lshrrev_b32_e32 v1, s9, v1
	s_addc_u32 s7, s7, 0
	v_mul_lo_u32 v3, v1, s10
	s_add_u32 s4, s4, 8
	v_sub_u32_e32 v3, v5, v3
	s_addc_u32 s5, s5, 0
	s_add_i32 s8, s8, -1
	v_mad_u64_u32 v[10:11], s[10:11], v3, s13, v[8:9]
	s_cmp_lg_u32 s8, 0
	v_mov_b32_e32 v5, v1
	v_mad_u64_u32 v[2:3], s[10:11], v3, s12, v[2:3]
	v_mov_b32_e32 v1, v10
	s_cbranch_scc1 .LBB329_1129
.LBB329_1130:
	s_cbranch_execnz .LBB329_1133
.LBB329_1131:
	s_load_dwordx4 s[4:7], s[34:35], 0x4
	s_load_dwordx2 s[8:9], s[34:35], 0xc4
	s_cmp_lt_u32 s33, 2
	s_waitcnt vmcnt(0) lgkmcnt(0)
	v_mul_hi_u32 v1, s5, v0
	v_add_u32_e32 v1, v0, v1
	v_lshrrev_b32_e32 v1, s6, v1
	v_mul_lo_u32 v2, v1, s4
	v_sub_u32_e32 v0, v0, v2
	v_mul_lo_u32 v10, v0, s9
	v_mul_lo_u32 v2, v0, s8
	s_cbranch_scc1 .LBB329_1133
; %bb.1132:
	s_load_dwordx4 s[4:7], s[34:35], 0x10
	s_load_dwordx2 s[8:9], s[34:35], 0xcc
	s_waitcnt lgkmcnt(0)
	v_mul_hi_u32 v0, s5, v1
	v_add_u32_e32 v0, v1, v0
	v_lshrrev_b32_e32 v0, s6, v0
	v_mul_lo_u32 v0, v0, s4
	v_sub_u32_e32 v0, v1, v0
	v_mad_u64_u32 v[2:3], s[4:5], v0, s8, v[2:3]
	v_mad_u64_u32 v[10:11], s[4:5], v0, s9, v[10:11]
.LBB329_1133:
	s_and_b64 vcc, exec, s[2:3]
	s_cbranch_vccnz .LBB329_1139
; %bb.1134:
	s_cmp_lg_u32 s33, 0
	s_mov_b32 s30, 0
	s_cbranch_scc0 .LBB329_1140
; %bb.1135:
	s_min_u32 s31, s74, 15
	s_add_i32 s31, s31, 1
	s_cmp_eq_u32 s74, 2
	s_cbranch_scc1 .LBB329_1141
; %bb.1136:
	s_and_b32 s30, s31, 28
	s_add_u32 s2, s34, 0xc4
	s_addc_u32 s3, s35, 0
	s_mov_b32 s36, 0
	v_mov_b32_e32 v0, 0
	v_mov_b32_e32 v8, 0
	s_mov_b64 s[28:29], s[34:35]
	v_mov_b32_e32 v3, v16
.LBB329_1137:                           ; =>This Inner Loop Header: Depth=1
	s_load_dwordx8 s[12:19], s[28:29], 0x4
	s_load_dwordx4 s[20:23], s[28:29], 0x24
	s_load_dwordx8 s[4:11], s[2:3], 0x0
	s_add_u32 s28, s28, 48
	s_addc_u32 s29, s29, 0
	s_waitcnt vmcnt(0) lgkmcnt(0)
	v_mul_hi_u32 v1, s13, v3
	v_add_u32_e32 v1, v3, v1
	v_lshrrev_b32_e32 v1, s14, v1
	v_mul_lo_u32 v5, v1, s12
	v_mul_hi_u32 v7, s16, v1
	v_sub_u32_e32 v3, v3, v5
	v_add_u32_e32 v5, v1, v7
	v_lshrrev_b32_e32 v5, s17, v5
	v_mul_lo_u32 v9, v5, s15
	v_mul_hi_u32 v11, s19, v5
	v_sub_u32_e32 v1, v1, v9
	v_add_u32_e32 v9, v5, v11
	v_mul_lo_u32 v7, v3, s5
	v_mul_lo_u32 v3, v3, s4
	;; [unrolled: 1-line block ×4, first 2 shown]
	v_lshrrev_b32_e32 v9, s20, v9
	v_add3_u32 v0, v3, v0, v1
	v_add3_u32 v1, v7, v8, v11
	v_mul_lo_u32 v3, v9, s18
	v_mul_hi_u32 v7, s22, v9
	v_sub_u32_e32 v3, v5, v3
	v_add_u32_e32 v5, v9, v7
	v_mul_lo_u32 v7, v3, s8
	v_mul_lo_u32 v8, v3, s9
	v_lshrrev_b32_e32 v3, s23, v5
	s_add_i32 s36, s36, 4
	v_mul_lo_u32 v5, v3, s21
	s_add_u32 s2, s2, 32
	v_sub_u32_e32 v5, v9, v5
	s_addc_u32 s3, s3, 0
	v_mul_lo_u32 v9, v5, s10
	v_mul_lo_u32 v5, v5, s11
	s_cmp_lg_u32 s30, s36
	v_add3_u32 v8, v8, v1, v5
	v_add3_u32 v0, v7, v0, v9
	s_cbranch_scc1 .LBB329_1137
; %bb.1138:
	v_mov_b32_e32 v1, v8
	s_and_b32 s6, s31, 3
	s_cmp_eq_u32 s6, 0
	s_cbranch_scc0 .LBB329_1142
	s_branch .LBB329_1144
.LBB329_1139:
                                        ; implicit-def: $vgpr8
                                        ; implicit-def: $vgpr0
	s_branch .LBB329_1145
.LBB329_1140:
	v_mov_b32_e32 v8, 0
	v_mov_b32_e32 v0, 0
	s_branch .LBB329_1144
.LBB329_1141:
	v_mov_b32_e32 v0, 0
                                        ; implicit-def: $vgpr8
	s_waitcnt vmcnt(0)
	v_mov_b32_e32 v1, v0
	v_mov_b32_e32 v3, v16
	s_and_b32 s6, s31, 3
	s_cmp_eq_u32 s6, 0
	s_cbranch_scc1 .LBB329_1144
.LBB329_1142:
	s_lshl_b32 s2, s30, 3
	s_add_u32 s2, s34, s2
	s_addc_u32 s3, s35, 0
	s_add_u32 s2, s2, 0xc4
	s_addc_u32 s3, s3, 0
	s_mul_i32 s4, s30, 12
	s_add_u32 s4, s34, s4
	s_addc_u32 s5, s35, 0
.LBB329_1143:                           ; =>This Inner Loop Header: Depth=1
	s_load_dwordx2 s[8:9], s[4:5], 0x4
	s_load_dword s7, s[4:5], 0xc
	s_load_dwordx2 s[10:11], s[2:3], 0x0
	v_mov_b32_e32 v8, v1
	s_add_u32 s4, s4, 12
	s_waitcnt lgkmcnt(0)
	v_mul_hi_u32 v1, s9, v3
	v_add_u32_e32 v1, v3, v1
	v_lshrrev_b32_e32 v1, s7, v1
	s_addc_u32 s5, s5, 0
	v_mul_lo_u32 v5, v1, s8
	s_add_u32 s2, s2, 8
	v_sub_u32_e32 v5, v3, v5
	s_addc_u32 s3, s3, 0
	s_add_i32 s6, s6, -1
	v_mov_b32_e32 v3, v1
	v_mad_u64_u32 v[8:9], s[8:9], v5, s11, v[8:9]
	v_mad_u64_u32 v[0:1], s[8:9], v5, s10, v[0:1]
	s_cmp_lg_u32 s6, 0
	v_mov_b32_e32 v1, v8
	s_cbranch_scc1 .LBB329_1143
.LBB329_1144:
	s_cbranch_execnz .LBB329_1147
.LBB329_1145:
	s_load_dwordx4 s[4:7], s[34:35], 0x4
	s_load_dwordx2 s[2:3], s[34:35], 0xc4
	s_cmp_lt_u32 s33, 2
	s_waitcnt lgkmcnt(0)
	v_mul_hi_u32 v0, s5, v16
	v_add_u32_e32 v0, v16, v0
	s_waitcnt vmcnt(0)
	v_lshrrev_b32_e32 v1, s6, v0
	v_mul_lo_u32 v0, v1, s4
	v_sub_u32_e32 v0, v16, v0
	v_mul_lo_u32 v8, v0, s3
	v_mul_lo_u32 v0, v0, s2
	s_cbranch_scc1 .LBB329_1147
; %bb.1146:
	s_load_dwordx4 s[4:7], s[34:35], 0x10
	s_load_dwordx2 s[2:3], s[34:35], 0xcc
	s_waitcnt lgkmcnt(0)
	v_mul_hi_u32 v3, s5, v1
	v_add_u32_e32 v3, v1, v3
	v_lshrrev_b32_e32 v3, s6, v3
	v_mul_lo_u32 v3, v3, s4
	v_sub_u32_e32 v3, v1, v3
	v_mad_u64_u32 v[0:1], s[4:5], v3, s2, v[0:1]
	v_mad_u64_u32 v[8:9], s[2:3], v3, s3, v[8:9]
.LBB329_1147:
	s_load_dword s14, s[0:1], 0x168
	s_load_dwordx4 s[4:7], s[34:35], 0x148
	v_mov_b32_e32 v15, 0
	s_waitcnt lgkmcnt(0)
	s_bfe_u32 s15, s14, 0x80008
	s_cmp_lt_i32 s15, 11
	v_lshl_add_u64 v[14:15], s[6:7], 0, v[14:15]
	s_cbranch_scc1 .LBB329_1154
; %bb.1148:
	s_and_b32 s16, 0xffff, s15
	s_cmp_gt_i32 s16, 25
	s_mov_b64 s[8:9], 0
	s_cbranch_scc0 .LBB329_1156
; %bb.1149:
	s_cmp_gt_i32 s16, 28
	s_cbranch_scc0 .LBB329_1157
; %bb.1150:
	s_cmp_gt_i32 s16, 43
	;; [unrolled: 3-line block ×3, first 2 shown]
	s_cbranch_scc0 .LBB329_1159
; %bb.1152:
	s_cmp_eq_u32 s16, 46
	s_mov_b64 s[2:3], 0
	s_cbranch_scc0 .LBB329_1162
; %bb.1153:
	global_load_dword v1, v[14:15], off
	s_mov_b64 s[0:1], 0
	s_mov_b64 s[10:11], -1
	s_waitcnt vmcnt(0)
	v_lshlrev_b32_e32 v1, 16, v1
	s_branch .LBB329_1163
.LBB329_1154:
	s_mov_b64 s[10:11], 0
                                        ; implicit-def: $vgpr1
	s_mov_b64 s[2:3], s[24:25]
	s_cbranch_execnz .LBB329_1226
.LBB329_1155:
	s_andn2_b64 vcc, exec, s[10:11]
	s_cbranch_vccz .LBB329_1271
	s_branch .LBB329_2092
.LBB329_1156:
	s_mov_b64 s[10:11], 0
	s_mov_b64 s[0:1], 0
                                        ; implicit-def: $vgpr1
	s_cbranch_execnz .LBB329_1191
	s_branch .LBB329_1222
.LBB329_1157:
	s_mov_b64 s[2:3], -1
	s_mov_b64 s[10:11], 0
	s_mov_b64 s[0:1], 0
                                        ; implicit-def: $vgpr1
	s_branch .LBB329_1172
.LBB329_1158:
	s_mov_b64 s[10:11], 0
	s_mov_b64 s[0:1], 0
                                        ; implicit-def: $vgpr1
	s_cbranch_execnz .LBB329_1168
	s_branch .LBB329_1171
.LBB329_1159:
	s_mov_b64 s[2:3], -1
	s_mov_b64 s[10:11], 0
	s_mov_b64 s[0:1], 0
                                        ; implicit-def: $vgpr1
	s_branch .LBB329_1163
.LBB329_1160:
	s_andn2_saveexec_b64 s[12:13], s[12:13]
	s_cbranch_execz .LBB329_1003
.LBB329_1161:
	s_mov_b32 s14, 0x46000000
	v_add_f32_e64 v0, |v4|, s14
	v_and_b32_e32 v0, 0xff, v0
	v_cmp_ne_u32_e32 vcc, 0, v0
	s_andn2_b64 s[10:11], s[10:11], exec
	s_and_b64 s[14:15], vcc, exec
	s_or_b64 s[10:11], s[10:11], s[14:15]
	s_or_b64 exec, exec, s[12:13]
	v_mov_b32_e32 v1, 0
	s_and_saveexec_b64 s[12:13], s[10:11]
	s_cbranch_execnz .LBB329_1004
	s_branch .LBB329_1005
.LBB329_1162:
	s_mov_b64 s[0:1], -1
                                        ; implicit-def: $vgpr1
	s_mov_b64 s[10:11], 0
.LBB329_1163:
	s_and_b64 vcc, exec, s[2:3]
	s_cbranch_vccz .LBB329_1166
; %bb.1164:
	s_cmp_eq_u32 s16, 44
	s_cbranch_scc0 .LBB329_1167
; %bb.1165:
	global_load_ubyte v1, v[14:15], off
	s_movk_i32 s2, 0xff
	v_mov_b32_e32 v3, 0x7f800001
	v_mov_b32_e32 v5, 0x400000
	s_mov_b64 s[0:1], 0
	s_mov_b64 s[10:11], -1
	s_waitcnt vmcnt(0)
	v_lshlrev_b32_e32 v7, 23, v1
	v_cmp_ne_u32_e32 vcc, s2, v1
	s_nop 1
	v_cndmask_b32_e32 v3, v3, v7, vcc
	v_cmp_ne_u32_e32 vcc, 0, v1
	s_nop 1
	v_cndmask_b32_e32 v1, v5, v3, vcc
.LBB329_1166:
	s_branch .LBB329_1171
.LBB329_1167:
	s_mov_b64 s[0:1], -1
                                        ; implicit-def: $vgpr1
	s_branch .LBB329_1171
.LBB329_1168:
	s_cmp_eq_u32 s16, 29
	s_cbranch_scc0 .LBB329_1170
; %bb.1169:
	global_load_dwordx2 v[16:17], v[14:15], off
	s_mov_b64 s[0:1], 0
	s_mov_b64 s[10:11], -1
	s_mov_b64 s[2:3], 0
	s_waitcnt vmcnt(0)
	v_ffbh_u32_e32 v1, v17
	v_min_u32_e32 v1, 32, v1
	v_lshlrev_b64 v[16:17], v1, v[16:17]
	v_min_u32_e32 v3, 1, v16
	v_or_b32_e32 v3, v17, v3
	v_cvt_f32_u32_e32 v3, v3
	v_sub_u32_e32 v1, 32, v1
	v_ldexp_f32 v1, v3, v1
	s_branch .LBB329_1172
.LBB329_1170:
	s_mov_b64 s[0:1], -1
                                        ; implicit-def: $vgpr1
.LBB329_1171:
	s_mov_b64 s[2:3], 0
.LBB329_1172:
	s_and_b64 vcc, exec, s[2:3]
	s_cbranch_vccz .LBB329_1190
; %bb.1173:
	s_cmp_lt_i32 s16, 27
	s_cbranch_scc1 .LBB329_1176
; %bb.1174:
	s_cmp_gt_i32 s16, 27
	s_cbranch_scc0 .LBB329_1177
; %bb.1175:
	global_load_dword v1, v[14:15], off
	s_mov_b64 s[2:3], 0
	s_waitcnt vmcnt(0)
	v_cvt_f32_u32_e32 v1, v1
	s_branch .LBB329_1178
.LBB329_1176:
	s_mov_b64 s[2:3], -1
                                        ; implicit-def: $vgpr1
	s_branch .LBB329_1181
.LBB329_1177:
	s_mov_b64 s[2:3], -1
                                        ; implicit-def: $vgpr1
.LBB329_1178:
	s_andn2_b64 vcc, exec, s[2:3]
	s_cbranch_vccnz .LBB329_1180
; %bb.1179:
	global_load_ushort v1, v[14:15], off
	s_waitcnt vmcnt(0)
	v_cvt_f32_u32_e32 v1, v1
.LBB329_1180:
	s_mov_b64 s[2:3], 0
.LBB329_1181:
	s_andn2_b64 vcc, exec, s[2:3]
	s_cbranch_vccnz .LBB329_1189
; %bb.1182:
	global_load_ubyte v3, v[14:15], off
	s_movk_i32 s2, 0x7f
	s_waitcnt vmcnt(0)
	v_cmp_lt_i16_e32 vcc, s2, v3
	s_mov_b64 s[2:3], 0
	s_and_saveexec_b64 s[10:11], vcc
	s_xor_b64 s[10:11], exec, s[10:11]
	s_cbranch_execz .LBB329_1202
; %bb.1183:
	s_movk_i32 s2, 0x80
	v_cmp_eq_u16_e32 vcc, s2, v3
	s_mov_b64 s[2:3], -1
	s_and_saveexec_b64 s[12:13], vcc
; %bb.1184:
	s_xor_b64 s[2:3], exec, -1
; %bb.1185:
	s_or_b64 exec, exec, s[12:13]
	s_and_b64 s[2:3], s[2:3], exec
	s_or_saveexec_b64 s[10:11], s[10:11]
	v_mov_b32_e32 v1, 0x7f800001
	s_xor_b64 exec, exec, s[10:11]
	s_cbranch_execnz .LBB329_1203
.LBB329_1186:
	s_or_b64 exec, exec, s[10:11]
	s_and_saveexec_b64 s[10:11], s[2:3]
	s_cbranch_execz .LBB329_1188
.LBB329_1187:
	v_lshlrev_b32_e32 v1, 24, v3
	v_and_b32_e32 v3, 0xffff, v3
	v_and_b32_e32 v5, 7, v3
	v_ffbh_u32_e32 v9, v5
	v_min_u32_e32 v9, 32, v9
	v_subrev_u32_e32 v11, 28, v9
	v_bfe_u32 v7, v3, 3, 4
	v_lshlrev_b32_e32 v3, v11, v3
	v_sub_u32_e32 v9, 29, v9
	v_and_b32_e32 v3, 7, v3
	v_cmp_eq_u32_e32 vcc, 0, v7
	v_and_b32_e32 v1, 0x80000000, v1
	s_nop 0
	v_cndmask_b32_e32 v7, v7, v9, vcc
	v_cndmask_b32_e32 v3, v5, v3, vcc
	v_mov_b32_e32 v5, 0x3b800000
	v_lshlrev_b32_e32 v3, 20, v3
	v_lshl_add_u32 v5, v7, 23, v5
	v_or3_b32 v1, v1, v5, v3
.LBB329_1188:
	s_or_b64 exec, exec, s[10:11]
.LBB329_1189:
	s_mov_b64 s[10:11], -1
.LBB329_1190:
	s_branch .LBB329_1222
.LBB329_1191:
	s_cmp_gt_i32 s16, 22
	s_cbranch_scc0 .LBB329_1201
; %bb.1192:
	s_cmp_lt_i32 s16, 24
	s_cbranch_scc1 .LBB329_1204
; %bb.1193:
	s_cmp_gt_i32 s16, 24
	s_cbranch_scc0 .LBB329_1205
; %bb.1194:
	global_load_ubyte v3, v[14:15], off
	s_movk_i32 s2, 0x7f
	s_waitcnt vmcnt(0)
	v_cmp_lt_i16_e32 vcc, s2, v3
	s_mov_b64 s[2:3], 0
	s_and_saveexec_b64 s[8:9], vcc
	s_xor_b64 s[8:9], exec, s[8:9]
	s_cbranch_execz .LBB329_1216
; %bb.1195:
	s_movk_i32 s2, 0x80
	v_cmp_eq_u16_e32 vcc, s2, v3
	s_mov_b64 s[2:3], -1
	s_and_saveexec_b64 s[10:11], vcc
; %bb.1196:
	s_xor_b64 s[2:3], exec, -1
; %bb.1197:
	s_or_b64 exec, exec, s[10:11]
	s_and_b64 s[2:3], s[2:3], exec
	s_or_saveexec_b64 s[8:9], s[8:9]
	v_mov_b32_e32 v1, 0x7f800001
	s_xor_b64 exec, exec, s[8:9]
	s_cbranch_execnz .LBB329_1217
.LBB329_1198:
	s_or_b64 exec, exec, s[8:9]
	s_and_saveexec_b64 s[8:9], s[2:3]
	s_cbranch_execz .LBB329_1200
.LBB329_1199:
	v_lshlrev_b32_e32 v1, 24, v3
	v_and_b32_e32 v3, 0xffff, v3
	v_and_b32_e32 v5, 3, v3
	v_ffbh_u32_e32 v9, v5
	v_min_u32_e32 v9, 32, v9
	v_subrev_u32_e32 v11, 29, v9
	v_bfe_u32 v7, v3, 2, 5
	v_lshlrev_b32_e32 v3, v11, v3
	v_sub_u32_e32 v9, 30, v9
	v_and_b32_e32 v3, 3, v3
	v_cmp_eq_u32_e32 vcc, 0, v7
	v_and_b32_e32 v1, 0x80000000, v1
	s_nop 0
	v_cndmask_b32_e32 v7, v7, v9, vcc
	v_cndmask_b32_e32 v3, v5, v3, vcc
	v_mov_b32_e32 v5, 0x37800000
	v_lshlrev_b32_e32 v3, 21, v3
	v_lshl_add_u32 v5, v7, 23, v5
	v_or3_b32 v1, v1, v5, v3
.LBB329_1200:
	s_or_b64 exec, exec, s[8:9]
	s_mov_b64 s[2:3], 0
	s_branch .LBB329_1206
.LBB329_1201:
                                        ; implicit-def: $vgpr1
	s_mov_b64 s[8:9], 0
	s_branch .LBB329_1212
.LBB329_1202:
	s_or_saveexec_b64 s[10:11], s[10:11]
	v_mov_b32_e32 v1, 0x7f800001
	s_xor_b64 exec, exec, s[10:11]
	s_cbranch_execz .LBB329_1186
.LBB329_1203:
	v_cmp_ne_u16_e32 vcc, 0, v3
	s_andn2_b64 s[2:3], s[2:3], exec
	s_and_b64 s[12:13], vcc, exec
	v_mov_b32_e32 v1, 0
	s_or_b64 s[2:3], s[2:3], s[12:13]
	s_or_b64 exec, exec, s[10:11]
	s_and_saveexec_b64 s[10:11], s[2:3]
	s_cbranch_execnz .LBB329_1187
	s_branch .LBB329_1188
.LBB329_1204:
	s_mov_b64 s[2:3], -1
                                        ; implicit-def: $vgpr1
	s_branch .LBB329_1209
.LBB329_1205:
	s_mov_b64 s[2:3], -1
                                        ; implicit-def: $vgpr1
.LBB329_1206:
	s_and_b64 vcc, exec, s[2:3]
	s_cbranch_vccz .LBB329_1208
; %bb.1207:
	global_load_ubyte v1, v[14:15], off
	s_mov_b32 s2, 0x7f800000
	s_waitcnt vmcnt(0)
	v_lshlrev_b32_e32 v1, 24, v1
	v_and_b32_e32 v3, 0x7f000000, v1
	v_ffbh_u32_e32 v5, v3
	v_min_u32_e32 v5, 32, v5
	v_sub_u32_e64 v5, v5, 4 clamp
	v_lshlrev_b32_e32 v9, v5, v3
	v_lshlrev_b32_e32 v5, 23, v5
	v_lshrrev_b32_e32 v9, 4, v9
	v_add_u32_e32 v7, 0x1000000, v3
	v_sub_u32_e32 v5, v9, v5
	v_ashrrev_i32_e32 v7, 8, v7
	v_add_u32_e32 v5, 0x3c000000, v5
	v_and_or_b32 v5, v7, s2, v5
	v_cmp_ne_u32_e32 vcc, 0, v3
	s_brev_b32 s2, 1
	s_nop 0
	v_cndmask_b32_e32 v3, 0, v5, vcc
	v_and_or_b32 v1, v1, s2, v3
.LBB329_1208:
	s_mov_b64 s[2:3], 0
.LBB329_1209:
	s_andn2_b64 vcc, exec, s[2:3]
	s_cbranch_vccnz .LBB329_1211
; %bb.1210:
	global_load_ubyte v1, v[14:15], off
	s_movk_i32 s2, 0x7f00
	s_brev_b32 s3, 16
	s_waitcnt vmcnt(0)
	v_lshlrev_b16_e32 v3, 8, v1
	v_lshlrev_b32_e32 v1, 25, v1
	v_lshrrev_b32_e32 v5, 4, v1
	v_and_or_b32 v7, v3, s2, 0.5
	v_or_b32_e32 v5, 0x70000000, v5
	v_add_f32_e32 v7, -0.5, v7
	v_mul_f32_e32 v5, 0x7800000, v5
	v_cmp_gt_u32_e32 vcc, s3, v1
	v_bfe_i32 v3, v3, 0, 16
	s_brev_b32 s2, 1
	v_cndmask_b32_e32 v1, v5, v7, vcc
	v_and_or_b32 v1, v3, s2, v1
.LBB329_1211:
	s_mov_b64 s[10:11], -1
	s_mov_b64 s[8:9], 0
	s_cbranch_execnz .LBB329_1222
.LBB329_1212:
	s_cmp_gt_i32 s16, 14
	s_cbranch_scc0 .LBB329_1215
; %bb.1213:
	s_cmp_eq_u32 s16, 15
	s_cbranch_scc0 .LBB329_1218
; %bb.1214:
	global_load_ushort v1, v[14:15], off
	s_mov_b64 s[0:1], 0
	s_mov_b64 s[10:11], -1
	s_waitcnt vmcnt(0)
	v_lshlrev_b32_e32 v1, 16, v1
	s_branch .LBB329_1219
.LBB329_1215:
	s_mov_b64 s[2:3], -1
                                        ; implicit-def: $vgpr1
	s_branch .LBB329_1220
.LBB329_1216:
	s_or_saveexec_b64 s[8:9], s[8:9]
	v_mov_b32_e32 v1, 0x7f800001
	s_xor_b64 exec, exec, s[8:9]
	s_cbranch_execz .LBB329_1198
.LBB329_1217:
	v_cmp_ne_u16_e32 vcc, 0, v3
	s_andn2_b64 s[2:3], s[2:3], exec
	s_and_b64 s[10:11], vcc, exec
	v_mov_b32_e32 v1, 0
	s_or_b64 s[2:3], s[2:3], s[10:11]
	s_or_b64 exec, exec, s[8:9]
	s_and_saveexec_b64 s[8:9], s[2:3]
	s_cbranch_execnz .LBB329_1199
	s_branch .LBB329_1200
.LBB329_1218:
	s_mov_b64 s[0:1], -1
                                        ; implicit-def: $vgpr1
.LBB329_1219:
	s_mov_b64 s[2:3], 0
.LBB329_1220:
	s_and_b64 vcc, exec, s[2:3]
	s_cbranch_vccz .LBB329_1222
; %bb.1221:
	s_cmp_lg_u32 s16, 11
	s_mov_b64 s[8:9], -1
	s_cselect_b64 s[0:1], -1, 0
.LBB329_1222:
	s_and_b64 vcc, exec, s[0:1]
	s_mov_b64 s[2:3], s[24:25]
	s_cbranch_vccnz .LBB329_1283
; %bb.1223:
	s_andn2_b64 vcc, exec, s[8:9]
	s_cbranch_vccnz .LBB329_1225
.LBB329_1224:
	global_load_ubyte v1, v[14:15], off
	s_mov_b64 s[10:11], -1
	s_waitcnt vmcnt(0)
	v_cmp_ne_u16_e32 vcc, 0, v1
	s_nop 1
	v_cndmask_b32_e64 v1, 0, 1.0, vcc
.LBB329_1225:
	s_branch .LBB329_1155
.LBB329_1226:
	s_and_b32 s8, 0xffff, s15
	s_cmp_lt_i32 s8, 5
	s_cbranch_scc1 .LBB329_1231
; %bb.1227:
	s_cmp_lt_i32 s8, 8
	s_cbranch_scc1 .LBB329_1232
; %bb.1228:
	s_cmp_lt_i32 s8, 9
	s_cbranch_scc1 .LBB329_1233
; %bb.1229:
	s_cmp_gt_i32 s8, 9
	s_cbranch_scc0 .LBB329_1234
; %bb.1230:
	global_load_dwordx2 v[16:17], v[14:15], off
	s_mov_b64 s[0:1], 0
	s_waitcnt vmcnt(0)
	v_cvt_f32_f64_e32 v1, v[16:17]
	s_branch .LBB329_1235
.LBB329_1231:
                                        ; implicit-def: $vgpr1
	s_branch .LBB329_1252
.LBB329_1232:
                                        ; implicit-def: $vgpr1
	s_branch .LBB329_1241
.LBB329_1233:
	s_mov_b64 s[0:1], -1
                                        ; implicit-def: $vgpr1
	s_branch .LBB329_1238
.LBB329_1234:
	s_mov_b64 s[0:1], -1
                                        ; implicit-def: $vgpr1
.LBB329_1235:
	s_andn2_b64 vcc, exec, s[0:1]
	s_cbranch_vccnz .LBB329_1237
; %bb.1236:
	global_load_dword v1, v[14:15], off
.LBB329_1237:
	s_mov_b64 s[0:1], 0
.LBB329_1238:
	s_andn2_b64 vcc, exec, s[0:1]
	s_cbranch_vccnz .LBB329_1240
; %bb.1239:
	global_load_dword v1, v[14:15], off
	s_waitcnt vmcnt(0)
	v_cvt_f32_f16_e32 v1, v1
.LBB329_1240:
	s_cbranch_execnz .LBB329_1251
.LBB329_1241:
	s_cmp_lt_i32 s8, 6
	s_cbranch_scc1 .LBB329_1244
; %bb.1242:
	s_cmp_gt_i32 s8, 6
	s_cbranch_scc0 .LBB329_1245
; %bb.1243:
	global_load_dwordx2 v[16:17], v[14:15], off
	s_mov_b64 s[0:1], 0
	s_waitcnt vmcnt(0)
	v_cvt_f32_f64_e32 v1, v[16:17]
	s_branch .LBB329_1246
.LBB329_1244:
	s_mov_b64 s[0:1], -1
                                        ; implicit-def: $vgpr1
	s_branch .LBB329_1249
.LBB329_1245:
	s_mov_b64 s[0:1], -1
                                        ; implicit-def: $vgpr1
.LBB329_1246:
	s_andn2_b64 vcc, exec, s[0:1]
	s_cbranch_vccnz .LBB329_1248
; %bb.1247:
	global_load_dword v1, v[14:15], off
.LBB329_1248:
	s_mov_b64 s[0:1], 0
.LBB329_1249:
	s_andn2_b64 vcc, exec, s[0:1]
	s_cbranch_vccnz .LBB329_1251
; %bb.1250:
	global_load_ushort v1, v[14:15], off
	s_waitcnt vmcnt(0)
	v_cvt_f32_f16_e32 v1, v1
.LBB329_1251:
	s_cbranch_execnz .LBB329_1270
.LBB329_1252:
	s_cmp_lt_i32 s8, 2
	s_cbranch_scc1 .LBB329_1256
; %bb.1253:
	s_cmp_lt_i32 s8, 3
	s_cbranch_scc1 .LBB329_1257
; %bb.1254:
	s_cmp_gt_i32 s8, 3
	s_cbranch_scc0 .LBB329_1258
; %bb.1255:
	global_load_dwordx2 v[16:17], v[14:15], off
	s_mov_b64 s[0:1], 0
	s_waitcnt vmcnt(0)
	v_xor_b32_e32 v3, v16, v17
	v_ffbh_i32_e32 v1, v17
	v_ashrrev_i32_e32 v3, 31, v3
	v_add_u32_e32 v1, -1, v1
	v_add_u32_e32 v3, 32, v3
	v_min_u32_e32 v1, v1, v3
	v_lshlrev_b64 v[16:17], v1, v[16:17]
	v_min_u32_e32 v3, 1, v16
	v_or_b32_e32 v3, v17, v3
	v_cvt_f32_i32_e32 v3, v3
	v_sub_u32_e32 v1, 32, v1
	v_ldexp_f32 v1, v3, v1
	s_branch .LBB329_1259
.LBB329_1256:
                                        ; implicit-def: $vgpr1
	s_branch .LBB329_1265
.LBB329_1257:
	s_mov_b64 s[0:1], -1
                                        ; implicit-def: $vgpr1
	s_branch .LBB329_1262
.LBB329_1258:
	s_mov_b64 s[0:1], -1
                                        ; implicit-def: $vgpr1
.LBB329_1259:
	s_andn2_b64 vcc, exec, s[0:1]
	s_cbranch_vccnz .LBB329_1261
; %bb.1260:
	global_load_dword v1, v[14:15], off
	s_waitcnt vmcnt(0)
	v_cvt_f32_i32_e32 v1, v1
.LBB329_1261:
	s_mov_b64 s[0:1], 0
.LBB329_1262:
	s_andn2_b64 vcc, exec, s[0:1]
	s_cbranch_vccnz .LBB329_1264
; %bb.1263:
	global_load_sshort v1, v[14:15], off
	s_waitcnt vmcnt(0)
	v_cvt_f32_i32_e32 v1, v1
.LBB329_1264:
	s_cbranch_execnz .LBB329_1270
.LBB329_1265:
	s_cmp_gt_i32 s8, 0
	s_cbranch_scc0 .LBB329_1267
; %bb.1266:
	global_load_sbyte v1, v[14:15], off
	s_mov_b64 s[0:1], 0
	s_waitcnt vmcnt(0)
	v_cvt_f32_i32_e32 v1, v1
	s_branch .LBB329_1268
.LBB329_1267:
	s_mov_b64 s[0:1], -1
                                        ; implicit-def: $vgpr1
.LBB329_1268:
	s_andn2_b64 vcc, exec, s[0:1]
	s_cbranch_vccnz .LBB329_1270
; %bb.1269:
	global_load_ubyte v1, v[14:15], off
	s_waitcnt vmcnt(0)
	v_cvt_f32_ubyte0_e32 v1, v1
.LBB329_1270:
.LBB329_1271:
	s_lshr_b32 s0, s14, 8
	v_mov_b32_e32 v13, 0
	s_and_b32 s16, s0, 0xff
	s_cmp_lt_i32 s16, 11
	v_lshl_add_u64 v[12:13], s[6:7], 0, v[12:13]
	s_cbranch_scc1 .LBB329_1278
; %bb.1272:
	s_and_b32 s17, 0xffff, s16
	s_cmp_gt_i32 s17, 25
	s_mov_b64 s[8:9], 0
	s_cbranch_scc0 .LBB329_1280
; %bb.1273:
	s_cmp_gt_i32 s17, 28
	s_cbranch_scc0 .LBB329_1281
; %bb.1274:
	s_cmp_gt_i32 s17, 43
	;; [unrolled: 3-line block ×3, first 2 shown]
	s_cbranch_scc0 .LBB329_1284
; %bb.1276:
	s_cmp_eq_u32 s17, 46
	s_mov_b64 s[12:13], 0
	s_cbranch_scc0 .LBB329_1287
; %bb.1277:
	global_load_dword v3, v[12:13], off
	s_mov_b64 s[0:1], 0
	s_mov_b64 s[10:11], -1
	s_waitcnt vmcnt(0)
	v_lshlrev_b32_e32 v3, 16, v3
	s_branch .LBB329_1288
.LBB329_1278:
	s_mov_b64 s[10:11], 0
                                        ; implicit-def: $vgpr3
	s_cbranch_execnz .LBB329_1353
.LBB329_1279:
	s_andn2_b64 vcc, exec, s[10:11]
	s_cbranch_vccnz .LBB329_2092
	s_branch .LBB329_1400
.LBB329_1280:
	s_mov_b64 s[10:11], 0
	s_mov_b64 s[0:1], 0
                                        ; implicit-def: $vgpr3
	s_cbranch_execnz .LBB329_1317
	s_branch .LBB329_1349
.LBB329_1281:
	s_mov_b64 s[12:13], -1
	s_mov_b64 s[10:11], 0
	s_mov_b64 s[0:1], 0
                                        ; implicit-def: $vgpr3
	s_branch .LBB329_1298
.LBB329_1282:
	s_mov_b64 s[12:13], -1
	s_mov_b64 s[10:11], 0
	s_mov_b64 s[0:1], 0
                                        ; implicit-def: $vgpr3
	s_branch .LBB329_1293
.LBB329_1283:
	s_or_b64 s[2:3], s[24:25], exec
	s_trap 2
	s_cbranch_execz .LBB329_1224
	s_branch .LBB329_1225
.LBB329_1284:
	s_mov_b64 s[12:13], -1
	s_mov_b64 s[10:11], 0
	s_mov_b64 s[0:1], 0
                                        ; implicit-def: $vgpr3
	s_branch .LBB329_1288
.LBB329_1285:
	s_andn2_saveexec_b64 s[14:15], s[14:15]
	s_cbranch_execz .LBB329_1015
.LBB329_1286:
	s_mov_b32 s18, 0x42800000
	v_add_f32_e64 v0, |v4|, s18
	v_and_b32_e32 v0, 0xff, v0
	v_cmp_ne_u32_e32 vcc, 0, v0
	s_andn2_b64 s[12:13], s[12:13], exec
	s_and_b64 s[18:19], vcc, exec
	s_or_b64 s[12:13], s[12:13], s[18:19]
	s_or_b64 exec, exec, s[14:15]
	v_mov_b32_e32 v1, 0
	s_and_saveexec_b64 s[14:15], s[12:13]
	s_cbranch_execnz .LBB329_1016
	s_branch .LBB329_1017
.LBB329_1287:
	s_mov_b64 s[0:1], -1
                                        ; implicit-def: $vgpr3
	s_mov_b64 s[10:11], 0
.LBB329_1288:
	s_and_b64 vcc, exec, s[12:13]
	s_cbranch_vccz .LBB329_1292
; %bb.1289:
	s_cmp_eq_u32 s17, 44
	s_cbranch_scc0 .LBB329_1291
; %bb.1290:
	global_load_ubyte v3, v[12:13], off
	s_movk_i32 s10, 0xff
	v_mov_b32_e32 v5, 0x7f800001
	v_mov_b32_e32 v7, 0x400000
	s_mov_b64 s[0:1], 0
	s_waitcnt vmcnt(0)
	v_lshlrev_b32_e32 v9, 23, v3
	v_cmp_ne_u32_e32 vcc, s10, v3
	s_mov_b64 s[10:11], -1
	s_nop 0
	v_cndmask_b32_e32 v5, v5, v9, vcc
	v_cmp_ne_u32_e32 vcc, 0, v3
	s_nop 1
	v_cndmask_b32_e32 v3, v7, v5, vcc
	s_branch .LBB329_1292
.LBB329_1291:
	s_mov_b64 s[0:1], -1
                                        ; implicit-def: $vgpr3
.LBB329_1292:
	s_mov_b64 s[12:13], 0
.LBB329_1293:
	s_and_b64 vcc, exec, s[12:13]
	s_cbranch_vccz .LBB329_1297
; %bb.1294:
	s_cmp_eq_u32 s17, 29
	s_cbranch_scc0 .LBB329_1296
; %bb.1295:
	global_load_dwordx2 v[14:15], v[12:13], off
	s_mov_b64 s[0:1], 0
	s_mov_b64 s[10:11], -1
	s_mov_b64 s[12:13], 0
	s_waitcnt vmcnt(0)
	v_ffbh_u32_e32 v3, v15
	v_min_u32_e32 v3, 32, v3
	v_lshlrev_b64 v[14:15], v3, v[14:15]
	v_min_u32_e32 v5, 1, v14
	v_or_b32_e32 v5, v15, v5
	v_cvt_f32_u32_e32 v5, v5
	v_sub_u32_e32 v3, 32, v3
	v_ldexp_f32 v3, v5, v3
	s_branch .LBB329_1298
.LBB329_1296:
	s_mov_b64 s[0:1], -1
                                        ; implicit-def: $vgpr3
.LBB329_1297:
	s_mov_b64 s[12:13], 0
.LBB329_1298:
	s_and_b64 vcc, exec, s[12:13]
	s_cbranch_vccz .LBB329_1316
; %bb.1299:
	s_cmp_lt_i32 s17, 27
	s_cbranch_scc1 .LBB329_1302
; %bb.1300:
	s_cmp_gt_i32 s17, 27
	s_cbranch_scc0 .LBB329_1303
; %bb.1301:
	global_load_dword v3, v[12:13], off
	s_mov_b64 s[10:11], 0
	s_waitcnt vmcnt(0)
	v_cvt_f32_u32_e32 v3, v3
	s_branch .LBB329_1304
.LBB329_1302:
	s_mov_b64 s[10:11], -1
                                        ; implicit-def: $vgpr3
	s_branch .LBB329_1307
.LBB329_1303:
	s_mov_b64 s[10:11], -1
                                        ; implicit-def: $vgpr3
.LBB329_1304:
	s_andn2_b64 vcc, exec, s[10:11]
	s_cbranch_vccnz .LBB329_1306
; %bb.1305:
	global_load_ushort v3, v[12:13], off
	s_waitcnt vmcnt(0)
	v_cvt_f32_u32_e32 v3, v3
.LBB329_1306:
	s_mov_b64 s[10:11], 0
.LBB329_1307:
	s_andn2_b64 vcc, exec, s[10:11]
	s_cbranch_vccnz .LBB329_1315
; %bb.1308:
	global_load_ubyte v5, v[12:13], off
	s_movk_i32 s10, 0x7f
	s_waitcnt vmcnt(0)
	v_cmp_lt_i16_e32 vcc, s10, v5
	s_mov_b64 s[10:11], 0
	s_and_saveexec_b64 s[12:13], vcc
	s_xor_b64 s[12:13], exec, s[12:13]
	s_cbranch_execz .LBB329_1328
; %bb.1309:
	s_movk_i32 s10, 0x80
	v_cmp_eq_u16_e32 vcc, s10, v5
	s_mov_b64 s[10:11], -1
	s_and_saveexec_b64 s[14:15], vcc
; %bb.1310:
	s_xor_b64 s[10:11], exec, -1
; %bb.1311:
	s_or_b64 exec, exec, s[14:15]
	s_and_b64 s[10:11], s[10:11], exec
	s_or_saveexec_b64 s[12:13], s[12:13]
	v_mov_b32_e32 v3, 0x7f800001
	s_xor_b64 exec, exec, s[12:13]
	s_cbranch_execnz .LBB329_1329
.LBB329_1312:
	s_or_b64 exec, exec, s[12:13]
	s_and_saveexec_b64 s[12:13], s[10:11]
	s_cbranch_execz .LBB329_1314
.LBB329_1313:
	v_lshlrev_b32_e32 v3, 24, v5
	v_and_b32_e32 v5, 0xffff, v5
	v_and_b32_e32 v7, 7, v5
	v_ffbh_u32_e32 v11, v7
	v_min_u32_e32 v11, 32, v11
	v_subrev_u32_e32 v14, 28, v11
	v_bfe_u32 v9, v5, 3, 4
	v_lshlrev_b32_e32 v5, v14, v5
	v_sub_u32_e32 v11, 29, v11
	v_and_b32_e32 v5, 7, v5
	v_cmp_eq_u32_e32 vcc, 0, v9
	v_and_b32_e32 v3, 0x80000000, v3
	s_nop 0
	v_cndmask_b32_e32 v9, v9, v11, vcc
	v_cndmask_b32_e32 v5, v7, v5, vcc
	v_mov_b32_e32 v7, 0x3b800000
	v_lshlrev_b32_e32 v5, 20, v5
	v_lshl_add_u32 v7, v9, 23, v7
	v_or3_b32 v3, v3, v7, v5
.LBB329_1314:
	s_or_b64 exec, exec, s[12:13]
.LBB329_1315:
	s_mov_b64 s[10:11], -1
.LBB329_1316:
	s_branch .LBB329_1349
.LBB329_1317:
	s_cmp_gt_i32 s17, 22
	s_cbranch_scc0 .LBB329_1327
; %bb.1318:
	s_cmp_lt_i32 s17, 24
	s_cbranch_scc1 .LBB329_1330
; %bb.1319:
	s_cmp_gt_i32 s17, 24
	s_cbranch_scc0 .LBB329_1331
; %bb.1320:
	global_load_ubyte v5, v[12:13], off
	s_movk_i32 s8, 0x7f
	s_waitcnt vmcnt(0)
	v_cmp_lt_i16_e32 vcc, s8, v5
	s_mov_b64 s[8:9], 0
	s_and_saveexec_b64 s[10:11], vcc
	s_xor_b64 s[10:11], exec, s[10:11]
	s_cbranch_execz .LBB329_1343
; %bb.1321:
	s_movk_i32 s8, 0x80
	v_cmp_eq_u16_e32 vcc, s8, v5
	s_mov_b64 s[8:9], -1
	s_and_saveexec_b64 s[12:13], vcc
; %bb.1322:
	s_xor_b64 s[8:9], exec, -1
; %bb.1323:
	s_or_b64 exec, exec, s[12:13]
	s_and_b64 s[8:9], s[8:9], exec
	s_or_saveexec_b64 s[10:11], s[10:11]
	v_mov_b32_e32 v3, 0x7f800001
	s_xor_b64 exec, exec, s[10:11]
	s_cbranch_execnz .LBB329_1344
.LBB329_1324:
	s_or_b64 exec, exec, s[10:11]
	s_and_saveexec_b64 s[10:11], s[8:9]
	s_cbranch_execz .LBB329_1326
.LBB329_1325:
	v_lshlrev_b32_e32 v3, 24, v5
	v_and_b32_e32 v5, 0xffff, v5
	v_and_b32_e32 v7, 3, v5
	v_ffbh_u32_e32 v11, v7
	v_min_u32_e32 v11, 32, v11
	v_subrev_u32_e32 v14, 29, v11
	v_bfe_u32 v9, v5, 2, 5
	v_lshlrev_b32_e32 v5, v14, v5
	v_sub_u32_e32 v11, 30, v11
	v_and_b32_e32 v5, 3, v5
	v_cmp_eq_u32_e32 vcc, 0, v9
	v_and_b32_e32 v3, 0x80000000, v3
	s_nop 0
	v_cndmask_b32_e32 v9, v9, v11, vcc
	v_cndmask_b32_e32 v5, v7, v5, vcc
	v_mov_b32_e32 v7, 0x37800000
	v_lshlrev_b32_e32 v5, 21, v5
	v_lshl_add_u32 v7, v9, 23, v7
	v_or3_b32 v3, v3, v7, v5
.LBB329_1326:
	s_or_b64 exec, exec, s[10:11]
	s_mov_b64 s[8:9], 0
	s_branch .LBB329_1332
.LBB329_1327:
	s_mov_b64 s[8:9], -1
                                        ; implicit-def: $vgpr3
	s_branch .LBB329_1338
.LBB329_1328:
	s_or_saveexec_b64 s[12:13], s[12:13]
	v_mov_b32_e32 v3, 0x7f800001
	s_xor_b64 exec, exec, s[12:13]
	s_cbranch_execz .LBB329_1312
.LBB329_1329:
	v_cmp_ne_u16_e32 vcc, 0, v5
	s_andn2_b64 s[10:11], s[10:11], exec
	s_and_b64 s[14:15], vcc, exec
	v_mov_b32_e32 v3, 0
	s_or_b64 s[10:11], s[10:11], s[14:15]
	s_or_b64 exec, exec, s[12:13]
	s_and_saveexec_b64 s[12:13], s[10:11]
	s_cbranch_execnz .LBB329_1313
	s_branch .LBB329_1314
.LBB329_1330:
	s_mov_b64 s[8:9], -1
                                        ; implicit-def: $vgpr3
	s_branch .LBB329_1335
.LBB329_1331:
	s_mov_b64 s[8:9], -1
                                        ; implicit-def: $vgpr3
.LBB329_1332:
	s_and_b64 vcc, exec, s[8:9]
	s_cbranch_vccz .LBB329_1334
; %bb.1333:
	global_load_ubyte v3, v[12:13], off
	s_mov_b32 s8, 0x7f800000
	s_waitcnt vmcnt(0)
	v_lshlrev_b32_e32 v3, 24, v3
	v_and_b32_e32 v5, 0x7f000000, v3
	v_ffbh_u32_e32 v7, v5
	v_min_u32_e32 v7, 32, v7
	v_sub_u32_e64 v7, v7, 4 clamp
	v_lshlrev_b32_e32 v11, v7, v5
	v_lshlrev_b32_e32 v7, 23, v7
	v_lshrrev_b32_e32 v11, 4, v11
	v_add_u32_e32 v9, 0x1000000, v5
	v_sub_u32_e32 v7, v11, v7
	v_ashrrev_i32_e32 v9, 8, v9
	v_add_u32_e32 v7, 0x3c000000, v7
	v_and_or_b32 v7, v9, s8, v7
	v_cmp_ne_u32_e32 vcc, 0, v5
	s_brev_b32 s8, 1
	s_nop 0
	v_cndmask_b32_e32 v5, 0, v7, vcc
	v_and_or_b32 v3, v3, s8, v5
.LBB329_1334:
	s_mov_b64 s[8:9], 0
.LBB329_1335:
	s_andn2_b64 vcc, exec, s[8:9]
	s_cbranch_vccnz .LBB329_1337
; %bb.1336:
	global_load_ubyte v3, v[12:13], off
	s_movk_i32 s8, 0x7f00
	s_brev_b32 s9, 16
	s_waitcnt vmcnt(0)
	v_lshlrev_b16_e32 v5, 8, v3
	v_lshlrev_b32_e32 v3, 25, v3
	v_lshrrev_b32_e32 v7, 4, v3
	v_and_or_b32 v9, v5, s8, 0.5
	v_or_b32_e32 v7, 0x70000000, v7
	v_add_f32_e32 v9, -0.5, v9
	v_mul_f32_e32 v7, 0x7800000, v7
	v_cmp_gt_u32_e32 vcc, s9, v3
	v_bfe_i32 v5, v5, 0, 16
	s_brev_b32 s8, 1
	v_cndmask_b32_e32 v3, v7, v9, vcc
	v_and_or_b32 v3, v5, s8, v3
.LBB329_1337:
	s_mov_b64 s[8:9], 0
	s_mov_b64 s[10:11], -1
.LBB329_1338:
	s_andn2_b64 vcc, exec, s[8:9]
	s_mov_b64 s[8:9], 0
	s_cbranch_vccnz .LBB329_1349
; %bb.1339:
	s_cmp_gt_i32 s17, 14
	s_cbranch_scc0 .LBB329_1342
; %bb.1340:
	s_cmp_eq_u32 s17, 15
	s_cbranch_scc0 .LBB329_1345
; %bb.1341:
	global_load_ushort v3, v[12:13], off
	s_mov_b64 s[0:1], 0
	s_mov_b64 s[10:11], -1
	s_waitcnt vmcnt(0)
	v_lshlrev_b32_e32 v3, 16, v3
	s_branch .LBB329_1346
.LBB329_1342:
	s_mov_b64 s[12:13], -1
                                        ; implicit-def: $vgpr3
	s_branch .LBB329_1347
.LBB329_1343:
	s_or_saveexec_b64 s[10:11], s[10:11]
	v_mov_b32_e32 v3, 0x7f800001
	s_xor_b64 exec, exec, s[10:11]
	s_cbranch_execz .LBB329_1324
.LBB329_1344:
	v_cmp_ne_u16_e32 vcc, 0, v5
	s_andn2_b64 s[8:9], s[8:9], exec
	s_and_b64 s[12:13], vcc, exec
	v_mov_b32_e32 v3, 0
	s_or_b64 s[8:9], s[8:9], s[12:13]
	s_or_b64 exec, exec, s[10:11]
	s_and_saveexec_b64 s[10:11], s[8:9]
	s_cbranch_execnz .LBB329_1325
	s_branch .LBB329_1326
.LBB329_1345:
	s_mov_b64 s[0:1], -1
                                        ; implicit-def: $vgpr3
.LBB329_1346:
	s_mov_b64 s[12:13], 0
.LBB329_1347:
	s_and_b64 vcc, exec, s[12:13]
	s_cbranch_vccz .LBB329_1349
; %bb.1348:
	s_cmp_lg_u32 s17, 11
	s_mov_b64 s[8:9], -1
	s_cselect_b64 s[0:1], -1, 0
.LBB329_1349:
	s_and_b64 vcc, exec, s[0:1]
	s_cbranch_vccnz .LBB329_1412
; %bb.1350:
	s_andn2_b64 vcc, exec, s[8:9]
	s_cbranch_vccnz .LBB329_1352
.LBB329_1351:
	global_load_ubyte v3, v[12:13], off
	s_mov_b64 s[10:11], -1
	s_waitcnt vmcnt(0)
	v_cmp_ne_u16_e32 vcc, 0, v3
	s_nop 1
	v_cndmask_b32_e64 v3, 0, 1.0, vcc
.LBB329_1352:
	s_branch .LBB329_1279
.LBB329_1353:
	s_and_b32 s8, 0xffff, s16
	s_cmp_lt_i32 s8, 5
	s_cbranch_scc1 .LBB329_1358
; %bb.1354:
	s_cmp_lt_i32 s8, 8
	s_cbranch_scc1 .LBB329_1359
; %bb.1355:
	;; [unrolled: 3-line block ×3, first 2 shown]
	s_cmp_gt_i32 s8, 9
	s_cbranch_scc0 .LBB329_1361
; %bb.1357:
	global_load_dwordx2 v[14:15], v[12:13], off
	s_mov_b64 s[0:1], 0
	s_waitcnt vmcnt(0)
	v_cvt_f32_f64_e32 v3, v[14:15]
	s_branch .LBB329_1362
.LBB329_1358:
                                        ; implicit-def: $vgpr3
	s_branch .LBB329_1380
.LBB329_1359:
	s_mov_b64 s[0:1], -1
                                        ; implicit-def: $vgpr3
	s_branch .LBB329_1368
.LBB329_1360:
	s_mov_b64 s[0:1], -1
                                        ; implicit-def: $vgpr3
	s_branch .LBB329_1365
.LBB329_1361:
	s_mov_b64 s[0:1], -1
                                        ; implicit-def: $vgpr3
.LBB329_1362:
	s_andn2_b64 vcc, exec, s[0:1]
	s_cbranch_vccnz .LBB329_1364
; %bb.1363:
	global_load_dword v3, v[12:13], off
.LBB329_1364:
	s_mov_b64 s[0:1], 0
.LBB329_1365:
	s_andn2_b64 vcc, exec, s[0:1]
	s_cbranch_vccnz .LBB329_1367
; %bb.1366:
	global_load_dword v3, v[12:13], off
	s_waitcnt vmcnt(0)
	v_cvt_f32_f16_e32 v3, v3
.LBB329_1367:
	s_mov_b64 s[0:1], 0
.LBB329_1368:
	s_andn2_b64 vcc, exec, s[0:1]
	s_cbranch_vccnz .LBB329_1379
; %bb.1369:
	s_cmp_lt_i32 s8, 6
	s_cbranch_scc1 .LBB329_1372
; %bb.1370:
	s_cmp_gt_i32 s8, 6
	s_cbranch_scc0 .LBB329_1373
; %bb.1371:
	global_load_dwordx2 v[14:15], v[12:13], off
	s_mov_b64 s[0:1], 0
	s_waitcnt vmcnt(0)
	v_cvt_f32_f64_e32 v3, v[14:15]
	s_branch .LBB329_1374
.LBB329_1372:
	s_mov_b64 s[0:1], -1
                                        ; implicit-def: $vgpr3
	s_branch .LBB329_1377
.LBB329_1373:
	s_mov_b64 s[0:1], -1
                                        ; implicit-def: $vgpr3
.LBB329_1374:
	s_andn2_b64 vcc, exec, s[0:1]
	s_cbranch_vccnz .LBB329_1376
; %bb.1375:
	global_load_dword v3, v[12:13], off
.LBB329_1376:
	s_mov_b64 s[0:1], 0
.LBB329_1377:
	s_andn2_b64 vcc, exec, s[0:1]
	s_cbranch_vccnz .LBB329_1379
; %bb.1378:
	global_load_ushort v3, v[12:13], off
	s_waitcnt vmcnt(0)
	v_cvt_f32_f16_e32 v3, v3
.LBB329_1379:
	s_cbranch_execnz .LBB329_1399
.LBB329_1380:
	s_cmp_lt_i32 s8, 2
	s_cbranch_scc1 .LBB329_1384
; %bb.1381:
	s_cmp_lt_i32 s8, 3
	s_cbranch_scc1 .LBB329_1385
; %bb.1382:
	s_cmp_gt_i32 s8, 3
	s_cbranch_scc0 .LBB329_1386
; %bb.1383:
	global_load_dwordx2 v[14:15], v[12:13], off
	s_mov_b64 s[0:1], 0
	s_waitcnt vmcnt(0)
	v_xor_b32_e32 v5, v14, v15
	v_ffbh_i32_e32 v3, v15
	v_ashrrev_i32_e32 v5, 31, v5
	v_add_u32_e32 v3, -1, v3
	v_add_u32_e32 v5, 32, v5
	v_min_u32_e32 v3, v3, v5
	v_lshlrev_b64 v[14:15], v3, v[14:15]
	v_min_u32_e32 v5, 1, v14
	v_or_b32_e32 v5, v15, v5
	v_cvt_f32_i32_e32 v5, v5
	v_sub_u32_e32 v3, 32, v3
	v_ldexp_f32 v3, v5, v3
	s_branch .LBB329_1387
.LBB329_1384:
	s_mov_b64 s[0:1], -1
                                        ; implicit-def: $vgpr3
	s_branch .LBB329_1393
.LBB329_1385:
	s_mov_b64 s[0:1], -1
                                        ; implicit-def: $vgpr3
	s_branch .LBB329_1390
.LBB329_1386:
	s_mov_b64 s[0:1], -1
                                        ; implicit-def: $vgpr3
.LBB329_1387:
	s_andn2_b64 vcc, exec, s[0:1]
	s_cbranch_vccnz .LBB329_1389
; %bb.1388:
	global_load_dword v3, v[12:13], off
	s_waitcnt vmcnt(0)
	v_cvt_f32_i32_e32 v3, v3
.LBB329_1389:
	s_mov_b64 s[0:1], 0
.LBB329_1390:
	s_andn2_b64 vcc, exec, s[0:1]
	s_cbranch_vccnz .LBB329_1392
; %bb.1391:
	global_load_sshort v3, v[12:13], off
	s_waitcnt vmcnt(0)
	v_cvt_f32_i32_e32 v3, v3
.LBB329_1392:
	s_mov_b64 s[0:1], 0
.LBB329_1393:
	s_andn2_b64 vcc, exec, s[0:1]
	s_cbranch_vccnz .LBB329_1399
; %bb.1394:
	s_cmp_gt_i32 s8, 0
	s_cbranch_scc0 .LBB329_1396
; %bb.1395:
	global_load_sbyte v3, v[12:13], off
	s_mov_b64 s[0:1], 0
	s_waitcnt vmcnt(0)
	v_cvt_f32_i32_e32 v3, v3
	s_branch .LBB329_1397
.LBB329_1396:
	s_mov_b64 s[0:1], -1
                                        ; implicit-def: $vgpr3
.LBB329_1397:
	s_andn2_b64 vcc, exec, s[0:1]
	s_cbranch_vccnz .LBB329_1399
; %bb.1398:
	global_load_ubyte v3, v[12:13], off
	s_waitcnt vmcnt(0)
	v_cvt_f32_ubyte0_e32 v3, v3
.LBB329_1399:
.LBB329_1400:
	v_mov_b32_e32 v11, 0
	s_cmp_lt_i32 s16, 11
	v_lshl_add_u64 v[10:11], s[6:7], 0, v[10:11]
	s_cbranch_scc1 .LBB329_1407
; %bb.1401:
	s_and_b32 s17, 0xffff, s16
	s_cmp_gt_i32 s17, 25
	s_mov_b64 s[8:9], 0
	s_cbranch_scc0 .LBB329_1409
; %bb.1402:
	s_cmp_gt_i32 s17, 28
	s_cbranch_scc0 .LBB329_1410
; %bb.1403:
	s_cmp_gt_i32 s17, 43
	;; [unrolled: 3-line block ×3, first 2 shown]
	s_cbranch_scc0 .LBB329_1413
; %bb.1405:
	s_cmp_eq_u32 s17, 46
	s_mov_b64 s[12:13], 0
	s_cbranch_scc0 .LBB329_1414
; %bb.1406:
	global_load_dword v5, v[10:11], off
	s_mov_b64 s[0:1], 0
	s_mov_b64 s[10:11], -1
	s_waitcnt vmcnt(0)
	v_lshlrev_b32_e32 v12, 16, v5
	s_branch .LBB329_1415
.LBB329_1407:
	s_mov_b64 s[10:11], 0
                                        ; implicit-def: $vgpr12
	s_cbranch_execnz .LBB329_1481
.LBB329_1408:
	s_andn2_b64 vcc, exec, s[10:11]
	s_cbranch_vccnz .LBB329_2092
	s_branch .LBB329_1529
.LBB329_1409:
	s_mov_b64 s[12:13], -1
	s_mov_b64 s[10:11], 0
	s_mov_b64 s[0:1], 0
                                        ; implicit-def: $vgpr12
	s_branch .LBB329_1444
.LBB329_1410:
	s_mov_b64 s[12:13], -1
	s_mov_b64 s[10:11], 0
	s_mov_b64 s[0:1], 0
                                        ; implicit-def: $vgpr12
	s_branch .LBB329_1425
.LBB329_1411:
	s_mov_b64 s[12:13], -1
	s_mov_b64 s[10:11], 0
	s_mov_b64 s[0:1], 0
                                        ; implicit-def: $vgpr12
	s_branch .LBB329_1420
.LBB329_1412:
	s_trap 2
	s_or_b64 s[2:3], s[2:3], exec
	s_cbranch_execz .LBB329_1351
	s_branch .LBB329_1352
.LBB329_1413:
	s_mov_b64 s[12:13], -1
	s_mov_b64 s[10:11], 0
	s_mov_b64 s[0:1], 0
                                        ; implicit-def: $vgpr12
	s_branch .LBB329_1415
.LBB329_1414:
	s_mov_b64 s[0:1], -1
                                        ; implicit-def: $vgpr12
	s_mov_b64 s[10:11], 0
.LBB329_1415:
	s_and_b64 vcc, exec, s[12:13]
	s_cbranch_vccz .LBB329_1419
; %bb.1416:
	s_cmp_eq_u32 s17, 44
	s_cbranch_scc0 .LBB329_1418
; %bb.1417:
	global_load_ubyte v5, v[10:11], off
	s_movk_i32 s10, 0xff
	v_mov_b32_e32 v7, 0x7f800001
	v_mov_b32_e32 v9, 0x400000
	s_mov_b64 s[0:1], 0
	s_waitcnt vmcnt(0)
	v_lshlrev_b32_e32 v12, 23, v5
	v_cmp_ne_u32_e32 vcc, s10, v5
	s_mov_b64 s[10:11], -1
	s_nop 0
	v_cndmask_b32_e32 v7, v7, v12, vcc
	v_cmp_ne_u32_e32 vcc, 0, v5
	s_nop 1
	v_cndmask_b32_e32 v12, v9, v7, vcc
	s_branch .LBB329_1419
.LBB329_1418:
	s_mov_b64 s[0:1], -1
                                        ; implicit-def: $vgpr12
.LBB329_1419:
	s_mov_b64 s[12:13], 0
.LBB329_1420:
	s_and_b64 vcc, exec, s[12:13]
	s_cbranch_vccz .LBB329_1424
; %bb.1421:
	s_cmp_eq_u32 s17, 29
	s_cbranch_scc0 .LBB329_1423
; %bb.1422:
	global_load_dwordx2 v[12:13], v[10:11], off
	s_mov_b64 s[0:1], 0
	s_mov_b64 s[10:11], -1
	s_mov_b64 s[12:13], 0
	s_waitcnt vmcnt(0)
	v_ffbh_u32_e32 v5, v13
	v_min_u32_e32 v5, 32, v5
	v_lshlrev_b64 v[12:13], v5, v[12:13]
	v_min_u32_e32 v7, 1, v12
	v_or_b32_e32 v7, v13, v7
	v_cvt_f32_u32_e32 v7, v7
	v_sub_u32_e32 v5, 32, v5
	v_ldexp_f32 v12, v7, v5
	s_branch .LBB329_1425
.LBB329_1423:
	s_mov_b64 s[0:1], -1
                                        ; implicit-def: $vgpr12
.LBB329_1424:
	s_mov_b64 s[12:13], 0
.LBB329_1425:
	s_and_b64 vcc, exec, s[12:13]
	s_cbranch_vccz .LBB329_1443
; %bb.1426:
	s_cmp_lt_i32 s17, 27
	s_cbranch_scc1 .LBB329_1429
; %bb.1427:
	s_cmp_gt_i32 s17, 27
	s_cbranch_scc0 .LBB329_1430
; %bb.1428:
	global_load_dword v5, v[10:11], off
	s_mov_b64 s[10:11], 0
	s_waitcnt vmcnt(0)
	v_cvt_f32_u32_e32 v12, v5
	s_branch .LBB329_1431
.LBB329_1429:
	s_mov_b64 s[10:11], -1
                                        ; implicit-def: $vgpr12
	s_branch .LBB329_1434
.LBB329_1430:
	s_mov_b64 s[10:11], -1
                                        ; implicit-def: $vgpr12
.LBB329_1431:
	s_andn2_b64 vcc, exec, s[10:11]
	s_cbranch_vccnz .LBB329_1433
; %bb.1432:
	global_load_ushort v5, v[10:11], off
	s_waitcnt vmcnt(0)
	v_cvt_f32_u32_e32 v12, v5
.LBB329_1433:
	s_mov_b64 s[10:11], 0
.LBB329_1434:
	s_andn2_b64 vcc, exec, s[10:11]
	s_cbranch_vccnz .LBB329_1442
; %bb.1435:
	global_load_ubyte v5, v[10:11], off
	s_movk_i32 s10, 0x7f
	s_waitcnt vmcnt(0)
	v_cmp_lt_i16_e32 vcc, s10, v5
	s_mov_b64 s[10:11], 0
	s_and_saveexec_b64 s[12:13], vcc
	s_xor_b64 s[12:13], exec, s[12:13]
	s_cbranch_execz .LBB329_1456
; %bb.1436:
	s_movk_i32 s10, 0x80
	v_cmp_eq_u16_e32 vcc, s10, v5
	s_mov_b64 s[10:11], -1
	s_and_saveexec_b64 s[14:15], vcc
; %bb.1437:
	s_xor_b64 s[10:11], exec, -1
; %bb.1438:
	s_or_b64 exec, exec, s[14:15]
	s_and_b64 s[10:11], s[10:11], exec
	s_or_saveexec_b64 s[12:13], s[12:13]
	v_mov_b32_e32 v12, 0x7f800001
	s_xor_b64 exec, exec, s[12:13]
	s_cbranch_execnz .LBB329_1457
.LBB329_1439:
	s_or_b64 exec, exec, s[12:13]
	s_and_saveexec_b64 s[12:13], s[10:11]
	s_cbranch_execz .LBB329_1441
.LBB329_1440:
	v_lshlrev_b32_e32 v7, 24, v5
	v_and_b32_e32 v5, 0xffff, v5
	v_and_b32_e32 v9, 7, v5
	v_ffbh_u32_e32 v13, v9
	v_min_u32_e32 v13, 32, v13
	v_subrev_u32_e32 v14, 28, v13
	v_bfe_u32 v12, v5, 3, 4
	v_lshlrev_b32_e32 v5, v14, v5
	v_sub_u32_e32 v13, 29, v13
	v_and_b32_e32 v5, 7, v5
	v_cmp_eq_u32_e32 vcc, 0, v12
	v_and_b32_e32 v7, 0x80000000, v7
	s_nop 0
	v_cndmask_b32_e32 v12, v12, v13, vcc
	v_cndmask_b32_e32 v5, v9, v5, vcc
	v_mov_b32_e32 v9, 0x3b800000
	v_lshlrev_b32_e32 v5, 20, v5
	v_lshl_add_u32 v9, v12, 23, v9
	v_or3_b32 v12, v7, v9, v5
.LBB329_1441:
	s_or_b64 exec, exec, s[12:13]
.LBB329_1442:
	s_mov_b64 s[10:11], -1
.LBB329_1443:
	s_mov_b64 s[12:13], 0
.LBB329_1444:
	s_and_b64 vcc, exec, s[12:13]
	s_cbranch_vccz .LBB329_1477
; %bb.1445:
	s_cmp_gt_i32 s17, 22
	s_cbranch_scc0 .LBB329_1455
; %bb.1446:
	s_cmp_lt_i32 s17, 24
	s_cbranch_scc1 .LBB329_1458
; %bb.1447:
	s_cmp_gt_i32 s17, 24
	s_cbranch_scc0 .LBB329_1459
; %bb.1448:
	global_load_ubyte v5, v[10:11], off
	s_movk_i32 s8, 0x7f
	s_waitcnt vmcnt(0)
	v_cmp_lt_i16_e32 vcc, s8, v5
	s_mov_b64 s[8:9], 0
	s_and_saveexec_b64 s[10:11], vcc
	s_xor_b64 s[10:11], exec, s[10:11]
	s_cbranch_execz .LBB329_1471
; %bb.1449:
	s_movk_i32 s8, 0x80
	v_cmp_eq_u16_e32 vcc, s8, v5
	s_mov_b64 s[8:9], -1
	s_and_saveexec_b64 s[12:13], vcc
; %bb.1450:
	s_xor_b64 s[8:9], exec, -1
; %bb.1451:
	s_or_b64 exec, exec, s[12:13]
	s_and_b64 s[8:9], s[8:9], exec
	s_or_saveexec_b64 s[10:11], s[10:11]
	v_mov_b32_e32 v12, 0x7f800001
	s_xor_b64 exec, exec, s[10:11]
	s_cbranch_execnz .LBB329_1472
.LBB329_1452:
	s_or_b64 exec, exec, s[10:11]
	s_and_saveexec_b64 s[10:11], s[8:9]
	s_cbranch_execz .LBB329_1454
.LBB329_1453:
	v_lshlrev_b32_e32 v7, 24, v5
	v_and_b32_e32 v5, 0xffff, v5
	v_and_b32_e32 v9, 3, v5
	v_ffbh_u32_e32 v13, v9
	v_min_u32_e32 v13, 32, v13
	v_subrev_u32_e32 v14, 29, v13
	v_bfe_u32 v12, v5, 2, 5
	v_lshlrev_b32_e32 v5, v14, v5
	v_sub_u32_e32 v13, 30, v13
	v_and_b32_e32 v5, 3, v5
	v_cmp_eq_u32_e32 vcc, 0, v12
	v_and_b32_e32 v7, 0x80000000, v7
	s_nop 0
	v_cndmask_b32_e32 v12, v12, v13, vcc
	v_cndmask_b32_e32 v5, v9, v5, vcc
	v_mov_b32_e32 v9, 0x37800000
	v_lshlrev_b32_e32 v5, 21, v5
	v_lshl_add_u32 v9, v12, 23, v9
	v_or3_b32 v12, v7, v9, v5
.LBB329_1454:
	s_or_b64 exec, exec, s[10:11]
	s_mov_b64 s[8:9], 0
	s_branch .LBB329_1460
.LBB329_1455:
	s_mov_b64 s[8:9], -1
                                        ; implicit-def: $vgpr12
	s_branch .LBB329_1466
.LBB329_1456:
	s_or_saveexec_b64 s[12:13], s[12:13]
	v_mov_b32_e32 v12, 0x7f800001
	s_xor_b64 exec, exec, s[12:13]
	s_cbranch_execz .LBB329_1439
.LBB329_1457:
	v_cmp_ne_u16_e32 vcc, 0, v5
	s_andn2_b64 s[10:11], s[10:11], exec
	s_and_b64 s[14:15], vcc, exec
	v_mov_b32_e32 v12, 0
	s_or_b64 s[10:11], s[10:11], s[14:15]
	s_or_b64 exec, exec, s[12:13]
	s_and_saveexec_b64 s[12:13], s[10:11]
	s_cbranch_execnz .LBB329_1440
	s_branch .LBB329_1441
.LBB329_1458:
	s_mov_b64 s[8:9], -1
                                        ; implicit-def: $vgpr12
	s_branch .LBB329_1463
.LBB329_1459:
	s_mov_b64 s[8:9], -1
                                        ; implicit-def: $vgpr12
.LBB329_1460:
	s_and_b64 vcc, exec, s[8:9]
	s_cbranch_vccz .LBB329_1462
; %bb.1461:
	global_load_ubyte v5, v[10:11], off
	s_mov_b32 s8, 0x7f800000
	s_waitcnt vmcnt(0)
	v_lshlrev_b32_e32 v5, 24, v5
	v_and_b32_e32 v7, 0x7f000000, v5
	v_ffbh_u32_e32 v9, v7
	v_min_u32_e32 v9, 32, v9
	v_sub_u32_e64 v9, v9, 4 clamp
	v_lshlrev_b32_e32 v13, v9, v7
	v_lshlrev_b32_e32 v9, 23, v9
	v_lshrrev_b32_e32 v13, 4, v13
	v_add_u32_e32 v12, 0x1000000, v7
	v_sub_u32_e32 v9, v13, v9
	v_ashrrev_i32_e32 v12, 8, v12
	v_add_u32_e32 v9, 0x3c000000, v9
	v_and_or_b32 v9, v12, s8, v9
	v_cmp_ne_u32_e32 vcc, 0, v7
	s_brev_b32 s8, 1
	s_nop 0
	v_cndmask_b32_e32 v7, 0, v9, vcc
	v_and_or_b32 v12, v5, s8, v7
.LBB329_1462:
	s_mov_b64 s[8:9], 0
.LBB329_1463:
	s_andn2_b64 vcc, exec, s[8:9]
	s_cbranch_vccnz .LBB329_1465
; %bb.1464:
	global_load_ubyte v5, v[10:11], off
	s_movk_i32 s8, 0x7f00
	s_brev_b32 s9, 16
	s_waitcnt vmcnt(0)
	v_lshlrev_b16_e32 v7, 8, v5
	v_lshlrev_b32_e32 v5, 25, v5
	v_lshrrev_b32_e32 v9, 4, v5
	v_and_or_b32 v12, v7, s8, 0.5
	v_or_b32_e32 v9, 0x70000000, v9
	v_add_f32_e32 v12, -0.5, v12
	v_mul_f32_e32 v9, 0x7800000, v9
	v_cmp_gt_u32_e32 vcc, s9, v5
	v_bfe_i32 v7, v7, 0, 16
	s_brev_b32 s8, 1
	v_cndmask_b32_e32 v5, v9, v12, vcc
	v_and_or_b32 v12, v7, s8, v5
.LBB329_1465:
	s_mov_b64 s[8:9], 0
	s_mov_b64 s[10:11], -1
.LBB329_1466:
	s_andn2_b64 vcc, exec, s[8:9]
	s_mov_b64 s[8:9], 0
	s_cbranch_vccnz .LBB329_1477
; %bb.1467:
	s_cmp_gt_i32 s17, 14
	s_cbranch_scc0 .LBB329_1470
; %bb.1468:
	s_cmp_eq_u32 s17, 15
	s_cbranch_scc0 .LBB329_1473
; %bb.1469:
	global_load_ushort v5, v[10:11], off
	s_mov_b64 s[0:1], 0
	s_mov_b64 s[10:11], -1
	s_waitcnt vmcnt(0)
	v_lshlrev_b32_e32 v12, 16, v5
	s_branch .LBB329_1474
.LBB329_1470:
	s_mov_b64 s[12:13], -1
                                        ; implicit-def: $vgpr12
	s_branch .LBB329_1475
.LBB329_1471:
	s_or_saveexec_b64 s[10:11], s[10:11]
	v_mov_b32_e32 v12, 0x7f800001
	s_xor_b64 exec, exec, s[10:11]
	s_cbranch_execz .LBB329_1452
.LBB329_1472:
	v_cmp_ne_u16_e32 vcc, 0, v5
	s_andn2_b64 s[8:9], s[8:9], exec
	s_and_b64 s[12:13], vcc, exec
	v_mov_b32_e32 v12, 0
	s_or_b64 s[8:9], s[8:9], s[12:13]
	s_or_b64 exec, exec, s[10:11]
	s_and_saveexec_b64 s[10:11], s[8:9]
	s_cbranch_execnz .LBB329_1453
	s_branch .LBB329_1454
.LBB329_1473:
	s_mov_b64 s[0:1], -1
                                        ; implicit-def: $vgpr12
.LBB329_1474:
	s_mov_b64 s[12:13], 0
.LBB329_1475:
	s_and_b64 vcc, exec, s[12:13]
	s_cbranch_vccz .LBB329_1477
; %bb.1476:
	s_cmp_lg_u32 s17, 11
	s_mov_b64 s[8:9], -1
	s_cselect_b64 s[0:1], -1, 0
.LBB329_1477:
	s_and_b64 vcc, exec, s[0:1]
	s_cbranch_vccnz .LBB329_1540
; %bb.1478:
	s_andn2_b64 vcc, exec, s[8:9]
	s_cbranch_vccnz .LBB329_1480
.LBB329_1479:
	global_load_ubyte v5, v[10:11], off
	s_mov_b64 s[10:11], -1
	s_waitcnt vmcnt(0)
	v_cmp_ne_u16_e32 vcc, 0, v5
	s_nop 1
	v_cndmask_b32_e64 v12, 0, 1.0, vcc
.LBB329_1480:
	s_branch .LBB329_1408
.LBB329_1481:
	s_and_b32 s8, 0xffff, s16
	s_cmp_lt_i32 s8, 5
	s_cbranch_scc1 .LBB329_1486
; %bb.1482:
	s_cmp_lt_i32 s8, 8
	s_cbranch_scc1 .LBB329_1487
; %bb.1483:
	s_cmp_lt_i32 s8, 9
	s_cbranch_scc1 .LBB329_1488
; %bb.1484:
	s_cmp_gt_i32 s8, 9
	s_cbranch_scc0 .LBB329_1489
; %bb.1485:
	global_load_dwordx2 v[12:13], v[10:11], off
	s_mov_b64 s[0:1], 0
	s_waitcnt vmcnt(0)
	v_cvt_f32_f64_e32 v12, v[12:13]
	s_branch .LBB329_1490
.LBB329_1486:
	s_mov_b64 s[0:1], -1
                                        ; implicit-def: $vgpr12
	s_branch .LBB329_1508
.LBB329_1487:
	s_mov_b64 s[0:1], -1
                                        ; implicit-def: $vgpr12
	s_branch .LBB329_1496
.LBB329_1488:
	s_mov_b64 s[0:1], -1
                                        ; implicit-def: $vgpr12
	s_branch .LBB329_1493
.LBB329_1489:
	s_mov_b64 s[0:1], -1
                                        ; implicit-def: $vgpr12
.LBB329_1490:
	s_andn2_b64 vcc, exec, s[0:1]
	s_cbranch_vccnz .LBB329_1492
; %bb.1491:
	global_load_dword v12, v[10:11], off
.LBB329_1492:
	s_mov_b64 s[0:1], 0
.LBB329_1493:
	s_andn2_b64 vcc, exec, s[0:1]
	s_cbranch_vccnz .LBB329_1495
; %bb.1494:
	global_load_dword v5, v[10:11], off
	s_waitcnt vmcnt(0)
	v_cvt_f32_f16_e32 v12, v5
.LBB329_1495:
	s_mov_b64 s[0:1], 0
.LBB329_1496:
	s_andn2_b64 vcc, exec, s[0:1]
	s_cbranch_vccnz .LBB329_1507
; %bb.1497:
	s_cmp_lt_i32 s8, 6
	s_cbranch_scc1 .LBB329_1500
; %bb.1498:
	s_cmp_gt_i32 s8, 6
	s_cbranch_scc0 .LBB329_1501
; %bb.1499:
	global_load_dwordx2 v[12:13], v[10:11], off
	s_mov_b64 s[0:1], 0
	s_waitcnt vmcnt(0)
	v_cvt_f32_f64_e32 v12, v[12:13]
	s_branch .LBB329_1502
.LBB329_1500:
	s_mov_b64 s[0:1], -1
                                        ; implicit-def: $vgpr12
	s_branch .LBB329_1505
.LBB329_1501:
	s_mov_b64 s[0:1], -1
                                        ; implicit-def: $vgpr12
.LBB329_1502:
	s_andn2_b64 vcc, exec, s[0:1]
	s_cbranch_vccnz .LBB329_1504
; %bb.1503:
	global_load_dword v12, v[10:11], off
.LBB329_1504:
	s_mov_b64 s[0:1], 0
.LBB329_1505:
	s_andn2_b64 vcc, exec, s[0:1]
	s_cbranch_vccnz .LBB329_1507
; %bb.1506:
	global_load_ushort v5, v[10:11], off
	s_waitcnt vmcnt(0)
	v_cvt_f32_f16_e32 v12, v5
.LBB329_1507:
	s_mov_b64 s[0:1], 0
.LBB329_1508:
	s_andn2_b64 vcc, exec, s[0:1]
	s_cbranch_vccnz .LBB329_1528
; %bb.1509:
	s_cmp_lt_i32 s8, 2
	s_cbranch_scc1 .LBB329_1513
; %bb.1510:
	s_cmp_lt_i32 s8, 3
	s_cbranch_scc1 .LBB329_1514
; %bb.1511:
	s_cmp_gt_i32 s8, 3
	s_cbranch_scc0 .LBB329_1515
; %bb.1512:
	global_load_dwordx2 v[12:13], v[10:11], off
	s_mov_b64 s[0:1], 0
	s_waitcnt vmcnt(0)
	v_xor_b32_e32 v7, v12, v13
	v_ffbh_i32_e32 v5, v13
	v_ashrrev_i32_e32 v7, 31, v7
	v_add_u32_e32 v5, -1, v5
	v_add_u32_e32 v7, 32, v7
	v_min_u32_e32 v5, v5, v7
	v_lshlrev_b64 v[12:13], v5, v[12:13]
	v_min_u32_e32 v7, 1, v12
	v_or_b32_e32 v7, v13, v7
	v_cvt_f32_i32_e32 v7, v7
	v_sub_u32_e32 v5, 32, v5
	v_ldexp_f32 v12, v7, v5
	s_branch .LBB329_1516
.LBB329_1513:
	s_mov_b64 s[0:1], -1
                                        ; implicit-def: $vgpr12
	s_branch .LBB329_1522
.LBB329_1514:
	s_mov_b64 s[0:1], -1
                                        ; implicit-def: $vgpr12
	s_branch .LBB329_1519
.LBB329_1515:
	s_mov_b64 s[0:1], -1
                                        ; implicit-def: $vgpr12
.LBB329_1516:
	s_andn2_b64 vcc, exec, s[0:1]
	s_cbranch_vccnz .LBB329_1518
; %bb.1517:
	global_load_dword v5, v[10:11], off
	s_waitcnt vmcnt(0)
	v_cvt_f32_i32_e32 v12, v5
.LBB329_1518:
	s_mov_b64 s[0:1], 0
.LBB329_1519:
	s_andn2_b64 vcc, exec, s[0:1]
	s_cbranch_vccnz .LBB329_1521
; %bb.1520:
	global_load_sshort v5, v[10:11], off
	s_waitcnt vmcnt(0)
	v_cvt_f32_i32_e32 v12, v5
.LBB329_1521:
	s_mov_b64 s[0:1], 0
.LBB329_1522:
	s_andn2_b64 vcc, exec, s[0:1]
	s_cbranch_vccnz .LBB329_1528
; %bb.1523:
	s_cmp_gt_i32 s8, 0
	s_cbranch_scc0 .LBB329_1525
; %bb.1524:
	global_load_sbyte v5, v[10:11], off
	s_mov_b64 s[0:1], 0
	s_waitcnt vmcnt(0)
	v_cvt_f32_i32_e32 v12, v5
	s_branch .LBB329_1526
.LBB329_1525:
	s_mov_b64 s[0:1], -1
                                        ; implicit-def: $vgpr12
.LBB329_1526:
	s_andn2_b64 vcc, exec, s[0:1]
	s_cbranch_vccnz .LBB329_1528
; %bb.1527:
	global_load_ubyte v5, v[10:11], off
	s_waitcnt vmcnt(0)
	v_cvt_f32_ubyte0_e32 v12, v5
.LBB329_1528:
.LBB329_1529:
	v_mov_b32_e32 v9, 0
	s_cmp_lt_i32 s16, 11
	v_lshl_add_u64 v[8:9], s[6:7], 0, v[8:9]
	s_cbranch_scc1 .LBB329_1536
; %bb.1530:
	s_and_b32 s14, 0xffff, s16
	s_cmp_gt_i32 s14, 25
	s_mov_b64 s[6:7], 0
	s_cbranch_scc0 .LBB329_1537
; %bb.1531:
	s_cmp_gt_i32 s14, 28
	s_cbranch_scc0 .LBB329_1538
; %bb.1532:
	s_cmp_gt_i32 s14, 43
	;; [unrolled: 3-line block ×3, first 2 shown]
	s_cbranch_scc0 .LBB329_1541
; %bb.1534:
	s_cmp_eq_u32 s14, 46
	s_mov_b64 s[10:11], 0
	s_cbranch_scc0 .LBB329_1542
; %bb.1535:
	global_load_dword v5, v[8:9], off
	s_mov_b64 s[0:1], 0
	s_mov_b64 s[8:9], -1
	s_waitcnt vmcnt(0)
	v_lshlrev_b32_e32 v10, 16, v5
	s_branch .LBB329_1543
.LBB329_1536:
	s_mov_b64 s[0:1], -1
	s_mov_b64 s[8:9], 0
                                        ; implicit-def: $vgpr10
	s_branch .LBB329_1609
.LBB329_1537:
	s_mov_b64 s[10:11], -1
	s_mov_b64 s[8:9], 0
	s_mov_b64 s[0:1], 0
                                        ; implicit-def: $vgpr10
	s_branch .LBB329_1572
.LBB329_1538:
	s_mov_b64 s[10:11], -1
	s_mov_b64 s[8:9], 0
	s_mov_b64 s[0:1], 0
                                        ; implicit-def: $vgpr10
	s_branch .LBB329_1553
.LBB329_1539:
	s_mov_b64 s[10:11], -1
	s_mov_b64 s[8:9], 0
	s_mov_b64 s[0:1], 0
                                        ; implicit-def: $vgpr10
	s_branch .LBB329_1548
.LBB329_1540:
	s_trap 2
	s_or_b64 s[2:3], s[2:3], exec
	s_cbranch_execz .LBB329_1479
	s_branch .LBB329_1480
.LBB329_1541:
	s_mov_b64 s[10:11], -1
	s_mov_b64 s[8:9], 0
	s_mov_b64 s[0:1], 0
                                        ; implicit-def: $vgpr10
	s_branch .LBB329_1543
.LBB329_1542:
	s_mov_b64 s[0:1], -1
                                        ; implicit-def: $vgpr10
	s_mov_b64 s[8:9], 0
.LBB329_1543:
	s_and_b64 vcc, exec, s[10:11]
	s_cbranch_vccz .LBB329_1547
; %bb.1544:
	s_cmp_eq_u32 s14, 44
	s_cbranch_scc0 .LBB329_1546
; %bb.1545:
	global_load_ubyte v5, v[8:9], off
	s_movk_i32 s8, 0xff
	v_mov_b32_e32 v7, 0x7f800001
	v_mov_b32_e32 v10, 0x400000
	s_mov_b64 s[0:1], 0
	s_waitcnt vmcnt(0)
	v_lshlrev_b32_e32 v11, 23, v5
	v_cmp_ne_u32_e32 vcc, s8, v5
	s_mov_b64 s[8:9], -1
	s_nop 0
	v_cndmask_b32_e32 v7, v7, v11, vcc
	v_cmp_ne_u32_e32 vcc, 0, v5
	s_nop 1
	v_cndmask_b32_e32 v10, v10, v7, vcc
	s_branch .LBB329_1547
.LBB329_1546:
	s_mov_b64 s[0:1], -1
                                        ; implicit-def: $vgpr10
.LBB329_1547:
	s_mov_b64 s[10:11], 0
.LBB329_1548:
	s_and_b64 vcc, exec, s[10:11]
	s_cbranch_vccz .LBB329_1552
; %bb.1549:
	s_cmp_eq_u32 s14, 29
	s_cbranch_scc0 .LBB329_1551
; %bb.1550:
	global_load_dwordx2 v[10:11], v[8:9], off
	s_mov_b64 s[0:1], 0
	s_mov_b64 s[8:9], -1
	s_mov_b64 s[10:11], 0
	s_waitcnt vmcnt(0)
	v_ffbh_u32_e32 v5, v11
	v_min_u32_e32 v5, 32, v5
	v_lshlrev_b64 v[10:11], v5, v[10:11]
	v_min_u32_e32 v7, 1, v10
	v_or_b32_e32 v7, v11, v7
	v_cvt_f32_u32_e32 v7, v7
	v_sub_u32_e32 v5, 32, v5
	v_ldexp_f32 v10, v7, v5
	s_branch .LBB329_1553
.LBB329_1551:
	s_mov_b64 s[0:1], -1
                                        ; implicit-def: $vgpr10
.LBB329_1552:
	s_mov_b64 s[10:11], 0
.LBB329_1553:
	s_and_b64 vcc, exec, s[10:11]
	s_cbranch_vccz .LBB329_1571
; %bb.1554:
	s_cmp_lt_i32 s14, 27
	s_cbranch_scc1 .LBB329_1557
; %bb.1555:
	s_cmp_gt_i32 s14, 27
	s_cbranch_scc0 .LBB329_1558
; %bb.1556:
	global_load_dword v5, v[8:9], off
	s_mov_b64 s[8:9], 0
	s_waitcnt vmcnt(0)
	v_cvt_f32_u32_e32 v10, v5
	s_branch .LBB329_1559
.LBB329_1557:
	s_mov_b64 s[8:9], -1
                                        ; implicit-def: $vgpr10
	s_branch .LBB329_1562
.LBB329_1558:
	s_mov_b64 s[8:9], -1
                                        ; implicit-def: $vgpr10
.LBB329_1559:
	s_andn2_b64 vcc, exec, s[8:9]
	s_cbranch_vccnz .LBB329_1561
; %bb.1560:
	global_load_ushort v5, v[8:9], off
	s_waitcnt vmcnt(0)
	v_cvt_f32_u32_e32 v10, v5
.LBB329_1561:
	s_mov_b64 s[8:9], 0
.LBB329_1562:
	s_andn2_b64 vcc, exec, s[8:9]
	s_cbranch_vccnz .LBB329_1570
; %bb.1563:
	global_load_ubyte v5, v[8:9], off
	s_movk_i32 s8, 0x7f
	s_waitcnt vmcnt(0)
	v_cmp_lt_i16_e32 vcc, s8, v5
	s_mov_b64 s[8:9], 0
	s_and_saveexec_b64 s[10:11], vcc
	s_xor_b64 s[10:11], exec, s[10:11]
	s_cbranch_execz .LBB329_1584
; %bb.1564:
	s_movk_i32 s8, 0x80
	v_cmp_eq_u16_e32 vcc, s8, v5
	s_mov_b64 s[8:9], -1
	s_and_saveexec_b64 s[12:13], vcc
; %bb.1565:
	s_xor_b64 s[8:9], exec, -1
; %bb.1566:
	s_or_b64 exec, exec, s[12:13]
	s_and_b64 s[8:9], s[8:9], exec
	s_or_saveexec_b64 s[10:11], s[10:11]
	v_mov_b32_e32 v10, 0x7f800001
	s_xor_b64 exec, exec, s[10:11]
	s_cbranch_execnz .LBB329_1585
.LBB329_1567:
	s_or_b64 exec, exec, s[10:11]
	s_and_saveexec_b64 s[10:11], s[8:9]
	s_cbranch_execz .LBB329_1569
.LBB329_1568:
	v_lshlrev_b32_e32 v7, 24, v5
	v_and_b32_e32 v5, 0xffff, v5
	v_and_b32_e32 v10, 7, v5
	v_ffbh_u32_e32 v13, v10
	v_min_u32_e32 v13, 32, v13
	v_subrev_u32_e32 v14, 28, v13
	v_bfe_u32 v11, v5, 3, 4
	v_lshlrev_b32_e32 v5, v14, v5
	v_sub_u32_e32 v13, 29, v13
	v_and_b32_e32 v5, 7, v5
	v_cmp_eq_u32_e32 vcc, 0, v11
	v_and_b32_e32 v7, 0x80000000, v7
	s_nop 0
	v_cndmask_b32_e32 v11, v11, v13, vcc
	v_cndmask_b32_e32 v5, v10, v5, vcc
	v_mov_b32_e32 v10, 0x3b800000
	v_lshlrev_b32_e32 v5, 20, v5
	v_lshl_add_u32 v10, v11, 23, v10
	v_or3_b32 v10, v7, v10, v5
.LBB329_1569:
	s_or_b64 exec, exec, s[10:11]
.LBB329_1570:
	s_mov_b64 s[8:9], -1
.LBB329_1571:
	s_mov_b64 s[10:11], 0
.LBB329_1572:
	s_and_b64 vcc, exec, s[10:11]
	s_cbranch_vccz .LBB329_1605
; %bb.1573:
	s_cmp_gt_i32 s14, 22
	s_cbranch_scc0 .LBB329_1583
; %bb.1574:
	s_cmp_lt_i32 s14, 24
	s_cbranch_scc1 .LBB329_1586
; %bb.1575:
	s_cmp_gt_i32 s14, 24
	s_cbranch_scc0 .LBB329_1587
; %bb.1576:
	global_load_ubyte v5, v[8:9], off
	s_movk_i32 s6, 0x7f
	s_waitcnt vmcnt(0)
	v_cmp_lt_i16_e32 vcc, s6, v5
	s_mov_b64 s[6:7], 0
	s_and_saveexec_b64 s[8:9], vcc
	s_xor_b64 s[8:9], exec, s[8:9]
	s_cbranch_execz .LBB329_1599
; %bb.1577:
	s_movk_i32 s6, 0x80
	v_cmp_eq_u16_e32 vcc, s6, v5
	s_mov_b64 s[6:7], -1
	s_and_saveexec_b64 s[10:11], vcc
; %bb.1578:
	s_xor_b64 s[6:7], exec, -1
; %bb.1579:
	s_or_b64 exec, exec, s[10:11]
	s_and_b64 s[6:7], s[6:7], exec
	s_or_saveexec_b64 s[8:9], s[8:9]
	v_mov_b32_e32 v10, 0x7f800001
	s_xor_b64 exec, exec, s[8:9]
	s_cbranch_execnz .LBB329_1600
.LBB329_1580:
	s_or_b64 exec, exec, s[8:9]
	s_and_saveexec_b64 s[8:9], s[6:7]
	s_cbranch_execz .LBB329_1582
.LBB329_1581:
	v_lshlrev_b32_e32 v7, 24, v5
	v_and_b32_e32 v5, 0xffff, v5
	v_and_b32_e32 v10, 3, v5
	v_ffbh_u32_e32 v13, v10
	v_min_u32_e32 v13, 32, v13
	v_subrev_u32_e32 v14, 29, v13
	v_bfe_u32 v11, v5, 2, 5
	v_lshlrev_b32_e32 v5, v14, v5
	v_sub_u32_e32 v13, 30, v13
	v_and_b32_e32 v5, 3, v5
	v_cmp_eq_u32_e32 vcc, 0, v11
	v_and_b32_e32 v7, 0x80000000, v7
	s_nop 0
	v_cndmask_b32_e32 v11, v11, v13, vcc
	v_cndmask_b32_e32 v5, v10, v5, vcc
	v_mov_b32_e32 v10, 0x37800000
	v_lshlrev_b32_e32 v5, 21, v5
	v_lshl_add_u32 v10, v11, 23, v10
	v_or3_b32 v10, v7, v10, v5
.LBB329_1582:
	s_or_b64 exec, exec, s[8:9]
	s_mov_b64 s[6:7], 0
	s_branch .LBB329_1588
.LBB329_1583:
	s_mov_b64 s[6:7], -1
                                        ; implicit-def: $vgpr10
	s_branch .LBB329_1594
.LBB329_1584:
	s_or_saveexec_b64 s[10:11], s[10:11]
	v_mov_b32_e32 v10, 0x7f800001
	s_xor_b64 exec, exec, s[10:11]
	s_cbranch_execz .LBB329_1567
.LBB329_1585:
	v_cmp_ne_u16_e32 vcc, 0, v5
	s_andn2_b64 s[8:9], s[8:9], exec
	s_and_b64 s[12:13], vcc, exec
	v_mov_b32_e32 v10, 0
	s_or_b64 s[8:9], s[8:9], s[12:13]
	s_or_b64 exec, exec, s[10:11]
	s_and_saveexec_b64 s[10:11], s[8:9]
	s_cbranch_execnz .LBB329_1568
	s_branch .LBB329_1569
.LBB329_1586:
	s_mov_b64 s[6:7], -1
                                        ; implicit-def: $vgpr10
	s_branch .LBB329_1591
.LBB329_1587:
	s_mov_b64 s[6:7], -1
                                        ; implicit-def: $vgpr10
.LBB329_1588:
	s_and_b64 vcc, exec, s[6:7]
	s_cbranch_vccz .LBB329_1590
; %bb.1589:
	global_load_ubyte v5, v[8:9], off
	s_mov_b32 s6, 0x7f800000
	s_waitcnt vmcnt(0)
	v_lshlrev_b32_e32 v5, 24, v5
	v_and_b32_e32 v7, 0x7f000000, v5
	v_ffbh_u32_e32 v10, v7
	v_min_u32_e32 v10, 32, v10
	v_sub_u32_e64 v10, v10, 4 clamp
	v_lshlrev_b32_e32 v13, v10, v7
	v_lshlrev_b32_e32 v10, 23, v10
	v_lshrrev_b32_e32 v13, 4, v13
	v_add_u32_e32 v11, 0x1000000, v7
	v_sub_u32_e32 v10, v13, v10
	v_ashrrev_i32_e32 v11, 8, v11
	v_add_u32_e32 v10, 0x3c000000, v10
	v_and_or_b32 v10, v11, s6, v10
	v_cmp_ne_u32_e32 vcc, 0, v7
	s_brev_b32 s6, 1
	s_nop 0
	v_cndmask_b32_e32 v7, 0, v10, vcc
	v_and_or_b32 v10, v5, s6, v7
.LBB329_1590:
	s_mov_b64 s[6:7], 0
.LBB329_1591:
	s_andn2_b64 vcc, exec, s[6:7]
	s_cbranch_vccnz .LBB329_1593
; %bb.1592:
	global_load_ubyte v5, v[8:9], off
	s_movk_i32 s6, 0x7f00
	s_brev_b32 s7, 16
	s_waitcnt vmcnt(0)
	v_lshlrev_b16_e32 v7, 8, v5
	v_lshlrev_b32_e32 v5, 25, v5
	v_lshrrev_b32_e32 v10, 4, v5
	v_and_or_b32 v11, v7, s6, 0.5
	v_or_b32_e32 v10, 0x70000000, v10
	v_add_f32_e32 v11, -0.5, v11
	v_mul_f32_e32 v10, 0x7800000, v10
	v_cmp_gt_u32_e32 vcc, s7, v5
	v_bfe_i32 v7, v7, 0, 16
	s_brev_b32 s6, 1
	v_cndmask_b32_e32 v5, v10, v11, vcc
	v_and_or_b32 v10, v7, s6, v5
.LBB329_1593:
	s_mov_b64 s[6:7], 0
	s_mov_b64 s[8:9], -1
.LBB329_1594:
	s_andn2_b64 vcc, exec, s[6:7]
	s_mov_b64 s[6:7], 0
	s_cbranch_vccnz .LBB329_1605
; %bb.1595:
	s_cmp_gt_i32 s14, 14
	s_cbranch_scc0 .LBB329_1598
; %bb.1596:
	s_cmp_eq_u32 s14, 15
	s_cbranch_scc0 .LBB329_1601
; %bb.1597:
	global_load_ushort v5, v[8:9], off
	s_mov_b64 s[0:1], 0
	s_mov_b64 s[8:9], -1
	s_waitcnt vmcnt(0)
	v_lshlrev_b32_e32 v10, 16, v5
	s_branch .LBB329_1602
.LBB329_1598:
	s_mov_b64 s[10:11], -1
                                        ; implicit-def: $vgpr10
	s_branch .LBB329_1603
.LBB329_1599:
	s_or_saveexec_b64 s[8:9], s[8:9]
	v_mov_b32_e32 v10, 0x7f800001
	s_xor_b64 exec, exec, s[8:9]
	s_cbranch_execz .LBB329_1580
.LBB329_1600:
	v_cmp_ne_u16_e32 vcc, 0, v5
	s_andn2_b64 s[6:7], s[6:7], exec
	s_and_b64 s[10:11], vcc, exec
	v_mov_b32_e32 v10, 0
	s_or_b64 s[6:7], s[6:7], s[10:11]
	s_or_b64 exec, exec, s[8:9]
	s_and_saveexec_b64 s[8:9], s[6:7]
	s_cbranch_execnz .LBB329_1581
	s_branch .LBB329_1582
.LBB329_1601:
	s_mov_b64 s[0:1], -1
                                        ; implicit-def: $vgpr10
.LBB329_1602:
	s_mov_b64 s[10:11], 0
.LBB329_1603:
	s_and_b64 vcc, exec, s[10:11]
	s_cbranch_vccz .LBB329_1605
; %bb.1604:
	s_cmp_lg_u32 s14, 11
	s_mov_b64 s[6:7], -1
	s_cselect_b64 s[0:1], -1, 0
.LBB329_1605:
	s_and_b64 vcc, exec, s[0:1]
	s_cbranch_vccnz .LBB329_2138
; %bb.1606:
	s_andn2_b64 vcc, exec, s[6:7]
	s_cbranch_vccnz .LBB329_1608
.LBB329_1607:
	global_load_ubyte v5, v[8:9], off
	s_mov_b64 s[8:9], -1
	s_waitcnt vmcnt(0)
	v_cmp_ne_u16_e32 vcc, 0, v5
	s_nop 1
	v_cndmask_b32_e64 v10, 0, 1.0, vcc
.LBB329_1608:
	s_mov_b64 s[0:1], 0
.LBB329_1609:
	s_and_b64 vcc, exec, s[0:1]
	s_cbranch_vccz .LBB329_1658
; %bb.1610:
	s_and_b32 s6, 0xffff, s16
	s_cmp_lt_i32 s6, 5
	s_cbranch_scc1 .LBB329_1615
; %bb.1611:
	s_cmp_lt_i32 s6, 8
	s_cbranch_scc1 .LBB329_1616
; %bb.1612:
	;; [unrolled: 3-line block ×3, first 2 shown]
	s_cmp_gt_i32 s6, 9
	s_cbranch_scc0 .LBB329_1618
; %bb.1614:
	global_load_dwordx2 v[10:11], v[8:9], off
	s_mov_b64 s[0:1], 0
	s_waitcnt vmcnt(0)
	v_cvt_f32_f64_e32 v10, v[10:11]
	s_branch .LBB329_1619
.LBB329_1615:
	s_mov_b64 s[0:1], -1
                                        ; implicit-def: $vgpr10
	s_branch .LBB329_1637
.LBB329_1616:
	s_mov_b64 s[0:1], -1
                                        ; implicit-def: $vgpr10
	s_branch .LBB329_1625
.LBB329_1617:
	s_mov_b64 s[0:1], -1
                                        ; implicit-def: $vgpr10
	s_branch .LBB329_1622
.LBB329_1618:
	s_mov_b64 s[0:1], -1
                                        ; implicit-def: $vgpr10
.LBB329_1619:
	s_andn2_b64 vcc, exec, s[0:1]
	s_cbranch_vccnz .LBB329_1621
; %bb.1620:
	global_load_dword v10, v[8:9], off
.LBB329_1621:
	s_mov_b64 s[0:1], 0
.LBB329_1622:
	s_andn2_b64 vcc, exec, s[0:1]
	s_cbranch_vccnz .LBB329_1624
; %bb.1623:
	global_load_dword v5, v[8:9], off
	s_waitcnt vmcnt(0)
	v_cvt_f32_f16_e32 v10, v5
.LBB329_1624:
	s_mov_b64 s[0:1], 0
.LBB329_1625:
	s_andn2_b64 vcc, exec, s[0:1]
	s_cbranch_vccnz .LBB329_1636
; %bb.1626:
	s_cmp_lt_i32 s6, 6
	s_cbranch_scc1 .LBB329_1629
; %bb.1627:
	s_cmp_gt_i32 s6, 6
	s_cbranch_scc0 .LBB329_1630
; %bb.1628:
	global_load_dwordx2 v[10:11], v[8:9], off
	s_mov_b64 s[0:1], 0
	s_waitcnt vmcnt(0)
	v_cvt_f32_f64_e32 v10, v[10:11]
	s_branch .LBB329_1631
.LBB329_1629:
	s_mov_b64 s[0:1], -1
                                        ; implicit-def: $vgpr10
	s_branch .LBB329_1634
.LBB329_1630:
	s_mov_b64 s[0:1], -1
                                        ; implicit-def: $vgpr10
.LBB329_1631:
	s_andn2_b64 vcc, exec, s[0:1]
	s_cbranch_vccnz .LBB329_1633
; %bb.1632:
	global_load_dword v10, v[8:9], off
.LBB329_1633:
	s_mov_b64 s[0:1], 0
.LBB329_1634:
	s_andn2_b64 vcc, exec, s[0:1]
	s_cbranch_vccnz .LBB329_1636
; %bb.1635:
	global_load_ushort v5, v[8:9], off
	s_waitcnt vmcnt(0)
	v_cvt_f32_f16_e32 v10, v5
.LBB329_1636:
	s_mov_b64 s[0:1], 0
.LBB329_1637:
	s_andn2_b64 vcc, exec, s[0:1]
	s_cbranch_vccnz .LBB329_1657
; %bb.1638:
	s_cmp_lt_i32 s6, 2
	s_cbranch_scc1 .LBB329_1642
; %bb.1639:
	s_cmp_lt_i32 s6, 3
	s_cbranch_scc1 .LBB329_1643
; %bb.1640:
	s_cmp_gt_i32 s6, 3
	s_cbranch_scc0 .LBB329_1644
; %bb.1641:
	global_load_dwordx2 v[10:11], v[8:9], off
	s_mov_b64 s[0:1], 0
	s_waitcnt vmcnt(0)
	v_xor_b32_e32 v7, v10, v11
	v_ffbh_i32_e32 v5, v11
	v_ashrrev_i32_e32 v7, 31, v7
	v_add_u32_e32 v5, -1, v5
	v_add_u32_e32 v7, 32, v7
	v_min_u32_e32 v5, v5, v7
	v_lshlrev_b64 v[10:11], v5, v[10:11]
	v_min_u32_e32 v7, 1, v10
	v_or_b32_e32 v7, v11, v7
	v_cvt_f32_i32_e32 v7, v7
	v_sub_u32_e32 v5, 32, v5
	v_ldexp_f32 v10, v7, v5
	s_branch .LBB329_1645
.LBB329_1642:
	s_mov_b64 s[0:1], -1
                                        ; implicit-def: $vgpr10
	s_branch .LBB329_1651
.LBB329_1643:
	s_mov_b64 s[0:1], -1
                                        ; implicit-def: $vgpr10
	s_branch .LBB329_1648
.LBB329_1644:
	s_mov_b64 s[0:1], -1
                                        ; implicit-def: $vgpr10
.LBB329_1645:
	s_andn2_b64 vcc, exec, s[0:1]
	s_cbranch_vccnz .LBB329_1647
; %bb.1646:
	global_load_dword v5, v[8:9], off
	s_waitcnt vmcnt(0)
	v_cvt_f32_i32_e32 v10, v5
.LBB329_1647:
	s_mov_b64 s[0:1], 0
.LBB329_1648:
	s_andn2_b64 vcc, exec, s[0:1]
	s_cbranch_vccnz .LBB329_1650
; %bb.1649:
	global_load_sshort v5, v[8:9], off
	s_waitcnt vmcnt(0)
	v_cvt_f32_i32_e32 v10, v5
.LBB329_1650:
	s_mov_b64 s[0:1], 0
.LBB329_1651:
	s_andn2_b64 vcc, exec, s[0:1]
	s_cbranch_vccnz .LBB329_1657
; %bb.1652:
	s_cmp_gt_i32 s6, 0
	s_cbranch_scc0 .LBB329_1654
; %bb.1653:
	global_load_sbyte v5, v[8:9], off
	s_mov_b64 s[0:1], 0
	s_waitcnt vmcnt(0)
	v_cvt_f32_i32_e32 v10, v5
	s_branch .LBB329_1655
.LBB329_1654:
	s_mov_b64 s[0:1], -1
                                        ; implicit-def: $vgpr10
.LBB329_1655:
	s_andn2_b64 vcc, exec, s[0:1]
	s_cbranch_vccnz .LBB329_1657
; %bb.1656:
	global_load_ubyte v5, v[8:9], off
	s_waitcnt vmcnt(0)
	v_cvt_f32_ubyte0_e32 v10, v5
.LBB329_1657:
	s_mov_b64 s[8:9], -1
.LBB329_1658:
	s_andn2_b64 vcc, exec, s[8:9]
	s_cbranch_vccnz .LBB329_2092
; %bb.1659:
	s_load_dword s6, s[34:35], 0x160
	s_load_dwordx2 s[0:1], s[34:35], 0x158
	s_waitcnt vmcnt(0)
	v_max_f32_e32 v5, v1, v1
	v_cmp_u_f32_e32 vcc, v1, v1
	v_mov_b32_e32 v7, 0
	s_waitcnt lgkmcnt(0)
	s_and_b32 s14, s6, 0xff
	v_max_f32_e64 v11, s0, s0
	v_max_f32_e64 v13, s1, s1
	v_max_f32_e32 v5, v5, v11
	v_min_f32_e32 v5, v5, v13
	v_cndmask_b32_e32 v8, v5, v1, vcc
	s_cmp_lt_i32 s14, 11
	v_lshl_add_u64 v[6:7], s[4:5], 0, v[6:7]
	s_cbranch_scc1 .LBB329_1737
; %bb.1660:
	s_and_b32 s15, 0xffff, s14
	s_mov_b64 s[10:11], -1
	s_mov_b64 s[6:7], 0
	s_cmp_gt_i32 s15, 25
	s_mov_b64 s[8:9], 0
	s_mov_b64 s[0:1], 0
	s_cbranch_scc0 .LBB329_1693
; %bb.1661:
	s_cmp_gt_i32 s15, 28
	s_cbranch_scc0 .LBB329_1676
; %bb.1662:
	s_cmp_gt_i32 s15, 43
	;; [unrolled: 3-line block ×3, first 2 shown]
	s_cbranch_scc0 .LBB329_1666
; %bb.1664:
	s_mov_b64 s[0:1], -1
	s_mov_b64 s[10:11], 0
	s_cmp_eq_u32 s15, 46
	s_cbranch_scc0 .LBB329_1666
; %bb.1665:
	v_bfe_u32 v1, v8, 16, 1
	s_movk_i32 s0, 0x7fff
	v_add3_u32 v1, v8, v1, s0
	v_cmp_o_f32_e32 vcc, v8, v8
	v_mov_b32_e32 v5, 0x7fc0
	s_mov_b64 s[0:1], 0
	v_cndmask_b32_sdwa v1, v5, v1, vcc dst_sel:DWORD dst_unused:UNUSED_PAD src0_sel:DWORD src1_sel:WORD_1
	global_store_dword v[6:7], v1, off
	s_mov_b64 s[8:9], -1
.LBB329_1666:
	s_and_b64 vcc, exec, s[10:11]
	s_cbranch_vccz .LBB329_1671
; %bb.1667:
	s_cmp_eq_u32 s15, 44
	s_mov_b64 s[0:1], -1
	s_cbranch_scc0 .LBB329_1671
; %bb.1668:
	v_bfe_u32 v1, v8, 23, 8
	s_movk_i32 s0, 0xff
	v_cmp_ne_u32_e32 vcc, s0, v1
	v_mov_b32_e32 v5, 0xff
	s_and_saveexec_b64 s[8:9], vcc
; %bb.1669:
	s_mov_b32 s0, 0x3fffff
	v_and_b32_e32 v9, 0x400000, v8
	v_and_or_b32 v1, v8, s0, v1
	v_cmp_ne_u32_e32 vcc, 0, v9
	v_cmp_ne_u32_e64 s[0:1], 0, v1
	s_and_b64 s[0:1], vcc, s[0:1]
	v_lshrrev_b32_e32 v5, 23, v8
	v_cndmask_b32_e64 v1, 0, 1, s[0:1]
	v_add_u32_e32 v5, v5, v1
; %bb.1670:
	s_or_b64 exec, exec, s[8:9]
	s_mov_b64 s[0:1], 0
	s_mov_b64 s[8:9], -1
	global_store_byte v[6:7], v5, off
.LBB329_1671:
	s_mov_b64 s[10:11], 0
.LBB329_1672:
	s_and_b64 vcc, exec, s[10:11]
	s_cbranch_vccz .LBB329_1675
; %bb.1673:
	s_cmp_eq_u32 s15, 29
	s_mov_b64 s[0:1], -1
	s_cbranch_scc0 .LBB329_1675
; %bb.1674:
	v_trunc_f32_e32 v1, v8
	v_mul_f32_e32 v5, 0x2f800000, v1
	v_floor_f32_e32 v5, v5
	v_fmamk_f32 v1, v5, 0xcf800000, v1
	v_cvt_u32_f32_e32 v15, v5
	v_cvt_u32_f32_e32 v14, v1
	s_mov_b64 s[0:1], 0
	s_mov_b64 s[8:9], -1
	global_store_dwordx2 v[6:7], v[14:15], off
.LBB329_1675:
	s_mov_b64 s[10:11], 0
.LBB329_1676:
	s_and_b64 vcc, exec, s[10:11]
	s_cbranch_vccz .LBB329_1692
; %bb.1677:
	s_cmp_lt_i32 s15, 27
	s_mov_b64 s[8:9], -1
	s_cbranch_scc1 .LBB329_1683
; %bb.1678:
	v_cvt_u32_f32_e32 v1, v8
	s_cmp_gt_i32 s15, 27
	s_cbranch_scc0 .LBB329_1680
; %bb.1679:
	s_mov_b64 s[8:9], 0
	global_store_dword v[6:7], v1, off
.LBB329_1680:
	s_andn2_b64 vcc, exec, s[8:9]
	s_cbranch_vccnz .LBB329_1682
; %bb.1681:
	global_store_short v[6:7], v1, off
.LBB329_1682:
	s_mov_b64 s[8:9], 0
.LBB329_1683:
	s_andn2_b64 vcc, exec, s[8:9]
	s_cbranch_vccnz .LBB329_1691
; %bb.1684:
	v_and_b32_e32 v1, 0x7fffffff, v8
	s_mov_b32 s8, 0x43800000
	v_cmp_gt_u32_e32 vcc, s8, v1
	v_mov_b32_e32 v5, 0x80
	s_and_saveexec_b64 s[8:9], vcc
	s_cbranch_execz .LBB329_1690
; %bb.1685:
	s_mov_b32 s10, 0x3bffffff
	v_cmp_lt_u32_e32 vcc, s10, v1
	s_mov_b64 s[10:11], 0
                                        ; implicit-def: $vgpr1
	s_and_saveexec_b64 s[12:13], vcc
	s_xor_b64 s[12:13], exec, s[12:13]
	s_cbranch_execz .LBB329_2139
; %bb.1686:
	v_bfe_u32 v1, v8, 20, 1
	s_mov_b32 s16, 0x487ffff
	v_add3_u32 v1, v8, v1, s16
	s_mov_b64 s[10:11], exec
	v_lshrrev_b32_e32 v1, 20, v1
	s_andn2_saveexec_b64 s[12:13], s[12:13]
	s_cbranch_execnz .LBB329_2140
.LBB329_1687:
	s_or_b64 exec, exec, s[12:13]
	v_mov_b32_e32 v5, 0
	s_and_saveexec_b64 s[12:13], s[10:11]
.LBB329_1688:
	v_lshrrev_b32_e32 v5, 24, v8
	s_movk_i32 s10, 0x80
	v_and_or_b32 v5, v5, s10, v1
.LBB329_1689:
	s_or_b64 exec, exec, s[12:13]
.LBB329_1690:
	s_or_b64 exec, exec, s[8:9]
	global_store_byte v[6:7], v5, off
.LBB329_1691:
	s_mov_b64 s[8:9], -1
.LBB329_1692:
	s_mov_b64 s[10:11], 0
.LBB329_1693:
	s_and_b64 vcc, exec, s[10:11]
	s_cbranch_vccz .LBB329_1733
; %bb.1694:
	s_cmp_gt_i32 s15, 22
	s_mov_b64 s[6:7], -1
	s_cbranch_scc0 .LBB329_1726
; %bb.1695:
	s_cmp_lt_i32 s15, 24
	s_cbranch_scc1 .LBB329_1715
; %bb.1696:
	s_cmp_gt_i32 s15, 24
	s_cbranch_scc0 .LBB329_1704
; %bb.1697:
	v_and_b32_e32 v1, 0x7fffffff, v8
	s_mov_b32 s6, 0x47800000
	v_cmp_gt_u32_e32 vcc, s6, v1
	v_mov_b32_e32 v5, 0x80
	s_and_saveexec_b64 s[6:7], vcc
	s_cbranch_execz .LBB329_1703
; %bb.1698:
	s_mov_b32 s8, 0x37ffffff
	v_cmp_lt_u32_e32 vcc, s8, v1
	s_mov_b64 s[8:9], 0
                                        ; implicit-def: $vgpr1
	s_and_saveexec_b64 s[10:11], vcc
	s_xor_b64 s[10:11], exec, s[10:11]
	s_cbranch_execz .LBB329_2142
; %bb.1699:
	v_bfe_u32 v1, v8, 21, 1
	s_mov_b32 s12, 0x88fffff
	v_add3_u32 v1, v8, v1, s12
	s_mov_b64 s[8:9], exec
	v_lshrrev_b32_e32 v1, 21, v1
	s_andn2_saveexec_b64 s[10:11], s[10:11]
	s_cbranch_execnz .LBB329_2143
.LBB329_1700:
	s_or_b64 exec, exec, s[10:11]
	v_mov_b32_e32 v5, 0
	s_and_saveexec_b64 s[10:11], s[8:9]
.LBB329_1701:
	v_lshrrev_b32_e32 v5, 24, v8
	s_movk_i32 s8, 0x80
	v_and_or_b32 v5, v5, s8, v1
.LBB329_1702:
	s_or_b64 exec, exec, s[10:11]
.LBB329_1703:
	s_or_b64 exec, exec, s[6:7]
	s_mov_b64 s[6:7], 0
	global_store_byte v[6:7], v5, off
.LBB329_1704:
	s_and_b64 vcc, exec, s[6:7]
	s_cbranch_vccz .LBB329_1714
; %bb.1705:
	v_and_b32_e32 v5, 0x7fffffff, v8
	s_mov_b32 s6, 0x43f00000
	v_cmp_gt_u32_e32 vcc, s6, v5
                                        ; implicit-def: $vgpr1
	s_and_saveexec_b64 s[6:7], vcc
	s_xor_b64 s[6:7], exec, s[6:7]
	s_cbranch_execz .LBB329_1711
; %bb.1706:
	s_mov_b32 s8, 0x3c7fffff
	v_cmp_lt_u32_e32 vcc, s8, v5
                                        ; implicit-def: $vgpr1
	s_and_saveexec_b64 s[8:9], vcc
	s_xor_b64 s[8:9], exec, s[8:9]
; %bb.1707:
	v_bfe_u32 v1, v8, 20, 1
	s_mov_b32 s10, 0x407ffff
	v_add3_u32 v1, v8, v1, s10
	v_lshrrev_b32_e32 v5, 20, v1
	v_and_b32_e32 v1, 0xff00000, v1
	s_mov_b32 s10, 0x7f00000
	v_mov_b32_e32 v9, 0x7e
	v_cmp_ne_u32_e32 vcc, s10, v1
	s_nop 1
	v_cndmask_b32_e32 v1, v9, v5, vcc
; %bb.1708:
	s_andn2_saveexec_b64 s[8:9], s[8:9]
; %bb.1709:
	s_mov_b32 s10, 0x46800000
	v_add_f32_e64 v1, |v8|, s10
; %bb.1710:
	s_or_b64 exec, exec, s[8:9]
                                        ; implicit-def: $vgpr5
.LBB329_1711:
	s_andn2_saveexec_b64 s[6:7], s[6:7]
; %bb.1712:
	s_mov_b32 s8, 0x7f800000
	v_mov_b32_e32 v1, 0x7e
	v_mov_b32_e32 v9, 0x7f
	v_cmp_lt_u32_e32 vcc, s8, v5
	s_nop 1
	v_cndmask_b32_e32 v1, v1, v9, vcc
; %bb.1713:
	s_or_b64 exec, exec, s[6:7]
	v_lshrrev_b32_e32 v5, 24, v8
	s_movk_i32 s6, 0x80
	v_and_or_b32 v1, v5, s6, v1
	global_store_byte v[6:7], v1, off
.LBB329_1714:
	s_mov_b64 s[6:7], 0
.LBB329_1715:
	s_andn2_b64 vcc, exec, s[6:7]
	s_cbranch_vccnz .LBB329_1725
; %bb.1716:
	v_and_b32_e32 v5, 0x7fffffff, v8
	s_mov_b32 s6, 0x47800000
	v_cmp_gt_u32_e32 vcc, s6, v5
                                        ; implicit-def: $vgpr1
	s_and_saveexec_b64 s[6:7], vcc
	s_xor_b64 s[6:7], exec, s[6:7]
	s_cbranch_execz .LBB329_1722
; %bb.1717:
	s_mov_b32 s8, 0x387fffff
	v_cmp_lt_u32_e32 vcc, s8, v5
                                        ; implicit-def: $vgpr1
	s_and_saveexec_b64 s[8:9], vcc
	s_xor_b64 s[8:9], exec, s[8:9]
; %bb.1718:
	v_bfe_u32 v1, v8, 21, 1
	s_mov_b32 s10, 0x80fffff
	v_add3_u32 v1, v8, v1, s10
	v_lshrrev_b32_e32 v1, 21, v1
; %bb.1719:
	s_andn2_saveexec_b64 s[8:9], s[8:9]
; %bb.1720:
	s_mov_b32 s10, 0x43000000
	v_add_f32_e64 v1, |v8|, s10
; %bb.1721:
	s_or_b64 exec, exec, s[8:9]
                                        ; implicit-def: $vgpr5
.LBB329_1722:
	s_andn2_saveexec_b64 s[6:7], s[6:7]
; %bb.1723:
	s_mov_b32 s8, 0x7f800000
	v_mov_b32_e32 v1, 0x7c
	v_mov_b32_e32 v9, 0x7f
	v_cmp_lt_u32_e32 vcc, s8, v5
	s_nop 1
	v_cndmask_b32_e32 v1, v1, v9, vcc
; %bb.1724:
	s_or_b64 exec, exec, s[6:7]
	v_lshrrev_b32_e32 v5, 24, v8
	s_movk_i32 s6, 0x80
	v_and_or_b32 v1, v5, s6, v1
	global_store_byte v[6:7], v1, off
.LBB329_1725:
	s_mov_b64 s[6:7], 0
	s_mov_b64 s[8:9], -1
.LBB329_1726:
	s_andn2_b64 vcc, exec, s[6:7]
	s_mov_b64 s[6:7], 0
	s_cbranch_vccnz .LBB329_1733
; %bb.1727:
	s_cmp_gt_i32 s15, 14
	s_mov_b64 s[10:11], -1
	s_cbranch_scc0 .LBB329_1731
; %bb.1728:
	s_cmp_eq_u32 s15, 15
	s_mov_b64 s[0:1], -1
	s_cbranch_scc0 .LBB329_1730
; %bb.1729:
	v_bfe_u32 v1, v8, 16, 1
	s_movk_i32 s0, 0x7fff
	v_add3_u32 v1, v8, v1, s0
	v_cmp_o_f32_e32 vcc, v8, v8
	v_mov_b32_e32 v5, 0x7fc0
	s_mov_b64 s[0:1], 0
	v_cndmask_b32_sdwa v1, v5, v1, vcc dst_sel:DWORD dst_unused:UNUSED_PAD src0_sel:DWORD src1_sel:WORD_1
	global_store_short v[6:7], v1, off
	s_mov_b64 s[8:9], -1
.LBB329_1730:
	s_mov_b64 s[10:11], 0
.LBB329_1731:
	s_and_b64 vcc, exec, s[10:11]
	s_cbranch_vccz .LBB329_1733
; %bb.1732:
	s_cmp_lg_u32 s15, 11
	s_mov_b64 s[6:7], -1
	s_cselect_b64 s[0:1], -1, 0
.LBB329_1733:
	s_and_b64 vcc, exec, s[0:1]
	s_cbranch_vccnz .LBB329_2141
; %bb.1734:
	s_andn2_b64 vcc, exec, s[6:7]
	s_cbranch_vccnz .LBB329_1736
.LBB329_1735:
	v_cmp_neq_f32_e32 vcc, 0, v8
	s_mov_b64 s[8:9], -1
	s_nop 0
	v_cndmask_b32_e64 v1, 0, 1, vcc
	global_store_byte v[6:7], v1, off
.LBB329_1736:
	s_mov_b64 s[0:1], 0
	s_branch .LBB329_1738
.LBB329_1737:
	s_mov_b64 s[0:1], -1
	s_mov_b64 s[8:9], 0
.LBB329_1738:
	s_and_b64 vcc, exec, s[0:1]
	s_cbranch_vccz .LBB329_1777
; %bb.1739:
	s_and_b32 s6, 0xffff, s14
	s_cmp_lt_i32 s6, 5
	s_mov_b64 s[0:1], -1
	s_cbranch_scc1 .LBB329_1760
; %bb.1740:
	s_cmp_lt_i32 s6, 8
	s_cbranch_scc1 .LBB329_1750
; %bb.1741:
	s_cmp_lt_i32 s6, 9
	s_cbranch_scc1 .LBB329_1747
; %bb.1742:
	s_cmp_gt_i32 s6, 9
	s_cbranch_scc0 .LBB329_1744
; %bb.1743:
	v_mov_b32_e32 v16, 0
	v_cvt_f64_f32_e32 v[14:15], v8
	v_mov_b32_e32 v17, v16
	global_store_dwordx4 v[6:7], v[14:17], off
	s_mov_b64 s[0:1], 0
.LBB329_1744:
	s_andn2_b64 vcc, exec, s[0:1]
	s_cbranch_vccnz .LBB329_1746
; %bb.1745:
	v_mov_b32_e32 v9, 0
	global_store_dwordx2 v[6:7], v[8:9], off
.LBB329_1746:
	s_mov_b64 s[0:1], 0
.LBB329_1747:
	s_andn2_b64 vcc, exec, s[0:1]
	s_cbranch_vccnz .LBB329_1749
; %bb.1748:
	v_cvt_f16_f32_e32 v1, v8
	global_store_dword v[6:7], v1, off
.LBB329_1749:
	s_mov_b64 s[0:1], 0
.LBB329_1750:
	s_andn2_b64 vcc, exec, s[0:1]
	s_cbranch_vccnz .LBB329_1759
; %bb.1751:
	s_cmp_lt_i32 s6, 6
	s_mov_b64 s[0:1], -1
	s_cbranch_scc1 .LBB329_1757
; %bb.1752:
	s_cmp_gt_i32 s6, 6
	s_cbranch_scc0 .LBB329_1754
; %bb.1753:
	v_cvt_f64_f32_e32 v[14:15], v8
	global_store_dwordx2 v[6:7], v[14:15], off
	s_mov_b64 s[0:1], 0
.LBB329_1754:
	s_andn2_b64 vcc, exec, s[0:1]
	s_cbranch_vccnz .LBB329_1756
; %bb.1755:
	global_store_dword v[6:7], v8, off
.LBB329_1756:
	s_mov_b64 s[0:1], 0
.LBB329_1757:
	s_andn2_b64 vcc, exec, s[0:1]
	s_cbranch_vccnz .LBB329_1759
; %bb.1758:
	v_cvt_f16_f32_e32 v1, v8
	global_store_short v[6:7], v1, off
.LBB329_1759:
	s_mov_b64 s[0:1], 0
.LBB329_1760:
	s_andn2_b64 vcc, exec, s[0:1]
	s_cbranch_vccnz .LBB329_1776
; %bb.1761:
	s_cmp_lt_i32 s6, 2
	s_mov_b64 s[0:1], -1
	s_cbranch_scc1 .LBB329_1771
; %bb.1762:
	s_cmp_lt_i32 s6, 3
	s_cbranch_scc1 .LBB329_1768
; %bb.1763:
	s_cmp_gt_i32 s6, 3
	s_cbranch_scc0 .LBB329_1765
; %bb.1764:
	v_trunc_f32_e32 v1, v8
	s_mov_b32 s0, 0x2f800000
	v_mul_f32_e64 v5, |v1|, s0
	v_floor_f32_e32 v5, v5
	s_mov_b32 s0, 0xcf800000
	v_cvt_u32_f32_e32 v9, v5
	v_fma_f32 v5, v5, s0, |v1|
	v_cvt_u32_f32_e32 v5, v5
	v_ashrrev_i32_e32 v1, 31, v1
	v_xor_b32_e32 v9, v9, v1
	s_mov_b64 s[0:1], 0
	v_xor_b32_e32 v5, v5, v1
	v_sub_co_u32_e32 v14, vcc, v5, v1
	s_nop 1
	v_subb_co_u32_e32 v15, vcc, v9, v1, vcc
	global_store_dwordx2 v[6:7], v[14:15], off
.LBB329_1765:
	s_andn2_b64 vcc, exec, s[0:1]
	s_cbranch_vccnz .LBB329_1767
; %bb.1766:
	v_cvt_i32_f32_e32 v1, v8
	global_store_dword v[6:7], v1, off
.LBB329_1767:
	s_mov_b64 s[0:1], 0
.LBB329_1768:
	s_andn2_b64 vcc, exec, s[0:1]
	s_cbranch_vccnz .LBB329_1770
; %bb.1769:
	v_cvt_i32_f32_e32 v1, v8
	global_store_short v[6:7], v1, off
.LBB329_1770:
	s_mov_b64 s[0:1], 0
.LBB329_1771:
	s_andn2_b64 vcc, exec, s[0:1]
	s_cbranch_vccnz .LBB329_1776
; %bb.1772:
	s_cmp_gt_i32 s6, 0
	s_mov_b64 s[0:1], -1
	s_cbranch_scc0 .LBB329_1774
; %bb.1773:
	v_cvt_i32_f32_e32 v1, v8
	s_mov_b64 s[0:1], 0
	global_store_byte v[6:7], v1, off
.LBB329_1774:
	s_andn2_b64 vcc, exec, s[0:1]
	s_cbranch_vccnz .LBB329_1776
; %bb.1775:
	v_trunc_f32_e32 v1, v8
	s_mov_b32 s0, 0x2f800000
	v_mul_f32_e64 v5, |v1|, s0
	v_floor_f32_e32 v5, v5
	s_mov_b32 s0, 0xcf800000
	v_fma_f32 v5, v5, s0, |v1|
	v_cvt_u32_f32_e32 v5, v5
	v_ashrrev_i32_e32 v1, 31, v1
	v_xor_b32_e32 v5, v5, v1
	v_sub_u32_e32 v1, v5, v1
	global_store_byte v[6:7], v1, off
.LBB329_1776:
	s_mov_b64 s[8:9], -1
.LBB329_1777:
	s_andn2_b64 vcc, exec, s[8:9]
	s_cbranch_vccnz .LBB329_2092
; %bb.1778:
	v_max_f32_e32 v1, v3, v3
	v_max_f32_e32 v1, v1, v11
	v_min_f32_e32 v1, v1, v13
	v_cmp_u_f32_e32 vcc, v3, v3
	v_mov_b32_e32 v5, 0
	s_and_b32 s15, 0xffff, s14
	v_cndmask_b32_e32 v6, v1, v3, vcc
	s_cmp_lt_i32 s15, 11
	v_lshl_add_u64 v[4:5], s[4:5], 0, v[4:5]
	s_cbranch_scc1 .LBB329_1856
; %bb.1779:
	s_mov_b64 s[10:11], -1
	s_mov_b64 s[6:7], 0
	s_cmp_gt_i32 s15, 25
	s_mov_b64 s[8:9], 0
	s_mov_b64 s[0:1], 0
	s_cbranch_scc0 .LBB329_1812
; %bb.1780:
	s_cmp_gt_i32 s15, 28
	s_cbranch_scc0 .LBB329_1795
; %bb.1781:
	s_cmp_gt_i32 s15, 43
	;; [unrolled: 3-line block ×3, first 2 shown]
	s_cbranch_scc0 .LBB329_1785
; %bb.1783:
	s_mov_b64 s[0:1], -1
	s_mov_b64 s[10:11], 0
	s_cmp_eq_u32 s15, 46
	s_cbranch_scc0 .LBB329_1785
; %bb.1784:
	v_bfe_u32 v1, v6, 16, 1
	s_movk_i32 s0, 0x7fff
	v_add3_u32 v1, v6, v1, s0
	v_cmp_o_f32_e32 vcc, v6, v6
	v_mov_b32_e32 v3, 0x7fc0
	s_mov_b64 s[0:1], 0
	v_cndmask_b32_sdwa v1, v3, v1, vcc dst_sel:DWORD dst_unused:UNUSED_PAD src0_sel:DWORD src1_sel:WORD_1
	global_store_dword v[4:5], v1, off
	s_mov_b64 s[8:9], -1
.LBB329_1785:
	s_and_b64 vcc, exec, s[10:11]
	s_cbranch_vccz .LBB329_1790
; %bb.1786:
	s_cmp_eq_u32 s15, 44
	s_mov_b64 s[0:1], -1
	s_cbranch_scc0 .LBB329_1790
; %bb.1787:
	v_bfe_u32 v1, v6, 23, 8
	s_movk_i32 s0, 0xff
	v_cmp_ne_u32_e32 vcc, s0, v1
	v_mov_b32_e32 v3, 0xff
	s_and_saveexec_b64 s[8:9], vcc
; %bb.1788:
	s_mov_b32 s0, 0x3fffff
	v_and_b32_e32 v7, 0x400000, v6
	v_and_or_b32 v1, v6, s0, v1
	v_cmp_ne_u32_e32 vcc, 0, v7
	v_cmp_ne_u32_e64 s[0:1], 0, v1
	s_and_b64 s[0:1], vcc, s[0:1]
	v_lshrrev_b32_e32 v3, 23, v6
	v_cndmask_b32_e64 v1, 0, 1, s[0:1]
	v_add_u32_e32 v3, v3, v1
; %bb.1789:
	s_or_b64 exec, exec, s[8:9]
	s_mov_b64 s[0:1], 0
	s_mov_b64 s[8:9], -1
	global_store_byte v[4:5], v3, off
.LBB329_1790:
	s_mov_b64 s[10:11], 0
.LBB329_1791:
	s_and_b64 vcc, exec, s[10:11]
	s_cbranch_vccz .LBB329_1794
; %bb.1792:
	s_cmp_eq_u32 s15, 29
	s_mov_b64 s[0:1], -1
	s_cbranch_scc0 .LBB329_1794
; %bb.1793:
	v_trunc_f32_e32 v1, v6
	v_mul_f32_e32 v3, 0x2f800000, v1
	v_floor_f32_e32 v3, v3
	v_fmamk_f32 v1, v3, 0xcf800000, v1
	v_cvt_u32_f32_e32 v9, v3
	v_cvt_u32_f32_e32 v8, v1
	s_mov_b64 s[0:1], 0
	s_mov_b64 s[8:9], -1
	global_store_dwordx2 v[4:5], v[8:9], off
.LBB329_1794:
	s_mov_b64 s[10:11], 0
.LBB329_1795:
	s_and_b64 vcc, exec, s[10:11]
	s_cbranch_vccz .LBB329_1811
; %bb.1796:
	s_cmp_lt_i32 s15, 27
	s_mov_b64 s[8:9], -1
	s_cbranch_scc1 .LBB329_1802
; %bb.1797:
	s_cmp_gt_i32 s15, 27
	s_cbranch_scc0 .LBB329_1799
; %bb.1798:
	v_cvt_u32_f32_e32 v1, v6
	s_mov_b64 s[8:9], 0
	global_store_dword v[4:5], v1, off
.LBB329_1799:
	s_andn2_b64 vcc, exec, s[8:9]
	s_cbranch_vccnz .LBB329_1801
; %bb.1800:
	v_cvt_u32_f32_e32 v1, v6
	global_store_short v[4:5], v1, off
.LBB329_1801:
	s_mov_b64 s[8:9], 0
.LBB329_1802:
	s_andn2_b64 vcc, exec, s[8:9]
	s_cbranch_vccnz .LBB329_1810
; %bb.1803:
	v_and_b32_e32 v1, 0x7fffffff, v6
	s_mov_b32 s8, 0x43800000
	v_cmp_gt_u32_e32 vcc, s8, v1
	v_mov_b32_e32 v3, 0x80
	s_and_saveexec_b64 s[8:9], vcc
	s_cbranch_execz .LBB329_1809
; %bb.1804:
	s_mov_b32 s10, 0x3bffffff
	v_cmp_lt_u32_e32 vcc, s10, v1
	s_mov_b64 s[10:11], 0
                                        ; implicit-def: $vgpr1
	s_and_saveexec_b64 s[12:13], vcc
	s_xor_b64 s[12:13], exec, s[12:13]
	s_cbranch_execz .LBB329_2144
; %bb.1805:
	v_bfe_u32 v1, v6, 20, 1
	s_mov_b32 s16, 0x487ffff
	v_add3_u32 v1, v6, v1, s16
	s_mov_b64 s[10:11], exec
	v_lshrrev_b32_e32 v1, 20, v1
	s_andn2_saveexec_b64 s[12:13], s[12:13]
	s_cbranch_execnz .LBB329_2145
.LBB329_1806:
	s_or_b64 exec, exec, s[12:13]
	v_mov_b32_e32 v3, 0
	s_and_saveexec_b64 s[12:13], s[10:11]
.LBB329_1807:
	v_lshrrev_b32_e32 v3, 24, v6
	s_movk_i32 s10, 0x80
	v_and_or_b32 v3, v3, s10, v1
.LBB329_1808:
	s_or_b64 exec, exec, s[12:13]
.LBB329_1809:
	s_or_b64 exec, exec, s[8:9]
	global_store_byte v[4:5], v3, off
.LBB329_1810:
	s_mov_b64 s[8:9], -1
.LBB329_1811:
	s_mov_b64 s[10:11], 0
.LBB329_1812:
	s_and_b64 vcc, exec, s[10:11]
	s_cbranch_vccz .LBB329_1852
; %bb.1813:
	s_cmp_gt_i32 s15, 22
	s_mov_b64 s[6:7], -1
	s_cbranch_scc0 .LBB329_1845
; %bb.1814:
	s_cmp_lt_i32 s15, 24
	s_cbranch_scc1 .LBB329_1834
; %bb.1815:
	s_cmp_gt_i32 s15, 24
	s_cbranch_scc0 .LBB329_1823
; %bb.1816:
	v_and_b32_e32 v1, 0x7fffffff, v6
	s_mov_b32 s6, 0x47800000
	v_cmp_gt_u32_e32 vcc, s6, v1
	v_mov_b32_e32 v3, 0x80
	s_and_saveexec_b64 s[6:7], vcc
	s_cbranch_execz .LBB329_1822
; %bb.1817:
	s_mov_b32 s8, 0x37ffffff
	v_cmp_lt_u32_e32 vcc, s8, v1
	s_mov_b64 s[8:9], 0
                                        ; implicit-def: $vgpr1
	s_and_saveexec_b64 s[10:11], vcc
	s_xor_b64 s[10:11], exec, s[10:11]
	s_cbranch_execz .LBB329_2147
; %bb.1818:
	v_bfe_u32 v1, v6, 21, 1
	s_mov_b32 s12, 0x88fffff
	v_add3_u32 v1, v6, v1, s12
	s_mov_b64 s[8:9], exec
	v_lshrrev_b32_e32 v1, 21, v1
	s_andn2_saveexec_b64 s[10:11], s[10:11]
	s_cbranch_execnz .LBB329_2148
.LBB329_1819:
	s_or_b64 exec, exec, s[10:11]
	v_mov_b32_e32 v3, 0
	s_and_saveexec_b64 s[10:11], s[8:9]
.LBB329_1820:
	v_lshrrev_b32_e32 v3, 24, v6
	s_movk_i32 s8, 0x80
	v_and_or_b32 v3, v3, s8, v1
.LBB329_1821:
	s_or_b64 exec, exec, s[10:11]
.LBB329_1822:
	s_or_b64 exec, exec, s[6:7]
	s_mov_b64 s[6:7], 0
	global_store_byte v[4:5], v3, off
.LBB329_1823:
	s_and_b64 vcc, exec, s[6:7]
	s_cbranch_vccz .LBB329_1833
; %bb.1824:
	v_and_b32_e32 v3, 0x7fffffff, v6
	s_mov_b32 s6, 0x43f00000
	v_cmp_gt_u32_e32 vcc, s6, v3
                                        ; implicit-def: $vgpr1
	s_and_saveexec_b64 s[6:7], vcc
	s_xor_b64 s[6:7], exec, s[6:7]
	s_cbranch_execz .LBB329_1830
; %bb.1825:
	s_mov_b32 s8, 0x3c7fffff
	v_cmp_lt_u32_e32 vcc, s8, v3
                                        ; implicit-def: $vgpr1
	s_and_saveexec_b64 s[8:9], vcc
	s_xor_b64 s[8:9], exec, s[8:9]
; %bb.1826:
	v_bfe_u32 v1, v6, 20, 1
	s_mov_b32 s10, 0x407ffff
	v_add3_u32 v1, v6, v1, s10
	v_lshrrev_b32_e32 v3, 20, v1
	v_and_b32_e32 v1, 0xff00000, v1
	s_mov_b32 s10, 0x7f00000
	v_mov_b32_e32 v7, 0x7e
	v_cmp_ne_u32_e32 vcc, s10, v1
	s_nop 1
	v_cndmask_b32_e32 v1, v7, v3, vcc
; %bb.1827:
	s_andn2_saveexec_b64 s[8:9], s[8:9]
; %bb.1828:
	s_mov_b32 s10, 0x46800000
	v_add_f32_e64 v1, |v6|, s10
; %bb.1829:
	s_or_b64 exec, exec, s[8:9]
                                        ; implicit-def: $vgpr3
.LBB329_1830:
	s_andn2_saveexec_b64 s[6:7], s[6:7]
; %bb.1831:
	s_mov_b32 s8, 0x7f800000
	v_mov_b32_e32 v1, 0x7e
	v_mov_b32_e32 v7, 0x7f
	v_cmp_lt_u32_e32 vcc, s8, v3
	s_nop 1
	v_cndmask_b32_e32 v1, v1, v7, vcc
; %bb.1832:
	s_or_b64 exec, exec, s[6:7]
	v_lshrrev_b32_e32 v3, 24, v6
	s_movk_i32 s6, 0x80
	v_and_or_b32 v1, v3, s6, v1
	global_store_byte v[4:5], v1, off
.LBB329_1833:
	s_mov_b64 s[6:7], 0
.LBB329_1834:
	s_andn2_b64 vcc, exec, s[6:7]
	s_cbranch_vccnz .LBB329_1844
; %bb.1835:
	v_and_b32_e32 v3, 0x7fffffff, v6
	s_mov_b32 s6, 0x47800000
	v_cmp_gt_u32_e32 vcc, s6, v3
                                        ; implicit-def: $vgpr1
	s_and_saveexec_b64 s[6:7], vcc
	s_xor_b64 s[6:7], exec, s[6:7]
	s_cbranch_execz .LBB329_1841
; %bb.1836:
	s_mov_b32 s8, 0x387fffff
	v_cmp_lt_u32_e32 vcc, s8, v3
                                        ; implicit-def: $vgpr1
	s_and_saveexec_b64 s[8:9], vcc
	s_xor_b64 s[8:9], exec, s[8:9]
; %bb.1837:
	v_bfe_u32 v1, v6, 21, 1
	s_mov_b32 s10, 0x80fffff
	v_add3_u32 v1, v6, v1, s10
	v_lshrrev_b32_e32 v1, 21, v1
; %bb.1838:
	s_andn2_saveexec_b64 s[8:9], s[8:9]
; %bb.1839:
	s_mov_b32 s10, 0x43000000
	v_add_f32_e64 v1, |v6|, s10
; %bb.1840:
	s_or_b64 exec, exec, s[8:9]
                                        ; implicit-def: $vgpr3
.LBB329_1841:
	s_andn2_saveexec_b64 s[6:7], s[6:7]
; %bb.1842:
	s_mov_b32 s8, 0x7f800000
	v_mov_b32_e32 v1, 0x7c
	v_mov_b32_e32 v7, 0x7f
	v_cmp_lt_u32_e32 vcc, s8, v3
	s_nop 1
	v_cndmask_b32_e32 v1, v1, v7, vcc
; %bb.1843:
	s_or_b64 exec, exec, s[6:7]
	v_lshrrev_b32_e32 v3, 24, v6
	s_movk_i32 s6, 0x80
	v_and_or_b32 v1, v3, s6, v1
	global_store_byte v[4:5], v1, off
.LBB329_1844:
	s_mov_b64 s[6:7], 0
	s_mov_b64 s[8:9], -1
.LBB329_1845:
	s_andn2_b64 vcc, exec, s[6:7]
	s_mov_b64 s[6:7], 0
	s_cbranch_vccnz .LBB329_1852
; %bb.1846:
	s_cmp_gt_i32 s15, 14
	s_mov_b64 s[10:11], -1
	s_cbranch_scc0 .LBB329_1850
; %bb.1847:
	s_cmp_eq_u32 s15, 15
	s_mov_b64 s[0:1], -1
	s_cbranch_scc0 .LBB329_1849
; %bb.1848:
	v_bfe_u32 v1, v6, 16, 1
	s_movk_i32 s0, 0x7fff
	v_add3_u32 v1, v6, v1, s0
	v_cmp_o_f32_e32 vcc, v6, v6
	v_mov_b32_e32 v3, 0x7fc0
	s_mov_b64 s[0:1], 0
	v_cndmask_b32_sdwa v1, v3, v1, vcc dst_sel:DWORD dst_unused:UNUSED_PAD src0_sel:DWORD src1_sel:WORD_1
	global_store_short v[4:5], v1, off
	s_mov_b64 s[8:9], -1
.LBB329_1849:
	s_mov_b64 s[10:11], 0
.LBB329_1850:
	s_and_b64 vcc, exec, s[10:11]
	s_cbranch_vccz .LBB329_1852
; %bb.1851:
	s_cmp_lg_u32 s15, 11
	s_mov_b64 s[6:7], -1
	s_cselect_b64 s[0:1], -1, 0
.LBB329_1852:
	s_and_b64 vcc, exec, s[0:1]
	s_cbranch_vccnz .LBB329_2146
; %bb.1853:
	s_andn2_b64 vcc, exec, s[6:7]
	s_cbranch_vccnz .LBB329_1855
.LBB329_1854:
	v_cmp_neq_f32_e32 vcc, 0, v6
	s_mov_b64 s[8:9], -1
	s_nop 0
	v_cndmask_b32_e64 v1, 0, 1, vcc
	global_store_byte v[4:5], v1, off
.LBB329_1855:
	s_mov_b64 s[0:1], 0
	s_branch .LBB329_1857
.LBB329_1856:
	s_mov_b64 s[0:1], -1
	s_mov_b64 s[8:9], 0
.LBB329_1857:
	s_and_b64 vcc, exec, s[0:1]
	s_cbranch_vccz .LBB329_1896
; %bb.1858:
	s_cmp_lt_i32 s15, 5
	s_mov_b64 s[0:1], -1
	s_cbranch_scc1 .LBB329_1879
; %bb.1859:
	s_cmp_lt_i32 s15, 8
	s_cbranch_scc1 .LBB329_1869
; %bb.1860:
	s_cmp_lt_i32 s15, 9
	s_cbranch_scc1 .LBB329_1866
; %bb.1861:
	s_cmp_gt_i32 s15, 9
	s_cbranch_scc0 .LBB329_1863
; %bb.1862:
	v_mov_b32_e32 v16, 0
	v_cvt_f64_f32_e32 v[14:15], v6
	v_mov_b32_e32 v17, v16
	global_store_dwordx4 v[4:5], v[14:17], off
	s_mov_b64 s[0:1], 0
.LBB329_1863:
	s_andn2_b64 vcc, exec, s[0:1]
	s_cbranch_vccnz .LBB329_1865
; %bb.1864:
	v_mov_b32_e32 v7, 0
	global_store_dwordx2 v[4:5], v[6:7], off
.LBB329_1865:
	s_mov_b64 s[0:1], 0
.LBB329_1866:
	s_andn2_b64 vcc, exec, s[0:1]
	s_cbranch_vccnz .LBB329_1868
; %bb.1867:
	v_cvt_f16_f32_e32 v1, v6
	global_store_dword v[4:5], v1, off
.LBB329_1868:
	s_mov_b64 s[0:1], 0
.LBB329_1869:
	s_andn2_b64 vcc, exec, s[0:1]
	s_cbranch_vccnz .LBB329_1878
; %bb.1870:
	s_cmp_lt_i32 s15, 6
	s_mov_b64 s[0:1], -1
	s_cbranch_scc1 .LBB329_1876
; %bb.1871:
	s_cmp_gt_i32 s15, 6
	s_cbranch_scc0 .LBB329_1873
; %bb.1872:
	v_cvt_f64_f32_e32 v[8:9], v6
	global_store_dwordx2 v[4:5], v[8:9], off
	s_mov_b64 s[0:1], 0
.LBB329_1873:
	s_andn2_b64 vcc, exec, s[0:1]
	s_cbranch_vccnz .LBB329_1875
; %bb.1874:
	global_store_dword v[4:5], v6, off
.LBB329_1875:
	s_mov_b64 s[0:1], 0
.LBB329_1876:
	s_andn2_b64 vcc, exec, s[0:1]
	s_cbranch_vccnz .LBB329_1878
; %bb.1877:
	v_cvt_f16_f32_e32 v1, v6
	global_store_short v[4:5], v1, off
.LBB329_1878:
	s_mov_b64 s[0:1], 0
.LBB329_1879:
	s_andn2_b64 vcc, exec, s[0:1]
	s_cbranch_vccnz .LBB329_1895
; %bb.1880:
	s_cmp_lt_i32 s15, 2
	s_mov_b64 s[0:1], -1
	s_cbranch_scc1 .LBB329_1890
; %bb.1881:
	s_cmp_lt_i32 s15, 3
	s_cbranch_scc1 .LBB329_1887
; %bb.1882:
	s_cmp_gt_i32 s15, 3
	s_cbranch_scc0 .LBB329_1884
; %bb.1883:
	v_trunc_f32_e32 v1, v6
	s_mov_b32 s0, 0x2f800000
	v_mul_f32_e64 v3, |v1|, s0
	v_floor_f32_e32 v3, v3
	s_mov_b32 s0, 0xcf800000
	v_cvt_u32_f32_e32 v7, v3
	v_fma_f32 v3, v3, s0, |v1|
	v_cvt_u32_f32_e32 v3, v3
	v_ashrrev_i32_e32 v1, 31, v1
	v_xor_b32_e32 v7, v7, v1
	s_mov_b64 s[0:1], 0
	v_xor_b32_e32 v3, v3, v1
	v_sub_co_u32_e32 v8, vcc, v3, v1
	s_nop 1
	v_subb_co_u32_e32 v9, vcc, v7, v1, vcc
	global_store_dwordx2 v[4:5], v[8:9], off
.LBB329_1884:
	s_andn2_b64 vcc, exec, s[0:1]
	s_cbranch_vccnz .LBB329_1886
; %bb.1885:
	v_cvt_i32_f32_e32 v1, v6
	global_store_dword v[4:5], v1, off
.LBB329_1886:
	s_mov_b64 s[0:1], 0
.LBB329_1887:
	s_andn2_b64 vcc, exec, s[0:1]
	s_cbranch_vccnz .LBB329_1889
; %bb.1888:
	v_cvt_i32_f32_e32 v1, v6
	global_store_short v[4:5], v1, off
.LBB329_1889:
	s_mov_b64 s[0:1], 0
.LBB329_1890:
	s_andn2_b64 vcc, exec, s[0:1]
	s_cbranch_vccnz .LBB329_1895
; %bb.1891:
	s_cmp_gt_i32 s15, 0
	s_mov_b64 s[0:1], -1
	s_cbranch_scc0 .LBB329_1893
; %bb.1892:
	v_cvt_i32_f32_e32 v1, v6
	s_mov_b64 s[0:1], 0
	global_store_byte v[4:5], v1, off
.LBB329_1893:
	s_andn2_b64 vcc, exec, s[0:1]
	s_cbranch_vccnz .LBB329_1895
; %bb.1894:
	v_trunc_f32_e32 v1, v6
	s_mov_b32 s0, 0x2f800000
	v_mul_f32_e64 v3, |v1|, s0
	v_floor_f32_e32 v3, v3
	s_mov_b32 s0, 0xcf800000
	v_fma_f32 v3, v3, s0, |v1|
	v_cvt_u32_f32_e32 v3, v3
	v_ashrrev_i32_e32 v1, 31, v1
	v_xor_b32_e32 v3, v3, v1
	v_sub_u32_e32 v1, v3, v1
	global_store_byte v[4:5], v1, off
.LBB329_1895:
	s_mov_b64 s[8:9], -1
.LBB329_1896:
	s_andn2_b64 vcc, exec, s[8:9]
	s_cbranch_vccnz .LBB329_2092
; %bb.1897:
	v_max_f32_e32 v1, v12, v12
	v_max_f32_e32 v1, v1, v11
	v_min_f32_e32 v1, v1, v13
	v_cmp_u_f32_e32 vcc, v12, v12
	v_mov_b32_e32 v3, 0
	s_cmp_lt_i32 s15, 11
	v_cndmask_b32_e32 v4, v1, v12, vcc
	v_lshl_add_u64 v[2:3], s[4:5], 0, v[2:3]
	s_cbranch_scc1 .LBB329_1975
; %bb.1898:
	s_mov_b64 s[10:11], -1
	s_mov_b64 s[6:7], 0
	s_cmp_gt_i32 s15, 25
	s_mov_b64 s[8:9], 0
	s_mov_b64 s[0:1], 0
	s_cbranch_scc0 .LBB329_1931
; %bb.1899:
	s_cmp_gt_i32 s15, 28
	s_cbranch_scc0 .LBB329_1914
; %bb.1900:
	s_cmp_gt_i32 s15, 43
	;; [unrolled: 3-line block ×3, first 2 shown]
	s_cbranch_scc0 .LBB329_1904
; %bb.1902:
	s_mov_b64 s[0:1], -1
	s_mov_b64 s[10:11], 0
	s_cmp_eq_u32 s15, 46
	s_cbranch_scc0 .LBB329_1904
; %bb.1903:
	v_bfe_u32 v1, v4, 16, 1
	s_movk_i32 s0, 0x7fff
	v_add3_u32 v1, v4, v1, s0
	v_cmp_o_f32_e32 vcc, v4, v4
	v_mov_b32_e32 v5, 0x7fc0
	s_mov_b64 s[0:1], 0
	v_cndmask_b32_sdwa v1, v5, v1, vcc dst_sel:DWORD dst_unused:UNUSED_PAD src0_sel:DWORD src1_sel:WORD_1
	global_store_dword v[2:3], v1, off
	s_mov_b64 s[8:9], -1
.LBB329_1904:
	s_and_b64 vcc, exec, s[10:11]
	s_cbranch_vccz .LBB329_1909
; %bb.1905:
	s_cmp_eq_u32 s15, 44
	s_mov_b64 s[0:1], -1
	s_cbranch_scc0 .LBB329_1909
; %bb.1906:
	v_bfe_u32 v1, v4, 23, 8
	s_movk_i32 s0, 0xff
	v_cmp_ne_u32_e32 vcc, s0, v1
	v_mov_b32_e32 v5, 0xff
	s_and_saveexec_b64 s[8:9], vcc
; %bb.1907:
	s_mov_b32 s0, 0x3fffff
	v_and_b32_e32 v6, 0x400000, v4
	v_and_or_b32 v1, v4, s0, v1
	v_cmp_ne_u32_e32 vcc, 0, v6
	v_cmp_ne_u32_e64 s[0:1], 0, v1
	s_and_b64 s[0:1], vcc, s[0:1]
	v_lshrrev_b32_e32 v5, 23, v4
	v_cndmask_b32_e64 v1, 0, 1, s[0:1]
	v_add_u32_e32 v5, v5, v1
; %bb.1908:
	s_or_b64 exec, exec, s[8:9]
	s_mov_b64 s[0:1], 0
	s_mov_b64 s[8:9], -1
	global_store_byte v[2:3], v5, off
.LBB329_1909:
	s_mov_b64 s[10:11], 0
.LBB329_1910:
	s_and_b64 vcc, exec, s[10:11]
	s_cbranch_vccz .LBB329_1913
; %bb.1911:
	s_cmp_eq_u32 s15, 29
	s_mov_b64 s[0:1], -1
	s_cbranch_scc0 .LBB329_1913
; %bb.1912:
	v_trunc_f32_e32 v1, v4
	v_mul_f32_e32 v5, 0x2f800000, v1
	v_floor_f32_e32 v5, v5
	v_fmamk_f32 v1, v5, 0xcf800000, v1
	v_cvt_u32_f32_e32 v7, v5
	v_cvt_u32_f32_e32 v6, v1
	s_mov_b64 s[0:1], 0
	s_mov_b64 s[8:9], -1
	global_store_dwordx2 v[2:3], v[6:7], off
.LBB329_1913:
	s_mov_b64 s[10:11], 0
.LBB329_1914:
	s_and_b64 vcc, exec, s[10:11]
	s_cbranch_vccz .LBB329_1930
; %bb.1915:
	s_cmp_lt_i32 s15, 27
	s_mov_b64 s[8:9], -1
	s_cbranch_scc1 .LBB329_1921
; %bb.1916:
	v_cvt_u32_f32_e32 v1, v4
	s_cmp_gt_i32 s15, 27
	s_cbranch_scc0 .LBB329_1918
; %bb.1917:
	s_mov_b64 s[8:9], 0
	global_store_dword v[2:3], v1, off
.LBB329_1918:
	s_andn2_b64 vcc, exec, s[8:9]
	s_cbranch_vccnz .LBB329_1920
; %bb.1919:
	global_store_short v[2:3], v1, off
.LBB329_1920:
	s_mov_b64 s[8:9], 0
.LBB329_1921:
	s_andn2_b64 vcc, exec, s[8:9]
	s_cbranch_vccnz .LBB329_1929
; %bb.1922:
	v_and_b32_e32 v1, 0x7fffffff, v4
	s_mov_b32 s8, 0x43800000
	v_cmp_gt_u32_e32 vcc, s8, v1
	v_mov_b32_e32 v5, 0x80
	s_and_saveexec_b64 s[8:9], vcc
	s_cbranch_execz .LBB329_1928
; %bb.1923:
	s_mov_b32 s10, 0x3bffffff
	v_cmp_lt_u32_e32 vcc, s10, v1
	s_mov_b64 s[10:11], 0
                                        ; implicit-def: $vgpr1
	s_and_saveexec_b64 s[12:13], vcc
	s_xor_b64 s[12:13], exec, s[12:13]
	s_cbranch_execz .LBB329_2149
; %bb.1924:
	v_bfe_u32 v1, v4, 20, 1
	s_mov_b32 s16, 0x487ffff
	v_add3_u32 v1, v4, v1, s16
	s_mov_b64 s[10:11], exec
	v_lshrrev_b32_e32 v1, 20, v1
	s_andn2_saveexec_b64 s[12:13], s[12:13]
	s_cbranch_execnz .LBB329_2150
.LBB329_1925:
	s_or_b64 exec, exec, s[12:13]
	v_mov_b32_e32 v5, 0
	s_and_saveexec_b64 s[12:13], s[10:11]
.LBB329_1926:
	v_lshrrev_b32_e32 v5, 24, v4
	s_movk_i32 s10, 0x80
	v_and_or_b32 v5, v5, s10, v1
.LBB329_1927:
	s_or_b64 exec, exec, s[12:13]
.LBB329_1928:
	s_or_b64 exec, exec, s[8:9]
	global_store_byte v[2:3], v5, off
.LBB329_1929:
	s_mov_b64 s[8:9], -1
.LBB329_1930:
	s_mov_b64 s[10:11], 0
.LBB329_1931:
	s_and_b64 vcc, exec, s[10:11]
	s_cbranch_vccz .LBB329_1971
; %bb.1932:
	s_cmp_gt_i32 s15, 22
	s_mov_b64 s[6:7], -1
	s_cbranch_scc0 .LBB329_1964
; %bb.1933:
	s_cmp_lt_i32 s15, 24
	s_cbranch_scc1 .LBB329_1953
; %bb.1934:
	s_cmp_gt_i32 s15, 24
	s_cbranch_scc0 .LBB329_1942
; %bb.1935:
	v_and_b32_e32 v1, 0x7fffffff, v4
	s_mov_b32 s6, 0x47800000
	v_cmp_gt_u32_e32 vcc, s6, v1
	v_mov_b32_e32 v5, 0x80
	s_and_saveexec_b64 s[6:7], vcc
	s_cbranch_execz .LBB329_1941
; %bb.1936:
	s_mov_b32 s8, 0x37ffffff
	v_cmp_lt_u32_e32 vcc, s8, v1
	s_mov_b64 s[8:9], 0
                                        ; implicit-def: $vgpr1
	s_and_saveexec_b64 s[10:11], vcc
	s_xor_b64 s[10:11], exec, s[10:11]
	s_cbranch_execz .LBB329_2152
; %bb.1937:
	v_bfe_u32 v1, v4, 21, 1
	s_mov_b32 s12, 0x88fffff
	v_add3_u32 v1, v4, v1, s12
	s_mov_b64 s[8:9], exec
	v_lshrrev_b32_e32 v1, 21, v1
	s_andn2_saveexec_b64 s[10:11], s[10:11]
	s_cbranch_execnz .LBB329_2153
.LBB329_1938:
	s_or_b64 exec, exec, s[10:11]
	v_mov_b32_e32 v5, 0
	s_and_saveexec_b64 s[10:11], s[8:9]
.LBB329_1939:
	v_lshrrev_b32_e32 v5, 24, v4
	s_movk_i32 s8, 0x80
	v_and_or_b32 v5, v5, s8, v1
.LBB329_1940:
	s_or_b64 exec, exec, s[10:11]
.LBB329_1941:
	s_or_b64 exec, exec, s[6:7]
	s_mov_b64 s[6:7], 0
	global_store_byte v[2:3], v5, off
.LBB329_1942:
	s_and_b64 vcc, exec, s[6:7]
	s_cbranch_vccz .LBB329_1952
; %bb.1943:
	v_and_b32_e32 v5, 0x7fffffff, v4
	s_mov_b32 s6, 0x43f00000
	v_cmp_gt_u32_e32 vcc, s6, v5
                                        ; implicit-def: $vgpr1
	s_and_saveexec_b64 s[6:7], vcc
	s_xor_b64 s[6:7], exec, s[6:7]
	s_cbranch_execz .LBB329_1949
; %bb.1944:
	s_mov_b32 s8, 0x3c7fffff
	v_cmp_lt_u32_e32 vcc, s8, v5
                                        ; implicit-def: $vgpr1
	s_and_saveexec_b64 s[8:9], vcc
	s_xor_b64 s[8:9], exec, s[8:9]
; %bb.1945:
	v_bfe_u32 v1, v4, 20, 1
	s_mov_b32 s10, 0x407ffff
	v_add3_u32 v1, v4, v1, s10
	v_lshrrev_b32_e32 v5, 20, v1
	v_and_b32_e32 v1, 0xff00000, v1
	s_mov_b32 s10, 0x7f00000
	v_mov_b32_e32 v6, 0x7e
	v_cmp_ne_u32_e32 vcc, s10, v1
	s_nop 1
	v_cndmask_b32_e32 v1, v6, v5, vcc
; %bb.1946:
	s_andn2_saveexec_b64 s[8:9], s[8:9]
; %bb.1947:
	s_mov_b32 s10, 0x46800000
	v_add_f32_e64 v1, |v4|, s10
; %bb.1948:
	s_or_b64 exec, exec, s[8:9]
                                        ; implicit-def: $vgpr5
.LBB329_1949:
	s_andn2_saveexec_b64 s[6:7], s[6:7]
; %bb.1950:
	s_mov_b32 s8, 0x7f800000
	v_mov_b32_e32 v1, 0x7e
	v_mov_b32_e32 v6, 0x7f
	v_cmp_lt_u32_e32 vcc, s8, v5
	s_nop 1
	v_cndmask_b32_e32 v1, v1, v6, vcc
; %bb.1951:
	s_or_b64 exec, exec, s[6:7]
	v_lshrrev_b32_e32 v5, 24, v4
	s_movk_i32 s6, 0x80
	v_and_or_b32 v1, v5, s6, v1
	global_store_byte v[2:3], v1, off
.LBB329_1952:
	s_mov_b64 s[6:7], 0
.LBB329_1953:
	s_andn2_b64 vcc, exec, s[6:7]
	s_cbranch_vccnz .LBB329_1963
; %bb.1954:
	v_and_b32_e32 v5, 0x7fffffff, v4
	s_mov_b32 s6, 0x47800000
	v_cmp_gt_u32_e32 vcc, s6, v5
                                        ; implicit-def: $vgpr1
	s_and_saveexec_b64 s[6:7], vcc
	s_xor_b64 s[6:7], exec, s[6:7]
	s_cbranch_execz .LBB329_1960
; %bb.1955:
	s_mov_b32 s8, 0x387fffff
	v_cmp_lt_u32_e32 vcc, s8, v5
                                        ; implicit-def: $vgpr1
	s_and_saveexec_b64 s[8:9], vcc
	s_xor_b64 s[8:9], exec, s[8:9]
; %bb.1956:
	v_bfe_u32 v1, v4, 21, 1
	s_mov_b32 s10, 0x80fffff
	v_add3_u32 v1, v4, v1, s10
	v_lshrrev_b32_e32 v1, 21, v1
; %bb.1957:
	s_andn2_saveexec_b64 s[8:9], s[8:9]
; %bb.1958:
	s_mov_b32 s10, 0x43000000
	v_add_f32_e64 v1, |v4|, s10
; %bb.1959:
	s_or_b64 exec, exec, s[8:9]
                                        ; implicit-def: $vgpr5
.LBB329_1960:
	s_andn2_saveexec_b64 s[6:7], s[6:7]
; %bb.1961:
	s_mov_b32 s8, 0x7f800000
	v_mov_b32_e32 v1, 0x7c
	v_mov_b32_e32 v6, 0x7f
	v_cmp_lt_u32_e32 vcc, s8, v5
	s_nop 1
	v_cndmask_b32_e32 v1, v1, v6, vcc
; %bb.1962:
	s_or_b64 exec, exec, s[6:7]
	v_lshrrev_b32_e32 v5, 24, v4
	s_movk_i32 s6, 0x80
	v_and_or_b32 v1, v5, s6, v1
	global_store_byte v[2:3], v1, off
.LBB329_1963:
	s_mov_b64 s[6:7], 0
	s_mov_b64 s[8:9], -1
.LBB329_1964:
	s_andn2_b64 vcc, exec, s[6:7]
	s_mov_b64 s[6:7], 0
	s_cbranch_vccnz .LBB329_1971
; %bb.1965:
	s_cmp_gt_i32 s15, 14
	s_mov_b64 s[10:11], -1
	s_cbranch_scc0 .LBB329_1969
; %bb.1966:
	s_cmp_eq_u32 s15, 15
	s_mov_b64 s[0:1], -1
	s_cbranch_scc0 .LBB329_1968
; %bb.1967:
	v_bfe_u32 v1, v4, 16, 1
	s_movk_i32 s0, 0x7fff
	v_add3_u32 v1, v4, v1, s0
	v_cmp_o_f32_e32 vcc, v4, v4
	v_mov_b32_e32 v5, 0x7fc0
	s_mov_b64 s[0:1], 0
	v_cndmask_b32_sdwa v1, v5, v1, vcc dst_sel:DWORD dst_unused:UNUSED_PAD src0_sel:DWORD src1_sel:WORD_1
	global_store_short v[2:3], v1, off
	s_mov_b64 s[8:9], -1
.LBB329_1968:
	s_mov_b64 s[10:11], 0
.LBB329_1969:
	s_and_b64 vcc, exec, s[10:11]
	s_cbranch_vccz .LBB329_1971
; %bb.1970:
	s_cmp_lg_u32 s15, 11
	s_mov_b64 s[6:7], -1
	s_cselect_b64 s[0:1], -1, 0
.LBB329_1971:
	s_and_b64 vcc, exec, s[0:1]
	s_cbranch_vccnz .LBB329_2151
; %bb.1972:
	s_andn2_b64 vcc, exec, s[6:7]
	s_cbranch_vccnz .LBB329_1974
.LBB329_1973:
	v_cmp_neq_f32_e32 vcc, 0, v4
	s_mov_b64 s[8:9], -1
	s_nop 0
	v_cndmask_b32_e64 v1, 0, 1, vcc
	global_store_byte v[2:3], v1, off
.LBB329_1974:
	s_mov_b64 s[0:1], 0
	s_branch .LBB329_1976
.LBB329_1975:
	s_mov_b64 s[0:1], -1
	s_mov_b64 s[8:9], 0
.LBB329_1976:
	s_and_b64 vcc, exec, s[0:1]
	s_cbranch_vccz .LBB329_2015
; %bb.1977:
	s_cmp_lt_i32 s15, 5
	s_mov_b64 s[0:1], -1
	s_cbranch_scc1 .LBB329_1998
; %bb.1978:
	s_cmp_lt_i32 s15, 8
	s_cbranch_scc1 .LBB329_1988
; %bb.1979:
	s_cmp_lt_i32 s15, 9
	s_cbranch_scc1 .LBB329_1985
; %bb.1980:
	s_cmp_gt_i32 s15, 9
	s_cbranch_scc0 .LBB329_1982
; %bb.1981:
	v_mov_b32_e32 v8, 0
	v_cvt_f64_f32_e32 v[6:7], v4
	v_mov_b32_e32 v9, v8
	global_store_dwordx4 v[2:3], v[6:9], off
	s_mov_b64 s[0:1], 0
.LBB329_1982:
	s_andn2_b64 vcc, exec, s[0:1]
	s_cbranch_vccnz .LBB329_1984
; %bb.1983:
	v_mov_b32_e32 v5, 0
	global_store_dwordx2 v[2:3], v[4:5], off
.LBB329_1984:
	s_mov_b64 s[0:1], 0
.LBB329_1985:
	s_andn2_b64 vcc, exec, s[0:1]
	s_cbranch_vccnz .LBB329_1987
; %bb.1986:
	v_cvt_f16_f32_e32 v1, v4
	global_store_dword v[2:3], v1, off
.LBB329_1987:
	s_mov_b64 s[0:1], 0
.LBB329_1988:
	s_andn2_b64 vcc, exec, s[0:1]
	s_cbranch_vccnz .LBB329_1997
; %bb.1989:
	s_cmp_lt_i32 s15, 6
	s_mov_b64 s[0:1], -1
	s_cbranch_scc1 .LBB329_1995
; %bb.1990:
	s_cmp_gt_i32 s15, 6
	s_cbranch_scc0 .LBB329_1992
; %bb.1991:
	v_cvt_f64_f32_e32 v[6:7], v4
	global_store_dwordx2 v[2:3], v[6:7], off
	s_mov_b64 s[0:1], 0
.LBB329_1992:
	s_andn2_b64 vcc, exec, s[0:1]
	s_cbranch_vccnz .LBB329_1994
; %bb.1993:
	global_store_dword v[2:3], v4, off
.LBB329_1994:
	s_mov_b64 s[0:1], 0
.LBB329_1995:
	s_andn2_b64 vcc, exec, s[0:1]
	s_cbranch_vccnz .LBB329_1997
; %bb.1996:
	v_cvt_f16_f32_e32 v1, v4
	global_store_short v[2:3], v1, off
.LBB329_1997:
	s_mov_b64 s[0:1], 0
.LBB329_1998:
	s_andn2_b64 vcc, exec, s[0:1]
	s_cbranch_vccnz .LBB329_2014
; %bb.1999:
	s_cmp_lt_i32 s15, 2
	s_mov_b64 s[0:1], -1
	s_cbranch_scc1 .LBB329_2009
; %bb.2000:
	s_cmp_lt_i32 s15, 3
	s_cbranch_scc1 .LBB329_2006
; %bb.2001:
	s_cmp_gt_i32 s15, 3
	s_cbranch_scc0 .LBB329_2003
; %bb.2002:
	v_trunc_f32_e32 v1, v4
	s_mov_b32 s0, 0x2f800000
	v_mul_f32_e64 v5, |v1|, s0
	v_floor_f32_e32 v5, v5
	s_mov_b32 s0, 0xcf800000
	v_cvt_u32_f32_e32 v6, v5
	v_fma_f32 v5, v5, s0, |v1|
	v_cvt_u32_f32_e32 v5, v5
	v_ashrrev_i32_e32 v1, 31, v1
	v_xor_b32_e32 v7, v6, v1
	s_mov_b64 s[0:1], 0
	v_xor_b32_e32 v5, v5, v1
	v_sub_co_u32_e32 v6, vcc, v5, v1
	s_nop 1
	v_subb_co_u32_e32 v7, vcc, v7, v1, vcc
	global_store_dwordx2 v[2:3], v[6:7], off
.LBB329_2003:
	s_andn2_b64 vcc, exec, s[0:1]
	s_cbranch_vccnz .LBB329_2005
; %bb.2004:
	v_cvt_i32_f32_e32 v1, v4
	global_store_dword v[2:3], v1, off
.LBB329_2005:
	s_mov_b64 s[0:1], 0
.LBB329_2006:
	s_andn2_b64 vcc, exec, s[0:1]
	s_cbranch_vccnz .LBB329_2008
; %bb.2007:
	v_cvt_i32_f32_e32 v1, v4
	global_store_short v[2:3], v1, off
.LBB329_2008:
	s_mov_b64 s[0:1], 0
.LBB329_2009:
	s_andn2_b64 vcc, exec, s[0:1]
	s_cbranch_vccnz .LBB329_2014
; %bb.2010:
	s_cmp_gt_i32 s15, 0
	s_mov_b64 s[0:1], -1
	s_cbranch_scc0 .LBB329_2012
; %bb.2011:
	v_cvt_i32_f32_e32 v1, v4
	s_mov_b64 s[0:1], 0
	global_store_byte v[2:3], v1, off
.LBB329_2012:
	s_andn2_b64 vcc, exec, s[0:1]
	s_cbranch_vccnz .LBB329_2014
; %bb.2013:
	v_trunc_f32_e32 v1, v4
	s_mov_b32 s0, 0x2f800000
	v_mul_f32_e64 v4, |v1|, s0
	v_floor_f32_e32 v4, v4
	s_mov_b32 s0, 0xcf800000
	v_fma_f32 v4, v4, s0, |v1|
	v_cvt_u32_f32_e32 v4, v4
	v_ashrrev_i32_e32 v1, 31, v1
	v_xor_b32_e32 v4, v4, v1
	v_sub_u32_e32 v1, v4, v1
	global_store_byte v[2:3], v1, off
.LBB329_2014:
	s_mov_b64 s[8:9], -1
.LBB329_2015:
	s_andn2_b64 vcc, exec, s[8:9]
	s_cbranch_vccnz .LBB329_2092
; %bb.2016:
	v_max_f32_e32 v1, v10, v10
	v_max_f32_e32 v1, v1, v11
	v_min_f32_e32 v1, v1, v13
	v_cmp_u_f32_e32 vcc, v10, v10
	s_cmp_lt_i32 s15, 11
	s_nop 0
	v_cndmask_b32_e32 v2, v1, v10, vcc
	v_mov_b32_e32 v1, 0
	v_lshl_add_u64 v[0:1], s[4:5], 0, v[0:1]
	s_cbranch_scc1 .LBB329_2137
; %bb.2017:
	s_mov_b64 s[6:7], -1
	s_mov_b64 s[4:5], 0
	s_cmp_gt_i32 s15, 25
	s_mov_b64 s[0:1], 0
	s_cbranch_scc0 .LBB329_2050
; %bb.2018:
	s_cmp_gt_i32 s15, 28
	s_cbranch_scc0 .LBB329_2034
; %bb.2019:
	s_cmp_gt_i32 s15, 43
	;; [unrolled: 3-line block ×3, first 2 shown]
	s_cbranch_scc0 .LBB329_2024
; %bb.2021:
	s_cmp_eq_u32 s15, 46
	s_mov_b64 s[0:1], -1
	s_cbranch_scc0 .LBB329_2023
; %bb.2022:
	v_bfe_u32 v3, v2, 16, 1
	s_movk_i32 s0, 0x7fff
	v_add3_u32 v3, v2, v3, s0
	v_cmp_o_f32_e32 vcc, v2, v2
	v_mov_b32_e32 v4, 0x7fc0
	s_mov_b64 s[0:1], 0
	v_cndmask_b32_sdwa v3, v4, v3, vcc dst_sel:DWORD dst_unused:UNUSED_PAD src0_sel:DWORD src1_sel:WORD_1
	global_store_dword v[0:1], v3, off
.LBB329_2023:
	s_mov_b64 s[6:7], 0
.LBB329_2024:
	s_and_b64 vcc, exec, s[6:7]
	s_cbranch_vccz .LBB329_2029
; %bb.2025:
	s_cmp_eq_u32 s15, 44
	s_mov_b64 s[0:1], -1
	s_cbranch_scc0 .LBB329_2029
; %bb.2026:
	v_bfe_u32 v3, v2, 23, 8
	s_movk_i32 s0, 0xff
	v_cmp_ne_u32_e32 vcc, s0, v3
	v_mov_b32_e32 v4, 0xff
	s_and_saveexec_b64 s[6:7], vcc
; %bb.2027:
	s_mov_b32 s0, 0x3fffff
	v_and_b32_e32 v5, 0x400000, v2
	v_and_or_b32 v3, v2, s0, v3
	v_cmp_ne_u32_e32 vcc, 0, v5
	v_cmp_ne_u32_e64 s[0:1], 0, v3
	s_and_b64 s[0:1], vcc, s[0:1]
	v_lshrrev_b32_e32 v4, 23, v2
	v_cndmask_b32_e64 v3, 0, 1, s[0:1]
	v_add_u32_e32 v4, v4, v3
; %bb.2028:
	s_or_b64 exec, exec, s[6:7]
	s_mov_b64 s[0:1], 0
	global_store_byte v[0:1], v4, off
.LBB329_2029:
	s_mov_b64 s[6:7], 0
.LBB329_2030:
	s_and_b64 vcc, exec, s[6:7]
	s_cbranch_vccz .LBB329_2033
; %bb.2031:
	s_cmp_eq_u32 s15, 29
	s_mov_b64 s[0:1], -1
	s_cbranch_scc0 .LBB329_2033
; %bb.2032:
	v_trunc_f32_e32 v3, v2
	v_mul_f32_e32 v4, 0x2f800000, v3
	v_floor_f32_e32 v4, v4
	v_fmamk_f32 v3, v4, 0xcf800000, v3
	v_cvt_u32_f32_e32 v5, v4
	v_cvt_u32_f32_e32 v4, v3
	s_mov_b64 s[0:1], 0
	global_store_dwordx2 v[0:1], v[4:5], off
.LBB329_2033:
	s_mov_b64 s[6:7], 0
.LBB329_2034:
	s_and_b64 vcc, exec, s[6:7]
	s_cbranch_vccz .LBB329_2049
; %bb.2035:
	s_cmp_lt_i32 s15, 27
	s_mov_b64 s[6:7], -1
	s_cbranch_scc1 .LBB329_2041
; %bb.2036:
	s_cmp_gt_i32 s15, 27
	s_cbranch_scc0 .LBB329_2038
; %bb.2037:
	v_cvt_u32_f32_e32 v3, v2
	s_mov_b64 s[6:7], 0
	global_store_dword v[0:1], v3, off
.LBB329_2038:
	s_andn2_b64 vcc, exec, s[6:7]
	s_cbranch_vccnz .LBB329_2040
; %bb.2039:
	v_cvt_u32_f32_e32 v3, v2
	global_store_short v[0:1], v3, off
.LBB329_2040:
	s_mov_b64 s[6:7], 0
.LBB329_2041:
	s_andn2_b64 vcc, exec, s[6:7]
	s_cbranch_vccnz .LBB329_2049
; %bb.2042:
	v_and_b32_e32 v3, 0x7fffffff, v2
	s_mov_b32 s6, 0x43800000
	v_cmp_gt_u32_e32 vcc, s6, v3
	v_mov_b32_e32 v4, 0x80
	s_and_saveexec_b64 s[6:7], vcc
	s_cbranch_execz .LBB329_2048
; %bb.2043:
	s_mov_b32 s8, 0x3bffffff
	v_cmp_lt_u32_e32 vcc, s8, v3
	s_mov_b64 s[8:9], 0
                                        ; implicit-def: $vgpr3
	s_and_saveexec_b64 s[10:11], vcc
	s_xor_b64 s[10:11], exec, s[10:11]
	s_cbranch_execz .LBB329_2154
; %bb.2044:
	v_bfe_u32 v3, v2, 20, 1
	s_mov_b32 s12, 0x487ffff
	v_add3_u32 v3, v2, v3, s12
	s_mov_b64 s[8:9], exec
	v_lshrrev_b32_e32 v3, 20, v3
	s_andn2_saveexec_b64 s[10:11], s[10:11]
	s_cbranch_execnz .LBB329_2155
.LBB329_2045:
	s_or_b64 exec, exec, s[10:11]
	v_mov_b32_e32 v4, 0
	s_and_saveexec_b64 s[10:11], s[8:9]
.LBB329_2046:
	v_lshrrev_b32_e32 v4, 24, v2
	s_movk_i32 s8, 0x80
	v_and_or_b32 v4, v4, s8, v3
.LBB329_2047:
	s_or_b64 exec, exec, s[10:11]
.LBB329_2048:
	s_or_b64 exec, exec, s[6:7]
	global_store_byte v[0:1], v4, off
.LBB329_2049:
	s_mov_b64 s[6:7], 0
.LBB329_2050:
	s_and_b64 vcc, exec, s[6:7]
	s_cbranch_vccz .LBB329_2090
; %bb.2051:
	s_cmp_gt_i32 s15, 22
	s_mov_b64 s[4:5], -1
	s_cbranch_scc0 .LBB329_2083
; %bb.2052:
	s_cmp_lt_i32 s15, 24
	s_cbranch_scc1 .LBB329_2072
; %bb.2053:
	s_cmp_gt_i32 s15, 24
	s_cbranch_scc0 .LBB329_2061
; %bb.2054:
	v_and_b32_e32 v3, 0x7fffffff, v2
	s_mov_b32 s4, 0x47800000
	v_cmp_gt_u32_e32 vcc, s4, v3
	v_mov_b32_e32 v4, 0x80
	s_and_saveexec_b64 s[4:5], vcc
	s_cbranch_execz .LBB329_2060
; %bb.2055:
	s_mov_b32 s6, 0x37ffffff
	v_cmp_lt_u32_e32 vcc, s6, v3
	s_mov_b64 s[6:7], 0
                                        ; implicit-def: $vgpr3
	s_and_saveexec_b64 s[8:9], vcc
	s_xor_b64 s[8:9], exec, s[8:9]
	s_cbranch_execz .LBB329_2157
; %bb.2056:
	v_bfe_u32 v3, v2, 21, 1
	s_mov_b32 s10, 0x88fffff
	v_add3_u32 v3, v2, v3, s10
	s_mov_b64 s[6:7], exec
	v_lshrrev_b32_e32 v3, 21, v3
	s_andn2_saveexec_b64 s[8:9], s[8:9]
	s_cbranch_execnz .LBB329_2158
.LBB329_2057:
	s_or_b64 exec, exec, s[8:9]
	v_mov_b32_e32 v4, 0
	s_and_saveexec_b64 s[8:9], s[6:7]
.LBB329_2058:
	v_lshrrev_b32_e32 v4, 24, v2
	s_movk_i32 s6, 0x80
	v_and_or_b32 v4, v4, s6, v3
.LBB329_2059:
	s_or_b64 exec, exec, s[8:9]
.LBB329_2060:
	s_or_b64 exec, exec, s[4:5]
	s_mov_b64 s[4:5], 0
	global_store_byte v[0:1], v4, off
.LBB329_2061:
	s_and_b64 vcc, exec, s[4:5]
	s_cbranch_vccz .LBB329_2071
; %bb.2062:
	v_and_b32_e32 v4, 0x7fffffff, v2
	s_mov_b32 s4, 0x43f00000
	v_cmp_gt_u32_e32 vcc, s4, v4
                                        ; implicit-def: $vgpr3
	s_and_saveexec_b64 s[4:5], vcc
	s_xor_b64 s[4:5], exec, s[4:5]
	s_cbranch_execz .LBB329_2068
; %bb.2063:
	s_mov_b32 s6, 0x3c7fffff
	v_cmp_lt_u32_e32 vcc, s6, v4
                                        ; implicit-def: $vgpr3
	s_and_saveexec_b64 s[6:7], vcc
	s_xor_b64 s[6:7], exec, s[6:7]
; %bb.2064:
	v_bfe_u32 v3, v2, 20, 1
	s_mov_b32 s8, 0x407ffff
	v_add3_u32 v3, v2, v3, s8
	v_lshrrev_b32_e32 v4, 20, v3
	v_and_b32_e32 v3, 0xff00000, v3
	s_mov_b32 s8, 0x7f00000
	v_mov_b32_e32 v5, 0x7e
	v_cmp_ne_u32_e32 vcc, s8, v3
	s_nop 1
	v_cndmask_b32_e32 v3, v5, v4, vcc
; %bb.2065:
	s_andn2_saveexec_b64 s[6:7], s[6:7]
; %bb.2066:
	s_mov_b32 s8, 0x46800000
	v_add_f32_e64 v3, |v2|, s8
; %bb.2067:
	s_or_b64 exec, exec, s[6:7]
                                        ; implicit-def: $vgpr4
.LBB329_2068:
	s_andn2_saveexec_b64 s[4:5], s[4:5]
; %bb.2069:
	s_mov_b32 s6, 0x7f800000
	v_mov_b32_e32 v3, 0x7e
	v_mov_b32_e32 v5, 0x7f
	v_cmp_lt_u32_e32 vcc, s6, v4
	s_nop 1
	v_cndmask_b32_e32 v3, v3, v5, vcc
; %bb.2070:
	s_or_b64 exec, exec, s[4:5]
	v_lshrrev_b32_e32 v4, 24, v2
	s_movk_i32 s4, 0x80
	v_and_or_b32 v3, v4, s4, v3
	global_store_byte v[0:1], v3, off
.LBB329_2071:
	s_mov_b64 s[4:5], 0
.LBB329_2072:
	s_andn2_b64 vcc, exec, s[4:5]
	s_cbranch_vccnz .LBB329_2082
; %bb.2073:
	v_and_b32_e32 v4, 0x7fffffff, v2
	s_mov_b32 s4, 0x47800000
	v_cmp_gt_u32_e32 vcc, s4, v4
                                        ; implicit-def: $vgpr3
	s_and_saveexec_b64 s[4:5], vcc
	s_xor_b64 s[4:5], exec, s[4:5]
	s_cbranch_execz .LBB329_2079
; %bb.2074:
	s_mov_b32 s6, 0x387fffff
	v_cmp_lt_u32_e32 vcc, s6, v4
                                        ; implicit-def: $vgpr3
	s_and_saveexec_b64 s[6:7], vcc
	s_xor_b64 s[6:7], exec, s[6:7]
; %bb.2075:
	v_bfe_u32 v3, v2, 21, 1
	s_mov_b32 s8, 0x80fffff
	v_add3_u32 v3, v2, v3, s8
	v_lshrrev_b32_e32 v3, 21, v3
; %bb.2076:
	s_andn2_saveexec_b64 s[6:7], s[6:7]
; %bb.2077:
	s_mov_b32 s8, 0x43000000
	v_add_f32_e64 v3, |v2|, s8
; %bb.2078:
	s_or_b64 exec, exec, s[6:7]
                                        ; implicit-def: $vgpr4
.LBB329_2079:
	s_andn2_saveexec_b64 s[4:5], s[4:5]
; %bb.2080:
	s_mov_b32 s6, 0x7f800000
	v_mov_b32_e32 v3, 0x7c
	v_mov_b32_e32 v5, 0x7f
	v_cmp_lt_u32_e32 vcc, s6, v4
	s_nop 1
	v_cndmask_b32_e32 v3, v3, v5, vcc
; %bb.2081:
	s_or_b64 exec, exec, s[4:5]
	v_lshrrev_b32_e32 v4, 24, v2
	s_movk_i32 s4, 0x80
	v_and_or_b32 v3, v4, s4, v3
	global_store_byte v[0:1], v3, off
.LBB329_2082:
	s_mov_b64 s[4:5], 0
.LBB329_2083:
	s_andn2_b64 vcc, exec, s[4:5]
	s_mov_b64 s[4:5], 0
	s_cbranch_vccnz .LBB329_2090
; %bb.2084:
	s_cmp_gt_i32 s15, 14
	s_mov_b64 s[6:7], -1
	s_cbranch_scc0 .LBB329_2088
; %bb.2085:
	s_cmp_eq_u32 s15, 15
	s_mov_b64 s[0:1], -1
	s_cbranch_scc0 .LBB329_2087
; %bb.2086:
	v_bfe_u32 v3, v2, 16, 1
	s_movk_i32 s0, 0x7fff
	v_add3_u32 v3, v2, v3, s0
	v_cmp_o_f32_e32 vcc, v2, v2
	v_mov_b32_e32 v4, 0x7fc0
	s_mov_b64 s[0:1], 0
	v_cndmask_b32_sdwa v3, v4, v3, vcc dst_sel:DWORD dst_unused:UNUSED_PAD src0_sel:DWORD src1_sel:WORD_1
	global_store_short v[0:1], v3, off
.LBB329_2087:
	s_mov_b64 s[6:7], 0
.LBB329_2088:
	s_and_b64 vcc, exec, s[6:7]
	s_cbranch_vccz .LBB329_2090
; %bb.2089:
	s_cmp_lg_u32 s15, 11
	s_mov_b64 s[4:5], -1
	s_cselect_b64 s[0:1], -1, 0
.LBB329_2090:
	s_and_b64 vcc, exec, s[0:1]
	s_cbranch_vccnz .LBB329_2156
.LBB329_2091:
	s_mov_b64 s[0:1], 0
	s_branch .LBB329_2093
.LBB329_2092:
	s_mov_b64 s[0:1], 0
	s_mov_b64 s[4:5], 0
                                        ; implicit-def: $vgpr0_vgpr1
                                        ; implicit-def: $sgpr14
                                        ; implicit-def: $vgpr2
.LBB329_2093:
	s_and_b64 s[6:7], s[0:1], exec
	s_andn2_b64 s[0:1], s[24:25], exec
	s_and_b64 s[2:3], s[2:3], exec
	s_and_b64 s[40:41], s[4:5], exec
	s_or_b64 s[24:25], s[0:1], s[2:3]
.LBB329_2094:
	s_or_b64 exec, exec, s[26:27]
	s_and_saveexec_b64 s[0:1], s[24:25]
	s_cbranch_execz .LBB329_2097
; %bb.2095:
	; divergent unreachable
	s_or_b64 exec, exec, s[0:1]
	s_and_saveexec_b64 s[0:1], s[40:41]
	s_xor_b64 s[0:1], exec, s[0:1]
	s_cbranch_execnz .LBB329_2098
.LBB329_2096:
	s_or_b64 exec, exec, s[0:1]
	s_and_saveexec_b64 s[0:1], s[6:7]
	s_cbranch_execnz .LBB329_2099
	s_branch .LBB329_2136
.LBB329_2097:
	s_or_b64 exec, exec, s[0:1]
	s_and_saveexec_b64 s[0:1], s[40:41]
	s_xor_b64 s[0:1], exec, s[0:1]
	s_cbranch_execz .LBB329_2096
.LBB329_2098:
	v_cmp_neq_f32_e32 vcc, 0, v2
	s_waitcnt vmcnt(0)
	s_nop 0
	v_cndmask_b32_e64 v3, 0, 1, vcc
	global_store_byte v[0:1], v3, off
	s_or_b64 exec, exec, s[0:1]
	s_and_saveexec_b64 s[0:1], s[6:7]
	s_cbranch_execz .LBB329_2136
.LBB329_2099:
	s_sext_i32_i16 s2, s14
	s_cmp_lt_i32 s2, 5
	s_mov_b64 s[0:1], -1
	s_cbranch_scc1 .LBB329_2120
; %bb.2100:
	s_cmp_lt_i32 s2, 8
	s_cbranch_scc1 .LBB329_2110
; %bb.2101:
	s_cmp_lt_i32 s2, 9
	s_cbranch_scc1 .LBB329_2107
; %bb.2102:
	s_cmp_gt_i32 s2, 9
	s_cbranch_scc0 .LBB329_2104
; %bb.2103:
	v_mov_b32_e32 v6, 0
	v_cvt_f64_f32_e32 v[4:5], v2
	v_mov_b32_e32 v7, v6
	s_waitcnt vmcnt(0)
	global_store_dwordx4 v[0:1], v[4:7], off
	s_mov_b64 s[0:1], 0
.LBB329_2104:
	s_andn2_b64 vcc, exec, s[0:1]
	s_cbranch_vccnz .LBB329_2106
; %bb.2105:
	s_waitcnt vmcnt(0)
	v_mov_b32_e32 v3, 0
	global_store_dwordx2 v[0:1], v[2:3], off
.LBB329_2106:
	s_mov_b64 s[0:1], 0
.LBB329_2107:
	s_andn2_b64 vcc, exec, s[0:1]
	s_cbranch_vccnz .LBB329_2109
; %bb.2108:
	s_waitcnt vmcnt(0)
	v_cvt_f16_f32_e32 v3, v2
	global_store_dword v[0:1], v3, off
.LBB329_2109:
	s_mov_b64 s[0:1], 0
.LBB329_2110:
	s_andn2_b64 vcc, exec, s[0:1]
	s_cbranch_vccnz .LBB329_2119
; %bb.2111:
	s_sext_i32_i16 s2, s14
	s_cmp_lt_i32 s2, 6
	s_mov_b64 s[0:1], -1
	s_cbranch_scc1 .LBB329_2117
; %bb.2112:
	s_cmp_gt_i32 s2, 6
	s_cbranch_scc0 .LBB329_2114
; %bb.2113:
	v_cvt_f64_f32_e32 v[4:5], v2
	s_waitcnt vmcnt(0)
	global_store_dwordx2 v[0:1], v[4:5], off
	s_mov_b64 s[0:1], 0
.LBB329_2114:
	s_andn2_b64 vcc, exec, s[0:1]
	s_cbranch_vccnz .LBB329_2116
; %bb.2115:
	s_waitcnt vmcnt(0)
	global_store_dword v[0:1], v2, off
.LBB329_2116:
	s_mov_b64 s[0:1], 0
.LBB329_2117:
	s_andn2_b64 vcc, exec, s[0:1]
	s_cbranch_vccnz .LBB329_2119
; %bb.2118:
	s_waitcnt vmcnt(0)
	v_cvt_f16_f32_e32 v3, v2
	global_store_short v[0:1], v3, off
.LBB329_2119:
	s_mov_b64 s[0:1], 0
.LBB329_2120:
	s_andn2_b64 vcc, exec, s[0:1]
	s_cbranch_vccnz .LBB329_2136
; %bb.2121:
	s_sext_i32_i16 s2, s14
	s_cmp_lt_i32 s2, 2
	s_mov_b64 s[0:1], -1
	s_cbranch_scc1 .LBB329_2131
; %bb.2122:
	s_cmp_lt_i32 s2, 3
	s_cbranch_scc1 .LBB329_2128
; %bb.2123:
	s_cmp_gt_i32 s2, 3
	s_cbranch_scc0 .LBB329_2125
; %bb.2124:
	s_waitcnt vmcnt(0)
	v_trunc_f32_e32 v3, v2
	s_mov_b32 s0, 0x2f800000
	v_mul_f32_e64 v4, |v3|, s0
	v_floor_f32_e32 v4, v4
	s_mov_b32 s0, 0xcf800000
	v_cvt_u32_f32_e32 v5, v4
	v_fma_f32 v4, v4, s0, |v3|
	v_cvt_u32_f32_e32 v4, v4
	v_ashrrev_i32_e32 v3, 31, v3
	v_xor_b32_e32 v5, v5, v3
	s_mov_b64 s[0:1], 0
	v_xor_b32_e32 v4, v4, v3
	v_sub_co_u32_e32 v4, vcc, v4, v3
	s_nop 1
	v_subb_co_u32_e32 v5, vcc, v5, v3, vcc
	global_store_dwordx2 v[0:1], v[4:5], off
.LBB329_2125:
	s_andn2_b64 vcc, exec, s[0:1]
	s_cbranch_vccnz .LBB329_2127
; %bb.2126:
	s_waitcnt vmcnt(0)
	v_cvt_i32_f32_e32 v3, v2
	global_store_dword v[0:1], v3, off
.LBB329_2127:
	s_mov_b64 s[0:1], 0
.LBB329_2128:
	s_andn2_b64 vcc, exec, s[0:1]
	s_cbranch_vccnz .LBB329_2130
; %bb.2129:
	s_waitcnt vmcnt(0)
	v_cvt_i32_f32_e32 v3, v2
	global_store_short v[0:1], v3, off
.LBB329_2130:
	s_mov_b64 s[0:1], 0
.LBB329_2131:
	s_andn2_b64 vcc, exec, s[0:1]
	s_cbranch_vccnz .LBB329_2136
; %bb.2132:
	s_sext_i32_i16 s0, s14
	s_cmp_gt_i32 s0, 0
	s_mov_b64 s[0:1], -1
	s_cbranch_scc0 .LBB329_2134
; %bb.2133:
	s_waitcnt vmcnt(0)
	v_cvt_i32_f32_e32 v3, v2
	s_mov_b64 s[0:1], 0
	global_store_byte v[0:1], v3, off
.LBB329_2134:
	s_andn2_b64 vcc, exec, s[0:1]
	s_cbranch_vccnz .LBB329_2136
; %bb.2135:
	v_trunc_f32_e32 v2, v2
	s_mov_b32 s0, 0x2f800000
	s_waitcnt vmcnt(0)
	v_mul_f32_e64 v3, |v2|, s0
	v_floor_f32_e32 v3, v3
	s_mov_b32 s0, 0xcf800000
	v_fma_f32 v3, v3, s0, |v2|
	v_cvt_u32_f32_e32 v3, v3
	v_ashrrev_i32_e32 v2, 31, v2
	v_xor_b32_e32 v3, v3, v2
	v_sub_u32_e32 v2, v3, v2
	global_store_byte v[0:1], v2, off
	s_endpgm
.LBB329_2136:
	s_endpgm
.LBB329_2137:
	s_mov_b64 s[4:5], 0
	s_mov_b64 s[0:1], -1
	s_branch .LBB329_2093
.LBB329_2138:
	s_trap 2
	s_or_b64 s[2:3], s[2:3], exec
	s_cbranch_execz .LBB329_1607
	s_branch .LBB329_1608
.LBB329_2139:
	s_andn2_saveexec_b64 s[12:13], s[12:13]
	s_cbranch_execz .LBB329_1687
.LBB329_2140:
	s_mov_b32 s16, 0x46000000
	v_add_f32_e64 v1, |v8|, s16
	v_and_b32_e32 v1, 0xff, v1
	v_cmp_ne_u32_e32 vcc, 0, v1
	s_andn2_b64 s[10:11], s[10:11], exec
	s_and_b64 s[16:17], vcc, exec
	s_or_b64 s[10:11], s[10:11], s[16:17]
	s_or_b64 exec, exec, s[12:13]
	v_mov_b32_e32 v5, 0
	s_and_saveexec_b64 s[12:13], s[10:11]
	s_cbranch_execnz .LBB329_1688
	s_branch .LBB329_1689
.LBB329_2141:
	s_trap 2
	s_or_b64 s[2:3], s[2:3], exec
	s_cbranch_execz .LBB329_1735
	s_branch .LBB329_1736
.LBB329_2142:
	s_andn2_saveexec_b64 s[10:11], s[10:11]
	s_cbranch_execz .LBB329_1700
.LBB329_2143:
	s_mov_b32 s12, 0x42800000
	v_add_f32_e64 v1, |v8|, s12
	v_and_b32_e32 v1, 0xff, v1
	v_cmp_ne_u32_e32 vcc, 0, v1
	s_andn2_b64 s[8:9], s[8:9], exec
	s_and_b64 s[12:13], vcc, exec
	s_or_b64 s[8:9], s[8:9], s[12:13]
	s_or_b64 exec, exec, s[10:11]
	v_mov_b32_e32 v5, 0
	s_and_saveexec_b64 s[10:11], s[8:9]
	s_cbranch_execnz .LBB329_1701
	s_branch .LBB329_1702
.LBB329_2144:
	s_andn2_saveexec_b64 s[12:13], s[12:13]
	s_cbranch_execz .LBB329_1806
.LBB329_2145:
	s_mov_b32 s16, 0x46000000
	v_add_f32_e64 v1, |v6|, s16
	v_and_b32_e32 v1, 0xff, v1
	v_cmp_ne_u32_e32 vcc, 0, v1
	s_andn2_b64 s[10:11], s[10:11], exec
	s_and_b64 s[16:17], vcc, exec
	s_or_b64 s[10:11], s[10:11], s[16:17]
	s_or_b64 exec, exec, s[12:13]
	v_mov_b32_e32 v3, 0
	s_and_saveexec_b64 s[12:13], s[10:11]
	s_cbranch_execnz .LBB329_1807
	s_branch .LBB329_1808
.LBB329_2146:
	s_trap 2
	s_or_b64 s[2:3], s[2:3], exec
	s_cbranch_execz .LBB329_1854
	s_branch .LBB329_1855
.LBB329_2147:
	s_andn2_saveexec_b64 s[10:11], s[10:11]
	s_cbranch_execz .LBB329_1819
.LBB329_2148:
	s_mov_b32 s12, 0x42800000
	v_add_f32_e64 v1, |v6|, s12
	v_and_b32_e32 v1, 0xff, v1
	v_cmp_ne_u32_e32 vcc, 0, v1
	s_andn2_b64 s[8:9], s[8:9], exec
	s_and_b64 s[12:13], vcc, exec
	s_or_b64 s[8:9], s[8:9], s[12:13]
	s_or_b64 exec, exec, s[10:11]
	v_mov_b32_e32 v3, 0
	s_and_saveexec_b64 s[10:11], s[8:9]
	s_cbranch_execnz .LBB329_1820
	s_branch .LBB329_1821
.LBB329_2149:
	s_andn2_saveexec_b64 s[12:13], s[12:13]
	s_cbranch_execz .LBB329_1925
.LBB329_2150:
	s_mov_b32 s16, 0x46000000
	v_add_f32_e64 v1, |v4|, s16
	v_and_b32_e32 v1, 0xff, v1
	v_cmp_ne_u32_e32 vcc, 0, v1
	s_andn2_b64 s[10:11], s[10:11], exec
	s_and_b64 s[16:17], vcc, exec
	s_or_b64 s[10:11], s[10:11], s[16:17]
	s_or_b64 exec, exec, s[12:13]
	v_mov_b32_e32 v5, 0
	s_and_saveexec_b64 s[12:13], s[10:11]
	s_cbranch_execnz .LBB329_1926
	s_branch .LBB329_1927
.LBB329_2151:
	s_trap 2
	s_or_b64 s[2:3], s[2:3], exec
	s_cbranch_execz .LBB329_1973
	s_branch .LBB329_1974
.LBB329_2152:
	s_andn2_saveexec_b64 s[10:11], s[10:11]
	s_cbranch_execz .LBB329_1938
.LBB329_2153:
	s_mov_b32 s12, 0x42800000
	v_add_f32_e64 v1, |v4|, s12
	v_and_b32_e32 v1, 0xff, v1
	v_cmp_ne_u32_e32 vcc, 0, v1
	s_andn2_b64 s[8:9], s[8:9], exec
	s_and_b64 s[12:13], vcc, exec
	s_or_b64 s[8:9], s[8:9], s[12:13]
	s_or_b64 exec, exec, s[10:11]
	v_mov_b32_e32 v5, 0
	s_and_saveexec_b64 s[10:11], s[8:9]
	s_cbranch_execnz .LBB329_1939
	s_branch .LBB329_1940
.LBB329_2154:
	s_andn2_saveexec_b64 s[10:11], s[10:11]
	s_cbranch_execz .LBB329_2045
.LBB329_2155:
	s_mov_b32 s12, 0x46000000
	v_add_f32_e64 v3, |v2|, s12
	v_and_b32_e32 v3, 0xff, v3
	v_cmp_ne_u32_e32 vcc, 0, v3
	s_andn2_b64 s[8:9], s[8:9], exec
	s_and_b64 s[12:13], vcc, exec
	s_or_b64 s[8:9], s[8:9], s[12:13]
	s_or_b64 exec, exec, s[10:11]
	v_mov_b32_e32 v4, 0
	s_and_saveexec_b64 s[10:11], s[8:9]
	s_cbranch_execnz .LBB329_2046
	s_branch .LBB329_2047
.LBB329_2156:
	s_mov_b64 s[4:5], 0
	s_or_b64 s[2:3], s[2:3], exec
	s_trap 2
	s_branch .LBB329_2091
.LBB329_2157:
	s_andn2_saveexec_b64 s[8:9], s[8:9]
	s_cbranch_execz .LBB329_2057
.LBB329_2158:
	s_mov_b32 s10, 0x42800000
	v_add_f32_e64 v3, |v2|, s10
	v_and_b32_e32 v3, 0xff, v3
	v_cmp_ne_u32_e32 vcc, 0, v3
	s_andn2_b64 s[6:7], s[6:7], exec
	s_and_b64 s[10:11], vcc, exec
	s_or_b64 s[6:7], s[6:7], s[10:11]
	s_or_b64 exec, exec, s[8:9]
	v_mov_b32_e32 v4, 0
	s_and_saveexec_b64 s[8:9], s[6:7]
	s_cbranch_execnz .LBB329_2058
	s_branch .LBB329_2059
	.section	.rodata,"a",@progbits
	.p2align	6, 0x0
	.amdhsa_kernel _ZN2at6native32elementwise_kernel_manual_unrollILi128ELi4EZNS0_15gpu_kernel_implIZZZNS0_17clamp_kernel_cudaERNS_18TensorIteratorBaseERKN3c106ScalarES8_ENKUlvE_clEvENKUlvE5_clEvEUlfE_EEvS4_RKT_EUlibE0_EEviT1_
		.amdhsa_group_segment_fixed_size 0
		.amdhsa_private_segment_fixed_size 0
		.amdhsa_kernarg_size 368
		.amdhsa_user_sgpr_count 2
		.amdhsa_user_sgpr_dispatch_ptr 0
		.amdhsa_user_sgpr_queue_ptr 0
		.amdhsa_user_sgpr_kernarg_segment_ptr 1
		.amdhsa_user_sgpr_dispatch_id 0
		.amdhsa_user_sgpr_kernarg_preload_length 0
		.amdhsa_user_sgpr_kernarg_preload_offset 0
		.amdhsa_user_sgpr_private_segment_size 0
		.amdhsa_uses_dynamic_stack 0
		.amdhsa_enable_private_segment 0
		.amdhsa_system_sgpr_workgroup_id_x 1
		.amdhsa_system_sgpr_workgroup_id_y 0
		.amdhsa_system_sgpr_workgroup_id_z 0
		.amdhsa_system_sgpr_workgroup_info 0
		.amdhsa_system_vgpr_workitem_id 0
		.amdhsa_next_free_vgpr 18
		.amdhsa_next_free_sgpr 80
		.amdhsa_accum_offset 20
		.amdhsa_reserve_vcc 1
		.amdhsa_float_round_mode_32 0
		.amdhsa_float_round_mode_16_64 0
		.amdhsa_float_denorm_mode_32 3
		.amdhsa_float_denorm_mode_16_64 3
		.amdhsa_dx10_clamp 1
		.amdhsa_ieee_mode 1
		.amdhsa_fp16_overflow 0
		.amdhsa_tg_split 0
		.amdhsa_exception_fp_ieee_invalid_op 0
		.amdhsa_exception_fp_denorm_src 0
		.amdhsa_exception_fp_ieee_div_zero 0
		.amdhsa_exception_fp_ieee_overflow 0
		.amdhsa_exception_fp_ieee_underflow 0
		.amdhsa_exception_fp_ieee_inexact 0
		.amdhsa_exception_int_div_zero 0
	.end_amdhsa_kernel
	.section	.text._ZN2at6native32elementwise_kernel_manual_unrollILi128ELi4EZNS0_15gpu_kernel_implIZZZNS0_17clamp_kernel_cudaERNS_18TensorIteratorBaseERKN3c106ScalarES8_ENKUlvE_clEvENKUlvE5_clEvEUlfE_EEvS4_RKT_EUlibE0_EEviT1_,"axG",@progbits,_ZN2at6native32elementwise_kernel_manual_unrollILi128ELi4EZNS0_15gpu_kernel_implIZZZNS0_17clamp_kernel_cudaERNS_18TensorIteratorBaseERKN3c106ScalarES8_ENKUlvE_clEvENKUlvE5_clEvEUlfE_EEvS4_RKT_EUlibE0_EEviT1_,comdat
.Lfunc_end329:
	.size	_ZN2at6native32elementwise_kernel_manual_unrollILi128ELi4EZNS0_15gpu_kernel_implIZZZNS0_17clamp_kernel_cudaERNS_18TensorIteratorBaseERKN3c106ScalarES8_ENKUlvE_clEvENKUlvE5_clEvEUlfE_EEvS4_RKT_EUlibE0_EEviT1_, .Lfunc_end329-_ZN2at6native32elementwise_kernel_manual_unrollILi128ELi4EZNS0_15gpu_kernel_implIZZZNS0_17clamp_kernel_cudaERNS_18TensorIteratorBaseERKN3c106ScalarES8_ENKUlvE_clEvENKUlvE5_clEvEUlfE_EEvS4_RKT_EUlibE0_EEviT1_
                                        ; -- End function
	.set _ZN2at6native32elementwise_kernel_manual_unrollILi128ELi4EZNS0_15gpu_kernel_implIZZZNS0_17clamp_kernel_cudaERNS_18TensorIteratorBaseERKN3c106ScalarES8_ENKUlvE_clEvENKUlvE5_clEvEUlfE_EEvS4_RKT_EUlibE0_EEviT1_.num_vgpr, 18
	.set _ZN2at6native32elementwise_kernel_manual_unrollILi128ELi4EZNS0_15gpu_kernel_implIZZZNS0_17clamp_kernel_cudaERNS_18TensorIteratorBaseERKN3c106ScalarES8_ENKUlvE_clEvENKUlvE5_clEvEUlfE_EEvS4_RKT_EUlibE0_EEviT1_.num_agpr, 0
	.set _ZN2at6native32elementwise_kernel_manual_unrollILi128ELi4EZNS0_15gpu_kernel_implIZZZNS0_17clamp_kernel_cudaERNS_18TensorIteratorBaseERKN3c106ScalarES8_ENKUlvE_clEvENKUlvE5_clEvEUlfE_EEvS4_RKT_EUlibE0_EEviT1_.numbered_sgpr, 80
	.set _ZN2at6native32elementwise_kernel_manual_unrollILi128ELi4EZNS0_15gpu_kernel_implIZZZNS0_17clamp_kernel_cudaERNS_18TensorIteratorBaseERKN3c106ScalarES8_ENKUlvE_clEvENKUlvE5_clEvEUlfE_EEvS4_RKT_EUlibE0_EEviT1_.num_named_barrier, 0
	.set _ZN2at6native32elementwise_kernel_manual_unrollILi128ELi4EZNS0_15gpu_kernel_implIZZZNS0_17clamp_kernel_cudaERNS_18TensorIteratorBaseERKN3c106ScalarES8_ENKUlvE_clEvENKUlvE5_clEvEUlfE_EEvS4_RKT_EUlibE0_EEviT1_.private_seg_size, 0
	.set _ZN2at6native32elementwise_kernel_manual_unrollILi128ELi4EZNS0_15gpu_kernel_implIZZZNS0_17clamp_kernel_cudaERNS_18TensorIteratorBaseERKN3c106ScalarES8_ENKUlvE_clEvENKUlvE5_clEvEUlfE_EEvS4_RKT_EUlibE0_EEviT1_.uses_vcc, 1
	.set _ZN2at6native32elementwise_kernel_manual_unrollILi128ELi4EZNS0_15gpu_kernel_implIZZZNS0_17clamp_kernel_cudaERNS_18TensorIteratorBaseERKN3c106ScalarES8_ENKUlvE_clEvENKUlvE5_clEvEUlfE_EEvS4_RKT_EUlibE0_EEviT1_.uses_flat_scratch, 0
	.set _ZN2at6native32elementwise_kernel_manual_unrollILi128ELi4EZNS0_15gpu_kernel_implIZZZNS0_17clamp_kernel_cudaERNS_18TensorIteratorBaseERKN3c106ScalarES8_ENKUlvE_clEvENKUlvE5_clEvEUlfE_EEvS4_RKT_EUlibE0_EEviT1_.has_dyn_sized_stack, 0
	.set _ZN2at6native32elementwise_kernel_manual_unrollILi128ELi4EZNS0_15gpu_kernel_implIZZZNS0_17clamp_kernel_cudaERNS_18TensorIteratorBaseERKN3c106ScalarES8_ENKUlvE_clEvENKUlvE5_clEvEUlfE_EEvS4_RKT_EUlibE0_EEviT1_.has_recursion, 0
	.set _ZN2at6native32elementwise_kernel_manual_unrollILi128ELi4EZNS0_15gpu_kernel_implIZZZNS0_17clamp_kernel_cudaERNS_18TensorIteratorBaseERKN3c106ScalarES8_ENKUlvE_clEvENKUlvE5_clEvEUlfE_EEvS4_RKT_EUlibE0_EEviT1_.has_indirect_call, 0
	.section	.AMDGPU.csdata,"",@progbits
; Kernel info:
; codeLenInByte = 38124
; TotalNumSgprs: 86
; NumVgprs: 18
; NumAgprs: 0
; TotalNumVgprs: 18
; ScratchSize: 0
; MemoryBound: 1
; FloatMode: 240
; IeeeMode: 1
; LDSByteSize: 0 bytes/workgroup (compile time only)
; SGPRBlocks: 10
; VGPRBlocks: 2
; NumSGPRsForWavesPerEU: 86
; NumVGPRsForWavesPerEU: 18
; AccumOffset: 20
; Occupancy: 8
; WaveLimiterHint : 1
; COMPUTE_PGM_RSRC2:SCRATCH_EN: 0
; COMPUTE_PGM_RSRC2:USER_SGPR: 2
; COMPUTE_PGM_RSRC2:TRAP_HANDLER: 0
; COMPUTE_PGM_RSRC2:TGID_X_EN: 1
; COMPUTE_PGM_RSRC2:TGID_Y_EN: 0
; COMPUTE_PGM_RSRC2:TGID_Z_EN: 0
; COMPUTE_PGM_RSRC2:TIDIG_COMP_CNT: 0
; COMPUTE_PGM_RSRC3_GFX90A:ACCUM_OFFSET: 4
; COMPUTE_PGM_RSRC3_GFX90A:TG_SPLIT: 0
	.section	.text._ZN2at6native29vectorized_elementwise_kernelILi16EZZZNS0_17clamp_kernel_cudaERNS_18TensorIteratorBaseERKN3c106ScalarES7_ENKUlvE_clEvENKUlvE6_clEvEUlNS4_4HalfEE_St5arrayIPcLm2EEEEviT0_T1_,"axG",@progbits,_ZN2at6native29vectorized_elementwise_kernelILi16EZZZNS0_17clamp_kernel_cudaERNS_18TensorIteratorBaseERKN3c106ScalarES7_ENKUlvE_clEvENKUlvE6_clEvEUlNS4_4HalfEE_St5arrayIPcLm2EEEEviT0_T1_,comdat
	.globl	_ZN2at6native29vectorized_elementwise_kernelILi16EZZZNS0_17clamp_kernel_cudaERNS_18TensorIteratorBaseERKN3c106ScalarES7_ENKUlvE_clEvENKUlvE6_clEvEUlNS4_4HalfEE_St5arrayIPcLm2EEEEviT0_T1_ ; -- Begin function _ZN2at6native29vectorized_elementwise_kernelILi16EZZZNS0_17clamp_kernel_cudaERNS_18TensorIteratorBaseERKN3c106ScalarES7_ENKUlvE_clEvENKUlvE6_clEvEUlNS4_4HalfEE_St5arrayIPcLm2EEEEviT0_T1_
	.p2align	8
	.type	_ZN2at6native29vectorized_elementwise_kernelILi16EZZZNS0_17clamp_kernel_cudaERNS_18TensorIteratorBaseERKN3c106ScalarES7_ENKUlvE_clEvENKUlvE6_clEvEUlNS4_4HalfEE_St5arrayIPcLm2EEEEviT0_T1_,@function
_ZN2at6native29vectorized_elementwise_kernelILi16EZZZNS0_17clamp_kernel_cudaERNS_18TensorIteratorBaseERKN3c106ScalarES7_ENKUlvE_clEvENKUlvE6_clEvEUlNS4_4HalfEE_St5arrayIPcLm2EEEEviT0_T1_: ; @_ZN2at6native29vectorized_elementwise_kernelILi16EZZZNS0_17clamp_kernel_cudaERNS_18TensorIteratorBaseERKN3c106ScalarES7_ENKUlvE_clEvENKUlvE6_clEvEUlNS4_4HalfEE_St5arrayIPcLm2EEEEviT0_T1_
; %bb.0:
	s_load_dwordx2 s[8:9], s[0:1], 0x0
	s_load_dwordx4 s[4:7], s[0:1], 0x8
	s_lshl_b32 s2, s2, 11
	s_mov_b64 s[0:1], -1
	s_waitcnt lgkmcnt(0)
	s_sub_i32 s8, s8, s2
	s_cmpk_gt_i32 s8, 0x7ff
	s_cbranch_scc0 .LBB330_2
; %bb.1:
	s_ashr_i32 s3, s2, 31
	s_lshr_b32 s12, s9, 16
	s_lshl_b64 s[0:1], s[2:3], 1
	s_add_u32 s10, s6, s0
	s_addc_u32 s11, s7, s1
	v_lshlrev_b32_e32 v1, 4, v0
	global_load_dwordx4 v[2:5], v1, s[10:11]
	v_mov_b32_e32 v6, s9
	v_mov_b32_e32 v7, s12
	s_mov_b32 s3, 0x5040100
	s_add_u32 s0, s4, s0
	s_addc_u32 s1, s5, s1
	s_waitcnt vmcnt(0)
	v_cmp_lt_f16_e32 vcc, s9, v2
	s_nop 1
	v_cndmask_b32_e32 v12, v6, v2, vcc
	v_cmp_lt_f16_e32 vcc, s9, v3
	v_lshrrev_b32_e32 v8, 16, v2
	v_lshrrev_b32_e32 v9, 16, v3
	v_cndmask_b32_e32 v13, v6, v3, vcc
	v_cmp_lt_f16_e32 vcc, s9, v4
	v_lshrrev_b32_e32 v10, 16, v4
	v_lshrrev_b32_e32 v11, 16, v5
	v_cndmask_b32_e32 v14, v6, v4, vcc
	v_cmp_lt_f16_e32 vcc, s9, v5
	s_nop 1
	v_cndmask_b32_e32 v15, v6, v5, vcc
	v_cmp_gt_f16_e32 vcc, s12, v12
	s_nop 1
	v_cndmask_b32_e32 v12, v7, v12, vcc
	v_cmp_lt_f16_e32 vcc, s9, v8
	s_nop 1
	v_cndmask_b32_e32 v16, v6, v8, vcc
	v_cmp_gt_f16_e32 vcc, s12, v13
	s_nop 1
	;; [unrolled: 6-line block ×4, first 2 shown]
	v_cndmask_b32_e32 v15, v7, v15, vcc
	v_cmp_lt_f16_e32 vcc, s9, v11
	s_nop 1
	v_cndmask_b32_e32 v6, v6, v11, vcc
	v_cmp_u_f16_e32 vcc, v2, v2
	s_nop 1
	v_cndmask_b32_e32 v2, v12, v2, vcc
	v_cmp_gt_f16_e32 vcc, s12, v16
	s_nop 1
	v_cndmask_b32_e32 v12, v7, v16, vcc
	v_cmp_u_f16_e32 vcc, v3, v3
	s_nop 1
	v_cndmask_b32_e32 v3, v13, v3, vcc
	v_cmp_gt_f16_e32 vcc, s12, v17
	;; [unrolled: 6-line block ×4, first 2 shown]
	s_nop 1
	v_cndmask_b32_e32 v6, v7, v6, vcc
	v_cmp_u_f16_e32 vcc, v8, v8
	s_nop 1
	v_cndmask_b32_e32 v7, v12, v8, vcc
	v_cmp_u_f16_e32 vcc, v9, v9
	v_perm_b32 v2, v7, v2, s3
	s_nop 0
	v_cndmask_b32_e32 v8, v13, v9, vcc
	v_cmp_u_f16_e32 vcc, v10, v10
	v_perm_b32 v3, v8, v3, s3
	;; [unrolled: 4-line block ×3, first 2 shown]
	s_nop 0
	v_cndmask_b32_e32 v6, v6, v11, vcc
	v_perm_b32 v5, v6, v5, s3
	global_store_dwordx4 v1, v[2:5], s[0:1]
	s_mov_b64 s[0:1], 0
.LBB330_2:
	s_andn2_b64 vcc, exec, s[0:1]
	s_cbranch_vccnz .LBB330_43
; %bb.3:
	v_cmp_gt_i32_e32 vcc, s8, v0
	v_mov_b32_e32 v4, 0
	v_or_b32_e32 v2, s2, v0
	v_mov_b32_e32 v8, 0
	v_mov_b32_e32 v10, v0
	s_and_saveexec_b64 s[0:1], vcc
	s_cbranch_execz .LBB330_5
; %bb.4:
	v_mov_b32_e32 v3, 0
	v_lshl_add_u64 v[6:7], v[2:3], 1, s[6:7]
	global_load_ushort v8, v[6:7], off
	v_or_b32_e32 v10, 0x100, v0
.LBB330_5:
	s_or_b64 exec, exec, s[0:1]
	v_cmp_gt_i32_e64 s[0:1], s8, v10
	s_and_saveexec_b64 s[10:11], s[0:1]
	s_cbranch_execz .LBB330_7
; %bb.6:
	v_add_u32_e32 v4, s2, v10
	v_mov_b32_e32 v5, 0
	v_lshl_add_u64 v[4:5], v[4:5], 1, s[6:7]
	global_load_ushort v4, v[4:5], off
	v_add_u32_e32 v10, 0x100, v10
.LBB330_7:
	s_or_b64 exec, exec, s[10:11]
	v_cmp_gt_i32_e64 s[0:1], s8, v10
	v_mov_b32_e32 v5, 0
	v_mov_b32_e32 v9, 0
	s_and_saveexec_b64 s[10:11], s[0:1]
	s_cbranch_execz .LBB330_9
; %bb.8:
	v_add_u32_e32 v6, s2, v10
	v_mov_b32_e32 v7, 0
	v_lshl_add_u64 v[6:7], v[6:7], 1, s[6:7]
	global_load_ushort v9, v[6:7], off
	v_add_u32_e32 v10, 0x100, v10
.LBB330_9:
	s_or_b64 exec, exec, s[10:11]
	v_cmp_gt_i32_e64 s[0:1], s8, v10
	s_and_saveexec_b64 s[10:11], s[0:1]
	s_cbranch_execz .LBB330_11
; %bb.10:
	v_add_u32_e32 v6, s2, v10
	v_mov_b32_e32 v7, 0
	v_lshl_add_u64 v[6:7], v[6:7], 1, s[6:7]
	global_load_ushort v5, v[6:7], off
	v_add_u32_e32 v10, 0x100, v10
.LBB330_11:
	s_or_b64 exec, exec, s[10:11]
	v_cmp_gt_i32_e64 s[0:1], s8, v10
	v_mov_b32_e32 v3, 0
	v_mov_b32_e32 v7, 0
	s_and_saveexec_b64 s[10:11], s[0:1]
	s_cbranch_execz .LBB330_13
; %bb.12:
	v_add_u32_e32 v6, s2, v10
	v_mov_b32_e32 v7, 0
	v_lshl_add_u64 v[6:7], v[6:7], 1, s[6:7]
	global_load_ushort v7, v[6:7], off
	v_add_u32_e32 v10, 0x100, v10
.LBB330_13:
	s_or_b64 exec, exec, s[10:11]
	v_cmp_gt_i32_e64 s[0:1], s8, v10
	s_and_saveexec_b64 s[10:11], s[0:1]
	s_cbranch_execz .LBB330_15
; %bb.14:
	v_add_u32_e32 v12, s2, v10
	v_mov_b32_e32 v13, 0
	v_lshl_add_u64 v[12:13], v[12:13], 1, s[6:7]
	global_load_ushort v3, v[12:13], off
	v_add_u32_e32 v10, 0x100, v10
.LBB330_15:
	s_or_b64 exec, exec, s[10:11]
	v_cmp_gt_i32_e64 s[0:1], s8, v10
	v_mov_b32_e32 v1, 0
	v_mov_b32_e32 v6, 0
	s_and_saveexec_b64 s[10:11], s[0:1]
	s_cbranch_execz .LBB330_17
; %bb.16:
	v_add_u32_e32 v12, s2, v10
	v_mov_b32_e32 v13, 0
	v_lshl_add_u64 v[12:13], v[12:13], 1, s[6:7]
	global_load_ushort v6, v[12:13], off
	v_add_u32_e32 v10, 0x100, v10
	s_or_b64 exec, exec, s[10:11]
	v_cmp_gt_i32_e64 s[0:1], s8, v10
	s_and_saveexec_b64 s[10:11], s[0:1]
	s_cbranch_execz .LBB330_19
	s_branch .LBB330_18
.LBB330_17:
	s_or_b64 exec, exec, s[10:11]
	v_cmp_gt_i32_e64 s[0:1], s8, v10
	s_and_saveexec_b64 s[10:11], s[0:1]
	s_cbranch_execz .LBB330_19
.LBB330_18:
	v_add_u32_e32 v10, s2, v10
	v_mov_b32_e32 v11, 0
	v_lshl_add_u64 v[10:11], v[10:11], 1, s[6:7]
	global_load_ushort v1, v[10:11], off
.LBB330_19:
	s_or_b64 exec, exec, s[10:11]
	s_lshr_b32 s3, s9, 16
                                        ; implicit-def: $vgpr10
	s_and_saveexec_b64 s[6:7], vcc
	s_cbranch_execz .LBB330_21
; %bb.20:
	v_mov_b32_e32 v10, s9
	s_waitcnt vmcnt(0)
	v_cmp_lt_f16_e64 s[0:1], s9, v8
	v_mov_b32_e32 v11, s3
	s_nop 0
	v_cndmask_b32_e64 v10, v10, v8, s[0:1]
	v_cmp_gt_f16_e64 s[0:1], s3, v10
	s_nop 1
	v_cndmask_b32_e64 v10, v11, v10, s[0:1]
	v_cmp_u_f16_e64 s[0:1], v8, v8
	s_nop 1
	v_cndmask_b32_e64 v10, v10, v8, s[0:1]
.LBB330_21:
	s_or_b64 exec, exec, s[6:7]
	v_or_b32_e32 v11, 0x100, v0
	v_cmp_gt_i32_e64 s[0:1], s8, v11
                                        ; implicit-def: $vgpr8
	s_and_saveexec_b64 s[6:7], s[0:1]
	s_cbranch_execz .LBB330_23
; %bb.22:
	s_waitcnt vmcnt(0)
	v_mov_b32_e32 v8, s9
	v_cmp_lt_f16_e64 s[0:1], s9, v4
	v_mov_b32_e32 v12, s3
	s_nop 0
	v_cndmask_b32_e64 v8, v8, v4, s[0:1]
	v_cmp_gt_f16_e64 s[0:1], s3, v8
	s_nop 1
	v_cndmask_b32_e64 v8, v12, v8, s[0:1]
	v_cmp_u_f16_e64 s[0:1], v4, v4
	s_nop 1
	v_cndmask_b32_e64 v8, v8, v4, s[0:1]
.LBB330_23:
	s_or_b64 exec, exec, s[6:7]
	s_waitcnt vmcnt(0)
	v_or_b32_e32 v4, 0x200, v0
	v_cmp_gt_i32_e64 s[0:1], s8, v4
                                        ; implicit-def: $vgpr4
	s_and_saveexec_b64 s[6:7], s[0:1]
; %bb.24:
	v_mov_b32_e32 v4, s9
	v_cmp_lt_f16_e64 s[0:1], s9, v9
	v_mov_b32_e32 v12, s3
	s_nop 0
	v_cndmask_b32_e64 v4, v4, v9, s[0:1]
	v_cmp_gt_f16_e64 s[0:1], s3, v4
	s_nop 1
	v_cndmask_b32_e64 v4, v12, v4, s[0:1]
	v_cmp_u_f16_e64 s[0:1], v9, v9
	s_nop 1
	v_cndmask_b32_e64 v4, v4, v9, s[0:1]
; %bb.25:
	s_or_b64 exec, exec, s[6:7]
	v_or_b32_e32 v9, 0x300, v0
	v_cmp_gt_i32_e64 s[0:1], s8, v9
                                        ; implicit-def: $vgpr9
	s_and_saveexec_b64 s[6:7], s[0:1]
; %bb.26:
	v_mov_b32_e32 v9, s9
	v_cmp_lt_f16_e64 s[0:1], s9, v5
	v_mov_b32_e32 v12, s3
	s_nop 0
	v_cndmask_b32_e64 v9, v9, v5, s[0:1]
	v_cmp_gt_f16_e64 s[0:1], s3, v9
	s_nop 1
	v_cndmask_b32_e64 v9, v12, v9, s[0:1]
	v_cmp_u_f16_e64 s[0:1], v5, v5
	s_nop 1
	v_cndmask_b32_e64 v9, v9, v5, s[0:1]
; %bb.27:
	s_or_b64 exec, exec, s[6:7]
	v_or_b32_e32 v5, 0x400, v0
	v_cmp_gt_i32_e64 s[0:1], s8, v5
                                        ; implicit-def: $vgpr5
	s_and_saveexec_b64 s[6:7], s[0:1]
; %bb.28:
	v_mov_b32_e32 v5, s9
	v_cmp_lt_f16_e64 s[0:1], s9, v7
	v_mov_b32_e32 v12, s3
	s_nop 0
	v_cndmask_b32_e64 v5, v5, v7, s[0:1]
	v_cmp_gt_f16_e64 s[0:1], s3, v5
	s_nop 1
	v_cndmask_b32_e64 v5, v12, v5, s[0:1]
	v_cmp_u_f16_e64 s[0:1], v7, v7
	s_nop 1
	v_cndmask_b32_e64 v5, v5, v7, s[0:1]
; %bb.29:
	s_or_b64 exec, exec, s[6:7]
	v_or_b32_e32 v7, 0x500, v0
	v_cmp_gt_i32_e64 s[0:1], s8, v7
                                        ; implicit-def: $vgpr7
	s_and_saveexec_b64 s[6:7], s[0:1]
; %bb.30:
	v_mov_b32_e32 v7, s9
	v_cmp_lt_f16_e64 s[0:1], s9, v3
	v_mov_b32_e32 v12, s3
	s_nop 0
	v_cndmask_b32_e64 v7, v7, v3, s[0:1]
	v_cmp_gt_f16_e64 s[0:1], s3, v7
	s_nop 1
	v_cndmask_b32_e64 v7, v12, v7, s[0:1]
	v_cmp_u_f16_e64 s[0:1], v3, v3
	s_nop 1
	v_cndmask_b32_e64 v7, v7, v3, s[0:1]
; %bb.31:
	s_or_b64 exec, exec, s[6:7]
	v_or_b32_e32 v3, 0x600, v0
	v_cmp_gt_i32_e64 s[0:1], s8, v3
                                        ; implicit-def: $vgpr12
	s_and_saveexec_b64 s[6:7], s[0:1]
; %bb.32:
	v_mov_b32_e32 v3, s9
	v_cmp_lt_f16_e64 s[0:1], s9, v6
	v_mov_b32_e32 v12, s3
	s_nop 0
	v_cndmask_b32_e64 v3, v3, v6, s[0:1]
	v_cmp_gt_f16_e64 s[0:1], s3, v3
	s_nop 1
	v_cndmask_b32_e64 v3, v12, v3, s[0:1]
	v_cmp_u_f16_e64 s[0:1], v6, v6
	s_nop 1
	v_cndmask_b32_e64 v12, v3, v6, s[0:1]
; %bb.33:
	s_or_b64 exec, exec, s[6:7]
	v_or_b32_e32 v3, 0x700, v0
	v_cmp_gt_i32_e64 s[0:1], s8, v3
                                        ; implicit-def: $vgpr6
	s_and_saveexec_b64 s[6:7], s[0:1]
	s_cbranch_execz .LBB330_44
; %bb.34:
	v_mov_b32_e32 v3, s9
	v_cmp_lt_f16_e64 s[0:1], s9, v1
	v_mov_b32_e32 v6, s3
	s_nop 0
	v_cndmask_b32_e64 v3, v3, v1, s[0:1]
	v_cmp_gt_f16_e64 s[0:1], s3, v3
	s_nop 1
	v_cndmask_b32_e64 v3, v6, v3, s[0:1]
	v_cmp_u_f16_e64 s[0:1], v1, v1
	s_nop 1
	v_cndmask_b32_e64 v6, v3, v1, s[0:1]
	s_or_b64 exec, exec, s[6:7]
	s_and_saveexec_b64 s[0:1], vcc
	s_xor_b64 s[0:1], exec, s[0:1]
	s_cbranch_execnz .LBB330_45
.LBB330_35:
	s_or_b64 exec, exec, s[0:1]
	v_cmp_gt_i32_e32 vcc, s8, v0
	s_and_saveexec_b64 s[0:1], vcc
	s_cbranch_execz .LBB330_46
.LBB330_36:
	v_add_u32_e32 v2, s2, v0
	v_mov_b32_e32 v3, 0
	v_lshl_add_u64 v[2:3], v[2:3], 1, s[4:5]
	v_add_u32_e32 v0, 0x100, v0
	global_store_short v[2:3], v8, off
	s_or_b64 exec, exec, s[0:1]
	v_cmp_gt_i32_e32 vcc, s8, v0
	s_and_saveexec_b64 s[0:1], vcc
	s_cbranch_execnz .LBB330_47
.LBB330_37:
	s_or_b64 exec, exec, s[0:1]
	v_cmp_gt_i32_e32 vcc, s8, v0
	s_and_saveexec_b64 s[0:1], vcc
	s_cbranch_execz .LBB330_48
.LBB330_38:
	v_add_u32_e32 v2, s2, v0
	v_mov_b32_e32 v3, 0
	v_lshl_add_u64 v[2:3], v[2:3], 1, s[4:5]
	v_add_u32_e32 v0, 0x100, v0
	global_store_short v[2:3], v9, off
	s_or_b64 exec, exec, s[0:1]
	v_cmp_gt_i32_e32 vcc, s8, v0
	s_and_saveexec_b64 s[0:1], vcc
	s_cbranch_execnz .LBB330_49
.LBB330_39:
	s_or_b64 exec, exec, s[0:1]
	v_cmp_gt_i32_e32 vcc, s8, v0
	s_and_saveexec_b64 s[0:1], vcc
	s_cbranch_execz .LBB330_50
.LBB330_40:
	v_add_u32_e32 v2, s2, v0
	v_mov_b32_e32 v3, 0
	v_lshl_add_u64 v[2:3], v[2:3], 1, s[4:5]
	v_add_u32_e32 v0, 0x100, v0
	global_store_short v[2:3], v7, off
	s_or_b64 exec, exec, s[0:1]
	v_cmp_gt_i32_e32 vcc, s8, v0
	s_and_saveexec_b64 s[0:1], vcc
	s_cbranch_execnz .LBB330_51
.LBB330_41:
	s_or_b64 exec, exec, s[0:1]
	v_cmp_gt_i32_e32 vcc, s8, v0
	s_and_saveexec_b64 s[0:1], vcc
	s_cbranch_execz .LBB330_43
.LBB330_42:
	v_add_u32_e32 v0, s2, v0
	v_mov_b32_e32 v1, 0
	v_lshl_add_u64 v[0:1], v[0:1], 1, s[4:5]
	global_store_short v[0:1], v6, off
.LBB330_43:
	s_endpgm
.LBB330_44:
	s_or_b64 exec, exec, s[6:7]
	s_and_saveexec_b64 s[0:1], vcc
	s_xor_b64 s[0:1], exec, s[0:1]
	s_cbranch_execz .LBB330_35
.LBB330_45:
	v_mov_b32_e32 v3, 0
	v_lshl_add_u64 v[0:1], v[2:3], 1, s[4:5]
	global_store_short v[0:1], v10, off
	v_mov_b32_e32 v0, v11
	s_or_b64 exec, exec, s[0:1]
	v_cmp_gt_i32_e32 vcc, s8, v0
	s_and_saveexec_b64 s[0:1], vcc
	s_cbranch_execnz .LBB330_36
.LBB330_46:
	s_or_b64 exec, exec, s[0:1]
	v_cmp_gt_i32_e32 vcc, s8, v0
	s_and_saveexec_b64 s[0:1], vcc
	s_cbranch_execz .LBB330_37
.LBB330_47:
	v_add_u32_e32 v2, s2, v0
	v_mov_b32_e32 v3, 0
	v_lshl_add_u64 v[2:3], v[2:3], 1, s[4:5]
	v_add_u32_e32 v0, 0x100, v0
	global_store_short v[2:3], v4, off
	s_or_b64 exec, exec, s[0:1]
	v_cmp_gt_i32_e32 vcc, s8, v0
	s_and_saveexec_b64 s[0:1], vcc
	s_cbranch_execnz .LBB330_38
.LBB330_48:
	s_or_b64 exec, exec, s[0:1]
	v_cmp_gt_i32_e32 vcc, s8, v0
	s_and_saveexec_b64 s[0:1], vcc
	s_cbranch_execz .LBB330_39
.LBB330_49:
	v_add_u32_e32 v2, s2, v0
	v_mov_b32_e32 v3, 0
	v_lshl_add_u64 v[2:3], v[2:3], 1, s[4:5]
	v_add_u32_e32 v0, 0x100, v0
	global_store_short v[2:3], v5, off
	s_or_b64 exec, exec, s[0:1]
	v_cmp_gt_i32_e32 vcc, s8, v0
	s_and_saveexec_b64 s[0:1], vcc
	s_cbranch_execnz .LBB330_40
.LBB330_50:
	s_or_b64 exec, exec, s[0:1]
	v_cmp_gt_i32_e32 vcc, s8, v0
	s_and_saveexec_b64 s[0:1], vcc
	s_cbranch_execz .LBB330_41
.LBB330_51:
	v_add_u32_e32 v2, s2, v0
	v_mov_b32_e32 v3, 0
	v_lshl_add_u64 v[2:3], v[2:3], 1, s[4:5]
	v_add_u32_e32 v0, 0x100, v0
	global_store_short v[2:3], v12, off
	s_or_b64 exec, exec, s[0:1]
	v_cmp_gt_i32_e32 vcc, s8, v0
	s_and_saveexec_b64 s[0:1], vcc
	s_cbranch_execnz .LBB330_42
	s_branch .LBB330_43
	.section	.rodata,"a",@progbits
	.p2align	6, 0x0
	.amdhsa_kernel _ZN2at6native29vectorized_elementwise_kernelILi16EZZZNS0_17clamp_kernel_cudaERNS_18TensorIteratorBaseERKN3c106ScalarES7_ENKUlvE_clEvENKUlvE6_clEvEUlNS4_4HalfEE_St5arrayIPcLm2EEEEviT0_T1_
		.amdhsa_group_segment_fixed_size 0
		.amdhsa_private_segment_fixed_size 0
		.amdhsa_kernarg_size 24
		.amdhsa_user_sgpr_count 2
		.amdhsa_user_sgpr_dispatch_ptr 0
		.amdhsa_user_sgpr_queue_ptr 0
		.amdhsa_user_sgpr_kernarg_segment_ptr 1
		.amdhsa_user_sgpr_dispatch_id 0
		.amdhsa_user_sgpr_kernarg_preload_length 0
		.amdhsa_user_sgpr_kernarg_preload_offset 0
		.amdhsa_user_sgpr_private_segment_size 0
		.amdhsa_uses_dynamic_stack 0
		.amdhsa_enable_private_segment 0
		.amdhsa_system_sgpr_workgroup_id_x 1
		.amdhsa_system_sgpr_workgroup_id_y 0
		.amdhsa_system_sgpr_workgroup_id_z 0
		.amdhsa_system_sgpr_workgroup_info 0
		.amdhsa_system_vgpr_workitem_id 0
		.amdhsa_next_free_vgpr 19
		.amdhsa_next_free_sgpr 13
		.amdhsa_accum_offset 20
		.amdhsa_reserve_vcc 1
		.amdhsa_float_round_mode_32 0
		.amdhsa_float_round_mode_16_64 0
		.amdhsa_float_denorm_mode_32 3
		.amdhsa_float_denorm_mode_16_64 3
		.amdhsa_dx10_clamp 1
		.amdhsa_ieee_mode 1
		.amdhsa_fp16_overflow 0
		.amdhsa_tg_split 0
		.amdhsa_exception_fp_ieee_invalid_op 0
		.amdhsa_exception_fp_denorm_src 0
		.amdhsa_exception_fp_ieee_div_zero 0
		.amdhsa_exception_fp_ieee_overflow 0
		.amdhsa_exception_fp_ieee_underflow 0
		.amdhsa_exception_fp_ieee_inexact 0
		.amdhsa_exception_int_div_zero 0
	.end_amdhsa_kernel
	.section	.text._ZN2at6native29vectorized_elementwise_kernelILi16EZZZNS0_17clamp_kernel_cudaERNS_18TensorIteratorBaseERKN3c106ScalarES7_ENKUlvE_clEvENKUlvE6_clEvEUlNS4_4HalfEE_St5arrayIPcLm2EEEEviT0_T1_,"axG",@progbits,_ZN2at6native29vectorized_elementwise_kernelILi16EZZZNS0_17clamp_kernel_cudaERNS_18TensorIteratorBaseERKN3c106ScalarES7_ENKUlvE_clEvENKUlvE6_clEvEUlNS4_4HalfEE_St5arrayIPcLm2EEEEviT0_T1_,comdat
.Lfunc_end330:
	.size	_ZN2at6native29vectorized_elementwise_kernelILi16EZZZNS0_17clamp_kernel_cudaERNS_18TensorIteratorBaseERKN3c106ScalarES7_ENKUlvE_clEvENKUlvE6_clEvEUlNS4_4HalfEE_St5arrayIPcLm2EEEEviT0_T1_, .Lfunc_end330-_ZN2at6native29vectorized_elementwise_kernelILi16EZZZNS0_17clamp_kernel_cudaERNS_18TensorIteratorBaseERKN3c106ScalarES7_ENKUlvE_clEvENKUlvE6_clEvEUlNS4_4HalfEE_St5arrayIPcLm2EEEEviT0_T1_
                                        ; -- End function
	.set _ZN2at6native29vectorized_elementwise_kernelILi16EZZZNS0_17clamp_kernel_cudaERNS_18TensorIteratorBaseERKN3c106ScalarES7_ENKUlvE_clEvENKUlvE6_clEvEUlNS4_4HalfEE_St5arrayIPcLm2EEEEviT0_T1_.num_vgpr, 19
	.set _ZN2at6native29vectorized_elementwise_kernelILi16EZZZNS0_17clamp_kernel_cudaERNS_18TensorIteratorBaseERKN3c106ScalarES7_ENKUlvE_clEvENKUlvE6_clEvEUlNS4_4HalfEE_St5arrayIPcLm2EEEEviT0_T1_.num_agpr, 0
	.set _ZN2at6native29vectorized_elementwise_kernelILi16EZZZNS0_17clamp_kernel_cudaERNS_18TensorIteratorBaseERKN3c106ScalarES7_ENKUlvE_clEvENKUlvE6_clEvEUlNS4_4HalfEE_St5arrayIPcLm2EEEEviT0_T1_.numbered_sgpr, 13
	.set _ZN2at6native29vectorized_elementwise_kernelILi16EZZZNS0_17clamp_kernel_cudaERNS_18TensorIteratorBaseERKN3c106ScalarES7_ENKUlvE_clEvENKUlvE6_clEvEUlNS4_4HalfEE_St5arrayIPcLm2EEEEviT0_T1_.num_named_barrier, 0
	.set _ZN2at6native29vectorized_elementwise_kernelILi16EZZZNS0_17clamp_kernel_cudaERNS_18TensorIteratorBaseERKN3c106ScalarES7_ENKUlvE_clEvENKUlvE6_clEvEUlNS4_4HalfEE_St5arrayIPcLm2EEEEviT0_T1_.private_seg_size, 0
	.set _ZN2at6native29vectorized_elementwise_kernelILi16EZZZNS0_17clamp_kernel_cudaERNS_18TensorIteratorBaseERKN3c106ScalarES7_ENKUlvE_clEvENKUlvE6_clEvEUlNS4_4HalfEE_St5arrayIPcLm2EEEEviT0_T1_.uses_vcc, 1
	.set _ZN2at6native29vectorized_elementwise_kernelILi16EZZZNS0_17clamp_kernel_cudaERNS_18TensorIteratorBaseERKN3c106ScalarES7_ENKUlvE_clEvENKUlvE6_clEvEUlNS4_4HalfEE_St5arrayIPcLm2EEEEviT0_T1_.uses_flat_scratch, 0
	.set _ZN2at6native29vectorized_elementwise_kernelILi16EZZZNS0_17clamp_kernel_cudaERNS_18TensorIteratorBaseERKN3c106ScalarES7_ENKUlvE_clEvENKUlvE6_clEvEUlNS4_4HalfEE_St5arrayIPcLm2EEEEviT0_T1_.has_dyn_sized_stack, 0
	.set _ZN2at6native29vectorized_elementwise_kernelILi16EZZZNS0_17clamp_kernel_cudaERNS_18TensorIteratorBaseERKN3c106ScalarES7_ENKUlvE_clEvENKUlvE6_clEvEUlNS4_4HalfEE_St5arrayIPcLm2EEEEviT0_T1_.has_recursion, 0
	.set _ZN2at6native29vectorized_elementwise_kernelILi16EZZZNS0_17clamp_kernel_cudaERNS_18TensorIteratorBaseERKN3c106ScalarES7_ENKUlvE_clEvENKUlvE6_clEvEUlNS4_4HalfEE_St5arrayIPcLm2EEEEviT0_T1_.has_indirect_call, 0
	.section	.AMDGPU.csdata,"",@progbits
; Kernel info:
; codeLenInByte = 2160
; TotalNumSgprs: 19
; NumVgprs: 19
; NumAgprs: 0
; TotalNumVgprs: 19
; ScratchSize: 0
; MemoryBound: 0
; FloatMode: 240
; IeeeMode: 1
; LDSByteSize: 0 bytes/workgroup (compile time only)
; SGPRBlocks: 2
; VGPRBlocks: 2
; NumSGPRsForWavesPerEU: 19
; NumVGPRsForWavesPerEU: 19
; AccumOffset: 20
; Occupancy: 8
; WaveLimiterHint : 0
; COMPUTE_PGM_RSRC2:SCRATCH_EN: 0
; COMPUTE_PGM_RSRC2:USER_SGPR: 2
; COMPUTE_PGM_RSRC2:TRAP_HANDLER: 0
; COMPUTE_PGM_RSRC2:TGID_X_EN: 1
; COMPUTE_PGM_RSRC2:TGID_Y_EN: 0
; COMPUTE_PGM_RSRC2:TGID_Z_EN: 0
; COMPUTE_PGM_RSRC2:TIDIG_COMP_CNT: 0
; COMPUTE_PGM_RSRC3_GFX90A:ACCUM_OFFSET: 4
; COMPUTE_PGM_RSRC3_GFX90A:TG_SPLIT: 0
	.section	.text._ZN2at6native29vectorized_elementwise_kernelILi8EZZZNS0_17clamp_kernel_cudaERNS_18TensorIteratorBaseERKN3c106ScalarES7_ENKUlvE_clEvENKUlvE6_clEvEUlNS4_4HalfEE_St5arrayIPcLm2EEEEviT0_T1_,"axG",@progbits,_ZN2at6native29vectorized_elementwise_kernelILi8EZZZNS0_17clamp_kernel_cudaERNS_18TensorIteratorBaseERKN3c106ScalarES7_ENKUlvE_clEvENKUlvE6_clEvEUlNS4_4HalfEE_St5arrayIPcLm2EEEEviT0_T1_,comdat
	.globl	_ZN2at6native29vectorized_elementwise_kernelILi8EZZZNS0_17clamp_kernel_cudaERNS_18TensorIteratorBaseERKN3c106ScalarES7_ENKUlvE_clEvENKUlvE6_clEvEUlNS4_4HalfEE_St5arrayIPcLm2EEEEviT0_T1_ ; -- Begin function _ZN2at6native29vectorized_elementwise_kernelILi8EZZZNS0_17clamp_kernel_cudaERNS_18TensorIteratorBaseERKN3c106ScalarES7_ENKUlvE_clEvENKUlvE6_clEvEUlNS4_4HalfEE_St5arrayIPcLm2EEEEviT0_T1_
	.p2align	8
	.type	_ZN2at6native29vectorized_elementwise_kernelILi8EZZZNS0_17clamp_kernel_cudaERNS_18TensorIteratorBaseERKN3c106ScalarES7_ENKUlvE_clEvENKUlvE6_clEvEUlNS4_4HalfEE_St5arrayIPcLm2EEEEviT0_T1_,@function
_ZN2at6native29vectorized_elementwise_kernelILi8EZZZNS0_17clamp_kernel_cudaERNS_18TensorIteratorBaseERKN3c106ScalarES7_ENKUlvE_clEvENKUlvE6_clEvEUlNS4_4HalfEE_St5arrayIPcLm2EEEEviT0_T1_: ; @_ZN2at6native29vectorized_elementwise_kernelILi8EZZZNS0_17clamp_kernel_cudaERNS_18TensorIteratorBaseERKN3c106ScalarES7_ENKUlvE_clEvENKUlvE6_clEvEUlNS4_4HalfEE_St5arrayIPcLm2EEEEviT0_T1_
; %bb.0:
	s_load_dwordx2 s[8:9], s[0:1], 0x0
	s_load_dwordx4 s[4:7], s[0:1], 0x8
	s_lshl_b32 s2, s2, 11
	s_mov_b64 s[0:1], -1
	s_waitcnt lgkmcnt(0)
	s_sub_i32 s8, s8, s2
	s_cmpk_gt_i32 s8, 0x7ff
	s_cbranch_scc0 .LBB331_2
; %bb.1:
	s_ashr_i32 s3, s2, 31
	s_lshr_b32 s12, s9, 16
	s_lshl_b64 s[0:1], s[2:3], 1
	s_add_u32 s10, s6, s0
	s_addc_u32 s11, s7, s1
	v_lshlrev_b32_e32 v1, 4, v0
	global_load_dwordx4 v[2:5], v1, s[10:11]
	v_mov_b32_e32 v6, s9
	v_mov_b32_e32 v7, s12
	s_mov_b32 s3, 0x5040100
	s_add_u32 s0, s4, s0
	s_addc_u32 s1, s5, s1
	s_waitcnt vmcnt(0)
	v_cmp_lt_f16_e32 vcc, s9, v2
	s_nop 1
	v_cndmask_b32_e32 v12, v6, v2, vcc
	v_cmp_lt_f16_e32 vcc, s9, v3
	v_lshrrev_b32_e32 v8, 16, v2
	v_lshrrev_b32_e32 v9, 16, v3
	v_cndmask_b32_e32 v13, v6, v3, vcc
	v_cmp_lt_f16_e32 vcc, s9, v4
	v_lshrrev_b32_e32 v10, 16, v4
	v_lshrrev_b32_e32 v11, 16, v5
	v_cndmask_b32_e32 v14, v6, v4, vcc
	v_cmp_lt_f16_e32 vcc, s9, v5
	s_nop 1
	v_cndmask_b32_e32 v15, v6, v5, vcc
	v_cmp_gt_f16_e32 vcc, s12, v12
	s_nop 1
	v_cndmask_b32_e32 v12, v7, v12, vcc
	v_cmp_lt_f16_e32 vcc, s9, v8
	s_nop 1
	v_cndmask_b32_e32 v16, v6, v8, vcc
	v_cmp_gt_f16_e32 vcc, s12, v13
	s_nop 1
	v_cndmask_b32_e32 v13, v7, v13, vcc
	v_cmp_lt_f16_e32 vcc, s9, v9
	s_nop 1
	v_cndmask_b32_e32 v17, v6, v9, vcc
	v_cmp_gt_f16_e32 vcc, s12, v14
	s_nop 1
	v_cndmask_b32_e32 v14, v7, v14, vcc
	v_cmp_lt_f16_e32 vcc, s9, v10
	s_nop 1
	v_cndmask_b32_e32 v18, v6, v10, vcc
	v_cmp_gt_f16_e32 vcc, s12, v15
	s_nop 1
	v_cndmask_b32_e32 v15, v7, v15, vcc
	v_cmp_lt_f16_e32 vcc, s9, v11
	s_nop 1
	v_cndmask_b32_e32 v6, v6, v11, vcc
	v_cmp_u_f16_e32 vcc, v2, v2
	s_nop 1
	v_cndmask_b32_e32 v2, v12, v2, vcc
	v_cmp_gt_f16_e32 vcc, s12, v16
	s_nop 1
	v_cndmask_b32_e32 v12, v7, v16, vcc
	v_cmp_u_f16_e32 vcc, v3, v3
	s_nop 1
	v_cndmask_b32_e32 v3, v13, v3, vcc
	v_cmp_gt_f16_e32 vcc, s12, v17
	;; [unrolled: 6-line block ×4, first 2 shown]
	s_nop 1
	v_cndmask_b32_e32 v6, v7, v6, vcc
	v_cmp_u_f16_e32 vcc, v8, v8
	s_nop 1
	v_cndmask_b32_e32 v7, v12, v8, vcc
	v_cmp_u_f16_e32 vcc, v9, v9
	v_perm_b32 v2, v7, v2, s3
	s_nop 0
	v_cndmask_b32_e32 v8, v13, v9, vcc
	v_cmp_u_f16_e32 vcc, v10, v10
	v_perm_b32 v3, v8, v3, s3
	s_nop 0
	v_cndmask_b32_e32 v9, v14, v10, vcc
	v_cmp_u_f16_e32 vcc, v11, v11
	v_perm_b32 v4, v9, v4, s3
	s_nop 0
	v_cndmask_b32_e32 v6, v6, v11, vcc
	v_perm_b32 v5, v6, v5, s3
	global_store_dwordx4 v1, v[2:5], s[0:1]
	s_mov_b64 s[0:1], 0
.LBB331_2:
	s_andn2_b64 vcc, exec, s[0:1]
	s_cbranch_vccnz .LBB331_43
; %bb.3:
	v_cmp_gt_i32_e32 vcc, s8, v0
	v_mov_b32_e32 v4, 0
	v_or_b32_e32 v2, s2, v0
	v_mov_b32_e32 v8, 0
	v_mov_b32_e32 v10, v0
	s_and_saveexec_b64 s[0:1], vcc
	s_cbranch_execz .LBB331_5
; %bb.4:
	v_mov_b32_e32 v3, 0
	v_lshl_add_u64 v[6:7], v[2:3], 1, s[6:7]
	global_load_ushort v8, v[6:7], off
	v_or_b32_e32 v10, 0x100, v0
.LBB331_5:
	s_or_b64 exec, exec, s[0:1]
	v_cmp_gt_i32_e64 s[0:1], s8, v10
	s_and_saveexec_b64 s[10:11], s[0:1]
	s_cbranch_execz .LBB331_7
; %bb.6:
	v_add_u32_e32 v4, s2, v10
	v_mov_b32_e32 v5, 0
	v_lshl_add_u64 v[4:5], v[4:5], 1, s[6:7]
	global_load_ushort v4, v[4:5], off
	v_add_u32_e32 v10, 0x100, v10
.LBB331_7:
	s_or_b64 exec, exec, s[10:11]
	v_cmp_gt_i32_e64 s[0:1], s8, v10
	v_mov_b32_e32 v5, 0
	v_mov_b32_e32 v9, 0
	s_and_saveexec_b64 s[10:11], s[0:1]
	s_cbranch_execz .LBB331_9
; %bb.8:
	v_add_u32_e32 v6, s2, v10
	v_mov_b32_e32 v7, 0
	v_lshl_add_u64 v[6:7], v[6:7], 1, s[6:7]
	global_load_ushort v9, v[6:7], off
	v_add_u32_e32 v10, 0x100, v10
.LBB331_9:
	s_or_b64 exec, exec, s[10:11]
	v_cmp_gt_i32_e64 s[0:1], s8, v10
	s_and_saveexec_b64 s[10:11], s[0:1]
	s_cbranch_execz .LBB331_11
; %bb.10:
	v_add_u32_e32 v6, s2, v10
	v_mov_b32_e32 v7, 0
	v_lshl_add_u64 v[6:7], v[6:7], 1, s[6:7]
	global_load_ushort v5, v[6:7], off
	v_add_u32_e32 v10, 0x100, v10
.LBB331_11:
	s_or_b64 exec, exec, s[10:11]
	v_cmp_gt_i32_e64 s[0:1], s8, v10
	v_mov_b32_e32 v3, 0
	v_mov_b32_e32 v7, 0
	s_and_saveexec_b64 s[10:11], s[0:1]
	s_cbranch_execz .LBB331_13
; %bb.12:
	v_add_u32_e32 v6, s2, v10
	v_mov_b32_e32 v7, 0
	v_lshl_add_u64 v[6:7], v[6:7], 1, s[6:7]
	global_load_ushort v7, v[6:7], off
	v_add_u32_e32 v10, 0x100, v10
.LBB331_13:
	s_or_b64 exec, exec, s[10:11]
	v_cmp_gt_i32_e64 s[0:1], s8, v10
	s_and_saveexec_b64 s[10:11], s[0:1]
	s_cbranch_execz .LBB331_15
; %bb.14:
	v_add_u32_e32 v12, s2, v10
	v_mov_b32_e32 v13, 0
	v_lshl_add_u64 v[12:13], v[12:13], 1, s[6:7]
	global_load_ushort v3, v[12:13], off
	v_add_u32_e32 v10, 0x100, v10
.LBB331_15:
	s_or_b64 exec, exec, s[10:11]
	v_cmp_gt_i32_e64 s[0:1], s8, v10
	v_mov_b32_e32 v1, 0
	v_mov_b32_e32 v6, 0
	s_and_saveexec_b64 s[10:11], s[0:1]
	s_cbranch_execz .LBB331_17
; %bb.16:
	v_add_u32_e32 v12, s2, v10
	v_mov_b32_e32 v13, 0
	v_lshl_add_u64 v[12:13], v[12:13], 1, s[6:7]
	global_load_ushort v6, v[12:13], off
	v_add_u32_e32 v10, 0x100, v10
	s_or_b64 exec, exec, s[10:11]
	v_cmp_gt_i32_e64 s[0:1], s8, v10
	s_and_saveexec_b64 s[10:11], s[0:1]
	s_cbranch_execz .LBB331_19
	s_branch .LBB331_18
.LBB331_17:
	s_or_b64 exec, exec, s[10:11]
	v_cmp_gt_i32_e64 s[0:1], s8, v10
	s_and_saveexec_b64 s[10:11], s[0:1]
	s_cbranch_execz .LBB331_19
.LBB331_18:
	v_add_u32_e32 v10, s2, v10
	v_mov_b32_e32 v11, 0
	v_lshl_add_u64 v[10:11], v[10:11], 1, s[6:7]
	global_load_ushort v1, v[10:11], off
.LBB331_19:
	s_or_b64 exec, exec, s[10:11]
	s_lshr_b32 s3, s9, 16
                                        ; implicit-def: $vgpr10
	s_and_saveexec_b64 s[6:7], vcc
	s_cbranch_execz .LBB331_21
; %bb.20:
	v_mov_b32_e32 v10, s9
	s_waitcnt vmcnt(0)
	v_cmp_lt_f16_e64 s[0:1], s9, v8
	v_mov_b32_e32 v11, s3
	s_nop 0
	v_cndmask_b32_e64 v10, v10, v8, s[0:1]
	v_cmp_gt_f16_e64 s[0:1], s3, v10
	s_nop 1
	v_cndmask_b32_e64 v10, v11, v10, s[0:1]
	v_cmp_u_f16_e64 s[0:1], v8, v8
	s_nop 1
	v_cndmask_b32_e64 v10, v10, v8, s[0:1]
.LBB331_21:
	s_or_b64 exec, exec, s[6:7]
	v_or_b32_e32 v11, 0x100, v0
	v_cmp_gt_i32_e64 s[0:1], s8, v11
                                        ; implicit-def: $vgpr8
	s_and_saveexec_b64 s[6:7], s[0:1]
	s_cbranch_execz .LBB331_23
; %bb.22:
	s_waitcnt vmcnt(0)
	v_mov_b32_e32 v8, s9
	v_cmp_lt_f16_e64 s[0:1], s9, v4
	v_mov_b32_e32 v12, s3
	s_nop 0
	v_cndmask_b32_e64 v8, v8, v4, s[0:1]
	v_cmp_gt_f16_e64 s[0:1], s3, v8
	s_nop 1
	v_cndmask_b32_e64 v8, v12, v8, s[0:1]
	v_cmp_u_f16_e64 s[0:1], v4, v4
	s_nop 1
	v_cndmask_b32_e64 v8, v8, v4, s[0:1]
.LBB331_23:
	s_or_b64 exec, exec, s[6:7]
	s_waitcnt vmcnt(0)
	v_or_b32_e32 v4, 0x200, v0
	v_cmp_gt_i32_e64 s[0:1], s8, v4
                                        ; implicit-def: $vgpr4
	s_and_saveexec_b64 s[6:7], s[0:1]
; %bb.24:
	v_mov_b32_e32 v4, s9
	v_cmp_lt_f16_e64 s[0:1], s9, v9
	v_mov_b32_e32 v12, s3
	s_nop 0
	v_cndmask_b32_e64 v4, v4, v9, s[0:1]
	v_cmp_gt_f16_e64 s[0:1], s3, v4
	s_nop 1
	v_cndmask_b32_e64 v4, v12, v4, s[0:1]
	v_cmp_u_f16_e64 s[0:1], v9, v9
	s_nop 1
	v_cndmask_b32_e64 v4, v4, v9, s[0:1]
; %bb.25:
	s_or_b64 exec, exec, s[6:7]
	v_or_b32_e32 v9, 0x300, v0
	v_cmp_gt_i32_e64 s[0:1], s8, v9
                                        ; implicit-def: $vgpr9
	s_and_saveexec_b64 s[6:7], s[0:1]
; %bb.26:
	v_mov_b32_e32 v9, s9
	v_cmp_lt_f16_e64 s[0:1], s9, v5
	v_mov_b32_e32 v12, s3
	s_nop 0
	v_cndmask_b32_e64 v9, v9, v5, s[0:1]
	v_cmp_gt_f16_e64 s[0:1], s3, v9
	s_nop 1
	v_cndmask_b32_e64 v9, v12, v9, s[0:1]
	v_cmp_u_f16_e64 s[0:1], v5, v5
	s_nop 1
	v_cndmask_b32_e64 v9, v9, v5, s[0:1]
; %bb.27:
	s_or_b64 exec, exec, s[6:7]
	v_or_b32_e32 v5, 0x400, v0
	v_cmp_gt_i32_e64 s[0:1], s8, v5
                                        ; implicit-def: $vgpr5
	s_and_saveexec_b64 s[6:7], s[0:1]
; %bb.28:
	v_mov_b32_e32 v5, s9
	v_cmp_lt_f16_e64 s[0:1], s9, v7
	v_mov_b32_e32 v12, s3
	s_nop 0
	v_cndmask_b32_e64 v5, v5, v7, s[0:1]
	v_cmp_gt_f16_e64 s[0:1], s3, v5
	s_nop 1
	v_cndmask_b32_e64 v5, v12, v5, s[0:1]
	v_cmp_u_f16_e64 s[0:1], v7, v7
	s_nop 1
	v_cndmask_b32_e64 v5, v5, v7, s[0:1]
; %bb.29:
	s_or_b64 exec, exec, s[6:7]
	v_or_b32_e32 v7, 0x500, v0
	v_cmp_gt_i32_e64 s[0:1], s8, v7
                                        ; implicit-def: $vgpr7
	s_and_saveexec_b64 s[6:7], s[0:1]
; %bb.30:
	v_mov_b32_e32 v7, s9
	v_cmp_lt_f16_e64 s[0:1], s9, v3
	v_mov_b32_e32 v12, s3
	s_nop 0
	v_cndmask_b32_e64 v7, v7, v3, s[0:1]
	v_cmp_gt_f16_e64 s[0:1], s3, v7
	s_nop 1
	v_cndmask_b32_e64 v7, v12, v7, s[0:1]
	v_cmp_u_f16_e64 s[0:1], v3, v3
	s_nop 1
	v_cndmask_b32_e64 v7, v7, v3, s[0:1]
; %bb.31:
	s_or_b64 exec, exec, s[6:7]
	v_or_b32_e32 v3, 0x600, v0
	v_cmp_gt_i32_e64 s[0:1], s8, v3
                                        ; implicit-def: $vgpr12
	s_and_saveexec_b64 s[6:7], s[0:1]
; %bb.32:
	v_mov_b32_e32 v3, s9
	v_cmp_lt_f16_e64 s[0:1], s9, v6
	v_mov_b32_e32 v12, s3
	s_nop 0
	v_cndmask_b32_e64 v3, v3, v6, s[0:1]
	v_cmp_gt_f16_e64 s[0:1], s3, v3
	s_nop 1
	v_cndmask_b32_e64 v3, v12, v3, s[0:1]
	v_cmp_u_f16_e64 s[0:1], v6, v6
	s_nop 1
	v_cndmask_b32_e64 v12, v3, v6, s[0:1]
; %bb.33:
	s_or_b64 exec, exec, s[6:7]
	v_or_b32_e32 v3, 0x700, v0
	v_cmp_gt_i32_e64 s[0:1], s8, v3
                                        ; implicit-def: $vgpr6
	s_and_saveexec_b64 s[6:7], s[0:1]
	s_cbranch_execz .LBB331_44
; %bb.34:
	v_mov_b32_e32 v3, s9
	v_cmp_lt_f16_e64 s[0:1], s9, v1
	v_mov_b32_e32 v6, s3
	s_nop 0
	v_cndmask_b32_e64 v3, v3, v1, s[0:1]
	v_cmp_gt_f16_e64 s[0:1], s3, v3
	s_nop 1
	v_cndmask_b32_e64 v3, v6, v3, s[0:1]
	v_cmp_u_f16_e64 s[0:1], v1, v1
	s_nop 1
	v_cndmask_b32_e64 v6, v3, v1, s[0:1]
	s_or_b64 exec, exec, s[6:7]
	s_and_saveexec_b64 s[0:1], vcc
	s_xor_b64 s[0:1], exec, s[0:1]
	s_cbranch_execnz .LBB331_45
.LBB331_35:
	s_or_b64 exec, exec, s[0:1]
	v_cmp_gt_i32_e32 vcc, s8, v0
	s_and_saveexec_b64 s[0:1], vcc
	s_cbranch_execz .LBB331_46
.LBB331_36:
	v_add_u32_e32 v2, s2, v0
	v_mov_b32_e32 v3, 0
	v_lshl_add_u64 v[2:3], v[2:3], 1, s[4:5]
	v_add_u32_e32 v0, 0x100, v0
	global_store_short v[2:3], v8, off
	s_or_b64 exec, exec, s[0:1]
	v_cmp_gt_i32_e32 vcc, s8, v0
	s_and_saveexec_b64 s[0:1], vcc
	s_cbranch_execnz .LBB331_47
.LBB331_37:
	s_or_b64 exec, exec, s[0:1]
	v_cmp_gt_i32_e32 vcc, s8, v0
	s_and_saveexec_b64 s[0:1], vcc
	s_cbranch_execz .LBB331_48
.LBB331_38:
	v_add_u32_e32 v2, s2, v0
	v_mov_b32_e32 v3, 0
	v_lshl_add_u64 v[2:3], v[2:3], 1, s[4:5]
	v_add_u32_e32 v0, 0x100, v0
	global_store_short v[2:3], v9, off
	s_or_b64 exec, exec, s[0:1]
	v_cmp_gt_i32_e32 vcc, s8, v0
	s_and_saveexec_b64 s[0:1], vcc
	s_cbranch_execnz .LBB331_49
.LBB331_39:
	s_or_b64 exec, exec, s[0:1]
	v_cmp_gt_i32_e32 vcc, s8, v0
	s_and_saveexec_b64 s[0:1], vcc
	s_cbranch_execz .LBB331_50
.LBB331_40:
	v_add_u32_e32 v2, s2, v0
	v_mov_b32_e32 v3, 0
	v_lshl_add_u64 v[2:3], v[2:3], 1, s[4:5]
	v_add_u32_e32 v0, 0x100, v0
	global_store_short v[2:3], v7, off
	s_or_b64 exec, exec, s[0:1]
	v_cmp_gt_i32_e32 vcc, s8, v0
	s_and_saveexec_b64 s[0:1], vcc
	s_cbranch_execnz .LBB331_51
.LBB331_41:
	s_or_b64 exec, exec, s[0:1]
	v_cmp_gt_i32_e32 vcc, s8, v0
	s_and_saveexec_b64 s[0:1], vcc
	s_cbranch_execz .LBB331_43
.LBB331_42:
	v_add_u32_e32 v0, s2, v0
	v_mov_b32_e32 v1, 0
	v_lshl_add_u64 v[0:1], v[0:1], 1, s[4:5]
	global_store_short v[0:1], v6, off
.LBB331_43:
	s_endpgm
.LBB331_44:
	s_or_b64 exec, exec, s[6:7]
	s_and_saveexec_b64 s[0:1], vcc
	s_xor_b64 s[0:1], exec, s[0:1]
	s_cbranch_execz .LBB331_35
.LBB331_45:
	v_mov_b32_e32 v3, 0
	v_lshl_add_u64 v[0:1], v[2:3], 1, s[4:5]
	global_store_short v[0:1], v10, off
	v_mov_b32_e32 v0, v11
	s_or_b64 exec, exec, s[0:1]
	v_cmp_gt_i32_e32 vcc, s8, v0
	s_and_saveexec_b64 s[0:1], vcc
	s_cbranch_execnz .LBB331_36
.LBB331_46:
	s_or_b64 exec, exec, s[0:1]
	v_cmp_gt_i32_e32 vcc, s8, v0
	s_and_saveexec_b64 s[0:1], vcc
	s_cbranch_execz .LBB331_37
.LBB331_47:
	v_add_u32_e32 v2, s2, v0
	v_mov_b32_e32 v3, 0
	v_lshl_add_u64 v[2:3], v[2:3], 1, s[4:5]
	v_add_u32_e32 v0, 0x100, v0
	global_store_short v[2:3], v4, off
	s_or_b64 exec, exec, s[0:1]
	v_cmp_gt_i32_e32 vcc, s8, v0
	s_and_saveexec_b64 s[0:1], vcc
	s_cbranch_execnz .LBB331_38
.LBB331_48:
	s_or_b64 exec, exec, s[0:1]
	v_cmp_gt_i32_e32 vcc, s8, v0
	s_and_saveexec_b64 s[0:1], vcc
	s_cbranch_execz .LBB331_39
.LBB331_49:
	v_add_u32_e32 v2, s2, v0
	v_mov_b32_e32 v3, 0
	v_lshl_add_u64 v[2:3], v[2:3], 1, s[4:5]
	v_add_u32_e32 v0, 0x100, v0
	global_store_short v[2:3], v5, off
	s_or_b64 exec, exec, s[0:1]
	v_cmp_gt_i32_e32 vcc, s8, v0
	s_and_saveexec_b64 s[0:1], vcc
	s_cbranch_execnz .LBB331_40
.LBB331_50:
	s_or_b64 exec, exec, s[0:1]
	v_cmp_gt_i32_e32 vcc, s8, v0
	s_and_saveexec_b64 s[0:1], vcc
	s_cbranch_execz .LBB331_41
.LBB331_51:
	v_add_u32_e32 v2, s2, v0
	v_mov_b32_e32 v3, 0
	v_lshl_add_u64 v[2:3], v[2:3], 1, s[4:5]
	v_add_u32_e32 v0, 0x100, v0
	global_store_short v[2:3], v12, off
	s_or_b64 exec, exec, s[0:1]
	v_cmp_gt_i32_e32 vcc, s8, v0
	s_and_saveexec_b64 s[0:1], vcc
	s_cbranch_execnz .LBB331_42
	s_branch .LBB331_43
	.section	.rodata,"a",@progbits
	.p2align	6, 0x0
	.amdhsa_kernel _ZN2at6native29vectorized_elementwise_kernelILi8EZZZNS0_17clamp_kernel_cudaERNS_18TensorIteratorBaseERKN3c106ScalarES7_ENKUlvE_clEvENKUlvE6_clEvEUlNS4_4HalfEE_St5arrayIPcLm2EEEEviT0_T1_
		.amdhsa_group_segment_fixed_size 0
		.amdhsa_private_segment_fixed_size 0
		.amdhsa_kernarg_size 24
		.amdhsa_user_sgpr_count 2
		.amdhsa_user_sgpr_dispatch_ptr 0
		.amdhsa_user_sgpr_queue_ptr 0
		.amdhsa_user_sgpr_kernarg_segment_ptr 1
		.amdhsa_user_sgpr_dispatch_id 0
		.amdhsa_user_sgpr_kernarg_preload_length 0
		.amdhsa_user_sgpr_kernarg_preload_offset 0
		.amdhsa_user_sgpr_private_segment_size 0
		.amdhsa_uses_dynamic_stack 0
		.amdhsa_enable_private_segment 0
		.amdhsa_system_sgpr_workgroup_id_x 1
		.amdhsa_system_sgpr_workgroup_id_y 0
		.amdhsa_system_sgpr_workgroup_id_z 0
		.amdhsa_system_sgpr_workgroup_info 0
		.amdhsa_system_vgpr_workitem_id 0
		.amdhsa_next_free_vgpr 19
		.amdhsa_next_free_sgpr 13
		.amdhsa_accum_offset 20
		.amdhsa_reserve_vcc 1
		.amdhsa_float_round_mode_32 0
		.amdhsa_float_round_mode_16_64 0
		.amdhsa_float_denorm_mode_32 3
		.amdhsa_float_denorm_mode_16_64 3
		.amdhsa_dx10_clamp 1
		.amdhsa_ieee_mode 1
		.amdhsa_fp16_overflow 0
		.amdhsa_tg_split 0
		.amdhsa_exception_fp_ieee_invalid_op 0
		.amdhsa_exception_fp_denorm_src 0
		.amdhsa_exception_fp_ieee_div_zero 0
		.amdhsa_exception_fp_ieee_overflow 0
		.amdhsa_exception_fp_ieee_underflow 0
		.amdhsa_exception_fp_ieee_inexact 0
		.amdhsa_exception_int_div_zero 0
	.end_amdhsa_kernel
	.section	.text._ZN2at6native29vectorized_elementwise_kernelILi8EZZZNS0_17clamp_kernel_cudaERNS_18TensorIteratorBaseERKN3c106ScalarES7_ENKUlvE_clEvENKUlvE6_clEvEUlNS4_4HalfEE_St5arrayIPcLm2EEEEviT0_T1_,"axG",@progbits,_ZN2at6native29vectorized_elementwise_kernelILi8EZZZNS0_17clamp_kernel_cudaERNS_18TensorIteratorBaseERKN3c106ScalarES7_ENKUlvE_clEvENKUlvE6_clEvEUlNS4_4HalfEE_St5arrayIPcLm2EEEEviT0_T1_,comdat
.Lfunc_end331:
	.size	_ZN2at6native29vectorized_elementwise_kernelILi8EZZZNS0_17clamp_kernel_cudaERNS_18TensorIteratorBaseERKN3c106ScalarES7_ENKUlvE_clEvENKUlvE6_clEvEUlNS4_4HalfEE_St5arrayIPcLm2EEEEviT0_T1_, .Lfunc_end331-_ZN2at6native29vectorized_elementwise_kernelILi8EZZZNS0_17clamp_kernel_cudaERNS_18TensorIteratorBaseERKN3c106ScalarES7_ENKUlvE_clEvENKUlvE6_clEvEUlNS4_4HalfEE_St5arrayIPcLm2EEEEviT0_T1_
                                        ; -- End function
	.set _ZN2at6native29vectorized_elementwise_kernelILi8EZZZNS0_17clamp_kernel_cudaERNS_18TensorIteratorBaseERKN3c106ScalarES7_ENKUlvE_clEvENKUlvE6_clEvEUlNS4_4HalfEE_St5arrayIPcLm2EEEEviT0_T1_.num_vgpr, 19
	.set _ZN2at6native29vectorized_elementwise_kernelILi8EZZZNS0_17clamp_kernel_cudaERNS_18TensorIteratorBaseERKN3c106ScalarES7_ENKUlvE_clEvENKUlvE6_clEvEUlNS4_4HalfEE_St5arrayIPcLm2EEEEviT0_T1_.num_agpr, 0
	.set _ZN2at6native29vectorized_elementwise_kernelILi8EZZZNS0_17clamp_kernel_cudaERNS_18TensorIteratorBaseERKN3c106ScalarES7_ENKUlvE_clEvENKUlvE6_clEvEUlNS4_4HalfEE_St5arrayIPcLm2EEEEviT0_T1_.numbered_sgpr, 13
	.set _ZN2at6native29vectorized_elementwise_kernelILi8EZZZNS0_17clamp_kernel_cudaERNS_18TensorIteratorBaseERKN3c106ScalarES7_ENKUlvE_clEvENKUlvE6_clEvEUlNS4_4HalfEE_St5arrayIPcLm2EEEEviT0_T1_.num_named_barrier, 0
	.set _ZN2at6native29vectorized_elementwise_kernelILi8EZZZNS0_17clamp_kernel_cudaERNS_18TensorIteratorBaseERKN3c106ScalarES7_ENKUlvE_clEvENKUlvE6_clEvEUlNS4_4HalfEE_St5arrayIPcLm2EEEEviT0_T1_.private_seg_size, 0
	.set _ZN2at6native29vectorized_elementwise_kernelILi8EZZZNS0_17clamp_kernel_cudaERNS_18TensorIteratorBaseERKN3c106ScalarES7_ENKUlvE_clEvENKUlvE6_clEvEUlNS4_4HalfEE_St5arrayIPcLm2EEEEviT0_T1_.uses_vcc, 1
	.set _ZN2at6native29vectorized_elementwise_kernelILi8EZZZNS0_17clamp_kernel_cudaERNS_18TensorIteratorBaseERKN3c106ScalarES7_ENKUlvE_clEvENKUlvE6_clEvEUlNS4_4HalfEE_St5arrayIPcLm2EEEEviT0_T1_.uses_flat_scratch, 0
	.set _ZN2at6native29vectorized_elementwise_kernelILi8EZZZNS0_17clamp_kernel_cudaERNS_18TensorIteratorBaseERKN3c106ScalarES7_ENKUlvE_clEvENKUlvE6_clEvEUlNS4_4HalfEE_St5arrayIPcLm2EEEEviT0_T1_.has_dyn_sized_stack, 0
	.set _ZN2at6native29vectorized_elementwise_kernelILi8EZZZNS0_17clamp_kernel_cudaERNS_18TensorIteratorBaseERKN3c106ScalarES7_ENKUlvE_clEvENKUlvE6_clEvEUlNS4_4HalfEE_St5arrayIPcLm2EEEEviT0_T1_.has_recursion, 0
	.set _ZN2at6native29vectorized_elementwise_kernelILi8EZZZNS0_17clamp_kernel_cudaERNS_18TensorIteratorBaseERKN3c106ScalarES7_ENKUlvE_clEvENKUlvE6_clEvEUlNS4_4HalfEE_St5arrayIPcLm2EEEEviT0_T1_.has_indirect_call, 0
	.section	.AMDGPU.csdata,"",@progbits
; Kernel info:
; codeLenInByte = 2160
; TotalNumSgprs: 19
; NumVgprs: 19
; NumAgprs: 0
; TotalNumVgprs: 19
; ScratchSize: 0
; MemoryBound: 0
; FloatMode: 240
; IeeeMode: 1
; LDSByteSize: 0 bytes/workgroup (compile time only)
; SGPRBlocks: 2
; VGPRBlocks: 2
; NumSGPRsForWavesPerEU: 19
; NumVGPRsForWavesPerEU: 19
; AccumOffset: 20
; Occupancy: 8
; WaveLimiterHint : 0
; COMPUTE_PGM_RSRC2:SCRATCH_EN: 0
; COMPUTE_PGM_RSRC2:USER_SGPR: 2
; COMPUTE_PGM_RSRC2:TRAP_HANDLER: 0
; COMPUTE_PGM_RSRC2:TGID_X_EN: 1
; COMPUTE_PGM_RSRC2:TGID_Y_EN: 0
; COMPUTE_PGM_RSRC2:TGID_Z_EN: 0
; COMPUTE_PGM_RSRC2:TIDIG_COMP_CNT: 0
; COMPUTE_PGM_RSRC3_GFX90A:ACCUM_OFFSET: 4
; COMPUTE_PGM_RSRC3_GFX90A:TG_SPLIT: 0
	.section	.text._ZN2at6native29vectorized_elementwise_kernelILi4EZZZNS0_17clamp_kernel_cudaERNS_18TensorIteratorBaseERKN3c106ScalarES7_ENKUlvE_clEvENKUlvE6_clEvEUlNS4_4HalfEE_St5arrayIPcLm2EEEEviT0_T1_,"axG",@progbits,_ZN2at6native29vectorized_elementwise_kernelILi4EZZZNS0_17clamp_kernel_cudaERNS_18TensorIteratorBaseERKN3c106ScalarES7_ENKUlvE_clEvENKUlvE6_clEvEUlNS4_4HalfEE_St5arrayIPcLm2EEEEviT0_T1_,comdat
	.globl	_ZN2at6native29vectorized_elementwise_kernelILi4EZZZNS0_17clamp_kernel_cudaERNS_18TensorIteratorBaseERKN3c106ScalarES7_ENKUlvE_clEvENKUlvE6_clEvEUlNS4_4HalfEE_St5arrayIPcLm2EEEEviT0_T1_ ; -- Begin function _ZN2at6native29vectorized_elementwise_kernelILi4EZZZNS0_17clamp_kernel_cudaERNS_18TensorIteratorBaseERKN3c106ScalarES7_ENKUlvE_clEvENKUlvE6_clEvEUlNS4_4HalfEE_St5arrayIPcLm2EEEEviT0_T1_
	.p2align	8
	.type	_ZN2at6native29vectorized_elementwise_kernelILi4EZZZNS0_17clamp_kernel_cudaERNS_18TensorIteratorBaseERKN3c106ScalarES7_ENKUlvE_clEvENKUlvE6_clEvEUlNS4_4HalfEE_St5arrayIPcLm2EEEEviT0_T1_,@function
_ZN2at6native29vectorized_elementwise_kernelILi4EZZZNS0_17clamp_kernel_cudaERNS_18TensorIteratorBaseERKN3c106ScalarES7_ENKUlvE_clEvENKUlvE6_clEvEUlNS4_4HalfEE_St5arrayIPcLm2EEEEviT0_T1_: ; @_ZN2at6native29vectorized_elementwise_kernelILi4EZZZNS0_17clamp_kernel_cudaERNS_18TensorIteratorBaseERKN3c106ScalarES7_ENKUlvE_clEvENKUlvE6_clEvEUlNS4_4HalfEE_St5arrayIPcLm2EEEEviT0_T1_
; %bb.0:
	s_load_dwordx2 s[8:9], s[0:1], 0x0
	s_load_dwordx4 s[4:7], s[0:1], 0x8
	s_lshl_b32 s2, s2, 11
	s_mov_b64 s[0:1], -1
	s_waitcnt lgkmcnt(0)
	s_sub_i32 s8, s8, s2
	s_cmpk_gt_i32 s8, 0x7ff
	s_cbranch_scc0 .LBB332_2
; %bb.1:
	s_ashr_i32 s3, s2, 31
	s_lshr_b32 s12, s9, 16
	s_lshl_b64 s[0:1], s[2:3], 1
	s_add_u32 s10, s6, s0
	s_addc_u32 s11, s7, s1
	v_lshlrev_b32_e32 v1, 3, v0
	global_load_dwordx2 v[2:3], v1, s[10:11]
	global_load_dwordx2 v[4:5], v1, s[10:11] offset:2048
	v_mov_b32_e32 v6, s9
	v_mov_b32_e32 v7, s12
	s_add_u32 s0, s4, s0
	s_addc_u32 s1, s5, s1
	s_waitcnt vmcnt(1)
	v_cmp_lt_f16_e32 vcc, s9, v2
	s_nop 1
	v_cndmask_b32_e32 v8, v6, v2, vcc
	v_cmp_lt_f16_e32 vcc, s9, v3
	v_lshrrev_b32_e32 v9, 16, v2
	v_lshrrev_b32_e32 v11, 16, v3
	v_cndmask_b32_e32 v10, v6, v3, vcc
	s_waitcnt vmcnt(0)
	v_cmp_lt_f16_e32 vcc, s9, v4
	v_lshrrev_b32_e32 v13, 16, v4
	v_lshrrev_b32_e32 v15, 16, v5
	v_cndmask_b32_e32 v12, v6, v4, vcc
	v_cmp_lt_f16_e32 vcc, s9, v5
	s_nop 1
	v_cndmask_b32_e32 v14, v6, v5, vcc
	v_cmp_gt_f16_e32 vcc, s12, v8
	s_nop 1
	v_cndmask_b32_e32 v8, v7, v8, vcc
	v_cmp_lt_f16_e32 vcc, s9, v9
	s_nop 1
	v_cndmask_b32_e32 v16, v6, v9, vcc
	v_cmp_gt_f16_e32 vcc, s12, v10
	s_nop 1
	v_cndmask_b32_e32 v10, v7, v10, vcc
	v_cmp_lt_f16_e32 vcc, s9, v11
	s_nop 1
	v_cndmask_b32_e32 v17, v6, v11, vcc
	v_cmp_gt_f16_e32 vcc, s12, v12
	s_nop 1
	v_cndmask_b32_e32 v12, v7, v12, vcc
	v_cmp_lt_f16_e32 vcc, s9, v13
	s_nop 1
	v_cndmask_b32_e32 v18, v6, v13, vcc
	v_cmp_gt_f16_e32 vcc, s12, v14
	s_nop 1
	v_cndmask_b32_e32 v14, v7, v14, vcc
	v_cmp_lt_f16_e32 vcc, s9, v15
	s_nop 1
	v_cndmask_b32_e32 v6, v6, v15, vcc
	v_cmp_u_f16_e32 vcc, v2, v2
	s_nop 1
	v_cndmask_b32_e32 v2, v8, v2, vcc
	v_cmp_gt_f16_e32 vcc, s12, v16
	v_and_b32_e32 v2, 0xffff, v2
	s_nop 0
	v_cndmask_b32_e32 v8, v7, v16, vcc
	v_cmp_u_f16_e32 vcc, v3, v3
	s_nop 1
	v_cndmask_b32_e32 v3, v10, v3, vcc
	v_cmp_gt_f16_e32 vcc, s12, v17
	v_and_b32_e32 v3, 0xffff, v3
	;; [unrolled: 7-line block ×4, first 2 shown]
	s_nop 0
	v_cndmask_b32_e32 v6, v7, v6, vcc
	v_cmp_u_f16_e32 vcc, v9, v9
	s_nop 1
	v_cndmask_b32_e32 v7, v8, v9, vcc
	v_cmp_u_f16_e32 vcc, v11, v11
	v_lshlrev_b32_e32 v7, 16, v7
	v_or_b32_e32 v2, v7, v2
	v_cndmask_b32_e32 v8, v10, v11, vcc
	v_cmp_u_f16_e32 vcc, v13, v13
	v_lshlrev_b32_e32 v8, 16, v8
	v_or3_b32 v3, 0, v3, v8
	v_cndmask_b32_e32 v9, v12, v13, vcc
	v_cmp_u_f16_e32 vcc, v15, v15
	v_lshlrev_b32_e32 v9, 16, v9
	v_or_b32_e32 v4, v9, v4
	v_cndmask_b32_e32 v6, v6, v15, vcc
	v_lshlrev_b32_e32 v6, 16, v6
	v_or3_b32 v2, v2, 0, 0
	v_or3_b32 v5, 0, v5, v6
	;; [unrolled: 1-line block ×3, first 2 shown]
	global_store_dwordx2 v1, v[2:3], s[0:1]
	global_store_dwordx2 v1, v[4:5], s[0:1] offset:2048
	s_mov_b64 s[0:1], 0
.LBB332_2:
	s_andn2_b64 vcc, exec, s[0:1]
	s_cbranch_vccnz .LBB332_43
; %bb.3:
	v_cmp_gt_i32_e32 vcc, s8, v0
	v_mov_b32_e32 v4, 0
	v_or_b32_e32 v2, s2, v0
	v_mov_b32_e32 v8, 0
	v_mov_b32_e32 v10, v0
	s_and_saveexec_b64 s[0:1], vcc
	s_cbranch_execz .LBB332_5
; %bb.4:
	v_mov_b32_e32 v3, 0
	v_lshl_add_u64 v[6:7], v[2:3], 1, s[6:7]
	global_load_ushort v8, v[6:7], off
	v_or_b32_e32 v10, 0x100, v0
.LBB332_5:
	s_or_b64 exec, exec, s[0:1]
	v_cmp_gt_i32_e64 s[0:1], s8, v10
	s_and_saveexec_b64 s[10:11], s[0:1]
	s_cbranch_execz .LBB332_7
; %bb.6:
	v_add_u32_e32 v4, s2, v10
	v_mov_b32_e32 v5, 0
	v_lshl_add_u64 v[4:5], v[4:5], 1, s[6:7]
	global_load_ushort v4, v[4:5], off
	v_add_u32_e32 v10, 0x100, v10
.LBB332_7:
	s_or_b64 exec, exec, s[10:11]
	v_cmp_gt_i32_e64 s[0:1], s8, v10
	v_mov_b32_e32 v5, 0
	v_mov_b32_e32 v9, 0
	s_and_saveexec_b64 s[10:11], s[0:1]
	s_cbranch_execz .LBB332_9
; %bb.8:
	v_add_u32_e32 v6, s2, v10
	v_mov_b32_e32 v7, 0
	v_lshl_add_u64 v[6:7], v[6:7], 1, s[6:7]
	global_load_ushort v9, v[6:7], off
	v_add_u32_e32 v10, 0x100, v10
.LBB332_9:
	s_or_b64 exec, exec, s[10:11]
	v_cmp_gt_i32_e64 s[0:1], s8, v10
	s_and_saveexec_b64 s[10:11], s[0:1]
	s_cbranch_execz .LBB332_11
; %bb.10:
	v_add_u32_e32 v6, s2, v10
	v_mov_b32_e32 v7, 0
	v_lshl_add_u64 v[6:7], v[6:7], 1, s[6:7]
	global_load_ushort v5, v[6:7], off
	v_add_u32_e32 v10, 0x100, v10
.LBB332_11:
	s_or_b64 exec, exec, s[10:11]
	v_cmp_gt_i32_e64 s[0:1], s8, v10
	v_mov_b32_e32 v3, 0
	v_mov_b32_e32 v7, 0
	s_and_saveexec_b64 s[10:11], s[0:1]
	s_cbranch_execz .LBB332_13
; %bb.12:
	v_add_u32_e32 v6, s2, v10
	v_mov_b32_e32 v7, 0
	v_lshl_add_u64 v[6:7], v[6:7], 1, s[6:7]
	global_load_ushort v7, v[6:7], off
	v_add_u32_e32 v10, 0x100, v10
.LBB332_13:
	s_or_b64 exec, exec, s[10:11]
	v_cmp_gt_i32_e64 s[0:1], s8, v10
	s_and_saveexec_b64 s[10:11], s[0:1]
	s_cbranch_execz .LBB332_15
; %bb.14:
	v_add_u32_e32 v12, s2, v10
	v_mov_b32_e32 v13, 0
	v_lshl_add_u64 v[12:13], v[12:13], 1, s[6:7]
	global_load_ushort v3, v[12:13], off
	v_add_u32_e32 v10, 0x100, v10
.LBB332_15:
	s_or_b64 exec, exec, s[10:11]
	v_cmp_gt_i32_e64 s[0:1], s8, v10
	v_mov_b32_e32 v1, 0
	v_mov_b32_e32 v6, 0
	s_and_saveexec_b64 s[10:11], s[0:1]
	s_cbranch_execz .LBB332_17
; %bb.16:
	v_add_u32_e32 v12, s2, v10
	v_mov_b32_e32 v13, 0
	v_lshl_add_u64 v[12:13], v[12:13], 1, s[6:7]
	global_load_ushort v6, v[12:13], off
	v_add_u32_e32 v10, 0x100, v10
	s_or_b64 exec, exec, s[10:11]
	v_cmp_gt_i32_e64 s[0:1], s8, v10
	s_and_saveexec_b64 s[10:11], s[0:1]
	s_cbranch_execz .LBB332_19
	s_branch .LBB332_18
.LBB332_17:
	s_or_b64 exec, exec, s[10:11]
	v_cmp_gt_i32_e64 s[0:1], s8, v10
	s_and_saveexec_b64 s[10:11], s[0:1]
	s_cbranch_execz .LBB332_19
.LBB332_18:
	v_add_u32_e32 v10, s2, v10
	v_mov_b32_e32 v11, 0
	v_lshl_add_u64 v[10:11], v[10:11], 1, s[6:7]
	global_load_ushort v1, v[10:11], off
.LBB332_19:
	s_or_b64 exec, exec, s[10:11]
	s_lshr_b32 s3, s9, 16
                                        ; implicit-def: $vgpr10
	s_and_saveexec_b64 s[6:7], vcc
	s_cbranch_execz .LBB332_21
; %bb.20:
	v_mov_b32_e32 v10, s9
	s_waitcnt vmcnt(0)
	v_cmp_lt_f16_e64 s[0:1], s9, v8
	v_mov_b32_e32 v11, s3
	s_nop 0
	v_cndmask_b32_e64 v10, v10, v8, s[0:1]
	v_cmp_gt_f16_e64 s[0:1], s3, v10
	s_nop 1
	v_cndmask_b32_e64 v10, v11, v10, s[0:1]
	v_cmp_u_f16_e64 s[0:1], v8, v8
	s_nop 1
	v_cndmask_b32_e64 v10, v10, v8, s[0:1]
.LBB332_21:
	s_or_b64 exec, exec, s[6:7]
	v_or_b32_e32 v11, 0x100, v0
	v_cmp_gt_i32_e64 s[0:1], s8, v11
                                        ; implicit-def: $vgpr8
	s_and_saveexec_b64 s[6:7], s[0:1]
	s_cbranch_execz .LBB332_23
; %bb.22:
	s_waitcnt vmcnt(0)
	v_mov_b32_e32 v8, s9
	v_cmp_lt_f16_e64 s[0:1], s9, v4
	v_mov_b32_e32 v12, s3
	s_nop 0
	v_cndmask_b32_e64 v8, v8, v4, s[0:1]
	v_cmp_gt_f16_e64 s[0:1], s3, v8
	s_nop 1
	v_cndmask_b32_e64 v8, v12, v8, s[0:1]
	v_cmp_u_f16_e64 s[0:1], v4, v4
	s_nop 1
	v_cndmask_b32_e64 v8, v8, v4, s[0:1]
.LBB332_23:
	s_or_b64 exec, exec, s[6:7]
	s_waitcnt vmcnt(0)
	v_or_b32_e32 v4, 0x200, v0
	v_cmp_gt_i32_e64 s[0:1], s8, v4
                                        ; implicit-def: $vgpr4
	s_and_saveexec_b64 s[6:7], s[0:1]
; %bb.24:
	v_mov_b32_e32 v4, s9
	v_cmp_lt_f16_e64 s[0:1], s9, v9
	v_mov_b32_e32 v12, s3
	s_nop 0
	v_cndmask_b32_e64 v4, v4, v9, s[0:1]
	v_cmp_gt_f16_e64 s[0:1], s3, v4
	s_nop 1
	v_cndmask_b32_e64 v4, v12, v4, s[0:1]
	v_cmp_u_f16_e64 s[0:1], v9, v9
	s_nop 1
	v_cndmask_b32_e64 v4, v4, v9, s[0:1]
; %bb.25:
	s_or_b64 exec, exec, s[6:7]
	v_or_b32_e32 v9, 0x300, v0
	v_cmp_gt_i32_e64 s[0:1], s8, v9
                                        ; implicit-def: $vgpr9
	s_and_saveexec_b64 s[6:7], s[0:1]
; %bb.26:
	v_mov_b32_e32 v9, s9
	v_cmp_lt_f16_e64 s[0:1], s9, v5
	v_mov_b32_e32 v12, s3
	s_nop 0
	v_cndmask_b32_e64 v9, v9, v5, s[0:1]
	v_cmp_gt_f16_e64 s[0:1], s3, v9
	s_nop 1
	v_cndmask_b32_e64 v9, v12, v9, s[0:1]
	v_cmp_u_f16_e64 s[0:1], v5, v5
	s_nop 1
	v_cndmask_b32_e64 v9, v9, v5, s[0:1]
; %bb.27:
	s_or_b64 exec, exec, s[6:7]
	v_or_b32_e32 v5, 0x400, v0
	v_cmp_gt_i32_e64 s[0:1], s8, v5
                                        ; implicit-def: $vgpr5
	s_and_saveexec_b64 s[6:7], s[0:1]
; %bb.28:
	v_mov_b32_e32 v5, s9
	v_cmp_lt_f16_e64 s[0:1], s9, v7
	v_mov_b32_e32 v12, s3
	s_nop 0
	v_cndmask_b32_e64 v5, v5, v7, s[0:1]
	v_cmp_gt_f16_e64 s[0:1], s3, v5
	s_nop 1
	v_cndmask_b32_e64 v5, v12, v5, s[0:1]
	v_cmp_u_f16_e64 s[0:1], v7, v7
	s_nop 1
	v_cndmask_b32_e64 v5, v5, v7, s[0:1]
; %bb.29:
	s_or_b64 exec, exec, s[6:7]
	v_or_b32_e32 v7, 0x500, v0
	v_cmp_gt_i32_e64 s[0:1], s8, v7
                                        ; implicit-def: $vgpr7
	s_and_saveexec_b64 s[6:7], s[0:1]
; %bb.30:
	v_mov_b32_e32 v7, s9
	v_cmp_lt_f16_e64 s[0:1], s9, v3
	v_mov_b32_e32 v12, s3
	s_nop 0
	v_cndmask_b32_e64 v7, v7, v3, s[0:1]
	v_cmp_gt_f16_e64 s[0:1], s3, v7
	s_nop 1
	v_cndmask_b32_e64 v7, v12, v7, s[0:1]
	v_cmp_u_f16_e64 s[0:1], v3, v3
	s_nop 1
	v_cndmask_b32_e64 v7, v7, v3, s[0:1]
; %bb.31:
	s_or_b64 exec, exec, s[6:7]
	v_or_b32_e32 v3, 0x600, v0
	v_cmp_gt_i32_e64 s[0:1], s8, v3
                                        ; implicit-def: $vgpr12
	s_and_saveexec_b64 s[6:7], s[0:1]
; %bb.32:
	v_mov_b32_e32 v3, s9
	v_cmp_lt_f16_e64 s[0:1], s9, v6
	v_mov_b32_e32 v12, s3
	s_nop 0
	v_cndmask_b32_e64 v3, v3, v6, s[0:1]
	v_cmp_gt_f16_e64 s[0:1], s3, v3
	s_nop 1
	v_cndmask_b32_e64 v3, v12, v3, s[0:1]
	v_cmp_u_f16_e64 s[0:1], v6, v6
	s_nop 1
	v_cndmask_b32_e64 v12, v3, v6, s[0:1]
; %bb.33:
	s_or_b64 exec, exec, s[6:7]
	v_or_b32_e32 v3, 0x700, v0
	v_cmp_gt_i32_e64 s[0:1], s8, v3
                                        ; implicit-def: $vgpr6
	s_and_saveexec_b64 s[6:7], s[0:1]
	s_cbranch_execz .LBB332_44
; %bb.34:
	v_mov_b32_e32 v3, s9
	v_cmp_lt_f16_e64 s[0:1], s9, v1
	v_mov_b32_e32 v6, s3
	s_nop 0
	v_cndmask_b32_e64 v3, v3, v1, s[0:1]
	v_cmp_gt_f16_e64 s[0:1], s3, v3
	s_nop 1
	v_cndmask_b32_e64 v3, v6, v3, s[0:1]
	v_cmp_u_f16_e64 s[0:1], v1, v1
	s_nop 1
	v_cndmask_b32_e64 v6, v3, v1, s[0:1]
	s_or_b64 exec, exec, s[6:7]
	s_and_saveexec_b64 s[0:1], vcc
	s_xor_b64 s[0:1], exec, s[0:1]
	s_cbranch_execnz .LBB332_45
.LBB332_35:
	s_or_b64 exec, exec, s[0:1]
	v_cmp_gt_i32_e32 vcc, s8, v0
	s_and_saveexec_b64 s[0:1], vcc
	s_cbranch_execz .LBB332_46
.LBB332_36:
	v_add_u32_e32 v2, s2, v0
	v_mov_b32_e32 v3, 0
	v_lshl_add_u64 v[2:3], v[2:3], 1, s[4:5]
	v_add_u32_e32 v0, 0x100, v0
	global_store_short v[2:3], v8, off
	s_or_b64 exec, exec, s[0:1]
	v_cmp_gt_i32_e32 vcc, s8, v0
	s_and_saveexec_b64 s[0:1], vcc
	s_cbranch_execnz .LBB332_47
.LBB332_37:
	s_or_b64 exec, exec, s[0:1]
	v_cmp_gt_i32_e32 vcc, s8, v0
	s_and_saveexec_b64 s[0:1], vcc
	s_cbranch_execz .LBB332_48
.LBB332_38:
	v_add_u32_e32 v2, s2, v0
	v_mov_b32_e32 v3, 0
	v_lshl_add_u64 v[2:3], v[2:3], 1, s[4:5]
	v_add_u32_e32 v0, 0x100, v0
	global_store_short v[2:3], v9, off
	s_or_b64 exec, exec, s[0:1]
	v_cmp_gt_i32_e32 vcc, s8, v0
	s_and_saveexec_b64 s[0:1], vcc
	s_cbranch_execnz .LBB332_49
.LBB332_39:
	s_or_b64 exec, exec, s[0:1]
	v_cmp_gt_i32_e32 vcc, s8, v0
	s_and_saveexec_b64 s[0:1], vcc
	s_cbranch_execz .LBB332_50
.LBB332_40:
	v_add_u32_e32 v2, s2, v0
	v_mov_b32_e32 v3, 0
	v_lshl_add_u64 v[2:3], v[2:3], 1, s[4:5]
	v_add_u32_e32 v0, 0x100, v0
	global_store_short v[2:3], v7, off
	s_or_b64 exec, exec, s[0:1]
	v_cmp_gt_i32_e32 vcc, s8, v0
	s_and_saveexec_b64 s[0:1], vcc
	s_cbranch_execnz .LBB332_51
.LBB332_41:
	s_or_b64 exec, exec, s[0:1]
	v_cmp_gt_i32_e32 vcc, s8, v0
	s_and_saveexec_b64 s[0:1], vcc
	s_cbranch_execz .LBB332_43
.LBB332_42:
	v_add_u32_e32 v0, s2, v0
	v_mov_b32_e32 v1, 0
	v_lshl_add_u64 v[0:1], v[0:1], 1, s[4:5]
	global_store_short v[0:1], v6, off
.LBB332_43:
	s_endpgm
.LBB332_44:
	s_or_b64 exec, exec, s[6:7]
	s_and_saveexec_b64 s[0:1], vcc
	s_xor_b64 s[0:1], exec, s[0:1]
	s_cbranch_execz .LBB332_35
.LBB332_45:
	v_mov_b32_e32 v3, 0
	v_lshl_add_u64 v[0:1], v[2:3], 1, s[4:5]
	global_store_short v[0:1], v10, off
	v_mov_b32_e32 v0, v11
	s_or_b64 exec, exec, s[0:1]
	v_cmp_gt_i32_e32 vcc, s8, v0
	s_and_saveexec_b64 s[0:1], vcc
	s_cbranch_execnz .LBB332_36
.LBB332_46:
	s_or_b64 exec, exec, s[0:1]
	v_cmp_gt_i32_e32 vcc, s8, v0
	s_and_saveexec_b64 s[0:1], vcc
	s_cbranch_execz .LBB332_37
.LBB332_47:
	v_add_u32_e32 v2, s2, v0
	v_mov_b32_e32 v3, 0
	v_lshl_add_u64 v[2:3], v[2:3], 1, s[4:5]
	v_add_u32_e32 v0, 0x100, v0
	global_store_short v[2:3], v4, off
	s_or_b64 exec, exec, s[0:1]
	v_cmp_gt_i32_e32 vcc, s8, v0
	s_and_saveexec_b64 s[0:1], vcc
	s_cbranch_execnz .LBB332_38
.LBB332_48:
	s_or_b64 exec, exec, s[0:1]
	v_cmp_gt_i32_e32 vcc, s8, v0
	s_and_saveexec_b64 s[0:1], vcc
	s_cbranch_execz .LBB332_39
.LBB332_49:
	v_add_u32_e32 v2, s2, v0
	v_mov_b32_e32 v3, 0
	v_lshl_add_u64 v[2:3], v[2:3], 1, s[4:5]
	v_add_u32_e32 v0, 0x100, v0
	global_store_short v[2:3], v5, off
	s_or_b64 exec, exec, s[0:1]
	v_cmp_gt_i32_e32 vcc, s8, v0
	s_and_saveexec_b64 s[0:1], vcc
	s_cbranch_execnz .LBB332_40
.LBB332_50:
	s_or_b64 exec, exec, s[0:1]
	v_cmp_gt_i32_e32 vcc, s8, v0
	s_and_saveexec_b64 s[0:1], vcc
	s_cbranch_execz .LBB332_41
.LBB332_51:
	v_add_u32_e32 v2, s2, v0
	v_mov_b32_e32 v3, 0
	v_lshl_add_u64 v[2:3], v[2:3], 1, s[4:5]
	v_add_u32_e32 v0, 0x100, v0
	global_store_short v[2:3], v12, off
	s_or_b64 exec, exec, s[0:1]
	v_cmp_gt_i32_e32 vcc, s8, v0
	s_and_saveexec_b64 s[0:1], vcc
	s_cbranch_execnz .LBB332_42
	s_branch .LBB332_43
	.section	.rodata,"a",@progbits
	.p2align	6, 0x0
	.amdhsa_kernel _ZN2at6native29vectorized_elementwise_kernelILi4EZZZNS0_17clamp_kernel_cudaERNS_18TensorIteratorBaseERKN3c106ScalarES7_ENKUlvE_clEvENKUlvE6_clEvEUlNS4_4HalfEE_St5arrayIPcLm2EEEEviT0_T1_
		.amdhsa_group_segment_fixed_size 0
		.amdhsa_private_segment_fixed_size 0
		.amdhsa_kernarg_size 24
		.amdhsa_user_sgpr_count 2
		.amdhsa_user_sgpr_dispatch_ptr 0
		.amdhsa_user_sgpr_queue_ptr 0
		.amdhsa_user_sgpr_kernarg_segment_ptr 1
		.amdhsa_user_sgpr_dispatch_id 0
		.amdhsa_user_sgpr_kernarg_preload_length 0
		.amdhsa_user_sgpr_kernarg_preload_offset 0
		.amdhsa_user_sgpr_private_segment_size 0
		.amdhsa_uses_dynamic_stack 0
		.amdhsa_enable_private_segment 0
		.amdhsa_system_sgpr_workgroup_id_x 1
		.amdhsa_system_sgpr_workgroup_id_y 0
		.amdhsa_system_sgpr_workgroup_id_z 0
		.amdhsa_system_sgpr_workgroup_info 0
		.amdhsa_system_vgpr_workitem_id 0
		.amdhsa_next_free_vgpr 19
		.amdhsa_next_free_sgpr 13
		.amdhsa_accum_offset 20
		.amdhsa_reserve_vcc 1
		.amdhsa_float_round_mode_32 0
		.amdhsa_float_round_mode_16_64 0
		.amdhsa_float_denorm_mode_32 3
		.amdhsa_float_denorm_mode_16_64 3
		.amdhsa_dx10_clamp 1
		.amdhsa_ieee_mode 1
		.amdhsa_fp16_overflow 0
		.amdhsa_tg_split 0
		.amdhsa_exception_fp_ieee_invalid_op 0
		.amdhsa_exception_fp_denorm_src 0
		.amdhsa_exception_fp_ieee_div_zero 0
		.amdhsa_exception_fp_ieee_overflow 0
		.amdhsa_exception_fp_ieee_underflow 0
		.amdhsa_exception_fp_ieee_inexact 0
		.amdhsa_exception_int_div_zero 0
	.end_amdhsa_kernel
	.section	.text._ZN2at6native29vectorized_elementwise_kernelILi4EZZZNS0_17clamp_kernel_cudaERNS_18TensorIteratorBaseERKN3c106ScalarES7_ENKUlvE_clEvENKUlvE6_clEvEUlNS4_4HalfEE_St5arrayIPcLm2EEEEviT0_T1_,"axG",@progbits,_ZN2at6native29vectorized_elementwise_kernelILi4EZZZNS0_17clamp_kernel_cudaERNS_18TensorIteratorBaseERKN3c106ScalarES7_ENKUlvE_clEvENKUlvE6_clEvEUlNS4_4HalfEE_St5arrayIPcLm2EEEEviT0_T1_,comdat
.Lfunc_end332:
	.size	_ZN2at6native29vectorized_elementwise_kernelILi4EZZZNS0_17clamp_kernel_cudaERNS_18TensorIteratorBaseERKN3c106ScalarES7_ENKUlvE_clEvENKUlvE6_clEvEUlNS4_4HalfEE_St5arrayIPcLm2EEEEviT0_T1_, .Lfunc_end332-_ZN2at6native29vectorized_elementwise_kernelILi4EZZZNS0_17clamp_kernel_cudaERNS_18TensorIteratorBaseERKN3c106ScalarES7_ENKUlvE_clEvENKUlvE6_clEvEUlNS4_4HalfEE_St5arrayIPcLm2EEEEviT0_T1_
                                        ; -- End function
	.set _ZN2at6native29vectorized_elementwise_kernelILi4EZZZNS0_17clamp_kernel_cudaERNS_18TensorIteratorBaseERKN3c106ScalarES7_ENKUlvE_clEvENKUlvE6_clEvEUlNS4_4HalfEE_St5arrayIPcLm2EEEEviT0_T1_.num_vgpr, 19
	.set _ZN2at6native29vectorized_elementwise_kernelILi4EZZZNS0_17clamp_kernel_cudaERNS_18TensorIteratorBaseERKN3c106ScalarES7_ENKUlvE_clEvENKUlvE6_clEvEUlNS4_4HalfEE_St5arrayIPcLm2EEEEviT0_T1_.num_agpr, 0
	.set _ZN2at6native29vectorized_elementwise_kernelILi4EZZZNS0_17clamp_kernel_cudaERNS_18TensorIteratorBaseERKN3c106ScalarES7_ENKUlvE_clEvENKUlvE6_clEvEUlNS4_4HalfEE_St5arrayIPcLm2EEEEviT0_T1_.numbered_sgpr, 13
	.set _ZN2at6native29vectorized_elementwise_kernelILi4EZZZNS0_17clamp_kernel_cudaERNS_18TensorIteratorBaseERKN3c106ScalarES7_ENKUlvE_clEvENKUlvE6_clEvEUlNS4_4HalfEE_St5arrayIPcLm2EEEEviT0_T1_.num_named_barrier, 0
	.set _ZN2at6native29vectorized_elementwise_kernelILi4EZZZNS0_17clamp_kernel_cudaERNS_18TensorIteratorBaseERKN3c106ScalarES7_ENKUlvE_clEvENKUlvE6_clEvEUlNS4_4HalfEE_St5arrayIPcLm2EEEEviT0_T1_.private_seg_size, 0
	.set _ZN2at6native29vectorized_elementwise_kernelILi4EZZZNS0_17clamp_kernel_cudaERNS_18TensorIteratorBaseERKN3c106ScalarES7_ENKUlvE_clEvENKUlvE6_clEvEUlNS4_4HalfEE_St5arrayIPcLm2EEEEviT0_T1_.uses_vcc, 1
	.set _ZN2at6native29vectorized_elementwise_kernelILi4EZZZNS0_17clamp_kernel_cudaERNS_18TensorIteratorBaseERKN3c106ScalarES7_ENKUlvE_clEvENKUlvE6_clEvEUlNS4_4HalfEE_St5arrayIPcLm2EEEEviT0_T1_.uses_flat_scratch, 0
	.set _ZN2at6native29vectorized_elementwise_kernelILi4EZZZNS0_17clamp_kernel_cudaERNS_18TensorIteratorBaseERKN3c106ScalarES7_ENKUlvE_clEvENKUlvE6_clEvEUlNS4_4HalfEE_St5arrayIPcLm2EEEEviT0_T1_.has_dyn_sized_stack, 0
	.set _ZN2at6native29vectorized_elementwise_kernelILi4EZZZNS0_17clamp_kernel_cudaERNS_18TensorIteratorBaseERKN3c106ScalarES7_ENKUlvE_clEvENKUlvE6_clEvEUlNS4_4HalfEE_St5arrayIPcLm2EEEEviT0_T1_.has_recursion, 0
	.set _ZN2at6native29vectorized_elementwise_kernelILi4EZZZNS0_17clamp_kernel_cudaERNS_18TensorIteratorBaseERKN3c106ScalarES7_ENKUlvE_clEvENKUlvE6_clEvEUlNS4_4HalfEE_St5arrayIPcLm2EEEEviT0_T1_.has_indirect_call, 0
	.section	.AMDGPU.csdata,"",@progbits
; Kernel info:
; codeLenInByte = 2216
; TotalNumSgprs: 19
; NumVgprs: 19
; NumAgprs: 0
; TotalNumVgprs: 19
; ScratchSize: 0
; MemoryBound: 0
; FloatMode: 240
; IeeeMode: 1
; LDSByteSize: 0 bytes/workgroup (compile time only)
; SGPRBlocks: 2
; VGPRBlocks: 2
; NumSGPRsForWavesPerEU: 19
; NumVGPRsForWavesPerEU: 19
; AccumOffset: 20
; Occupancy: 8
; WaveLimiterHint : 1
; COMPUTE_PGM_RSRC2:SCRATCH_EN: 0
; COMPUTE_PGM_RSRC2:USER_SGPR: 2
; COMPUTE_PGM_RSRC2:TRAP_HANDLER: 0
; COMPUTE_PGM_RSRC2:TGID_X_EN: 1
; COMPUTE_PGM_RSRC2:TGID_Y_EN: 0
; COMPUTE_PGM_RSRC2:TGID_Z_EN: 0
; COMPUTE_PGM_RSRC2:TIDIG_COMP_CNT: 0
; COMPUTE_PGM_RSRC3_GFX90A:ACCUM_OFFSET: 4
; COMPUTE_PGM_RSRC3_GFX90A:TG_SPLIT: 0
	.section	.text._ZN2at6native29vectorized_elementwise_kernelILi2EZZZNS0_17clamp_kernel_cudaERNS_18TensorIteratorBaseERKN3c106ScalarES7_ENKUlvE_clEvENKUlvE6_clEvEUlNS4_4HalfEE_St5arrayIPcLm2EEEEviT0_T1_,"axG",@progbits,_ZN2at6native29vectorized_elementwise_kernelILi2EZZZNS0_17clamp_kernel_cudaERNS_18TensorIteratorBaseERKN3c106ScalarES7_ENKUlvE_clEvENKUlvE6_clEvEUlNS4_4HalfEE_St5arrayIPcLm2EEEEviT0_T1_,comdat
	.globl	_ZN2at6native29vectorized_elementwise_kernelILi2EZZZNS0_17clamp_kernel_cudaERNS_18TensorIteratorBaseERKN3c106ScalarES7_ENKUlvE_clEvENKUlvE6_clEvEUlNS4_4HalfEE_St5arrayIPcLm2EEEEviT0_T1_ ; -- Begin function _ZN2at6native29vectorized_elementwise_kernelILi2EZZZNS0_17clamp_kernel_cudaERNS_18TensorIteratorBaseERKN3c106ScalarES7_ENKUlvE_clEvENKUlvE6_clEvEUlNS4_4HalfEE_St5arrayIPcLm2EEEEviT0_T1_
	.p2align	8
	.type	_ZN2at6native29vectorized_elementwise_kernelILi2EZZZNS0_17clamp_kernel_cudaERNS_18TensorIteratorBaseERKN3c106ScalarES7_ENKUlvE_clEvENKUlvE6_clEvEUlNS4_4HalfEE_St5arrayIPcLm2EEEEviT0_T1_,@function
_ZN2at6native29vectorized_elementwise_kernelILi2EZZZNS0_17clamp_kernel_cudaERNS_18TensorIteratorBaseERKN3c106ScalarES7_ENKUlvE_clEvENKUlvE6_clEvEUlNS4_4HalfEE_St5arrayIPcLm2EEEEviT0_T1_: ; @_ZN2at6native29vectorized_elementwise_kernelILi2EZZZNS0_17clamp_kernel_cudaERNS_18TensorIteratorBaseERKN3c106ScalarES7_ENKUlvE_clEvENKUlvE6_clEvEUlNS4_4HalfEE_St5arrayIPcLm2EEEEviT0_T1_
; %bb.0:
	s_load_dwordx2 s[8:9], s[0:1], 0x0
	s_load_dwordx4 s[4:7], s[0:1], 0x8
	s_lshl_b32 s2, s2, 11
	s_mov_b64 s[0:1], -1
	s_waitcnt lgkmcnt(0)
	s_sub_i32 s8, s8, s2
	s_cmpk_gt_i32 s8, 0x7ff
	s_cbranch_scc0 .LBB333_2
; %bb.1:
	s_ashr_i32 s3, s2, 31
	s_lshr_b32 s12, s9, 16
	s_lshl_b64 s[0:1], s[2:3], 1
	s_add_u32 s10, s6, s0
	s_addc_u32 s11, s7, s1
	v_lshlrev_b32_e32 v1, 2, v0
	global_load_dword v2, v1, s[10:11]
	global_load_dword v3, v1, s[10:11] offset:1024
	global_load_dword v4, v1, s[10:11] offset:2048
	;; [unrolled: 1-line block ×3, first 2 shown]
	v_mov_b32_e32 v6, s9
	v_mov_b32_e32 v7, s12
	s_add_u32 s0, s4, s0
	s_addc_u32 s1, s5, s1
	s_waitcnt vmcnt(3)
	v_cmp_lt_f16_e32 vcc, s9, v2
	s_nop 1
	v_cndmask_b32_e32 v8, v6, v2, vcc
	s_waitcnt vmcnt(2)
	v_cmp_lt_f16_e32 vcc, s9, v3
	v_lshrrev_b32_e32 v9, 16, v2
	v_lshrrev_b32_e32 v11, 16, v3
	v_cndmask_b32_e32 v10, v6, v3, vcc
	s_waitcnt vmcnt(1)
	v_cmp_lt_f16_e32 vcc, s9, v4
	v_lshrrev_b32_e32 v13, 16, v4
	s_waitcnt vmcnt(0)
	v_lshrrev_b32_e32 v15, 16, v5
	v_cndmask_b32_e32 v12, v6, v4, vcc
	v_cmp_lt_f16_e32 vcc, s9, v5
	s_nop 1
	v_cndmask_b32_e32 v14, v6, v5, vcc
	v_cmp_gt_f16_e32 vcc, s12, v8
	s_nop 1
	v_cndmask_b32_e32 v8, v7, v8, vcc
	v_cmp_lt_f16_e32 vcc, s9, v9
	s_nop 1
	v_cndmask_b32_e32 v16, v6, v9, vcc
	v_cmp_gt_f16_e32 vcc, s12, v10
	s_nop 1
	;; [unrolled: 6-line block ×4, first 2 shown]
	v_cndmask_b32_e32 v14, v7, v14, vcc
	v_cmp_lt_f16_e32 vcc, s9, v15
	s_nop 1
	v_cndmask_b32_e32 v6, v6, v15, vcc
	v_cmp_u_f16_e32 vcc, v2, v2
	s_nop 1
	v_cndmask_b32_e32 v2, v8, v2, vcc
	v_cmp_gt_f16_e32 vcc, s12, v16
	s_nop 1
	v_cndmask_b32_e32 v8, v7, v16, vcc
	v_cmp_u_f16_e32 vcc, v3, v3
	s_nop 1
	v_cndmask_b32_e32 v3, v10, v3, vcc
	v_cmp_gt_f16_e32 vcc, s12, v17
	;; [unrolled: 6-line block ×4, first 2 shown]
	s_nop 1
	v_cndmask_b32_e32 v6, v7, v6, vcc
	v_cmp_u_f16_e32 vcc, v9, v9
	s_nop 1
	v_cndmask_b32_e32 v7, v8, v9, vcc
	v_cmp_u_f16_e32 vcc, v11, v11
	v_lshlrev_b32_e32 v7, 16, v7
	v_or_b32_sdwa v2, v7, v2 dst_sel:DWORD dst_unused:UNUSED_PAD src0_sel:DWORD src1_sel:WORD_0
	v_cndmask_b32_e32 v8, v10, v11, vcc
	v_cmp_u_f16_e32 vcc, v13, v13
	v_lshlrev_b32_e32 v8, 16, v8
	v_or_b32_sdwa v3, v8, v3 dst_sel:DWORD dst_unused:UNUSED_PAD src0_sel:DWORD src1_sel:WORD_0
	;; [unrolled: 4-line block ×3, first 2 shown]
	v_cndmask_b32_e32 v6, v6, v15, vcc
	v_lshlrev_b32_e32 v6, 16, v6
	v_or_b32_sdwa v5, v6, v5 dst_sel:DWORD dst_unused:UNUSED_PAD src0_sel:DWORD src1_sel:WORD_0
	global_store_dword v1, v2, s[0:1]
	global_store_dword v1, v3, s[0:1] offset:1024
	global_store_dword v1, v4, s[0:1] offset:2048
	;; [unrolled: 1-line block ×3, first 2 shown]
	s_mov_b64 s[0:1], 0
.LBB333_2:
	s_andn2_b64 vcc, exec, s[0:1]
	s_cbranch_vccnz .LBB333_43
; %bb.3:
	v_cmp_gt_i32_e32 vcc, s8, v0
	v_mov_b32_e32 v4, 0
	v_or_b32_e32 v2, s2, v0
	v_mov_b32_e32 v8, 0
	v_mov_b32_e32 v10, v0
	s_and_saveexec_b64 s[0:1], vcc
	s_cbranch_execz .LBB333_5
; %bb.4:
	v_mov_b32_e32 v3, 0
	v_lshl_add_u64 v[6:7], v[2:3], 1, s[6:7]
	global_load_ushort v8, v[6:7], off
	v_or_b32_e32 v10, 0x100, v0
.LBB333_5:
	s_or_b64 exec, exec, s[0:1]
	v_cmp_gt_i32_e64 s[0:1], s8, v10
	s_and_saveexec_b64 s[10:11], s[0:1]
	s_cbranch_execz .LBB333_7
; %bb.6:
	v_add_u32_e32 v4, s2, v10
	v_mov_b32_e32 v5, 0
	v_lshl_add_u64 v[4:5], v[4:5], 1, s[6:7]
	global_load_ushort v4, v[4:5], off
	v_add_u32_e32 v10, 0x100, v10
.LBB333_7:
	s_or_b64 exec, exec, s[10:11]
	v_cmp_gt_i32_e64 s[0:1], s8, v10
	v_mov_b32_e32 v5, 0
	v_mov_b32_e32 v9, 0
	s_and_saveexec_b64 s[10:11], s[0:1]
	s_cbranch_execz .LBB333_9
; %bb.8:
	v_add_u32_e32 v6, s2, v10
	v_mov_b32_e32 v7, 0
	v_lshl_add_u64 v[6:7], v[6:7], 1, s[6:7]
	global_load_ushort v9, v[6:7], off
	v_add_u32_e32 v10, 0x100, v10
.LBB333_9:
	s_or_b64 exec, exec, s[10:11]
	v_cmp_gt_i32_e64 s[0:1], s8, v10
	s_and_saveexec_b64 s[10:11], s[0:1]
	s_cbranch_execz .LBB333_11
; %bb.10:
	v_add_u32_e32 v6, s2, v10
	v_mov_b32_e32 v7, 0
	v_lshl_add_u64 v[6:7], v[6:7], 1, s[6:7]
	global_load_ushort v5, v[6:7], off
	v_add_u32_e32 v10, 0x100, v10
.LBB333_11:
	s_or_b64 exec, exec, s[10:11]
	v_cmp_gt_i32_e64 s[0:1], s8, v10
	v_mov_b32_e32 v3, 0
	v_mov_b32_e32 v7, 0
	s_and_saveexec_b64 s[10:11], s[0:1]
	s_cbranch_execz .LBB333_13
; %bb.12:
	v_add_u32_e32 v6, s2, v10
	v_mov_b32_e32 v7, 0
	v_lshl_add_u64 v[6:7], v[6:7], 1, s[6:7]
	global_load_ushort v7, v[6:7], off
	v_add_u32_e32 v10, 0x100, v10
.LBB333_13:
	s_or_b64 exec, exec, s[10:11]
	v_cmp_gt_i32_e64 s[0:1], s8, v10
	s_and_saveexec_b64 s[10:11], s[0:1]
	s_cbranch_execz .LBB333_15
; %bb.14:
	v_add_u32_e32 v12, s2, v10
	v_mov_b32_e32 v13, 0
	v_lshl_add_u64 v[12:13], v[12:13], 1, s[6:7]
	global_load_ushort v3, v[12:13], off
	v_add_u32_e32 v10, 0x100, v10
.LBB333_15:
	s_or_b64 exec, exec, s[10:11]
	v_cmp_gt_i32_e64 s[0:1], s8, v10
	v_mov_b32_e32 v1, 0
	v_mov_b32_e32 v6, 0
	s_and_saveexec_b64 s[10:11], s[0:1]
	s_cbranch_execz .LBB333_17
; %bb.16:
	v_add_u32_e32 v12, s2, v10
	v_mov_b32_e32 v13, 0
	v_lshl_add_u64 v[12:13], v[12:13], 1, s[6:7]
	global_load_ushort v6, v[12:13], off
	v_add_u32_e32 v10, 0x100, v10
	s_or_b64 exec, exec, s[10:11]
	v_cmp_gt_i32_e64 s[0:1], s8, v10
	s_and_saveexec_b64 s[10:11], s[0:1]
	s_cbranch_execz .LBB333_19
	s_branch .LBB333_18
.LBB333_17:
	s_or_b64 exec, exec, s[10:11]
	v_cmp_gt_i32_e64 s[0:1], s8, v10
	s_and_saveexec_b64 s[10:11], s[0:1]
	s_cbranch_execz .LBB333_19
.LBB333_18:
	v_add_u32_e32 v10, s2, v10
	v_mov_b32_e32 v11, 0
	v_lshl_add_u64 v[10:11], v[10:11], 1, s[6:7]
	global_load_ushort v1, v[10:11], off
.LBB333_19:
	s_or_b64 exec, exec, s[10:11]
	s_lshr_b32 s3, s9, 16
                                        ; implicit-def: $vgpr10
	s_and_saveexec_b64 s[6:7], vcc
	s_cbranch_execz .LBB333_21
; %bb.20:
	v_mov_b32_e32 v10, s9
	s_waitcnt vmcnt(0)
	v_cmp_lt_f16_e64 s[0:1], s9, v8
	v_mov_b32_e32 v11, s3
	s_nop 0
	v_cndmask_b32_e64 v10, v10, v8, s[0:1]
	v_cmp_gt_f16_e64 s[0:1], s3, v10
	s_nop 1
	v_cndmask_b32_e64 v10, v11, v10, s[0:1]
	v_cmp_u_f16_e64 s[0:1], v8, v8
	s_nop 1
	v_cndmask_b32_e64 v10, v10, v8, s[0:1]
.LBB333_21:
	s_or_b64 exec, exec, s[6:7]
	v_or_b32_e32 v11, 0x100, v0
	v_cmp_gt_i32_e64 s[0:1], s8, v11
                                        ; implicit-def: $vgpr8
	s_and_saveexec_b64 s[6:7], s[0:1]
	s_cbranch_execz .LBB333_23
; %bb.22:
	s_waitcnt vmcnt(0)
	v_mov_b32_e32 v8, s9
	v_cmp_lt_f16_e64 s[0:1], s9, v4
	v_mov_b32_e32 v12, s3
	s_nop 0
	v_cndmask_b32_e64 v8, v8, v4, s[0:1]
	v_cmp_gt_f16_e64 s[0:1], s3, v8
	s_nop 1
	v_cndmask_b32_e64 v8, v12, v8, s[0:1]
	v_cmp_u_f16_e64 s[0:1], v4, v4
	s_nop 1
	v_cndmask_b32_e64 v8, v8, v4, s[0:1]
.LBB333_23:
	s_or_b64 exec, exec, s[6:7]
	s_waitcnt vmcnt(0)
	v_or_b32_e32 v4, 0x200, v0
	v_cmp_gt_i32_e64 s[0:1], s8, v4
                                        ; implicit-def: $vgpr4
	s_and_saveexec_b64 s[6:7], s[0:1]
; %bb.24:
	v_mov_b32_e32 v4, s9
	v_cmp_lt_f16_e64 s[0:1], s9, v9
	v_mov_b32_e32 v12, s3
	s_nop 0
	v_cndmask_b32_e64 v4, v4, v9, s[0:1]
	v_cmp_gt_f16_e64 s[0:1], s3, v4
	s_nop 1
	v_cndmask_b32_e64 v4, v12, v4, s[0:1]
	v_cmp_u_f16_e64 s[0:1], v9, v9
	s_nop 1
	v_cndmask_b32_e64 v4, v4, v9, s[0:1]
; %bb.25:
	s_or_b64 exec, exec, s[6:7]
	v_or_b32_e32 v9, 0x300, v0
	v_cmp_gt_i32_e64 s[0:1], s8, v9
                                        ; implicit-def: $vgpr9
	s_and_saveexec_b64 s[6:7], s[0:1]
; %bb.26:
	v_mov_b32_e32 v9, s9
	v_cmp_lt_f16_e64 s[0:1], s9, v5
	v_mov_b32_e32 v12, s3
	s_nop 0
	v_cndmask_b32_e64 v9, v9, v5, s[0:1]
	v_cmp_gt_f16_e64 s[0:1], s3, v9
	s_nop 1
	v_cndmask_b32_e64 v9, v12, v9, s[0:1]
	v_cmp_u_f16_e64 s[0:1], v5, v5
	s_nop 1
	v_cndmask_b32_e64 v9, v9, v5, s[0:1]
; %bb.27:
	s_or_b64 exec, exec, s[6:7]
	v_or_b32_e32 v5, 0x400, v0
	v_cmp_gt_i32_e64 s[0:1], s8, v5
                                        ; implicit-def: $vgpr5
	s_and_saveexec_b64 s[6:7], s[0:1]
; %bb.28:
	v_mov_b32_e32 v5, s9
	v_cmp_lt_f16_e64 s[0:1], s9, v7
	v_mov_b32_e32 v12, s3
	s_nop 0
	v_cndmask_b32_e64 v5, v5, v7, s[0:1]
	v_cmp_gt_f16_e64 s[0:1], s3, v5
	s_nop 1
	v_cndmask_b32_e64 v5, v12, v5, s[0:1]
	v_cmp_u_f16_e64 s[0:1], v7, v7
	s_nop 1
	v_cndmask_b32_e64 v5, v5, v7, s[0:1]
; %bb.29:
	s_or_b64 exec, exec, s[6:7]
	v_or_b32_e32 v7, 0x500, v0
	v_cmp_gt_i32_e64 s[0:1], s8, v7
                                        ; implicit-def: $vgpr7
	s_and_saveexec_b64 s[6:7], s[0:1]
; %bb.30:
	v_mov_b32_e32 v7, s9
	v_cmp_lt_f16_e64 s[0:1], s9, v3
	v_mov_b32_e32 v12, s3
	s_nop 0
	v_cndmask_b32_e64 v7, v7, v3, s[0:1]
	v_cmp_gt_f16_e64 s[0:1], s3, v7
	s_nop 1
	v_cndmask_b32_e64 v7, v12, v7, s[0:1]
	v_cmp_u_f16_e64 s[0:1], v3, v3
	s_nop 1
	v_cndmask_b32_e64 v7, v7, v3, s[0:1]
; %bb.31:
	s_or_b64 exec, exec, s[6:7]
	v_or_b32_e32 v3, 0x600, v0
	v_cmp_gt_i32_e64 s[0:1], s8, v3
                                        ; implicit-def: $vgpr12
	s_and_saveexec_b64 s[6:7], s[0:1]
; %bb.32:
	v_mov_b32_e32 v3, s9
	v_cmp_lt_f16_e64 s[0:1], s9, v6
	v_mov_b32_e32 v12, s3
	s_nop 0
	v_cndmask_b32_e64 v3, v3, v6, s[0:1]
	v_cmp_gt_f16_e64 s[0:1], s3, v3
	s_nop 1
	v_cndmask_b32_e64 v3, v12, v3, s[0:1]
	v_cmp_u_f16_e64 s[0:1], v6, v6
	s_nop 1
	v_cndmask_b32_e64 v12, v3, v6, s[0:1]
; %bb.33:
	s_or_b64 exec, exec, s[6:7]
	v_or_b32_e32 v3, 0x700, v0
	v_cmp_gt_i32_e64 s[0:1], s8, v3
                                        ; implicit-def: $vgpr6
	s_and_saveexec_b64 s[6:7], s[0:1]
	s_cbranch_execz .LBB333_44
; %bb.34:
	v_mov_b32_e32 v3, s9
	v_cmp_lt_f16_e64 s[0:1], s9, v1
	v_mov_b32_e32 v6, s3
	s_nop 0
	v_cndmask_b32_e64 v3, v3, v1, s[0:1]
	v_cmp_gt_f16_e64 s[0:1], s3, v3
	s_nop 1
	v_cndmask_b32_e64 v3, v6, v3, s[0:1]
	v_cmp_u_f16_e64 s[0:1], v1, v1
	s_nop 1
	v_cndmask_b32_e64 v6, v3, v1, s[0:1]
	s_or_b64 exec, exec, s[6:7]
	s_and_saveexec_b64 s[0:1], vcc
	s_xor_b64 s[0:1], exec, s[0:1]
	s_cbranch_execnz .LBB333_45
.LBB333_35:
	s_or_b64 exec, exec, s[0:1]
	v_cmp_gt_i32_e32 vcc, s8, v0
	s_and_saveexec_b64 s[0:1], vcc
	s_cbranch_execz .LBB333_46
.LBB333_36:
	v_add_u32_e32 v2, s2, v0
	v_mov_b32_e32 v3, 0
	v_lshl_add_u64 v[2:3], v[2:3], 1, s[4:5]
	v_add_u32_e32 v0, 0x100, v0
	global_store_short v[2:3], v8, off
	s_or_b64 exec, exec, s[0:1]
	v_cmp_gt_i32_e32 vcc, s8, v0
	s_and_saveexec_b64 s[0:1], vcc
	s_cbranch_execnz .LBB333_47
.LBB333_37:
	s_or_b64 exec, exec, s[0:1]
	v_cmp_gt_i32_e32 vcc, s8, v0
	s_and_saveexec_b64 s[0:1], vcc
	s_cbranch_execz .LBB333_48
.LBB333_38:
	v_add_u32_e32 v2, s2, v0
	v_mov_b32_e32 v3, 0
	v_lshl_add_u64 v[2:3], v[2:3], 1, s[4:5]
	v_add_u32_e32 v0, 0x100, v0
	global_store_short v[2:3], v9, off
	s_or_b64 exec, exec, s[0:1]
	v_cmp_gt_i32_e32 vcc, s8, v0
	s_and_saveexec_b64 s[0:1], vcc
	s_cbranch_execnz .LBB333_49
.LBB333_39:
	s_or_b64 exec, exec, s[0:1]
	v_cmp_gt_i32_e32 vcc, s8, v0
	s_and_saveexec_b64 s[0:1], vcc
	s_cbranch_execz .LBB333_50
.LBB333_40:
	v_add_u32_e32 v2, s2, v0
	v_mov_b32_e32 v3, 0
	v_lshl_add_u64 v[2:3], v[2:3], 1, s[4:5]
	v_add_u32_e32 v0, 0x100, v0
	global_store_short v[2:3], v7, off
	s_or_b64 exec, exec, s[0:1]
	v_cmp_gt_i32_e32 vcc, s8, v0
	s_and_saveexec_b64 s[0:1], vcc
	s_cbranch_execnz .LBB333_51
.LBB333_41:
	s_or_b64 exec, exec, s[0:1]
	v_cmp_gt_i32_e32 vcc, s8, v0
	s_and_saveexec_b64 s[0:1], vcc
	s_cbranch_execz .LBB333_43
.LBB333_42:
	v_add_u32_e32 v0, s2, v0
	v_mov_b32_e32 v1, 0
	v_lshl_add_u64 v[0:1], v[0:1], 1, s[4:5]
	global_store_short v[0:1], v6, off
.LBB333_43:
	s_endpgm
.LBB333_44:
	s_or_b64 exec, exec, s[6:7]
	s_and_saveexec_b64 s[0:1], vcc
	s_xor_b64 s[0:1], exec, s[0:1]
	s_cbranch_execz .LBB333_35
.LBB333_45:
	v_mov_b32_e32 v3, 0
	v_lshl_add_u64 v[0:1], v[2:3], 1, s[4:5]
	global_store_short v[0:1], v10, off
	v_mov_b32_e32 v0, v11
	s_or_b64 exec, exec, s[0:1]
	v_cmp_gt_i32_e32 vcc, s8, v0
	s_and_saveexec_b64 s[0:1], vcc
	s_cbranch_execnz .LBB333_36
.LBB333_46:
	s_or_b64 exec, exec, s[0:1]
	v_cmp_gt_i32_e32 vcc, s8, v0
	s_and_saveexec_b64 s[0:1], vcc
	s_cbranch_execz .LBB333_37
.LBB333_47:
	v_add_u32_e32 v2, s2, v0
	v_mov_b32_e32 v3, 0
	v_lshl_add_u64 v[2:3], v[2:3], 1, s[4:5]
	v_add_u32_e32 v0, 0x100, v0
	global_store_short v[2:3], v4, off
	s_or_b64 exec, exec, s[0:1]
	v_cmp_gt_i32_e32 vcc, s8, v0
	s_and_saveexec_b64 s[0:1], vcc
	s_cbranch_execnz .LBB333_38
.LBB333_48:
	s_or_b64 exec, exec, s[0:1]
	v_cmp_gt_i32_e32 vcc, s8, v0
	s_and_saveexec_b64 s[0:1], vcc
	s_cbranch_execz .LBB333_39
.LBB333_49:
	v_add_u32_e32 v2, s2, v0
	v_mov_b32_e32 v3, 0
	v_lshl_add_u64 v[2:3], v[2:3], 1, s[4:5]
	v_add_u32_e32 v0, 0x100, v0
	global_store_short v[2:3], v5, off
	s_or_b64 exec, exec, s[0:1]
	v_cmp_gt_i32_e32 vcc, s8, v0
	s_and_saveexec_b64 s[0:1], vcc
	s_cbranch_execnz .LBB333_40
.LBB333_50:
	s_or_b64 exec, exec, s[0:1]
	v_cmp_gt_i32_e32 vcc, s8, v0
	s_and_saveexec_b64 s[0:1], vcc
	s_cbranch_execz .LBB333_41
.LBB333_51:
	v_add_u32_e32 v2, s2, v0
	v_mov_b32_e32 v3, 0
	v_lshl_add_u64 v[2:3], v[2:3], 1, s[4:5]
	v_add_u32_e32 v0, 0x100, v0
	global_store_short v[2:3], v12, off
	s_or_b64 exec, exec, s[0:1]
	v_cmp_gt_i32_e32 vcc, s8, v0
	s_and_saveexec_b64 s[0:1], vcc
	s_cbranch_execnz .LBB333_42
	s_branch .LBB333_43
	.section	.rodata,"a",@progbits
	.p2align	6, 0x0
	.amdhsa_kernel _ZN2at6native29vectorized_elementwise_kernelILi2EZZZNS0_17clamp_kernel_cudaERNS_18TensorIteratorBaseERKN3c106ScalarES7_ENKUlvE_clEvENKUlvE6_clEvEUlNS4_4HalfEE_St5arrayIPcLm2EEEEviT0_T1_
		.amdhsa_group_segment_fixed_size 0
		.amdhsa_private_segment_fixed_size 0
		.amdhsa_kernarg_size 24
		.amdhsa_user_sgpr_count 2
		.amdhsa_user_sgpr_dispatch_ptr 0
		.amdhsa_user_sgpr_queue_ptr 0
		.amdhsa_user_sgpr_kernarg_segment_ptr 1
		.amdhsa_user_sgpr_dispatch_id 0
		.amdhsa_user_sgpr_kernarg_preload_length 0
		.amdhsa_user_sgpr_kernarg_preload_offset 0
		.amdhsa_user_sgpr_private_segment_size 0
		.amdhsa_uses_dynamic_stack 0
		.amdhsa_enable_private_segment 0
		.amdhsa_system_sgpr_workgroup_id_x 1
		.amdhsa_system_sgpr_workgroup_id_y 0
		.amdhsa_system_sgpr_workgroup_id_z 0
		.amdhsa_system_sgpr_workgroup_info 0
		.amdhsa_system_vgpr_workitem_id 0
		.amdhsa_next_free_vgpr 19
		.amdhsa_next_free_sgpr 13
		.amdhsa_accum_offset 20
		.amdhsa_reserve_vcc 1
		.amdhsa_float_round_mode_32 0
		.amdhsa_float_round_mode_16_64 0
		.amdhsa_float_denorm_mode_32 3
		.amdhsa_float_denorm_mode_16_64 3
		.amdhsa_dx10_clamp 1
		.amdhsa_ieee_mode 1
		.amdhsa_fp16_overflow 0
		.amdhsa_tg_split 0
		.amdhsa_exception_fp_ieee_invalid_op 0
		.amdhsa_exception_fp_denorm_src 0
		.amdhsa_exception_fp_ieee_div_zero 0
		.amdhsa_exception_fp_ieee_overflow 0
		.amdhsa_exception_fp_ieee_underflow 0
		.amdhsa_exception_fp_ieee_inexact 0
		.amdhsa_exception_int_div_zero 0
	.end_amdhsa_kernel
	.section	.text._ZN2at6native29vectorized_elementwise_kernelILi2EZZZNS0_17clamp_kernel_cudaERNS_18TensorIteratorBaseERKN3c106ScalarES7_ENKUlvE_clEvENKUlvE6_clEvEUlNS4_4HalfEE_St5arrayIPcLm2EEEEviT0_T1_,"axG",@progbits,_ZN2at6native29vectorized_elementwise_kernelILi2EZZZNS0_17clamp_kernel_cudaERNS_18TensorIteratorBaseERKN3c106ScalarES7_ENKUlvE_clEvENKUlvE6_clEvEUlNS4_4HalfEE_St5arrayIPcLm2EEEEviT0_T1_,comdat
.Lfunc_end333:
	.size	_ZN2at6native29vectorized_elementwise_kernelILi2EZZZNS0_17clamp_kernel_cudaERNS_18TensorIteratorBaseERKN3c106ScalarES7_ENKUlvE_clEvENKUlvE6_clEvEUlNS4_4HalfEE_St5arrayIPcLm2EEEEviT0_T1_, .Lfunc_end333-_ZN2at6native29vectorized_elementwise_kernelILi2EZZZNS0_17clamp_kernel_cudaERNS_18TensorIteratorBaseERKN3c106ScalarES7_ENKUlvE_clEvENKUlvE6_clEvEUlNS4_4HalfEE_St5arrayIPcLm2EEEEviT0_T1_
                                        ; -- End function
	.set _ZN2at6native29vectorized_elementwise_kernelILi2EZZZNS0_17clamp_kernel_cudaERNS_18TensorIteratorBaseERKN3c106ScalarES7_ENKUlvE_clEvENKUlvE6_clEvEUlNS4_4HalfEE_St5arrayIPcLm2EEEEviT0_T1_.num_vgpr, 19
	.set _ZN2at6native29vectorized_elementwise_kernelILi2EZZZNS0_17clamp_kernel_cudaERNS_18TensorIteratorBaseERKN3c106ScalarES7_ENKUlvE_clEvENKUlvE6_clEvEUlNS4_4HalfEE_St5arrayIPcLm2EEEEviT0_T1_.num_agpr, 0
	.set _ZN2at6native29vectorized_elementwise_kernelILi2EZZZNS0_17clamp_kernel_cudaERNS_18TensorIteratorBaseERKN3c106ScalarES7_ENKUlvE_clEvENKUlvE6_clEvEUlNS4_4HalfEE_St5arrayIPcLm2EEEEviT0_T1_.numbered_sgpr, 13
	.set _ZN2at6native29vectorized_elementwise_kernelILi2EZZZNS0_17clamp_kernel_cudaERNS_18TensorIteratorBaseERKN3c106ScalarES7_ENKUlvE_clEvENKUlvE6_clEvEUlNS4_4HalfEE_St5arrayIPcLm2EEEEviT0_T1_.num_named_barrier, 0
	.set _ZN2at6native29vectorized_elementwise_kernelILi2EZZZNS0_17clamp_kernel_cudaERNS_18TensorIteratorBaseERKN3c106ScalarES7_ENKUlvE_clEvENKUlvE6_clEvEUlNS4_4HalfEE_St5arrayIPcLm2EEEEviT0_T1_.private_seg_size, 0
	.set _ZN2at6native29vectorized_elementwise_kernelILi2EZZZNS0_17clamp_kernel_cudaERNS_18TensorIteratorBaseERKN3c106ScalarES7_ENKUlvE_clEvENKUlvE6_clEvEUlNS4_4HalfEE_St5arrayIPcLm2EEEEviT0_T1_.uses_vcc, 1
	.set _ZN2at6native29vectorized_elementwise_kernelILi2EZZZNS0_17clamp_kernel_cudaERNS_18TensorIteratorBaseERKN3c106ScalarES7_ENKUlvE_clEvENKUlvE6_clEvEUlNS4_4HalfEE_St5arrayIPcLm2EEEEviT0_T1_.uses_flat_scratch, 0
	.set _ZN2at6native29vectorized_elementwise_kernelILi2EZZZNS0_17clamp_kernel_cudaERNS_18TensorIteratorBaseERKN3c106ScalarES7_ENKUlvE_clEvENKUlvE6_clEvEUlNS4_4HalfEE_St5arrayIPcLm2EEEEviT0_T1_.has_dyn_sized_stack, 0
	.set _ZN2at6native29vectorized_elementwise_kernelILi2EZZZNS0_17clamp_kernel_cudaERNS_18TensorIteratorBaseERKN3c106ScalarES7_ENKUlvE_clEvENKUlvE6_clEvEUlNS4_4HalfEE_St5arrayIPcLm2EEEEviT0_T1_.has_recursion, 0
	.set _ZN2at6native29vectorized_elementwise_kernelILi2EZZZNS0_17clamp_kernel_cudaERNS_18TensorIteratorBaseERKN3c106ScalarES7_ENKUlvE_clEvENKUlvE6_clEvEUlNS4_4HalfEE_St5arrayIPcLm2EEEEviT0_T1_.has_indirect_call, 0
	.section	.AMDGPU.csdata,"",@progbits
; Kernel info:
; codeLenInByte = 2216
; TotalNumSgprs: 19
; NumVgprs: 19
; NumAgprs: 0
; TotalNumVgprs: 19
; ScratchSize: 0
; MemoryBound: 0
; FloatMode: 240
; IeeeMode: 1
; LDSByteSize: 0 bytes/workgroup (compile time only)
; SGPRBlocks: 2
; VGPRBlocks: 2
; NumSGPRsForWavesPerEU: 19
; NumVGPRsForWavesPerEU: 19
; AccumOffset: 20
; Occupancy: 8
; WaveLimiterHint : 1
; COMPUTE_PGM_RSRC2:SCRATCH_EN: 0
; COMPUTE_PGM_RSRC2:USER_SGPR: 2
; COMPUTE_PGM_RSRC2:TRAP_HANDLER: 0
; COMPUTE_PGM_RSRC2:TGID_X_EN: 1
; COMPUTE_PGM_RSRC2:TGID_Y_EN: 0
; COMPUTE_PGM_RSRC2:TGID_Z_EN: 0
; COMPUTE_PGM_RSRC2:TIDIG_COMP_CNT: 0
; COMPUTE_PGM_RSRC3_GFX90A:ACCUM_OFFSET: 4
; COMPUTE_PGM_RSRC3_GFX90A:TG_SPLIT: 0
	.section	.text._ZN2at6native27unrolled_elementwise_kernelIZZZNS0_17clamp_kernel_cudaERNS_18TensorIteratorBaseERKN3c106ScalarES7_ENKUlvE_clEvENKUlvE6_clEvEUlNS4_4HalfEE_St5arrayIPcLm2EELi4E23TrivialOffsetCalculatorILi1EjESG_NS0_6memory15LoadWithoutCastENSH_16StoreWithoutCastEEEviT_T0_T2_T3_T4_T5_,"axG",@progbits,_ZN2at6native27unrolled_elementwise_kernelIZZZNS0_17clamp_kernel_cudaERNS_18TensorIteratorBaseERKN3c106ScalarES7_ENKUlvE_clEvENKUlvE6_clEvEUlNS4_4HalfEE_St5arrayIPcLm2EELi4E23TrivialOffsetCalculatorILi1EjESG_NS0_6memory15LoadWithoutCastENSH_16StoreWithoutCastEEEviT_T0_T2_T3_T4_T5_,comdat
	.globl	_ZN2at6native27unrolled_elementwise_kernelIZZZNS0_17clamp_kernel_cudaERNS_18TensorIteratorBaseERKN3c106ScalarES7_ENKUlvE_clEvENKUlvE6_clEvEUlNS4_4HalfEE_St5arrayIPcLm2EELi4E23TrivialOffsetCalculatorILi1EjESG_NS0_6memory15LoadWithoutCastENSH_16StoreWithoutCastEEEviT_T0_T2_T3_T4_T5_ ; -- Begin function _ZN2at6native27unrolled_elementwise_kernelIZZZNS0_17clamp_kernel_cudaERNS_18TensorIteratorBaseERKN3c106ScalarES7_ENKUlvE_clEvENKUlvE6_clEvEUlNS4_4HalfEE_St5arrayIPcLm2EELi4E23TrivialOffsetCalculatorILi1EjESG_NS0_6memory15LoadWithoutCastENSH_16StoreWithoutCastEEEviT_T0_T2_T3_T4_T5_
	.p2align	8
	.type	_ZN2at6native27unrolled_elementwise_kernelIZZZNS0_17clamp_kernel_cudaERNS_18TensorIteratorBaseERKN3c106ScalarES7_ENKUlvE_clEvENKUlvE6_clEvEUlNS4_4HalfEE_St5arrayIPcLm2EELi4E23TrivialOffsetCalculatorILi1EjESG_NS0_6memory15LoadWithoutCastENSH_16StoreWithoutCastEEEviT_T0_T2_T3_T4_T5_,@function
_ZN2at6native27unrolled_elementwise_kernelIZZZNS0_17clamp_kernel_cudaERNS_18TensorIteratorBaseERKN3c106ScalarES7_ENKUlvE_clEvENKUlvE6_clEvEUlNS4_4HalfEE_St5arrayIPcLm2EELi4E23TrivialOffsetCalculatorILi1EjESG_NS0_6memory15LoadWithoutCastENSH_16StoreWithoutCastEEEviT_T0_T2_T3_T4_T5_: ; @_ZN2at6native27unrolled_elementwise_kernelIZZZNS0_17clamp_kernel_cudaERNS_18TensorIteratorBaseERKN3c106ScalarES7_ENKUlvE_clEvENKUlvE6_clEvEUlNS4_4HalfEE_St5arrayIPcLm2EELi4E23TrivialOffsetCalculatorILi1EjESG_NS0_6memory15LoadWithoutCastENSH_16StoreWithoutCastEEEviT_T0_T2_T3_T4_T5_
; %bb.0:
	s_load_dwordx2 s[8:9], s[0:1], 0x0
	s_load_dwordx4 s[4:7], s[0:1], 0x8
	s_lshl_b32 s10, s2, 10
	v_mov_b32_e32 v4, 0
	v_or_b32_e32 v2, s10, v0
	s_waitcnt lgkmcnt(0)
	s_sub_i32 s8, s8, s10
	v_cmp_gt_i32_e32 vcc, s8, v0
	v_mov_b32_e32 v5, 0
	v_mov_b32_e32 v6, v0
	s_and_saveexec_b64 s[0:1], vcc
	s_cbranch_execz .LBB334_2
; %bb.1:
	v_mov_b32_e32 v3, 0
	v_lshl_add_u64 v[6:7], v[2:3], 1, s[6:7]
	global_load_ushort v5, v[6:7], off
	v_or_b32_e32 v6, 0x100, v0
.LBB334_2:
	s_or_b64 exec, exec, s[0:1]
	v_cmp_gt_i32_e64 s[0:1], s8, v6
	s_and_saveexec_b64 s[2:3], s[0:1]
	s_cbranch_execz .LBB334_4
; %bb.3:
	v_add_u32_e32 v8, s10, v6
	v_mov_b32_e32 v9, 0
	v_lshl_add_u64 v[8:9], v[8:9], 1, s[6:7]
	global_load_ushort v4, v[8:9], off
	v_add_u32_e32 v6, 0x100, v6
.LBB334_4:
	s_or_b64 exec, exec, s[2:3]
	v_cmp_gt_i32_e64 s[0:1], s8, v6
	v_mov_b32_e32 v1, 0
	v_mov_b32_e32 v3, 0
	s_and_saveexec_b64 s[2:3], s[0:1]
	s_cbranch_execz .LBB334_6
; %bb.5:
	v_add_u32_e32 v8, s10, v6
	v_mov_b32_e32 v9, 0
	v_lshl_add_u64 v[8:9], v[8:9], 1, s[6:7]
	global_load_ushort v3, v[8:9], off
	v_add_u32_e32 v6, 0x100, v6
	s_or_b64 exec, exec, s[2:3]
	v_cmp_gt_i32_e64 s[0:1], s8, v6
	s_and_saveexec_b64 s[2:3], s[0:1]
	s_cbranch_execz .LBB334_8
	s_branch .LBB334_7
.LBB334_6:
	s_or_b64 exec, exec, s[2:3]
	v_cmp_gt_i32_e64 s[0:1], s8, v6
	s_and_saveexec_b64 s[2:3], s[0:1]
	s_cbranch_execz .LBB334_8
.LBB334_7:
	v_add_u32_e32 v6, s10, v6
	v_mov_b32_e32 v7, 0
	v_lshl_add_u64 v[6:7], v[6:7], 1, s[6:7]
	global_load_ushort v1, v[6:7], off
.LBB334_8:
	s_or_b64 exec, exec, s[2:3]
	s_lshr_b32 s6, s9, 16
                                        ; implicit-def: $vgpr6
	s_and_saveexec_b64 s[2:3], vcc
	s_cbranch_execz .LBB334_10
; %bb.9:
	v_mov_b32_e32 v6, s9
	s_waitcnt vmcnt(0)
	v_cmp_lt_f16_e64 s[0:1], s9, v5
	v_mov_b32_e32 v7, s6
	s_nop 0
	v_cndmask_b32_e64 v6, v6, v5, s[0:1]
	v_cmp_gt_f16_e64 s[0:1], s6, v6
	s_nop 1
	v_cndmask_b32_e64 v6, v7, v6, s[0:1]
	v_cmp_u_f16_e64 s[0:1], v5, v5
	s_nop 1
	v_cndmask_b32_e64 v6, v6, v5, s[0:1]
.LBB334_10:
	s_or_b64 exec, exec, s[2:3]
	v_or_b32_e32 v7, 0x100, v0
	v_cmp_gt_i32_e64 s[0:1], s8, v7
                                        ; implicit-def: $vgpr5
	s_and_saveexec_b64 s[2:3], s[0:1]
	s_cbranch_execz .LBB334_12
; %bb.11:
	s_waitcnt vmcnt(0)
	v_mov_b32_e32 v5, s9
	v_cmp_lt_f16_e64 s[0:1], s9, v4
	v_mov_b32_e32 v8, s6
	s_nop 0
	v_cndmask_b32_e64 v5, v5, v4, s[0:1]
	v_cmp_gt_f16_e64 s[0:1], s6, v5
	s_nop 1
	v_cndmask_b32_e64 v5, v8, v5, s[0:1]
	v_cmp_u_f16_e64 s[0:1], v4, v4
	s_nop 1
	v_cndmask_b32_e64 v5, v5, v4, s[0:1]
.LBB334_12:
	s_or_b64 exec, exec, s[2:3]
	s_waitcnt vmcnt(0)
	v_or_b32_e32 v4, 0x200, v0
	v_cmp_gt_i32_e64 s[0:1], s8, v4
                                        ; implicit-def: $vgpr4
	s_and_saveexec_b64 s[2:3], s[0:1]
; %bb.13:
	v_mov_b32_e32 v4, s9
	v_cmp_lt_f16_e64 s[0:1], s9, v3
	v_mov_b32_e32 v8, s6
	s_nop 0
	v_cndmask_b32_e64 v4, v4, v3, s[0:1]
	v_cmp_gt_f16_e64 s[0:1], s6, v4
	s_nop 1
	v_cndmask_b32_e64 v4, v8, v4, s[0:1]
	v_cmp_u_f16_e64 s[0:1], v3, v3
	s_nop 1
	v_cndmask_b32_e64 v4, v4, v3, s[0:1]
; %bb.14:
	s_or_b64 exec, exec, s[2:3]
	v_or_b32_e32 v3, 0x300, v0
	v_cmp_gt_i32_e64 s[0:1], s8, v3
                                        ; implicit-def: $vgpr8
	s_and_saveexec_b64 s[2:3], s[0:1]
	s_cbranch_execz .LBB334_20
; %bb.15:
	v_mov_b32_e32 v3, s9
	v_cmp_lt_f16_e64 s[0:1], s9, v1
	v_mov_b32_e32 v8, s6
	s_nop 0
	v_cndmask_b32_e64 v3, v3, v1, s[0:1]
	v_cmp_gt_f16_e64 s[0:1], s6, v3
	s_nop 1
	v_cndmask_b32_e64 v3, v8, v3, s[0:1]
	v_cmp_u_f16_e64 s[0:1], v1, v1
	s_nop 1
	v_cndmask_b32_e64 v8, v3, v1, s[0:1]
	s_or_b64 exec, exec, s[2:3]
	s_and_saveexec_b64 s[0:1], vcc
	s_xor_b64 s[0:1], exec, s[0:1]
	s_cbranch_execnz .LBB334_21
.LBB334_16:
	s_or_b64 exec, exec, s[0:1]
	v_cmp_gt_i32_e32 vcc, s8, v0
	s_and_saveexec_b64 s[0:1], vcc
	s_cbranch_execz .LBB334_22
.LBB334_17:
	v_add_u32_e32 v2, 0x100, v0
	v_add_u32_e32 v0, s10, v0
	v_mov_b32_e32 v1, 0
	v_lshl_add_u64 v[0:1], v[0:1], 1, s[4:5]
	global_store_short v[0:1], v5, off
	v_mov_b32_e32 v0, v2
	s_or_b64 exec, exec, s[0:1]
	v_cmp_gt_i32_e32 vcc, s8, v0
	s_and_saveexec_b64 s[0:1], vcc
	s_cbranch_execnz .LBB334_23
.LBB334_18:
	s_or_b64 exec, exec, s[0:1]
	v_cmp_gt_i32_e32 vcc, s8, v0
	s_and_saveexec_b64 s[0:1], vcc
	s_cbranch_execz .LBB334_24
.LBB334_19:
	v_add_u32_e32 v0, s10, v0
	v_mov_b32_e32 v1, 0
	v_lshl_add_u64 v[0:1], v[0:1], 1, s[4:5]
	global_store_short v[0:1], v8, off
	s_endpgm
.LBB334_20:
	s_or_b64 exec, exec, s[2:3]
	s_and_saveexec_b64 s[0:1], vcc
	s_xor_b64 s[0:1], exec, s[0:1]
	s_cbranch_execz .LBB334_16
.LBB334_21:
	v_mov_b32_e32 v3, 0
	v_lshl_add_u64 v[0:1], v[2:3], 1, s[4:5]
	global_store_short v[0:1], v6, off
	v_mov_b32_e32 v0, v7
	s_or_b64 exec, exec, s[0:1]
	v_cmp_gt_i32_e32 vcc, s8, v0
	s_and_saveexec_b64 s[0:1], vcc
	s_cbranch_execnz .LBB334_17
.LBB334_22:
	s_or_b64 exec, exec, s[0:1]
	v_cmp_gt_i32_e32 vcc, s8, v0
	s_and_saveexec_b64 s[0:1], vcc
	s_cbranch_execz .LBB334_18
.LBB334_23:
	v_add_u32_e32 v2, 0x100, v0
	v_add_u32_e32 v0, s10, v0
	v_mov_b32_e32 v1, 0
	v_lshl_add_u64 v[0:1], v[0:1], 1, s[4:5]
	global_store_short v[0:1], v4, off
	v_mov_b32_e32 v0, v2
	s_or_b64 exec, exec, s[0:1]
	v_cmp_gt_i32_e32 vcc, s8, v0
	s_and_saveexec_b64 s[0:1], vcc
	s_cbranch_execnz .LBB334_19
.LBB334_24:
	s_endpgm
	.section	.rodata,"a",@progbits
	.p2align	6, 0x0
	.amdhsa_kernel _ZN2at6native27unrolled_elementwise_kernelIZZZNS0_17clamp_kernel_cudaERNS_18TensorIteratorBaseERKN3c106ScalarES7_ENKUlvE_clEvENKUlvE6_clEvEUlNS4_4HalfEE_St5arrayIPcLm2EELi4E23TrivialOffsetCalculatorILi1EjESG_NS0_6memory15LoadWithoutCastENSH_16StoreWithoutCastEEEviT_T0_T2_T3_T4_T5_
		.amdhsa_group_segment_fixed_size 0
		.amdhsa_private_segment_fixed_size 0
		.amdhsa_kernarg_size 28
		.amdhsa_user_sgpr_count 2
		.amdhsa_user_sgpr_dispatch_ptr 0
		.amdhsa_user_sgpr_queue_ptr 0
		.amdhsa_user_sgpr_kernarg_segment_ptr 1
		.amdhsa_user_sgpr_dispatch_id 0
		.amdhsa_user_sgpr_kernarg_preload_length 0
		.amdhsa_user_sgpr_kernarg_preload_offset 0
		.amdhsa_user_sgpr_private_segment_size 0
		.amdhsa_uses_dynamic_stack 0
		.amdhsa_enable_private_segment 0
		.amdhsa_system_sgpr_workgroup_id_x 1
		.amdhsa_system_sgpr_workgroup_id_y 0
		.amdhsa_system_sgpr_workgroup_id_z 0
		.amdhsa_system_sgpr_workgroup_info 0
		.amdhsa_system_vgpr_workitem_id 0
		.amdhsa_next_free_vgpr 10
		.amdhsa_next_free_sgpr 11
		.amdhsa_accum_offset 12
		.amdhsa_reserve_vcc 1
		.amdhsa_float_round_mode_32 0
		.amdhsa_float_round_mode_16_64 0
		.amdhsa_float_denorm_mode_32 3
		.amdhsa_float_denorm_mode_16_64 3
		.amdhsa_dx10_clamp 1
		.amdhsa_ieee_mode 1
		.amdhsa_fp16_overflow 0
		.amdhsa_tg_split 0
		.amdhsa_exception_fp_ieee_invalid_op 0
		.amdhsa_exception_fp_denorm_src 0
		.amdhsa_exception_fp_ieee_div_zero 0
		.amdhsa_exception_fp_ieee_overflow 0
		.amdhsa_exception_fp_ieee_underflow 0
		.amdhsa_exception_fp_ieee_inexact 0
		.amdhsa_exception_int_div_zero 0
	.end_amdhsa_kernel
	.section	.text._ZN2at6native27unrolled_elementwise_kernelIZZZNS0_17clamp_kernel_cudaERNS_18TensorIteratorBaseERKN3c106ScalarES7_ENKUlvE_clEvENKUlvE6_clEvEUlNS4_4HalfEE_St5arrayIPcLm2EELi4E23TrivialOffsetCalculatorILi1EjESG_NS0_6memory15LoadWithoutCastENSH_16StoreWithoutCastEEEviT_T0_T2_T3_T4_T5_,"axG",@progbits,_ZN2at6native27unrolled_elementwise_kernelIZZZNS0_17clamp_kernel_cudaERNS_18TensorIteratorBaseERKN3c106ScalarES7_ENKUlvE_clEvENKUlvE6_clEvEUlNS4_4HalfEE_St5arrayIPcLm2EELi4E23TrivialOffsetCalculatorILi1EjESG_NS0_6memory15LoadWithoutCastENSH_16StoreWithoutCastEEEviT_T0_T2_T3_T4_T5_,comdat
.Lfunc_end334:
	.size	_ZN2at6native27unrolled_elementwise_kernelIZZZNS0_17clamp_kernel_cudaERNS_18TensorIteratorBaseERKN3c106ScalarES7_ENKUlvE_clEvENKUlvE6_clEvEUlNS4_4HalfEE_St5arrayIPcLm2EELi4E23TrivialOffsetCalculatorILi1EjESG_NS0_6memory15LoadWithoutCastENSH_16StoreWithoutCastEEEviT_T0_T2_T3_T4_T5_, .Lfunc_end334-_ZN2at6native27unrolled_elementwise_kernelIZZZNS0_17clamp_kernel_cudaERNS_18TensorIteratorBaseERKN3c106ScalarES7_ENKUlvE_clEvENKUlvE6_clEvEUlNS4_4HalfEE_St5arrayIPcLm2EELi4E23TrivialOffsetCalculatorILi1EjESG_NS0_6memory15LoadWithoutCastENSH_16StoreWithoutCastEEEviT_T0_T2_T3_T4_T5_
                                        ; -- End function
	.set _ZN2at6native27unrolled_elementwise_kernelIZZZNS0_17clamp_kernel_cudaERNS_18TensorIteratorBaseERKN3c106ScalarES7_ENKUlvE_clEvENKUlvE6_clEvEUlNS4_4HalfEE_St5arrayIPcLm2EELi4E23TrivialOffsetCalculatorILi1EjESG_NS0_6memory15LoadWithoutCastENSH_16StoreWithoutCastEEEviT_T0_T2_T3_T4_T5_.num_vgpr, 10
	.set _ZN2at6native27unrolled_elementwise_kernelIZZZNS0_17clamp_kernel_cudaERNS_18TensorIteratorBaseERKN3c106ScalarES7_ENKUlvE_clEvENKUlvE6_clEvEUlNS4_4HalfEE_St5arrayIPcLm2EELi4E23TrivialOffsetCalculatorILi1EjESG_NS0_6memory15LoadWithoutCastENSH_16StoreWithoutCastEEEviT_T0_T2_T3_T4_T5_.num_agpr, 0
	.set _ZN2at6native27unrolled_elementwise_kernelIZZZNS0_17clamp_kernel_cudaERNS_18TensorIteratorBaseERKN3c106ScalarES7_ENKUlvE_clEvENKUlvE6_clEvEUlNS4_4HalfEE_St5arrayIPcLm2EELi4E23TrivialOffsetCalculatorILi1EjESG_NS0_6memory15LoadWithoutCastENSH_16StoreWithoutCastEEEviT_T0_T2_T3_T4_T5_.numbered_sgpr, 11
	.set _ZN2at6native27unrolled_elementwise_kernelIZZZNS0_17clamp_kernel_cudaERNS_18TensorIteratorBaseERKN3c106ScalarES7_ENKUlvE_clEvENKUlvE6_clEvEUlNS4_4HalfEE_St5arrayIPcLm2EELi4E23TrivialOffsetCalculatorILi1EjESG_NS0_6memory15LoadWithoutCastENSH_16StoreWithoutCastEEEviT_T0_T2_T3_T4_T5_.num_named_barrier, 0
	.set _ZN2at6native27unrolled_elementwise_kernelIZZZNS0_17clamp_kernel_cudaERNS_18TensorIteratorBaseERKN3c106ScalarES7_ENKUlvE_clEvENKUlvE6_clEvEUlNS4_4HalfEE_St5arrayIPcLm2EELi4E23TrivialOffsetCalculatorILi1EjESG_NS0_6memory15LoadWithoutCastENSH_16StoreWithoutCastEEEviT_T0_T2_T3_T4_T5_.private_seg_size, 0
	.set _ZN2at6native27unrolled_elementwise_kernelIZZZNS0_17clamp_kernel_cudaERNS_18TensorIteratorBaseERKN3c106ScalarES7_ENKUlvE_clEvENKUlvE6_clEvEUlNS4_4HalfEE_St5arrayIPcLm2EELi4E23TrivialOffsetCalculatorILi1EjESG_NS0_6memory15LoadWithoutCastENSH_16StoreWithoutCastEEEviT_T0_T2_T3_T4_T5_.uses_vcc, 1
	.set _ZN2at6native27unrolled_elementwise_kernelIZZZNS0_17clamp_kernel_cudaERNS_18TensorIteratorBaseERKN3c106ScalarES7_ENKUlvE_clEvENKUlvE6_clEvEUlNS4_4HalfEE_St5arrayIPcLm2EELi4E23TrivialOffsetCalculatorILi1EjESG_NS0_6memory15LoadWithoutCastENSH_16StoreWithoutCastEEEviT_T0_T2_T3_T4_T5_.uses_flat_scratch, 0
	.set _ZN2at6native27unrolled_elementwise_kernelIZZZNS0_17clamp_kernel_cudaERNS_18TensorIteratorBaseERKN3c106ScalarES7_ENKUlvE_clEvENKUlvE6_clEvEUlNS4_4HalfEE_St5arrayIPcLm2EELi4E23TrivialOffsetCalculatorILi1EjESG_NS0_6memory15LoadWithoutCastENSH_16StoreWithoutCastEEEviT_T0_T2_T3_T4_T5_.has_dyn_sized_stack, 0
	.set _ZN2at6native27unrolled_elementwise_kernelIZZZNS0_17clamp_kernel_cudaERNS_18TensorIteratorBaseERKN3c106ScalarES7_ENKUlvE_clEvENKUlvE6_clEvEUlNS4_4HalfEE_St5arrayIPcLm2EELi4E23TrivialOffsetCalculatorILi1EjESG_NS0_6memory15LoadWithoutCastENSH_16StoreWithoutCastEEEviT_T0_T2_T3_T4_T5_.has_recursion, 0
	.set _ZN2at6native27unrolled_elementwise_kernelIZZZNS0_17clamp_kernel_cudaERNS_18TensorIteratorBaseERKN3c106ScalarES7_ENKUlvE_clEvENKUlvE6_clEvEUlNS4_4HalfEE_St5arrayIPcLm2EELi4E23TrivialOffsetCalculatorILi1EjESG_NS0_6memory15LoadWithoutCastENSH_16StoreWithoutCastEEEviT_T0_T2_T3_T4_T5_.has_indirect_call, 0
	.section	.AMDGPU.csdata,"",@progbits
; Kernel info:
; codeLenInByte = 900
; TotalNumSgprs: 17
; NumVgprs: 10
; NumAgprs: 0
; TotalNumVgprs: 10
; ScratchSize: 0
; MemoryBound: 0
; FloatMode: 240
; IeeeMode: 1
; LDSByteSize: 0 bytes/workgroup (compile time only)
; SGPRBlocks: 2
; VGPRBlocks: 1
; NumSGPRsForWavesPerEU: 17
; NumVGPRsForWavesPerEU: 10
; AccumOffset: 12
; Occupancy: 8
; WaveLimiterHint : 0
; COMPUTE_PGM_RSRC2:SCRATCH_EN: 0
; COMPUTE_PGM_RSRC2:USER_SGPR: 2
; COMPUTE_PGM_RSRC2:TRAP_HANDLER: 0
; COMPUTE_PGM_RSRC2:TGID_X_EN: 1
; COMPUTE_PGM_RSRC2:TGID_Y_EN: 0
; COMPUTE_PGM_RSRC2:TGID_Z_EN: 0
; COMPUTE_PGM_RSRC2:TIDIG_COMP_CNT: 0
; COMPUTE_PGM_RSRC3_GFX90A:ACCUM_OFFSET: 2
; COMPUTE_PGM_RSRC3_GFX90A:TG_SPLIT: 0
	.section	.text._ZN2at6native32elementwise_kernel_manual_unrollILi128ELi8EZNS0_22gpu_kernel_impl_nocastIZZZNS0_17clamp_kernel_cudaERNS_18TensorIteratorBaseERKN3c106ScalarES8_ENKUlvE_clEvENKUlvE6_clEvEUlNS5_4HalfEE_EEvS4_RKT_EUlibE_EEviT1_,"axG",@progbits,_ZN2at6native32elementwise_kernel_manual_unrollILi128ELi8EZNS0_22gpu_kernel_impl_nocastIZZZNS0_17clamp_kernel_cudaERNS_18TensorIteratorBaseERKN3c106ScalarES8_ENKUlvE_clEvENKUlvE6_clEvEUlNS5_4HalfEE_EEvS4_RKT_EUlibE_EEviT1_,comdat
	.globl	_ZN2at6native32elementwise_kernel_manual_unrollILi128ELi8EZNS0_22gpu_kernel_impl_nocastIZZZNS0_17clamp_kernel_cudaERNS_18TensorIteratorBaseERKN3c106ScalarES8_ENKUlvE_clEvENKUlvE6_clEvEUlNS5_4HalfEE_EEvS4_RKT_EUlibE_EEviT1_ ; -- Begin function _ZN2at6native32elementwise_kernel_manual_unrollILi128ELi8EZNS0_22gpu_kernel_impl_nocastIZZZNS0_17clamp_kernel_cudaERNS_18TensorIteratorBaseERKN3c106ScalarES8_ENKUlvE_clEvENKUlvE6_clEvEUlNS5_4HalfEE_EEvS4_RKT_EUlibE_EEviT1_
	.p2align	8
	.type	_ZN2at6native32elementwise_kernel_manual_unrollILi128ELi8EZNS0_22gpu_kernel_impl_nocastIZZZNS0_17clamp_kernel_cudaERNS_18TensorIteratorBaseERKN3c106ScalarES8_ENKUlvE_clEvENKUlvE6_clEvEUlNS5_4HalfEE_EEvS4_RKT_EUlibE_EEviT1_,@function
_ZN2at6native32elementwise_kernel_manual_unrollILi128ELi8EZNS0_22gpu_kernel_impl_nocastIZZZNS0_17clamp_kernel_cudaERNS_18TensorIteratorBaseERKN3c106ScalarES8_ENKUlvE_clEvENKUlvE6_clEvEUlNS5_4HalfEE_EEvS4_RKT_EUlibE_EEviT1_: ; @_ZN2at6native32elementwise_kernel_manual_unrollILi128ELi8EZNS0_22gpu_kernel_impl_nocastIZZZNS0_17clamp_kernel_cudaERNS_18TensorIteratorBaseERKN3c106ScalarES8_ENKUlvE_clEvENKUlvE6_clEvEUlNS5_4HalfEE_EEvS4_RKT_EUlibE_EEviT1_
; %bb.0:
	s_load_dword s57, s[0:1], 0x0
	s_load_dword s33, s[0:1], 0x8
	s_add_u32 s34, s0, 8
	s_addc_u32 s35, s1, 0
	v_lshl_or_b32 v24, s2, 10, v0
	v_or_b32_e32 v32, 0x380, v24
	s_waitcnt lgkmcnt(0)
	s_add_i32 s54, s33, -1
	s_cmp_gt_u32 s54, 1
	v_cmp_le_i32_e32 vcc, s57, v32
	s_cselect_b64 s[36:37], -1, 0
	s_and_saveexec_b64 s[0:1], vcc
	s_xor_b64 s[38:39], exec, s[0:1]
	s_cbranch_execz .LBB335_8
; %bb.1:
	s_cmp_lg_u32 s33, 0
	s_cselect_b64 s[46:47], -1, 0
	s_add_u32 s44, s34, 0xc4
	s_load_dwordx4 s[20:23], s[34:35], 0x4
	s_load_dwordx2 s[40:41], s[34:35], 0x14
	s_load_dword s55, s[34:35], 0x158
	s_load_dwordx4 s[24:27], s[34:35], 0xc4
	s_load_dwordx4 s[16:19], s[34:35], 0x148
	s_addc_u32 s45, s35, 0
	s_min_u32 s58, s54, 15
	s_cmp_gt_u32 s33, 1
	s_cselect_b64 s[42:43], -1, 0
	s_waitcnt lgkmcnt(0)
	s_lshr_b32 s56, s55, 16
	v_cmp_gt_i32_e32 vcc, s57, v24
	s_and_saveexec_b64 s[48:49], vcc
	s_cbranch_execz .LBB335_15
; %bb.2:
	s_andn2_b64 vcc, exec, s[36:37]
	s_cbranch_vccnz .LBB335_23
; %bb.3:
	s_andn2_b64 vcc, exec, s[46:47]
	s_cbranch_vccnz .LBB335_131
; %bb.4:
	s_add_i32 s60, s58, 1
	s_cmp_eq_u32 s54, 2
	s_cbranch_scc1 .LBB335_133
; %bb.5:
	s_and_b32 s59, s60, 28
	s_mov_b32 s61, 0
	v_mov_b32_e32 v0, 0
	v_mov_b32_e32 v2, 0
	s_mov_b64 s[50:51], s[34:35]
	s_mov_b64 s[52:53], s[44:45]
	v_mov_b32_e32 v4, v24
.LBB335_6:                              ; =>This Inner Loop Header: Depth=1
	s_load_dwordx8 s[8:15], s[50:51], 0x4
	s_load_dwordx4 s[28:31], s[50:51], 0x24
	s_load_dwordx8 s[0:7], s[52:53], 0x0
	s_add_u32 s50, s50, 48
	s_addc_u32 s51, s51, 0
	s_waitcnt lgkmcnt(0)
	v_mul_hi_u32 v1, s9, v4
	v_add_u32_e32 v1, v4, v1
	v_lshrrev_b32_e32 v1, s10, v1
	v_mul_lo_u32 v3, v1, s8
	v_mul_hi_u32 v5, s12, v1
	v_sub_u32_e32 v3, v4, v3
	v_add_u32_e32 v4, v1, v5
	v_lshrrev_b32_e32 v4, s13, v4
	v_mul_lo_u32 v6, v4, s11
	v_mul_hi_u32 v7, s15, v4
	v_sub_u32_e32 v1, v1, v6
	v_add_u32_e32 v6, v4, v7
	v_mul_lo_u32 v5, v3, s1
	v_mul_lo_u32 v3, v3, s0
	;; [unrolled: 1-line block ×4, first 2 shown]
	v_lshrrev_b32_e32 v6, s28, v6
	v_add3_u32 v0, v3, v0, v1
	v_mul_hi_u32 v3, s30, v6
	v_add3_u32 v1, v5, v2, v7
	v_mul_lo_u32 v2, v6, s14
	v_add_u32_e32 v3, v6, v3
	v_sub_u32_e32 v2, v4, v2
	v_lshrrev_b32_e32 v4, s31, v3
	s_add_i32 s61, s61, 4
	v_mul_lo_u32 v3, v4, s29
	s_add_u32 s52, s52, 32
	v_sub_u32_e32 v3, v6, v3
	s_addc_u32 s53, s53, 0
	v_mul_lo_u32 v5, v2, s4
	v_mul_lo_u32 v2, v2, s5
	;; [unrolled: 1-line block ×4, first 2 shown]
	s_cmp_lg_u32 s59, s61
	v_add3_u32 v2, v2, v1, v3
	v_add3_u32 v0, v5, v0, v6
	s_cbranch_scc1 .LBB335_6
; %bb.7:
	v_mov_b32_e32 v1, v2
	s_branch .LBB335_134
.LBB335_8:
	s_andn2_saveexec_b64 s[0:1], s[38:39]
	s_cbranch_execz .LBB335_228
.LBB335_9:
	v_cndmask_b32_e64 v0, 0, 1, s[36:37]
	v_cmp_ne_u32_e64 s[0:1], 1, v0
	s_andn2_b64 vcc, exec, s[36:37]
	s_cbranch_vccnz .LBB335_22
; %bb.10:
	s_cmp_lg_u32 s33, 0
	s_mov_b32 s26, 0
	s_cbranch_scc0 .LBB335_25
; %bb.11:
	s_min_u32 s27, s54, 15
	s_add_i32 s27, s27, 1
	s_cmp_eq_u32 s54, 2
	s_cbranch_scc1 .LBB335_26
; %bb.12:
	s_and_b32 s26, s27, 28
	s_add_u32 s2, s34, 0xc4
	s_addc_u32 s3, s35, 0
	s_mov_b32 s28, 0
	v_mov_b32_e32 v0, 0
	v_mov_b32_e32 v2, 0
	s_mov_b64 s[24:25], s[34:35]
	v_mov_b32_e32 v4, v24
.LBB335_13:                             ; =>This Inner Loop Header: Depth=1
	s_load_dwordx8 s[12:19], s[24:25], 0x4
	s_load_dwordx4 s[20:23], s[24:25], 0x24
	s_load_dwordx8 s[4:11], s[2:3], 0x0
	s_add_u32 s24, s24, 48
	s_addc_u32 s25, s25, 0
	s_waitcnt lgkmcnt(0)
	v_mul_hi_u32 v1, s13, v4
	v_add_u32_e32 v1, v4, v1
	v_lshrrev_b32_e32 v1, s14, v1
	v_mul_lo_u32 v3, v1, s12
	v_mul_hi_u32 v5, s16, v1
	v_sub_u32_e32 v3, v4, v3
	v_add_u32_e32 v4, v1, v5
	v_lshrrev_b32_e32 v4, s17, v4
	v_mul_lo_u32 v6, v4, s15
	v_mul_hi_u32 v7, s19, v4
	v_sub_u32_e32 v1, v1, v6
	v_add_u32_e32 v6, v4, v7
	v_mul_lo_u32 v5, v3, s5
	v_mul_lo_u32 v3, v3, s4
	;; [unrolled: 1-line block ×4, first 2 shown]
	v_lshrrev_b32_e32 v6, s20, v6
	v_add3_u32 v0, v3, v0, v1
	v_mul_hi_u32 v3, s22, v6
	v_add3_u32 v1, v5, v2, v7
	v_mul_lo_u32 v2, v6, s18
	v_add_u32_e32 v3, v6, v3
	v_sub_u32_e32 v2, v4, v2
	v_lshrrev_b32_e32 v4, s23, v3
	s_add_i32 s28, s28, 4
	v_mul_lo_u32 v3, v4, s21
	s_add_u32 s2, s2, 32
	v_sub_u32_e32 v3, v6, v3
	s_addc_u32 s3, s3, 0
	v_mul_lo_u32 v5, v2, s8
	v_mul_lo_u32 v2, v2, s9
	;; [unrolled: 1-line block ×4, first 2 shown]
	s_cmp_lg_u32 s26, s28
	v_add3_u32 v2, v2, v1, v3
	v_add3_u32 v0, v5, v0, v6
	s_cbranch_scc1 .LBB335_13
; %bb.14:
	v_mov_b32_e32 v1, v2
	s_and_b32 s6, s27, 3
	s_cmp_eq_u32 s6, 0
	s_cbranch_scc0 .LBB335_27
	s_branch .LBB335_29
.LBB335_15:
	s_or_b64 exec, exec, s[48:49]
	v_cmp_gt_i32_e32 vcc, s57, v24
	s_and_saveexec_b64 s[48:49], vcc
	s_cbranch_execz .LBB335_141
.LBB335_16:
	s_andn2_b64 vcc, exec, s[36:37]
	s_cbranch_vccnz .LBB335_24
; %bb.17:
	s_andn2_b64 vcc, exec, s[46:47]
	s_cbranch_vccnz .LBB335_132
; %bb.18:
	s_add_i32 s60, s58, 1
	s_cmp_eq_u32 s54, 2
	s_cbranch_scc1 .LBB335_150
; %bb.19:
	s_and_b32 s59, s60, 28
	s_mov_b32 s61, 0
	v_mov_b32_e32 v0, 0
	v_mov_b32_e32 v2, 0
	s_mov_b64 s[50:51], s[34:35]
	s_mov_b64 s[52:53], s[44:45]
	v_mov_b32_e32 v4, v24
.LBB335_20:                             ; =>This Inner Loop Header: Depth=1
	s_load_dwordx8 s[8:15], s[50:51], 0x4
	s_load_dwordx4 s[28:31], s[50:51], 0x24
	s_load_dwordx8 s[0:7], s[52:53], 0x0
	s_add_u32 s50, s50, 48
	s_addc_u32 s51, s51, 0
	s_waitcnt lgkmcnt(0)
	v_mul_hi_u32 v1, s9, v4
	v_add_u32_e32 v1, v4, v1
	v_lshrrev_b32_e32 v1, s10, v1
	v_mul_lo_u32 v3, v1, s8
	v_mul_hi_u32 v5, s12, v1
	v_sub_u32_e32 v3, v4, v3
	v_add_u32_e32 v4, v1, v5
	v_lshrrev_b32_e32 v4, s13, v4
	v_mul_lo_u32 v6, v4, s11
	v_mul_hi_u32 v7, s15, v4
	v_sub_u32_e32 v1, v1, v6
	v_add_u32_e32 v6, v4, v7
	v_mul_lo_u32 v5, v3, s1
	v_mul_lo_u32 v3, v3, s0
	;; [unrolled: 1-line block ×4, first 2 shown]
	v_lshrrev_b32_e32 v6, s28, v6
	v_add3_u32 v0, v3, v0, v1
	v_mul_hi_u32 v3, s30, v6
	v_add3_u32 v1, v5, v2, v7
	v_mul_lo_u32 v2, v6, s14
	v_add_u32_e32 v3, v6, v3
	v_sub_u32_e32 v2, v4, v2
	v_lshrrev_b32_e32 v4, s31, v3
	s_add_i32 s61, s61, 4
	v_mul_lo_u32 v3, v4, s29
	s_add_u32 s52, s52, 32
	v_sub_u32_e32 v3, v6, v3
	s_addc_u32 s53, s53, 0
	v_mul_lo_u32 v5, v2, s4
	v_mul_lo_u32 v2, v2, s5
	;; [unrolled: 1-line block ×4, first 2 shown]
	s_cmp_eq_u32 s59, s61
	v_add3_u32 v2, v2, v1, v3
	v_add3_u32 v0, v5, v0, v6
	s_cbranch_scc0 .LBB335_20
; %bb.21:
	v_mov_b32_e32 v1, v2
	s_branch .LBB335_151
.LBB335_22:
                                        ; implicit-def: $vgpr2
                                        ; implicit-def: $vgpr0
	s_branch .LBB335_30
.LBB335_23:
                                        ; implicit-def: $vgpr2
                                        ; implicit-def: $vgpr0
	s_branch .LBB335_138
.LBB335_24:
                                        ; implicit-def: $vgpr2
                                        ; implicit-def: $vgpr0
	s_branch .LBB335_155
.LBB335_25:
	v_mov_b32_e32 v2, 0
	v_mov_b32_e32 v0, 0
	s_branch .LBB335_29
.LBB335_26:
	v_mov_b32_e32 v0, 0
                                        ; implicit-def: $vgpr2
	v_mov_b32_e32 v1, v0
	v_mov_b32_e32 v4, v24
	s_and_b32 s6, s27, 3
	s_cmp_eq_u32 s6, 0
	s_cbranch_scc1 .LBB335_29
.LBB335_27:
	s_lshl_b32 s2, s26, 3
	s_add_u32 s2, s34, s2
	s_addc_u32 s3, s35, 0
	s_add_u32 s2, s2, 0xc4
	s_addc_u32 s3, s3, 0
	s_mul_i32 s4, s26, 12
	s_add_u32 s4, s34, s4
	s_addc_u32 s5, s35, 0
.LBB335_28:                             ; =>This Inner Loop Header: Depth=1
	s_load_dwordx2 s[8:9], s[4:5], 0x4
	s_load_dword s7, s[4:5], 0xc
	s_load_dwordx2 s[10:11], s[2:3], 0x0
	v_mov_b32_e32 v2, v1
	s_add_u32 s4, s4, 12
	s_waitcnt lgkmcnt(0)
	v_mul_hi_u32 v1, s9, v4
	v_add_u32_e32 v1, v4, v1
	v_lshrrev_b32_e32 v1, s7, v1
	s_addc_u32 s5, s5, 0
	v_mul_lo_u32 v3, v1, s8
	s_add_u32 s2, s2, 8
	v_sub_u32_e32 v5, v4, v3
	s_addc_u32 s3, s3, 0
	s_add_i32 s6, s6, -1
	v_mov_b32_e32 v4, v1
	v_mad_u64_u32 v[2:3], s[8:9], v5, s11, v[2:3]
	v_mad_u64_u32 v[0:1], s[8:9], v5, s10, v[0:1]
	s_cmp_lg_u32 s6, 0
	v_mov_b32_e32 v1, v2
	s_cbranch_scc1 .LBB335_28
.LBB335_29:
	s_cbranch_execnz .LBB335_32
.LBB335_30:
	s_load_dwordx4 s[4:7], s[34:35], 0x4
	s_load_dwordx2 s[2:3], s[34:35], 0xc4
	s_cmp_lt_u32 s33, 2
	s_waitcnt lgkmcnt(0)
	v_mul_hi_u32 v0, s5, v24
	v_add_u32_e32 v0, v24, v0
	v_lshrrev_b32_e32 v1, s6, v0
	v_mul_lo_u32 v0, v1, s4
	v_sub_u32_e32 v0, v24, v0
	v_mul_lo_u32 v2, v0, s3
	v_mul_lo_u32 v0, v0, s2
	s_cbranch_scc1 .LBB335_32
; %bb.31:
	s_load_dwordx4 s[4:7], s[34:35], 0x10
	s_load_dwordx2 s[2:3], s[34:35], 0xcc
	s_waitcnt lgkmcnt(0)
	v_mul_hi_u32 v3, s5, v1
	v_add_u32_e32 v3, v1, v3
	v_lshrrev_b32_e32 v3, s6, v3
	v_mul_lo_u32 v3, v3, s4
	v_sub_u32_e32 v3, v1, v3
	v_mad_u64_u32 v[0:1], s[4:5], v3, s2, v[0:1]
	v_mad_u64_u32 v[2:3], s[2:3], v3, s3, v[2:3]
.LBB335_32:
	s_and_b64 vcc, exec, s[0:1]
	v_add_u32_e32 v3, 0x80, v24
	s_cbranch_vccnz .LBB335_38
; %bb.33:
	s_cmp_lg_u32 s33, 0
	s_mov_b32 s26, 0
	s_cbranch_scc0 .LBB335_39
; %bb.34:
	s_min_u32 s27, s54, 15
	s_add_i32 s27, s27, 1
	s_cmp_eq_u32 s54, 2
	s_cbranch_scc1 .LBB335_40
; %bb.35:
	s_and_b32 s26, s27, 28
	s_add_u32 s2, s34, 0xc4
	s_addc_u32 s3, s35, 0
	s_mov_b32 s28, 0
	v_mov_b32_e32 v4, 0
	v_mov_b32_e32 v6, 0
	s_mov_b64 s[24:25], s[34:35]
	v_mov_b32_e32 v8, v3
.LBB335_36:                             ; =>This Inner Loop Header: Depth=1
	s_load_dwordx8 s[12:19], s[24:25], 0x4
	s_load_dwordx4 s[20:23], s[24:25], 0x24
	s_load_dwordx8 s[4:11], s[2:3], 0x0
	s_add_u32 s24, s24, 48
	s_addc_u32 s25, s25, 0
	s_waitcnt lgkmcnt(0)
	v_mul_hi_u32 v1, s13, v8
	v_add_u32_e32 v1, v8, v1
	v_lshrrev_b32_e32 v1, s14, v1
	v_mul_hi_u32 v7, s16, v1
	v_add_u32_e32 v7, v1, v7
	v_lshrrev_b32_e32 v7, s17, v7
	v_mul_lo_u32 v5, v1, s12
	v_mul_lo_u32 v9, v7, s15
	v_mul_hi_u32 v10, s19, v7
	v_sub_u32_e32 v5, v8, v5
	v_sub_u32_e32 v1, v1, v9
	v_add_u32_e32 v9, v7, v10
	v_mul_lo_u32 v8, v5, s5
	v_mul_lo_u32 v5, v5, s4
	;; [unrolled: 1-line block ×4, first 2 shown]
	v_lshrrev_b32_e32 v9, s20, v9
	v_add3_u32 v1, v5, v4, v1
	v_add3_u32 v4, v8, v6, v10
	v_mul_hi_u32 v6, s22, v9
	v_add_u32_e32 v6, v9, v6
	v_lshrrev_b32_e32 v8, s23, v6
	s_add_i32 s28, s28, 4
	v_mul_lo_u32 v5, v9, s18
	v_mul_lo_u32 v6, v8, s21
	s_add_u32 s2, s2, 32
	v_sub_u32_e32 v5, v7, v5
	v_sub_u32_e32 v6, v9, v6
	s_addc_u32 s3, s3, 0
	v_mul_lo_u32 v7, v5, s8
	v_mul_lo_u32 v5, v5, s9
	v_mul_lo_u32 v9, v6, s10
	v_mul_lo_u32 v6, v6, s11
	s_cmp_lg_u32 s26, s28
	v_add3_u32 v6, v5, v4, v6
	v_add3_u32 v4, v7, v1, v9
	s_cbranch_scc1 .LBB335_36
; %bb.37:
	v_mov_b32_e32 v1, v6
	s_and_b32 s6, s27, 3
	s_cmp_eq_u32 s6, 0
	s_cbranch_scc0 .LBB335_41
	s_branch .LBB335_43
.LBB335_38:
                                        ; implicit-def: $vgpr6
                                        ; implicit-def: $vgpr4
	s_branch .LBB335_44
.LBB335_39:
	v_mov_b32_e32 v6, 0
	v_mov_b32_e32 v4, 0
	s_branch .LBB335_43
.LBB335_40:
	v_mov_b32_e32 v4, 0
                                        ; implicit-def: $vgpr6
	v_mov_b32_e32 v1, v4
	v_mov_b32_e32 v8, v3
	s_and_b32 s6, s27, 3
	s_cmp_eq_u32 s6, 0
	s_cbranch_scc1 .LBB335_43
.LBB335_41:
	s_lshl_b32 s2, s26, 3
	s_add_u32 s2, s34, s2
	s_addc_u32 s3, s35, 0
	s_add_u32 s2, s2, 0xc4
	s_addc_u32 s3, s3, 0
	s_mul_i32 s4, s26, 12
	s_add_u32 s4, s34, s4
	s_addc_u32 s5, s35, 0
.LBB335_42:                             ; =>This Inner Loop Header: Depth=1
	s_load_dwordx2 s[8:9], s[4:5], 0x4
	s_load_dword s7, s[4:5], 0xc
	s_load_dwordx2 s[10:11], s[2:3], 0x0
	v_mov_b32_e32 v6, v1
	s_add_u32 s4, s4, 12
	s_waitcnt lgkmcnt(0)
	v_mul_hi_u32 v1, s9, v8
	v_add_u32_e32 v1, v8, v1
	v_lshrrev_b32_e32 v1, s7, v1
	s_addc_u32 s5, s5, 0
	v_mul_lo_u32 v5, v1, s8
	s_add_u32 s2, s2, 8
	v_sub_u32_e32 v5, v8, v5
	s_addc_u32 s3, s3, 0
	s_add_i32 s6, s6, -1
	v_mad_u64_u32 v[6:7], s[8:9], v5, s11, v[6:7]
	s_cmp_lg_u32 s6, 0
	v_mov_b32_e32 v8, v1
	v_mad_u64_u32 v[4:5], s[8:9], v5, s10, v[4:5]
	v_mov_b32_e32 v1, v6
	s_cbranch_scc1 .LBB335_42
.LBB335_43:
	s_cbranch_execnz .LBB335_46
.LBB335_44:
	s_load_dwordx4 s[4:7], s[34:35], 0x4
	s_load_dwordx2 s[2:3], s[34:35], 0xc4
	s_cmp_lt_u32 s33, 2
	s_waitcnt lgkmcnt(0)
	v_mul_hi_u32 v1, s5, v3
	v_add_u32_e32 v1, v3, v1
	v_lshrrev_b32_e32 v1, s6, v1
	v_mul_lo_u32 v4, v1, s4
	v_sub_u32_e32 v3, v3, v4
	v_mul_lo_u32 v6, v3, s3
	v_mul_lo_u32 v4, v3, s2
	s_cbranch_scc1 .LBB335_46
; %bb.45:
	s_load_dwordx4 s[4:7], s[34:35], 0x10
	s_load_dwordx2 s[2:3], s[34:35], 0xcc
	s_waitcnt lgkmcnt(0)
	v_mul_hi_u32 v3, s5, v1
	v_add_u32_e32 v3, v1, v3
	v_lshrrev_b32_e32 v3, s6, v3
	v_mul_lo_u32 v3, v3, s4
	v_sub_u32_e32 v1, v1, v3
	v_mad_u64_u32 v[4:5], s[4:5], v1, s2, v[4:5]
	v_mad_u64_u32 v[6:7], s[2:3], v1, s3, v[6:7]
.LBB335_46:
	s_and_b64 vcc, exec, s[0:1]
	v_add_u32_e32 v3, 0x100, v24
	s_cbranch_vccnz .LBB335_52
; %bb.47:
	s_cmp_lg_u32 s33, 0
	s_mov_b32 s26, 0
	s_cbranch_scc0 .LBB335_53
; %bb.48:
	s_min_u32 s27, s54, 15
	s_add_i32 s27, s27, 1
	s_cmp_eq_u32 s54, 2
	s_cbranch_scc1 .LBB335_54
; %bb.49:
	s_and_b32 s26, s27, 28
	s_add_u32 s2, s34, 0xc4
	s_addc_u32 s3, s35, 0
	s_mov_b32 s28, 0
	v_mov_b32_e32 v8, 0
	v_mov_b32_e32 v10, 0
	s_mov_b64 s[24:25], s[34:35]
	v_mov_b32_e32 v5, v3
.LBB335_50:                             ; =>This Inner Loop Header: Depth=1
	s_load_dwordx8 s[12:19], s[24:25], 0x4
	s_load_dwordx4 s[20:23], s[24:25], 0x24
	s_load_dwordx8 s[4:11], s[2:3], 0x0
	s_add_u32 s24, s24, 48
	s_addc_u32 s25, s25, 0
	s_waitcnt lgkmcnt(0)
	v_mul_hi_u32 v1, s13, v5
	v_add_u32_e32 v1, v5, v1
	v_lshrrev_b32_e32 v1, s14, v1
	v_mul_lo_u32 v7, v1, s12
	v_mul_hi_u32 v9, s16, v1
	v_sub_u32_e32 v5, v5, v7
	v_add_u32_e32 v7, v1, v9
	v_lshrrev_b32_e32 v7, s17, v7
	v_mul_lo_u32 v11, v7, s15
	v_mul_hi_u32 v12, s19, v7
	v_sub_u32_e32 v1, v1, v11
	v_add_u32_e32 v11, v7, v12
	v_mul_lo_u32 v9, v5, s5
	v_mul_lo_u32 v5, v5, s4
	;; [unrolled: 1-line block ×4, first 2 shown]
	v_lshrrev_b32_e32 v11, s20, v11
	v_add3_u32 v1, v5, v8, v1
	v_add3_u32 v8, v9, v10, v12
	v_mul_lo_u32 v5, v11, s18
	v_mul_hi_u32 v9, s22, v11
	v_sub_u32_e32 v5, v7, v5
	v_add_u32_e32 v7, v11, v9
	v_mul_lo_u32 v9, v5, s8
	v_mul_lo_u32 v10, v5, s9
	v_lshrrev_b32_e32 v5, s23, v7
	s_add_i32 s28, s28, 4
	v_mul_lo_u32 v7, v5, s21
	s_add_u32 s2, s2, 32
	v_sub_u32_e32 v7, v11, v7
	s_addc_u32 s3, s3, 0
	v_mul_lo_u32 v11, v7, s10
	v_mul_lo_u32 v7, v7, s11
	s_cmp_lg_u32 s26, s28
	v_add3_u32 v10, v10, v8, v7
	v_add3_u32 v8, v9, v1, v11
	s_cbranch_scc1 .LBB335_50
; %bb.51:
	v_mov_b32_e32 v1, v10
	s_and_b32 s6, s27, 3
	s_cmp_eq_u32 s6, 0
	s_cbranch_scc0 .LBB335_55
	s_branch .LBB335_57
.LBB335_52:
                                        ; implicit-def: $vgpr10
                                        ; implicit-def: $vgpr8
	s_branch .LBB335_58
.LBB335_53:
	v_mov_b32_e32 v10, 0
	v_mov_b32_e32 v8, 0
	s_branch .LBB335_57
.LBB335_54:
	v_mov_b32_e32 v8, 0
                                        ; implicit-def: $vgpr10
	v_mov_b32_e32 v1, v8
	v_mov_b32_e32 v5, v3
	s_and_b32 s6, s27, 3
	s_cmp_eq_u32 s6, 0
	s_cbranch_scc1 .LBB335_57
.LBB335_55:
	s_lshl_b32 s2, s26, 3
	s_add_u32 s2, s34, s2
	s_addc_u32 s3, s35, 0
	s_add_u32 s2, s2, 0xc4
	s_addc_u32 s3, s3, 0
	s_mul_i32 s4, s26, 12
	s_add_u32 s4, s34, s4
	s_addc_u32 s5, s35, 0
.LBB335_56:                             ; =>This Inner Loop Header: Depth=1
	s_load_dwordx2 s[8:9], s[4:5], 0x4
	s_load_dword s7, s[4:5], 0xc
	s_load_dwordx2 s[10:11], s[2:3], 0x0
	v_mov_b32_e32 v10, v1
	s_add_u32 s4, s4, 12
	s_waitcnt lgkmcnt(0)
	v_mul_hi_u32 v1, s9, v5
	v_add_u32_e32 v1, v5, v1
	v_lshrrev_b32_e32 v1, s7, v1
	s_addc_u32 s5, s5, 0
	v_mul_lo_u32 v7, v1, s8
	s_add_u32 s2, s2, 8
	v_sub_u32_e32 v7, v5, v7
	s_addc_u32 s3, s3, 0
	s_add_i32 s6, s6, -1
	v_mad_u64_u32 v[10:11], s[8:9], v7, s11, v[10:11]
	s_cmp_lg_u32 s6, 0
	v_mov_b32_e32 v5, v1
	v_mad_u64_u32 v[8:9], s[8:9], v7, s10, v[8:9]
	v_mov_b32_e32 v1, v10
	s_cbranch_scc1 .LBB335_56
.LBB335_57:
	s_cbranch_execnz .LBB335_60
.LBB335_58:
	s_load_dwordx4 s[4:7], s[34:35], 0x4
	s_load_dwordx2 s[2:3], s[34:35], 0xc4
	s_cmp_lt_u32 s33, 2
	s_waitcnt lgkmcnt(0)
	v_mul_hi_u32 v1, s5, v3
	v_add_u32_e32 v1, v3, v1
	v_lshrrev_b32_e32 v1, s6, v1
	v_mul_lo_u32 v5, v1, s4
	v_sub_u32_e32 v3, v3, v5
	v_mul_lo_u32 v10, v3, s3
	v_mul_lo_u32 v8, v3, s2
	s_cbranch_scc1 .LBB335_60
; %bb.59:
	s_load_dwordx4 s[4:7], s[34:35], 0x10
	s_load_dwordx2 s[2:3], s[34:35], 0xcc
	s_waitcnt lgkmcnt(0)
	v_mul_hi_u32 v3, s5, v1
	v_add_u32_e32 v3, v1, v3
	v_lshrrev_b32_e32 v3, s6, v3
	v_mul_lo_u32 v3, v3, s4
	v_sub_u32_e32 v1, v1, v3
	v_mad_u64_u32 v[8:9], s[4:5], v1, s2, v[8:9]
	v_mad_u64_u32 v[10:11], s[2:3], v1, s3, v[10:11]
.LBB335_60:
	s_and_b64 vcc, exec, s[0:1]
	v_add_u32_e32 v3, 0x180, v24
	s_cbranch_vccnz .LBB335_66
; %bb.61:
	s_cmp_lg_u32 s33, 0
	s_mov_b32 s26, 0
	s_cbranch_scc0 .LBB335_67
; %bb.62:
	s_min_u32 s27, s54, 15
	s_add_i32 s27, s27, 1
	s_cmp_eq_u32 s54, 2
	s_cbranch_scc1 .LBB335_68
; %bb.63:
	s_and_b32 s26, s27, 28
	s_add_u32 s2, s34, 0xc4
	s_addc_u32 s3, s35, 0
	s_mov_b32 s28, 0
	v_mov_b32_e32 v12, 0
	v_mov_b32_e32 v14, 0
	s_mov_b64 s[24:25], s[34:35]
	v_mov_b32_e32 v5, v3
.LBB335_64:                             ; =>This Inner Loop Header: Depth=1
	s_load_dwordx8 s[12:19], s[24:25], 0x4
	s_load_dwordx4 s[20:23], s[24:25], 0x24
	s_load_dwordx8 s[4:11], s[2:3], 0x0
	s_add_u32 s24, s24, 48
	s_addc_u32 s25, s25, 0
	s_waitcnt lgkmcnt(0)
	v_mul_hi_u32 v1, s13, v5
	v_add_u32_e32 v1, v5, v1
	v_lshrrev_b32_e32 v1, s14, v1
	v_mul_lo_u32 v7, v1, s12
	v_mul_hi_u32 v9, s16, v1
	v_sub_u32_e32 v5, v5, v7
	v_add_u32_e32 v7, v1, v9
	v_lshrrev_b32_e32 v7, s17, v7
	v_mul_lo_u32 v11, v7, s15
	v_mul_hi_u32 v13, s19, v7
	v_sub_u32_e32 v1, v1, v11
	v_add_u32_e32 v11, v7, v13
	v_mul_lo_u32 v9, v5, s5
	v_mul_lo_u32 v5, v5, s4
	;; [unrolled: 1-line block ×4, first 2 shown]
	v_lshrrev_b32_e32 v11, s20, v11
	v_add3_u32 v1, v5, v12, v1
	v_mul_lo_u32 v5, v11, s18
	v_mul_hi_u32 v12, s22, v11
	v_sub_u32_e32 v5, v7, v5
	v_add_u32_e32 v7, v11, v12
	v_add3_u32 v9, v9, v14, v13
	v_mul_lo_u32 v12, v5, s8
	v_mul_lo_u32 v13, v5, s9
	v_lshrrev_b32_e32 v5, s23, v7
	s_add_i32 s28, s28, 4
	v_mul_lo_u32 v7, v5, s21
	s_add_u32 s2, s2, 32
	v_sub_u32_e32 v7, v11, v7
	s_addc_u32 s3, s3, 0
	v_mul_lo_u32 v11, v7, s10
	v_mul_lo_u32 v7, v7, s11
	s_cmp_lg_u32 s26, s28
	v_add3_u32 v14, v13, v9, v7
	v_add3_u32 v12, v12, v1, v11
	s_cbranch_scc1 .LBB335_64
; %bb.65:
	v_mov_b32_e32 v1, v14
	s_and_b32 s6, s27, 3
	s_cmp_eq_u32 s6, 0
	s_cbranch_scc0 .LBB335_69
	s_branch .LBB335_71
.LBB335_66:
                                        ; implicit-def: $vgpr14
                                        ; implicit-def: $vgpr12
	s_branch .LBB335_72
.LBB335_67:
	v_mov_b32_e32 v14, 0
	v_mov_b32_e32 v12, 0
	s_branch .LBB335_71
.LBB335_68:
	v_mov_b32_e32 v12, 0
                                        ; implicit-def: $vgpr14
	v_mov_b32_e32 v1, v12
	v_mov_b32_e32 v5, v3
	s_and_b32 s6, s27, 3
	s_cmp_eq_u32 s6, 0
	s_cbranch_scc1 .LBB335_71
.LBB335_69:
	s_lshl_b32 s2, s26, 3
	s_add_u32 s2, s34, s2
	s_addc_u32 s3, s35, 0
	s_add_u32 s2, s2, 0xc4
	s_addc_u32 s3, s3, 0
	s_mul_i32 s4, s26, 12
	s_add_u32 s4, s34, s4
	s_addc_u32 s5, s35, 0
.LBB335_70:                             ; =>This Inner Loop Header: Depth=1
	s_load_dwordx2 s[8:9], s[4:5], 0x4
	s_load_dword s7, s[4:5], 0xc
	s_load_dwordx2 s[10:11], s[2:3], 0x0
	v_mov_b32_e32 v14, v1
	s_add_u32 s4, s4, 12
	s_waitcnt lgkmcnt(0)
	v_mul_hi_u32 v1, s9, v5
	v_add_u32_e32 v1, v5, v1
	v_lshrrev_b32_e32 v1, s7, v1
	s_addc_u32 s5, s5, 0
	v_mul_lo_u32 v7, v1, s8
	s_add_u32 s2, s2, 8
	v_sub_u32_e32 v7, v5, v7
	s_addc_u32 s3, s3, 0
	s_add_i32 s6, s6, -1
	v_mad_u64_u32 v[14:15], s[8:9], v7, s11, v[14:15]
	s_cmp_lg_u32 s6, 0
	v_mov_b32_e32 v5, v1
	v_mad_u64_u32 v[12:13], s[8:9], v7, s10, v[12:13]
	v_mov_b32_e32 v1, v14
	s_cbranch_scc1 .LBB335_70
.LBB335_71:
	s_cbranch_execnz .LBB335_74
.LBB335_72:
	s_load_dwordx4 s[4:7], s[34:35], 0x4
	s_load_dwordx2 s[2:3], s[34:35], 0xc4
	s_cmp_lt_u32 s33, 2
	s_waitcnt lgkmcnt(0)
	v_mul_hi_u32 v1, s5, v3
	v_add_u32_e32 v1, v3, v1
	v_lshrrev_b32_e32 v1, s6, v1
	v_mul_lo_u32 v5, v1, s4
	v_sub_u32_e32 v3, v3, v5
	v_mul_lo_u32 v14, v3, s3
	v_mul_lo_u32 v12, v3, s2
	s_cbranch_scc1 .LBB335_74
; %bb.73:
	s_load_dwordx4 s[4:7], s[34:35], 0x10
	s_load_dwordx2 s[2:3], s[34:35], 0xcc
	s_waitcnt lgkmcnt(0)
	v_mul_hi_u32 v3, s5, v1
	v_add_u32_e32 v3, v1, v3
	v_lshrrev_b32_e32 v3, s6, v3
	v_mul_lo_u32 v3, v3, s4
	v_sub_u32_e32 v1, v1, v3
	v_mad_u64_u32 v[12:13], s[4:5], v1, s2, v[12:13]
	v_mad_u64_u32 v[14:15], s[2:3], v1, s3, v[14:15]
.LBB335_74:
	s_and_b64 vcc, exec, s[0:1]
	v_add_u32_e32 v3, 0x200, v24
	s_cbranch_vccnz .LBB335_80
; %bb.75:
	s_cmp_lg_u32 s33, 0
	s_mov_b32 s26, 0
	s_cbranch_scc0 .LBB335_81
; %bb.76:
	s_min_u32 s27, s54, 15
	s_add_i32 s27, s27, 1
	s_cmp_eq_u32 s54, 2
	s_cbranch_scc1 .LBB335_82
; %bb.77:
	s_and_b32 s26, s27, 28
	s_add_u32 s2, s34, 0xc4
	s_addc_u32 s3, s35, 0
	s_mov_b32 s28, 0
	v_mov_b32_e32 v16, 0
	v_mov_b32_e32 v18, 0
	s_mov_b64 s[24:25], s[34:35]
	v_mov_b32_e32 v5, v3
.LBB335_78:                             ; =>This Inner Loop Header: Depth=1
	s_load_dwordx8 s[12:19], s[24:25], 0x4
	s_load_dwordx4 s[20:23], s[24:25], 0x24
	s_load_dwordx8 s[4:11], s[2:3], 0x0
	s_add_u32 s24, s24, 48
	s_addc_u32 s25, s25, 0
	s_waitcnt lgkmcnt(0)
	v_mul_hi_u32 v1, s13, v5
	v_add_u32_e32 v1, v5, v1
	v_lshrrev_b32_e32 v1, s14, v1
	v_mul_lo_u32 v7, v1, s12
	v_mul_hi_u32 v9, s16, v1
	v_sub_u32_e32 v5, v5, v7
	v_add_u32_e32 v7, v1, v9
	v_lshrrev_b32_e32 v7, s17, v7
	v_mul_lo_u32 v11, v7, s15
	v_mul_hi_u32 v13, s19, v7
	v_sub_u32_e32 v1, v1, v11
	v_add_u32_e32 v11, v7, v13
	v_mul_lo_u32 v9, v5, s5
	v_mul_lo_u32 v5, v5, s4
	;; [unrolled: 1-line block ×4, first 2 shown]
	v_lshrrev_b32_e32 v11, s20, v11
	v_add3_u32 v1, v5, v16, v1
	v_add3_u32 v9, v9, v18, v13
	v_mul_lo_u32 v5, v11, s18
	v_mul_hi_u32 v13, s22, v11
	v_sub_u32_e32 v5, v7, v5
	v_add_u32_e32 v7, v11, v13
	v_mul_lo_u32 v13, v5, s8
	v_mul_lo_u32 v15, v5, s9
	v_lshrrev_b32_e32 v5, s23, v7
	s_add_i32 s28, s28, 4
	v_mul_lo_u32 v7, v5, s21
	s_add_u32 s2, s2, 32
	v_sub_u32_e32 v7, v11, v7
	s_addc_u32 s3, s3, 0
	v_mul_lo_u32 v11, v7, s10
	v_mul_lo_u32 v7, v7, s11
	s_cmp_lg_u32 s26, s28
	v_add3_u32 v18, v15, v9, v7
	v_add3_u32 v16, v13, v1, v11
	s_cbranch_scc1 .LBB335_78
; %bb.79:
	v_mov_b32_e32 v1, v18
	s_and_b32 s6, s27, 3
	s_cmp_eq_u32 s6, 0
	s_cbranch_scc0 .LBB335_83
	s_branch .LBB335_85
.LBB335_80:
                                        ; implicit-def: $vgpr18
                                        ; implicit-def: $vgpr16
	s_branch .LBB335_86
.LBB335_81:
	v_mov_b32_e32 v18, 0
	v_mov_b32_e32 v16, 0
	s_branch .LBB335_85
.LBB335_82:
	v_mov_b32_e32 v16, 0
                                        ; implicit-def: $vgpr18
	v_mov_b32_e32 v1, v16
	v_mov_b32_e32 v5, v3
	s_and_b32 s6, s27, 3
	s_cmp_eq_u32 s6, 0
	s_cbranch_scc1 .LBB335_85
.LBB335_83:
	s_lshl_b32 s2, s26, 3
	s_add_u32 s2, s34, s2
	s_addc_u32 s3, s35, 0
	s_add_u32 s2, s2, 0xc4
	s_addc_u32 s3, s3, 0
	s_mul_i32 s4, s26, 12
	s_add_u32 s4, s34, s4
	s_addc_u32 s5, s35, 0
.LBB335_84:                             ; =>This Inner Loop Header: Depth=1
	s_load_dwordx2 s[8:9], s[4:5], 0x4
	s_load_dword s7, s[4:5], 0xc
	s_load_dwordx2 s[10:11], s[2:3], 0x0
	v_mov_b32_e32 v18, v1
	s_add_u32 s4, s4, 12
	s_waitcnt lgkmcnt(0)
	v_mul_hi_u32 v1, s9, v5
	v_add_u32_e32 v1, v5, v1
	v_lshrrev_b32_e32 v1, s7, v1
	s_addc_u32 s5, s5, 0
	v_mul_lo_u32 v7, v1, s8
	s_add_u32 s2, s2, 8
	v_sub_u32_e32 v7, v5, v7
	s_addc_u32 s3, s3, 0
	s_add_i32 s6, s6, -1
	v_mad_u64_u32 v[18:19], s[8:9], v7, s11, v[18:19]
	s_cmp_lg_u32 s6, 0
	v_mov_b32_e32 v5, v1
	v_mad_u64_u32 v[16:17], s[8:9], v7, s10, v[16:17]
	v_mov_b32_e32 v1, v18
	s_cbranch_scc1 .LBB335_84
.LBB335_85:
	s_cbranch_execnz .LBB335_88
.LBB335_86:
	s_load_dwordx4 s[4:7], s[34:35], 0x4
	s_load_dwordx2 s[2:3], s[34:35], 0xc4
	s_cmp_lt_u32 s33, 2
	s_waitcnt lgkmcnt(0)
	v_mul_hi_u32 v1, s5, v3
	v_add_u32_e32 v1, v3, v1
	v_lshrrev_b32_e32 v1, s6, v1
	v_mul_lo_u32 v5, v1, s4
	v_sub_u32_e32 v3, v3, v5
	v_mul_lo_u32 v18, v3, s3
	v_mul_lo_u32 v16, v3, s2
	s_cbranch_scc1 .LBB335_88
; %bb.87:
	s_load_dwordx4 s[4:7], s[34:35], 0x10
	s_load_dwordx2 s[2:3], s[34:35], 0xcc
	s_waitcnt lgkmcnt(0)
	v_mul_hi_u32 v3, s5, v1
	v_add_u32_e32 v3, v1, v3
	v_lshrrev_b32_e32 v3, s6, v3
	v_mul_lo_u32 v3, v3, s4
	v_sub_u32_e32 v1, v1, v3
	v_mad_u64_u32 v[16:17], s[4:5], v1, s2, v[16:17]
	v_mad_u64_u32 v[18:19], s[2:3], v1, s3, v[18:19]
.LBB335_88:
	s_and_b64 vcc, exec, s[0:1]
	v_add_u32_e32 v3, 0x280, v24
	s_cbranch_vccnz .LBB335_94
; %bb.89:
	s_cmp_lg_u32 s33, 0
	s_mov_b32 s26, 0
	s_cbranch_scc0 .LBB335_95
; %bb.90:
	s_min_u32 s27, s54, 15
	s_add_i32 s27, s27, 1
	s_cmp_eq_u32 s54, 2
	s_cbranch_scc1 .LBB335_96
; %bb.91:
	s_and_b32 s26, s27, 28
	s_add_u32 s2, s34, 0xc4
	s_addc_u32 s3, s35, 0
	s_mov_b32 s28, 0
	v_mov_b32_e32 v20, 0
	v_mov_b32_e32 v22, 0
	s_mov_b64 s[24:25], s[34:35]
	v_mov_b32_e32 v5, v3
.LBB335_92:                             ; =>This Inner Loop Header: Depth=1
	s_load_dwordx8 s[12:19], s[24:25], 0x4
	s_load_dwordx4 s[20:23], s[24:25], 0x24
	s_load_dwordx8 s[4:11], s[2:3], 0x0
	s_add_u32 s24, s24, 48
	s_addc_u32 s25, s25, 0
	s_waitcnt lgkmcnt(0)
	v_mul_hi_u32 v1, s13, v5
	v_add_u32_e32 v1, v5, v1
	v_lshrrev_b32_e32 v1, s14, v1
	v_mul_lo_u32 v7, v1, s12
	v_mul_hi_u32 v9, s16, v1
	v_sub_u32_e32 v5, v5, v7
	v_add_u32_e32 v7, v1, v9
	v_lshrrev_b32_e32 v7, s17, v7
	v_mul_lo_u32 v11, v7, s15
	v_mul_hi_u32 v13, s19, v7
	v_sub_u32_e32 v1, v1, v11
	v_add_u32_e32 v11, v7, v13
	v_mul_lo_u32 v9, v5, s5
	v_mul_lo_u32 v5, v5, s4
	;; [unrolled: 1-line block ×4, first 2 shown]
	v_lshrrev_b32_e32 v11, s20, v11
	v_add3_u32 v1, v5, v20, v1
	v_add3_u32 v9, v9, v22, v13
	v_mul_lo_u32 v5, v11, s18
	v_mul_hi_u32 v13, s22, v11
	v_sub_u32_e32 v5, v7, v5
	v_add_u32_e32 v7, v11, v13
	v_mul_lo_u32 v13, v5, s8
	v_mul_lo_u32 v15, v5, s9
	v_lshrrev_b32_e32 v5, s23, v7
	s_add_i32 s28, s28, 4
	v_mul_lo_u32 v7, v5, s21
	s_add_u32 s2, s2, 32
	v_sub_u32_e32 v7, v11, v7
	s_addc_u32 s3, s3, 0
	v_mul_lo_u32 v11, v7, s10
	v_mul_lo_u32 v7, v7, s11
	s_cmp_lg_u32 s26, s28
	v_add3_u32 v22, v15, v9, v7
	v_add3_u32 v20, v13, v1, v11
	s_cbranch_scc1 .LBB335_92
; %bb.93:
	v_mov_b32_e32 v1, v22
	s_and_b32 s6, s27, 3
	s_cmp_eq_u32 s6, 0
	s_cbranch_scc0 .LBB335_97
	s_branch .LBB335_99
.LBB335_94:
                                        ; implicit-def: $vgpr22
                                        ; implicit-def: $vgpr20
	s_branch .LBB335_100
.LBB335_95:
	v_mov_b32_e32 v22, 0
	v_mov_b32_e32 v20, 0
	s_branch .LBB335_99
.LBB335_96:
	v_mov_b32_e32 v20, 0
                                        ; implicit-def: $vgpr22
	v_mov_b32_e32 v1, v20
	v_mov_b32_e32 v5, v3
	s_and_b32 s6, s27, 3
	s_cmp_eq_u32 s6, 0
	s_cbranch_scc1 .LBB335_99
.LBB335_97:
	s_lshl_b32 s2, s26, 3
	s_add_u32 s2, s34, s2
	s_addc_u32 s3, s35, 0
	s_add_u32 s2, s2, 0xc4
	s_addc_u32 s3, s3, 0
	s_mul_i32 s4, s26, 12
	s_add_u32 s4, s34, s4
	s_addc_u32 s5, s35, 0
.LBB335_98:                             ; =>This Inner Loop Header: Depth=1
	s_load_dwordx2 s[8:9], s[4:5], 0x4
	s_load_dword s7, s[4:5], 0xc
	s_load_dwordx2 s[10:11], s[2:3], 0x0
	v_mov_b32_e32 v22, v1
	s_add_u32 s4, s4, 12
	s_waitcnt lgkmcnt(0)
	v_mul_hi_u32 v1, s9, v5
	v_add_u32_e32 v1, v5, v1
	v_lshrrev_b32_e32 v1, s7, v1
	s_addc_u32 s5, s5, 0
	v_mul_lo_u32 v7, v1, s8
	s_add_u32 s2, s2, 8
	v_sub_u32_e32 v7, v5, v7
	s_addc_u32 s3, s3, 0
	s_add_i32 s6, s6, -1
	v_mad_u64_u32 v[22:23], s[8:9], v7, s11, v[22:23]
	s_cmp_lg_u32 s6, 0
	v_mov_b32_e32 v5, v1
	v_mad_u64_u32 v[20:21], s[8:9], v7, s10, v[20:21]
	v_mov_b32_e32 v1, v22
	s_cbranch_scc1 .LBB335_98
.LBB335_99:
	s_cbranch_execnz .LBB335_102
.LBB335_100:
	s_load_dwordx4 s[4:7], s[34:35], 0x4
	s_load_dwordx2 s[2:3], s[34:35], 0xc4
	s_cmp_lt_u32 s33, 2
	s_waitcnt lgkmcnt(0)
	v_mul_hi_u32 v1, s5, v3
	v_add_u32_e32 v1, v3, v1
	v_lshrrev_b32_e32 v1, s6, v1
	v_mul_lo_u32 v5, v1, s4
	v_sub_u32_e32 v3, v3, v5
	v_mul_lo_u32 v22, v3, s3
	v_mul_lo_u32 v20, v3, s2
	s_cbranch_scc1 .LBB335_102
; %bb.101:
	s_load_dwordx4 s[4:7], s[34:35], 0x10
	s_load_dwordx2 s[2:3], s[34:35], 0xcc
	s_waitcnt lgkmcnt(0)
	v_mul_hi_u32 v3, s5, v1
	v_add_u32_e32 v3, v1, v3
	v_lshrrev_b32_e32 v3, s6, v3
	v_mul_lo_u32 v3, v3, s4
	v_sub_u32_e32 v1, v1, v3
	v_mad_u64_u32 v[20:21], s[4:5], v1, s2, v[20:21]
	v_mad_u64_u32 v[22:23], s[2:3], v1, s3, v[22:23]
.LBB335_102:
	s_and_b64 vcc, exec, s[0:1]
	v_add_u32_e32 v3, 0x300, v24
	s_cbranch_vccnz .LBB335_108
; %bb.103:
	s_cmp_lg_u32 s33, 0
	s_mov_b32 s26, 0
	s_cbranch_scc0 .LBB335_109
; %bb.104:
	s_min_u32 s27, s54, 15
	s_add_i32 s27, s27, 1
	s_cmp_eq_u32 s54, 2
	s_cbranch_scc1 .LBB335_110
; %bb.105:
	s_and_b32 s26, s27, 28
	s_add_u32 s2, s34, 0xc4
	s_addc_u32 s3, s35, 0
	s_mov_b32 s28, 0
	v_mov_b32_e32 v24, 0
	v_mov_b32_e32 v26, 0
	s_mov_b64 s[24:25], s[34:35]
	v_mov_b32_e32 v5, v3
.LBB335_106:                            ; =>This Inner Loop Header: Depth=1
	s_load_dwordx8 s[12:19], s[24:25], 0x4
	s_load_dwordx4 s[20:23], s[24:25], 0x24
	s_load_dwordx8 s[4:11], s[2:3], 0x0
	s_add_u32 s24, s24, 48
	s_addc_u32 s25, s25, 0
	s_waitcnt lgkmcnt(0)
	v_mul_hi_u32 v1, s13, v5
	v_add_u32_e32 v1, v5, v1
	v_lshrrev_b32_e32 v1, s14, v1
	v_mul_lo_u32 v7, v1, s12
	v_mul_hi_u32 v9, s16, v1
	v_sub_u32_e32 v5, v5, v7
	v_add_u32_e32 v7, v1, v9
	v_lshrrev_b32_e32 v7, s17, v7
	v_mul_lo_u32 v11, v7, s15
	v_mul_hi_u32 v13, s19, v7
	v_sub_u32_e32 v1, v1, v11
	v_add_u32_e32 v11, v7, v13
	v_mul_lo_u32 v9, v5, s5
	v_mul_lo_u32 v5, v5, s4
	;; [unrolled: 1-line block ×4, first 2 shown]
	v_lshrrev_b32_e32 v11, s20, v11
	v_add3_u32 v1, v5, v24, v1
	v_add3_u32 v9, v9, v26, v13
	v_mul_lo_u32 v5, v11, s18
	v_mul_hi_u32 v13, s22, v11
	v_sub_u32_e32 v5, v7, v5
	v_add_u32_e32 v7, v11, v13
	v_mul_lo_u32 v13, v5, s8
	v_mul_lo_u32 v15, v5, s9
	v_lshrrev_b32_e32 v5, s23, v7
	s_add_i32 s28, s28, 4
	v_mul_lo_u32 v7, v5, s21
	s_add_u32 s2, s2, 32
	v_sub_u32_e32 v7, v11, v7
	s_addc_u32 s3, s3, 0
	v_mul_lo_u32 v11, v7, s10
	v_mul_lo_u32 v7, v7, s11
	s_cmp_lg_u32 s26, s28
	v_add3_u32 v26, v15, v9, v7
	v_add3_u32 v24, v13, v1, v11
	s_cbranch_scc1 .LBB335_106
; %bb.107:
	v_mov_b32_e32 v1, v26
	s_and_b32 s6, s27, 3
	s_cmp_eq_u32 s6, 0
	s_cbranch_scc0 .LBB335_111
	s_branch .LBB335_113
.LBB335_108:
                                        ; implicit-def: $vgpr26
                                        ; implicit-def: $vgpr24
	s_branch .LBB335_114
.LBB335_109:
	v_mov_b32_e32 v26, 0
	v_mov_b32_e32 v24, 0
	s_branch .LBB335_113
.LBB335_110:
	v_mov_b32_e32 v24, 0
                                        ; implicit-def: $vgpr26
	v_mov_b32_e32 v1, v24
	v_mov_b32_e32 v5, v3
	s_and_b32 s6, s27, 3
	s_cmp_eq_u32 s6, 0
	s_cbranch_scc1 .LBB335_113
.LBB335_111:
	s_lshl_b32 s2, s26, 3
	s_add_u32 s2, s34, s2
	s_addc_u32 s3, s35, 0
	s_add_u32 s2, s2, 0xc4
	s_addc_u32 s3, s3, 0
	s_mul_i32 s4, s26, 12
	s_add_u32 s4, s34, s4
	s_addc_u32 s5, s35, 0
.LBB335_112:                            ; =>This Inner Loop Header: Depth=1
	s_load_dwordx2 s[8:9], s[4:5], 0x4
	s_load_dword s7, s[4:5], 0xc
	s_load_dwordx2 s[10:11], s[2:3], 0x0
	v_mov_b32_e32 v26, v1
	s_add_u32 s4, s4, 12
	s_waitcnt lgkmcnt(0)
	v_mul_hi_u32 v1, s9, v5
	v_add_u32_e32 v1, v5, v1
	v_lshrrev_b32_e32 v1, s7, v1
	s_addc_u32 s5, s5, 0
	v_mul_lo_u32 v7, v1, s8
	s_add_u32 s2, s2, 8
	v_sub_u32_e32 v7, v5, v7
	s_addc_u32 s3, s3, 0
	s_add_i32 s6, s6, -1
	v_mad_u64_u32 v[26:27], s[8:9], v7, s11, v[26:27]
	s_cmp_lg_u32 s6, 0
	v_mov_b32_e32 v5, v1
	v_mad_u64_u32 v[24:25], s[8:9], v7, s10, v[24:25]
	v_mov_b32_e32 v1, v26
	s_cbranch_scc1 .LBB335_112
.LBB335_113:
	s_cbranch_execnz .LBB335_116
.LBB335_114:
	s_load_dwordx4 s[4:7], s[34:35], 0x4
	s_load_dwordx2 s[2:3], s[34:35], 0xc4
	s_cmp_lt_u32 s33, 2
	s_waitcnt lgkmcnt(0)
	v_mul_hi_u32 v1, s5, v3
	v_add_u32_e32 v1, v3, v1
	v_lshrrev_b32_e32 v1, s6, v1
	v_mul_lo_u32 v5, v1, s4
	v_sub_u32_e32 v3, v3, v5
	v_mul_lo_u32 v26, v3, s3
	v_mul_lo_u32 v24, v3, s2
	s_cbranch_scc1 .LBB335_116
; %bb.115:
	s_load_dwordx4 s[4:7], s[34:35], 0x10
	s_load_dwordx2 s[2:3], s[34:35], 0xcc
	s_waitcnt lgkmcnt(0)
	v_mul_hi_u32 v3, s5, v1
	v_add_u32_e32 v3, v1, v3
	v_lshrrev_b32_e32 v3, s6, v3
	v_mul_lo_u32 v3, v3, s4
	v_sub_u32_e32 v1, v1, v3
	v_mad_u64_u32 v[24:25], s[4:5], v1, s2, v[24:25]
	v_mad_u64_u32 v[26:27], s[2:3], v1, s3, v[26:27]
.LBB335_116:
	s_and_b64 vcc, exec, s[0:1]
	s_cbranch_vccnz .LBB335_122
; %bb.117:
	s_cmp_lg_u32 s33, 0
	s_mov_b32 s24, 0
	s_cbranch_scc0 .LBB335_123
; %bb.118:
	s_min_u32 s25, s54, 15
	s_add_i32 s25, s25, 1
	s_cmp_eq_u32 s54, 2
	s_cbranch_scc1 .LBB335_124
; %bb.119:
	s_and_b32 s24, s25, 28
	s_add_u32 s20, s34, 0xc4
	s_addc_u32 s21, s35, 0
	s_mov_b32 s26, 0
	v_mov_b32_e32 v28, 0
	v_mov_b32_e32 v30, 0
	s_mov_b64 s[22:23], s[34:35]
	v_mov_b32_e32 v3, v32
.LBB335_120:                            ; =>This Inner Loop Header: Depth=1
	s_load_dwordx8 s[8:15], s[22:23], 0x4
	s_load_dwordx4 s[16:19], s[22:23], 0x24
	s_load_dwordx8 s[0:7], s[20:21], 0x0
	s_add_u32 s22, s22, 48
	s_addc_u32 s23, s23, 0
	s_waitcnt lgkmcnt(0)
	v_mul_hi_u32 v1, s9, v3
	v_add_u32_e32 v1, v3, v1
	v_lshrrev_b32_e32 v1, s10, v1
	v_mul_lo_u32 v5, v1, s8
	v_mul_hi_u32 v7, s12, v1
	v_sub_u32_e32 v3, v3, v5
	v_add_u32_e32 v5, v1, v7
	v_lshrrev_b32_e32 v5, s13, v5
	v_mul_lo_u32 v9, v5, s11
	v_mul_hi_u32 v11, s15, v5
	v_sub_u32_e32 v1, v1, v9
	v_add_u32_e32 v9, v5, v11
	v_mul_lo_u32 v7, v3, s1
	v_mul_lo_u32 v3, v3, s0
	;; [unrolled: 1-line block ×4, first 2 shown]
	v_lshrrev_b32_e32 v9, s16, v9
	v_add3_u32 v1, v3, v28, v1
	v_add3_u32 v7, v7, v30, v11
	v_mul_lo_u32 v3, v9, s14
	v_mul_hi_u32 v11, s18, v9
	v_sub_u32_e32 v3, v5, v3
	v_add_u32_e32 v5, v9, v11
	v_mul_lo_u32 v11, v3, s4
	v_mul_lo_u32 v13, v3, s5
	v_lshrrev_b32_e32 v3, s19, v5
	s_add_i32 s26, s26, 4
	v_mul_lo_u32 v5, v3, s17
	s_add_u32 s20, s20, 32
	v_sub_u32_e32 v5, v9, v5
	s_addc_u32 s21, s21, 0
	v_mul_lo_u32 v9, v5, s6
	v_mul_lo_u32 v5, v5, s7
	s_cmp_lg_u32 s24, s26
	v_add3_u32 v30, v13, v7, v5
	v_add3_u32 v28, v11, v1, v9
	s_cbranch_scc1 .LBB335_120
; %bb.121:
	v_mov_b32_e32 v1, v30
	s_and_b32 s4, s25, 3
	s_cmp_eq_u32 s4, 0
	s_cbranch_scc0 .LBB335_125
	s_branch .LBB335_127
.LBB335_122:
                                        ; implicit-def: $vgpr30
                                        ; implicit-def: $vgpr28
	s_branch .LBB335_128
.LBB335_123:
	v_mov_b32_e32 v30, 0
	v_mov_b32_e32 v28, 0
	s_branch .LBB335_127
.LBB335_124:
	v_mov_b32_e32 v28, 0
                                        ; implicit-def: $vgpr30
	v_mov_b32_e32 v1, v28
	v_mov_b32_e32 v3, v32
	s_and_b32 s4, s25, 3
	s_cmp_eq_u32 s4, 0
	s_cbranch_scc1 .LBB335_127
.LBB335_125:
	s_lshl_b32 s0, s24, 3
	s_add_u32 s0, s34, s0
	s_addc_u32 s1, s35, 0
	s_add_u32 s0, s0, 0xc4
	s_addc_u32 s1, s1, 0
	s_mul_i32 s2, s24, 12
	s_add_u32 s2, s34, s2
	s_addc_u32 s3, s35, 0
.LBB335_126:                            ; =>This Inner Loop Header: Depth=1
	s_load_dwordx2 s[6:7], s[2:3], 0x4
	s_load_dword s5, s[2:3], 0xc
	s_load_dwordx2 s[8:9], s[0:1], 0x0
	v_mov_b32_e32 v30, v1
	s_add_u32 s2, s2, 12
	s_waitcnt lgkmcnt(0)
	v_mul_hi_u32 v1, s7, v3
	v_add_u32_e32 v1, v3, v1
	v_lshrrev_b32_e32 v1, s5, v1
	s_addc_u32 s3, s3, 0
	v_mul_lo_u32 v5, v1, s6
	s_add_u32 s0, s0, 8
	v_sub_u32_e32 v5, v3, v5
	s_addc_u32 s1, s1, 0
	s_add_i32 s4, s4, -1
	v_mad_u64_u32 v[30:31], s[6:7], v5, s9, v[30:31]
	s_cmp_lg_u32 s4, 0
	v_mov_b32_e32 v3, v1
	v_mad_u64_u32 v[28:29], s[6:7], v5, s8, v[28:29]
	v_mov_b32_e32 v1, v30
	s_cbranch_scc1 .LBB335_126
.LBB335_127:
	s_cbranch_execnz .LBB335_130
.LBB335_128:
	s_load_dwordx4 s[0:3], s[34:35], 0x4
	s_load_dwordx2 s[4:5], s[34:35], 0xc4
	s_cmp_lt_u32 s33, 2
	s_waitcnt lgkmcnt(0)
	v_mul_hi_u32 v1, s1, v32
	v_add_u32_e32 v1, v32, v1
	v_lshrrev_b32_e32 v1, s2, v1
	v_mul_lo_u32 v3, v1, s0
	v_sub_u32_e32 v3, v32, v3
	v_mul_lo_u32 v30, v3, s5
	v_mul_lo_u32 v28, v3, s4
	s_cbranch_scc1 .LBB335_130
; %bb.129:
	s_load_dwordx4 s[0:3], s[34:35], 0x10
	s_load_dwordx2 s[4:5], s[34:35], 0xcc
	s_waitcnt lgkmcnt(0)
	v_mul_hi_u32 v3, s1, v1
	v_add_u32_e32 v3, v1, v3
	v_lshrrev_b32_e32 v3, s2, v3
	v_mul_lo_u32 v3, v3, s0
	v_sub_u32_e32 v1, v1, v3
	v_mad_u64_u32 v[28:29], s[0:1], v1, s4, v[28:29]
	v_mad_u64_u32 v[30:31], s[0:1], v1, s5, v[30:31]
.LBB335_130:
	s_load_dwordx4 s[0:3], s[34:35], 0x148
	s_load_dword s4, s[34:35], 0x158
	s_waitcnt lgkmcnt(0)
	global_load_ushort v1, v2, s[2:3]
	global_load_ushort v3, v6, s[2:3]
	;; [unrolled: 1-line block ×8, first 2 shown]
	v_mov_b32_e32 v2, s4
	s_lshr_b32 s2, s4, 16
	v_mov_b32_e32 v6, s2
	s_waitcnt vmcnt(7)
	v_cmp_lt_f16_e32 vcc, s4, v1
	s_nop 1
	v_cndmask_b32_e32 v10, v2, v1, vcc
	s_waitcnt vmcnt(6)
	v_cmp_lt_f16_e32 vcc, s4, v3
	s_nop 1
	v_cndmask_b32_e32 v14, v2, v3, vcc
	;; [unrolled: 4-line block ×8, first 2 shown]
	v_cmp_gt_f16_e32 vcc, s2, v10
	s_nop 1
	v_cndmask_b32_e32 v10, v6, v10, vcc
	v_cmp_gt_f16_e32 vcc, s2, v14
	s_nop 1
	v_cndmask_b32_e32 v14, v6, v14, vcc
	v_cmp_gt_f16_e32 vcc, s2, v17
	s_nop 1
	v_cndmask_b32_e32 v17, v6, v17, vcc
	v_cmp_gt_f16_e32 vcc, s2, v18
	s_nop 1
	v_cndmask_b32_e32 v18, v6, v18, vcc
	v_cmp_gt_f16_e32 vcc, s2, v19
	s_nop 1
	v_cndmask_b32_e32 v19, v6, v19, vcc
	v_cmp_gt_f16_e32 vcc, s2, v21
	s_nop 1
	v_cndmask_b32_e32 v21, v6, v21, vcc
	v_cmp_gt_f16_e32 vcc, s2, v22
	s_nop 1
	v_cndmask_b32_e32 v22, v6, v22, vcc
	v_cmp_gt_f16_e32 vcc, s2, v2
	s_nop 1
	v_cndmask_b32_e32 v2, v6, v2, vcc
	v_cmp_u_f16_e32 vcc, v1, v1
	s_nop 1
	v_cndmask_b32_e32 v1, v10, v1, vcc
	v_cmp_u_f16_e32 vcc, v3, v3
	s_nop 1
	v_cndmask_b32_e32 v3, v14, v3, vcc
	;; [unrolled: 3-line block ×8, first 2 shown]
	global_store_short v0, v1, s[0:1]
	global_store_short v4, v3, s[0:1]
	global_store_short v8, v5, s[0:1]
	global_store_short v12, v6, s[0:1]
	global_store_short v16, v7, s[0:1]
	global_store_short v20, v9, s[0:1]
	global_store_short v24, v10, s[0:1]
	global_store_short v28, v2, s[0:1]
	s_endpgm
.LBB335_131:
	v_mov_b32_e32 v2, 0
	v_mov_b32_e32 v0, 0
	s_branch .LBB335_137
.LBB335_132:
	v_mov_b32_e32 v2, 0
	v_mov_b32_e32 v0, 0
	s_branch .LBB335_154
.LBB335_133:
	v_mov_b32_e32 v0, 0
	s_mov_b32 s59, 0
	v_mov_b32_e32 v1, v0
                                        ; implicit-def: $vgpr2
	v_mov_b32_e32 v4, v24
.LBB335_134:
	s_and_b32 s4, s60, 3
	s_cmp_eq_u32 s4, 0
	s_cbranch_scc1 .LBB335_137
; %bb.135:
	s_lshl_b32 s0, s59, 3
	s_add_u32 s0, s34, s0
	s_addc_u32 s1, s35, 0
	s_add_u32 s0, s0, 0xc4
	s_addc_u32 s1, s1, 0
	s_mul_i32 s2, s59, 12
	s_add_u32 s2, s34, s2
	s_addc_u32 s3, s35, 0
.LBB335_136:                            ; =>This Inner Loop Header: Depth=1
	s_load_dwordx2 s[6:7], s[2:3], 0x4
	s_load_dword s5, s[2:3], 0xc
	s_load_dwordx2 s[8:9], s[0:1], 0x0
	v_mov_b32_e32 v2, v1
	s_add_u32 s2, s2, 12
	s_waitcnt lgkmcnt(0)
	v_mul_hi_u32 v1, s7, v4
	v_add_u32_e32 v1, v4, v1
	v_lshrrev_b32_e32 v1, s5, v1
	s_addc_u32 s3, s3, 0
	v_mul_lo_u32 v3, v1, s6
	s_add_u32 s0, s0, 8
	v_sub_u32_e32 v5, v4, v3
	s_addc_u32 s1, s1, 0
	s_add_i32 s4, s4, -1
	v_mov_b32_e32 v4, v1
	v_mad_u64_u32 v[2:3], s[6:7], v5, s9, v[2:3]
	v_mad_u64_u32 v[0:1], s[6:7], v5, s8, v[0:1]
	s_cmp_lg_u32 s4, 0
	v_mov_b32_e32 v1, v2
	s_cbranch_scc1 .LBB335_136
.LBB335_137:
	s_cbranch_execnz .LBB335_140
.LBB335_138:
	v_mul_hi_u32 v0, s21, v24
	v_add_u32_e32 v0, v24, v0
	v_lshrrev_b32_e32 v1, s22, v0
	v_mul_lo_u32 v0, v1, s20
	v_sub_u32_e32 v0, v24, v0
	v_mul_lo_u32 v2, v0, s25
	s_andn2_b64 vcc, exec, s[42:43]
	v_mul_lo_u32 v0, v0, s24
	s_cbranch_vccnz .LBB335_140
; %bb.139:
	v_mul_hi_u32 v3, s40, v1
	v_add_u32_e32 v3, v1, v3
	v_lshrrev_b32_e32 v3, s41, v3
	v_mul_lo_u32 v3, v3, s23
	v_sub_u32_e32 v3, v1, v3
	v_mad_u64_u32 v[0:1], s[0:1], v3, s26, v[0:1]
	v_mad_u64_u32 v[2:3], s[0:1], v3, s27, v[2:3]
.LBB335_140:
	global_load_ushort v1, v2, s[18:19]
	v_mov_b32_e32 v2, s55
	v_mov_b32_e32 v3, s56
	v_add_u32_e32 v24, 0x80, v24
	s_waitcnt vmcnt(0)
	v_cmp_lt_f16_e32 vcc, s55, v1
	s_nop 1
	v_cndmask_b32_e32 v2, v2, v1, vcc
	v_cmp_gt_f16_e32 vcc, s56, v2
	s_nop 1
	v_cndmask_b32_e32 v2, v3, v2, vcc
	v_cmp_u_f16_e32 vcc, v1, v1
	s_nop 1
	v_cndmask_b32_e32 v1, v2, v1, vcc
	global_store_short v0, v1, s[16:17]
	s_or_b64 exec, exec, s[48:49]
	v_cmp_gt_i32_e32 vcc, s57, v24
	s_and_saveexec_b64 s[48:49], vcc
	s_cbranch_execnz .LBB335_16
.LBB335_141:
	s_or_b64 exec, exec, s[48:49]
	v_cmp_gt_i32_e32 vcc, s57, v24
	s_and_saveexec_b64 s[48:49], vcc
	s_cbranch_execz .LBB335_158
.LBB335_142:
	s_andn2_b64 vcc, exec, s[36:37]
	s_cbranch_vccnz .LBB335_148
; %bb.143:
	s_andn2_b64 vcc, exec, s[46:47]
	s_cbranch_vccnz .LBB335_149
; %bb.144:
	s_add_i32 s60, s58, 1
	s_cmp_eq_u32 s54, 2
	s_cbranch_scc1 .LBB335_167
; %bb.145:
	s_and_b32 s59, s60, 28
	s_mov_b32 s61, 0
	v_mov_b32_e32 v0, 0
	v_mov_b32_e32 v2, 0
	s_mov_b64 s[50:51], s[34:35]
	s_mov_b64 s[52:53], s[44:45]
	v_mov_b32_e32 v4, v24
.LBB335_146:                            ; =>This Inner Loop Header: Depth=1
	s_load_dwordx8 s[8:15], s[50:51], 0x4
	s_load_dwordx4 s[28:31], s[50:51], 0x24
	s_load_dwordx8 s[0:7], s[52:53], 0x0
	s_add_u32 s50, s50, 48
	s_addc_u32 s51, s51, 0
	s_waitcnt lgkmcnt(0)
	v_mul_hi_u32 v1, s9, v4
	v_add_u32_e32 v1, v4, v1
	v_lshrrev_b32_e32 v1, s10, v1
	v_mul_lo_u32 v3, v1, s8
	v_mul_hi_u32 v5, s12, v1
	v_sub_u32_e32 v3, v4, v3
	v_add_u32_e32 v4, v1, v5
	v_lshrrev_b32_e32 v4, s13, v4
	v_mul_lo_u32 v6, v4, s11
	v_mul_hi_u32 v7, s15, v4
	v_sub_u32_e32 v1, v1, v6
	v_add_u32_e32 v6, v4, v7
	v_mul_lo_u32 v5, v3, s1
	v_mul_lo_u32 v3, v3, s0
	;; [unrolled: 1-line block ×4, first 2 shown]
	v_lshrrev_b32_e32 v6, s28, v6
	v_add3_u32 v0, v3, v0, v1
	v_mul_hi_u32 v3, s30, v6
	v_add3_u32 v1, v5, v2, v7
	v_mul_lo_u32 v2, v6, s14
	v_add_u32_e32 v3, v6, v3
	v_sub_u32_e32 v2, v4, v2
	v_lshrrev_b32_e32 v4, s31, v3
	s_add_i32 s61, s61, 4
	v_mul_lo_u32 v3, v4, s29
	s_add_u32 s52, s52, 32
	v_sub_u32_e32 v3, v6, v3
	s_addc_u32 s53, s53, 0
	v_mul_lo_u32 v5, v2, s4
	v_mul_lo_u32 v2, v2, s5
	;; [unrolled: 1-line block ×4, first 2 shown]
	s_cmp_eq_u32 s59, s61
	v_add3_u32 v2, v2, v1, v3
	v_add3_u32 v0, v5, v0, v6
	s_cbranch_scc0 .LBB335_146
; %bb.147:
	v_mov_b32_e32 v1, v2
	s_branch .LBB335_168
.LBB335_148:
                                        ; implicit-def: $vgpr2
                                        ; implicit-def: $vgpr0
	s_branch .LBB335_172
.LBB335_149:
	v_mov_b32_e32 v2, 0
	v_mov_b32_e32 v0, 0
	s_branch .LBB335_171
.LBB335_150:
	v_mov_b32_e32 v0, 0
	s_mov_b32 s59, 0
	v_mov_b32_e32 v1, v0
                                        ; implicit-def: $vgpr2
	v_mov_b32_e32 v4, v24
.LBB335_151:
	s_and_b32 s4, s60, 3
	s_cmp_eq_u32 s4, 0
	s_cbranch_scc1 .LBB335_154
; %bb.152:
	s_lshl_b32 s0, s59, 3
	s_add_u32 s0, s34, s0
	s_addc_u32 s1, s35, 0
	s_add_u32 s0, s0, 0xc4
	s_addc_u32 s1, s1, 0
	s_mul_i32 s2, s59, 12
	s_add_u32 s2, s34, s2
	s_addc_u32 s3, s35, 0
.LBB335_153:                            ; =>This Inner Loop Header: Depth=1
	s_load_dwordx2 s[6:7], s[2:3], 0x4
	s_load_dword s5, s[2:3], 0xc
	s_load_dwordx2 s[8:9], s[0:1], 0x0
	v_mov_b32_e32 v2, v1
	s_add_u32 s2, s2, 12
	s_waitcnt lgkmcnt(0)
	v_mul_hi_u32 v1, s7, v4
	v_add_u32_e32 v1, v4, v1
	v_lshrrev_b32_e32 v1, s5, v1
	s_addc_u32 s3, s3, 0
	v_mul_lo_u32 v3, v1, s6
	s_add_u32 s0, s0, 8
	v_sub_u32_e32 v5, v4, v3
	s_addc_u32 s1, s1, 0
	s_add_i32 s4, s4, -1
	v_mov_b32_e32 v4, v1
	v_mad_u64_u32 v[2:3], s[6:7], v5, s9, v[2:3]
	v_mad_u64_u32 v[0:1], s[6:7], v5, s8, v[0:1]
	s_cmp_lg_u32 s4, 0
	v_mov_b32_e32 v1, v2
	s_cbranch_scc1 .LBB335_153
.LBB335_154:
	s_cbranch_execnz .LBB335_157
.LBB335_155:
	v_mul_hi_u32 v0, s21, v24
	v_add_u32_e32 v0, v24, v0
	v_lshrrev_b32_e32 v1, s22, v0
	v_mul_lo_u32 v0, v1, s20
	v_sub_u32_e32 v0, v24, v0
	v_mul_lo_u32 v2, v0, s25
	s_andn2_b64 vcc, exec, s[42:43]
	v_mul_lo_u32 v0, v0, s24
	s_cbranch_vccnz .LBB335_157
; %bb.156:
	v_mul_hi_u32 v3, s40, v1
	v_add_u32_e32 v3, v1, v3
	v_lshrrev_b32_e32 v3, s41, v3
	v_mul_lo_u32 v3, v3, s23
	v_sub_u32_e32 v3, v1, v3
	v_mad_u64_u32 v[0:1], s[0:1], v3, s26, v[0:1]
	v_mad_u64_u32 v[2:3], s[0:1], v3, s27, v[2:3]
.LBB335_157:
	global_load_ushort v1, v2, s[18:19]
	v_mov_b32_e32 v2, s55
	v_mov_b32_e32 v3, s56
	v_add_u32_e32 v24, 0x80, v24
	s_waitcnt vmcnt(0)
	v_cmp_lt_f16_e32 vcc, s55, v1
	s_nop 1
	v_cndmask_b32_e32 v2, v2, v1, vcc
	v_cmp_gt_f16_e32 vcc, s56, v2
	s_nop 1
	v_cndmask_b32_e32 v2, v3, v2, vcc
	v_cmp_u_f16_e32 vcc, v1, v1
	s_nop 1
	v_cndmask_b32_e32 v1, v2, v1, vcc
	global_store_short v0, v1, s[16:17]
	s_or_b64 exec, exec, s[48:49]
	v_cmp_gt_i32_e32 vcc, s57, v24
	s_and_saveexec_b64 s[48:49], vcc
	s_cbranch_execnz .LBB335_142
.LBB335_158:
	s_or_b64 exec, exec, s[48:49]
	v_cmp_gt_i32_e32 vcc, s57, v24
	s_and_saveexec_b64 s[48:49], vcc
	s_cbranch_execz .LBB335_175
.LBB335_159:
	s_andn2_b64 vcc, exec, s[36:37]
	s_cbranch_vccnz .LBB335_165
; %bb.160:
	s_andn2_b64 vcc, exec, s[46:47]
	s_cbranch_vccnz .LBB335_166
; %bb.161:
	s_add_i32 s60, s58, 1
	s_cmp_eq_u32 s54, 2
	s_cbranch_scc1 .LBB335_184
; %bb.162:
	s_and_b32 s59, s60, 28
	s_mov_b32 s61, 0
	v_mov_b32_e32 v0, 0
	v_mov_b32_e32 v2, 0
	s_mov_b64 s[50:51], s[34:35]
	s_mov_b64 s[52:53], s[44:45]
	v_mov_b32_e32 v4, v24
.LBB335_163:                            ; =>This Inner Loop Header: Depth=1
	s_load_dwordx8 s[8:15], s[50:51], 0x4
	s_load_dwordx4 s[28:31], s[50:51], 0x24
	s_load_dwordx8 s[0:7], s[52:53], 0x0
	s_add_u32 s50, s50, 48
	s_addc_u32 s51, s51, 0
	s_waitcnt lgkmcnt(0)
	v_mul_hi_u32 v1, s9, v4
	v_add_u32_e32 v1, v4, v1
	v_lshrrev_b32_e32 v1, s10, v1
	v_mul_lo_u32 v3, v1, s8
	v_mul_hi_u32 v5, s12, v1
	v_sub_u32_e32 v3, v4, v3
	v_add_u32_e32 v4, v1, v5
	v_lshrrev_b32_e32 v4, s13, v4
	v_mul_lo_u32 v6, v4, s11
	v_mul_hi_u32 v7, s15, v4
	v_sub_u32_e32 v1, v1, v6
	v_add_u32_e32 v6, v4, v7
	v_mul_lo_u32 v5, v3, s1
	v_mul_lo_u32 v3, v3, s0
	;; [unrolled: 1-line block ×4, first 2 shown]
	v_lshrrev_b32_e32 v6, s28, v6
	v_add3_u32 v0, v3, v0, v1
	v_mul_hi_u32 v3, s30, v6
	v_add3_u32 v1, v5, v2, v7
	v_mul_lo_u32 v2, v6, s14
	v_add_u32_e32 v3, v6, v3
	v_sub_u32_e32 v2, v4, v2
	v_lshrrev_b32_e32 v4, s31, v3
	s_add_i32 s61, s61, 4
	v_mul_lo_u32 v3, v4, s29
	s_add_u32 s52, s52, 32
	v_sub_u32_e32 v3, v6, v3
	s_addc_u32 s53, s53, 0
	v_mul_lo_u32 v5, v2, s4
	v_mul_lo_u32 v2, v2, s5
	;; [unrolled: 1-line block ×4, first 2 shown]
	s_cmp_eq_u32 s59, s61
	v_add3_u32 v2, v2, v1, v3
	v_add3_u32 v0, v5, v0, v6
	s_cbranch_scc0 .LBB335_163
; %bb.164:
	v_mov_b32_e32 v1, v2
	s_branch .LBB335_185
.LBB335_165:
                                        ; implicit-def: $vgpr2
                                        ; implicit-def: $vgpr0
	s_branch .LBB335_189
.LBB335_166:
	v_mov_b32_e32 v2, 0
	v_mov_b32_e32 v0, 0
	s_branch .LBB335_188
.LBB335_167:
	v_mov_b32_e32 v0, 0
	s_mov_b32 s59, 0
	v_mov_b32_e32 v1, v0
                                        ; implicit-def: $vgpr2
	v_mov_b32_e32 v4, v24
.LBB335_168:
	s_and_b32 s4, s60, 3
	s_cmp_eq_u32 s4, 0
	s_cbranch_scc1 .LBB335_171
; %bb.169:
	s_lshl_b32 s0, s59, 3
	s_add_u32 s0, s34, s0
	s_addc_u32 s1, s35, 0
	s_add_u32 s0, s0, 0xc4
	s_addc_u32 s1, s1, 0
	s_mul_i32 s2, s59, 12
	s_add_u32 s2, s34, s2
	s_addc_u32 s3, s35, 0
.LBB335_170:                            ; =>This Inner Loop Header: Depth=1
	s_load_dwordx2 s[6:7], s[2:3], 0x4
	s_load_dword s5, s[2:3], 0xc
	s_load_dwordx2 s[8:9], s[0:1], 0x0
	v_mov_b32_e32 v2, v1
	s_add_u32 s2, s2, 12
	s_waitcnt lgkmcnt(0)
	v_mul_hi_u32 v1, s7, v4
	v_add_u32_e32 v1, v4, v1
	v_lshrrev_b32_e32 v1, s5, v1
	s_addc_u32 s3, s3, 0
	v_mul_lo_u32 v3, v1, s6
	s_add_u32 s0, s0, 8
	v_sub_u32_e32 v5, v4, v3
	s_addc_u32 s1, s1, 0
	s_add_i32 s4, s4, -1
	v_mov_b32_e32 v4, v1
	v_mad_u64_u32 v[2:3], s[6:7], v5, s9, v[2:3]
	v_mad_u64_u32 v[0:1], s[6:7], v5, s8, v[0:1]
	s_cmp_lg_u32 s4, 0
	v_mov_b32_e32 v1, v2
	s_cbranch_scc1 .LBB335_170
.LBB335_171:
	s_cbranch_execnz .LBB335_174
.LBB335_172:
	v_mul_hi_u32 v0, s21, v24
	v_add_u32_e32 v0, v24, v0
	v_lshrrev_b32_e32 v1, s22, v0
	v_mul_lo_u32 v0, v1, s20
	v_sub_u32_e32 v0, v24, v0
	v_mul_lo_u32 v2, v0, s25
	s_andn2_b64 vcc, exec, s[42:43]
	v_mul_lo_u32 v0, v0, s24
	s_cbranch_vccnz .LBB335_174
; %bb.173:
	v_mul_hi_u32 v3, s40, v1
	v_add_u32_e32 v3, v1, v3
	v_lshrrev_b32_e32 v3, s41, v3
	v_mul_lo_u32 v3, v3, s23
	v_sub_u32_e32 v3, v1, v3
	v_mad_u64_u32 v[0:1], s[0:1], v3, s26, v[0:1]
	v_mad_u64_u32 v[2:3], s[0:1], v3, s27, v[2:3]
.LBB335_174:
	global_load_ushort v1, v2, s[18:19]
	v_mov_b32_e32 v2, s55
	v_mov_b32_e32 v3, s56
	v_add_u32_e32 v24, 0x80, v24
	s_waitcnt vmcnt(0)
	v_cmp_lt_f16_e32 vcc, s55, v1
	s_nop 1
	v_cndmask_b32_e32 v2, v2, v1, vcc
	v_cmp_gt_f16_e32 vcc, s56, v2
	s_nop 1
	v_cndmask_b32_e32 v2, v3, v2, vcc
	v_cmp_u_f16_e32 vcc, v1, v1
	s_nop 1
	v_cndmask_b32_e32 v1, v2, v1, vcc
	global_store_short v0, v1, s[16:17]
	s_or_b64 exec, exec, s[48:49]
	v_cmp_gt_i32_e32 vcc, s57, v24
	s_and_saveexec_b64 s[48:49], vcc
	s_cbranch_execnz .LBB335_159
.LBB335_175:
	s_or_b64 exec, exec, s[48:49]
	v_cmp_gt_i32_e32 vcc, s57, v24
	s_and_saveexec_b64 s[48:49], vcc
	s_cbranch_execz .LBB335_192
.LBB335_176:
	s_andn2_b64 vcc, exec, s[36:37]
	s_cbranch_vccnz .LBB335_182
; %bb.177:
	s_andn2_b64 vcc, exec, s[46:47]
	s_cbranch_vccnz .LBB335_183
; %bb.178:
	s_add_i32 s60, s58, 1
	s_cmp_eq_u32 s54, 2
	s_cbranch_scc1 .LBB335_201
; %bb.179:
	s_and_b32 s59, s60, 28
	s_mov_b32 s61, 0
	v_mov_b32_e32 v0, 0
	v_mov_b32_e32 v2, 0
	s_mov_b64 s[50:51], s[34:35]
	s_mov_b64 s[52:53], s[44:45]
	v_mov_b32_e32 v4, v24
.LBB335_180:                            ; =>This Inner Loop Header: Depth=1
	s_load_dwordx8 s[8:15], s[50:51], 0x4
	s_load_dwordx4 s[28:31], s[50:51], 0x24
	s_load_dwordx8 s[0:7], s[52:53], 0x0
	s_add_u32 s50, s50, 48
	s_addc_u32 s51, s51, 0
	s_waitcnt lgkmcnt(0)
	v_mul_hi_u32 v1, s9, v4
	v_add_u32_e32 v1, v4, v1
	v_lshrrev_b32_e32 v1, s10, v1
	v_mul_lo_u32 v3, v1, s8
	v_mul_hi_u32 v5, s12, v1
	v_sub_u32_e32 v3, v4, v3
	v_add_u32_e32 v4, v1, v5
	v_lshrrev_b32_e32 v4, s13, v4
	v_mul_lo_u32 v6, v4, s11
	v_mul_hi_u32 v7, s15, v4
	v_sub_u32_e32 v1, v1, v6
	v_add_u32_e32 v6, v4, v7
	v_mul_lo_u32 v5, v3, s1
	v_mul_lo_u32 v3, v3, s0
	;; [unrolled: 1-line block ×4, first 2 shown]
	v_lshrrev_b32_e32 v6, s28, v6
	v_add3_u32 v0, v3, v0, v1
	v_mul_hi_u32 v3, s30, v6
	v_add3_u32 v1, v5, v2, v7
	v_mul_lo_u32 v2, v6, s14
	v_add_u32_e32 v3, v6, v3
	v_sub_u32_e32 v2, v4, v2
	v_lshrrev_b32_e32 v4, s31, v3
	s_add_i32 s61, s61, 4
	v_mul_lo_u32 v3, v4, s29
	s_add_u32 s52, s52, 32
	v_sub_u32_e32 v3, v6, v3
	s_addc_u32 s53, s53, 0
	v_mul_lo_u32 v5, v2, s4
	v_mul_lo_u32 v2, v2, s5
	;; [unrolled: 1-line block ×4, first 2 shown]
	s_cmp_eq_u32 s59, s61
	v_add3_u32 v2, v2, v1, v3
	v_add3_u32 v0, v5, v0, v6
	s_cbranch_scc0 .LBB335_180
; %bb.181:
	v_mov_b32_e32 v1, v2
	s_branch .LBB335_202
.LBB335_182:
                                        ; implicit-def: $vgpr2
                                        ; implicit-def: $vgpr0
	s_branch .LBB335_206
.LBB335_183:
	v_mov_b32_e32 v2, 0
	v_mov_b32_e32 v0, 0
	s_branch .LBB335_205
.LBB335_184:
	v_mov_b32_e32 v0, 0
	s_mov_b32 s59, 0
	v_mov_b32_e32 v1, v0
                                        ; implicit-def: $vgpr2
	v_mov_b32_e32 v4, v24
.LBB335_185:
	s_and_b32 s4, s60, 3
	s_cmp_eq_u32 s4, 0
	s_cbranch_scc1 .LBB335_188
; %bb.186:
	s_lshl_b32 s0, s59, 3
	s_add_u32 s0, s34, s0
	s_addc_u32 s1, s35, 0
	s_add_u32 s0, s0, 0xc4
	s_addc_u32 s1, s1, 0
	s_mul_i32 s2, s59, 12
	s_add_u32 s2, s34, s2
	s_addc_u32 s3, s35, 0
.LBB335_187:                            ; =>This Inner Loop Header: Depth=1
	s_load_dwordx2 s[6:7], s[2:3], 0x4
	s_load_dword s5, s[2:3], 0xc
	s_load_dwordx2 s[8:9], s[0:1], 0x0
	v_mov_b32_e32 v2, v1
	s_add_u32 s2, s2, 12
	s_waitcnt lgkmcnt(0)
	v_mul_hi_u32 v1, s7, v4
	v_add_u32_e32 v1, v4, v1
	v_lshrrev_b32_e32 v1, s5, v1
	s_addc_u32 s3, s3, 0
	v_mul_lo_u32 v3, v1, s6
	s_add_u32 s0, s0, 8
	v_sub_u32_e32 v5, v4, v3
	s_addc_u32 s1, s1, 0
	s_add_i32 s4, s4, -1
	v_mov_b32_e32 v4, v1
	v_mad_u64_u32 v[2:3], s[6:7], v5, s9, v[2:3]
	v_mad_u64_u32 v[0:1], s[6:7], v5, s8, v[0:1]
	s_cmp_lg_u32 s4, 0
	v_mov_b32_e32 v1, v2
	s_cbranch_scc1 .LBB335_187
.LBB335_188:
	s_cbranch_execnz .LBB335_191
.LBB335_189:
	v_mul_hi_u32 v0, s21, v24
	v_add_u32_e32 v0, v24, v0
	v_lshrrev_b32_e32 v1, s22, v0
	v_mul_lo_u32 v0, v1, s20
	v_sub_u32_e32 v0, v24, v0
	v_mul_lo_u32 v2, v0, s25
	s_andn2_b64 vcc, exec, s[42:43]
	v_mul_lo_u32 v0, v0, s24
	s_cbranch_vccnz .LBB335_191
; %bb.190:
	v_mul_hi_u32 v3, s40, v1
	v_add_u32_e32 v3, v1, v3
	v_lshrrev_b32_e32 v3, s41, v3
	v_mul_lo_u32 v3, v3, s23
	v_sub_u32_e32 v3, v1, v3
	v_mad_u64_u32 v[0:1], s[0:1], v3, s26, v[0:1]
	v_mad_u64_u32 v[2:3], s[0:1], v3, s27, v[2:3]
.LBB335_191:
	global_load_ushort v1, v2, s[18:19]
	v_mov_b32_e32 v2, s55
	v_mov_b32_e32 v3, s56
	v_add_u32_e32 v24, 0x80, v24
	s_waitcnt vmcnt(0)
	v_cmp_lt_f16_e32 vcc, s55, v1
	s_nop 1
	v_cndmask_b32_e32 v2, v2, v1, vcc
	v_cmp_gt_f16_e32 vcc, s56, v2
	s_nop 1
	v_cndmask_b32_e32 v2, v3, v2, vcc
	v_cmp_u_f16_e32 vcc, v1, v1
	s_nop 1
	v_cndmask_b32_e32 v1, v2, v1, vcc
	global_store_short v0, v1, s[16:17]
	s_or_b64 exec, exec, s[48:49]
	v_cmp_gt_i32_e32 vcc, s57, v24
	s_and_saveexec_b64 s[48:49], vcc
	s_cbranch_execnz .LBB335_176
.LBB335_192:
	s_or_b64 exec, exec, s[48:49]
	v_cmp_gt_i32_e32 vcc, s57, v24
	s_and_saveexec_b64 s[48:49], vcc
	s_cbranch_execz .LBB335_209
.LBB335_193:
	s_andn2_b64 vcc, exec, s[36:37]
	s_cbranch_vccnz .LBB335_199
; %bb.194:
	s_andn2_b64 vcc, exec, s[46:47]
	s_cbranch_vccnz .LBB335_200
; %bb.195:
	s_add_i32 s60, s58, 1
	s_cmp_eq_u32 s54, 2
	s_cbranch_scc1 .LBB335_218
; %bb.196:
	s_and_b32 s59, s60, 28
	s_mov_b32 s61, 0
	v_mov_b32_e32 v0, 0
	v_mov_b32_e32 v2, 0
	s_mov_b64 s[50:51], s[34:35]
	s_mov_b64 s[52:53], s[44:45]
	v_mov_b32_e32 v4, v24
.LBB335_197:                            ; =>This Inner Loop Header: Depth=1
	s_load_dwordx8 s[8:15], s[50:51], 0x4
	s_load_dwordx4 s[28:31], s[50:51], 0x24
	s_load_dwordx8 s[0:7], s[52:53], 0x0
	s_add_u32 s50, s50, 48
	s_addc_u32 s51, s51, 0
	s_waitcnt lgkmcnt(0)
	v_mul_hi_u32 v1, s9, v4
	v_add_u32_e32 v1, v4, v1
	v_lshrrev_b32_e32 v1, s10, v1
	v_mul_lo_u32 v3, v1, s8
	v_mul_hi_u32 v5, s12, v1
	v_sub_u32_e32 v3, v4, v3
	v_add_u32_e32 v4, v1, v5
	v_lshrrev_b32_e32 v4, s13, v4
	v_mul_lo_u32 v6, v4, s11
	v_mul_hi_u32 v7, s15, v4
	v_sub_u32_e32 v1, v1, v6
	v_add_u32_e32 v6, v4, v7
	v_mul_lo_u32 v5, v3, s1
	v_mul_lo_u32 v3, v3, s0
	;; [unrolled: 1-line block ×4, first 2 shown]
	v_lshrrev_b32_e32 v6, s28, v6
	v_add3_u32 v0, v3, v0, v1
	v_mul_hi_u32 v3, s30, v6
	v_add3_u32 v1, v5, v2, v7
	v_mul_lo_u32 v2, v6, s14
	v_add_u32_e32 v3, v6, v3
	v_sub_u32_e32 v2, v4, v2
	v_lshrrev_b32_e32 v4, s31, v3
	s_add_i32 s61, s61, 4
	v_mul_lo_u32 v3, v4, s29
	s_add_u32 s52, s52, 32
	v_sub_u32_e32 v3, v6, v3
	s_addc_u32 s53, s53, 0
	v_mul_lo_u32 v5, v2, s4
	v_mul_lo_u32 v2, v2, s5
	;; [unrolled: 1-line block ×4, first 2 shown]
	s_cmp_eq_u32 s59, s61
	v_add3_u32 v2, v2, v1, v3
	v_add3_u32 v0, v5, v0, v6
	s_cbranch_scc0 .LBB335_197
; %bb.198:
	v_mov_b32_e32 v1, v2
	s_branch .LBB335_219
.LBB335_199:
                                        ; implicit-def: $vgpr2
                                        ; implicit-def: $vgpr0
	s_branch .LBB335_223
.LBB335_200:
	v_mov_b32_e32 v2, 0
	v_mov_b32_e32 v0, 0
	s_branch .LBB335_222
.LBB335_201:
	v_mov_b32_e32 v0, 0
	s_mov_b32 s59, 0
	v_mov_b32_e32 v1, v0
                                        ; implicit-def: $vgpr2
	v_mov_b32_e32 v4, v24
.LBB335_202:
	s_and_b32 s4, s60, 3
	s_cmp_eq_u32 s4, 0
	s_cbranch_scc1 .LBB335_205
; %bb.203:
	s_lshl_b32 s0, s59, 3
	s_add_u32 s0, s34, s0
	s_addc_u32 s1, s35, 0
	s_add_u32 s0, s0, 0xc4
	s_addc_u32 s1, s1, 0
	s_mul_i32 s2, s59, 12
	s_add_u32 s2, s34, s2
	s_addc_u32 s3, s35, 0
.LBB335_204:                            ; =>This Inner Loop Header: Depth=1
	s_load_dwordx2 s[6:7], s[2:3], 0x4
	s_load_dword s5, s[2:3], 0xc
	s_load_dwordx2 s[8:9], s[0:1], 0x0
	v_mov_b32_e32 v2, v1
	s_add_u32 s2, s2, 12
	s_waitcnt lgkmcnt(0)
	v_mul_hi_u32 v1, s7, v4
	v_add_u32_e32 v1, v4, v1
	v_lshrrev_b32_e32 v1, s5, v1
	s_addc_u32 s3, s3, 0
	v_mul_lo_u32 v3, v1, s6
	s_add_u32 s0, s0, 8
	v_sub_u32_e32 v5, v4, v3
	s_addc_u32 s1, s1, 0
	s_add_i32 s4, s4, -1
	v_mov_b32_e32 v4, v1
	v_mad_u64_u32 v[2:3], s[6:7], v5, s9, v[2:3]
	v_mad_u64_u32 v[0:1], s[6:7], v5, s8, v[0:1]
	s_cmp_lg_u32 s4, 0
	v_mov_b32_e32 v1, v2
	s_cbranch_scc1 .LBB335_204
.LBB335_205:
	s_cbranch_execnz .LBB335_208
.LBB335_206:
	v_mul_hi_u32 v0, s21, v24
	v_add_u32_e32 v0, v24, v0
	v_lshrrev_b32_e32 v1, s22, v0
	v_mul_lo_u32 v0, v1, s20
	v_sub_u32_e32 v0, v24, v0
	v_mul_lo_u32 v2, v0, s25
	s_andn2_b64 vcc, exec, s[42:43]
	v_mul_lo_u32 v0, v0, s24
	s_cbranch_vccnz .LBB335_208
; %bb.207:
	v_mul_hi_u32 v3, s40, v1
	v_add_u32_e32 v3, v1, v3
	v_lshrrev_b32_e32 v3, s41, v3
	v_mul_lo_u32 v3, v3, s23
	v_sub_u32_e32 v3, v1, v3
	v_mad_u64_u32 v[0:1], s[0:1], v3, s26, v[0:1]
	v_mad_u64_u32 v[2:3], s[0:1], v3, s27, v[2:3]
.LBB335_208:
	global_load_ushort v1, v2, s[18:19]
	v_mov_b32_e32 v2, s55
	v_mov_b32_e32 v3, s56
	v_add_u32_e32 v24, 0x80, v24
	s_waitcnt vmcnt(0)
	v_cmp_lt_f16_e32 vcc, s55, v1
	s_nop 1
	v_cndmask_b32_e32 v2, v2, v1, vcc
	v_cmp_gt_f16_e32 vcc, s56, v2
	s_nop 1
	v_cndmask_b32_e32 v2, v3, v2, vcc
	v_cmp_u_f16_e32 vcc, v1, v1
	s_nop 1
	v_cndmask_b32_e32 v1, v2, v1, vcc
	global_store_short v0, v1, s[16:17]
	s_or_b64 exec, exec, s[48:49]
	v_cmp_gt_i32_e32 vcc, s57, v24
	s_and_saveexec_b64 s[48:49], vcc
	s_cbranch_execnz .LBB335_193
.LBB335_209:
	s_or_b64 exec, exec, s[48:49]
	v_cmp_gt_i32_e32 vcc, s57, v24
	s_and_saveexec_b64 s[48:49], vcc
	s_cbranch_execz .LBB335_226
.LBB335_210:
	s_andn2_b64 vcc, exec, s[36:37]
	s_cbranch_vccnz .LBB335_216
; %bb.211:
	s_andn2_b64 vcc, exec, s[46:47]
	s_cbranch_vccnz .LBB335_217
; %bb.212:
	s_add_i32 s60, s58, 1
	s_cmp_eq_u32 s54, 2
	s_cbranch_scc1 .LBB335_229
; %bb.213:
	s_and_b32 s59, s60, 28
	s_mov_b32 s61, 0
	v_mov_b32_e32 v0, 0
	v_mov_b32_e32 v2, 0
	s_mov_b64 s[50:51], s[34:35]
	s_mov_b64 s[52:53], s[44:45]
	v_mov_b32_e32 v4, v24
.LBB335_214:                            ; =>This Inner Loop Header: Depth=1
	s_load_dwordx8 s[8:15], s[50:51], 0x4
	s_load_dwordx4 s[28:31], s[50:51], 0x24
	s_load_dwordx8 s[0:7], s[52:53], 0x0
	s_add_u32 s50, s50, 48
	s_addc_u32 s51, s51, 0
	s_waitcnt lgkmcnt(0)
	v_mul_hi_u32 v1, s9, v4
	v_add_u32_e32 v1, v4, v1
	v_lshrrev_b32_e32 v1, s10, v1
	v_mul_lo_u32 v3, v1, s8
	v_mul_hi_u32 v5, s12, v1
	v_sub_u32_e32 v3, v4, v3
	v_add_u32_e32 v4, v1, v5
	v_lshrrev_b32_e32 v4, s13, v4
	v_mul_lo_u32 v6, v4, s11
	v_mul_hi_u32 v7, s15, v4
	v_sub_u32_e32 v1, v1, v6
	v_add_u32_e32 v6, v4, v7
	v_mul_lo_u32 v5, v3, s1
	v_mul_lo_u32 v3, v3, s0
	;; [unrolled: 1-line block ×4, first 2 shown]
	v_lshrrev_b32_e32 v6, s28, v6
	v_add3_u32 v0, v3, v0, v1
	v_mul_hi_u32 v3, s30, v6
	v_add3_u32 v1, v5, v2, v7
	v_mul_lo_u32 v2, v6, s14
	v_add_u32_e32 v3, v6, v3
	v_sub_u32_e32 v2, v4, v2
	v_lshrrev_b32_e32 v4, s31, v3
	s_add_i32 s61, s61, 4
	v_mul_lo_u32 v3, v4, s29
	s_add_u32 s52, s52, 32
	v_sub_u32_e32 v3, v6, v3
	s_addc_u32 s53, s53, 0
	v_mul_lo_u32 v5, v2, s4
	v_mul_lo_u32 v2, v2, s5
	;; [unrolled: 1-line block ×4, first 2 shown]
	s_cmp_eq_u32 s59, s61
	v_add3_u32 v2, v2, v1, v3
	v_add3_u32 v0, v5, v0, v6
	s_cbranch_scc0 .LBB335_214
; %bb.215:
	v_mov_b32_e32 v1, v2
	s_branch .LBB335_230
.LBB335_216:
                                        ; implicit-def: $vgpr2
                                        ; implicit-def: $vgpr0
	s_branch .LBB335_234
.LBB335_217:
	v_mov_b32_e32 v2, 0
	v_mov_b32_e32 v0, 0
	s_branch .LBB335_233
.LBB335_218:
	v_mov_b32_e32 v0, 0
	s_mov_b32 s59, 0
	v_mov_b32_e32 v1, v0
                                        ; implicit-def: $vgpr2
	v_mov_b32_e32 v4, v24
.LBB335_219:
	s_and_b32 s4, s60, 3
	s_cmp_eq_u32 s4, 0
	s_cbranch_scc1 .LBB335_222
; %bb.220:
	s_lshl_b32 s0, s59, 3
	s_add_u32 s0, s34, s0
	s_addc_u32 s1, s35, 0
	s_add_u32 s0, s0, 0xc4
	s_addc_u32 s1, s1, 0
	s_mul_i32 s2, s59, 12
	s_add_u32 s2, s34, s2
	s_addc_u32 s3, s35, 0
.LBB335_221:                            ; =>This Inner Loop Header: Depth=1
	s_load_dwordx2 s[6:7], s[2:3], 0x4
	s_load_dword s5, s[2:3], 0xc
	s_load_dwordx2 s[8:9], s[0:1], 0x0
	v_mov_b32_e32 v2, v1
	s_add_u32 s2, s2, 12
	s_waitcnt lgkmcnt(0)
	v_mul_hi_u32 v1, s7, v4
	v_add_u32_e32 v1, v4, v1
	v_lshrrev_b32_e32 v1, s5, v1
	s_addc_u32 s3, s3, 0
	v_mul_lo_u32 v3, v1, s6
	s_add_u32 s0, s0, 8
	v_sub_u32_e32 v5, v4, v3
	s_addc_u32 s1, s1, 0
	s_add_i32 s4, s4, -1
	v_mov_b32_e32 v4, v1
	v_mad_u64_u32 v[2:3], s[6:7], v5, s9, v[2:3]
	v_mad_u64_u32 v[0:1], s[6:7], v5, s8, v[0:1]
	s_cmp_lg_u32 s4, 0
	v_mov_b32_e32 v1, v2
	s_cbranch_scc1 .LBB335_221
.LBB335_222:
	s_cbranch_execnz .LBB335_225
.LBB335_223:
	v_mul_hi_u32 v0, s21, v24
	v_add_u32_e32 v0, v24, v0
	v_lshrrev_b32_e32 v1, s22, v0
	v_mul_lo_u32 v0, v1, s20
	v_sub_u32_e32 v0, v24, v0
	v_mul_lo_u32 v2, v0, s25
	s_andn2_b64 vcc, exec, s[42:43]
	v_mul_lo_u32 v0, v0, s24
	s_cbranch_vccnz .LBB335_225
; %bb.224:
	v_mul_hi_u32 v3, s40, v1
	v_add_u32_e32 v3, v1, v3
	v_lshrrev_b32_e32 v3, s41, v3
	v_mul_lo_u32 v3, v3, s23
	v_sub_u32_e32 v3, v1, v3
	v_mad_u64_u32 v[0:1], s[0:1], v3, s26, v[0:1]
	v_mad_u64_u32 v[2:3], s[0:1], v3, s27, v[2:3]
.LBB335_225:
	global_load_ushort v1, v2, s[18:19]
	v_mov_b32_e32 v2, s55
	v_mov_b32_e32 v3, s56
	v_add_u32_e32 v24, 0x80, v24
	s_waitcnt vmcnt(0)
	v_cmp_lt_f16_e32 vcc, s55, v1
	s_nop 1
	v_cndmask_b32_e32 v2, v2, v1, vcc
	v_cmp_gt_f16_e32 vcc, s56, v2
	s_nop 1
	v_cndmask_b32_e32 v2, v3, v2, vcc
	v_cmp_u_f16_e32 vcc, v1, v1
	s_nop 1
	v_cndmask_b32_e32 v1, v2, v1, vcc
	global_store_short v0, v1, s[16:17]
	s_or_b64 exec, exec, s[48:49]
	v_cmp_gt_i32_e32 vcc, s57, v24
	s_and_saveexec_b64 s[48:49], vcc
	s_cbranch_execnz .LBB335_210
.LBB335_226:
	s_or_b64 exec, exec, s[48:49]
	v_cmp_gt_i32_e32 vcc, s57, v24
	s_and_saveexec_b64 s[48:49], vcc
	s_cbranch_execnz .LBB335_237
.LBB335_227:
	s_or_b64 exec, exec, s[48:49]
                                        ; implicit-def: $vgpr32
                                        ; implicit-def: $vgpr24
	s_andn2_saveexec_b64 s[0:1], s[38:39]
	s_cbranch_execnz .LBB335_9
.LBB335_228:
	s_endpgm
.LBB335_229:
	v_mov_b32_e32 v0, 0
	s_mov_b32 s59, 0
	v_mov_b32_e32 v1, v0
                                        ; implicit-def: $vgpr2
	v_mov_b32_e32 v4, v24
.LBB335_230:
	s_and_b32 s4, s60, 3
	s_cmp_eq_u32 s4, 0
	s_cbranch_scc1 .LBB335_233
; %bb.231:
	s_lshl_b32 s0, s59, 3
	s_add_u32 s0, s34, s0
	s_addc_u32 s1, s35, 0
	s_add_u32 s0, s0, 0xc4
	s_addc_u32 s1, s1, 0
	s_mul_i32 s2, s59, 12
	s_add_u32 s2, s34, s2
	s_addc_u32 s3, s35, 0
.LBB335_232:                            ; =>This Inner Loop Header: Depth=1
	s_load_dwordx2 s[6:7], s[2:3], 0x4
	s_load_dword s5, s[2:3], 0xc
	s_load_dwordx2 s[8:9], s[0:1], 0x0
	v_mov_b32_e32 v2, v1
	s_add_u32 s2, s2, 12
	s_waitcnt lgkmcnt(0)
	v_mul_hi_u32 v1, s7, v4
	v_add_u32_e32 v1, v4, v1
	v_lshrrev_b32_e32 v1, s5, v1
	s_addc_u32 s3, s3, 0
	v_mul_lo_u32 v3, v1, s6
	s_add_u32 s0, s0, 8
	v_sub_u32_e32 v5, v4, v3
	s_addc_u32 s1, s1, 0
	s_add_i32 s4, s4, -1
	v_mov_b32_e32 v4, v1
	v_mad_u64_u32 v[2:3], s[6:7], v5, s9, v[2:3]
	v_mad_u64_u32 v[0:1], s[6:7], v5, s8, v[0:1]
	s_cmp_lg_u32 s4, 0
	v_mov_b32_e32 v1, v2
	s_cbranch_scc1 .LBB335_232
.LBB335_233:
	s_cbranch_execnz .LBB335_236
.LBB335_234:
	v_mul_hi_u32 v0, s21, v24
	v_add_u32_e32 v0, v24, v0
	v_lshrrev_b32_e32 v1, s22, v0
	v_mul_lo_u32 v0, v1, s20
	v_sub_u32_e32 v0, v24, v0
	v_mul_lo_u32 v2, v0, s25
	s_andn2_b64 vcc, exec, s[42:43]
	v_mul_lo_u32 v0, v0, s24
	s_cbranch_vccnz .LBB335_236
; %bb.235:
	v_mul_hi_u32 v3, s40, v1
	v_add_u32_e32 v3, v1, v3
	v_lshrrev_b32_e32 v3, s41, v3
	v_mul_lo_u32 v3, v3, s23
	v_sub_u32_e32 v3, v1, v3
	v_mad_u64_u32 v[0:1], s[0:1], v3, s26, v[0:1]
	v_mad_u64_u32 v[2:3], s[0:1], v3, s27, v[2:3]
.LBB335_236:
	global_load_ushort v1, v2, s[18:19]
	v_mov_b32_e32 v2, s55
	v_mov_b32_e32 v3, s56
	v_add_u32_e32 v24, 0x80, v24
	s_waitcnt vmcnt(0)
	v_cmp_lt_f16_e32 vcc, s55, v1
	s_nop 1
	v_cndmask_b32_e32 v2, v2, v1, vcc
	v_cmp_gt_f16_e32 vcc, s56, v2
	s_nop 1
	v_cndmask_b32_e32 v2, v3, v2, vcc
	v_cmp_u_f16_e32 vcc, v1, v1
	s_nop 1
	v_cndmask_b32_e32 v1, v2, v1, vcc
	global_store_short v0, v1, s[16:17]
	s_or_b64 exec, exec, s[48:49]
	v_cmp_gt_i32_e32 vcc, s57, v24
	s_and_saveexec_b64 s[48:49], vcc
	s_cbranch_execz .LBB335_227
.LBB335_237:
	s_andn2_b64 vcc, exec, s[36:37]
	s_cbranch_vccnz .LBB335_243
; %bb.238:
	s_andn2_b64 vcc, exec, s[46:47]
	s_cbranch_vccnz .LBB335_244
; %bb.239:
	s_add_i32 s58, s58, 1
	s_cmp_eq_u32 s54, 2
	s_cbranch_scc1 .LBB335_245
; %bb.240:
	s_and_b32 s50, s58, 28
	s_mov_b32 s51, 0
	v_mov_b32_e32 v0, 0
	v_mov_b32_e32 v2, 0
	s_mov_b64 s[46:47], s[34:35]
	v_mov_b32_e32 v4, v24
.LBB335_241:                            ; =>This Inner Loop Header: Depth=1
	s_load_dwordx8 s[8:15], s[46:47], 0x4
	s_load_dwordx4 s[28:31], s[46:47], 0x24
	s_load_dwordx8 s[0:7], s[44:45], 0x0
	s_add_u32 s46, s46, 48
	s_addc_u32 s47, s47, 0
	s_waitcnt lgkmcnt(0)
	v_mul_hi_u32 v1, s9, v4
	v_add_u32_e32 v1, v4, v1
	v_lshrrev_b32_e32 v1, s10, v1
	v_mul_lo_u32 v3, v1, s8
	v_mul_hi_u32 v5, s12, v1
	v_sub_u32_e32 v3, v4, v3
	v_add_u32_e32 v4, v1, v5
	v_lshrrev_b32_e32 v4, s13, v4
	v_mul_lo_u32 v6, v4, s11
	v_mul_hi_u32 v7, s15, v4
	v_sub_u32_e32 v1, v1, v6
	v_add_u32_e32 v6, v4, v7
	v_mul_lo_u32 v5, v3, s1
	v_mul_lo_u32 v3, v3, s0
	;; [unrolled: 1-line block ×4, first 2 shown]
	v_lshrrev_b32_e32 v6, s28, v6
	v_add3_u32 v0, v3, v0, v1
	v_mul_hi_u32 v3, s30, v6
	v_add3_u32 v1, v5, v2, v7
	v_mul_lo_u32 v2, v6, s14
	v_add_u32_e32 v3, v6, v3
	v_sub_u32_e32 v2, v4, v2
	v_lshrrev_b32_e32 v4, s31, v3
	s_add_i32 s51, s51, 4
	v_mul_lo_u32 v3, v4, s29
	s_add_u32 s44, s44, 32
	v_sub_u32_e32 v3, v6, v3
	s_addc_u32 s45, s45, 0
	v_mul_lo_u32 v5, v2, s4
	v_mul_lo_u32 v2, v2, s5
	;; [unrolled: 1-line block ×4, first 2 shown]
	s_cmp_eq_u32 s50, s51
	v_add3_u32 v2, v2, v1, v3
	v_add3_u32 v0, v5, v0, v6
	s_cbranch_scc0 .LBB335_241
; %bb.242:
	v_mov_b32_e32 v1, v2
	s_branch .LBB335_246
.LBB335_243:
                                        ; implicit-def: $vgpr2
                                        ; implicit-def: $vgpr0
	s_branch .LBB335_250
.LBB335_244:
	v_mov_b32_e32 v2, 0
	v_mov_b32_e32 v0, 0
	s_branch .LBB335_249
.LBB335_245:
	v_mov_b32_e32 v0, 0
	s_mov_b32 s50, 0
	v_mov_b32_e32 v1, v0
                                        ; implicit-def: $vgpr2
	v_mov_b32_e32 v4, v24
.LBB335_246:
	s_and_b32 s4, s58, 3
	s_cmp_eq_u32 s4, 0
	s_cbranch_scc1 .LBB335_249
; %bb.247:
	s_lshl_b32 s0, s50, 3
	s_add_u32 s0, s34, s0
	s_addc_u32 s1, s35, 0
	s_add_u32 s0, s0, 0xc4
	s_addc_u32 s1, s1, 0
	s_mul_i32 s2, s50, 12
	s_add_u32 s2, s34, s2
	s_addc_u32 s3, s35, 0
.LBB335_248:                            ; =>This Inner Loop Header: Depth=1
	s_load_dwordx2 s[6:7], s[2:3], 0x4
	s_load_dword s5, s[2:3], 0xc
	s_load_dwordx2 s[8:9], s[0:1], 0x0
	v_mov_b32_e32 v2, v1
	s_add_u32 s2, s2, 12
	s_waitcnt lgkmcnt(0)
	v_mul_hi_u32 v1, s7, v4
	v_add_u32_e32 v1, v4, v1
	v_lshrrev_b32_e32 v1, s5, v1
	s_addc_u32 s3, s3, 0
	v_mul_lo_u32 v3, v1, s6
	s_add_u32 s0, s0, 8
	v_sub_u32_e32 v5, v4, v3
	s_addc_u32 s1, s1, 0
	s_add_i32 s4, s4, -1
	v_mov_b32_e32 v4, v1
	v_mad_u64_u32 v[2:3], s[6:7], v5, s9, v[2:3]
	v_mad_u64_u32 v[0:1], s[6:7], v5, s8, v[0:1]
	s_cmp_lg_u32 s4, 0
	v_mov_b32_e32 v1, v2
	s_cbranch_scc1 .LBB335_248
.LBB335_249:
	s_cbranch_execnz .LBB335_252
.LBB335_250:
	v_mul_hi_u32 v0, s21, v24
	v_add_u32_e32 v0, v24, v0
	v_lshrrev_b32_e32 v1, s22, v0
	v_mul_lo_u32 v0, v1, s20
	v_sub_u32_e32 v0, v24, v0
	v_mul_lo_u32 v2, v0, s25
	s_andn2_b64 vcc, exec, s[42:43]
	v_mul_lo_u32 v0, v0, s24
	s_cbranch_vccnz .LBB335_252
; %bb.251:
	v_mul_hi_u32 v3, s40, v1
	v_add_u32_e32 v3, v1, v3
	v_lshrrev_b32_e32 v3, s41, v3
	v_mul_lo_u32 v3, v3, s23
	v_sub_u32_e32 v3, v1, v3
	v_mad_u64_u32 v[0:1], s[0:1], v3, s26, v[0:1]
	v_mad_u64_u32 v[2:3], s[0:1], v3, s27, v[2:3]
.LBB335_252:
	global_load_ushort v1, v2, s[18:19]
	v_mov_b32_e32 v2, s55
	v_mov_b32_e32 v3, s56
	s_waitcnt vmcnt(0)
	v_cmp_lt_f16_e32 vcc, s55, v1
	s_nop 1
	v_cndmask_b32_e32 v2, v2, v1, vcc
	v_cmp_gt_f16_e32 vcc, s56, v2
	s_nop 1
	v_cndmask_b32_e32 v2, v3, v2, vcc
	v_cmp_u_f16_e32 vcc, v1, v1
	s_nop 1
	v_cndmask_b32_e32 v1, v2, v1, vcc
	global_store_short v0, v1, s[16:17]
	s_or_b64 exec, exec, s[48:49]
                                        ; implicit-def: $vgpr32
                                        ; implicit-def: $vgpr24
	s_andn2_saveexec_b64 s[0:1], s[38:39]
	s_cbranch_execz .LBB335_228
	s_branch .LBB335_9
	.section	.rodata,"a",@progbits
	.p2align	6, 0x0
	.amdhsa_kernel _ZN2at6native32elementwise_kernel_manual_unrollILi128ELi8EZNS0_22gpu_kernel_impl_nocastIZZZNS0_17clamp_kernel_cudaERNS_18TensorIteratorBaseERKN3c106ScalarES8_ENKUlvE_clEvENKUlvE6_clEvEUlNS5_4HalfEE_EEvS4_RKT_EUlibE_EEviT1_
		.amdhsa_group_segment_fixed_size 0
		.amdhsa_private_segment_fixed_size 0
		.amdhsa_kernarg_size 360
		.amdhsa_user_sgpr_count 2
		.amdhsa_user_sgpr_dispatch_ptr 0
		.amdhsa_user_sgpr_queue_ptr 0
		.amdhsa_user_sgpr_kernarg_segment_ptr 1
		.amdhsa_user_sgpr_dispatch_id 0
		.amdhsa_user_sgpr_kernarg_preload_length 0
		.amdhsa_user_sgpr_kernarg_preload_offset 0
		.amdhsa_user_sgpr_private_segment_size 0
		.amdhsa_uses_dynamic_stack 0
		.amdhsa_enable_private_segment 0
		.amdhsa_system_sgpr_workgroup_id_x 1
		.amdhsa_system_sgpr_workgroup_id_y 0
		.amdhsa_system_sgpr_workgroup_id_z 0
		.amdhsa_system_sgpr_workgroup_info 0
		.amdhsa_system_vgpr_workitem_id 0
		.amdhsa_next_free_vgpr 33
		.amdhsa_next_free_sgpr 62
		.amdhsa_accum_offset 36
		.amdhsa_reserve_vcc 1
		.amdhsa_float_round_mode_32 0
		.amdhsa_float_round_mode_16_64 0
		.amdhsa_float_denorm_mode_32 3
		.amdhsa_float_denorm_mode_16_64 3
		.amdhsa_dx10_clamp 1
		.amdhsa_ieee_mode 1
		.amdhsa_fp16_overflow 0
		.amdhsa_tg_split 0
		.amdhsa_exception_fp_ieee_invalid_op 0
		.amdhsa_exception_fp_denorm_src 0
		.amdhsa_exception_fp_ieee_div_zero 0
		.amdhsa_exception_fp_ieee_overflow 0
		.amdhsa_exception_fp_ieee_underflow 0
		.amdhsa_exception_fp_ieee_inexact 0
		.amdhsa_exception_int_div_zero 0
	.end_amdhsa_kernel
	.section	.text._ZN2at6native32elementwise_kernel_manual_unrollILi128ELi8EZNS0_22gpu_kernel_impl_nocastIZZZNS0_17clamp_kernel_cudaERNS_18TensorIteratorBaseERKN3c106ScalarES8_ENKUlvE_clEvENKUlvE6_clEvEUlNS5_4HalfEE_EEvS4_RKT_EUlibE_EEviT1_,"axG",@progbits,_ZN2at6native32elementwise_kernel_manual_unrollILi128ELi8EZNS0_22gpu_kernel_impl_nocastIZZZNS0_17clamp_kernel_cudaERNS_18TensorIteratorBaseERKN3c106ScalarES8_ENKUlvE_clEvENKUlvE6_clEvEUlNS5_4HalfEE_EEvS4_RKT_EUlibE_EEviT1_,comdat
.Lfunc_end335:
	.size	_ZN2at6native32elementwise_kernel_manual_unrollILi128ELi8EZNS0_22gpu_kernel_impl_nocastIZZZNS0_17clamp_kernel_cudaERNS_18TensorIteratorBaseERKN3c106ScalarES8_ENKUlvE_clEvENKUlvE6_clEvEUlNS5_4HalfEE_EEvS4_RKT_EUlibE_EEviT1_, .Lfunc_end335-_ZN2at6native32elementwise_kernel_manual_unrollILi128ELi8EZNS0_22gpu_kernel_impl_nocastIZZZNS0_17clamp_kernel_cudaERNS_18TensorIteratorBaseERKN3c106ScalarES8_ENKUlvE_clEvENKUlvE6_clEvEUlNS5_4HalfEE_EEvS4_RKT_EUlibE_EEviT1_
                                        ; -- End function
	.set _ZN2at6native32elementwise_kernel_manual_unrollILi128ELi8EZNS0_22gpu_kernel_impl_nocastIZZZNS0_17clamp_kernel_cudaERNS_18TensorIteratorBaseERKN3c106ScalarES8_ENKUlvE_clEvENKUlvE6_clEvEUlNS5_4HalfEE_EEvS4_RKT_EUlibE_EEviT1_.num_vgpr, 33
	.set _ZN2at6native32elementwise_kernel_manual_unrollILi128ELi8EZNS0_22gpu_kernel_impl_nocastIZZZNS0_17clamp_kernel_cudaERNS_18TensorIteratorBaseERKN3c106ScalarES8_ENKUlvE_clEvENKUlvE6_clEvEUlNS5_4HalfEE_EEvS4_RKT_EUlibE_EEviT1_.num_agpr, 0
	.set _ZN2at6native32elementwise_kernel_manual_unrollILi128ELi8EZNS0_22gpu_kernel_impl_nocastIZZZNS0_17clamp_kernel_cudaERNS_18TensorIteratorBaseERKN3c106ScalarES8_ENKUlvE_clEvENKUlvE6_clEvEUlNS5_4HalfEE_EEvS4_RKT_EUlibE_EEviT1_.numbered_sgpr, 62
	.set _ZN2at6native32elementwise_kernel_manual_unrollILi128ELi8EZNS0_22gpu_kernel_impl_nocastIZZZNS0_17clamp_kernel_cudaERNS_18TensorIteratorBaseERKN3c106ScalarES8_ENKUlvE_clEvENKUlvE6_clEvEUlNS5_4HalfEE_EEvS4_RKT_EUlibE_EEviT1_.num_named_barrier, 0
	.set _ZN2at6native32elementwise_kernel_manual_unrollILi128ELi8EZNS0_22gpu_kernel_impl_nocastIZZZNS0_17clamp_kernel_cudaERNS_18TensorIteratorBaseERKN3c106ScalarES8_ENKUlvE_clEvENKUlvE6_clEvEUlNS5_4HalfEE_EEvS4_RKT_EUlibE_EEviT1_.private_seg_size, 0
	.set _ZN2at6native32elementwise_kernel_manual_unrollILi128ELi8EZNS0_22gpu_kernel_impl_nocastIZZZNS0_17clamp_kernel_cudaERNS_18TensorIteratorBaseERKN3c106ScalarES8_ENKUlvE_clEvENKUlvE6_clEvEUlNS5_4HalfEE_EEvS4_RKT_EUlibE_EEviT1_.uses_vcc, 1
	.set _ZN2at6native32elementwise_kernel_manual_unrollILi128ELi8EZNS0_22gpu_kernel_impl_nocastIZZZNS0_17clamp_kernel_cudaERNS_18TensorIteratorBaseERKN3c106ScalarES8_ENKUlvE_clEvENKUlvE6_clEvEUlNS5_4HalfEE_EEvS4_RKT_EUlibE_EEviT1_.uses_flat_scratch, 0
	.set _ZN2at6native32elementwise_kernel_manual_unrollILi128ELi8EZNS0_22gpu_kernel_impl_nocastIZZZNS0_17clamp_kernel_cudaERNS_18TensorIteratorBaseERKN3c106ScalarES8_ENKUlvE_clEvENKUlvE6_clEvEUlNS5_4HalfEE_EEvS4_RKT_EUlibE_EEviT1_.has_dyn_sized_stack, 0
	.set _ZN2at6native32elementwise_kernel_manual_unrollILi128ELi8EZNS0_22gpu_kernel_impl_nocastIZZZNS0_17clamp_kernel_cudaERNS_18TensorIteratorBaseERKN3c106ScalarES8_ENKUlvE_clEvENKUlvE6_clEvEUlNS5_4HalfEE_EEvS4_RKT_EUlibE_EEviT1_.has_recursion, 0
	.set _ZN2at6native32elementwise_kernel_manual_unrollILi128ELi8EZNS0_22gpu_kernel_impl_nocastIZZZNS0_17clamp_kernel_cudaERNS_18TensorIteratorBaseERKN3c106ScalarES8_ENKUlvE_clEvENKUlvE6_clEvEUlNS5_4HalfEE_EEvS4_RKT_EUlibE_EEviT1_.has_indirect_call, 0
	.section	.AMDGPU.csdata,"",@progbits
; Kernel info:
; codeLenInByte = 11972
; TotalNumSgprs: 68
; NumVgprs: 33
; NumAgprs: 0
; TotalNumVgprs: 33
; ScratchSize: 0
; MemoryBound: 0
; FloatMode: 240
; IeeeMode: 1
; LDSByteSize: 0 bytes/workgroup (compile time only)
; SGPRBlocks: 8
; VGPRBlocks: 4
; NumSGPRsForWavesPerEU: 68
; NumVGPRsForWavesPerEU: 33
; AccumOffset: 36
; Occupancy: 8
; WaveLimiterHint : 1
; COMPUTE_PGM_RSRC2:SCRATCH_EN: 0
; COMPUTE_PGM_RSRC2:USER_SGPR: 2
; COMPUTE_PGM_RSRC2:TRAP_HANDLER: 0
; COMPUTE_PGM_RSRC2:TGID_X_EN: 1
; COMPUTE_PGM_RSRC2:TGID_Y_EN: 0
; COMPUTE_PGM_RSRC2:TGID_Z_EN: 0
; COMPUTE_PGM_RSRC2:TIDIG_COMP_CNT: 0
; COMPUTE_PGM_RSRC3_GFX90A:ACCUM_OFFSET: 8
; COMPUTE_PGM_RSRC3_GFX90A:TG_SPLIT: 0
	.section	.text._ZN2at6native32elementwise_kernel_manual_unrollILi128ELi4EZNS0_15gpu_kernel_implIZZZNS0_17clamp_kernel_cudaERNS_18TensorIteratorBaseERKN3c106ScalarES8_ENKUlvE_clEvENKUlvE6_clEvEUlNS5_4HalfEE_EEvS4_RKT_EUlibE_EEviT1_,"axG",@progbits,_ZN2at6native32elementwise_kernel_manual_unrollILi128ELi4EZNS0_15gpu_kernel_implIZZZNS0_17clamp_kernel_cudaERNS_18TensorIteratorBaseERKN3c106ScalarES8_ENKUlvE_clEvENKUlvE6_clEvEUlNS5_4HalfEE_EEvS4_RKT_EUlibE_EEviT1_,comdat
	.globl	_ZN2at6native32elementwise_kernel_manual_unrollILi128ELi4EZNS0_15gpu_kernel_implIZZZNS0_17clamp_kernel_cudaERNS_18TensorIteratorBaseERKN3c106ScalarES8_ENKUlvE_clEvENKUlvE6_clEvEUlNS5_4HalfEE_EEvS4_RKT_EUlibE_EEviT1_ ; -- Begin function _ZN2at6native32elementwise_kernel_manual_unrollILi128ELi4EZNS0_15gpu_kernel_implIZZZNS0_17clamp_kernel_cudaERNS_18TensorIteratorBaseERKN3c106ScalarES8_ENKUlvE_clEvENKUlvE6_clEvEUlNS5_4HalfEE_EEvS4_RKT_EUlibE_EEviT1_
	.p2align	8
	.type	_ZN2at6native32elementwise_kernel_manual_unrollILi128ELi4EZNS0_15gpu_kernel_implIZZZNS0_17clamp_kernel_cudaERNS_18TensorIteratorBaseERKN3c106ScalarES8_ENKUlvE_clEvENKUlvE6_clEvEUlNS5_4HalfEE_EEvS4_RKT_EUlibE_EEviT1_,@function
_ZN2at6native32elementwise_kernel_manual_unrollILi128ELi4EZNS0_15gpu_kernel_implIZZZNS0_17clamp_kernel_cudaERNS_18TensorIteratorBaseERKN3c106ScalarES8_ENKUlvE_clEvENKUlvE6_clEvEUlNS5_4HalfEE_EEvS4_RKT_EUlibE_EEviT1_: ; @_ZN2at6native32elementwise_kernel_manual_unrollILi128ELi4EZNS0_15gpu_kernel_implIZZZNS0_17clamp_kernel_cudaERNS_18TensorIteratorBaseERKN3c106ScalarES8_ENKUlvE_clEvENKUlvE6_clEvEUlNS5_4HalfEE_EEvS4_RKT_EUlibE_EEviT1_
; %bb.0:
	s_load_dwordx8 s[4:11], s[0:1], 0x8
	s_load_dword s40, s[0:1], 0x0
	v_lshl_or_b32 v4, s2, 9, v0
	v_or_b32_e32 v0, 0x180, v4
	s_mov_b64 s[2:3], 0
	s_waitcnt lgkmcnt(0)
	s_lshr_b32 s33, s10, 16
	s_bfe_u32 s44, s11, 0x80008
	v_cmp_le_i32_e32 vcc, s40, v0
	s_mov_b64 s[14:15], 0
	s_and_saveexec_b64 s[0:1], vcc
	s_xor_b64 s[12:13], exec, s[0:1]
	s_cbranch_execz .LBB336_1027
; %bb.1:
	v_cmp_gt_i32_e32 vcc, s40, v4
	s_mov_b64 s[20:21], -1
	s_mov_b64 s[22:23], 0
	s_mov_b64 s[16:17], 0
	s_and_saveexec_b64 s[18:19], vcc
	s_cbranch_execz .LBB336_252
; %bb.2:
	v_mul_lo_u32 v0, v4, s9
	v_ashrrev_i32_e32 v1, 31, v0
	s_and_b32 s24, 0xffff, s44
	s_cmp_lt_i32 s24, 11
	v_lshl_add_u64 v[0:1], s[6:7], 0, v[0:1]
	s_cbranch_scc1 .LBB336_9
; %bb.3:
	s_cmp_gt_i32 s24, 25
	s_cbranch_scc0 .LBB336_18
; %bb.4:
	s_cmp_gt_i32 s24, 28
	s_cbranch_scc0 .LBB336_22
	;; [unrolled: 3-line block ×4, first 2 shown]
; %bb.7:
	s_cmp_eq_u32 s24, 46
	s_cbranch_scc0 .LBB336_28
; %bb.8:
	global_load_dword v2, v[0:1], off
	s_mov_b64 s[0:1], -1
	s_waitcnt vmcnt(0)
	v_lshlrev_b32_e32 v2, 16, v2
	v_cvt_f16_f32_e32 v2, v2
	s_branch .LBB336_30
.LBB336_9:
                                        ; implicit-def: $vgpr2
	s_mov_b64 s[0:1], 0
	s_cbranch_execnz .LBB336_203
.LBB336_10:
	s_andn2_b64 vcc, exec, s[0:1]
	s_cbranch_vccnz .LBB336_250
.LBB336_11:
	v_mov_b32_e32 v0, s10
	s_waitcnt vmcnt(0)
	v_cmp_lt_f16_e32 vcc, s10, v2
	v_mov_b32_e32 v1, s33
	s_and_b32 s26, s11, 0xff
	v_cndmask_b32_e32 v0, v0, v2, vcc
	v_cmp_gt_f16_e32 vcc, s33, v0
	s_cmp_lt_i32 s26, 11
	s_nop 0
	v_cndmask_b32_e32 v0, v1, v0, vcc
	v_cmp_u_f16_e32 vcc, v2, v2
	s_nop 1
	v_cndmask_b32_e32 v2, v0, v2, vcc
	v_mul_lo_u32 v0, v4, s8
	v_ashrrev_i32_e32 v1, 31, v0
	v_lshl_add_u64 v[0:1], s[4:5], 0, v[0:1]
	s_cbranch_scc1 .LBB336_19
; %bb.12:
	s_and_b32 s27, 0xffff, s26
	s_cmp_gt_i32 s27, 25
	s_cbranch_scc0 .LBB336_23
; %bb.13:
	s_cmp_gt_i32 s27, 28
	s_cbranch_scc0 .LBB336_25
; %bb.14:
	;; [unrolled: 3-line block ×4, first 2 shown]
	s_mov_b64 s[20:21], 0
	s_mov_b64 s[0:1], -1
	s_cmp_eq_u32 s27, 46
	s_mov_b64 s[14:15], 0
	s_cbranch_scc0 .LBB336_34
; %bb.17:
	v_cvt_f32_f16_e32 v3, v2
	s_movk_i32 s0, 0x7fff
	v_cmp_o_f16_e32 vcc, v2, v2
	v_mov_b32_e32 v5, 0x7fc0
	v_bfe_u32 v6, v3, 16, 1
	v_add3_u32 v3, v3, v6, s0
	v_cndmask_b32_sdwa v3, v5, v3, vcc dst_sel:DWORD dst_unused:UNUSED_PAD src0_sel:DWORD src1_sel:WORD_1
	global_store_dword v[0:1], v3, off
	s_mov_b64 s[14:15], -1
	s_mov_b64 s[0:1], 0
	s_branch .LBB336_34
.LBB336_18:
	s_mov_b64 s[0:1], 0
                                        ; implicit-def: $vgpr2
	s_cbranch_execnz .LBB336_168
	s_branch .LBB336_202
.LBB336_19:
	s_mov_b64 s[0:1], 0
	s_mov_b64 s[14:15], 0
	s_cbranch_execnz .LBB336_103
.LBB336_20:
	s_andn2_b64 vcc, exec, s[14:15]
	s_cbranch_vccnz .LBB336_141
.LBB336_21:
	v_add_u32_e32 v4, 0x80, v4
	s_mov_b64 s[20:21], -1
	s_branch .LBB336_251
.LBB336_22:
	s_mov_b64 s[14:15], -1
	s_mov_b64 s[0:1], 0
                                        ; implicit-def: $vgpr2
	s_branch .LBB336_149
.LBB336_23:
	s_mov_b64 s[20:21], -1
	s_mov_b64 s[0:1], 0
	s_mov_b64 s[14:15], 0
	s_branch .LBB336_61
.LBB336_24:
	s_mov_b64 s[14:15], -1
	s_mov_b64 s[0:1], 0
                                        ; implicit-def: $vgpr2
	s_branch .LBB336_144
.LBB336_25:
	s_mov_b64 s[20:21], -1
	s_mov_b64 s[0:1], 0
	s_mov_b64 s[14:15], 0
	s_branch .LBB336_44
.LBB336_26:
	s_mov_b64 s[14:15], -1
	s_branch .LBB336_29
.LBB336_27:
	s_mov_b64 s[20:21], -1
	s_mov_b64 s[0:1], 0
	s_mov_b64 s[14:15], 0
	s_branch .LBB336_40
.LBB336_28:
	s_mov_b64 s[16:17], -1
.LBB336_29:
	s_mov_b64 s[0:1], 0
                                        ; implicit-def: $vgpr2
.LBB336_30:
	s_and_b64 vcc, exec, s[14:15]
	s_cbranch_vccz .LBB336_143
; %bb.31:
	s_cmp_eq_u32 s24, 44
	s_cbranch_scc0 .LBB336_142
; %bb.32:
	global_load_ubyte v2, v[0:1], off
	s_movk_i32 s14, 0xff
	v_mov_b32_e32 v5, 0x7e00
	s_mov_b64 s[0:1], -1
	s_mov_b64 s[16:17], 0
	s_waitcnt vmcnt(0)
	v_lshlrev_b32_e32 v3, 23, v2
	v_cvt_f16_f32_e32 v3, v3
	v_cmp_ne_u32_e32 vcc, s14, v2
	s_nop 1
	v_cndmask_b32_e32 v3, v5, v3, vcc
	v_cmp_ne_u32_e32 vcc, 0, v2
	s_nop 1
	v_cndmask_b32_e32 v2, 0, v3, vcc
	s_branch .LBB336_143
.LBB336_33:
	s_mov_b64 s[20:21], -1
	s_mov_b64 s[0:1], 0
	s_mov_b64 s[14:15], 0
.LBB336_34:
	s_and_b64 vcc, exec, s[20:21]
	s_cbranch_vccz .LBB336_39
; %bb.35:
	s_cmp_eq_u32 s27, 44
	s_mov_b64 s[0:1], -1
	s_cbranch_scc0 .LBB336_39
; %bb.36:
	v_cvt_f32_f16_e32 v3, v2
	s_movk_i32 s0, 0xff
	v_mov_b32_e32 v6, 0xff
	v_bfe_u32 v5, v3, 23, 8
	v_cmp_ne_u32_e32 vcc, s0, v5
	s_and_saveexec_b64 s[14:15], vcc
; %bb.37:
	s_mov_b32 s0, 0x3fffff
	v_lshrrev_b32_e32 v6, 23, v3
	v_and_b32_e32 v7, 0x400000, v3
	v_and_or_b32 v3, v3, s0, v5
	v_cmp_ne_u32_e32 vcc, 0, v7
	v_cmp_ne_u32_e64 s[0:1], 0, v3
	s_and_b64 s[0:1], vcc, s[0:1]
	s_nop 0
	v_cndmask_b32_e64 v3, 0, 1, s[0:1]
	v_add_u32_e32 v6, v6, v3
; %bb.38:
	s_or_b64 exec, exec, s[14:15]
	s_mov_b64 s[14:15], -1
	s_mov_b64 s[0:1], 0
	global_store_byte v[0:1], v6, off
.LBB336_39:
	s_mov_b64 s[20:21], 0
.LBB336_40:
	s_and_b64 vcc, exec, s[20:21]
	s_cbranch_vccz .LBB336_43
; %bb.41:
	s_cmp_eq_u32 s27, 29
	s_mov_b64 s[0:1], -1
	s_cbranch_scc0 .LBB336_43
; %bb.42:
	v_cvt_f32_f16_e32 v3, v2
	v_mov_b32_e32 v7, 0
	s_mov_b64 s[14:15], -1
	s_mov_b64 s[0:1], 0
	v_cvt_u32_f32_e32 v6, v3
	s_mov_b64 s[20:21], 0
	global_store_dwordx2 v[0:1], v[6:7], off
	s_branch .LBB336_44
.LBB336_43:
	s_mov_b64 s[20:21], 0
.LBB336_44:
	s_and_b64 vcc, exec, s[20:21]
	s_cbranch_vccz .LBB336_60
; %bb.45:
	s_cmp_lt_i32 s27, 27
	s_mov_b64 s[14:15], -1
	s_cbranch_scc1 .LBB336_51
; %bb.46:
	s_cmp_gt_i32 s27, 27
	s_cbranch_scc0 .LBB336_48
; %bb.47:
	v_cvt_f32_f16_e32 v3, v2
	s_mov_b64 s[14:15], 0
	v_cvt_u32_f32_e32 v3, v3
	global_store_dword v[0:1], v3, off
.LBB336_48:
	s_andn2_b64 vcc, exec, s[14:15]
	s_cbranch_vccnz .LBB336_50
; %bb.49:
	v_cvt_u16_f16_e32 v3, v2
	global_store_short v[0:1], v3, off
.LBB336_50:
	s_mov_b64 s[14:15], 0
.LBB336_51:
	s_andn2_b64 vcc, exec, s[14:15]
	s_cbranch_vccnz .LBB336_59
; %bb.52:
	v_cvt_f32_f16_e32 v3, v2
	s_mov_b32 s14, 0x43800000
	v_mov_b32_e32 v6, 0x80
	v_and_b32_e32 v5, 0x7fffffff, v3
	v_cmp_gt_u32_e32 vcc, s14, v5
	s_and_saveexec_b64 s[14:15], vcc
	s_cbranch_execz .LBB336_58
; %bb.53:
	s_mov_b32 s20, 0x3bffffff
	v_cmp_lt_u32_e32 vcc, s20, v5
	s_mov_b64 s[20:21], 0
                                        ; implicit-def: $vgpr5
	s_and_saveexec_b64 s[24:25], vcc
	s_xor_b64 s[24:25], exec, s[24:25]
	s_cbranch_execz .LBB336_279
; %bb.54:
	v_bfe_u32 v5, v3, 20, 1
	s_mov_b32 s28, 0x487ffff
	v_add3_u32 v5, v3, v5, s28
	s_mov_b64 s[20:21], exec
	v_lshrrev_b32_e32 v5, 20, v5
	s_andn2_saveexec_b64 s[24:25], s[24:25]
	s_cbranch_execnz .LBB336_280
.LBB336_55:
	s_or_b64 exec, exec, s[24:25]
	v_mov_b32_e32 v6, 0
	s_and_saveexec_b64 s[24:25], s[20:21]
.LBB336_56:
	v_lshrrev_b32_e32 v3, 24, v3
	s_movk_i32 s20, 0x80
	v_and_or_b32 v6, v3, s20, v5
.LBB336_57:
	s_or_b64 exec, exec, s[24:25]
.LBB336_58:
	s_or_b64 exec, exec, s[14:15]
	global_store_byte v[0:1], v6, off
.LBB336_59:
	s_mov_b64 s[14:15], -1
.LBB336_60:
	s_mov_b64 s[20:21], 0
.LBB336_61:
	s_and_b64 vcc, exec, s[20:21]
	s_cbranch_vccz .LBB336_102
; %bb.62:
	s_cmp_gt_i32 s27, 22
	s_mov_b64 s[20:21], -1
	s_cbranch_scc0 .LBB336_94
; %bb.63:
	s_cmp_lt_i32 s27, 24
	s_mov_b64 s[14:15], -1
	s_cbranch_scc1 .LBB336_83
; %bb.64:
	s_cmp_gt_i32 s27, 24
	s_cbranch_scc0 .LBB336_72
; %bb.65:
	v_cvt_f32_f16_e32 v3, v2
	s_mov_b32 s14, 0x47800000
	v_mov_b32_e32 v6, 0x80
	v_and_b32_e32 v5, 0x7fffffff, v3
	v_cmp_gt_u32_e32 vcc, s14, v5
	s_and_saveexec_b64 s[14:15], vcc
	s_cbranch_execz .LBB336_71
; %bb.66:
	s_mov_b32 s20, 0x37ffffff
	v_cmp_lt_u32_e32 vcc, s20, v5
	s_mov_b64 s[20:21], 0
                                        ; implicit-def: $vgpr5
	s_and_saveexec_b64 s[24:25], vcc
	s_xor_b64 s[24:25], exec, s[24:25]
	s_cbranch_execz .LBB336_283
; %bb.67:
	v_bfe_u32 v5, v3, 21, 1
	s_mov_b32 s28, 0x88fffff
	v_add3_u32 v5, v3, v5, s28
	s_mov_b64 s[20:21], exec
	v_lshrrev_b32_e32 v5, 21, v5
	s_andn2_saveexec_b64 s[24:25], s[24:25]
	s_cbranch_execnz .LBB336_284
.LBB336_68:
	s_or_b64 exec, exec, s[24:25]
	v_mov_b32_e32 v6, 0
	s_and_saveexec_b64 s[24:25], s[20:21]
.LBB336_69:
	v_lshrrev_b32_e32 v3, 24, v3
	s_movk_i32 s20, 0x80
	v_and_or_b32 v6, v3, s20, v5
.LBB336_70:
	s_or_b64 exec, exec, s[24:25]
.LBB336_71:
	s_or_b64 exec, exec, s[14:15]
	s_mov_b64 s[14:15], 0
	global_store_byte v[0:1], v6, off
.LBB336_72:
	s_and_b64 vcc, exec, s[14:15]
	s_cbranch_vccz .LBB336_82
; %bb.73:
	v_cvt_f32_f16_e32 v3, v2
	s_mov_b32 s14, 0x43f00000
                                        ; implicit-def: $vgpr5
	v_and_b32_e32 v6, 0x7fffffff, v3
	v_cmp_gt_u32_e32 vcc, s14, v6
	s_and_saveexec_b64 s[14:15], vcc
	s_xor_b64 s[14:15], exec, s[14:15]
	s_cbranch_execz .LBB336_79
; %bb.74:
	s_mov_b32 s20, 0x3c7fffff
	v_cmp_lt_u32_e32 vcc, s20, v6
                                        ; implicit-def: $vgpr5
	s_and_saveexec_b64 s[20:21], vcc
	s_xor_b64 s[20:21], exec, s[20:21]
; %bb.75:
	v_bfe_u32 v5, v3, 20, 1
	s_mov_b32 s24, 0x407ffff
	v_add3_u32 v5, v3, v5, s24
	v_lshrrev_b32_e32 v6, 20, v5
	v_and_b32_e32 v5, 0xff00000, v5
	s_mov_b32 s24, 0x7f00000
	v_mov_b32_e32 v7, 0x7e
	v_cmp_ne_u32_e32 vcc, s24, v5
	s_nop 1
	v_cndmask_b32_e32 v5, v7, v6, vcc
; %bb.76:
	s_andn2_saveexec_b64 s[20:21], s[20:21]
; %bb.77:
	s_mov_b32 s24, 0x46800000
	v_add_f32_e64 v5, |v3|, s24
; %bb.78:
	s_or_b64 exec, exec, s[20:21]
                                        ; implicit-def: $vgpr6
.LBB336_79:
	s_andn2_saveexec_b64 s[14:15], s[14:15]
; %bb.80:
	s_mov_b32 s20, 0x7f800000
	v_mov_b32_e32 v5, 0x7e
	v_mov_b32_e32 v7, 0x7f
	v_cmp_lt_u32_e32 vcc, s20, v6
	s_nop 1
	v_cndmask_b32_e32 v5, v5, v7, vcc
; %bb.81:
	s_or_b64 exec, exec, s[14:15]
	v_lshrrev_b32_e32 v3, 24, v3
	s_movk_i32 s14, 0x80
	v_and_or_b32 v3, v3, s14, v5
	global_store_byte v[0:1], v3, off
.LBB336_82:
	s_mov_b64 s[14:15], 0
.LBB336_83:
	s_andn2_b64 vcc, exec, s[14:15]
	s_cbranch_vccnz .LBB336_93
; %bb.84:
	v_cvt_f32_f16_e32 v3, v2
	s_mov_b32 s14, 0x47800000
                                        ; implicit-def: $vgpr5
	v_and_b32_e32 v6, 0x7fffffff, v3
	v_cmp_gt_u32_e32 vcc, s14, v6
	s_and_saveexec_b64 s[14:15], vcc
	s_xor_b64 s[14:15], exec, s[14:15]
	s_cbranch_execz .LBB336_90
; %bb.85:
	s_mov_b32 s20, 0x387fffff
	v_cmp_lt_u32_e32 vcc, s20, v6
                                        ; implicit-def: $vgpr5
	s_and_saveexec_b64 s[20:21], vcc
	s_xor_b64 s[20:21], exec, s[20:21]
; %bb.86:
	v_bfe_u32 v5, v3, 21, 1
	s_mov_b32 s24, 0x80fffff
	v_add3_u32 v5, v3, v5, s24
	v_lshrrev_b32_e32 v5, 21, v5
; %bb.87:
	s_andn2_saveexec_b64 s[20:21], s[20:21]
; %bb.88:
	s_mov_b32 s24, 0x43000000
	v_add_f32_e64 v5, |v3|, s24
; %bb.89:
	s_or_b64 exec, exec, s[20:21]
                                        ; implicit-def: $vgpr6
.LBB336_90:
	s_andn2_saveexec_b64 s[14:15], s[14:15]
; %bb.91:
	s_mov_b32 s20, 0x7f800000
	v_mov_b32_e32 v5, 0x7c
	v_mov_b32_e32 v7, 0x7f
	v_cmp_lt_u32_e32 vcc, s20, v6
	s_nop 1
	v_cndmask_b32_e32 v5, v5, v7, vcc
; %bb.92:
	s_or_b64 exec, exec, s[14:15]
	v_lshrrev_b32_e32 v3, 24, v3
	s_movk_i32 s14, 0x80
	v_and_or_b32 v3, v3, s14, v5
	global_store_byte v[0:1], v3, off
.LBB336_93:
	s_mov_b64 s[20:21], 0
	s_mov_b64 s[14:15], -1
.LBB336_94:
	s_andn2_b64 vcc, exec, s[20:21]
	s_cbranch_vccnz .LBB336_102
; %bb.95:
	s_cmp_gt_i32 s27, 14
	s_mov_b64 s[20:21], -1
	s_cbranch_scc0 .LBB336_99
; %bb.96:
	s_cmp_eq_u32 s27, 15
	s_mov_b64 s[0:1], -1
	s_cbranch_scc0 .LBB336_98
; %bb.97:
	v_cvt_f32_f16_e32 v3, v2
	s_movk_i32 s0, 0x7fff
	v_cmp_o_f16_e32 vcc, v2, v2
	v_mov_b32_e32 v5, 0x7fc0
	v_bfe_u32 v6, v3, 16, 1
	v_add3_u32 v3, v3, v6, s0
	v_cndmask_b32_sdwa v3, v5, v3, vcc dst_sel:DWORD dst_unused:UNUSED_PAD src0_sel:DWORD src1_sel:WORD_1
	global_store_short v[0:1], v3, off
	s_mov_b64 s[14:15], -1
	s_mov_b64 s[0:1], 0
.LBB336_98:
	s_mov_b64 s[20:21], 0
.LBB336_99:
	s_and_b64 vcc, exec, s[20:21]
	s_cbranch_vccz .LBB336_102
; %bb.100:
	s_cmp_eq_u32 s27, 11
	s_mov_b64 s[0:1], -1
	s_cbranch_scc0 .LBB336_102
; %bb.101:
	v_and_b32_e32 v3, 0x7fff, v2
	v_cmp_ne_u16_e32 vcc, 0, v3
	s_mov_b64 s[14:15], -1
	s_mov_b64 s[0:1], 0
	v_cndmask_b32_e64 v3, 0, 1, vcc
	global_store_byte v[0:1], v3, off
.LBB336_102:
	s_branch .LBB336_20
.LBB336_103:
	s_and_b32 s20, 0xffff, s26
	s_cmp_lt_i32 s20, 5
	s_mov_b64 s[14:15], -1
	s_cbranch_scc1 .LBB336_124
; %bb.104:
	s_cmp_lt_i32 s20, 8
	s_cbranch_scc1 .LBB336_114
; %bb.105:
	s_cmp_lt_i32 s20, 9
	s_cbranch_scc1 .LBB336_111
; %bb.106:
	s_cmp_gt_i32 s20, 9
	s_cbranch_scc0 .LBB336_108
; %bb.107:
	v_cvt_f32_f16_e32 v3, v2
	v_mov_b32_e32 v8, 0
	v_mov_b32_e32 v9, v8
	s_mov_b64 s[14:15], 0
	v_cvt_f64_f32_e32 v[6:7], v3
	global_store_dwordx4 v[0:1], v[6:9], off
.LBB336_108:
	s_andn2_b64 vcc, exec, s[14:15]
	s_cbranch_vccnz .LBB336_110
; %bb.109:
	v_cvt_f32_f16_e32 v6, v2
	v_mov_b32_e32 v7, 0
	global_store_dwordx2 v[0:1], v[6:7], off
.LBB336_110:
	s_mov_b64 s[14:15], 0
.LBB336_111:
	s_andn2_b64 vcc, exec, s[14:15]
	s_cbranch_vccnz .LBB336_113
; %bb.112:
	v_and_b32_e32 v3, 0xffff, v2
	global_store_dword v[0:1], v3, off
.LBB336_113:
	s_mov_b64 s[14:15], 0
.LBB336_114:
	s_andn2_b64 vcc, exec, s[14:15]
	s_cbranch_vccnz .LBB336_123
; %bb.115:
	s_cmp_lt_i32 s20, 6
	s_mov_b64 s[14:15], -1
	s_cbranch_scc1 .LBB336_121
; %bb.116:
	s_cmp_gt_i32 s20, 6
	s_cbranch_scc0 .LBB336_118
; %bb.117:
	v_cvt_f32_f16_e32 v3, v2
	s_mov_b64 s[14:15], 0
	v_cvt_f64_f32_e32 v[6:7], v3
	global_store_dwordx2 v[0:1], v[6:7], off
.LBB336_118:
	s_andn2_b64 vcc, exec, s[14:15]
	s_cbranch_vccnz .LBB336_120
; %bb.119:
	v_cvt_f32_f16_e32 v3, v2
	global_store_dword v[0:1], v3, off
.LBB336_120:
	s_mov_b64 s[14:15], 0
.LBB336_121:
	s_andn2_b64 vcc, exec, s[14:15]
	s_cbranch_vccnz .LBB336_123
; %bb.122:
	global_store_short v[0:1], v2, off
.LBB336_123:
	s_mov_b64 s[14:15], 0
.LBB336_124:
	s_andn2_b64 vcc, exec, s[14:15]
	s_cbranch_vccnz .LBB336_140
; %bb.125:
	s_cmp_lt_i32 s20, 2
	s_mov_b64 s[14:15], -1
	s_cbranch_scc1 .LBB336_135
; %bb.126:
	s_cmp_lt_i32 s20, 3
	s_cbranch_scc1 .LBB336_132
; %bb.127:
	s_cmp_gt_i32 s20, 3
	s_cbranch_scc0 .LBB336_129
; %bb.128:
	v_cvt_f32_f16_e32 v3, v2
	s_mov_b64 s[14:15], 0
	v_cvt_i32_f32_e32 v6, v3
	v_ashrrev_i32_e32 v7, 31, v6
	global_store_dwordx2 v[0:1], v[6:7], off
.LBB336_129:
	s_andn2_b64 vcc, exec, s[14:15]
	s_cbranch_vccnz .LBB336_131
; %bb.130:
	v_cvt_f32_f16_e32 v3, v2
	v_cvt_i32_f32_e32 v3, v3
	global_store_dword v[0:1], v3, off
.LBB336_131:
	s_mov_b64 s[14:15], 0
.LBB336_132:
	s_andn2_b64 vcc, exec, s[14:15]
	s_cbranch_vccnz .LBB336_134
; %bb.133:
	v_cvt_i16_f16_e32 v3, v2
	global_store_short v[0:1], v3, off
.LBB336_134:
	s_mov_b64 s[14:15], 0
.LBB336_135:
	s_andn2_b64 vcc, exec, s[14:15]
	s_cbranch_vccnz .LBB336_140
; %bb.136:
	s_cmp_gt_i32 s20, 0
	s_mov_b64 s[14:15], -1
	s_cbranch_scc0 .LBB336_138
; %bb.137:
	v_cvt_i16_f16_e32 v3, v2
	global_store_byte v[0:1], v3, off
	s_mov_b64 s[14:15], 0
.LBB336_138:
	s_andn2_b64 vcc, exec, s[14:15]
	s_cbranch_vccnz .LBB336_140
; %bb.139:
	v_cvt_f32_f16_e32 v2, v2
	v_cvt_i32_f32_e32 v2, v2
	global_store_byte v[0:1], v2, off
.LBB336_140:
	s_branch .LBB336_21
.LBB336_141:
	s_mov_b64 s[20:21], 0
                                        ; implicit-def: $vgpr4
	s_branch .LBB336_251
.LBB336_142:
	s_mov_b64 s[16:17], -1
                                        ; implicit-def: $vgpr2
.LBB336_143:
	s_mov_b64 s[14:15], 0
.LBB336_144:
	s_and_b64 vcc, exec, s[14:15]
	s_cbranch_vccz .LBB336_148
; %bb.145:
	s_cmp_eq_u32 s24, 29
	s_cbranch_scc0 .LBB336_147
; %bb.146:
	global_load_dwordx2 v[2:3], v[0:1], off
	s_mov_b64 s[0:1], -1
	s_mov_b64 s[16:17], 0
	s_mov_b64 s[14:15], 0
	s_waitcnt vmcnt(0)
	v_ffbh_u32_e32 v5, v3
	v_min_u32_e32 v5, 32, v5
	v_lshlrev_b64 v[2:3], v5, v[2:3]
	v_min_u32_e32 v2, 1, v2
	v_or_b32_e32 v2, v3, v2
	v_cvt_f32_u32_e32 v2, v2
	v_sub_u32_e32 v3, 32, v5
	v_ldexp_f32 v2, v2, v3
	v_cvt_f16_f32_e32 v2, v2
	s_branch .LBB336_149
.LBB336_147:
	s_mov_b64 s[16:17], -1
                                        ; implicit-def: $vgpr2
.LBB336_148:
	s_mov_b64 s[14:15], 0
.LBB336_149:
	s_and_b64 vcc, exec, s[14:15]
	s_cbranch_vccz .LBB336_167
; %bb.150:
	s_cmp_lt_i32 s24, 27
	s_cbranch_scc1 .LBB336_153
; %bb.151:
	s_cmp_gt_i32 s24, 27
	s_cbranch_scc0 .LBB336_154
; %bb.152:
	global_load_dword v2, v[0:1], off
	s_mov_b64 s[0:1], 0
	s_waitcnt vmcnt(0)
	v_cvt_f32_u32_e32 v2, v2
	v_cvt_f16_f32_e32 v2, v2
	s_branch .LBB336_155
.LBB336_153:
	s_mov_b64 s[0:1], -1
                                        ; implicit-def: $vgpr2
	s_branch .LBB336_158
.LBB336_154:
	s_mov_b64 s[0:1], -1
                                        ; implicit-def: $vgpr2
.LBB336_155:
	s_andn2_b64 vcc, exec, s[0:1]
	s_cbranch_vccnz .LBB336_157
; %bb.156:
	global_load_ushort v2, v[0:1], off
	s_waitcnt vmcnt(0)
	v_cvt_f16_u16_e32 v2, v2
.LBB336_157:
	s_mov_b64 s[0:1], 0
.LBB336_158:
	s_andn2_b64 vcc, exec, s[0:1]
	s_cbranch_vccnz .LBB336_166
; %bb.159:
	global_load_ubyte v3, v[0:1], off
	s_movk_i32 s0, 0x7f
	s_waitcnt vmcnt(0)
	v_cmp_lt_i16_e32 vcc, s0, v3
	s_mov_b64 s[0:1], 0
	s_and_saveexec_b64 s[14:15], vcc
	s_xor_b64 s[14:15], exec, s[14:15]
	s_cbranch_execz .LBB336_179
; %bb.160:
	s_movk_i32 s0, 0x80
	v_cmp_eq_u16_e32 vcc, s0, v3
	s_mov_b64 s[0:1], -1
	s_and_saveexec_b64 s[20:21], vcc
; %bb.161:
	s_xor_b64 s[0:1], exec, -1
; %bb.162:
	s_or_b64 exec, exec, s[20:21]
	s_and_b64 s[0:1], s[0:1], exec
	s_or_saveexec_b64 s[14:15], s[14:15]
	v_mov_b32_e32 v2, 0x7e00
	s_xor_b64 exec, exec, s[14:15]
	s_cbranch_execnz .LBB336_180
.LBB336_163:
	s_or_b64 exec, exec, s[14:15]
	s_and_saveexec_b64 s[14:15], s[0:1]
	s_cbranch_execz .LBB336_165
.LBB336_164:
	v_lshlrev_b32_e32 v2, 24, v3
	v_and_b32_e32 v3, 0xffff, v3
	v_and_b32_e32 v5, 7, v3
	v_ffbh_u32_e32 v7, v5
	v_min_u32_e32 v7, 32, v7
	v_subrev_u32_e32 v8, 28, v7
	v_bfe_u32 v6, v3, 3, 4
	v_lshlrev_b32_e32 v3, v8, v3
	v_sub_u32_e32 v7, 29, v7
	v_and_b32_e32 v3, 7, v3
	v_cmp_eq_u32_e32 vcc, 0, v6
	v_and_b32_e32 v2, 0x80000000, v2
	s_nop 0
	v_cndmask_b32_e32 v6, v6, v7, vcc
	v_cndmask_b32_e32 v3, v5, v3, vcc
	v_mov_b32_e32 v5, 0x3b800000
	v_lshlrev_b32_e32 v3, 20, v3
	v_lshl_add_u32 v5, v6, 23, v5
	v_or3_b32 v2, v2, v5, v3
	v_cvt_f16_f32_e32 v2, v2
.LBB336_165:
	s_or_b64 exec, exec, s[14:15]
.LBB336_166:
	s_mov_b64 s[0:1], -1
.LBB336_167:
	s_branch .LBB336_202
.LBB336_168:
	s_cmp_gt_i32 s24, 22
	s_cbranch_scc0 .LBB336_178
; %bb.169:
	s_cmp_lt_i32 s24, 24
	s_cbranch_scc1 .LBB336_181
; %bb.170:
	s_cmp_gt_i32 s24, 24
	s_cbranch_scc0 .LBB336_182
; %bb.171:
	global_load_ubyte v3, v[0:1], off
	s_movk_i32 s0, 0x7f
	s_waitcnt vmcnt(0)
	v_cmp_lt_i16_e32 vcc, s0, v3
	s_mov_b64 s[0:1], 0
	s_and_saveexec_b64 s[14:15], vcc
	s_xor_b64 s[14:15], exec, s[14:15]
	s_cbranch_execz .LBB336_194
; %bb.172:
	s_movk_i32 s0, 0x80
	v_cmp_eq_u16_e32 vcc, s0, v3
	s_mov_b64 s[0:1], -1
	s_and_saveexec_b64 s[20:21], vcc
; %bb.173:
	s_xor_b64 s[0:1], exec, -1
; %bb.174:
	s_or_b64 exec, exec, s[20:21]
	s_and_b64 s[0:1], s[0:1], exec
	s_or_saveexec_b64 s[14:15], s[14:15]
	v_mov_b32_e32 v2, 0x7e00
	s_xor_b64 exec, exec, s[14:15]
	s_cbranch_execnz .LBB336_195
.LBB336_175:
	s_or_b64 exec, exec, s[14:15]
	s_and_saveexec_b64 s[14:15], s[0:1]
	s_cbranch_execz .LBB336_177
.LBB336_176:
	v_lshlrev_b32_e32 v2, 24, v3
	v_and_b32_e32 v3, 0xffff, v3
	v_and_b32_e32 v5, 3, v3
	v_ffbh_u32_e32 v7, v5
	v_min_u32_e32 v7, 32, v7
	v_subrev_u32_e32 v8, 29, v7
	v_bfe_u32 v6, v3, 2, 5
	v_lshlrev_b32_e32 v3, v8, v3
	v_sub_u32_e32 v7, 30, v7
	v_and_b32_e32 v3, 3, v3
	v_cmp_eq_u32_e32 vcc, 0, v6
	v_and_b32_e32 v2, 0x80000000, v2
	s_nop 0
	v_cndmask_b32_e32 v6, v6, v7, vcc
	v_cndmask_b32_e32 v3, v5, v3, vcc
	v_mov_b32_e32 v5, 0x37800000
	v_lshlrev_b32_e32 v3, 21, v3
	v_lshl_add_u32 v5, v6, 23, v5
	v_or3_b32 v2, v2, v5, v3
	v_cvt_f16_f32_e32 v2, v2
.LBB336_177:
	s_or_b64 exec, exec, s[14:15]
	s_mov_b64 s[0:1], 0
	s_branch .LBB336_183
.LBB336_178:
	s_mov_b64 s[14:15], -1
                                        ; implicit-def: $vgpr2
	s_branch .LBB336_189
.LBB336_179:
	s_or_saveexec_b64 s[14:15], s[14:15]
	v_mov_b32_e32 v2, 0x7e00
	s_xor_b64 exec, exec, s[14:15]
	s_cbranch_execz .LBB336_163
.LBB336_180:
	v_cmp_ne_u16_e32 vcc, 0, v3
	s_andn2_b64 s[0:1], s[0:1], exec
	s_and_b64 s[20:21], vcc, exec
	s_or_b64 s[0:1], s[0:1], s[20:21]
	v_mov_b32_e32 v2, v3
	s_or_b64 exec, exec, s[14:15]
	s_and_saveexec_b64 s[14:15], s[0:1]
	s_cbranch_execnz .LBB336_164
	s_branch .LBB336_165
.LBB336_181:
	s_mov_b64 s[0:1], -1
                                        ; implicit-def: $vgpr2
	s_branch .LBB336_186
.LBB336_182:
	s_mov_b64 s[0:1], -1
                                        ; implicit-def: $vgpr2
.LBB336_183:
	s_and_b64 vcc, exec, s[0:1]
	s_cbranch_vccz .LBB336_185
; %bb.184:
	global_load_ubyte v2, v[0:1], off
	s_mov_b32 s0, 0x7f800000
	s_waitcnt vmcnt(0)
	v_lshlrev_b32_e32 v2, 24, v2
	v_and_b32_e32 v3, 0x7f000000, v2
	v_ffbh_u32_e32 v5, v3
	v_min_u32_e32 v5, 32, v5
	v_sub_u32_e64 v5, v5, 4 clamp
	v_lshlrev_b32_e32 v7, v5, v3
	v_lshlrev_b32_e32 v5, 23, v5
	v_lshrrev_b32_e32 v7, 4, v7
	v_add_u32_e32 v6, 0x1000000, v3
	v_sub_u32_e32 v5, v7, v5
	v_ashrrev_i32_e32 v6, 8, v6
	v_add_u32_e32 v5, 0x3c000000, v5
	v_and_or_b32 v5, v6, s0, v5
	v_cmp_ne_u32_e32 vcc, 0, v3
	s_brev_b32 s0, 1
	s_nop 0
	v_cndmask_b32_e32 v3, 0, v5, vcc
	v_and_or_b32 v2, v2, s0, v3
	v_cvt_f16_f32_e32 v2, v2
.LBB336_185:
	s_mov_b64 s[0:1], 0
.LBB336_186:
	s_andn2_b64 vcc, exec, s[0:1]
	s_cbranch_vccnz .LBB336_188
; %bb.187:
	global_load_ubyte v2, v[0:1], off
	s_movk_i32 s0, 0x7f00
	s_brev_b32 s1, 16
	s_waitcnt vmcnt(0)
	v_lshlrev_b16_e32 v3, 8, v2
	v_lshlrev_b32_e32 v2, 25, v2
	v_lshrrev_b32_e32 v5, 4, v2
	v_and_or_b32 v6, v3, s0, 0.5
	v_or_b32_e32 v5, 0x70000000, v5
	v_add_f32_e32 v6, -0.5, v6
	v_mul_f32_e32 v5, 0x7800000, v5
	v_cmp_gt_u32_e32 vcc, s1, v2
	v_bfe_i32 v3, v3, 0, 16
	s_brev_b32 s0, 1
	v_cndmask_b32_e32 v2, v5, v6, vcc
	v_and_or_b32 v2, v3, s0, v2
	v_cvt_f16_f32_e32 v2, v2
.LBB336_188:
	s_mov_b64 s[14:15], 0
	s_mov_b64 s[0:1], -1
.LBB336_189:
	s_andn2_b64 vcc, exec, s[14:15]
	s_cbranch_vccnz .LBB336_202
; %bb.190:
	s_cmp_gt_i32 s24, 14
	s_cbranch_scc0 .LBB336_193
; %bb.191:
	s_cmp_eq_u32 s24, 15
	s_cbranch_scc0 .LBB336_196
; %bb.192:
	global_load_ushort v2, v[0:1], off
	s_mov_b64 s[0:1], -1
	s_mov_b64 s[16:17], 0
	s_waitcnt vmcnt(0)
	v_lshlrev_b32_e32 v2, 16, v2
	v_cvt_f16_f32_e32 v2, v2
	s_branch .LBB336_197
.LBB336_193:
	s_mov_b64 s[14:15], -1
                                        ; implicit-def: $vgpr2
	s_branch .LBB336_198
.LBB336_194:
	s_or_saveexec_b64 s[14:15], s[14:15]
	v_mov_b32_e32 v2, 0x7e00
	s_xor_b64 exec, exec, s[14:15]
	s_cbranch_execz .LBB336_175
.LBB336_195:
	v_cmp_ne_u16_e32 vcc, 0, v3
	s_andn2_b64 s[0:1], s[0:1], exec
	s_and_b64 s[20:21], vcc, exec
	s_or_b64 s[0:1], s[0:1], s[20:21]
	v_mov_b32_e32 v2, v3
	s_or_b64 exec, exec, s[14:15]
	s_and_saveexec_b64 s[14:15], s[0:1]
	s_cbranch_execnz .LBB336_176
	s_branch .LBB336_177
.LBB336_196:
	s_mov_b64 s[16:17], -1
                                        ; implicit-def: $vgpr2
.LBB336_197:
	s_mov_b64 s[14:15], 0
.LBB336_198:
	s_and_b64 vcc, exec, s[14:15]
	s_cbranch_vccz .LBB336_202
; %bb.199:
	s_cmp_eq_u32 s24, 11
	s_cbranch_scc0 .LBB336_201
; %bb.200:
	global_load_ubyte v2, v[0:1], off
	v_mov_b32_e32 v3, 0x3c00
	s_mov_b64 s[0:1], -1
	s_mov_b64 s[16:17], 0
	s_waitcnt vmcnt(0)
	v_cmp_ne_u16_e32 vcc, 0, v2
	s_nop 1
	v_cndmask_b32_e32 v2, 0, v3, vcc
	s_branch .LBB336_202
.LBB336_201:
	s_mov_b64 s[16:17], -1
                                        ; implicit-def: $vgpr2
.LBB336_202:
	s_branch .LBB336_10
.LBB336_203:
	s_cmp_lt_i32 s24, 5
	s_cbranch_scc1 .LBB336_208
; %bb.204:
	s_cmp_lt_i32 s24, 8
	s_cbranch_scc1 .LBB336_209
; %bb.205:
	;; [unrolled: 3-line block ×3, first 2 shown]
	s_cmp_gt_i32 s24, 9
	s_cbranch_scc0 .LBB336_211
; %bb.207:
	global_load_dwordx2 v[2:3], v[0:1], off
	s_movk_i32 s0, 0x1ff
	s_movk_i32 s1, 0xffe
	v_mov_b32_e32 v5, 0x7c00
	v_mov_b32_e32 v6, 0x7e00
	s_movk_i32 s14, 0x40f
	s_mov_b32 s15, 0x8000
	s_waitcnt vmcnt(0)
	v_and_or_b32 v2, v3, s0, v2
	v_cmp_ne_u32_e32 vcc, 0, v2
	v_lshrrev_b32_e32 v7, 8, v3
	v_bfe_u32 v8, v3, 20, 11
	v_cndmask_b32_e64 v2, 0, 1, vcc
	v_sub_u32_e32 v9, 0x3f1, v8
	v_and_or_b32 v2, v7, s1, v2
	v_add_u32_e32 v8, 0xfffffc10, v8
	v_med3_i32 v7, v9, 0, 13
	v_or_b32_e32 v9, 0x1000, v2
	v_cmp_ne_u32_e32 vcc, 0, v2
	v_lshl_or_b32 v10, v8, 12, v2
	v_lshrrev_b32_e32 v3, 16, v3
	v_cndmask_b32_e32 v2, v5, v6, vcc
	v_lshrrev_b32_e32 v6, v7, v9
	v_lshlrev_b32_e32 v7, v7, v6
	v_cmp_ne_u32_e32 vcc, v7, v9
	s_mov_b64 s[0:1], 0
	s_nop 0
	v_cndmask_b32_e64 v7, 0, 1, vcc
	v_or_b32_e32 v6, v6, v7
	v_cmp_gt_i32_e32 vcc, 1, v8
	s_nop 1
	v_cndmask_b32_e32 v6, v10, v6, vcc
	v_and_b32_e32 v7, 7, v6
	v_cmp_lt_i32_e32 vcc, 5, v7
	v_lshrrev_b32_e32 v6, 2, v6
	s_nop 0
	v_cndmask_b32_e64 v9, 0, 1, vcc
	v_cmp_eq_u32_e32 vcc, 3, v7
	s_nop 1
	v_cndmask_b32_e64 v7, 0, 1, vcc
	v_or_b32_e32 v7, v7, v9
	v_add_u32_e32 v6, v6, v7
	v_cmp_gt_i32_e32 vcc, 31, v8
	s_nop 1
	v_cndmask_b32_e32 v5, v5, v6, vcc
	v_cmp_eq_u32_e32 vcc, s14, v8
	s_nop 1
	v_cndmask_b32_e32 v2, v5, v2, vcc
	v_and_or_b32 v2, v3, s15, v2
	s_branch .LBB336_212
.LBB336_208:
                                        ; implicit-def: $vgpr2
	s_branch .LBB336_230
.LBB336_209:
	s_mov_b64 s[0:1], -1
                                        ; implicit-def: $vgpr2
	s_branch .LBB336_218
.LBB336_210:
	s_mov_b64 s[0:1], -1
                                        ; implicit-def: $vgpr2
	s_branch .LBB336_215
.LBB336_211:
	s_mov_b64 s[0:1], -1
                                        ; implicit-def: $vgpr2
.LBB336_212:
	s_andn2_b64 vcc, exec, s[0:1]
	s_cbranch_vccnz .LBB336_214
; %bb.213:
	global_load_dword v2, v[0:1], off
	s_waitcnt vmcnt(0)
	v_cvt_f16_f32_e32 v2, v2
.LBB336_214:
	s_mov_b64 s[0:1], 0
.LBB336_215:
	s_andn2_b64 vcc, exec, s[0:1]
	s_cbranch_vccnz .LBB336_217
; %bb.216:
	global_load_dword v2, v[0:1], off
.LBB336_217:
	s_mov_b64 s[0:1], 0
.LBB336_218:
	s_andn2_b64 vcc, exec, s[0:1]
	s_cbranch_vccnz .LBB336_229
; %bb.219:
	s_cmp_lt_i32 s24, 6
	s_cbranch_scc1 .LBB336_222
; %bb.220:
	s_cmp_gt_i32 s24, 6
	s_cbranch_scc0 .LBB336_223
; %bb.221:
	global_load_dwordx2 v[2:3], v[0:1], off
	s_movk_i32 s0, 0x1ff
	s_movk_i32 s1, 0xffe
	v_mov_b32_e32 v5, 0x7c00
	v_mov_b32_e32 v6, 0x7e00
	s_movk_i32 s14, 0x40f
	s_mov_b32 s15, 0x8000
	s_waitcnt vmcnt(0)
	v_and_or_b32 v2, v3, s0, v2
	v_cmp_ne_u32_e32 vcc, 0, v2
	v_lshrrev_b32_e32 v7, 8, v3
	v_bfe_u32 v8, v3, 20, 11
	v_cndmask_b32_e64 v2, 0, 1, vcc
	v_sub_u32_e32 v9, 0x3f1, v8
	v_and_or_b32 v2, v7, s1, v2
	v_add_u32_e32 v8, 0xfffffc10, v8
	v_med3_i32 v7, v9, 0, 13
	v_or_b32_e32 v9, 0x1000, v2
	v_cmp_ne_u32_e32 vcc, 0, v2
	v_lshl_or_b32 v10, v8, 12, v2
	v_lshrrev_b32_e32 v3, 16, v3
	v_cndmask_b32_e32 v2, v5, v6, vcc
	v_lshrrev_b32_e32 v6, v7, v9
	v_lshlrev_b32_e32 v7, v7, v6
	v_cmp_ne_u32_e32 vcc, v7, v9
	s_mov_b64 s[0:1], 0
	s_nop 0
	v_cndmask_b32_e64 v7, 0, 1, vcc
	v_or_b32_e32 v6, v6, v7
	v_cmp_gt_i32_e32 vcc, 1, v8
	s_nop 1
	v_cndmask_b32_e32 v6, v10, v6, vcc
	v_and_b32_e32 v7, 7, v6
	v_cmp_lt_i32_e32 vcc, 5, v7
	v_lshrrev_b32_e32 v6, 2, v6
	s_nop 0
	v_cndmask_b32_e64 v9, 0, 1, vcc
	v_cmp_eq_u32_e32 vcc, 3, v7
	s_nop 1
	v_cndmask_b32_e64 v7, 0, 1, vcc
	v_or_b32_e32 v7, v7, v9
	v_add_u32_e32 v6, v6, v7
	v_cmp_gt_i32_e32 vcc, 31, v8
	s_nop 1
	v_cndmask_b32_e32 v5, v5, v6, vcc
	v_cmp_eq_u32_e32 vcc, s14, v8
	s_nop 1
	v_cndmask_b32_e32 v2, v5, v2, vcc
	v_and_or_b32 v2, v3, s15, v2
	s_branch .LBB336_224
.LBB336_222:
	s_mov_b64 s[0:1], -1
                                        ; implicit-def: $vgpr2
	s_branch .LBB336_227
.LBB336_223:
	s_mov_b64 s[0:1], -1
                                        ; implicit-def: $vgpr2
.LBB336_224:
	s_andn2_b64 vcc, exec, s[0:1]
	s_cbranch_vccnz .LBB336_226
; %bb.225:
	global_load_dword v2, v[0:1], off
	s_waitcnt vmcnt(0)
	v_cvt_f16_f32_e32 v2, v2
.LBB336_226:
	s_mov_b64 s[0:1], 0
.LBB336_227:
	s_andn2_b64 vcc, exec, s[0:1]
	s_cbranch_vccnz .LBB336_229
; %bb.228:
	global_load_ushort v2, v[0:1], off
.LBB336_229:
	s_cbranch_execnz .LBB336_249
.LBB336_230:
	s_cmp_lt_i32 s24, 2
	s_cbranch_scc1 .LBB336_234
; %bb.231:
	s_cmp_lt_i32 s24, 3
	s_cbranch_scc1 .LBB336_235
; %bb.232:
	s_cmp_gt_i32 s24, 3
	s_cbranch_scc0 .LBB336_236
; %bb.233:
	global_load_dwordx2 v[2:3], v[0:1], off
	s_mov_b64 s[0:1], 0
	s_waitcnt vmcnt(0)
	v_xor_b32_e32 v6, v2, v3
	v_ffbh_i32_e32 v5, v3
	v_ashrrev_i32_e32 v6, 31, v6
	v_add_u32_e32 v5, -1, v5
	v_add_u32_e32 v6, 32, v6
	v_min_u32_e32 v5, v5, v6
	v_lshlrev_b64 v[2:3], v5, v[2:3]
	v_min_u32_e32 v2, 1, v2
	v_or_b32_e32 v2, v3, v2
	v_cvt_f32_i32_e32 v2, v2
	v_sub_u32_e32 v3, 32, v5
	v_ldexp_f32 v2, v2, v3
	v_cvt_f16_f32_e32 v2, v2
	s_branch .LBB336_237
.LBB336_234:
	s_mov_b64 s[0:1], -1
                                        ; implicit-def: $vgpr2
	s_branch .LBB336_243
.LBB336_235:
	s_mov_b64 s[0:1], -1
                                        ; implicit-def: $vgpr2
	s_branch .LBB336_240
.LBB336_236:
	s_mov_b64 s[0:1], -1
                                        ; implicit-def: $vgpr2
.LBB336_237:
	s_andn2_b64 vcc, exec, s[0:1]
	s_cbranch_vccnz .LBB336_239
; %bb.238:
	global_load_dword v2, v[0:1], off
	s_waitcnt vmcnt(0)
	v_cvt_f32_i32_e32 v2, v2
	v_cvt_f16_f32_e32 v2, v2
.LBB336_239:
	s_mov_b64 s[0:1], 0
.LBB336_240:
	s_andn2_b64 vcc, exec, s[0:1]
	s_cbranch_vccnz .LBB336_242
; %bb.241:
	global_load_ushort v2, v[0:1], off
	s_waitcnt vmcnt(0)
	v_cvt_f16_i16_e32 v2, v2
.LBB336_242:
	s_mov_b64 s[0:1], 0
.LBB336_243:
	s_andn2_b64 vcc, exec, s[0:1]
	s_cbranch_vccnz .LBB336_249
; %bb.244:
	s_cmp_gt_i32 s24, 0
	s_cbranch_scc0 .LBB336_246
; %bb.245:
	global_load_sbyte v2, v[0:1], off
	s_mov_b64 s[0:1], 0
	s_waitcnt vmcnt(0)
	v_cvt_f16_i16_e32 v2, v2
	s_branch .LBB336_247
.LBB336_246:
	s_mov_b64 s[0:1], -1
                                        ; implicit-def: $vgpr2
.LBB336_247:
	s_andn2_b64 vcc, exec, s[0:1]
	s_cbranch_vccnz .LBB336_249
; %bb.248:
	global_load_ubyte v0, v[0:1], off
	s_waitcnt vmcnt(0)
	v_cvt_f16_u16_e32 v2, v0
.LBB336_249:
	s_branch .LBB336_11
.LBB336_250:
	s_mov_b64 s[0:1], 0
                                        ; implicit-def: $vgpr4
	s_mov_b64 s[20:21], 0
.LBB336_251:
	s_and_b64 s[14:15], s[0:1], exec
	s_and_b64 s[16:17], s[16:17], exec
	s_orn2_b64 s[20:21], s[20:21], exec
.LBB336_252:
	s_or_b64 exec, exec, s[18:19]
	s_mov_b64 s[24:25], 0
	s_mov_b64 s[0:1], 0
                                        ; implicit-def: $vgpr0_vgpr1
                                        ; implicit-def: $vgpr3
	s_and_saveexec_b64 s[18:19], s[20:21]
	s_cbranch_execz .LBB336_261
; %bb.253:
	v_cmp_gt_i32_e32 vcc, s40, v4
	s_mov_b64 s[0:1], -1
	s_mov_b64 s[20:21], s[16:17]
	s_mov_b64 s[22:23], s[14:15]
	s_and_saveexec_b64 s[24:25], vcc
	s_cbranch_execz .LBB336_513
; %bb.254:
	v_mul_lo_u32 v0, v4, s9
	v_ashrrev_i32_e32 v1, 31, v0
	s_and_b32 s28, 0xffff, s44
	s_cmp_lt_i32 s28, 11
	v_lshl_add_u64 v[0:1], s[6:7], 0, v[0:1]
	s_cbranch_scc1 .LBB336_264
; %bb.255:
	s_cmp_gt_i32 s28, 25
	s_cbranch_scc0 .LBB336_273
; %bb.256:
	s_cmp_gt_i32 s28, 28
	s_cbranch_scc0 .LBB336_275
	;; [unrolled: 3-line block ×4, first 2 shown]
; %bb.259:
	s_cmp_eq_u32 s28, 46
	s_mov_b64 s[22:23], 0
	s_cbranch_scc0 .LBB336_285
; %bb.260:
	global_load_dword v2, v[0:1], off
	s_mov_b64 s[20:21], 0
	s_waitcnt vmcnt(0)
	v_lshlrev_b32_e32 v2, 16, v2
	v_cvt_f16_f32_e32 v2, v2
	s_branch .LBB336_286
.LBB336_261:
	s_or_b64 exec, exec, s[18:19]
	s_mov_b64 s[18:19], 0
	s_and_saveexec_b64 s[20:21], s[16:17]
	s_cbranch_execnz .LBB336_859
.LBB336_262:
	s_or_b64 exec, exec, s[20:21]
	s_and_saveexec_b64 s[16:17], s[22:23]
	s_xor_b64 s[16:17], exec, s[16:17]
	s_cbranch_execz .LBB336_860
.LBB336_263:
	global_load_ubyte v2, v[0:1], off
	v_mov_b32_e32 v3, 0x3c00
	s_or_b64 s[0:1], s[0:1], exec
	s_waitcnt vmcnt(0)
	v_cmp_ne_u16_e32 vcc, 0, v2
	s_nop 1
	v_cndmask_b32_e32 v3, 0, v3, vcc
	s_or_b64 exec, exec, s[16:17]
	s_and_saveexec_b64 s[16:17], s[24:25]
	s_cbranch_execz .LBB336_906
	s_branch .LBB336_861
.LBB336_264:
	s_mov_b64 s[0:1], 0
                                        ; implicit-def: $vgpr2
	s_mov_b64 s[20:21], s[16:17]
	s_cbranch_execnz .LBB336_463
.LBB336_265:
	s_andn2_b64 vcc, exec, s[0:1]
	s_cbranch_vccnz .LBB336_511
.LBB336_266:
	v_mov_b32_e32 v0, s10
	s_waitcnt vmcnt(0)
	v_cmp_lt_f16_e32 vcc, s10, v2
	v_mov_b32_e32 v1, s33
	s_and_b32 s30, s11, 0xff
	v_cndmask_b32_e32 v0, v0, v2, vcc
	v_cmp_gt_f16_e32 vcc, s33, v0
	s_cmp_lt_i32 s30, 11
	s_nop 0
	v_cndmask_b32_e32 v0, v1, v0, vcc
	v_cmp_u_f16_e32 vcc, v2, v2
	s_nop 1
	v_cndmask_b32_e32 v2, v0, v2, vcc
	v_mul_lo_u32 v0, v4, s8
	v_ashrrev_i32_e32 v1, 31, v0
	v_lshl_add_u64 v[0:1], s[4:5], 0, v[0:1]
	s_cbranch_scc1 .LBB336_274
; %bb.267:
	s_and_b32 s31, 0xffff, s30
	s_cmp_gt_i32 s31, 25
	s_cbranch_scc0 .LBB336_276
; %bb.268:
	s_cmp_gt_i32 s31, 28
	s_cbranch_scc0 .LBB336_278
; %bb.269:
	;; [unrolled: 3-line block ×4, first 2 shown]
	s_mov_b64 s[26:27], 0
	s_mov_b64 s[0:1], -1
	s_cmp_eq_u32 s31, 46
	s_mov_b64 s[22:23], 0
	s_cbranch_scc0 .LBB336_290
; %bb.272:
	v_cvt_f32_f16_e32 v3, v2
	s_movk_i32 s0, 0x7fff
	v_cmp_o_f16_e32 vcc, v2, v2
	v_mov_b32_e32 v5, 0x7fc0
	v_bfe_u32 v6, v3, 16, 1
	v_add3_u32 v3, v3, v6, s0
	v_cndmask_b32_sdwa v3, v5, v3, vcc dst_sel:DWORD dst_unused:UNUSED_PAD src0_sel:DWORD src1_sel:WORD_1
	global_store_dword v[0:1], v3, off
	s_mov_b64 s[22:23], -1
	s_mov_b64 s[0:1], 0
	s_branch .LBB336_290
.LBB336_273:
	s_mov_b64 s[22:23], -1
	s_mov_b64 s[0:1], 0
	s_mov_b64 s[20:21], s[16:17]
                                        ; implicit-def: $vgpr2
	s_branch .LBB336_427
.LBB336_274:
	s_mov_b64 s[26:27], -1
	s_mov_b64 s[22:23], 0
	s_mov_b64 s[0:1], s[14:15]
	s_branch .LBB336_359
.LBB336_275:
	s_mov_b64 s[22:23], -1
	s_mov_b64 s[0:1], 0
	s_mov_b64 s[20:21], s[16:17]
                                        ; implicit-def: $vgpr2
	s_branch .LBB336_408
.LBB336_276:
	s_mov_b64 s[26:27], -1
	s_mov_b64 s[22:23], 0
	s_mov_b64 s[0:1], s[14:15]
	s_branch .LBB336_317
.LBB336_277:
	s_mov_b64 s[22:23], -1
	s_mov_b64 s[0:1], 0
	s_mov_b64 s[20:21], s[16:17]
                                        ; implicit-def: $vgpr2
	s_branch .LBB336_403
.LBB336_278:
	s_mov_b64 s[26:27], -1
	s_mov_b64 s[22:23], 0
	s_mov_b64 s[0:1], s[14:15]
	s_branch .LBB336_300
.LBB336_279:
	s_andn2_saveexec_b64 s[24:25], s[24:25]
	s_cbranch_execz .LBB336_55
.LBB336_280:
	s_mov_b32 s28, 0x46000000
	v_add_f32_e64 v5, |v3|, s28
	v_and_b32_e32 v5, 0xff, v5
	v_cmp_ne_u32_e32 vcc, 0, v5
	s_andn2_b64 s[20:21], s[20:21], exec
	s_and_b64 s[28:29], vcc, exec
	s_or_b64 s[20:21], s[20:21], s[28:29]
	s_or_b64 exec, exec, s[24:25]
	v_mov_b32_e32 v6, 0
	s_and_saveexec_b64 s[24:25], s[20:21]
	s_cbranch_execnz .LBB336_56
	s_branch .LBB336_57
.LBB336_281:
	s_mov_b64 s[22:23], -1
	s_mov_b64 s[0:1], 0
	s_mov_b64 s[20:21], s[16:17]
                                        ; implicit-def: $vgpr2
	s_branch .LBB336_286
.LBB336_282:
	s_mov_b64 s[26:27], -1
	s_mov_b64 s[22:23], 0
	s_mov_b64 s[0:1], s[14:15]
	s_branch .LBB336_296
.LBB336_283:
	s_andn2_saveexec_b64 s[24:25], s[24:25]
	s_cbranch_execz .LBB336_68
.LBB336_284:
	s_mov_b32 s28, 0x42800000
	v_add_f32_e64 v5, |v3|, s28
	v_and_b32_e32 v5, 0xff, v5
	v_cmp_ne_u32_e32 vcc, 0, v5
	s_andn2_b64 s[20:21], s[20:21], exec
	s_and_b64 s[28:29], vcc, exec
	s_or_b64 s[20:21], s[20:21], s[28:29]
	s_or_b64 exec, exec, s[24:25]
	v_mov_b32_e32 v6, 0
	s_and_saveexec_b64 s[24:25], s[20:21]
	s_cbranch_execnz .LBB336_69
	s_branch .LBB336_70
.LBB336_285:
	s_mov_b64 s[20:21], -1
                                        ; implicit-def: $vgpr2
	s_mov_b64 s[0:1], 0
.LBB336_286:
	s_and_b64 vcc, exec, s[22:23]
	s_cbranch_vccz .LBB336_402
; %bb.287:
	s_cmp_eq_u32 s28, 44
	s_cbranch_scc0 .LBB336_401
; %bb.288:
	global_load_ubyte v2, v[0:1], off
	s_movk_i32 s20, 0xff
	v_mov_b32_e32 v5, 0x7e00
	s_mov_b64 s[0:1], -1
	s_waitcnt vmcnt(0)
	v_lshlrev_b32_e32 v3, 23, v2
	v_cvt_f16_f32_e32 v3, v3
	v_cmp_ne_u32_e32 vcc, s20, v2
	s_mov_b64 s[20:21], 0
	s_nop 0
	v_cndmask_b32_e32 v3, v5, v3, vcc
	v_cmp_ne_u32_e32 vcc, 0, v2
	s_nop 1
	v_cndmask_b32_e32 v2, 0, v3, vcc
	s_branch .LBB336_402
.LBB336_289:
	s_mov_b64 s[26:27], -1
	s_mov_b64 s[22:23], 0
	s_mov_b64 s[0:1], s[14:15]
.LBB336_290:
	s_and_b64 vcc, exec, s[26:27]
	s_cbranch_vccz .LBB336_295
; %bb.291:
	s_cmp_eq_u32 s31, 44
	s_mov_b64 s[0:1], -1
	s_cbranch_scc0 .LBB336_295
; %bb.292:
	v_cvt_f32_f16_e32 v3, v2
	s_movk_i32 s0, 0xff
	v_mov_b32_e32 v6, 0xff
	v_bfe_u32 v5, v3, 23, 8
	v_cmp_ne_u32_e32 vcc, s0, v5
	s_and_saveexec_b64 s[22:23], vcc
; %bb.293:
	s_mov_b32 s0, 0x3fffff
	v_lshrrev_b32_e32 v6, 23, v3
	v_and_b32_e32 v7, 0x400000, v3
	v_and_or_b32 v3, v3, s0, v5
	v_cmp_ne_u32_e32 vcc, 0, v7
	v_cmp_ne_u32_e64 s[0:1], 0, v3
	s_and_b64 s[0:1], vcc, s[0:1]
	s_nop 0
	v_cndmask_b32_e64 v3, 0, 1, s[0:1]
	v_add_u32_e32 v6, v6, v3
; %bb.294:
	s_or_b64 exec, exec, s[22:23]
	s_mov_b64 s[22:23], -1
	s_mov_b64 s[0:1], 0
	global_store_byte v[0:1], v6, off
.LBB336_295:
	s_mov_b64 s[26:27], 0
.LBB336_296:
	s_and_b64 vcc, exec, s[26:27]
	s_cbranch_vccz .LBB336_299
; %bb.297:
	s_cmp_eq_u32 s31, 29
	s_mov_b64 s[0:1], -1
	s_cbranch_scc0 .LBB336_299
; %bb.298:
	v_cvt_f32_f16_e32 v3, v2
	v_mov_b32_e32 v7, 0
	s_mov_b64 s[22:23], -1
	s_mov_b64 s[0:1], 0
	v_cvt_u32_f32_e32 v6, v3
	s_mov_b64 s[26:27], 0
	global_store_dwordx2 v[0:1], v[6:7], off
	s_branch .LBB336_300
.LBB336_299:
	s_mov_b64 s[26:27], 0
.LBB336_300:
	s_and_b64 vcc, exec, s[26:27]
	s_cbranch_vccz .LBB336_316
; %bb.301:
	s_cmp_lt_i32 s31, 27
	s_mov_b64 s[22:23], -1
	s_cbranch_scc1 .LBB336_307
; %bb.302:
	s_cmp_gt_i32 s31, 27
	s_cbranch_scc0 .LBB336_304
; %bb.303:
	v_cvt_f32_f16_e32 v3, v2
	s_mov_b64 s[22:23], 0
	v_cvt_u32_f32_e32 v3, v3
	global_store_dword v[0:1], v3, off
.LBB336_304:
	s_andn2_b64 vcc, exec, s[22:23]
	s_cbranch_vccnz .LBB336_306
; %bb.305:
	v_cvt_u16_f16_e32 v3, v2
	global_store_short v[0:1], v3, off
.LBB336_306:
	s_mov_b64 s[22:23], 0
.LBB336_307:
	s_andn2_b64 vcc, exec, s[22:23]
	s_cbranch_vccnz .LBB336_315
; %bb.308:
	v_cvt_f32_f16_e32 v3, v2
	s_mov_b32 s22, 0x43800000
	v_mov_b32_e32 v6, 0x80
	v_and_b32_e32 v5, 0x7fffffff, v3
	v_cmp_gt_u32_e32 vcc, s22, v5
	s_and_saveexec_b64 s[22:23], vcc
	s_cbranch_execz .LBB336_314
; %bb.309:
	s_mov_b32 s26, 0x3bffffff
	v_cmp_lt_u32_e32 vcc, s26, v5
	s_mov_b64 s[26:27], 0
                                        ; implicit-def: $vgpr5
	s_and_saveexec_b64 s[28:29], vcc
	s_xor_b64 s[28:29], exec, s[28:29]
	s_cbranch_execz .LBB336_526
; %bb.310:
	v_bfe_u32 v5, v3, 20, 1
	s_mov_b32 s34, 0x487ffff
	v_add3_u32 v5, v3, v5, s34
	s_mov_b64 s[26:27], exec
	v_lshrrev_b32_e32 v5, 20, v5
	s_andn2_saveexec_b64 s[28:29], s[28:29]
	s_cbranch_execnz .LBB336_527
.LBB336_311:
	s_or_b64 exec, exec, s[28:29]
	v_mov_b32_e32 v6, 0
	s_and_saveexec_b64 s[28:29], s[26:27]
.LBB336_312:
	v_lshrrev_b32_e32 v3, 24, v3
	s_movk_i32 s26, 0x80
	v_and_or_b32 v6, v3, s26, v5
.LBB336_313:
	s_or_b64 exec, exec, s[28:29]
.LBB336_314:
	s_or_b64 exec, exec, s[22:23]
	global_store_byte v[0:1], v6, off
.LBB336_315:
	s_mov_b64 s[22:23], -1
.LBB336_316:
	s_mov_b64 s[26:27], 0
.LBB336_317:
	s_and_b64 vcc, exec, s[26:27]
	s_cbranch_vccz .LBB336_358
; %bb.318:
	s_cmp_gt_i32 s31, 22
	s_mov_b64 s[26:27], -1
	s_cbranch_scc0 .LBB336_350
; %bb.319:
	s_cmp_lt_i32 s31, 24
	s_mov_b64 s[22:23], -1
	s_cbranch_scc1 .LBB336_339
; %bb.320:
	s_cmp_gt_i32 s31, 24
	s_cbranch_scc0 .LBB336_328
; %bb.321:
	v_cvt_f32_f16_e32 v3, v2
	s_mov_b32 s22, 0x47800000
	v_mov_b32_e32 v6, 0x80
	v_and_b32_e32 v5, 0x7fffffff, v3
	v_cmp_gt_u32_e32 vcc, s22, v5
	s_and_saveexec_b64 s[22:23], vcc
	s_cbranch_execz .LBB336_327
; %bb.322:
	s_mov_b32 s26, 0x37ffffff
	v_cmp_lt_u32_e32 vcc, s26, v5
	s_mov_b64 s[26:27], 0
                                        ; implicit-def: $vgpr5
	s_and_saveexec_b64 s[28:29], vcc
	s_xor_b64 s[28:29], exec, s[28:29]
	s_cbranch_execz .LBB336_529
; %bb.323:
	v_bfe_u32 v5, v3, 21, 1
	s_mov_b32 s34, 0x88fffff
	v_add3_u32 v5, v3, v5, s34
	s_mov_b64 s[26:27], exec
	v_lshrrev_b32_e32 v5, 21, v5
	s_andn2_saveexec_b64 s[28:29], s[28:29]
	s_cbranch_execnz .LBB336_530
.LBB336_324:
	s_or_b64 exec, exec, s[28:29]
	v_mov_b32_e32 v6, 0
	s_and_saveexec_b64 s[28:29], s[26:27]
.LBB336_325:
	v_lshrrev_b32_e32 v3, 24, v3
	s_movk_i32 s26, 0x80
	v_and_or_b32 v6, v3, s26, v5
.LBB336_326:
	s_or_b64 exec, exec, s[28:29]
.LBB336_327:
	s_or_b64 exec, exec, s[22:23]
	s_mov_b64 s[22:23], 0
	global_store_byte v[0:1], v6, off
.LBB336_328:
	s_and_b64 vcc, exec, s[22:23]
	s_cbranch_vccz .LBB336_338
; %bb.329:
	v_cvt_f32_f16_e32 v3, v2
	s_mov_b32 s22, 0x43f00000
                                        ; implicit-def: $vgpr5
	v_and_b32_e32 v6, 0x7fffffff, v3
	v_cmp_gt_u32_e32 vcc, s22, v6
	s_and_saveexec_b64 s[22:23], vcc
	s_xor_b64 s[22:23], exec, s[22:23]
	s_cbranch_execz .LBB336_335
; %bb.330:
	s_mov_b32 s26, 0x3c7fffff
	v_cmp_lt_u32_e32 vcc, s26, v6
                                        ; implicit-def: $vgpr5
	s_and_saveexec_b64 s[26:27], vcc
	s_xor_b64 s[26:27], exec, s[26:27]
; %bb.331:
	v_bfe_u32 v5, v3, 20, 1
	s_mov_b32 s28, 0x407ffff
	v_add3_u32 v5, v3, v5, s28
	v_lshrrev_b32_e32 v6, 20, v5
	v_and_b32_e32 v5, 0xff00000, v5
	s_mov_b32 s28, 0x7f00000
	v_mov_b32_e32 v7, 0x7e
	v_cmp_ne_u32_e32 vcc, s28, v5
	s_nop 1
	v_cndmask_b32_e32 v5, v7, v6, vcc
; %bb.332:
	s_andn2_saveexec_b64 s[26:27], s[26:27]
; %bb.333:
	s_mov_b32 s28, 0x46800000
	v_add_f32_e64 v5, |v3|, s28
; %bb.334:
	s_or_b64 exec, exec, s[26:27]
                                        ; implicit-def: $vgpr6
.LBB336_335:
	s_andn2_saveexec_b64 s[22:23], s[22:23]
; %bb.336:
	s_mov_b32 s26, 0x7f800000
	v_mov_b32_e32 v5, 0x7e
	v_mov_b32_e32 v7, 0x7f
	v_cmp_lt_u32_e32 vcc, s26, v6
	s_nop 1
	v_cndmask_b32_e32 v5, v5, v7, vcc
; %bb.337:
	s_or_b64 exec, exec, s[22:23]
	v_lshrrev_b32_e32 v3, 24, v3
	s_movk_i32 s22, 0x80
	v_and_or_b32 v3, v3, s22, v5
	global_store_byte v[0:1], v3, off
.LBB336_338:
	s_mov_b64 s[22:23], 0
.LBB336_339:
	s_andn2_b64 vcc, exec, s[22:23]
	s_cbranch_vccnz .LBB336_349
; %bb.340:
	v_cvt_f32_f16_e32 v3, v2
	s_mov_b32 s22, 0x47800000
                                        ; implicit-def: $vgpr5
	v_and_b32_e32 v6, 0x7fffffff, v3
	v_cmp_gt_u32_e32 vcc, s22, v6
	s_and_saveexec_b64 s[22:23], vcc
	s_xor_b64 s[22:23], exec, s[22:23]
	s_cbranch_execz .LBB336_346
; %bb.341:
	s_mov_b32 s26, 0x387fffff
	v_cmp_lt_u32_e32 vcc, s26, v6
                                        ; implicit-def: $vgpr5
	s_and_saveexec_b64 s[26:27], vcc
	s_xor_b64 s[26:27], exec, s[26:27]
; %bb.342:
	v_bfe_u32 v5, v3, 21, 1
	s_mov_b32 s28, 0x80fffff
	v_add3_u32 v5, v3, v5, s28
	v_lshrrev_b32_e32 v5, 21, v5
; %bb.343:
	s_andn2_saveexec_b64 s[26:27], s[26:27]
; %bb.344:
	s_mov_b32 s28, 0x43000000
	v_add_f32_e64 v5, |v3|, s28
; %bb.345:
	s_or_b64 exec, exec, s[26:27]
                                        ; implicit-def: $vgpr6
.LBB336_346:
	s_andn2_saveexec_b64 s[22:23], s[22:23]
; %bb.347:
	s_mov_b32 s26, 0x7f800000
	v_mov_b32_e32 v5, 0x7c
	v_mov_b32_e32 v7, 0x7f
	v_cmp_lt_u32_e32 vcc, s26, v6
	s_nop 1
	v_cndmask_b32_e32 v5, v5, v7, vcc
; %bb.348:
	s_or_b64 exec, exec, s[22:23]
	v_lshrrev_b32_e32 v3, 24, v3
	s_movk_i32 s22, 0x80
	v_and_or_b32 v3, v3, s22, v5
	global_store_byte v[0:1], v3, off
.LBB336_349:
	s_mov_b64 s[26:27], 0
	s_mov_b64 s[22:23], -1
.LBB336_350:
	s_andn2_b64 vcc, exec, s[26:27]
	s_cbranch_vccnz .LBB336_358
; %bb.351:
	s_cmp_gt_i32 s31, 14
	s_mov_b64 s[26:27], -1
	s_cbranch_scc0 .LBB336_355
; %bb.352:
	s_cmp_eq_u32 s31, 15
	s_mov_b64 s[0:1], -1
	s_cbranch_scc0 .LBB336_354
; %bb.353:
	v_cvt_f32_f16_e32 v3, v2
	s_movk_i32 s0, 0x7fff
	v_cmp_o_f16_e32 vcc, v2, v2
	v_mov_b32_e32 v5, 0x7fc0
	v_bfe_u32 v6, v3, 16, 1
	v_add3_u32 v3, v3, v6, s0
	v_cndmask_b32_sdwa v3, v5, v3, vcc dst_sel:DWORD dst_unused:UNUSED_PAD src0_sel:DWORD src1_sel:WORD_1
	global_store_short v[0:1], v3, off
	s_mov_b64 s[22:23], -1
	s_mov_b64 s[0:1], 0
.LBB336_354:
	s_mov_b64 s[26:27], 0
.LBB336_355:
	s_and_b64 vcc, exec, s[26:27]
	s_cbranch_vccz .LBB336_358
; %bb.356:
	s_cmp_eq_u32 s31, 11
	s_mov_b64 s[0:1], -1
	s_cbranch_scc0 .LBB336_358
; %bb.357:
	v_and_b32_e32 v3, 0x7fff, v2
	v_cmp_ne_u16_e32 vcc, 0, v3
	s_mov_b64 s[22:23], -1
	s_mov_b64 s[0:1], 0
	v_cndmask_b32_e64 v3, 0, 1, vcc
	global_store_byte v[0:1], v3, off
.LBB336_358:
	s_mov_b64 s[26:27], 0
.LBB336_359:
	s_and_b64 vcc, exec, s[26:27]
	s_cbranch_vccz .LBB336_398
; %bb.360:
	s_and_b32 s26, 0xffff, s30
	s_cmp_lt_i32 s26, 5
	s_mov_b64 s[22:23], -1
	s_cbranch_scc1 .LBB336_381
; %bb.361:
	s_cmp_lt_i32 s26, 8
	s_cbranch_scc1 .LBB336_371
; %bb.362:
	s_cmp_lt_i32 s26, 9
	s_cbranch_scc1 .LBB336_368
; %bb.363:
	s_cmp_gt_i32 s26, 9
	s_cbranch_scc0 .LBB336_365
; %bb.364:
	v_cvt_f32_f16_e32 v3, v2
	v_mov_b32_e32 v8, 0
	v_mov_b32_e32 v9, v8
	s_mov_b64 s[22:23], 0
	v_cvt_f64_f32_e32 v[6:7], v3
	global_store_dwordx4 v[0:1], v[6:9], off
.LBB336_365:
	s_andn2_b64 vcc, exec, s[22:23]
	s_cbranch_vccnz .LBB336_367
; %bb.366:
	v_cvt_f32_f16_e32 v6, v2
	v_mov_b32_e32 v7, 0
	global_store_dwordx2 v[0:1], v[6:7], off
.LBB336_367:
	s_mov_b64 s[22:23], 0
.LBB336_368:
	s_andn2_b64 vcc, exec, s[22:23]
	s_cbranch_vccnz .LBB336_370
; %bb.369:
	v_and_b32_e32 v3, 0xffff, v2
	global_store_dword v[0:1], v3, off
.LBB336_370:
	s_mov_b64 s[22:23], 0
.LBB336_371:
	s_andn2_b64 vcc, exec, s[22:23]
	s_cbranch_vccnz .LBB336_380
; %bb.372:
	s_cmp_lt_i32 s26, 6
	s_mov_b64 s[22:23], -1
	s_cbranch_scc1 .LBB336_378
; %bb.373:
	s_cmp_gt_i32 s26, 6
	s_cbranch_scc0 .LBB336_375
; %bb.374:
	v_cvt_f32_f16_e32 v3, v2
	s_mov_b64 s[22:23], 0
	v_cvt_f64_f32_e32 v[6:7], v3
	global_store_dwordx2 v[0:1], v[6:7], off
.LBB336_375:
	s_andn2_b64 vcc, exec, s[22:23]
	s_cbranch_vccnz .LBB336_377
; %bb.376:
	v_cvt_f32_f16_e32 v3, v2
	global_store_dword v[0:1], v3, off
.LBB336_377:
	s_mov_b64 s[22:23], 0
.LBB336_378:
	s_andn2_b64 vcc, exec, s[22:23]
	s_cbranch_vccnz .LBB336_380
; %bb.379:
	global_store_short v[0:1], v2, off
.LBB336_380:
	s_mov_b64 s[22:23], 0
.LBB336_381:
	s_andn2_b64 vcc, exec, s[22:23]
	s_cbranch_vccnz .LBB336_397
; %bb.382:
	s_cmp_lt_i32 s26, 2
	s_mov_b64 s[22:23], -1
	s_cbranch_scc1 .LBB336_392
; %bb.383:
	s_cmp_lt_i32 s26, 3
	s_cbranch_scc1 .LBB336_389
; %bb.384:
	s_cmp_gt_i32 s26, 3
	s_cbranch_scc0 .LBB336_386
; %bb.385:
	v_cvt_f32_f16_e32 v3, v2
	s_mov_b64 s[22:23], 0
	v_cvt_i32_f32_e32 v6, v3
	v_ashrrev_i32_e32 v7, 31, v6
	global_store_dwordx2 v[0:1], v[6:7], off
.LBB336_386:
	s_andn2_b64 vcc, exec, s[22:23]
	s_cbranch_vccnz .LBB336_388
; %bb.387:
	v_cvt_f32_f16_e32 v3, v2
	v_cvt_i32_f32_e32 v3, v3
	global_store_dword v[0:1], v3, off
.LBB336_388:
	s_mov_b64 s[22:23], 0
.LBB336_389:
	s_andn2_b64 vcc, exec, s[22:23]
	s_cbranch_vccnz .LBB336_391
; %bb.390:
	v_cvt_i16_f16_e32 v3, v2
	global_store_short v[0:1], v3, off
.LBB336_391:
	s_mov_b64 s[22:23], 0
.LBB336_392:
	s_andn2_b64 vcc, exec, s[22:23]
	s_cbranch_vccnz .LBB336_397
; %bb.393:
	s_cmp_gt_i32 s26, 0
	s_mov_b64 s[22:23], -1
	s_cbranch_scc0 .LBB336_395
; %bb.394:
	v_cvt_i16_f16_e32 v3, v2
	s_mov_b64 s[22:23], 0
	global_store_byte v[0:1], v3, off
.LBB336_395:
	s_andn2_b64 vcc, exec, s[22:23]
	s_cbranch_vccnz .LBB336_397
; %bb.396:
	v_cvt_f32_f16_e32 v2, v2
	v_cvt_i32_f32_e32 v2, v2
	global_store_byte v[0:1], v2, off
.LBB336_397:
	s_mov_b64 s[22:23], -1
.LBB336_398:
	s_andn2_b64 vcc, exec, s[22:23]
	s_cbranch_vccnz .LBB336_400
; %bb.399:
	v_add_u32_e32 v4, 0x80, v4
	s_mov_b64 s[26:27], -1
	s_branch .LBB336_512
.LBB336_400:
	s_mov_b64 s[26:27], 0
                                        ; implicit-def: $vgpr4
	s_branch .LBB336_512
.LBB336_401:
	s_mov_b64 s[20:21], -1
                                        ; implicit-def: $vgpr2
.LBB336_402:
	s_mov_b64 s[22:23], 0
.LBB336_403:
	s_and_b64 vcc, exec, s[22:23]
	s_cbranch_vccz .LBB336_407
; %bb.404:
	s_cmp_eq_u32 s28, 29
	s_cbranch_scc0 .LBB336_406
; %bb.405:
	global_load_dwordx2 v[2:3], v[0:1], off
	s_mov_b64 s[0:1], -1
	s_mov_b64 s[20:21], 0
	s_mov_b64 s[22:23], 0
	s_waitcnt vmcnt(0)
	v_ffbh_u32_e32 v5, v3
	v_min_u32_e32 v5, 32, v5
	v_lshlrev_b64 v[2:3], v5, v[2:3]
	v_min_u32_e32 v2, 1, v2
	v_or_b32_e32 v2, v3, v2
	v_cvt_f32_u32_e32 v2, v2
	v_sub_u32_e32 v3, 32, v5
	v_ldexp_f32 v2, v2, v3
	v_cvt_f16_f32_e32 v2, v2
	s_branch .LBB336_408
.LBB336_406:
	s_mov_b64 s[20:21], -1
                                        ; implicit-def: $vgpr2
.LBB336_407:
	s_mov_b64 s[22:23], 0
.LBB336_408:
	s_and_b64 vcc, exec, s[22:23]
	s_cbranch_vccz .LBB336_426
; %bb.409:
	s_cmp_lt_i32 s28, 27
	s_cbranch_scc1 .LBB336_412
; %bb.410:
	s_cmp_gt_i32 s28, 27
	s_cbranch_scc0 .LBB336_413
; %bb.411:
	global_load_dword v2, v[0:1], off
	s_mov_b64 s[0:1], 0
	s_waitcnt vmcnt(0)
	v_cvt_f32_u32_e32 v2, v2
	v_cvt_f16_f32_e32 v2, v2
	s_branch .LBB336_414
.LBB336_412:
	s_mov_b64 s[0:1], -1
                                        ; implicit-def: $vgpr2
	s_branch .LBB336_417
.LBB336_413:
	s_mov_b64 s[0:1], -1
                                        ; implicit-def: $vgpr2
.LBB336_414:
	s_andn2_b64 vcc, exec, s[0:1]
	s_cbranch_vccnz .LBB336_416
; %bb.415:
	global_load_ushort v2, v[0:1], off
	s_waitcnt vmcnt(0)
	v_cvt_f16_u16_e32 v2, v2
.LBB336_416:
	s_mov_b64 s[0:1], 0
.LBB336_417:
	s_andn2_b64 vcc, exec, s[0:1]
	s_cbranch_vccnz .LBB336_425
; %bb.418:
	global_load_ubyte v3, v[0:1], off
	s_movk_i32 s0, 0x7f
	s_waitcnt vmcnt(0)
	v_cmp_lt_i16_e32 vcc, s0, v3
	s_mov_b64 s[0:1], 0
	s_and_saveexec_b64 s[22:23], vcc
	s_xor_b64 s[22:23], exec, s[22:23]
	s_cbranch_execz .LBB336_439
; %bb.419:
	s_movk_i32 s0, 0x80
	v_cmp_eq_u16_e32 vcc, s0, v3
	s_mov_b64 s[0:1], -1
	s_and_saveexec_b64 s[26:27], vcc
; %bb.420:
	s_xor_b64 s[0:1], exec, -1
; %bb.421:
	s_or_b64 exec, exec, s[26:27]
	s_and_b64 s[0:1], s[0:1], exec
	s_or_saveexec_b64 s[22:23], s[22:23]
	v_mov_b32_e32 v2, 0x7e00
	s_xor_b64 exec, exec, s[22:23]
	s_cbranch_execnz .LBB336_440
.LBB336_422:
	s_or_b64 exec, exec, s[22:23]
	s_and_saveexec_b64 s[22:23], s[0:1]
	s_cbranch_execz .LBB336_424
.LBB336_423:
	v_lshlrev_b32_e32 v2, 24, v3
	v_and_b32_e32 v3, 0xffff, v3
	v_and_b32_e32 v5, 7, v3
	v_ffbh_u32_e32 v7, v5
	v_min_u32_e32 v7, 32, v7
	v_subrev_u32_e32 v8, 28, v7
	v_bfe_u32 v6, v3, 3, 4
	v_lshlrev_b32_e32 v3, v8, v3
	v_sub_u32_e32 v7, 29, v7
	v_and_b32_e32 v3, 7, v3
	v_cmp_eq_u32_e32 vcc, 0, v6
	v_and_b32_e32 v2, 0x80000000, v2
	s_nop 0
	v_cndmask_b32_e32 v6, v6, v7, vcc
	v_cndmask_b32_e32 v3, v5, v3, vcc
	v_mov_b32_e32 v5, 0x3b800000
	v_lshlrev_b32_e32 v3, 20, v3
	v_lshl_add_u32 v5, v6, 23, v5
	v_or3_b32 v2, v2, v5, v3
	v_cvt_f16_f32_e32 v2, v2
.LBB336_424:
	s_or_b64 exec, exec, s[22:23]
.LBB336_425:
	s_mov_b64 s[0:1], -1
.LBB336_426:
	s_mov_b64 s[22:23], 0
.LBB336_427:
	s_and_b64 vcc, exec, s[22:23]
	s_cbranch_vccz .LBB336_462
; %bb.428:
	s_cmp_gt_i32 s28, 22
	s_cbranch_scc0 .LBB336_438
; %bb.429:
	s_cmp_lt_i32 s28, 24
	s_cbranch_scc1 .LBB336_441
; %bb.430:
	s_cmp_gt_i32 s28, 24
	s_cbranch_scc0 .LBB336_442
; %bb.431:
	global_load_ubyte v3, v[0:1], off
	s_movk_i32 s0, 0x7f
	s_waitcnt vmcnt(0)
	v_cmp_lt_i16_e32 vcc, s0, v3
	s_mov_b64 s[0:1], 0
	s_and_saveexec_b64 s[22:23], vcc
	s_xor_b64 s[22:23], exec, s[22:23]
	s_cbranch_execz .LBB336_454
; %bb.432:
	s_movk_i32 s0, 0x80
	v_cmp_eq_u16_e32 vcc, s0, v3
	s_mov_b64 s[0:1], -1
	s_and_saveexec_b64 s[26:27], vcc
; %bb.433:
	s_xor_b64 s[0:1], exec, -1
; %bb.434:
	s_or_b64 exec, exec, s[26:27]
	s_and_b64 s[0:1], s[0:1], exec
	s_or_saveexec_b64 s[22:23], s[22:23]
	v_mov_b32_e32 v2, 0x7e00
	s_xor_b64 exec, exec, s[22:23]
	s_cbranch_execnz .LBB336_455
.LBB336_435:
	s_or_b64 exec, exec, s[22:23]
	s_and_saveexec_b64 s[22:23], s[0:1]
	s_cbranch_execz .LBB336_437
.LBB336_436:
	v_lshlrev_b32_e32 v2, 24, v3
	v_and_b32_e32 v3, 0xffff, v3
	v_and_b32_e32 v5, 3, v3
	v_ffbh_u32_e32 v7, v5
	v_min_u32_e32 v7, 32, v7
	v_subrev_u32_e32 v8, 29, v7
	v_bfe_u32 v6, v3, 2, 5
	v_lshlrev_b32_e32 v3, v8, v3
	v_sub_u32_e32 v7, 30, v7
	v_and_b32_e32 v3, 3, v3
	v_cmp_eq_u32_e32 vcc, 0, v6
	v_and_b32_e32 v2, 0x80000000, v2
	s_nop 0
	v_cndmask_b32_e32 v6, v6, v7, vcc
	v_cndmask_b32_e32 v3, v5, v3, vcc
	v_mov_b32_e32 v5, 0x37800000
	v_lshlrev_b32_e32 v3, 21, v3
	v_lshl_add_u32 v5, v6, 23, v5
	v_or3_b32 v2, v2, v5, v3
	v_cvt_f16_f32_e32 v2, v2
.LBB336_437:
	s_or_b64 exec, exec, s[22:23]
	s_mov_b64 s[0:1], 0
	s_branch .LBB336_443
.LBB336_438:
	s_mov_b64 s[22:23], -1
                                        ; implicit-def: $vgpr2
	s_branch .LBB336_449
.LBB336_439:
	s_or_saveexec_b64 s[22:23], s[22:23]
	v_mov_b32_e32 v2, 0x7e00
	s_xor_b64 exec, exec, s[22:23]
	s_cbranch_execz .LBB336_422
.LBB336_440:
	v_cmp_ne_u16_e32 vcc, 0, v3
	s_andn2_b64 s[0:1], s[0:1], exec
	s_and_b64 s[26:27], vcc, exec
	s_or_b64 s[0:1], s[0:1], s[26:27]
	v_mov_b32_e32 v2, v3
	s_or_b64 exec, exec, s[22:23]
	s_and_saveexec_b64 s[22:23], s[0:1]
	s_cbranch_execnz .LBB336_423
	s_branch .LBB336_424
.LBB336_441:
	s_mov_b64 s[0:1], -1
                                        ; implicit-def: $vgpr2
	s_branch .LBB336_446
.LBB336_442:
	s_mov_b64 s[0:1], -1
                                        ; implicit-def: $vgpr2
.LBB336_443:
	s_and_b64 vcc, exec, s[0:1]
	s_cbranch_vccz .LBB336_445
; %bb.444:
	global_load_ubyte v2, v[0:1], off
	s_mov_b32 s0, 0x7f800000
	s_waitcnt vmcnt(0)
	v_lshlrev_b32_e32 v2, 24, v2
	v_and_b32_e32 v3, 0x7f000000, v2
	v_ffbh_u32_e32 v5, v3
	v_min_u32_e32 v5, 32, v5
	v_sub_u32_e64 v5, v5, 4 clamp
	v_lshlrev_b32_e32 v7, v5, v3
	v_lshlrev_b32_e32 v5, 23, v5
	v_lshrrev_b32_e32 v7, 4, v7
	v_add_u32_e32 v6, 0x1000000, v3
	v_sub_u32_e32 v5, v7, v5
	v_ashrrev_i32_e32 v6, 8, v6
	v_add_u32_e32 v5, 0x3c000000, v5
	v_and_or_b32 v5, v6, s0, v5
	v_cmp_ne_u32_e32 vcc, 0, v3
	s_brev_b32 s0, 1
	s_nop 0
	v_cndmask_b32_e32 v3, 0, v5, vcc
	v_and_or_b32 v2, v2, s0, v3
	v_cvt_f16_f32_e32 v2, v2
.LBB336_445:
	s_mov_b64 s[0:1], 0
.LBB336_446:
	s_andn2_b64 vcc, exec, s[0:1]
	s_cbranch_vccnz .LBB336_448
; %bb.447:
	global_load_ubyte v2, v[0:1], off
	s_movk_i32 s0, 0x7f00
	s_brev_b32 s1, 16
	s_waitcnt vmcnt(0)
	v_lshlrev_b16_e32 v3, 8, v2
	v_lshlrev_b32_e32 v2, 25, v2
	v_lshrrev_b32_e32 v5, 4, v2
	v_and_or_b32 v6, v3, s0, 0.5
	v_or_b32_e32 v5, 0x70000000, v5
	v_add_f32_e32 v6, -0.5, v6
	v_mul_f32_e32 v5, 0x7800000, v5
	v_cmp_gt_u32_e32 vcc, s1, v2
	v_bfe_i32 v3, v3, 0, 16
	s_brev_b32 s0, 1
	v_cndmask_b32_e32 v2, v5, v6, vcc
	v_and_or_b32 v2, v3, s0, v2
	v_cvt_f16_f32_e32 v2, v2
.LBB336_448:
	s_mov_b64 s[22:23], 0
	s_mov_b64 s[0:1], -1
.LBB336_449:
	s_andn2_b64 vcc, exec, s[22:23]
	s_cbranch_vccnz .LBB336_462
; %bb.450:
	s_cmp_gt_i32 s28, 14
	s_cbranch_scc0 .LBB336_453
; %bb.451:
	s_cmp_eq_u32 s28, 15
	s_cbranch_scc0 .LBB336_456
; %bb.452:
	global_load_ushort v2, v[0:1], off
	s_mov_b64 s[0:1], -1
	s_mov_b64 s[20:21], 0
	s_waitcnt vmcnt(0)
	v_lshlrev_b32_e32 v2, 16, v2
	v_cvt_f16_f32_e32 v2, v2
	s_branch .LBB336_457
.LBB336_453:
	s_mov_b64 s[22:23], -1
                                        ; implicit-def: $vgpr2
	s_branch .LBB336_458
.LBB336_454:
	s_or_saveexec_b64 s[22:23], s[22:23]
	v_mov_b32_e32 v2, 0x7e00
	s_xor_b64 exec, exec, s[22:23]
	s_cbranch_execz .LBB336_435
.LBB336_455:
	v_cmp_ne_u16_e32 vcc, 0, v3
	s_andn2_b64 s[0:1], s[0:1], exec
	s_and_b64 s[26:27], vcc, exec
	s_or_b64 s[0:1], s[0:1], s[26:27]
	v_mov_b32_e32 v2, v3
	s_or_b64 exec, exec, s[22:23]
	s_and_saveexec_b64 s[22:23], s[0:1]
	s_cbranch_execnz .LBB336_436
	s_branch .LBB336_437
.LBB336_456:
	s_mov_b64 s[20:21], -1
                                        ; implicit-def: $vgpr2
.LBB336_457:
	s_mov_b64 s[22:23], 0
.LBB336_458:
	s_and_b64 vcc, exec, s[22:23]
	s_cbranch_vccz .LBB336_462
; %bb.459:
	s_cmp_eq_u32 s28, 11
	s_cbranch_scc0 .LBB336_461
; %bb.460:
	global_load_ubyte v2, v[0:1], off
	v_mov_b32_e32 v3, 0x3c00
	s_mov_b64 s[0:1], -1
	s_mov_b64 s[20:21], 0
	s_waitcnt vmcnt(0)
	v_cmp_ne_u16_e32 vcc, 0, v2
	s_nop 1
	v_cndmask_b32_e32 v2, 0, v3, vcc
	s_branch .LBB336_462
.LBB336_461:
	s_mov_b64 s[20:21], -1
                                        ; implicit-def: $vgpr2
.LBB336_462:
	s_branch .LBB336_265
.LBB336_463:
	s_cmp_lt_i32 s28, 5
	s_cbranch_scc1 .LBB336_468
; %bb.464:
	s_cmp_lt_i32 s28, 8
	s_cbranch_scc1 .LBB336_469
; %bb.465:
	;; [unrolled: 3-line block ×3, first 2 shown]
	s_cmp_gt_i32 s28, 9
	s_cbranch_scc0 .LBB336_471
; %bb.467:
	global_load_dwordx2 v[2:3], v[0:1], off
	s_movk_i32 s0, 0x1ff
	s_movk_i32 s1, 0xffe
	v_mov_b32_e32 v5, 0x7c00
	v_mov_b32_e32 v6, 0x7e00
	s_movk_i32 s22, 0x40f
	s_mov_b32 s23, 0x8000
	s_waitcnt vmcnt(0)
	v_and_or_b32 v2, v3, s0, v2
	v_cmp_ne_u32_e32 vcc, 0, v2
	v_lshrrev_b32_e32 v7, 8, v3
	v_bfe_u32 v8, v3, 20, 11
	v_cndmask_b32_e64 v2, 0, 1, vcc
	v_sub_u32_e32 v9, 0x3f1, v8
	v_and_or_b32 v2, v7, s1, v2
	v_add_u32_e32 v8, 0xfffffc10, v8
	v_med3_i32 v7, v9, 0, 13
	v_or_b32_e32 v9, 0x1000, v2
	v_cmp_ne_u32_e32 vcc, 0, v2
	v_lshl_or_b32 v10, v8, 12, v2
	v_lshrrev_b32_e32 v3, 16, v3
	v_cndmask_b32_e32 v2, v5, v6, vcc
	v_lshrrev_b32_e32 v6, v7, v9
	v_lshlrev_b32_e32 v7, v7, v6
	v_cmp_ne_u32_e32 vcc, v7, v9
	s_mov_b64 s[0:1], 0
	s_nop 0
	v_cndmask_b32_e64 v7, 0, 1, vcc
	v_or_b32_e32 v6, v6, v7
	v_cmp_gt_i32_e32 vcc, 1, v8
	s_nop 1
	v_cndmask_b32_e32 v6, v10, v6, vcc
	v_and_b32_e32 v7, 7, v6
	v_cmp_lt_i32_e32 vcc, 5, v7
	v_lshrrev_b32_e32 v6, 2, v6
	s_nop 0
	v_cndmask_b32_e64 v9, 0, 1, vcc
	v_cmp_eq_u32_e32 vcc, 3, v7
	s_nop 1
	v_cndmask_b32_e64 v7, 0, 1, vcc
	v_or_b32_e32 v7, v7, v9
	v_add_u32_e32 v6, v6, v7
	v_cmp_gt_i32_e32 vcc, 31, v8
	s_nop 1
	v_cndmask_b32_e32 v5, v5, v6, vcc
	v_cmp_eq_u32_e32 vcc, s22, v8
	s_nop 1
	v_cndmask_b32_e32 v2, v5, v2, vcc
	v_and_or_b32 v2, v3, s23, v2
	s_branch .LBB336_472
.LBB336_468:
	s_mov_b64 s[0:1], -1
                                        ; implicit-def: $vgpr2
	s_branch .LBB336_490
.LBB336_469:
	s_mov_b64 s[0:1], -1
                                        ; implicit-def: $vgpr2
	s_branch .LBB336_478
.LBB336_470:
	s_mov_b64 s[0:1], -1
                                        ; implicit-def: $vgpr2
	s_branch .LBB336_475
.LBB336_471:
	s_mov_b64 s[0:1], -1
                                        ; implicit-def: $vgpr2
.LBB336_472:
	s_andn2_b64 vcc, exec, s[0:1]
	s_cbranch_vccnz .LBB336_474
; %bb.473:
	global_load_dword v2, v[0:1], off
	s_waitcnt vmcnt(0)
	v_cvt_f16_f32_e32 v2, v2
.LBB336_474:
	s_mov_b64 s[0:1], 0
.LBB336_475:
	s_andn2_b64 vcc, exec, s[0:1]
	s_cbranch_vccnz .LBB336_477
; %bb.476:
	global_load_dword v2, v[0:1], off
.LBB336_477:
	s_mov_b64 s[0:1], 0
.LBB336_478:
	s_andn2_b64 vcc, exec, s[0:1]
	s_cbranch_vccnz .LBB336_489
; %bb.479:
	s_cmp_lt_i32 s28, 6
	s_cbranch_scc1 .LBB336_482
; %bb.480:
	s_cmp_gt_i32 s28, 6
	s_cbranch_scc0 .LBB336_483
; %bb.481:
	global_load_dwordx2 v[2:3], v[0:1], off
	s_movk_i32 s0, 0x1ff
	s_movk_i32 s1, 0xffe
	v_mov_b32_e32 v5, 0x7c00
	v_mov_b32_e32 v6, 0x7e00
	s_movk_i32 s22, 0x40f
	s_mov_b32 s23, 0x8000
	s_waitcnt vmcnt(0)
	v_and_or_b32 v2, v3, s0, v2
	v_cmp_ne_u32_e32 vcc, 0, v2
	v_lshrrev_b32_e32 v7, 8, v3
	v_bfe_u32 v8, v3, 20, 11
	v_cndmask_b32_e64 v2, 0, 1, vcc
	v_sub_u32_e32 v9, 0x3f1, v8
	v_and_or_b32 v2, v7, s1, v2
	v_add_u32_e32 v8, 0xfffffc10, v8
	v_med3_i32 v7, v9, 0, 13
	v_or_b32_e32 v9, 0x1000, v2
	v_cmp_ne_u32_e32 vcc, 0, v2
	v_lshl_or_b32 v10, v8, 12, v2
	v_lshrrev_b32_e32 v3, 16, v3
	v_cndmask_b32_e32 v2, v5, v6, vcc
	v_lshrrev_b32_e32 v6, v7, v9
	v_lshlrev_b32_e32 v7, v7, v6
	v_cmp_ne_u32_e32 vcc, v7, v9
	s_mov_b64 s[0:1], 0
	s_nop 0
	v_cndmask_b32_e64 v7, 0, 1, vcc
	v_or_b32_e32 v6, v6, v7
	v_cmp_gt_i32_e32 vcc, 1, v8
	s_nop 1
	v_cndmask_b32_e32 v6, v10, v6, vcc
	v_and_b32_e32 v7, 7, v6
	v_cmp_lt_i32_e32 vcc, 5, v7
	v_lshrrev_b32_e32 v6, 2, v6
	s_nop 0
	v_cndmask_b32_e64 v9, 0, 1, vcc
	v_cmp_eq_u32_e32 vcc, 3, v7
	s_nop 1
	v_cndmask_b32_e64 v7, 0, 1, vcc
	v_or_b32_e32 v7, v7, v9
	v_add_u32_e32 v6, v6, v7
	v_cmp_gt_i32_e32 vcc, 31, v8
	s_nop 1
	v_cndmask_b32_e32 v5, v5, v6, vcc
	v_cmp_eq_u32_e32 vcc, s22, v8
	s_nop 1
	v_cndmask_b32_e32 v2, v5, v2, vcc
	v_and_or_b32 v2, v3, s23, v2
	s_branch .LBB336_484
.LBB336_482:
	s_mov_b64 s[0:1], -1
                                        ; implicit-def: $vgpr2
	s_branch .LBB336_487
.LBB336_483:
	s_mov_b64 s[0:1], -1
                                        ; implicit-def: $vgpr2
.LBB336_484:
	s_andn2_b64 vcc, exec, s[0:1]
	s_cbranch_vccnz .LBB336_486
; %bb.485:
	global_load_dword v2, v[0:1], off
	s_waitcnt vmcnt(0)
	v_cvt_f16_f32_e32 v2, v2
.LBB336_486:
	s_mov_b64 s[0:1], 0
.LBB336_487:
	s_andn2_b64 vcc, exec, s[0:1]
	s_cbranch_vccnz .LBB336_489
; %bb.488:
	global_load_ushort v2, v[0:1], off
.LBB336_489:
	s_mov_b64 s[0:1], 0
.LBB336_490:
	s_andn2_b64 vcc, exec, s[0:1]
	s_cbranch_vccnz .LBB336_510
; %bb.491:
	s_cmp_lt_i32 s28, 2
	s_cbranch_scc1 .LBB336_495
; %bb.492:
	s_cmp_lt_i32 s28, 3
	s_cbranch_scc1 .LBB336_496
; %bb.493:
	s_cmp_gt_i32 s28, 3
	s_cbranch_scc0 .LBB336_497
; %bb.494:
	global_load_dwordx2 v[2:3], v[0:1], off
	s_mov_b64 s[0:1], 0
	s_waitcnt vmcnt(0)
	v_xor_b32_e32 v6, v2, v3
	v_ffbh_i32_e32 v5, v3
	v_ashrrev_i32_e32 v6, 31, v6
	v_add_u32_e32 v5, -1, v5
	v_add_u32_e32 v6, 32, v6
	v_min_u32_e32 v5, v5, v6
	v_lshlrev_b64 v[2:3], v5, v[2:3]
	v_min_u32_e32 v2, 1, v2
	v_or_b32_e32 v2, v3, v2
	v_cvt_f32_i32_e32 v2, v2
	v_sub_u32_e32 v3, 32, v5
	v_ldexp_f32 v2, v2, v3
	v_cvt_f16_f32_e32 v2, v2
	s_branch .LBB336_498
.LBB336_495:
	s_mov_b64 s[0:1], -1
                                        ; implicit-def: $vgpr2
	s_branch .LBB336_504
.LBB336_496:
	s_mov_b64 s[0:1], -1
                                        ; implicit-def: $vgpr2
	s_branch .LBB336_501
.LBB336_497:
	s_mov_b64 s[0:1], -1
                                        ; implicit-def: $vgpr2
.LBB336_498:
	s_andn2_b64 vcc, exec, s[0:1]
	s_cbranch_vccnz .LBB336_500
; %bb.499:
	global_load_dword v2, v[0:1], off
	s_waitcnt vmcnt(0)
	v_cvt_f32_i32_e32 v2, v2
	v_cvt_f16_f32_e32 v2, v2
.LBB336_500:
	s_mov_b64 s[0:1], 0
.LBB336_501:
	s_andn2_b64 vcc, exec, s[0:1]
	s_cbranch_vccnz .LBB336_503
; %bb.502:
	global_load_ushort v2, v[0:1], off
	s_waitcnt vmcnt(0)
	v_cvt_f16_i16_e32 v2, v2
.LBB336_503:
	s_mov_b64 s[0:1], 0
.LBB336_504:
	s_andn2_b64 vcc, exec, s[0:1]
	s_cbranch_vccnz .LBB336_510
; %bb.505:
	s_cmp_gt_i32 s28, 0
	s_cbranch_scc0 .LBB336_507
; %bb.506:
	global_load_sbyte v2, v[0:1], off
	s_mov_b64 s[0:1], 0
	s_waitcnt vmcnt(0)
	v_cvt_f16_i16_e32 v2, v2
	s_branch .LBB336_508
.LBB336_507:
	s_mov_b64 s[0:1], -1
                                        ; implicit-def: $vgpr2
.LBB336_508:
	s_andn2_b64 vcc, exec, s[0:1]
	s_cbranch_vccnz .LBB336_510
; %bb.509:
	global_load_ubyte v0, v[0:1], off
	s_waitcnt vmcnt(0)
	v_cvt_f16_u16_e32 v2, v0
.LBB336_510:
	s_branch .LBB336_266
.LBB336_511:
	s_mov_b64 s[26:27], 0
                                        ; implicit-def: $vgpr4
	s_mov_b64 s[0:1], s[14:15]
.LBB336_512:
	s_andn2_b64 s[22:23], s[14:15], exec
	s_and_b64 s[0:1], s[0:1], exec
	s_or_b64 s[22:23], s[22:23], s[0:1]
	s_andn2_b64 s[0:1], s[16:17], exec
	s_and_b64 s[20:21], s[20:21], exec
	s_or_b64 s[20:21], s[0:1], s[20:21]
	s_orn2_b64 s[0:1], s[26:27], exec
.LBB336_513:
	s_or_b64 exec, exec, s[24:25]
	s_mov_b64 s[26:27], 0
	s_mov_b64 s[28:29], 0
	;; [unrolled: 1-line block ×3, first 2 shown]
                                        ; implicit-def: $vgpr0_vgpr1
                                        ; implicit-def: $vgpr3
	s_and_saveexec_b64 s[24:25], s[0:1]
	s_cbranch_execz .LBB336_858
; %bb.514:
	v_cmp_gt_i32_e32 vcc, s40, v4
	s_mov_b64 s[36:37], -1
	s_mov_b64 s[0:1], s[20:21]
	s_mov_b64 s[30:31], s[22:23]
	s_and_saveexec_b64 s[26:27], vcc
	s_cbranch_execz .LBB336_772
; %bb.515:
	v_mul_lo_u32 v0, v4, s9
	v_ashrrev_i32_e32 v1, 31, v0
	s_and_b32 s36, 0xffff, s44
	s_cmp_lt_i32 s36, 11
	v_lshl_add_u64 v[0:1], s[6:7], 0, v[0:1]
	s_cbranch_scc1 .LBB336_522
; %bb.516:
	s_cmp_gt_i32 s36, 25
	s_cbranch_scc0 .LBB336_523
; %bb.517:
	s_cmp_gt_i32 s36, 28
	s_cbranch_scc0 .LBB336_524
; %bb.518:
	s_cmp_gt_i32 s36, 43
	s_cbranch_scc0 .LBB336_525
; %bb.519:
	s_cmp_gt_i32 s36, 45
	s_cbranch_scc0 .LBB336_528
; %bb.520:
	s_cmp_eq_u32 s36, 46
	s_mov_b64 s[30:31], 0
	s_cbranch_scc0 .LBB336_531
; %bb.521:
	global_load_dword v2, v[0:1], off
	s_mov_b64 s[0:1], -1
	s_waitcnt vmcnt(0)
	v_lshlrev_b32_e32 v2, 16, v2
	v_cvt_f16_f32_e32 v2, v2
	s_branch .LBB336_532
.LBB336_522:
	s_mov_b64 s[30:31], -1
	s_mov_b64 s[0:1], 0
                                        ; implicit-def: $vgpr2
	s_mov_b64 s[28:29], s[20:21]
	s_branch .LBB336_597
.LBB336_523:
	s_mov_b64 s[30:31], -1
	s_mov_b64 s[0:1], 0
	s_mov_b64 s[28:29], s[20:21]
                                        ; implicit-def: $vgpr2
	s_branch .LBB336_561
.LBB336_524:
	s_mov_b64 s[30:31], -1
	s_mov_b64 s[0:1], 0
	s_mov_b64 s[28:29], s[20:21]
                                        ; implicit-def: $vgpr2
	s_branch .LBB336_542
.LBB336_525:
	s_mov_b64 s[30:31], -1
	s_mov_b64 s[0:1], 0
	s_mov_b64 s[28:29], s[20:21]
                                        ; implicit-def: $vgpr2
	s_branch .LBB336_537
.LBB336_526:
	s_andn2_saveexec_b64 s[28:29], s[28:29]
	s_cbranch_execz .LBB336_311
.LBB336_527:
	s_mov_b32 s34, 0x46000000
	v_add_f32_e64 v5, |v3|, s34
	v_and_b32_e32 v5, 0xff, v5
	v_cmp_ne_u32_e32 vcc, 0, v5
	s_andn2_b64 s[26:27], s[26:27], exec
	s_and_b64 s[34:35], vcc, exec
	s_or_b64 s[26:27], s[26:27], s[34:35]
	s_or_b64 exec, exec, s[28:29]
	v_mov_b32_e32 v6, 0
	s_and_saveexec_b64 s[28:29], s[26:27]
	s_cbranch_execnz .LBB336_312
	s_branch .LBB336_313
.LBB336_528:
	s_mov_b64 s[30:31], -1
	s_mov_b64 s[0:1], 0
	s_mov_b64 s[28:29], s[20:21]
                                        ; implicit-def: $vgpr2
	s_branch .LBB336_532
.LBB336_529:
	s_andn2_saveexec_b64 s[28:29], s[28:29]
	s_cbranch_execz .LBB336_324
.LBB336_530:
	s_mov_b32 s34, 0x42800000
	v_add_f32_e64 v5, |v3|, s34
	v_and_b32_e32 v5, 0xff, v5
	v_cmp_ne_u32_e32 vcc, 0, v5
	s_andn2_b64 s[26:27], s[26:27], exec
	s_and_b64 s[34:35], vcc, exec
	s_or_b64 s[26:27], s[26:27], s[34:35]
	s_or_b64 exec, exec, s[28:29]
	v_mov_b32_e32 v6, 0
	s_and_saveexec_b64 s[28:29], s[26:27]
	s_cbranch_execnz .LBB336_325
	s_branch .LBB336_326
.LBB336_531:
	s_mov_b64 s[28:29], -1
                                        ; implicit-def: $vgpr2
	s_mov_b64 s[0:1], 0
.LBB336_532:
	s_and_b64 vcc, exec, s[30:31]
	s_cbranch_vccz .LBB336_536
; %bb.533:
	s_cmp_eq_u32 s36, 44
	s_cbranch_scc0 .LBB336_535
; %bb.534:
	global_load_ubyte v2, v[0:1], off
	s_movk_i32 s28, 0xff
	v_mov_b32_e32 v5, 0x7e00
	s_mov_b64 s[0:1], -1
	s_waitcnt vmcnt(0)
	v_lshlrev_b32_e32 v3, 23, v2
	v_cvt_f16_f32_e32 v3, v3
	v_cmp_ne_u32_e32 vcc, s28, v2
	s_mov_b64 s[28:29], 0
	s_nop 0
	v_cndmask_b32_e32 v3, v5, v3, vcc
	v_cmp_ne_u32_e32 vcc, 0, v2
	s_nop 1
	v_cndmask_b32_e32 v2, 0, v3, vcc
	s_branch .LBB336_536
.LBB336_535:
	s_mov_b64 s[28:29], -1
                                        ; implicit-def: $vgpr2
.LBB336_536:
	s_mov_b64 s[30:31], 0
.LBB336_537:
	s_and_b64 vcc, exec, s[30:31]
	s_cbranch_vccz .LBB336_541
; %bb.538:
	s_cmp_eq_u32 s36, 29
	s_cbranch_scc0 .LBB336_540
; %bb.539:
	global_load_dwordx2 v[2:3], v[0:1], off
	s_mov_b64 s[0:1], -1
	s_mov_b64 s[28:29], 0
	s_mov_b64 s[30:31], 0
	s_waitcnt vmcnt(0)
	v_ffbh_u32_e32 v5, v3
	v_min_u32_e32 v5, 32, v5
	v_lshlrev_b64 v[2:3], v5, v[2:3]
	v_min_u32_e32 v2, 1, v2
	v_or_b32_e32 v2, v3, v2
	v_cvt_f32_u32_e32 v2, v2
	v_sub_u32_e32 v3, 32, v5
	v_ldexp_f32 v2, v2, v3
	v_cvt_f16_f32_e32 v2, v2
	s_branch .LBB336_542
.LBB336_540:
	s_mov_b64 s[28:29], -1
                                        ; implicit-def: $vgpr2
.LBB336_541:
	s_mov_b64 s[30:31], 0
.LBB336_542:
	s_and_b64 vcc, exec, s[30:31]
	s_cbranch_vccz .LBB336_560
; %bb.543:
	s_cmp_lt_i32 s36, 27
	s_cbranch_scc1 .LBB336_546
; %bb.544:
	s_cmp_gt_i32 s36, 27
	s_cbranch_scc0 .LBB336_547
; %bb.545:
	global_load_dword v2, v[0:1], off
	s_mov_b64 s[0:1], 0
	s_waitcnt vmcnt(0)
	v_cvt_f32_u32_e32 v2, v2
	v_cvt_f16_f32_e32 v2, v2
	s_branch .LBB336_548
.LBB336_546:
	s_mov_b64 s[0:1], -1
                                        ; implicit-def: $vgpr2
	s_branch .LBB336_551
.LBB336_547:
	s_mov_b64 s[0:1], -1
                                        ; implicit-def: $vgpr2
.LBB336_548:
	s_andn2_b64 vcc, exec, s[0:1]
	s_cbranch_vccnz .LBB336_550
; %bb.549:
	global_load_ushort v2, v[0:1], off
	s_waitcnt vmcnt(0)
	v_cvt_f16_u16_e32 v2, v2
.LBB336_550:
	s_mov_b64 s[0:1], 0
.LBB336_551:
	s_andn2_b64 vcc, exec, s[0:1]
	s_cbranch_vccnz .LBB336_559
; %bb.552:
	global_load_ubyte v3, v[0:1], off
	s_movk_i32 s0, 0x7f
	s_waitcnt vmcnt(0)
	v_cmp_lt_i16_e32 vcc, s0, v3
	s_mov_b64 s[0:1], 0
	s_and_saveexec_b64 s[30:31], vcc
	s_xor_b64 s[30:31], exec, s[30:31]
	s_cbranch_execz .LBB336_573
; %bb.553:
	s_movk_i32 s0, 0x80
	v_cmp_eq_u16_e32 vcc, s0, v3
	s_mov_b64 s[0:1], -1
	s_and_saveexec_b64 s[34:35], vcc
; %bb.554:
	s_xor_b64 s[0:1], exec, -1
; %bb.555:
	s_or_b64 exec, exec, s[34:35]
	s_and_b64 s[0:1], s[0:1], exec
	s_or_saveexec_b64 s[30:31], s[30:31]
	v_mov_b32_e32 v2, 0x7e00
	s_xor_b64 exec, exec, s[30:31]
	s_cbranch_execnz .LBB336_574
.LBB336_556:
	s_or_b64 exec, exec, s[30:31]
	s_and_saveexec_b64 s[30:31], s[0:1]
	s_cbranch_execz .LBB336_558
.LBB336_557:
	v_lshlrev_b32_e32 v2, 24, v3
	v_and_b32_e32 v3, 0xffff, v3
	v_and_b32_e32 v5, 7, v3
	v_ffbh_u32_e32 v7, v5
	v_min_u32_e32 v7, 32, v7
	v_subrev_u32_e32 v8, 28, v7
	v_bfe_u32 v6, v3, 3, 4
	v_lshlrev_b32_e32 v3, v8, v3
	v_sub_u32_e32 v7, 29, v7
	v_and_b32_e32 v3, 7, v3
	v_cmp_eq_u32_e32 vcc, 0, v6
	v_and_b32_e32 v2, 0x80000000, v2
	s_nop 0
	v_cndmask_b32_e32 v6, v6, v7, vcc
	v_cndmask_b32_e32 v3, v5, v3, vcc
	v_mov_b32_e32 v5, 0x3b800000
	v_lshlrev_b32_e32 v3, 20, v3
	v_lshl_add_u32 v5, v6, 23, v5
	v_or3_b32 v2, v2, v5, v3
	v_cvt_f16_f32_e32 v2, v2
.LBB336_558:
	s_or_b64 exec, exec, s[30:31]
.LBB336_559:
	s_mov_b64 s[0:1], -1
.LBB336_560:
	s_mov_b64 s[30:31], 0
.LBB336_561:
	s_and_b64 vcc, exec, s[30:31]
	s_cbranch_vccz .LBB336_596
; %bb.562:
	s_cmp_gt_i32 s36, 22
	s_cbranch_scc0 .LBB336_572
; %bb.563:
	s_cmp_lt_i32 s36, 24
	s_cbranch_scc1 .LBB336_575
; %bb.564:
	s_cmp_gt_i32 s36, 24
	s_cbranch_scc0 .LBB336_576
; %bb.565:
	global_load_ubyte v3, v[0:1], off
	s_movk_i32 s0, 0x7f
	s_waitcnt vmcnt(0)
	v_cmp_lt_i16_e32 vcc, s0, v3
	s_mov_b64 s[0:1], 0
	s_and_saveexec_b64 s[30:31], vcc
	s_xor_b64 s[30:31], exec, s[30:31]
	s_cbranch_execz .LBB336_588
; %bb.566:
	s_movk_i32 s0, 0x80
	v_cmp_eq_u16_e32 vcc, s0, v3
	s_mov_b64 s[0:1], -1
	s_and_saveexec_b64 s[34:35], vcc
; %bb.567:
	s_xor_b64 s[0:1], exec, -1
; %bb.568:
	s_or_b64 exec, exec, s[34:35]
	s_and_b64 s[0:1], s[0:1], exec
	s_or_saveexec_b64 s[30:31], s[30:31]
	v_mov_b32_e32 v2, 0x7e00
	s_xor_b64 exec, exec, s[30:31]
	s_cbranch_execnz .LBB336_589
.LBB336_569:
	s_or_b64 exec, exec, s[30:31]
	s_and_saveexec_b64 s[30:31], s[0:1]
	s_cbranch_execz .LBB336_571
.LBB336_570:
	v_lshlrev_b32_e32 v2, 24, v3
	v_and_b32_e32 v3, 0xffff, v3
	v_and_b32_e32 v5, 3, v3
	v_ffbh_u32_e32 v7, v5
	v_min_u32_e32 v7, 32, v7
	v_subrev_u32_e32 v8, 29, v7
	v_bfe_u32 v6, v3, 2, 5
	v_lshlrev_b32_e32 v3, v8, v3
	v_sub_u32_e32 v7, 30, v7
	v_and_b32_e32 v3, 3, v3
	v_cmp_eq_u32_e32 vcc, 0, v6
	v_and_b32_e32 v2, 0x80000000, v2
	s_nop 0
	v_cndmask_b32_e32 v6, v6, v7, vcc
	v_cndmask_b32_e32 v3, v5, v3, vcc
	v_mov_b32_e32 v5, 0x37800000
	v_lshlrev_b32_e32 v3, 21, v3
	v_lshl_add_u32 v5, v6, 23, v5
	v_or3_b32 v2, v2, v5, v3
	v_cvt_f16_f32_e32 v2, v2
.LBB336_571:
	s_or_b64 exec, exec, s[30:31]
	s_mov_b64 s[0:1], 0
	s_branch .LBB336_577
.LBB336_572:
	s_mov_b64 s[30:31], -1
                                        ; implicit-def: $vgpr2
	s_branch .LBB336_583
.LBB336_573:
	s_or_saveexec_b64 s[30:31], s[30:31]
	v_mov_b32_e32 v2, 0x7e00
	s_xor_b64 exec, exec, s[30:31]
	s_cbranch_execz .LBB336_556
.LBB336_574:
	v_cmp_ne_u16_e32 vcc, 0, v3
	s_andn2_b64 s[0:1], s[0:1], exec
	s_and_b64 s[34:35], vcc, exec
	s_or_b64 s[0:1], s[0:1], s[34:35]
	v_mov_b32_e32 v2, v3
	s_or_b64 exec, exec, s[30:31]
	s_and_saveexec_b64 s[30:31], s[0:1]
	s_cbranch_execnz .LBB336_557
	s_branch .LBB336_558
.LBB336_575:
	s_mov_b64 s[0:1], -1
                                        ; implicit-def: $vgpr2
	s_branch .LBB336_580
.LBB336_576:
	s_mov_b64 s[0:1], -1
                                        ; implicit-def: $vgpr2
.LBB336_577:
	s_and_b64 vcc, exec, s[0:1]
	s_cbranch_vccz .LBB336_579
; %bb.578:
	global_load_ubyte v2, v[0:1], off
	s_mov_b32 s0, 0x7f800000
	s_waitcnt vmcnt(0)
	v_lshlrev_b32_e32 v2, 24, v2
	v_and_b32_e32 v3, 0x7f000000, v2
	v_ffbh_u32_e32 v5, v3
	v_min_u32_e32 v5, 32, v5
	v_sub_u32_e64 v5, v5, 4 clamp
	v_lshlrev_b32_e32 v7, v5, v3
	v_lshlrev_b32_e32 v5, 23, v5
	v_lshrrev_b32_e32 v7, 4, v7
	v_add_u32_e32 v6, 0x1000000, v3
	v_sub_u32_e32 v5, v7, v5
	v_ashrrev_i32_e32 v6, 8, v6
	v_add_u32_e32 v5, 0x3c000000, v5
	v_and_or_b32 v5, v6, s0, v5
	v_cmp_ne_u32_e32 vcc, 0, v3
	s_brev_b32 s0, 1
	s_nop 0
	v_cndmask_b32_e32 v3, 0, v5, vcc
	v_and_or_b32 v2, v2, s0, v3
	v_cvt_f16_f32_e32 v2, v2
.LBB336_579:
	s_mov_b64 s[0:1], 0
.LBB336_580:
	s_andn2_b64 vcc, exec, s[0:1]
	s_cbranch_vccnz .LBB336_582
; %bb.581:
	global_load_ubyte v2, v[0:1], off
	s_movk_i32 s0, 0x7f00
	s_brev_b32 s1, 16
	s_waitcnt vmcnt(0)
	v_lshlrev_b16_e32 v3, 8, v2
	v_lshlrev_b32_e32 v2, 25, v2
	v_lshrrev_b32_e32 v5, 4, v2
	v_and_or_b32 v6, v3, s0, 0.5
	v_or_b32_e32 v5, 0x70000000, v5
	v_add_f32_e32 v6, -0.5, v6
	v_mul_f32_e32 v5, 0x7800000, v5
	v_cmp_gt_u32_e32 vcc, s1, v2
	v_bfe_i32 v3, v3, 0, 16
	s_brev_b32 s0, 1
	v_cndmask_b32_e32 v2, v5, v6, vcc
	v_and_or_b32 v2, v3, s0, v2
	v_cvt_f16_f32_e32 v2, v2
.LBB336_582:
	s_mov_b64 s[30:31], 0
	s_mov_b64 s[0:1], -1
.LBB336_583:
	s_andn2_b64 vcc, exec, s[30:31]
	s_cbranch_vccnz .LBB336_596
; %bb.584:
	s_cmp_gt_i32 s36, 14
	s_cbranch_scc0 .LBB336_587
; %bb.585:
	s_cmp_eq_u32 s36, 15
	s_cbranch_scc0 .LBB336_590
; %bb.586:
	global_load_ushort v2, v[0:1], off
	s_mov_b64 s[0:1], -1
	s_mov_b64 s[28:29], 0
	s_waitcnt vmcnt(0)
	v_lshlrev_b32_e32 v2, 16, v2
	v_cvt_f16_f32_e32 v2, v2
	s_branch .LBB336_591
.LBB336_587:
	s_mov_b64 s[30:31], -1
                                        ; implicit-def: $vgpr2
	s_branch .LBB336_592
.LBB336_588:
	s_or_saveexec_b64 s[30:31], s[30:31]
	v_mov_b32_e32 v2, 0x7e00
	s_xor_b64 exec, exec, s[30:31]
	s_cbranch_execz .LBB336_569
.LBB336_589:
	v_cmp_ne_u16_e32 vcc, 0, v3
	s_andn2_b64 s[0:1], s[0:1], exec
	s_and_b64 s[34:35], vcc, exec
	s_or_b64 s[0:1], s[0:1], s[34:35]
	v_mov_b32_e32 v2, v3
	s_or_b64 exec, exec, s[30:31]
	s_and_saveexec_b64 s[30:31], s[0:1]
	s_cbranch_execnz .LBB336_570
	s_branch .LBB336_571
.LBB336_590:
	s_mov_b64 s[28:29], -1
                                        ; implicit-def: $vgpr2
.LBB336_591:
	s_mov_b64 s[30:31], 0
.LBB336_592:
	s_and_b64 vcc, exec, s[30:31]
	s_cbranch_vccz .LBB336_596
; %bb.593:
	s_cmp_eq_u32 s36, 11
	s_cbranch_scc0 .LBB336_595
; %bb.594:
	global_load_ubyte v2, v[0:1], off
	v_mov_b32_e32 v3, 0x3c00
	s_mov_b64 s[0:1], -1
	s_mov_b64 s[28:29], 0
	s_waitcnt vmcnt(0)
	v_cmp_ne_u16_e32 vcc, 0, v2
	s_nop 1
	v_cndmask_b32_e32 v2, 0, v3, vcc
	s_branch .LBB336_596
.LBB336_595:
	s_mov_b64 s[28:29], -1
                                        ; implicit-def: $vgpr2
.LBB336_596:
	s_mov_b64 s[30:31], 0
.LBB336_597:
	s_and_b64 vcc, exec, s[30:31]
	s_cbranch_vccz .LBB336_646
; %bb.598:
	s_cmp_lt_i32 s36, 5
	s_cbranch_scc1 .LBB336_603
; %bb.599:
	s_cmp_lt_i32 s36, 8
	s_cbranch_scc1 .LBB336_604
	;; [unrolled: 3-line block ×3, first 2 shown]
; %bb.601:
	s_cmp_gt_i32 s36, 9
	s_cbranch_scc0 .LBB336_606
; %bb.602:
	global_load_dwordx2 v[2:3], v[0:1], off
	s_movk_i32 s0, 0x1ff
	s_movk_i32 s1, 0xffe
	v_mov_b32_e32 v5, 0x7c00
	v_mov_b32_e32 v6, 0x7e00
	s_movk_i32 s30, 0x40f
	s_mov_b32 s31, 0x8000
	s_waitcnt vmcnt(0)
	v_and_or_b32 v2, v3, s0, v2
	v_cmp_ne_u32_e32 vcc, 0, v2
	v_lshrrev_b32_e32 v7, 8, v3
	v_bfe_u32 v8, v3, 20, 11
	v_cndmask_b32_e64 v2, 0, 1, vcc
	v_sub_u32_e32 v9, 0x3f1, v8
	v_and_or_b32 v2, v7, s1, v2
	v_add_u32_e32 v8, 0xfffffc10, v8
	v_med3_i32 v7, v9, 0, 13
	v_or_b32_e32 v9, 0x1000, v2
	v_cmp_ne_u32_e32 vcc, 0, v2
	v_lshl_or_b32 v10, v8, 12, v2
	v_lshrrev_b32_e32 v3, 16, v3
	v_cndmask_b32_e32 v2, v5, v6, vcc
	v_lshrrev_b32_e32 v6, v7, v9
	v_lshlrev_b32_e32 v7, v7, v6
	v_cmp_ne_u32_e32 vcc, v7, v9
	s_mov_b64 s[0:1], 0
	s_nop 0
	v_cndmask_b32_e64 v7, 0, 1, vcc
	v_or_b32_e32 v6, v6, v7
	v_cmp_gt_i32_e32 vcc, 1, v8
	s_nop 1
	v_cndmask_b32_e32 v6, v10, v6, vcc
	v_and_b32_e32 v7, 7, v6
	v_cmp_lt_i32_e32 vcc, 5, v7
	v_lshrrev_b32_e32 v6, 2, v6
	s_nop 0
	v_cndmask_b32_e64 v9, 0, 1, vcc
	v_cmp_eq_u32_e32 vcc, 3, v7
	s_nop 1
	v_cndmask_b32_e64 v7, 0, 1, vcc
	v_or_b32_e32 v7, v7, v9
	v_add_u32_e32 v6, v6, v7
	v_cmp_gt_i32_e32 vcc, 31, v8
	s_nop 1
	v_cndmask_b32_e32 v5, v5, v6, vcc
	v_cmp_eq_u32_e32 vcc, s30, v8
	s_nop 1
	v_cndmask_b32_e32 v2, v5, v2, vcc
	v_and_or_b32 v2, v3, s31, v2
	s_branch .LBB336_607
.LBB336_603:
	s_mov_b64 s[0:1], -1
                                        ; implicit-def: $vgpr2
	s_branch .LBB336_625
.LBB336_604:
	s_mov_b64 s[0:1], -1
                                        ; implicit-def: $vgpr2
	s_branch .LBB336_613
.LBB336_605:
	s_mov_b64 s[0:1], -1
                                        ; implicit-def: $vgpr2
	s_branch .LBB336_610
.LBB336_606:
	s_mov_b64 s[0:1], -1
                                        ; implicit-def: $vgpr2
.LBB336_607:
	s_andn2_b64 vcc, exec, s[0:1]
	s_cbranch_vccnz .LBB336_609
; %bb.608:
	global_load_dword v2, v[0:1], off
	s_waitcnt vmcnt(0)
	v_cvt_f16_f32_e32 v2, v2
.LBB336_609:
	s_mov_b64 s[0:1], 0
.LBB336_610:
	s_andn2_b64 vcc, exec, s[0:1]
	s_cbranch_vccnz .LBB336_612
; %bb.611:
	global_load_dword v2, v[0:1], off
.LBB336_612:
	s_mov_b64 s[0:1], 0
.LBB336_613:
	s_andn2_b64 vcc, exec, s[0:1]
	s_cbranch_vccnz .LBB336_624
; %bb.614:
	s_cmp_lt_i32 s36, 6
	s_cbranch_scc1 .LBB336_617
; %bb.615:
	s_cmp_gt_i32 s36, 6
	s_cbranch_scc0 .LBB336_618
; %bb.616:
	global_load_dwordx2 v[2:3], v[0:1], off
	s_movk_i32 s0, 0x1ff
	s_movk_i32 s1, 0xffe
	v_mov_b32_e32 v5, 0x7c00
	v_mov_b32_e32 v6, 0x7e00
	s_movk_i32 s30, 0x40f
	s_mov_b32 s31, 0x8000
	s_waitcnt vmcnt(0)
	v_and_or_b32 v2, v3, s0, v2
	v_cmp_ne_u32_e32 vcc, 0, v2
	v_lshrrev_b32_e32 v7, 8, v3
	v_bfe_u32 v8, v3, 20, 11
	v_cndmask_b32_e64 v2, 0, 1, vcc
	v_sub_u32_e32 v9, 0x3f1, v8
	v_and_or_b32 v2, v7, s1, v2
	v_add_u32_e32 v8, 0xfffffc10, v8
	v_med3_i32 v7, v9, 0, 13
	v_or_b32_e32 v9, 0x1000, v2
	v_cmp_ne_u32_e32 vcc, 0, v2
	v_lshl_or_b32 v10, v8, 12, v2
	v_lshrrev_b32_e32 v3, 16, v3
	v_cndmask_b32_e32 v2, v5, v6, vcc
	v_lshrrev_b32_e32 v6, v7, v9
	v_lshlrev_b32_e32 v7, v7, v6
	v_cmp_ne_u32_e32 vcc, v7, v9
	s_mov_b64 s[0:1], 0
	s_nop 0
	v_cndmask_b32_e64 v7, 0, 1, vcc
	v_or_b32_e32 v6, v6, v7
	v_cmp_gt_i32_e32 vcc, 1, v8
	s_nop 1
	v_cndmask_b32_e32 v6, v10, v6, vcc
	v_and_b32_e32 v7, 7, v6
	v_cmp_lt_i32_e32 vcc, 5, v7
	v_lshrrev_b32_e32 v6, 2, v6
	s_nop 0
	v_cndmask_b32_e64 v9, 0, 1, vcc
	v_cmp_eq_u32_e32 vcc, 3, v7
	s_nop 1
	v_cndmask_b32_e64 v7, 0, 1, vcc
	v_or_b32_e32 v7, v7, v9
	v_add_u32_e32 v6, v6, v7
	v_cmp_gt_i32_e32 vcc, 31, v8
	s_nop 1
	v_cndmask_b32_e32 v5, v5, v6, vcc
	v_cmp_eq_u32_e32 vcc, s30, v8
	s_nop 1
	v_cndmask_b32_e32 v2, v5, v2, vcc
	v_and_or_b32 v2, v3, s31, v2
	s_branch .LBB336_619
.LBB336_617:
	s_mov_b64 s[0:1], -1
                                        ; implicit-def: $vgpr2
	s_branch .LBB336_622
.LBB336_618:
	s_mov_b64 s[0:1], -1
                                        ; implicit-def: $vgpr2
.LBB336_619:
	s_andn2_b64 vcc, exec, s[0:1]
	s_cbranch_vccnz .LBB336_621
; %bb.620:
	global_load_dword v2, v[0:1], off
	s_waitcnt vmcnt(0)
	v_cvt_f16_f32_e32 v2, v2
.LBB336_621:
	s_mov_b64 s[0:1], 0
.LBB336_622:
	s_andn2_b64 vcc, exec, s[0:1]
	s_cbranch_vccnz .LBB336_624
; %bb.623:
	global_load_ushort v2, v[0:1], off
.LBB336_624:
	s_mov_b64 s[0:1], 0
.LBB336_625:
	s_andn2_b64 vcc, exec, s[0:1]
	s_cbranch_vccnz .LBB336_645
; %bb.626:
	s_cmp_lt_i32 s36, 2
	s_cbranch_scc1 .LBB336_630
; %bb.627:
	s_cmp_lt_i32 s36, 3
	s_cbranch_scc1 .LBB336_631
; %bb.628:
	s_cmp_gt_i32 s36, 3
	s_cbranch_scc0 .LBB336_632
; %bb.629:
	global_load_dwordx2 v[2:3], v[0:1], off
	s_mov_b64 s[0:1], 0
	s_waitcnt vmcnt(0)
	v_xor_b32_e32 v6, v2, v3
	v_ffbh_i32_e32 v5, v3
	v_ashrrev_i32_e32 v6, 31, v6
	v_add_u32_e32 v5, -1, v5
	v_add_u32_e32 v6, 32, v6
	v_min_u32_e32 v5, v5, v6
	v_lshlrev_b64 v[2:3], v5, v[2:3]
	v_min_u32_e32 v2, 1, v2
	v_or_b32_e32 v2, v3, v2
	v_cvt_f32_i32_e32 v2, v2
	v_sub_u32_e32 v3, 32, v5
	v_ldexp_f32 v2, v2, v3
	v_cvt_f16_f32_e32 v2, v2
	s_branch .LBB336_633
.LBB336_630:
	s_mov_b64 s[0:1], -1
                                        ; implicit-def: $vgpr2
	s_branch .LBB336_639
.LBB336_631:
	s_mov_b64 s[0:1], -1
                                        ; implicit-def: $vgpr2
	s_branch .LBB336_636
.LBB336_632:
	s_mov_b64 s[0:1], -1
                                        ; implicit-def: $vgpr2
.LBB336_633:
	s_andn2_b64 vcc, exec, s[0:1]
	s_cbranch_vccnz .LBB336_635
; %bb.634:
	global_load_dword v2, v[0:1], off
	s_waitcnt vmcnt(0)
	v_cvt_f32_i32_e32 v2, v2
	v_cvt_f16_f32_e32 v2, v2
.LBB336_635:
	s_mov_b64 s[0:1], 0
.LBB336_636:
	s_andn2_b64 vcc, exec, s[0:1]
	s_cbranch_vccnz .LBB336_638
; %bb.637:
	global_load_ushort v2, v[0:1], off
	s_waitcnt vmcnt(0)
	v_cvt_f16_i16_e32 v2, v2
.LBB336_638:
	s_mov_b64 s[0:1], 0
.LBB336_639:
	s_andn2_b64 vcc, exec, s[0:1]
	s_cbranch_vccnz .LBB336_645
; %bb.640:
	s_cmp_gt_i32 s36, 0
	s_cbranch_scc0 .LBB336_642
; %bb.641:
	global_load_sbyte v2, v[0:1], off
	s_mov_b64 s[0:1], 0
	s_waitcnt vmcnt(0)
	v_cvt_f16_i16_e32 v2, v2
	s_branch .LBB336_643
.LBB336_642:
	s_mov_b64 s[0:1], -1
                                        ; implicit-def: $vgpr2
.LBB336_643:
	s_andn2_b64 vcc, exec, s[0:1]
	s_cbranch_vccnz .LBB336_645
; %bb.644:
	global_load_ubyte v0, v[0:1], off
	s_waitcnt vmcnt(0)
	v_cvt_f16_u16_e32 v2, v0
.LBB336_645:
	s_mov_b64 s[0:1], -1
.LBB336_646:
	s_andn2_b64 vcc, exec, s[0:1]
	s_cbranch_vccnz .LBB336_654
; %bb.647:
	v_mov_b32_e32 v0, s10
	s_waitcnt vmcnt(0)
	v_cmp_lt_f16_e32 vcc, s10, v2
	v_mov_b32_e32 v1, s33
	s_and_b32 s38, s11, 0xff
	v_cndmask_b32_e32 v0, v0, v2, vcc
	v_cmp_gt_f16_e32 vcc, s33, v0
	s_cmp_lt_i32 s38, 11
	s_nop 0
	v_cndmask_b32_e32 v0, v1, v0, vcc
	v_cmp_u_f16_e32 vcc, v2, v2
	s_nop 1
	v_cndmask_b32_e32 v2, v0, v2, vcc
	v_mul_lo_u32 v0, v4, s8
	v_ashrrev_i32_e32 v1, 31, v0
	v_lshl_add_u64 v[0:1], s[4:5], 0, v[0:1]
	s_cbranch_scc1 .LBB336_655
; %bb.648:
	s_and_b32 s39, 0xffff, s38
	s_cmp_gt_i32 s39, 25
	s_cbranch_scc0 .LBB336_656
; %bb.649:
	s_cmp_gt_i32 s39, 28
	s_cbranch_scc0 .LBB336_657
; %bb.650:
	;; [unrolled: 3-line block ×4, first 2 shown]
	s_mov_b64 s[34:35], 0
	s_mov_b64 s[0:1], -1
	s_cmp_eq_u32 s39, 46
	s_mov_b64 s[30:31], 0
	s_cbranch_scc0 .LBB336_660
; %bb.653:
	v_cvt_f32_f16_e32 v3, v2
	s_movk_i32 s0, 0x7fff
	v_cmp_o_f16_e32 vcc, v2, v2
	v_mov_b32_e32 v5, 0x7fc0
	v_bfe_u32 v6, v3, 16, 1
	v_add3_u32 v3, v3, v6, s0
	v_cndmask_b32_sdwa v3, v5, v3, vcc dst_sel:DWORD dst_unused:UNUSED_PAD src0_sel:DWORD src1_sel:WORD_1
	global_store_dword v[0:1], v3, off
	s_mov_b64 s[30:31], -1
	s_mov_b64 s[0:1], 0
	s_branch .LBB336_660
.LBB336_654:
	s_mov_b64 s[34:35], 0
                                        ; implicit-def: $vgpr4
	s_mov_b64 s[0:1], s[22:23]
	s_branch .LBB336_771
.LBB336_655:
	s_mov_b64 s[34:35], -1
	s_mov_b64 s[30:31], 0
	s_mov_b64 s[0:1], s[22:23]
	s_branch .LBB336_729
.LBB336_656:
	s_mov_b64 s[34:35], -1
	s_mov_b64 s[30:31], 0
	s_mov_b64 s[0:1], s[22:23]
	s_branch .LBB336_687
.LBB336_657:
	s_mov_b64 s[34:35], -1
	s_mov_b64 s[30:31], 0
	s_mov_b64 s[0:1], s[22:23]
	s_branch .LBB336_670
.LBB336_658:
	s_mov_b64 s[34:35], -1
	s_mov_b64 s[30:31], 0
	s_mov_b64 s[0:1], s[22:23]
	s_branch .LBB336_666
.LBB336_659:
	s_mov_b64 s[34:35], -1
	s_mov_b64 s[30:31], 0
	s_mov_b64 s[0:1], s[22:23]
.LBB336_660:
	s_and_b64 vcc, exec, s[34:35]
	s_cbranch_vccz .LBB336_665
; %bb.661:
	s_cmp_eq_u32 s39, 44
	s_mov_b64 s[0:1], -1
	s_cbranch_scc0 .LBB336_665
; %bb.662:
	v_cvt_f32_f16_e32 v3, v2
	s_movk_i32 s0, 0xff
	v_mov_b32_e32 v6, 0xff
	v_bfe_u32 v5, v3, 23, 8
	v_cmp_ne_u32_e32 vcc, s0, v5
	s_and_saveexec_b64 s[30:31], vcc
; %bb.663:
	s_mov_b32 s0, 0x3fffff
	v_lshrrev_b32_e32 v6, 23, v3
	v_and_b32_e32 v7, 0x400000, v3
	v_and_or_b32 v3, v3, s0, v5
	v_cmp_ne_u32_e32 vcc, 0, v7
	v_cmp_ne_u32_e64 s[0:1], 0, v3
	s_and_b64 s[0:1], vcc, s[0:1]
	s_nop 0
	v_cndmask_b32_e64 v3, 0, 1, s[0:1]
	v_add_u32_e32 v6, v6, v3
; %bb.664:
	s_or_b64 exec, exec, s[30:31]
	s_mov_b64 s[30:31], -1
	s_mov_b64 s[0:1], 0
	global_store_byte v[0:1], v6, off
.LBB336_665:
	s_mov_b64 s[34:35], 0
.LBB336_666:
	s_and_b64 vcc, exec, s[34:35]
	s_cbranch_vccz .LBB336_669
; %bb.667:
	s_cmp_eq_u32 s39, 29
	s_mov_b64 s[0:1], -1
	s_cbranch_scc0 .LBB336_669
; %bb.668:
	v_cvt_f32_f16_e32 v3, v2
	v_mov_b32_e32 v7, 0
	s_mov_b64 s[30:31], -1
	s_mov_b64 s[0:1], 0
	v_cvt_u32_f32_e32 v6, v3
	s_mov_b64 s[34:35], 0
	global_store_dwordx2 v[0:1], v[6:7], off
	s_branch .LBB336_670
.LBB336_669:
	s_mov_b64 s[34:35], 0
.LBB336_670:
	s_and_b64 vcc, exec, s[34:35]
	s_cbranch_vccz .LBB336_686
; %bb.671:
	s_cmp_lt_i32 s39, 27
	s_mov_b64 s[30:31], -1
	s_cbranch_scc1 .LBB336_677
; %bb.672:
	s_cmp_gt_i32 s39, 27
	s_cbranch_scc0 .LBB336_674
; %bb.673:
	v_cvt_f32_f16_e32 v3, v2
	s_mov_b64 s[30:31], 0
	v_cvt_u32_f32_e32 v3, v3
	global_store_dword v[0:1], v3, off
.LBB336_674:
	s_andn2_b64 vcc, exec, s[30:31]
	s_cbranch_vccnz .LBB336_676
; %bb.675:
	v_cvt_u16_f16_e32 v3, v2
	global_store_short v[0:1], v3, off
.LBB336_676:
	s_mov_b64 s[30:31], 0
.LBB336_677:
	s_andn2_b64 vcc, exec, s[30:31]
	s_cbranch_vccnz .LBB336_685
; %bb.678:
	v_cvt_f32_f16_e32 v3, v2
	s_mov_b32 s30, 0x43800000
	v_mov_b32_e32 v6, 0x80
	v_and_b32_e32 v5, 0x7fffffff, v3
	v_cmp_gt_u32_e32 vcc, s30, v5
	s_and_saveexec_b64 s[30:31], vcc
	s_cbranch_execz .LBB336_684
; %bb.679:
	s_mov_b32 s34, 0x3bffffff
	v_cmp_lt_u32_e32 vcc, s34, v5
	s_mov_b64 s[34:35], 0
                                        ; implicit-def: $vgpr5
	s_and_saveexec_b64 s[36:37], vcc
	s_xor_b64 s[36:37], exec, s[36:37]
	s_cbranch_execz .LBB336_785
; %bb.680:
	v_bfe_u32 v5, v3, 20, 1
	s_mov_b32 s41, 0x487ffff
	v_add3_u32 v5, v3, v5, s41
	s_mov_b64 s[34:35], exec
	v_lshrrev_b32_e32 v5, 20, v5
	s_andn2_saveexec_b64 s[36:37], s[36:37]
	s_cbranch_execnz .LBB336_786
.LBB336_681:
	s_or_b64 exec, exec, s[36:37]
	v_mov_b32_e32 v6, 0
	s_and_saveexec_b64 s[36:37], s[34:35]
.LBB336_682:
	v_lshrrev_b32_e32 v3, 24, v3
	s_movk_i32 s34, 0x80
	v_and_or_b32 v6, v3, s34, v5
.LBB336_683:
	s_or_b64 exec, exec, s[36:37]
.LBB336_684:
	s_or_b64 exec, exec, s[30:31]
	global_store_byte v[0:1], v6, off
.LBB336_685:
	s_mov_b64 s[30:31], -1
.LBB336_686:
	s_mov_b64 s[34:35], 0
.LBB336_687:
	s_and_b64 vcc, exec, s[34:35]
	s_cbranch_vccz .LBB336_728
; %bb.688:
	s_cmp_gt_i32 s39, 22
	s_mov_b64 s[34:35], -1
	s_cbranch_scc0 .LBB336_720
; %bb.689:
	s_cmp_lt_i32 s39, 24
	s_mov_b64 s[30:31], -1
	s_cbranch_scc1 .LBB336_709
; %bb.690:
	s_cmp_gt_i32 s39, 24
	s_cbranch_scc0 .LBB336_698
; %bb.691:
	v_cvt_f32_f16_e32 v3, v2
	s_mov_b32 s30, 0x47800000
	v_mov_b32_e32 v6, 0x80
	v_and_b32_e32 v5, 0x7fffffff, v3
	v_cmp_gt_u32_e32 vcc, s30, v5
	s_and_saveexec_b64 s[30:31], vcc
	s_cbranch_execz .LBB336_697
; %bb.692:
	s_mov_b32 s34, 0x37ffffff
	v_cmp_lt_u32_e32 vcc, s34, v5
	s_mov_b64 s[34:35], 0
                                        ; implicit-def: $vgpr5
	s_and_saveexec_b64 s[36:37], vcc
	s_xor_b64 s[36:37], exec, s[36:37]
	s_cbranch_execz .LBB336_788
; %bb.693:
	v_bfe_u32 v5, v3, 21, 1
	s_mov_b32 s41, 0x88fffff
	v_add3_u32 v5, v3, v5, s41
	s_mov_b64 s[34:35], exec
	v_lshrrev_b32_e32 v5, 21, v5
	s_andn2_saveexec_b64 s[36:37], s[36:37]
	s_cbranch_execnz .LBB336_789
.LBB336_694:
	s_or_b64 exec, exec, s[36:37]
	v_mov_b32_e32 v6, 0
	s_and_saveexec_b64 s[36:37], s[34:35]
.LBB336_695:
	v_lshrrev_b32_e32 v3, 24, v3
	s_movk_i32 s34, 0x80
	v_and_or_b32 v6, v3, s34, v5
.LBB336_696:
	s_or_b64 exec, exec, s[36:37]
.LBB336_697:
	s_or_b64 exec, exec, s[30:31]
	s_mov_b64 s[30:31], 0
	global_store_byte v[0:1], v6, off
.LBB336_698:
	s_and_b64 vcc, exec, s[30:31]
	s_cbranch_vccz .LBB336_708
; %bb.699:
	v_cvt_f32_f16_e32 v3, v2
	s_mov_b32 s30, 0x43f00000
                                        ; implicit-def: $vgpr5
	v_and_b32_e32 v6, 0x7fffffff, v3
	v_cmp_gt_u32_e32 vcc, s30, v6
	s_and_saveexec_b64 s[30:31], vcc
	s_xor_b64 s[30:31], exec, s[30:31]
	s_cbranch_execz .LBB336_705
; %bb.700:
	s_mov_b32 s34, 0x3c7fffff
	v_cmp_lt_u32_e32 vcc, s34, v6
                                        ; implicit-def: $vgpr5
	s_and_saveexec_b64 s[34:35], vcc
	s_xor_b64 s[34:35], exec, s[34:35]
; %bb.701:
	v_bfe_u32 v5, v3, 20, 1
	s_mov_b32 s36, 0x407ffff
	v_add3_u32 v5, v3, v5, s36
	v_lshrrev_b32_e32 v6, 20, v5
	v_and_b32_e32 v5, 0xff00000, v5
	s_mov_b32 s36, 0x7f00000
	v_mov_b32_e32 v7, 0x7e
	v_cmp_ne_u32_e32 vcc, s36, v5
	s_nop 1
	v_cndmask_b32_e32 v5, v7, v6, vcc
; %bb.702:
	s_andn2_saveexec_b64 s[34:35], s[34:35]
; %bb.703:
	s_mov_b32 s36, 0x46800000
	v_add_f32_e64 v5, |v3|, s36
; %bb.704:
	s_or_b64 exec, exec, s[34:35]
                                        ; implicit-def: $vgpr6
.LBB336_705:
	s_andn2_saveexec_b64 s[30:31], s[30:31]
; %bb.706:
	s_mov_b32 s34, 0x7f800000
	v_mov_b32_e32 v5, 0x7e
	v_mov_b32_e32 v7, 0x7f
	v_cmp_lt_u32_e32 vcc, s34, v6
	s_nop 1
	v_cndmask_b32_e32 v5, v5, v7, vcc
; %bb.707:
	s_or_b64 exec, exec, s[30:31]
	v_lshrrev_b32_e32 v3, 24, v3
	s_movk_i32 s30, 0x80
	v_and_or_b32 v3, v3, s30, v5
	global_store_byte v[0:1], v3, off
.LBB336_708:
	s_mov_b64 s[30:31], 0
.LBB336_709:
	s_andn2_b64 vcc, exec, s[30:31]
	s_cbranch_vccnz .LBB336_719
; %bb.710:
	v_cvt_f32_f16_e32 v3, v2
	s_mov_b32 s30, 0x47800000
                                        ; implicit-def: $vgpr5
	v_and_b32_e32 v6, 0x7fffffff, v3
	v_cmp_gt_u32_e32 vcc, s30, v6
	s_and_saveexec_b64 s[30:31], vcc
	s_xor_b64 s[30:31], exec, s[30:31]
	s_cbranch_execz .LBB336_716
; %bb.711:
	s_mov_b32 s34, 0x387fffff
	v_cmp_lt_u32_e32 vcc, s34, v6
                                        ; implicit-def: $vgpr5
	s_and_saveexec_b64 s[34:35], vcc
	s_xor_b64 s[34:35], exec, s[34:35]
; %bb.712:
	v_bfe_u32 v5, v3, 21, 1
	s_mov_b32 s36, 0x80fffff
	v_add3_u32 v5, v3, v5, s36
	v_lshrrev_b32_e32 v5, 21, v5
; %bb.713:
	s_andn2_saveexec_b64 s[34:35], s[34:35]
; %bb.714:
	s_mov_b32 s36, 0x43000000
	v_add_f32_e64 v5, |v3|, s36
; %bb.715:
	s_or_b64 exec, exec, s[34:35]
                                        ; implicit-def: $vgpr6
.LBB336_716:
	s_andn2_saveexec_b64 s[30:31], s[30:31]
; %bb.717:
	s_mov_b32 s34, 0x7f800000
	v_mov_b32_e32 v5, 0x7c
	v_mov_b32_e32 v7, 0x7f
	v_cmp_lt_u32_e32 vcc, s34, v6
	s_nop 1
	v_cndmask_b32_e32 v5, v5, v7, vcc
; %bb.718:
	s_or_b64 exec, exec, s[30:31]
	v_lshrrev_b32_e32 v3, 24, v3
	s_movk_i32 s30, 0x80
	v_and_or_b32 v3, v3, s30, v5
	global_store_byte v[0:1], v3, off
.LBB336_719:
	s_mov_b64 s[34:35], 0
	s_mov_b64 s[30:31], -1
.LBB336_720:
	s_andn2_b64 vcc, exec, s[34:35]
	s_cbranch_vccnz .LBB336_728
; %bb.721:
	s_cmp_gt_i32 s39, 14
	s_mov_b64 s[34:35], -1
	s_cbranch_scc0 .LBB336_725
; %bb.722:
	s_cmp_eq_u32 s39, 15
	s_mov_b64 s[0:1], -1
	s_cbranch_scc0 .LBB336_724
; %bb.723:
	v_cvt_f32_f16_e32 v3, v2
	s_movk_i32 s0, 0x7fff
	v_cmp_o_f16_e32 vcc, v2, v2
	v_mov_b32_e32 v5, 0x7fc0
	v_bfe_u32 v6, v3, 16, 1
	v_add3_u32 v3, v3, v6, s0
	v_cndmask_b32_sdwa v3, v5, v3, vcc dst_sel:DWORD dst_unused:UNUSED_PAD src0_sel:DWORD src1_sel:WORD_1
	global_store_short v[0:1], v3, off
	s_mov_b64 s[30:31], -1
	s_mov_b64 s[0:1], 0
.LBB336_724:
	s_mov_b64 s[34:35], 0
.LBB336_725:
	s_and_b64 vcc, exec, s[34:35]
	s_cbranch_vccz .LBB336_728
; %bb.726:
	s_cmp_eq_u32 s39, 11
	s_mov_b64 s[0:1], -1
	s_cbranch_scc0 .LBB336_728
; %bb.727:
	v_and_b32_e32 v3, 0x7fff, v2
	v_cmp_ne_u16_e32 vcc, 0, v3
	s_mov_b64 s[30:31], -1
	s_mov_b64 s[0:1], 0
	v_cndmask_b32_e64 v3, 0, 1, vcc
	global_store_byte v[0:1], v3, off
.LBB336_728:
	s_mov_b64 s[34:35], 0
.LBB336_729:
	s_and_b64 vcc, exec, s[34:35]
	s_cbranch_vccz .LBB336_768
; %bb.730:
	s_and_b32 s34, 0xffff, s38
	s_cmp_lt_i32 s34, 5
	s_mov_b64 s[30:31], -1
	s_cbranch_scc1 .LBB336_751
; %bb.731:
	s_cmp_lt_i32 s34, 8
	s_cbranch_scc1 .LBB336_741
; %bb.732:
	s_cmp_lt_i32 s34, 9
	s_cbranch_scc1 .LBB336_738
; %bb.733:
	s_cmp_gt_i32 s34, 9
	s_cbranch_scc0 .LBB336_735
; %bb.734:
	v_cvt_f32_f16_e32 v3, v2
	v_mov_b32_e32 v8, 0
	v_mov_b32_e32 v9, v8
	s_mov_b64 s[30:31], 0
	v_cvt_f64_f32_e32 v[6:7], v3
	global_store_dwordx4 v[0:1], v[6:9], off
.LBB336_735:
	s_andn2_b64 vcc, exec, s[30:31]
	s_cbranch_vccnz .LBB336_737
; %bb.736:
	v_cvt_f32_f16_e32 v6, v2
	v_mov_b32_e32 v7, 0
	global_store_dwordx2 v[0:1], v[6:7], off
.LBB336_737:
	s_mov_b64 s[30:31], 0
.LBB336_738:
	s_andn2_b64 vcc, exec, s[30:31]
	s_cbranch_vccnz .LBB336_740
; %bb.739:
	v_and_b32_e32 v3, 0xffff, v2
	global_store_dword v[0:1], v3, off
.LBB336_740:
	s_mov_b64 s[30:31], 0
.LBB336_741:
	s_andn2_b64 vcc, exec, s[30:31]
	s_cbranch_vccnz .LBB336_750
; %bb.742:
	s_cmp_lt_i32 s34, 6
	s_mov_b64 s[30:31], -1
	s_cbranch_scc1 .LBB336_748
; %bb.743:
	s_cmp_gt_i32 s34, 6
	s_cbranch_scc0 .LBB336_745
; %bb.744:
	v_cvt_f32_f16_e32 v3, v2
	s_mov_b64 s[30:31], 0
	v_cvt_f64_f32_e32 v[6:7], v3
	global_store_dwordx2 v[0:1], v[6:7], off
.LBB336_745:
	s_andn2_b64 vcc, exec, s[30:31]
	s_cbranch_vccnz .LBB336_747
; %bb.746:
	v_cvt_f32_f16_e32 v3, v2
	global_store_dword v[0:1], v3, off
.LBB336_747:
	s_mov_b64 s[30:31], 0
.LBB336_748:
	s_andn2_b64 vcc, exec, s[30:31]
	s_cbranch_vccnz .LBB336_750
; %bb.749:
	global_store_short v[0:1], v2, off
.LBB336_750:
	s_mov_b64 s[30:31], 0
.LBB336_751:
	s_andn2_b64 vcc, exec, s[30:31]
	s_cbranch_vccnz .LBB336_767
; %bb.752:
	s_cmp_lt_i32 s34, 2
	s_mov_b64 s[30:31], -1
	s_cbranch_scc1 .LBB336_762
; %bb.753:
	s_cmp_lt_i32 s34, 3
	s_cbranch_scc1 .LBB336_759
; %bb.754:
	s_cmp_gt_i32 s34, 3
	s_cbranch_scc0 .LBB336_756
; %bb.755:
	v_cvt_f32_f16_e32 v3, v2
	s_mov_b64 s[30:31], 0
	v_cvt_i32_f32_e32 v6, v3
	v_ashrrev_i32_e32 v7, 31, v6
	global_store_dwordx2 v[0:1], v[6:7], off
.LBB336_756:
	s_andn2_b64 vcc, exec, s[30:31]
	s_cbranch_vccnz .LBB336_758
; %bb.757:
	v_cvt_f32_f16_e32 v3, v2
	v_cvt_i32_f32_e32 v3, v3
	global_store_dword v[0:1], v3, off
.LBB336_758:
	s_mov_b64 s[30:31], 0
.LBB336_759:
	s_andn2_b64 vcc, exec, s[30:31]
	s_cbranch_vccnz .LBB336_761
; %bb.760:
	v_cvt_i16_f16_e32 v3, v2
	global_store_short v[0:1], v3, off
.LBB336_761:
	s_mov_b64 s[30:31], 0
.LBB336_762:
	s_andn2_b64 vcc, exec, s[30:31]
	s_cbranch_vccnz .LBB336_767
; %bb.763:
	s_cmp_gt_i32 s34, 0
	s_mov_b64 s[30:31], -1
	s_cbranch_scc0 .LBB336_765
; %bb.764:
	v_cvt_i16_f16_e32 v3, v2
	s_mov_b64 s[30:31], 0
	global_store_byte v[0:1], v3, off
.LBB336_765:
	s_andn2_b64 vcc, exec, s[30:31]
	s_cbranch_vccnz .LBB336_767
; %bb.766:
	v_cvt_f32_f16_e32 v2, v2
	v_cvt_i32_f32_e32 v2, v2
	global_store_byte v[0:1], v2, off
.LBB336_767:
	s_mov_b64 s[30:31], -1
.LBB336_768:
	s_andn2_b64 vcc, exec, s[30:31]
	s_cbranch_vccnz .LBB336_770
; %bb.769:
	v_add_u32_e32 v4, 0x80, v4
	s_mov_b64 s[34:35], -1
	s_branch .LBB336_771
.LBB336_770:
	s_mov_b64 s[34:35], 0
                                        ; implicit-def: $vgpr4
.LBB336_771:
	s_andn2_b64 s[30:31], s[22:23], exec
	s_and_b64 s[0:1], s[0:1], exec
	s_or_b64 s[30:31], s[30:31], s[0:1]
	s_andn2_b64 s[0:1], s[20:21], exec
	s_and_b64 s[28:29], s[28:29], exec
	s_or_b64 s[0:1], s[0:1], s[28:29]
	s_orn2_b64 s[36:37], s[34:35], exec
.LBB336_772:
	s_or_b64 exec, exec, s[26:27]
	s_mov_b64 s[34:35], 0
	s_mov_b64 s[28:29], 0
	;; [unrolled: 1-line block ×3, first 2 shown]
                                        ; implicit-def: $vgpr0_vgpr1
                                        ; implicit-def: $vgpr3
	s_and_saveexec_b64 s[26:27], s[36:37]
	s_cbranch_execz .LBB336_857
; %bb.773:
	v_cmp_gt_i32_e32 vcc, s40, v4
	s_mov_b64 s[36:37], 0
	s_mov_b64 s[40:41], s[0:1]
	;; [unrolled: 1-line block ×3, first 2 shown]
                                        ; implicit-def: $vgpr0_vgpr1
                                        ; implicit-def: $vgpr3
	s_and_saveexec_b64 s[28:29], vcc
	s_cbranch_execz .LBB336_856
; %bb.774:
	v_mul_lo_u32 v0, v4, s9
	v_ashrrev_i32_e32 v1, 31, v0
	s_and_b32 s45, 0xffff, s44
	s_cmp_lt_i32 s45, 11
	v_lshl_add_u64 v[0:1], s[6:7], 0, v[0:1]
	s_cbranch_scc1 .LBB336_781
; %bb.775:
	s_cmp_gt_i32 s45, 25
	s_cbranch_scc0 .LBB336_782
; %bb.776:
	s_cmp_gt_i32 s45, 28
	s_cbranch_scc0 .LBB336_783
; %bb.777:
	s_cmp_gt_i32 s45, 43
	s_cbranch_scc0 .LBB336_784
; %bb.778:
	s_cmp_gt_i32 s45, 45
	s_cbranch_scc0 .LBB336_787
; %bb.779:
	s_cmp_eq_u32 s45, 46
	s_mov_b64 s[40:41], 0
	s_cbranch_scc0 .LBB336_790
; %bb.780:
	global_load_dword v2, v[0:1], off
	s_mov_b64 s[38:39], -1
	s_waitcnt vmcnt(0)
	v_lshlrev_b32_e32 v2, 16, v2
	v_cvt_f16_f32_e32 v3, v2
	s_branch .LBB336_792
.LBB336_781:
	s_mov_b64 s[40:41], -1
                                        ; implicit-def: $vgpr3
	s_mov_b64 s[34:35], s[0:1]
	s_branch .LBB336_855
.LBB336_782:
	s_mov_b64 s[40:41], -1
	s_mov_b64 s[34:35], s[0:1]
                                        ; implicit-def: $vgpr3
	s_branch .LBB336_821
.LBB336_783:
	s_mov_b64 s[40:41], -1
	s_mov_b64 s[34:35], s[0:1]
                                        ; implicit-def: $vgpr3
	s_branch .LBB336_802
.LBB336_784:
	s_mov_b64 s[40:41], -1
	s_mov_b64 s[34:35], s[0:1]
                                        ; implicit-def: $vgpr3
	s_branch .LBB336_797
.LBB336_785:
	s_andn2_saveexec_b64 s[36:37], s[36:37]
	s_cbranch_execz .LBB336_681
.LBB336_786:
	s_mov_b32 s41, 0x46000000
	v_add_f32_e64 v5, |v3|, s41
	v_and_b32_e32 v5, 0xff, v5
	v_cmp_ne_u32_e32 vcc, 0, v5
	s_andn2_b64 s[34:35], s[34:35], exec
	s_and_b64 s[42:43], vcc, exec
	s_or_b64 s[34:35], s[34:35], s[42:43]
	s_or_b64 exec, exec, s[36:37]
	v_mov_b32_e32 v6, 0
	s_and_saveexec_b64 s[36:37], s[34:35]
	s_cbranch_execnz .LBB336_682
	s_branch .LBB336_683
.LBB336_787:
	s_mov_b64 s[40:41], -1
	s_mov_b64 s[34:35], s[0:1]
	s_branch .LBB336_791
.LBB336_788:
	s_andn2_saveexec_b64 s[36:37], s[36:37]
	s_cbranch_execz .LBB336_694
.LBB336_789:
	s_mov_b32 s41, 0x42800000
	v_add_f32_e64 v5, |v3|, s41
	v_and_b32_e32 v5, 0xff, v5
	v_cmp_ne_u32_e32 vcc, 0, v5
	s_andn2_b64 s[34:35], s[34:35], exec
	s_and_b64 s[42:43], vcc, exec
	s_or_b64 s[34:35], s[34:35], s[42:43]
	s_or_b64 exec, exec, s[36:37]
	v_mov_b32_e32 v6, 0
	s_and_saveexec_b64 s[36:37], s[34:35]
	s_cbranch_execnz .LBB336_695
	s_branch .LBB336_696
.LBB336_790:
	s_mov_b64 s[34:35], -1
.LBB336_791:
                                        ; implicit-def: $vgpr3
.LBB336_792:
	s_and_b64 vcc, exec, s[40:41]
	s_cbranch_vccz .LBB336_796
; %bb.793:
	s_cmp_eq_u32 s45, 44
	s_cbranch_scc0 .LBB336_795
; %bb.794:
	global_load_ubyte v2, v[0:1], off
	s_movk_i32 s38, 0xff
	v_mov_b32_e32 v5, 0x7e00
	s_mov_b64 s[34:35], 0
	s_waitcnt vmcnt(0)
	v_lshlrev_b32_e32 v3, 23, v2
	v_cvt_f16_f32_e32 v3, v3
	v_cmp_ne_u32_e32 vcc, s38, v2
	s_mov_b64 s[38:39], -1
	s_nop 0
	v_cndmask_b32_e32 v3, v5, v3, vcc
	v_cmp_ne_u32_e32 vcc, 0, v2
	s_nop 1
	v_cndmask_b32_e32 v3, 0, v3, vcc
	s_branch .LBB336_796
.LBB336_795:
	s_mov_b64 s[34:35], -1
                                        ; implicit-def: $vgpr3
.LBB336_796:
	s_mov_b64 s[40:41], 0
.LBB336_797:
	s_and_b64 vcc, exec, s[40:41]
	s_cbranch_vccz .LBB336_801
; %bb.798:
	s_cmp_eq_u32 s45, 29
	s_cbranch_scc0 .LBB336_800
; %bb.799:
	global_load_dwordx2 v[2:3], v[0:1], off
	s_mov_b64 s[34:35], 0
	s_mov_b64 s[38:39], -1
	s_mov_b64 s[40:41], 0
	s_waitcnt vmcnt(0)
	v_ffbh_u32_e32 v5, v3
	v_min_u32_e32 v5, 32, v5
	v_lshlrev_b64 v[2:3], v5, v[2:3]
	v_min_u32_e32 v2, 1, v2
	v_or_b32_e32 v2, v3, v2
	v_cvt_f32_u32_e32 v2, v2
	v_sub_u32_e32 v3, 32, v5
	v_ldexp_f32 v2, v2, v3
	v_cvt_f16_f32_e32 v3, v2
	s_branch .LBB336_802
.LBB336_800:
	s_mov_b64 s[34:35], -1
                                        ; implicit-def: $vgpr3
.LBB336_801:
	s_mov_b64 s[40:41], 0
.LBB336_802:
	s_and_b64 vcc, exec, s[40:41]
	s_cbranch_vccz .LBB336_820
; %bb.803:
	s_cmp_lt_i32 s45, 27
	s_cbranch_scc1 .LBB336_806
; %bb.804:
	s_cmp_gt_i32 s45, 27
	s_cbranch_scc0 .LBB336_807
; %bb.805:
	global_load_dword v2, v[0:1], off
	s_mov_b64 s[38:39], 0
	s_waitcnt vmcnt(0)
	v_cvt_f32_u32_e32 v2, v2
	v_cvt_f16_f32_e32 v3, v2
	s_branch .LBB336_808
.LBB336_806:
	s_mov_b64 s[38:39], -1
                                        ; implicit-def: $vgpr3
	s_branch .LBB336_811
.LBB336_807:
	s_mov_b64 s[38:39], -1
                                        ; implicit-def: $vgpr3
.LBB336_808:
	s_andn2_b64 vcc, exec, s[38:39]
	s_cbranch_vccnz .LBB336_810
; %bb.809:
	global_load_ushort v2, v[0:1], off
	s_waitcnt vmcnt(0)
	v_cvt_f16_u16_e32 v3, v2
.LBB336_810:
	s_mov_b64 s[38:39], 0
.LBB336_811:
	s_andn2_b64 vcc, exec, s[38:39]
	s_cbranch_vccnz .LBB336_819
; %bb.812:
	global_load_ubyte v2, v[0:1], off
	s_movk_i32 s38, 0x7f
	s_waitcnt vmcnt(0)
	v_cmp_lt_i16_e32 vcc, s38, v2
	s_mov_b64 s[38:39], 0
	s_and_saveexec_b64 s[40:41], vcc
	s_xor_b64 s[40:41], exec, s[40:41]
	s_cbranch_execz .LBB336_833
; %bb.813:
	s_movk_i32 s38, 0x80
	v_cmp_eq_u16_e32 vcc, s38, v2
	s_mov_b64 s[38:39], -1
	s_and_saveexec_b64 s[42:43], vcc
; %bb.814:
	s_xor_b64 s[38:39], exec, -1
; %bb.815:
	s_or_b64 exec, exec, s[42:43]
	s_and_b64 s[38:39], s[38:39], exec
	s_or_saveexec_b64 s[40:41], s[40:41]
	v_mov_b32_e32 v3, 0x7e00
	s_xor_b64 exec, exec, s[40:41]
	s_cbranch_execnz .LBB336_834
.LBB336_816:
	s_or_b64 exec, exec, s[40:41]
	s_and_saveexec_b64 s[40:41], s[38:39]
	s_cbranch_execz .LBB336_818
.LBB336_817:
	v_lshlrev_b32_e32 v3, 24, v2
	v_and_b32_e32 v2, 0xffff, v2
	v_and_b32_e32 v5, 7, v2
	v_ffbh_u32_e32 v7, v5
	v_min_u32_e32 v7, 32, v7
	v_subrev_u32_e32 v8, 28, v7
	v_bfe_u32 v6, v2, 3, 4
	v_lshlrev_b32_e32 v2, v8, v2
	v_sub_u32_e32 v7, 29, v7
	v_and_b32_e32 v2, 7, v2
	v_cmp_eq_u32_e32 vcc, 0, v6
	v_and_b32_e32 v3, 0x80000000, v3
	s_nop 0
	v_cndmask_b32_e32 v6, v6, v7, vcc
	v_cndmask_b32_e32 v2, v5, v2, vcc
	v_mov_b32_e32 v5, 0x3b800000
	v_lshlrev_b32_e32 v2, 20, v2
	v_lshl_add_u32 v5, v6, 23, v5
	v_or3_b32 v2, v3, v5, v2
	v_cvt_f16_f32_e32 v3, v2
.LBB336_818:
	s_or_b64 exec, exec, s[40:41]
.LBB336_819:
	s_mov_b64 s[38:39], -1
.LBB336_820:
	s_mov_b64 s[40:41], 0
.LBB336_821:
	s_and_b64 vcc, exec, s[40:41]
	s_cbranch_vccz .LBB336_854
; %bb.822:
	s_cmp_gt_i32 s45, 22
	s_cbranch_scc0 .LBB336_832
; %bb.823:
	s_cmp_lt_i32 s45, 24
	s_cbranch_scc1 .LBB336_835
; %bb.824:
	s_cmp_gt_i32 s45, 24
	s_cbranch_scc0 .LBB336_836
; %bb.825:
	global_load_ubyte v2, v[0:1], off
	s_movk_i32 s36, 0x7f
	s_waitcnt vmcnt(0)
	v_cmp_lt_i16_e32 vcc, s36, v2
	s_mov_b64 s[36:37], 0
	s_and_saveexec_b64 s[38:39], vcc
	s_xor_b64 s[38:39], exec, s[38:39]
	s_cbranch_execz .LBB336_848
; %bb.826:
	s_movk_i32 s36, 0x80
	v_cmp_eq_u16_e32 vcc, s36, v2
	s_mov_b64 s[36:37], -1
	s_and_saveexec_b64 s[40:41], vcc
; %bb.827:
	s_xor_b64 s[36:37], exec, -1
; %bb.828:
	s_or_b64 exec, exec, s[40:41]
	s_and_b64 s[36:37], s[36:37], exec
	s_or_saveexec_b64 s[38:39], s[38:39]
	v_mov_b32_e32 v3, 0x7e00
	s_xor_b64 exec, exec, s[38:39]
	s_cbranch_execnz .LBB336_849
.LBB336_829:
	s_or_b64 exec, exec, s[38:39]
	s_and_saveexec_b64 s[38:39], s[36:37]
	s_cbranch_execz .LBB336_831
.LBB336_830:
	v_lshlrev_b32_e32 v3, 24, v2
	v_and_b32_e32 v2, 0xffff, v2
	v_and_b32_e32 v5, 3, v2
	v_ffbh_u32_e32 v7, v5
	v_min_u32_e32 v7, 32, v7
	v_subrev_u32_e32 v8, 29, v7
	v_bfe_u32 v6, v2, 2, 5
	v_lshlrev_b32_e32 v2, v8, v2
	v_sub_u32_e32 v7, 30, v7
	v_and_b32_e32 v2, 3, v2
	v_cmp_eq_u32_e32 vcc, 0, v6
	v_and_b32_e32 v3, 0x80000000, v3
	s_nop 0
	v_cndmask_b32_e32 v6, v6, v7, vcc
	v_cndmask_b32_e32 v2, v5, v2, vcc
	v_mov_b32_e32 v5, 0x37800000
	v_lshlrev_b32_e32 v2, 21, v2
	v_lshl_add_u32 v5, v6, 23, v5
	v_or3_b32 v2, v3, v5, v2
	v_cvt_f16_f32_e32 v3, v2
.LBB336_831:
	s_or_b64 exec, exec, s[38:39]
	s_mov_b64 s[36:37], 0
	s_branch .LBB336_837
.LBB336_832:
	s_mov_b64 s[36:37], -1
                                        ; implicit-def: $vgpr3
	s_branch .LBB336_843
.LBB336_833:
	s_or_saveexec_b64 s[40:41], s[40:41]
	v_mov_b32_e32 v3, 0x7e00
	s_xor_b64 exec, exec, s[40:41]
	s_cbranch_execz .LBB336_816
.LBB336_834:
	v_cmp_ne_u16_e32 vcc, 0, v2
	s_andn2_b64 s[38:39], s[38:39], exec
	s_and_b64 s[42:43], vcc, exec
	s_or_b64 s[38:39], s[38:39], s[42:43]
	v_mov_b32_e32 v3, v2
	s_or_b64 exec, exec, s[40:41]
	s_and_saveexec_b64 s[40:41], s[38:39]
	s_cbranch_execnz .LBB336_817
	s_branch .LBB336_818
.LBB336_835:
	s_mov_b64 s[36:37], -1
                                        ; implicit-def: $vgpr3
	s_branch .LBB336_840
.LBB336_836:
	s_mov_b64 s[36:37], -1
                                        ; implicit-def: $vgpr3
.LBB336_837:
	s_and_b64 vcc, exec, s[36:37]
	s_cbranch_vccz .LBB336_839
; %bb.838:
	global_load_ubyte v2, v[0:1], off
	s_mov_b32 s36, 0x7f800000
	s_waitcnt vmcnt(0)
	v_lshlrev_b32_e32 v2, 24, v2
	v_and_b32_e32 v3, 0x7f000000, v2
	v_ffbh_u32_e32 v5, v3
	v_min_u32_e32 v5, 32, v5
	v_sub_u32_e64 v5, v5, 4 clamp
	v_lshlrev_b32_e32 v7, v5, v3
	v_lshlrev_b32_e32 v5, 23, v5
	v_lshrrev_b32_e32 v7, 4, v7
	v_add_u32_e32 v6, 0x1000000, v3
	v_sub_u32_e32 v5, v7, v5
	v_ashrrev_i32_e32 v6, 8, v6
	v_add_u32_e32 v5, 0x3c000000, v5
	v_and_or_b32 v5, v6, s36, v5
	v_cmp_ne_u32_e32 vcc, 0, v3
	s_brev_b32 s36, 1
	s_nop 0
	v_cndmask_b32_e32 v3, 0, v5, vcc
	v_and_or_b32 v2, v2, s36, v3
	v_cvt_f16_f32_e32 v3, v2
.LBB336_839:
	s_mov_b64 s[36:37], 0
.LBB336_840:
	s_andn2_b64 vcc, exec, s[36:37]
	s_cbranch_vccnz .LBB336_842
; %bb.841:
	global_load_ubyte v2, v[0:1], off
	s_movk_i32 s36, 0x7f00
	s_brev_b32 s37, 16
	s_waitcnt vmcnt(0)
	v_lshlrev_b16_e32 v3, 8, v2
	v_lshlrev_b32_e32 v2, 25, v2
	v_lshrrev_b32_e32 v5, 4, v2
	v_and_or_b32 v6, v3, s36, 0.5
	v_or_b32_e32 v5, 0x70000000, v5
	v_add_f32_e32 v6, -0.5, v6
	v_mul_f32_e32 v5, 0x7800000, v5
	v_cmp_gt_u32_e32 vcc, s37, v2
	v_bfe_i32 v3, v3, 0, 16
	s_brev_b32 s36, 1
	v_cndmask_b32_e32 v2, v5, v6, vcc
	v_and_or_b32 v2, v3, s36, v2
	v_cvt_f16_f32_e32 v3, v2
.LBB336_842:
	s_mov_b64 s[36:37], 0
	s_mov_b64 s[38:39], -1
.LBB336_843:
	s_andn2_b64 vcc, exec, s[36:37]
	s_mov_b64 s[36:37], 0
	s_cbranch_vccnz .LBB336_854
; %bb.844:
	s_cmp_gt_i32 s45, 14
	s_cbranch_scc0 .LBB336_847
; %bb.845:
	s_cmp_eq_u32 s45, 15
	s_cbranch_scc0 .LBB336_850
; %bb.846:
	global_load_ushort v2, v[0:1], off
	s_mov_b64 s[34:35], 0
	s_mov_b64 s[38:39], -1
	s_waitcnt vmcnt(0)
	v_lshlrev_b32_e32 v2, 16, v2
	v_cvt_f16_f32_e32 v3, v2
	s_branch .LBB336_851
.LBB336_847:
	s_mov_b64 s[40:41], -1
                                        ; implicit-def: $vgpr3
	s_branch .LBB336_852
.LBB336_848:
	s_or_saveexec_b64 s[38:39], s[38:39]
	v_mov_b32_e32 v3, 0x7e00
	s_xor_b64 exec, exec, s[38:39]
	s_cbranch_execz .LBB336_829
.LBB336_849:
	v_cmp_ne_u16_e32 vcc, 0, v2
	s_andn2_b64 s[36:37], s[36:37], exec
	s_and_b64 s[40:41], vcc, exec
	s_or_b64 s[36:37], s[36:37], s[40:41]
	v_mov_b32_e32 v3, v2
	s_or_b64 exec, exec, s[38:39]
	s_and_saveexec_b64 s[38:39], s[36:37]
	s_cbranch_execnz .LBB336_830
	s_branch .LBB336_831
.LBB336_850:
	s_mov_b64 s[34:35], -1
                                        ; implicit-def: $vgpr3
.LBB336_851:
	s_mov_b64 s[40:41], 0
.LBB336_852:
	s_and_b64 vcc, exec, s[40:41]
	s_cbranch_vccz .LBB336_854
; %bb.853:
	s_cmp_lg_u32 s45, 11
	s_cselect_b64 s[40:41], -1, 0
	s_andn2_b64 s[34:35], s[34:35], exec
	s_and_b64 s[40:41], s[40:41], exec
	s_mov_b64 s[36:37], -1
	s_or_b64 s[34:35], s[34:35], s[40:41]
.LBB336_854:
	s_mov_b64 s[40:41], 0
.LBB336_855:
	s_and_b64 s[42:43], s[40:41], exec
	s_andn2_b64 s[40:41], s[0:1], exec
	s_and_b64 s[34:35], s[34:35], exec
	s_and_b64 s[38:39], s[38:39], exec
	;; [unrolled: 1-line block ×3, first 2 shown]
	s_or_b64 s[40:41], s[40:41], s[34:35]
.LBB336_856:
	s_or_b64 exec, exec, s[28:29]
	s_and_b64 s[34:35], s[36:37], exec
	s_andn2_b64 s[0:1], s[0:1], exec
	s_and_b64 s[36:37], s[40:41], exec
	s_and_b64 s[38:39], s[38:39], exec
	;; [unrolled: 1-line block ×3, first 2 shown]
	s_or_b64 s[0:1], s[0:1], s[36:37]
.LBB336_857:
	s_or_b64 exec, exec, s[26:27]
	s_andn2_b64 s[22:23], s[22:23], exec
	s_and_b64 s[26:27], s[30:31], exec
	s_andn2_b64 s[20:21], s[20:21], exec
	s_and_b64 s[0:1], s[0:1], exec
	s_or_b64 s[22:23], s[22:23], s[26:27]
	s_and_b64 s[30:31], s[38:39], exec
	s_and_b64 s[28:29], s[28:29], exec
	;; [unrolled: 1-line block ×3, first 2 shown]
	s_or_b64 s[20:21], s[20:21], s[0:1]
.LBB336_858:
	s_or_b64 exec, exec, s[24:25]
	s_andn2_b64 s[0:1], s[14:15], exec
	s_and_b64 s[14:15], s[22:23], exec
	s_andn2_b64 s[16:17], s[16:17], exec
	s_and_b64 s[20:21], s[20:21], exec
	s_or_b64 s[14:15], s[0:1], s[14:15]
	s_and_b64 s[0:1], s[30:31], exec
	s_and_b64 s[24:25], s[28:29], exec
	;; [unrolled: 1-line block ×3, first 2 shown]
	s_or_b64 s[16:17], s[16:17], s[20:21]
	s_or_b64 exec, exec, s[18:19]
	s_mov_b64 s[18:19], 0
	s_and_saveexec_b64 s[20:21], s[16:17]
	s_cbranch_execz .LBB336_262
.LBB336_859:
	s_mov_b64 s[18:19], exec
	s_andn2_b64 s[22:23], s[22:23], exec
	s_trap 2
	s_or_b64 exec, exec, s[20:21]
	s_and_saveexec_b64 s[16:17], s[22:23]
	s_xor_b64 s[16:17], exec, s[16:17]
	s_cbranch_execnz .LBB336_263
.LBB336_860:
	s_or_b64 exec, exec, s[16:17]
	s_and_saveexec_b64 s[16:17], s[24:25]
	s_cbranch_execz .LBB336_906
.LBB336_861:
	s_sext_i32_i16 s20, s44
	s_cmp_lt_i32 s20, 5
	s_cbranch_scc1 .LBB336_866
; %bb.862:
	s_cmp_lt_i32 s20, 8
	s_cbranch_scc1 .LBB336_867
; %bb.863:
	s_cmp_lt_i32 s20, 9
	s_cbranch_scc1 .LBB336_868
; %bb.864:
	s_cmp_gt_i32 s20, 9
	s_cbranch_scc0 .LBB336_869
; %bb.865:
	global_load_dwordx2 v[2:3], v[0:1], off
	s_movk_i32 s20, 0x1ff
	s_movk_i32 s21, 0xffe
	v_mov_b32_e32 v5, 0x7c00
	v_mov_b32_e32 v6, 0x7e00
	s_movk_i32 s22, 0x40f
	s_mov_b32 s23, 0x8000
	s_waitcnt vmcnt(0)
	v_and_or_b32 v2, v3, s20, v2
	v_cmp_ne_u32_e32 vcc, 0, v2
	v_lshrrev_b32_e32 v7, 8, v3
	v_bfe_u32 v8, v3, 20, 11
	v_cndmask_b32_e64 v2, 0, 1, vcc
	v_sub_u32_e32 v9, 0x3f1, v8
	v_and_or_b32 v2, v7, s21, v2
	v_add_u32_e32 v8, 0xfffffc10, v8
	v_med3_i32 v7, v9, 0, 13
	v_or_b32_e32 v9, 0x1000, v2
	v_cmp_ne_u32_e32 vcc, 0, v2
	v_lshl_or_b32 v10, v8, 12, v2
	v_lshrrev_b32_e32 v3, 16, v3
	v_cndmask_b32_e32 v2, v5, v6, vcc
	v_lshrrev_b32_e32 v6, v7, v9
	v_lshlrev_b32_e32 v7, v7, v6
	v_cmp_ne_u32_e32 vcc, v7, v9
	s_mov_b64 s[20:21], 0
	s_nop 0
	v_cndmask_b32_e64 v7, 0, 1, vcc
	v_or_b32_e32 v6, v6, v7
	v_cmp_gt_i32_e32 vcc, 1, v8
	s_nop 1
	v_cndmask_b32_e32 v6, v10, v6, vcc
	v_and_b32_e32 v7, 7, v6
	v_cmp_lt_i32_e32 vcc, 5, v7
	v_lshrrev_b32_e32 v6, 2, v6
	s_nop 0
	v_cndmask_b32_e64 v9, 0, 1, vcc
	v_cmp_eq_u32_e32 vcc, 3, v7
	s_nop 1
	v_cndmask_b32_e64 v7, 0, 1, vcc
	v_or_b32_e32 v7, v7, v9
	v_add_u32_e32 v6, v6, v7
	v_cmp_gt_i32_e32 vcc, 31, v8
	s_nop 1
	v_cndmask_b32_e32 v5, v5, v6, vcc
	v_cmp_eq_u32_e32 vcc, s22, v8
	s_nop 1
	v_cndmask_b32_e32 v2, v5, v2, vcc
	v_and_or_b32 v3, v3, s23, v2
	s_branch .LBB336_870
.LBB336_866:
                                        ; implicit-def: $vgpr3
	s_branch .LBB336_887
.LBB336_867:
                                        ; implicit-def: $vgpr3
	s_branch .LBB336_876
.LBB336_868:
	s_mov_b64 s[20:21], -1
                                        ; implicit-def: $vgpr3
	s_branch .LBB336_873
.LBB336_869:
	s_mov_b64 s[20:21], -1
                                        ; implicit-def: $vgpr3
.LBB336_870:
	s_andn2_b64 vcc, exec, s[20:21]
	s_cbranch_vccnz .LBB336_872
; %bb.871:
	global_load_dword v2, v[0:1], off
	s_waitcnt vmcnt(0)
	v_cvt_f16_f32_e32 v3, v2
.LBB336_872:
	s_mov_b64 s[20:21], 0
.LBB336_873:
	s_andn2_b64 vcc, exec, s[20:21]
	s_cbranch_vccnz .LBB336_875
; %bb.874:
	global_load_dword v3, v[0:1], off
.LBB336_875:
	s_cbranch_execnz .LBB336_886
.LBB336_876:
	s_sext_i32_i16 s20, s44
	s_cmp_lt_i32 s20, 6
	s_cbranch_scc1 .LBB336_879
; %bb.877:
	s_cmp_gt_i32 s20, 6
	s_cbranch_scc0 .LBB336_880
; %bb.878:
	global_load_dwordx2 v[2:3], v[0:1], off
	s_movk_i32 s20, 0x1ff
	s_movk_i32 s21, 0xffe
	v_mov_b32_e32 v5, 0x7c00
	v_mov_b32_e32 v6, 0x7e00
	s_movk_i32 s22, 0x40f
	s_mov_b32 s23, 0x8000
	s_waitcnt vmcnt(0)
	v_and_or_b32 v2, v3, s20, v2
	v_cmp_ne_u32_e32 vcc, 0, v2
	v_lshrrev_b32_e32 v7, 8, v3
	v_bfe_u32 v8, v3, 20, 11
	v_cndmask_b32_e64 v2, 0, 1, vcc
	v_sub_u32_e32 v9, 0x3f1, v8
	v_and_or_b32 v2, v7, s21, v2
	v_add_u32_e32 v8, 0xfffffc10, v8
	v_med3_i32 v7, v9, 0, 13
	v_or_b32_e32 v9, 0x1000, v2
	v_cmp_ne_u32_e32 vcc, 0, v2
	v_lshl_or_b32 v10, v8, 12, v2
	v_lshrrev_b32_e32 v3, 16, v3
	v_cndmask_b32_e32 v2, v5, v6, vcc
	v_lshrrev_b32_e32 v6, v7, v9
	v_lshlrev_b32_e32 v7, v7, v6
	v_cmp_ne_u32_e32 vcc, v7, v9
	s_mov_b64 s[20:21], 0
	s_nop 0
	v_cndmask_b32_e64 v7, 0, 1, vcc
	v_or_b32_e32 v6, v6, v7
	v_cmp_gt_i32_e32 vcc, 1, v8
	s_nop 1
	v_cndmask_b32_e32 v6, v10, v6, vcc
	v_and_b32_e32 v7, 7, v6
	v_cmp_lt_i32_e32 vcc, 5, v7
	v_lshrrev_b32_e32 v6, 2, v6
	s_nop 0
	v_cndmask_b32_e64 v9, 0, 1, vcc
	v_cmp_eq_u32_e32 vcc, 3, v7
	s_nop 1
	v_cndmask_b32_e64 v7, 0, 1, vcc
	v_or_b32_e32 v7, v7, v9
	v_add_u32_e32 v6, v6, v7
	v_cmp_gt_i32_e32 vcc, 31, v8
	s_nop 1
	v_cndmask_b32_e32 v5, v5, v6, vcc
	v_cmp_eq_u32_e32 vcc, s22, v8
	s_nop 1
	v_cndmask_b32_e32 v2, v5, v2, vcc
	v_and_or_b32 v3, v3, s23, v2
	s_branch .LBB336_881
.LBB336_879:
	s_mov_b64 s[20:21], -1
                                        ; implicit-def: $vgpr3
	s_branch .LBB336_884
.LBB336_880:
	s_mov_b64 s[20:21], -1
                                        ; implicit-def: $vgpr3
.LBB336_881:
	s_andn2_b64 vcc, exec, s[20:21]
	s_cbranch_vccnz .LBB336_883
; %bb.882:
	global_load_dword v2, v[0:1], off
	s_waitcnt vmcnt(0)
	v_cvt_f16_f32_e32 v3, v2
.LBB336_883:
	s_mov_b64 s[20:21], 0
.LBB336_884:
	s_andn2_b64 vcc, exec, s[20:21]
	s_cbranch_vccnz .LBB336_886
; %bb.885:
	global_load_ushort v3, v[0:1], off
.LBB336_886:
	s_cbranch_execnz .LBB336_905
.LBB336_887:
	s_sext_i32_i16 s20, s44
	s_cmp_lt_i32 s20, 2
	s_cbranch_scc1 .LBB336_891
; %bb.888:
	s_cmp_lt_i32 s20, 3
	s_cbranch_scc1 .LBB336_892
; %bb.889:
	s_cmp_gt_i32 s20, 3
	s_cbranch_scc0 .LBB336_893
; %bb.890:
	global_load_dwordx2 v[2:3], v[0:1], off
	s_mov_b64 s[20:21], 0
	s_waitcnt vmcnt(0)
	v_xor_b32_e32 v6, v2, v3
	v_ffbh_i32_e32 v5, v3
	v_ashrrev_i32_e32 v6, 31, v6
	v_add_u32_e32 v5, -1, v5
	v_add_u32_e32 v6, 32, v6
	v_min_u32_e32 v5, v5, v6
	v_lshlrev_b64 v[2:3], v5, v[2:3]
	v_min_u32_e32 v2, 1, v2
	v_or_b32_e32 v2, v3, v2
	v_cvt_f32_i32_e32 v2, v2
	v_sub_u32_e32 v3, 32, v5
	v_ldexp_f32 v2, v2, v3
	v_cvt_f16_f32_e32 v3, v2
	s_branch .LBB336_894
.LBB336_891:
                                        ; implicit-def: $vgpr3
	s_branch .LBB336_900
.LBB336_892:
	s_mov_b64 s[20:21], -1
                                        ; implicit-def: $vgpr3
	s_branch .LBB336_897
.LBB336_893:
	s_mov_b64 s[20:21], -1
                                        ; implicit-def: $vgpr3
.LBB336_894:
	s_andn2_b64 vcc, exec, s[20:21]
	s_cbranch_vccnz .LBB336_896
; %bb.895:
	global_load_dword v2, v[0:1], off
	s_waitcnt vmcnt(0)
	v_cvt_f32_i32_e32 v2, v2
	v_cvt_f16_f32_e32 v3, v2
.LBB336_896:
	s_mov_b64 s[20:21], 0
.LBB336_897:
	s_andn2_b64 vcc, exec, s[20:21]
	s_cbranch_vccnz .LBB336_899
; %bb.898:
	global_load_ushort v2, v[0:1], off
	s_waitcnt vmcnt(0)
	v_cvt_f16_i16_e32 v3, v2
.LBB336_899:
	s_cbranch_execnz .LBB336_905
.LBB336_900:
	s_sext_i32_i16 s20, s44
	s_cmp_gt_i32 s20, 0
	s_cbranch_scc0 .LBB336_902
; %bb.901:
	global_load_sbyte v2, v[0:1], off
	s_mov_b64 s[20:21], 0
	s_waitcnt vmcnt(0)
	v_cvt_f16_i16_e32 v3, v2
	s_branch .LBB336_903
.LBB336_902:
	s_mov_b64 s[20:21], -1
                                        ; implicit-def: $vgpr3
.LBB336_903:
	s_andn2_b64 vcc, exec, s[20:21]
	s_cbranch_vccnz .LBB336_905
; %bb.904:
	global_load_ubyte v0, v[0:1], off
	s_waitcnt vmcnt(0)
	v_cvt_f16_u16_e32 v3, v0
.LBB336_905:
	s_or_b64 s[0:1], s[0:1], exec
.LBB336_906:
	s_or_b64 exec, exec, s[16:17]
	s_mov_b64 s[22:23], 0
	s_mov_b64 s[20:21], 0
                                        ; implicit-def: $sgpr28
                                        ; implicit-def: $vgpr0_vgpr1
                                        ; implicit-def: $vgpr2
	s_and_saveexec_b64 s[16:17], s[0:1]
	s_cbranch_execz .LBB336_924
; %bb.907:
	v_mov_b32_e32 v0, s10
	s_waitcnt vmcnt(0)
	v_cmp_lt_f16_e32 vcc, s10, v3
	v_mov_b32_e32 v1, s33
	s_and_b32 s28, s11, 0xff
	v_cndmask_b32_e32 v0, v0, v3, vcc
	v_cmp_gt_f16_e32 vcc, s33, v0
	s_cmp_lt_i32 s28, 11
	s_nop 0
	v_cndmask_b32_e32 v0, v1, v0, vcc
	v_cmp_u_f16_e32 vcc, v3, v3
	s_nop 1
	v_cndmask_b32_e32 v2, v0, v3, vcc
	v_mul_lo_u32 v0, v4, s8
	v_ashrrev_i32_e32 v1, 31, v0
	v_lshl_add_u64 v[0:1], s[4:5], 0, v[0:1]
	s_cbranch_scc1 .LBB336_927
; %bb.908:
	s_and_b32 s29, 0xffff, s28
	s_mov_b64 s[22:23], -1
	s_cmp_gt_i32 s29, 25
	s_mov_b64 s[0:1], s[14:15]
	s_cbranch_scc0 .LBB336_945
; %bb.909:
	s_mov_b64 s[20:21], -1
	s_cmp_gt_i32 s29, 28
	s_mov_b64 s[0:1], s[14:15]
	s_cbranch_scc0 .LBB336_929
; %bb.910:
	s_cmp_gt_i32 s29, 43
	s_mov_b64 s[0:1], s[14:15]
	s_cbranch_scc0 .LBB336_921
; %bb.911:
	;; [unrolled: 4-line block ×3, first 2 shown]
	s_cmp_eq_u32 s29, 46
	s_mov_b64 s[0:1], -1
	s_cbranch_scc0 .LBB336_914
; %bb.913:
	v_cvt_f32_f16_e32 v3, v2
	s_movk_i32 s0, 0x7fff
	v_cmp_o_f16_e32 vcc, v2, v2
	v_mov_b32_e32 v4, 0x7fc0
	v_bfe_u32 v5, v3, 16, 1
	v_add3_u32 v3, v3, v5, s0
	v_cndmask_b32_sdwa v3, v4, v3, vcc dst_sel:DWORD dst_unused:UNUSED_PAD src0_sel:DWORD src1_sel:WORD_1
	global_store_dword v[0:1], v3, off
	s_mov_b64 s[0:1], 0
.LBB336_914:
	s_mov_b64 s[20:21], 0
.LBB336_915:
	s_and_b64 vcc, exec, s[20:21]
	s_cbranch_vccz .LBB336_920
; %bb.916:
	s_cmp_eq_u32 s29, 44
	s_mov_b64 s[0:1], -1
	s_cbranch_scc0 .LBB336_920
; %bb.917:
	v_cvt_f32_f16_e32 v3, v2
	s_movk_i32 s0, 0xff
	v_mov_b32_e32 v5, 0xff
	v_bfe_u32 v4, v3, 23, 8
	v_cmp_ne_u32_e32 vcc, s0, v4
	s_and_saveexec_b64 s[20:21], vcc
; %bb.918:
	s_mov_b32 s0, 0x3fffff
	v_lshrrev_b32_e32 v5, 23, v3
	v_and_b32_e32 v6, 0x400000, v3
	v_and_or_b32 v3, v3, s0, v4
	v_cmp_ne_u32_e32 vcc, 0, v6
	v_cmp_ne_u32_e64 s[0:1], 0, v3
	s_and_b64 s[0:1], vcc, s[0:1]
	s_nop 0
	v_cndmask_b32_e64 v3, 0, 1, s[0:1]
	v_add_u32_e32 v5, v5, v3
; %bb.919:
	s_or_b64 exec, exec, s[20:21]
	s_mov_b64 s[0:1], 0
	global_store_byte v[0:1], v5, off
.LBB336_920:
	s_mov_b64 s[20:21], 0
.LBB336_921:
	s_and_b64 vcc, exec, s[20:21]
	s_cbranch_vccz .LBB336_928
; %bb.922:
	s_cmp_eq_u32 s29, 29
	s_mov_b64 s[0:1], -1
	s_cbranch_scc0 .LBB336_928
; %bb.923:
	v_cvt_f32_f16_e32 v3, v2
	v_mov_b32_e32 v5, 0
	s_mov_b64 s[0:1], 0
	s_mov_b64 s[20:21], 0
	v_cvt_u32_f32_e32 v4, v3
	global_store_dwordx2 v[0:1], v[4:5], off
	s_branch .LBB336_929
.LBB336_924:
	s_or_b64 exec, exec, s[16:17]
	s_and_saveexec_b64 s[0:1], s[14:15]
	s_cbranch_execnz .LBB336_987
.LBB336_925:
	s_or_b64 exec, exec, s[0:1]
	s_and_saveexec_b64 s[0:1], s[22:23]
	s_xor_b64 s[0:1], exec, s[0:1]
	s_cbranch_execz .LBB336_988
.LBB336_926:
	s_waitcnt vmcnt(0)
	v_and_b32_e32 v3, 0x7fff, v2
	v_cmp_ne_u16_e32 vcc, 0, v3
	s_nop 1
	v_cndmask_b32_e64 v3, 0, 1, vcc
	global_store_byte v[0:1], v3, off
	s_or_b64 exec, exec, s[0:1]
	s_and_saveexec_b64 s[0:1], s[20:21]
	s_xor_b64 s[0:1], exec, s[0:1]
	s_cbranch_execz .LBB336_1026
	s_branch .LBB336_989
.LBB336_927:
	s_mov_b64 s[20:21], -1
	s_mov_b64 s[0:1], s[14:15]
	s_branch .LBB336_986
.LBB336_928:
	s_mov_b64 s[20:21], 0
.LBB336_929:
	s_and_b64 vcc, exec, s[20:21]
	s_cbranch_vccz .LBB336_944
; %bb.930:
	s_cmp_lt_i32 s29, 27
	s_mov_b64 s[20:21], -1
	s_cbranch_scc1 .LBB336_936
; %bb.931:
	s_cmp_gt_i32 s29, 27
	s_cbranch_scc0 .LBB336_933
; %bb.932:
	v_cvt_f32_f16_e32 v3, v2
	s_mov_b64 s[20:21], 0
	v_cvt_u32_f32_e32 v3, v3
	global_store_dword v[0:1], v3, off
.LBB336_933:
	s_andn2_b64 vcc, exec, s[20:21]
	s_cbranch_vccnz .LBB336_935
; %bb.934:
	v_cvt_u16_f16_e32 v3, v2
	global_store_short v[0:1], v3, off
.LBB336_935:
	s_mov_b64 s[20:21], 0
.LBB336_936:
	s_andn2_b64 vcc, exec, s[20:21]
	s_cbranch_vccnz .LBB336_944
; %bb.937:
	v_cvt_f32_f16_e32 v3, v2
	s_mov_b32 s20, 0x43800000
	v_mov_b32_e32 v5, 0x80
	v_and_b32_e32 v4, 0x7fffffff, v3
	v_cmp_gt_u32_e32 vcc, s20, v4
	s_and_saveexec_b64 s[20:21], vcc
	s_cbranch_execz .LBB336_943
; %bb.938:
	s_mov_b32 s22, 0x3bffffff
	v_cmp_lt_u32_e32 vcc, s22, v4
	s_mov_b64 s[22:23], 0
                                        ; implicit-def: $vgpr4
	s_and_saveexec_b64 s[24:25], vcc
	s_xor_b64 s[24:25], exec, s[24:25]
	s_cbranch_execz .LBB336_1041
; %bb.939:
	v_bfe_u32 v4, v3, 20, 1
	s_mov_b32 s26, 0x487ffff
	v_add3_u32 v4, v3, v4, s26
	s_mov_b64 s[22:23], exec
	v_lshrrev_b32_e32 v4, 20, v4
	s_andn2_saveexec_b64 s[24:25], s[24:25]
	s_cbranch_execnz .LBB336_1042
.LBB336_940:
	s_or_b64 exec, exec, s[24:25]
	v_mov_b32_e32 v5, 0
	s_and_saveexec_b64 s[24:25], s[22:23]
.LBB336_941:
	v_lshrrev_b32_e32 v3, 24, v3
	s_movk_i32 s22, 0x80
	v_and_or_b32 v5, v3, s22, v4
.LBB336_942:
	s_or_b64 exec, exec, s[24:25]
.LBB336_943:
	s_or_b64 exec, exec, s[20:21]
	global_store_byte v[0:1], v5, off
.LBB336_944:
	s_mov_b64 s[22:23], 0
.LBB336_945:
	s_mov_b64 s[20:21], 0
	s_and_b64 vcc, exec, s[22:23]
	s_cbranch_vccz .LBB336_985
; %bb.946:
	s_cmp_gt_i32 s29, 22
	s_mov_b64 s[22:23], -1
	s_cbranch_scc0 .LBB336_978
; %bb.947:
	s_cmp_lt_i32 s29, 24
	s_cbranch_scc1 .LBB336_967
; %bb.948:
	s_cmp_gt_i32 s29, 24
	s_cbranch_scc0 .LBB336_956
; %bb.949:
	v_cvt_f32_f16_e32 v3, v2
	s_mov_b32 s22, 0x47800000
	v_mov_b32_e32 v5, 0x80
	v_and_b32_e32 v4, 0x7fffffff, v3
	v_cmp_gt_u32_e32 vcc, s22, v4
	s_and_saveexec_b64 s[22:23], vcc
	s_cbranch_execz .LBB336_955
; %bb.950:
	s_mov_b32 s24, 0x37ffffff
	v_cmp_lt_u32_e32 vcc, s24, v4
	s_mov_b64 s[24:25], 0
                                        ; implicit-def: $vgpr4
	s_and_saveexec_b64 s[26:27], vcc
	s_xor_b64 s[26:27], exec, s[26:27]
	s_cbranch_execz .LBB336_1166
; %bb.951:
	v_bfe_u32 v4, v3, 21, 1
	s_mov_b32 s30, 0x88fffff
	v_add3_u32 v4, v3, v4, s30
	s_mov_b64 s[24:25], exec
	v_lshrrev_b32_e32 v4, 21, v4
	s_andn2_saveexec_b64 s[26:27], s[26:27]
	s_cbranch_execnz .LBB336_1167
.LBB336_952:
	s_or_b64 exec, exec, s[26:27]
	v_mov_b32_e32 v5, 0
	s_and_saveexec_b64 s[26:27], s[24:25]
.LBB336_953:
	v_lshrrev_b32_e32 v3, 24, v3
	s_movk_i32 s24, 0x80
	v_and_or_b32 v5, v3, s24, v4
.LBB336_954:
	s_or_b64 exec, exec, s[26:27]
.LBB336_955:
	s_or_b64 exec, exec, s[22:23]
	s_mov_b64 s[22:23], 0
	global_store_byte v[0:1], v5, off
.LBB336_956:
	s_and_b64 vcc, exec, s[22:23]
	s_cbranch_vccz .LBB336_966
; %bb.957:
	v_cvt_f32_f16_e32 v3, v2
	s_mov_b32 s22, 0x43f00000
                                        ; implicit-def: $vgpr4
	v_and_b32_e32 v5, 0x7fffffff, v3
	v_cmp_gt_u32_e32 vcc, s22, v5
	s_and_saveexec_b64 s[22:23], vcc
	s_xor_b64 s[22:23], exec, s[22:23]
	s_cbranch_execz .LBB336_963
; %bb.958:
	s_mov_b32 s24, 0x3c7fffff
	v_cmp_lt_u32_e32 vcc, s24, v5
                                        ; implicit-def: $vgpr4
	s_and_saveexec_b64 s[24:25], vcc
	s_xor_b64 s[24:25], exec, s[24:25]
; %bb.959:
	v_bfe_u32 v4, v3, 20, 1
	s_mov_b32 s26, 0x407ffff
	v_add3_u32 v4, v3, v4, s26
	v_lshrrev_b32_e32 v5, 20, v4
	v_and_b32_e32 v4, 0xff00000, v4
	s_mov_b32 s26, 0x7f00000
	v_mov_b32_e32 v6, 0x7e
	v_cmp_ne_u32_e32 vcc, s26, v4
	s_nop 1
	v_cndmask_b32_e32 v4, v6, v5, vcc
; %bb.960:
	s_andn2_saveexec_b64 s[24:25], s[24:25]
; %bb.961:
	s_mov_b32 s26, 0x46800000
	v_add_f32_e64 v4, |v3|, s26
; %bb.962:
	s_or_b64 exec, exec, s[24:25]
                                        ; implicit-def: $vgpr5
.LBB336_963:
	s_andn2_saveexec_b64 s[22:23], s[22:23]
; %bb.964:
	s_mov_b32 s24, 0x7f800000
	v_mov_b32_e32 v4, 0x7e
	v_mov_b32_e32 v6, 0x7f
	v_cmp_lt_u32_e32 vcc, s24, v5
	s_nop 1
	v_cndmask_b32_e32 v4, v4, v6, vcc
; %bb.965:
	s_or_b64 exec, exec, s[22:23]
	v_lshrrev_b32_e32 v3, 24, v3
	s_movk_i32 s22, 0x80
	v_and_or_b32 v3, v3, s22, v4
	global_store_byte v[0:1], v3, off
.LBB336_966:
	s_mov_b64 s[22:23], 0
.LBB336_967:
	s_andn2_b64 vcc, exec, s[22:23]
	s_cbranch_vccnz .LBB336_977
; %bb.968:
	v_cvt_f32_f16_e32 v3, v2
	s_mov_b32 s22, 0x47800000
                                        ; implicit-def: $vgpr4
	v_and_b32_e32 v5, 0x7fffffff, v3
	v_cmp_gt_u32_e32 vcc, s22, v5
	s_and_saveexec_b64 s[22:23], vcc
	s_xor_b64 s[22:23], exec, s[22:23]
	s_cbranch_execz .LBB336_974
; %bb.969:
	s_mov_b32 s24, 0x387fffff
	v_cmp_lt_u32_e32 vcc, s24, v5
                                        ; implicit-def: $vgpr4
	s_and_saveexec_b64 s[24:25], vcc
	s_xor_b64 s[24:25], exec, s[24:25]
; %bb.970:
	v_bfe_u32 v4, v3, 21, 1
	s_mov_b32 s26, 0x80fffff
	v_add3_u32 v4, v3, v4, s26
	v_lshrrev_b32_e32 v4, 21, v4
; %bb.971:
	s_andn2_saveexec_b64 s[24:25], s[24:25]
; %bb.972:
	s_mov_b32 s26, 0x43000000
	v_add_f32_e64 v4, |v3|, s26
; %bb.973:
	s_or_b64 exec, exec, s[24:25]
                                        ; implicit-def: $vgpr5
.LBB336_974:
	s_andn2_saveexec_b64 s[22:23], s[22:23]
; %bb.975:
	s_mov_b32 s24, 0x7f800000
	v_mov_b32_e32 v4, 0x7c
	v_mov_b32_e32 v6, 0x7f
	v_cmp_lt_u32_e32 vcc, s24, v5
	s_nop 1
	v_cndmask_b32_e32 v4, v4, v6, vcc
; %bb.976:
	s_or_b64 exec, exec, s[22:23]
	v_lshrrev_b32_e32 v3, 24, v3
	s_movk_i32 s22, 0x80
	v_and_or_b32 v3, v3, s22, v4
	global_store_byte v[0:1], v3, off
.LBB336_977:
	s_mov_b64 s[22:23], 0
.LBB336_978:
	s_andn2_b64 vcc, exec, s[22:23]
	s_mov_b64 s[22:23], 0
	s_cbranch_vccnz .LBB336_986
; %bb.979:
	s_cmp_gt_i32 s29, 14
	s_mov_b64 s[24:25], -1
	s_cbranch_scc0 .LBB336_983
; %bb.980:
	s_cmp_eq_u32 s29, 15
	s_mov_b64 s[0:1], -1
	s_cbranch_scc0 .LBB336_982
; %bb.981:
	v_cvt_f32_f16_e32 v3, v2
	s_movk_i32 s0, 0x7fff
	v_cmp_o_f16_e32 vcc, v2, v2
	v_mov_b32_e32 v4, 0x7fc0
	v_bfe_u32 v5, v3, 16, 1
	v_add3_u32 v3, v3, v5, s0
	v_cndmask_b32_sdwa v3, v4, v3, vcc dst_sel:DWORD dst_unused:UNUSED_PAD src0_sel:DWORD src1_sel:WORD_1
	global_store_short v[0:1], v3, off
	s_mov_b64 s[0:1], 0
.LBB336_982:
	s_mov_b64 s[24:25], 0
.LBB336_983:
	s_and_b64 vcc, exec, s[24:25]
	s_cbranch_vccz .LBB336_986
; %bb.984:
	s_cmp_lg_u32 s29, 11
	s_cselect_b64 s[24:25], -1, 0
	s_andn2_b64 s[0:1], s[0:1], exec
	s_and_b64 s[24:25], s[24:25], exec
	s_mov_b64 s[22:23], -1
	s_or_b64 s[0:1], s[0:1], s[24:25]
	s_branch .LBB336_986
.LBB336_985:
	s_mov_b64 s[22:23], 0
.LBB336_986:
	s_andn2_b64 s[14:15], s[14:15], exec
	s_and_b64 s[0:1], s[0:1], exec
	s_and_b64 s[20:21], s[20:21], exec
	;; [unrolled: 1-line block ×3, first 2 shown]
	s_or_b64 s[14:15], s[14:15], s[0:1]
	s_or_b64 exec, exec, s[16:17]
	s_and_saveexec_b64 s[0:1], s[14:15]
	s_cbranch_execz .LBB336_925
.LBB336_987:
	s_or_b64 s[18:19], s[18:19], exec
	s_andn2_b64 s[22:23], s[22:23], exec
	s_trap 2
	s_or_b64 exec, exec, s[0:1]
	s_and_saveexec_b64 s[0:1], s[22:23]
	s_xor_b64 s[0:1], exec, s[0:1]
	s_cbranch_execnz .LBB336_926
.LBB336_988:
	s_or_b64 exec, exec, s[0:1]
	s_and_saveexec_b64 s[0:1], s[20:21]
	s_xor_b64 s[0:1], exec, s[0:1]
	s_cbranch_execz .LBB336_1026
.LBB336_989:
	s_sext_i32_i16 s16, s28
	s_cmp_lt_i32 s16, 5
	s_mov_b64 s[14:15], -1
	s_cbranch_scc1 .LBB336_1010
; %bb.990:
	s_cmp_lt_i32 s16, 8
	s_cbranch_scc1 .LBB336_1000
; %bb.991:
	s_cmp_lt_i32 s16, 9
	s_cbranch_scc1 .LBB336_997
; %bb.992:
	s_cmp_gt_i32 s16, 9
	s_cbranch_scc0 .LBB336_994
; %bb.993:
	s_waitcnt vmcnt(0)
	v_cvt_f32_f16_e32 v3, v2
	v_mov_b32_e32 v6, 0
	v_mov_b32_e32 v7, v6
	s_mov_b64 s[14:15], 0
	v_cvt_f64_f32_e32 v[4:5], v3
	global_store_dwordx4 v[0:1], v[4:7], off
.LBB336_994:
	s_andn2_b64 vcc, exec, s[14:15]
	s_cbranch_vccnz .LBB336_996
; %bb.995:
	s_waitcnt vmcnt(0)
	v_cvt_f32_f16_e32 v4, v2
	v_mov_b32_e32 v5, 0
	global_store_dwordx2 v[0:1], v[4:5], off
.LBB336_996:
	s_mov_b64 s[14:15], 0
.LBB336_997:
	s_andn2_b64 vcc, exec, s[14:15]
	s_cbranch_vccnz .LBB336_999
; %bb.998:
	s_waitcnt vmcnt(0)
	v_and_b32_e32 v3, 0xffff, v2
	global_store_dword v[0:1], v3, off
.LBB336_999:
	s_mov_b64 s[14:15], 0
.LBB336_1000:
	s_andn2_b64 vcc, exec, s[14:15]
	s_cbranch_vccnz .LBB336_1009
; %bb.1001:
	s_sext_i32_i16 s16, s28
	s_cmp_lt_i32 s16, 6
	s_mov_b64 s[14:15], -1
	s_cbranch_scc1 .LBB336_1007
; %bb.1002:
	s_cmp_gt_i32 s16, 6
	s_cbranch_scc0 .LBB336_1004
; %bb.1003:
	s_waitcnt vmcnt(0)
	v_cvt_f32_f16_e32 v3, v2
	s_mov_b64 s[14:15], 0
	v_cvt_f64_f32_e32 v[4:5], v3
	global_store_dwordx2 v[0:1], v[4:5], off
.LBB336_1004:
	s_andn2_b64 vcc, exec, s[14:15]
	s_cbranch_vccnz .LBB336_1006
; %bb.1005:
	s_waitcnt vmcnt(0)
	v_cvt_f32_f16_e32 v3, v2
	global_store_dword v[0:1], v3, off
.LBB336_1006:
	s_mov_b64 s[14:15], 0
.LBB336_1007:
	s_andn2_b64 vcc, exec, s[14:15]
	s_cbranch_vccnz .LBB336_1009
; %bb.1008:
	s_waitcnt vmcnt(0)
	global_store_short v[0:1], v2, off
.LBB336_1009:
	s_mov_b64 s[14:15], 0
.LBB336_1010:
	s_andn2_b64 vcc, exec, s[14:15]
	s_cbranch_vccnz .LBB336_1026
; %bb.1011:
	s_sext_i32_i16 s16, s28
	s_cmp_lt_i32 s16, 2
	s_mov_b64 s[14:15], -1
	s_cbranch_scc1 .LBB336_1021
; %bb.1012:
	s_cmp_lt_i32 s16, 3
	s_cbranch_scc1 .LBB336_1018
; %bb.1013:
	s_cmp_gt_i32 s16, 3
	s_cbranch_scc0 .LBB336_1015
; %bb.1014:
	s_waitcnt vmcnt(0)
	v_cvt_f32_f16_e32 v3, v2
	s_mov_b64 s[14:15], 0
	v_cvt_i32_f32_e32 v4, v3
	v_ashrrev_i32_e32 v5, 31, v4
	global_store_dwordx2 v[0:1], v[4:5], off
.LBB336_1015:
	s_andn2_b64 vcc, exec, s[14:15]
	s_cbranch_vccnz .LBB336_1017
; %bb.1016:
	s_waitcnt vmcnt(0)
	v_cvt_f32_f16_e32 v3, v2
	v_cvt_i32_f32_e32 v3, v3
	global_store_dword v[0:1], v3, off
.LBB336_1017:
	s_mov_b64 s[14:15], 0
.LBB336_1018:
	s_andn2_b64 vcc, exec, s[14:15]
	s_cbranch_vccnz .LBB336_1020
; %bb.1019:
	s_waitcnt vmcnt(0)
	v_cvt_i16_f16_e32 v3, v2
	global_store_short v[0:1], v3, off
.LBB336_1020:
	s_mov_b64 s[14:15], 0
.LBB336_1021:
	s_andn2_b64 vcc, exec, s[14:15]
	s_cbranch_vccnz .LBB336_1026
; %bb.1022:
	s_sext_i32_i16 s14, s28
	s_cmp_gt_i32 s14, 0
	s_mov_b64 s[14:15], -1
	s_cbranch_scc0 .LBB336_1024
; %bb.1023:
	s_waitcnt vmcnt(0)
	v_cvt_i16_f16_e32 v3, v2
	s_mov_b64 s[14:15], 0
	global_store_byte v[0:1], v3, off
.LBB336_1024:
	s_andn2_b64 vcc, exec, s[14:15]
	s_cbranch_vccnz .LBB336_1026
; %bb.1025:
	s_waitcnt vmcnt(0)
	v_cvt_f32_f16_e32 v2, v2
	v_cvt_i32_f32_e32 v2, v2
	global_store_byte v[0:1], v2, off
.LBB336_1026:
	s_or_b64 exec, exec, s[0:1]
	s_and_b64 s[14:15], s[18:19], exec
                                        ; implicit-def: $vgpr4
.LBB336_1027:
	s_or_saveexec_b64 s[12:13], s[12:13]
	s_mov_b64 s[0:1], 0
                                        ; implicit-def: $sgpr22
                                        ; implicit-def: $vgpr0_vgpr1
                                        ; implicit-def: $vgpr2
	s_xor_b64 exec, exec, s[12:13]
	s_cbranch_execz .LBB336_1975
; %bb.1028:
	v_mul_lo_u32 v0, s9, v4
	v_ashrrev_i32_e32 v1, 31, v0
	s_and_b32 s24, 0xffff, s44
	s_cmp_lt_i32 s24, 11
	s_waitcnt vmcnt(0)
	v_lshl_add_u64 v[2:3], s[6:7], 0, v[0:1]
	s_cbranch_scc1 .LBB336_1035
; %bb.1029:
	s_cmp_gt_i32 s24, 25
	s_cbranch_scc0 .LBB336_1037
; %bb.1030:
	s_cmp_gt_i32 s24, 28
	s_cbranch_scc0 .LBB336_1038
	;; [unrolled: 3-line block ×4, first 2 shown]
; %bb.1033:
	s_cmp_eq_u32 s24, 46
	s_mov_b64 s[16:17], 0
	s_cbranch_scc0 .LBB336_1043
; %bb.1034:
	global_load_dword v1, v[2:3], off
	s_mov_b64 s[18:19], -1
	s_waitcnt vmcnt(0)
	v_lshlrev_b32_e32 v1, 16, v1
	v_cvt_f16_f32_e32 v5, v1
	s_branch .LBB336_1044
.LBB336_1035:
	s_mov_b64 s[18:19], 0
                                        ; implicit-def: $vgpr5
	s_mov_b64 s[16:17], s[14:15]
	s_cbranch_execnz .LBB336_1107
.LBB336_1036:
	s_andn2_b64 vcc, exec, s[18:19]
	s_cbranch_vccz .LBB336_1152
	s_branch .LBB336_1973
.LBB336_1037:
	s_mov_b64 s[18:19], 0
                                        ; implicit-def: $vgpr5
	s_cbranch_execnz .LBB336_1072
	s_branch .LBB336_1103
.LBB336_1038:
	s_mov_b64 s[16:17], -1
	s_mov_b64 s[18:19], 0
                                        ; implicit-def: $vgpr5
	s_branch .LBB336_1053
.LBB336_1039:
	s_mov_b64 s[18:19], 0
                                        ; implicit-def: $vgpr5
	s_cbranch_execnz .LBB336_1049
	s_branch .LBB336_1052
.LBB336_1040:
	s_mov_b64 s[16:17], -1
	s_mov_b64 s[18:19], 0
                                        ; implicit-def: $vgpr5
	s_branch .LBB336_1044
.LBB336_1041:
	s_andn2_saveexec_b64 s[24:25], s[24:25]
	s_cbranch_execz .LBB336_940
.LBB336_1042:
	s_mov_b32 s26, 0x46000000
	v_add_f32_e64 v4, |v3|, s26
	v_and_b32_e32 v4, 0xff, v4
	v_cmp_ne_u32_e32 vcc, 0, v4
	s_andn2_b64 s[22:23], s[22:23], exec
	s_and_b64 s[26:27], vcc, exec
	s_or_b64 s[22:23], s[22:23], s[26:27]
	s_or_b64 exec, exec, s[24:25]
	v_mov_b32_e32 v5, 0
	s_and_saveexec_b64 s[24:25], s[22:23]
	s_cbranch_execnz .LBB336_941
	s_branch .LBB336_942
.LBB336_1043:
	s_mov_b64 s[0:1], -1
                                        ; implicit-def: $vgpr5
	s_mov_b64 s[18:19], 0
.LBB336_1044:
	s_and_b64 vcc, exec, s[16:17]
	s_cbranch_vccz .LBB336_1047
; %bb.1045:
	s_cmp_eq_u32 s24, 44
	s_cbranch_scc0 .LBB336_1048
; %bb.1046:
	global_load_ubyte v1, v[2:3], off
	s_movk_i32 s16, 0xff
	v_mov_b32_e32 v6, 0x7e00
	s_mov_b64 s[0:1], 0
	s_mov_b64 s[18:19], -1
	s_waitcnt vmcnt(0)
	v_lshlrev_b32_e32 v5, 23, v1
	v_cvt_f16_f32_e32 v5, v5
	v_cmp_ne_u32_e32 vcc, s16, v1
	s_nop 1
	v_cndmask_b32_e32 v5, v6, v5, vcc
	v_cmp_ne_u32_e32 vcc, 0, v1
	s_nop 1
	v_cndmask_b32_e32 v5, 0, v5, vcc
.LBB336_1047:
	s_branch .LBB336_1052
.LBB336_1048:
	s_mov_b64 s[0:1], -1
                                        ; implicit-def: $vgpr5
	s_branch .LBB336_1052
.LBB336_1049:
	s_cmp_eq_u32 s24, 29
	s_cbranch_scc0 .LBB336_1051
; %bb.1050:
	global_load_dwordx2 v[6:7], v[2:3], off
	s_mov_b64 s[0:1], 0
	s_mov_b64 s[18:19], -1
	s_mov_b64 s[16:17], 0
	s_waitcnt vmcnt(0)
	v_ffbh_u32_e32 v1, v7
	v_min_u32_e32 v1, 32, v1
	v_lshlrev_b64 v[6:7], v1, v[6:7]
	v_min_u32_e32 v5, 1, v6
	v_or_b32_e32 v5, v7, v5
	v_cvt_f32_u32_e32 v5, v5
	v_sub_u32_e32 v1, 32, v1
	v_ldexp_f32 v1, v5, v1
	v_cvt_f16_f32_e32 v5, v1
	s_branch .LBB336_1053
.LBB336_1051:
	s_mov_b64 s[0:1], -1
                                        ; implicit-def: $vgpr5
.LBB336_1052:
	s_mov_b64 s[16:17], 0
.LBB336_1053:
	s_and_b64 vcc, exec, s[16:17]
	s_cbranch_vccz .LBB336_1071
; %bb.1054:
	s_cmp_lt_i32 s24, 27
	s_cbranch_scc1 .LBB336_1057
; %bb.1055:
	s_cmp_gt_i32 s24, 27
	s_cbranch_scc0 .LBB336_1058
; %bb.1056:
	global_load_dword v1, v[2:3], off
	s_mov_b64 s[16:17], 0
	s_waitcnt vmcnt(0)
	v_cvt_f32_u32_e32 v1, v1
	v_cvt_f16_f32_e32 v5, v1
	s_branch .LBB336_1059
.LBB336_1057:
	s_mov_b64 s[16:17], -1
                                        ; implicit-def: $vgpr5
	s_branch .LBB336_1062
.LBB336_1058:
	s_mov_b64 s[16:17], -1
                                        ; implicit-def: $vgpr5
.LBB336_1059:
	s_andn2_b64 vcc, exec, s[16:17]
	s_cbranch_vccnz .LBB336_1061
; %bb.1060:
	global_load_ushort v1, v[2:3], off
	s_waitcnt vmcnt(0)
	v_cvt_f16_u16_e32 v5, v1
.LBB336_1061:
	s_mov_b64 s[16:17], 0
.LBB336_1062:
	s_andn2_b64 vcc, exec, s[16:17]
	s_cbranch_vccnz .LBB336_1070
; %bb.1063:
	global_load_ubyte v1, v[2:3], off
	s_movk_i32 s16, 0x7f
	s_waitcnt vmcnt(0)
	v_cmp_lt_i16_e32 vcc, s16, v1
	s_mov_b64 s[16:17], 0
	s_and_saveexec_b64 s[18:19], vcc
	s_xor_b64 s[18:19], exec, s[18:19]
	s_cbranch_execz .LBB336_1083
; %bb.1064:
	s_movk_i32 s16, 0x80
	v_cmp_eq_u16_e32 vcc, s16, v1
	s_mov_b64 s[16:17], -1
	s_and_saveexec_b64 s[20:21], vcc
; %bb.1065:
	s_xor_b64 s[16:17], exec, -1
; %bb.1066:
	s_or_b64 exec, exec, s[20:21]
	s_and_b64 s[16:17], s[16:17], exec
	s_or_saveexec_b64 s[18:19], s[18:19]
	v_mov_b32_e32 v5, 0x7e00
	s_xor_b64 exec, exec, s[18:19]
	s_cbranch_execnz .LBB336_1084
.LBB336_1067:
	s_or_b64 exec, exec, s[18:19]
	s_and_saveexec_b64 s[18:19], s[16:17]
	s_cbranch_execz .LBB336_1069
.LBB336_1068:
	v_lshlrev_b32_e32 v5, 24, v1
	v_and_b32_e32 v1, 0xffff, v1
	v_and_b32_e32 v6, 7, v1
	v_ffbh_u32_e32 v8, v6
	v_min_u32_e32 v8, 32, v8
	v_subrev_u32_e32 v9, 28, v8
	v_bfe_u32 v7, v1, 3, 4
	v_lshlrev_b32_e32 v1, v9, v1
	v_sub_u32_e32 v8, 29, v8
	v_and_b32_e32 v1, 7, v1
	v_cmp_eq_u32_e32 vcc, 0, v7
	v_and_b32_e32 v5, 0x80000000, v5
	s_nop 0
	v_cndmask_b32_e32 v7, v7, v8, vcc
	v_cndmask_b32_e32 v1, v6, v1, vcc
	v_mov_b32_e32 v6, 0x3b800000
	v_lshlrev_b32_e32 v1, 20, v1
	v_lshl_add_u32 v6, v7, 23, v6
	v_or3_b32 v1, v5, v6, v1
	v_cvt_f16_f32_e32 v5, v1
.LBB336_1069:
	s_or_b64 exec, exec, s[18:19]
.LBB336_1070:
	s_mov_b64 s[18:19], -1
.LBB336_1071:
	s_branch .LBB336_1103
.LBB336_1072:
	s_cmp_gt_i32 s24, 22
	s_cbranch_scc0 .LBB336_1082
; %bb.1073:
	s_cmp_lt_i32 s24, 24
	s_cbranch_scc1 .LBB336_1085
; %bb.1074:
	s_cmp_gt_i32 s24, 24
	s_cbranch_scc0 .LBB336_1086
; %bb.1075:
	global_load_ubyte v1, v[2:3], off
	s_movk_i32 s2, 0x7f
	s_waitcnt vmcnt(0)
	v_cmp_lt_i16_e32 vcc, s2, v1
	s_mov_b64 s[2:3], 0
	s_and_saveexec_b64 s[16:17], vcc
	s_xor_b64 s[16:17], exec, s[16:17]
	s_cbranch_execz .LBB336_1097
; %bb.1076:
	s_movk_i32 s2, 0x80
	v_cmp_eq_u16_e32 vcc, s2, v1
	s_mov_b64 s[2:3], -1
	s_and_saveexec_b64 s[18:19], vcc
; %bb.1077:
	s_xor_b64 s[2:3], exec, -1
; %bb.1078:
	s_or_b64 exec, exec, s[18:19]
	s_and_b64 s[2:3], s[2:3], exec
	s_or_saveexec_b64 s[16:17], s[16:17]
	v_mov_b32_e32 v5, 0x7e00
	s_xor_b64 exec, exec, s[16:17]
	s_cbranch_execnz .LBB336_1098
.LBB336_1079:
	s_or_b64 exec, exec, s[16:17]
	s_and_saveexec_b64 s[16:17], s[2:3]
	s_cbranch_execz .LBB336_1081
.LBB336_1080:
	v_lshlrev_b32_e32 v5, 24, v1
	v_and_b32_e32 v1, 0xffff, v1
	v_and_b32_e32 v6, 3, v1
	v_ffbh_u32_e32 v8, v6
	v_min_u32_e32 v8, 32, v8
	v_subrev_u32_e32 v9, 29, v8
	v_bfe_u32 v7, v1, 2, 5
	v_lshlrev_b32_e32 v1, v9, v1
	v_sub_u32_e32 v8, 30, v8
	v_and_b32_e32 v1, 3, v1
	v_cmp_eq_u32_e32 vcc, 0, v7
	v_and_b32_e32 v5, 0x80000000, v5
	s_nop 0
	v_cndmask_b32_e32 v7, v7, v8, vcc
	v_cndmask_b32_e32 v1, v6, v1, vcc
	v_mov_b32_e32 v6, 0x37800000
	v_lshlrev_b32_e32 v1, 21, v1
	v_lshl_add_u32 v6, v7, 23, v6
	v_or3_b32 v1, v5, v6, v1
	v_cvt_f16_f32_e32 v5, v1
.LBB336_1081:
	s_or_b64 exec, exec, s[16:17]
	s_mov_b64 s[2:3], 0
	s_branch .LBB336_1087
.LBB336_1082:
                                        ; implicit-def: $vgpr5
	s_mov_b64 s[2:3], 0
	s_branch .LBB336_1093
.LBB336_1083:
	s_or_saveexec_b64 s[18:19], s[18:19]
	v_mov_b32_e32 v5, 0x7e00
	s_xor_b64 exec, exec, s[18:19]
	s_cbranch_execz .LBB336_1067
.LBB336_1084:
	v_cmp_ne_u16_e32 vcc, 0, v1
	s_andn2_b64 s[16:17], s[16:17], exec
	s_and_b64 s[20:21], vcc, exec
	s_or_b64 s[16:17], s[16:17], s[20:21]
	v_mov_b32_e32 v5, v1
	s_or_b64 exec, exec, s[18:19]
	s_and_saveexec_b64 s[18:19], s[16:17]
	s_cbranch_execnz .LBB336_1068
	s_branch .LBB336_1069
.LBB336_1085:
	s_mov_b64 s[2:3], -1
                                        ; implicit-def: $vgpr5
	s_branch .LBB336_1090
.LBB336_1086:
	s_mov_b64 s[2:3], -1
                                        ; implicit-def: $vgpr5
.LBB336_1087:
	s_and_b64 vcc, exec, s[2:3]
	s_cbranch_vccz .LBB336_1089
; %bb.1088:
	global_load_ubyte v1, v[2:3], off
	s_mov_b32 s2, 0x7f800000
	s_waitcnt vmcnt(0)
	v_lshlrev_b32_e32 v1, 24, v1
	v_and_b32_e32 v5, 0x7f000000, v1
	v_ffbh_u32_e32 v6, v5
	v_min_u32_e32 v6, 32, v6
	v_sub_u32_e64 v6, v6, 4 clamp
	v_lshlrev_b32_e32 v8, v6, v5
	v_lshlrev_b32_e32 v6, 23, v6
	v_lshrrev_b32_e32 v8, 4, v8
	v_add_u32_e32 v7, 0x1000000, v5
	v_sub_u32_e32 v6, v8, v6
	v_ashrrev_i32_e32 v7, 8, v7
	v_add_u32_e32 v6, 0x3c000000, v6
	v_and_or_b32 v6, v7, s2, v6
	v_cmp_ne_u32_e32 vcc, 0, v5
	s_brev_b32 s2, 1
	s_nop 0
	v_cndmask_b32_e32 v5, 0, v6, vcc
	v_and_or_b32 v1, v1, s2, v5
	v_cvt_f16_f32_e32 v5, v1
.LBB336_1089:
	s_mov_b64 s[2:3], 0
.LBB336_1090:
	s_andn2_b64 vcc, exec, s[2:3]
	s_cbranch_vccnz .LBB336_1092
; %bb.1091:
	global_load_ubyte v1, v[2:3], off
	s_movk_i32 s2, 0x7f00
	s_brev_b32 s3, 16
	s_waitcnt vmcnt(0)
	v_lshlrev_b16_e32 v5, 8, v1
	v_lshlrev_b32_e32 v1, 25, v1
	v_lshrrev_b32_e32 v6, 4, v1
	v_and_or_b32 v7, v5, s2, 0.5
	v_or_b32_e32 v6, 0x70000000, v6
	v_add_f32_e32 v7, -0.5, v7
	v_mul_f32_e32 v6, 0x7800000, v6
	v_cmp_gt_u32_e32 vcc, s3, v1
	v_bfe_i32 v5, v5, 0, 16
	s_brev_b32 s2, 1
	v_cndmask_b32_e32 v1, v6, v7, vcc
	v_and_or_b32 v1, v5, s2, v1
	v_cvt_f16_f32_e32 v5, v1
.LBB336_1092:
	s_mov_b64 s[18:19], -1
	s_mov_b64 s[2:3], 0
	s_cbranch_execnz .LBB336_1103
.LBB336_1093:
	s_cmp_gt_i32 s24, 14
	s_cbranch_scc0 .LBB336_1096
; %bb.1094:
	s_cmp_eq_u32 s24, 15
	s_cbranch_scc0 .LBB336_1099
; %bb.1095:
	global_load_ushort v1, v[2:3], off
	s_mov_b64 s[0:1], 0
	s_mov_b64 s[18:19], -1
	s_waitcnt vmcnt(0)
	v_lshlrev_b32_e32 v1, 16, v1
	v_cvt_f16_f32_e32 v5, v1
	s_branch .LBB336_1100
.LBB336_1096:
	s_mov_b64 s[16:17], -1
                                        ; implicit-def: $vgpr5
	s_branch .LBB336_1101
.LBB336_1097:
	s_or_saveexec_b64 s[16:17], s[16:17]
	v_mov_b32_e32 v5, 0x7e00
	s_xor_b64 exec, exec, s[16:17]
	s_cbranch_execz .LBB336_1079
.LBB336_1098:
	v_cmp_ne_u16_e32 vcc, 0, v1
	s_andn2_b64 s[2:3], s[2:3], exec
	s_and_b64 s[18:19], vcc, exec
	s_or_b64 s[2:3], s[2:3], s[18:19]
	v_mov_b32_e32 v5, v1
	s_or_b64 exec, exec, s[16:17]
	s_and_saveexec_b64 s[16:17], s[2:3]
	s_cbranch_execnz .LBB336_1080
	s_branch .LBB336_1081
.LBB336_1099:
	s_mov_b64 s[0:1], -1
                                        ; implicit-def: $vgpr5
.LBB336_1100:
	s_mov_b64 s[16:17], 0
.LBB336_1101:
	s_and_b64 vcc, exec, s[16:17]
	s_cbranch_vccz .LBB336_1103
; %bb.1102:
	s_cmp_lg_u32 s24, 11
	s_mov_b64 s[2:3], -1
	s_cselect_b64 s[0:1], -1, 0
.LBB336_1103:
	s_and_b64 vcc, exec, s[0:1]
	s_mov_b64 s[16:17], s[14:15]
	s_cbranch_vccnz .LBB336_1164
; %bb.1104:
	s_andn2_b64 vcc, exec, s[2:3]
	s_cbranch_vccnz .LBB336_1106
.LBB336_1105:
	global_load_ubyte v1, v[2:3], off
	v_mov_b32_e32 v5, 0x3c00
	s_mov_b64 s[18:19], -1
	s_waitcnt vmcnt(0)
	v_cmp_ne_u16_e32 vcc, 0, v1
	s_nop 1
	v_cndmask_b32_e32 v5, 0, v5, vcc
.LBB336_1106:
	s_branch .LBB336_1036
.LBB336_1107:
	s_cmp_lt_i32 s24, 5
	s_cbranch_scc1 .LBB336_1112
; %bb.1108:
	s_cmp_lt_i32 s24, 8
	s_cbranch_scc1 .LBB336_1113
; %bb.1109:
	;; [unrolled: 3-line block ×3, first 2 shown]
	s_cmp_gt_i32 s24, 9
	s_cbranch_scc0 .LBB336_1115
; %bb.1111:
	global_load_dwordx2 v[6:7], v[2:3], off
	s_movk_i32 s0, 0x1ff
	s_movk_i32 s1, 0xffe
	v_mov_b32_e32 v1, 0x7c00
	v_mov_b32_e32 v5, 0x7e00
	s_movk_i32 s2, 0x40f
	s_mov_b32 s3, 0x8000
	s_waitcnt vmcnt(0)
	v_and_or_b32 v6, v7, s0, v6
	v_cmp_ne_u32_e32 vcc, 0, v6
	v_lshrrev_b32_e32 v8, 8, v7
	v_bfe_u32 v9, v7, 20, 11
	v_cndmask_b32_e64 v6, 0, 1, vcc
	v_sub_u32_e32 v10, 0x3f1, v9
	v_and_or_b32 v6, v8, s1, v6
	v_add_u32_e32 v9, 0xfffffc10, v9
	v_med3_i32 v8, v10, 0, 13
	v_or_b32_e32 v10, 0x1000, v6
	v_lshl_or_b32 v11, v9, 12, v6
	v_cmp_ne_u32_e32 vcc, 0, v6
	v_lshrrev_b32_e32 v6, v8, v10
	v_lshlrev_b32_e32 v8, v8, v6
	v_cndmask_b32_e32 v5, v1, v5, vcc
	v_cmp_ne_u32_e32 vcc, v8, v10
	v_lshrrev_b32_e32 v7, 16, v7
	s_mov_b64 s[0:1], 0
	v_cndmask_b32_e64 v8, 0, 1, vcc
	v_or_b32_e32 v6, v6, v8
	v_cmp_gt_i32_e32 vcc, 1, v9
	s_nop 1
	v_cndmask_b32_e32 v6, v11, v6, vcc
	v_and_b32_e32 v8, 7, v6
	v_cmp_lt_i32_e32 vcc, 5, v8
	v_lshrrev_b32_e32 v6, 2, v6
	s_nop 0
	v_cndmask_b32_e64 v10, 0, 1, vcc
	v_cmp_eq_u32_e32 vcc, 3, v8
	s_nop 1
	v_cndmask_b32_e64 v8, 0, 1, vcc
	v_or_b32_e32 v8, v8, v10
	v_add_u32_e32 v6, v6, v8
	v_cmp_gt_i32_e32 vcc, 31, v9
	s_nop 1
	v_cndmask_b32_e32 v1, v1, v6, vcc
	v_cmp_eq_u32_e32 vcc, s2, v9
	s_nop 1
	v_cndmask_b32_e32 v1, v1, v5, vcc
	v_and_or_b32 v5, v7, s3, v1
	s_branch .LBB336_1116
.LBB336_1112:
                                        ; implicit-def: $vgpr5
	s_branch .LBB336_1133
.LBB336_1113:
                                        ; implicit-def: $vgpr5
	s_branch .LBB336_1122
.LBB336_1114:
	s_mov_b64 s[0:1], -1
                                        ; implicit-def: $vgpr5
	s_branch .LBB336_1119
.LBB336_1115:
	s_mov_b64 s[0:1], -1
                                        ; implicit-def: $vgpr5
.LBB336_1116:
	s_andn2_b64 vcc, exec, s[0:1]
	s_cbranch_vccnz .LBB336_1118
; %bb.1117:
	global_load_dword v1, v[2:3], off
	s_waitcnt vmcnt(0)
	v_cvt_f16_f32_e32 v5, v1
.LBB336_1118:
	s_mov_b64 s[0:1], 0
.LBB336_1119:
	s_andn2_b64 vcc, exec, s[0:1]
	s_cbranch_vccnz .LBB336_1121
; %bb.1120:
	global_load_dword v5, v[2:3], off
.LBB336_1121:
	s_cbranch_execnz .LBB336_1132
.LBB336_1122:
	s_cmp_lt_i32 s24, 6
	s_cbranch_scc1 .LBB336_1125
; %bb.1123:
	s_cmp_gt_i32 s24, 6
	s_cbranch_scc0 .LBB336_1126
; %bb.1124:
	global_load_dwordx2 v[6:7], v[2:3], off
	s_movk_i32 s0, 0x1ff
	s_movk_i32 s1, 0xffe
	v_mov_b32_e32 v1, 0x7c00
	s_waitcnt vmcnt(1)
	v_mov_b32_e32 v5, 0x7e00
	s_movk_i32 s2, 0x40f
	s_mov_b32 s3, 0x8000
	s_waitcnt vmcnt(0)
	v_and_or_b32 v6, v7, s0, v6
	v_cmp_ne_u32_e32 vcc, 0, v6
	v_lshrrev_b32_e32 v8, 8, v7
	v_bfe_u32 v9, v7, 20, 11
	v_cndmask_b32_e64 v6, 0, 1, vcc
	v_sub_u32_e32 v10, 0x3f1, v9
	v_and_or_b32 v6, v8, s1, v6
	v_add_u32_e32 v9, 0xfffffc10, v9
	v_med3_i32 v8, v10, 0, 13
	v_or_b32_e32 v10, 0x1000, v6
	v_lshl_or_b32 v11, v9, 12, v6
	v_cmp_ne_u32_e32 vcc, 0, v6
	v_lshrrev_b32_e32 v6, v8, v10
	v_lshlrev_b32_e32 v8, v8, v6
	v_cndmask_b32_e32 v5, v1, v5, vcc
	v_cmp_ne_u32_e32 vcc, v8, v10
	v_lshrrev_b32_e32 v7, 16, v7
	s_mov_b64 s[0:1], 0
	v_cndmask_b32_e64 v8, 0, 1, vcc
	v_or_b32_e32 v6, v6, v8
	v_cmp_gt_i32_e32 vcc, 1, v9
	s_nop 1
	v_cndmask_b32_e32 v6, v11, v6, vcc
	v_and_b32_e32 v8, 7, v6
	v_cmp_lt_i32_e32 vcc, 5, v8
	v_lshrrev_b32_e32 v6, 2, v6
	s_nop 0
	v_cndmask_b32_e64 v10, 0, 1, vcc
	v_cmp_eq_u32_e32 vcc, 3, v8
	s_nop 1
	v_cndmask_b32_e64 v8, 0, 1, vcc
	v_or_b32_e32 v8, v8, v10
	v_add_u32_e32 v6, v6, v8
	v_cmp_gt_i32_e32 vcc, 31, v9
	s_nop 1
	v_cndmask_b32_e32 v1, v1, v6, vcc
	v_cmp_eq_u32_e32 vcc, s2, v9
	s_nop 1
	v_cndmask_b32_e32 v1, v1, v5, vcc
	v_and_or_b32 v5, v7, s3, v1
	s_branch .LBB336_1127
.LBB336_1125:
	s_mov_b64 s[0:1], -1
                                        ; implicit-def: $vgpr5
	s_branch .LBB336_1130
.LBB336_1126:
	s_mov_b64 s[0:1], -1
                                        ; implicit-def: $vgpr5
.LBB336_1127:
	s_andn2_b64 vcc, exec, s[0:1]
	s_cbranch_vccnz .LBB336_1129
; %bb.1128:
	global_load_dword v1, v[2:3], off
	s_waitcnt vmcnt(0)
	v_cvt_f16_f32_e32 v5, v1
.LBB336_1129:
	s_mov_b64 s[0:1], 0
.LBB336_1130:
	s_andn2_b64 vcc, exec, s[0:1]
	s_cbranch_vccnz .LBB336_1132
; %bb.1131:
	global_load_ushort v5, v[2:3], off
.LBB336_1132:
	s_cbranch_execnz .LBB336_1151
.LBB336_1133:
	s_cmp_lt_i32 s24, 2
	s_cbranch_scc1 .LBB336_1137
; %bb.1134:
	s_cmp_lt_i32 s24, 3
	s_cbranch_scc1 .LBB336_1138
; %bb.1135:
	s_cmp_gt_i32 s24, 3
	s_cbranch_scc0 .LBB336_1139
; %bb.1136:
	global_load_dwordx2 v[6:7], v[2:3], off
	s_mov_b64 s[0:1], 0
	s_waitcnt vmcnt(0)
	v_xor_b32_e32 v5, v6, v7
	v_ffbh_i32_e32 v1, v7
	v_ashrrev_i32_e32 v5, 31, v5
	v_add_u32_e32 v1, -1, v1
	v_add_u32_e32 v5, 32, v5
	v_min_u32_e32 v1, v1, v5
	v_lshlrev_b64 v[6:7], v1, v[6:7]
	v_min_u32_e32 v5, 1, v6
	v_or_b32_e32 v5, v7, v5
	v_cvt_f32_i32_e32 v5, v5
	v_sub_u32_e32 v1, 32, v1
	v_ldexp_f32 v1, v5, v1
	v_cvt_f16_f32_e32 v5, v1
	s_branch .LBB336_1140
.LBB336_1137:
                                        ; implicit-def: $vgpr5
	s_branch .LBB336_1146
.LBB336_1138:
	s_mov_b64 s[0:1], -1
                                        ; implicit-def: $vgpr5
	s_branch .LBB336_1143
.LBB336_1139:
	s_mov_b64 s[0:1], -1
                                        ; implicit-def: $vgpr5
.LBB336_1140:
	s_andn2_b64 vcc, exec, s[0:1]
	s_cbranch_vccnz .LBB336_1142
; %bb.1141:
	global_load_dword v1, v[2:3], off
	s_waitcnt vmcnt(0)
	v_cvt_f32_i32_e32 v1, v1
	v_cvt_f16_f32_e32 v5, v1
.LBB336_1142:
	s_mov_b64 s[0:1], 0
.LBB336_1143:
	s_andn2_b64 vcc, exec, s[0:1]
	s_cbranch_vccnz .LBB336_1145
; %bb.1144:
	global_load_ushort v1, v[2:3], off
	s_waitcnt vmcnt(0)
	v_cvt_f16_i16_e32 v5, v1
.LBB336_1145:
	s_cbranch_execnz .LBB336_1151
.LBB336_1146:
	s_cmp_gt_i32 s24, 0
	s_cbranch_scc0 .LBB336_1148
; %bb.1147:
	global_load_sbyte v1, v[2:3], off
	s_mov_b64 s[0:1], 0
	s_waitcnt vmcnt(0)
	v_cvt_f16_i16_e32 v5, v1
	s_branch .LBB336_1149
.LBB336_1148:
	s_mov_b64 s[0:1], -1
                                        ; implicit-def: $vgpr5
.LBB336_1149:
	s_andn2_b64 vcc, exec, s[0:1]
	s_cbranch_vccnz .LBB336_1151
; %bb.1150:
	global_load_ubyte v1, v[2:3], off
	s_waitcnt vmcnt(0)
	v_cvt_f16_u16_e32 v5, v1
.LBB336_1151:
.LBB336_1152:
	s_lshl_b32 s9, s9, 7
	v_add_u32_e32 v0, s9, v0
	v_ashrrev_i32_e32 v1, 31, v0
	s_cmp_lt_i32 s24, 11
	v_lshl_add_u64 v[2:3], s[6:7], 0, v[0:1]
	s_cbranch_scc1 .LBB336_1159
; %bb.1153:
	s_cmp_gt_i32 s24, 25
	s_mov_b64 s[2:3], 0
	s_cbranch_scc0 .LBB336_1161
; %bb.1154:
	s_cmp_gt_i32 s24, 28
	s_cbranch_scc0 .LBB336_1162
; %bb.1155:
	s_cmp_gt_i32 s24, 43
	;; [unrolled: 3-line block ×3, first 2 shown]
	s_cbranch_scc0 .LBB336_1165
; %bb.1157:
	s_cmp_eq_u32 s24, 46
	s_mov_b64 s[20:21], 0
	s_cbranch_scc0 .LBB336_1168
; %bb.1158:
	global_load_dword v1, v[2:3], off
	s_mov_b64 s[0:1], 0
	s_mov_b64 s[18:19], -1
	s_waitcnt vmcnt(0)
	v_lshlrev_b32_e32 v1, 16, v1
	v_cvt_f16_f32_e32 v6, v1
	s_branch .LBB336_1169
.LBB336_1159:
	s_mov_b64 s[18:19], 0
                                        ; implicit-def: $vgpr6
	s_cbranch_execnz .LBB336_1234
.LBB336_1160:
	s_andn2_b64 vcc, exec, s[18:19]
	s_cbranch_vccnz .LBB336_1973
	s_branch .LBB336_1281
.LBB336_1161:
	s_mov_b64 s[18:19], 0
	s_mov_b64 s[0:1], 0
                                        ; implicit-def: $vgpr6
	s_cbranch_execnz .LBB336_1198
	s_branch .LBB336_1230
.LBB336_1162:
	s_mov_b64 s[20:21], -1
	s_mov_b64 s[18:19], 0
	s_mov_b64 s[0:1], 0
                                        ; implicit-def: $vgpr6
	s_branch .LBB336_1179
.LBB336_1163:
	s_mov_b64 s[20:21], -1
	s_mov_b64 s[18:19], 0
	s_mov_b64 s[0:1], 0
                                        ; implicit-def: $vgpr6
	s_branch .LBB336_1174
.LBB336_1164:
	s_or_b64 s[16:17], s[14:15], exec
	s_trap 2
	s_cbranch_execz .LBB336_1105
	s_branch .LBB336_1106
.LBB336_1165:
	s_mov_b64 s[20:21], -1
	s_mov_b64 s[18:19], 0
	s_mov_b64 s[0:1], 0
                                        ; implicit-def: $vgpr6
	s_branch .LBB336_1169
.LBB336_1166:
	s_andn2_saveexec_b64 s[26:27], s[26:27]
	s_cbranch_execz .LBB336_952
.LBB336_1167:
	s_mov_b32 s30, 0x42800000
	v_add_f32_e64 v4, |v3|, s30
	v_and_b32_e32 v4, 0xff, v4
	v_cmp_ne_u32_e32 vcc, 0, v4
	s_andn2_b64 s[24:25], s[24:25], exec
	s_and_b64 s[30:31], vcc, exec
	s_or_b64 s[24:25], s[24:25], s[30:31]
	s_or_b64 exec, exec, s[26:27]
	v_mov_b32_e32 v5, 0
	s_and_saveexec_b64 s[26:27], s[24:25]
	s_cbranch_execnz .LBB336_953
	s_branch .LBB336_954
.LBB336_1168:
	s_mov_b64 s[0:1], -1
                                        ; implicit-def: $vgpr6
	s_mov_b64 s[18:19], 0
.LBB336_1169:
	s_and_b64 vcc, exec, s[20:21]
	s_cbranch_vccz .LBB336_1173
; %bb.1170:
	s_cmp_eq_u32 s24, 44
	s_cbranch_scc0 .LBB336_1172
; %bb.1171:
	global_load_ubyte v1, v[2:3], off
	s_movk_i32 s18, 0xff
	v_mov_b32_e32 v7, 0x7e00
	s_mov_b64 s[0:1], 0
	s_waitcnt vmcnt(0)
	v_lshlrev_b32_e32 v6, 23, v1
	v_cvt_f16_f32_e32 v6, v6
	v_cmp_ne_u32_e32 vcc, s18, v1
	s_mov_b64 s[18:19], -1
	s_nop 0
	v_cndmask_b32_e32 v6, v7, v6, vcc
	v_cmp_ne_u32_e32 vcc, 0, v1
	s_nop 1
	v_cndmask_b32_e32 v6, 0, v6, vcc
	s_branch .LBB336_1173
.LBB336_1172:
	s_mov_b64 s[0:1], -1
                                        ; implicit-def: $vgpr6
.LBB336_1173:
	s_mov_b64 s[20:21], 0
.LBB336_1174:
	s_and_b64 vcc, exec, s[20:21]
	s_cbranch_vccz .LBB336_1178
; %bb.1175:
	s_cmp_eq_u32 s24, 29
	s_cbranch_scc0 .LBB336_1177
; %bb.1176:
	global_load_dwordx2 v[6:7], v[2:3], off
	s_mov_b64 s[0:1], 0
	s_mov_b64 s[18:19], -1
	s_mov_b64 s[20:21], 0
	s_waitcnt vmcnt(0)
	v_ffbh_u32_e32 v1, v7
	v_min_u32_e32 v1, 32, v1
	v_lshlrev_b64 v[6:7], v1, v[6:7]
	v_min_u32_e32 v6, 1, v6
	v_or_b32_e32 v6, v7, v6
	v_cvt_f32_u32_e32 v6, v6
	v_sub_u32_e32 v1, 32, v1
	v_ldexp_f32 v1, v6, v1
	v_cvt_f16_f32_e32 v6, v1
	s_branch .LBB336_1179
.LBB336_1177:
	s_mov_b64 s[0:1], -1
                                        ; implicit-def: $vgpr6
.LBB336_1178:
	s_mov_b64 s[20:21], 0
.LBB336_1179:
	s_and_b64 vcc, exec, s[20:21]
	s_cbranch_vccz .LBB336_1197
; %bb.1180:
	s_cmp_lt_i32 s24, 27
	s_cbranch_scc1 .LBB336_1183
; %bb.1181:
	s_cmp_gt_i32 s24, 27
	s_cbranch_scc0 .LBB336_1184
; %bb.1182:
	global_load_dword v1, v[2:3], off
	s_mov_b64 s[18:19], 0
	s_waitcnt vmcnt(0)
	v_cvt_f32_u32_e32 v1, v1
	v_cvt_f16_f32_e32 v6, v1
	s_branch .LBB336_1185
.LBB336_1183:
	s_mov_b64 s[18:19], -1
                                        ; implicit-def: $vgpr6
	s_branch .LBB336_1188
.LBB336_1184:
	s_mov_b64 s[18:19], -1
                                        ; implicit-def: $vgpr6
.LBB336_1185:
	s_andn2_b64 vcc, exec, s[18:19]
	s_cbranch_vccnz .LBB336_1187
; %bb.1186:
	global_load_ushort v1, v[2:3], off
	s_waitcnt vmcnt(0)
	v_cvt_f16_u16_e32 v6, v1
.LBB336_1187:
	s_mov_b64 s[18:19], 0
.LBB336_1188:
	s_andn2_b64 vcc, exec, s[18:19]
	s_cbranch_vccnz .LBB336_1196
; %bb.1189:
	global_load_ubyte v1, v[2:3], off
	s_movk_i32 s18, 0x7f
	s_waitcnt vmcnt(0)
	v_cmp_lt_i16_e32 vcc, s18, v1
	s_mov_b64 s[18:19], 0
	s_and_saveexec_b64 s[20:21], vcc
	s_xor_b64 s[20:21], exec, s[20:21]
	s_cbranch_execz .LBB336_1209
; %bb.1190:
	s_movk_i32 s18, 0x80
	v_cmp_eq_u16_e32 vcc, s18, v1
	s_mov_b64 s[18:19], -1
	s_and_saveexec_b64 s[22:23], vcc
; %bb.1191:
	s_xor_b64 s[18:19], exec, -1
; %bb.1192:
	s_or_b64 exec, exec, s[22:23]
	s_and_b64 s[18:19], s[18:19], exec
	s_or_saveexec_b64 s[20:21], s[20:21]
	v_mov_b32_e32 v6, 0x7e00
	s_xor_b64 exec, exec, s[20:21]
	s_cbranch_execnz .LBB336_1210
.LBB336_1193:
	s_or_b64 exec, exec, s[20:21]
	s_and_saveexec_b64 s[20:21], s[18:19]
	s_cbranch_execz .LBB336_1195
.LBB336_1194:
	v_lshlrev_b32_e32 v6, 24, v1
	v_and_b32_e32 v1, 0xffff, v1
	v_and_b32_e32 v7, 7, v1
	v_ffbh_u32_e32 v9, v7
	v_min_u32_e32 v9, 32, v9
	v_subrev_u32_e32 v10, 28, v9
	v_bfe_u32 v8, v1, 3, 4
	v_lshlrev_b32_e32 v1, v10, v1
	v_sub_u32_e32 v9, 29, v9
	v_and_b32_e32 v1, 7, v1
	v_cmp_eq_u32_e32 vcc, 0, v8
	v_and_b32_e32 v6, 0x80000000, v6
	s_nop 0
	v_cndmask_b32_e32 v8, v8, v9, vcc
	v_cndmask_b32_e32 v1, v7, v1, vcc
	v_mov_b32_e32 v7, 0x3b800000
	v_lshlrev_b32_e32 v1, 20, v1
	v_lshl_add_u32 v7, v8, 23, v7
	v_or3_b32 v1, v6, v7, v1
	v_cvt_f16_f32_e32 v6, v1
.LBB336_1195:
	s_or_b64 exec, exec, s[20:21]
.LBB336_1196:
	s_mov_b64 s[18:19], -1
.LBB336_1197:
	s_branch .LBB336_1230
.LBB336_1198:
	s_cmp_gt_i32 s24, 22
	s_cbranch_scc0 .LBB336_1208
; %bb.1199:
	s_cmp_lt_i32 s24, 24
	s_cbranch_scc1 .LBB336_1211
; %bb.1200:
	s_cmp_gt_i32 s24, 24
	s_cbranch_scc0 .LBB336_1212
; %bb.1201:
	global_load_ubyte v1, v[2:3], off
	s_movk_i32 s2, 0x7f
	s_waitcnt vmcnt(0)
	v_cmp_lt_i16_e32 vcc, s2, v1
	s_mov_b64 s[2:3], 0
	s_and_saveexec_b64 s[18:19], vcc
	s_xor_b64 s[18:19], exec, s[18:19]
	s_cbranch_execz .LBB336_1224
; %bb.1202:
	s_movk_i32 s2, 0x80
	v_cmp_eq_u16_e32 vcc, s2, v1
	s_mov_b64 s[2:3], -1
	s_and_saveexec_b64 s[20:21], vcc
; %bb.1203:
	s_xor_b64 s[2:3], exec, -1
; %bb.1204:
	s_or_b64 exec, exec, s[20:21]
	s_and_b64 s[2:3], s[2:3], exec
	s_or_saveexec_b64 s[18:19], s[18:19]
	v_mov_b32_e32 v6, 0x7e00
	s_xor_b64 exec, exec, s[18:19]
	s_cbranch_execnz .LBB336_1225
.LBB336_1205:
	s_or_b64 exec, exec, s[18:19]
	s_and_saveexec_b64 s[18:19], s[2:3]
	s_cbranch_execz .LBB336_1207
.LBB336_1206:
	v_lshlrev_b32_e32 v6, 24, v1
	v_and_b32_e32 v1, 0xffff, v1
	v_and_b32_e32 v7, 3, v1
	v_ffbh_u32_e32 v9, v7
	v_min_u32_e32 v9, 32, v9
	v_subrev_u32_e32 v10, 29, v9
	v_bfe_u32 v8, v1, 2, 5
	v_lshlrev_b32_e32 v1, v10, v1
	v_sub_u32_e32 v9, 30, v9
	v_and_b32_e32 v1, 3, v1
	v_cmp_eq_u32_e32 vcc, 0, v8
	v_and_b32_e32 v6, 0x80000000, v6
	s_nop 0
	v_cndmask_b32_e32 v8, v8, v9, vcc
	v_cndmask_b32_e32 v1, v7, v1, vcc
	v_mov_b32_e32 v7, 0x37800000
	v_lshlrev_b32_e32 v1, 21, v1
	v_lshl_add_u32 v7, v8, 23, v7
	v_or3_b32 v1, v6, v7, v1
	v_cvt_f16_f32_e32 v6, v1
.LBB336_1207:
	s_or_b64 exec, exec, s[18:19]
	s_mov_b64 s[2:3], 0
	s_branch .LBB336_1213
.LBB336_1208:
	s_mov_b64 s[2:3], -1
                                        ; implicit-def: $vgpr6
	s_branch .LBB336_1219
.LBB336_1209:
	s_or_saveexec_b64 s[20:21], s[20:21]
	v_mov_b32_e32 v6, 0x7e00
	s_xor_b64 exec, exec, s[20:21]
	s_cbranch_execz .LBB336_1193
.LBB336_1210:
	v_cmp_ne_u16_e32 vcc, 0, v1
	s_andn2_b64 s[18:19], s[18:19], exec
	s_and_b64 s[22:23], vcc, exec
	s_or_b64 s[18:19], s[18:19], s[22:23]
	v_mov_b32_e32 v6, v1
	s_or_b64 exec, exec, s[20:21]
	s_and_saveexec_b64 s[20:21], s[18:19]
	s_cbranch_execnz .LBB336_1194
	s_branch .LBB336_1195
.LBB336_1211:
	s_mov_b64 s[2:3], -1
                                        ; implicit-def: $vgpr6
	s_branch .LBB336_1216
.LBB336_1212:
	s_mov_b64 s[2:3], -1
                                        ; implicit-def: $vgpr6
.LBB336_1213:
	s_and_b64 vcc, exec, s[2:3]
	s_cbranch_vccz .LBB336_1215
; %bb.1214:
	global_load_ubyte v1, v[2:3], off
	s_mov_b32 s2, 0x7f800000
	s_waitcnt vmcnt(0)
	v_lshlrev_b32_e32 v1, 24, v1
	v_and_b32_e32 v6, 0x7f000000, v1
	v_ffbh_u32_e32 v7, v6
	v_min_u32_e32 v7, 32, v7
	v_sub_u32_e64 v7, v7, 4 clamp
	v_lshlrev_b32_e32 v9, v7, v6
	v_lshlrev_b32_e32 v7, 23, v7
	v_lshrrev_b32_e32 v9, 4, v9
	v_add_u32_e32 v8, 0x1000000, v6
	v_sub_u32_e32 v7, v9, v7
	v_ashrrev_i32_e32 v8, 8, v8
	v_add_u32_e32 v7, 0x3c000000, v7
	v_and_or_b32 v7, v8, s2, v7
	v_cmp_ne_u32_e32 vcc, 0, v6
	s_brev_b32 s2, 1
	s_nop 0
	v_cndmask_b32_e32 v6, 0, v7, vcc
	v_and_or_b32 v1, v1, s2, v6
	v_cvt_f16_f32_e32 v6, v1
.LBB336_1215:
	s_mov_b64 s[2:3], 0
.LBB336_1216:
	s_andn2_b64 vcc, exec, s[2:3]
	s_cbranch_vccnz .LBB336_1218
; %bb.1217:
	global_load_ubyte v1, v[2:3], off
	s_movk_i32 s2, 0x7f00
	s_brev_b32 s3, 16
	s_waitcnt vmcnt(0)
	v_lshlrev_b16_e32 v6, 8, v1
	v_lshlrev_b32_e32 v1, 25, v1
	v_lshrrev_b32_e32 v7, 4, v1
	v_and_or_b32 v8, v6, s2, 0.5
	v_or_b32_e32 v7, 0x70000000, v7
	v_add_f32_e32 v8, -0.5, v8
	v_mul_f32_e32 v7, 0x7800000, v7
	v_cmp_gt_u32_e32 vcc, s3, v1
	v_bfe_i32 v6, v6, 0, 16
	s_brev_b32 s2, 1
	v_cndmask_b32_e32 v1, v7, v8, vcc
	v_and_or_b32 v1, v6, s2, v1
	v_cvt_f16_f32_e32 v6, v1
.LBB336_1218:
	s_mov_b64 s[2:3], 0
	s_mov_b64 s[18:19], -1
.LBB336_1219:
	s_andn2_b64 vcc, exec, s[2:3]
	s_mov_b64 s[2:3], 0
	s_cbranch_vccnz .LBB336_1230
; %bb.1220:
	s_cmp_gt_i32 s24, 14
	s_cbranch_scc0 .LBB336_1223
; %bb.1221:
	s_cmp_eq_u32 s24, 15
	s_cbranch_scc0 .LBB336_1226
; %bb.1222:
	global_load_ushort v1, v[2:3], off
	s_mov_b64 s[0:1], 0
	s_mov_b64 s[18:19], -1
	s_waitcnt vmcnt(0)
	v_lshlrev_b32_e32 v1, 16, v1
	v_cvt_f16_f32_e32 v6, v1
	s_branch .LBB336_1227
.LBB336_1223:
	s_mov_b64 s[20:21], -1
                                        ; implicit-def: $vgpr6
	s_branch .LBB336_1228
.LBB336_1224:
	s_or_saveexec_b64 s[18:19], s[18:19]
	v_mov_b32_e32 v6, 0x7e00
	s_xor_b64 exec, exec, s[18:19]
	s_cbranch_execz .LBB336_1205
.LBB336_1225:
	v_cmp_ne_u16_e32 vcc, 0, v1
	s_andn2_b64 s[2:3], s[2:3], exec
	s_and_b64 s[20:21], vcc, exec
	s_or_b64 s[2:3], s[2:3], s[20:21]
	v_mov_b32_e32 v6, v1
	s_or_b64 exec, exec, s[18:19]
	s_and_saveexec_b64 s[18:19], s[2:3]
	s_cbranch_execnz .LBB336_1206
	s_branch .LBB336_1207
.LBB336_1226:
	s_mov_b64 s[0:1], -1
                                        ; implicit-def: $vgpr6
.LBB336_1227:
	s_mov_b64 s[20:21], 0
.LBB336_1228:
	s_and_b64 vcc, exec, s[20:21]
	s_cbranch_vccz .LBB336_1230
; %bb.1229:
	s_cmp_lg_u32 s24, 11
	s_mov_b64 s[2:3], -1
	s_cselect_b64 s[0:1], -1, 0
.LBB336_1230:
	s_and_b64 vcc, exec, s[0:1]
	s_cbranch_vccnz .LBB336_1293
; %bb.1231:
	s_andn2_b64 vcc, exec, s[2:3]
	s_cbranch_vccnz .LBB336_1233
.LBB336_1232:
	global_load_ubyte v1, v[2:3], off
	v_mov_b32_e32 v6, 0x3c00
	s_mov_b64 s[18:19], -1
	s_waitcnt vmcnt(0)
	v_cmp_ne_u16_e32 vcc, 0, v1
	s_nop 1
	v_cndmask_b32_e32 v6, 0, v6, vcc
.LBB336_1233:
	s_branch .LBB336_1160
.LBB336_1234:
	s_cmp_lt_i32 s24, 5
	s_cbranch_scc1 .LBB336_1239
; %bb.1235:
	s_cmp_lt_i32 s24, 8
	s_cbranch_scc1 .LBB336_1240
; %bb.1236:
	;; [unrolled: 3-line block ×3, first 2 shown]
	s_cmp_gt_i32 s24, 9
	s_cbranch_scc0 .LBB336_1242
; %bb.1238:
	global_load_dwordx2 v[6:7], v[2:3], off
	s_movk_i32 s0, 0x1ff
	s_movk_i32 s1, 0xffe
	v_mov_b32_e32 v1, 0x7c00
	v_mov_b32_e32 v8, 0x7e00
	s_movk_i32 s2, 0x40f
	s_mov_b32 s3, 0x8000
	s_waitcnt vmcnt(0)
	v_and_or_b32 v6, v7, s0, v6
	v_cmp_ne_u32_e32 vcc, 0, v6
	v_lshrrev_b32_e32 v9, 8, v7
	v_bfe_u32 v10, v7, 20, 11
	v_cndmask_b32_e64 v6, 0, 1, vcc
	v_sub_u32_e32 v11, 0x3f1, v10
	v_and_or_b32 v6, v9, s1, v6
	v_add_u32_e32 v10, 0xfffffc10, v10
	v_med3_i32 v9, v11, 0, 13
	v_or_b32_e32 v11, 0x1000, v6
	v_cmp_ne_u32_e32 vcc, 0, v6
	v_lshl_or_b32 v12, v10, 12, v6
	v_lshrrev_b32_e32 v7, 16, v7
	v_cndmask_b32_e32 v6, v1, v8, vcc
	v_lshrrev_b32_e32 v8, v9, v11
	v_lshlrev_b32_e32 v9, v9, v8
	v_cmp_ne_u32_e32 vcc, v9, v11
	s_mov_b64 s[0:1], 0
	s_nop 0
	v_cndmask_b32_e64 v9, 0, 1, vcc
	v_or_b32_e32 v8, v8, v9
	v_cmp_gt_i32_e32 vcc, 1, v10
	s_nop 1
	v_cndmask_b32_e32 v8, v12, v8, vcc
	v_and_b32_e32 v9, 7, v8
	v_cmp_lt_i32_e32 vcc, 5, v9
	v_lshrrev_b32_e32 v8, 2, v8
	s_nop 0
	v_cndmask_b32_e64 v11, 0, 1, vcc
	v_cmp_eq_u32_e32 vcc, 3, v9
	s_nop 1
	v_cndmask_b32_e64 v9, 0, 1, vcc
	v_or_b32_e32 v9, v9, v11
	v_add_u32_e32 v8, v8, v9
	v_cmp_gt_i32_e32 vcc, 31, v10
	s_nop 1
	v_cndmask_b32_e32 v1, v1, v8, vcc
	v_cmp_eq_u32_e32 vcc, s2, v10
	s_nop 1
	v_cndmask_b32_e32 v1, v1, v6, vcc
	v_and_or_b32 v6, v7, s3, v1
	s_branch .LBB336_1243
.LBB336_1239:
                                        ; implicit-def: $vgpr6
	s_branch .LBB336_1261
.LBB336_1240:
	s_mov_b64 s[0:1], -1
                                        ; implicit-def: $vgpr6
	s_branch .LBB336_1249
.LBB336_1241:
	s_mov_b64 s[0:1], -1
                                        ; implicit-def: $vgpr6
	s_branch .LBB336_1246
.LBB336_1242:
	s_mov_b64 s[0:1], -1
                                        ; implicit-def: $vgpr6
.LBB336_1243:
	s_andn2_b64 vcc, exec, s[0:1]
	s_cbranch_vccnz .LBB336_1245
; %bb.1244:
	global_load_dword v1, v[2:3], off
	s_waitcnt vmcnt(0)
	v_cvt_f16_f32_e32 v6, v1
.LBB336_1245:
	s_mov_b64 s[0:1], 0
.LBB336_1246:
	s_andn2_b64 vcc, exec, s[0:1]
	s_cbranch_vccnz .LBB336_1248
; %bb.1247:
	global_load_dword v6, v[2:3], off
.LBB336_1248:
	s_mov_b64 s[0:1], 0
.LBB336_1249:
	s_andn2_b64 vcc, exec, s[0:1]
	s_cbranch_vccnz .LBB336_1260
; %bb.1250:
	s_cmp_lt_i32 s24, 6
	s_cbranch_scc1 .LBB336_1253
; %bb.1251:
	s_cmp_gt_i32 s24, 6
	s_cbranch_scc0 .LBB336_1254
; %bb.1252:
	global_load_dwordx2 v[6:7], v[2:3], off
	s_movk_i32 s0, 0x1ff
	s_movk_i32 s1, 0xffe
	v_mov_b32_e32 v1, 0x7c00
	v_mov_b32_e32 v8, 0x7e00
	s_movk_i32 s2, 0x40f
	s_mov_b32 s3, 0x8000
	s_waitcnt vmcnt(0)
	v_and_or_b32 v6, v7, s0, v6
	v_cmp_ne_u32_e32 vcc, 0, v6
	v_lshrrev_b32_e32 v9, 8, v7
	v_bfe_u32 v10, v7, 20, 11
	v_cndmask_b32_e64 v6, 0, 1, vcc
	v_sub_u32_e32 v11, 0x3f1, v10
	v_and_or_b32 v6, v9, s1, v6
	v_add_u32_e32 v10, 0xfffffc10, v10
	v_med3_i32 v9, v11, 0, 13
	v_or_b32_e32 v11, 0x1000, v6
	v_cmp_ne_u32_e32 vcc, 0, v6
	v_lshl_or_b32 v12, v10, 12, v6
	v_lshrrev_b32_e32 v7, 16, v7
	v_cndmask_b32_e32 v6, v1, v8, vcc
	v_lshrrev_b32_e32 v8, v9, v11
	v_lshlrev_b32_e32 v9, v9, v8
	v_cmp_ne_u32_e32 vcc, v9, v11
	s_mov_b64 s[0:1], 0
	s_nop 0
	v_cndmask_b32_e64 v9, 0, 1, vcc
	v_or_b32_e32 v8, v8, v9
	v_cmp_gt_i32_e32 vcc, 1, v10
	s_nop 1
	v_cndmask_b32_e32 v8, v12, v8, vcc
	v_and_b32_e32 v9, 7, v8
	v_cmp_lt_i32_e32 vcc, 5, v9
	v_lshrrev_b32_e32 v8, 2, v8
	s_nop 0
	v_cndmask_b32_e64 v11, 0, 1, vcc
	v_cmp_eq_u32_e32 vcc, 3, v9
	s_nop 1
	v_cndmask_b32_e64 v9, 0, 1, vcc
	v_or_b32_e32 v9, v9, v11
	v_add_u32_e32 v8, v8, v9
	v_cmp_gt_i32_e32 vcc, 31, v10
	s_nop 1
	v_cndmask_b32_e32 v1, v1, v8, vcc
	v_cmp_eq_u32_e32 vcc, s2, v10
	s_nop 1
	v_cndmask_b32_e32 v1, v1, v6, vcc
	v_and_or_b32 v6, v7, s3, v1
	s_branch .LBB336_1255
.LBB336_1253:
	s_mov_b64 s[0:1], -1
                                        ; implicit-def: $vgpr6
	s_branch .LBB336_1258
.LBB336_1254:
	s_mov_b64 s[0:1], -1
                                        ; implicit-def: $vgpr6
.LBB336_1255:
	s_andn2_b64 vcc, exec, s[0:1]
	s_cbranch_vccnz .LBB336_1257
; %bb.1256:
	global_load_dword v1, v[2:3], off
	s_waitcnt vmcnt(0)
	v_cvt_f16_f32_e32 v6, v1
.LBB336_1257:
	s_mov_b64 s[0:1], 0
.LBB336_1258:
	s_andn2_b64 vcc, exec, s[0:1]
	s_cbranch_vccnz .LBB336_1260
; %bb.1259:
	global_load_ushort v6, v[2:3], off
.LBB336_1260:
	s_cbranch_execnz .LBB336_1280
.LBB336_1261:
	s_cmp_lt_i32 s24, 2
	s_cbranch_scc1 .LBB336_1265
; %bb.1262:
	s_cmp_lt_i32 s24, 3
	s_cbranch_scc1 .LBB336_1266
; %bb.1263:
	s_cmp_gt_i32 s24, 3
	s_cbranch_scc0 .LBB336_1267
; %bb.1264:
	global_load_dwordx2 v[6:7], v[2:3], off
	s_mov_b64 s[0:1], 0
	s_waitcnt vmcnt(0)
	v_xor_b32_e32 v8, v6, v7
	v_ffbh_i32_e32 v1, v7
	v_ashrrev_i32_e32 v8, 31, v8
	v_add_u32_e32 v1, -1, v1
	v_add_u32_e32 v8, 32, v8
	v_min_u32_e32 v1, v1, v8
	v_lshlrev_b64 v[6:7], v1, v[6:7]
	v_min_u32_e32 v6, 1, v6
	v_or_b32_e32 v6, v7, v6
	v_cvt_f32_i32_e32 v6, v6
	v_sub_u32_e32 v1, 32, v1
	v_ldexp_f32 v1, v6, v1
	v_cvt_f16_f32_e32 v6, v1
	s_branch .LBB336_1268
.LBB336_1265:
	s_mov_b64 s[0:1], -1
                                        ; implicit-def: $vgpr6
	s_branch .LBB336_1274
.LBB336_1266:
	s_mov_b64 s[0:1], -1
                                        ; implicit-def: $vgpr6
	s_branch .LBB336_1271
.LBB336_1267:
	s_mov_b64 s[0:1], -1
                                        ; implicit-def: $vgpr6
.LBB336_1268:
	s_andn2_b64 vcc, exec, s[0:1]
	s_cbranch_vccnz .LBB336_1270
; %bb.1269:
	global_load_dword v1, v[2:3], off
	s_waitcnt vmcnt(0)
	v_cvt_f32_i32_e32 v1, v1
	v_cvt_f16_f32_e32 v6, v1
.LBB336_1270:
	s_mov_b64 s[0:1], 0
.LBB336_1271:
	s_andn2_b64 vcc, exec, s[0:1]
	s_cbranch_vccnz .LBB336_1273
; %bb.1272:
	global_load_ushort v1, v[2:3], off
	s_waitcnt vmcnt(0)
	v_cvt_f16_i16_e32 v6, v1
.LBB336_1273:
	s_mov_b64 s[0:1], 0
.LBB336_1274:
	s_andn2_b64 vcc, exec, s[0:1]
	s_cbranch_vccnz .LBB336_1280
; %bb.1275:
	s_cmp_gt_i32 s24, 0
	s_cbranch_scc0 .LBB336_1277
; %bb.1276:
	global_load_sbyte v1, v[2:3], off
	s_mov_b64 s[0:1], 0
	s_waitcnt vmcnt(0)
	v_cvt_f16_i16_e32 v6, v1
	s_branch .LBB336_1278
.LBB336_1277:
	s_mov_b64 s[0:1], -1
                                        ; implicit-def: $vgpr6
.LBB336_1278:
	s_andn2_b64 vcc, exec, s[0:1]
	s_cbranch_vccnz .LBB336_1280
; %bb.1279:
	global_load_ubyte v1, v[2:3], off
	s_waitcnt vmcnt(0)
	v_cvt_f16_u16_e32 v6, v1
.LBB336_1280:
.LBB336_1281:
	v_add_u32_e32 v0, s9, v0
	v_ashrrev_i32_e32 v1, 31, v0
	s_cmp_lt_i32 s24, 11
	v_lshl_add_u64 v[2:3], s[6:7], 0, v[0:1]
	s_cbranch_scc1 .LBB336_1288
; %bb.1282:
	s_cmp_gt_i32 s24, 25
	s_mov_b64 s[2:3], 0
	s_cbranch_scc0 .LBB336_1290
; %bb.1283:
	s_cmp_gt_i32 s24, 28
	s_cbranch_scc0 .LBB336_1291
; %bb.1284:
	s_cmp_gt_i32 s24, 43
	;; [unrolled: 3-line block ×3, first 2 shown]
	s_cbranch_scc0 .LBB336_1294
; %bb.1286:
	s_cmp_eq_u32 s24, 46
	s_mov_b64 s[20:21], 0
	s_cbranch_scc0 .LBB336_1295
; %bb.1287:
	global_load_dword v1, v[2:3], off
	s_mov_b64 s[0:1], 0
	s_mov_b64 s[18:19], -1
	s_waitcnt vmcnt(0)
	v_lshlrev_b32_e32 v1, 16, v1
	v_cvt_f16_f32_e32 v7, v1
	s_branch .LBB336_1296
.LBB336_1288:
	s_mov_b64 s[18:19], 0
                                        ; implicit-def: $vgpr7
	s_cbranch_execnz .LBB336_1362
.LBB336_1289:
	s_andn2_b64 vcc, exec, s[18:19]
	s_cbranch_vccnz .LBB336_1973
	s_branch .LBB336_1410
.LBB336_1290:
	s_mov_b64 s[20:21], -1
	s_mov_b64 s[18:19], 0
	s_mov_b64 s[0:1], 0
                                        ; implicit-def: $vgpr7
	s_branch .LBB336_1325
.LBB336_1291:
	s_mov_b64 s[20:21], -1
	s_mov_b64 s[18:19], 0
	s_mov_b64 s[0:1], 0
                                        ; implicit-def: $vgpr7
	s_branch .LBB336_1306
.LBB336_1292:
	s_mov_b64 s[20:21], -1
	s_mov_b64 s[18:19], 0
	s_mov_b64 s[0:1], 0
                                        ; implicit-def: $vgpr7
	s_branch .LBB336_1301
.LBB336_1293:
	s_trap 2
	s_or_b64 s[16:17], s[16:17], exec
	s_cbranch_execz .LBB336_1232
	s_branch .LBB336_1233
.LBB336_1294:
	s_mov_b64 s[20:21], -1
	s_mov_b64 s[18:19], 0
	s_mov_b64 s[0:1], 0
                                        ; implicit-def: $vgpr7
	s_branch .LBB336_1296
.LBB336_1295:
	s_mov_b64 s[0:1], -1
                                        ; implicit-def: $vgpr7
	s_mov_b64 s[18:19], 0
.LBB336_1296:
	s_and_b64 vcc, exec, s[20:21]
	s_cbranch_vccz .LBB336_1300
; %bb.1297:
	s_cmp_eq_u32 s24, 44
	s_cbranch_scc0 .LBB336_1299
; %bb.1298:
	global_load_ubyte v1, v[2:3], off
	s_movk_i32 s18, 0xff
	v_mov_b32_e32 v8, 0x7e00
	s_mov_b64 s[0:1], 0
	s_waitcnt vmcnt(0)
	v_lshlrev_b32_e32 v7, 23, v1
	v_cvt_f16_f32_e32 v7, v7
	v_cmp_ne_u32_e32 vcc, s18, v1
	s_mov_b64 s[18:19], -1
	s_nop 0
	v_cndmask_b32_e32 v7, v8, v7, vcc
	v_cmp_ne_u32_e32 vcc, 0, v1
	s_nop 1
	v_cndmask_b32_e32 v7, 0, v7, vcc
	s_branch .LBB336_1300
.LBB336_1299:
	s_mov_b64 s[0:1], -1
                                        ; implicit-def: $vgpr7
.LBB336_1300:
	s_mov_b64 s[20:21], 0
.LBB336_1301:
	s_and_b64 vcc, exec, s[20:21]
	s_cbranch_vccz .LBB336_1305
; %bb.1302:
	s_cmp_eq_u32 s24, 29
	s_cbranch_scc0 .LBB336_1304
; %bb.1303:
	global_load_dwordx2 v[8:9], v[2:3], off
	s_mov_b64 s[0:1], 0
	s_mov_b64 s[18:19], -1
	s_mov_b64 s[20:21], 0
	s_waitcnt vmcnt(0)
	v_ffbh_u32_e32 v1, v9
	v_min_u32_e32 v1, 32, v1
	v_lshlrev_b64 v[8:9], v1, v[8:9]
	v_min_u32_e32 v7, 1, v8
	v_or_b32_e32 v7, v9, v7
	v_cvt_f32_u32_e32 v7, v7
	v_sub_u32_e32 v1, 32, v1
	v_ldexp_f32 v1, v7, v1
	v_cvt_f16_f32_e32 v7, v1
	s_branch .LBB336_1306
.LBB336_1304:
	s_mov_b64 s[0:1], -1
                                        ; implicit-def: $vgpr7
.LBB336_1305:
	s_mov_b64 s[20:21], 0
.LBB336_1306:
	s_and_b64 vcc, exec, s[20:21]
	s_cbranch_vccz .LBB336_1324
; %bb.1307:
	s_cmp_lt_i32 s24, 27
	s_cbranch_scc1 .LBB336_1310
; %bb.1308:
	s_cmp_gt_i32 s24, 27
	s_cbranch_scc0 .LBB336_1311
; %bb.1309:
	global_load_dword v1, v[2:3], off
	s_mov_b64 s[18:19], 0
	s_waitcnt vmcnt(0)
	v_cvt_f32_u32_e32 v1, v1
	v_cvt_f16_f32_e32 v7, v1
	s_branch .LBB336_1312
.LBB336_1310:
	s_mov_b64 s[18:19], -1
                                        ; implicit-def: $vgpr7
	s_branch .LBB336_1315
.LBB336_1311:
	s_mov_b64 s[18:19], -1
                                        ; implicit-def: $vgpr7
.LBB336_1312:
	s_andn2_b64 vcc, exec, s[18:19]
	s_cbranch_vccnz .LBB336_1314
; %bb.1313:
	global_load_ushort v1, v[2:3], off
	s_waitcnt vmcnt(0)
	v_cvt_f16_u16_e32 v7, v1
.LBB336_1314:
	s_mov_b64 s[18:19], 0
.LBB336_1315:
	s_andn2_b64 vcc, exec, s[18:19]
	s_cbranch_vccnz .LBB336_1323
; %bb.1316:
	global_load_ubyte v1, v[2:3], off
	s_movk_i32 s18, 0x7f
	s_waitcnt vmcnt(0)
	v_cmp_lt_i16_e32 vcc, s18, v1
	s_mov_b64 s[18:19], 0
	s_and_saveexec_b64 s[20:21], vcc
	s_xor_b64 s[20:21], exec, s[20:21]
	s_cbranch_execz .LBB336_1337
; %bb.1317:
	s_movk_i32 s18, 0x80
	v_cmp_eq_u16_e32 vcc, s18, v1
	s_mov_b64 s[18:19], -1
	s_and_saveexec_b64 s[22:23], vcc
; %bb.1318:
	s_xor_b64 s[18:19], exec, -1
; %bb.1319:
	s_or_b64 exec, exec, s[22:23]
	s_and_b64 s[18:19], s[18:19], exec
	s_or_saveexec_b64 s[20:21], s[20:21]
	v_mov_b32_e32 v7, 0x7e00
	s_xor_b64 exec, exec, s[20:21]
	s_cbranch_execnz .LBB336_1338
.LBB336_1320:
	s_or_b64 exec, exec, s[20:21]
	s_and_saveexec_b64 s[20:21], s[18:19]
	s_cbranch_execz .LBB336_1322
.LBB336_1321:
	v_lshlrev_b32_e32 v7, 24, v1
	v_and_b32_e32 v1, 0xffff, v1
	v_and_b32_e32 v8, 7, v1
	v_ffbh_u32_e32 v10, v8
	v_min_u32_e32 v10, 32, v10
	v_subrev_u32_e32 v11, 28, v10
	v_bfe_u32 v9, v1, 3, 4
	v_lshlrev_b32_e32 v1, v11, v1
	v_sub_u32_e32 v10, 29, v10
	v_and_b32_e32 v1, 7, v1
	v_cmp_eq_u32_e32 vcc, 0, v9
	v_and_b32_e32 v7, 0x80000000, v7
	s_nop 0
	v_cndmask_b32_e32 v9, v9, v10, vcc
	v_cndmask_b32_e32 v1, v8, v1, vcc
	v_mov_b32_e32 v8, 0x3b800000
	v_lshlrev_b32_e32 v1, 20, v1
	v_lshl_add_u32 v8, v9, 23, v8
	v_or3_b32 v1, v7, v8, v1
	v_cvt_f16_f32_e32 v7, v1
.LBB336_1322:
	s_or_b64 exec, exec, s[20:21]
.LBB336_1323:
	s_mov_b64 s[18:19], -1
.LBB336_1324:
	s_mov_b64 s[20:21], 0
.LBB336_1325:
	s_and_b64 vcc, exec, s[20:21]
	s_cbranch_vccz .LBB336_1358
; %bb.1326:
	s_cmp_gt_i32 s24, 22
	s_cbranch_scc0 .LBB336_1336
; %bb.1327:
	s_cmp_lt_i32 s24, 24
	s_cbranch_scc1 .LBB336_1339
; %bb.1328:
	s_cmp_gt_i32 s24, 24
	s_cbranch_scc0 .LBB336_1340
; %bb.1329:
	global_load_ubyte v1, v[2:3], off
	s_movk_i32 s2, 0x7f
	s_waitcnt vmcnt(0)
	v_cmp_lt_i16_e32 vcc, s2, v1
	s_mov_b64 s[2:3], 0
	s_and_saveexec_b64 s[18:19], vcc
	s_xor_b64 s[18:19], exec, s[18:19]
	s_cbranch_execz .LBB336_1352
; %bb.1330:
	s_movk_i32 s2, 0x80
	v_cmp_eq_u16_e32 vcc, s2, v1
	s_mov_b64 s[2:3], -1
	s_and_saveexec_b64 s[20:21], vcc
; %bb.1331:
	s_xor_b64 s[2:3], exec, -1
; %bb.1332:
	s_or_b64 exec, exec, s[20:21]
	s_and_b64 s[2:3], s[2:3], exec
	s_or_saveexec_b64 s[18:19], s[18:19]
	v_mov_b32_e32 v7, 0x7e00
	s_xor_b64 exec, exec, s[18:19]
	s_cbranch_execnz .LBB336_1353
.LBB336_1333:
	s_or_b64 exec, exec, s[18:19]
	s_and_saveexec_b64 s[18:19], s[2:3]
	s_cbranch_execz .LBB336_1335
.LBB336_1334:
	v_lshlrev_b32_e32 v7, 24, v1
	v_and_b32_e32 v1, 0xffff, v1
	v_and_b32_e32 v8, 3, v1
	v_ffbh_u32_e32 v10, v8
	v_min_u32_e32 v10, 32, v10
	v_subrev_u32_e32 v11, 29, v10
	v_bfe_u32 v9, v1, 2, 5
	v_lshlrev_b32_e32 v1, v11, v1
	v_sub_u32_e32 v10, 30, v10
	v_and_b32_e32 v1, 3, v1
	v_cmp_eq_u32_e32 vcc, 0, v9
	v_and_b32_e32 v7, 0x80000000, v7
	s_nop 0
	v_cndmask_b32_e32 v9, v9, v10, vcc
	v_cndmask_b32_e32 v1, v8, v1, vcc
	v_mov_b32_e32 v8, 0x37800000
	v_lshlrev_b32_e32 v1, 21, v1
	v_lshl_add_u32 v8, v9, 23, v8
	v_or3_b32 v1, v7, v8, v1
	v_cvt_f16_f32_e32 v7, v1
.LBB336_1335:
	s_or_b64 exec, exec, s[18:19]
	s_mov_b64 s[2:3], 0
	s_branch .LBB336_1341
.LBB336_1336:
	s_mov_b64 s[2:3], -1
                                        ; implicit-def: $vgpr7
	s_branch .LBB336_1347
.LBB336_1337:
	s_or_saveexec_b64 s[20:21], s[20:21]
	v_mov_b32_e32 v7, 0x7e00
	s_xor_b64 exec, exec, s[20:21]
	s_cbranch_execz .LBB336_1320
.LBB336_1338:
	v_cmp_ne_u16_e32 vcc, 0, v1
	s_andn2_b64 s[18:19], s[18:19], exec
	s_and_b64 s[22:23], vcc, exec
	s_or_b64 s[18:19], s[18:19], s[22:23]
	v_mov_b32_e32 v7, v1
	s_or_b64 exec, exec, s[20:21]
	s_and_saveexec_b64 s[20:21], s[18:19]
	s_cbranch_execnz .LBB336_1321
	s_branch .LBB336_1322
.LBB336_1339:
	s_mov_b64 s[2:3], -1
                                        ; implicit-def: $vgpr7
	s_branch .LBB336_1344
.LBB336_1340:
	s_mov_b64 s[2:3], -1
                                        ; implicit-def: $vgpr7
.LBB336_1341:
	s_and_b64 vcc, exec, s[2:3]
	s_cbranch_vccz .LBB336_1343
; %bb.1342:
	global_load_ubyte v1, v[2:3], off
	s_mov_b32 s2, 0x7f800000
	s_waitcnt vmcnt(0)
	v_lshlrev_b32_e32 v1, 24, v1
	v_and_b32_e32 v7, 0x7f000000, v1
	v_ffbh_u32_e32 v8, v7
	v_min_u32_e32 v8, 32, v8
	v_sub_u32_e64 v8, v8, 4 clamp
	v_lshlrev_b32_e32 v10, v8, v7
	v_lshlrev_b32_e32 v8, 23, v8
	v_lshrrev_b32_e32 v10, 4, v10
	v_add_u32_e32 v9, 0x1000000, v7
	v_sub_u32_e32 v8, v10, v8
	v_ashrrev_i32_e32 v9, 8, v9
	v_add_u32_e32 v8, 0x3c000000, v8
	v_and_or_b32 v8, v9, s2, v8
	v_cmp_ne_u32_e32 vcc, 0, v7
	s_brev_b32 s2, 1
	s_nop 0
	v_cndmask_b32_e32 v7, 0, v8, vcc
	v_and_or_b32 v1, v1, s2, v7
	v_cvt_f16_f32_e32 v7, v1
.LBB336_1343:
	s_mov_b64 s[2:3], 0
.LBB336_1344:
	s_andn2_b64 vcc, exec, s[2:3]
	s_cbranch_vccnz .LBB336_1346
; %bb.1345:
	global_load_ubyte v1, v[2:3], off
	s_movk_i32 s2, 0x7f00
	s_brev_b32 s3, 16
	s_waitcnt vmcnt(0)
	v_lshlrev_b16_e32 v7, 8, v1
	v_lshlrev_b32_e32 v1, 25, v1
	v_lshrrev_b32_e32 v8, 4, v1
	v_and_or_b32 v9, v7, s2, 0.5
	v_or_b32_e32 v8, 0x70000000, v8
	v_add_f32_e32 v9, -0.5, v9
	v_mul_f32_e32 v8, 0x7800000, v8
	v_cmp_gt_u32_e32 vcc, s3, v1
	v_bfe_i32 v7, v7, 0, 16
	s_brev_b32 s2, 1
	v_cndmask_b32_e32 v1, v8, v9, vcc
	v_and_or_b32 v1, v7, s2, v1
	v_cvt_f16_f32_e32 v7, v1
.LBB336_1346:
	s_mov_b64 s[2:3], 0
	s_mov_b64 s[18:19], -1
.LBB336_1347:
	s_andn2_b64 vcc, exec, s[2:3]
	s_mov_b64 s[2:3], 0
	s_cbranch_vccnz .LBB336_1358
; %bb.1348:
	s_cmp_gt_i32 s24, 14
	s_cbranch_scc0 .LBB336_1351
; %bb.1349:
	s_cmp_eq_u32 s24, 15
	s_cbranch_scc0 .LBB336_1354
; %bb.1350:
	global_load_ushort v1, v[2:3], off
	s_mov_b64 s[0:1], 0
	s_mov_b64 s[18:19], -1
	s_waitcnt vmcnt(0)
	v_lshlrev_b32_e32 v1, 16, v1
	v_cvt_f16_f32_e32 v7, v1
	s_branch .LBB336_1355
.LBB336_1351:
	s_mov_b64 s[20:21], -1
                                        ; implicit-def: $vgpr7
	s_branch .LBB336_1356
.LBB336_1352:
	s_or_saveexec_b64 s[18:19], s[18:19]
	v_mov_b32_e32 v7, 0x7e00
	s_xor_b64 exec, exec, s[18:19]
	s_cbranch_execz .LBB336_1333
.LBB336_1353:
	v_cmp_ne_u16_e32 vcc, 0, v1
	s_andn2_b64 s[2:3], s[2:3], exec
	s_and_b64 s[20:21], vcc, exec
	s_or_b64 s[2:3], s[2:3], s[20:21]
	v_mov_b32_e32 v7, v1
	s_or_b64 exec, exec, s[18:19]
	s_and_saveexec_b64 s[18:19], s[2:3]
	s_cbranch_execnz .LBB336_1334
	s_branch .LBB336_1335
.LBB336_1354:
	s_mov_b64 s[0:1], -1
                                        ; implicit-def: $vgpr7
.LBB336_1355:
	s_mov_b64 s[20:21], 0
.LBB336_1356:
	s_and_b64 vcc, exec, s[20:21]
	s_cbranch_vccz .LBB336_1358
; %bb.1357:
	s_cmp_lg_u32 s24, 11
	s_mov_b64 s[2:3], -1
	s_cselect_b64 s[0:1], -1, 0
.LBB336_1358:
	s_and_b64 vcc, exec, s[0:1]
	s_cbranch_vccnz .LBB336_1421
; %bb.1359:
	s_andn2_b64 vcc, exec, s[2:3]
	s_cbranch_vccnz .LBB336_1361
.LBB336_1360:
	global_load_ubyte v1, v[2:3], off
	v_mov_b32_e32 v7, 0x3c00
	s_mov_b64 s[18:19], -1
	s_waitcnt vmcnt(0)
	v_cmp_ne_u16_e32 vcc, 0, v1
	s_nop 1
	v_cndmask_b32_e32 v7, 0, v7, vcc
.LBB336_1361:
	s_branch .LBB336_1289
.LBB336_1362:
	s_cmp_lt_i32 s24, 5
	s_cbranch_scc1 .LBB336_1367
; %bb.1363:
	s_cmp_lt_i32 s24, 8
	s_cbranch_scc1 .LBB336_1368
; %bb.1364:
	;; [unrolled: 3-line block ×3, first 2 shown]
	s_cmp_gt_i32 s24, 9
	s_cbranch_scc0 .LBB336_1370
; %bb.1366:
	global_load_dwordx2 v[8:9], v[2:3], off
	s_movk_i32 s0, 0x1ff
	s_movk_i32 s1, 0xffe
	v_mov_b32_e32 v1, 0x7c00
	v_mov_b32_e32 v7, 0x7e00
	s_movk_i32 s2, 0x40f
	s_mov_b32 s3, 0x8000
	s_waitcnt vmcnt(0)
	v_and_or_b32 v8, v9, s0, v8
	v_cmp_ne_u32_e32 vcc, 0, v8
	v_lshrrev_b32_e32 v10, 8, v9
	v_bfe_u32 v11, v9, 20, 11
	v_cndmask_b32_e64 v8, 0, 1, vcc
	v_sub_u32_e32 v12, 0x3f1, v11
	v_and_or_b32 v8, v10, s1, v8
	v_add_u32_e32 v11, 0xfffffc10, v11
	v_med3_i32 v10, v12, 0, 13
	v_or_b32_e32 v12, 0x1000, v8
	v_lshl_or_b32 v13, v11, 12, v8
	v_cmp_ne_u32_e32 vcc, 0, v8
	v_lshrrev_b32_e32 v8, v10, v12
	v_lshlrev_b32_e32 v10, v10, v8
	v_cndmask_b32_e32 v7, v1, v7, vcc
	v_cmp_ne_u32_e32 vcc, v10, v12
	v_lshrrev_b32_e32 v9, 16, v9
	s_mov_b64 s[0:1], 0
	v_cndmask_b32_e64 v10, 0, 1, vcc
	v_or_b32_e32 v8, v8, v10
	v_cmp_gt_i32_e32 vcc, 1, v11
	s_nop 1
	v_cndmask_b32_e32 v8, v13, v8, vcc
	v_and_b32_e32 v10, 7, v8
	v_cmp_lt_i32_e32 vcc, 5, v10
	v_lshrrev_b32_e32 v8, 2, v8
	s_nop 0
	v_cndmask_b32_e64 v12, 0, 1, vcc
	v_cmp_eq_u32_e32 vcc, 3, v10
	s_nop 1
	v_cndmask_b32_e64 v10, 0, 1, vcc
	v_or_b32_e32 v10, v10, v12
	v_add_u32_e32 v8, v8, v10
	v_cmp_gt_i32_e32 vcc, 31, v11
	s_nop 1
	v_cndmask_b32_e32 v1, v1, v8, vcc
	v_cmp_eq_u32_e32 vcc, s2, v11
	s_nop 1
	v_cndmask_b32_e32 v1, v1, v7, vcc
	v_and_or_b32 v7, v9, s3, v1
	s_branch .LBB336_1371
.LBB336_1367:
	s_mov_b64 s[0:1], -1
                                        ; implicit-def: $vgpr7
	s_branch .LBB336_1389
.LBB336_1368:
	s_mov_b64 s[0:1], -1
                                        ; implicit-def: $vgpr7
	s_branch .LBB336_1377
.LBB336_1369:
	s_mov_b64 s[0:1], -1
                                        ; implicit-def: $vgpr7
	s_branch .LBB336_1374
.LBB336_1370:
	s_mov_b64 s[0:1], -1
                                        ; implicit-def: $vgpr7
.LBB336_1371:
	s_andn2_b64 vcc, exec, s[0:1]
	s_cbranch_vccnz .LBB336_1373
; %bb.1372:
	global_load_dword v1, v[2:3], off
	s_waitcnt vmcnt(0)
	v_cvt_f16_f32_e32 v7, v1
.LBB336_1373:
	s_mov_b64 s[0:1], 0
.LBB336_1374:
	s_andn2_b64 vcc, exec, s[0:1]
	s_cbranch_vccnz .LBB336_1376
; %bb.1375:
	global_load_dword v7, v[2:3], off
.LBB336_1376:
	s_mov_b64 s[0:1], 0
.LBB336_1377:
	s_andn2_b64 vcc, exec, s[0:1]
	s_cbranch_vccnz .LBB336_1388
; %bb.1378:
	s_cmp_lt_i32 s24, 6
	s_cbranch_scc1 .LBB336_1381
; %bb.1379:
	s_cmp_gt_i32 s24, 6
	s_cbranch_scc0 .LBB336_1382
; %bb.1380:
	global_load_dwordx2 v[8:9], v[2:3], off
	s_movk_i32 s0, 0x1ff
	s_movk_i32 s1, 0xffe
	v_mov_b32_e32 v1, 0x7c00
	s_waitcnt vmcnt(1)
	v_mov_b32_e32 v7, 0x7e00
	s_movk_i32 s2, 0x40f
	s_mov_b32 s3, 0x8000
	s_waitcnt vmcnt(0)
	v_and_or_b32 v8, v9, s0, v8
	v_cmp_ne_u32_e32 vcc, 0, v8
	v_lshrrev_b32_e32 v10, 8, v9
	v_bfe_u32 v11, v9, 20, 11
	v_cndmask_b32_e64 v8, 0, 1, vcc
	v_sub_u32_e32 v12, 0x3f1, v11
	v_and_or_b32 v8, v10, s1, v8
	v_add_u32_e32 v11, 0xfffffc10, v11
	v_med3_i32 v10, v12, 0, 13
	v_or_b32_e32 v12, 0x1000, v8
	v_lshl_or_b32 v13, v11, 12, v8
	v_cmp_ne_u32_e32 vcc, 0, v8
	v_lshrrev_b32_e32 v8, v10, v12
	v_lshlrev_b32_e32 v10, v10, v8
	v_cndmask_b32_e32 v7, v1, v7, vcc
	v_cmp_ne_u32_e32 vcc, v10, v12
	v_lshrrev_b32_e32 v9, 16, v9
	s_mov_b64 s[0:1], 0
	v_cndmask_b32_e64 v10, 0, 1, vcc
	v_or_b32_e32 v8, v8, v10
	v_cmp_gt_i32_e32 vcc, 1, v11
	s_nop 1
	v_cndmask_b32_e32 v8, v13, v8, vcc
	v_and_b32_e32 v10, 7, v8
	v_cmp_lt_i32_e32 vcc, 5, v10
	v_lshrrev_b32_e32 v8, 2, v8
	s_nop 0
	v_cndmask_b32_e64 v12, 0, 1, vcc
	v_cmp_eq_u32_e32 vcc, 3, v10
	s_nop 1
	v_cndmask_b32_e64 v10, 0, 1, vcc
	v_or_b32_e32 v10, v10, v12
	v_add_u32_e32 v8, v8, v10
	v_cmp_gt_i32_e32 vcc, 31, v11
	s_nop 1
	v_cndmask_b32_e32 v1, v1, v8, vcc
	v_cmp_eq_u32_e32 vcc, s2, v11
	s_nop 1
	v_cndmask_b32_e32 v1, v1, v7, vcc
	v_and_or_b32 v7, v9, s3, v1
	s_branch .LBB336_1383
.LBB336_1381:
	s_mov_b64 s[0:1], -1
                                        ; implicit-def: $vgpr7
	s_branch .LBB336_1386
.LBB336_1382:
	s_mov_b64 s[0:1], -1
                                        ; implicit-def: $vgpr7
.LBB336_1383:
	s_andn2_b64 vcc, exec, s[0:1]
	s_cbranch_vccnz .LBB336_1385
; %bb.1384:
	global_load_dword v1, v[2:3], off
	s_waitcnt vmcnt(0)
	v_cvt_f16_f32_e32 v7, v1
.LBB336_1385:
	s_mov_b64 s[0:1], 0
.LBB336_1386:
	s_andn2_b64 vcc, exec, s[0:1]
	s_cbranch_vccnz .LBB336_1388
; %bb.1387:
	global_load_ushort v7, v[2:3], off
.LBB336_1388:
	s_mov_b64 s[0:1], 0
.LBB336_1389:
	s_andn2_b64 vcc, exec, s[0:1]
	s_cbranch_vccnz .LBB336_1409
; %bb.1390:
	s_cmp_lt_i32 s24, 2
	s_cbranch_scc1 .LBB336_1394
; %bb.1391:
	s_cmp_lt_i32 s24, 3
	s_cbranch_scc1 .LBB336_1395
; %bb.1392:
	s_cmp_gt_i32 s24, 3
	s_cbranch_scc0 .LBB336_1396
; %bb.1393:
	global_load_dwordx2 v[8:9], v[2:3], off
	s_mov_b64 s[0:1], 0
	s_waitcnt vmcnt(0)
	v_xor_b32_e32 v7, v8, v9
	v_ffbh_i32_e32 v1, v9
	v_ashrrev_i32_e32 v7, 31, v7
	v_add_u32_e32 v1, -1, v1
	v_add_u32_e32 v7, 32, v7
	v_min_u32_e32 v1, v1, v7
	v_lshlrev_b64 v[8:9], v1, v[8:9]
	v_min_u32_e32 v7, 1, v8
	v_or_b32_e32 v7, v9, v7
	v_cvt_f32_i32_e32 v7, v7
	v_sub_u32_e32 v1, 32, v1
	v_ldexp_f32 v1, v7, v1
	v_cvt_f16_f32_e32 v7, v1
	s_branch .LBB336_1397
.LBB336_1394:
	s_mov_b64 s[0:1], -1
                                        ; implicit-def: $vgpr7
	s_branch .LBB336_1403
.LBB336_1395:
	s_mov_b64 s[0:1], -1
                                        ; implicit-def: $vgpr7
	s_branch .LBB336_1400
.LBB336_1396:
	s_mov_b64 s[0:1], -1
                                        ; implicit-def: $vgpr7
.LBB336_1397:
	s_andn2_b64 vcc, exec, s[0:1]
	s_cbranch_vccnz .LBB336_1399
; %bb.1398:
	global_load_dword v1, v[2:3], off
	s_waitcnt vmcnt(0)
	v_cvt_f32_i32_e32 v1, v1
	v_cvt_f16_f32_e32 v7, v1
.LBB336_1399:
	s_mov_b64 s[0:1], 0
.LBB336_1400:
	s_andn2_b64 vcc, exec, s[0:1]
	s_cbranch_vccnz .LBB336_1402
; %bb.1401:
	global_load_ushort v1, v[2:3], off
	s_waitcnt vmcnt(0)
	v_cvt_f16_i16_e32 v7, v1
.LBB336_1402:
	s_mov_b64 s[0:1], 0
.LBB336_1403:
	s_andn2_b64 vcc, exec, s[0:1]
	s_cbranch_vccnz .LBB336_1409
; %bb.1404:
	s_cmp_gt_i32 s24, 0
	s_cbranch_scc0 .LBB336_1406
; %bb.1405:
	global_load_sbyte v1, v[2:3], off
	s_mov_b64 s[0:1], 0
	s_waitcnt vmcnt(0)
	v_cvt_f16_i16_e32 v7, v1
	s_branch .LBB336_1407
.LBB336_1406:
	s_mov_b64 s[0:1], -1
                                        ; implicit-def: $vgpr7
.LBB336_1407:
	s_andn2_b64 vcc, exec, s[0:1]
	s_cbranch_vccnz .LBB336_1409
; %bb.1408:
	global_load_ubyte v1, v[2:3], off
	s_waitcnt vmcnt(0)
	v_cvt_f16_u16_e32 v7, v1
.LBB336_1409:
.LBB336_1410:
	v_add_u32_e32 v0, s9, v0
	v_ashrrev_i32_e32 v1, 31, v0
	s_cmp_lt_i32 s24, 11
	v_lshl_add_u64 v[0:1], s[6:7], 0, v[0:1]
	s_cbranch_scc1 .LBB336_1417
; %bb.1411:
	s_cmp_gt_i32 s24, 25
	s_mov_b64 s[2:3], 0
	s_cbranch_scc0 .LBB336_1418
; %bb.1412:
	s_cmp_gt_i32 s24, 28
	s_cbranch_scc0 .LBB336_1419
; %bb.1413:
	s_cmp_gt_i32 s24, 43
	;; [unrolled: 3-line block ×3, first 2 shown]
	s_cbranch_scc0 .LBB336_1422
; %bb.1415:
	s_cmp_eq_u32 s24, 46
	s_mov_b64 s[18:19], 0
	s_cbranch_scc0 .LBB336_1423
; %bb.1416:
	global_load_dword v2, v[0:1], off
	s_mov_b64 s[0:1], 0
	s_mov_b64 s[6:7], -1
	s_waitcnt vmcnt(0)
	v_lshlrev_b32_e32 v2, 16, v2
	v_cvt_f16_f32_e32 v8, v2
	s_branch .LBB336_1424
.LBB336_1417:
	s_mov_b64 s[0:1], -1
	s_mov_b64 s[6:7], 0
                                        ; implicit-def: $vgpr8
	s_branch .LBB336_1490
.LBB336_1418:
	s_mov_b64 s[18:19], -1
	s_mov_b64 s[6:7], 0
	s_mov_b64 s[0:1], 0
                                        ; implicit-def: $vgpr8
	s_branch .LBB336_1453
.LBB336_1419:
	s_mov_b64 s[18:19], -1
	s_mov_b64 s[6:7], 0
	s_mov_b64 s[0:1], 0
                                        ; implicit-def: $vgpr8
	s_branch .LBB336_1434
.LBB336_1420:
	s_mov_b64 s[18:19], -1
	s_mov_b64 s[6:7], 0
	s_mov_b64 s[0:1], 0
                                        ; implicit-def: $vgpr8
	s_branch .LBB336_1429
.LBB336_1421:
	s_trap 2
	s_or_b64 s[16:17], s[16:17], exec
	s_cbranch_execz .LBB336_1360
	s_branch .LBB336_1361
.LBB336_1422:
	s_mov_b64 s[18:19], -1
	s_mov_b64 s[6:7], 0
	s_mov_b64 s[0:1], 0
                                        ; implicit-def: $vgpr8
	s_branch .LBB336_1424
.LBB336_1423:
	s_mov_b64 s[0:1], -1
                                        ; implicit-def: $vgpr8
	s_mov_b64 s[6:7], 0
.LBB336_1424:
	s_and_b64 vcc, exec, s[18:19]
	s_cbranch_vccz .LBB336_1428
; %bb.1425:
	s_cmp_eq_u32 s24, 44
	s_cbranch_scc0 .LBB336_1427
; %bb.1426:
	global_load_ubyte v2, v[0:1], off
	s_movk_i32 s6, 0xff
	v_mov_b32_e32 v8, 0x7e00
	s_mov_b64 s[0:1], 0
	s_waitcnt vmcnt(0)
	v_lshlrev_b32_e32 v3, 23, v2
	v_cvt_f16_f32_e32 v3, v3
	v_cmp_ne_u32_e32 vcc, s6, v2
	s_mov_b64 s[6:7], -1
	s_nop 0
	v_cndmask_b32_e32 v3, v8, v3, vcc
	v_cmp_ne_u32_e32 vcc, 0, v2
	s_nop 1
	v_cndmask_b32_e32 v8, 0, v3, vcc
	s_branch .LBB336_1428
.LBB336_1427:
	s_mov_b64 s[0:1], -1
                                        ; implicit-def: $vgpr8
.LBB336_1428:
	s_mov_b64 s[18:19], 0
.LBB336_1429:
	s_and_b64 vcc, exec, s[18:19]
	s_cbranch_vccz .LBB336_1433
; %bb.1430:
	s_cmp_eq_u32 s24, 29
	s_cbranch_scc0 .LBB336_1432
; %bb.1431:
	global_load_dwordx2 v[2:3], v[0:1], off
	s_mov_b64 s[0:1], 0
	s_mov_b64 s[6:7], -1
	s_mov_b64 s[18:19], 0
	s_waitcnt vmcnt(0)
	v_ffbh_u32_e32 v8, v3
	v_min_u32_e32 v8, 32, v8
	v_lshlrev_b64 v[2:3], v8, v[2:3]
	v_min_u32_e32 v2, 1, v2
	v_or_b32_e32 v2, v3, v2
	v_cvt_f32_u32_e32 v2, v2
	v_sub_u32_e32 v3, 32, v8
	v_ldexp_f32 v2, v2, v3
	v_cvt_f16_f32_e32 v8, v2
	s_branch .LBB336_1434
.LBB336_1432:
	s_mov_b64 s[0:1], -1
                                        ; implicit-def: $vgpr8
.LBB336_1433:
	s_mov_b64 s[18:19], 0
.LBB336_1434:
	s_and_b64 vcc, exec, s[18:19]
	s_cbranch_vccz .LBB336_1452
; %bb.1435:
	s_cmp_lt_i32 s24, 27
	s_cbranch_scc1 .LBB336_1438
; %bb.1436:
	s_cmp_gt_i32 s24, 27
	s_cbranch_scc0 .LBB336_1439
; %bb.1437:
	global_load_dword v2, v[0:1], off
	s_mov_b64 s[6:7], 0
	s_waitcnt vmcnt(0)
	v_cvt_f32_u32_e32 v2, v2
	v_cvt_f16_f32_e32 v8, v2
	s_branch .LBB336_1440
.LBB336_1438:
	s_mov_b64 s[6:7], -1
                                        ; implicit-def: $vgpr8
	s_branch .LBB336_1443
.LBB336_1439:
	s_mov_b64 s[6:7], -1
                                        ; implicit-def: $vgpr8
.LBB336_1440:
	s_andn2_b64 vcc, exec, s[6:7]
	s_cbranch_vccnz .LBB336_1442
; %bb.1441:
	global_load_ushort v2, v[0:1], off
	s_waitcnt vmcnt(0)
	v_cvt_f16_u16_e32 v8, v2
.LBB336_1442:
	s_mov_b64 s[6:7], 0
.LBB336_1443:
	s_andn2_b64 vcc, exec, s[6:7]
	s_cbranch_vccnz .LBB336_1451
; %bb.1444:
	global_load_ubyte v2, v[0:1], off
	s_movk_i32 s6, 0x7f
	s_waitcnt vmcnt(0)
	v_cmp_lt_i16_e32 vcc, s6, v2
	s_mov_b64 s[6:7], 0
	s_and_saveexec_b64 s[18:19], vcc
	s_xor_b64 s[18:19], exec, s[18:19]
	s_cbranch_execz .LBB336_1465
; %bb.1445:
	s_movk_i32 s6, 0x80
	v_cmp_eq_u16_e32 vcc, s6, v2
	s_mov_b64 s[6:7], -1
	s_and_saveexec_b64 s[20:21], vcc
; %bb.1446:
	s_xor_b64 s[6:7], exec, -1
; %bb.1447:
	s_or_b64 exec, exec, s[20:21]
	s_and_b64 s[6:7], s[6:7], exec
	s_or_saveexec_b64 s[18:19], s[18:19]
	v_mov_b32_e32 v8, 0x7e00
	s_xor_b64 exec, exec, s[18:19]
	s_cbranch_execnz .LBB336_1466
.LBB336_1448:
	s_or_b64 exec, exec, s[18:19]
	s_and_saveexec_b64 s[18:19], s[6:7]
	s_cbranch_execz .LBB336_1450
.LBB336_1449:
	v_lshlrev_b32_e32 v3, 24, v2
	v_and_b32_e32 v2, 0xffff, v2
	v_and_b32_e32 v8, 7, v2
	v_ffbh_u32_e32 v10, v8
	v_min_u32_e32 v10, 32, v10
	v_subrev_u32_e32 v11, 28, v10
	v_bfe_u32 v9, v2, 3, 4
	v_lshlrev_b32_e32 v2, v11, v2
	v_sub_u32_e32 v10, 29, v10
	v_and_b32_e32 v2, 7, v2
	v_cmp_eq_u32_e32 vcc, 0, v9
	v_and_b32_e32 v3, 0x80000000, v3
	s_nop 0
	v_cndmask_b32_e32 v9, v9, v10, vcc
	v_cndmask_b32_e32 v2, v8, v2, vcc
	v_mov_b32_e32 v8, 0x3b800000
	v_lshlrev_b32_e32 v2, 20, v2
	v_lshl_add_u32 v8, v9, 23, v8
	v_or3_b32 v2, v3, v8, v2
	v_cvt_f16_f32_e32 v8, v2
.LBB336_1450:
	s_or_b64 exec, exec, s[18:19]
.LBB336_1451:
	s_mov_b64 s[6:7], -1
.LBB336_1452:
	s_mov_b64 s[18:19], 0
.LBB336_1453:
	s_and_b64 vcc, exec, s[18:19]
	s_cbranch_vccz .LBB336_1486
; %bb.1454:
	s_cmp_gt_i32 s24, 22
	s_cbranch_scc0 .LBB336_1464
; %bb.1455:
	s_cmp_lt_i32 s24, 24
	s_cbranch_scc1 .LBB336_1467
; %bb.1456:
	s_cmp_gt_i32 s24, 24
	s_cbranch_scc0 .LBB336_1468
; %bb.1457:
	global_load_ubyte v2, v[0:1], off
	s_movk_i32 s2, 0x7f
	s_waitcnt vmcnt(0)
	v_cmp_lt_i16_e32 vcc, s2, v2
	s_mov_b64 s[2:3], 0
	s_and_saveexec_b64 s[6:7], vcc
	s_xor_b64 s[6:7], exec, s[6:7]
	s_cbranch_execz .LBB336_1480
; %bb.1458:
	s_movk_i32 s2, 0x80
	v_cmp_eq_u16_e32 vcc, s2, v2
	s_mov_b64 s[2:3], -1
	s_and_saveexec_b64 s[18:19], vcc
; %bb.1459:
	s_xor_b64 s[2:3], exec, -1
; %bb.1460:
	s_or_b64 exec, exec, s[18:19]
	s_and_b64 s[2:3], s[2:3], exec
	s_or_saveexec_b64 s[6:7], s[6:7]
	v_mov_b32_e32 v8, 0x7e00
	s_xor_b64 exec, exec, s[6:7]
	s_cbranch_execnz .LBB336_1481
.LBB336_1461:
	s_or_b64 exec, exec, s[6:7]
	s_and_saveexec_b64 s[6:7], s[2:3]
	s_cbranch_execz .LBB336_1463
.LBB336_1462:
	v_lshlrev_b32_e32 v3, 24, v2
	v_and_b32_e32 v2, 0xffff, v2
	v_and_b32_e32 v8, 3, v2
	v_ffbh_u32_e32 v10, v8
	v_min_u32_e32 v10, 32, v10
	v_subrev_u32_e32 v11, 29, v10
	v_bfe_u32 v9, v2, 2, 5
	v_lshlrev_b32_e32 v2, v11, v2
	v_sub_u32_e32 v10, 30, v10
	v_and_b32_e32 v2, 3, v2
	v_cmp_eq_u32_e32 vcc, 0, v9
	v_and_b32_e32 v3, 0x80000000, v3
	s_nop 0
	v_cndmask_b32_e32 v9, v9, v10, vcc
	v_cndmask_b32_e32 v2, v8, v2, vcc
	v_mov_b32_e32 v8, 0x37800000
	v_lshlrev_b32_e32 v2, 21, v2
	v_lshl_add_u32 v8, v9, 23, v8
	v_or3_b32 v2, v3, v8, v2
	v_cvt_f16_f32_e32 v8, v2
.LBB336_1463:
	s_or_b64 exec, exec, s[6:7]
	s_mov_b64 s[2:3], 0
	s_branch .LBB336_1469
.LBB336_1464:
	s_mov_b64 s[2:3], -1
                                        ; implicit-def: $vgpr8
	s_branch .LBB336_1475
.LBB336_1465:
	s_or_saveexec_b64 s[18:19], s[18:19]
	v_mov_b32_e32 v8, 0x7e00
	s_xor_b64 exec, exec, s[18:19]
	s_cbranch_execz .LBB336_1448
.LBB336_1466:
	v_cmp_ne_u16_e32 vcc, 0, v2
	s_andn2_b64 s[6:7], s[6:7], exec
	s_and_b64 s[20:21], vcc, exec
	s_or_b64 s[6:7], s[6:7], s[20:21]
	v_mov_b32_e32 v8, v2
	s_or_b64 exec, exec, s[18:19]
	s_and_saveexec_b64 s[18:19], s[6:7]
	s_cbranch_execnz .LBB336_1449
	s_branch .LBB336_1450
.LBB336_1467:
	s_mov_b64 s[2:3], -1
                                        ; implicit-def: $vgpr8
	s_branch .LBB336_1472
.LBB336_1468:
	s_mov_b64 s[2:3], -1
                                        ; implicit-def: $vgpr8
.LBB336_1469:
	s_and_b64 vcc, exec, s[2:3]
	s_cbranch_vccz .LBB336_1471
; %bb.1470:
	global_load_ubyte v2, v[0:1], off
	s_mov_b32 s2, 0x7f800000
	s_waitcnt vmcnt(0)
	v_lshlrev_b32_e32 v2, 24, v2
	v_and_b32_e32 v3, 0x7f000000, v2
	v_ffbh_u32_e32 v8, v3
	v_min_u32_e32 v8, 32, v8
	v_sub_u32_e64 v8, v8, 4 clamp
	v_lshlrev_b32_e32 v10, v8, v3
	v_lshlrev_b32_e32 v8, 23, v8
	v_lshrrev_b32_e32 v10, 4, v10
	v_add_u32_e32 v9, 0x1000000, v3
	v_sub_u32_e32 v8, v10, v8
	v_ashrrev_i32_e32 v9, 8, v9
	v_add_u32_e32 v8, 0x3c000000, v8
	v_and_or_b32 v8, v9, s2, v8
	v_cmp_ne_u32_e32 vcc, 0, v3
	s_brev_b32 s2, 1
	s_nop 0
	v_cndmask_b32_e32 v3, 0, v8, vcc
	v_and_or_b32 v2, v2, s2, v3
	v_cvt_f16_f32_e32 v8, v2
.LBB336_1471:
	s_mov_b64 s[2:3], 0
.LBB336_1472:
	s_andn2_b64 vcc, exec, s[2:3]
	s_cbranch_vccnz .LBB336_1474
; %bb.1473:
	global_load_ubyte v2, v[0:1], off
	s_movk_i32 s2, 0x7f00
	s_brev_b32 s3, 16
	s_waitcnt vmcnt(0)
	v_lshlrev_b16_e32 v3, 8, v2
	v_lshlrev_b32_e32 v2, 25, v2
	v_lshrrev_b32_e32 v8, 4, v2
	v_and_or_b32 v9, v3, s2, 0.5
	v_or_b32_e32 v8, 0x70000000, v8
	v_add_f32_e32 v9, -0.5, v9
	v_mul_f32_e32 v8, 0x7800000, v8
	v_cmp_gt_u32_e32 vcc, s3, v2
	v_bfe_i32 v3, v3, 0, 16
	s_brev_b32 s2, 1
	v_cndmask_b32_e32 v2, v8, v9, vcc
	v_and_or_b32 v2, v3, s2, v2
	v_cvt_f16_f32_e32 v8, v2
.LBB336_1474:
	s_mov_b64 s[2:3], 0
	s_mov_b64 s[6:7], -1
.LBB336_1475:
	s_andn2_b64 vcc, exec, s[2:3]
	s_mov_b64 s[2:3], 0
	s_cbranch_vccnz .LBB336_1486
; %bb.1476:
	s_cmp_gt_i32 s24, 14
	s_cbranch_scc0 .LBB336_1479
; %bb.1477:
	s_cmp_eq_u32 s24, 15
	s_cbranch_scc0 .LBB336_1482
; %bb.1478:
	global_load_ushort v2, v[0:1], off
	s_mov_b64 s[0:1], 0
	s_mov_b64 s[6:7], -1
	s_waitcnt vmcnt(0)
	v_lshlrev_b32_e32 v2, 16, v2
	v_cvt_f16_f32_e32 v8, v2
	s_branch .LBB336_1483
.LBB336_1479:
	s_mov_b64 s[18:19], -1
                                        ; implicit-def: $vgpr8
	s_branch .LBB336_1484
.LBB336_1480:
	s_or_saveexec_b64 s[6:7], s[6:7]
	v_mov_b32_e32 v8, 0x7e00
	s_xor_b64 exec, exec, s[6:7]
	s_cbranch_execz .LBB336_1461
.LBB336_1481:
	v_cmp_ne_u16_e32 vcc, 0, v2
	s_andn2_b64 s[2:3], s[2:3], exec
	s_and_b64 s[18:19], vcc, exec
	s_or_b64 s[2:3], s[2:3], s[18:19]
	v_mov_b32_e32 v8, v2
	s_or_b64 exec, exec, s[6:7]
	s_and_saveexec_b64 s[6:7], s[2:3]
	s_cbranch_execnz .LBB336_1462
	s_branch .LBB336_1463
.LBB336_1482:
	s_mov_b64 s[0:1], -1
                                        ; implicit-def: $vgpr8
.LBB336_1483:
	s_mov_b64 s[18:19], 0
.LBB336_1484:
	s_and_b64 vcc, exec, s[18:19]
	s_cbranch_vccz .LBB336_1486
; %bb.1485:
	s_cmp_lg_u32 s24, 11
	s_mov_b64 s[2:3], -1
	s_cselect_b64 s[0:1], -1, 0
.LBB336_1486:
	s_and_b64 vcc, exec, s[0:1]
	s_cbranch_vccnz .LBB336_2019
; %bb.1487:
	s_andn2_b64 vcc, exec, s[2:3]
	s_cbranch_vccnz .LBB336_1489
.LBB336_1488:
	global_load_ubyte v2, v[0:1], off
	v_mov_b32_e32 v3, 0x3c00
	s_mov_b64 s[6:7], -1
	s_waitcnt vmcnt(0)
	v_cmp_ne_u16_e32 vcc, 0, v2
	s_nop 1
	v_cndmask_b32_e32 v8, 0, v3, vcc
.LBB336_1489:
	s_mov_b64 s[0:1], 0
.LBB336_1490:
	s_and_b64 vcc, exec, s[0:1]
	s_cbranch_vccz .LBB336_1539
; %bb.1491:
	s_cmp_lt_i32 s24, 5
	s_cbranch_scc1 .LBB336_1496
; %bb.1492:
	s_cmp_lt_i32 s24, 8
	s_cbranch_scc1 .LBB336_1497
	;; [unrolled: 3-line block ×3, first 2 shown]
; %bb.1494:
	s_cmp_gt_i32 s24, 9
	s_cbranch_scc0 .LBB336_1499
; %bb.1495:
	global_load_dwordx2 v[2:3], v[0:1], off
	s_movk_i32 s0, 0x1ff
	s_movk_i32 s1, 0xffe
	v_mov_b32_e32 v8, 0x7c00
	v_mov_b32_e32 v9, 0x7e00
	s_movk_i32 s2, 0x40f
	s_mov_b32 s3, 0x8000
	s_waitcnt vmcnt(0)
	v_and_or_b32 v2, v3, s0, v2
	v_cmp_ne_u32_e32 vcc, 0, v2
	v_lshrrev_b32_e32 v10, 8, v3
	v_bfe_u32 v11, v3, 20, 11
	v_cndmask_b32_e64 v2, 0, 1, vcc
	v_sub_u32_e32 v12, 0x3f1, v11
	v_and_or_b32 v2, v10, s1, v2
	v_add_u32_e32 v11, 0xfffffc10, v11
	v_med3_i32 v10, v12, 0, 13
	v_or_b32_e32 v12, 0x1000, v2
	v_cmp_ne_u32_e32 vcc, 0, v2
	v_lshl_or_b32 v13, v11, 12, v2
	v_lshrrev_b32_e32 v3, 16, v3
	v_cndmask_b32_e32 v2, v8, v9, vcc
	v_lshrrev_b32_e32 v9, v10, v12
	v_lshlrev_b32_e32 v10, v10, v9
	v_cmp_ne_u32_e32 vcc, v10, v12
	s_mov_b64 s[0:1], 0
	s_nop 0
	v_cndmask_b32_e64 v10, 0, 1, vcc
	v_or_b32_e32 v9, v9, v10
	v_cmp_gt_i32_e32 vcc, 1, v11
	s_nop 1
	v_cndmask_b32_e32 v9, v13, v9, vcc
	v_and_b32_e32 v10, 7, v9
	v_cmp_lt_i32_e32 vcc, 5, v10
	v_lshrrev_b32_e32 v9, 2, v9
	s_nop 0
	v_cndmask_b32_e64 v12, 0, 1, vcc
	v_cmp_eq_u32_e32 vcc, 3, v10
	s_nop 1
	v_cndmask_b32_e64 v10, 0, 1, vcc
	v_or_b32_e32 v10, v10, v12
	v_add_u32_e32 v9, v9, v10
	v_cmp_gt_i32_e32 vcc, 31, v11
	s_nop 1
	v_cndmask_b32_e32 v8, v8, v9, vcc
	v_cmp_eq_u32_e32 vcc, s2, v11
	s_nop 1
	v_cndmask_b32_e32 v2, v8, v2, vcc
	v_and_or_b32 v8, v3, s3, v2
	s_branch .LBB336_1500
.LBB336_1496:
	s_mov_b64 s[0:1], -1
                                        ; implicit-def: $vgpr8
	s_branch .LBB336_1518
.LBB336_1497:
	s_mov_b64 s[0:1], -1
                                        ; implicit-def: $vgpr8
	s_branch .LBB336_1506
.LBB336_1498:
	s_mov_b64 s[0:1], -1
                                        ; implicit-def: $vgpr8
	s_branch .LBB336_1503
.LBB336_1499:
	s_mov_b64 s[0:1], -1
                                        ; implicit-def: $vgpr8
.LBB336_1500:
	s_andn2_b64 vcc, exec, s[0:1]
	s_cbranch_vccnz .LBB336_1502
; %bb.1501:
	global_load_dword v2, v[0:1], off
	s_waitcnt vmcnt(0)
	v_cvt_f16_f32_e32 v8, v2
.LBB336_1502:
	s_mov_b64 s[0:1], 0
.LBB336_1503:
	s_andn2_b64 vcc, exec, s[0:1]
	s_cbranch_vccnz .LBB336_1505
; %bb.1504:
	global_load_dword v8, v[0:1], off
.LBB336_1505:
	s_mov_b64 s[0:1], 0
.LBB336_1506:
	s_andn2_b64 vcc, exec, s[0:1]
	s_cbranch_vccnz .LBB336_1517
; %bb.1507:
	s_cmp_lt_i32 s24, 6
	s_cbranch_scc1 .LBB336_1510
; %bb.1508:
	s_cmp_gt_i32 s24, 6
	s_cbranch_scc0 .LBB336_1511
; %bb.1509:
	global_load_dwordx2 v[2:3], v[0:1], off
	s_movk_i32 s0, 0x1ff
	s_movk_i32 s1, 0xffe
	s_waitcnt vmcnt(1)
	v_mov_b32_e32 v8, 0x7c00
	v_mov_b32_e32 v9, 0x7e00
	s_movk_i32 s2, 0x40f
	s_mov_b32 s3, 0x8000
	s_waitcnt vmcnt(0)
	v_and_or_b32 v2, v3, s0, v2
	v_cmp_ne_u32_e32 vcc, 0, v2
	v_lshrrev_b32_e32 v10, 8, v3
	v_bfe_u32 v11, v3, 20, 11
	v_cndmask_b32_e64 v2, 0, 1, vcc
	v_sub_u32_e32 v12, 0x3f1, v11
	v_and_or_b32 v2, v10, s1, v2
	v_add_u32_e32 v11, 0xfffffc10, v11
	v_med3_i32 v10, v12, 0, 13
	v_or_b32_e32 v12, 0x1000, v2
	v_cmp_ne_u32_e32 vcc, 0, v2
	v_lshl_or_b32 v13, v11, 12, v2
	v_lshrrev_b32_e32 v3, 16, v3
	v_cndmask_b32_e32 v2, v8, v9, vcc
	v_lshrrev_b32_e32 v9, v10, v12
	v_lshlrev_b32_e32 v10, v10, v9
	v_cmp_ne_u32_e32 vcc, v10, v12
	s_mov_b64 s[0:1], 0
	s_nop 0
	v_cndmask_b32_e64 v10, 0, 1, vcc
	v_or_b32_e32 v9, v9, v10
	v_cmp_gt_i32_e32 vcc, 1, v11
	s_nop 1
	v_cndmask_b32_e32 v9, v13, v9, vcc
	v_and_b32_e32 v10, 7, v9
	v_cmp_lt_i32_e32 vcc, 5, v10
	v_lshrrev_b32_e32 v9, 2, v9
	s_nop 0
	v_cndmask_b32_e64 v12, 0, 1, vcc
	v_cmp_eq_u32_e32 vcc, 3, v10
	s_nop 1
	v_cndmask_b32_e64 v10, 0, 1, vcc
	v_or_b32_e32 v10, v10, v12
	v_add_u32_e32 v9, v9, v10
	v_cmp_gt_i32_e32 vcc, 31, v11
	s_nop 1
	v_cndmask_b32_e32 v8, v8, v9, vcc
	v_cmp_eq_u32_e32 vcc, s2, v11
	s_nop 1
	v_cndmask_b32_e32 v2, v8, v2, vcc
	v_and_or_b32 v8, v3, s3, v2
	s_branch .LBB336_1512
.LBB336_1510:
	s_mov_b64 s[0:1], -1
                                        ; implicit-def: $vgpr8
	s_branch .LBB336_1515
.LBB336_1511:
	s_mov_b64 s[0:1], -1
                                        ; implicit-def: $vgpr8
.LBB336_1512:
	s_andn2_b64 vcc, exec, s[0:1]
	s_cbranch_vccnz .LBB336_1514
; %bb.1513:
	global_load_dword v2, v[0:1], off
	s_waitcnt vmcnt(0)
	v_cvt_f16_f32_e32 v8, v2
.LBB336_1514:
	s_mov_b64 s[0:1], 0
.LBB336_1515:
	s_andn2_b64 vcc, exec, s[0:1]
	s_cbranch_vccnz .LBB336_1517
; %bb.1516:
	global_load_ushort v8, v[0:1], off
.LBB336_1517:
	s_mov_b64 s[0:1], 0
.LBB336_1518:
	s_andn2_b64 vcc, exec, s[0:1]
	s_cbranch_vccnz .LBB336_1538
; %bb.1519:
	s_cmp_lt_i32 s24, 2
	s_cbranch_scc1 .LBB336_1523
; %bb.1520:
	s_cmp_lt_i32 s24, 3
	s_cbranch_scc1 .LBB336_1524
; %bb.1521:
	s_cmp_gt_i32 s24, 3
	s_cbranch_scc0 .LBB336_1525
; %bb.1522:
	global_load_dwordx2 v[2:3], v[0:1], off
	s_mov_b64 s[0:1], 0
	s_waitcnt vmcnt(0)
	v_xor_b32_e32 v9, v2, v3
	v_ffbh_i32_e32 v8, v3
	v_ashrrev_i32_e32 v9, 31, v9
	v_add_u32_e32 v8, -1, v8
	v_add_u32_e32 v9, 32, v9
	v_min_u32_e32 v8, v8, v9
	v_lshlrev_b64 v[2:3], v8, v[2:3]
	v_min_u32_e32 v2, 1, v2
	v_or_b32_e32 v2, v3, v2
	v_cvt_f32_i32_e32 v2, v2
	v_sub_u32_e32 v3, 32, v8
	v_ldexp_f32 v2, v2, v3
	v_cvt_f16_f32_e32 v8, v2
	s_branch .LBB336_1526
.LBB336_1523:
	s_mov_b64 s[0:1], -1
                                        ; implicit-def: $vgpr8
	s_branch .LBB336_1532
.LBB336_1524:
	s_mov_b64 s[0:1], -1
                                        ; implicit-def: $vgpr8
	s_branch .LBB336_1529
.LBB336_1525:
	s_mov_b64 s[0:1], -1
                                        ; implicit-def: $vgpr8
.LBB336_1526:
	s_andn2_b64 vcc, exec, s[0:1]
	s_cbranch_vccnz .LBB336_1528
; %bb.1527:
	global_load_dword v2, v[0:1], off
	s_waitcnt vmcnt(0)
	v_cvt_f32_i32_e32 v2, v2
	v_cvt_f16_f32_e32 v8, v2
.LBB336_1528:
	s_mov_b64 s[0:1], 0
.LBB336_1529:
	s_andn2_b64 vcc, exec, s[0:1]
	s_cbranch_vccnz .LBB336_1531
; %bb.1530:
	global_load_ushort v2, v[0:1], off
	s_waitcnt vmcnt(0)
	v_cvt_f16_i16_e32 v8, v2
.LBB336_1531:
	s_mov_b64 s[0:1], 0
.LBB336_1532:
	s_andn2_b64 vcc, exec, s[0:1]
	s_cbranch_vccnz .LBB336_1538
; %bb.1533:
	s_cmp_gt_i32 s24, 0
	s_cbranch_scc0 .LBB336_1535
; %bb.1534:
	global_load_sbyte v2, v[0:1], off
	s_mov_b64 s[0:1], 0
	s_waitcnt vmcnt(0)
	v_cvt_f16_i16_e32 v8, v2
	s_branch .LBB336_1536
.LBB336_1535:
	s_mov_b64 s[0:1], -1
                                        ; implicit-def: $vgpr8
.LBB336_1536:
	s_andn2_b64 vcc, exec, s[0:1]
	s_cbranch_vccnz .LBB336_1538
; %bb.1537:
	global_load_ubyte v0, v[0:1], off
	s_waitcnt vmcnt(0)
	v_cvt_f16_u16_e32 v8, v0
.LBB336_1538:
	s_mov_b64 s[6:7], -1
.LBB336_1539:
	s_andn2_b64 vcc, exec, s[6:7]
	s_cbranch_vccnz .LBB336_1973
; %bb.1540:
	v_mov_b32_e32 v0, s10
	s_waitcnt vmcnt(0)
	v_cmp_lt_f16_e32 vcc, s10, v5
	v_mov_b32_e32 v1, s33
	s_and_b32 s22, s11, 0xff
	v_cndmask_b32_e32 v0, v0, v5, vcc
	v_cmp_gt_f16_e32 vcc, s33, v0
	s_cmp_lt_i32 s22, 11
	s_nop 0
	v_cndmask_b32_e32 v0, v1, v0, vcc
	v_cmp_u_f16_e32 vcc, v5, v5
	s_nop 1
	v_cndmask_b32_e32 v5, v0, v5, vcc
	v_mul_lo_u32 v0, s8, v4
	v_ashrrev_i32_e32 v1, 31, v0
	v_lshl_add_u64 v[2:3], s[4:5], 0, v[0:1]
	s_cbranch_scc1 .LBB336_1618
; %bb.1541:
	s_and_b32 s9, 0xffff, s22
	s_mov_b64 s[18:19], -1
	s_mov_b64 s[2:3], 0
	s_cmp_gt_i32 s9, 25
	s_mov_b64 s[6:7], 0
	s_mov_b64 s[0:1], 0
	s_cbranch_scc0 .LBB336_1574
; %bb.1542:
	s_cmp_gt_i32 s9, 28
	s_cbranch_scc0 .LBB336_1557
; %bb.1543:
	s_cmp_gt_i32 s9, 43
	;; [unrolled: 3-line block ×3, first 2 shown]
	s_cbranch_scc0 .LBB336_1547
; %bb.1545:
	s_mov_b64 s[0:1], -1
	s_mov_b64 s[18:19], 0
	s_cmp_eq_u32 s9, 46
	s_cbranch_scc0 .LBB336_1547
; %bb.1546:
	v_cvt_f32_f16_e32 v1, v5
	s_movk_i32 s0, 0x7fff
	v_cmp_o_f16_e32 vcc, v5, v5
	v_mov_b32_e32 v4, 0x7fc0
	v_bfe_u32 v9, v1, 16, 1
	v_add3_u32 v1, v1, v9, s0
	v_cndmask_b32_sdwa v1, v4, v1, vcc dst_sel:DWORD dst_unused:UNUSED_PAD src0_sel:DWORD src1_sel:WORD_1
	global_store_dword v[2:3], v1, off
	s_mov_b64 s[0:1], 0
	s_mov_b64 s[6:7], -1
.LBB336_1547:
	s_and_b64 vcc, exec, s[18:19]
	s_cbranch_vccz .LBB336_1552
; %bb.1548:
	s_cmp_eq_u32 s9, 44
	s_mov_b64 s[0:1], -1
	s_cbranch_scc0 .LBB336_1552
; %bb.1549:
	v_cvt_f32_f16_e32 v1, v5
	s_movk_i32 s0, 0xff
	v_mov_b32_e32 v9, 0xff
	v_bfe_u32 v4, v1, 23, 8
	v_cmp_ne_u32_e32 vcc, s0, v4
	s_and_saveexec_b64 s[6:7], vcc
; %bb.1550:
	s_mov_b32 s0, 0x3fffff
	v_lshrrev_b32_e32 v9, 23, v1
	v_and_b32_e32 v10, 0x400000, v1
	v_and_or_b32 v1, v1, s0, v4
	v_cmp_ne_u32_e32 vcc, 0, v10
	v_cmp_ne_u32_e64 s[0:1], 0, v1
	s_and_b64 s[0:1], vcc, s[0:1]
	s_nop 0
	v_cndmask_b32_e64 v1, 0, 1, s[0:1]
	v_add_u32_e32 v9, v9, v1
; %bb.1551:
	s_or_b64 exec, exec, s[6:7]
	s_mov_b64 s[0:1], 0
	s_mov_b64 s[6:7], -1
	global_store_byte v[2:3], v9, off
.LBB336_1552:
	s_mov_b64 s[18:19], 0
.LBB336_1553:
	s_and_b64 vcc, exec, s[18:19]
	s_cbranch_vccz .LBB336_1556
; %bb.1554:
	s_cmp_eq_u32 s9, 29
	s_mov_b64 s[0:1], -1
	s_cbranch_scc0 .LBB336_1556
; %bb.1555:
	v_cvt_f32_f16_e32 v1, v5
	v_mov_b32_e32 v11, 0
	s_mov_b64 s[0:1], 0
	s_mov_b64 s[6:7], -1
	v_cvt_u32_f32_e32 v10, v1
	global_store_dwordx2 v[2:3], v[10:11], off
.LBB336_1556:
	s_mov_b64 s[18:19], 0
.LBB336_1557:
	s_and_b64 vcc, exec, s[18:19]
	s_cbranch_vccz .LBB336_1573
; %bb.1558:
	s_cmp_lt_i32 s9, 27
	s_mov_b64 s[6:7], -1
	s_cbranch_scc1 .LBB336_1564
; %bb.1559:
	s_cmp_gt_i32 s9, 27
	s_cbranch_scc0 .LBB336_1561
; %bb.1560:
	v_cvt_f32_f16_e32 v1, v5
	s_mov_b64 s[6:7], 0
	v_cvt_u32_f32_e32 v1, v1
	global_store_dword v[2:3], v1, off
.LBB336_1561:
	s_andn2_b64 vcc, exec, s[6:7]
	s_cbranch_vccnz .LBB336_1563
; %bb.1562:
	v_cvt_u16_f16_e32 v1, v5
	global_store_short v[2:3], v1, off
.LBB336_1563:
	s_mov_b64 s[6:7], 0
.LBB336_1564:
	s_andn2_b64 vcc, exec, s[6:7]
	s_cbranch_vccnz .LBB336_1572
; %bb.1565:
	v_cvt_f32_f16_e32 v1, v5
	s_mov_b32 s6, 0x43800000
	v_mov_b32_e32 v9, 0x80
	v_and_b32_e32 v4, 0x7fffffff, v1
	v_cmp_gt_u32_e32 vcc, s6, v4
	s_and_saveexec_b64 s[6:7], vcc
	s_cbranch_execz .LBB336_1571
; %bb.1566:
	s_mov_b32 s11, 0x3bffffff
	v_cmp_lt_u32_e32 vcc, s11, v4
	s_mov_b64 s[18:19], 0
                                        ; implicit-def: $vgpr4
	s_and_saveexec_b64 s[20:21], vcc
	s_xor_b64 s[20:21], exec, s[20:21]
	s_cbranch_execz .LBB336_2020
; %bb.1567:
	v_bfe_u32 v4, v1, 20, 1
	s_mov_b32 s11, 0x487ffff
	v_add3_u32 v4, v1, v4, s11
	s_mov_b64 s[18:19], exec
	v_lshrrev_b32_e32 v4, 20, v4
	s_andn2_saveexec_b64 s[20:21], s[20:21]
	s_cbranch_execnz .LBB336_2021
.LBB336_1568:
	s_or_b64 exec, exec, s[20:21]
	v_mov_b32_e32 v9, 0
	s_and_saveexec_b64 s[20:21], s[18:19]
.LBB336_1569:
	v_lshrrev_b32_e32 v1, 24, v1
	s_movk_i32 s11, 0x80
	v_and_or_b32 v9, v1, s11, v4
.LBB336_1570:
	s_or_b64 exec, exec, s[20:21]
.LBB336_1571:
	s_or_b64 exec, exec, s[6:7]
	global_store_byte v[2:3], v9, off
.LBB336_1572:
	s_mov_b64 s[6:7], -1
.LBB336_1573:
	s_mov_b64 s[18:19], 0
.LBB336_1574:
	s_and_b64 vcc, exec, s[18:19]
	s_cbranch_vccz .LBB336_1614
; %bb.1575:
	s_cmp_gt_i32 s9, 22
	s_mov_b64 s[2:3], -1
	s_cbranch_scc0 .LBB336_1607
; %bb.1576:
	s_cmp_lt_i32 s9, 24
	s_cbranch_scc1 .LBB336_1596
; %bb.1577:
	s_cmp_gt_i32 s9, 24
	s_cbranch_scc0 .LBB336_1585
; %bb.1578:
	v_cvt_f32_f16_e32 v1, v5
	s_mov_b32 s2, 0x47800000
	v_mov_b32_e32 v9, 0x80
	v_and_b32_e32 v4, 0x7fffffff, v1
	v_cmp_gt_u32_e32 vcc, s2, v4
	s_and_saveexec_b64 s[2:3], vcc
	s_cbranch_execz .LBB336_1584
; %bb.1579:
	s_mov_b32 s6, 0x37ffffff
	v_cmp_lt_u32_e32 vcc, s6, v4
	s_mov_b64 s[6:7], 0
                                        ; implicit-def: $vgpr4
	s_and_saveexec_b64 s[18:19], vcc
	s_xor_b64 s[18:19], exec, s[18:19]
	s_cbranch_execz .LBB336_2023
; %bb.1580:
	v_bfe_u32 v4, v1, 21, 1
	s_mov_b32 s11, 0x88fffff
	v_add3_u32 v4, v1, v4, s11
	s_mov_b64 s[6:7], exec
	v_lshrrev_b32_e32 v4, 21, v4
	s_andn2_saveexec_b64 s[18:19], s[18:19]
	s_cbranch_execnz .LBB336_2024
.LBB336_1581:
	s_or_b64 exec, exec, s[18:19]
	v_mov_b32_e32 v9, 0
	s_and_saveexec_b64 s[18:19], s[6:7]
.LBB336_1582:
	v_lshrrev_b32_e32 v1, 24, v1
	s_movk_i32 s6, 0x80
	v_and_or_b32 v9, v1, s6, v4
.LBB336_1583:
	s_or_b64 exec, exec, s[18:19]
.LBB336_1584:
	s_or_b64 exec, exec, s[2:3]
	s_mov_b64 s[2:3], 0
	global_store_byte v[2:3], v9, off
.LBB336_1585:
	s_and_b64 vcc, exec, s[2:3]
	s_cbranch_vccz .LBB336_1595
; %bb.1586:
	v_cvt_f32_f16_e32 v1, v5
	s_mov_b32 s2, 0x43f00000
                                        ; implicit-def: $vgpr4
	v_and_b32_e32 v9, 0x7fffffff, v1
	v_cmp_gt_u32_e32 vcc, s2, v9
	s_and_saveexec_b64 s[2:3], vcc
	s_xor_b64 s[2:3], exec, s[2:3]
	s_cbranch_execz .LBB336_1592
; %bb.1587:
	s_mov_b32 s6, 0x3c7fffff
	v_cmp_lt_u32_e32 vcc, s6, v9
                                        ; implicit-def: $vgpr4
	s_and_saveexec_b64 s[6:7], vcc
	s_xor_b64 s[6:7], exec, s[6:7]
; %bb.1588:
	v_bfe_u32 v4, v1, 20, 1
	s_mov_b32 s11, 0x407ffff
	v_add3_u32 v4, v1, v4, s11
	v_lshrrev_b32_e32 v9, 20, v4
	v_and_b32_e32 v4, 0xff00000, v4
	s_mov_b32 s11, 0x7f00000
	v_mov_b32_e32 v10, 0x7e
	v_cmp_ne_u32_e32 vcc, s11, v4
	s_nop 1
	v_cndmask_b32_e32 v4, v10, v9, vcc
; %bb.1589:
	s_andn2_saveexec_b64 s[6:7], s[6:7]
; %bb.1590:
	s_mov_b32 s11, 0x46800000
	v_add_f32_e64 v4, |v1|, s11
; %bb.1591:
	s_or_b64 exec, exec, s[6:7]
                                        ; implicit-def: $vgpr9
.LBB336_1592:
	s_andn2_saveexec_b64 s[2:3], s[2:3]
; %bb.1593:
	s_mov_b32 s6, 0x7f800000
	v_mov_b32_e32 v4, 0x7e
	v_mov_b32_e32 v10, 0x7f
	v_cmp_lt_u32_e32 vcc, s6, v9
	s_nop 1
	v_cndmask_b32_e32 v4, v4, v10, vcc
; %bb.1594:
	s_or_b64 exec, exec, s[2:3]
	v_lshrrev_b32_e32 v1, 24, v1
	s_movk_i32 s2, 0x80
	v_and_or_b32 v1, v1, s2, v4
	global_store_byte v[2:3], v1, off
.LBB336_1595:
	s_mov_b64 s[2:3], 0
.LBB336_1596:
	s_andn2_b64 vcc, exec, s[2:3]
	s_cbranch_vccnz .LBB336_1606
; %bb.1597:
	v_cvt_f32_f16_e32 v1, v5
	s_mov_b32 s2, 0x47800000
                                        ; implicit-def: $vgpr4
	v_and_b32_e32 v9, 0x7fffffff, v1
	v_cmp_gt_u32_e32 vcc, s2, v9
	s_and_saveexec_b64 s[2:3], vcc
	s_xor_b64 s[2:3], exec, s[2:3]
	s_cbranch_execz .LBB336_1603
; %bb.1598:
	s_mov_b32 s6, 0x387fffff
	v_cmp_lt_u32_e32 vcc, s6, v9
                                        ; implicit-def: $vgpr4
	s_and_saveexec_b64 s[6:7], vcc
	s_xor_b64 s[6:7], exec, s[6:7]
; %bb.1599:
	v_bfe_u32 v4, v1, 21, 1
	s_mov_b32 s11, 0x80fffff
	v_add3_u32 v4, v1, v4, s11
	v_lshrrev_b32_e32 v4, 21, v4
; %bb.1600:
	s_andn2_saveexec_b64 s[6:7], s[6:7]
; %bb.1601:
	s_mov_b32 s11, 0x43000000
	v_add_f32_e64 v4, |v1|, s11
; %bb.1602:
	s_or_b64 exec, exec, s[6:7]
                                        ; implicit-def: $vgpr9
.LBB336_1603:
	s_andn2_saveexec_b64 s[2:3], s[2:3]
; %bb.1604:
	s_mov_b32 s6, 0x7f800000
	v_mov_b32_e32 v4, 0x7c
	v_mov_b32_e32 v10, 0x7f
	v_cmp_lt_u32_e32 vcc, s6, v9
	s_nop 1
	v_cndmask_b32_e32 v4, v4, v10, vcc
; %bb.1605:
	s_or_b64 exec, exec, s[2:3]
	v_lshrrev_b32_e32 v1, 24, v1
	s_movk_i32 s2, 0x80
	v_and_or_b32 v1, v1, s2, v4
	global_store_byte v[2:3], v1, off
.LBB336_1606:
	s_mov_b64 s[2:3], 0
	s_mov_b64 s[6:7], -1
.LBB336_1607:
	s_andn2_b64 vcc, exec, s[2:3]
	s_mov_b64 s[2:3], 0
	s_cbranch_vccnz .LBB336_1614
; %bb.1608:
	s_cmp_gt_i32 s9, 14
	s_mov_b64 s[18:19], -1
	s_cbranch_scc0 .LBB336_1612
; %bb.1609:
	s_cmp_eq_u32 s9, 15
	s_mov_b64 s[0:1], -1
	s_cbranch_scc0 .LBB336_1611
; %bb.1610:
	v_cvt_f32_f16_e32 v1, v5
	s_movk_i32 s0, 0x7fff
	v_cmp_o_f16_e32 vcc, v5, v5
	v_mov_b32_e32 v4, 0x7fc0
	v_bfe_u32 v9, v1, 16, 1
	v_add3_u32 v1, v1, v9, s0
	v_cndmask_b32_sdwa v1, v4, v1, vcc dst_sel:DWORD dst_unused:UNUSED_PAD src0_sel:DWORD src1_sel:WORD_1
	global_store_short v[2:3], v1, off
	s_mov_b64 s[0:1], 0
	s_mov_b64 s[6:7], -1
.LBB336_1611:
	s_mov_b64 s[18:19], 0
.LBB336_1612:
	s_and_b64 vcc, exec, s[18:19]
	s_cbranch_vccz .LBB336_1614
; %bb.1613:
	s_cmp_lg_u32 s9, 11
	s_mov_b64 s[2:3], -1
	s_cselect_b64 s[0:1], -1, 0
.LBB336_1614:
	s_and_b64 vcc, exec, s[0:1]
	s_cbranch_vccnz .LBB336_2022
; %bb.1615:
	s_andn2_b64 vcc, exec, s[2:3]
	s_cbranch_vccnz .LBB336_1617
.LBB336_1616:
	v_and_b32_e32 v1, 0x7fff, v5
	v_cmp_ne_u16_e32 vcc, 0, v1
	s_mov_b64 s[6:7], -1
	s_nop 0
	v_cndmask_b32_e64 v1, 0, 1, vcc
	global_store_byte v[2:3], v1, off
.LBB336_1617:
	s_mov_b64 s[0:1], 0
	s_branch .LBB336_1619
.LBB336_1618:
	s_mov_b64 s[0:1], -1
	s_mov_b64 s[6:7], 0
.LBB336_1619:
	s_and_b64 vcc, exec, s[0:1]
	s_cbranch_vccz .LBB336_1658
; %bb.1620:
	s_and_b32 s2, 0xffff, s22
	s_cmp_lt_i32 s2, 5
	s_mov_b64 s[0:1], -1
	s_cbranch_scc1 .LBB336_1641
; %bb.1621:
	s_cmp_lt_i32 s2, 8
	s_cbranch_scc1 .LBB336_1631
; %bb.1622:
	s_cmp_lt_i32 s2, 9
	s_cbranch_scc1 .LBB336_1628
; %bb.1623:
	s_cmp_gt_i32 s2, 9
	s_cbranch_scc0 .LBB336_1625
; %bb.1624:
	v_cvt_f32_f16_e32 v1, v5
	v_mov_b32_e32 v12, 0
	v_mov_b32_e32 v13, v12
	s_mov_b64 s[0:1], 0
	v_cvt_f64_f32_e32 v[10:11], v1
	global_store_dwordx4 v[2:3], v[10:13], off
.LBB336_1625:
	s_andn2_b64 vcc, exec, s[0:1]
	s_cbranch_vccnz .LBB336_1627
; %bb.1626:
	v_cvt_f32_f16_e32 v10, v5
	v_mov_b32_e32 v11, 0
	global_store_dwordx2 v[2:3], v[10:11], off
.LBB336_1627:
	s_mov_b64 s[0:1], 0
.LBB336_1628:
	s_andn2_b64 vcc, exec, s[0:1]
	s_cbranch_vccnz .LBB336_1630
; %bb.1629:
	v_and_b32_e32 v1, 0xffff, v5
	global_store_dword v[2:3], v1, off
.LBB336_1630:
	s_mov_b64 s[0:1], 0
.LBB336_1631:
	s_andn2_b64 vcc, exec, s[0:1]
	s_cbranch_vccnz .LBB336_1640
; %bb.1632:
	s_cmp_lt_i32 s2, 6
	s_mov_b64 s[0:1], -1
	s_cbranch_scc1 .LBB336_1638
; %bb.1633:
	s_cmp_gt_i32 s2, 6
	s_cbranch_scc0 .LBB336_1635
; %bb.1634:
	v_cvt_f32_f16_e32 v1, v5
	s_mov_b64 s[0:1], 0
	v_cvt_f64_f32_e32 v[10:11], v1
	global_store_dwordx2 v[2:3], v[10:11], off
.LBB336_1635:
	s_andn2_b64 vcc, exec, s[0:1]
	s_cbranch_vccnz .LBB336_1637
; %bb.1636:
	v_cvt_f32_f16_e32 v1, v5
	global_store_dword v[2:3], v1, off
.LBB336_1637:
	s_mov_b64 s[0:1], 0
.LBB336_1638:
	s_andn2_b64 vcc, exec, s[0:1]
	s_cbranch_vccnz .LBB336_1640
; %bb.1639:
	global_store_short v[2:3], v5, off
.LBB336_1640:
	s_mov_b64 s[0:1], 0
.LBB336_1641:
	s_andn2_b64 vcc, exec, s[0:1]
	s_cbranch_vccnz .LBB336_1657
; %bb.1642:
	s_cmp_lt_i32 s2, 2
	s_mov_b64 s[0:1], -1
	s_cbranch_scc1 .LBB336_1652
; %bb.1643:
	s_cmp_lt_i32 s2, 3
	s_cbranch_scc1 .LBB336_1649
; %bb.1644:
	s_cmp_gt_i32 s2, 3
	s_cbranch_scc0 .LBB336_1646
; %bb.1645:
	v_cvt_f32_f16_e32 v1, v5
	s_mov_b64 s[0:1], 0
	v_cvt_i32_f32_e32 v10, v1
	v_ashrrev_i32_e32 v11, 31, v10
	global_store_dwordx2 v[2:3], v[10:11], off
.LBB336_1646:
	s_andn2_b64 vcc, exec, s[0:1]
	s_cbranch_vccnz .LBB336_1648
; %bb.1647:
	v_cvt_f32_f16_e32 v1, v5
	v_cvt_i32_f32_e32 v1, v1
	global_store_dword v[2:3], v1, off
.LBB336_1648:
	s_mov_b64 s[0:1], 0
.LBB336_1649:
	s_andn2_b64 vcc, exec, s[0:1]
	s_cbranch_vccnz .LBB336_1651
; %bb.1650:
	v_cvt_i16_f16_e32 v1, v5
	global_store_short v[2:3], v1, off
.LBB336_1651:
	s_mov_b64 s[0:1], 0
.LBB336_1652:
	s_andn2_b64 vcc, exec, s[0:1]
	s_cbranch_vccnz .LBB336_1657
; %bb.1653:
	s_cmp_gt_i32 s2, 0
	s_mov_b64 s[0:1], -1
	s_cbranch_scc0 .LBB336_1655
; %bb.1654:
	v_cvt_i16_f16_e32 v1, v5
	global_store_byte v[2:3], v1, off
	s_mov_b64 s[0:1], 0
.LBB336_1655:
	s_andn2_b64 vcc, exec, s[0:1]
	s_cbranch_vccnz .LBB336_1657
; %bb.1656:
	v_cvt_f32_f16_e32 v1, v5
	v_cvt_i32_f32_e32 v1, v1
	global_store_byte v[2:3], v1, off
.LBB336_1657:
	s_mov_b64 s[6:7], -1
.LBB336_1658:
	s_andn2_b64 vcc, exec, s[6:7]
	s_cbranch_vccnz .LBB336_1973
; %bb.1659:
	v_mov_b32_e32 v1, s10
	v_cmp_lt_f16_e32 vcc, s10, v6
	v_mov_b32_e32 v2, s33
	s_lshl_b32 s11, s8, 7
	v_cndmask_b32_e32 v1, v1, v6, vcc
	v_cmp_gt_f16_e32 vcc, s33, v1
	v_add_u32_e32 v0, s11, v0
	s_cmp_lt_i32 s22, 11
	v_cndmask_b32_e32 v1, v2, v1, vcc
	v_cmp_u_f16_e32 vcc, v6, v6
	s_nop 1
	v_cndmask_b32_e32 v4, v1, v6, vcc
	v_ashrrev_i32_e32 v1, 31, v0
	v_lshl_add_u64 v[2:3], s[4:5], 0, v[0:1]
	s_cbranch_scc1 .LBB336_1737
; %bb.1660:
	s_and_b32 s20, 0xffff, s22
	s_mov_b64 s[8:9], -1
	s_mov_b64 s[2:3], 0
	s_cmp_gt_i32 s20, 25
	s_mov_b64 s[6:7], 0
	s_mov_b64 s[0:1], 0
	s_cbranch_scc0 .LBB336_1693
; %bb.1661:
	s_cmp_gt_i32 s20, 28
	s_cbranch_scc0 .LBB336_1676
; %bb.1662:
	s_cmp_gt_i32 s20, 43
	;; [unrolled: 3-line block ×3, first 2 shown]
	s_cbranch_scc0 .LBB336_1666
; %bb.1664:
	s_mov_b64 s[0:1], -1
	s_mov_b64 s[8:9], 0
	s_cmp_eq_u32 s20, 46
	s_cbranch_scc0 .LBB336_1666
; %bb.1665:
	v_cvt_f32_f16_e32 v1, v4
	s_movk_i32 s0, 0x7fff
	v_cmp_o_f16_e32 vcc, v4, v4
	v_mov_b32_e32 v5, 0x7fc0
	v_bfe_u32 v6, v1, 16, 1
	v_add3_u32 v1, v1, v6, s0
	v_cndmask_b32_sdwa v1, v5, v1, vcc dst_sel:DWORD dst_unused:UNUSED_PAD src0_sel:DWORD src1_sel:WORD_1
	global_store_dword v[2:3], v1, off
	s_mov_b64 s[0:1], 0
	s_mov_b64 s[6:7], -1
.LBB336_1666:
	s_and_b64 vcc, exec, s[8:9]
	s_cbranch_vccz .LBB336_1671
; %bb.1667:
	s_cmp_eq_u32 s20, 44
	s_mov_b64 s[0:1], -1
	s_cbranch_scc0 .LBB336_1671
; %bb.1668:
	v_cvt_f32_f16_e32 v1, v4
	s_movk_i32 s0, 0xff
	v_mov_b32_e32 v6, 0xff
	v_bfe_u32 v5, v1, 23, 8
	v_cmp_ne_u32_e32 vcc, s0, v5
	s_and_saveexec_b64 s[6:7], vcc
; %bb.1669:
	s_mov_b32 s0, 0x3fffff
	v_lshrrev_b32_e32 v6, 23, v1
	v_and_b32_e32 v9, 0x400000, v1
	v_and_or_b32 v1, v1, s0, v5
	v_cmp_ne_u32_e32 vcc, 0, v9
	v_cmp_ne_u32_e64 s[0:1], 0, v1
	s_and_b64 s[0:1], vcc, s[0:1]
	s_nop 0
	v_cndmask_b32_e64 v1, 0, 1, s[0:1]
	v_add_u32_e32 v6, v6, v1
; %bb.1670:
	s_or_b64 exec, exec, s[6:7]
	s_mov_b64 s[0:1], 0
	s_mov_b64 s[6:7], -1
	global_store_byte v[2:3], v6, off
.LBB336_1671:
	s_mov_b64 s[8:9], 0
.LBB336_1672:
	s_and_b64 vcc, exec, s[8:9]
	s_cbranch_vccz .LBB336_1675
; %bb.1673:
	s_cmp_eq_u32 s20, 29
	s_mov_b64 s[0:1], -1
	s_cbranch_scc0 .LBB336_1675
; %bb.1674:
	v_cvt_f32_f16_e32 v1, v4
	v_mov_b32_e32 v11, 0
	s_mov_b64 s[0:1], 0
	s_mov_b64 s[6:7], -1
	v_cvt_u32_f32_e32 v10, v1
	global_store_dwordx2 v[2:3], v[10:11], off
.LBB336_1675:
	s_mov_b64 s[8:9], 0
.LBB336_1676:
	s_and_b64 vcc, exec, s[8:9]
	s_cbranch_vccz .LBB336_1692
; %bb.1677:
	s_cmp_lt_i32 s20, 27
	s_mov_b64 s[6:7], -1
	s_cbranch_scc1 .LBB336_1683
; %bb.1678:
	s_cmp_gt_i32 s20, 27
	s_cbranch_scc0 .LBB336_1680
; %bb.1679:
	v_cvt_f32_f16_e32 v1, v4
	s_mov_b64 s[6:7], 0
	v_cvt_u32_f32_e32 v1, v1
	global_store_dword v[2:3], v1, off
.LBB336_1680:
	s_andn2_b64 vcc, exec, s[6:7]
	s_cbranch_vccnz .LBB336_1682
; %bb.1681:
	v_cvt_u16_f16_e32 v1, v4
	global_store_short v[2:3], v1, off
.LBB336_1682:
	s_mov_b64 s[6:7], 0
.LBB336_1683:
	s_andn2_b64 vcc, exec, s[6:7]
	s_cbranch_vccnz .LBB336_1691
; %bb.1684:
	v_cvt_f32_f16_e32 v1, v4
	s_mov_b32 s6, 0x43800000
	v_mov_b32_e32 v6, 0x80
	v_and_b32_e32 v5, 0x7fffffff, v1
	v_cmp_gt_u32_e32 vcc, s6, v5
	s_and_saveexec_b64 s[6:7], vcc
	s_cbranch_execz .LBB336_1690
; %bb.1685:
	s_mov_b32 s8, 0x3bffffff
	v_cmp_lt_u32_e32 vcc, s8, v5
	s_mov_b64 s[8:9], 0
                                        ; implicit-def: $vgpr5
	s_and_saveexec_b64 s[18:19], vcc
	s_xor_b64 s[18:19], exec, s[18:19]
	s_cbranch_execz .LBB336_2025
; %bb.1686:
	v_bfe_u32 v5, v1, 20, 1
	s_mov_b32 s21, 0x487ffff
	v_add3_u32 v5, v1, v5, s21
	s_mov_b64 s[8:9], exec
	v_lshrrev_b32_e32 v5, 20, v5
	s_andn2_saveexec_b64 s[18:19], s[18:19]
	s_cbranch_execnz .LBB336_2026
.LBB336_1687:
	s_or_b64 exec, exec, s[18:19]
	v_mov_b32_e32 v6, 0
	s_and_saveexec_b64 s[18:19], s[8:9]
.LBB336_1688:
	v_lshrrev_b32_e32 v1, 24, v1
	s_movk_i32 s8, 0x80
	v_and_or_b32 v6, v1, s8, v5
.LBB336_1689:
	s_or_b64 exec, exec, s[18:19]
.LBB336_1690:
	s_or_b64 exec, exec, s[6:7]
	global_store_byte v[2:3], v6, off
.LBB336_1691:
	s_mov_b64 s[6:7], -1
.LBB336_1692:
	s_mov_b64 s[8:9], 0
.LBB336_1693:
	s_and_b64 vcc, exec, s[8:9]
	s_cbranch_vccz .LBB336_1733
; %bb.1694:
	s_cmp_gt_i32 s20, 22
	s_mov_b64 s[2:3], -1
	s_cbranch_scc0 .LBB336_1726
; %bb.1695:
	s_cmp_lt_i32 s20, 24
	s_cbranch_scc1 .LBB336_1715
; %bb.1696:
	s_cmp_gt_i32 s20, 24
	s_cbranch_scc0 .LBB336_1704
; %bb.1697:
	v_cvt_f32_f16_e32 v1, v4
	s_mov_b32 s2, 0x47800000
	v_mov_b32_e32 v6, 0x80
	v_and_b32_e32 v5, 0x7fffffff, v1
	v_cmp_gt_u32_e32 vcc, s2, v5
	s_and_saveexec_b64 s[2:3], vcc
	s_cbranch_execz .LBB336_1703
; %bb.1698:
	s_mov_b32 s6, 0x37ffffff
	v_cmp_lt_u32_e32 vcc, s6, v5
	s_mov_b64 s[6:7], 0
                                        ; implicit-def: $vgpr5
	s_and_saveexec_b64 s[8:9], vcc
	s_xor_b64 s[8:9], exec, s[8:9]
	s_cbranch_execz .LBB336_2028
; %bb.1699:
	v_bfe_u32 v5, v1, 21, 1
	s_mov_b32 s18, 0x88fffff
	v_add3_u32 v5, v1, v5, s18
	s_mov_b64 s[6:7], exec
	v_lshrrev_b32_e32 v5, 21, v5
	s_andn2_saveexec_b64 s[8:9], s[8:9]
	s_cbranch_execnz .LBB336_2029
.LBB336_1700:
	s_or_b64 exec, exec, s[8:9]
	v_mov_b32_e32 v6, 0
	s_and_saveexec_b64 s[8:9], s[6:7]
.LBB336_1701:
	v_lshrrev_b32_e32 v1, 24, v1
	s_movk_i32 s6, 0x80
	v_and_or_b32 v6, v1, s6, v5
.LBB336_1702:
	s_or_b64 exec, exec, s[8:9]
.LBB336_1703:
	s_or_b64 exec, exec, s[2:3]
	s_mov_b64 s[2:3], 0
	global_store_byte v[2:3], v6, off
.LBB336_1704:
	s_and_b64 vcc, exec, s[2:3]
	s_cbranch_vccz .LBB336_1714
; %bb.1705:
	v_cvt_f32_f16_e32 v1, v4
	s_mov_b32 s2, 0x43f00000
                                        ; implicit-def: $vgpr5
	v_and_b32_e32 v6, 0x7fffffff, v1
	v_cmp_gt_u32_e32 vcc, s2, v6
	s_and_saveexec_b64 s[2:3], vcc
	s_xor_b64 s[2:3], exec, s[2:3]
	s_cbranch_execz .LBB336_1711
; %bb.1706:
	s_mov_b32 s6, 0x3c7fffff
	v_cmp_lt_u32_e32 vcc, s6, v6
                                        ; implicit-def: $vgpr5
	s_and_saveexec_b64 s[6:7], vcc
	s_xor_b64 s[6:7], exec, s[6:7]
; %bb.1707:
	v_bfe_u32 v5, v1, 20, 1
	s_mov_b32 s8, 0x407ffff
	v_add3_u32 v5, v1, v5, s8
	v_lshrrev_b32_e32 v6, 20, v5
	v_and_b32_e32 v5, 0xff00000, v5
	s_mov_b32 s8, 0x7f00000
	v_mov_b32_e32 v9, 0x7e
	v_cmp_ne_u32_e32 vcc, s8, v5
	s_nop 1
	v_cndmask_b32_e32 v5, v9, v6, vcc
; %bb.1708:
	s_andn2_saveexec_b64 s[6:7], s[6:7]
; %bb.1709:
	s_mov_b32 s8, 0x46800000
	v_add_f32_e64 v5, |v1|, s8
; %bb.1710:
	s_or_b64 exec, exec, s[6:7]
                                        ; implicit-def: $vgpr6
.LBB336_1711:
	s_andn2_saveexec_b64 s[2:3], s[2:3]
; %bb.1712:
	s_mov_b32 s6, 0x7f800000
	v_mov_b32_e32 v5, 0x7e
	v_mov_b32_e32 v9, 0x7f
	v_cmp_lt_u32_e32 vcc, s6, v6
	s_nop 1
	v_cndmask_b32_e32 v5, v5, v9, vcc
; %bb.1713:
	s_or_b64 exec, exec, s[2:3]
	v_lshrrev_b32_e32 v1, 24, v1
	s_movk_i32 s2, 0x80
	v_and_or_b32 v1, v1, s2, v5
	global_store_byte v[2:3], v1, off
.LBB336_1714:
	s_mov_b64 s[2:3], 0
.LBB336_1715:
	s_andn2_b64 vcc, exec, s[2:3]
	s_cbranch_vccnz .LBB336_1725
; %bb.1716:
	v_cvt_f32_f16_e32 v1, v4
	s_mov_b32 s2, 0x47800000
                                        ; implicit-def: $vgpr5
	v_and_b32_e32 v6, 0x7fffffff, v1
	v_cmp_gt_u32_e32 vcc, s2, v6
	s_and_saveexec_b64 s[2:3], vcc
	s_xor_b64 s[2:3], exec, s[2:3]
	s_cbranch_execz .LBB336_1722
; %bb.1717:
	s_mov_b32 s6, 0x387fffff
	v_cmp_lt_u32_e32 vcc, s6, v6
                                        ; implicit-def: $vgpr5
	s_and_saveexec_b64 s[6:7], vcc
	s_xor_b64 s[6:7], exec, s[6:7]
; %bb.1718:
	v_bfe_u32 v5, v1, 21, 1
	s_mov_b32 s8, 0x80fffff
	v_add3_u32 v5, v1, v5, s8
	v_lshrrev_b32_e32 v5, 21, v5
; %bb.1719:
	s_andn2_saveexec_b64 s[6:7], s[6:7]
; %bb.1720:
	s_mov_b32 s8, 0x43000000
	v_add_f32_e64 v5, |v1|, s8
; %bb.1721:
	s_or_b64 exec, exec, s[6:7]
                                        ; implicit-def: $vgpr6
.LBB336_1722:
	s_andn2_saveexec_b64 s[2:3], s[2:3]
; %bb.1723:
	s_mov_b32 s6, 0x7f800000
	v_mov_b32_e32 v5, 0x7c
	v_mov_b32_e32 v9, 0x7f
	v_cmp_lt_u32_e32 vcc, s6, v6
	s_nop 1
	v_cndmask_b32_e32 v5, v5, v9, vcc
; %bb.1724:
	s_or_b64 exec, exec, s[2:3]
	v_lshrrev_b32_e32 v1, 24, v1
	s_movk_i32 s2, 0x80
	v_and_or_b32 v1, v1, s2, v5
	global_store_byte v[2:3], v1, off
.LBB336_1725:
	s_mov_b64 s[2:3], 0
	s_mov_b64 s[6:7], -1
.LBB336_1726:
	s_andn2_b64 vcc, exec, s[2:3]
	s_mov_b64 s[2:3], 0
	s_cbranch_vccnz .LBB336_1733
; %bb.1727:
	s_cmp_gt_i32 s20, 14
	s_mov_b64 s[8:9], -1
	s_cbranch_scc0 .LBB336_1731
; %bb.1728:
	s_cmp_eq_u32 s20, 15
	s_mov_b64 s[0:1], -1
	s_cbranch_scc0 .LBB336_1730
; %bb.1729:
	v_cvt_f32_f16_e32 v1, v4
	s_movk_i32 s0, 0x7fff
	v_cmp_o_f16_e32 vcc, v4, v4
	v_mov_b32_e32 v5, 0x7fc0
	v_bfe_u32 v6, v1, 16, 1
	v_add3_u32 v1, v1, v6, s0
	v_cndmask_b32_sdwa v1, v5, v1, vcc dst_sel:DWORD dst_unused:UNUSED_PAD src0_sel:DWORD src1_sel:WORD_1
	global_store_short v[2:3], v1, off
	s_mov_b64 s[0:1], 0
	s_mov_b64 s[6:7], -1
.LBB336_1730:
	s_mov_b64 s[8:9], 0
.LBB336_1731:
	s_and_b64 vcc, exec, s[8:9]
	s_cbranch_vccz .LBB336_1733
; %bb.1732:
	s_cmp_lg_u32 s20, 11
	s_mov_b64 s[2:3], -1
	s_cselect_b64 s[0:1], -1, 0
.LBB336_1733:
	s_and_b64 vcc, exec, s[0:1]
	s_cbranch_vccnz .LBB336_2027
; %bb.1734:
	s_andn2_b64 vcc, exec, s[2:3]
	s_cbranch_vccnz .LBB336_1736
.LBB336_1735:
	v_and_b32_e32 v1, 0x7fff, v4
	v_cmp_ne_u16_e32 vcc, 0, v1
	s_mov_b64 s[6:7], -1
	s_nop 0
	v_cndmask_b32_e64 v1, 0, 1, vcc
	global_store_byte v[2:3], v1, off
.LBB336_1736:
	s_mov_b64 s[0:1], 0
	s_branch .LBB336_1738
.LBB336_1737:
	s_mov_b64 s[0:1], -1
	s_mov_b64 s[6:7], 0
.LBB336_1738:
	s_and_b64 vcc, exec, s[0:1]
	s_cbranch_vccz .LBB336_1777
; %bb.1739:
	s_and_b32 s2, 0xffff, s22
	s_cmp_lt_i32 s2, 5
	s_mov_b64 s[0:1], -1
	s_cbranch_scc1 .LBB336_1760
; %bb.1740:
	s_cmp_lt_i32 s2, 8
	s_cbranch_scc1 .LBB336_1750
; %bb.1741:
	s_cmp_lt_i32 s2, 9
	s_cbranch_scc1 .LBB336_1747
; %bb.1742:
	s_cmp_gt_i32 s2, 9
	s_cbranch_scc0 .LBB336_1744
; %bb.1743:
	v_cvt_f32_f16_e32 v1, v4
	v_mov_b32_e32 v12, 0
	v_mov_b32_e32 v13, v12
	s_mov_b64 s[0:1], 0
	v_cvt_f64_f32_e32 v[10:11], v1
	global_store_dwordx4 v[2:3], v[10:13], off
.LBB336_1744:
	s_andn2_b64 vcc, exec, s[0:1]
	s_cbranch_vccnz .LBB336_1746
; %bb.1745:
	v_cvt_f32_f16_e32 v10, v4
	v_mov_b32_e32 v11, 0
	global_store_dwordx2 v[2:3], v[10:11], off
.LBB336_1746:
	s_mov_b64 s[0:1], 0
.LBB336_1747:
	s_andn2_b64 vcc, exec, s[0:1]
	s_cbranch_vccnz .LBB336_1749
; %bb.1748:
	v_and_b32_e32 v1, 0xffff, v4
	global_store_dword v[2:3], v1, off
.LBB336_1749:
	s_mov_b64 s[0:1], 0
.LBB336_1750:
	s_andn2_b64 vcc, exec, s[0:1]
	s_cbranch_vccnz .LBB336_1759
; %bb.1751:
	s_cmp_lt_i32 s2, 6
	s_mov_b64 s[0:1], -1
	s_cbranch_scc1 .LBB336_1757
; %bb.1752:
	s_cmp_gt_i32 s2, 6
	s_cbranch_scc0 .LBB336_1754
; %bb.1753:
	v_cvt_f32_f16_e32 v1, v4
	s_mov_b64 s[0:1], 0
	v_cvt_f64_f32_e32 v[10:11], v1
	global_store_dwordx2 v[2:3], v[10:11], off
.LBB336_1754:
	s_andn2_b64 vcc, exec, s[0:1]
	s_cbranch_vccnz .LBB336_1756
; %bb.1755:
	v_cvt_f32_f16_e32 v1, v4
	global_store_dword v[2:3], v1, off
.LBB336_1756:
	s_mov_b64 s[0:1], 0
.LBB336_1757:
	s_andn2_b64 vcc, exec, s[0:1]
	s_cbranch_vccnz .LBB336_1759
; %bb.1758:
	global_store_short v[2:3], v4, off
.LBB336_1759:
	s_mov_b64 s[0:1], 0
.LBB336_1760:
	s_andn2_b64 vcc, exec, s[0:1]
	s_cbranch_vccnz .LBB336_1776
; %bb.1761:
	s_cmp_lt_i32 s2, 2
	s_mov_b64 s[0:1], -1
	s_cbranch_scc1 .LBB336_1771
; %bb.1762:
	s_cmp_lt_i32 s2, 3
	s_cbranch_scc1 .LBB336_1768
; %bb.1763:
	s_cmp_gt_i32 s2, 3
	s_cbranch_scc0 .LBB336_1765
; %bb.1764:
	v_cvt_f32_f16_e32 v1, v4
	s_mov_b64 s[0:1], 0
	v_cvt_i32_f32_e32 v10, v1
	v_ashrrev_i32_e32 v11, 31, v10
	global_store_dwordx2 v[2:3], v[10:11], off
.LBB336_1765:
	s_andn2_b64 vcc, exec, s[0:1]
	s_cbranch_vccnz .LBB336_1767
; %bb.1766:
	v_cvt_f32_f16_e32 v1, v4
	v_cvt_i32_f32_e32 v1, v1
	global_store_dword v[2:3], v1, off
.LBB336_1767:
	s_mov_b64 s[0:1], 0
.LBB336_1768:
	s_andn2_b64 vcc, exec, s[0:1]
	s_cbranch_vccnz .LBB336_1770
; %bb.1769:
	v_cvt_i16_f16_e32 v1, v4
	global_store_short v[2:3], v1, off
.LBB336_1770:
	s_mov_b64 s[0:1], 0
.LBB336_1771:
	s_andn2_b64 vcc, exec, s[0:1]
	s_cbranch_vccnz .LBB336_1776
; %bb.1772:
	s_cmp_gt_i32 s2, 0
	s_mov_b64 s[0:1], -1
	s_cbranch_scc0 .LBB336_1774
; %bb.1773:
	v_cvt_i16_f16_e32 v1, v4
	global_store_byte v[2:3], v1, off
	s_mov_b64 s[0:1], 0
.LBB336_1774:
	s_andn2_b64 vcc, exec, s[0:1]
	s_cbranch_vccnz .LBB336_1776
; %bb.1775:
	v_cvt_f32_f16_e32 v1, v4
	v_cvt_i32_f32_e32 v1, v1
	global_store_byte v[2:3], v1, off
.LBB336_1776:
	s_mov_b64 s[6:7], -1
.LBB336_1777:
	s_andn2_b64 vcc, exec, s[6:7]
	s_cbranch_vccnz .LBB336_1973
; %bb.1778:
	v_mov_b32_e32 v1, s10
	v_cmp_lt_f16_e32 vcc, s10, v7
	v_mov_b32_e32 v2, s33
	v_add_u32_e32 v0, s11, v0
	v_cndmask_b32_e32 v1, v1, v7, vcc
	v_cmp_gt_f16_e32 vcc, s33, v1
	s_cmp_lt_i32 s22, 11
	s_nop 0
	v_cndmask_b32_e32 v1, v2, v1, vcc
	v_cmp_u_f16_e32 vcc, v7, v7
	s_nop 1
	v_cndmask_b32_e32 v4, v1, v7, vcc
	v_ashrrev_i32_e32 v1, 31, v0
	v_lshl_add_u64 v[2:3], s[4:5], 0, v[0:1]
	s_cbranch_scc1 .LBB336_1856
; %bb.1779:
	s_and_b32 s20, 0xffff, s22
	s_mov_b64 s[8:9], -1
	s_mov_b64 s[2:3], 0
	s_cmp_gt_i32 s20, 25
	s_mov_b64 s[6:7], 0
	s_mov_b64 s[0:1], 0
	s_cbranch_scc0 .LBB336_1812
; %bb.1780:
	s_cmp_gt_i32 s20, 28
	s_cbranch_scc0 .LBB336_1795
; %bb.1781:
	s_cmp_gt_i32 s20, 43
	;; [unrolled: 3-line block ×3, first 2 shown]
	s_cbranch_scc0 .LBB336_1785
; %bb.1783:
	s_mov_b64 s[0:1], -1
	s_mov_b64 s[8:9], 0
	s_cmp_eq_u32 s20, 46
	s_cbranch_scc0 .LBB336_1785
; %bb.1784:
	v_cvt_f32_f16_e32 v1, v4
	s_movk_i32 s0, 0x7fff
	v_cmp_o_f16_e32 vcc, v4, v4
	v_mov_b32_e32 v5, 0x7fc0
	v_bfe_u32 v6, v1, 16, 1
	v_add3_u32 v1, v1, v6, s0
	v_cndmask_b32_sdwa v1, v5, v1, vcc dst_sel:DWORD dst_unused:UNUSED_PAD src0_sel:DWORD src1_sel:WORD_1
	global_store_dword v[2:3], v1, off
	s_mov_b64 s[0:1], 0
	s_mov_b64 s[6:7], -1
.LBB336_1785:
	s_and_b64 vcc, exec, s[8:9]
	s_cbranch_vccz .LBB336_1790
; %bb.1786:
	s_cmp_eq_u32 s20, 44
	s_mov_b64 s[0:1], -1
	s_cbranch_scc0 .LBB336_1790
; %bb.1787:
	v_cvt_f32_f16_e32 v1, v4
	s_movk_i32 s0, 0xff
	v_mov_b32_e32 v6, 0xff
	v_bfe_u32 v5, v1, 23, 8
	v_cmp_ne_u32_e32 vcc, s0, v5
	s_and_saveexec_b64 s[6:7], vcc
; %bb.1788:
	s_mov_b32 s0, 0x3fffff
	v_lshrrev_b32_e32 v6, 23, v1
	v_and_b32_e32 v7, 0x400000, v1
	v_and_or_b32 v1, v1, s0, v5
	v_cmp_ne_u32_e32 vcc, 0, v7
	v_cmp_ne_u32_e64 s[0:1], 0, v1
	s_and_b64 s[0:1], vcc, s[0:1]
	s_nop 0
	v_cndmask_b32_e64 v1, 0, 1, s[0:1]
	v_add_u32_e32 v6, v6, v1
; %bb.1789:
	s_or_b64 exec, exec, s[6:7]
	s_mov_b64 s[0:1], 0
	s_mov_b64 s[6:7], -1
	global_store_byte v[2:3], v6, off
.LBB336_1790:
	s_mov_b64 s[8:9], 0
.LBB336_1791:
	s_and_b64 vcc, exec, s[8:9]
	s_cbranch_vccz .LBB336_1794
; %bb.1792:
	s_cmp_eq_u32 s20, 29
	s_mov_b64 s[0:1], -1
	s_cbranch_scc0 .LBB336_1794
; %bb.1793:
	v_cvt_f32_f16_e32 v1, v4
	v_mov_b32_e32 v7, 0
	s_mov_b64 s[0:1], 0
	s_mov_b64 s[6:7], -1
	v_cvt_u32_f32_e32 v6, v1
	global_store_dwordx2 v[2:3], v[6:7], off
.LBB336_1794:
	s_mov_b64 s[8:9], 0
.LBB336_1795:
	s_and_b64 vcc, exec, s[8:9]
	s_cbranch_vccz .LBB336_1811
; %bb.1796:
	s_cmp_lt_i32 s20, 27
	s_mov_b64 s[6:7], -1
	s_cbranch_scc1 .LBB336_1802
; %bb.1797:
	s_cmp_gt_i32 s20, 27
	s_cbranch_scc0 .LBB336_1799
; %bb.1798:
	v_cvt_f32_f16_e32 v1, v4
	s_mov_b64 s[6:7], 0
	v_cvt_u32_f32_e32 v1, v1
	global_store_dword v[2:3], v1, off
.LBB336_1799:
	s_andn2_b64 vcc, exec, s[6:7]
	s_cbranch_vccnz .LBB336_1801
; %bb.1800:
	v_cvt_u16_f16_e32 v1, v4
	global_store_short v[2:3], v1, off
.LBB336_1801:
	s_mov_b64 s[6:7], 0
.LBB336_1802:
	s_andn2_b64 vcc, exec, s[6:7]
	s_cbranch_vccnz .LBB336_1810
; %bb.1803:
	v_cvt_f32_f16_e32 v1, v4
	s_mov_b32 s6, 0x43800000
	v_mov_b32_e32 v6, 0x80
	v_and_b32_e32 v5, 0x7fffffff, v1
	v_cmp_gt_u32_e32 vcc, s6, v5
	s_and_saveexec_b64 s[6:7], vcc
	s_cbranch_execz .LBB336_1809
; %bb.1804:
	s_mov_b32 s8, 0x3bffffff
	v_cmp_lt_u32_e32 vcc, s8, v5
	s_mov_b64 s[8:9], 0
                                        ; implicit-def: $vgpr5
	s_and_saveexec_b64 s[18:19], vcc
	s_xor_b64 s[18:19], exec, s[18:19]
	s_cbranch_execz .LBB336_2030
; %bb.1805:
	v_bfe_u32 v5, v1, 20, 1
	s_mov_b32 s21, 0x487ffff
	v_add3_u32 v5, v1, v5, s21
	s_mov_b64 s[8:9], exec
	v_lshrrev_b32_e32 v5, 20, v5
	s_andn2_saveexec_b64 s[18:19], s[18:19]
	s_cbranch_execnz .LBB336_2031
.LBB336_1806:
	s_or_b64 exec, exec, s[18:19]
	v_mov_b32_e32 v6, 0
	s_and_saveexec_b64 s[18:19], s[8:9]
.LBB336_1807:
	v_lshrrev_b32_e32 v1, 24, v1
	s_movk_i32 s8, 0x80
	v_and_or_b32 v6, v1, s8, v5
.LBB336_1808:
	s_or_b64 exec, exec, s[18:19]
.LBB336_1809:
	s_or_b64 exec, exec, s[6:7]
	global_store_byte v[2:3], v6, off
.LBB336_1810:
	s_mov_b64 s[6:7], -1
.LBB336_1811:
	s_mov_b64 s[8:9], 0
.LBB336_1812:
	s_and_b64 vcc, exec, s[8:9]
	s_cbranch_vccz .LBB336_1852
; %bb.1813:
	s_cmp_gt_i32 s20, 22
	s_mov_b64 s[2:3], -1
	s_cbranch_scc0 .LBB336_1845
; %bb.1814:
	s_cmp_lt_i32 s20, 24
	s_cbranch_scc1 .LBB336_1834
; %bb.1815:
	s_cmp_gt_i32 s20, 24
	s_cbranch_scc0 .LBB336_1823
; %bb.1816:
	v_cvt_f32_f16_e32 v1, v4
	s_mov_b32 s2, 0x47800000
	v_mov_b32_e32 v6, 0x80
	v_and_b32_e32 v5, 0x7fffffff, v1
	v_cmp_gt_u32_e32 vcc, s2, v5
	s_and_saveexec_b64 s[2:3], vcc
	s_cbranch_execz .LBB336_1822
; %bb.1817:
	s_mov_b32 s6, 0x37ffffff
	v_cmp_lt_u32_e32 vcc, s6, v5
	s_mov_b64 s[6:7], 0
                                        ; implicit-def: $vgpr5
	s_and_saveexec_b64 s[8:9], vcc
	s_xor_b64 s[8:9], exec, s[8:9]
	s_cbranch_execz .LBB336_2033
; %bb.1818:
	v_bfe_u32 v5, v1, 21, 1
	s_mov_b32 s18, 0x88fffff
	v_add3_u32 v5, v1, v5, s18
	s_mov_b64 s[6:7], exec
	v_lshrrev_b32_e32 v5, 21, v5
	s_andn2_saveexec_b64 s[8:9], s[8:9]
	s_cbranch_execnz .LBB336_2034
.LBB336_1819:
	s_or_b64 exec, exec, s[8:9]
	v_mov_b32_e32 v6, 0
	s_and_saveexec_b64 s[8:9], s[6:7]
.LBB336_1820:
	v_lshrrev_b32_e32 v1, 24, v1
	s_movk_i32 s6, 0x80
	v_and_or_b32 v6, v1, s6, v5
.LBB336_1821:
	s_or_b64 exec, exec, s[8:9]
.LBB336_1822:
	s_or_b64 exec, exec, s[2:3]
	s_mov_b64 s[2:3], 0
	global_store_byte v[2:3], v6, off
.LBB336_1823:
	s_and_b64 vcc, exec, s[2:3]
	s_cbranch_vccz .LBB336_1833
; %bb.1824:
	v_cvt_f32_f16_e32 v1, v4
	s_mov_b32 s2, 0x43f00000
                                        ; implicit-def: $vgpr5
	v_and_b32_e32 v6, 0x7fffffff, v1
	v_cmp_gt_u32_e32 vcc, s2, v6
	s_and_saveexec_b64 s[2:3], vcc
	s_xor_b64 s[2:3], exec, s[2:3]
	s_cbranch_execz .LBB336_1830
; %bb.1825:
	s_mov_b32 s6, 0x3c7fffff
	v_cmp_lt_u32_e32 vcc, s6, v6
                                        ; implicit-def: $vgpr5
	s_and_saveexec_b64 s[6:7], vcc
	s_xor_b64 s[6:7], exec, s[6:7]
; %bb.1826:
	v_bfe_u32 v5, v1, 20, 1
	s_mov_b32 s8, 0x407ffff
	v_add3_u32 v5, v1, v5, s8
	v_lshrrev_b32_e32 v6, 20, v5
	v_and_b32_e32 v5, 0xff00000, v5
	s_mov_b32 s8, 0x7f00000
	v_mov_b32_e32 v7, 0x7e
	v_cmp_ne_u32_e32 vcc, s8, v5
	s_nop 1
	v_cndmask_b32_e32 v5, v7, v6, vcc
; %bb.1827:
	s_andn2_saveexec_b64 s[6:7], s[6:7]
; %bb.1828:
	s_mov_b32 s8, 0x46800000
	v_add_f32_e64 v5, |v1|, s8
; %bb.1829:
	s_or_b64 exec, exec, s[6:7]
                                        ; implicit-def: $vgpr6
.LBB336_1830:
	s_andn2_saveexec_b64 s[2:3], s[2:3]
; %bb.1831:
	s_mov_b32 s6, 0x7f800000
	v_mov_b32_e32 v5, 0x7e
	v_mov_b32_e32 v7, 0x7f
	v_cmp_lt_u32_e32 vcc, s6, v6
	s_nop 1
	v_cndmask_b32_e32 v5, v5, v7, vcc
; %bb.1832:
	s_or_b64 exec, exec, s[2:3]
	v_lshrrev_b32_e32 v1, 24, v1
	s_movk_i32 s2, 0x80
	v_and_or_b32 v1, v1, s2, v5
	global_store_byte v[2:3], v1, off
.LBB336_1833:
	s_mov_b64 s[2:3], 0
.LBB336_1834:
	s_andn2_b64 vcc, exec, s[2:3]
	s_cbranch_vccnz .LBB336_1844
; %bb.1835:
	v_cvt_f32_f16_e32 v1, v4
	s_mov_b32 s2, 0x47800000
                                        ; implicit-def: $vgpr5
	v_and_b32_e32 v6, 0x7fffffff, v1
	v_cmp_gt_u32_e32 vcc, s2, v6
	s_and_saveexec_b64 s[2:3], vcc
	s_xor_b64 s[2:3], exec, s[2:3]
	s_cbranch_execz .LBB336_1841
; %bb.1836:
	s_mov_b32 s6, 0x387fffff
	v_cmp_lt_u32_e32 vcc, s6, v6
                                        ; implicit-def: $vgpr5
	s_and_saveexec_b64 s[6:7], vcc
	s_xor_b64 s[6:7], exec, s[6:7]
; %bb.1837:
	v_bfe_u32 v5, v1, 21, 1
	s_mov_b32 s8, 0x80fffff
	v_add3_u32 v5, v1, v5, s8
	v_lshrrev_b32_e32 v5, 21, v5
; %bb.1838:
	s_andn2_saveexec_b64 s[6:7], s[6:7]
; %bb.1839:
	s_mov_b32 s8, 0x43000000
	v_add_f32_e64 v5, |v1|, s8
; %bb.1840:
	s_or_b64 exec, exec, s[6:7]
                                        ; implicit-def: $vgpr6
.LBB336_1841:
	s_andn2_saveexec_b64 s[2:3], s[2:3]
; %bb.1842:
	s_mov_b32 s6, 0x7f800000
	v_mov_b32_e32 v5, 0x7c
	v_mov_b32_e32 v7, 0x7f
	v_cmp_lt_u32_e32 vcc, s6, v6
	s_nop 1
	v_cndmask_b32_e32 v5, v5, v7, vcc
; %bb.1843:
	s_or_b64 exec, exec, s[2:3]
	v_lshrrev_b32_e32 v1, 24, v1
	s_movk_i32 s2, 0x80
	v_and_or_b32 v1, v1, s2, v5
	global_store_byte v[2:3], v1, off
.LBB336_1844:
	s_mov_b64 s[2:3], 0
	s_mov_b64 s[6:7], -1
.LBB336_1845:
	s_andn2_b64 vcc, exec, s[2:3]
	s_mov_b64 s[2:3], 0
	s_cbranch_vccnz .LBB336_1852
; %bb.1846:
	s_cmp_gt_i32 s20, 14
	s_mov_b64 s[8:9], -1
	s_cbranch_scc0 .LBB336_1850
; %bb.1847:
	s_cmp_eq_u32 s20, 15
	s_mov_b64 s[0:1], -1
	s_cbranch_scc0 .LBB336_1849
; %bb.1848:
	v_cvt_f32_f16_e32 v1, v4
	s_movk_i32 s0, 0x7fff
	v_cmp_o_f16_e32 vcc, v4, v4
	v_mov_b32_e32 v5, 0x7fc0
	v_bfe_u32 v6, v1, 16, 1
	v_add3_u32 v1, v1, v6, s0
	v_cndmask_b32_sdwa v1, v5, v1, vcc dst_sel:DWORD dst_unused:UNUSED_PAD src0_sel:DWORD src1_sel:WORD_1
	global_store_short v[2:3], v1, off
	s_mov_b64 s[0:1], 0
	s_mov_b64 s[6:7], -1
.LBB336_1849:
	s_mov_b64 s[8:9], 0
.LBB336_1850:
	s_and_b64 vcc, exec, s[8:9]
	s_cbranch_vccz .LBB336_1852
; %bb.1851:
	s_cmp_lg_u32 s20, 11
	s_mov_b64 s[2:3], -1
	s_cselect_b64 s[0:1], -1, 0
.LBB336_1852:
	s_and_b64 vcc, exec, s[0:1]
	s_cbranch_vccnz .LBB336_2032
; %bb.1853:
	s_andn2_b64 vcc, exec, s[2:3]
	s_cbranch_vccnz .LBB336_1855
.LBB336_1854:
	v_and_b32_e32 v1, 0x7fff, v4
	v_cmp_ne_u16_e32 vcc, 0, v1
	s_mov_b64 s[6:7], -1
	s_nop 0
	v_cndmask_b32_e64 v1, 0, 1, vcc
	global_store_byte v[2:3], v1, off
.LBB336_1855:
	s_mov_b64 s[0:1], 0
	s_branch .LBB336_1857
.LBB336_1856:
	s_mov_b64 s[0:1], -1
	s_mov_b64 s[6:7], 0
.LBB336_1857:
	s_and_b64 vcc, exec, s[0:1]
	s_cbranch_vccz .LBB336_1896
; %bb.1858:
	s_and_b32 s2, 0xffff, s22
	s_cmp_lt_i32 s2, 5
	s_mov_b64 s[0:1], -1
	s_cbranch_scc1 .LBB336_1879
; %bb.1859:
	s_cmp_lt_i32 s2, 8
	s_cbranch_scc1 .LBB336_1869
; %bb.1860:
	s_cmp_lt_i32 s2, 9
	s_cbranch_scc1 .LBB336_1866
; %bb.1861:
	s_cmp_gt_i32 s2, 9
	s_cbranch_scc0 .LBB336_1863
; %bb.1862:
	v_cvt_f32_f16_e32 v1, v4
	v_mov_b32_e32 v12, 0
	v_mov_b32_e32 v13, v12
	s_mov_b64 s[0:1], 0
	v_cvt_f64_f32_e32 v[10:11], v1
	global_store_dwordx4 v[2:3], v[10:13], off
.LBB336_1863:
	s_andn2_b64 vcc, exec, s[0:1]
	s_cbranch_vccnz .LBB336_1865
; %bb.1864:
	v_cvt_f32_f16_e32 v6, v4
	v_mov_b32_e32 v7, 0
	global_store_dwordx2 v[2:3], v[6:7], off
.LBB336_1865:
	s_mov_b64 s[0:1], 0
.LBB336_1866:
	s_andn2_b64 vcc, exec, s[0:1]
	s_cbranch_vccnz .LBB336_1868
; %bb.1867:
	v_and_b32_e32 v1, 0xffff, v4
	global_store_dword v[2:3], v1, off
.LBB336_1868:
	s_mov_b64 s[0:1], 0
.LBB336_1869:
	s_andn2_b64 vcc, exec, s[0:1]
	s_cbranch_vccnz .LBB336_1878
; %bb.1870:
	s_cmp_lt_i32 s2, 6
	s_mov_b64 s[0:1], -1
	s_cbranch_scc1 .LBB336_1876
; %bb.1871:
	s_cmp_gt_i32 s2, 6
	s_cbranch_scc0 .LBB336_1873
; %bb.1872:
	v_cvt_f32_f16_e32 v1, v4
	s_mov_b64 s[0:1], 0
	v_cvt_f64_f32_e32 v[6:7], v1
	global_store_dwordx2 v[2:3], v[6:7], off
.LBB336_1873:
	s_andn2_b64 vcc, exec, s[0:1]
	s_cbranch_vccnz .LBB336_1875
; %bb.1874:
	v_cvt_f32_f16_e32 v1, v4
	global_store_dword v[2:3], v1, off
.LBB336_1875:
	s_mov_b64 s[0:1], 0
.LBB336_1876:
	s_andn2_b64 vcc, exec, s[0:1]
	s_cbranch_vccnz .LBB336_1878
; %bb.1877:
	global_store_short v[2:3], v4, off
.LBB336_1878:
	s_mov_b64 s[0:1], 0
.LBB336_1879:
	s_andn2_b64 vcc, exec, s[0:1]
	s_cbranch_vccnz .LBB336_1895
; %bb.1880:
	s_cmp_lt_i32 s2, 2
	s_mov_b64 s[0:1], -1
	s_cbranch_scc1 .LBB336_1890
; %bb.1881:
	s_cmp_lt_i32 s2, 3
	s_cbranch_scc1 .LBB336_1887
; %bb.1882:
	s_cmp_gt_i32 s2, 3
	s_cbranch_scc0 .LBB336_1884
; %bb.1883:
	v_cvt_f32_f16_e32 v1, v4
	s_mov_b64 s[0:1], 0
	v_cvt_i32_f32_e32 v6, v1
	v_ashrrev_i32_e32 v7, 31, v6
	global_store_dwordx2 v[2:3], v[6:7], off
.LBB336_1884:
	s_andn2_b64 vcc, exec, s[0:1]
	s_cbranch_vccnz .LBB336_1886
; %bb.1885:
	v_cvt_f32_f16_e32 v1, v4
	v_cvt_i32_f32_e32 v1, v1
	global_store_dword v[2:3], v1, off
.LBB336_1886:
	s_mov_b64 s[0:1], 0
.LBB336_1887:
	s_andn2_b64 vcc, exec, s[0:1]
	s_cbranch_vccnz .LBB336_1889
; %bb.1888:
	v_cvt_i16_f16_e32 v1, v4
	global_store_short v[2:3], v1, off
.LBB336_1889:
	s_mov_b64 s[0:1], 0
.LBB336_1890:
	s_andn2_b64 vcc, exec, s[0:1]
	s_cbranch_vccnz .LBB336_1895
; %bb.1891:
	s_cmp_gt_i32 s2, 0
	s_mov_b64 s[0:1], -1
	s_cbranch_scc0 .LBB336_1893
; %bb.1892:
	v_cvt_i16_f16_e32 v1, v4
	global_store_byte v[2:3], v1, off
	s_mov_b64 s[0:1], 0
.LBB336_1893:
	s_andn2_b64 vcc, exec, s[0:1]
	s_cbranch_vccnz .LBB336_1895
; %bb.1894:
	v_cvt_f32_f16_e32 v1, v4
	v_cvt_i32_f32_e32 v1, v1
	global_store_byte v[2:3], v1, off
.LBB336_1895:
	s_mov_b64 s[6:7], -1
.LBB336_1896:
	s_andn2_b64 vcc, exec, s[6:7]
	s_cbranch_vccnz .LBB336_1973
; %bb.1897:
	v_mov_b32_e32 v1, s10
	v_cmp_lt_f16_e32 vcc, s10, v8
	v_mov_b32_e32 v2, s33
	v_add_u32_e32 v0, s11, v0
	v_cndmask_b32_e32 v1, v1, v8, vcc
	v_cmp_gt_f16_e32 vcc, s33, v1
	s_cmp_lt_i32 s22, 11
	s_nop 0
	v_cndmask_b32_e32 v1, v2, v1, vcc
	v_cmp_u_f16_e32 vcc, v8, v8
	s_nop 1
	v_cndmask_b32_e32 v2, v1, v8, vcc
	v_ashrrev_i32_e32 v1, 31, v0
	v_lshl_add_u64 v[0:1], s[4:5], 0, v[0:1]
	s_cbranch_scc1 .LBB336_2018
; %bb.1898:
	s_and_b32 s10, 0xffff, s22
	s_mov_b64 s[4:5], -1
	s_mov_b64 s[2:3], 0
	s_cmp_gt_i32 s10, 25
	s_mov_b64 s[0:1], 0
	s_cbranch_scc0 .LBB336_1931
; %bb.1899:
	s_cmp_gt_i32 s10, 28
	s_cbranch_scc0 .LBB336_1915
; %bb.1900:
	s_cmp_gt_i32 s10, 43
	;; [unrolled: 3-line block ×3, first 2 shown]
	s_cbranch_scc0 .LBB336_1905
; %bb.1902:
	s_cmp_eq_u32 s10, 46
	s_mov_b64 s[0:1], -1
	s_cbranch_scc0 .LBB336_1904
; %bb.1903:
	v_cvt_f32_f16_e32 v3, v2
	s_movk_i32 s0, 0x7fff
	v_cmp_o_f16_e32 vcc, v2, v2
	v_mov_b32_e32 v4, 0x7fc0
	v_bfe_u32 v5, v3, 16, 1
	v_add3_u32 v3, v3, v5, s0
	v_cndmask_b32_sdwa v3, v4, v3, vcc dst_sel:DWORD dst_unused:UNUSED_PAD src0_sel:DWORD src1_sel:WORD_1
	global_store_dword v[0:1], v3, off
	s_mov_b64 s[0:1], 0
.LBB336_1904:
	s_mov_b64 s[4:5], 0
.LBB336_1905:
	s_and_b64 vcc, exec, s[4:5]
	s_cbranch_vccz .LBB336_1910
; %bb.1906:
	s_cmp_eq_u32 s10, 44
	s_mov_b64 s[0:1], -1
	s_cbranch_scc0 .LBB336_1910
; %bb.1907:
	v_cvt_f32_f16_e32 v3, v2
	s_movk_i32 s0, 0xff
	v_mov_b32_e32 v5, 0xff
	v_bfe_u32 v4, v3, 23, 8
	v_cmp_ne_u32_e32 vcc, s0, v4
	s_and_saveexec_b64 s[4:5], vcc
; %bb.1908:
	s_mov_b32 s0, 0x3fffff
	v_lshrrev_b32_e32 v5, 23, v3
	v_and_b32_e32 v6, 0x400000, v3
	v_and_or_b32 v3, v3, s0, v4
	v_cmp_ne_u32_e32 vcc, 0, v6
	v_cmp_ne_u32_e64 s[0:1], 0, v3
	s_and_b64 s[0:1], vcc, s[0:1]
	s_nop 0
	v_cndmask_b32_e64 v3, 0, 1, s[0:1]
	v_add_u32_e32 v5, v5, v3
; %bb.1909:
	s_or_b64 exec, exec, s[4:5]
	s_mov_b64 s[0:1], 0
	global_store_byte v[0:1], v5, off
.LBB336_1910:
	s_mov_b64 s[4:5], 0
.LBB336_1911:
	s_and_b64 vcc, exec, s[4:5]
	s_cbranch_vccz .LBB336_1914
; %bb.1912:
	s_cmp_eq_u32 s10, 29
	s_mov_b64 s[0:1], -1
	s_cbranch_scc0 .LBB336_1914
; %bb.1913:
	v_cvt_f32_f16_e32 v3, v2
	v_mov_b32_e32 v5, 0
	s_mov_b64 s[0:1], 0
	v_cvt_u32_f32_e32 v4, v3
	global_store_dwordx2 v[0:1], v[4:5], off
.LBB336_1914:
	s_mov_b64 s[4:5], 0
.LBB336_1915:
	s_and_b64 vcc, exec, s[4:5]
	s_cbranch_vccz .LBB336_1930
; %bb.1916:
	s_cmp_lt_i32 s10, 27
	s_mov_b64 s[4:5], -1
	s_cbranch_scc1 .LBB336_1922
; %bb.1917:
	s_cmp_gt_i32 s10, 27
	s_cbranch_scc0 .LBB336_1919
; %bb.1918:
	v_cvt_f32_f16_e32 v3, v2
	s_mov_b64 s[4:5], 0
	v_cvt_u32_f32_e32 v3, v3
	global_store_dword v[0:1], v3, off
.LBB336_1919:
	s_andn2_b64 vcc, exec, s[4:5]
	s_cbranch_vccnz .LBB336_1921
; %bb.1920:
	v_cvt_u16_f16_e32 v3, v2
	global_store_short v[0:1], v3, off
.LBB336_1921:
	s_mov_b64 s[4:5], 0
.LBB336_1922:
	s_andn2_b64 vcc, exec, s[4:5]
	s_cbranch_vccnz .LBB336_1930
; %bb.1923:
	v_cvt_f32_f16_e32 v3, v2
	s_mov_b32 s4, 0x43800000
	v_mov_b32_e32 v5, 0x80
	v_and_b32_e32 v4, 0x7fffffff, v3
	v_cmp_gt_u32_e32 vcc, s4, v4
	s_and_saveexec_b64 s[4:5], vcc
	s_cbranch_execz .LBB336_1929
; %bb.1924:
	s_mov_b32 s6, 0x3bffffff
	v_cmp_lt_u32_e32 vcc, s6, v4
	s_mov_b64 s[6:7], 0
                                        ; implicit-def: $vgpr4
	s_and_saveexec_b64 s[8:9], vcc
	s_xor_b64 s[8:9], exec, s[8:9]
	s_cbranch_execz .LBB336_2035
; %bb.1925:
	v_bfe_u32 v4, v3, 20, 1
	s_mov_b32 s11, 0x487ffff
	v_add3_u32 v4, v3, v4, s11
	s_mov_b64 s[6:7], exec
	v_lshrrev_b32_e32 v4, 20, v4
	s_andn2_saveexec_b64 s[8:9], s[8:9]
	s_cbranch_execnz .LBB336_2036
.LBB336_1926:
	s_or_b64 exec, exec, s[8:9]
	v_mov_b32_e32 v5, 0
	s_and_saveexec_b64 s[8:9], s[6:7]
.LBB336_1927:
	v_lshrrev_b32_e32 v3, 24, v3
	s_movk_i32 s6, 0x80
	v_and_or_b32 v5, v3, s6, v4
.LBB336_1928:
	s_or_b64 exec, exec, s[8:9]
.LBB336_1929:
	s_or_b64 exec, exec, s[4:5]
	global_store_byte v[0:1], v5, off
.LBB336_1930:
	s_mov_b64 s[4:5], 0
.LBB336_1931:
	s_and_b64 vcc, exec, s[4:5]
	s_cbranch_vccz .LBB336_1971
; %bb.1932:
	s_cmp_gt_i32 s10, 22
	s_mov_b64 s[2:3], -1
	s_cbranch_scc0 .LBB336_1964
; %bb.1933:
	s_cmp_lt_i32 s10, 24
	s_cbranch_scc1 .LBB336_1953
; %bb.1934:
	s_cmp_gt_i32 s10, 24
	s_cbranch_scc0 .LBB336_1942
; %bb.1935:
	v_cvt_f32_f16_e32 v3, v2
	s_mov_b32 s2, 0x47800000
	v_mov_b32_e32 v5, 0x80
	v_and_b32_e32 v4, 0x7fffffff, v3
	v_cmp_gt_u32_e32 vcc, s2, v4
	s_and_saveexec_b64 s[2:3], vcc
	s_cbranch_execz .LBB336_1941
; %bb.1936:
	s_mov_b32 s4, 0x37ffffff
	v_cmp_lt_u32_e32 vcc, s4, v4
	s_mov_b64 s[4:5], 0
                                        ; implicit-def: $vgpr4
	s_and_saveexec_b64 s[6:7], vcc
	s_xor_b64 s[6:7], exec, s[6:7]
	s_cbranch_execz .LBB336_2038
; %bb.1937:
	v_bfe_u32 v4, v3, 21, 1
	s_mov_b32 s8, 0x88fffff
	v_add3_u32 v4, v3, v4, s8
	s_mov_b64 s[4:5], exec
	v_lshrrev_b32_e32 v4, 21, v4
	s_andn2_saveexec_b64 s[6:7], s[6:7]
	s_cbranch_execnz .LBB336_2039
.LBB336_1938:
	s_or_b64 exec, exec, s[6:7]
	v_mov_b32_e32 v5, 0
	s_and_saveexec_b64 s[6:7], s[4:5]
.LBB336_1939:
	v_lshrrev_b32_e32 v3, 24, v3
	s_movk_i32 s4, 0x80
	v_and_or_b32 v5, v3, s4, v4
.LBB336_1940:
	s_or_b64 exec, exec, s[6:7]
.LBB336_1941:
	s_or_b64 exec, exec, s[2:3]
	s_mov_b64 s[2:3], 0
	global_store_byte v[0:1], v5, off
.LBB336_1942:
	s_and_b64 vcc, exec, s[2:3]
	s_cbranch_vccz .LBB336_1952
; %bb.1943:
	v_cvt_f32_f16_e32 v3, v2
	s_mov_b32 s2, 0x43f00000
                                        ; implicit-def: $vgpr4
	v_and_b32_e32 v5, 0x7fffffff, v3
	v_cmp_gt_u32_e32 vcc, s2, v5
	s_and_saveexec_b64 s[2:3], vcc
	s_xor_b64 s[2:3], exec, s[2:3]
	s_cbranch_execz .LBB336_1949
; %bb.1944:
	s_mov_b32 s4, 0x3c7fffff
	v_cmp_lt_u32_e32 vcc, s4, v5
                                        ; implicit-def: $vgpr4
	s_and_saveexec_b64 s[4:5], vcc
	s_xor_b64 s[4:5], exec, s[4:5]
; %bb.1945:
	v_bfe_u32 v4, v3, 20, 1
	s_mov_b32 s6, 0x407ffff
	v_add3_u32 v4, v3, v4, s6
	v_lshrrev_b32_e32 v5, 20, v4
	v_and_b32_e32 v4, 0xff00000, v4
	s_mov_b32 s6, 0x7f00000
	v_mov_b32_e32 v6, 0x7e
	v_cmp_ne_u32_e32 vcc, s6, v4
	s_nop 1
	v_cndmask_b32_e32 v4, v6, v5, vcc
; %bb.1946:
	s_andn2_saveexec_b64 s[4:5], s[4:5]
; %bb.1947:
	s_mov_b32 s6, 0x46800000
	v_add_f32_e64 v4, |v3|, s6
; %bb.1948:
	s_or_b64 exec, exec, s[4:5]
                                        ; implicit-def: $vgpr5
.LBB336_1949:
	s_andn2_saveexec_b64 s[2:3], s[2:3]
; %bb.1950:
	s_mov_b32 s4, 0x7f800000
	v_mov_b32_e32 v4, 0x7e
	v_mov_b32_e32 v6, 0x7f
	v_cmp_lt_u32_e32 vcc, s4, v5
	s_nop 1
	v_cndmask_b32_e32 v4, v4, v6, vcc
; %bb.1951:
	s_or_b64 exec, exec, s[2:3]
	v_lshrrev_b32_e32 v3, 24, v3
	s_movk_i32 s2, 0x80
	v_and_or_b32 v3, v3, s2, v4
	global_store_byte v[0:1], v3, off
.LBB336_1952:
	s_mov_b64 s[2:3], 0
.LBB336_1953:
	s_andn2_b64 vcc, exec, s[2:3]
	s_cbranch_vccnz .LBB336_1963
; %bb.1954:
	v_cvt_f32_f16_e32 v3, v2
	s_mov_b32 s2, 0x47800000
                                        ; implicit-def: $vgpr4
	v_and_b32_e32 v5, 0x7fffffff, v3
	v_cmp_gt_u32_e32 vcc, s2, v5
	s_and_saveexec_b64 s[2:3], vcc
	s_xor_b64 s[2:3], exec, s[2:3]
	s_cbranch_execz .LBB336_1960
; %bb.1955:
	s_mov_b32 s4, 0x387fffff
	v_cmp_lt_u32_e32 vcc, s4, v5
                                        ; implicit-def: $vgpr4
	s_and_saveexec_b64 s[4:5], vcc
	s_xor_b64 s[4:5], exec, s[4:5]
; %bb.1956:
	v_bfe_u32 v4, v3, 21, 1
	s_mov_b32 s6, 0x80fffff
	v_add3_u32 v4, v3, v4, s6
	v_lshrrev_b32_e32 v4, 21, v4
; %bb.1957:
	s_andn2_saveexec_b64 s[4:5], s[4:5]
; %bb.1958:
	s_mov_b32 s6, 0x43000000
	v_add_f32_e64 v4, |v3|, s6
; %bb.1959:
	s_or_b64 exec, exec, s[4:5]
                                        ; implicit-def: $vgpr5
.LBB336_1960:
	s_andn2_saveexec_b64 s[2:3], s[2:3]
; %bb.1961:
	s_mov_b32 s4, 0x7f800000
	v_mov_b32_e32 v4, 0x7c
	v_mov_b32_e32 v6, 0x7f
	v_cmp_lt_u32_e32 vcc, s4, v5
	s_nop 1
	v_cndmask_b32_e32 v4, v4, v6, vcc
; %bb.1962:
	s_or_b64 exec, exec, s[2:3]
	v_lshrrev_b32_e32 v3, 24, v3
	s_movk_i32 s2, 0x80
	v_and_or_b32 v3, v3, s2, v4
	global_store_byte v[0:1], v3, off
.LBB336_1963:
	s_mov_b64 s[2:3], 0
.LBB336_1964:
	s_andn2_b64 vcc, exec, s[2:3]
	s_mov_b64 s[2:3], 0
	s_cbranch_vccnz .LBB336_1971
; %bb.1965:
	s_cmp_gt_i32 s10, 14
	s_mov_b64 s[4:5], -1
	s_cbranch_scc0 .LBB336_1969
; %bb.1966:
	s_cmp_eq_u32 s10, 15
	s_mov_b64 s[0:1], -1
	s_cbranch_scc0 .LBB336_1968
; %bb.1967:
	v_cvt_f32_f16_e32 v3, v2
	s_movk_i32 s0, 0x7fff
	v_cmp_o_f16_e32 vcc, v2, v2
	v_mov_b32_e32 v4, 0x7fc0
	v_bfe_u32 v5, v3, 16, 1
	v_add3_u32 v3, v3, v5, s0
	v_cndmask_b32_sdwa v3, v4, v3, vcc dst_sel:DWORD dst_unused:UNUSED_PAD src0_sel:DWORD src1_sel:WORD_1
	global_store_short v[0:1], v3, off
	s_mov_b64 s[0:1], 0
.LBB336_1968:
	s_mov_b64 s[4:5], 0
.LBB336_1969:
	s_and_b64 vcc, exec, s[4:5]
	s_cbranch_vccz .LBB336_1971
; %bb.1970:
	s_cmp_lg_u32 s10, 11
	s_mov_b64 s[2:3], -1
	s_cselect_b64 s[0:1], -1, 0
.LBB336_1971:
	s_and_b64 vcc, exec, s[0:1]
	s_cbranch_vccnz .LBB336_2037
.LBB336_1972:
	s_mov_b64 s[0:1], 0
	s_branch .LBB336_1974
.LBB336_1973:
	s_mov_b64 s[0:1], 0
	s_mov_b64 s[2:3], 0
                                        ; implicit-def: $sgpr22
                                        ; implicit-def: $vgpr0_vgpr1
                                        ; implicit-def: $vgpr2
.LBB336_1974:
	s_andn2_b64 s[4:5], s[14:15], exec
	s_and_b64 s[6:7], s[16:17], exec
	s_and_b64 s[0:1], s[0:1], exec
	;; [unrolled: 1-line block ×3, first 2 shown]
	s_or_b64 s[14:15], s[4:5], s[6:7]
.LBB336_1975:
	s_or_b64 exec, exec, s[12:13]
	s_and_saveexec_b64 s[4:5], s[14:15]
	s_cbranch_execz .LBB336_1978
; %bb.1976:
	; divergent unreachable
	s_or_b64 exec, exec, s[4:5]
	s_and_saveexec_b64 s[4:5], s[2:3]
	s_xor_b64 s[2:3], exec, s[4:5]
	s_cbranch_execnz .LBB336_1979
.LBB336_1977:
	s_or_b64 exec, exec, s[2:3]
	s_and_saveexec_b64 s[2:3], s[0:1]
	s_cbranch_execnz .LBB336_1980
	s_branch .LBB336_2017
.LBB336_1978:
	s_or_b64 exec, exec, s[4:5]
	s_and_saveexec_b64 s[4:5], s[2:3]
	s_xor_b64 s[2:3], exec, s[4:5]
	s_cbranch_execz .LBB336_1977
.LBB336_1979:
	s_waitcnt vmcnt(0)
	v_and_b32_e32 v3, 0x7fff, v2
	v_cmp_ne_u16_e32 vcc, 0, v3
	s_nop 1
	v_cndmask_b32_e64 v3, 0, 1, vcc
	global_store_byte v[0:1], v3, off
	s_or_b64 exec, exec, s[2:3]
	s_and_saveexec_b64 s[2:3], s[0:1]
	s_cbranch_execz .LBB336_2017
.LBB336_1980:
	s_sext_i32_i16 s2, s22
	s_cmp_lt_i32 s2, 5
	s_mov_b64 s[0:1], -1
	s_cbranch_scc1 .LBB336_2001
; %bb.1981:
	s_cmp_lt_i32 s2, 8
	s_cbranch_scc1 .LBB336_1991
; %bb.1982:
	s_cmp_lt_i32 s2, 9
	s_cbranch_scc1 .LBB336_1988
; %bb.1983:
	s_cmp_gt_i32 s2, 9
	s_cbranch_scc0 .LBB336_1985
; %bb.1984:
	s_waitcnt vmcnt(0)
	v_cvt_f32_f16_e32 v3, v2
	v_mov_b32_e32 v6, 0
	v_mov_b32_e32 v7, v6
	s_mov_b64 s[0:1], 0
	v_cvt_f64_f32_e32 v[4:5], v3
	global_store_dwordx4 v[0:1], v[4:7], off
.LBB336_1985:
	s_andn2_b64 vcc, exec, s[0:1]
	s_cbranch_vccnz .LBB336_1987
; %bb.1986:
	s_waitcnt vmcnt(0)
	v_cvt_f32_f16_e32 v4, v2
	v_mov_b32_e32 v5, 0
	global_store_dwordx2 v[0:1], v[4:5], off
.LBB336_1987:
	s_mov_b64 s[0:1], 0
.LBB336_1988:
	s_andn2_b64 vcc, exec, s[0:1]
	s_cbranch_vccnz .LBB336_1990
; %bb.1989:
	s_waitcnt vmcnt(0)
	v_and_b32_e32 v3, 0xffff, v2
	global_store_dword v[0:1], v3, off
.LBB336_1990:
	s_mov_b64 s[0:1], 0
.LBB336_1991:
	s_andn2_b64 vcc, exec, s[0:1]
	s_cbranch_vccnz .LBB336_2000
; %bb.1992:
	s_sext_i32_i16 s2, s22
	s_cmp_lt_i32 s2, 6
	s_mov_b64 s[0:1], -1
	s_cbranch_scc1 .LBB336_1998
; %bb.1993:
	s_cmp_gt_i32 s2, 6
	s_cbranch_scc0 .LBB336_1995
; %bb.1994:
	s_waitcnt vmcnt(0)
	v_cvt_f32_f16_e32 v3, v2
	s_mov_b64 s[0:1], 0
	v_cvt_f64_f32_e32 v[4:5], v3
	global_store_dwordx2 v[0:1], v[4:5], off
.LBB336_1995:
	s_andn2_b64 vcc, exec, s[0:1]
	s_cbranch_vccnz .LBB336_1997
; %bb.1996:
	s_waitcnt vmcnt(0)
	v_cvt_f32_f16_e32 v3, v2
	global_store_dword v[0:1], v3, off
.LBB336_1997:
	s_mov_b64 s[0:1], 0
.LBB336_1998:
	s_andn2_b64 vcc, exec, s[0:1]
	s_cbranch_vccnz .LBB336_2000
; %bb.1999:
	s_waitcnt vmcnt(0)
	global_store_short v[0:1], v2, off
.LBB336_2000:
	s_mov_b64 s[0:1], 0
.LBB336_2001:
	s_andn2_b64 vcc, exec, s[0:1]
	s_cbranch_vccnz .LBB336_2017
; %bb.2002:
	s_sext_i32_i16 s2, s22
	s_cmp_lt_i32 s2, 2
	s_mov_b64 s[0:1], -1
	s_cbranch_scc1 .LBB336_2012
; %bb.2003:
	s_cmp_lt_i32 s2, 3
	s_cbranch_scc1 .LBB336_2009
; %bb.2004:
	s_cmp_gt_i32 s2, 3
	s_cbranch_scc0 .LBB336_2006
; %bb.2005:
	s_waitcnt vmcnt(0)
	v_cvt_f32_f16_e32 v3, v2
	s_mov_b64 s[0:1], 0
	v_cvt_i32_f32_e32 v4, v3
	v_ashrrev_i32_e32 v5, 31, v4
	global_store_dwordx2 v[0:1], v[4:5], off
.LBB336_2006:
	s_andn2_b64 vcc, exec, s[0:1]
	s_cbranch_vccnz .LBB336_2008
; %bb.2007:
	s_waitcnt vmcnt(0)
	v_cvt_f32_f16_e32 v3, v2
	v_cvt_i32_f32_e32 v3, v3
	global_store_dword v[0:1], v3, off
.LBB336_2008:
	s_mov_b64 s[0:1], 0
.LBB336_2009:
	s_andn2_b64 vcc, exec, s[0:1]
	s_cbranch_vccnz .LBB336_2011
; %bb.2010:
	s_waitcnt vmcnt(0)
	v_cvt_i16_f16_e32 v3, v2
	global_store_short v[0:1], v3, off
.LBB336_2011:
	s_mov_b64 s[0:1], 0
.LBB336_2012:
	s_andn2_b64 vcc, exec, s[0:1]
	s_cbranch_vccnz .LBB336_2017
; %bb.2013:
	s_sext_i32_i16 s0, s22
	s_cmp_gt_i32 s0, 0
	s_mov_b64 s[0:1], -1
	s_cbranch_scc0 .LBB336_2015
; %bb.2014:
	s_waitcnt vmcnt(0)
	v_cvt_i16_f16_e32 v3, v2
	global_store_byte v[0:1], v3, off
	s_mov_b64 s[0:1], 0
.LBB336_2015:
	s_andn2_b64 vcc, exec, s[0:1]
	s_cbranch_vccnz .LBB336_2017
; %bb.2016:
	s_waitcnt vmcnt(0)
	v_cvt_f32_f16_e32 v2, v2
	v_cvt_i32_f32_e32 v2, v2
	global_store_byte v[0:1], v2, off
	s_endpgm
.LBB336_2017:
	s_endpgm
.LBB336_2018:
	s_mov_b64 s[2:3], 0
	s_mov_b64 s[0:1], -1
	s_branch .LBB336_1974
.LBB336_2019:
	s_trap 2
	s_or_b64 s[16:17], s[16:17], exec
	s_cbranch_execz .LBB336_1488
	s_branch .LBB336_1489
.LBB336_2020:
	s_andn2_saveexec_b64 s[20:21], s[20:21]
	s_cbranch_execz .LBB336_1568
.LBB336_2021:
	s_mov_b32 s11, 0x46000000
	v_add_f32_e64 v4, |v1|, s11
	v_and_b32_e32 v4, 0xff, v4
	v_cmp_ne_u32_e32 vcc, 0, v4
	s_andn2_b64 s[18:19], s[18:19], exec
	s_and_b64 s[24:25], vcc, exec
	s_or_b64 s[18:19], s[18:19], s[24:25]
	s_or_b64 exec, exec, s[20:21]
	v_mov_b32_e32 v9, 0
	s_and_saveexec_b64 s[20:21], s[18:19]
	s_cbranch_execnz .LBB336_1569
	s_branch .LBB336_1570
.LBB336_2022:
	s_trap 2
	s_or_b64 s[16:17], s[16:17], exec
	s_cbranch_execz .LBB336_1616
	s_branch .LBB336_1617
.LBB336_2023:
	s_andn2_saveexec_b64 s[18:19], s[18:19]
	s_cbranch_execz .LBB336_1581
.LBB336_2024:
	s_mov_b32 s11, 0x42800000
	v_add_f32_e64 v4, |v1|, s11
	v_and_b32_e32 v4, 0xff, v4
	v_cmp_ne_u32_e32 vcc, 0, v4
	s_andn2_b64 s[6:7], s[6:7], exec
	s_and_b64 s[20:21], vcc, exec
	s_or_b64 s[6:7], s[6:7], s[20:21]
	s_or_b64 exec, exec, s[18:19]
	v_mov_b32_e32 v9, 0
	s_and_saveexec_b64 s[18:19], s[6:7]
	s_cbranch_execnz .LBB336_1582
	s_branch .LBB336_1583
.LBB336_2025:
	s_andn2_saveexec_b64 s[18:19], s[18:19]
	s_cbranch_execz .LBB336_1687
.LBB336_2026:
	s_mov_b32 s21, 0x46000000
	v_add_f32_e64 v5, |v1|, s21
	v_and_b32_e32 v5, 0xff, v5
	v_cmp_ne_u32_e32 vcc, 0, v5
	s_andn2_b64 s[8:9], s[8:9], exec
	s_and_b64 s[24:25], vcc, exec
	s_or_b64 s[8:9], s[8:9], s[24:25]
	s_or_b64 exec, exec, s[18:19]
	v_mov_b32_e32 v6, 0
	s_and_saveexec_b64 s[18:19], s[8:9]
	s_cbranch_execnz .LBB336_1688
	s_branch .LBB336_1689
.LBB336_2027:
	s_trap 2
	s_or_b64 s[16:17], s[16:17], exec
	s_cbranch_execz .LBB336_1735
	s_branch .LBB336_1736
.LBB336_2028:
	s_andn2_saveexec_b64 s[8:9], s[8:9]
	s_cbranch_execz .LBB336_1700
.LBB336_2029:
	s_mov_b32 s18, 0x42800000
	v_add_f32_e64 v5, |v1|, s18
	v_and_b32_e32 v5, 0xff, v5
	v_cmp_ne_u32_e32 vcc, 0, v5
	s_andn2_b64 s[6:7], s[6:7], exec
	s_and_b64 s[18:19], vcc, exec
	s_or_b64 s[6:7], s[6:7], s[18:19]
	s_or_b64 exec, exec, s[8:9]
	v_mov_b32_e32 v6, 0
	s_and_saveexec_b64 s[8:9], s[6:7]
	s_cbranch_execnz .LBB336_1701
	s_branch .LBB336_1702
.LBB336_2030:
	s_andn2_saveexec_b64 s[18:19], s[18:19]
	s_cbranch_execz .LBB336_1806
.LBB336_2031:
	s_mov_b32 s21, 0x46000000
	v_add_f32_e64 v5, |v1|, s21
	v_and_b32_e32 v5, 0xff, v5
	v_cmp_ne_u32_e32 vcc, 0, v5
	s_andn2_b64 s[8:9], s[8:9], exec
	s_and_b64 s[24:25], vcc, exec
	s_or_b64 s[8:9], s[8:9], s[24:25]
	s_or_b64 exec, exec, s[18:19]
	v_mov_b32_e32 v6, 0
	s_and_saveexec_b64 s[18:19], s[8:9]
	s_cbranch_execnz .LBB336_1807
	s_branch .LBB336_1808
.LBB336_2032:
	s_trap 2
	s_or_b64 s[16:17], s[16:17], exec
	s_cbranch_execz .LBB336_1854
	s_branch .LBB336_1855
.LBB336_2033:
	s_andn2_saveexec_b64 s[8:9], s[8:9]
	s_cbranch_execz .LBB336_1819
.LBB336_2034:
	s_mov_b32 s18, 0x42800000
	v_add_f32_e64 v5, |v1|, s18
	v_and_b32_e32 v5, 0xff, v5
	v_cmp_ne_u32_e32 vcc, 0, v5
	s_andn2_b64 s[6:7], s[6:7], exec
	s_and_b64 s[18:19], vcc, exec
	s_or_b64 s[6:7], s[6:7], s[18:19]
	s_or_b64 exec, exec, s[8:9]
	v_mov_b32_e32 v6, 0
	s_and_saveexec_b64 s[8:9], s[6:7]
	s_cbranch_execnz .LBB336_1820
	s_branch .LBB336_1821
.LBB336_2035:
	s_andn2_saveexec_b64 s[8:9], s[8:9]
	s_cbranch_execz .LBB336_1926
.LBB336_2036:
	s_mov_b32 s11, 0x46000000
	v_add_f32_e64 v4, |v3|, s11
	v_and_b32_e32 v4, 0xff, v4
	v_cmp_ne_u32_e32 vcc, 0, v4
	s_andn2_b64 s[6:7], s[6:7], exec
	s_and_b64 s[18:19], vcc, exec
	s_or_b64 s[6:7], s[6:7], s[18:19]
	s_or_b64 exec, exec, s[8:9]
	v_mov_b32_e32 v5, 0
	s_and_saveexec_b64 s[8:9], s[6:7]
	s_cbranch_execnz .LBB336_1927
	s_branch .LBB336_1928
.LBB336_2037:
	s_mov_b64 s[2:3], 0
	s_or_b64 s[16:17], s[16:17], exec
	s_trap 2
	s_branch .LBB336_1972
.LBB336_2038:
	s_andn2_saveexec_b64 s[6:7], s[6:7]
	s_cbranch_execz .LBB336_1938
.LBB336_2039:
	s_mov_b32 s8, 0x42800000
	v_add_f32_e64 v4, |v3|, s8
	v_and_b32_e32 v4, 0xff, v4
	v_cmp_ne_u32_e32 vcc, 0, v4
	s_andn2_b64 s[4:5], s[4:5], exec
	s_and_b64 s[8:9], vcc, exec
	s_or_b64 s[4:5], s[4:5], s[8:9]
	s_or_b64 exec, exec, s[6:7]
	v_mov_b32_e32 v5, 0
	s_and_saveexec_b64 s[6:7], s[4:5]
	s_cbranch_execnz .LBB336_1939
	s_branch .LBB336_1940
	.section	.rodata,"a",@progbits
	.p2align	6, 0x0
	.amdhsa_kernel _ZN2at6native32elementwise_kernel_manual_unrollILi128ELi4EZNS0_15gpu_kernel_implIZZZNS0_17clamp_kernel_cudaERNS_18TensorIteratorBaseERKN3c106ScalarES8_ENKUlvE_clEvENKUlvE6_clEvEUlNS5_4HalfEE_EEvS4_RKT_EUlibE_EEviT1_
		.amdhsa_group_segment_fixed_size 0
		.amdhsa_private_segment_fixed_size 0
		.amdhsa_kernarg_size 40
		.amdhsa_user_sgpr_count 2
		.amdhsa_user_sgpr_dispatch_ptr 0
		.amdhsa_user_sgpr_queue_ptr 0
		.amdhsa_user_sgpr_kernarg_segment_ptr 1
		.amdhsa_user_sgpr_dispatch_id 0
		.amdhsa_user_sgpr_kernarg_preload_length 0
		.amdhsa_user_sgpr_kernarg_preload_offset 0
		.amdhsa_user_sgpr_private_segment_size 0
		.amdhsa_uses_dynamic_stack 0
		.amdhsa_enable_private_segment 0
		.amdhsa_system_sgpr_workgroup_id_x 1
		.amdhsa_system_sgpr_workgroup_id_y 0
		.amdhsa_system_sgpr_workgroup_id_z 0
		.amdhsa_system_sgpr_workgroup_info 0
		.amdhsa_system_vgpr_workitem_id 0
		.amdhsa_next_free_vgpr 14
		.amdhsa_next_free_sgpr 46
		.amdhsa_accum_offset 16
		.amdhsa_reserve_vcc 1
		.amdhsa_float_round_mode_32 0
		.amdhsa_float_round_mode_16_64 0
		.amdhsa_float_denorm_mode_32 3
		.amdhsa_float_denorm_mode_16_64 3
		.amdhsa_dx10_clamp 1
		.amdhsa_ieee_mode 1
		.amdhsa_fp16_overflow 0
		.amdhsa_tg_split 0
		.amdhsa_exception_fp_ieee_invalid_op 0
		.amdhsa_exception_fp_denorm_src 0
		.amdhsa_exception_fp_ieee_div_zero 0
		.amdhsa_exception_fp_ieee_overflow 0
		.amdhsa_exception_fp_ieee_underflow 0
		.amdhsa_exception_fp_ieee_inexact 0
		.amdhsa_exception_int_div_zero 0
	.end_amdhsa_kernel
	.section	.text._ZN2at6native32elementwise_kernel_manual_unrollILi128ELi4EZNS0_15gpu_kernel_implIZZZNS0_17clamp_kernel_cudaERNS_18TensorIteratorBaseERKN3c106ScalarES8_ENKUlvE_clEvENKUlvE6_clEvEUlNS5_4HalfEE_EEvS4_RKT_EUlibE_EEviT1_,"axG",@progbits,_ZN2at6native32elementwise_kernel_manual_unrollILi128ELi4EZNS0_15gpu_kernel_implIZZZNS0_17clamp_kernel_cudaERNS_18TensorIteratorBaseERKN3c106ScalarES8_ENKUlvE_clEvENKUlvE6_clEvEUlNS5_4HalfEE_EEvS4_RKT_EUlibE_EEviT1_,comdat
.Lfunc_end336:
	.size	_ZN2at6native32elementwise_kernel_manual_unrollILi128ELi4EZNS0_15gpu_kernel_implIZZZNS0_17clamp_kernel_cudaERNS_18TensorIteratorBaseERKN3c106ScalarES8_ENKUlvE_clEvENKUlvE6_clEvEUlNS5_4HalfEE_EEvS4_RKT_EUlibE_EEviT1_, .Lfunc_end336-_ZN2at6native32elementwise_kernel_manual_unrollILi128ELi4EZNS0_15gpu_kernel_implIZZZNS0_17clamp_kernel_cudaERNS_18TensorIteratorBaseERKN3c106ScalarES8_ENKUlvE_clEvENKUlvE6_clEvEUlNS5_4HalfEE_EEvS4_RKT_EUlibE_EEviT1_
                                        ; -- End function
	.set _ZN2at6native32elementwise_kernel_manual_unrollILi128ELi4EZNS0_15gpu_kernel_implIZZZNS0_17clamp_kernel_cudaERNS_18TensorIteratorBaseERKN3c106ScalarES8_ENKUlvE_clEvENKUlvE6_clEvEUlNS5_4HalfEE_EEvS4_RKT_EUlibE_EEviT1_.num_vgpr, 14
	.set _ZN2at6native32elementwise_kernel_manual_unrollILi128ELi4EZNS0_15gpu_kernel_implIZZZNS0_17clamp_kernel_cudaERNS_18TensorIteratorBaseERKN3c106ScalarES8_ENKUlvE_clEvENKUlvE6_clEvEUlNS5_4HalfEE_EEvS4_RKT_EUlibE_EEviT1_.num_agpr, 0
	.set _ZN2at6native32elementwise_kernel_manual_unrollILi128ELi4EZNS0_15gpu_kernel_implIZZZNS0_17clamp_kernel_cudaERNS_18TensorIteratorBaseERKN3c106ScalarES8_ENKUlvE_clEvENKUlvE6_clEvEUlNS5_4HalfEE_EEvS4_RKT_EUlibE_EEviT1_.numbered_sgpr, 46
	.set _ZN2at6native32elementwise_kernel_manual_unrollILi128ELi4EZNS0_15gpu_kernel_implIZZZNS0_17clamp_kernel_cudaERNS_18TensorIteratorBaseERKN3c106ScalarES8_ENKUlvE_clEvENKUlvE6_clEvEUlNS5_4HalfEE_EEvS4_RKT_EUlibE_EEviT1_.num_named_barrier, 0
	.set _ZN2at6native32elementwise_kernel_manual_unrollILi128ELi4EZNS0_15gpu_kernel_implIZZZNS0_17clamp_kernel_cudaERNS_18TensorIteratorBaseERKN3c106ScalarES8_ENKUlvE_clEvENKUlvE6_clEvEUlNS5_4HalfEE_EEvS4_RKT_EUlibE_EEviT1_.private_seg_size, 0
	.set _ZN2at6native32elementwise_kernel_manual_unrollILi128ELi4EZNS0_15gpu_kernel_implIZZZNS0_17clamp_kernel_cudaERNS_18TensorIteratorBaseERKN3c106ScalarES8_ENKUlvE_clEvENKUlvE6_clEvEUlNS5_4HalfEE_EEvS4_RKT_EUlibE_EEviT1_.uses_vcc, 1
	.set _ZN2at6native32elementwise_kernel_manual_unrollILi128ELi4EZNS0_15gpu_kernel_implIZZZNS0_17clamp_kernel_cudaERNS_18TensorIteratorBaseERKN3c106ScalarES8_ENKUlvE_clEvENKUlvE6_clEvEUlNS5_4HalfEE_EEvS4_RKT_EUlibE_EEviT1_.uses_flat_scratch, 0
	.set _ZN2at6native32elementwise_kernel_manual_unrollILi128ELi4EZNS0_15gpu_kernel_implIZZZNS0_17clamp_kernel_cudaERNS_18TensorIteratorBaseERKN3c106ScalarES8_ENKUlvE_clEvENKUlvE6_clEvEUlNS5_4HalfEE_EEvS4_RKT_EUlibE_EEviT1_.has_dyn_sized_stack, 0
	.set _ZN2at6native32elementwise_kernel_manual_unrollILi128ELi4EZNS0_15gpu_kernel_implIZZZNS0_17clamp_kernel_cudaERNS_18TensorIteratorBaseERKN3c106ScalarES8_ENKUlvE_clEvENKUlvE6_clEvEUlNS5_4HalfEE_EEvS4_RKT_EUlibE_EEviT1_.has_recursion, 0
	.set _ZN2at6native32elementwise_kernel_manual_unrollILi128ELi4EZNS0_15gpu_kernel_implIZZZNS0_17clamp_kernel_cudaERNS_18TensorIteratorBaseERKN3c106ScalarES8_ENKUlvE_clEvENKUlvE6_clEvEUlNS5_4HalfEE_EEvS4_RKT_EUlibE_EEviT1_.has_indirect_call, 0
	.section	.AMDGPU.csdata,"",@progbits
; Kernel info:
; codeLenInByte = 36480
; TotalNumSgprs: 52
; NumVgprs: 14
; NumAgprs: 0
; TotalNumVgprs: 14
; ScratchSize: 0
; MemoryBound: 0
; FloatMode: 240
; IeeeMode: 1
; LDSByteSize: 0 bytes/workgroup (compile time only)
; SGPRBlocks: 6
; VGPRBlocks: 1
; NumSGPRsForWavesPerEU: 52
; NumVGPRsForWavesPerEU: 14
; AccumOffset: 16
; Occupancy: 8
; WaveLimiterHint : 0
; COMPUTE_PGM_RSRC2:SCRATCH_EN: 0
; COMPUTE_PGM_RSRC2:USER_SGPR: 2
; COMPUTE_PGM_RSRC2:TRAP_HANDLER: 0
; COMPUTE_PGM_RSRC2:TGID_X_EN: 1
; COMPUTE_PGM_RSRC2:TGID_Y_EN: 0
; COMPUTE_PGM_RSRC2:TGID_Z_EN: 0
; COMPUTE_PGM_RSRC2:TIDIG_COMP_CNT: 0
; COMPUTE_PGM_RSRC3_GFX90A:ACCUM_OFFSET: 3
; COMPUTE_PGM_RSRC3_GFX90A:TG_SPLIT: 0
	.section	.text._ZN2at6native32elementwise_kernel_manual_unrollILi128ELi4EZNS0_15gpu_kernel_implIZZZNS0_17clamp_kernel_cudaERNS_18TensorIteratorBaseERKN3c106ScalarES8_ENKUlvE_clEvENKUlvE6_clEvEUlNS5_4HalfEE_EEvS4_RKT_EUlibE0_EEviT1_,"axG",@progbits,_ZN2at6native32elementwise_kernel_manual_unrollILi128ELi4EZNS0_15gpu_kernel_implIZZZNS0_17clamp_kernel_cudaERNS_18TensorIteratorBaseERKN3c106ScalarES8_ENKUlvE_clEvENKUlvE6_clEvEUlNS5_4HalfEE_EEvS4_RKT_EUlibE0_EEviT1_,comdat
	.globl	_ZN2at6native32elementwise_kernel_manual_unrollILi128ELi4EZNS0_15gpu_kernel_implIZZZNS0_17clamp_kernel_cudaERNS_18TensorIteratorBaseERKN3c106ScalarES8_ENKUlvE_clEvENKUlvE6_clEvEUlNS5_4HalfEE_EEvS4_RKT_EUlibE0_EEviT1_ ; -- Begin function _ZN2at6native32elementwise_kernel_manual_unrollILi128ELi4EZNS0_15gpu_kernel_implIZZZNS0_17clamp_kernel_cudaERNS_18TensorIteratorBaseERKN3c106ScalarES8_ENKUlvE_clEvENKUlvE6_clEvEUlNS5_4HalfEE_EEvS4_RKT_EUlibE0_EEviT1_
	.p2align	8
	.type	_ZN2at6native32elementwise_kernel_manual_unrollILi128ELi4EZNS0_15gpu_kernel_implIZZZNS0_17clamp_kernel_cudaERNS_18TensorIteratorBaseERKN3c106ScalarES8_ENKUlvE_clEvENKUlvE6_clEvEUlNS5_4HalfEE_EEvS4_RKT_EUlibE0_EEviT1_,@function
_ZN2at6native32elementwise_kernel_manual_unrollILi128ELi4EZNS0_15gpu_kernel_implIZZZNS0_17clamp_kernel_cudaERNS_18TensorIteratorBaseERKN3c106ScalarES8_ENKUlvE_clEvENKUlvE6_clEvEUlNS5_4HalfEE_EEvS4_RKT_EUlibE0_EEviT1_: ; @_ZN2at6native32elementwise_kernel_manual_unrollILi128ELi4EZNS0_15gpu_kernel_implIZZZNS0_17clamp_kernel_cudaERNS_18TensorIteratorBaseERKN3c106ScalarES8_ENKUlvE_clEvENKUlvE6_clEvEUlNS5_4HalfEE_EEvS4_RKT_EUlibE0_EEviT1_
; %bb.0:
	s_load_dword s72, s[0:1], 0x0
	s_load_dword s33, s[0:1], 0x8
	s_add_u32 s34, s0, 8
	s_addc_u32 s35, s1, 0
	v_lshl_or_b32 v8, s2, 9, v0
	v_or_b32_e32 v16, 0x180, v8
	s_waitcnt lgkmcnt(0)
	s_add_i32 s74, s33, -1
	s_cmp_gt_u32 s74, 1
	v_cmp_le_i32_e32 vcc, s72, v16
	s_cselect_b64 s[42:43], -1, 0
	s_mov_b64 s[40:41], 0
	s_mov_b64 s[24:25], 0
	s_and_saveexec_b64 s[2:3], vcc
	s_xor_b64 s[44:45], exec, s[2:3]
	s_cbranch_execz .LBB337_1090
; %bb.1:
	s_load_dwordx4 s[24:27], s[34:35], 0x4
	s_load_dwordx2 s[48:49], s[34:35], 0x14
	s_load_dwordx2 s[46:47], s[34:35], 0x158
	s_cmp_lg_u32 s33, 0
	s_load_dwordx4 s[28:31], s[34:35], 0xc4
	s_load_dwordx4 s[20:23], s[34:35], 0x148
	s_cselect_b64 s[54:55], -1, 0
	s_add_u32 s52, s34, 0xc4
	s_addc_u32 s53, s35, 0
	s_min_u32 s77, s74, 15
	s_cmp_gt_u32 s33, 1
	s_cselect_b64 s[50:51], -1, 0
	s_waitcnt lgkmcnt(0)
	s_lshr_b32 s75, s46, 16
	s_bfe_u32 s76, s47, 0x80008
	v_cmp_gt_i32_e32 vcc, s72, v8
	s_mov_b64 s[4:5], -1
	s_mov_b64 s[64:65], 0
	s_mov_b64 s[58:59], 0
	;; [unrolled: 1-line block ×3, first 2 shown]
	s_and_saveexec_b64 s[60:61], vcc
	s_cbranch_execz .LBB337_267
; %bb.2:
	s_andn2_b64 vcc, exec, s[42:43]
	s_cbranch_vccnz .LBB337_8
; %bb.3:
	s_andn2_b64 vcc, exec, s[54:55]
	s_cbranch_vccnz .LBB337_9
; %bb.4:
	s_add_i32 s59, s77, 1
	s_cmp_eq_u32 s74, 2
	s_cbranch_scc1 .LBB337_10
; %bb.5:
	s_and_b32 s58, s59, 28
	s_mov_b32 s62, 0
	v_mov_b32_e32 v0, 0
	v_mov_b32_e32 v2, 0
	s_mov_b64 s[2:3], s[34:35]
	s_mov_b64 s[56:57], s[52:53]
	v_mov_b32_e32 v4, v8
.LBB337_6:                              ; =>This Inner Loop Header: Depth=1
	s_load_dwordx8 s[12:19], s[2:3], 0x4
	s_load_dwordx4 s[36:39], s[2:3], 0x24
	s_load_dwordx8 s[4:11], s[56:57], 0x0
	s_add_u32 s2, s2, 48
	s_addc_u32 s3, s3, 0
	s_waitcnt lgkmcnt(0)
	v_mul_hi_u32 v1, s13, v4
	v_add_u32_e32 v1, v4, v1
	v_lshrrev_b32_e32 v1, s14, v1
	v_mul_lo_u32 v3, v1, s12
	v_mul_hi_u32 v5, s16, v1
	v_sub_u32_e32 v3, v4, v3
	v_add_u32_e32 v4, v1, v5
	v_lshrrev_b32_e32 v4, s17, v4
	v_mul_lo_u32 v6, v4, s15
	v_mul_hi_u32 v7, s19, v4
	v_sub_u32_e32 v1, v1, v6
	v_add_u32_e32 v6, v4, v7
	v_mul_lo_u32 v5, v3, s5
	v_mul_lo_u32 v3, v3, s4
	;; [unrolled: 1-line block ×4, first 2 shown]
	v_lshrrev_b32_e32 v6, s36, v6
	v_add3_u32 v0, v3, v0, v1
	v_mul_hi_u32 v3, s38, v6
	v_add3_u32 v1, v5, v2, v7
	v_mul_lo_u32 v2, v6, s18
	v_add_u32_e32 v3, v6, v3
	v_sub_u32_e32 v2, v4, v2
	v_lshrrev_b32_e32 v4, s39, v3
	s_add_i32 s62, s62, 4
	v_mul_lo_u32 v3, v4, s37
	s_add_u32 s56, s56, 32
	v_sub_u32_e32 v3, v6, v3
	s_addc_u32 s57, s57, 0
	v_mul_lo_u32 v5, v2, s8
	v_mul_lo_u32 v2, v2, s9
	;; [unrolled: 1-line block ×4, first 2 shown]
	s_cmp_lg_u32 s58, s62
	v_add3_u32 v2, v2, v1, v3
	v_add3_u32 v0, v5, v0, v6
	s_cbranch_scc1 .LBB337_6
; %bb.7:
	v_mov_b32_e32 v1, v2
	s_branch .LBB337_11
.LBB337_8:
                                        ; implicit-def: $vgpr2
                                        ; implicit-def: $vgpr0
	s_branch .LBB337_15
.LBB337_9:
	v_mov_b32_e32 v2, 0
	v_mov_b32_e32 v0, 0
	s_branch .LBB337_14
.LBB337_10:
	v_mov_b32_e32 v0, 0
	s_mov_b32 s58, 0
	v_mov_b32_e32 v1, v0
                                        ; implicit-def: $vgpr2
	v_mov_b32_e32 v4, v8
.LBB337_11:
	s_and_b32 s6, s59, 3
	s_cmp_eq_u32 s6, 0
	s_cbranch_scc1 .LBB337_14
; %bb.12:
	s_lshl_b32 s2, s58, 3
	s_add_u32 s2, s34, s2
	s_addc_u32 s3, s35, 0
	s_add_u32 s2, s2, 0xc4
	s_addc_u32 s3, s3, 0
	s_mul_i32 s4, s58, 12
	s_add_u32 s4, s34, s4
	s_addc_u32 s5, s35, 0
.LBB337_13:                             ; =>This Inner Loop Header: Depth=1
	s_load_dwordx2 s[8:9], s[4:5], 0x4
	s_load_dword s7, s[4:5], 0xc
	s_load_dwordx2 s[10:11], s[2:3], 0x0
	v_mov_b32_e32 v2, v1
	s_add_u32 s4, s4, 12
	s_waitcnt lgkmcnt(0)
	v_mul_hi_u32 v1, s9, v4
	v_add_u32_e32 v1, v4, v1
	v_lshrrev_b32_e32 v1, s7, v1
	s_addc_u32 s5, s5, 0
	v_mul_lo_u32 v3, v1, s8
	s_add_u32 s2, s2, 8
	v_sub_u32_e32 v5, v4, v3
	s_addc_u32 s3, s3, 0
	s_add_i32 s6, s6, -1
	v_mov_b32_e32 v4, v1
	v_mad_u64_u32 v[2:3], s[8:9], v5, s11, v[2:3]
	v_mad_u64_u32 v[0:1], s[8:9], v5, s10, v[0:1]
	s_cmp_lg_u32 s6, 0
	v_mov_b32_e32 v1, v2
	s_cbranch_scc1 .LBB337_13
.LBB337_14:
	s_cbranch_execnz .LBB337_17
.LBB337_15:
	v_mul_hi_u32 v0, s25, v8
	v_add_u32_e32 v0, v8, v0
	v_lshrrev_b32_e32 v1, s26, v0
	v_mul_lo_u32 v0, v1, s24
	v_sub_u32_e32 v0, v8, v0
	v_mul_lo_u32 v2, v0, s29
	s_andn2_b64 vcc, exec, s[50:51]
	v_mul_lo_u32 v0, v0, s28
	s_cbranch_vccnz .LBB337_17
; %bb.16:
	v_mul_hi_u32 v3, s48, v1
	v_add_u32_e32 v3, v1, v3
	v_lshrrev_b32_e32 v3, s49, v3
	v_mul_lo_u32 v3, v3, s27
	v_sub_u32_e32 v3, v1, v3
	v_mad_u64_u32 v[0:1], s[2:3], v3, s30, v[0:1]
	v_mad_u64_u32 v[2:3], s[2:3], v3, s31, v[2:3]
.LBB337_17:
	v_mov_b32_e32 v3, 0
	s_and_b32 s10, 0xffff, s76
	s_cmp_lt_i32 s10, 11
	v_lshl_add_u64 v[2:3], s[22:23], 0, v[2:3]
	s_cbranch_scc1 .LBB337_24
; %bb.18:
	s_cmp_gt_i32 s10, 25
	s_cbranch_scc0 .LBB337_33
; %bb.19:
	s_cmp_gt_i32 s10, 28
	s_cbranch_scc0 .LBB337_36
	;; [unrolled: 3-line block ×4, first 2 shown]
; %bb.22:
	s_cmp_eq_u32 s10, 46
	s_mov_b64 s[6:7], 0
	s_cbranch_scc0 .LBB337_42
; %bb.23:
	global_load_dword v1, v[2:3], off
	s_mov_b64 s[2:3], -1
	s_mov_b64 s[4:5], 0
	s_waitcnt vmcnt(0)
	v_lshlrev_b32_e32 v1, 16, v1
	v_cvt_f16_f32_e32 v1, v1
	s_branch .LBB337_44
.LBB337_24:
	s_mov_b64 s[4:5], 0
                                        ; implicit-def: $vgpr1
	s_mov_b64 s[2:3], 0
	s_cbranch_execnz .LBB337_217
.LBB337_25:
	s_andn2_b64 vcc, exec, s[2:3]
	s_cbranch_vccnz .LBB337_264
.LBB337_26:
	v_mov_b32_e32 v2, s46
	s_waitcnt vmcnt(0)
	v_cmp_lt_f16_e32 vcc, s46, v1
	v_mov_b32_e32 v3, s75
	s_and_b32 s12, s47, 0xff
	v_cndmask_b32_e32 v2, v2, v1, vcc
	v_cmp_gt_f16_e32 vcc, s75, v2
	s_cmp_lt_i32 s12, 11
	s_nop 0
	v_cndmask_b32_e32 v2, v3, v2, vcc
	v_cmp_u_f16_e32 vcc, v1, v1
	s_nop 1
	v_cndmask_b32_e32 v2, v2, v1, vcc
	v_mov_b32_e32 v1, 0
	v_lshl_add_u64 v[0:1], s[20:21], 0, v[0:1]
	s_cbranch_scc1 .LBB337_34
; %bb.27:
	s_and_b32 s13, 0xffff, s12
	s_cmp_gt_i32 s13, 25
	s_cbranch_scc0 .LBB337_37
; %bb.28:
	s_cmp_gt_i32 s13, 28
	s_cbranch_scc0 .LBB337_39
; %bb.29:
	;; [unrolled: 3-line block ×4, first 2 shown]
	s_mov_b64 s[8:9], 0
	s_mov_b64 s[2:3], -1
	s_cmp_eq_u32 s13, 46
	s_mov_b64 s[6:7], 0
	s_cbranch_scc0 .LBB337_48
; %bb.32:
	v_cvt_f32_f16_e32 v3, v2
	s_movk_i32 s2, 0x7fff
	v_cmp_o_f16_e32 vcc, v2, v2
	v_mov_b32_e32 v4, 0x7fc0
	v_bfe_u32 v5, v3, 16, 1
	v_add3_u32 v3, v3, v5, s2
	v_cndmask_b32_sdwa v3, v4, v3, vcc dst_sel:DWORD dst_unused:UNUSED_PAD src0_sel:DWORD src1_sel:WORD_1
	global_store_dword v[0:1], v3, off
	s_mov_b64 s[6:7], -1
	s_mov_b64 s[2:3], 0
	s_branch .LBB337_48
.LBB337_33:
	s_mov_b64 s[4:5], 0
	s_mov_b64 s[2:3], 0
                                        ; implicit-def: $vgpr1
	s_cbranch_execnz .LBB337_182
	s_branch .LBB337_216
.LBB337_34:
	s_mov_b64 s[2:3], 0
	s_mov_b64 s[6:7], 0
	s_cbranch_execnz .LBB337_117
.LBB337_35:
	s_andn2_b64 vcc, exec, s[6:7]
	s_cbranch_vccnz .LBB337_265
	s_branch .LBB337_155
.LBB337_36:
	s_mov_b64 s[6:7], -1
	s_mov_b64 s[4:5], 0
	s_mov_b64 s[2:3], 0
                                        ; implicit-def: $vgpr1
	s_branch .LBB337_163
.LBB337_37:
	s_mov_b64 s[8:9], -1
	s_mov_b64 s[2:3], 0
	s_mov_b64 s[6:7], 0
	s_branch .LBB337_75
.LBB337_38:
	s_mov_b64 s[6:7], -1
	s_mov_b64 s[4:5], 0
	s_mov_b64 s[2:3], 0
                                        ; implicit-def: $vgpr1
	s_branch .LBB337_158
.LBB337_39:
	s_mov_b64 s[8:9], -1
	s_mov_b64 s[2:3], 0
	s_mov_b64 s[6:7], 0
	s_branch .LBB337_58
.LBB337_40:
	s_mov_b64 s[6:7], -1
	s_mov_b64 s[4:5], 0
	s_branch .LBB337_43
.LBB337_41:
	s_mov_b64 s[8:9], -1
	s_mov_b64 s[2:3], 0
	s_mov_b64 s[6:7], 0
	s_branch .LBB337_54
.LBB337_42:
	s_mov_b64 s[4:5], -1
.LBB337_43:
	s_mov_b64 s[2:3], 0
                                        ; implicit-def: $vgpr1
.LBB337_44:
	s_and_b64 vcc, exec, s[6:7]
	s_cbranch_vccz .LBB337_157
; %bb.45:
	s_cmp_eq_u32 s10, 44
	s_cbranch_scc0 .LBB337_156
; %bb.46:
	global_load_ubyte v1, v[2:3], off
	s_movk_i32 s4, 0xff
	v_mov_b32_e32 v5, 0x7e00
	s_mov_b64 s[2:3], -1
	s_waitcnt vmcnt(0)
	v_lshlrev_b32_e32 v4, 23, v1
	v_cvt_f16_f32_e32 v4, v4
	v_cmp_ne_u32_e32 vcc, s4, v1
	s_mov_b64 s[4:5], 0
	s_nop 0
	v_cndmask_b32_e32 v4, v5, v4, vcc
	v_cmp_ne_u32_e32 vcc, 0, v1
	s_nop 1
	v_cndmask_b32_e32 v1, 0, v4, vcc
	s_branch .LBB337_157
.LBB337_47:
	s_mov_b64 s[8:9], -1
	s_mov_b64 s[2:3], 0
	s_mov_b64 s[6:7], 0
.LBB337_48:
	s_and_b64 vcc, exec, s[8:9]
	s_cbranch_vccz .LBB337_53
; %bb.49:
	s_cmp_eq_u32 s13, 44
	s_mov_b64 s[2:3], -1
	s_cbranch_scc0 .LBB337_53
; %bb.50:
	v_cvt_f32_f16_e32 v3, v2
	s_movk_i32 s2, 0xff
	v_mov_b32_e32 v5, 0xff
	v_bfe_u32 v4, v3, 23, 8
	v_cmp_ne_u32_e32 vcc, s2, v4
	s_and_saveexec_b64 s[6:7], vcc
; %bb.51:
	s_mov_b32 s2, 0x3fffff
	v_lshrrev_b32_e32 v5, 23, v3
	v_and_b32_e32 v6, 0x400000, v3
	v_and_or_b32 v3, v3, s2, v4
	v_cmp_ne_u32_e32 vcc, 0, v6
	v_cmp_ne_u32_e64 s[2:3], 0, v3
	s_and_b64 s[2:3], vcc, s[2:3]
	s_nop 0
	v_cndmask_b32_e64 v3, 0, 1, s[2:3]
	v_add_u32_e32 v5, v5, v3
; %bb.52:
	s_or_b64 exec, exec, s[6:7]
	s_mov_b64 s[6:7], -1
	s_mov_b64 s[2:3], 0
	global_store_byte v[0:1], v5, off
.LBB337_53:
	s_mov_b64 s[8:9], 0
.LBB337_54:
	s_and_b64 vcc, exec, s[8:9]
	s_cbranch_vccz .LBB337_57
; %bb.55:
	s_cmp_eq_u32 s13, 29
	s_mov_b64 s[2:3], -1
	s_cbranch_scc0 .LBB337_57
; %bb.56:
	v_cvt_f32_f16_e32 v3, v2
	v_mov_b32_e32 v5, 0
	s_mov_b64 s[6:7], -1
	s_mov_b64 s[2:3], 0
	v_cvt_u32_f32_e32 v4, v3
	s_mov_b64 s[8:9], 0
	global_store_dwordx2 v[0:1], v[4:5], off
	s_branch .LBB337_58
.LBB337_57:
	s_mov_b64 s[8:9], 0
.LBB337_58:
	s_and_b64 vcc, exec, s[8:9]
	s_cbranch_vccz .LBB337_74
; %bb.59:
	s_cmp_lt_i32 s13, 27
	s_mov_b64 s[6:7], -1
	s_cbranch_scc1 .LBB337_65
; %bb.60:
	s_cmp_gt_i32 s13, 27
	s_cbranch_scc0 .LBB337_62
; %bb.61:
	v_cvt_f32_f16_e32 v3, v2
	s_mov_b64 s[6:7], 0
	v_cvt_u32_f32_e32 v3, v3
	global_store_dword v[0:1], v3, off
.LBB337_62:
	s_andn2_b64 vcc, exec, s[6:7]
	s_cbranch_vccnz .LBB337_64
; %bb.63:
	v_cvt_u16_f16_e32 v3, v2
	global_store_short v[0:1], v3, off
.LBB337_64:
	s_mov_b64 s[6:7], 0
.LBB337_65:
	s_andn2_b64 vcc, exec, s[6:7]
	s_cbranch_vccnz .LBB337_73
; %bb.66:
	v_cvt_f32_f16_e32 v3, v2
	s_mov_b32 s6, 0x43800000
	v_mov_b32_e32 v5, 0x80
	v_and_b32_e32 v4, 0x7fffffff, v3
	v_cmp_gt_u32_e32 vcc, s6, v4
	s_and_saveexec_b64 s[6:7], vcc
	s_cbranch_execz .LBB337_72
; %bb.67:
	s_mov_b32 s8, 0x3bffffff
	v_cmp_lt_u32_e32 vcc, s8, v4
	s_mov_b64 s[8:9], 0
                                        ; implicit-def: $vgpr4
	s_and_saveexec_b64 s[10:11], vcc
	s_xor_b64 s[10:11], exec, s[10:11]
	s_cbranch_execz .LBB337_309
; %bb.68:
	v_bfe_u32 v4, v3, 20, 1
	s_mov_b32 s14, 0x487ffff
	v_add3_u32 v4, v3, v4, s14
	s_mov_b64 s[8:9], exec
	v_lshrrev_b32_e32 v4, 20, v4
	s_andn2_saveexec_b64 s[10:11], s[10:11]
	s_cbranch_execnz .LBB337_310
.LBB337_69:
	s_or_b64 exec, exec, s[10:11]
	v_mov_b32_e32 v5, 0
	s_and_saveexec_b64 s[10:11], s[8:9]
.LBB337_70:
	v_lshrrev_b32_e32 v3, 24, v3
	s_movk_i32 s8, 0x80
	v_and_or_b32 v5, v3, s8, v4
.LBB337_71:
	s_or_b64 exec, exec, s[10:11]
.LBB337_72:
	s_or_b64 exec, exec, s[6:7]
	global_store_byte v[0:1], v5, off
.LBB337_73:
	s_mov_b64 s[6:7], -1
.LBB337_74:
	s_mov_b64 s[8:9], 0
.LBB337_75:
	s_and_b64 vcc, exec, s[8:9]
	s_cbranch_vccz .LBB337_116
; %bb.76:
	s_cmp_gt_i32 s13, 22
	s_mov_b64 s[8:9], -1
	s_cbranch_scc0 .LBB337_108
; %bb.77:
	s_cmp_lt_i32 s13, 24
	s_mov_b64 s[6:7], -1
	s_cbranch_scc1 .LBB337_97
; %bb.78:
	s_cmp_gt_i32 s13, 24
	s_cbranch_scc0 .LBB337_86
; %bb.79:
	v_cvt_f32_f16_e32 v3, v2
	s_mov_b32 s6, 0x47800000
	v_mov_b32_e32 v5, 0x80
	v_and_b32_e32 v4, 0x7fffffff, v3
	v_cmp_gt_u32_e32 vcc, s6, v4
	s_and_saveexec_b64 s[6:7], vcc
	s_cbranch_execz .LBB337_85
; %bb.80:
	s_mov_b32 s8, 0x37ffffff
	v_cmp_lt_u32_e32 vcc, s8, v4
	s_mov_b64 s[8:9], 0
                                        ; implicit-def: $vgpr4
	s_and_saveexec_b64 s[10:11], vcc
	s_xor_b64 s[10:11], exec, s[10:11]
	s_cbranch_execz .LBB337_313
; %bb.81:
	v_bfe_u32 v4, v3, 21, 1
	s_mov_b32 s14, 0x88fffff
	v_add3_u32 v4, v3, v4, s14
	s_mov_b64 s[8:9], exec
	v_lshrrev_b32_e32 v4, 21, v4
	s_andn2_saveexec_b64 s[10:11], s[10:11]
	s_cbranch_execnz .LBB337_314
.LBB337_82:
	s_or_b64 exec, exec, s[10:11]
	v_mov_b32_e32 v5, 0
	s_and_saveexec_b64 s[10:11], s[8:9]
.LBB337_83:
	v_lshrrev_b32_e32 v3, 24, v3
	s_movk_i32 s8, 0x80
	v_and_or_b32 v5, v3, s8, v4
.LBB337_84:
	s_or_b64 exec, exec, s[10:11]
.LBB337_85:
	s_or_b64 exec, exec, s[6:7]
	s_mov_b64 s[6:7], 0
	global_store_byte v[0:1], v5, off
.LBB337_86:
	s_and_b64 vcc, exec, s[6:7]
	s_cbranch_vccz .LBB337_96
; %bb.87:
	v_cvt_f32_f16_e32 v3, v2
	s_mov_b32 s6, 0x43f00000
                                        ; implicit-def: $vgpr4
	v_and_b32_e32 v5, 0x7fffffff, v3
	v_cmp_gt_u32_e32 vcc, s6, v5
	s_and_saveexec_b64 s[6:7], vcc
	s_xor_b64 s[6:7], exec, s[6:7]
	s_cbranch_execz .LBB337_93
; %bb.88:
	s_mov_b32 s8, 0x3c7fffff
	v_cmp_lt_u32_e32 vcc, s8, v5
                                        ; implicit-def: $vgpr4
	s_and_saveexec_b64 s[8:9], vcc
	s_xor_b64 s[8:9], exec, s[8:9]
; %bb.89:
	v_bfe_u32 v4, v3, 20, 1
	s_mov_b32 s10, 0x407ffff
	v_add3_u32 v4, v3, v4, s10
	v_lshrrev_b32_e32 v5, 20, v4
	v_and_b32_e32 v4, 0xff00000, v4
	s_mov_b32 s10, 0x7f00000
	v_mov_b32_e32 v6, 0x7e
	v_cmp_ne_u32_e32 vcc, s10, v4
	s_nop 1
	v_cndmask_b32_e32 v4, v6, v5, vcc
; %bb.90:
	s_andn2_saveexec_b64 s[8:9], s[8:9]
; %bb.91:
	s_mov_b32 s10, 0x46800000
	v_add_f32_e64 v4, |v3|, s10
; %bb.92:
	s_or_b64 exec, exec, s[8:9]
                                        ; implicit-def: $vgpr5
.LBB337_93:
	s_andn2_saveexec_b64 s[6:7], s[6:7]
; %bb.94:
	s_mov_b32 s8, 0x7f800000
	v_mov_b32_e32 v4, 0x7e
	v_mov_b32_e32 v6, 0x7f
	v_cmp_lt_u32_e32 vcc, s8, v5
	s_nop 1
	v_cndmask_b32_e32 v4, v4, v6, vcc
; %bb.95:
	s_or_b64 exec, exec, s[6:7]
	v_lshrrev_b32_e32 v3, 24, v3
	s_movk_i32 s6, 0x80
	v_and_or_b32 v3, v3, s6, v4
	global_store_byte v[0:1], v3, off
.LBB337_96:
	s_mov_b64 s[6:7], 0
.LBB337_97:
	s_andn2_b64 vcc, exec, s[6:7]
	s_cbranch_vccnz .LBB337_107
; %bb.98:
	v_cvt_f32_f16_e32 v3, v2
	s_mov_b32 s6, 0x47800000
                                        ; implicit-def: $vgpr4
	v_and_b32_e32 v5, 0x7fffffff, v3
	v_cmp_gt_u32_e32 vcc, s6, v5
	s_and_saveexec_b64 s[6:7], vcc
	s_xor_b64 s[6:7], exec, s[6:7]
	s_cbranch_execz .LBB337_104
; %bb.99:
	s_mov_b32 s8, 0x387fffff
	v_cmp_lt_u32_e32 vcc, s8, v5
                                        ; implicit-def: $vgpr4
	s_and_saveexec_b64 s[8:9], vcc
	s_xor_b64 s[8:9], exec, s[8:9]
; %bb.100:
	v_bfe_u32 v4, v3, 21, 1
	s_mov_b32 s10, 0x80fffff
	v_add3_u32 v4, v3, v4, s10
	v_lshrrev_b32_e32 v4, 21, v4
; %bb.101:
	s_andn2_saveexec_b64 s[8:9], s[8:9]
; %bb.102:
	s_mov_b32 s10, 0x43000000
	v_add_f32_e64 v4, |v3|, s10
; %bb.103:
	s_or_b64 exec, exec, s[8:9]
                                        ; implicit-def: $vgpr5
.LBB337_104:
	s_andn2_saveexec_b64 s[6:7], s[6:7]
; %bb.105:
	s_mov_b32 s8, 0x7f800000
	v_mov_b32_e32 v4, 0x7c
	v_mov_b32_e32 v6, 0x7f
	v_cmp_lt_u32_e32 vcc, s8, v5
	s_nop 1
	v_cndmask_b32_e32 v4, v4, v6, vcc
; %bb.106:
	s_or_b64 exec, exec, s[6:7]
	v_lshrrev_b32_e32 v3, 24, v3
	s_movk_i32 s6, 0x80
	v_and_or_b32 v3, v3, s6, v4
	global_store_byte v[0:1], v3, off
.LBB337_107:
	s_mov_b64 s[8:9], 0
	s_mov_b64 s[6:7], -1
.LBB337_108:
	s_andn2_b64 vcc, exec, s[8:9]
	s_cbranch_vccnz .LBB337_116
; %bb.109:
	s_cmp_gt_i32 s13, 14
	s_mov_b64 s[8:9], -1
	s_cbranch_scc0 .LBB337_113
; %bb.110:
	s_cmp_eq_u32 s13, 15
	s_mov_b64 s[2:3], -1
	s_cbranch_scc0 .LBB337_112
; %bb.111:
	v_cvt_f32_f16_e32 v3, v2
	s_movk_i32 s2, 0x7fff
	v_cmp_o_f16_e32 vcc, v2, v2
	v_mov_b32_e32 v4, 0x7fc0
	v_bfe_u32 v5, v3, 16, 1
	v_add3_u32 v3, v3, v5, s2
	v_cndmask_b32_sdwa v3, v4, v3, vcc dst_sel:DWORD dst_unused:UNUSED_PAD src0_sel:DWORD src1_sel:WORD_1
	global_store_short v[0:1], v3, off
	s_mov_b64 s[6:7], -1
	s_mov_b64 s[2:3], 0
.LBB337_112:
	s_mov_b64 s[8:9], 0
.LBB337_113:
	s_and_b64 vcc, exec, s[8:9]
	s_cbranch_vccz .LBB337_116
; %bb.114:
	s_cmp_eq_u32 s13, 11
	s_mov_b64 s[2:3], -1
	s_cbranch_scc0 .LBB337_116
; %bb.115:
	v_and_b32_e32 v3, 0x7fff, v2
	v_cmp_ne_u16_e32 vcc, 0, v3
	s_mov_b64 s[6:7], -1
	s_mov_b64 s[2:3], 0
	v_cndmask_b32_e64 v3, 0, 1, vcc
	global_store_byte v[0:1], v3, off
.LBB337_116:
	s_branch .LBB337_35
.LBB337_117:
	s_and_b32 s8, 0xffff, s12
	s_cmp_lt_i32 s8, 5
	s_mov_b64 s[6:7], -1
	s_cbranch_scc1 .LBB337_138
; %bb.118:
	s_cmp_lt_i32 s8, 8
	s_cbranch_scc1 .LBB337_128
; %bb.119:
	s_cmp_lt_i32 s8, 9
	s_cbranch_scc1 .LBB337_125
; %bb.120:
	s_cmp_gt_i32 s8, 9
	s_cbranch_scc0 .LBB337_122
; %bb.121:
	v_cvt_f32_f16_e32 v3, v2
	v_mov_b32_e32 v6, 0
	v_mov_b32_e32 v7, v6
	s_mov_b64 s[6:7], 0
	v_cvt_f64_f32_e32 v[4:5], v3
	global_store_dwordx4 v[0:1], v[4:7], off
.LBB337_122:
	s_andn2_b64 vcc, exec, s[6:7]
	s_cbranch_vccnz .LBB337_124
; %bb.123:
	v_cvt_f32_f16_e32 v4, v2
	v_mov_b32_e32 v5, 0
	global_store_dwordx2 v[0:1], v[4:5], off
.LBB337_124:
	s_mov_b64 s[6:7], 0
.LBB337_125:
	s_andn2_b64 vcc, exec, s[6:7]
	s_cbranch_vccnz .LBB337_127
; %bb.126:
	v_and_b32_e32 v3, 0xffff, v2
	global_store_dword v[0:1], v3, off
.LBB337_127:
	s_mov_b64 s[6:7], 0
.LBB337_128:
	s_andn2_b64 vcc, exec, s[6:7]
	s_cbranch_vccnz .LBB337_137
; %bb.129:
	s_cmp_lt_i32 s8, 6
	s_mov_b64 s[6:7], -1
	s_cbranch_scc1 .LBB337_135
; %bb.130:
	s_cmp_gt_i32 s8, 6
	s_cbranch_scc0 .LBB337_132
; %bb.131:
	v_cvt_f32_f16_e32 v3, v2
	s_mov_b64 s[6:7], 0
	v_cvt_f64_f32_e32 v[4:5], v3
	global_store_dwordx2 v[0:1], v[4:5], off
.LBB337_132:
	s_andn2_b64 vcc, exec, s[6:7]
	s_cbranch_vccnz .LBB337_134
; %bb.133:
	v_cvt_f32_f16_e32 v3, v2
	global_store_dword v[0:1], v3, off
.LBB337_134:
	s_mov_b64 s[6:7], 0
.LBB337_135:
	s_andn2_b64 vcc, exec, s[6:7]
	s_cbranch_vccnz .LBB337_137
; %bb.136:
	global_store_short v[0:1], v2, off
.LBB337_137:
	s_mov_b64 s[6:7], 0
.LBB337_138:
	s_andn2_b64 vcc, exec, s[6:7]
	s_cbranch_vccnz .LBB337_154
; %bb.139:
	s_cmp_lt_i32 s8, 2
	s_mov_b64 s[6:7], -1
	s_cbranch_scc1 .LBB337_149
; %bb.140:
	s_cmp_lt_i32 s8, 3
	s_cbranch_scc1 .LBB337_146
; %bb.141:
	s_cmp_gt_i32 s8, 3
	s_cbranch_scc0 .LBB337_143
; %bb.142:
	v_cvt_f32_f16_e32 v3, v2
	s_mov_b64 s[6:7], 0
	v_cvt_i32_f32_e32 v4, v3
	v_ashrrev_i32_e32 v5, 31, v4
	global_store_dwordx2 v[0:1], v[4:5], off
.LBB337_143:
	s_andn2_b64 vcc, exec, s[6:7]
	s_cbranch_vccnz .LBB337_145
; %bb.144:
	v_cvt_f32_f16_e32 v3, v2
	v_cvt_i32_f32_e32 v3, v3
	global_store_dword v[0:1], v3, off
.LBB337_145:
	s_mov_b64 s[6:7], 0
.LBB337_146:
	s_andn2_b64 vcc, exec, s[6:7]
	s_cbranch_vccnz .LBB337_148
; %bb.147:
	v_cvt_i16_f16_e32 v3, v2
	global_store_short v[0:1], v3, off
.LBB337_148:
	s_mov_b64 s[6:7], 0
.LBB337_149:
	s_andn2_b64 vcc, exec, s[6:7]
	s_cbranch_vccnz .LBB337_154
; %bb.150:
	s_cmp_gt_i32 s8, 0
	s_mov_b64 s[6:7], -1
	s_cbranch_scc0 .LBB337_152
; %bb.151:
	v_cvt_i16_f16_e32 v3, v2
	global_store_byte v[0:1], v3, off
	s_mov_b64 s[6:7], 0
.LBB337_152:
	s_andn2_b64 vcc, exec, s[6:7]
	s_cbranch_vccnz .LBB337_154
; %bb.153:
	v_cvt_f32_f16_e32 v2, v2
	v_cvt_i32_f32_e32 v2, v2
	global_store_byte v[0:1], v2, off
.LBB337_154:
.LBB337_155:
	v_add_u32_e32 v8, 0x80, v8
	s_mov_b64 s[6:7], -1
	s_branch .LBB337_266
.LBB337_156:
	s_mov_b64 s[4:5], -1
                                        ; implicit-def: $vgpr1
.LBB337_157:
	s_mov_b64 s[6:7], 0
.LBB337_158:
	s_and_b64 vcc, exec, s[6:7]
	s_cbranch_vccz .LBB337_162
; %bb.159:
	s_cmp_eq_u32 s10, 29
	s_cbranch_scc0 .LBB337_161
; %bb.160:
	global_load_dwordx2 v[4:5], v[2:3], off
	s_mov_b64 s[2:3], -1
	s_mov_b64 s[4:5], 0
	s_mov_b64 s[6:7], 0
	s_waitcnt vmcnt(0)
	v_ffbh_u32_e32 v1, v5
	v_min_u32_e32 v1, 32, v1
	v_lshlrev_b64 v[4:5], v1, v[4:5]
	v_min_u32_e32 v4, 1, v4
	v_or_b32_e32 v4, v5, v4
	v_cvt_f32_u32_e32 v4, v4
	v_sub_u32_e32 v1, 32, v1
	v_ldexp_f32 v1, v4, v1
	v_cvt_f16_f32_e32 v1, v1
	s_branch .LBB337_163
.LBB337_161:
	s_mov_b64 s[4:5], -1
                                        ; implicit-def: $vgpr1
.LBB337_162:
	s_mov_b64 s[6:7], 0
.LBB337_163:
	s_and_b64 vcc, exec, s[6:7]
	s_cbranch_vccz .LBB337_181
; %bb.164:
	s_cmp_lt_i32 s10, 27
	s_cbranch_scc1 .LBB337_167
; %bb.165:
	s_cmp_gt_i32 s10, 27
	s_cbranch_scc0 .LBB337_168
; %bb.166:
	global_load_dword v1, v[2:3], off
	s_mov_b64 s[2:3], 0
	s_waitcnt vmcnt(0)
	v_cvt_f32_u32_e32 v1, v1
	v_cvt_f16_f32_e32 v1, v1
	s_branch .LBB337_169
.LBB337_167:
	s_mov_b64 s[2:3], -1
                                        ; implicit-def: $vgpr1
	s_branch .LBB337_172
.LBB337_168:
	s_mov_b64 s[2:3], -1
                                        ; implicit-def: $vgpr1
.LBB337_169:
	s_andn2_b64 vcc, exec, s[2:3]
	s_cbranch_vccnz .LBB337_171
; %bb.170:
	global_load_ushort v1, v[2:3], off
	s_waitcnt vmcnt(0)
	v_cvt_f16_u16_e32 v1, v1
.LBB337_171:
	s_mov_b64 s[2:3], 0
.LBB337_172:
	s_andn2_b64 vcc, exec, s[2:3]
	s_cbranch_vccnz .LBB337_180
; %bb.173:
	global_load_ubyte v4, v[2:3], off
	s_movk_i32 s2, 0x7f
	s_waitcnt vmcnt(0)
	v_cmp_lt_i16_e32 vcc, s2, v4
	s_mov_b64 s[2:3], 0
	s_and_saveexec_b64 s[6:7], vcc
	s_xor_b64 s[6:7], exec, s[6:7]
	s_cbranch_execz .LBB337_193
; %bb.174:
	s_movk_i32 s2, 0x80
	v_cmp_eq_u16_e32 vcc, s2, v4
	s_mov_b64 s[2:3], -1
	s_and_saveexec_b64 s[8:9], vcc
; %bb.175:
	s_xor_b64 s[2:3], exec, -1
; %bb.176:
	s_or_b64 exec, exec, s[8:9]
	s_and_b64 s[2:3], s[2:3], exec
	s_or_saveexec_b64 s[6:7], s[6:7]
	v_mov_b32_e32 v1, 0x7e00
	s_xor_b64 exec, exec, s[6:7]
	s_cbranch_execnz .LBB337_194
.LBB337_177:
	s_or_b64 exec, exec, s[6:7]
	s_and_saveexec_b64 s[6:7], s[2:3]
	s_cbranch_execz .LBB337_179
.LBB337_178:
	v_lshlrev_b32_e32 v1, 24, v4
	v_and_b32_e32 v4, 0xffff, v4
	v_and_b32_e32 v5, 7, v4
	v_ffbh_u32_e32 v7, v5
	v_min_u32_e32 v7, 32, v7
	v_subrev_u32_e32 v9, 28, v7
	v_bfe_u32 v6, v4, 3, 4
	v_lshlrev_b32_e32 v4, v9, v4
	v_sub_u32_e32 v7, 29, v7
	v_and_b32_e32 v4, 7, v4
	v_cmp_eq_u32_e32 vcc, 0, v6
	v_and_b32_e32 v1, 0x80000000, v1
	s_nop 0
	v_cndmask_b32_e32 v6, v6, v7, vcc
	v_cndmask_b32_e32 v4, v5, v4, vcc
	v_mov_b32_e32 v5, 0x3b800000
	v_lshlrev_b32_e32 v4, 20, v4
	v_lshl_add_u32 v5, v6, 23, v5
	v_or3_b32 v1, v1, v5, v4
	v_cvt_f16_f32_e32 v1, v1
.LBB337_179:
	s_or_b64 exec, exec, s[6:7]
.LBB337_180:
	s_mov_b64 s[2:3], -1
.LBB337_181:
	s_branch .LBB337_216
.LBB337_182:
	s_cmp_gt_i32 s10, 22
	s_cbranch_scc0 .LBB337_192
; %bb.183:
	s_cmp_lt_i32 s10, 24
	s_cbranch_scc1 .LBB337_195
; %bb.184:
	s_cmp_gt_i32 s10, 24
	s_cbranch_scc0 .LBB337_196
; %bb.185:
	global_load_ubyte v4, v[2:3], off
	s_movk_i32 s2, 0x7f
	s_waitcnt vmcnt(0)
	v_cmp_lt_i16_e32 vcc, s2, v4
	s_mov_b64 s[2:3], 0
	s_and_saveexec_b64 s[6:7], vcc
	s_xor_b64 s[6:7], exec, s[6:7]
	s_cbranch_execz .LBB337_208
; %bb.186:
	s_movk_i32 s2, 0x80
	v_cmp_eq_u16_e32 vcc, s2, v4
	s_mov_b64 s[2:3], -1
	s_and_saveexec_b64 s[8:9], vcc
; %bb.187:
	s_xor_b64 s[2:3], exec, -1
; %bb.188:
	s_or_b64 exec, exec, s[8:9]
	s_and_b64 s[2:3], s[2:3], exec
	s_or_saveexec_b64 s[6:7], s[6:7]
	v_mov_b32_e32 v1, 0x7e00
	s_xor_b64 exec, exec, s[6:7]
	s_cbranch_execnz .LBB337_209
.LBB337_189:
	s_or_b64 exec, exec, s[6:7]
	s_and_saveexec_b64 s[6:7], s[2:3]
	s_cbranch_execz .LBB337_191
.LBB337_190:
	v_lshlrev_b32_e32 v1, 24, v4
	v_and_b32_e32 v4, 0xffff, v4
	v_and_b32_e32 v5, 3, v4
	v_ffbh_u32_e32 v7, v5
	v_min_u32_e32 v7, 32, v7
	v_subrev_u32_e32 v9, 29, v7
	v_bfe_u32 v6, v4, 2, 5
	v_lshlrev_b32_e32 v4, v9, v4
	v_sub_u32_e32 v7, 30, v7
	v_and_b32_e32 v4, 3, v4
	v_cmp_eq_u32_e32 vcc, 0, v6
	v_and_b32_e32 v1, 0x80000000, v1
	s_nop 0
	v_cndmask_b32_e32 v6, v6, v7, vcc
	v_cndmask_b32_e32 v4, v5, v4, vcc
	v_mov_b32_e32 v5, 0x37800000
	v_lshlrev_b32_e32 v4, 21, v4
	v_lshl_add_u32 v5, v6, 23, v5
	v_or3_b32 v1, v1, v5, v4
	v_cvt_f16_f32_e32 v1, v1
.LBB337_191:
	s_or_b64 exec, exec, s[6:7]
	s_mov_b64 s[2:3], 0
	s_branch .LBB337_197
.LBB337_192:
	s_mov_b64 s[6:7], -1
                                        ; implicit-def: $vgpr1
	s_branch .LBB337_203
.LBB337_193:
	s_or_saveexec_b64 s[6:7], s[6:7]
	v_mov_b32_e32 v1, 0x7e00
	s_xor_b64 exec, exec, s[6:7]
	s_cbranch_execz .LBB337_177
.LBB337_194:
	v_cmp_ne_u16_e32 vcc, 0, v4
	s_andn2_b64 s[2:3], s[2:3], exec
	s_and_b64 s[8:9], vcc, exec
	s_or_b64 s[2:3], s[2:3], s[8:9]
	v_mov_b32_e32 v1, v4
	s_or_b64 exec, exec, s[6:7]
	s_and_saveexec_b64 s[6:7], s[2:3]
	s_cbranch_execnz .LBB337_178
	s_branch .LBB337_179
.LBB337_195:
	s_mov_b64 s[2:3], -1
                                        ; implicit-def: $vgpr1
	s_branch .LBB337_200
.LBB337_196:
	s_mov_b64 s[2:3], -1
                                        ; implicit-def: $vgpr1
.LBB337_197:
	s_and_b64 vcc, exec, s[2:3]
	s_cbranch_vccz .LBB337_199
; %bb.198:
	global_load_ubyte v1, v[2:3], off
	s_mov_b32 s2, 0x7f800000
	s_waitcnt vmcnt(0)
	v_lshlrev_b32_e32 v1, 24, v1
	v_and_b32_e32 v4, 0x7f000000, v1
	v_ffbh_u32_e32 v5, v4
	v_min_u32_e32 v5, 32, v5
	v_sub_u32_e64 v5, v5, 4 clamp
	v_lshlrev_b32_e32 v7, v5, v4
	v_lshlrev_b32_e32 v5, 23, v5
	v_lshrrev_b32_e32 v7, 4, v7
	v_add_u32_e32 v6, 0x1000000, v4
	v_sub_u32_e32 v5, v7, v5
	v_ashrrev_i32_e32 v6, 8, v6
	v_add_u32_e32 v5, 0x3c000000, v5
	v_and_or_b32 v5, v6, s2, v5
	v_cmp_ne_u32_e32 vcc, 0, v4
	s_brev_b32 s2, 1
	s_nop 0
	v_cndmask_b32_e32 v4, 0, v5, vcc
	v_and_or_b32 v1, v1, s2, v4
	v_cvt_f16_f32_e32 v1, v1
.LBB337_199:
	s_mov_b64 s[2:3], 0
.LBB337_200:
	s_andn2_b64 vcc, exec, s[2:3]
	s_cbranch_vccnz .LBB337_202
; %bb.201:
	global_load_ubyte v1, v[2:3], off
	s_movk_i32 s2, 0x7f00
	s_brev_b32 s3, 16
	s_waitcnt vmcnt(0)
	v_lshlrev_b16_e32 v4, 8, v1
	v_lshlrev_b32_e32 v1, 25, v1
	v_lshrrev_b32_e32 v5, 4, v1
	v_and_or_b32 v6, v4, s2, 0.5
	v_or_b32_e32 v5, 0x70000000, v5
	v_add_f32_e32 v6, -0.5, v6
	v_mul_f32_e32 v5, 0x7800000, v5
	v_cmp_gt_u32_e32 vcc, s3, v1
	v_bfe_i32 v4, v4, 0, 16
	s_brev_b32 s2, 1
	v_cndmask_b32_e32 v1, v5, v6, vcc
	v_and_or_b32 v1, v4, s2, v1
	v_cvt_f16_f32_e32 v1, v1
.LBB337_202:
	s_mov_b64 s[6:7], 0
	s_mov_b64 s[2:3], -1
.LBB337_203:
	s_andn2_b64 vcc, exec, s[6:7]
	s_cbranch_vccnz .LBB337_216
; %bb.204:
	s_cmp_gt_i32 s10, 14
	s_cbranch_scc0 .LBB337_207
; %bb.205:
	s_cmp_eq_u32 s10, 15
	s_cbranch_scc0 .LBB337_210
; %bb.206:
	global_load_ushort v1, v[2:3], off
	s_mov_b64 s[2:3], -1
	s_mov_b64 s[4:5], 0
	s_waitcnt vmcnt(0)
	v_lshlrev_b32_e32 v1, 16, v1
	v_cvt_f16_f32_e32 v1, v1
	s_branch .LBB337_211
.LBB337_207:
	s_mov_b64 s[6:7], -1
                                        ; implicit-def: $vgpr1
	s_branch .LBB337_212
.LBB337_208:
	s_or_saveexec_b64 s[6:7], s[6:7]
	v_mov_b32_e32 v1, 0x7e00
	s_xor_b64 exec, exec, s[6:7]
	s_cbranch_execz .LBB337_189
.LBB337_209:
	v_cmp_ne_u16_e32 vcc, 0, v4
	s_andn2_b64 s[2:3], s[2:3], exec
	s_and_b64 s[8:9], vcc, exec
	s_or_b64 s[2:3], s[2:3], s[8:9]
	v_mov_b32_e32 v1, v4
	s_or_b64 exec, exec, s[6:7]
	s_and_saveexec_b64 s[6:7], s[2:3]
	s_cbranch_execnz .LBB337_190
	s_branch .LBB337_191
.LBB337_210:
	s_mov_b64 s[4:5], -1
                                        ; implicit-def: $vgpr1
.LBB337_211:
	s_mov_b64 s[6:7], 0
.LBB337_212:
	s_and_b64 vcc, exec, s[6:7]
	s_cbranch_vccz .LBB337_216
; %bb.213:
	s_cmp_eq_u32 s10, 11
	s_cbranch_scc0 .LBB337_215
; %bb.214:
	global_load_ubyte v1, v[2:3], off
	v_mov_b32_e32 v4, 0x3c00
	s_mov_b64 s[2:3], -1
	s_mov_b64 s[4:5], 0
	s_waitcnt vmcnt(0)
	v_cmp_ne_u16_e32 vcc, 0, v1
	s_nop 1
	v_cndmask_b32_e32 v1, 0, v4, vcc
	s_branch .LBB337_216
.LBB337_215:
	s_mov_b64 s[4:5], -1
                                        ; implicit-def: $vgpr1
.LBB337_216:
	s_branch .LBB337_25
.LBB337_217:
	s_cmp_lt_i32 s10, 5
	s_cbranch_scc1 .LBB337_222
; %bb.218:
	s_cmp_lt_i32 s10, 8
	s_cbranch_scc1 .LBB337_223
; %bb.219:
	;; [unrolled: 3-line block ×3, first 2 shown]
	s_cmp_gt_i32 s10, 9
	s_cbranch_scc0 .LBB337_225
; %bb.221:
	global_load_dwordx2 v[4:5], v[2:3], off
	s_movk_i32 s2, 0x1ff
	s_movk_i32 s3, 0xffe
	v_mov_b32_e32 v1, 0x7c00
	v_mov_b32_e32 v6, 0x7e00
	s_movk_i32 s6, 0x40f
	s_mov_b32 s7, 0x8000
	s_waitcnt vmcnt(0)
	v_and_or_b32 v4, v5, s2, v4
	v_cmp_ne_u32_e32 vcc, 0, v4
	v_lshrrev_b32_e32 v7, 8, v5
	v_bfe_u32 v9, v5, 20, 11
	v_cndmask_b32_e64 v4, 0, 1, vcc
	v_sub_u32_e32 v10, 0x3f1, v9
	v_and_or_b32 v4, v7, s3, v4
	v_add_u32_e32 v9, 0xfffffc10, v9
	v_med3_i32 v7, v10, 0, 13
	v_or_b32_e32 v10, 0x1000, v4
	v_cmp_ne_u32_e32 vcc, 0, v4
	v_lshl_or_b32 v11, v9, 12, v4
	v_lshrrev_b32_e32 v5, 16, v5
	v_cndmask_b32_e32 v4, v1, v6, vcc
	v_lshrrev_b32_e32 v6, v7, v10
	v_lshlrev_b32_e32 v7, v7, v6
	v_cmp_ne_u32_e32 vcc, v7, v10
	s_mov_b64 s[2:3], 0
	s_nop 0
	v_cndmask_b32_e64 v7, 0, 1, vcc
	v_or_b32_e32 v6, v6, v7
	v_cmp_gt_i32_e32 vcc, 1, v9
	s_nop 1
	v_cndmask_b32_e32 v6, v11, v6, vcc
	v_and_b32_e32 v7, 7, v6
	v_cmp_lt_i32_e32 vcc, 5, v7
	v_lshrrev_b32_e32 v6, 2, v6
	s_nop 0
	v_cndmask_b32_e64 v10, 0, 1, vcc
	v_cmp_eq_u32_e32 vcc, 3, v7
	s_nop 1
	v_cndmask_b32_e64 v7, 0, 1, vcc
	v_or_b32_e32 v7, v7, v10
	v_add_u32_e32 v6, v6, v7
	v_cmp_gt_i32_e32 vcc, 31, v9
	s_nop 1
	v_cndmask_b32_e32 v1, v1, v6, vcc
	v_cmp_eq_u32_e32 vcc, s6, v9
	s_nop 1
	v_cndmask_b32_e32 v1, v1, v4, vcc
	v_and_or_b32 v1, v5, s7, v1
	s_branch .LBB337_226
.LBB337_222:
                                        ; implicit-def: $vgpr1
	s_branch .LBB337_244
.LBB337_223:
	s_mov_b64 s[2:3], -1
                                        ; implicit-def: $vgpr1
	s_branch .LBB337_232
.LBB337_224:
	s_mov_b64 s[2:3], -1
                                        ; implicit-def: $vgpr1
	s_branch .LBB337_229
.LBB337_225:
	s_mov_b64 s[2:3], -1
                                        ; implicit-def: $vgpr1
.LBB337_226:
	s_andn2_b64 vcc, exec, s[2:3]
	s_cbranch_vccnz .LBB337_228
; %bb.227:
	global_load_dword v1, v[2:3], off
	s_waitcnt vmcnt(0)
	v_cvt_f16_f32_e32 v1, v1
.LBB337_228:
	s_mov_b64 s[2:3], 0
.LBB337_229:
	s_andn2_b64 vcc, exec, s[2:3]
	s_cbranch_vccnz .LBB337_231
; %bb.230:
	global_load_dword v1, v[2:3], off
.LBB337_231:
	s_mov_b64 s[2:3], 0
.LBB337_232:
	s_andn2_b64 vcc, exec, s[2:3]
	s_cbranch_vccnz .LBB337_243
; %bb.233:
	s_cmp_lt_i32 s10, 6
	s_cbranch_scc1 .LBB337_236
; %bb.234:
	s_cmp_gt_i32 s10, 6
	s_cbranch_scc0 .LBB337_237
; %bb.235:
	global_load_dwordx2 v[4:5], v[2:3], off
	s_movk_i32 s2, 0x1ff
	s_movk_i32 s3, 0xffe
	s_waitcnt vmcnt(1)
	v_mov_b32_e32 v1, 0x7c00
	v_mov_b32_e32 v6, 0x7e00
	s_movk_i32 s6, 0x40f
	s_mov_b32 s7, 0x8000
	s_waitcnt vmcnt(0)
	v_and_or_b32 v4, v5, s2, v4
	v_cmp_ne_u32_e32 vcc, 0, v4
	v_lshrrev_b32_e32 v7, 8, v5
	v_bfe_u32 v9, v5, 20, 11
	v_cndmask_b32_e64 v4, 0, 1, vcc
	v_sub_u32_e32 v10, 0x3f1, v9
	v_and_or_b32 v4, v7, s3, v4
	v_add_u32_e32 v9, 0xfffffc10, v9
	v_med3_i32 v7, v10, 0, 13
	v_or_b32_e32 v10, 0x1000, v4
	v_cmp_ne_u32_e32 vcc, 0, v4
	v_lshl_or_b32 v11, v9, 12, v4
	v_lshrrev_b32_e32 v5, 16, v5
	v_cndmask_b32_e32 v4, v1, v6, vcc
	v_lshrrev_b32_e32 v6, v7, v10
	v_lshlrev_b32_e32 v7, v7, v6
	v_cmp_ne_u32_e32 vcc, v7, v10
	s_mov_b64 s[2:3], 0
	s_nop 0
	v_cndmask_b32_e64 v7, 0, 1, vcc
	v_or_b32_e32 v6, v6, v7
	v_cmp_gt_i32_e32 vcc, 1, v9
	s_nop 1
	v_cndmask_b32_e32 v6, v11, v6, vcc
	v_and_b32_e32 v7, 7, v6
	v_cmp_lt_i32_e32 vcc, 5, v7
	v_lshrrev_b32_e32 v6, 2, v6
	s_nop 0
	v_cndmask_b32_e64 v10, 0, 1, vcc
	v_cmp_eq_u32_e32 vcc, 3, v7
	s_nop 1
	v_cndmask_b32_e64 v7, 0, 1, vcc
	v_or_b32_e32 v7, v7, v10
	v_add_u32_e32 v6, v6, v7
	v_cmp_gt_i32_e32 vcc, 31, v9
	s_nop 1
	v_cndmask_b32_e32 v1, v1, v6, vcc
	v_cmp_eq_u32_e32 vcc, s6, v9
	s_nop 1
	v_cndmask_b32_e32 v1, v1, v4, vcc
	v_and_or_b32 v1, v5, s7, v1
	s_branch .LBB337_238
.LBB337_236:
	s_mov_b64 s[2:3], -1
                                        ; implicit-def: $vgpr1
	s_branch .LBB337_241
.LBB337_237:
	s_mov_b64 s[2:3], -1
                                        ; implicit-def: $vgpr1
.LBB337_238:
	s_andn2_b64 vcc, exec, s[2:3]
	s_cbranch_vccnz .LBB337_240
; %bb.239:
	global_load_dword v1, v[2:3], off
	s_waitcnt vmcnt(0)
	v_cvt_f16_f32_e32 v1, v1
.LBB337_240:
	s_mov_b64 s[2:3], 0
.LBB337_241:
	s_andn2_b64 vcc, exec, s[2:3]
	s_cbranch_vccnz .LBB337_243
; %bb.242:
	global_load_ushort v1, v[2:3], off
.LBB337_243:
	s_cbranch_execnz .LBB337_263
.LBB337_244:
	s_cmp_lt_i32 s10, 2
	s_cbranch_scc1 .LBB337_248
; %bb.245:
	s_cmp_lt_i32 s10, 3
	s_cbranch_scc1 .LBB337_249
; %bb.246:
	s_cmp_gt_i32 s10, 3
	s_cbranch_scc0 .LBB337_250
; %bb.247:
	global_load_dwordx2 v[4:5], v[2:3], off
	s_mov_b64 s[2:3], 0
	s_waitcnt vmcnt(0)
	v_xor_b32_e32 v6, v4, v5
	v_ffbh_i32_e32 v1, v5
	v_ashrrev_i32_e32 v6, 31, v6
	v_add_u32_e32 v1, -1, v1
	v_add_u32_e32 v6, 32, v6
	v_min_u32_e32 v1, v1, v6
	v_lshlrev_b64 v[4:5], v1, v[4:5]
	v_min_u32_e32 v4, 1, v4
	v_or_b32_e32 v4, v5, v4
	v_cvt_f32_i32_e32 v4, v4
	v_sub_u32_e32 v1, 32, v1
	v_ldexp_f32 v1, v4, v1
	v_cvt_f16_f32_e32 v1, v1
	s_branch .LBB337_251
.LBB337_248:
	s_mov_b64 s[2:3], -1
                                        ; implicit-def: $vgpr1
	s_branch .LBB337_257
.LBB337_249:
	s_mov_b64 s[2:3], -1
                                        ; implicit-def: $vgpr1
	s_branch .LBB337_254
.LBB337_250:
	s_mov_b64 s[2:3], -1
                                        ; implicit-def: $vgpr1
.LBB337_251:
	s_andn2_b64 vcc, exec, s[2:3]
	s_cbranch_vccnz .LBB337_253
; %bb.252:
	global_load_dword v1, v[2:3], off
	s_waitcnt vmcnt(0)
	v_cvt_f32_i32_e32 v1, v1
	v_cvt_f16_f32_e32 v1, v1
.LBB337_253:
	s_mov_b64 s[2:3], 0
.LBB337_254:
	s_andn2_b64 vcc, exec, s[2:3]
	s_cbranch_vccnz .LBB337_256
; %bb.255:
	global_load_ushort v1, v[2:3], off
	s_waitcnt vmcnt(0)
	v_cvt_f16_i16_e32 v1, v1
.LBB337_256:
	s_mov_b64 s[2:3], 0
.LBB337_257:
	s_andn2_b64 vcc, exec, s[2:3]
	s_cbranch_vccnz .LBB337_263
; %bb.258:
	s_cmp_gt_i32 s10, 0
	s_cbranch_scc0 .LBB337_260
; %bb.259:
	global_load_sbyte v1, v[2:3], off
	s_mov_b64 s[2:3], 0
	s_waitcnt vmcnt(0)
	v_cvt_f16_i16_e32 v1, v1
	s_branch .LBB337_261
.LBB337_260:
	s_mov_b64 s[2:3], -1
                                        ; implicit-def: $vgpr1
.LBB337_261:
	s_andn2_b64 vcc, exec, s[2:3]
	s_cbranch_vccnz .LBB337_263
; %bb.262:
	global_load_ubyte v1, v[2:3], off
	s_waitcnt vmcnt(0)
	v_cvt_f16_u16_e32 v1, v1
.LBB337_263:
	s_branch .LBB337_26
.LBB337_264:
	s_mov_b64 s[2:3], 0
.LBB337_265:
	s_mov_b64 s[6:7], 0
                                        ; implicit-def: $vgpr8
.LBB337_266:
	s_and_b64 s[56:57], s[2:3], exec
	s_and_b64 s[58:59], s[4:5], exec
	s_orn2_b64 s[4:5], s[6:7], exec
.LBB337_267:
	s_or_b64 exec, exec, s[60:61]
	s_mov_b64 s[8:9], 0
	s_mov_b64 s[2:3], 0
                                        ; implicit-def: $vgpr2_vgpr3
                                        ; implicit-def: $vgpr0
                                        ; implicit-def: $vgpr1
	s_and_saveexec_b64 s[60:61], s[4:5]
	s_cbranch_execz .LBB337_275
; %bb.268:
	v_cmp_gt_i32_e32 vcc, s72, v8
	s_mov_b64 s[2:3], -1
	s_mov_b64 s[62:63], s[58:59]
	s_mov_b64 s[64:65], s[56:57]
	s_and_saveexec_b64 s[66:67], vcc
	s_cbranch_execz .LBB337_544
; %bb.269:
	s_andn2_b64 vcc, exec, s[42:43]
	s_cbranch_vccnz .LBB337_278
; %bb.270:
	s_andn2_b64 vcc, exec, s[54:55]
	s_cbranch_vccnz .LBB337_279
; %bb.271:
	s_add_i32 s65, s77, 1
	s_cmp_eq_u32 s74, 2
	s_cbranch_scc1 .LBB337_280
; %bb.272:
	s_and_b32 s64, s65, 28
	s_mov_b32 s68, 0
	v_mov_b32_e32 v0, 0
	v_mov_b32_e32 v2, 0
	s_mov_b64 s[2:3], s[34:35]
	s_mov_b64 s[62:63], s[52:53]
	v_mov_b32_e32 v4, v8
.LBB337_273:                            ; =>This Inner Loop Header: Depth=1
	s_load_dwordx8 s[12:19], s[2:3], 0x4
	s_load_dwordx4 s[36:39], s[2:3], 0x24
	s_load_dwordx8 s[4:11], s[62:63], 0x0
	s_add_u32 s2, s2, 48
	s_addc_u32 s3, s3, 0
	s_waitcnt vmcnt(0) lgkmcnt(0)
	v_mul_hi_u32 v1, s13, v4
	v_add_u32_e32 v1, v4, v1
	v_lshrrev_b32_e32 v1, s14, v1
	v_mul_lo_u32 v3, v1, s12
	v_mul_hi_u32 v5, s16, v1
	v_sub_u32_e32 v3, v4, v3
	v_add_u32_e32 v4, v1, v5
	v_lshrrev_b32_e32 v4, s17, v4
	v_mul_lo_u32 v6, v4, s15
	v_mul_hi_u32 v7, s19, v4
	v_sub_u32_e32 v1, v1, v6
	v_add_u32_e32 v6, v4, v7
	v_mul_lo_u32 v5, v3, s5
	v_mul_lo_u32 v3, v3, s4
	;; [unrolled: 1-line block ×4, first 2 shown]
	v_lshrrev_b32_e32 v6, s36, v6
	v_add3_u32 v0, v3, v0, v1
	v_mul_hi_u32 v3, s38, v6
	v_add3_u32 v1, v5, v2, v7
	v_mul_lo_u32 v2, v6, s18
	v_add_u32_e32 v3, v6, v3
	v_sub_u32_e32 v2, v4, v2
	v_lshrrev_b32_e32 v4, s39, v3
	s_add_i32 s68, s68, 4
	v_mul_lo_u32 v3, v4, s37
	s_add_u32 s62, s62, 32
	v_sub_u32_e32 v3, v6, v3
	s_addc_u32 s63, s63, 0
	v_mul_lo_u32 v5, v2, s8
	v_mul_lo_u32 v2, v2, s9
	;; [unrolled: 1-line block ×4, first 2 shown]
	s_cmp_eq_u32 s64, s68
	v_add3_u32 v2, v2, v1, v3
	v_add3_u32 v0, v5, v0, v6
	s_cbranch_scc0 .LBB337_273
; %bb.274:
	v_mov_b32_e32 v1, v2
	s_branch .LBB337_281
.LBB337_275:
	s_or_b64 exec, exec, s[60:61]
	s_mov_b64 s[4:5], 0
	s_and_saveexec_b64 s[6:7], s[58:59]
	s_cbranch_execnz .LBB337_922
.LBB337_276:
	s_or_b64 exec, exec, s[6:7]
	s_and_saveexec_b64 s[6:7], s[64:65]
	s_xor_b64 s[6:7], exec, s[6:7]
	s_cbranch_execz .LBB337_923
.LBB337_277:
	global_load_ubyte v1, v[2:3], off
	v_mov_b32_e32 v4, 0x3c00
	s_or_b64 s[2:3], s[2:3], exec
	s_waitcnt vmcnt(0)
	v_cmp_ne_u16_e32 vcc, 0, v1
	s_nop 1
	v_cndmask_b32_e32 v1, 0, v4, vcc
	s_or_b64 exec, exec, s[6:7]
	s_and_saveexec_b64 s[6:7], s[8:9]
	s_cbranch_execz .LBB337_969
	s_branch .LBB337_924
.LBB337_278:
                                        ; implicit-def: $vgpr2
                                        ; implicit-def: $vgpr0
	s_andn2_b64 vcc, exec, s[2:3]
	s_cbranch_vccz .LBB337_285
	s_branch .LBB337_287
.LBB337_279:
	v_mov_b32_e32 v2, 0
	v_mov_b32_e32 v0, 0
	s_branch .LBB337_284
.LBB337_280:
	v_mov_b32_e32 v0, 0
	s_mov_b32 s64, 0
	s_waitcnt vmcnt(0)
	v_mov_b32_e32 v1, v0
                                        ; implicit-def: $vgpr2
	v_mov_b32_e32 v4, v8
.LBB337_281:
	s_and_b32 s6, s65, 3
	s_cmp_eq_u32 s6, 0
	s_cbranch_scc1 .LBB337_284
; %bb.282:
	s_lshl_b32 s2, s64, 3
	s_add_u32 s2, s34, s2
	s_addc_u32 s3, s35, 0
	s_add_u32 s2, s2, 0xc4
	s_addc_u32 s3, s3, 0
	s_mul_i32 s4, s64, 12
	s_add_u32 s4, s34, s4
	s_addc_u32 s5, s35, 0
.LBB337_283:                            ; =>This Inner Loop Header: Depth=1
	s_load_dwordx2 s[8:9], s[4:5], 0x4
	s_load_dword s7, s[4:5], 0xc
	s_load_dwordx2 s[10:11], s[2:3], 0x0
	v_mov_b32_e32 v2, v1
	s_add_u32 s4, s4, 12
	s_waitcnt lgkmcnt(0)
	v_mul_hi_u32 v1, s9, v4
	v_add_u32_e32 v1, v4, v1
	v_lshrrev_b32_e32 v1, s7, v1
	s_addc_u32 s5, s5, 0
	v_mul_lo_u32 v3, v1, s8
	s_add_u32 s2, s2, 8
	v_sub_u32_e32 v5, v4, v3
	s_addc_u32 s3, s3, 0
	s_add_i32 s6, s6, -1
	v_mov_b32_e32 v4, v1
	v_mad_u64_u32 v[2:3], s[8:9], v5, s11, v[2:3]
	v_mad_u64_u32 v[0:1], s[8:9], v5, s10, v[0:1]
	s_cmp_lg_u32 s6, 0
	v_mov_b32_e32 v1, v2
	s_cbranch_scc1 .LBB337_283
.LBB337_284:
	s_cbranch_execnz .LBB337_287
.LBB337_285:
	v_mul_hi_u32 v0, s25, v8
	v_add_u32_e32 v0, v8, v0
	s_waitcnt vmcnt(0)
	v_lshrrev_b32_e32 v1, s26, v0
	v_mul_lo_u32 v0, v1, s24
	v_sub_u32_e32 v0, v8, v0
	v_mul_lo_u32 v2, v0, s29
	s_andn2_b64 vcc, exec, s[50:51]
	v_mul_lo_u32 v0, v0, s28
	s_cbranch_vccnz .LBB337_287
; %bb.286:
	v_mul_hi_u32 v3, s48, v1
	v_add_u32_e32 v3, v1, v3
	v_lshrrev_b32_e32 v3, s49, v3
	v_mul_lo_u32 v3, v3, s27
	v_sub_u32_e32 v3, v1, v3
	v_mad_u64_u32 v[0:1], s[2:3], v3, s30, v[0:1]
	v_mad_u64_u32 v[2:3], s[2:3], v3, s31, v[2:3]
.LBB337_287:
	v_mov_b32_e32 v3, 0
	s_and_b32 s10, 0xffff, s76
	s_cmp_lt_i32 s10, 11
	v_lshl_add_u64 v[2:3], s[22:23], 0, v[2:3]
	s_cbranch_scc1 .LBB337_294
; %bb.288:
	s_cmp_gt_i32 s10, 25
	s_cbranch_scc0 .LBB337_303
; %bb.289:
	s_cmp_gt_i32 s10, 28
	s_cbranch_scc0 .LBB337_305
	;; [unrolled: 3-line block ×4, first 2 shown]
; %bb.292:
	s_cmp_eq_u32 s10, 46
	s_mov_b64 s[6:7], 0
	s_cbranch_scc0 .LBB337_315
; %bb.293:
	global_load_dword v1, v[2:3], off
	s_mov_b64 s[2:3], -1
	s_mov_b64 s[4:5], 0
	s_waitcnt vmcnt(0)
	v_lshlrev_b32_e32 v1, 16, v1
	v_cvt_f16_f32_e32 v1, v1
	s_branch .LBB337_316
.LBB337_294:
	s_mov_b64 s[2:3], 0
                                        ; implicit-def: $vgpr1
	s_mov_b64 s[4:5], s[58:59]
	s_cbranch_execnz .LBB337_493
.LBB337_295:
	s_andn2_b64 vcc, exec, s[2:3]
	s_cbranch_vccnz .LBB337_541
.LBB337_296:
	v_mov_b32_e32 v2, s46
	s_waitcnt vmcnt(0)
	v_cmp_lt_f16_e32 vcc, s46, v1
	v_mov_b32_e32 v3, s75
	s_and_b32 s12, s47, 0xff
	v_cndmask_b32_e32 v2, v2, v1, vcc
	v_cmp_gt_f16_e32 vcc, s75, v2
	s_cmp_lt_i32 s12, 11
	s_nop 0
	v_cndmask_b32_e32 v2, v3, v2, vcc
	v_cmp_u_f16_e32 vcc, v1, v1
	s_nop 1
	v_cndmask_b32_e32 v2, v2, v1, vcc
	v_mov_b32_e32 v1, 0
	v_lshl_add_u64 v[0:1], s[20:21], 0, v[0:1]
	s_cbranch_scc1 .LBB337_304
; %bb.297:
	s_and_b32 s13, 0xffff, s12
	s_cmp_gt_i32 s13, 25
	s_cbranch_scc0 .LBB337_306
; %bb.298:
	s_cmp_gt_i32 s13, 28
	s_cbranch_scc0 .LBB337_308
; %bb.299:
	;; [unrolled: 3-line block ×4, first 2 shown]
	s_mov_b64 s[8:9], 0
	s_mov_b64 s[2:3], -1
	s_cmp_eq_u32 s13, 46
	s_mov_b64 s[6:7], 0
	s_cbranch_scc0 .LBB337_320
; %bb.302:
	v_cvt_f32_f16_e32 v3, v2
	s_movk_i32 s2, 0x7fff
	v_cmp_o_f16_e32 vcc, v2, v2
	v_mov_b32_e32 v4, 0x7fc0
	v_bfe_u32 v5, v3, 16, 1
	v_add3_u32 v3, v3, v5, s2
	v_cndmask_b32_sdwa v3, v4, v3, vcc dst_sel:DWORD dst_unused:UNUSED_PAD src0_sel:DWORD src1_sel:WORD_1
	global_store_dword v[0:1], v3, off
	s_mov_b64 s[6:7], -1
	s_mov_b64 s[2:3], 0
	s_branch .LBB337_320
.LBB337_303:
	s_mov_b64 s[6:7], -1
	s_mov_b64 s[2:3], 0
	s_mov_b64 s[4:5], s[58:59]
                                        ; implicit-def: $vgpr1
	s_branch .LBB337_457
.LBB337_304:
	s_mov_b64 s[8:9], -1
	s_mov_b64 s[6:7], 0
	s_mov_b64 s[2:3], s[56:57]
	s_branch .LBB337_389
.LBB337_305:
	s_mov_b64 s[6:7], -1
	s_mov_b64 s[2:3], 0
	s_mov_b64 s[4:5], s[58:59]
                                        ; implicit-def: $vgpr1
	s_branch .LBB337_438
.LBB337_306:
	s_mov_b64 s[8:9], -1
	s_mov_b64 s[6:7], 0
	s_mov_b64 s[2:3], s[56:57]
	s_branch .LBB337_347
.LBB337_307:
	s_mov_b64 s[6:7], -1
	s_mov_b64 s[2:3], 0
	s_mov_b64 s[4:5], s[58:59]
                                        ; implicit-def: $vgpr1
	s_branch .LBB337_433
.LBB337_308:
	s_mov_b64 s[8:9], -1
	s_mov_b64 s[6:7], 0
	s_mov_b64 s[2:3], s[56:57]
	s_branch .LBB337_330
.LBB337_309:
	s_andn2_saveexec_b64 s[10:11], s[10:11]
	s_cbranch_execz .LBB337_69
.LBB337_310:
	s_mov_b32 s14, 0x46000000
	v_add_f32_e64 v4, |v3|, s14
	v_and_b32_e32 v4, 0xff, v4
	v_cmp_ne_u32_e32 vcc, 0, v4
	s_andn2_b64 s[8:9], s[8:9], exec
	s_and_b64 s[14:15], vcc, exec
	s_or_b64 s[8:9], s[8:9], s[14:15]
	s_or_b64 exec, exec, s[10:11]
	v_mov_b32_e32 v5, 0
	s_and_saveexec_b64 s[10:11], s[8:9]
	s_cbranch_execnz .LBB337_70
	s_branch .LBB337_71
.LBB337_311:
	s_mov_b64 s[6:7], -1
	s_mov_b64 s[2:3], 0
	s_mov_b64 s[4:5], s[58:59]
                                        ; implicit-def: $vgpr1
	s_branch .LBB337_316
.LBB337_312:
	s_mov_b64 s[8:9], -1
	s_mov_b64 s[6:7], 0
	s_mov_b64 s[2:3], s[56:57]
	s_branch .LBB337_326
.LBB337_313:
	s_andn2_saveexec_b64 s[10:11], s[10:11]
	s_cbranch_execz .LBB337_82
.LBB337_314:
	s_mov_b32 s14, 0x42800000
	v_add_f32_e64 v4, |v3|, s14
	v_and_b32_e32 v4, 0xff, v4
	v_cmp_ne_u32_e32 vcc, 0, v4
	s_andn2_b64 s[8:9], s[8:9], exec
	s_and_b64 s[14:15], vcc, exec
	s_or_b64 s[8:9], s[8:9], s[14:15]
	s_or_b64 exec, exec, s[10:11]
	v_mov_b32_e32 v5, 0
	s_and_saveexec_b64 s[10:11], s[8:9]
	s_cbranch_execnz .LBB337_83
	s_branch .LBB337_84
.LBB337_315:
	s_mov_b64 s[4:5], -1
                                        ; implicit-def: $vgpr1
	s_mov_b64 s[2:3], 0
.LBB337_316:
	s_and_b64 vcc, exec, s[6:7]
	s_cbranch_vccz .LBB337_432
; %bb.317:
	s_cmp_eq_u32 s10, 44
	s_cbranch_scc0 .LBB337_431
; %bb.318:
	global_load_ubyte v1, v[2:3], off
	s_movk_i32 s4, 0xff
	v_mov_b32_e32 v5, 0x7e00
	s_mov_b64 s[2:3], -1
	s_waitcnt vmcnt(0)
	v_lshlrev_b32_e32 v4, 23, v1
	v_cvt_f16_f32_e32 v4, v4
	v_cmp_ne_u32_e32 vcc, s4, v1
	s_mov_b64 s[4:5], 0
	s_nop 0
	v_cndmask_b32_e32 v4, v5, v4, vcc
	v_cmp_ne_u32_e32 vcc, 0, v1
	s_nop 1
	v_cndmask_b32_e32 v1, 0, v4, vcc
	s_branch .LBB337_432
.LBB337_319:
	s_mov_b64 s[8:9], -1
	s_mov_b64 s[6:7], 0
	s_mov_b64 s[2:3], s[56:57]
.LBB337_320:
	s_and_b64 vcc, exec, s[8:9]
	s_cbranch_vccz .LBB337_325
; %bb.321:
	s_cmp_eq_u32 s13, 44
	s_mov_b64 s[2:3], -1
	s_cbranch_scc0 .LBB337_325
; %bb.322:
	v_cvt_f32_f16_e32 v3, v2
	s_movk_i32 s2, 0xff
	v_mov_b32_e32 v5, 0xff
	v_bfe_u32 v4, v3, 23, 8
	v_cmp_ne_u32_e32 vcc, s2, v4
	s_and_saveexec_b64 s[6:7], vcc
; %bb.323:
	s_mov_b32 s2, 0x3fffff
	v_lshrrev_b32_e32 v5, 23, v3
	v_and_b32_e32 v6, 0x400000, v3
	v_and_or_b32 v3, v3, s2, v4
	v_cmp_ne_u32_e32 vcc, 0, v6
	v_cmp_ne_u32_e64 s[2:3], 0, v3
	s_and_b64 s[2:3], vcc, s[2:3]
	s_nop 0
	v_cndmask_b32_e64 v3, 0, 1, s[2:3]
	v_add_u32_e32 v5, v5, v3
; %bb.324:
	s_or_b64 exec, exec, s[6:7]
	s_mov_b64 s[6:7], -1
	s_mov_b64 s[2:3], 0
	global_store_byte v[0:1], v5, off
.LBB337_325:
	s_mov_b64 s[8:9], 0
.LBB337_326:
	s_and_b64 vcc, exec, s[8:9]
	s_cbranch_vccz .LBB337_329
; %bb.327:
	s_cmp_eq_u32 s13, 29
	s_mov_b64 s[2:3], -1
	s_cbranch_scc0 .LBB337_329
; %bb.328:
	v_cvt_f32_f16_e32 v3, v2
	v_mov_b32_e32 v5, 0
	s_mov_b64 s[6:7], -1
	s_mov_b64 s[2:3], 0
	v_cvt_u32_f32_e32 v4, v3
	s_mov_b64 s[8:9], 0
	global_store_dwordx2 v[0:1], v[4:5], off
	s_branch .LBB337_330
.LBB337_329:
	s_mov_b64 s[8:9], 0
.LBB337_330:
	s_and_b64 vcc, exec, s[8:9]
	s_cbranch_vccz .LBB337_346
; %bb.331:
	s_cmp_lt_i32 s13, 27
	s_mov_b64 s[6:7], -1
	s_cbranch_scc1 .LBB337_337
; %bb.332:
	s_cmp_gt_i32 s13, 27
	s_cbranch_scc0 .LBB337_334
; %bb.333:
	v_cvt_f32_f16_e32 v3, v2
	s_mov_b64 s[6:7], 0
	v_cvt_u32_f32_e32 v3, v3
	global_store_dword v[0:1], v3, off
.LBB337_334:
	s_andn2_b64 vcc, exec, s[6:7]
	s_cbranch_vccnz .LBB337_336
; %bb.335:
	v_cvt_u16_f16_e32 v3, v2
	global_store_short v[0:1], v3, off
.LBB337_336:
	s_mov_b64 s[6:7], 0
.LBB337_337:
	s_andn2_b64 vcc, exec, s[6:7]
	s_cbranch_vccnz .LBB337_345
; %bb.338:
	v_cvt_f32_f16_e32 v3, v2
	s_mov_b32 s6, 0x43800000
	v_mov_b32_e32 v5, 0x80
	v_and_b32_e32 v4, 0x7fffffff, v3
	v_cmp_gt_u32_e32 vcc, s6, v4
	s_and_saveexec_b64 s[6:7], vcc
	s_cbranch_execz .LBB337_344
; %bb.339:
	s_mov_b32 s8, 0x3bffffff
	v_cmp_lt_u32_e32 vcc, s8, v4
	s_mov_b64 s[8:9], 0
                                        ; implicit-def: $vgpr4
	s_and_saveexec_b64 s[10:11], vcc
	s_xor_b64 s[10:11], exec, s[10:11]
	s_cbranch_execz .LBB337_573
; %bb.340:
	v_bfe_u32 v4, v3, 20, 1
	s_mov_b32 s14, 0x487ffff
	v_add3_u32 v4, v3, v4, s14
	s_mov_b64 s[8:9], exec
	v_lshrrev_b32_e32 v4, 20, v4
	s_andn2_saveexec_b64 s[10:11], s[10:11]
	s_cbranch_execnz .LBB337_574
.LBB337_341:
	s_or_b64 exec, exec, s[10:11]
	v_mov_b32_e32 v5, 0
	s_and_saveexec_b64 s[10:11], s[8:9]
.LBB337_342:
	v_lshrrev_b32_e32 v3, 24, v3
	s_movk_i32 s8, 0x80
	v_and_or_b32 v5, v3, s8, v4
.LBB337_343:
	s_or_b64 exec, exec, s[10:11]
.LBB337_344:
	s_or_b64 exec, exec, s[6:7]
	global_store_byte v[0:1], v5, off
.LBB337_345:
	s_mov_b64 s[6:7], -1
.LBB337_346:
	s_mov_b64 s[8:9], 0
.LBB337_347:
	s_and_b64 vcc, exec, s[8:9]
	s_cbranch_vccz .LBB337_388
; %bb.348:
	s_cmp_gt_i32 s13, 22
	s_mov_b64 s[8:9], -1
	s_cbranch_scc0 .LBB337_380
; %bb.349:
	s_cmp_lt_i32 s13, 24
	s_mov_b64 s[6:7], -1
	s_cbranch_scc1 .LBB337_369
; %bb.350:
	s_cmp_gt_i32 s13, 24
	s_cbranch_scc0 .LBB337_358
; %bb.351:
	v_cvt_f32_f16_e32 v3, v2
	s_mov_b32 s6, 0x47800000
	v_mov_b32_e32 v5, 0x80
	v_and_b32_e32 v4, 0x7fffffff, v3
	v_cmp_gt_u32_e32 vcc, s6, v4
	s_and_saveexec_b64 s[6:7], vcc
	s_cbranch_execz .LBB337_357
; %bb.352:
	s_mov_b32 s8, 0x37ffffff
	v_cmp_lt_u32_e32 vcc, s8, v4
	s_mov_b64 s[8:9], 0
                                        ; implicit-def: $vgpr4
	s_and_saveexec_b64 s[10:11], vcc
	s_xor_b64 s[10:11], exec, s[10:11]
	s_cbranch_execz .LBB337_576
; %bb.353:
	v_bfe_u32 v4, v3, 21, 1
	s_mov_b32 s14, 0x88fffff
	v_add3_u32 v4, v3, v4, s14
	s_mov_b64 s[8:9], exec
	v_lshrrev_b32_e32 v4, 21, v4
	s_andn2_saveexec_b64 s[10:11], s[10:11]
	s_cbranch_execnz .LBB337_577
.LBB337_354:
	s_or_b64 exec, exec, s[10:11]
	v_mov_b32_e32 v5, 0
	s_and_saveexec_b64 s[10:11], s[8:9]
.LBB337_355:
	v_lshrrev_b32_e32 v3, 24, v3
	s_movk_i32 s8, 0x80
	v_and_or_b32 v5, v3, s8, v4
.LBB337_356:
	s_or_b64 exec, exec, s[10:11]
.LBB337_357:
	s_or_b64 exec, exec, s[6:7]
	s_mov_b64 s[6:7], 0
	global_store_byte v[0:1], v5, off
.LBB337_358:
	s_and_b64 vcc, exec, s[6:7]
	s_cbranch_vccz .LBB337_368
; %bb.359:
	v_cvt_f32_f16_e32 v3, v2
	s_mov_b32 s6, 0x43f00000
                                        ; implicit-def: $vgpr4
	v_and_b32_e32 v5, 0x7fffffff, v3
	v_cmp_gt_u32_e32 vcc, s6, v5
	s_and_saveexec_b64 s[6:7], vcc
	s_xor_b64 s[6:7], exec, s[6:7]
	s_cbranch_execz .LBB337_365
; %bb.360:
	s_mov_b32 s8, 0x3c7fffff
	v_cmp_lt_u32_e32 vcc, s8, v5
                                        ; implicit-def: $vgpr4
	s_and_saveexec_b64 s[8:9], vcc
	s_xor_b64 s[8:9], exec, s[8:9]
; %bb.361:
	v_bfe_u32 v4, v3, 20, 1
	s_mov_b32 s10, 0x407ffff
	v_add3_u32 v4, v3, v4, s10
	v_lshrrev_b32_e32 v5, 20, v4
	v_and_b32_e32 v4, 0xff00000, v4
	s_mov_b32 s10, 0x7f00000
	v_mov_b32_e32 v6, 0x7e
	v_cmp_ne_u32_e32 vcc, s10, v4
	s_nop 1
	v_cndmask_b32_e32 v4, v6, v5, vcc
; %bb.362:
	s_andn2_saveexec_b64 s[8:9], s[8:9]
; %bb.363:
	s_mov_b32 s10, 0x46800000
	v_add_f32_e64 v4, |v3|, s10
; %bb.364:
	s_or_b64 exec, exec, s[8:9]
                                        ; implicit-def: $vgpr5
.LBB337_365:
	s_andn2_saveexec_b64 s[6:7], s[6:7]
; %bb.366:
	s_mov_b32 s8, 0x7f800000
	v_mov_b32_e32 v4, 0x7e
	v_mov_b32_e32 v6, 0x7f
	v_cmp_lt_u32_e32 vcc, s8, v5
	s_nop 1
	v_cndmask_b32_e32 v4, v4, v6, vcc
; %bb.367:
	s_or_b64 exec, exec, s[6:7]
	v_lshrrev_b32_e32 v3, 24, v3
	s_movk_i32 s6, 0x80
	v_and_or_b32 v3, v3, s6, v4
	global_store_byte v[0:1], v3, off
.LBB337_368:
	s_mov_b64 s[6:7], 0
.LBB337_369:
	s_andn2_b64 vcc, exec, s[6:7]
	s_cbranch_vccnz .LBB337_379
; %bb.370:
	v_cvt_f32_f16_e32 v3, v2
	s_mov_b32 s6, 0x47800000
                                        ; implicit-def: $vgpr4
	v_and_b32_e32 v5, 0x7fffffff, v3
	v_cmp_gt_u32_e32 vcc, s6, v5
	s_and_saveexec_b64 s[6:7], vcc
	s_xor_b64 s[6:7], exec, s[6:7]
	s_cbranch_execz .LBB337_376
; %bb.371:
	s_mov_b32 s8, 0x387fffff
	v_cmp_lt_u32_e32 vcc, s8, v5
                                        ; implicit-def: $vgpr4
	s_and_saveexec_b64 s[8:9], vcc
	s_xor_b64 s[8:9], exec, s[8:9]
; %bb.372:
	v_bfe_u32 v4, v3, 21, 1
	s_mov_b32 s10, 0x80fffff
	v_add3_u32 v4, v3, v4, s10
	v_lshrrev_b32_e32 v4, 21, v4
; %bb.373:
	s_andn2_saveexec_b64 s[8:9], s[8:9]
; %bb.374:
	s_mov_b32 s10, 0x43000000
	v_add_f32_e64 v4, |v3|, s10
; %bb.375:
	s_or_b64 exec, exec, s[8:9]
                                        ; implicit-def: $vgpr5
.LBB337_376:
	s_andn2_saveexec_b64 s[6:7], s[6:7]
; %bb.377:
	s_mov_b32 s8, 0x7f800000
	v_mov_b32_e32 v4, 0x7c
	v_mov_b32_e32 v6, 0x7f
	v_cmp_lt_u32_e32 vcc, s8, v5
	s_nop 1
	v_cndmask_b32_e32 v4, v4, v6, vcc
; %bb.378:
	s_or_b64 exec, exec, s[6:7]
	v_lshrrev_b32_e32 v3, 24, v3
	s_movk_i32 s6, 0x80
	v_and_or_b32 v3, v3, s6, v4
	global_store_byte v[0:1], v3, off
.LBB337_379:
	s_mov_b64 s[8:9], 0
	s_mov_b64 s[6:7], -1
.LBB337_380:
	s_andn2_b64 vcc, exec, s[8:9]
	s_cbranch_vccnz .LBB337_388
; %bb.381:
	s_cmp_gt_i32 s13, 14
	s_mov_b64 s[8:9], -1
	s_cbranch_scc0 .LBB337_385
; %bb.382:
	s_cmp_eq_u32 s13, 15
	s_mov_b64 s[2:3], -1
	s_cbranch_scc0 .LBB337_384
; %bb.383:
	v_cvt_f32_f16_e32 v3, v2
	s_movk_i32 s2, 0x7fff
	v_cmp_o_f16_e32 vcc, v2, v2
	v_mov_b32_e32 v4, 0x7fc0
	v_bfe_u32 v5, v3, 16, 1
	v_add3_u32 v3, v3, v5, s2
	v_cndmask_b32_sdwa v3, v4, v3, vcc dst_sel:DWORD dst_unused:UNUSED_PAD src0_sel:DWORD src1_sel:WORD_1
	global_store_short v[0:1], v3, off
	s_mov_b64 s[6:7], -1
	s_mov_b64 s[2:3], 0
.LBB337_384:
	s_mov_b64 s[8:9], 0
.LBB337_385:
	s_and_b64 vcc, exec, s[8:9]
	s_cbranch_vccz .LBB337_388
; %bb.386:
	s_cmp_eq_u32 s13, 11
	s_mov_b64 s[2:3], -1
	s_cbranch_scc0 .LBB337_388
; %bb.387:
	v_and_b32_e32 v3, 0x7fff, v2
	v_cmp_ne_u16_e32 vcc, 0, v3
	s_mov_b64 s[6:7], -1
	s_mov_b64 s[2:3], 0
	v_cndmask_b32_e64 v3, 0, 1, vcc
	global_store_byte v[0:1], v3, off
.LBB337_388:
	s_mov_b64 s[8:9], 0
.LBB337_389:
	s_and_b64 vcc, exec, s[8:9]
	s_cbranch_vccz .LBB337_428
; %bb.390:
	s_and_b32 s8, 0xffff, s12
	s_cmp_lt_i32 s8, 5
	s_mov_b64 s[6:7], -1
	s_cbranch_scc1 .LBB337_411
; %bb.391:
	s_cmp_lt_i32 s8, 8
	s_cbranch_scc1 .LBB337_401
; %bb.392:
	s_cmp_lt_i32 s8, 9
	s_cbranch_scc1 .LBB337_398
; %bb.393:
	s_cmp_gt_i32 s8, 9
	s_cbranch_scc0 .LBB337_395
; %bb.394:
	v_cvt_f32_f16_e32 v3, v2
	v_mov_b32_e32 v6, 0
	v_mov_b32_e32 v7, v6
	s_mov_b64 s[6:7], 0
	v_cvt_f64_f32_e32 v[4:5], v3
	global_store_dwordx4 v[0:1], v[4:7], off
.LBB337_395:
	s_andn2_b64 vcc, exec, s[6:7]
	s_cbranch_vccnz .LBB337_397
; %bb.396:
	v_cvt_f32_f16_e32 v4, v2
	v_mov_b32_e32 v5, 0
	global_store_dwordx2 v[0:1], v[4:5], off
.LBB337_397:
	s_mov_b64 s[6:7], 0
.LBB337_398:
	s_andn2_b64 vcc, exec, s[6:7]
	s_cbranch_vccnz .LBB337_400
; %bb.399:
	v_and_b32_e32 v3, 0xffff, v2
	global_store_dword v[0:1], v3, off
.LBB337_400:
	s_mov_b64 s[6:7], 0
.LBB337_401:
	s_andn2_b64 vcc, exec, s[6:7]
	s_cbranch_vccnz .LBB337_410
; %bb.402:
	s_cmp_lt_i32 s8, 6
	s_mov_b64 s[6:7], -1
	s_cbranch_scc1 .LBB337_408
; %bb.403:
	s_cmp_gt_i32 s8, 6
	s_cbranch_scc0 .LBB337_405
; %bb.404:
	v_cvt_f32_f16_e32 v3, v2
	s_mov_b64 s[6:7], 0
	v_cvt_f64_f32_e32 v[4:5], v3
	global_store_dwordx2 v[0:1], v[4:5], off
.LBB337_405:
	s_andn2_b64 vcc, exec, s[6:7]
	s_cbranch_vccnz .LBB337_407
; %bb.406:
	v_cvt_f32_f16_e32 v3, v2
	global_store_dword v[0:1], v3, off
.LBB337_407:
	s_mov_b64 s[6:7], 0
.LBB337_408:
	s_andn2_b64 vcc, exec, s[6:7]
	s_cbranch_vccnz .LBB337_410
; %bb.409:
	global_store_short v[0:1], v2, off
.LBB337_410:
	s_mov_b64 s[6:7], 0
.LBB337_411:
	s_andn2_b64 vcc, exec, s[6:7]
	s_cbranch_vccnz .LBB337_427
; %bb.412:
	s_cmp_lt_i32 s8, 2
	s_mov_b64 s[6:7], -1
	s_cbranch_scc1 .LBB337_422
; %bb.413:
	s_cmp_lt_i32 s8, 3
	s_cbranch_scc1 .LBB337_419
; %bb.414:
	s_cmp_gt_i32 s8, 3
	s_cbranch_scc0 .LBB337_416
; %bb.415:
	v_cvt_f32_f16_e32 v3, v2
	s_mov_b64 s[6:7], 0
	v_cvt_i32_f32_e32 v4, v3
	v_ashrrev_i32_e32 v5, 31, v4
	global_store_dwordx2 v[0:1], v[4:5], off
.LBB337_416:
	s_andn2_b64 vcc, exec, s[6:7]
	s_cbranch_vccnz .LBB337_418
; %bb.417:
	v_cvt_f32_f16_e32 v3, v2
	v_cvt_i32_f32_e32 v3, v3
	global_store_dword v[0:1], v3, off
.LBB337_418:
	s_mov_b64 s[6:7], 0
.LBB337_419:
	s_andn2_b64 vcc, exec, s[6:7]
	s_cbranch_vccnz .LBB337_421
; %bb.420:
	v_cvt_i16_f16_e32 v3, v2
	global_store_short v[0:1], v3, off
.LBB337_421:
	s_mov_b64 s[6:7], 0
.LBB337_422:
	s_andn2_b64 vcc, exec, s[6:7]
	s_cbranch_vccnz .LBB337_427
; %bb.423:
	s_cmp_gt_i32 s8, 0
	s_mov_b64 s[6:7], -1
	s_cbranch_scc0 .LBB337_425
; %bb.424:
	v_cvt_i16_f16_e32 v3, v2
	s_mov_b64 s[6:7], 0
	global_store_byte v[0:1], v3, off
.LBB337_425:
	s_andn2_b64 vcc, exec, s[6:7]
	s_cbranch_vccnz .LBB337_427
; %bb.426:
	v_cvt_f32_f16_e32 v2, v2
	v_cvt_i32_f32_e32 v2, v2
	global_store_byte v[0:1], v2, off
.LBB337_427:
	s_mov_b64 s[6:7], -1
.LBB337_428:
	s_andn2_b64 vcc, exec, s[6:7]
	s_cbranch_vccnz .LBB337_430
; %bb.429:
	v_add_u32_e32 v8, 0x80, v8
	s_mov_b64 s[6:7], -1
	s_branch .LBB337_543
.LBB337_430:
	s_mov_b64 s[6:7], 0
	s_branch .LBB337_542
.LBB337_431:
	s_mov_b64 s[4:5], -1
                                        ; implicit-def: $vgpr1
.LBB337_432:
	s_mov_b64 s[6:7], 0
.LBB337_433:
	s_and_b64 vcc, exec, s[6:7]
	s_cbranch_vccz .LBB337_437
; %bb.434:
	s_cmp_eq_u32 s10, 29
	s_cbranch_scc0 .LBB337_436
; %bb.435:
	global_load_dwordx2 v[4:5], v[2:3], off
	s_mov_b64 s[2:3], -1
	s_mov_b64 s[4:5], 0
	s_mov_b64 s[6:7], 0
	s_waitcnt vmcnt(0)
	v_ffbh_u32_e32 v1, v5
	v_min_u32_e32 v1, 32, v1
	v_lshlrev_b64 v[4:5], v1, v[4:5]
	v_min_u32_e32 v4, 1, v4
	v_or_b32_e32 v4, v5, v4
	v_cvt_f32_u32_e32 v4, v4
	v_sub_u32_e32 v1, 32, v1
	v_ldexp_f32 v1, v4, v1
	v_cvt_f16_f32_e32 v1, v1
	s_branch .LBB337_438
.LBB337_436:
	s_mov_b64 s[4:5], -1
                                        ; implicit-def: $vgpr1
.LBB337_437:
	s_mov_b64 s[6:7], 0
.LBB337_438:
	s_and_b64 vcc, exec, s[6:7]
	s_cbranch_vccz .LBB337_456
; %bb.439:
	s_cmp_lt_i32 s10, 27
	s_cbranch_scc1 .LBB337_442
; %bb.440:
	s_cmp_gt_i32 s10, 27
	s_cbranch_scc0 .LBB337_443
; %bb.441:
	global_load_dword v1, v[2:3], off
	s_mov_b64 s[2:3], 0
	s_waitcnt vmcnt(0)
	v_cvt_f32_u32_e32 v1, v1
	v_cvt_f16_f32_e32 v1, v1
	s_branch .LBB337_444
.LBB337_442:
	s_mov_b64 s[2:3], -1
                                        ; implicit-def: $vgpr1
	s_branch .LBB337_447
.LBB337_443:
	s_mov_b64 s[2:3], -1
                                        ; implicit-def: $vgpr1
.LBB337_444:
	s_andn2_b64 vcc, exec, s[2:3]
	s_cbranch_vccnz .LBB337_446
; %bb.445:
	global_load_ushort v1, v[2:3], off
	s_waitcnt vmcnt(0)
	v_cvt_f16_u16_e32 v1, v1
.LBB337_446:
	s_mov_b64 s[2:3], 0
.LBB337_447:
	s_andn2_b64 vcc, exec, s[2:3]
	s_cbranch_vccnz .LBB337_455
; %bb.448:
	global_load_ubyte v4, v[2:3], off
	s_movk_i32 s2, 0x7f
	s_waitcnt vmcnt(0)
	v_cmp_lt_i16_e32 vcc, s2, v4
	s_mov_b64 s[2:3], 0
	s_and_saveexec_b64 s[6:7], vcc
	s_xor_b64 s[6:7], exec, s[6:7]
	s_cbranch_execz .LBB337_469
; %bb.449:
	s_movk_i32 s2, 0x80
	v_cmp_eq_u16_e32 vcc, s2, v4
	s_mov_b64 s[2:3], -1
	s_and_saveexec_b64 s[8:9], vcc
; %bb.450:
	s_xor_b64 s[2:3], exec, -1
; %bb.451:
	s_or_b64 exec, exec, s[8:9]
	s_and_b64 s[2:3], s[2:3], exec
	s_or_saveexec_b64 s[6:7], s[6:7]
	v_mov_b32_e32 v1, 0x7e00
	s_xor_b64 exec, exec, s[6:7]
	s_cbranch_execnz .LBB337_470
.LBB337_452:
	s_or_b64 exec, exec, s[6:7]
	s_and_saveexec_b64 s[6:7], s[2:3]
	s_cbranch_execz .LBB337_454
.LBB337_453:
	v_lshlrev_b32_e32 v1, 24, v4
	v_and_b32_e32 v4, 0xffff, v4
	v_and_b32_e32 v5, 7, v4
	v_ffbh_u32_e32 v7, v5
	v_min_u32_e32 v7, 32, v7
	v_subrev_u32_e32 v9, 28, v7
	v_bfe_u32 v6, v4, 3, 4
	v_lshlrev_b32_e32 v4, v9, v4
	v_sub_u32_e32 v7, 29, v7
	v_and_b32_e32 v4, 7, v4
	v_cmp_eq_u32_e32 vcc, 0, v6
	v_and_b32_e32 v1, 0x80000000, v1
	s_nop 0
	v_cndmask_b32_e32 v6, v6, v7, vcc
	v_cndmask_b32_e32 v4, v5, v4, vcc
	v_mov_b32_e32 v5, 0x3b800000
	v_lshlrev_b32_e32 v4, 20, v4
	v_lshl_add_u32 v5, v6, 23, v5
	v_or3_b32 v1, v1, v5, v4
	v_cvt_f16_f32_e32 v1, v1
.LBB337_454:
	s_or_b64 exec, exec, s[6:7]
.LBB337_455:
	s_mov_b64 s[2:3], -1
.LBB337_456:
	s_mov_b64 s[6:7], 0
.LBB337_457:
	s_and_b64 vcc, exec, s[6:7]
	s_cbranch_vccz .LBB337_492
; %bb.458:
	s_cmp_gt_i32 s10, 22
	s_cbranch_scc0 .LBB337_468
; %bb.459:
	s_cmp_lt_i32 s10, 24
	s_cbranch_scc1 .LBB337_471
; %bb.460:
	s_cmp_gt_i32 s10, 24
	s_cbranch_scc0 .LBB337_472
; %bb.461:
	global_load_ubyte v4, v[2:3], off
	s_movk_i32 s2, 0x7f
	s_waitcnt vmcnt(0)
	v_cmp_lt_i16_e32 vcc, s2, v4
	s_mov_b64 s[2:3], 0
	s_and_saveexec_b64 s[6:7], vcc
	s_xor_b64 s[6:7], exec, s[6:7]
	s_cbranch_execz .LBB337_484
; %bb.462:
	s_movk_i32 s2, 0x80
	v_cmp_eq_u16_e32 vcc, s2, v4
	s_mov_b64 s[2:3], -1
	s_and_saveexec_b64 s[8:9], vcc
; %bb.463:
	s_xor_b64 s[2:3], exec, -1
; %bb.464:
	s_or_b64 exec, exec, s[8:9]
	s_and_b64 s[2:3], s[2:3], exec
	s_or_saveexec_b64 s[6:7], s[6:7]
	v_mov_b32_e32 v1, 0x7e00
	s_xor_b64 exec, exec, s[6:7]
	s_cbranch_execnz .LBB337_485
.LBB337_465:
	s_or_b64 exec, exec, s[6:7]
	s_and_saveexec_b64 s[6:7], s[2:3]
	s_cbranch_execz .LBB337_467
.LBB337_466:
	v_lshlrev_b32_e32 v1, 24, v4
	v_and_b32_e32 v4, 0xffff, v4
	v_and_b32_e32 v5, 3, v4
	v_ffbh_u32_e32 v7, v5
	v_min_u32_e32 v7, 32, v7
	v_subrev_u32_e32 v9, 29, v7
	v_bfe_u32 v6, v4, 2, 5
	v_lshlrev_b32_e32 v4, v9, v4
	v_sub_u32_e32 v7, 30, v7
	v_and_b32_e32 v4, 3, v4
	v_cmp_eq_u32_e32 vcc, 0, v6
	v_and_b32_e32 v1, 0x80000000, v1
	s_nop 0
	v_cndmask_b32_e32 v6, v6, v7, vcc
	v_cndmask_b32_e32 v4, v5, v4, vcc
	v_mov_b32_e32 v5, 0x37800000
	v_lshlrev_b32_e32 v4, 21, v4
	v_lshl_add_u32 v5, v6, 23, v5
	v_or3_b32 v1, v1, v5, v4
	v_cvt_f16_f32_e32 v1, v1
.LBB337_467:
	s_or_b64 exec, exec, s[6:7]
	s_mov_b64 s[2:3], 0
	s_branch .LBB337_473
.LBB337_468:
	s_mov_b64 s[6:7], -1
                                        ; implicit-def: $vgpr1
	s_branch .LBB337_479
.LBB337_469:
	s_or_saveexec_b64 s[6:7], s[6:7]
	v_mov_b32_e32 v1, 0x7e00
	s_xor_b64 exec, exec, s[6:7]
	s_cbranch_execz .LBB337_452
.LBB337_470:
	v_cmp_ne_u16_e32 vcc, 0, v4
	s_andn2_b64 s[2:3], s[2:3], exec
	s_and_b64 s[8:9], vcc, exec
	s_or_b64 s[2:3], s[2:3], s[8:9]
	v_mov_b32_e32 v1, v4
	s_or_b64 exec, exec, s[6:7]
	s_and_saveexec_b64 s[6:7], s[2:3]
	s_cbranch_execnz .LBB337_453
	s_branch .LBB337_454
.LBB337_471:
	s_mov_b64 s[2:3], -1
                                        ; implicit-def: $vgpr1
	s_branch .LBB337_476
.LBB337_472:
	s_mov_b64 s[2:3], -1
                                        ; implicit-def: $vgpr1
.LBB337_473:
	s_and_b64 vcc, exec, s[2:3]
	s_cbranch_vccz .LBB337_475
; %bb.474:
	global_load_ubyte v1, v[2:3], off
	s_mov_b32 s2, 0x7f800000
	s_waitcnt vmcnt(0)
	v_lshlrev_b32_e32 v1, 24, v1
	v_and_b32_e32 v4, 0x7f000000, v1
	v_ffbh_u32_e32 v5, v4
	v_min_u32_e32 v5, 32, v5
	v_sub_u32_e64 v5, v5, 4 clamp
	v_lshlrev_b32_e32 v7, v5, v4
	v_lshlrev_b32_e32 v5, 23, v5
	v_lshrrev_b32_e32 v7, 4, v7
	v_add_u32_e32 v6, 0x1000000, v4
	v_sub_u32_e32 v5, v7, v5
	v_ashrrev_i32_e32 v6, 8, v6
	v_add_u32_e32 v5, 0x3c000000, v5
	v_and_or_b32 v5, v6, s2, v5
	v_cmp_ne_u32_e32 vcc, 0, v4
	s_brev_b32 s2, 1
	s_nop 0
	v_cndmask_b32_e32 v4, 0, v5, vcc
	v_and_or_b32 v1, v1, s2, v4
	v_cvt_f16_f32_e32 v1, v1
.LBB337_475:
	s_mov_b64 s[2:3], 0
.LBB337_476:
	s_andn2_b64 vcc, exec, s[2:3]
	s_cbranch_vccnz .LBB337_478
; %bb.477:
	global_load_ubyte v1, v[2:3], off
	s_movk_i32 s2, 0x7f00
	s_brev_b32 s3, 16
	s_waitcnt vmcnt(0)
	v_lshlrev_b16_e32 v4, 8, v1
	v_lshlrev_b32_e32 v1, 25, v1
	v_lshrrev_b32_e32 v5, 4, v1
	v_and_or_b32 v6, v4, s2, 0.5
	v_or_b32_e32 v5, 0x70000000, v5
	v_add_f32_e32 v6, -0.5, v6
	v_mul_f32_e32 v5, 0x7800000, v5
	v_cmp_gt_u32_e32 vcc, s3, v1
	v_bfe_i32 v4, v4, 0, 16
	s_brev_b32 s2, 1
	v_cndmask_b32_e32 v1, v5, v6, vcc
	v_and_or_b32 v1, v4, s2, v1
	v_cvt_f16_f32_e32 v1, v1
.LBB337_478:
	s_mov_b64 s[6:7], 0
	s_mov_b64 s[2:3], -1
.LBB337_479:
	s_andn2_b64 vcc, exec, s[6:7]
	s_cbranch_vccnz .LBB337_492
; %bb.480:
	s_cmp_gt_i32 s10, 14
	s_cbranch_scc0 .LBB337_483
; %bb.481:
	s_cmp_eq_u32 s10, 15
	s_cbranch_scc0 .LBB337_486
; %bb.482:
	global_load_ushort v1, v[2:3], off
	s_mov_b64 s[2:3], -1
	s_mov_b64 s[4:5], 0
	s_waitcnt vmcnt(0)
	v_lshlrev_b32_e32 v1, 16, v1
	v_cvt_f16_f32_e32 v1, v1
	s_branch .LBB337_487
.LBB337_483:
	s_mov_b64 s[6:7], -1
                                        ; implicit-def: $vgpr1
	s_branch .LBB337_488
.LBB337_484:
	s_or_saveexec_b64 s[6:7], s[6:7]
	v_mov_b32_e32 v1, 0x7e00
	s_xor_b64 exec, exec, s[6:7]
	s_cbranch_execz .LBB337_465
.LBB337_485:
	v_cmp_ne_u16_e32 vcc, 0, v4
	s_andn2_b64 s[2:3], s[2:3], exec
	s_and_b64 s[8:9], vcc, exec
	s_or_b64 s[2:3], s[2:3], s[8:9]
	v_mov_b32_e32 v1, v4
	s_or_b64 exec, exec, s[6:7]
	s_and_saveexec_b64 s[6:7], s[2:3]
	s_cbranch_execnz .LBB337_466
	s_branch .LBB337_467
.LBB337_486:
	s_mov_b64 s[4:5], -1
                                        ; implicit-def: $vgpr1
.LBB337_487:
	s_mov_b64 s[6:7], 0
.LBB337_488:
	s_and_b64 vcc, exec, s[6:7]
	s_cbranch_vccz .LBB337_492
; %bb.489:
	s_cmp_eq_u32 s10, 11
	s_cbranch_scc0 .LBB337_491
; %bb.490:
	global_load_ubyte v1, v[2:3], off
	v_mov_b32_e32 v4, 0x3c00
	s_mov_b64 s[2:3], -1
	s_mov_b64 s[4:5], 0
	s_waitcnt vmcnt(0)
	v_cmp_ne_u16_e32 vcc, 0, v1
	s_nop 1
	v_cndmask_b32_e32 v1, 0, v4, vcc
	s_branch .LBB337_492
.LBB337_491:
	s_mov_b64 s[4:5], -1
                                        ; implicit-def: $vgpr1
.LBB337_492:
	s_branch .LBB337_295
.LBB337_493:
	s_cmp_lt_i32 s10, 5
	s_cbranch_scc1 .LBB337_498
; %bb.494:
	s_cmp_lt_i32 s10, 8
	s_cbranch_scc1 .LBB337_499
; %bb.495:
	;; [unrolled: 3-line block ×3, first 2 shown]
	s_cmp_gt_i32 s10, 9
	s_cbranch_scc0 .LBB337_501
; %bb.497:
	global_load_dwordx2 v[4:5], v[2:3], off
	s_movk_i32 s2, 0x1ff
	s_movk_i32 s3, 0xffe
	s_waitcnt vmcnt(1)
	v_mov_b32_e32 v1, 0x7c00
	v_mov_b32_e32 v6, 0x7e00
	s_movk_i32 s6, 0x40f
	s_mov_b32 s7, 0x8000
	s_waitcnt vmcnt(0)
	v_and_or_b32 v4, v5, s2, v4
	v_cmp_ne_u32_e32 vcc, 0, v4
	v_lshrrev_b32_e32 v7, 8, v5
	v_bfe_u32 v9, v5, 20, 11
	v_cndmask_b32_e64 v4, 0, 1, vcc
	v_sub_u32_e32 v10, 0x3f1, v9
	v_and_or_b32 v4, v7, s3, v4
	v_add_u32_e32 v9, 0xfffffc10, v9
	v_med3_i32 v7, v10, 0, 13
	v_or_b32_e32 v10, 0x1000, v4
	v_cmp_ne_u32_e32 vcc, 0, v4
	v_lshl_or_b32 v11, v9, 12, v4
	v_lshrrev_b32_e32 v5, 16, v5
	v_cndmask_b32_e32 v4, v1, v6, vcc
	v_lshrrev_b32_e32 v6, v7, v10
	v_lshlrev_b32_e32 v7, v7, v6
	v_cmp_ne_u32_e32 vcc, v7, v10
	s_mov_b64 s[2:3], 0
	s_nop 0
	v_cndmask_b32_e64 v7, 0, 1, vcc
	v_or_b32_e32 v6, v6, v7
	v_cmp_gt_i32_e32 vcc, 1, v9
	s_nop 1
	v_cndmask_b32_e32 v6, v11, v6, vcc
	v_and_b32_e32 v7, 7, v6
	v_cmp_lt_i32_e32 vcc, 5, v7
	v_lshrrev_b32_e32 v6, 2, v6
	s_nop 0
	v_cndmask_b32_e64 v10, 0, 1, vcc
	v_cmp_eq_u32_e32 vcc, 3, v7
	s_nop 1
	v_cndmask_b32_e64 v7, 0, 1, vcc
	v_or_b32_e32 v7, v7, v10
	v_add_u32_e32 v6, v6, v7
	v_cmp_gt_i32_e32 vcc, 31, v9
	s_nop 1
	v_cndmask_b32_e32 v1, v1, v6, vcc
	v_cmp_eq_u32_e32 vcc, s6, v9
	s_nop 1
	v_cndmask_b32_e32 v1, v1, v4, vcc
	v_and_or_b32 v1, v5, s7, v1
	s_branch .LBB337_502
.LBB337_498:
	s_mov_b64 s[2:3], -1
                                        ; implicit-def: $vgpr1
	s_branch .LBB337_520
.LBB337_499:
	s_mov_b64 s[2:3], -1
                                        ; implicit-def: $vgpr1
	s_branch .LBB337_508
.LBB337_500:
	s_mov_b64 s[2:3], -1
                                        ; implicit-def: $vgpr1
	s_branch .LBB337_505
.LBB337_501:
	s_mov_b64 s[2:3], -1
                                        ; implicit-def: $vgpr1
.LBB337_502:
	s_andn2_b64 vcc, exec, s[2:3]
	s_cbranch_vccnz .LBB337_504
; %bb.503:
	global_load_dword v1, v[2:3], off
	s_waitcnt vmcnt(0)
	v_cvt_f16_f32_e32 v1, v1
.LBB337_504:
	s_mov_b64 s[2:3], 0
.LBB337_505:
	s_andn2_b64 vcc, exec, s[2:3]
	s_cbranch_vccnz .LBB337_507
; %bb.506:
	global_load_dword v1, v[2:3], off
.LBB337_507:
	s_mov_b64 s[2:3], 0
.LBB337_508:
	s_andn2_b64 vcc, exec, s[2:3]
	s_cbranch_vccnz .LBB337_519
; %bb.509:
	s_cmp_lt_i32 s10, 6
	s_cbranch_scc1 .LBB337_512
; %bb.510:
	s_cmp_gt_i32 s10, 6
	s_cbranch_scc0 .LBB337_513
; %bb.511:
	global_load_dwordx2 v[4:5], v[2:3], off
	s_movk_i32 s2, 0x1ff
	s_movk_i32 s3, 0xffe
	s_waitcnt vmcnt(1)
	v_mov_b32_e32 v1, 0x7c00
	v_mov_b32_e32 v6, 0x7e00
	s_movk_i32 s6, 0x40f
	s_mov_b32 s7, 0x8000
	s_waitcnt vmcnt(0)
	v_and_or_b32 v4, v5, s2, v4
	v_cmp_ne_u32_e32 vcc, 0, v4
	v_lshrrev_b32_e32 v7, 8, v5
	v_bfe_u32 v9, v5, 20, 11
	v_cndmask_b32_e64 v4, 0, 1, vcc
	v_sub_u32_e32 v10, 0x3f1, v9
	v_and_or_b32 v4, v7, s3, v4
	v_add_u32_e32 v9, 0xfffffc10, v9
	v_med3_i32 v7, v10, 0, 13
	v_or_b32_e32 v10, 0x1000, v4
	v_cmp_ne_u32_e32 vcc, 0, v4
	v_lshl_or_b32 v11, v9, 12, v4
	v_lshrrev_b32_e32 v5, 16, v5
	v_cndmask_b32_e32 v4, v1, v6, vcc
	v_lshrrev_b32_e32 v6, v7, v10
	v_lshlrev_b32_e32 v7, v7, v6
	v_cmp_ne_u32_e32 vcc, v7, v10
	s_mov_b64 s[2:3], 0
	s_nop 0
	v_cndmask_b32_e64 v7, 0, 1, vcc
	v_or_b32_e32 v6, v6, v7
	v_cmp_gt_i32_e32 vcc, 1, v9
	s_nop 1
	v_cndmask_b32_e32 v6, v11, v6, vcc
	v_and_b32_e32 v7, 7, v6
	v_cmp_lt_i32_e32 vcc, 5, v7
	v_lshrrev_b32_e32 v6, 2, v6
	s_nop 0
	v_cndmask_b32_e64 v10, 0, 1, vcc
	v_cmp_eq_u32_e32 vcc, 3, v7
	s_nop 1
	v_cndmask_b32_e64 v7, 0, 1, vcc
	v_or_b32_e32 v7, v7, v10
	v_add_u32_e32 v6, v6, v7
	v_cmp_gt_i32_e32 vcc, 31, v9
	s_nop 1
	v_cndmask_b32_e32 v1, v1, v6, vcc
	v_cmp_eq_u32_e32 vcc, s6, v9
	s_nop 1
	v_cndmask_b32_e32 v1, v1, v4, vcc
	v_and_or_b32 v1, v5, s7, v1
	s_branch .LBB337_514
.LBB337_512:
	s_mov_b64 s[2:3], -1
                                        ; implicit-def: $vgpr1
	s_branch .LBB337_517
.LBB337_513:
	s_mov_b64 s[2:3], -1
                                        ; implicit-def: $vgpr1
.LBB337_514:
	s_andn2_b64 vcc, exec, s[2:3]
	s_cbranch_vccnz .LBB337_516
; %bb.515:
	global_load_dword v1, v[2:3], off
	s_waitcnt vmcnt(0)
	v_cvt_f16_f32_e32 v1, v1
.LBB337_516:
	s_mov_b64 s[2:3], 0
.LBB337_517:
	s_andn2_b64 vcc, exec, s[2:3]
	s_cbranch_vccnz .LBB337_519
; %bb.518:
	global_load_ushort v1, v[2:3], off
.LBB337_519:
	s_mov_b64 s[2:3], 0
.LBB337_520:
	s_andn2_b64 vcc, exec, s[2:3]
	s_cbranch_vccnz .LBB337_540
; %bb.521:
	s_cmp_lt_i32 s10, 2
	s_cbranch_scc1 .LBB337_525
; %bb.522:
	s_cmp_lt_i32 s10, 3
	s_cbranch_scc1 .LBB337_526
; %bb.523:
	s_cmp_gt_i32 s10, 3
	s_cbranch_scc0 .LBB337_527
; %bb.524:
	global_load_dwordx2 v[4:5], v[2:3], off
	s_mov_b64 s[2:3], 0
	s_waitcnt vmcnt(0)
	v_xor_b32_e32 v6, v4, v5
	v_ffbh_i32_e32 v1, v5
	v_ashrrev_i32_e32 v6, 31, v6
	v_add_u32_e32 v1, -1, v1
	v_add_u32_e32 v6, 32, v6
	v_min_u32_e32 v1, v1, v6
	v_lshlrev_b64 v[4:5], v1, v[4:5]
	v_min_u32_e32 v4, 1, v4
	v_or_b32_e32 v4, v5, v4
	v_cvt_f32_i32_e32 v4, v4
	v_sub_u32_e32 v1, 32, v1
	v_ldexp_f32 v1, v4, v1
	v_cvt_f16_f32_e32 v1, v1
	s_branch .LBB337_528
.LBB337_525:
	s_mov_b64 s[2:3], -1
                                        ; implicit-def: $vgpr1
	s_branch .LBB337_534
.LBB337_526:
	s_mov_b64 s[2:3], -1
                                        ; implicit-def: $vgpr1
	s_branch .LBB337_531
.LBB337_527:
	s_mov_b64 s[2:3], -1
                                        ; implicit-def: $vgpr1
.LBB337_528:
	s_andn2_b64 vcc, exec, s[2:3]
	s_cbranch_vccnz .LBB337_530
; %bb.529:
	global_load_dword v1, v[2:3], off
	s_waitcnt vmcnt(0)
	v_cvt_f32_i32_e32 v1, v1
	v_cvt_f16_f32_e32 v1, v1
.LBB337_530:
	s_mov_b64 s[2:3], 0
.LBB337_531:
	s_andn2_b64 vcc, exec, s[2:3]
	s_cbranch_vccnz .LBB337_533
; %bb.532:
	global_load_ushort v1, v[2:3], off
	s_waitcnt vmcnt(0)
	v_cvt_f16_i16_e32 v1, v1
.LBB337_533:
	s_mov_b64 s[2:3], 0
.LBB337_534:
	s_andn2_b64 vcc, exec, s[2:3]
	s_cbranch_vccnz .LBB337_540
; %bb.535:
	s_cmp_gt_i32 s10, 0
	s_cbranch_scc0 .LBB337_537
; %bb.536:
	global_load_sbyte v1, v[2:3], off
	s_mov_b64 s[2:3], 0
	s_waitcnt vmcnt(0)
	v_cvt_f16_i16_e32 v1, v1
	s_branch .LBB337_538
.LBB337_537:
	s_mov_b64 s[2:3], -1
                                        ; implicit-def: $vgpr1
.LBB337_538:
	s_andn2_b64 vcc, exec, s[2:3]
	s_cbranch_vccnz .LBB337_540
; %bb.539:
	global_load_ubyte v1, v[2:3], off
	s_waitcnt vmcnt(0)
	v_cvt_f16_u16_e32 v1, v1
.LBB337_540:
	s_branch .LBB337_296
.LBB337_541:
	s_mov_b64 s[6:7], 0
	s_mov_b64 s[2:3], s[56:57]
.LBB337_542:
                                        ; implicit-def: $vgpr8
.LBB337_543:
	s_andn2_b64 s[8:9], s[56:57], exec
	s_and_b64 s[2:3], s[2:3], exec
	s_or_b64 s[64:65], s[8:9], s[2:3]
	s_andn2_b64 s[2:3], s[58:59], exec
	s_and_b64 s[4:5], s[4:5], exec
	s_or_b64 s[62:63], s[2:3], s[4:5]
	s_orn2_b64 s[2:3], s[6:7], exec
.LBB337_544:
	s_or_b64 exec, exec, s[66:67]
	s_mov_b64 s[4:5], 0
	s_mov_b64 s[6:7], 0
	;; [unrolled: 1-line block ×3, first 2 shown]
                                        ; implicit-def: $vgpr2_vgpr3
                                        ; implicit-def: $vgpr0
                                        ; implicit-def: $vgpr1
	s_and_saveexec_b64 s[66:67], s[2:3]
	s_cbranch_execz .LBB337_921
; %bb.545:
	v_cmp_gt_i32_e32 vcc, s72, v8
	s_mov_b64 s[6:7], -1
	s_mov_b64 s[2:3], s[62:63]
	s_mov_b64 s[70:71], s[64:65]
	s_and_saveexec_b64 s[68:69], vcc
	s_cbranch_execz .LBB337_820
; %bb.546:
	s_andn2_b64 vcc, exec, s[42:43]
	s_cbranch_vccnz .LBB337_552
; %bb.547:
	s_andn2_b64 vcc, exec, s[54:55]
	s_cbranch_vccnz .LBB337_553
; %bb.548:
	s_add_i32 s78, s77, 1
	s_cmp_eq_u32 s74, 2
	s_cbranch_scc1 .LBB337_554
; %bb.549:
	s_and_b32 s73, s78, 28
	s_mov_b32 s79, 0
	v_mov_b32_e32 v0, 0
	v_mov_b32_e32 v2, 0
	s_mov_b64 s[2:3], s[34:35]
	s_mov_b64 s[70:71], s[52:53]
	v_mov_b32_e32 v4, v8
.LBB337_550:                            ; =>This Inner Loop Header: Depth=1
	s_load_dwordx8 s[12:19], s[2:3], 0x4
	s_load_dwordx4 s[36:39], s[2:3], 0x24
	s_load_dwordx8 s[4:11], s[70:71], 0x0
	s_add_u32 s2, s2, 48
	s_addc_u32 s3, s3, 0
	s_waitcnt vmcnt(0) lgkmcnt(0)
	v_mul_hi_u32 v1, s13, v4
	v_add_u32_e32 v1, v4, v1
	v_lshrrev_b32_e32 v1, s14, v1
	v_mul_lo_u32 v3, v1, s12
	v_mul_hi_u32 v5, s16, v1
	v_sub_u32_e32 v3, v4, v3
	v_add_u32_e32 v4, v1, v5
	v_lshrrev_b32_e32 v4, s17, v4
	v_mul_lo_u32 v6, v4, s15
	v_mul_hi_u32 v7, s19, v4
	v_sub_u32_e32 v1, v1, v6
	v_add_u32_e32 v6, v4, v7
	v_mul_lo_u32 v5, v3, s5
	v_mul_lo_u32 v3, v3, s4
	;; [unrolled: 1-line block ×4, first 2 shown]
	v_lshrrev_b32_e32 v6, s36, v6
	v_add3_u32 v0, v3, v0, v1
	v_mul_hi_u32 v3, s38, v6
	v_add3_u32 v1, v5, v2, v7
	v_mul_lo_u32 v2, v6, s18
	v_add_u32_e32 v3, v6, v3
	v_sub_u32_e32 v2, v4, v2
	v_lshrrev_b32_e32 v4, s39, v3
	s_add_i32 s79, s79, 4
	v_mul_lo_u32 v3, v4, s37
	s_add_u32 s70, s70, 32
	v_sub_u32_e32 v3, v6, v3
	s_addc_u32 s71, s71, 0
	v_mul_lo_u32 v5, v2, s8
	v_mul_lo_u32 v2, v2, s9
	;; [unrolled: 1-line block ×4, first 2 shown]
	s_cmp_eq_u32 s73, s79
	v_add3_u32 v2, v2, v1, v3
	v_add3_u32 v0, v5, v0, v6
	s_cbranch_scc0 .LBB337_550
; %bb.551:
	v_mov_b32_e32 v1, v2
	s_branch .LBB337_555
.LBB337_552:
	s_mov_b64 s[2:3], -1
                                        ; implicit-def: $vgpr2
                                        ; implicit-def: $vgpr0
	s_branch .LBB337_559
.LBB337_553:
	v_mov_b32_e32 v2, 0
	v_mov_b32_e32 v0, 0
	s_branch .LBB337_558
.LBB337_554:
	v_mov_b32_e32 v0, 0
	s_mov_b32 s73, 0
	s_waitcnt vmcnt(0)
	v_mov_b32_e32 v1, v0
                                        ; implicit-def: $vgpr2
	v_mov_b32_e32 v4, v8
.LBB337_555:
	s_and_b32 s6, s78, 3
	s_cmp_eq_u32 s6, 0
	s_cbranch_scc1 .LBB337_558
; %bb.556:
	s_lshl_b32 s2, s73, 3
	s_add_u32 s2, s34, s2
	s_addc_u32 s3, s35, 0
	s_add_u32 s2, s2, 0xc4
	s_addc_u32 s3, s3, 0
	s_mul_i32 s4, s73, 12
	s_add_u32 s4, s34, s4
	s_addc_u32 s5, s35, 0
.LBB337_557:                            ; =>This Inner Loop Header: Depth=1
	s_load_dwordx2 s[8:9], s[4:5], 0x4
	s_load_dword s7, s[4:5], 0xc
	s_load_dwordx2 s[10:11], s[2:3], 0x0
	v_mov_b32_e32 v2, v1
	s_add_u32 s4, s4, 12
	s_waitcnt lgkmcnt(0)
	v_mul_hi_u32 v1, s9, v4
	v_add_u32_e32 v1, v4, v1
	v_lshrrev_b32_e32 v1, s7, v1
	s_addc_u32 s5, s5, 0
	v_mul_lo_u32 v3, v1, s8
	s_add_u32 s2, s2, 8
	v_sub_u32_e32 v5, v4, v3
	s_addc_u32 s3, s3, 0
	s_add_i32 s6, s6, -1
	v_mov_b32_e32 v4, v1
	v_mad_u64_u32 v[2:3], s[8:9], v5, s11, v[2:3]
	v_mad_u64_u32 v[0:1], s[8:9], v5, s10, v[0:1]
	s_cmp_lg_u32 s6, 0
	v_mov_b32_e32 v1, v2
	s_cbranch_scc1 .LBB337_557
.LBB337_558:
	s_mov_b64 s[2:3], 0
.LBB337_559:
	s_andn2_b64 vcc, exec, s[2:3]
	s_cbranch_vccnz .LBB337_562
; %bb.560:
	v_mul_hi_u32 v0, s25, v8
	v_add_u32_e32 v0, v8, v0
	s_waitcnt vmcnt(0)
	v_lshrrev_b32_e32 v1, s26, v0
	v_mul_lo_u32 v0, v1, s24
	v_sub_u32_e32 v0, v8, v0
	v_mul_lo_u32 v2, v0, s29
	s_andn2_b64 vcc, exec, s[50:51]
	v_mul_lo_u32 v0, v0, s28
	s_cbranch_vccnz .LBB337_562
; %bb.561:
	v_mul_hi_u32 v3, s48, v1
	v_add_u32_e32 v3, v1, v3
	v_lshrrev_b32_e32 v3, s49, v3
	v_mul_lo_u32 v3, v3, s27
	v_sub_u32_e32 v3, v1, v3
	v_mad_u64_u32 v[0:1], s[2:3], v3, s30, v[0:1]
	v_mad_u64_u32 v[2:3], s[2:3], v3, s31, v[2:3]
.LBB337_562:
	v_mov_b32_e32 v3, 0
	s_and_b32 s10, 0xffff, s76
	s_cmp_lt_i32 s10, 11
	v_lshl_add_u64 v[2:3], s[22:23], 0, v[2:3]
	s_cbranch_scc1 .LBB337_569
; %bb.563:
	s_cmp_gt_i32 s10, 25
	s_cbranch_scc0 .LBB337_570
; %bb.564:
	s_cmp_gt_i32 s10, 28
	s_cbranch_scc0 .LBB337_571
	;; [unrolled: 3-line block ×4, first 2 shown]
; %bb.567:
	s_cmp_eq_u32 s10, 46
	s_mov_b64 s[6:7], 0
	s_cbranch_scc0 .LBB337_578
; %bb.568:
	global_load_dword v1, v[2:3], off
	s_mov_b64 s[2:3], -1
	s_mov_b64 s[4:5], 0
	s_waitcnt vmcnt(0)
	v_lshlrev_b32_e32 v1, 16, v1
	v_cvt_f16_f32_e32 v1, v1
	s_branch .LBB337_579
.LBB337_569:
	s_mov_b64 s[6:7], -1
	s_mov_b64 s[2:3], 0
                                        ; implicit-def: $vgpr1
	s_mov_b64 s[4:5], s[62:63]
	s_branch .LBB337_644
.LBB337_570:
	s_mov_b64 s[6:7], -1
	s_mov_b64 s[2:3], 0
	s_mov_b64 s[4:5], s[62:63]
                                        ; implicit-def: $vgpr1
	s_branch .LBB337_608
.LBB337_571:
	s_mov_b64 s[6:7], -1
	s_mov_b64 s[2:3], 0
	s_mov_b64 s[4:5], s[62:63]
                                        ; implicit-def: $vgpr1
	s_branch .LBB337_589
.LBB337_572:
	s_mov_b64 s[6:7], -1
	s_mov_b64 s[2:3], 0
	s_mov_b64 s[4:5], s[62:63]
                                        ; implicit-def: $vgpr1
	s_branch .LBB337_584
.LBB337_573:
	s_andn2_saveexec_b64 s[10:11], s[10:11]
	s_cbranch_execz .LBB337_341
.LBB337_574:
	s_mov_b32 s14, 0x46000000
	v_add_f32_e64 v4, |v3|, s14
	v_and_b32_e32 v4, 0xff, v4
	v_cmp_ne_u32_e32 vcc, 0, v4
	s_andn2_b64 s[8:9], s[8:9], exec
	s_and_b64 s[14:15], vcc, exec
	s_or_b64 s[8:9], s[8:9], s[14:15]
	s_or_b64 exec, exec, s[10:11]
	v_mov_b32_e32 v5, 0
	s_and_saveexec_b64 s[10:11], s[8:9]
	s_cbranch_execnz .LBB337_342
	s_branch .LBB337_343
.LBB337_575:
	s_mov_b64 s[6:7], -1
	s_mov_b64 s[2:3], 0
	s_mov_b64 s[4:5], s[62:63]
                                        ; implicit-def: $vgpr1
	s_branch .LBB337_579
.LBB337_576:
	s_andn2_saveexec_b64 s[10:11], s[10:11]
	s_cbranch_execz .LBB337_354
.LBB337_577:
	s_mov_b32 s14, 0x42800000
	v_add_f32_e64 v4, |v3|, s14
	v_and_b32_e32 v4, 0xff, v4
	v_cmp_ne_u32_e32 vcc, 0, v4
	s_andn2_b64 s[8:9], s[8:9], exec
	s_and_b64 s[14:15], vcc, exec
	s_or_b64 s[8:9], s[8:9], s[14:15]
	s_or_b64 exec, exec, s[10:11]
	v_mov_b32_e32 v5, 0
	s_and_saveexec_b64 s[10:11], s[8:9]
	s_cbranch_execnz .LBB337_355
	s_branch .LBB337_356
.LBB337_578:
	s_mov_b64 s[4:5], -1
                                        ; implicit-def: $vgpr1
	s_mov_b64 s[2:3], 0
.LBB337_579:
	s_and_b64 vcc, exec, s[6:7]
	s_cbranch_vccz .LBB337_583
; %bb.580:
	s_cmp_eq_u32 s10, 44
	s_cbranch_scc0 .LBB337_582
; %bb.581:
	global_load_ubyte v1, v[2:3], off
	s_movk_i32 s4, 0xff
	v_mov_b32_e32 v5, 0x7e00
	s_mov_b64 s[2:3], -1
	s_waitcnt vmcnt(0)
	v_lshlrev_b32_e32 v4, 23, v1
	v_cvt_f16_f32_e32 v4, v4
	v_cmp_ne_u32_e32 vcc, s4, v1
	s_mov_b64 s[4:5], 0
	s_nop 0
	v_cndmask_b32_e32 v4, v5, v4, vcc
	v_cmp_ne_u32_e32 vcc, 0, v1
	s_nop 1
	v_cndmask_b32_e32 v1, 0, v4, vcc
	s_branch .LBB337_583
.LBB337_582:
	s_mov_b64 s[4:5], -1
                                        ; implicit-def: $vgpr1
.LBB337_583:
	s_mov_b64 s[6:7], 0
.LBB337_584:
	s_and_b64 vcc, exec, s[6:7]
	s_cbranch_vccz .LBB337_588
; %bb.585:
	s_cmp_eq_u32 s10, 29
	s_cbranch_scc0 .LBB337_587
; %bb.586:
	global_load_dwordx2 v[4:5], v[2:3], off
	s_mov_b64 s[2:3], -1
	s_mov_b64 s[4:5], 0
	s_mov_b64 s[6:7], 0
	s_waitcnt vmcnt(0)
	v_ffbh_u32_e32 v1, v5
	v_min_u32_e32 v1, 32, v1
	v_lshlrev_b64 v[4:5], v1, v[4:5]
	v_min_u32_e32 v4, 1, v4
	v_or_b32_e32 v4, v5, v4
	v_cvt_f32_u32_e32 v4, v4
	v_sub_u32_e32 v1, 32, v1
	v_ldexp_f32 v1, v4, v1
	v_cvt_f16_f32_e32 v1, v1
	s_branch .LBB337_589
.LBB337_587:
	s_mov_b64 s[4:5], -1
                                        ; implicit-def: $vgpr1
.LBB337_588:
	s_mov_b64 s[6:7], 0
.LBB337_589:
	s_and_b64 vcc, exec, s[6:7]
	s_cbranch_vccz .LBB337_607
; %bb.590:
	s_cmp_lt_i32 s10, 27
	s_cbranch_scc1 .LBB337_593
; %bb.591:
	s_cmp_gt_i32 s10, 27
	s_cbranch_scc0 .LBB337_594
; %bb.592:
	global_load_dword v1, v[2:3], off
	s_mov_b64 s[2:3], 0
	s_waitcnt vmcnt(0)
	v_cvt_f32_u32_e32 v1, v1
	v_cvt_f16_f32_e32 v1, v1
	s_branch .LBB337_595
.LBB337_593:
	s_mov_b64 s[2:3], -1
                                        ; implicit-def: $vgpr1
	s_branch .LBB337_598
.LBB337_594:
	s_mov_b64 s[2:3], -1
                                        ; implicit-def: $vgpr1
.LBB337_595:
	s_andn2_b64 vcc, exec, s[2:3]
	s_cbranch_vccnz .LBB337_597
; %bb.596:
	global_load_ushort v1, v[2:3], off
	s_waitcnt vmcnt(0)
	v_cvt_f16_u16_e32 v1, v1
.LBB337_597:
	s_mov_b64 s[2:3], 0
.LBB337_598:
	s_andn2_b64 vcc, exec, s[2:3]
	s_cbranch_vccnz .LBB337_606
; %bb.599:
	global_load_ubyte v4, v[2:3], off
	s_movk_i32 s2, 0x7f
	s_waitcnt vmcnt(0)
	v_cmp_lt_i16_e32 vcc, s2, v4
	s_mov_b64 s[2:3], 0
	s_and_saveexec_b64 s[6:7], vcc
	s_xor_b64 s[6:7], exec, s[6:7]
	s_cbranch_execz .LBB337_620
; %bb.600:
	s_movk_i32 s2, 0x80
	v_cmp_eq_u16_e32 vcc, s2, v4
	s_mov_b64 s[2:3], -1
	s_and_saveexec_b64 s[8:9], vcc
; %bb.601:
	s_xor_b64 s[2:3], exec, -1
; %bb.602:
	s_or_b64 exec, exec, s[8:9]
	s_and_b64 s[2:3], s[2:3], exec
	s_or_saveexec_b64 s[6:7], s[6:7]
	v_mov_b32_e32 v1, 0x7e00
	s_xor_b64 exec, exec, s[6:7]
	s_cbranch_execnz .LBB337_621
.LBB337_603:
	s_or_b64 exec, exec, s[6:7]
	s_and_saveexec_b64 s[6:7], s[2:3]
	s_cbranch_execz .LBB337_605
.LBB337_604:
	v_lshlrev_b32_e32 v1, 24, v4
	v_and_b32_e32 v4, 0xffff, v4
	v_and_b32_e32 v5, 7, v4
	v_ffbh_u32_e32 v7, v5
	v_min_u32_e32 v7, 32, v7
	v_subrev_u32_e32 v9, 28, v7
	v_bfe_u32 v6, v4, 3, 4
	v_lshlrev_b32_e32 v4, v9, v4
	v_sub_u32_e32 v7, 29, v7
	v_and_b32_e32 v4, 7, v4
	v_cmp_eq_u32_e32 vcc, 0, v6
	v_and_b32_e32 v1, 0x80000000, v1
	s_nop 0
	v_cndmask_b32_e32 v6, v6, v7, vcc
	v_cndmask_b32_e32 v4, v5, v4, vcc
	v_mov_b32_e32 v5, 0x3b800000
	v_lshlrev_b32_e32 v4, 20, v4
	v_lshl_add_u32 v5, v6, 23, v5
	v_or3_b32 v1, v1, v5, v4
	v_cvt_f16_f32_e32 v1, v1
.LBB337_605:
	s_or_b64 exec, exec, s[6:7]
.LBB337_606:
	s_mov_b64 s[2:3], -1
.LBB337_607:
	s_mov_b64 s[6:7], 0
.LBB337_608:
	s_and_b64 vcc, exec, s[6:7]
	s_cbranch_vccz .LBB337_643
; %bb.609:
	s_cmp_gt_i32 s10, 22
	s_cbranch_scc0 .LBB337_619
; %bb.610:
	s_cmp_lt_i32 s10, 24
	s_cbranch_scc1 .LBB337_622
; %bb.611:
	s_cmp_gt_i32 s10, 24
	s_cbranch_scc0 .LBB337_623
; %bb.612:
	global_load_ubyte v4, v[2:3], off
	s_movk_i32 s2, 0x7f
	s_waitcnt vmcnt(0)
	v_cmp_lt_i16_e32 vcc, s2, v4
	s_mov_b64 s[2:3], 0
	s_and_saveexec_b64 s[6:7], vcc
	s_xor_b64 s[6:7], exec, s[6:7]
	s_cbranch_execz .LBB337_635
; %bb.613:
	s_movk_i32 s2, 0x80
	v_cmp_eq_u16_e32 vcc, s2, v4
	s_mov_b64 s[2:3], -1
	s_and_saveexec_b64 s[8:9], vcc
; %bb.614:
	s_xor_b64 s[2:3], exec, -1
; %bb.615:
	s_or_b64 exec, exec, s[8:9]
	s_and_b64 s[2:3], s[2:3], exec
	s_or_saveexec_b64 s[6:7], s[6:7]
	v_mov_b32_e32 v1, 0x7e00
	s_xor_b64 exec, exec, s[6:7]
	s_cbranch_execnz .LBB337_636
.LBB337_616:
	s_or_b64 exec, exec, s[6:7]
	s_and_saveexec_b64 s[6:7], s[2:3]
	s_cbranch_execz .LBB337_618
.LBB337_617:
	v_lshlrev_b32_e32 v1, 24, v4
	v_and_b32_e32 v4, 0xffff, v4
	v_and_b32_e32 v5, 3, v4
	v_ffbh_u32_e32 v7, v5
	v_min_u32_e32 v7, 32, v7
	v_subrev_u32_e32 v9, 29, v7
	v_bfe_u32 v6, v4, 2, 5
	v_lshlrev_b32_e32 v4, v9, v4
	v_sub_u32_e32 v7, 30, v7
	v_and_b32_e32 v4, 3, v4
	v_cmp_eq_u32_e32 vcc, 0, v6
	v_and_b32_e32 v1, 0x80000000, v1
	s_nop 0
	v_cndmask_b32_e32 v6, v6, v7, vcc
	v_cndmask_b32_e32 v4, v5, v4, vcc
	v_mov_b32_e32 v5, 0x37800000
	v_lshlrev_b32_e32 v4, 21, v4
	v_lshl_add_u32 v5, v6, 23, v5
	v_or3_b32 v1, v1, v5, v4
	v_cvt_f16_f32_e32 v1, v1
.LBB337_618:
	s_or_b64 exec, exec, s[6:7]
	s_mov_b64 s[2:3], 0
	s_branch .LBB337_624
.LBB337_619:
	s_mov_b64 s[6:7], -1
                                        ; implicit-def: $vgpr1
	s_branch .LBB337_630
.LBB337_620:
	s_or_saveexec_b64 s[6:7], s[6:7]
	v_mov_b32_e32 v1, 0x7e00
	s_xor_b64 exec, exec, s[6:7]
	s_cbranch_execz .LBB337_603
.LBB337_621:
	v_cmp_ne_u16_e32 vcc, 0, v4
	s_andn2_b64 s[2:3], s[2:3], exec
	s_and_b64 s[8:9], vcc, exec
	s_or_b64 s[2:3], s[2:3], s[8:9]
	v_mov_b32_e32 v1, v4
	s_or_b64 exec, exec, s[6:7]
	s_and_saveexec_b64 s[6:7], s[2:3]
	s_cbranch_execnz .LBB337_604
	s_branch .LBB337_605
.LBB337_622:
	s_mov_b64 s[2:3], -1
                                        ; implicit-def: $vgpr1
	s_branch .LBB337_627
.LBB337_623:
	s_mov_b64 s[2:3], -1
                                        ; implicit-def: $vgpr1
.LBB337_624:
	s_and_b64 vcc, exec, s[2:3]
	s_cbranch_vccz .LBB337_626
; %bb.625:
	global_load_ubyte v1, v[2:3], off
	s_mov_b32 s2, 0x7f800000
	s_waitcnt vmcnt(0)
	v_lshlrev_b32_e32 v1, 24, v1
	v_and_b32_e32 v4, 0x7f000000, v1
	v_ffbh_u32_e32 v5, v4
	v_min_u32_e32 v5, 32, v5
	v_sub_u32_e64 v5, v5, 4 clamp
	v_lshlrev_b32_e32 v7, v5, v4
	v_lshlrev_b32_e32 v5, 23, v5
	v_lshrrev_b32_e32 v7, 4, v7
	v_add_u32_e32 v6, 0x1000000, v4
	v_sub_u32_e32 v5, v7, v5
	v_ashrrev_i32_e32 v6, 8, v6
	v_add_u32_e32 v5, 0x3c000000, v5
	v_and_or_b32 v5, v6, s2, v5
	v_cmp_ne_u32_e32 vcc, 0, v4
	s_brev_b32 s2, 1
	s_nop 0
	v_cndmask_b32_e32 v4, 0, v5, vcc
	v_and_or_b32 v1, v1, s2, v4
	v_cvt_f16_f32_e32 v1, v1
.LBB337_626:
	s_mov_b64 s[2:3], 0
.LBB337_627:
	s_andn2_b64 vcc, exec, s[2:3]
	s_cbranch_vccnz .LBB337_629
; %bb.628:
	global_load_ubyte v1, v[2:3], off
	s_movk_i32 s2, 0x7f00
	s_brev_b32 s3, 16
	s_waitcnt vmcnt(0)
	v_lshlrev_b16_e32 v4, 8, v1
	v_lshlrev_b32_e32 v1, 25, v1
	v_lshrrev_b32_e32 v5, 4, v1
	v_and_or_b32 v6, v4, s2, 0.5
	v_or_b32_e32 v5, 0x70000000, v5
	v_add_f32_e32 v6, -0.5, v6
	v_mul_f32_e32 v5, 0x7800000, v5
	v_cmp_gt_u32_e32 vcc, s3, v1
	v_bfe_i32 v4, v4, 0, 16
	s_brev_b32 s2, 1
	v_cndmask_b32_e32 v1, v5, v6, vcc
	v_and_or_b32 v1, v4, s2, v1
	v_cvt_f16_f32_e32 v1, v1
.LBB337_629:
	s_mov_b64 s[6:7], 0
	s_mov_b64 s[2:3], -1
.LBB337_630:
	s_andn2_b64 vcc, exec, s[6:7]
	s_cbranch_vccnz .LBB337_643
; %bb.631:
	s_cmp_gt_i32 s10, 14
	s_cbranch_scc0 .LBB337_634
; %bb.632:
	s_cmp_eq_u32 s10, 15
	s_cbranch_scc0 .LBB337_637
; %bb.633:
	global_load_ushort v1, v[2:3], off
	s_mov_b64 s[2:3], -1
	s_mov_b64 s[4:5], 0
	s_waitcnt vmcnt(0)
	v_lshlrev_b32_e32 v1, 16, v1
	v_cvt_f16_f32_e32 v1, v1
	s_branch .LBB337_638
.LBB337_634:
	s_mov_b64 s[6:7], -1
                                        ; implicit-def: $vgpr1
	s_branch .LBB337_639
.LBB337_635:
	s_or_saveexec_b64 s[6:7], s[6:7]
	v_mov_b32_e32 v1, 0x7e00
	s_xor_b64 exec, exec, s[6:7]
	s_cbranch_execz .LBB337_616
.LBB337_636:
	v_cmp_ne_u16_e32 vcc, 0, v4
	s_andn2_b64 s[2:3], s[2:3], exec
	s_and_b64 s[8:9], vcc, exec
	s_or_b64 s[2:3], s[2:3], s[8:9]
	v_mov_b32_e32 v1, v4
	s_or_b64 exec, exec, s[6:7]
	s_and_saveexec_b64 s[6:7], s[2:3]
	s_cbranch_execnz .LBB337_617
	s_branch .LBB337_618
.LBB337_637:
	s_mov_b64 s[4:5], -1
                                        ; implicit-def: $vgpr1
.LBB337_638:
	s_mov_b64 s[6:7], 0
.LBB337_639:
	s_and_b64 vcc, exec, s[6:7]
	s_cbranch_vccz .LBB337_643
; %bb.640:
	s_cmp_eq_u32 s10, 11
	s_cbranch_scc0 .LBB337_642
; %bb.641:
	global_load_ubyte v1, v[2:3], off
	v_mov_b32_e32 v4, 0x3c00
	s_mov_b64 s[2:3], -1
	s_mov_b64 s[4:5], 0
	s_waitcnt vmcnt(0)
	v_cmp_ne_u16_e32 vcc, 0, v1
	s_nop 1
	v_cndmask_b32_e32 v1, 0, v4, vcc
	s_branch .LBB337_643
.LBB337_642:
	s_mov_b64 s[4:5], -1
                                        ; implicit-def: $vgpr1
.LBB337_643:
	s_mov_b64 s[6:7], 0
.LBB337_644:
	s_and_b64 vcc, exec, s[6:7]
	s_cbranch_vccz .LBB337_693
; %bb.645:
	s_cmp_lt_i32 s10, 5
	s_cbranch_scc1 .LBB337_650
; %bb.646:
	s_cmp_lt_i32 s10, 8
	s_cbranch_scc1 .LBB337_651
	;; [unrolled: 3-line block ×3, first 2 shown]
; %bb.648:
	s_cmp_gt_i32 s10, 9
	s_cbranch_scc0 .LBB337_653
; %bb.649:
	global_load_dwordx2 v[4:5], v[2:3], off
	s_movk_i32 s2, 0x1ff
	s_movk_i32 s3, 0xffe
	s_waitcnt vmcnt(1)
	v_mov_b32_e32 v1, 0x7c00
	v_mov_b32_e32 v6, 0x7e00
	s_movk_i32 s6, 0x40f
	s_mov_b32 s7, 0x8000
	s_waitcnt vmcnt(0)
	v_and_or_b32 v4, v5, s2, v4
	v_cmp_ne_u32_e32 vcc, 0, v4
	v_lshrrev_b32_e32 v7, 8, v5
	v_bfe_u32 v9, v5, 20, 11
	v_cndmask_b32_e64 v4, 0, 1, vcc
	v_sub_u32_e32 v10, 0x3f1, v9
	v_and_or_b32 v4, v7, s3, v4
	v_add_u32_e32 v9, 0xfffffc10, v9
	v_med3_i32 v7, v10, 0, 13
	v_or_b32_e32 v10, 0x1000, v4
	v_cmp_ne_u32_e32 vcc, 0, v4
	v_lshl_or_b32 v11, v9, 12, v4
	v_lshrrev_b32_e32 v5, 16, v5
	v_cndmask_b32_e32 v4, v1, v6, vcc
	v_lshrrev_b32_e32 v6, v7, v10
	v_lshlrev_b32_e32 v7, v7, v6
	v_cmp_ne_u32_e32 vcc, v7, v10
	s_mov_b64 s[2:3], 0
	s_nop 0
	v_cndmask_b32_e64 v7, 0, 1, vcc
	v_or_b32_e32 v6, v6, v7
	v_cmp_gt_i32_e32 vcc, 1, v9
	s_nop 1
	v_cndmask_b32_e32 v6, v11, v6, vcc
	v_and_b32_e32 v7, 7, v6
	v_cmp_lt_i32_e32 vcc, 5, v7
	v_lshrrev_b32_e32 v6, 2, v6
	s_nop 0
	v_cndmask_b32_e64 v10, 0, 1, vcc
	v_cmp_eq_u32_e32 vcc, 3, v7
	s_nop 1
	v_cndmask_b32_e64 v7, 0, 1, vcc
	v_or_b32_e32 v7, v7, v10
	v_add_u32_e32 v6, v6, v7
	v_cmp_gt_i32_e32 vcc, 31, v9
	s_nop 1
	v_cndmask_b32_e32 v1, v1, v6, vcc
	v_cmp_eq_u32_e32 vcc, s6, v9
	s_nop 1
	v_cndmask_b32_e32 v1, v1, v4, vcc
	v_and_or_b32 v1, v5, s7, v1
	s_branch .LBB337_654
.LBB337_650:
	s_mov_b64 s[2:3], -1
                                        ; implicit-def: $vgpr1
	s_branch .LBB337_672
.LBB337_651:
	s_mov_b64 s[2:3], -1
                                        ; implicit-def: $vgpr1
	s_branch .LBB337_660
.LBB337_652:
	s_mov_b64 s[2:3], -1
                                        ; implicit-def: $vgpr1
	s_branch .LBB337_657
.LBB337_653:
	s_mov_b64 s[2:3], -1
                                        ; implicit-def: $vgpr1
.LBB337_654:
	s_andn2_b64 vcc, exec, s[2:3]
	s_cbranch_vccnz .LBB337_656
; %bb.655:
	global_load_dword v1, v[2:3], off
	s_waitcnt vmcnt(0)
	v_cvt_f16_f32_e32 v1, v1
.LBB337_656:
	s_mov_b64 s[2:3], 0
.LBB337_657:
	s_andn2_b64 vcc, exec, s[2:3]
	s_cbranch_vccnz .LBB337_659
; %bb.658:
	global_load_dword v1, v[2:3], off
.LBB337_659:
	s_mov_b64 s[2:3], 0
.LBB337_660:
	s_andn2_b64 vcc, exec, s[2:3]
	s_cbranch_vccnz .LBB337_671
; %bb.661:
	s_cmp_lt_i32 s10, 6
	s_cbranch_scc1 .LBB337_664
; %bb.662:
	s_cmp_gt_i32 s10, 6
	s_cbranch_scc0 .LBB337_665
; %bb.663:
	global_load_dwordx2 v[4:5], v[2:3], off
	s_movk_i32 s2, 0x1ff
	s_movk_i32 s3, 0xffe
	s_waitcnt vmcnt(1)
	v_mov_b32_e32 v1, 0x7c00
	v_mov_b32_e32 v6, 0x7e00
	s_movk_i32 s6, 0x40f
	s_mov_b32 s7, 0x8000
	s_waitcnt vmcnt(0)
	v_and_or_b32 v4, v5, s2, v4
	v_cmp_ne_u32_e32 vcc, 0, v4
	v_lshrrev_b32_e32 v7, 8, v5
	v_bfe_u32 v9, v5, 20, 11
	v_cndmask_b32_e64 v4, 0, 1, vcc
	v_sub_u32_e32 v10, 0x3f1, v9
	v_and_or_b32 v4, v7, s3, v4
	v_add_u32_e32 v9, 0xfffffc10, v9
	v_med3_i32 v7, v10, 0, 13
	v_or_b32_e32 v10, 0x1000, v4
	v_cmp_ne_u32_e32 vcc, 0, v4
	v_lshl_or_b32 v11, v9, 12, v4
	v_lshrrev_b32_e32 v5, 16, v5
	v_cndmask_b32_e32 v4, v1, v6, vcc
	v_lshrrev_b32_e32 v6, v7, v10
	v_lshlrev_b32_e32 v7, v7, v6
	v_cmp_ne_u32_e32 vcc, v7, v10
	s_mov_b64 s[2:3], 0
	s_nop 0
	v_cndmask_b32_e64 v7, 0, 1, vcc
	v_or_b32_e32 v6, v6, v7
	v_cmp_gt_i32_e32 vcc, 1, v9
	s_nop 1
	v_cndmask_b32_e32 v6, v11, v6, vcc
	v_and_b32_e32 v7, 7, v6
	v_cmp_lt_i32_e32 vcc, 5, v7
	v_lshrrev_b32_e32 v6, 2, v6
	s_nop 0
	v_cndmask_b32_e64 v10, 0, 1, vcc
	v_cmp_eq_u32_e32 vcc, 3, v7
	s_nop 1
	v_cndmask_b32_e64 v7, 0, 1, vcc
	v_or_b32_e32 v7, v7, v10
	v_add_u32_e32 v6, v6, v7
	v_cmp_gt_i32_e32 vcc, 31, v9
	s_nop 1
	v_cndmask_b32_e32 v1, v1, v6, vcc
	v_cmp_eq_u32_e32 vcc, s6, v9
	s_nop 1
	v_cndmask_b32_e32 v1, v1, v4, vcc
	v_and_or_b32 v1, v5, s7, v1
	s_branch .LBB337_666
.LBB337_664:
	s_mov_b64 s[2:3], -1
                                        ; implicit-def: $vgpr1
	s_branch .LBB337_669
.LBB337_665:
	s_mov_b64 s[2:3], -1
                                        ; implicit-def: $vgpr1
.LBB337_666:
	s_andn2_b64 vcc, exec, s[2:3]
	s_cbranch_vccnz .LBB337_668
; %bb.667:
	global_load_dword v1, v[2:3], off
	s_waitcnt vmcnt(0)
	v_cvt_f16_f32_e32 v1, v1
.LBB337_668:
	s_mov_b64 s[2:3], 0
.LBB337_669:
	s_andn2_b64 vcc, exec, s[2:3]
	s_cbranch_vccnz .LBB337_671
; %bb.670:
	global_load_ushort v1, v[2:3], off
.LBB337_671:
	s_mov_b64 s[2:3], 0
.LBB337_672:
	s_andn2_b64 vcc, exec, s[2:3]
	s_cbranch_vccnz .LBB337_692
; %bb.673:
	s_cmp_lt_i32 s10, 2
	s_cbranch_scc1 .LBB337_677
; %bb.674:
	s_cmp_lt_i32 s10, 3
	s_cbranch_scc1 .LBB337_678
; %bb.675:
	s_cmp_gt_i32 s10, 3
	s_cbranch_scc0 .LBB337_679
; %bb.676:
	global_load_dwordx2 v[4:5], v[2:3], off
	s_mov_b64 s[2:3], 0
	s_waitcnt vmcnt(0)
	v_xor_b32_e32 v6, v4, v5
	v_ffbh_i32_e32 v1, v5
	v_ashrrev_i32_e32 v6, 31, v6
	v_add_u32_e32 v1, -1, v1
	v_add_u32_e32 v6, 32, v6
	v_min_u32_e32 v1, v1, v6
	v_lshlrev_b64 v[4:5], v1, v[4:5]
	v_min_u32_e32 v4, 1, v4
	v_or_b32_e32 v4, v5, v4
	v_cvt_f32_i32_e32 v4, v4
	v_sub_u32_e32 v1, 32, v1
	v_ldexp_f32 v1, v4, v1
	v_cvt_f16_f32_e32 v1, v1
	s_branch .LBB337_680
.LBB337_677:
	s_mov_b64 s[2:3], -1
                                        ; implicit-def: $vgpr1
	s_branch .LBB337_686
.LBB337_678:
	s_mov_b64 s[2:3], -1
                                        ; implicit-def: $vgpr1
	s_branch .LBB337_683
.LBB337_679:
	s_mov_b64 s[2:3], -1
                                        ; implicit-def: $vgpr1
.LBB337_680:
	s_andn2_b64 vcc, exec, s[2:3]
	s_cbranch_vccnz .LBB337_682
; %bb.681:
	global_load_dword v1, v[2:3], off
	s_waitcnt vmcnt(0)
	v_cvt_f32_i32_e32 v1, v1
	v_cvt_f16_f32_e32 v1, v1
.LBB337_682:
	s_mov_b64 s[2:3], 0
.LBB337_683:
	s_andn2_b64 vcc, exec, s[2:3]
	s_cbranch_vccnz .LBB337_685
; %bb.684:
	global_load_ushort v1, v[2:3], off
	s_waitcnt vmcnt(0)
	v_cvt_f16_i16_e32 v1, v1
.LBB337_685:
	s_mov_b64 s[2:3], 0
.LBB337_686:
	s_andn2_b64 vcc, exec, s[2:3]
	s_cbranch_vccnz .LBB337_692
; %bb.687:
	s_cmp_gt_i32 s10, 0
	s_cbranch_scc0 .LBB337_689
; %bb.688:
	global_load_sbyte v1, v[2:3], off
	s_mov_b64 s[2:3], 0
	s_waitcnt vmcnt(0)
	v_cvt_f16_i16_e32 v1, v1
	s_branch .LBB337_690
.LBB337_689:
	s_mov_b64 s[2:3], -1
                                        ; implicit-def: $vgpr1
.LBB337_690:
	s_andn2_b64 vcc, exec, s[2:3]
	s_cbranch_vccnz .LBB337_692
; %bb.691:
	global_load_ubyte v1, v[2:3], off
	s_waitcnt vmcnt(0)
	v_cvt_f16_u16_e32 v1, v1
.LBB337_692:
	s_mov_b64 s[2:3], -1
.LBB337_693:
	s_andn2_b64 vcc, exec, s[2:3]
	s_cbranch_vccnz .LBB337_701
; %bb.694:
	v_mov_b32_e32 v2, s46
	s_waitcnt vmcnt(0)
	v_cmp_lt_f16_e32 vcc, s46, v1
	v_mov_b32_e32 v3, s75
	s_and_b32 s12, s47, 0xff
	v_cndmask_b32_e32 v2, v2, v1, vcc
	v_cmp_gt_f16_e32 vcc, s75, v2
	s_cmp_lt_i32 s12, 11
	s_nop 0
	v_cndmask_b32_e32 v2, v3, v2, vcc
	v_cmp_u_f16_e32 vcc, v1, v1
	s_nop 1
	v_cndmask_b32_e32 v2, v2, v1, vcc
	v_mov_b32_e32 v1, 0
	v_lshl_add_u64 v[0:1], s[20:21], 0, v[0:1]
	s_cbranch_scc1 .LBB337_702
; %bb.695:
	s_and_b32 s13, 0xffff, s12
	s_cmp_gt_i32 s13, 25
	s_cbranch_scc0 .LBB337_703
; %bb.696:
	s_cmp_gt_i32 s13, 28
	s_cbranch_scc0 .LBB337_704
; %bb.697:
	;; [unrolled: 3-line block ×4, first 2 shown]
	s_mov_b64 s[8:9], 0
	s_mov_b64 s[2:3], -1
	s_cmp_eq_u32 s13, 46
	s_mov_b64 s[6:7], 0
	s_cbranch_scc0 .LBB337_707
; %bb.700:
	v_cvt_f32_f16_e32 v3, v2
	s_movk_i32 s2, 0x7fff
	v_cmp_o_f16_e32 vcc, v2, v2
	v_mov_b32_e32 v4, 0x7fc0
	v_bfe_u32 v5, v3, 16, 1
	v_add3_u32 v3, v3, v5, s2
	v_cndmask_b32_sdwa v3, v4, v3, vcc dst_sel:DWORD dst_unused:UNUSED_PAD src0_sel:DWORD src1_sel:WORD_1
	global_store_dword v[0:1], v3, off
	s_mov_b64 s[6:7], -1
	s_mov_b64 s[2:3], 0
	s_branch .LBB337_707
.LBB337_701:
	s_mov_b64 s[6:7], 0
	s_mov_b64 s[2:3], s[64:65]
	s_branch .LBB337_818
.LBB337_702:
	s_mov_b64 s[8:9], -1
	s_mov_b64 s[6:7], 0
	s_mov_b64 s[2:3], s[64:65]
	s_branch .LBB337_776
.LBB337_703:
	s_mov_b64 s[8:9], -1
	s_mov_b64 s[6:7], 0
	s_mov_b64 s[2:3], s[64:65]
	s_branch .LBB337_734
.LBB337_704:
	s_mov_b64 s[8:9], -1
	s_mov_b64 s[6:7], 0
	s_mov_b64 s[2:3], s[64:65]
	s_branch .LBB337_717
.LBB337_705:
	s_mov_b64 s[8:9], -1
	s_mov_b64 s[6:7], 0
	s_mov_b64 s[2:3], s[64:65]
	s_branch .LBB337_713
.LBB337_706:
	s_mov_b64 s[8:9], -1
	s_mov_b64 s[6:7], 0
	s_mov_b64 s[2:3], s[64:65]
.LBB337_707:
	s_and_b64 vcc, exec, s[8:9]
	s_cbranch_vccz .LBB337_712
; %bb.708:
	s_cmp_eq_u32 s13, 44
	s_mov_b64 s[2:3], -1
	s_cbranch_scc0 .LBB337_712
; %bb.709:
	v_cvt_f32_f16_e32 v3, v2
	s_movk_i32 s2, 0xff
	v_mov_b32_e32 v5, 0xff
	v_bfe_u32 v4, v3, 23, 8
	v_cmp_ne_u32_e32 vcc, s2, v4
	s_and_saveexec_b64 s[6:7], vcc
; %bb.710:
	s_mov_b32 s2, 0x3fffff
	v_lshrrev_b32_e32 v5, 23, v3
	v_and_b32_e32 v6, 0x400000, v3
	v_and_or_b32 v3, v3, s2, v4
	v_cmp_ne_u32_e32 vcc, 0, v6
	v_cmp_ne_u32_e64 s[2:3], 0, v3
	s_and_b64 s[2:3], vcc, s[2:3]
	s_nop 0
	v_cndmask_b32_e64 v3, 0, 1, s[2:3]
	v_add_u32_e32 v5, v5, v3
; %bb.711:
	s_or_b64 exec, exec, s[6:7]
	s_mov_b64 s[6:7], -1
	s_mov_b64 s[2:3], 0
	global_store_byte v[0:1], v5, off
.LBB337_712:
	s_mov_b64 s[8:9], 0
.LBB337_713:
	s_and_b64 vcc, exec, s[8:9]
	s_cbranch_vccz .LBB337_716
; %bb.714:
	s_cmp_eq_u32 s13, 29
	s_mov_b64 s[2:3], -1
	s_cbranch_scc0 .LBB337_716
; %bb.715:
	v_cvt_f32_f16_e32 v3, v2
	v_mov_b32_e32 v5, 0
	s_mov_b64 s[6:7], -1
	s_mov_b64 s[2:3], 0
	v_cvt_u32_f32_e32 v4, v3
	s_mov_b64 s[8:9], 0
	global_store_dwordx2 v[0:1], v[4:5], off
	s_branch .LBB337_717
.LBB337_716:
	s_mov_b64 s[8:9], 0
.LBB337_717:
	s_and_b64 vcc, exec, s[8:9]
	s_cbranch_vccz .LBB337_733
; %bb.718:
	s_cmp_lt_i32 s13, 27
	s_mov_b64 s[6:7], -1
	s_cbranch_scc1 .LBB337_724
; %bb.719:
	s_cmp_gt_i32 s13, 27
	s_cbranch_scc0 .LBB337_721
; %bb.720:
	v_cvt_f32_f16_e32 v3, v2
	s_mov_b64 s[6:7], 0
	v_cvt_u32_f32_e32 v3, v3
	global_store_dword v[0:1], v3, off
.LBB337_721:
	s_andn2_b64 vcc, exec, s[6:7]
	s_cbranch_vccnz .LBB337_723
; %bb.722:
	v_cvt_u16_f16_e32 v3, v2
	global_store_short v[0:1], v3, off
.LBB337_723:
	s_mov_b64 s[6:7], 0
.LBB337_724:
	s_andn2_b64 vcc, exec, s[6:7]
	s_cbranch_vccnz .LBB337_732
; %bb.725:
	v_cvt_f32_f16_e32 v3, v2
	s_mov_b32 s6, 0x43800000
	v_mov_b32_e32 v5, 0x80
	v_and_b32_e32 v4, 0x7fffffff, v3
	v_cmp_gt_u32_e32 vcc, s6, v4
	s_and_saveexec_b64 s[6:7], vcc
	s_cbranch_execz .LBB337_731
; %bb.726:
	s_mov_b32 s8, 0x3bffffff
	v_cmp_lt_u32_e32 vcc, s8, v4
	s_mov_b64 s[8:9], 0
                                        ; implicit-def: $vgpr4
	s_and_saveexec_b64 s[10:11], vcc
	s_xor_b64 s[10:11], exec, s[10:11]
	s_cbranch_execz .LBB337_849
; %bb.727:
	v_bfe_u32 v4, v3, 20, 1
	s_mov_b32 s14, 0x487ffff
	v_add3_u32 v4, v3, v4, s14
	s_mov_b64 s[8:9], exec
	v_lshrrev_b32_e32 v4, 20, v4
	s_andn2_saveexec_b64 s[10:11], s[10:11]
	s_cbranch_execnz .LBB337_850
.LBB337_728:
	s_or_b64 exec, exec, s[10:11]
	v_mov_b32_e32 v5, 0
	s_and_saveexec_b64 s[10:11], s[8:9]
.LBB337_729:
	v_lshrrev_b32_e32 v3, 24, v3
	s_movk_i32 s8, 0x80
	v_and_or_b32 v5, v3, s8, v4
.LBB337_730:
	s_or_b64 exec, exec, s[10:11]
.LBB337_731:
	s_or_b64 exec, exec, s[6:7]
	global_store_byte v[0:1], v5, off
.LBB337_732:
	s_mov_b64 s[6:7], -1
.LBB337_733:
	s_mov_b64 s[8:9], 0
.LBB337_734:
	s_and_b64 vcc, exec, s[8:9]
	s_cbranch_vccz .LBB337_775
; %bb.735:
	s_cmp_gt_i32 s13, 22
	s_mov_b64 s[8:9], -1
	s_cbranch_scc0 .LBB337_767
; %bb.736:
	s_cmp_lt_i32 s13, 24
	s_mov_b64 s[6:7], -1
	s_cbranch_scc1 .LBB337_756
; %bb.737:
	s_cmp_gt_i32 s13, 24
	s_cbranch_scc0 .LBB337_745
; %bb.738:
	v_cvt_f32_f16_e32 v3, v2
	s_mov_b32 s6, 0x47800000
	v_mov_b32_e32 v5, 0x80
	v_and_b32_e32 v4, 0x7fffffff, v3
	v_cmp_gt_u32_e32 vcc, s6, v4
	s_and_saveexec_b64 s[6:7], vcc
	s_cbranch_execz .LBB337_744
; %bb.739:
	s_mov_b32 s8, 0x37ffffff
	v_cmp_lt_u32_e32 vcc, s8, v4
	s_mov_b64 s[8:9], 0
                                        ; implicit-def: $vgpr4
	s_and_saveexec_b64 s[10:11], vcc
	s_xor_b64 s[10:11], exec, s[10:11]
	s_cbranch_execz .LBB337_852
; %bb.740:
	v_bfe_u32 v4, v3, 21, 1
	s_mov_b32 s14, 0x88fffff
	v_add3_u32 v4, v3, v4, s14
	s_mov_b64 s[8:9], exec
	v_lshrrev_b32_e32 v4, 21, v4
	s_andn2_saveexec_b64 s[10:11], s[10:11]
	s_cbranch_execnz .LBB337_853
.LBB337_741:
	s_or_b64 exec, exec, s[10:11]
	v_mov_b32_e32 v5, 0
	s_and_saveexec_b64 s[10:11], s[8:9]
.LBB337_742:
	v_lshrrev_b32_e32 v3, 24, v3
	s_movk_i32 s8, 0x80
	v_and_or_b32 v5, v3, s8, v4
.LBB337_743:
	s_or_b64 exec, exec, s[10:11]
.LBB337_744:
	s_or_b64 exec, exec, s[6:7]
	s_mov_b64 s[6:7], 0
	global_store_byte v[0:1], v5, off
.LBB337_745:
	s_and_b64 vcc, exec, s[6:7]
	s_cbranch_vccz .LBB337_755
; %bb.746:
	v_cvt_f32_f16_e32 v3, v2
	s_mov_b32 s6, 0x43f00000
                                        ; implicit-def: $vgpr4
	v_and_b32_e32 v5, 0x7fffffff, v3
	v_cmp_gt_u32_e32 vcc, s6, v5
	s_and_saveexec_b64 s[6:7], vcc
	s_xor_b64 s[6:7], exec, s[6:7]
	s_cbranch_execz .LBB337_752
; %bb.747:
	s_mov_b32 s8, 0x3c7fffff
	v_cmp_lt_u32_e32 vcc, s8, v5
                                        ; implicit-def: $vgpr4
	s_and_saveexec_b64 s[8:9], vcc
	s_xor_b64 s[8:9], exec, s[8:9]
; %bb.748:
	v_bfe_u32 v4, v3, 20, 1
	s_mov_b32 s10, 0x407ffff
	v_add3_u32 v4, v3, v4, s10
	v_lshrrev_b32_e32 v5, 20, v4
	v_and_b32_e32 v4, 0xff00000, v4
	s_mov_b32 s10, 0x7f00000
	v_mov_b32_e32 v6, 0x7e
	v_cmp_ne_u32_e32 vcc, s10, v4
	s_nop 1
	v_cndmask_b32_e32 v4, v6, v5, vcc
; %bb.749:
	s_andn2_saveexec_b64 s[8:9], s[8:9]
; %bb.750:
	s_mov_b32 s10, 0x46800000
	v_add_f32_e64 v4, |v3|, s10
; %bb.751:
	s_or_b64 exec, exec, s[8:9]
                                        ; implicit-def: $vgpr5
.LBB337_752:
	s_andn2_saveexec_b64 s[6:7], s[6:7]
; %bb.753:
	s_mov_b32 s8, 0x7f800000
	v_mov_b32_e32 v4, 0x7e
	v_mov_b32_e32 v6, 0x7f
	v_cmp_lt_u32_e32 vcc, s8, v5
	s_nop 1
	v_cndmask_b32_e32 v4, v4, v6, vcc
; %bb.754:
	s_or_b64 exec, exec, s[6:7]
	v_lshrrev_b32_e32 v3, 24, v3
	s_movk_i32 s6, 0x80
	v_and_or_b32 v3, v3, s6, v4
	global_store_byte v[0:1], v3, off
.LBB337_755:
	s_mov_b64 s[6:7], 0
.LBB337_756:
	s_andn2_b64 vcc, exec, s[6:7]
	s_cbranch_vccnz .LBB337_766
; %bb.757:
	v_cvt_f32_f16_e32 v3, v2
	s_mov_b32 s6, 0x47800000
                                        ; implicit-def: $vgpr4
	v_and_b32_e32 v5, 0x7fffffff, v3
	v_cmp_gt_u32_e32 vcc, s6, v5
	s_and_saveexec_b64 s[6:7], vcc
	s_xor_b64 s[6:7], exec, s[6:7]
	s_cbranch_execz .LBB337_763
; %bb.758:
	s_mov_b32 s8, 0x387fffff
	v_cmp_lt_u32_e32 vcc, s8, v5
                                        ; implicit-def: $vgpr4
	s_and_saveexec_b64 s[8:9], vcc
	s_xor_b64 s[8:9], exec, s[8:9]
; %bb.759:
	v_bfe_u32 v4, v3, 21, 1
	s_mov_b32 s10, 0x80fffff
	v_add3_u32 v4, v3, v4, s10
	v_lshrrev_b32_e32 v4, 21, v4
; %bb.760:
	s_andn2_saveexec_b64 s[8:9], s[8:9]
; %bb.761:
	s_mov_b32 s10, 0x43000000
	v_add_f32_e64 v4, |v3|, s10
; %bb.762:
	s_or_b64 exec, exec, s[8:9]
                                        ; implicit-def: $vgpr5
.LBB337_763:
	s_andn2_saveexec_b64 s[6:7], s[6:7]
; %bb.764:
	s_mov_b32 s8, 0x7f800000
	v_mov_b32_e32 v4, 0x7c
	v_mov_b32_e32 v6, 0x7f
	v_cmp_lt_u32_e32 vcc, s8, v5
	s_nop 1
	v_cndmask_b32_e32 v4, v4, v6, vcc
; %bb.765:
	s_or_b64 exec, exec, s[6:7]
	v_lshrrev_b32_e32 v3, 24, v3
	s_movk_i32 s6, 0x80
	v_and_or_b32 v3, v3, s6, v4
	global_store_byte v[0:1], v3, off
.LBB337_766:
	s_mov_b64 s[8:9], 0
	s_mov_b64 s[6:7], -1
.LBB337_767:
	s_andn2_b64 vcc, exec, s[8:9]
	s_cbranch_vccnz .LBB337_775
; %bb.768:
	s_cmp_gt_i32 s13, 14
	s_mov_b64 s[8:9], -1
	s_cbranch_scc0 .LBB337_772
; %bb.769:
	s_cmp_eq_u32 s13, 15
	s_mov_b64 s[2:3], -1
	s_cbranch_scc0 .LBB337_771
; %bb.770:
	v_cvt_f32_f16_e32 v3, v2
	s_movk_i32 s2, 0x7fff
	v_cmp_o_f16_e32 vcc, v2, v2
	v_mov_b32_e32 v4, 0x7fc0
	v_bfe_u32 v5, v3, 16, 1
	v_add3_u32 v3, v3, v5, s2
	v_cndmask_b32_sdwa v3, v4, v3, vcc dst_sel:DWORD dst_unused:UNUSED_PAD src0_sel:DWORD src1_sel:WORD_1
	global_store_short v[0:1], v3, off
	s_mov_b64 s[6:7], -1
	s_mov_b64 s[2:3], 0
.LBB337_771:
	s_mov_b64 s[8:9], 0
.LBB337_772:
	s_and_b64 vcc, exec, s[8:9]
	s_cbranch_vccz .LBB337_775
; %bb.773:
	s_cmp_eq_u32 s13, 11
	s_mov_b64 s[2:3], -1
	s_cbranch_scc0 .LBB337_775
; %bb.774:
	v_and_b32_e32 v3, 0x7fff, v2
	v_cmp_ne_u16_e32 vcc, 0, v3
	s_mov_b64 s[6:7], -1
	s_mov_b64 s[2:3], 0
	v_cndmask_b32_e64 v3, 0, 1, vcc
	global_store_byte v[0:1], v3, off
.LBB337_775:
	s_mov_b64 s[8:9], 0
.LBB337_776:
	s_and_b64 vcc, exec, s[8:9]
	s_cbranch_vccz .LBB337_815
; %bb.777:
	s_and_b32 s8, 0xffff, s12
	s_cmp_lt_i32 s8, 5
	s_mov_b64 s[6:7], -1
	s_cbranch_scc1 .LBB337_798
; %bb.778:
	s_cmp_lt_i32 s8, 8
	s_cbranch_scc1 .LBB337_788
; %bb.779:
	s_cmp_lt_i32 s8, 9
	s_cbranch_scc1 .LBB337_785
; %bb.780:
	s_cmp_gt_i32 s8, 9
	s_cbranch_scc0 .LBB337_782
; %bb.781:
	v_cvt_f32_f16_e32 v3, v2
	v_mov_b32_e32 v6, 0
	v_mov_b32_e32 v7, v6
	s_mov_b64 s[6:7], 0
	v_cvt_f64_f32_e32 v[4:5], v3
	global_store_dwordx4 v[0:1], v[4:7], off
.LBB337_782:
	s_andn2_b64 vcc, exec, s[6:7]
	s_cbranch_vccnz .LBB337_784
; %bb.783:
	v_cvt_f32_f16_e32 v4, v2
	v_mov_b32_e32 v5, 0
	global_store_dwordx2 v[0:1], v[4:5], off
.LBB337_784:
	s_mov_b64 s[6:7], 0
.LBB337_785:
	s_andn2_b64 vcc, exec, s[6:7]
	s_cbranch_vccnz .LBB337_787
; %bb.786:
	v_and_b32_e32 v3, 0xffff, v2
	global_store_dword v[0:1], v3, off
.LBB337_787:
	s_mov_b64 s[6:7], 0
.LBB337_788:
	s_andn2_b64 vcc, exec, s[6:7]
	s_cbranch_vccnz .LBB337_797
; %bb.789:
	s_cmp_lt_i32 s8, 6
	s_mov_b64 s[6:7], -1
	s_cbranch_scc1 .LBB337_795
; %bb.790:
	s_cmp_gt_i32 s8, 6
	s_cbranch_scc0 .LBB337_792
; %bb.791:
	v_cvt_f32_f16_e32 v3, v2
	s_mov_b64 s[6:7], 0
	v_cvt_f64_f32_e32 v[4:5], v3
	global_store_dwordx2 v[0:1], v[4:5], off
.LBB337_792:
	s_andn2_b64 vcc, exec, s[6:7]
	s_cbranch_vccnz .LBB337_794
; %bb.793:
	v_cvt_f32_f16_e32 v3, v2
	global_store_dword v[0:1], v3, off
.LBB337_794:
	s_mov_b64 s[6:7], 0
.LBB337_795:
	s_andn2_b64 vcc, exec, s[6:7]
	s_cbranch_vccnz .LBB337_797
; %bb.796:
	global_store_short v[0:1], v2, off
.LBB337_797:
	s_mov_b64 s[6:7], 0
.LBB337_798:
	s_andn2_b64 vcc, exec, s[6:7]
	s_cbranch_vccnz .LBB337_814
; %bb.799:
	s_cmp_lt_i32 s8, 2
	s_mov_b64 s[6:7], -1
	s_cbranch_scc1 .LBB337_809
; %bb.800:
	s_cmp_lt_i32 s8, 3
	s_cbranch_scc1 .LBB337_806
; %bb.801:
	s_cmp_gt_i32 s8, 3
	s_cbranch_scc0 .LBB337_803
; %bb.802:
	v_cvt_f32_f16_e32 v3, v2
	s_mov_b64 s[6:7], 0
	v_cvt_i32_f32_e32 v4, v3
	v_ashrrev_i32_e32 v5, 31, v4
	global_store_dwordx2 v[0:1], v[4:5], off
.LBB337_803:
	s_andn2_b64 vcc, exec, s[6:7]
	s_cbranch_vccnz .LBB337_805
; %bb.804:
	v_cvt_f32_f16_e32 v3, v2
	v_cvt_i32_f32_e32 v3, v3
	global_store_dword v[0:1], v3, off
.LBB337_805:
	s_mov_b64 s[6:7], 0
.LBB337_806:
	s_andn2_b64 vcc, exec, s[6:7]
	s_cbranch_vccnz .LBB337_808
; %bb.807:
	v_cvt_i16_f16_e32 v3, v2
	global_store_short v[0:1], v3, off
.LBB337_808:
	s_mov_b64 s[6:7], 0
.LBB337_809:
	s_andn2_b64 vcc, exec, s[6:7]
	s_cbranch_vccnz .LBB337_814
; %bb.810:
	s_cmp_gt_i32 s8, 0
	s_mov_b64 s[6:7], -1
	s_cbranch_scc0 .LBB337_812
; %bb.811:
	v_cvt_i16_f16_e32 v3, v2
	s_mov_b64 s[6:7], 0
	global_store_byte v[0:1], v3, off
.LBB337_812:
	s_andn2_b64 vcc, exec, s[6:7]
	s_cbranch_vccnz .LBB337_814
; %bb.813:
	v_cvt_f32_f16_e32 v2, v2
	v_cvt_i32_f32_e32 v2, v2
	global_store_byte v[0:1], v2, off
.LBB337_814:
	s_mov_b64 s[6:7], -1
.LBB337_815:
	s_andn2_b64 vcc, exec, s[6:7]
	s_cbranch_vccnz .LBB337_817
; %bb.816:
	v_add_u32_e32 v8, 0x80, v8
	s_mov_b64 s[6:7], -1
	s_branch .LBB337_819
.LBB337_817:
	s_mov_b64 s[6:7], 0
.LBB337_818:
                                        ; implicit-def: $vgpr8
.LBB337_819:
	s_andn2_b64 s[8:9], s[64:65], exec
	s_and_b64 s[2:3], s[2:3], exec
	s_or_b64 s[70:71], s[8:9], s[2:3]
	s_andn2_b64 s[2:3], s[62:63], exec
	s_and_b64 s[4:5], s[4:5], exec
	s_or_b64 s[2:3], s[2:3], s[4:5]
	s_orn2_b64 s[6:7], s[6:7], exec
.LBB337_820:
	s_or_b64 exec, exec, s[68:69]
	s_mov_b64 s[4:5], 0
	s_mov_b64 s[10:11], 0
	;; [unrolled: 1-line block ×3, first 2 shown]
                                        ; implicit-def: $vgpr2_vgpr3
                                        ; implicit-def: $vgpr0
                                        ; implicit-def: $vgpr1
	s_and_saveexec_b64 s[68:69], s[6:7]
	s_cbranch_execz .LBB337_920
; %bb.821:
	v_cmp_gt_i32_e32 vcc, s72, v8
	s_mov_b64 s[6:7], 0
	s_mov_b64 s[12:13], s[2:3]
                                        ; implicit-def: $vgpr2_vgpr3
                                        ; implicit-def: $vgpr0
                                        ; implicit-def: $vgpr1
	s_and_saveexec_b64 s[72:73], vcc
	s_cbranch_execz .LBB337_919
; %bb.822:
	s_andn2_b64 vcc, exec, s[42:43]
	s_cbranch_vccnz .LBB337_828
; %bb.823:
	s_andn2_b64 vcc, exec, s[54:55]
	s_cbranch_vccnz .LBB337_829
; %bb.824:
	s_add_i32 s78, s77, 1
	s_cmp_eq_u32 s74, 2
	s_cbranch_scc1 .LBB337_830
; %bb.825:
	s_and_b32 s77, s78, 28
	s_mov_b32 s79, 0
	v_mov_b32_e32 v0, 0
	v_mov_b32_e32 v2, 0
	s_mov_b64 s[54:55], s[34:35]
	v_mov_b32_e32 v4, v8
.LBB337_826:                            ; =>This Inner Loop Header: Depth=1
	s_load_dwordx8 s[12:19], s[54:55], 0x4
	s_load_dwordx4 s[36:39], s[54:55], 0x24
	s_load_dwordx8 s[4:11], s[52:53], 0x0
	s_add_u32 s54, s54, 48
	s_addc_u32 s55, s55, 0
	s_waitcnt vmcnt(0) lgkmcnt(0)
	v_mul_hi_u32 v1, s13, v4
	v_add_u32_e32 v1, v4, v1
	v_lshrrev_b32_e32 v1, s14, v1
	v_mul_lo_u32 v3, v1, s12
	v_mul_hi_u32 v5, s16, v1
	v_sub_u32_e32 v3, v4, v3
	v_add_u32_e32 v4, v1, v5
	v_lshrrev_b32_e32 v4, s17, v4
	v_mul_lo_u32 v6, v4, s15
	v_mul_hi_u32 v7, s19, v4
	v_sub_u32_e32 v1, v1, v6
	v_add_u32_e32 v6, v4, v7
	v_mul_lo_u32 v5, v3, s5
	v_mul_lo_u32 v3, v3, s4
	;; [unrolled: 1-line block ×4, first 2 shown]
	v_lshrrev_b32_e32 v6, s36, v6
	v_add3_u32 v0, v3, v0, v1
	v_mul_hi_u32 v3, s38, v6
	v_add3_u32 v1, v5, v2, v7
	v_mul_lo_u32 v2, v6, s18
	v_add_u32_e32 v3, v6, v3
	v_sub_u32_e32 v2, v4, v2
	v_lshrrev_b32_e32 v4, s39, v3
	s_add_i32 s79, s79, 4
	v_mul_lo_u32 v3, v4, s37
	s_add_u32 s52, s52, 32
	v_sub_u32_e32 v3, v6, v3
	s_addc_u32 s53, s53, 0
	v_mul_lo_u32 v5, v2, s8
	v_mul_lo_u32 v2, v2, s9
	;; [unrolled: 1-line block ×4, first 2 shown]
	s_cmp_eq_u32 s77, s79
	v_add3_u32 v2, v2, v1, v3
	v_add3_u32 v0, v5, v0, v6
	s_cbranch_scc0 .LBB337_826
; %bb.827:
	v_mov_b32_e32 v1, v2
	s_branch .LBB337_831
.LBB337_828:
	s_mov_b64 s[4:5], -1
                                        ; implicit-def: $vgpr2
                                        ; implicit-def: $vgpr0
	s_branch .LBB337_835
.LBB337_829:
	v_mov_b32_e32 v2, 0
	v_mov_b32_e32 v0, 0
	s_branch .LBB337_834
.LBB337_830:
	v_mov_b32_e32 v0, 0
	s_mov_b32 s77, 0
	s_waitcnt vmcnt(0)
	v_mov_b32_e32 v1, v0
                                        ; implicit-def: $vgpr2
	v_mov_b32_e32 v4, v8
.LBB337_831:
	s_and_b32 s8, s78, 3
	s_cmp_eq_u32 s8, 0
	s_cbranch_scc1 .LBB337_834
; %bb.832:
	s_lshl_b32 s4, s77, 3
	s_add_u32 s4, s34, s4
	s_addc_u32 s5, s35, 0
	s_add_u32 s4, s4, 0xc4
	s_addc_u32 s5, s5, 0
	s_mul_i32 s6, s77, 12
	s_add_u32 s6, s34, s6
	s_addc_u32 s7, s35, 0
.LBB337_833:                            ; =>This Inner Loop Header: Depth=1
	s_load_dwordx2 s[10:11], s[6:7], 0x4
	s_load_dword s9, s[6:7], 0xc
	s_load_dwordx2 s[12:13], s[4:5], 0x0
	v_mov_b32_e32 v2, v1
	s_add_u32 s6, s6, 12
	s_waitcnt lgkmcnt(0)
	v_mul_hi_u32 v1, s11, v4
	v_add_u32_e32 v1, v4, v1
	v_lshrrev_b32_e32 v1, s9, v1
	s_addc_u32 s7, s7, 0
	v_mul_lo_u32 v3, v1, s10
	s_add_u32 s4, s4, 8
	v_sub_u32_e32 v5, v4, v3
	s_addc_u32 s5, s5, 0
	s_add_i32 s8, s8, -1
	v_mov_b32_e32 v4, v1
	v_mad_u64_u32 v[2:3], s[10:11], v5, s13, v[2:3]
	v_mad_u64_u32 v[0:1], s[10:11], v5, s12, v[0:1]
	s_cmp_lg_u32 s8, 0
	v_mov_b32_e32 v1, v2
	s_cbranch_scc1 .LBB337_833
.LBB337_834:
	s_mov_b64 s[4:5], 0
.LBB337_835:
	s_andn2_b64 vcc, exec, s[4:5]
	s_cbranch_vccnz .LBB337_838
; %bb.836:
	v_mul_hi_u32 v0, s25, v8
	v_add_u32_e32 v0, v8, v0
	s_waitcnt vmcnt(0)
	v_lshrrev_b32_e32 v1, s26, v0
	v_mul_lo_u32 v0, v1, s24
	v_sub_u32_e32 v0, v8, v0
	v_mul_lo_u32 v2, v0, s29
	s_andn2_b64 vcc, exec, s[50:51]
	v_mul_lo_u32 v0, v0, s28
	s_cbranch_vccnz .LBB337_838
; %bb.837:
	v_mul_hi_u32 v3, s48, v1
	v_add_u32_e32 v3, v1, v3
	v_lshrrev_b32_e32 v3, s49, v3
	v_mul_lo_u32 v3, v3, s27
	v_sub_u32_e32 v3, v1, v3
	v_mad_u64_u32 v[0:1], s[4:5], v3, s30, v[0:1]
	v_mad_u64_u32 v[2:3], s[4:5], v3, s31, v[2:3]
.LBB337_838:
	v_mov_b32_e32 v3, 0
	s_and_b32 s14, 0xffff, s76
	s_cmp_lt_i32 s14, 11
	v_lshl_add_u64 v[2:3], s[22:23], 0, v[2:3]
	s_cbranch_scc1 .LBB337_845
; %bb.839:
	s_cmp_gt_i32 s14, 25
	s_mov_b64 s[6:7], 0
	s_cbranch_scc0 .LBB337_846
; %bb.840:
	s_cmp_gt_i32 s14, 28
	s_cbranch_scc0 .LBB337_847
; %bb.841:
	s_cmp_gt_i32 s14, 43
	;; [unrolled: 3-line block ×3, first 2 shown]
	s_cbranch_scc0 .LBB337_851
; %bb.843:
	s_cmp_eq_u32 s14, 46
	s_mov_b64 s[10:11], 0
	s_cbranch_scc0 .LBB337_854
; %bb.844:
	global_load_dword v1, v[2:3], off
	s_mov_b64 s[4:5], 0
	s_mov_b64 s[8:9], -1
	s_waitcnt vmcnt(0)
	v_lshlrev_b32_e32 v1, 16, v1
	v_cvt_f16_f32_e32 v1, v1
	s_branch .LBB337_855
.LBB337_845:
	s_mov_b64 s[10:11], -1
	s_mov_b64 s[8:9], 0
	s_mov_b64 s[6:7], 0
	;; [unrolled: 1-line block ×3, first 2 shown]
                                        ; implicit-def: $vgpr1
	s_branch .LBB337_918
.LBB337_846:
	s_mov_b64 s[10:11], -1
	s_mov_b64 s[8:9], 0
	s_mov_b64 s[4:5], s[2:3]
                                        ; implicit-def: $vgpr1
	s_branch .LBB337_884
.LBB337_847:
	s_mov_b64 s[10:11], -1
	s_mov_b64 s[8:9], 0
	s_mov_b64 s[4:5], s[2:3]
                                        ; implicit-def: $vgpr1
	s_branch .LBB337_865
.LBB337_848:
	s_mov_b64 s[10:11], -1
	s_mov_b64 s[8:9], 0
	s_mov_b64 s[4:5], s[2:3]
                                        ; implicit-def: $vgpr1
	s_branch .LBB337_860
.LBB337_849:
	s_andn2_saveexec_b64 s[10:11], s[10:11]
	s_cbranch_execz .LBB337_728
.LBB337_850:
	s_mov_b32 s14, 0x46000000
	v_add_f32_e64 v4, |v3|, s14
	v_and_b32_e32 v4, 0xff, v4
	v_cmp_ne_u32_e32 vcc, 0, v4
	s_andn2_b64 s[8:9], s[8:9], exec
	s_and_b64 s[14:15], vcc, exec
	s_or_b64 s[8:9], s[8:9], s[14:15]
	s_or_b64 exec, exec, s[10:11]
	v_mov_b32_e32 v5, 0
	s_and_saveexec_b64 s[10:11], s[8:9]
	s_cbranch_execnz .LBB337_729
	s_branch .LBB337_730
.LBB337_851:
	s_mov_b64 s[10:11], -1
	s_mov_b64 s[8:9], 0
	s_mov_b64 s[4:5], s[2:3]
                                        ; implicit-def: $vgpr1
	s_branch .LBB337_855
.LBB337_852:
	s_andn2_saveexec_b64 s[10:11], s[10:11]
	s_cbranch_execz .LBB337_741
.LBB337_853:
	s_mov_b32 s14, 0x42800000
	v_add_f32_e64 v4, |v3|, s14
	v_and_b32_e32 v4, 0xff, v4
	v_cmp_ne_u32_e32 vcc, 0, v4
	s_andn2_b64 s[8:9], s[8:9], exec
	s_and_b64 s[14:15], vcc, exec
	s_or_b64 s[8:9], s[8:9], s[14:15]
	s_or_b64 exec, exec, s[10:11]
	v_mov_b32_e32 v5, 0
	s_and_saveexec_b64 s[10:11], s[8:9]
	s_cbranch_execnz .LBB337_742
	s_branch .LBB337_743
.LBB337_854:
	s_mov_b64 s[4:5], -1
                                        ; implicit-def: $vgpr1
	s_mov_b64 s[8:9], 0
.LBB337_855:
	s_and_b64 vcc, exec, s[10:11]
	s_cbranch_vccz .LBB337_859
; %bb.856:
	s_cmp_eq_u32 s14, 44
	s_cbranch_scc0 .LBB337_858
; %bb.857:
	global_load_ubyte v1, v[2:3], off
	s_movk_i32 s8, 0xff
	v_mov_b32_e32 v5, 0x7e00
	s_mov_b64 s[4:5], 0
	s_waitcnt vmcnt(0)
	v_lshlrev_b32_e32 v4, 23, v1
	v_cvt_f16_f32_e32 v4, v4
	v_cmp_ne_u32_e32 vcc, s8, v1
	s_mov_b64 s[8:9], -1
	s_nop 0
	v_cndmask_b32_e32 v4, v5, v4, vcc
	v_cmp_ne_u32_e32 vcc, 0, v1
	s_nop 1
	v_cndmask_b32_e32 v1, 0, v4, vcc
	s_branch .LBB337_859
.LBB337_858:
	s_mov_b64 s[4:5], -1
                                        ; implicit-def: $vgpr1
.LBB337_859:
	s_mov_b64 s[10:11], 0
.LBB337_860:
	s_and_b64 vcc, exec, s[10:11]
	s_cbranch_vccz .LBB337_864
; %bb.861:
	s_cmp_eq_u32 s14, 29
	s_cbranch_scc0 .LBB337_863
; %bb.862:
	global_load_dwordx2 v[4:5], v[2:3], off
	s_mov_b64 s[4:5], 0
	s_mov_b64 s[8:9], -1
	s_mov_b64 s[10:11], 0
	s_waitcnt vmcnt(0)
	v_ffbh_u32_e32 v1, v5
	v_min_u32_e32 v1, 32, v1
	v_lshlrev_b64 v[4:5], v1, v[4:5]
	v_min_u32_e32 v4, 1, v4
	v_or_b32_e32 v4, v5, v4
	v_cvt_f32_u32_e32 v4, v4
	v_sub_u32_e32 v1, 32, v1
	v_ldexp_f32 v1, v4, v1
	v_cvt_f16_f32_e32 v1, v1
	s_branch .LBB337_865
.LBB337_863:
	s_mov_b64 s[4:5], -1
                                        ; implicit-def: $vgpr1
.LBB337_864:
	s_mov_b64 s[10:11], 0
.LBB337_865:
	s_and_b64 vcc, exec, s[10:11]
	s_cbranch_vccz .LBB337_883
; %bb.866:
	s_cmp_lt_i32 s14, 27
	s_cbranch_scc1 .LBB337_869
; %bb.867:
	s_cmp_gt_i32 s14, 27
	s_cbranch_scc0 .LBB337_870
; %bb.868:
	global_load_dword v1, v[2:3], off
	s_mov_b64 s[8:9], 0
	s_waitcnt vmcnt(0)
	v_cvt_f32_u32_e32 v1, v1
	v_cvt_f16_f32_e32 v1, v1
	s_branch .LBB337_871
.LBB337_869:
	s_mov_b64 s[8:9], -1
                                        ; implicit-def: $vgpr1
	s_branch .LBB337_874
.LBB337_870:
	s_mov_b64 s[8:9], -1
                                        ; implicit-def: $vgpr1
.LBB337_871:
	s_andn2_b64 vcc, exec, s[8:9]
	s_cbranch_vccnz .LBB337_873
; %bb.872:
	global_load_ushort v1, v[2:3], off
	s_waitcnt vmcnt(0)
	v_cvt_f16_u16_e32 v1, v1
.LBB337_873:
	s_mov_b64 s[8:9], 0
.LBB337_874:
	s_andn2_b64 vcc, exec, s[8:9]
	s_cbranch_vccnz .LBB337_882
; %bb.875:
	global_load_ubyte v4, v[2:3], off
	s_movk_i32 s8, 0x7f
	s_waitcnt vmcnt(0)
	v_cmp_lt_i16_e32 vcc, s8, v4
	s_mov_b64 s[8:9], 0
	s_and_saveexec_b64 s[10:11], vcc
	s_xor_b64 s[10:11], exec, s[10:11]
	s_cbranch_execz .LBB337_896
; %bb.876:
	s_movk_i32 s8, 0x80
	v_cmp_eq_u16_e32 vcc, s8, v4
	s_mov_b64 s[8:9], -1
	s_and_saveexec_b64 s[12:13], vcc
; %bb.877:
	s_xor_b64 s[8:9], exec, -1
; %bb.878:
	s_or_b64 exec, exec, s[12:13]
	s_and_b64 s[8:9], s[8:9], exec
	s_or_saveexec_b64 s[10:11], s[10:11]
	v_mov_b32_e32 v1, 0x7e00
	s_xor_b64 exec, exec, s[10:11]
	s_cbranch_execnz .LBB337_897
.LBB337_879:
	s_or_b64 exec, exec, s[10:11]
	s_and_saveexec_b64 s[10:11], s[8:9]
	s_cbranch_execz .LBB337_881
.LBB337_880:
	v_lshlrev_b32_e32 v1, 24, v4
	v_and_b32_e32 v4, 0xffff, v4
	v_and_b32_e32 v5, 7, v4
	v_ffbh_u32_e32 v7, v5
	v_min_u32_e32 v7, 32, v7
	v_subrev_u32_e32 v8, 28, v7
	v_bfe_u32 v6, v4, 3, 4
	v_lshlrev_b32_e32 v4, v8, v4
	v_sub_u32_e32 v7, 29, v7
	v_and_b32_e32 v4, 7, v4
	v_cmp_eq_u32_e32 vcc, 0, v6
	v_and_b32_e32 v1, 0x80000000, v1
	s_nop 0
	v_cndmask_b32_e32 v6, v6, v7, vcc
	v_cndmask_b32_e32 v4, v5, v4, vcc
	v_mov_b32_e32 v5, 0x3b800000
	v_lshlrev_b32_e32 v4, 20, v4
	v_lshl_add_u32 v5, v6, 23, v5
	v_or3_b32 v1, v1, v5, v4
	v_cvt_f16_f32_e32 v1, v1
.LBB337_881:
	s_or_b64 exec, exec, s[10:11]
.LBB337_882:
	s_mov_b64 s[8:9], -1
.LBB337_883:
	s_mov_b64 s[10:11], 0
.LBB337_884:
	s_and_b64 vcc, exec, s[10:11]
	s_cbranch_vccz .LBB337_917
; %bb.885:
	s_cmp_gt_i32 s14, 22
	s_cbranch_scc0 .LBB337_895
; %bb.886:
	s_cmp_lt_i32 s14, 24
	s_cbranch_scc1 .LBB337_898
; %bb.887:
	s_cmp_gt_i32 s14, 24
	s_cbranch_scc0 .LBB337_899
; %bb.888:
	global_load_ubyte v4, v[2:3], off
	s_movk_i32 s6, 0x7f
	s_waitcnt vmcnt(0)
	v_cmp_lt_i16_e32 vcc, s6, v4
	s_mov_b64 s[6:7], 0
	s_and_saveexec_b64 s[8:9], vcc
	s_xor_b64 s[8:9], exec, s[8:9]
	s_cbranch_execz .LBB337_911
; %bb.889:
	s_movk_i32 s6, 0x80
	v_cmp_eq_u16_e32 vcc, s6, v4
	s_mov_b64 s[6:7], -1
	s_and_saveexec_b64 s[10:11], vcc
; %bb.890:
	s_xor_b64 s[6:7], exec, -1
; %bb.891:
	s_or_b64 exec, exec, s[10:11]
	s_and_b64 s[6:7], s[6:7], exec
	s_or_saveexec_b64 s[8:9], s[8:9]
	v_mov_b32_e32 v1, 0x7e00
	s_xor_b64 exec, exec, s[8:9]
	s_cbranch_execnz .LBB337_912
.LBB337_892:
	s_or_b64 exec, exec, s[8:9]
	s_and_saveexec_b64 s[8:9], s[6:7]
	s_cbranch_execz .LBB337_894
.LBB337_893:
	v_lshlrev_b32_e32 v1, 24, v4
	v_and_b32_e32 v4, 0xffff, v4
	v_and_b32_e32 v5, 3, v4
	v_ffbh_u32_e32 v7, v5
	v_min_u32_e32 v7, 32, v7
	v_subrev_u32_e32 v8, 29, v7
	v_bfe_u32 v6, v4, 2, 5
	v_lshlrev_b32_e32 v4, v8, v4
	v_sub_u32_e32 v7, 30, v7
	v_and_b32_e32 v4, 3, v4
	v_cmp_eq_u32_e32 vcc, 0, v6
	v_and_b32_e32 v1, 0x80000000, v1
	s_nop 0
	v_cndmask_b32_e32 v6, v6, v7, vcc
	v_cndmask_b32_e32 v4, v5, v4, vcc
	v_mov_b32_e32 v5, 0x37800000
	v_lshlrev_b32_e32 v4, 21, v4
	v_lshl_add_u32 v5, v6, 23, v5
	v_or3_b32 v1, v1, v5, v4
	v_cvt_f16_f32_e32 v1, v1
.LBB337_894:
	s_or_b64 exec, exec, s[8:9]
	s_mov_b64 s[6:7], 0
	s_branch .LBB337_900
.LBB337_895:
	s_mov_b64 s[6:7], -1
                                        ; implicit-def: $vgpr1
	s_branch .LBB337_906
.LBB337_896:
	s_or_saveexec_b64 s[10:11], s[10:11]
	v_mov_b32_e32 v1, 0x7e00
	s_xor_b64 exec, exec, s[10:11]
	s_cbranch_execz .LBB337_879
.LBB337_897:
	v_cmp_ne_u16_e32 vcc, 0, v4
	s_andn2_b64 s[8:9], s[8:9], exec
	s_and_b64 s[12:13], vcc, exec
	s_or_b64 s[8:9], s[8:9], s[12:13]
	v_mov_b32_e32 v1, v4
	s_or_b64 exec, exec, s[10:11]
	s_and_saveexec_b64 s[10:11], s[8:9]
	s_cbranch_execnz .LBB337_880
	s_branch .LBB337_881
.LBB337_898:
	s_mov_b64 s[6:7], -1
                                        ; implicit-def: $vgpr1
	s_branch .LBB337_903
.LBB337_899:
	s_mov_b64 s[6:7], -1
                                        ; implicit-def: $vgpr1
.LBB337_900:
	s_and_b64 vcc, exec, s[6:7]
	s_cbranch_vccz .LBB337_902
; %bb.901:
	global_load_ubyte v1, v[2:3], off
	s_mov_b32 s6, 0x7f800000
	s_waitcnt vmcnt(0)
	v_lshlrev_b32_e32 v1, 24, v1
	v_and_b32_e32 v4, 0x7f000000, v1
	v_ffbh_u32_e32 v5, v4
	v_min_u32_e32 v5, 32, v5
	v_sub_u32_e64 v5, v5, 4 clamp
	v_lshlrev_b32_e32 v7, v5, v4
	v_lshlrev_b32_e32 v5, 23, v5
	v_lshrrev_b32_e32 v7, 4, v7
	v_add_u32_e32 v6, 0x1000000, v4
	v_sub_u32_e32 v5, v7, v5
	v_ashrrev_i32_e32 v6, 8, v6
	v_add_u32_e32 v5, 0x3c000000, v5
	v_and_or_b32 v5, v6, s6, v5
	v_cmp_ne_u32_e32 vcc, 0, v4
	s_brev_b32 s6, 1
	s_nop 0
	v_cndmask_b32_e32 v4, 0, v5, vcc
	v_and_or_b32 v1, v1, s6, v4
	v_cvt_f16_f32_e32 v1, v1
.LBB337_902:
	s_mov_b64 s[6:7], 0
.LBB337_903:
	s_andn2_b64 vcc, exec, s[6:7]
	s_cbranch_vccnz .LBB337_905
; %bb.904:
	global_load_ubyte v1, v[2:3], off
	s_movk_i32 s6, 0x7f00
	s_brev_b32 s7, 16
	s_waitcnt vmcnt(0)
	v_lshlrev_b16_e32 v4, 8, v1
	v_lshlrev_b32_e32 v1, 25, v1
	v_lshrrev_b32_e32 v5, 4, v1
	v_and_or_b32 v6, v4, s6, 0.5
	v_or_b32_e32 v5, 0x70000000, v5
	v_add_f32_e32 v6, -0.5, v6
	v_mul_f32_e32 v5, 0x7800000, v5
	v_cmp_gt_u32_e32 vcc, s7, v1
	v_bfe_i32 v4, v4, 0, 16
	s_brev_b32 s6, 1
	v_cndmask_b32_e32 v1, v5, v6, vcc
	v_and_or_b32 v1, v4, s6, v1
	v_cvt_f16_f32_e32 v1, v1
.LBB337_905:
	s_mov_b64 s[6:7], 0
	s_mov_b64 s[8:9], -1
.LBB337_906:
	s_andn2_b64 vcc, exec, s[6:7]
	s_mov_b64 s[6:7], 0
	s_cbranch_vccnz .LBB337_917
; %bb.907:
	s_cmp_gt_i32 s14, 14
	s_cbranch_scc0 .LBB337_910
; %bb.908:
	s_cmp_eq_u32 s14, 15
	s_cbranch_scc0 .LBB337_913
; %bb.909:
	global_load_ushort v1, v[2:3], off
	s_mov_b64 s[4:5], 0
	s_mov_b64 s[8:9], -1
	s_waitcnt vmcnt(0)
	v_lshlrev_b32_e32 v1, 16, v1
	v_cvt_f16_f32_e32 v1, v1
	s_branch .LBB337_914
.LBB337_910:
	s_mov_b64 s[10:11], -1
                                        ; implicit-def: $vgpr1
	s_branch .LBB337_915
.LBB337_911:
	s_or_saveexec_b64 s[8:9], s[8:9]
	v_mov_b32_e32 v1, 0x7e00
	s_xor_b64 exec, exec, s[8:9]
	s_cbranch_execz .LBB337_892
.LBB337_912:
	v_cmp_ne_u16_e32 vcc, 0, v4
	s_andn2_b64 s[6:7], s[6:7], exec
	s_and_b64 s[10:11], vcc, exec
	s_or_b64 s[6:7], s[6:7], s[10:11]
	v_mov_b32_e32 v1, v4
	s_or_b64 exec, exec, s[8:9]
	s_and_saveexec_b64 s[8:9], s[6:7]
	s_cbranch_execnz .LBB337_893
	s_branch .LBB337_894
.LBB337_913:
	s_mov_b64 s[4:5], -1
                                        ; implicit-def: $vgpr1
.LBB337_914:
	s_mov_b64 s[10:11], 0
.LBB337_915:
	s_and_b64 vcc, exec, s[10:11]
	s_cbranch_vccz .LBB337_917
; %bb.916:
	s_cmp_lg_u32 s14, 11
	s_cselect_b64 s[10:11], -1, 0
	s_andn2_b64 s[4:5], s[4:5], exec
	s_and_b64 s[10:11], s[10:11], exec
	s_mov_b64 s[6:7], -1
	s_or_b64 s[4:5], s[4:5], s[10:11]
.LBB337_917:
	s_mov_b64 s[10:11], 0
.LBB337_918:
	s_andn2_b64 s[12:13], s[2:3], exec
	s_and_b64 s[4:5], s[4:5], exec
	s_and_b64 s[8:9], s[8:9], exec
	s_and_b64 s[10:11], s[10:11], exec
	s_and_b64 s[6:7], s[6:7], exec
	s_or_b64 s[12:13], s[12:13], s[4:5]
.LBB337_919:
	s_or_b64 exec, exec, s[72:73]
	s_and_b64 s[4:5], s[6:7], exec
	s_andn2_b64 s[2:3], s[2:3], exec
	s_and_b64 s[6:7], s[12:13], exec
	s_and_b64 s[8:9], s[8:9], exec
	;; [unrolled: 1-line block ×3, first 2 shown]
	s_or_b64 s[2:3], s[2:3], s[6:7]
.LBB337_920:
	s_or_b64 exec, exec, s[68:69]
	s_andn2_b64 s[6:7], s[64:65], exec
	s_and_b64 s[12:13], s[70:71], exec
	s_or_b64 s[64:65], s[6:7], s[12:13]
	s_and_b64 s[6:7], s[10:11], exec
	s_andn2_b64 s[10:11], s[62:63], exec
	s_and_b64 s[2:3], s[2:3], exec
	s_and_b64 s[8:9], s[8:9], exec
	s_and_b64 s[4:5], s[4:5], exec
	s_or_b64 s[62:63], s[10:11], s[2:3]
.LBB337_921:
	s_or_b64 exec, exec, s[66:67]
	s_andn2_b64 s[2:3], s[56:57], exec
	s_and_b64 s[10:11], s[64:65], exec
	s_or_b64 s[56:57], s[2:3], s[10:11]
	s_and_b64 s[2:3], s[8:9], exec
	s_and_b64 s[8:9], s[6:7], exec
	;; [unrolled: 1-line block ×3, first 2 shown]
	s_andn2_b64 s[4:5], s[58:59], exec
	s_and_b64 s[6:7], s[62:63], exec
	s_or_b64 s[58:59], s[4:5], s[6:7]
	s_or_b64 exec, exec, s[60:61]
	s_mov_b64 s[4:5], 0
	s_and_saveexec_b64 s[6:7], s[58:59]
	s_cbranch_execz .LBB337_276
.LBB337_922:
	s_mov_b64 s[4:5], exec
	s_andn2_b64 s[64:65], s[64:65], exec
	s_trap 2
	s_or_b64 exec, exec, s[6:7]
	s_and_saveexec_b64 s[6:7], s[64:65]
	s_xor_b64 s[6:7], exec, s[6:7]
	s_cbranch_execnz .LBB337_277
.LBB337_923:
	s_or_b64 exec, exec, s[6:7]
	s_and_saveexec_b64 s[6:7], s[8:9]
	s_cbranch_execz .LBB337_969
.LBB337_924:
	s_sext_i32_i16 s8, s76
	s_cmp_lt_i32 s8, 5
	s_cbranch_scc1 .LBB337_929
; %bb.925:
	s_cmp_lt_i32 s8, 8
	s_cbranch_scc1 .LBB337_930
; %bb.926:
	;; [unrolled: 3-line block ×3, first 2 shown]
	s_cmp_gt_i32 s8, 9
	s_cbranch_scc0 .LBB337_932
; %bb.928:
	global_load_dwordx2 v[4:5], v[2:3], off
	s_movk_i32 s8, 0x1ff
	s_movk_i32 s9, 0xffe
	s_waitcnt vmcnt(1)
	v_mov_b32_e32 v1, 0x7c00
	v_mov_b32_e32 v6, 0x7e00
	s_movk_i32 s10, 0x40f
	s_mov_b32 s11, 0x8000
	s_waitcnt vmcnt(0)
	v_and_or_b32 v4, v5, s8, v4
	v_cmp_ne_u32_e32 vcc, 0, v4
	v_lshrrev_b32_e32 v7, 8, v5
	v_bfe_u32 v8, v5, 20, 11
	v_cndmask_b32_e64 v4, 0, 1, vcc
	v_sub_u32_e32 v9, 0x3f1, v8
	v_and_or_b32 v4, v7, s9, v4
	v_add_u32_e32 v8, 0xfffffc10, v8
	v_med3_i32 v7, v9, 0, 13
	v_or_b32_e32 v9, 0x1000, v4
	v_cmp_ne_u32_e32 vcc, 0, v4
	v_lshl_or_b32 v10, v8, 12, v4
	v_lshrrev_b32_e32 v5, 16, v5
	v_cndmask_b32_e32 v4, v1, v6, vcc
	v_lshrrev_b32_e32 v6, v7, v9
	v_lshlrev_b32_e32 v7, v7, v6
	v_cmp_ne_u32_e32 vcc, v7, v9
	s_mov_b64 s[8:9], 0
	s_nop 0
	v_cndmask_b32_e64 v7, 0, 1, vcc
	v_or_b32_e32 v6, v6, v7
	v_cmp_gt_i32_e32 vcc, 1, v8
	s_nop 1
	v_cndmask_b32_e32 v6, v10, v6, vcc
	v_and_b32_e32 v7, 7, v6
	v_cmp_lt_i32_e32 vcc, 5, v7
	v_lshrrev_b32_e32 v6, 2, v6
	s_nop 0
	v_cndmask_b32_e64 v9, 0, 1, vcc
	v_cmp_eq_u32_e32 vcc, 3, v7
	s_nop 1
	v_cndmask_b32_e64 v7, 0, 1, vcc
	v_or_b32_e32 v7, v7, v9
	v_add_u32_e32 v6, v6, v7
	v_cmp_gt_i32_e32 vcc, 31, v8
	s_nop 1
	v_cndmask_b32_e32 v1, v1, v6, vcc
	v_cmp_eq_u32_e32 vcc, s10, v8
	s_nop 1
	v_cndmask_b32_e32 v1, v1, v4, vcc
	v_and_or_b32 v1, v5, s11, v1
	s_branch .LBB337_933
.LBB337_929:
                                        ; implicit-def: $vgpr1
	s_branch .LBB337_950
.LBB337_930:
                                        ; implicit-def: $vgpr1
	s_branch .LBB337_939
.LBB337_931:
	s_mov_b64 s[8:9], -1
                                        ; implicit-def: $vgpr1
	s_branch .LBB337_936
.LBB337_932:
	s_mov_b64 s[8:9], -1
                                        ; implicit-def: $vgpr1
.LBB337_933:
	s_andn2_b64 vcc, exec, s[8:9]
	s_cbranch_vccnz .LBB337_935
; %bb.934:
	global_load_dword v1, v[2:3], off
	s_waitcnt vmcnt(0)
	v_cvt_f16_f32_e32 v1, v1
.LBB337_935:
	s_mov_b64 s[8:9], 0
.LBB337_936:
	s_andn2_b64 vcc, exec, s[8:9]
	s_cbranch_vccnz .LBB337_938
; %bb.937:
	global_load_dword v1, v[2:3], off
.LBB337_938:
	s_cbranch_execnz .LBB337_949
.LBB337_939:
	s_sext_i32_i16 s8, s76
	s_cmp_lt_i32 s8, 6
	s_cbranch_scc1 .LBB337_942
; %bb.940:
	s_cmp_gt_i32 s8, 6
	s_cbranch_scc0 .LBB337_943
; %bb.941:
	global_load_dwordx2 v[4:5], v[2:3], off
	s_movk_i32 s8, 0x1ff
	s_movk_i32 s9, 0xffe
	s_waitcnt vmcnt(1)
	v_mov_b32_e32 v1, 0x7c00
	v_mov_b32_e32 v6, 0x7e00
	s_movk_i32 s10, 0x40f
	s_mov_b32 s11, 0x8000
	s_waitcnt vmcnt(0)
	v_and_or_b32 v4, v5, s8, v4
	v_cmp_ne_u32_e32 vcc, 0, v4
	v_lshrrev_b32_e32 v7, 8, v5
	v_bfe_u32 v8, v5, 20, 11
	v_cndmask_b32_e64 v4, 0, 1, vcc
	v_sub_u32_e32 v9, 0x3f1, v8
	v_and_or_b32 v4, v7, s9, v4
	v_add_u32_e32 v8, 0xfffffc10, v8
	v_med3_i32 v7, v9, 0, 13
	v_or_b32_e32 v9, 0x1000, v4
	v_cmp_ne_u32_e32 vcc, 0, v4
	v_lshl_or_b32 v10, v8, 12, v4
	v_lshrrev_b32_e32 v5, 16, v5
	v_cndmask_b32_e32 v4, v1, v6, vcc
	v_lshrrev_b32_e32 v6, v7, v9
	v_lshlrev_b32_e32 v7, v7, v6
	v_cmp_ne_u32_e32 vcc, v7, v9
	s_mov_b64 s[8:9], 0
	s_nop 0
	v_cndmask_b32_e64 v7, 0, 1, vcc
	v_or_b32_e32 v6, v6, v7
	v_cmp_gt_i32_e32 vcc, 1, v8
	s_nop 1
	v_cndmask_b32_e32 v6, v10, v6, vcc
	v_and_b32_e32 v7, 7, v6
	v_cmp_lt_i32_e32 vcc, 5, v7
	v_lshrrev_b32_e32 v6, 2, v6
	s_nop 0
	v_cndmask_b32_e64 v9, 0, 1, vcc
	v_cmp_eq_u32_e32 vcc, 3, v7
	s_nop 1
	v_cndmask_b32_e64 v7, 0, 1, vcc
	v_or_b32_e32 v7, v7, v9
	v_add_u32_e32 v6, v6, v7
	v_cmp_gt_i32_e32 vcc, 31, v8
	s_nop 1
	v_cndmask_b32_e32 v1, v1, v6, vcc
	v_cmp_eq_u32_e32 vcc, s10, v8
	s_nop 1
	v_cndmask_b32_e32 v1, v1, v4, vcc
	v_and_or_b32 v1, v5, s11, v1
	s_branch .LBB337_944
.LBB337_942:
	s_mov_b64 s[8:9], -1
                                        ; implicit-def: $vgpr1
	s_branch .LBB337_947
.LBB337_943:
	s_mov_b64 s[8:9], -1
                                        ; implicit-def: $vgpr1
.LBB337_944:
	s_andn2_b64 vcc, exec, s[8:9]
	s_cbranch_vccnz .LBB337_946
; %bb.945:
	global_load_dword v1, v[2:3], off
	s_waitcnt vmcnt(0)
	v_cvt_f16_f32_e32 v1, v1
.LBB337_946:
	s_mov_b64 s[8:9], 0
.LBB337_947:
	s_andn2_b64 vcc, exec, s[8:9]
	s_cbranch_vccnz .LBB337_949
; %bb.948:
	global_load_ushort v1, v[2:3], off
.LBB337_949:
	s_cbranch_execnz .LBB337_968
.LBB337_950:
	s_sext_i32_i16 s8, s76
	s_cmp_lt_i32 s8, 2
	s_cbranch_scc1 .LBB337_954
; %bb.951:
	s_cmp_lt_i32 s8, 3
	s_cbranch_scc1 .LBB337_955
; %bb.952:
	s_cmp_gt_i32 s8, 3
	s_cbranch_scc0 .LBB337_956
; %bb.953:
	global_load_dwordx2 v[4:5], v[2:3], off
	s_mov_b64 s[8:9], 0
	s_waitcnt vmcnt(0)
	v_xor_b32_e32 v6, v4, v5
	v_ffbh_i32_e32 v1, v5
	v_ashrrev_i32_e32 v6, 31, v6
	v_add_u32_e32 v1, -1, v1
	v_add_u32_e32 v6, 32, v6
	v_min_u32_e32 v1, v1, v6
	v_lshlrev_b64 v[4:5], v1, v[4:5]
	v_min_u32_e32 v4, 1, v4
	v_or_b32_e32 v4, v5, v4
	v_cvt_f32_i32_e32 v4, v4
	v_sub_u32_e32 v1, 32, v1
	v_ldexp_f32 v1, v4, v1
	v_cvt_f16_f32_e32 v1, v1
	s_branch .LBB337_957
.LBB337_954:
                                        ; implicit-def: $vgpr1
	s_branch .LBB337_963
.LBB337_955:
	s_mov_b64 s[8:9], -1
                                        ; implicit-def: $vgpr1
	s_branch .LBB337_960
.LBB337_956:
	s_mov_b64 s[8:9], -1
                                        ; implicit-def: $vgpr1
.LBB337_957:
	s_andn2_b64 vcc, exec, s[8:9]
	s_cbranch_vccnz .LBB337_959
; %bb.958:
	global_load_dword v1, v[2:3], off
	s_waitcnt vmcnt(0)
	v_cvt_f32_i32_e32 v1, v1
	v_cvt_f16_f32_e32 v1, v1
.LBB337_959:
	s_mov_b64 s[8:9], 0
.LBB337_960:
	s_andn2_b64 vcc, exec, s[8:9]
	s_cbranch_vccnz .LBB337_962
; %bb.961:
	global_load_ushort v1, v[2:3], off
	s_waitcnt vmcnt(0)
	v_cvt_f16_i16_e32 v1, v1
.LBB337_962:
	s_cbranch_execnz .LBB337_968
.LBB337_963:
	s_sext_i32_i16 s8, s76
	s_cmp_gt_i32 s8, 0
	s_cbranch_scc0 .LBB337_965
; %bb.964:
	global_load_sbyte v1, v[2:3], off
	s_mov_b64 s[8:9], 0
	s_waitcnt vmcnt(0)
	v_cvt_f16_i16_e32 v1, v1
	s_branch .LBB337_966
.LBB337_965:
	s_mov_b64 s[8:9], -1
                                        ; implicit-def: $vgpr1
.LBB337_966:
	s_andn2_b64 vcc, exec, s[8:9]
	s_cbranch_vccnz .LBB337_968
; %bb.967:
	global_load_ubyte v1, v[2:3], off
	s_waitcnt vmcnt(0)
	v_cvt_f16_u16_e32 v1, v1
.LBB337_968:
	s_or_b64 s[2:3], s[2:3], exec
.LBB337_969:
	s_or_b64 exec, exec, s[6:7]
	s_mov_b64 s[10:11], 0
	s_mov_b64 s[8:9], 0
                                        ; implicit-def: $sgpr16
                                        ; implicit-def: $vgpr2_vgpr3
                                        ; implicit-def: $vgpr4
	s_and_saveexec_b64 s[6:7], s[2:3]
	s_cbranch_execz .LBB337_987
; %bb.970:
	v_mov_b32_e32 v2, s46
	s_waitcnt vmcnt(0)
	v_cmp_lt_f16_e32 vcc, s46, v1
	v_mov_b32_e32 v3, s75
	s_and_b32 s16, s47, 0xff
	v_cndmask_b32_e32 v2, v2, v1, vcc
	v_cmp_gt_f16_e32 vcc, s75, v2
	s_cmp_lt_i32 s16, 11
	s_nop 0
	v_cndmask_b32_e32 v2, v3, v2, vcc
	v_cmp_u_f16_e32 vcc, v1, v1
	s_nop 1
	v_cndmask_b32_e32 v4, v2, v1, vcc
	v_mov_b32_e32 v1, 0
	v_lshl_add_u64 v[2:3], s[20:21], 0, v[0:1]
	s_cbranch_scc1 .LBB337_990
; %bb.971:
	s_and_b32 s17, 0xffff, s16
	s_mov_b64 s[10:11], -1
	s_cmp_gt_i32 s17, 25
	s_mov_b64 s[2:3], s[56:57]
	s_cbranch_scc0 .LBB337_1008
; %bb.972:
	s_mov_b64 s[8:9], -1
	s_cmp_gt_i32 s17, 28
	s_mov_b64 s[2:3], s[56:57]
	s_cbranch_scc0 .LBB337_992
; %bb.973:
	s_cmp_gt_i32 s17, 43
	s_mov_b64 s[2:3], s[56:57]
	s_cbranch_scc0 .LBB337_984
; %bb.974:
	;; [unrolled: 4-line block ×3, first 2 shown]
	s_cmp_eq_u32 s17, 46
	s_mov_b64 s[2:3], -1
	s_cbranch_scc0 .LBB337_977
; %bb.976:
	v_cvt_f32_f16_e32 v0, v4
	s_movk_i32 s2, 0x7fff
	v_cmp_o_f16_e32 vcc, v4, v4
	v_mov_b32_e32 v1, 0x7fc0
	v_bfe_u32 v5, v0, 16, 1
	v_add3_u32 v0, v0, v5, s2
	v_cndmask_b32_sdwa v0, v1, v0, vcc dst_sel:DWORD dst_unused:UNUSED_PAD src0_sel:DWORD src1_sel:WORD_1
	global_store_dword v[2:3], v0, off
	s_mov_b64 s[2:3], 0
.LBB337_977:
	s_mov_b64 s[8:9], 0
.LBB337_978:
	s_and_b64 vcc, exec, s[8:9]
	s_cbranch_vccz .LBB337_983
; %bb.979:
	s_cmp_eq_u32 s17, 44
	s_mov_b64 s[2:3], -1
	s_cbranch_scc0 .LBB337_983
; %bb.980:
	v_cvt_f32_f16_e32 v0, v4
	s_movk_i32 s2, 0xff
	v_mov_b32_e32 v5, 0xff
	v_bfe_u32 v1, v0, 23, 8
	v_cmp_ne_u32_e32 vcc, s2, v1
	s_and_saveexec_b64 s[8:9], vcc
; %bb.981:
	s_mov_b32 s2, 0x3fffff
	v_lshrrev_b32_e32 v5, 23, v0
	v_and_b32_e32 v6, 0x400000, v0
	v_and_or_b32 v0, v0, s2, v1
	v_cmp_ne_u32_e32 vcc, 0, v6
	v_cmp_ne_u32_e64 s[2:3], 0, v0
	s_and_b64 s[2:3], vcc, s[2:3]
	s_nop 0
	v_cndmask_b32_e64 v0, 0, 1, s[2:3]
	v_add_u32_e32 v5, v5, v0
; %bb.982:
	s_or_b64 exec, exec, s[8:9]
	s_mov_b64 s[2:3], 0
	global_store_byte v[2:3], v5, off
.LBB337_983:
	s_mov_b64 s[8:9], 0
.LBB337_984:
	s_and_b64 vcc, exec, s[8:9]
	s_cbranch_vccz .LBB337_991
; %bb.985:
	s_cmp_eq_u32 s17, 29
	s_mov_b64 s[2:3], -1
	s_cbranch_scc0 .LBB337_991
; %bb.986:
	v_cvt_f32_f16_e32 v0, v4
	v_mov_b32_e32 v1, 0
	s_mov_b64 s[2:3], 0
	s_mov_b64 s[8:9], 0
	v_cvt_u32_f32_e32 v0, v0
	global_store_dwordx2 v[2:3], v[0:1], off
	s_branch .LBB337_992
.LBB337_987:
	s_or_b64 exec, exec, s[6:7]
	s_and_saveexec_b64 s[2:3], s[56:57]
	s_cbranch_execnz .LBB337_1050
.LBB337_988:
	s_or_b64 exec, exec, s[2:3]
	s_and_saveexec_b64 s[2:3], s[10:11]
	s_xor_b64 s[2:3], exec, s[2:3]
	s_cbranch_execz .LBB337_1051
.LBB337_989:
	v_and_b32_e32 v0, 0x7fff, v4
	v_cmp_ne_u16_e32 vcc, 0, v0
	s_nop 1
	v_cndmask_b32_e64 v0, 0, 1, vcc
	global_store_byte v[2:3], v0, off
	s_or_b64 exec, exec, s[2:3]
	s_and_saveexec_b64 s[2:3], s[8:9]
	s_xor_b64 s[2:3], exec, s[2:3]
	s_cbranch_execz .LBB337_1089
	s_branch .LBB337_1052
.LBB337_990:
	s_mov_b64 s[8:9], -1
	s_mov_b64 s[2:3], s[56:57]
	s_branch .LBB337_1049
.LBB337_991:
	s_mov_b64 s[8:9], 0
.LBB337_992:
	s_and_b64 vcc, exec, s[8:9]
	s_cbranch_vccz .LBB337_1007
; %bb.993:
	s_cmp_lt_i32 s17, 27
	s_mov_b64 s[8:9], -1
	s_cbranch_scc1 .LBB337_999
; %bb.994:
	s_cmp_gt_i32 s17, 27
	s_cbranch_scc0 .LBB337_996
; %bb.995:
	v_cvt_f32_f16_e32 v0, v4
	s_mov_b64 s[8:9], 0
	v_cvt_u32_f32_e32 v0, v0
	global_store_dword v[2:3], v0, off
.LBB337_996:
	s_andn2_b64 vcc, exec, s[8:9]
	s_cbranch_vccnz .LBB337_998
; %bb.997:
	v_cvt_u16_f16_e32 v0, v4
	global_store_short v[2:3], v0, off
.LBB337_998:
	s_mov_b64 s[8:9], 0
.LBB337_999:
	s_andn2_b64 vcc, exec, s[8:9]
	s_cbranch_vccnz .LBB337_1007
; %bb.1000:
	v_cvt_f32_f16_e32 v0, v4
	s_mov_b32 s8, 0x43800000
	v_mov_b32_e32 v5, 0x80
	v_and_b32_e32 v1, 0x7fffffff, v0
	v_cmp_gt_u32_e32 vcc, s8, v1
	s_and_saveexec_b64 s[8:9], vcc
	s_cbranch_execz .LBB337_1006
; %bb.1001:
	s_mov_b32 s10, 0x3bffffff
	v_cmp_lt_u32_e32 vcc, s10, v1
	s_mov_b64 s[10:11], 0
                                        ; implicit-def: $vgpr1
	s_and_saveexec_b64 s[12:13], vcc
	s_xor_b64 s[12:13], exec, s[12:13]
	s_cbranch_execz .LBB337_1160
; %bb.1002:
	v_bfe_u32 v1, v0, 20, 1
	s_mov_b32 s14, 0x487ffff
	v_add3_u32 v1, v0, v1, s14
	s_mov_b64 s[10:11], exec
	v_lshrrev_b32_e32 v1, 20, v1
	s_andn2_saveexec_b64 s[12:13], s[12:13]
	s_cbranch_execnz .LBB337_1161
.LBB337_1003:
	s_or_b64 exec, exec, s[12:13]
	v_mov_b32_e32 v5, 0
	s_and_saveexec_b64 s[12:13], s[10:11]
.LBB337_1004:
	v_lshrrev_b32_e32 v0, 24, v0
	s_movk_i32 s10, 0x80
	v_and_or_b32 v5, v0, s10, v1
.LBB337_1005:
	s_or_b64 exec, exec, s[12:13]
.LBB337_1006:
	s_or_b64 exec, exec, s[8:9]
	global_store_byte v[2:3], v5, off
.LBB337_1007:
	s_mov_b64 s[10:11], 0
.LBB337_1008:
	s_mov_b64 s[8:9], 0
	s_and_b64 vcc, exec, s[10:11]
	s_cbranch_vccz .LBB337_1048
; %bb.1009:
	s_cmp_gt_i32 s17, 22
	s_mov_b64 s[10:11], -1
	s_cbranch_scc0 .LBB337_1041
; %bb.1010:
	s_cmp_lt_i32 s17, 24
	s_cbranch_scc1 .LBB337_1030
; %bb.1011:
	s_cmp_gt_i32 s17, 24
	s_cbranch_scc0 .LBB337_1019
; %bb.1012:
	v_cvt_f32_f16_e32 v0, v4
	s_mov_b32 s10, 0x47800000
	v_mov_b32_e32 v5, 0x80
	v_and_b32_e32 v1, 0x7fffffff, v0
	v_cmp_gt_u32_e32 vcc, s10, v1
	s_and_saveexec_b64 s[10:11], vcc
	s_cbranch_execz .LBB337_1018
; %bb.1013:
	s_mov_b32 s12, 0x37ffffff
	v_cmp_lt_u32_e32 vcc, s12, v1
	s_mov_b64 s[12:13], 0
                                        ; implicit-def: $vgpr1
	s_and_saveexec_b64 s[14:15], vcc
	s_xor_b64 s[14:15], exec, s[14:15]
	s_cbranch_execz .LBB337_1285
; %bb.1014:
	v_bfe_u32 v1, v0, 21, 1
	s_mov_b32 s18, 0x88fffff
	v_add3_u32 v1, v0, v1, s18
	s_mov_b64 s[12:13], exec
	v_lshrrev_b32_e32 v1, 21, v1
	s_andn2_saveexec_b64 s[14:15], s[14:15]
	s_cbranch_execnz .LBB337_1286
.LBB337_1015:
	s_or_b64 exec, exec, s[14:15]
	v_mov_b32_e32 v5, 0
	s_and_saveexec_b64 s[14:15], s[12:13]
.LBB337_1016:
	v_lshrrev_b32_e32 v0, 24, v0
	s_movk_i32 s12, 0x80
	v_and_or_b32 v5, v0, s12, v1
.LBB337_1017:
	s_or_b64 exec, exec, s[14:15]
.LBB337_1018:
	s_or_b64 exec, exec, s[10:11]
	s_mov_b64 s[10:11], 0
	global_store_byte v[2:3], v5, off
.LBB337_1019:
	s_and_b64 vcc, exec, s[10:11]
	s_cbranch_vccz .LBB337_1029
; %bb.1020:
	v_cvt_f32_f16_e32 v0, v4
	s_mov_b32 s10, 0x43f00000
                                        ; implicit-def: $vgpr1
	v_and_b32_e32 v5, 0x7fffffff, v0
	v_cmp_gt_u32_e32 vcc, s10, v5
	s_and_saveexec_b64 s[10:11], vcc
	s_xor_b64 s[10:11], exec, s[10:11]
	s_cbranch_execz .LBB337_1026
; %bb.1021:
	s_mov_b32 s12, 0x3c7fffff
	v_cmp_lt_u32_e32 vcc, s12, v5
                                        ; implicit-def: $vgpr1
	s_and_saveexec_b64 s[12:13], vcc
	s_xor_b64 s[12:13], exec, s[12:13]
; %bb.1022:
	v_bfe_u32 v1, v0, 20, 1
	s_mov_b32 s14, 0x407ffff
	v_add3_u32 v1, v0, v1, s14
	v_lshrrev_b32_e32 v5, 20, v1
	v_and_b32_e32 v1, 0xff00000, v1
	s_mov_b32 s14, 0x7f00000
	v_mov_b32_e32 v6, 0x7e
	v_cmp_ne_u32_e32 vcc, s14, v1
	s_nop 1
	v_cndmask_b32_e32 v1, v6, v5, vcc
; %bb.1023:
	s_andn2_saveexec_b64 s[12:13], s[12:13]
; %bb.1024:
	s_mov_b32 s14, 0x46800000
	v_add_f32_e64 v1, |v0|, s14
; %bb.1025:
	s_or_b64 exec, exec, s[12:13]
                                        ; implicit-def: $vgpr5
.LBB337_1026:
	s_andn2_saveexec_b64 s[10:11], s[10:11]
; %bb.1027:
	s_mov_b32 s12, 0x7f800000
	v_mov_b32_e32 v1, 0x7e
	v_mov_b32_e32 v6, 0x7f
	v_cmp_lt_u32_e32 vcc, s12, v5
	s_nop 1
	v_cndmask_b32_e32 v1, v1, v6, vcc
; %bb.1028:
	s_or_b64 exec, exec, s[10:11]
	v_lshrrev_b32_e32 v0, 24, v0
	s_movk_i32 s10, 0x80
	v_and_or_b32 v0, v0, s10, v1
	global_store_byte v[2:3], v0, off
.LBB337_1029:
	s_mov_b64 s[10:11], 0
.LBB337_1030:
	s_andn2_b64 vcc, exec, s[10:11]
	s_cbranch_vccnz .LBB337_1040
; %bb.1031:
	v_cvt_f32_f16_e32 v0, v4
	s_mov_b32 s10, 0x47800000
                                        ; implicit-def: $vgpr1
	v_and_b32_e32 v5, 0x7fffffff, v0
	v_cmp_gt_u32_e32 vcc, s10, v5
	s_and_saveexec_b64 s[10:11], vcc
	s_xor_b64 s[10:11], exec, s[10:11]
	s_cbranch_execz .LBB337_1037
; %bb.1032:
	s_mov_b32 s12, 0x387fffff
	v_cmp_lt_u32_e32 vcc, s12, v5
                                        ; implicit-def: $vgpr1
	s_and_saveexec_b64 s[12:13], vcc
	s_xor_b64 s[12:13], exec, s[12:13]
; %bb.1033:
	v_bfe_u32 v1, v0, 21, 1
	s_mov_b32 s14, 0x80fffff
	v_add3_u32 v1, v0, v1, s14
	v_lshrrev_b32_e32 v1, 21, v1
; %bb.1034:
	s_andn2_saveexec_b64 s[12:13], s[12:13]
; %bb.1035:
	s_mov_b32 s14, 0x43000000
	v_add_f32_e64 v1, |v0|, s14
; %bb.1036:
	s_or_b64 exec, exec, s[12:13]
                                        ; implicit-def: $vgpr5
.LBB337_1037:
	s_andn2_saveexec_b64 s[10:11], s[10:11]
; %bb.1038:
	s_mov_b32 s12, 0x7f800000
	v_mov_b32_e32 v1, 0x7c
	v_mov_b32_e32 v6, 0x7f
	v_cmp_lt_u32_e32 vcc, s12, v5
	s_nop 1
	v_cndmask_b32_e32 v1, v1, v6, vcc
; %bb.1039:
	s_or_b64 exec, exec, s[10:11]
	v_lshrrev_b32_e32 v0, 24, v0
	s_movk_i32 s10, 0x80
	v_and_or_b32 v0, v0, s10, v1
	global_store_byte v[2:3], v0, off
.LBB337_1040:
	s_mov_b64 s[10:11], 0
.LBB337_1041:
	s_andn2_b64 vcc, exec, s[10:11]
	s_mov_b64 s[10:11], 0
	s_cbranch_vccnz .LBB337_1049
; %bb.1042:
	s_cmp_gt_i32 s17, 14
	s_mov_b64 s[12:13], -1
	s_cbranch_scc0 .LBB337_1046
; %bb.1043:
	s_cmp_eq_u32 s17, 15
	s_mov_b64 s[2:3], -1
	s_cbranch_scc0 .LBB337_1045
; %bb.1044:
	v_cvt_f32_f16_e32 v0, v4
	s_movk_i32 s2, 0x7fff
	v_cmp_o_f16_e32 vcc, v4, v4
	v_mov_b32_e32 v1, 0x7fc0
	v_bfe_u32 v5, v0, 16, 1
	v_add3_u32 v0, v0, v5, s2
	v_cndmask_b32_sdwa v0, v1, v0, vcc dst_sel:DWORD dst_unused:UNUSED_PAD src0_sel:DWORD src1_sel:WORD_1
	global_store_short v[2:3], v0, off
	s_mov_b64 s[2:3], 0
.LBB337_1045:
	s_mov_b64 s[12:13], 0
.LBB337_1046:
	s_and_b64 vcc, exec, s[12:13]
	s_cbranch_vccz .LBB337_1049
; %bb.1047:
	s_cmp_lg_u32 s17, 11
	s_cselect_b64 s[12:13], -1, 0
	s_andn2_b64 s[2:3], s[2:3], exec
	s_and_b64 s[12:13], s[12:13], exec
	s_mov_b64 s[10:11], -1
	s_or_b64 s[2:3], s[2:3], s[12:13]
	s_branch .LBB337_1049
.LBB337_1048:
	s_mov_b64 s[10:11], 0
.LBB337_1049:
	s_andn2_b64 s[12:13], s[56:57], exec
	s_and_b64 s[2:3], s[2:3], exec
	s_and_b64 s[8:9], s[8:9], exec
	s_and_b64 s[10:11], s[10:11], exec
	s_or_b64 s[56:57], s[12:13], s[2:3]
	s_or_b64 exec, exec, s[6:7]
	s_and_saveexec_b64 s[2:3], s[56:57]
	s_cbranch_execz .LBB337_988
.LBB337_1050:
	s_or_b64 s[4:5], s[4:5], exec
	s_andn2_b64 s[10:11], s[10:11], exec
	s_trap 2
	s_or_b64 exec, exec, s[2:3]
	s_and_saveexec_b64 s[2:3], s[10:11]
	s_xor_b64 s[2:3], exec, s[2:3]
	s_cbranch_execnz .LBB337_989
.LBB337_1051:
	s_or_b64 exec, exec, s[2:3]
	s_and_saveexec_b64 s[2:3], s[8:9]
	s_xor_b64 s[2:3], exec, s[2:3]
	s_cbranch_execz .LBB337_1089
.LBB337_1052:
	s_sext_i32_i16 s8, s16
	s_cmp_lt_i32 s8, 5
	s_mov_b64 s[6:7], -1
	s_cbranch_scc1 .LBB337_1073
; %bb.1053:
	s_cmp_lt_i32 s8, 8
	s_cbranch_scc1 .LBB337_1063
; %bb.1054:
	s_cmp_lt_i32 s8, 9
	s_cbranch_scc1 .LBB337_1060
; %bb.1055:
	s_cmp_gt_i32 s8, 9
	s_cbranch_scc0 .LBB337_1057
; %bb.1056:
	v_cvt_f32_f16_e32 v0, v4
	v_mov_b32_e32 v8, 0
	v_mov_b32_e32 v9, v8
	s_mov_b64 s[6:7], 0
	v_cvt_f64_f32_e32 v[6:7], v0
	global_store_dwordx4 v[2:3], v[6:9], off
.LBB337_1057:
	s_andn2_b64 vcc, exec, s[6:7]
	s_cbranch_vccnz .LBB337_1059
; %bb.1058:
	v_cvt_f32_f16_e32 v0, v4
	s_waitcnt vmcnt(0)
	v_mov_b32_e32 v1, 0
	global_store_dwordx2 v[2:3], v[0:1], off
.LBB337_1059:
	s_mov_b64 s[6:7], 0
.LBB337_1060:
	s_andn2_b64 vcc, exec, s[6:7]
	s_cbranch_vccnz .LBB337_1062
; %bb.1061:
	v_and_b32_e32 v0, 0xffff, v4
	global_store_dword v[2:3], v0, off
.LBB337_1062:
	s_mov_b64 s[6:7], 0
.LBB337_1063:
	s_andn2_b64 vcc, exec, s[6:7]
	s_cbranch_vccnz .LBB337_1072
; %bb.1064:
	s_sext_i32_i16 s8, s16
	s_cmp_lt_i32 s8, 6
	s_mov_b64 s[6:7], -1
	s_cbranch_scc1 .LBB337_1070
; %bb.1065:
	s_cmp_gt_i32 s8, 6
	s_cbranch_scc0 .LBB337_1067
; %bb.1066:
	v_cvt_f32_f16_e32 v0, v4
	s_mov_b64 s[6:7], 0
	s_waitcnt vmcnt(0)
	v_cvt_f64_f32_e32 v[0:1], v0
	global_store_dwordx2 v[2:3], v[0:1], off
.LBB337_1067:
	s_andn2_b64 vcc, exec, s[6:7]
	s_cbranch_vccnz .LBB337_1069
; %bb.1068:
	v_cvt_f32_f16_e32 v0, v4
	global_store_dword v[2:3], v0, off
.LBB337_1069:
	s_mov_b64 s[6:7], 0
.LBB337_1070:
	s_andn2_b64 vcc, exec, s[6:7]
	s_cbranch_vccnz .LBB337_1072
; %bb.1071:
	global_store_short v[2:3], v4, off
.LBB337_1072:
	s_mov_b64 s[6:7], 0
.LBB337_1073:
	s_andn2_b64 vcc, exec, s[6:7]
	s_cbranch_vccnz .LBB337_1089
; %bb.1074:
	s_sext_i32_i16 s8, s16
	s_cmp_lt_i32 s8, 2
	s_mov_b64 s[6:7], -1
	s_cbranch_scc1 .LBB337_1084
; %bb.1075:
	s_cmp_lt_i32 s8, 3
	s_cbranch_scc1 .LBB337_1081
; %bb.1076:
	s_cmp_gt_i32 s8, 3
	s_cbranch_scc0 .LBB337_1078
; %bb.1077:
	v_cvt_f32_f16_e32 v0, v4
	s_mov_b64 s[6:7], 0
	v_cvt_i32_f32_e32 v0, v0
	s_waitcnt vmcnt(0)
	v_ashrrev_i32_e32 v1, 31, v0
	global_store_dwordx2 v[2:3], v[0:1], off
.LBB337_1078:
	s_andn2_b64 vcc, exec, s[6:7]
	s_cbranch_vccnz .LBB337_1080
; %bb.1079:
	v_cvt_f32_f16_e32 v0, v4
	v_cvt_i32_f32_e32 v0, v0
	global_store_dword v[2:3], v0, off
.LBB337_1080:
	s_mov_b64 s[6:7], 0
.LBB337_1081:
	s_andn2_b64 vcc, exec, s[6:7]
	s_cbranch_vccnz .LBB337_1083
; %bb.1082:
	v_cvt_i16_f16_e32 v0, v4
	global_store_short v[2:3], v0, off
.LBB337_1083:
	s_mov_b64 s[6:7], 0
.LBB337_1084:
	s_andn2_b64 vcc, exec, s[6:7]
	s_cbranch_vccnz .LBB337_1089
; %bb.1085:
	s_sext_i32_i16 s6, s16
	s_cmp_gt_i32 s6, 0
	s_mov_b64 s[6:7], -1
	s_cbranch_scc0 .LBB337_1087
; %bb.1086:
	v_cvt_i16_f16_e32 v0, v4
	s_mov_b64 s[6:7], 0
	global_store_byte v[2:3], v0, off
.LBB337_1087:
	s_andn2_b64 vcc, exec, s[6:7]
	s_cbranch_vccnz .LBB337_1089
; %bb.1088:
	v_cvt_f32_f16_e32 v0, v4
	v_cvt_i32_f32_e32 v0, v0
	global_store_byte v[2:3], v0, off
.LBB337_1089:
	s_or_b64 exec, exec, s[2:3]
	s_and_b64 s[24:25], s[4:5], exec
                                        ; implicit-def: $vgpr16
                                        ; implicit-def: $vgpr8
.LBB337_1090:
	s_or_saveexec_b64 s[26:27], s[44:45]
	s_mov_b64 s[6:7], 0
                                        ; implicit-def: $vgpr0_vgpr1
                                        ; implicit-def: $sgpr16
                                        ; implicit-def: $vgpr2
	s_xor_b64 exec, exec, s[26:27]
	s_cbranch_execz .LBB337_2094
; %bb.1091:
	v_cndmask_b32_e64 v0, 0, 1, s[42:43]
	v_cmp_ne_u32_e64 s[2:3], 1, v0
	s_andn2_b64 vcc, exec, s[42:43]
	s_cbranch_vccnz .LBB337_1097
; %bb.1092:
	s_cmp_lg_u32 s33, 0
	s_mov_b32 s36, 0
	s_cbranch_scc0 .LBB337_1098
; %bb.1093:
	s_min_u32 s37, s74, 15
	s_add_i32 s37, s37, 1
	s_cmp_eq_u32 s74, 2
	s_cbranch_scc1 .LBB337_1099
; %bb.1094:
	s_and_b32 s36, s37, 28
	s_add_u32 s28, s34, 0xc4
	s_addc_u32 s29, s35, 0
	s_mov_b32 s38, 0
	v_mov_b32_e32 v6, 0
	v_mov_b32_e32 v14, 0
	s_mov_b64 s[30:31], s[34:35]
	v_mov_b32_e32 v0, v8
.LBB337_1095:                           ; =>This Inner Loop Header: Depth=1
	s_load_dwordx8 s[12:19], s[30:31], 0x4
	s_load_dwordx4 s[20:23], s[30:31], 0x24
	s_load_dwordx8 s[4:11], s[28:29], 0x0
	s_add_u32 s30, s30, 48
	s_addc_u32 s31, s31, 0
	s_waitcnt vmcnt(0) lgkmcnt(0)
	v_mul_hi_u32 v1, s13, v0
	v_add_u32_e32 v1, v0, v1
	v_lshrrev_b32_e32 v1, s14, v1
	v_mul_lo_u32 v2, v1, s12
	v_mul_hi_u32 v3, s16, v1
	v_sub_u32_e32 v0, v0, v2
	v_add_u32_e32 v2, v1, v3
	v_lshrrev_b32_e32 v2, s17, v2
	v_mul_lo_u32 v4, v2, s15
	v_mul_hi_u32 v5, s19, v2
	v_sub_u32_e32 v1, v1, v4
	v_add_u32_e32 v4, v2, v5
	v_mul_lo_u32 v3, v0, s5
	v_mul_lo_u32 v0, v0, s4
	;; [unrolled: 1-line block ×4, first 2 shown]
	v_lshrrev_b32_e32 v4, s20, v4
	v_add3_u32 v1, v0, v6, v1
	v_add3_u32 v3, v3, v14, v5
	v_mul_lo_u32 v0, v4, s18
	v_mul_hi_u32 v5, s22, v4
	v_sub_u32_e32 v0, v2, v0
	v_add_u32_e32 v2, v4, v5
	v_mul_lo_u32 v5, v0, s8
	v_mul_lo_u32 v6, v0, s9
	v_lshrrev_b32_e32 v0, s23, v2
	s_add_i32 s38, s38, 4
	v_mul_lo_u32 v2, v0, s21
	s_add_u32 s28, s28, 32
	v_sub_u32_e32 v2, v4, v2
	s_addc_u32 s29, s29, 0
	v_mul_lo_u32 v4, v2, s10
	v_mul_lo_u32 v2, v2, s11
	s_cmp_lg_u32 s36, s38
	v_add3_u32 v14, v6, v3, v2
	v_add3_u32 v6, v5, v1, v4
	s_cbranch_scc1 .LBB337_1095
; %bb.1096:
	v_mov_b32_e32 v1, v14
	s_and_b32 s8, s37, 3
	s_cmp_eq_u32 s8, 0
	s_cbranch_scc0 .LBB337_1100
	s_branch .LBB337_1102
.LBB337_1097:
                                        ; implicit-def: $vgpr14
                                        ; implicit-def: $vgpr6
	s_branch .LBB337_1103
.LBB337_1098:
	v_mov_b32_e32 v14, 0
	v_mov_b32_e32 v6, 0
	s_branch .LBB337_1102
.LBB337_1099:
	v_mov_b32_e32 v6, 0
                                        ; implicit-def: $vgpr14
	s_waitcnt vmcnt(0)
	v_mov_b32_e32 v1, v6
	v_mov_b32_e32 v0, v8
	s_and_b32 s8, s37, 3
	s_cmp_eq_u32 s8, 0
	s_cbranch_scc1 .LBB337_1102
.LBB337_1100:
	s_lshl_b32 s4, s36, 3
	s_add_u32 s4, s34, s4
	s_addc_u32 s5, s35, 0
	s_add_u32 s4, s4, 0xc4
	s_addc_u32 s5, s5, 0
	s_mul_i32 s6, s36, 12
	s_add_u32 s6, s34, s6
	s_addc_u32 s7, s35, 0
.LBB337_1101:                           ; =>This Inner Loop Header: Depth=1
	s_load_dwordx2 s[10:11], s[6:7], 0x4
	s_load_dword s9, s[6:7], 0xc
	s_load_dwordx2 s[12:13], s[4:5], 0x0
	v_mov_b32_e32 v2, v1
	s_add_u32 s6, s6, 12
	s_waitcnt lgkmcnt(0)
	v_mul_hi_u32 v1, s11, v0
	v_add_u32_e32 v1, v0, v1
	v_lshrrev_b32_e32 v1, s9, v1
	s_addc_u32 s7, s7, 0
	v_mul_lo_u32 v3, v1, s10
	s_add_u32 s4, s4, 8
	v_sub_u32_e32 v3, v0, v3
	s_addc_u32 s5, s5, 0
	s_add_i32 s8, s8, -1
	v_mad_u64_u32 v[14:15], s[10:11], v3, s13, v[2:3]
	s_cmp_lg_u32 s8, 0
	v_mov_b32_e32 v0, v1
	v_mad_u64_u32 v[6:7], s[10:11], v3, s12, v[6:7]
	v_mov_b32_e32 v1, v14
	s_cbranch_scc1 .LBB337_1101
.LBB337_1102:
	s_cbranch_execnz .LBB337_1105
.LBB337_1103:
	s_load_dwordx4 s[4:7], s[34:35], 0x4
	s_load_dwordx2 s[8:9], s[34:35], 0xc4
	s_cmp_lt_u32 s33, 2
	s_waitcnt lgkmcnt(0)
	v_mul_hi_u32 v0, s5, v8
	v_add_u32_e32 v0, v8, v0
	v_lshrrev_b32_e32 v0, s6, v0
	s_waitcnt vmcnt(0)
	v_mul_lo_u32 v1, v0, s4
	v_sub_u32_e32 v1, v8, v1
	v_mul_lo_u32 v14, v1, s9
	v_mul_lo_u32 v6, v1, s8
	s_cbranch_scc1 .LBB337_1105
; %bb.1104:
	s_load_dwordx4 s[4:7], s[34:35], 0x10
	s_load_dwordx2 s[8:9], s[34:35], 0xcc
	s_waitcnt lgkmcnt(0)
	v_mul_hi_u32 v1, s5, v0
	v_add_u32_e32 v1, v0, v1
	v_lshrrev_b32_e32 v1, s6, v1
	v_mul_lo_u32 v1, v1, s4
	v_sub_u32_e32 v0, v0, v1
	v_mad_u64_u32 v[6:7], s[4:5], v0, s8, v[6:7]
	v_mad_u64_u32 v[14:15], s[4:5], v0, s9, v[14:15]
.LBB337_1105:
	s_and_b64 vcc, exec, s[2:3]
	v_add_u32_e32 v0, 0x80, v8
	s_cbranch_vccnz .LBB337_1111
; %bb.1106:
	s_cmp_lg_u32 s33, 0
	s_mov_b32 s36, 0
	s_cbranch_scc0 .LBB337_1112
; %bb.1107:
	s_min_u32 s37, s74, 15
	s_add_i32 s37, s37, 1
	s_cmp_eq_u32 s74, 2
	s_cbranch_scc1 .LBB337_1113
; %bb.1108:
	s_and_b32 s36, s37, 28
	s_add_u32 s28, s34, 0xc4
	s_addc_u32 s29, s35, 0
	s_mov_b32 s38, 0
	v_mov_b32_e32 v4, 0
	v_mov_b32_e32 v12, 0
	s_mov_b64 s[30:31], s[34:35]
	v_mov_b32_e32 v2, v0
.LBB337_1109:                           ; =>This Inner Loop Header: Depth=1
	s_load_dwordx8 s[12:19], s[30:31], 0x4
	s_load_dwordx4 s[20:23], s[30:31], 0x24
	s_load_dwordx8 s[4:11], s[28:29], 0x0
	s_add_u32 s30, s30, 48
	s_addc_u32 s31, s31, 0
	s_waitcnt vmcnt(0) lgkmcnt(0)
	v_mul_hi_u32 v1, s13, v2
	v_add_u32_e32 v1, v2, v1
	v_lshrrev_b32_e32 v1, s14, v1
	v_mul_lo_u32 v3, v1, s12
	v_mul_hi_u32 v5, s16, v1
	v_sub_u32_e32 v2, v2, v3
	v_add_u32_e32 v3, v1, v5
	v_lshrrev_b32_e32 v3, s17, v3
	v_mul_lo_u32 v7, v3, s15
	v_mul_hi_u32 v9, s19, v3
	v_sub_u32_e32 v1, v1, v7
	v_add_u32_e32 v7, v3, v9
	v_mul_lo_u32 v5, v2, s5
	v_mul_lo_u32 v2, v2, s4
	;; [unrolled: 1-line block ×4, first 2 shown]
	v_lshrrev_b32_e32 v7, s20, v7
	v_add3_u32 v1, v2, v4, v1
	v_add3_u32 v4, v5, v12, v9
	v_mul_lo_u32 v2, v7, s18
	v_mul_hi_u32 v5, s22, v7
	v_sub_u32_e32 v2, v3, v2
	v_add_u32_e32 v3, v7, v5
	v_mul_lo_u32 v5, v2, s8
	v_mul_lo_u32 v9, v2, s9
	v_lshrrev_b32_e32 v2, s23, v3
	s_add_i32 s38, s38, 4
	v_mul_lo_u32 v3, v2, s21
	s_add_u32 s28, s28, 32
	v_sub_u32_e32 v3, v7, v3
	s_addc_u32 s29, s29, 0
	v_mul_lo_u32 v7, v3, s10
	v_mul_lo_u32 v3, v3, s11
	s_cmp_lg_u32 s36, s38
	v_add3_u32 v12, v9, v4, v3
	v_add3_u32 v4, v5, v1, v7
	s_cbranch_scc1 .LBB337_1109
; %bb.1110:
	v_mov_b32_e32 v1, v12
	s_and_b32 s8, s37, 3
	s_cmp_eq_u32 s8, 0
	s_cbranch_scc0 .LBB337_1114
	s_branch .LBB337_1116
.LBB337_1111:
                                        ; implicit-def: $vgpr12
                                        ; implicit-def: $vgpr4
	s_branch .LBB337_1117
.LBB337_1112:
	v_mov_b32_e32 v12, 0
	v_mov_b32_e32 v4, 0
	s_branch .LBB337_1116
.LBB337_1113:
	v_mov_b32_e32 v4, 0
                                        ; implicit-def: $vgpr12
	s_waitcnt vmcnt(0)
	v_mov_b32_e32 v1, v4
	v_mov_b32_e32 v2, v0
	s_and_b32 s8, s37, 3
	s_cmp_eq_u32 s8, 0
	s_cbranch_scc1 .LBB337_1116
.LBB337_1114:
	s_lshl_b32 s4, s36, 3
	s_add_u32 s4, s34, s4
	s_addc_u32 s5, s35, 0
	s_add_u32 s4, s4, 0xc4
	s_addc_u32 s5, s5, 0
	s_mul_i32 s6, s36, 12
	s_add_u32 s6, s34, s6
	s_addc_u32 s7, s35, 0
.LBB337_1115:                           ; =>This Inner Loop Header: Depth=1
	s_load_dwordx2 s[10:11], s[6:7], 0x4
	s_load_dword s9, s[6:7], 0xc
	s_load_dwordx2 s[12:13], s[4:5], 0x0
	v_mov_b32_e32 v10, v1
	s_add_u32 s6, s6, 12
	s_waitcnt lgkmcnt(0)
	v_mul_hi_u32 v1, s11, v2
	v_add_u32_e32 v1, v2, v1
	v_lshrrev_b32_e32 v1, s9, v1
	s_addc_u32 s7, s7, 0
	v_mul_lo_u32 v3, v1, s10
	s_add_u32 s4, s4, 8
	v_sub_u32_e32 v3, v2, v3
	s_addc_u32 s5, s5, 0
	s_add_i32 s8, s8, -1
	v_mad_u64_u32 v[12:13], s[10:11], v3, s13, v[10:11]
	s_cmp_lg_u32 s8, 0
	v_mov_b32_e32 v2, v1
	v_mad_u64_u32 v[4:5], s[10:11], v3, s12, v[4:5]
	v_mov_b32_e32 v1, v12
	s_cbranch_scc1 .LBB337_1115
.LBB337_1116:
	s_cbranch_execnz .LBB337_1119
.LBB337_1117:
	s_load_dwordx4 s[4:7], s[34:35], 0x4
	s_load_dwordx2 s[8:9], s[34:35], 0xc4
	s_cmp_lt_u32 s33, 2
	s_waitcnt vmcnt(0) lgkmcnt(0)
	v_mul_hi_u32 v1, s5, v0
	v_add_u32_e32 v1, v0, v1
	v_lshrrev_b32_e32 v1, s6, v1
	v_mul_lo_u32 v2, v1, s4
	v_sub_u32_e32 v0, v0, v2
	v_mul_lo_u32 v12, v0, s9
	v_mul_lo_u32 v4, v0, s8
	s_cbranch_scc1 .LBB337_1119
; %bb.1118:
	s_load_dwordx4 s[4:7], s[34:35], 0x10
	s_load_dwordx2 s[8:9], s[34:35], 0xcc
	s_waitcnt lgkmcnt(0)
	v_mul_hi_u32 v0, s5, v1
	v_add_u32_e32 v0, v1, v0
	v_lshrrev_b32_e32 v0, s6, v0
	v_mul_lo_u32 v0, v0, s4
	v_sub_u32_e32 v0, v1, v0
	v_mad_u64_u32 v[4:5], s[4:5], v0, s8, v[4:5]
	v_mad_u64_u32 v[12:13], s[4:5], v0, s9, v[12:13]
.LBB337_1119:
	s_and_b64 vcc, exec, s[2:3]
	v_add_u32_e32 v0, 0x100, v8
	s_cbranch_vccnz .LBB337_1125
; %bb.1120:
	s_cmp_lg_u32 s33, 0
	s_mov_b32 s36, 0
	s_cbranch_scc0 .LBB337_1126
; %bb.1121:
	s_min_u32 s37, s74, 15
	s_add_i32 s37, s37, 1
	s_cmp_eq_u32 s74, 2
	s_cbranch_scc1 .LBB337_1127
; %bb.1122:
	s_and_b32 s36, s37, 28
	s_add_u32 s28, s34, 0xc4
	s_addc_u32 s29, s35, 0
	s_mov_b32 s38, 0
	v_mov_b32_e32 v2, 0
	v_mov_b32_e32 v10, 0
	s_mov_b64 s[30:31], s[34:35]
	v_mov_b32_e32 v5, v0
.LBB337_1123:                           ; =>This Inner Loop Header: Depth=1
	s_load_dwordx8 s[12:19], s[30:31], 0x4
	s_load_dwordx4 s[20:23], s[30:31], 0x24
	s_load_dwordx8 s[4:11], s[28:29], 0x0
	s_add_u32 s30, s30, 48
	s_addc_u32 s31, s31, 0
	s_waitcnt vmcnt(0) lgkmcnt(0)
	v_mul_hi_u32 v1, s13, v5
	v_add_u32_e32 v1, v5, v1
	v_lshrrev_b32_e32 v1, s14, v1
	v_mul_lo_u32 v3, v1, s12
	v_mul_hi_u32 v7, s16, v1
	v_sub_u32_e32 v3, v5, v3
	v_add_u32_e32 v5, v1, v7
	v_lshrrev_b32_e32 v5, s17, v5
	v_mul_lo_u32 v8, v5, s15
	v_mul_hi_u32 v9, s19, v5
	v_sub_u32_e32 v1, v1, v8
	v_add_u32_e32 v8, v5, v9
	v_mul_lo_u32 v7, v3, s5
	v_mul_lo_u32 v3, v3, s4
	v_mul_lo_u32 v9, v1, s7
	v_mul_lo_u32 v1, v1, s6
	v_lshrrev_b32_e32 v8, s20, v8
	v_add3_u32 v1, v3, v2, v1
	v_add3_u32 v2, v7, v10, v9
	v_mul_lo_u32 v3, v8, s18
	v_mul_hi_u32 v7, s22, v8
	v_sub_u32_e32 v3, v5, v3
	v_add_u32_e32 v5, v8, v7
	v_lshrrev_b32_e32 v5, s23, v5
	s_add_i32 s38, s38, 4
	v_mul_lo_u32 v9, v5, s21
	s_add_u32 s28, s28, 32
	v_sub_u32_e32 v8, v8, v9
	s_addc_u32 s29, s29, 0
	v_mul_lo_u32 v7, v3, s8
	v_mul_lo_u32 v3, v3, s9
	;; [unrolled: 1-line block ×4, first 2 shown]
	s_cmp_lg_u32 s36, s38
	v_add3_u32 v10, v3, v2, v8
	v_add3_u32 v2, v7, v1, v9
	s_cbranch_scc1 .LBB337_1123
; %bb.1124:
	v_mov_b32_e32 v1, v10
	s_and_b32 s8, s37, 3
	s_cmp_eq_u32 s8, 0
	s_cbranch_scc0 .LBB337_1128
	s_branch .LBB337_1130
.LBB337_1125:
                                        ; implicit-def: $vgpr10
                                        ; implicit-def: $vgpr2
	s_branch .LBB337_1131
.LBB337_1126:
	v_mov_b32_e32 v10, 0
	v_mov_b32_e32 v2, 0
	s_branch .LBB337_1130
.LBB337_1127:
	v_mov_b32_e32 v2, 0
                                        ; implicit-def: $vgpr10
	s_waitcnt vmcnt(0)
	v_mov_b32_e32 v1, v2
	v_mov_b32_e32 v5, v0
	s_and_b32 s8, s37, 3
	s_cmp_eq_u32 s8, 0
	s_cbranch_scc1 .LBB337_1130
.LBB337_1128:
	s_lshl_b32 s4, s36, 3
	s_add_u32 s4, s34, s4
	s_addc_u32 s5, s35, 0
	s_add_u32 s4, s4, 0xc4
	s_addc_u32 s5, s5, 0
	s_mul_i32 s6, s36, 12
	s_add_u32 s6, s34, s6
	s_addc_u32 s7, s35, 0
.LBB337_1129:                           ; =>This Inner Loop Header: Depth=1
	s_load_dwordx2 s[10:11], s[6:7], 0x4
	s_load_dword s9, s[6:7], 0xc
	s_load_dwordx2 s[12:13], s[4:5], 0x0
	v_mov_b32_e32 v8, v1
	s_add_u32 s6, s6, 12
	s_waitcnt lgkmcnt(0)
	v_mul_hi_u32 v1, s11, v5
	v_add_u32_e32 v1, v5, v1
	v_lshrrev_b32_e32 v1, s9, v1
	s_addc_u32 s7, s7, 0
	v_mul_lo_u32 v3, v1, s10
	s_add_u32 s4, s4, 8
	v_sub_u32_e32 v3, v5, v3
	s_addc_u32 s5, s5, 0
	s_add_i32 s8, s8, -1
	v_mad_u64_u32 v[10:11], s[10:11], v3, s13, v[8:9]
	s_cmp_lg_u32 s8, 0
	v_mov_b32_e32 v5, v1
	v_mad_u64_u32 v[2:3], s[10:11], v3, s12, v[2:3]
	v_mov_b32_e32 v1, v10
	s_cbranch_scc1 .LBB337_1129
.LBB337_1130:
	s_cbranch_execnz .LBB337_1133
.LBB337_1131:
	s_load_dwordx4 s[4:7], s[34:35], 0x4
	s_load_dwordx2 s[8:9], s[34:35], 0xc4
	s_cmp_lt_u32 s33, 2
	s_waitcnt vmcnt(0) lgkmcnt(0)
	v_mul_hi_u32 v1, s5, v0
	v_add_u32_e32 v1, v0, v1
	v_lshrrev_b32_e32 v1, s6, v1
	v_mul_lo_u32 v2, v1, s4
	v_sub_u32_e32 v0, v0, v2
	v_mul_lo_u32 v10, v0, s9
	v_mul_lo_u32 v2, v0, s8
	s_cbranch_scc1 .LBB337_1133
; %bb.1132:
	s_load_dwordx4 s[4:7], s[34:35], 0x10
	s_load_dwordx2 s[8:9], s[34:35], 0xcc
	s_waitcnt lgkmcnt(0)
	v_mul_hi_u32 v0, s5, v1
	v_add_u32_e32 v0, v1, v0
	v_lshrrev_b32_e32 v0, s6, v0
	v_mul_lo_u32 v0, v0, s4
	v_sub_u32_e32 v0, v1, v0
	v_mad_u64_u32 v[2:3], s[4:5], v0, s8, v[2:3]
	v_mad_u64_u32 v[10:11], s[4:5], v0, s9, v[10:11]
.LBB337_1133:
	s_and_b64 vcc, exec, s[2:3]
	s_cbranch_vccnz .LBB337_1139
; %bb.1134:
	s_cmp_lg_u32 s33, 0
	s_mov_b32 s30, 0
	s_cbranch_scc0 .LBB337_1140
; %bb.1135:
	s_min_u32 s31, s74, 15
	s_add_i32 s31, s31, 1
	s_cmp_eq_u32 s74, 2
	s_cbranch_scc1 .LBB337_1141
; %bb.1136:
	s_and_b32 s30, s31, 28
	s_add_u32 s2, s34, 0xc4
	s_addc_u32 s3, s35, 0
	s_mov_b32 s36, 0
	v_mov_b32_e32 v0, 0
	v_mov_b32_e32 v8, 0
	s_mov_b64 s[28:29], s[34:35]
	v_mov_b32_e32 v3, v16
.LBB337_1137:                           ; =>This Inner Loop Header: Depth=1
	s_load_dwordx8 s[12:19], s[28:29], 0x4
	s_load_dwordx4 s[20:23], s[28:29], 0x24
	s_load_dwordx8 s[4:11], s[2:3], 0x0
	s_add_u32 s28, s28, 48
	s_addc_u32 s29, s29, 0
	s_waitcnt vmcnt(0) lgkmcnt(0)
	v_mul_hi_u32 v1, s13, v3
	v_add_u32_e32 v1, v3, v1
	v_lshrrev_b32_e32 v1, s14, v1
	v_mul_lo_u32 v5, v1, s12
	v_mul_hi_u32 v7, s16, v1
	v_sub_u32_e32 v3, v3, v5
	v_add_u32_e32 v5, v1, v7
	v_lshrrev_b32_e32 v5, s17, v5
	v_mul_lo_u32 v9, v5, s15
	v_mul_hi_u32 v11, s19, v5
	v_sub_u32_e32 v1, v1, v9
	v_add_u32_e32 v9, v5, v11
	v_mul_lo_u32 v7, v3, s5
	v_mul_lo_u32 v3, v3, s4
	;; [unrolled: 1-line block ×4, first 2 shown]
	v_lshrrev_b32_e32 v9, s20, v9
	v_add3_u32 v0, v3, v0, v1
	v_add3_u32 v1, v7, v8, v11
	v_mul_lo_u32 v3, v9, s18
	v_mul_hi_u32 v7, s22, v9
	v_sub_u32_e32 v3, v5, v3
	v_add_u32_e32 v5, v9, v7
	v_mul_lo_u32 v7, v3, s8
	v_mul_lo_u32 v8, v3, s9
	v_lshrrev_b32_e32 v3, s23, v5
	s_add_i32 s36, s36, 4
	v_mul_lo_u32 v5, v3, s21
	s_add_u32 s2, s2, 32
	v_sub_u32_e32 v5, v9, v5
	s_addc_u32 s3, s3, 0
	v_mul_lo_u32 v9, v5, s10
	v_mul_lo_u32 v5, v5, s11
	s_cmp_lg_u32 s30, s36
	v_add3_u32 v8, v8, v1, v5
	v_add3_u32 v0, v7, v0, v9
	s_cbranch_scc1 .LBB337_1137
; %bb.1138:
	v_mov_b32_e32 v1, v8
	s_and_b32 s6, s31, 3
	s_cmp_eq_u32 s6, 0
	s_cbranch_scc0 .LBB337_1142
	s_branch .LBB337_1144
.LBB337_1139:
                                        ; implicit-def: $vgpr8
                                        ; implicit-def: $vgpr0
	s_branch .LBB337_1145
.LBB337_1140:
	v_mov_b32_e32 v8, 0
	v_mov_b32_e32 v0, 0
	s_branch .LBB337_1144
.LBB337_1141:
	v_mov_b32_e32 v0, 0
                                        ; implicit-def: $vgpr8
	s_waitcnt vmcnt(0)
	v_mov_b32_e32 v1, v0
	v_mov_b32_e32 v3, v16
	s_and_b32 s6, s31, 3
	s_cmp_eq_u32 s6, 0
	s_cbranch_scc1 .LBB337_1144
.LBB337_1142:
	s_lshl_b32 s2, s30, 3
	s_add_u32 s2, s34, s2
	s_addc_u32 s3, s35, 0
	s_add_u32 s2, s2, 0xc4
	s_addc_u32 s3, s3, 0
	s_mul_i32 s4, s30, 12
	s_add_u32 s4, s34, s4
	s_addc_u32 s5, s35, 0
.LBB337_1143:                           ; =>This Inner Loop Header: Depth=1
	s_load_dwordx2 s[8:9], s[4:5], 0x4
	s_load_dword s7, s[4:5], 0xc
	s_load_dwordx2 s[10:11], s[2:3], 0x0
	v_mov_b32_e32 v8, v1
	s_add_u32 s4, s4, 12
	s_waitcnt lgkmcnt(0)
	v_mul_hi_u32 v1, s9, v3
	v_add_u32_e32 v1, v3, v1
	v_lshrrev_b32_e32 v1, s7, v1
	s_addc_u32 s5, s5, 0
	v_mul_lo_u32 v5, v1, s8
	s_add_u32 s2, s2, 8
	v_sub_u32_e32 v5, v3, v5
	s_addc_u32 s3, s3, 0
	s_add_i32 s6, s6, -1
	v_mov_b32_e32 v3, v1
	v_mad_u64_u32 v[8:9], s[8:9], v5, s11, v[8:9]
	v_mad_u64_u32 v[0:1], s[8:9], v5, s10, v[0:1]
	s_cmp_lg_u32 s6, 0
	v_mov_b32_e32 v1, v8
	s_cbranch_scc1 .LBB337_1143
.LBB337_1144:
	s_cbranch_execnz .LBB337_1147
.LBB337_1145:
	s_load_dwordx4 s[4:7], s[34:35], 0x4
	s_load_dwordx2 s[2:3], s[34:35], 0xc4
	s_cmp_lt_u32 s33, 2
	s_waitcnt lgkmcnt(0)
	v_mul_hi_u32 v0, s5, v16
	v_add_u32_e32 v0, v16, v0
	s_waitcnt vmcnt(0)
	v_lshrrev_b32_e32 v1, s6, v0
	v_mul_lo_u32 v0, v1, s4
	v_sub_u32_e32 v0, v16, v0
	v_mul_lo_u32 v8, v0, s3
	v_mul_lo_u32 v0, v0, s2
	s_cbranch_scc1 .LBB337_1147
; %bb.1146:
	s_load_dwordx4 s[4:7], s[34:35], 0x10
	s_load_dwordx2 s[2:3], s[34:35], 0xcc
	s_waitcnt lgkmcnt(0)
	v_mul_hi_u32 v3, s5, v1
	v_add_u32_e32 v3, v1, v3
	v_lshrrev_b32_e32 v3, s6, v3
	v_mul_lo_u32 v3, v3, s4
	v_sub_u32_e32 v3, v1, v3
	v_mad_u64_u32 v[0:1], s[4:5], v3, s2, v[0:1]
	v_mad_u64_u32 v[8:9], s[2:3], v3, s3, v[8:9]
.LBB337_1147:
	s_load_dword s14, s[0:1], 0x164
	s_load_dwordx4 s[4:7], s[34:35], 0x148
	v_mov_b32_e32 v15, 0
	s_waitcnt lgkmcnt(0)
	s_bfe_u32 s15, s14, 0x80008
	s_cmp_lt_i32 s15, 11
	v_lshl_add_u64 v[14:15], s[6:7], 0, v[14:15]
	s_cbranch_scc1 .LBB337_1154
; %bb.1148:
	s_and_b32 s16, 0xffff, s15
	s_cmp_gt_i32 s16, 25
	s_mov_b64 s[8:9], 0
	s_cbranch_scc0 .LBB337_1156
; %bb.1149:
	s_cmp_gt_i32 s16, 28
	s_cbranch_scc0 .LBB337_1157
; %bb.1150:
	s_cmp_gt_i32 s16, 43
	;; [unrolled: 3-line block ×3, first 2 shown]
	s_cbranch_scc0 .LBB337_1159
; %bb.1152:
	s_cmp_eq_u32 s16, 46
	s_mov_b64 s[2:3], 0
	s_cbranch_scc0 .LBB337_1162
; %bb.1153:
	global_load_dword v1, v[14:15], off
	s_mov_b64 s[0:1], 0
	s_mov_b64 s[10:11], -1
	s_waitcnt vmcnt(0)
	v_lshlrev_b32_e32 v1, 16, v1
	v_cvt_f16_f32_e32 v1, v1
	s_branch .LBB337_1163
.LBB337_1154:
	s_mov_b64 s[10:11], 0
                                        ; implicit-def: $vgpr1
	s_mov_b64 s[2:3], s[24:25]
	s_cbranch_execnz .LBB337_1226
.LBB337_1155:
	s_andn2_b64 vcc, exec, s[10:11]
	s_cbranch_vccz .LBB337_1271
	s_branch .LBB337_2092
.LBB337_1156:
	s_mov_b64 s[10:11], 0
	s_mov_b64 s[0:1], 0
                                        ; implicit-def: $vgpr1
	s_cbranch_execnz .LBB337_1191
	s_branch .LBB337_1222
.LBB337_1157:
	s_mov_b64 s[2:3], -1
	s_mov_b64 s[10:11], 0
	s_mov_b64 s[0:1], 0
                                        ; implicit-def: $vgpr1
	s_branch .LBB337_1172
.LBB337_1158:
	s_mov_b64 s[10:11], 0
	s_mov_b64 s[0:1], 0
                                        ; implicit-def: $vgpr1
	s_cbranch_execnz .LBB337_1168
	s_branch .LBB337_1171
.LBB337_1159:
	s_mov_b64 s[2:3], -1
	s_mov_b64 s[10:11], 0
	s_mov_b64 s[0:1], 0
                                        ; implicit-def: $vgpr1
	s_branch .LBB337_1163
.LBB337_1160:
	s_andn2_saveexec_b64 s[12:13], s[12:13]
	s_cbranch_execz .LBB337_1003
.LBB337_1161:
	s_mov_b32 s14, 0x46000000
	v_add_f32_e64 v1, |v0|, s14
	v_and_b32_e32 v1, 0xff, v1
	v_cmp_ne_u32_e32 vcc, 0, v1
	s_andn2_b64 s[10:11], s[10:11], exec
	s_and_b64 s[14:15], vcc, exec
	s_or_b64 s[10:11], s[10:11], s[14:15]
	s_or_b64 exec, exec, s[12:13]
	v_mov_b32_e32 v5, 0
	s_and_saveexec_b64 s[12:13], s[10:11]
	s_cbranch_execnz .LBB337_1004
	s_branch .LBB337_1005
.LBB337_1162:
	s_mov_b64 s[0:1], -1
                                        ; implicit-def: $vgpr1
	s_mov_b64 s[10:11], 0
.LBB337_1163:
	s_and_b64 vcc, exec, s[2:3]
	s_cbranch_vccz .LBB337_1166
; %bb.1164:
	s_cmp_eq_u32 s16, 44
	s_cbranch_scc0 .LBB337_1167
; %bb.1165:
	global_load_ubyte v1, v[14:15], off
	s_movk_i32 s2, 0xff
	v_mov_b32_e32 v5, 0x7e00
	s_mov_b64 s[0:1], 0
	s_mov_b64 s[10:11], -1
	s_waitcnt vmcnt(0)
	v_lshlrev_b32_e32 v3, 23, v1
	v_cvt_f16_f32_e32 v3, v3
	v_cmp_ne_u32_e32 vcc, s2, v1
	s_nop 1
	v_cndmask_b32_e32 v3, v5, v3, vcc
	v_cmp_ne_u32_e32 vcc, 0, v1
	s_nop 1
	v_cndmask_b32_e32 v1, 0, v3, vcc
.LBB337_1166:
	s_branch .LBB337_1171
.LBB337_1167:
	s_mov_b64 s[0:1], -1
                                        ; implicit-def: $vgpr1
	s_branch .LBB337_1171
.LBB337_1168:
	s_cmp_eq_u32 s16, 29
	s_cbranch_scc0 .LBB337_1170
; %bb.1169:
	global_load_dwordx2 v[16:17], v[14:15], off
	s_mov_b64 s[0:1], 0
	s_mov_b64 s[10:11], -1
	s_mov_b64 s[2:3], 0
	s_waitcnt vmcnt(0)
	v_ffbh_u32_e32 v1, v17
	v_min_u32_e32 v1, 32, v1
	v_lshlrev_b64 v[16:17], v1, v[16:17]
	v_min_u32_e32 v3, 1, v16
	v_or_b32_e32 v3, v17, v3
	v_cvt_f32_u32_e32 v3, v3
	v_sub_u32_e32 v1, 32, v1
	v_ldexp_f32 v1, v3, v1
	v_cvt_f16_f32_e32 v1, v1
	s_branch .LBB337_1172
.LBB337_1170:
	s_mov_b64 s[0:1], -1
                                        ; implicit-def: $vgpr1
.LBB337_1171:
	s_mov_b64 s[2:3], 0
.LBB337_1172:
	s_and_b64 vcc, exec, s[2:3]
	s_cbranch_vccz .LBB337_1190
; %bb.1173:
	s_cmp_lt_i32 s16, 27
	s_cbranch_scc1 .LBB337_1176
; %bb.1174:
	s_cmp_gt_i32 s16, 27
	s_cbranch_scc0 .LBB337_1177
; %bb.1175:
	global_load_dword v1, v[14:15], off
	s_mov_b64 s[2:3], 0
	s_waitcnt vmcnt(0)
	v_cvt_f32_u32_e32 v1, v1
	v_cvt_f16_f32_e32 v1, v1
	s_branch .LBB337_1178
.LBB337_1176:
	s_mov_b64 s[2:3], -1
                                        ; implicit-def: $vgpr1
	s_branch .LBB337_1181
.LBB337_1177:
	s_mov_b64 s[2:3], -1
                                        ; implicit-def: $vgpr1
.LBB337_1178:
	s_andn2_b64 vcc, exec, s[2:3]
	s_cbranch_vccnz .LBB337_1180
; %bb.1179:
	global_load_ushort v1, v[14:15], off
	s_waitcnt vmcnt(0)
	v_cvt_f16_u16_e32 v1, v1
.LBB337_1180:
	s_mov_b64 s[2:3], 0
.LBB337_1181:
	s_andn2_b64 vcc, exec, s[2:3]
	s_cbranch_vccnz .LBB337_1189
; %bb.1182:
	global_load_ubyte v3, v[14:15], off
	s_movk_i32 s2, 0x7f
	s_waitcnt vmcnt(0)
	v_cmp_lt_i16_e32 vcc, s2, v3
	s_mov_b64 s[2:3], 0
	s_and_saveexec_b64 s[10:11], vcc
	s_xor_b64 s[10:11], exec, s[10:11]
	s_cbranch_execz .LBB337_1202
; %bb.1183:
	s_movk_i32 s2, 0x80
	v_cmp_eq_u16_e32 vcc, s2, v3
	s_mov_b64 s[2:3], -1
	s_and_saveexec_b64 s[12:13], vcc
; %bb.1184:
	s_xor_b64 s[2:3], exec, -1
; %bb.1185:
	s_or_b64 exec, exec, s[12:13]
	s_and_b64 s[2:3], s[2:3], exec
	s_or_saveexec_b64 s[10:11], s[10:11]
	v_mov_b32_e32 v1, 0x7e00
	s_xor_b64 exec, exec, s[10:11]
	s_cbranch_execnz .LBB337_1203
.LBB337_1186:
	s_or_b64 exec, exec, s[10:11]
	s_and_saveexec_b64 s[10:11], s[2:3]
	s_cbranch_execz .LBB337_1188
.LBB337_1187:
	v_lshlrev_b32_e32 v1, 24, v3
	v_and_b32_e32 v3, 0xffff, v3
	v_and_b32_e32 v5, 7, v3
	v_ffbh_u32_e32 v9, v5
	v_min_u32_e32 v9, 32, v9
	v_subrev_u32_e32 v11, 28, v9
	v_bfe_u32 v7, v3, 3, 4
	v_lshlrev_b32_e32 v3, v11, v3
	v_sub_u32_e32 v9, 29, v9
	v_and_b32_e32 v3, 7, v3
	v_cmp_eq_u32_e32 vcc, 0, v7
	v_and_b32_e32 v1, 0x80000000, v1
	s_nop 0
	v_cndmask_b32_e32 v7, v7, v9, vcc
	v_cndmask_b32_e32 v3, v5, v3, vcc
	v_mov_b32_e32 v5, 0x3b800000
	v_lshlrev_b32_e32 v3, 20, v3
	v_lshl_add_u32 v5, v7, 23, v5
	v_or3_b32 v1, v1, v5, v3
	v_cvt_f16_f32_e32 v1, v1
.LBB337_1188:
	s_or_b64 exec, exec, s[10:11]
.LBB337_1189:
	s_mov_b64 s[10:11], -1
.LBB337_1190:
	s_branch .LBB337_1222
.LBB337_1191:
	s_cmp_gt_i32 s16, 22
	s_cbranch_scc0 .LBB337_1201
; %bb.1192:
	s_cmp_lt_i32 s16, 24
	s_cbranch_scc1 .LBB337_1204
; %bb.1193:
	s_cmp_gt_i32 s16, 24
	s_cbranch_scc0 .LBB337_1205
; %bb.1194:
	global_load_ubyte v3, v[14:15], off
	s_movk_i32 s2, 0x7f
	s_waitcnt vmcnt(0)
	v_cmp_lt_i16_e32 vcc, s2, v3
	s_mov_b64 s[2:3], 0
	s_and_saveexec_b64 s[8:9], vcc
	s_xor_b64 s[8:9], exec, s[8:9]
	s_cbranch_execz .LBB337_1216
; %bb.1195:
	s_movk_i32 s2, 0x80
	v_cmp_eq_u16_e32 vcc, s2, v3
	s_mov_b64 s[2:3], -1
	s_and_saveexec_b64 s[10:11], vcc
; %bb.1196:
	s_xor_b64 s[2:3], exec, -1
; %bb.1197:
	s_or_b64 exec, exec, s[10:11]
	s_and_b64 s[2:3], s[2:3], exec
	s_or_saveexec_b64 s[8:9], s[8:9]
	v_mov_b32_e32 v1, 0x7e00
	s_xor_b64 exec, exec, s[8:9]
	s_cbranch_execnz .LBB337_1217
.LBB337_1198:
	s_or_b64 exec, exec, s[8:9]
	s_and_saveexec_b64 s[8:9], s[2:3]
	s_cbranch_execz .LBB337_1200
.LBB337_1199:
	v_lshlrev_b32_e32 v1, 24, v3
	v_and_b32_e32 v3, 0xffff, v3
	v_and_b32_e32 v5, 3, v3
	v_ffbh_u32_e32 v9, v5
	v_min_u32_e32 v9, 32, v9
	v_subrev_u32_e32 v11, 29, v9
	v_bfe_u32 v7, v3, 2, 5
	v_lshlrev_b32_e32 v3, v11, v3
	v_sub_u32_e32 v9, 30, v9
	v_and_b32_e32 v3, 3, v3
	v_cmp_eq_u32_e32 vcc, 0, v7
	v_and_b32_e32 v1, 0x80000000, v1
	s_nop 0
	v_cndmask_b32_e32 v7, v7, v9, vcc
	v_cndmask_b32_e32 v3, v5, v3, vcc
	v_mov_b32_e32 v5, 0x37800000
	v_lshlrev_b32_e32 v3, 21, v3
	v_lshl_add_u32 v5, v7, 23, v5
	v_or3_b32 v1, v1, v5, v3
	v_cvt_f16_f32_e32 v1, v1
.LBB337_1200:
	s_or_b64 exec, exec, s[8:9]
	s_mov_b64 s[2:3], 0
	s_branch .LBB337_1206
.LBB337_1201:
                                        ; implicit-def: $vgpr1
	s_mov_b64 s[8:9], 0
	s_branch .LBB337_1212
.LBB337_1202:
	s_or_saveexec_b64 s[10:11], s[10:11]
	v_mov_b32_e32 v1, 0x7e00
	s_xor_b64 exec, exec, s[10:11]
	s_cbranch_execz .LBB337_1186
.LBB337_1203:
	v_cmp_ne_u16_e32 vcc, 0, v3
	s_andn2_b64 s[2:3], s[2:3], exec
	s_and_b64 s[12:13], vcc, exec
	s_or_b64 s[2:3], s[2:3], s[12:13]
	v_mov_b32_e32 v1, v3
	s_or_b64 exec, exec, s[10:11]
	s_and_saveexec_b64 s[10:11], s[2:3]
	s_cbranch_execnz .LBB337_1187
	s_branch .LBB337_1188
.LBB337_1204:
	s_mov_b64 s[2:3], -1
                                        ; implicit-def: $vgpr1
	s_branch .LBB337_1209
.LBB337_1205:
	s_mov_b64 s[2:3], -1
                                        ; implicit-def: $vgpr1
.LBB337_1206:
	s_and_b64 vcc, exec, s[2:3]
	s_cbranch_vccz .LBB337_1208
; %bb.1207:
	global_load_ubyte v1, v[14:15], off
	s_mov_b32 s2, 0x7f800000
	s_waitcnt vmcnt(0)
	v_lshlrev_b32_e32 v1, 24, v1
	v_and_b32_e32 v3, 0x7f000000, v1
	v_ffbh_u32_e32 v5, v3
	v_min_u32_e32 v5, 32, v5
	v_sub_u32_e64 v5, v5, 4 clamp
	v_lshlrev_b32_e32 v9, v5, v3
	v_lshlrev_b32_e32 v5, 23, v5
	v_lshrrev_b32_e32 v9, 4, v9
	v_add_u32_e32 v7, 0x1000000, v3
	v_sub_u32_e32 v5, v9, v5
	v_ashrrev_i32_e32 v7, 8, v7
	v_add_u32_e32 v5, 0x3c000000, v5
	v_and_or_b32 v5, v7, s2, v5
	v_cmp_ne_u32_e32 vcc, 0, v3
	s_brev_b32 s2, 1
	s_nop 0
	v_cndmask_b32_e32 v3, 0, v5, vcc
	v_and_or_b32 v1, v1, s2, v3
	v_cvt_f16_f32_e32 v1, v1
.LBB337_1208:
	s_mov_b64 s[2:3], 0
.LBB337_1209:
	s_andn2_b64 vcc, exec, s[2:3]
	s_cbranch_vccnz .LBB337_1211
; %bb.1210:
	global_load_ubyte v1, v[14:15], off
	s_movk_i32 s2, 0x7f00
	s_brev_b32 s3, 16
	s_waitcnt vmcnt(0)
	v_lshlrev_b16_e32 v3, 8, v1
	v_lshlrev_b32_e32 v1, 25, v1
	v_lshrrev_b32_e32 v5, 4, v1
	v_and_or_b32 v7, v3, s2, 0.5
	v_or_b32_e32 v5, 0x70000000, v5
	v_add_f32_e32 v7, -0.5, v7
	v_mul_f32_e32 v5, 0x7800000, v5
	v_cmp_gt_u32_e32 vcc, s3, v1
	v_bfe_i32 v3, v3, 0, 16
	s_brev_b32 s2, 1
	v_cndmask_b32_e32 v1, v5, v7, vcc
	v_and_or_b32 v1, v3, s2, v1
	v_cvt_f16_f32_e32 v1, v1
.LBB337_1211:
	s_mov_b64 s[10:11], -1
	s_mov_b64 s[8:9], 0
	s_cbranch_execnz .LBB337_1222
.LBB337_1212:
	s_cmp_gt_i32 s16, 14
	s_cbranch_scc0 .LBB337_1215
; %bb.1213:
	s_cmp_eq_u32 s16, 15
	s_cbranch_scc0 .LBB337_1218
; %bb.1214:
	global_load_ushort v1, v[14:15], off
	s_mov_b64 s[0:1], 0
	s_mov_b64 s[10:11], -1
	s_waitcnt vmcnt(0)
	v_lshlrev_b32_e32 v1, 16, v1
	v_cvt_f16_f32_e32 v1, v1
	s_branch .LBB337_1219
.LBB337_1215:
	s_mov_b64 s[2:3], -1
                                        ; implicit-def: $vgpr1
	s_branch .LBB337_1220
.LBB337_1216:
	s_or_saveexec_b64 s[8:9], s[8:9]
	v_mov_b32_e32 v1, 0x7e00
	s_xor_b64 exec, exec, s[8:9]
	s_cbranch_execz .LBB337_1198
.LBB337_1217:
	v_cmp_ne_u16_e32 vcc, 0, v3
	s_andn2_b64 s[2:3], s[2:3], exec
	s_and_b64 s[10:11], vcc, exec
	s_or_b64 s[2:3], s[2:3], s[10:11]
	v_mov_b32_e32 v1, v3
	s_or_b64 exec, exec, s[8:9]
	s_and_saveexec_b64 s[8:9], s[2:3]
	s_cbranch_execnz .LBB337_1199
	s_branch .LBB337_1200
.LBB337_1218:
	s_mov_b64 s[0:1], -1
                                        ; implicit-def: $vgpr1
.LBB337_1219:
	s_mov_b64 s[2:3], 0
.LBB337_1220:
	s_and_b64 vcc, exec, s[2:3]
	s_cbranch_vccz .LBB337_1222
; %bb.1221:
	s_cmp_lg_u32 s16, 11
	s_mov_b64 s[8:9], -1
	s_cselect_b64 s[0:1], -1, 0
.LBB337_1222:
	s_and_b64 vcc, exec, s[0:1]
	s_mov_b64 s[2:3], s[24:25]
	s_cbranch_vccnz .LBB337_1283
; %bb.1223:
	s_andn2_b64 vcc, exec, s[8:9]
	s_cbranch_vccnz .LBB337_1225
.LBB337_1224:
	global_load_ubyte v1, v[14:15], off
	v_mov_b32_e32 v3, 0x3c00
	s_mov_b64 s[10:11], -1
	s_waitcnt vmcnt(0)
	v_cmp_ne_u16_e32 vcc, 0, v1
	s_nop 1
	v_cndmask_b32_e32 v1, 0, v3, vcc
.LBB337_1225:
	s_branch .LBB337_1155
.LBB337_1226:
	s_and_b32 s8, 0xffff, s15
	s_cmp_lt_i32 s8, 5
	s_cbranch_scc1 .LBB337_1231
; %bb.1227:
	s_cmp_lt_i32 s8, 8
	s_cbranch_scc1 .LBB337_1232
; %bb.1228:
	;; [unrolled: 3-line block ×3, first 2 shown]
	s_cmp_gt_i32 s8, 9
	s_cbranch_scc0 .LBB337_1234
; %bb.1230:
	global_load_dwordx2 v[16:17], v[14:15], off
	s_movk_i32 s0, 0x1ff
	s_movk_i32 s1, 0xffe
	s_waitcnt vmcnt(1)
	v_mov_b32_e32 v1, 0x7c00
	v_mov_b32_e32 v3, 0x7e00
	s_movk_i32 s9, 0x40f
	s_mov_b32 s10, 0x8000
	s_waitcnt vmcnt(0)
	v_and_or_b32 v5, v17, s0, v16
	v_cmp_ne_u32_e32 vcc, 0, v5
	v_lshrrev_b32_e32 v7, 8, v17
	v_bfe_u32 v9, v17, 20, 11
	v_cndmask_b32_e64 v5, 0, 1, vcc
	v_sub_u32_e32 v13, 0x3f1, v9
	v_and_or_b32 v5, v7, s1, v5
	v_add_u32_e32 v9, 0xfffffc10, v9
	v_med3_i32 v7, v13, 0, 13
	v_or_b32_e32 v13, 0x1000, v5
	v_lshl_or_b32 v16, v9, 12, v5
	v_cmp_ne_u32_e32 vcc, 0, v5
	v_lshrrev_b32_e32 v5, v7, v13
	v_lshlrev_b32_e32 v7, v7, v5
	v_cndmask_b32_e32 v3, v1, v3, vcc
	v_cmp_ne_u32_e32 vcc, v7, v13
	v_lshrrev_b32_e32 v11, 16, v17
	s_mov_b64 s[0:1], 0
	v_cndmask_b32_e64 v7, 0, 1, vcc
	v_or_b32_e32 v5, v5, v7
	v_cmp_gt_i32_e32 vcc, 1, v9
	s_nop 1
	v_cndmask_b32_e32 v5, v16, v5, vcc
	v_and_b32_e32 v7, 7, v5
	v_cmp_lt_i32_e32 vcc, 5, v7
	v_lshrrev_b32_e32 v5, 2, v5
	s_nop 0
	v_cndmask_b32_e64 v13, 0, 1, vcc
	v_cmp_eq_u32_e32 vcc, 3, v7
	s_nop 1
	v_cndmask_b32_e64 v7, 0, 1, vcc
	v_or_b32_e32 v7, v7, v13
	v_add_u32_e32 v5, v5, v7
	v_cmp_gt_i32_e32 vcc, 31, v9
	s_nop 1
	v_cndmask_b32_e32 v1, v1, v5, vcc
	v_cmp_eq_u32_e32 vcc, s9, v9
	s_nop 1
	v_cndmask_b32_e32 v1, v1, v3, vcc
	v_and_or_b32 v1, v11, s10, v1
	s_branch .LBB337_1235
.LBB337_1231:
                                        ; implicit-def: $vgpr1
	s_branch .LBB337_1252
.LBB337_1232:
                                        ; implicit-def: $vgpr1
	s_branch .LBB337_1241
.LBB337_1233:
	s_mov_b64 s[0:1], -1
                                        ; implicit-def: $vgpr1
	s_branch .LBB337_1238
.LBB337_1234:
	s_mov_b64 s[0:1], -1
                                        ; implicit-def: $vgpr1
.LBB337_1235:
	s_andn2_b64 vcc, exec, s[0:1]
	s_cbranch_vccnz .LBB337_1237
; %bb.1236:
	global_load_dword v1, v[14:15], off
	s_waitcnt vmcnt(0)
	v_cvt_f16_f32_e32 v1, v1
.LBB337_1237:
	s_mov_b64 s[0:1], 0
.LBB337_1238:
	s_andn2_b64 vcc, exec, s[0:1]
	s_cbranch_vccnz .LBB337_1240
; %bb.1239:
	global_load_dword v1, v[14:15], off
.LBB337_1240:
	s_cbranch_execnz .LBB337_1251
.LBB337_1241:
	s_cmp_lt_i32 s8, 6
	s_cbranch_scc1 .LBB337_1244
; %bb.1242:
	s_cmp_gt_i32 s8, 6
	s_cbranch_scc0 .LBB337_1245
; %bb.1243:
	global_load_dwordx2 v[16:17], v[14:15], off
	s_movk_i32 s0, 0x1ff
	s_movk_i32 s1, 0xffe
	s_waitcnt vmcnt(1)
	v_mov_b32_e32 v1, 0x7c00
	v_mov_b32_e32 v3, 0x7e00
	s_movk_i32 s9, 0x40f
	s_mov_b32 s10, 0x8000
	s_waitcnt vmcnt(0)
	v_and_or_b32 v5, v17, s0, v16
	v_cmp_ne_u32_e32 vcc, 0, v5
	v_lshrrev_b32_e32 v7, 8, v17
	v_bfe_u32 v9, v17, 20, 11
	v_cndmask_b32_e64 v5, 0, 1, vcc
	v_sub_u32_e32 v13, 0x3f1, v9
	v_and_or_b32 v5, v7, s1, v5
	v_add_u32_e32 v9, 0xfffffc10, v9
	v_med3_i32 v7, v13, 0, 13
	v_or_b32_e32 v13, 0x1000, v5
	v_lshl_or_b32 v16, v9, 12, v5
	v_cmp_ne_u32_e32 vcc, 0, v5
	v_lshrrev_b32_e32 v5, v7, v13
	v_lshlrev_b32_e32 v7, v7, v5
	v_cndmask_b32_e32 v3, v1, v3, vcc
	v_cmp_ne_u32_e32 vcc, v7, v13
	v_lshrrev_b32_e32 v11, 16, v17
	s_mov_b64 s[0:1], 0
	v_cndmask_b32_e64 v7, 0, 1, vcc
	v_or_b32_e32 v5, v5, v7
	v_cmp_gt_i32_e32 vcc, 1, v9
	s_nop 1
	v_cndmask_b32_e32 v5, v16, v5, vcc
	v_and_b32_e32 v7, 7, v5
	v_cmp_lt_i32_e32 vcc, 5, v7
	v_lshrrev_b32_e32 v5, 2, v5
	s_nop 0
	v_cndmask_b32_e64 v13, 0, 1, vcc
	v_cmp_eq_u32_e32 vcc, 3, v7
	s_nop 1
	v_cndmask_b32_e64 v7, 0, 1, vcc
	v_or_b32_e32 v7, v7, v13
	v_add_u32_e32 v5, v5, v7
	v_cmp_gt_i32_e32 vcc, 31, v9
	s_nop 1
	v_cndmask_b32_e32 v1, v1, v5, vcc
	v_cmp_eq_u32_e32 vcc, s9, v9
	s_nop 1
	v_cndmask_b32_e32 v1, v1, v3, vcc
	v_and_or_b32 v1, v11, s10, v1
	s_branch .LBB337_1246
.LBB337_1244:
	s_mov_b64 s[0:1], -1
                                        ; implicit-def: $vgpr1
	s_branch .LBB337_1249
.LBB337_1245:
	s_mov_b64 s[0:1], -1
                                        ; implicit-def: $vgpr1
.LBB337_1246:
	s_andn2_b64 vcc, exec, s[0:1]
	s_cbranch_vccnz .LBB337_1248
; %bb.1247:
	global_load_dword v1, v[14:15], off
	s_waitcnt vmcnt(0)
	v_cvt_f16_f32_e32 v1, v1
.LBB337_1248:
	s_mov_b64 s[0:1], 0
.LBB337_1249:
	s_andn2_b64 vcc, exec, s[0:1]
	s_cbranch_vccnz .LBB337_1251
; %bb.1250:
	global_load_ushort v1, v[14:15], off
.LBB337_1251:
	s_cbranch_execnz .LBB337_1270
.LBB337_1252:
	s_cmp_lt_i32 s8, 2
	s_cbranch_scc1 .LBB337_1256
; %bb.1253:
	s_cmp_lt_i32 s8, 3
	s_cbranch_scc1 .LBB337_1257
; %bb.1254:
	s_cmp_gt_i32 s8, 3
	s_cbranch_scc0 .LBB337_1258
; %bb.1255:
	global_load_dwordx2 v[16:17], v[14:15], off
	s_mov_b64 s[0:1], 0
	s_waitcnt vmcnt(0)
	v_xor_b32_e32 v3, v16, v17
	v_ffbh_i32_e32 v1, v17
	v_ashrrev_i32_e32 v3, 31, v3
	v_add_u32_e32 v1, -1, v1
	v_add_u32_e32 v3, 32, v3
	v_min_u32_e32 v1, v1, v3
	v_lshlrev_b64 v[16:17], v1, v[16:17]
	v_min_u32_e32 v3, 1, v16
	v_or_b32_e32 v3, v17, v3
	v_cvt_f32_i32_e32 v3, v3
	v_sub_u32_e32 v1, 32, v1
	v_ldexp_f32 v1, v3, v1
	v_cvt_f16_f32_e32 v1, v1
	s_branch .LBB337_1259
.LBB337_1256:
                                        ; implicit-def: $vgpr1
	s_branch .LBB337_1265
.LBB337_1257:
	s_mov_b64 s[0:1], -1
                                        ; implicit-def: $vgpr1
	s_branch .LBB337_1262
.LBB337_1258:
	s_mov_b64 s[0:1], -1
                                        ; implicit-def: $vgpr1
.LBB337_1259:
	s_andn2_b64 vcc, exec, s[0:1]
	s_cbranch_vccnz .LBB337_1261
; %bb.1260:
	global_load_dword v1, v[14:15], off
	s_waitcnt vmcnt(0)
	v_cvt_f32_i32_e32 v1, v1
	v_cvt_f16_f32_e32 v1, v1
.LBB337_1261:
	s_mov_b64 s[0:1], 0
.LBB337_1262:
	s_andn2_b64 vcc, exec, s[0:1]
	s_cbranch_vccnz .LBB337_1264
; %bb.1263:
	global_load_ushort v1, v[14:15], off
	s_waitcnt vmcnt(0)
	v_cvt_f16_i16_e32 v1, v1
.LBB337_1264:
	s_cbranch_execnz .LBB337_1270
.LBB337_1265:
	s_cmp_gt_i32 s8, 0
	s_cbranch_scc0 .LBB337_1267
; %bb.1266:
	global_load_sbyte v1, v[14:15], off
	s_mov_b64 s[0:1], 0
	s_waitcnt vmcnt(0)
	v_cvt_f16_i16_e32 v1, v1
	s_branch .LBB337_1268
.LBB337_1267:
	s_mov_b64 s[0:1], -1
                                        ; implicit-def: $vgpr1
.LBB337_1268:
	s_andn2_b64 vcc, exec, s[0:1]
	s_cbranch_vccnz .LBB337_1270
; %bb.1269:
	global_load_ubyte v1, v[14:15], off
	s_waitcnt vmcnt(0)
	v_cvt_f16_u16_e32 v1, v1
.LBB337_1270:
.LBB337_1271:
	s_lshr_b32 s0, s14, 8
	v_mov_b32_e32 v13, 0
	s_and_b32 s16, s0, 0xff
	s_cmp_lt_i32 s16, 11
	v_lshl_add_u64 v[12:13], s[6:7], 0, v[12:13]
	s_cbranch_scc1 .LBB337_1278
; %bb.1272:
	s_and_b32 s17, 0xffff, s16
	s_cmp_gt_i32 s17, 25
	s_mov_b64 s[8:9], 0
	s_cbranch_scc0 .LBB337_1280
; %bb.1273:
	s_cmp_gt_i32 s17, 28
	s_cbranch_scc0 .LBB337_1281
; %bb.1274:
	s_cmp_gt_i32 s17, 43
	;; [unrolled: 3-line block ×3, first 2 shown]
	s_cbranch_scc0 .LBB337_1284
; %bb.1276:
	s_cmp_eq_u32 s17, 46
	s_mov_b64 s[12:13], 0
	s_cbranch_scc0 .LBB337_1287
; %bb.1277:
	global_load_dword v3, v[12:13], off
	s_mov_b64 s[0:1], 0
	s_mov_b64 s[10:11], -1
	s_waitcnt vmcnt(0)
	v_lshlrev_b32_e32 v3, 16, v3
	v_cvt_f16_f32_e32 v3, v3
	s_branch .LBB337_1288
.LBB337_1278:
	s_mov_b64 s[10:11], 0
                                        ; implicit-def: $vgpr3
	s_cbranch_execnz .LBB337_1353
.LBB337_1279:
	s_andn2_b64 vcc, exec, s[10:11]
	s_cbranch_vccnz .LBB337_2092
	s_branch .LBB337_1400
.LBB337_1280:
	s_mov_b64 s[10:11], 0
	s_mov_b64 s[0:1], 0
                                        ; implicit-def: $vgpr3
	s_cbranch_execnz .LBB337_1317
	s_branch .LBB337_1349
.LBB337_1281:
	s_mov_b64 s[12:13], -1
	s_mov_b64 s[10:11], 0
	s_mov_b64 s[0:1], 0
                                        ; implicit-def: $vgpr3
	s_branch .LBB337_1298
.LBB337_1282:
	s_mov_b64 s[12:13], -1
	s_mov_b64 s[10:11], 0
	s_mov_b64 s[0:1], 0
                                        ; implicit-def: $vgpr3
	s_branch .LBB337_1293
.LBB337_1283:
	s_or_b64 s[2:3], s[24:25], exec
	s_trap 2
	s_cbranch_execz .LBB337_1224
	s_branch .LBB337_1225
.LBB337_1284:
	s_mov_b64 s[12:13], -1
	s_mov_b64 s[10:11], 0
	s_mov_b64 s[0:1], 0
                                        ; implicit-def: $vgpr3
	s_branch .LBB337_1288
.LBB337_1285:
	s_andn2_saveexec_b64 s[14:15], s[14:15]
	s_cbranch_execz .LBB337_1015
.LBB337_1286:
	s_mov_b32 s18, 0x42800000
	v_add_f32_e64 v1, |v0|, s18
	v_and_b32_e32 v1, 0xff, v1
	v_cmp_ne_u32_e32 vcc, 0, v1
	s_andn2_b64 s[12:13], s[12:13], exec
	s_and_b64 s[18:19], vcc, exec
	s_or_b64 s[12:13], s[12:13], s[18:19]
	s_or_b64 exec, exec, s[14:15]
	v_mov_b32_e32 v5, 0
	s_and_saveexec_b64 s[14:15], s[12:13]
	s_cbranch_execnz .LBB337_1016
	s_branch .LBB337_1017
.LBB337_1287:
	s_mov_b64 s[0:1], -1
                                        ; implicit-def: $vgpr3
	s_mov_b64 s[10:11], 0
.LBB337_1288:
	s_and_b64 vcc, exec, s[12:13]
	s_cbranch_vccz .LBB337_1292
; %bb.1289:
	s_cmp_eq_u32 s17, 44
	s_cbranch_scc0 .LBB337_1291
; %bb.1290:
	global_load_ubyte v3, v[12:13], off
	s_movk_i32 s10, 0xff
	v_mov_b32_e32 v7, 0x7e00
	s_mov_b64 s[0:1], 0
	s_waitcnt vmcnt(0)
	v_lshlrev_b32_e32 v5, 23, v3
	v_cvt_f16_f32_e32 v5, v5
	v_cmp_ne_u32_e32 vcc, s10, v3
	s_mov_b64 s[10:11], -1
	s_nop 0
	v_cndmask_b32_e32 v5, v7, v5, vcc
	v_cmp_ne_u32_e32 vcc, 0, v3
	s_nop 1
	v_cndmask_b32_e32 v3, 0, v5, vcc
	s_branch .LBB337_1292
.LBB337_1291:
	s_mov_b64 s[0:1], -1
                                        ; implicit-def: $vgpr3
.LBB337_1292:
	s_mov_b64 s[12:13], 0
.LBB337_1293:
	s_and_b64 vcc, exec, s[12:13]
	s_cbranch_vccz .LBB337_1297
; %bb.1294:
	s_cmp_eq_u32 s17, 29
	s_cbranch_scc0 .LBB337_1296
; %bb.1295:
	global_load_dwordx2 v[14:15], v[12:13], off
	s_mov_b64 s[0:1], 0
	s_mov_b64 s[10:11], -1
	s_mov_b64 s[12:13], 0
	s_waitcnt vmcnt(0)
	v_ffbh_u32_e32 v3, v15
	v_min_u32_e32 v3, 32, v3
	v_lshlrev_b64 v[14:15], v3, v[14:15]
	v_min_u32_e32 v5, 1, v14
	v_or_b32_e32 v5, v15, v5
	v_cvt_f32_u32_e32 v5, v5
	v_sub_u32_e32 v3, 32, v3
	v_ldexp_f32 v3, v5, v3
	v_cvt_f16_f32_e32 v3, v3
	s_branch .LBB337_1298
.LBB337_1296:
	s_mov_b64 s[0:1], -1
                                        ; implicit-def: $vgpr3
.LBB337_1297:
	s_mov_b64 s[12:13], 0
.LBB337_1298:
	s_and_b64 vcc, exec, s[12:13]
	s_cbranch_vccz .LBB337_1316
; %bb.1299:
	s_cmp_lt_i32 s17, 27
	s_cbranch_scc1 .LBB337_1302
; %bb.1300:
	s_cmp_gt_i32 s17, 27
	s_cbranch_scc0 .LBB337_1303
; %bb.1301:
	global_load_dword v3, v[12:13], off
	s_mov_b64 s[10:11], 0
	s_waitcnt vmcnt(0)
	v_cvt_f32_u32_e32 v3, v3
	v_cvt_f16_f32_e32 v3, v3
	s_branch .LBB337_1304
.LBB337_1302:
	s_mov_b64 s[10:11], -1
                                        ; implicit-def: $vgpr3
	s_branch .LBB337_1307
.LBB337_1303:
	s_mov_b64 s[10:11], -1
                                        ; implicit-def: $vgpr3
.LBB337_1304:
	s_andn2_b64 vcc, exec, s[10:11]
	s_cbranch_vccnz .LBB337_1306
; %bb.1305:
	global_load_ushort v3, v[12:13], off
	s_waitcnt vmcnt(0)
	v_cvt_f16_u16_e32 v3, v3
.LBB337_1306:
	s_mov_b64 s[10:11], 0
.LBB337_1307:
	s_andn2_b64 vcc, exec, s[10:11]
	s_cbranch_vccnz .LBB337_1315
; %bb.1308:
	global_load_ubyte v5, v[12:13], off
	s_movk_i32 s10, 0x7f
	s_waitcnt vmcnt(0)
	v_cmp_lt_i16_e32 vcc, s10, v5
	s_mov_b64 s[10:11], 0
	s_and_saveexec_b64 s[12:13], vcc
	s_xor_b64 s[12:13], exec, s[12:13]
	s_cbranch_execz .LBB337_1328
; %bb.1309:
	s_movk_i32 s10, 0x80
	v_cmp_eq_u16_e32 vcc, s10, v5
	s_mov_b64 s[10:11], -1
	s_and_saveexec_b64 s[14:15], vcc
; %bb.1310:
	s_xor_b64 s[10:11], exec, -1
; %bb.1311:
	s_or_b64 exec, exec, s[14:15]
	s_and_b64 s[10:11], s[10:11], exec
	s_or_saveexec_b64 s[12:13], s[12:13]
	v_mov_b32_e32 v3, 0x7e00
	s_xor_b64 exec, exec, s[12:13]
	s_cbranch_execnz .LBB337_1329
.LBB337_1312:
	s_or_b64 exec, exec, s[12:13]
	s_and_saveexec_b64 s[12:13], s[10:11]
	s_cbranch_execz .LBB337_1314
.LBB337_1313:
	v_lshlrev_b32_e32 v3, 24, v5
	v_and_b32_e32 v5, 0xffff, v5
	v_and_b32_e32 v7, 7, v5
	v_ffbh_u32_e32 v11, v7
	v_min_u32_e32 v11, 32, v11
	v_subrev_u32_e32 v14, 28, v11
	v_bfe_u32 v9, v5, 3, 4
	v_lshlrev_b32_e32 v5, v14, v5
	v_sub_u32_e32 v11, 29, v11
	v_and_b32_e32 v5, 7, v5
	v_cmp_eq_u32_e32 vcc, 0, v9
	v_and_b32_e32 v3, 0x80000000, v3
	s_nop 0
	v_cndmask_b32_e32 v9, v9, v11, vcc
	v_cndmask_b32_e32 v5, v7, v5, vcc
	v_mov_b32_e32 v7, 0x3b800000
	v_lshlrev_b32_e32 v5, 20, v5
	v_lshl_add_u32 v7, v9, 23, v7
	v_or3_b32 v3, v3, v7, v5
	v_cvt_f16_f32_e32 v3, v3
.LBB337_1314:
	s_or_b64 exec, exec, s[12:13]
.LBB337_1315:
	s_mov_b64 s[10:11], -1
.LBB337_1316:
	s_branch .LBB337_1349
.LBB337_1317:
	s_cmp_gt_i32 s17, 22
	s_cbranch_scc0 .LBB337_1327
; %bb.1318:
	s_cmp_lt_i32 s17, 24
	s_cbranch_scc1 .LBB337_1330
; %bb.1319:
	s_cmp_gt_i32 s17, 24
	s_cbranch_scc0 .LBB337_1331
; %bb.1320:
	global_load_ubyte v5, v[12:13], off
	s_movk_i32 s8, 0x7f
	s_waitcnt vmcnt(0)
	v_cmp_lt_i16_e32 vcc, s8, v5
	s_mov_b64 s[8:9], 0
	s_and_saveexec_b64 s[10:11], vcc
	s_xor_b64 s[10:11], exec, s[10:11]
	s_cbranch_execz .LBB337_1343
; %bb.1321:
	s_movk_i32 s8, 0x80
	v_cmp_eq_u16_e32 vcc, s8, v5
	s_mov_b64 s[8:9], -1
	s_and_saveexec_b64 s[12:13], vcc
; %bb.1322:
	s_xor_b64 s[8:9], exec, -1
; %bb.1323:
	s_or_b64 exec, exec, s[12:13]
	s_and_b64 s[8:9], s[8:9], exec
	s_or_saveexec_b64 s[10:11], s[10:11]
	v_mov_b32_e32 v3, 0x7e00
	s_xor_b64 exec, exec, s[10:11]
	s_cbranch_execnz .LBB337_1344
.LBB337_1324:
	s_or_b64 exec, exec, s[10:11]
	s_and_saveexec_b64 s[10:11], s[8:9]
	s_cbranch_execz .LBB337_1326
.LBB337_1325:
	v_lshlrev_b32_e32 v3, 24, v5
	v_and_b32_e32 v5, 0xffff, v5
	v_and_b32_e32 v7, 3, v5
	v_ffbh_u32_e32 v11, v7
	v_min_u32_e32 v11, 32, v11
	v_subrev_u32_e32 v14, 29, v11
	v_bfe_u32 v9, v5, 2, 5
	v_lshlrev_b32_e32 v5, v14, v5
	v_sub_u32_e32 v11, 30, v11
	v_and_b32_e32 v5, 3, v5
	v_cmp_eq_u32_e32 vcc, 0, v9
	v_and_b32_e32 v3, 0x80000000, v3
	s_nop 0
	v_cndmask_b32_e32 v9, v9, v11, vcc
	v_cndmask_b32_e32 v5, v7, v5, vcc
	v_mov_b32_e32 v7, 0x37800000
	v_lshlrev_b32_e32 v5, 21, v5
	v_lshl_add_u32 v7, v9, 23, v7
	v_or3_b32 v3, v3, v7, v5
	v_cvt_f16_f32_e32 v3, v3
.LBB337_1326:
	s_or_b64 exec, exec, s[10:11]
	s_mov_b64 s[8:9], 0
	s_branch .LBB337_1332
.LBB337_1327:
	s_mov_b64 s[8:9], -1
                                        ; implicit-def: $vgpr3
	s_branch .LBB337_1338
.LBB337_1328:
	s_or_saveexec_b64 s[12:13], s[12:13]
	v_mov_b32_e32 v3, 0x7e00
	s_xor_b64 exec, exec, s[12:13]
	s_cbranch_execz .LBB337_1312
.LBB337_1329:
	v_cmp_ne_u16_e32 vcc, 0, v5
	s_andn2_b64 s[10:11], s[10:11], exec
	s_and_b64 s[14:15], vcc, exec
	s_or_b64 s[10:11], s[10:11], s[14:15]
	v_mov_b32_e32 v3, v5
	s_or_b64 exec, exec, s[12:13]
	s_and_saveexec_b64 s[12:13], s[10:11]
	s_cbranch_execnz .LBB337_1313
	s_branch .LBB337_1314
.LBB337_1330:
	s_mov_b64 s[8:9], -1
                                        ; implicit-def: $vgpr3
	s_branch .LBB337_1335
.LBB337_1331:
	s_mov_b64 s[8:9], -1
                                        ; implicit-def: $vgpr3
.LBB337_1332:
	s_and_b64 vcc, exec, s[8:9]
	s_cbranch_vccz .LBB337_1334
; %bb.1333:
	global_load_ubyte v3, v[12:13], off
	s_mov_b32 s8, 0x7f800000
	s_waitcnt vmcnt(0)
	v_lshlrev_b32_e32 v3, 24, v3
	v_and_b32_e32 v5, 0x7f000000, v3
	v_ffbh_u32_e32 v7, v5
	v_min_u32_e32 v7, 32, v7
	v_sub_u32_e64 v7, v7, 4 clamp
	v_lshlrev_b32_e32 v11, v7, v5
	v_lshlrev_b32_e32 v7, 23, v7
	v_lshrrev_b32_e32 v11, 4, v11
	v_add_u32_e32 v9, 0x1000000, v5
	v_sub_u32_e32 v7, v11, v7
	v_ashrrev_i32_e32 v9, 8, v9
	v_add_u32_e32 v7, 0x3c000000, v7
	v_and_or_b32 v7, v9, s8, v7
	v_cmp_ne_u32_e32 vcc, 0, v5
	s_brev_b32 s8, 1
	s_nop 0
	v_cndmask_b32_e32 v5, 0, v7, vcc
	v_and_or_b32 v3, v3, s8, v5
	v_cvt_f16_f32_e32 v3, v3
.LBB337_1334:
	s_mov_b64 s[8:9], 0
.LBB337_1335:
	s_andn2_b64 vcc, exec, s[8:9]
	s_cbranch_vccnz .LBB337_1337
; %bb.1336:
	global_load_ubyte v3, v[12:13], off
	s_movk_i32 s8, 0x7f00
	s_brev_b32 s9, 16
	s_waitcnt vmcnt(0)
	v_lshlrev_b16_e32 v5, 8, v3
	v_lshlrev_b32_e32 v3, 25, v3
	v_lshrrev_b32_e32 v7, 4, v3
	v_and_or_b32 v9, v5, s8, 0.5
	v_or_b32_e32 v7, 0x70000000, v7
	v_add_f32_e32 v9, -0.5, v9
	v_mul_f32_e32 v7, 0x7800000, v7
	v_cmp_gt_u32_e32 vcc, s9, v3
	v_bfe_i32 v5, v5, 0, 16
	s_brev_b32 s8, 1
	v_cndmask_b32_e32 v3, v7, v9, vcc
	v_and_or_b32 v3, v5, s8, v3
	v_cvt_f16_f32_e32 v3, v3
.LBB337_1337:
	s_mov_b64 s[8:9], 0
	s_mov_b64 s[10:11], -1
.LBB337_1338:
	s_andn2_b64 vcc, exec, s[8:9]
	s_mov_b64 s[8:9], 0
	s_cbranch_vccnz .LBB337_1349
; %bb.1339:
	s_cmp_gt_i32 s17, 14
	s_cbranch_scc0 .LBB337_1342
; %bb.1340:
	s_cmp_eq_u32 s17, 15
	s_cbranch_scc0 .LBB337_1345
; %bb.1341:
	global_load_ushort v3, v[12:13], off
	s_mov_b64 s[0:1], 0
	s_mov_b64 s[10:11], -1
	s_waitcnt vmcnt(0)
	v_lshlrev_b32_e32 v3, 16, v3
	v_cvt_f16_f32_e32 v3, v3
	s_branch .LBB337_1346
.LBB337_1342:
	s_mov_b64 s[12:13], -1
                                        ; implicit-def: $vgpr3
	s_branch .LBB337_1347
.LBB337_1343:
	s_or_saveexec_b64 s[10:11], s[10:11]
	v_mov_b32_e32 v3, 0x7e00
	s_xor_b64 exec, exec, s[10:11]
	s_cbranch_execz .LBB337_1324
.LBB337_1344:
	v_cmp_ne_u16_e32 vcc, 0, v5
	s_andn2_b64 s[8:9], s[8:9], exec
	s_and_b64 s[12:13], vcc, exec
	s_or_b64 s[8:9], s[8:9], s[12:13]
	v_mov_b32_e32 v3, v5
	s_or_b64 exec, exec, s[10:11]
	s_and_saveexec_b64 s[10:11], s[8:9]
	s_cbranch_execnz .LBB337_1325
	s_branch .LBB337_1326
.LBB337_1345:
	s_mov_b64 s[0:1], -1
                                        ; implicit-def: $vgpr3
.LBB337_1346:
	s_mov_b64 s[12:13], 0
.LBB337_1347:
	s_and_b64 vcc, exec, s[12:13]
	s_cbranch_vccz .LBB337_1349
; %bb.1348:
	s_cmp_lg_u32 s17, 11
	s_mov_b64 s[8:9], -1
	s_cselect_b64 s[0:1], -1, 0
.LBB337_1349:
	s_and_b64 vcc, exec, s[0:1]
	s_cbranch_vccnz .LBB337_1412
; %bb.1350:
	s_andn2_b64 vcc, exec, s[8:9]
	s_cbranch_vccnz .LBB337_1352
.LBB337_1351:
	global_load_ubyte v3, v[12:13], off
	v_mov_b32_e32 v5, 0x3c00
	s_mov_b64 s[10:11], -1
	s_waitcnt vmcnt(0)
	v_cmp_ne_u16_e32 vcc, 0, v3
	s_nop 1
	v_cndmask_b32_e32 v3, 0, v5, vcc
.LBB337_1352:
	s_branch .LBB337_1279
.LBB337_1353:
	s_and_b32 s8, 0xffff, s16
	s_cmp_lt_i32 s8, 5
	s_cbranch_scc1 .LBB337_1358
; %bb.1354:
	s_cmp_lt_i32 s8, 8
	s_cbranch_scc1 .LBB337_1359
; %bb.1355:
	;; [unrolled: 3-line block ×3, first 2 shown]
	s_cmp_gt_i32 s8, 9
	s_cbranch_scc0 .LBB337_1361
; %bb.1357:
	global_load_dwordx2 v[14:15], v[12:13], off
	s_movk_i32 s0, 0x1ff
	s_movk_i32 s1, 0xffe
	v_mov_b32_e32 v3, 0x7c00
	v_mov_b32_e32 v5, 0x7e00
	s_movk_i32 s9, 0x40f
	s_mov_b32 s10, 0x8000
	s_waitcnt vmcnt(0)
	v_and_or_b32 v7, v15, s0, v14
	v_cmp_ne_u32_e32 vcc, 0, v7
	v_lshrrev_b32_e32 v9, 8, v15
	v_bfe_u32 v11, v15, 20, 11
	v_cndmask_b32_e64 v7, 0, 1, vcc
	v_lshrrev_b32_e32 v14, 16, v15
	v_sub_u32_e32 v15, 0x3f1, v11
	v_and_or_b32 v7, v9, s1, v7
	v_add_u32_e32 v11, 0xfffffc10, v11
	v_med3_i32 v9, v15, 0, 13
	v_or_b32_e32 v15, 0x1000, v7
	v_lshl_or_b32 v16, v11, 12, v7
	v_cmp_ne_u32_e32 vcc, 0, v7
	v_lshrrev_b32_e32 v7, v9, v15
	v_lshlrev_b32_e32 v9, v9, v7
	v_cndmask_b32_e32 v5, v3, v5, vcc
	v_cmp_ne_u32_e32 vcc, v9, v15
	s_mov_b64 s[0:1], 0
	s_nop 0
	v_cndmask_b32_e64 v9, 0, 1, vcc
	v_or_b32_e32 v7, v7, v9
	v_cmp_gt_i32_e32 vcc, 1, v11
	s_nop 1
	v_cndmask_b32_e32 v7, v16, v7, vcc
	v_and_b32_e32 v9, 7, v7
	v_cmp_lt_i32_e32 vcc, 5, v9
	v_lshrrev_b32_e32 v7, 2, v7
	s_nop 0
	v_cndmask_b32_e64 v15, 0, 1, vcc
	v_cmp_eq_u32_e32 vcc, 3, v9
	s_nop 1
	v_cndmask_b32_e64 v9, 0, 1, vcc
	v_or_b32_e32 v9, v9, v15
	v_add_u32_e32 v7, v7, v9
	v_cmp_gt_i32_e32 vcc, 31, v11
	s_nop 1
	v_cndmask_b32_e32 v3, v3, v7, vcc
	v_cmp_eq_u32_e32 vcc, s9, v11
	s_nop 1
	v_cndmask_b32_e32 v3, v3, v5, vcc
	v_and_or_b32 v3, v14, s10, v3
	s_branch .LBB337_1362
.LBB337_1358:
                                        ; implicit-def: $vgpr3
	s_branch .LBB337_1380
.LBB337_1359:
	s_mov_b64 s[0:1], -1
                                        ; implicit-def: $vgpr3
	s_branch .LBB337_1368
.LBB337_1360:
	s_mov_b64 s[0:1], -1
                                        ; implicit-def: $vgpr3
	s_branch .LBB337_1365
.LBB337_1361:
	s_mov_b64 s[0:1], -1
                                        ; implicit-def: $vgpr3
.LBB337_1362:
	s_andn2_b64 vcc, exec, s[0:1]
	s_cbranch_vccnz .LBB337_1364
; %bb.1363:
	global_load_dword v3, v[12:13], off
	s_waitcnt vmcnt(0)
	v_cvt_f16_f32_e32 v3, v3
.LBB337_1364:
	s_mov_b64 s[0:1], 0
.LBB337_1365:
	s_andn2_b64 vcc, exec, s[0:1]
	s_cbranch_vccnz .LBB337_1367
; %bb.1366:
	global_load_dword v3, v[12:13], off
.LBB337_1367:
	s_mov_b64 s[0:1], 0
.LBB337_1368:
	s_andn2_b64 vcc, exec, s[0:1]
	s_cbranch_vccnz .LBB337_1379
; %bb.1369:
	s_cmp_lt_i32 s8, 6
	s_cbranch_scc1 .LBB337_1372
; %bb.1370:
	s_cmp_gt_i32 s8, 6
	s_cbranch_scc0 .LBB337_1373
; %bb.1371:
	global_load_dwordx2 v[14:15], v[12:13], off
	s_movk_i32 s0, 0x1ff
	s_movk_i32 s1, 0xffe
	s_waitcnt vmcnt(1)
	v_mov_b32_e32 v3, 0x7c00
	v_mov_b32_e32 v5, 0x7e00
	s_movk_i32 s9, 0x40f
	s_mov_b32 s10, 0x8000
	s_waitcnt vmcnt(0)
	v_and_or_b32 v7, v15, s0, v14
	v_cmp_ne_u32_e32 vcc, 0, v7
	v_lshrrev_b32_e32 v9, 8, v15
	v_bfe_u32 v11, v15, 20, 11
	v_cndmask_b32_e64 v7, 0, 1, vcc
	v_lshrrev_b32_e32 v14, 16, v15
	v_sub_u32_e32 v15, 0x3f1, v11
	v_and_or_b32 v7, v9, s1, v7
	v_add_u32_e32 v11, 0xfffffc10, v11
	v_med3_i32 v9, v15, 0, 13
	v_or_b32_e32 v15, 0x1000, v7
	v_lshl_or_b32 v16, v11, 12, v7
	v_cmp_ne_u32_e32 vcc, 0, v7
	v_lshrrev_b32_e32 v7, v9, v15
	v_lshlrev_b32_e32 v9, v9, v7
	v_cndmask_b32_e32 v5, v3, v5, vcc
	v_cmp_ne_u32_e32 vcc, v9, v15
	s_mov_b64 s[0:1], 0
	s_nop 0
	v_cndmask_b32_e64 v9, 0, 1, vcc
	v_or_b32_e32 v7, v7, v9
	v_cmp_gt_i32_e32 vcc, 1, v11
	s_nop 1
	v_cndmask_b32_e32 v7, v16, v7, vcc
	v_and_b32_e32 v9, 7, v7
	v_cmp_lt_i32_e32 vcc, 5, v9
	v_lshrrev_b32_e32 v7, 2, v7
	s_nop 0
	v_cndmask_b32_e64 v15, 0, 1, vcc
	v_cmp_eq_u32_e32 vcc, 3, v9
	s_nop 1
	v_cndmask_b32_e64 v9, 0, 1, vcc
	v_or_b32_e32 v9, v9, v15
	v_add_u32_e32 v7, v7, v9
	v_cmp_gt_i32_e32 vcc, 31, v11
	s_nop 1
	v_cndmask_b32_e32 v3, v3, v7, vcc
	v_cmp_eq_u32_e32 vcc, s9, v11
	s_nop 1
	v_cndmask_b32_e32 v3, v3, v5, vcc
	v_and_or_b32 v3, v14, s10, v3
	s_branch .LBB337_1374
.LBB337_1372:
	s_mov_b64 s[0:1], -1
                                        ; implicit-def: $vgpr3
	s_branch .LBB337_1377
.LBB337_1373:
	s_mov_b64 s[0:1], -1
                                        ; implicit-def: $vgpr3
.LBB337_1374:
	s_andn2_b64 vcc, exec, s[0:1]
	s_cbranch_vccnz .LBB337_1376
; %bb.1375:
	global_load_dword v3, v[12:13], off
	s_waitcnt vmcnt(0)
	v_cvt_f16_f32_e32 v3, v3
.LBB337_1376:
	s_mov_b64 s[0:1], 0
.LBB337_1377:
	s_andn2_b64 vcc, exec, s[0:1]
	s_cbranch_vccnz .LBB337_1379
; %bb.1378:
	global_load_ushort v3, v[12:13], off
.LBB337_1379:
	s_cbranch_execnz .LBB337_1399
.LBB337_1380:
	s_cmp_lt_i32 s8, 2
	s_cbranch_scc1 .LBB337_1384
; %bb.1381:
	s_cmp_lt_i32 s8, 3
	s_cbranch_scc1 .LBB337_1385
; %bb.1382:
	s_cmp_gt_i32 s8, 3
	s_cbranch_scc0 .LBB337_1386
; %bb.1383:
	global_load_dwordx2 v[14:15], v[12:13], off
	s_mov_b64 s[0:1], 0
	s_waitcnt vmcnt(0)
	v_xor_b32_e32 v5, v14, v15
	v_ffbh_i32_e32 v3, v15
	v_ashrrev_i32_e32 v5, 31, v5
	v_add_u32_e32 v3, -1, v3
	v_add_u32_e32 v5, 32, v5
	v_min_u32_e32 v3, v3, v5
	v_lshlrev_b64 v[14:15], v3, v[14:15]
	v_min_u32_e32 v5, 1, v14
	v_or_b32_e32 v5, v15, v5
	v_cvt_f32_i32_e32 v5, v5
	v_sub_u32_e32 v3, 32, v3
	v_ldexp_f32 v3, v5, v3
	v_cvt_f16_f32_e32 v3, v3
	s_branch .LBB337_1387
.LBB337_1384:
	s_mov_b64 s[0:1], -1
                                        ; implicit-def: $vgpr3
	s_branch .LBB337_1393
.LBB337_1385:
	s_mov_b64 s[0:1], -1
                                        ; implicit-def: $vgpr3
	s_branch .LBB337_1390
.LBB337_1386:
	s_mov_b64 s[0:1], -1
                                        ; implicit-def: $vgpr3
.LBB337_1387:
	s_andn2_b64 vcc, exec, s[0:1]
	s_cbranch_vccnz .LBB337_1389
; %bb.1388:
	global_load_dword v3, v[12:13], off
	s_waitcnt vmcnt(0)
	v_cvt_f32_i32_e32 v3, v3
	v_cvt_f16_f32_e32 v3, v3
.LBB337_1389:
	s_mov_b64 s[0:1], 0
.LBB337_1390:
	s_andn2_b64 vcc, exec, s[0:1]
	s_cbranch_vccnz .LBB337_1392
; %bb.1391:
	global_load_ushort v3, v[12:13], off
	s_waitcnt vmcnt(0)
	v_cvt_f16_i16_e32 v3, v3
.LBB337_1392:
	s_mov_b64 s[0:1], 0
.LBB337_1393:
	s_andn2_b64 vcc, exec, s[0:1]
	s_cbranch_vccnz .LBB337_1399
; %bb.1394:
	s_cmp_gt_i32 s8, 0
	s_cbranch_scc0 .LBB337_1396
; %bb.1395:
	global_load_sbyte v3, v[12:13], off
	s_mov_b64 s[0:1], 0
	s_waitcnt vmcnt(0)
	v_cvt_f16_i16_e32 v3, v3
	s_branch .LBB337_1397
.LBB337_1396:
	s_mov_b64 s[0:1], -1
                                        ; implicit-def: $vgpr3
.LBB337_1397:
	s_andn2_b64 vcc, exec, s[0:1]
	s_cbranch_vccnz .LBB337_1399
; %bb.1398:
	global_load_ubyte v3, v[12:13], off
	s_waitcnt vmcnt(0)
	v_cvt_f16_u16_e32 v3, v3
.LBB337_1399:
.LBB337_1400:
	v_mov_b32_e32 v11, 0
	s_cmp_lt_i32 s16, 11
	v_lshl_add_u64 v[10:11], s[6:7], 0, v[10:11]
	s_cbranch_scc1 .LBB337_1407
; %bb.1401:
	s_and_b32 s17, 0xffff, s16
	s_cmp_gt_i32 s17, 25
	s_mov_b64 s[8:9], 0
	s_cbranch_scc0 .LBB337_1409
; %bb.1402:
	s_cmp_gt_i32 s17, 28
	s_cbranch_scc0 .LBB337_1410
; %bb.1403:
	s_cmp_gt_i32 s17, 43
	;; [unrolled: 3-line block ×3, first 2 shown]
	s_cbranch_scc0 .LBB337_1413
; %bb.1405:
	s_cmp_eq_u32 s17, 46
	s_mov_b64 s[12:13], 0
	s_cbranch_scc0 .LBB337_1414
; %bb.1406:
	global_load_dword v5, v[10:11], off
	s_mov_b64 s[0:1], 0
	s_mov_b64 s[10:11], -1
	s_waitcnt vmcnt(0)
	v_lshlrev_b32_e32 v5, 16, v5
	v_cvt_f16_f32_e32 v12, v5
	s_branch .LBB337_1415
.LBB337_1407:
	s_mov_b64 s[10:11], 0
                                        ; implicit-def: $vgpr12
	s_cbranch_execnz .LBB337_1481
.LBB337_1408:
	s_andn2_b64 vcc, exec, s[10:11]
	s_cbranch_vccnz .LBB337_2092
	s_branch .LBB337_1529
.LBB337_1409:
	s_mov_b64 s[12:13], -1
	s_mov_b64 s[10:11], 0
	s_mov_b64 s[0:1], 0
                                        ; implicit-def: $vgpr12
	s_branch .LBB337_1444
.LBB337_1410:
	s_mov_b64 s[12:13], -1
	s_mov_b64 s[10:11], 0
	s_mov_b64 s[0:1], 0
                                        ; implicit-def: $vgpr12
	s_branch .LBB337_1425
.LBB337_1411:
	s_mov_b64 s[12:13], -1
	s_mov_b64 s[10:11], 0
	s_mov_b64 s[0:1], 0
                                        ; implicit-def: $vgpr12
	s_branch .LBB337_1420
.LBB337_1412:
	s_trap 2
	s_or_b64 s[2:3], s[2:3], exec
	s_cbranch_execz .LBB337_1351
	s_branch .LBB337_1352
.LBB337_1413:
	s_mov_b64 s[12:13], -1
	s_mov_b64 s[10:11], 0
	s_mov_b64 s[0:1], 0
                                        ; implicit-def: $vgpr12
	s_branch .LBB337_1415
.LBB337_1414:
	s_mov_b64 s[0:1], -1
                                        ; implicit-def: $vgpr12
	s_mov_b64 s[10:11], 0
.LBB337_1415:
	s_and_b64 vcc, exec, s[12:13]
	s_cbranch_vccz .LBB337_1419
; %bb.1416:
	s_cmp_eq_u32 s17, 44
	s_cbranch_scc0 .LBB337_1418
; %bb.1417:
	global_load_ubyte v5, v[10:11], off
	s_movk_i32 s10, 0xff
	v_mov_b32_e32 v9, 0x7e00
	s_mov_b64 s[0:1], 0
	s_waitcnt vmcnt(0)
	v_lshlrev_b32_e32 v7, 23, v5
	v_cvt_f16_f32_e32 v7, v7
	v_cmp_ne_u32_e32 vcc, s10, v5
	s_mov_b64 s[10:11], -1
	s_nop 0
	v_cndmask_b32_e32 v7, v9, v7, vcc
	v_cmp_ne_u32_e32 vcc, 0, v5
	s_nop 1
	v_cndmask_b32_e32 v12, 0, v7, vcc
	s_branch .LBB337_1419
.LBB337_1418:
	s_mov_b64 s[0:1], -1
                                        ; implicit-def: $vgpr12
.LBB337_1419:
	s_mov_b64 s[12:13], 0
.LBB337_1420:
	s_and_b64 vcc, exec, s[12:13]
	s_cbranch_vccz .LBB337_1424
; %bb.1421:
	s_cmp_eq_u32 s17, 29
	s_cbranch_scc0 .LBB337_1423
; %bb.1422:
	global_load_dwordx2 v[12:13], v[10:11], off
	s_mov_b64 s[0:1], 0
	s_mov_b64 s[10:11], -1
	s_mov_b64 s[12:13], 0
	s_waitcnt vmcnt(0)
	v_ffbh_u32_e32 v5, v13
	v_min_u32_e32 v5, 32, v5
	v_lshlrev_b64 v[12:13], v5, v[12:13]
	v_min_u32_e32 v7, 1, v12
	v_or_b32_e32 v7, v13, v7
	v_cvt_f32_u32_e32 v7, v7
	v_sub_u32_e32 v5, 32, v5
	v_ldexp_f32 v5, v7, v5
	v_cvt_f16_f32_e32 v12, v5
	s_branch .LBB337_1425
.LBB337_1423:
	s_mov_b64 s[0:1], -1
                                        ; implicit-def: $vgpr12
.LBB337_1424:
	s_mov_b64 s[12:13], 0
.LBB337_1425:
	s_and_b64 vcc, exec, s[12:13]
	s_cbranch_vccz .LBB337_1443
; %bb.1426:
	s_cmp_lt_i32 s17, 27
	s_cbranch_scc1 .LBB337_1429
; %bb.1427:
	s_cmp_gt_i32 s17, 27
	s_cbranch_scc0 .LBB337_1430
; %bb.1428:
	global_load_dword v5, v[10:11], off
	s_mov_b64 s[10:11], 0
	s_waitcnt vmcnt(0)
	v_cvt_f32_u32_e32 v5, v5
	v_cvt_f16_f32_e32 v12, v5
	s_branch .LBB337_1431
.LBB337_1429:
	s_mov_b64 s[10:11], -1
                                        ; implicit-def: $vgpr12
	s_branch .LBB337_1434
.LBB337_1430:
	s_mov_b64 s[10:11], -1
                                        ; implicit-def: $vgpr12
.LBB337_1431:
	s_andn2_b64 vcc, exec, s[10:11]
	s_cbranch_vccnz .LBB337_1433
; %bb.1432:
	global_load_ushort v5, v[10:11], off
	s_waitcnt vmcnt(0)
	v_cvt_f16_u16_e32 v12, v5
.LBB337_1433:
	s_mov_b64 s[10:11], 0
.LBB337_1434:
	s_andn2_b64 vcc, exec, s[10:11]
	s_cbranch_vccnz .LBB337_1442
; %bb.1435:
	global_load_ubyte v5, v[10:11], off
	s_movk_i32 s10, 0x7f
	s_waitcnt vmcnt(0)
	v_cmp_lt_i16_e32 vcc, s10, v5
	s_mov_b64 s[10:11], 0
	s_and_saveexec_b64 s[12:13], vcc
	s_xor_b64 s[12:13], exec, s[12:13]
	s_cbranch_execz .LBB337_1456
; %bb.1436:
	s_movk_i32 s10, 0x80
	v_cmp_eq_u16_e32 vcc, s10, v5
	s_mov_b64 s[10:11], -1
	s_and_saveexec_b64 s[14:15], vcc
; %bb.1437:
	s_xor_b64 s[10:11], exec, -1
; %bb.1438:
	s_or_b64 exec, exec, s[14:15]
	s_and_b64 s[10:11], s[10:11], exec
	s_or_saveexec_b64 s[12:13], s[12:13]
	v_mov_b32_e32 v12, 0x7e00
	s_xor_b64 exec, exec, s[12:13]
	s_cbranch_execnz .LBB337_1457
.LBB337_1439:
	s_or_b64 exec, exec, s[12:13]
	s_and_saveexec_b64 s[12:13], s[10:11]
	s_cbranch_execz .LBB337_1441
.LBB337_1440:
	v_lshlrev_b32_e32 v7, 24, v5
	v_and_b32_e32 v5, 0xffff, v5
	v_and_b32_e32 v9, 7, v5
	v_ffbh_u32_e32 v13, v9
	v_min_u32_e32 v13, 32, v13
	v_subrev_u32_e32 v14, 28, v13
	v_bfe_u32 v12, v5, 3, 4
	v_lshlrev_b32_e32 v5, v14, v5
	v_sub_u32_e32 v13, 29, v13
	v_and_b32_e32 v5, 7, v5
	v_cmp_eq_u32_e32 vcc, 0, v12
	v_and_b32_e32 v7, 0x80000000, v7
	s_nop 0
	v_cndmask_b32_e32 v12, v12, v13, vcc
	v_cndmask_b32_e32 v5, v9, v5, vcc
	v_mov_b32_e32 v9, 0x3b800000
	v_lshlrev_b32_e32 v5, 20, v5
	v_lshl_add_u32 v9, v12, 23, v9
	v_or3_b32 v5, v7, v9, v5
	v_cvt_f16_f32_e32 v12, v5
.LBB337_1441:
	s_or_b64 exec, exec, s[12:13]
.LBB337_1442:
	s_mov_b64 s[10:11], -1
.LBB337_1443:
	s_mov_b64 s[12:13], 0
.LBB337_1444:
	s_and_b64 vcc, exec, s[12:13]
	s_cbranch_vccz .LBB337_1477
; %bb.1445:
	s_cmp_gt_i32 s17, 22
	s_cbranch_scc0 .LBB337_1455
; %bb.1446:
	s_cmp_lt_i32 s17, 24
	s_cbranch_scc1 .LBB337_1458
; %bb.1447:
	s_cmp_gt_i32 s17, 24
	s_cbranch_scc0 .LBB337_1459
; %bb.1448:
	global_load_ubyte v5, v[10:11], off
	s_movk_i32 s8, 0x7f
	s_waitcnt vmcnt(0)
	v_cmp_lt_i16_e32 vcc, s8, v5
	s_mov_b64 s[8:9], 0
	s_and_saveexec_b64 s[10:11], vcc
	s_xor_b64 s[10:11], exec, s[10:11]
	s_cbranch_execz .LBB337_1471
; %bb.1449:
	s_movk_i32 s8, 0x80
	v_cmp_eq_u16_e32 vcc, s8, v5
	s_mov_b64 s[8:9], -1
	s_and_saveexec_b64 s[12:13], vcc
; %bb.1450:
	s_xor_b64 s[8:9], exec, -1
; %bb.1451:
	s_or_b64 exec, exec, s[12:13]
	s_and_b64 s[8:9], s[8:9], exec
	s_or_saveexec_b64 s[10:11], s[10:11]
	v_mov_b32_e32 v12, 0x7e00
	s_xor_b64 exec, exec, s[10:11]
	s_cbranch_execnz .LBB337_1472
.LBB337_1452:
	s_or_b64 exec, exec, s[10:11]
	s_and_saveexec_b64 s[10:11], s[8:9]
	s_cbranch_execz .LBB337_1454
.LBB337_1453:
	v_lshlrev_b32_e32 v7, 24, v5
	v_and_b32_e32 v5, 0xffff, v5
	v_and_b32_e32 v9, 3, v5
	v_ffbh_u32_e32 v13, v9
	v_min_u32_e32 v13, 32, v13
	v_subrev_u32_e32 v14, 29, v13
	v_bfe_u32 v12, v5, 2, 5
	v_lshlrev_b32_e32 v5, v14, v5
	v_sub_u32_e32 v13, 30, v13
	v_and_b32_e32 v5, 3, v5
	v_cmp_eq_u32_e32 vcc, 0, v12
	v_and_b32_e32 v7, 0x80000000, v7
	s_nop 0
	v_cndmask_b32_e32 v12, v12, v13, vcc
	v_cndmask_b32_e32 v5, v9, v5, vcc
	v_mov_b32_e32 v9, 0x37800000
	v_lshlrev_b32_e32 v5, 21, v5
	v_lshl_add_u32 v9, v12, 23, v9
	v_or3_b32 v5, v7, v9, v5
	v_cvt_f16_f32_e32 v12, v5
.LBB337_1454:
	s_or_b64 exec, exec, s[10:11]
	s_mov_b64 s[8:9], 0
	s_branch .LBB337_1460
.LBB337_1455:
	s_mov_b64 s[8:9], -1
                                        ; implicit-def: $vgpr12
	s_branch .LBB337_1466
.LBB337_1456:
	s_or_saveexec_b64 s[12:13], s[12:13]
	v_mov_b32_e32 v12, 0x7e00
	s_xor_b64 exec, exec, s[12:13]
	s_cbranch_execz .LBB337_1439
.LBB337_1457:
	v_cmp_ne_u16_e32 vcc, 0, v5
	s_andn2_b64 s[10:11], s[10:11], exec
	s_and_b64 s[14:15], vcc, exec
	s_or_b64 s[10:11], s[10:11], s[14:15]
	v_mov_b32_e32 v12, v5
	s_or_b64 exec, exec, s[12:13]
	s_and_saveexec_b64 s[12:13], s[10:11]
	s_cbranch_execnz .LBB337_1440
	s_branch .LBB337_1441
.LBB337_1458:
	s_mov_b64 s[8:9], -1
                                        ; implicit-def: $vgpr12
	s_branch .LBB337_1463
.LBB337_1459:
	s_mov_b64 s[8:9], -1
                                        ; implicit-def: $vgpr12
.LBB337_1460:
	s_and_b64 vcc, exec, s[8:9]
	s_cbranch_vccz .LBB337_1462
; %bb.1461:
	global_load_ubyte v5, v[10:11], off
	s_mov_b32 s8, 0x7f800000
	s_waitcnt vmcnt(0)
	v_lshlrev_b32_e32 v5, 24, v5
	v_and_b32_e32 v7, 0x7f000000, v5
	v_ffbh_u32_e32 v9, v7
	v_min_u32_e32 v9, 32, v9
	v_sub_u32_e64 v9, v9, 4 clamp
	v_lshlrev_b32_e32 v13, v9, v7
	v_lshlrev_b32_e32 v9, 23, v9
	v_lshrrev_b32_e32 v13, 4, v13
	v_add_u32_e32 v12, 0x1000000, v7
	v_sub_u32_e32 v9, v13, v9
	v_ashrrev_i32_e32 v12, 8, v12
	v_add_u32_e32 v9, 0x3c000000, v9
	v_and_or_b32 v9, v12, s8, v9
	v_cmp_ne_u32_e32 vcc, 0, v7
	s_brev_b32 s8, 1
	s_nop 0
	v_cndmask_b32_e32 v7, 0, v9, vcc
	v_and_or_b32 v5, v5, s8, v7
	v_cvt_f16_f32_e32 v12, v5
.LBB337_1462:
	s_mov_b64 s[8:9], 0
.LBB337_1463:
	s_andn2_b64 vcc, exec, s[8:9]
	s_cbranch_vccnz .LBB337_1465
; %bb.1464:
	global_load_ubyte v5, v[10:11], off
	s_movk_i32 s8, 0x7f00
	s_brev_b32 s9, 16
	s_waitcnt vmcnt(0)
	v_lshlrev_b16_e32 v7, 8, v5
	v_lshlrev_b32_e32 v5, 25, v5
	v_lshrrev_b32_e32 v9, 4, v5
	v_and_or_b32 v12, v7, s8, 0.5
	v_or_b32_e32 v9, 0x70000000, v9
	v_add_f32_e32 v12, -0.5, v12
	v_mul_f32_e32 v9, 0x7800000, v9
	v_cmp_gt_u32_e32 vcc, s9, v5
	v_bfe_i32 v7, v7, 0, 16
	s_brev_b32 s8, 1
	v_cndmask_b32_e32 v5, v9, v12, vcc
	v_and_or_b32 v5, v7, s8, v5
	v_cvt_f16_f32_e32 v12, v5
.LBB337_1465:
	s_mov_b64 s[8:9], 0
	s_mov_b64 s[10:11], -1
.LBB337_1466:
	s_andn2_b64 vcc, exec, s[8:9]
	s_mov_b64 s[8:9], 0
	s_cbranch_vccnz .LBB337_1477
; %bb.1467:
	s_cmp_gt_i32 s17, 14
	s_cbranch_scc0 .LBB337_1470
; %bb.1468:
	s_cmp_eq_u32 s17, 15
	s_cbranch_scc0 .LBB337_1473
; %bb.1469:
	global_load_ushort v5, v[10:11], off
	s_mov_b64 s[0:1], 0
	s_mov_b64 s[10:11], -1
	s_waitcnt vmcnt(0)
	v_lshlrev_b32_e32 v5, 16, v5
	v_cvt_f16_f32_e32 v12, v5
	s_branch .LBB337_1474
.LBB337_1470:
	s_mov_b64 s[12:13], -1
                                        ; implicit-def: $vgpr12
	s_branch .LBB337_1475
.LBB337_1471:
	s_or_saveexec_b64 s[10:11], s[10:11]
	v_mov_b32_e32 v12, 0x7e00
	s_xor_b64 exec, exec, s[10:11]
	s_cbranch_execz .LBB337_1452
.LBB337_1472:
	v_cmp_ne_u16_e32 vcc, 0, v5
	s_andn2_b64 s[8:9], s[8:9], exec
	s_and_b64 s[12:13], vcc, exec
	s_or_b64 s[8:9], s[8:9], s[12:13]
	v_mov_b32_e32 v12, v5
	s_or_b64 exec, exec, s[10:11]
	s_and_saveexec_b64 s[10:11], s[8:9]
	s_cbranch_execnz .LBB337_1453
	s_branch .LBB337_1454
.LBB337_1473:
	s_mov_b64 s[0:1], -1
                                        ; implicit-def: $vgpr12
.LBB337_1474:
	s_mov_b64 s[12:13], 0
.LBB337_1475:
	s_and_b64 vcc, exec, s[12:13]
	s_cbranch_vccz .LBB337_1477
; %bb.1476:
	s_cmp_lg_u32 s17, 11
	s_mov_b64 s[8:9], -1
	s_cselect_b64 s[0:1], -1, 0
.LBB337_1477:
	s_and_b64 vcc, exec, s[0:1]
	s_cbranch_vccnz .LBB337_1540
; %bb.1478:
	s_andn2_b64 vcc, exec, s[8:9]
	s_cbranch_vccnz .LBB337_1480
.LBB337_1479:
	global_load_ubyte v5, v[10:11], off
	v_mov_b32_e32 v7, 0x3c00
	s_mov_b64 s[10:11], -1
	s_waitcnt vmcnt(0)
	v_cmp_ne_u16_e32 vcc, 0, v5
	s_nop 1
	v_cndmask_b32_e32 v12, 0, v7, vcc
.LBB337_1480:
	s_branch .LBB337_1408
.LBB337_1481:
	s_and_b32 s8, 0xffff, s16
	s_cmp_lt_i32 s8, 5
	s_cbranch_scc1 .LBB337_1486
; %bb.1482:
	s_cmp_lt_i32 s8, 8
	s_cbranch_scc1 .LBB337_1487
; %bb.1483:
	;; [unrolled: 3-line block ×3, first 2 shown]
	s_cmp_gt_i32 s8, 9
	s_cbranch_scc0 .LBB337_1489
; %bb.1485:
	global_load_dwordx2 v[12:13], v[10:11], off
	s_movk_i32 s0, 0x1ff
	s_movk_i32 s1, 0xffe
	v_mov_b32_e32 v5, 0x7c00
	v_mov_b32_e32 v7, 0x7e00
	s_movk_i32 s9, 0x40f
	s_mov_b32 s10, 0x8000
	s_waitcnt vmcnt(0)
	v_and_or_b32 v9, v13, s0, v12
	v_cmp_ne_u32_e32 vcc, 0, v9
	v_lshrrev_b32_e32 v12, 8, v13
	v_bfe_u32 v14, v13, 20, 11
	v_cndmask_b32_e64 v9, 0, 1, vcc
	v_sub_u32_e32 v15, 0x3f1, v14
	v_and_or_b32 v9, v12, s1, v9
	v_add_u32_e32 v14, 0xfffffc10, v14
	v_med3_i32 v12, v15, 0, 13
	v_or_b32_e32 v15, 0x1000, v9
	v_lshl_or_b32 v16, v14, 12, v9
	v_cmp_ne_u32_e32 vcc, 0, v9
	v_lshrrev_b32_e32 v9, v12, v15
	v_lshlrev_b32_e32 v12, v12, v9
	v_cndmask_b32_e32 v7, v5, v7, vcc
	v_cmp_ne_u32_e32 vcc, v12, v15
	v_lshrrev_b32_e32 v13, 16, v13
	s_mov_b64 s[0:1], 0
	v_cndmask_b32_e64 v12, 0, 1, vcc
	v_or_b32_e32 v9, v9, v12
	v_cmp_gt_i32_e32 vcc, 1, v14
	s_nop 1
	v_cndmask_b32_e32 v9, v16, v9, vcc
	v_and_b32_e32 v12, 7, v9
	v_cmp_lt_i32_e32 vcc, 5, v12
	v_lshrrev_b32_e32 v9, 2, v9
	s_nop 0
	v_cndmask_b32_e64 v15, 0, 1, vcc
	v_cmp_eq_u32_e32 vcc, 3, v12
	s_nop 1
	v_cndmask_b32_e64 v12, 0, 1, vcc
	v_or_b32_e32 v12, v12, v15
	v_add_u32_e32 v9, v9, v12
	v_cmp_gt_i32_e32 vcc, 31, v14
	s_nop 1
	v_cndmask_b32_e32 v5, v5, v9, vcc
	v_cmp_eq_u32_e32 vcc, s9, v14
	s_nop 1
	v_cndmask_b32_e32 v5, v5, v7, vcc
	v_and_or_b32 v12, v13, s10, v5
	s_branch .LBB337_1490
.LBB337_1486:
	s_mov_b64 s[0:1], -1
                                        ; implicit-def: $vgpr12
	s_branch .LBB337_1508
.LBB337_1487:
	s_mov_b64 s[0:1], -1
                                        ; implicit-def: $vgpr12
	s_branch .LBB337_1496
.LBB337_1488:
	s_mov_b64 s[0:1], -1
                                        ; implicit-def: $vgpr12
	s_branch .LBB337_1493
.LBB337_1489:
	s_mov_b64 s[0:1], -1
                                        ; implicit-def: $vgpr12
.LBB337_1490:
	s_andn2_b64 vcc, exec, s[0:1]
	s_cbranch_vccnz .LBB337_1492
; %bb.1491:
	global_load_dword v5, v[10:11], off
	s_waitcnt vmcnt(0)
	v_cvt_f16_f32_e32 v12, v5
.LBB337_1492:
	s_mov_b64 s[0:1], 0
.LBB337_1493:
	s_andn2_b64 vcc, exec, s[0:1]
	s_cbranch_vccnz .LBB337_1495
; %bb.1494:
	global_load_dword v12, v[10:11], off
.LBB337_1495:
	s_mov_b64 s[0:1], 0
.LBB337_1496:
	s_andn2_b64 vcc, exec, s[0:1]
	s_cbranch_vccnz .LBB337_1507
; %bb.1497:
	s_cmp_lt_i32 s8, 6
	s_cbranch_scc1 .LBB337_1500
; %bb.1498:
	s_cmp_gt_i32 s8, 6
	s_cbranch_scc0 .LBB337_1501
; %bb.1499:
	global_load_dwordx2 v[12:13], v[10:11], off
	s_movk_i32 s0, 0x1ff
	s_movk_i32 s1, 0xffe
	v_mov_b32_e32 v5, 0x7c00
	v_mov_b32_e32 v7, 0x7e00
	s_movk_i32 s9, 0x40f
	s_mov_b32 s10, 0x8000
	s_waitcnt vmcnt(0)
	v_and_or_b32 v9, v13, s0, v12
	v_cmp_ne_u32_e32 vcc, 0, v9
	v_lshrrev_b32_e32 v12, 8, v13
	v_bfe_u32 v14, v13, 20, 11
	v_cndmask_b32_e64 v9, 0, 1, vcc
	v_sub_u32_e32 v15, 0x3f1, v14
	v_and_or_b32 v9, v12, s1, v9
	v_add_u32_e32 v14, 0xfffffc10, v14
	v_med3_i32 v12, v15, 0, 13
	v_or_b32_e32 v15, 0x1000, v9
	v_lshl_or_b32 v16, v14, 12, v9
	v_cmp_ne_u32_e32 vcc, 0, v9
	v_lshrrev_b32_e32 v9, v12, v15
	v_lshlrev_b32_e32 v12, v12, v9
	v_cndmask_b32_e32 v7, v5, v7, vcc
	v_cmp_ne_u32_e32 vcc, v12, v15
	v_lshrrev_b32_e32 v13, 16, v13
	s_mov_b64 s[0:1], 0
	v_cndmask_b32_e64 v12, 0, 1, vcc
	v_or_b32_e32 v9, v9, v12
	v_cmp_gt_i32_e32 vcc, 1, v14
	s_nop 1
	v_cndmask_b32_e32 v9, v16, v9, vcc
	v_and_b32_e32 v12, 7, v9
	v_cmp_lt_i32_e32 vcc, 5, v12
	v_lshrrev_b32_e32 v9, 2, v9
	s_nop 0
	v_cndmask_b32_e64 v15, 0, 1, vcc
	v_cmp_eq_u32_e32 vcc, 3, v12
	s_nop 1
	v_cndmask_b32_e64 v12, 0, 1, vcc
	v_or_b32_e32 v12, v12, v15
	v_add_u32_e32 v9, v9, v12
	v_cmp_gt_i32_e32 vcc, 31, v14
	s_nop 1
	v_cndmask_b32_e32 v5, v5, v9, vcc
	v_cmp_eq_u32_e32 vcc, s9, v14
	s_nop 1
	v_cndmask_b32_e32 v5, v5, v7, vcc
	v_and_or_b32 v12, v13, s10, v5
	s_branch .LBB337_1502
.LBB337_1500:
	s_mov_b64 s[0:1], -1
                                        ; implicit-def: $vgpr12
	s_branch .LBB337_1505
.LBB337_1501:
	s_mov_b64 s[0:1], -1
                                        ; implicit-def: $vgpr12
.LBB337_1502:
	s_andn2_b64 vcc, exec, s[0:1]
	s_cbranch_vccnz .LBB337_1504
; %bb.1503:
	global_load_dword v5, v[10:11], off
	s_waitcnt vmcnt(0)
	v_cvt_f16_f32_e32 v12, v5
.LBB337_1504:
	s_mov_b64 s[0:1], 0
.LBB337_1505:
	s_andn2_b64 vcc, exec, s[0:1]
	s_cbranch_vccnz .LBB337_1507
; %bb.1506:
	global_load_ushort v12, v[10:11], off
.LBB337_1507:
	s_mov_b64 s[0:1], 0
.LBB337_1508:
	s_andn2_b64 vcc, exec, s[0:1]
	s_cbranch_vccnz .LBB337_1528
; %bb.1509:
	s_cmp_lt_i32 s8, 2
	s_cbranch_scc1 .LBB337_1513
; %bb.1510:
	s_cmp_lt_i32 s8, 3
	s_cbranch_scc1 .LBB337_1514
; %bb.1511:
	s_cmp_gt_i32 s8, 3
	s_cbranch_scc0 .LBB337_1515
; %bb.1512:
	global_load_dwordx2 v[12:13], v[10:11], off
	s_mov_b64 s[0:1], 0
	s_waitcnt vmcnt(0)
	v_xor_b32_e32 v7, v12, v13
	v_ffbh_i32_e32 v5, v13
	v_ashrrev_i32_e32 v7, 31, v7
	v_add_u32_e32 v5, -1, v5
	v_add_u32_e32 v7, 32, v7
	v_min_u32_e32 v5, v5, v7
	v_lshlrev_b64 v[12:13], v5, v[12:13]
	v_min_u32_e32 v7, 1, v12
	v_or_b32_e32 v7, v13, v7
	v_cvt_f32_i32_e32 v7, v7
	v_sub_u32_e32 v5, 32, v5
	v_ldexp_f32 v5, v7, v5
	v_cvt_f16_f32_e32 v12, v5
	s_branch .LBB337_1516
.LBB337_1513:
	s_mov_b64 s[0:1], -1
                                        ; implicit-def: $vgpr12
	s_branch .LBB337_1522
.LBB337_1514:
	s_mov_b64 s[0:1], -1
                                        ; implicit-def: $vgpr12
	s_branch .LBB337_1519
.LBB337_1515:
	s_mov_b64 s[0:1], -1
                                        ; implicit-def: $vgpr12
.LBB337_1516:
	s_andn2_b64 vcc, exec, s[0:1]
	s_cbranch_vccnz .LBB337_1518
; %bb.1517:
	global_load_dword v5, v[10:11], off
	s_waitcnt vmcnt(0)
	v_cvt_f32_i32_e32 v5, v5
	v_cvt_f16_f32_e32 v12, v5
.LBB337_1518:
	s_mov_b64 s[0:1], 0
.LBB337_1519:
	s_andn2_b64 vcc, exec, s[0:1]
	s_cbranch_vccnz .LBB337_1521
; %bb.1520:
	global_load_ushort v5, v[10:11], off
	s_waitcnt vmcnt(0)
	v_cvt_f16_i16_e32 v12, v5
.LBB337_1521:
	s_mov_b64 s[0:1], 0
.LBB337_1522:
	s_andn2_b64 vcc, exec, s[0:1]
	s_cbranch_vccnz .LBB337_1528
; %bb.1523:
	s_cmp_gt_i32 s8, 0
	s_cbranch_scc0 .LBB337_1525
; %bb.1524:
	global_load_sbyte v5, v[10:11], off
	s_mov_b64 s[0:1], 0
	s_waitcnt vmcnt(0)
	v_cvt_f16_i16_e32 v12, v5
	s_branch .LBB337_1526
.LBB337_1525:
	s_mov_b64 s[0:1], -1
                                        ; implicit-def: $vgpr12
.LBB337_1526:
	s_andn2_b64 vcc, exec, s[0:1]
	s_cbranch_vccnz .LBB337_1528
; %bb.1527:
	global_load_ubyte v5, v[10:11], off
	s_waitcnt vmcnt(0)
	v_cvt_f16_u16_e32 v12, v5
.LBB337_1528:
.LBB337_1529:
	v_mov_b32_e32 v9, 0
	s_cmp_lt_i32 s16, 11
	v_lshl_add_u64 v[8:9], s[6:7], 0, v[8:9]
	s_cbranch_scc1 .LBB337_1536
; %bb.1530:
	s_and_b32 s14, 0xffff, s16
	s_cmp_gt_i32 s14, 25
	s_mov_b64 s[6:7], 0
	s_cbranch_scc0 .LBB337_1537
; %bb.1531:
	s_cmp_gt_i32 s14, 28
	s_cbranch_scc0 .LBB337_1538
; %bb.1532:
	s_cmp_gt_i32 s14, 43
	;; [unrolled: 3-line block ×3, first 2 shown]
	s_cbranch_scc0 .LBB337_1541
; %bb.1534:
	s_cmp_eq_u32 s14, 46
	s_mov_b64 s[10:11], 0
	s_cbranch_scc0 .LBB337_1542
; %bb.1535:
	global_load_dword v5, v[8:9], off
	s_mov_b64 s[0:1], 0
	s_mov_b64 s[8:9], -1
	s_waitcnt vmcnt(0)
	v_lshlrev_b32_e32 v5, 16, v5
	v_cvt_f16_f32_e32 v10, v5
	s_branch .LBB337_1543
.LBB337_1536:
	s_mov_b64 s[0:1], -1
	s_mov_b64 s[8:9], 0
                                        ; implicit-def: $vgpr10
	s_branch .LBB337_1609
.LBB337_1537:
	s_mov_b64 s[10:11], -1
	s_mov_b64 s[8:9], 0
	s_mov_b64 s[0:1], 0
                                        ; implicit-def: $vgpr10
	s_branch .LBB337_1572
.LBB337_1538:
	s_mov_b64 s[10:11], -1
	s_mov_b64 s[8:9], 0
	s_mov_b64 s[0:1], 0
                                        ; implicit-def: $vgpr10
	s_branch .LBB337_1553
.LBB337_1539:
	s_mov_b64 s[10:11], -1
	s_mov_b64 s[8:9], 0
	s_mov_b64 s[0:1], 0
                                        ; implicit-def: $vgpr10
	s_branch .LBB337_1548
.LBB337_1540:
	s_trap 2
	s_or_b64 s[2:3], s[2:3], exec
	s_cbranch_execz .LBB337_1479
	s_branch .LBB337_1480
.LBB337_1541:
	s_mov_b64 s[10:11], -1
	s_mov_b64 s[8:9], 0
	s_mov_b64 s[0:1], 0
                                        ; implicit-def: $vgpr10
	s_branch .LBB337_1543
.LBB337_1542:
	s_mov_b64 s[0:1], -1
                                        ; implicit-def: $vgpr10
	s_mov_b64 s[8:9], 0
.LBB337_1543:
	s_and_b64 vcc, exec, s[10:11]
	s_cbranch_vccz .LBB337_1547
; %bb.1544:
	s_cmp_eq_u32 s14, 44
	s_cbranch_scc0 .LBB337_1546
; %bb.1545:
	global_load_ubyte v5, v[8:9], off
	s_movk_i32 s8, 0xff
	v_mov_b32_e32 v10, 0x7e00
	s_mov_b64 s[0:1], 0
	s_waitcnt vmcnt(0)
	v_lshlrev_b32_e32 v7, 23, v5
	v_cvt_f16_f32_e32 v7, v7
	v_cmp_ne_u32_e32 vcc, s8, v5
	s_mov_b64 s[8:9], -1
	s_nop 0
	v_cndmask_b32_e32 v7, v10, v7, vcc
	v_cmp_ne_u32_e32 vcc, 0, v5
	s_nop 1
	v_cndmask_b32_e32 v10, 0, v7, vcc
	s_branch .LBB337_1547
.LBB337_1546:
	s_mov_b64 s[0:1], -1
                                        ; implicit-def: $vgpr10
.LBB337_1547:
	s_mov_b64 s[10:11], 0
.LBB337_1548:
	s_and_b64 vcc, exec, s[10:11]
	s_cbranch_vccz .LBB337_1552
; %bb.1549:
	s_cmp_eq_u32 s14, 29
	s_cbranch_scc0 .LBB337_1551
; %bb.1550:
	global_load_dwordx2 v[10:11], v[8:9], off
	s_mov_b64 s[0:1], 0
	s_mov_b64 s[8:9], -1
	s_mov_b64 s[10:11], 0
	s_waitcnt vmcnt(0)
	v_ffbh_u32_e32 v5, v11
	v_min_u32_e32 v5, 32, v5
	v_lshlrev_b64 v[10:11], v5, v[10:11]
	v_min_u32_e32 v7, 1, v10
	v_or_b32_e32 v7, v11, v7
	v_cvt_f32_u32_e32 v7, v7
	v_sub_u32_e32 v5, 32, v5
	v_ldexp_f32 v5, v7, v5
	v_cvt_f16_f32_e32 v10, v5
	s_branch .LBB337_1553
.LBB337_1551:
	s_mov_b64 s[0:1], -1
                                        ; implicit-def: $vgpr10
.LBB337_1552:
	s_mov_b64 s[10:11], 0
.LBB337_1553:
	s_and_b64 vcc, exec, s[10:11]
	s_cbranch_vccz .LBB337_1571
; %bb.1554:
	s_cmp_lt_i32 s14, 27
	s_cbranch_scc1 .LBB337_1557
; %bb.1555:
	s_cmp_gt_i32 s14, 27
	s_cbranch_scc0 .LBB337_1558
; %bb.1556:
	global_load_dword v5, v[8:9], off
	s_mov_b64 s[8:9], 0
	s_waitcnt vmcnt(0)
	v_cvt_f32_u32_e32 v5, v5
	v_cvt_f16_f32_e32 v10, v5
	s_branch .LBB337_1559
.LBB337_1557:
	s_mov_b64 s[8:9], -1
                                        ; implicit-def: $vgpr10
	s_branch .LBB337_1562
.LBB337_1558:
	s_mov_b64 s[8:9], -1
                                        ; implicit-def: $vgpr10
.LBB337_1559:
	s_andn2_b64 vcc, exec, s[8:9]
	s_cbranch_vccnz .LBB337_1561
; %bb.1560:
	global_load_ushort v5, v[8:9], off
	s_waitcnt vmcnt(0)
	v_cvt_f16_u16_e32 v10, v5
.LBB337_1561:
	s_mov_b64 s[8:9], 0
.LBB337_1562:
	s_andn2_b64 vcc, exec, s[8:9]
	s_cbranch_vccnz .LBB337_1570
; %bb.1563:
	global_load_ubyte v5, v[8:9], off
	s_movk_i32 s8, 0x7f
	s_waitcnt vmcnt(0)
	v_cmp_lt_i16_e32 vcc, s8, v5
	s_mov_b64 s[8:9], 0
	s_and_saveexec_b64 s[10:11], vcc
	s_xor_b64 s[10:11], exec, s[10:11]
	s_cbranch_execz .LBB337_1584
; %bb.1564:
	s_movk_i32 s8, 0x80
	v_cmp_eq_u16_e32 vcc, s8, v5
	s_mov_b64 s[8:9], -1
	s_and_saveexec_b64 s[12:13], vcc
; %bb.1565:
	s_xor_b64 s[8:9], exec, -1
; %bb.1566:
	s_or_b64 exec, exec, s[12:13]
	s_and_b64 s[8:9], s[8:9], exec
	s_or_saveexec_b64 s[10:11], s[10:11]
	v_mov_b32_e32 v10, 0x7e00
	s_xor_b64 exec, exec, s[10:11]
	s_cbranch_execnz .LBB337_1585
.LBB337_1567:
	s_or_b64 exec, exec, s[10:11]
	s_and_saveexec_b64 s[10:11], s[8:9]
	s_cbranch_execz .LBB337_1569
.LBB337_1568:
	v_lshlrev_b32_e32 v7, 24, v5
	v_and_b32_e32 v5, 0xffff, v5
	v_and_b32_e32 v10, 7, v5
	v_ffbh_u32_e32 v13, v10
	v_min_u32_e32 v13, 32, v13
	v_subrev_u32_e32 v14, 28, v13
	v_bfe_u32 v11, v5, 3, 4
	v_lshlrev_b32_e32 v5, v14, v5
	v_sub_u32_e32 v13, 29, v13
	v_and_b32_e32 v5, 7, v5
	v_cmp_eq_u32_e32 vcc, 0, v11
	v_and_b32_e32 v7, 0x80000000, v7
	s_nop 0
	v_cndmask_b32_e32 v11, v11, v13, vcc
	v_cndmask_b32_e32 v5, v10, v5, vcc
	v_mov_b32_e32 v10, 0x3b800000
	v_lshlrev_b32_e32 v5, 20, v5
	v_lshl_add_u32 v10, v11, 23, v10
	v_or3_b32 v5, v7, v10, v5
	v_cvt_f16_f32_e32 v10, v5
.LBB337_1569:
	s_or_b64 exec, exec, s[10:11]
.LBB337_1570:
	s_mov_b64 s[8:9], -1
.LBB337_1571:
	s_mov_b64 s[10:11], 0
.LBB337_1572:
	s_and_b64 vcc, exec, s[10:11]
	s_cbranch_vccz .LBB337_1605
; %bb.1573:
	s_cmp_gt_i32 s14, 22
	s_cbranch_scc0 .LBB337_1583
; %bb.1574:
	s_cmp_lt_i32 s14, 24
	s_cbranch_scc1 .LBB337_1586
; %bb.1575:
	s_cmp_gt_i32 s14, 24
	s_cbranch_scc0 .LBB337_1587
; %bb.1576:
	global_load_ubyte v5, v[8:9], off
	s_movk_i32 s6, 0x7f
	s_waitcnt vmcnt(0)
	v_cmp_lt_i16_e32 vcc, s6, v5
	s_mov_b64 s[6:7], 0
	s_and_saveexec_b64 s[8:9], vcc
	s_xor_b64 s[8:9], exec, s[8:9]
	s_cbranch_execz .LBB337_1599
; %bb.1577:
	s_movk_i32 s6, 0x80
	v_cmp_eq_u16_e32 vcc, s6, v5
	s_mov_b64 s[6:7], -1
	s_and_saveexec_b64 s[10:11], vcc
; %bb.1578:
	s_xor_b64 s[6:7], exec, -1
; %bb.1579:
	s_or_b64 exec, exec, s[10:11]
	s_and_b64 s[6:7], s[6:7], exec
	s_or_saveexec_b64 s[8:9], s[8:9]
	v_mov_b32_e32 v10, 0x7e00
	s_xor_b64 exec, exec, s[8:9]
	s_cbranch_execnz .LBB337_1600
.LBB337_1580:
	s_or_b64 exec, exec, s[8:9]
	s_and_saveexec_b64 s[8:9], s[6:7]
	s_cbranch_execz .LBB337_1582
.LBB337_1581:
	v_lshlrev_b32_e32 v7, 24, v5
	v_and_b32_e32 v5, 0xffff, v5
	v_and_b32_e32 v10, 3, v5
	v_ffbh_u32_e32 v13, v10
	v_min_u32_e32 v13, 32, v13
	v_subrev_u32_e32 v14, 29, v13
	v_bfe_u32 v11, v5, 2, 5
	v_lshlrev_b32_e32 v5, v14, v5
	v_sub_u32_e32 v13, 30, v13
	v_and_b32_e32 v5, 3, v5
	v_cmp_eq_u32_e32 vcc, 0, v11
	v_and_b32_e32 v7, 0x80000000, v7
	s_nop 0
	v_cndmask_b32_e32 v11, v11, v13, vcc
	v_cndmask_b32_e32 v5, v10, v5, vcc
	v_mov_b32_e32 v10, 0x37800000
	v_lshlrev_b32_e32 v5, 21, v5
	v_lshl_add_u32 v10, v11, 23, v10
	v_or3_b32 v5, v7, v10, v5
	v_cvt_f16_f32_e32 v10, v5
.LBB337_1582:
	s_or_b64 exec, exec, s[8:9]
	s_mov_b64 s[6:7], 0
	s_branch .LBB337_1588
.LBB337_1583:
	s_mov_b64 s[6:7], -1
                                        ; implicit-def: $vgpr10
	s_branch .LBB337_1594
.LBB337_1584:
	s_or_saveexec_b64 s[10:11], s[10:11]
	v_mov_b32_e32 v10, 0x7e00
	s_xor_b64 exec, exec, s[10:11]
	s_cbranch_execz .LBB337_1567
.LBB337_1585:
	v_cmp_ne_u16_e32 vcc, 0, v5
	s_andn2_b64 s[8:9], s[8:9], exec
	s_and_b64 s[12:13], vcc, exec
	s_or_b64 s[8:9], s[8:9], s[12:13]
	v_mov_b32_e32 v10, v5
	s_or_b64 exec, exec, s[10:11]
	s_and_saveexec_b64 s[10:11], s[8:9]
	s_cbranch_execnz .LBB337_1568
	s_branch .LBB337_1569
.LBB337_1586:
	s_mov_b64 s[6:7], -1
                                        ; implicit-def: $vgpr10
	s_branch .LBB337_1591
.LBB337_1587:
	s_mov_b64 s[6:7], -1
                                        ; implicit-def: $vgpr10
.LBB337_1588:
	s_and_b64 vcc, exec, s[6:7]
	s_cbranch_vccz .LBB337_1590
; %bb.1589:
	global_load_ubyte v5, v[8:9], off
	s_mov_b32 s6, 0x7f800000
	s_waitcnt vmcnt(0)
	v_lshlrev_b32_e32 v5, 24, v5
	v_and_b32_e32 v7, 0x7f000000, v5
	v_ffbh_u32_e32 v10, v7
	v_min_u32_e32 v10, 32, v10
	v_sub_u32_e64 v10, v10, 4 clamp
	v_lshlrev_b32_e32 v13, v10, v7
	v_lshlrev_b32_e32 v10, 23, v10
	v_lshrrev_b32_e32 v13, 4, v13
	v_add_u32_e32 v11, 0x1000000, v7
	v_sub_u32_e32 v10, v13, v10
	v_ashrrev_i32_e32 v11, 8, v11
	v_add_u32_e32 v10, 0x3c000000, v10
	v_and_or_b32 v10, v11, s6, v10
	v_cmp_ne_u32_e32 vcc, 0, v7
	s_brev_b32 s6, 1
	s_nop 0
	v_cndmask_b32_e32 v7, 0, v10, vcc
	v_and_or_b32 v5, v5, s6, v7
	v_cvt_f16_f32_e32 v10, v5
.LBB337_1590:
	s_mov_b64 s[6:7], 0
.LBB337_1591:
	s_andn2_b64 vcc, exec, s[6:7]
	s_cbranch_vccnz .LBB337_1593
; %bb.1592:
	global_load_ubyte v5, v[8:9], off
	s_movk_i32 s6, 0x7f00
	s_brev_b32 s7, 16
	s_waitcnt vmcnt(0)
	v_lshlrev_b16_e32 v7, 8, v5
	v_lshlrev_b32_e32 v5, 25, v5
	v_lshrrev_b32_e32 v10, 4, v5
	v_and_or_b32 v11, v7, s6, 0.5
	v_or_b32_e32 v10, 0x70000000, v10
	v_add_f32_e32 v11, -0.5, v11
	v_mul_f32_e32 v10, 0x7800000, v10
	v_cmp_gt_u32_e32 vcc, s7, v5
	v_bfe_i32 v7, v7, 0, 16
	s_brev_b32 s6, 1
	v_cndmask_b32_e32 v5, v10, v11, vcc
	v_and_or_b32 v5, v7, s6, v5
	v_cvt_f16_f32_e32 v10, v5
.LBB337_1593:
	s_mov_b64 s[6:7], 0
	s_mov_b64 s[8:9], -1
.LBB337_1594:
	s_andn2_b64 vcc, exec, s[6:7]
	s_mov_b64 s[6:7], 0
	s_cbranch_vccnz .LBB337_1605
; %bb.1595:
	s_cmp_gt_i32 s14, 14
	s_cbranch_scc0 .LBB337_1598
; %bb.1596:
	s_cmp_eq_u32 s14, 15
	s_cbranch_scc0 .LBB337_1601
; %bb.1597:
	global_load_ushort v5, v[8:9], off
	s_mov_b64 s[0:1], 0
	s_mov_b64 s[8:9], -1
	s_waitcnt vmcnt(0)
	v_lshlrev_b32_e32 v5, 16, v5
	v_cvt_f16_f32_e32 v10, v5
	s_branch .LBB337_1602
.LBB337_1598:
	s_mov_b64 s[10:11], -1
                                        ; implicit-def: $vgpr10
	s_branch .LBB337_1603
.LBB337_1599:
	s_or_saveexec_b64 s[8:9], s[8:9]
	v_mov_b32_e32 v10, 0x7e00
	s_xor_b64 exec, exec, s[8:9]
	s_cbranch_execz .LBB337_1580
.LBB337_1600:
	v_cmp_ne_u16_e32 vcc, 0, v5
	s_andn2_b64 s[6:7], s[6:7], exec
	s_and_b64 s[10:11], vcc, exec
	s_or_b64 s[6:7], s[6:7], s[10:11]
	v_mov_b32_e32 v10, v5
	s_or_b64 exec, exec, s[8:9]
	s_and_saveexec_b64 s[8:9], s[6:7]
	s_cbranch_execnz .LBB337_1581
	s_branch .LBB337_1582
.LBB337_1601:
	s_mov_b64 s[0:1], -1
                                        ; implicit-def: $vgpr10
.LBB337_1602:
	s_mov_b64 s[10:11], 0
.LBB337_1603:
	s_and_b64 vcc, exec, s[10:11]
	s_cbranch_vccz .LBB337_1605
; %bb.1604:
	s_cmp_lg_u32 s14, 11
	s_mov_b64 s[6:7], -1
	s_cselect_b64 s[0:1], -1, 0
.LBB337_1605:
	s_and_b64 vcc, exec, s[0:1]
	s_cbranch_vccnz .LBB337_2138
; %bb.1606:
	s_andn2_b64 vcc, exec, s[6:7]
	s_cbranch_vccnz .LBB337_1608
.LBB337_1607:
	global_load_ubyte v5, v[8:9], off
	v_mov_b32_e32 v7, 0x3c00
	s_mov_b64 s[8:9], -1
	s_waitcnt vmcnt(0)
	v_cmp_ne_u16_e32 vcc, 0, v5
	s_nop 1
	v_cndmask_b32_e32 v10, 0, v7, vcc
.LBB337_1608:
	s_mov_b64 s[0:1], 0
.LBB337_1609:
	s_and_b64 vcc, exec, s[0:1]
	s_cbranch_vccz .LBB337_1658
; %bb.1610:
	s_and_b32 s6, 0xffff, s16
	s_cmp_lt_i32 s6, 5
	s_cbranch_scc1 .LBB337_1615
; %bb.1611:
	s_cmp_lt_i32 s6, 8
	s_cbranch_scc1 .LBB337_1616
; %bb.1612:
	;; [unrolled: 3-line block ×3, first 2 shown]
	s_cmp_gt_i32 s6, 9
	s_cbranch_scc0 .LBB337_1618
; %bb.1614:
	global_load_dwordx2 v[10:11], v[8:9], off
	s_movk_i32 s0, 0x1ff
	s_movk_i32 s1, 0xffe
	v_mov_b32_e32 v5, 0x7c00
	v_mov_b32_e32 v7, 0x7e00
	s_movk_i32 s7, 0x40f
	s_mov_b32 s8, 0x8000
	s_waitcnt vmcnt(0)
	v_and_or_b32 v10, v11, s0, v10
	v_cmp_ne_u32_e32 vcc, 0, v10
	v_lshrrev_b32_e32 v13, 8, v11
	v_bfe_u32 v14, v11, 20, 11
	v_cndmask_b32_e64 v10, 0, 1, vcc
	v_sub_u32_e32 v15, 0x3f1, v14
	v_and_or_b32 v10, v13, s1, v10
	v_add_u32_e32 v14, 0xfffffc10, v14
	v_med3_i32 v13, v15, 0, 13
	v_or_b32_e32 v15, 0x1000, v10
	v_lshl_or_b32 v16, v14, 12, v10
	v_cmp_ne_u32_e32 vcc, 0, v10
	v_lshrrev_b32_e32 v10, v13, v15
	v_lshlrev_b32_e32 v13, v13, v10
	v_cndmask_b32_e32 v7, v5, v7, vcc
	v_cmp_ne_u32_e32 vcc, v13, v15
	v_lshrrev_b32_e32 v11, 16, v11
	s_mov_b64 s[0:1], 0
	v_cndmask_b32_e64 v13, 0, 1, vcc
	v_or_b32_e32 v10, v10, v13
	v_cmp_gt_i32_e32 vcc, 1, v14
	s_nop 1
	v_cndmask_b32_e32 v10, v16, v10, vcc
	v_and_b32_e32 v13, 7, v10
	v_cmp_lt_i32_e32 vcc, 5, v13
	v_lshrrev_b32_e32 v10, 2, v10
	s_nop 0
	v_cndmask_b32_e64 v15, 0, 1, vcc
	v_cmp_eq_u32_e32 vcc, 3, v13
	s_nop 1
	v_cndmask_b32_e64 v13, 0, 1, vcc
	v_or_b32_e32 v13, v13, v15
	v_add_u32_e32 v10, v10, v13
	v_cmp_gt_i32_e32 vcc, 31, v14
	s_nop 1
	v_cndmask_b32_e32 v5, v5, v10, vcc
	v_cmp_eq_u32_e32 vcc, s7, v14
	s_nop 1
	v_cndmask_b32_e32 v5, v5, v7, vcc
	v_and_or_b32 v10, v11, s8, v5
	s_branch .LBB337_1619
.LBB337_1615:
	s_mov_b64 s[0:1], -1
                                        ; implicit-def: $vgpr10
	s_branch .LBB337_1637
.LBB337_1616:
	s_mov_b64 s[0:1], -1
                                        ; implicit-def: $vgpr10
	s_branch .LBB337_1625
.LBB337_1617:
	s_mov_b64 s[0:1], -1
                                        ; implicit-def: $vgpr10
	s_branch .LBB337_1622
.LBB337_1618:
	s_mov_b64 s[0:1], -1
                                        ; implicit-def: $vgpr10
.LBB337_1619:
	s_andn2_b64 vcc, exec, s[0:1]
	s_cbranch_vccnz .LBB337_1621
; %bb.1620:
	global_load_dword v5, v[8:9], off
	s_waitcnt vmcnt(0)
	v_cvt_f16_f32_e32 v10, v5
.LBB337_1621:
	s_mov_b64 s[0:1], 0
.LBB337_1622:
	s_andn2_b64 vcc, exec, s[0:1]
	s_cbranch_vccnz .LBB337_1624
; %bb.1623:
	global_load_dword v10, v[8:9], off
.LBB337_1624:
	s_mov_b64 s[0:1], 0
.LBB337_1625:
	s_andn2_b64 vcc, exec, s[0:1]
	s_cbranch_vccnz .LBB337_1636
; %bb.1626:
	s_cmp_lt_i32 s6, 6
	s_cbranch_scc1 .LBB337_1629
; %bb.1627:
	s_cmp_gt_i32 s6, 6
	s_cbranch_scc0 .LBB337_1630
; %bb.1628:
	global_load_dwordx2 v[10:11], v[8:9], off
	s_movk_i32 s0, 0x1ff
	s_movk_i32 s1, 0xffe
	v_mov_b32_e32 v5, 0x7c00
	v_mov_b32_e32 v7, 0x7e00
	s_movk_i32 s7, 0x40f
	s_mov_b32 s8, 0x8000
	s_waitcnt vmcnt(0)
	v_and_or_b32 v10, v11, s0, v10
	v_cmp_ne_u32_e32 vcc, 0, v10
	v_lshrrev_b32_e32 v13, 8, v11
	v_bfe_u32 v14, v11, 20, 11
	v_cndmask_b32_e64 v10, 0, 1, vcc
	v_sub_u32_e32 v15, 0x3f1, v14
	v_and_or_b32 v10, v13, s1, v10
	v_add_u32_e32 v14, 0xfffffc10, v14
	v_med3_i32 v13, v15, 0, 13
	v_or_b32_e32 v15, 0x1000, v10
	v_lshl_or_b32 v16, v14, 12, v10
	v_cmp_ne_u32_e32 vcc, 0, v10
	v_lshrrev_b32_e32 v10, v13, v15
	v_lshlrev_b32_e32 v13, v13, v10
	v_cndmask_b32_e32 v7, v5, v7, vcc
	v_cmp_ne_u32_e32 vcc, v13, v15
	v_lshrrev_b32_e32 v11, 16, v11
	s_mov_b64 s[0:1], 0
	v_cndmask_b32_e64 v13, 0, 1, vcc
	v_or_b32_e32 v10, v10, v13
	v_cmp_gt_i32_e32 vcc, 1, v14
	s_nop 1
	v_cndmask_b32_e32 v10, v16, v10, vcc
	v_and_b32_e32 v13, 7, v10
	v_cmp_lt_i32_e32 vcc, 5, v13
	v_lshrrev_b32_e32 v10, 2, v10
	s_nop 0
	v_cndmask_b32_e64 v15, 0, 1, vcc
	v_cmp_eq_u32_e32 vcc, 3, v13
	s_nop 1
	v_cndmask_b32_e64 v13, 0, 1, vcc
	v_or_b32_e32 v13, v13, v15
	v_add_u32_e32 v10, v10, v13
	v_cmp_gt_i32_e32 vcc, 31, v14
	s_nop 1
	v_cndmask_b32_e32 v5, v5, v10, vcc
	v_cmp_eq_u32_e32 vcc, s7, v14
	s_nop 1
	v_cndmask_b32_e32 v5, v5, v7, vcc
	v_and_or_b32 v10, v11, s8, v5
	s_branch .LBB337_1631
.LBB337_1629:
	s_mov_b64 s[0:1], -1
                                        ; implicit-def: $vgpr10
	s_branch .LBB337_1634
.LBB337_1630:
	s_mov_b64 s[0:1], -1
                                        ; implicit-def: $vgpr10
.LBB337_1631:
	s_andn2_b64 vcc, exec, s[0:1]
	s_cbranch_vccnz .LBB337_1633
; %bb.1632:
	global_load_dword v5, v[8:9], off
	s_waitcnt vmcnt(0)
	v_cvt_f16_f32_e32 v10, v5
.LBB337_1633:
	s_mov_b64 s[0:1], 0
.LBB337_1634:
	s_andn2_b64 vcc, exec, s[0:1]
	s_cbranch_vccnz .LBB337_1636
; %bb.1635:
	global_load_ushort v10, v[8:9], off
.LBB337_1636:
	s_mov_b64 s[0:1], 0
.LBB337_1637:
	s_andn2_b64 vcc, exec, s[0:1]
	s_cbranch_vccnz .LBB337_1657
; %bb.1638:
	s_cmp_lt_i32 s6, 2
	s_cbranch_scc1 .LBB337_1642
; %bb.1639:
	s_cmp_lt_i32 s6, 3
	s_cbranch_scc1 .LBB337_1643
; %bb.1640:
	s_cmp_gt_i32 s6, 3
	s_cbranch_scc0 .LBB337_1644
; %bb.1641:
	global_load_dwordx2 v[10:11], v[8:9], off
	s_mov_b64 s[0:1], 0
	s_waitcnt vmcnt(0)
	v_xor_b32_e32 v7, v10, v11
	v_ffbh_i32_e32 v5, v11
	v_ashrrev_i32_e32 v7, 31, v7
	v_add_u32_e32 v5, -1, v5
	v_add_u32_e32 v7, 32, v7
	v_min_u32_e32 v5, v5, v7
	v_lshlrev_b64 v[10:11], v5, v[10:11]
	v_min_u32_e32 v7, 1, v10
	v_or_b32_e32 v7, v11, v7
	v_cvt_f32_i32_e32 v7, v7
	v_sub_u32_e32 v5, 32, v5
	v_ldexp_f32 v5, v7, v5
	v_cvt_f16_f32_e32 v10, v5
	s_branch .LBB337_1645
.LBB337_1642:
	s_mov_b64 s[0:1], -1
                                        ; implicit-def: $vgpr10
	s_branch .LBB337_1651
.LBB337_1643:
	s_mov_b64 s[0:1], -1
                                        ; implicit-def: $vgpr10
	s_branch .LBB337_1648
.LBB337_1644:
	s_mov_b64 s[0:1], -1
                                        ; implicit-def: $vgpr10
.LBB337_1645:
	s_andn2_b64 vcc, exec, s[0:1]
	s_cbranch_vccnz .LBB337_1647
; %bb.1646:
	global_load_dword v5, v[8:9], off
	s_waitcnt vmcnt(0)
	v_cvt_f32_i32_e32 v5, v5
	v_cvt_f16_f32_e32 v10, v5
.LBB337_1647:
	s_mov_b64 s[0:1], 0
.LBB337_1648:
	s_andn2_b64 vcc, exec, s[0:1]
	s_cbranch_vccnz .LBB337_1650
; %bb.1649:
	global_load_ushort v5, v[8:9], off
	s_waitcnt vmcnt(0)
	v_cvt_f16_i16_e32 v10, v5
.LBB337_1650:
	s_mov_b64 s[0:1], 0
.LBB337_1651:
	s_andn2_b64 vcc, exec, s[0:1]
	s_cbranch_vccnz .LBB337_1657
; %bb.1652:
	s_cmp_gt_i32 s6, 0
	s_cbranch_scc0 .LBB337_1654
; %bb.1653:
	global_load_sbyte v5, v[8:9], off
	s_mov_b64 s[0:1], 0
	s_waitcnt vmcnt(0)
	v_cvt_f16_i16_e32 v10, v5
	s_branch .LBB337_1655
.LBB337_1654:
	s_mov_b64 s[0:1], -1
                                        ; implicit-def: $vgpr10
.LBB337_1655:
	s_andn2_b64 vcc, exec, s[0:1]
	s_cbranch_vccnz .LBB337_1657
; %bb.1656:
	global_load_ubyte v5, v[8:9], off
	s_waitcnt vmcnt(0)
	v_cvt_f16_u16_e32 v10, v5
.LBB337_1657:
	s_mov_b64 s[8:9], -1
.LBB337_1658:
	s_andn2_b64 vcc, exec, s[8:9]
	s_cbranch_vccnz .LBB337_2092
; %bb.1659:
	s_load_dwordx2 s[6:7], s[34:35], 0x158
	s_waitcnt lgkmcnt(0)
	v_mov_b32_e32 v5, s6
	s_waitcnt vmcnt(0)
	v_cmp_lt_f16_e32 vcc, s6, v1
	s_lshr_b32 s17, s6, 16
	v_mov_b32_e32 v7, s17
	v_cndmask_b32_e32 v5, v5, v1, vcc
	v_cmp_gt_f16_e32 vcc, s17, v5
	s_and_b32 s16, s7, 0xff
	s_cmp_lt_i32 s16, 11
	v_cndmask_b32_e32 v5, v7, v5, vcc
	v_cmp_u_f16_e32 vcc, v1, v1
	v_mov_b32_e32 v7, 0
	v_lshl_add_u64 v[6:7], s[4:5], 0, v[6:7]
	v_cndmask_b32_e32 v1, v5, v1, vcc
	s_cbranch_scc1 .LBB337_1737
; %bb.1660:
	s_and_b32 s7, 0xffff, s16
	s_mov_b64 s[12:13], -1
	s_mov_b64 s[8:9], 0
	s_cmp_gt_i32 s7, 25
	s_mov_b64 s[10:11], 0
	s_mov_b64 s[0:1], 0
	s_cbranch_scc0 .LBB337_1693
; %bb.1661:
	s_cmp_gt_i32 s7, 28
	s_cbranch_scc0 .LBB337_1676
; %bb.1662:
	s_cmp_gt_i32 s7, 43
	;; [unrolled: 3-line block ×3, first 2 shown]
	s_cbranch_scc0 .LBB337_1666
; %bb.1664:
	s_mov_b64 s[0:1], -1
	s_mov_b64 s[12:13], 0
	s_cmp_eq_u32 s7, 46
	s_cbranch_scc0 .LBB337_1666
; %bb.1665:
	v_cvt_f32_f16_e32 v5, v1
	s_movk_i32 s0, 0x7fff
	v_cmp_o_f16_e32 vcc, v1, v1
	v_mov_b32_e32 v8, 0x7fc0
	v_bfe_u32 v9, v5, 16, 1
	v_add3_u32 v5, v5, v9, s0
	v_cndmask_b32_sdwa v5, v8, v5, vcc dst_sel:DWORD dst_unused:UNUSED_PAD src0_sel:DWORD src1_sel:WORD_1
	global_store_dword v[6:7], v5, off
	s_mov_b64 s[0:1], 0
	s_mov_b64 s[10:11], -1
.LBB337_1666:
	s_and_b64 vcc, exec, s[12:13]
	s_cbranch_vccz .LBB337_1671
; %bb.1667:
	s_cmp_eq_u32 s7, 44
	s_mov_b64 s[0:1], -1
	s_cbranch_scc0 .LBB337_1671
; %bb.1668:
	v_cvt_f32_f16_e32 v5, v1
	s_movk_i32 s0, 0xff
	v_mov_b32_e32 v9, 0xff
	v_bfe_u32 v8, v5, 23, 8
	v_cmp_ne_u32_e32 vcc, s0, v8
	s_and_saveexec_b64 s[10:11], vcc
; %bb.1669:
	s_mov_b32 s0, 0x3fffff
	v_lshrrev_b32_e32 v9, 23, v5
	v_and_b32_e32 v11, 0x400000, v5
	v_and_or_b32 v5, v5, s0, v8
	v_cmp_ne_u32_e32 vcc, 0, v11
	v_cmp_ne_u32_e64 s[0:1], 0, v5
	s_and_b64 s[0:1], vcc, s[0:1]
	s_nop 0
	v_cndmask_b32_e64 v5, 0, 1, s[0:1]
	v_add_u32_e32 v9, v9, v5
; %bb.1670:
	s_or_b64 exec, exec, s[10:11]
	s_mov_b64 s[0:1], 0
	s_mov_b64 s[10:11], -1
	global_store_byte v[6:7], v9, off
.LBB337_1671:
	s_mov_b64 s[12:13], 0
.LBB337_1672:
	s_and_b64 vcc, exec, s[12:13]
	s_cbranch_vccz .LBB337_1675
; %bb.1673:
	s_cmp_eq_u32 s7, 29
	s_mov_b64 s[0:1], -1
	s_cbranch_scc0 .LBB337_1675
; %bb.1674:
	v_cvt_f32_f16_e32 v5, v1
	v_mov_b32_e32 v9, 0
	s_mov_b64 s[0:1], 0
	s_mov_b64 s[10:11], -1
	v_cvt_u32_f32_e32 v8, v5
	global_store_dwordx2 v[6:7], v[8:9], off
.LBB337_1675:
	s_mov_b64 s[12:13], 0
.LBB337_1676:
	s_and_b64 vcc, exec, s[12:13]
	s_cbranch_vccz .LBB337_1692
; %bb.1677:
	s_cmp_lt_i32 s7, 27
	s_mov_b64 s[10:11], -1
	s_cbranch_scc1 .LBB337_1683
; %bb.1678:
	s_cmp_gt_i32 s7, 27
	s_cbranch_scc0 .LBB337_1680
; %bb.1679:
	v_cvt_f32_f16_e32 v5, v1
	s_mov_b64 s[10:11], 0
	v_cvt_u32_f32_e32 v5, v5
	global_store_dword v[6:7], v5, off
.LBB337_1680:
	s_andn2_b64 vcc, exec, s[10:11]
	s_cbranch_vccnz .LBB337_1682
; %bb.1681:
	v_cvt_u16_f16_e32 v5, v1
	global_store_short v[6:7], v5, off
.LBB337_1682:
	s_mov_b64 s[10:11], 0
.LBB337_1683:
	s_andn2_b64 vcc, exec, s[10:11]
	s_cbranch_vccnz .LBB337_1691
; %bb.1684:
	v_cvt_f32_f16_e32 v5, v1
	s_mov_b32 s10, 0x43800000
	v_mov_b32_e32 v9, 0x80
	v_and_b32_e32 v8, 0x7fffffff, v5
	v_cmp_gt_u32_e32 vcc, s10, v8
	s_and_saveexec_b64 s[10:11], vcc
	s_cbranch_execz .LBB337_1690
; %bb.1685:
	s_mov_b32 s12, 0x3bffffff
	v_cmp_lt_u32_e32 vcc, s12, v8
	s_mov_b64 s[12:13], 0
                                        ; implicit-def: $vgpr8
	s_and_saveexec_b64 s[14:15], vcc
	s_xor_b64 s[14:15], exec, s[14:15]
	s_cbranch_execz .LBB337_2139
; %bb.1686:
	v_bfe_u32 v8, v5, 20, 1
	s_mov_b32 s18, 0x487ffff
	v_add3_u32 v8, v5, v8, s18
	s_mov_b64 s[12:13], exec
	v_lshrrev_b32_e32 v8, 20, v8
	s_andn2_saveexec_b64 s[14:15], s[14:15]
	s_cbranch_execnz .LBB337_2140
.LBB337_1687:
	s_or_b64 exec, exec, s[14:15]
	v_mov_b32_e32 v9, 0
	s_and_saveexec_b64 s[14:15], s[12:13]
.LBB337_1688:
	v_lshrrev_b32_e32 v5, 24, v5
	s_movk_i32 s12, 0x80
	v_and_or_b32 v9, v5, s12, v8
.LBB337_1689:
	s_or_b64 exec, exec, s[14:15]
.LBB337_1690:
	s_or_b64 exec, exec, s[10:11]
	global_store_byte v[6:7], v9, off
.LBB337_1691:
	s_mov_b64 s[10:11], -1
.LBB337_1692:
	s_mov_b64 s[12:13], 0
.LBB337_1693:
	s_and_b64 vcc, exec, s[12:13]
	s_cbranch_vccz .LBB337_1733
; %bb.1694:
	s_cmp_gt_i32 s7, 22
	s_mov_b64 s[8:9], -1
	s_cbranch_scc0 .LBB337_1726
; %bb.1695:
	s_cmp_lt_i32 s7, 24
	s_cbranch_scc1 .LBB337_1715
; %bb.1696:
	s_cmp_gt_i32 s7, 24
	s_cbranch_scc0 .LBB337_1704
; %bb.1697:
	v_cvt_f32_f16_e32 v5, v1
	s_mov_b32 s8, 0x47800000
	v_mov_b32_e32 v9, 0x80
	v_and_b32_e32 v8, 0x7fffffff, v5
	v_cmp_gt_u32_e32 vcc, s8, v8
	s_and_saveexec_b64 s[8:9], vcc
	s_cbranch_execz .LBB337_1703
; %bb.1698:
	s_mov_b32 s10, 0x37ffffff
	v_cmp_lt_u32_e32 vcc, s10, v8
	s_mov_b64 s[10:11], 0
                                        ; implicit-def: $vgpr8
	s_and_saveexec_b64 s[12:13], vcc
	s_xor_b64 s[12:13], exec, s[12:13]
	s_cbranch_execz .LBB337_2142
; %bb.1699:
	v_bfe_u32 v8, v5, 21, 1
	s_mov_b32 s14, 0x88fffff
	v_add3_u32 v8, v5, v8, s14
	s_mov_b64 s[10:11], exec
	v_lshrrev_b32_e32 v8, 21, v8
	s_andn2_saveexec_b64 s[12:13], s[12:13]
	s_cbranch_execnz .LBB337_2143
.LBB337_1700:
	s_or_b64 exec, exec, s[12:13]
	v_mov_b32_e32 v9, 0
	s_and_saveexec_b64 s[12:13], s[10:11]
.LBB337_1701:
	v_lshrrev_b32_e32 v5, 24, v5
	s_movk_i32 s10, 0x80
	v_and_or_b32 v9, v5, s10, v8
.LBB337_1702:
	s_or_b64 exec, exec, s[12:13]
.LBB337_1703:
	s_or_b64 exec, exec, s[8:9]
	s_mov_b64 s[8:9], 0
	global_store_byte v[6:7], v9, off
.LBB337_1704:
	s_and_b64 vcc, exec, s[8:9]
	s_cbranch_vccz .LBB337_1714
; %bb.1705:
	v_cvt_f32_f16_e32 v5, v1
	s_mov_b32 s8, 0x43f00000
                                        ; implicit-def: $vgpr8
	v_and_b32_e32 v9, 0x7fffffff, v5
	v_cmp_gt_u32_e32 vcc, s8, v9
	s_and_saveexec_b64 s[8:9], vcc
	s_xor_b64 s[8:9], exec, s[8:9]
	s_cbranch_execz .LBB337_1711
; %bb.1706:
	s_mov_b32 s10, 0x3c7fffff
	v_cmp_lt_u32_e32 vcc, s10, v9
                                        ; implicit-def: $vgpr8
	s_and_saveexec_b64 s[10:11], vcc
	s_xor_b64 s[10:11], exec, s[10:11]
; %bb.1707:
	v_bfe_u32 v8, v5, 20, 1
	s_mov_b32 s12, 0x407ffff
	v_add3_u32 v8, v5, v8, s12
	v_lshrrev_b32_e32 v9, 20, v8
	v_and_b32_e32 v8, 0xff00000, v8
	s_mov_b32 s12, 0x7f00000
	v_mov_b32_e32 v11, 0x7e
	v_cmp_ne_u32_e32 vcc, s12, v8
	s_nop 1
	v_cndmask_b32_e32 v8, v11, v9, vcc
; %bb.1708:
	s_andn2_saveexec_b64 s[10:11], s[10:11]
; %bb.1709:
	s_mov_b32 s12, 0x46800000
	v_add_f32_e64 v8, |v5|, s12
; %bb.1710:
	s_or_b64 exec, exec, s[10:11]
                                        ; implicit-def: $vgpr9
.LBB337_1711:
	s_andn2_saveexec_b64 s[8:9], s[8:9]
; %bb.1712:
	s_mov_b32 s10, 0x7f800000
	v_mov_b32_e32 v8, 0x7e
	v_mov_b32_e32 v11, 0x7f
	v_cmp_lt_u32_e32 vcc, s10, v9
	s_nop 1
	v_cndmask_b32_e32 v8, v8, v11, vcc
; %bb.1713:
	s_or_b64 exec, exec, s[8:9]
	v_lshrrev_b32_e32 v5, 24, v5
	s_movk_i32 s8, 0x80
	v_and_or_b32 v5, v5, s8, v8
	global_store_byte v[6:7], v5, off
.LBB337_1714:
	s_mov_b64 s[8:9], 0
.LBB337_1715:
	s_andn2_b64 vcc, exec, s[8:9]
	s_cbranch_vccnz .LBB337_1725
; %bb.1716:
	v_cvt_f32_f16_e32 v5, v1
	s_mov_b32 s8, 0x47800000
                                        ; implicit-def: $vgpr8
	v_and_b32_e32 v9, 0x7fffffff, v5
	v_cmp_gt_u32_e32 vcc, s8, v9
	s_and_saveexec_b64 s[8:9], vcc
	s_xor_b64 s[8:9], exec, s[8:9]
	s_cbranch_execz .LBB337_1722
; %bb.1717:
	s_mov_b32 s10, 0x387fffff
	v_cmp_lt_u32_e32 vcc, s10, v9
                                        ; implicit-def: $vgpr8
	s_and_saveexec_b64 s[10:11], vcc
	s_xor_b64 s[10:11], exec, s[10:11]
; %bb.1718:
	v_bfe_u32 v8, v5, 21, 1
	s_mov_b32 s12, 0x80fffff
	v_add3_u32 v8, v5, v8, s12
	v_lshrrev_b32_e32 v8, 21, v8
; %bb.1719:
	s_andn2_saveexec_b64 s[10:11], s[10:11]
; %bb.1720:
	s_mov_b32 s12, 0x43000000
	v_add_f32_e64 v8, |v5|, s12
; %bb.1721:
	s_or_b64 exec, exec, s[10:11]
                                        ; implicit-def: $vgpr9
.LBB337_1722:
	s_andn2_saveexec_b64 s[8:9], s[8:9]
; %bb.1723:
	s_mov_b32 s10, 0x7f800000
	v_mov_b32_e32 v8, 0x7c
	v_mov_b32_e32 v11, 0x7f
	v_cmp_lt_u32_e32 vcc, s10, v9
	s_nop 1
	v_cndmask_b32_e32 v8, v8, v11, vcc
; %bb.1724:
	s_or_b64 exec, exec, s[8:9]
	v_lshrrev_b32_e32 v5, 24, v5
	s_movk_i32 s8, 0x80
	v_and_or_b32 v5, v5, s8, v8
	global_store_byte v[6:7], v5, off
.LBB337_1725:
	s_mov_b64 s[8:9], 0
	s_mov_b64 s[10:11], -1
.LBB337_1726:
	s_andn2_b64 vcc, exec, s[8:9]
	s_mov_b64 s[8:9], 0
	s_cbranch_vccnz .LBB337_1733
; %bb.1727:
	s_cmp_gt_i32 s7, 14
	s_mov_b64 s[12:13], -1
	s_cbranch_scc0 .LBB337_1731
; %bb.1728:
	s_cmp_eq_u32 s7, 15
	s_mov_b64 s[0:1], -1
	s_cbranch_scc0 .LBB337_1730
; %bb.1729:
	v_cvt_f32_f16_e32 v5, v1
	s_movk_i32 s0, 0x7fff
	v_cmp_o_f16_e32 vcc, v1, v1
	v_mov_b32_e32 v8, 0x7fc0
	v_bfe_u32 v9, v5, 16, 1
	v_add3_u32 v5, v5, v9, s0
	v_cndmask_b32_sdwa v5, v8, v5, vcc dst_sel:DWORD dst_unused:UNUSED_PAD src0_sel:DWORD src1_sel:WORD_1
	global_store_short v[6:7], v5, off
	s_mov_b64 s[0:1], 0
	s_mov_b64 s[10:11], -1
.LBB337_1730:
	s_mov_b64 s[12:13], 0
.LBB337_1731:
	s_and_b64 vcc, exec, s[12:13]
	s_cbranch_vccz .LBB337_1733
; %bb.1732:
	s_cmp_lg_u32 s7, 11
	s_mov_b64 s[8:9], -1
	s_cselect_b64 s[0:1], -1, 0
.LBB337_1733:
	s_and_b64 vcc, exec, s[0:1]
	s_cbranch_vccnz .LBB337_2141
; %bb.1734:
	s_andn2_b64 vcc, exec, s[8:9]
	s_cbranch_vccnz .LBB337_1736
.LBB337_1735:
	v_and_b32_e32 v5, 0x7fff, v1
	v_cmp_ne_u16_e32 vcc, 0, v5
	s_mov_b64 s[10:11], -1
	s_nop 0
	v_cndmask_b32_e64 v5, 0, 1, vcc
	global_store_byte v[6:7], v5, off
.LBB337_1736:
	s_mov_b64 s[0:1], 0
	s_branch .LBB337_1738
.LBB337_1737:
	s_mov_b64 s[0:1], -1
	s_mov_b64 s[10:11], 0
.LBB337_1738:
	s_and_b64 vcc, exec, s[0:1]
	s_cbranch_vccz .LBB337_1777
; %bb.1739:
	s_and_b32 s7, 0xffff, s16
	s_cmp_lt_i32 s7, 5
	s_mov_b64 s[0:1], -1
	s_cbranch_scc1 .LBB337_1760
; %bb.1740:
	s_cmp_lt_i32 s7, 8
	s_cbranch_scc1 .LBB337_1750
; %bb.1741:
	s_cmp_lt_i32 s7, 9
	s_cbranch_scc1 .LBB337_1747
; %bb.1742:
	s_cmp_gt_i32 s7, 9
	s_cbranch_scc0 .LBB337_1744
; %bb.1743:
	v_cvt_f32_f16_e32 v5, v1
	v_mov_b32_e32 v16, 0
	v_mov_b32_e32 v17, v16
	s_mov_b64 s[0:1], 0
	v_cvt_f64_f32_e32 v[14:15], v5
	global_store_dwordx4 v[6:7], v[14:17], off
.LBB337_1744:
	s_andn2_b64 vcc, exec, s[0:1]
	s_cbranch_vccnz .LBB337_1746
; %bb.1745:
	v_cvt_f32_f16_e32 v8, v1
	v_mov_b32_e32 v9, 0
	global_store_dwordx2 v[6:7], v[8:9], off
.LBB337_1746:
	s_mov_b64 s[0:1], 0
.LBB337_1747:
	s_andn2_b64 vcc, exec, s[0:1]
	s_cbranch_vccnz .LBB337_1749
; %bb.1748:
	v_and_b32_e32 v5, 0xffff, v1
	global_store_dword v[6:7], v5, off
.LBB337_1749:
	s_mov_b64 s[0:1], 0
.LBB337_1750:
	s_andn2_b64 vcc, exec, s[0:1]
	s_cbranch_vccnz .LBB337_1759
; %bb.1751:
	s_cmp_lt_i32 s7, 6
	s_mov_b64 s[0:1], -1
	s_cbranch_scc1 .LBB337_1757
; %bb.1752:
	s_cmp_gt_i32 s7, 6
	s_cbranch_scc0 .LBB337_1754
; %bb.1753:
	v_cvt_f32_f16_e32 v5, v1
	s_mov_b64 s[0:1], 0
	v_cvt_f64_f32_e32 v[8:9], v5
	global_store_dwordx2 v[6:7], v[8:9], off
.LBB337_1754:
	s_andn2_b64 vcc, exec, s[0:1]
	s_cbranch_vccnz .LBB337_1756
; %bb.1755:
	v_cvt_f32_f16_e32 v5, v1
	global_store_dword v[6:7], v5, off
.LBB337_1756:
	s_mov_b64 s[0:1], 0
.LBB337_1757:
	s_andn2_b64 vcc, exec, s[0:1]
	s_cbranch_vccnz .LBB337_1759
; %bb.1758:
	global_store_short v[6:7], v1, off
.LBB337_1759:
	s_mov_b64 s[0:1], 0
.LBB337_1760:
	s_andn2_b64 vcc, exec, s[0:1]
	s_cbranch_vccnz .LBB337_1776
; %bb.1761:
	s_cmp_lt_i32 s7, 2
	s_mov_b64 s[0:1], -1
	s_cbranch_scc1 .LBB337_1771
; %bb.1762:
	s_cmp_lt_i32 s7, 3
	s_cbranch_scc1 .LBB337_1768
; %bb.1763:
	s_cmp_gt_i32 s7, 3
	s_cbranch_scc0 .LBB337_1765
; %bb.1764:
	v_cvt_f32_f16_e32 v5, v1
	s_mov_b64 s[0:1], 0
	v_cvt_i32_f32_e32 v8, v5
	v_ashrrev_i32_e32 v9, 31, v8
	global_store_dwordx2 v[6:7], v[8:9], off
.LBB337_1765:
	s_andn2_b64 vcc, exec, s[0:1]
	s_cbranch_vccnz .LBB337_1767
; %bb.1766:
	v_cvt_f32_f16_e32 v5, v1
	v_cvt_i32_f32_e32 v5, v5
	global_store_dword v[6:7], v5, off
.LBB337_1767:
	s_mov_b64 s[0:1], 0
.LBB337_1768:
	s_andn2_b64 vcc, exec, s[0:1]
	s_cbranch_vccnz .LBB337_1770
; %bb.1769:
	v_cvt_i16_f16_e32 v5, v1
	global_store_short v[6:7], v5, off
.LBB337_1770:
	s_mov_b64 s[0:1], 0
.LBB337_1771:
	s_andn2_b64 vcc, exec, s[0:1]
	s_cbranch_vccnz .LBB337_1776
; %bb.1772:
	s_cmp_gt_i32 s7, 0
	s_mov_b64 s[0:1], -1
	s_cbranch_scc0 .LBB337_1774
; %bb.1773:
	v_cvt_i16_f16_e32 v5, v1
	global_store_byte v[6:7], v5, off
	s_mov_b64 s[0:1], 0
.LBB337_1774:
	s_andn2_b64 vcc, exec, s[0:1]
	s_cbranch_vccnz .LBB337_1776
; %bb.1775:
	v_cvt_f32_f16_e32 v1, v1
	v_cvt_i32_f32_e32 v1, v1
	global_store_byte v[6:7], v1, off
.LBB337_1776:
	s_mov_b64 s[10:11], -1
.LBB337_1777:
	s_andn2_b64 vcc, exec, s[10:11]
	s_cbranch_vccnz .LBB337_2092
; %bb.1778:
	v_mov_b32_e32 v1, s6
	v_cmp_lt_f16_e32 vcc, s6, v3
	v_mov_b32_e32 v5, s17
	s_and_b32 s18, 0xffff, s16
	v_cndmask_b32_e32 v1, v1, v3, vcc
	v_cmp_gt_f16_e32 vcc, s17, v1
	s_cmp_lt_i32 s18, 11
	s_nop 0
	v_cndmask_b32_e32 v1, v5, v1, vcc
	v_cmp_u_f16_e32 vcc, v3, v3
	v_mov_b32_e32 v5, 0
	v_lshl_add_u64 v[4:5], s[4:5], 0, v[4:5]
	v_cndmask_b32_e32 v1, v1, v3, vcc
	s_cbranch_scc1 .LBB337_1856
; %bb.1779:
	s_mov_b64 s[12:13], -1
	s_mov_b64 s[8:9], 0
	s_cmp_gt_i32 s18, 25
	s_mov_b64 s[10:11], 0
	s_mov_b64 s[0:1], 0
	s_cbranch_scc0 .LBB337_1812
; %bb.1780:
	s_cmp_gt_i32 s18, 28
	s_cbranch_scc0 .LBB337_1795
; %bb.1781:
	s_cmp_gt_i32 s18, 43
	s_cbranch_scc0 .LBB337_1791
; %bb.1782:
	s_cmp_gt_i32 s18, 45
	s_cbranch_scc0 .LBB337_1785
; %bb.1783:
	s_mov_b64 s[0:1], -1
	s_mov_b64 s[12:13], 0
	s_cmp_eq_u32 s18, 46
	s_cbranch_scc0 .LBB337_1785
; %bb.1784:
	v_cvt_f32_f16_e32 v3, v1
	s_movk_i32 s0, 0x7fff
	v_cmp_o_f16_e32 vcc, v1, v1
	v_mov_b32_e32 v6, 0x7fc0
	v_bfe_u32 v7, v3, 16, 1
	v_add3_u32 v3, v3, v7, s0
	v_cndmask_b32_sdwa v3, v6, v3, vcc dst_sel:DWORD dst_unused:UNUSED_PAD src0_sel:DWORD src1_sel:WORD_1
	global_store_dword v[4:5], v3, off
	s_mov_b64 s[0:1], 0
	s_mov_b64 s[10:11], -1
.LBB337_1785:
	s_and_b64 vcc, exec, s[12:13]
	s_cbranch_vccz .LBB337_1790
; %bb.1786:
	s_cmp_eq_u32 s18, 44
	s_mov_b64 s[0:1], -1
	s_cbranch_scc0 .LBB337_1790
; %bb.1787:
	v_cvt_f32_f16_e32 v3, v1
	s_movk_i32 s0, 0xff
	v_mov_b32_e32 v7, 0xff
	v_bfe_u32 v6, v3, 23, 8
	v_cmp_ne_u32_e32 vcc, s0, v6
	s_and_saveexec_b64 s[10:11], vcc
; %bb.1788:
	s_mov_b32 s0, 0x3fffff
	v_lshrrev_b32_e32 v7, 23, v3
	v_and_b32_e32 v8, 0x400000, v3
	v_and_or_b32 v3, v3, s0, v6
	v_cmp_ne_u32_e32 vcc, 0, v8
	v_cmp_ne_u32_e64 s[0:1], 0, v3
	s_and_b64 s[0:1], vcc, s[0:1]
	s_nop 0
	v_cndmask_b32_e64 v3, 0, 1, s[0:1]
	v_add_u32_e32 v7, v7, v3
; %bb.1789:
	s_or_b64 exec, exec, s[10:11]
	s_mov_b64 s[0:1], 0
	s_mov_b64 s[10:11], -1
	global_store_byte v[4:5], v7, off
.LBB337_1790:
	s_mov_b64 s[12:13], 0
.LBB337_1791:
	s_and_b64 vcc, exec, s[12:13]
	s_cbranch_vccz .LBB337_1794
; %bb.1792:
	s_cmp_eq_u32 s18, 29
	s_mov_b64 s[0:1], -1
	s_cbranch_scc0 .LBB337_1794
; %bb.1793:
	v_cvt_f32_f16_e32 v3, v1
	v_mov_b32_e32 v7, 0
	s_mov_b64 s[0:1], 0
	s_mov_b64 s[10:11], -1
	v_cvt_u32_f32_e32 v6, v3
	global_store_dwordx2 v[4:5], v[6:7], off
.LBB337_1794:
	s_mov_b64 s[12:13], 0
.LBB337_1795:
	s_and_b64 vcc, exec, s[12:13]
	s_cbranch_vccz .LBB337_1811
; %bb.1796:
	s_cmp_lt_i32 s18, 27
	s_mov_b64 s[10:11], -1
	s_cbranch_scc1 .LBB337_1802
; %bb.1797:
	s_cmp_gt_i32 s18, 27
	s_cbranch_scc0 .LBB337_1799
; %bb.1798:
	v_cvt_f32_f16_e32 v3, v1
	s_mov_b64 s[10:11], 0
	v_cvt_u32_f32_e32 v3, v3
	global_store_dword v[4:5], v3, off
.LBB337_1799:
	s_andn2_b64 vcc, exec, s[10:11]
	s_cbranch_vccnz .LBB337_1801
; %bb.1800:
	v_cvt_u16_f16_e32 v3, v1
	global_store_short v[4:5], v3, off
.LBB337_1801:
	s_mov_b64 s[10:11], 0
.LBB337_1802:
	s_andn2_b64 vcc, exec, s[10:11]
	s_cbranch_vccnz .LBB337_1810
; %bb.1803:
	v_cvt_f32_f16_e32 v3, v1
	s_mov_b32 s7, 0x43800000
	v_mov_b32_e32 v7, 0x80
	v_and_b32_e32 v6, 0x7fffffff, v3
	v_cmp_gt_u32_e32 vcc, s7, v6
	s_and_saveexec_b64 s[10:11], vcc
	s_cbranch_execz .LBB337_1809
; %bb.1804:
	s_mov_b32 s7, 0x3bffffff
	v_cmp_lt_u32_e32 vcc, s7, v6
	s_mov_b64 s[12:13], 0
                                        ; implicit-def: $vgpr6
	s_and_saveexec_b64 s[14:15], vcc
	s_xor_b64 s[14:15], exec, s[14:15]
	s_cbranch_execz .LBB337_2144
; %bb.1805:
	v_bfe_u32 v6, v3, 20, 1
	s_mov_b32 s7, 0x487ffff
	v_add3_u32 v6, v3, v6, s7
	s_mov_b64 s[12:13], exec
	v_lshrrev_b32_e32 v6, 20, v6
	s_andn2_saveexec_b64 s[14:15], s[14:15]
	s_cbranch_execnz .LBB337_2145
.LBB337_1806:
	s_or_b64 exec, exec, s[14:15]
	v_mov_b32_e32 v7, 0
	s_and_saveexec_b64 s[14:15], s[12:13]
.LBB337_1807:
	v_lshrrev_b32_e32 v3, 24, v3
	s_movk_i32 s7, 0x80
	v_and_or_b32 v7, v3, s7, v6
.LBB337_1808:
	s_or_b64 exec, exec, s[14:15]
.LBB337_1809:
	s_or_b64 exec, exec, s[10:11]
	global_store_byte v[4:5], v7, off
.LBB337_1810:
	s_mov_b64 s[10:11], -1
.LBB337_1811:
	s_mov_b64 s[12:13], 0
.LBB337_1812:
	s_and_b64 vcc, exec, s[12:13]
	s_cbranch_vccz .LBB337_1852
; %bb.1813:
	s_cmp_gt_i32 s18, 22
	s_mov_b64 s[8:9], -1
	s_cbranch_scc0 .LBB337_1845
; %bb.1814:
	s_cmp_lt_i32 s18, 24
	s_cbranch_scc1 .LBB337_1834
; %bb.1815:
	s_cmp_gt_i32 s18, 24
	s_cbranch_scc0 .LBB337_1823
; %bb.1816:
	v_cvt_f32_f16_e32 v3, v1
	s_mov_b32 s7, 0x47800000
	v_mov_b32_e32 v7, 0x80
	v_and_b32_e32 v6, 0x7fffffff, v3
	v_cmp_gt_u32_e32 vcc, s7, v6
	s_and_saveexec_b64 s[8:9], vcc
	s_cbranch_execz .LBB337_1822
; %bb.1817:
	s_mov_b32 s7, 0x37ffffff
	v_cmp_lt_u32_e32 vcc, s7, v6
	s_mov_b64 s[10:11], 0
                                        ; implicit-def: $vgpr6
	s_and_saveexec_b64 s[12:13], vcc
	s_xor_b64 s[12:13], exec, s[12:13]
	s_cbranch_execz .LBB337_2147
; %bb.1818:
	v_bfe_u32 v6, v3, 21, 1
	s_mov_b32 s7, 0x88fffff
	v_add3_u32 v6, v3, v6, s7
	s_mov_b64 s[10:11], exec
	v_lshrrev_b32_e32 v6, 21, v6
	s_andn2_saveexec_b64 s[12:13], s[12:13]
	s_cbranch_execnz .LBB337_2148
.LBB337_1819:
	s_or_b64 exec, exec, s[12:13]
	v_mov_b32_e32 v7, 0
	s_and_saveexec_b64 s[12:13], s[10:11]
.LBB337_1820:
	v_lshrrev_b32_e32 v3, 24, v3
	s_movk_i32 s7, 0x80
	v_and_or_b32 v7, v3, s7, v6
.LBB337_1821:
	s_or_b64 exec, exec, s[12:13]
.LBB337_1822:
	s_or_b64 exec, exec, s[8:9]
	s_mov_b64 s[8:9], 0
	global_store_byte v[4:5], v7, off
.LBB337_1823:
	s_and_b64 vcc, exec, s[8:9]
	s_cbranch_vccz .LBB337_1833
; %bb.1824:
	v_cvt_f32_f16_e32 v3, v1
	s_mov_b32 s7, 0x43f00000
                                        ; implicit-def: $vgpr6
	v_and_b32_e32 v7, 0x7fffffff, v3
	v_cmp_gt_u32_e32 vcc, s7, v7
	s_and_saveexec_b64 s[8:9], vcc
	s_xor_b64 s[8:9], exec, s[8:9]
	s_cbranch_execz .LBB337_1830
; %bb.1825:
	s_mov_b32 s7, 0x3c7fffff
	v_cmp_lt_u32_e32 vcc, s7, v7
                                        ; implicit-def: $vgpr6
	s_and_saveexec_b64 s[10:11], vcc
	s_xor_b64 s[10:11], exec, s[10:11]
; %bb.1826:
	v_bfe_u32 v6, v3, 20, 1
	s_mov_b32 s7, 0x407ffff
	v_add3_u32 v6, v3, v6, s7
	v_lshrrev_b32_e32 v7, 20, v6
	v_and_b32_e32 v6, 0xff00000, v6
	s_mov_b32 s7, 0x7f00000
	v_mov_b32_e32 v8, 0x7e
	v_cmp_ne_u32_e32 vcc, s7, v6
	s_nop 1
	v_cndmask_b32_e32 v6, v8, v7, vcc
; %bb.1827:
	s_andn2_saveexec_b64 s[10:11], s[10:11]
; %bb.1828:
	s_mov_b32 s7, 0x46800000
	v_add_f32_e64 v6, |v3|, s7
; %bb.1829:
	s_or_b64 exec, exec, s[10:11]
                                        ; implicit-def: $vgpr7
.LBB337_1830:
	s_andn2_saveexec_b64 s[8:9], s[8:9]
; %bb.1831:
	s_mov_b32 s7, 0x7f800000
	v_mov_b32_e32 v6, 0x7e
	v_mov_b32_e32 v8, 0x7f
	v_cmp_lt_u32_e32 vcc, s7, v7
	s_nop 1
	v_cndmask_b32_e32 v6, v6, v8, vcc
; %bb.1832:
	s_or_b64 exec, exec, s[8:9]
	v_lshrrev_b32_e32 v3, 24, v3
	s_movk_i32 s7, 0x80
	v_and_or_b32 v3, v3, s7, v6
	global_store_byte v[4:5], v3, off
.LBB337_1833:
	s_mov_b64 s[8:9], 0
.LBB337_1834:
	s_andn2_b64 vcc, exec, s[8:9]
	s_cbranch_vccnz .LBB337_1844
; %bb.1835:
	v_cvt_f32_f16_e32 v3, v1
	s_mov_b32 s7, 0x47800000
                                        ; implicit-def: $vgpr6
	v_and_b32_e32 v7, 0x7fffffff, v3
	v_cmp_gt_u32_e32 vcc, s7, v7
	s_and_saveexec_b64 s[8:9], vcc
	s_xor_b64 s[8:9], exec, s[8:9]
	s_cbranch_execz .LBB337_1841
; %bb.1836:
	s_mov_b32 s7, 0x387fffff
	v_cmp_lt_u32_e32 vcc, s7, v7
                                        ; implicit-def: $vgpr6
	s_and_saveexec_b64 s[10:11], vcc
	s_xor_b64 s[10:11], exec, s[10:11]
; %bb.1837:
	v_bfe_u32 v6, v3, 21, 1
	s_mov_b32 s7, 0x80fffff
	v_add3_u32 v6, v3, v6, s7
	v_lshrrev_b32_e32 v6, 21, v6
; %bb.1838:
	s_andn2_saveexec_b64 s[10:11], s[10:11]
; %bb.1839:
	s_mov_b32 s7, 0x43000000
	v_add_f32_e64 v6, |v3|, s7
; %bb.1840:
	s_or_b64 exec, exec, s[10:11]
                                        ; implicit-def: $vgpr7
.LBB337_1841:
	s_andn2_saveexec_b64 s[8:9], s[8:9]
; %bb.1842:
	s_mov_b32 s7, 0x7f800000
	v_mov_b32_e32 v6, 0x7c
	v_mov_b32_e32 v8, 0x7f
	v_cmp_lt_u32_e32 vcc, s7, v7
	s_nop 1
	v_cndmask_b32_e32 v6, v6, v8, vcc
; %bb.1843:
	s_or_b64 exec, exec, s[8:9]
	v_lshrrev_b32_e32 v3, 24, v3
	s_movk_i32 s7, 0x80
	v_and_or_b32 v3, v3, s7, v6
	global_store_byte v[4:5], v3, off
.LBB337_1844:
	s_mov_b64 s[8:9], 0
	s_mov_b64 s[10:11], -1
.LBB337_1845:
	s_andn2_b64 vcc, exec, s[8:9]
	s_mov_b64 s[8:9], 0
	s_cbranch_vccnz .LBB337_1852
; %bb.1846:
	s_cmp_gt_i32 s18, 14
	s_mov_b64 s[12:13], -1
	s_cbranch_scc0 .LBB337_1850
; %bb.1847:
	s_cmp_eq_u32 s18, 15
	s_mov_b64 s[0:1], -1
	s_cbranch_scc0 .LBB337_1849
; %bb.1848:
	v_cvt_f32_f16_e32 v3, v1
	s_movk_i32 s0, 0x7fff
	v_cmp_o_f16_e32 vcc, v1, v1
	v_mov_b32_e32 v6, 0x7fc0
	v_bfe_u32 v7, v3, 16, 1
	v_add3_u32 v3, v3, v7, s0
	v_cndmask_b32_sdwa v3, v6, v3, vcc dst_sel:DWORD dst_unused:UNUSED_PAD src0_sel:DWORD src1_sel:WORD_1
	global_store_short v[4:5], v3, off
	s_mov_b64 s[0:1], 0
	s_mov_b64 s[10:11], -1
.LBB337_1849:
	s_mov_b64 s[12:13], 0
.LBB337_1850:
	s_and_b64 vcc, exec, s[12:13]
	s_cbranch_vccz .LBB337_1852
; %bb.1851:
	s_cmp_lg_u32 s18, 11
	s_mov_b64 s[8:9], -1
	s_cselect_b64 s[0:1], -1, 0
.LBB337_1852:
	s_and_b64 vcc, exec, s[0:1]
	s_cbranch_vccnz .LBB337_2146
; %bb.1853:
	s_andn2_b64 vcc, exec, s[8:9]
	s_cbranch_vccnz .LBB337_1855
.LBB337_1854:
	v_and_b32_e32 v3, 0x7fff, v1
	v_cmp_ne_u16_e32 vcc, 0, v3
	s_mov_b64 s[10:11], -1
	s_nop 0
	v_cndmask_b32_e64 v3, 0, 1, vcc
	global_store_byte v[4:5], v3, off
.LBB337_1855:
	s_mov_b64 s[0:1], 0
	s_branch .LBB337_1857
.LBB337_1856:
	s_mov_b64 s[0:1], -1
	s_mov_b64 s[10:11], 0
.LBB337_1857:
	s_and_b64 vcc, exec, s[0:1]
	s_cbranch_vccz .LBB337_1896
; %bb.1858:
	s_cmp_lt_i32 s18, 5
	s_mov_b64 s[0:1], -1
	s_cbranch_scc1 .LBB337_1879
; %bb.1859:
	s_cmp_lt_i32 s18, 8
	s_cbranch_scc1 .LBB337_1869
; %bb.1860:
	s_cmp_lt_i32 s18, 9
	s_cbranch_scc1 .LBB337_1866
; %bb.1861:
	s_cmp_gt_i32 s18, 9
	s_cbranch_scc0 .LBB337_1863
; %bb.1862:
	v_cvt_f32_f16_e32 v3, v1
	v_mov_b32_e32 v8, 0
	v_mov_b32_e32 v9, v8
	s_mov_b64 s[0:1], 0
	v_cvt_f64_f32_e32 v[6:7], v3
	global_store_dwordx4 v[4:5], v[6:9], off
.LBB337_1863:
	s_andn2_b64 vcc, exec, s[0:1]
	s_cbranch_vccnz .LBB337_1865
; %bb.1864:
	v_cvt_f32_f16_e32 v6, v1
	v_mov_b32_e32 v7, 0
	global_store_dwordx2 v[4:5], v[6:7], off
.LBB337_1865:
	s_mov_b64 s[0:1], 0
.LBB337_1866:
	s_andn2_b64 vcc, exec, s[0:1]
	s_cbranch_vccnz .LBB337_1868
; %bb.1867:
	v_and_b32_e32 v3, 0xffff, v1
	global_store_dword v[4:5], v3, off
.LBB337_1868:
	s_mov_b64 s[0:1], 0
.LBB337_1869:
	s_andn2_b64 vcc, exec, s[0:1]
	s_cbranch_vccnz .LBB337_1878
; %bb.1870:
	s_cmp_lt_i32 s18, 6
	s_mov_b64 s[0:1], -1
	s_cbranch_scc1 .LBB337_1876
; %bb.1871:
	s_cmp_gt_i32 s18, 6
	s_cbranch_scc0 .LBB337_1873
; %bb.1872:
	v_cvt_f32_f16_e32 v3, v1
	s_mov_b64 s[0:1], 0
	v_cvt_f64_f32_e32 v[6:7], v3
	global_store_dwordx2 v[4:5], v[6:7], off
.LBB337_1873:
	s_andn2_b64 vcc, exec, s[0:1]
	s_cbranch_vccnz .LBB337_1875
; %bb.1874:
	v_cvt_f32_f16_e32 v3, v1
	global_store_dword v[4:5], v3, off
.LBB337_1875:
	s_mov_b64 s[0:1], 0
.LBB337_1876:
	s_andn2_b64 vcc, exec, s[0:1]
	s_cbranch_vccnz .LBB337_1878
; %bb.1877:
	global_store_short v[4:5], v1, off
.LBB337_1878:
	s_mov_b64 s[0:1], 0
.LBB337_1879:
	s_andn2_b64 vcc, exec, s[0:1]
	s_cbranch_vccnz .LBB337_1895
; %bb.1880:
	s_cmp_lt_i32 s18, 2
	s_mov_b64 s[0:1], -1
	s_cbranch_scc1 .LBB337_1890
; %bb.1881:
	s_cmp_lt_i32 s18, 3
	s_cbranch_scc1 .LBB337_1887
; %bb.1882:
	s_cmp_gt_i32 s18, 3
	s_cbranch_scc0 .LBB337_1884
; %bb.1883:
	v_cvt_f32_f16_e32 v3, v1
	s_mov_b64 s[0:1], 0
	v_cvt_i32_f32_e32 v6, v3
	v_ashrrev_i32_e32 v7, 31, v6
	global_store_dwordx2 v[4:5], v[6:7], off
.LBB337_1884:
	s_andn2_b64 vcc, exec, s[0:1]
	s_cbranch_vccnz .LBB337_1886
; %bb.1885:
	v_cvt_f32_f16_e32 v3, v1
	v_cvt_i32_f32_e32 v3, v3
	global_store_dword v[4:5], v3, off
.LBB337_1886:
	s_mov_b64 s[0:1], 0
.LBB337_1887:
	s_andn2_b64 vcc, exec, s[0:1]
	s_cbranch_vccnz .LBB337_1889
; %bb.1888:
	v_cvt_i16_f16_e32 v3, v1
	global_store_short v[4:5], v3, off
.LBB337_1889:
	s_mov_b64 s[0:1], 0
.LBB337_1890:
	s_andn2_b64 vcc, exec, s[0:1]
	s_cbranch_vccnz .LBB337_1895
; %bb.1891:
	s_cmp_gt_i32 s18, 0
	s_mov_b64 s[0:1], -1
	s_cbranch_scc0 .LBB337_1893
; %bb.1892:
	v_cvt_i16_f16_e32 v3, v1
	global_store_byte v[4:5], v3, off
	s_mov_b64 s[0:1], 0
.LBB337_1893:
	s_andn2_b64 vcc, exec, s[0:1]
	s_cbranch_vccnz .LBB337_1895
; %bb.1894:
	v_cvt_f32_f16_e32 v1, v1
	v_cvt_i32_f32_e32 v1, v1
	global_store_byte v[4:5], v1, off
.LBB337_1895:
	s_mov_b64 s[10:11], -1
.LBB337_1896:
	s_andn2_b64 vcc, exec, s[10:11]
	s_cbranch_vccnz .LBB337_2092
; %bb.1897:
	v_mov_b32_e32 v1, s6
	v_cmp_lt_f16_e32 vcc, s6, v12
	v_mov_b32_e32 v3, s17
	s_cmp_lt_i32 s18, 11
	v_cndmask_b32_e32 v1, v1, v12, vcc
	v_cmp_gt_f16_e32 vcc, s17, v1
	s_nop 1
	v_cndmask_b32_e32 v1, v3, v1, vcc
	v_cmp_u_f16_e32 vcc, v12, v12
	v_mov_b32_e32 v3, 0
	v_lshl_add_u64 v[2:3], s[4:5], 0, v[2:3]
	v_cndmask_b32_e32 v1, v1, v12, vcc
	s_cbranch_scc1 .LBB337_1975
; %bb.1898:
	s_mov_b64 s[12:13], -1
	s_mov_b64 s[8:9], 0
	s_cmp_gt_i32 s18, 25
	s_mov_b64 s[10:11], 0
	s_mov_b64 s[0:1], 0
	s_cbranch_scc0 .LBB337_1931
; %bb.1899:
	s_cmp_gt_i32 s18, 28
	s_cbranch_scc0 .LBB337_1914
; %bb.1900:
	s_cmp_gt_i32 s18, 43
	;; [unrolled: 3-line block ×3, first 2 shown]
	s_cbranch_scc0 .LBB337_1904
; %bb.1902:
	s_mov_b64 s[0:1], -1
	s_mov_b64 s[12:13], 0
	s_cmp_eq_u32 s18, 46
	s_cbranch_scc0 .LBB337_1904
; %bb.1903:
	v_cvt_f32_f16_e32 v4, v1
	s_movk_i32 s0, 0x7fff
	v_cmp_o_f16_e32 vcc, v1, v1
	v_mov_b32_e32 v5, 0x7fc0
	v_bfe_u32 v6, v4, 16, 1
	v_add3_u32 v4, v4, v6, s0
	v_cndmask_b32_sdwa v4, v5, v4, vcc dst_sel:DWORD dst_unused:UNUSED_PAD src0_sel:DWORD src1_sel:WORD_1
	global_store_dword v[2:3], v4, off
	s_mov_b64 s[0:1], 0
	s_mov_b64 s[10:11], -1
.LBB337_1904:
	s_and_b64 vcc, exec, s[12:13]
	s_cbranch_vccz .LBB337_1909
; %bb.1905:
	s_cmp_eq_u32 s18, 44
	s_mov_b64 s[0:1], -1
	s_cbranch_scc0 .LBB337_1909
; %bb.1906:
	v_cvt_f32_f16_e32 v4, v1
	s_movk_i32 s0, 0xff
	v_mov_b32_e32 v6, 0xff
	v_bfe_u32 v5, v4, 23, 8
	v_cmp_ne_u32_e32 vcc, s0, v5
	s_and_saveexec_b64 s[10:11], vcc
; %bb.1907:
	s_mov_b32 s0, 0x3fffff
	v_lshrrev_b32_e32 v6, 23, v4
	v_and_b32_e32 v7, 0x400000, v4
	v_and_or_b32 v4, v4, s0, v5
	v_cmp_ne_u32_e32 vcc, 0, v7
	v_cmp_ne_u32_e64 s[0:1], 0, v4
	s_and_b64 s[0:1], vcc, s[0:1]
	s_nop 0
	v_cndmask_b32_e64 v4, 0, 1, s[0:1]
	v_add_u32_e32 v6, v6, v4
; %bb.1908:
	s_or_b64 exec, exec, s[10:11]
	s_mov_b64 s[0:1], 0
	s_mov_b64 s[10:11], -1
	global_store_byte v[2:3], v6, off
.LBB337_1909:
	s_mov_b64 s[12:13], 0
.LBB337_1910:
	s_and_b64 vcc, exec, s[12:13]
	s_cbranch_vccz .LBB337_1913
; %bb.1911:
	s_cmp_eq_u32 s18, 29
	s_mov_b64 s[0:1], -1
	s_cbranch_scc0 .LBB337_1913
; %bb.1912:
	v_cvt_f32_f16_e32 v4, v1
	v_mov_b32_e32 v5, 0
	s_mov_b64 s[0:1], 0
	s_mov_b64 s[10:11], -1
	v_cvt_u32_f32_e32 v4, v4
	global_store_dwordx2 v[2:3], v[4:5], off
.LBB337_1913:
	s_mov_b64 s[12:13], 0
.LBB337_1914:
	s_and_b64 vcc, exec, s[12:13]
	s_cbranch_vccz .LBB337_1930
; %bb.1915:
	s_cmp_lt_i32 s18, 27
	s_mov_b64 s[10:11], -1
	s_cbranch_scc1 .LBB337_1921
; %bb.1916:
	s_cmp_gt_i32 s18, 27
	s_cbranch_scc0 .LBB337_1918
; %bb.1917:
	v_cvt_f32_f16_e32 v4, v1
	s_mov_b64 s[10:11], 0
	v_cvt_u32_f32_e32 v4, v4
	global_store_dword v[2:3], v4, off
.LBB337_1918:
	s_andn2_b64 vcc, exec, s[10:11]
	s_cbranch_vccnz .LBB337_1920
; %bb.1919:
	v_cvt_u16_f16_e32 v4, v1
	global_store_short v[2:3], v4, off
.LBB337_1920:
	s_mov_b64 s[10:11], 0
.LBB337_1921:
	s_andn2_b64 vcc, exec, s[10:11]
	s_cbranch_vccnz .LBB337_1929
; %bb.1922:
	v_cvt_f32_f16_e32 v4, v1
	s_mov_b32 s7, 0x43800000
	v_mov_b32_e32 v6, 0x80
	v_and_b32_e32 v5, 0x7fffffff, v4
	v_cmp_gt_u32_e32 vcc, s7, v5
	s_and_saveexec_b64 s[10:11], vcc
	s_cbranch_execz .LBB337_1928
; %bb.1923:
	s_mov_b32 s7, 0x3bffffff
	v_cmp_lt_u32_e32 vcc, s7, v5
	s_mov_b64 s[12:13], 0
                                        ; implicit-def: $vgpr5
	s_and_saveexec_b64 s[14:15], vcc
	s_xor_b64 s[14:15], exec, s[14:15]
	s_cbranch_execz .LBB337_2149
; %bb.1924:
	v_bfe_u32 v5, v4, 20, 1
	s_mov_b32 s7, 0x487ffff
	v_add3_u32 v5, v4, v5, s7
	s_mov_b64 s[12:13], exec
	v_lshrrev_b32_e32 v5, 20, v5
	s_andn2_saveexec_b64 s[14:15], s[14:15]
	s_cbranch_execnz .LBB337_2150
.LBB337_1925:
	s_or_b64 exec, exec, s[14:15]
	v_mov_b32_e32 v6, 0
	s_and_saveexec_b64 s[14:15], s[12:13]
.LBB337_1926:
	v_lshrrev_b32_e32 v4, 24, v4
	s_movk_i32 s7, 0x80
	v_and_or_b32 v6, v4, s7, v5
.LBB337_1927:
	s_or_b64 exec, exec, s[14:15]
.LBB337_1928:
	s_or_b64 exec, exec, s[10:11]
	global_store_byte v[2:3], v6, off
.LBB337_1929:
	s_mov_b64 s[10:11], -1
.LBB337_1930:
	s_mov_b64 s[12:13], 0
.LBB337_1931:
	s_and_b64 vcc, exec, s[12:13]
	s_cbranch_vccz .LBB337_1971
; %bb.1932:
	s_cmp_gt_i32 s18, 22
	s_mov_b64 s[8:9], -1
	s_cbranch_scc0 .LBB337_1964
; %bb.1933:
	s_cmp_lt_i32 s18, 24
	s_cbranch_scc1 .LBB337_1953
; %bb.1934:
	s_cmp_gt_i32 s18, 24
	s_cbranch_scc0 .LBB337_1942
; %bb.1935:
	v_cvt_f32_f16_e32 v4, v1
	s_mov_b32 s7, 0x47800000
	v_mov_b32_e32 v6, 0x80
	v_and_b32_e32 v5, 0x7fffffff, v4
	v_cmp_gt_u32_e32 vcc, s7, v5
	s_and_saveexec_b64 s[8:9], vcc
	s_cbranch_execz .LBB337_1941
; %bb.1936:
	s_mov_b32 s7, 0x37ffffff
	v_cmp_lt_u32_e32 vcc, s7, v5
	s_mov_b64 s[10:11], 0
                                        ; implicit-def: $vgpr5
	s_and_saveexec_b64 s[12:13], vcc
	s_xor_b64 s[12:13], exec, s[12:13]
	s_cbranch_execz .LBB337_2152
; %bb.1937:
	v_bfe_u32 v5, v4, 21, 1
	s_mov_b32 s7, 0x88fffff
	v_add3_u32 v5, v4, v5, s7
	s_mov_b64 s[10:11], exec
	v_lshrrev_b32_e32 v5, 21, v5
	s_andn2_saveexec_b64 s[12:13], s[12:13]
	s_cbranch_execnz .LBB337_2153
.LBB337_1938:
	s_or_b64 exec, exec, s[12:13]
	v_mov_b32_e32 v6, 0
	s_and_saveexec_b64 s[12:13], s[10:11]
.LBB337_1939:
	v_lshrrev_b32_e32 v4, 24, v4
	s_movk_i32 s7, 0x80
	v_and_or_b32 v6, v4, s7, v5
.LBB337_1940:
	s_or_b64 exec, exec, s[12:13]
.LBB337_1941:
	s_or_b64 exec, exec, s[8:9]
	s_mov_b64 s[8:9], 0
	global_store_byte v[2:3], v6, off
.LBB337_1942:
	s_and_b64 vcc, exec, s[8:9]
	s_cbranch_vccz .LBB337_1952
; %bb.1943:
	v_cvt_f32_f16_e32 v4, v1
	s_mov_b32 s7, 0x43f00000
                                        ; implicit-def: $vgpr5
	v_and_b32_e32 v6, 0x7fffffff, v4
	v_cmp_gt_u32_e32 vcc, s7, v6
	s_and_saveexec_b64 s[8:9], vcc
	s_xor_b64 s[8:9], exec, s[8:9]
	s_cbranch_execz .LBB337_1949
; %bb.1944:
	s_mov_b32 s7, 0x3c7fffff
	v_cmp_lt_u32_e32 vcc, s7, v6
                                        ; implicit-def: $vgpr5
	s_and_saveexec_b64 s[10:11], vcc
	s_xor_b64 s[10:11], exec, s[10:11]
; %bb.1945:
	v_bfe_u32 v5, v4, 20, 1
	s_mov_b32 s7, 0x407ffff
	v_add3_u32 v5, v4, v5, s7
	v_lshrrev_b32_e32 v6, 20, v5
	v_and_b32_e32 v5, 0xff00000, v5
	s_mov_b32 s7, 0x7f00000
	v_mov_b32_e32 v7, 0x7e
	v_cmp_ne_u32_e32 vcc, s7, v5
	s_nop 1
	v_cndmask_b32_e32 v5, v7, v6, vcc
; %bb.1946:
	s_andn2_saveexec_b64 s[10:11], s[10:11]
; %bb.1947:
	s_mov_b32 s7, 0x46800000
	v_add_f32_e64 v5, |v4|, s7
; %bb.1948:
	s_or_b64 exec, exec, s[10:11]
                                        ; implicit-def: $vgpr6
.LBB337_1949:
	s_andn2_saveexec_b64 s[8:9], s[8:9]
; %bb.1950:
	s_mov_b32 s7, 0x7f800000
	v_mov_b32_e32 v5, 0x7e
	v_mov_b32_e32 v7, 0x7f
	v_cmp_lt_u32_e32 vcc, s7, v6
	s_nop 1
	v_cndmask_b32_e32 v5, v5, v7, vcc
; %bb.1951:
	s_or_b64 exec, exec, s[8:9]
	v_lshrrev_b32_e32 v4, 24, v4
	s_movk_i32 s7, 0x80
	v_and_or_b32 v4, v4, s7, v5
	global_store_byte v[2:3], v4, off
.LBB337_1952:
	s_mov_b64 s[8:9], 0
.LBB337_1953:
	s_andn2_b64 vcc, exec, s[8:9]
	s_cbranch_vccnz .LBB337_1963
; %bb.1954:
	v_cvt_f32_f16_e32 v4, v1
	s_mov_b32 s7, 0x47800000
                                        ; implicit-def: $vgpr5
	v_and_b32_e32 v6, 0x7fffffff, v4
	v_cmp_gt_u32_e32 vcc, s7, v6
	s_and_saveexec_b64 s[8:9], vcc
	s_xor_b64 s[8:9], exec, s[8:9]
	s_cbranch_execz .LBB337_1960
; %bb.1955:
	s_mov_b32 s7, 0x387fffff
	v_cmp_lt_u32_e32 vcc, s7, v6
                                        ; implicit-def: $vgpr5
	s_and_saveexec_b64 s[10:11], vcc
	s_xor_b64 s[10:11], exec, s[10:11]
; %bb.1956:
	v_bfe_u32 v5, v4, 21, 1
	s_mov_b32 s7, 0x80fffff
	v_add3_u32 v5, v4, v5, s7
	v_lshrrev_b32_e32 v5, 21, v5
; %bb.1957:
	s_andn2_saveexec_b64 s[10:11], s[10:11]
; %bb.1958:
	s_mov_b32 s7, 0x43000000
	v_add_f32_e64 v5, |v4|, s7
; %bb.1959:
	s_or_b64 exec, exec, s[10:11]
                                        ; implicit-def: $vgpr6
.LBB337_1960:
	s_andn2_saveexec_b64 s[8:9], s[8:9]
; %bb.1961:
	s_mov_b32 s7, 0x7f800000
	v_mov_b32_e32 v5, 0x7c
	v_mov_b32_e32 v7, 0x7f
	v_cmp_lt_u32_e32 vcc, s7, v6
	s_nop 1
	v_cndmask_b32_e32 v5, v5, v7, vcc
; %bb.1962:
	s_or_b64 exec, exec, s[8:9]
	v_lshrrev_b32_e32 v4, 24, v4
	s_movk_i32 s7, 0x80
	v_and_or_b32 v4, v4, s7, v5
	global_store_byte v[2:3], v4, off
.LBB337_1963:
	s_mov_b64 s[8:9], 0
	s_mov_b64 s[10:11], -1
.LBB337_1964:
	s_andn2_b64 vcc, exec, s[8:9]
	s_mov_b64 s[8:9], 0
	s_cbranch_vccnz .LBB337_1971
; %bb.1965:
	s_cmp_gt_i32 s18, 14
	s_mov_b64 s[12:13], -1
	s_cbranch_scc0 .LBB337_1969
; %bb.1966:
	s_cmp_eq_u32 s18, 15
	s_mov_b64 s[0:1], -1
	s_cbranch_scc0 .LBB337_1968
; %bb.1967:
	v_cvt_f32_f16_e32 v4, v1
	s_movk_i32 s0, 0x7fff
	v_cmp_o_f16_e32 vcc, v1, v1
	v_mov_b32_e32 v5, 0x7fc0
	v_bfe_u32 v6, v4, 16, 1
	v_add3_u32 v4, v4, v6, s0
	v_cndmask_b32_sdwa v4, v5, v4, vcc dst_sel:DWORD dst_unused:UNUSED_PAD src0_sel:DWORD src1_sel:WORD_1
	global_store_short v[2:3], v4, off
	s_mov_b64 s[0:1], 0
	s_mov_b64 s[10:11], -1
.LBB337_1968:
	s_mov_b64 s[12:13], 0
.LBB337_1969:
	s_and_b64 vcc, exec, s[12:13]
	s_cbranch_vccz .LBB337_1971
; %bb.1970:
	s_cmp_lg_u32 s18, 11
	s_mov_b64 s[8:9], -1
	s_cselect_b64 s[0:1], -1, 0
.LBB337_1971:
	s_and_b64 vcc, exec, s[0:1]
	s_cbranch_vccnz .LBB337_2151
; %bb.1972:
	s_andn2_b64 vcc, exec, s[8:9]
	s_cbranch_vccnz .LBB337_1974
.LBB337_1973:
	v_and_b32_e32 v4, 0x7fff, v1
	v_cmp_ne_u16_e32 vcc, 0, v4
	s_mov_b64 s[10:11], -1
	s_nop 0
	v_cndmask_b32_e64 v4, 0, 1, vcc
	global_store_byte v[2:3], v4, off
.LBB337_1974:
	s_mov_b64 s[0:1], 0
	s_branch .LBB337_1976
.LBB337_1975:
	s_mov_b64 s[0:1], -1
	s_mov_b64 s[10:11], 0
.LBB337_1976:
	s_and_b64 vcc, exec, s[0:1]
	s_cbranch_vccz .LBB337_2015
; %bb.1977:
	s_cmp_lt_i32 s18, 5
	s_mov_b64 s[0:1], -1
	s_cbranch_scc1 .LBB337_1998
; %bb.1978:
	s_cmp_lt_i32 s18, 8
	s_cbranch_scc1 .LBB337_1988
; %bb.1979:
	s_cmp_lt_i32 s18, 9
	s_cbranch_scc1 .LBB337_1985
; %bb.1980:
	s_cmp_gt_i32 s18, 9
	s_cbranch_scc0 .LBB337_1982
; %bb.1981:
	v_cvt_f32_f16_e32 v4, v1
	v_mov_b32_e32 v6, 0
	v_mov_b32_e32 v7, v6
	s_mov_b64 s[0:1], 0
	v_cvt_f64_f32_e32 v[4:5], v4
	global_store_dwordx4 v[2:3], v[4:7], off
.LBB337_1982:
	s_andn2_b64 vcc, exec, s[0:1]
	s_cbranch_vccnz .LBB337_1984
; %bb.1983:
	v_cvt_f32_f16_e32 v4, v1
	v_mov_b32_e32 v5, 0
	global_store_dwordx2 v[2:3], v[4:5], off
.LBB337_1984:
	s_mov_b64 s[0:1], 0
.LBB337_1985:
	s_andn2_b64 vcc, exec, s[0:1]
	s_cbranch_vccnz .LBB337_1987
; %bb.1986:
	v_and_b32_e32 v4, 0xffff, v1
	global_store_dword v[2:3], v4, off
.LBB337_1987:
	s_mov_b64 s[0:1], 0
.LBB337_1988:
	s_andn2_b64 vcc, exec, s[0:1]
	s_cbranch_vccnz .LBB337_1997
; %bb.1989:
	s_cmp_lt_i32 s18, 6
	s_mov_b64 s[0:1], -1
	s_cbranch_scc1 .LBB337_1995
; %bb.1990:
	s_cmp_gt_i32 s18, 6
	s_cbranch_scc0 .LBB337_1992
; %bb.1991:
	v_cvt_f32_f16_e32 v4, v1
	s_mov_b64 s[0:1], 0
	v_cvt_f64_f32_e32 v[4:5], v4
	global_store_dwordx2 v[2:3], v[4:5], off
.LBB337_1992:
	s_andn2_b64 vcc, exec, s[0:1]
	s_cbranch_vccnz .LBB337_1994
; %bb.1993:
	v_cvt_f32_f16_e32 v4, v1
	global_store_dword v[2:3], v4, off
.LBB337_1994:
	s_mov_b64 s[0:1], 0
.LBB337_1995:
	s_andn2_b64 vcc, exec, s[0:1]
	s_cbranch_vccnz .LBB337_1997
; %bb.1996:
	global_store_short v[2:3], v1, off
.LBB337_1997:
	s_mov_b64 s[0:1], 0
.LBB337_1998:
	s_andn2_b64 vcc, exec, s[0:1]
	s_cbranch_vccnz .LBB337_2014
; %bb.1999:
	s_cmp_lt_i32 s18, 2
	s_mov_b64 s[0:1], -1
	s_cbranch_scc1 .LBB337_2009
; %bb.2000:
	s_cmp_lt_i32 s18, 3
	s_cbranch_scc1 .LBB337_2006
; %bb.2001:
	s_cmp_gt_i32 s18, 3
	s_cbranch_scc0 .LBB337_2003
; %bb.2002:
	v_cvt_f32_f16_e32 v4, v1
	s_mov_b64 s[0:1], 0
	v_cvt_i32_f32_e32 v4, v4
	v_ashrrev_i32_e32 v5, 31, v4
	global_store_dwordx2 v[2:3], v[4:5], off
.LBB337_2003:
	s_andn2_b64 vcc, exec, s[0:1]
	s_cbranch_vccnz .LBB337_2005
; %bb.2004:
	v_cvt_f32_f16_e32 v4, v1
	v_cvt_i32_f32_e32 v4, v4
	global_store_dword v[2:3], v4, off
.LBB337_2005:
	s_mov_b64 s[0:1], 0
.LBB337_2006:
	s_andn2_b64 vcc, exec, s[0:1]
	s_cbranch_vccnz .LBB337_2008
; %bb.2007:
	v_cvt_i16_f16_e32 v4, v1
	global_store_short v[2:3], v4, off
.LBB337_2008:
	s_mov_b64 s[0:1], 0
.LBB337_2009:
	s_andn2_b64 vcc, exec, s[0:1]
	s_cbranch_vccnz .LBB337_2014
; %bb.2010:
	s_cmp_gt_i32 s18, 0
	s_mov_b64 s[0:1], -1
	s_cbranch_scc0 .LBB337_2012
; %bb.2011:
	v_cvt_i16_f16_e32 v4, v1
	global_store_byte v[2:3], v4, off
	s_mov_b64 s[0:1], 0
.LBB337_2012:
	s_andn2_b64 vcc, exec, s[0:1]
	s_cbranch_vccnz .LBB337_2014
; %bb.2013:
	v_cvt_f32_f16_e32 v1, v1
	v_cvt_i32_f32_e32 v1, v1
	global_store_byte v[2:3], v1, off
.LBB337_2014:
	s_mov_b64 s[10:11], -1
.LBB337_2015:
	s_andn2_b64 vcc, exec, s[10:11]
	s_cbranch_vccnz .LBB337_2092
; %bb.2016:
	v_mov_b32_e32 v1, s6
	v_cmp_lt_f16_e32 vcc, s6, v10
	v_mov_b32_e32 v2, s17
	s_cmp_lt_i32 s18, 11
	v_cndmask_b32_e32 v1, v1, v10, vcc
	v_cmp_gt_f16_e32 vcc, s17, v1
	s_nop 1
	v_cndmask_b32_e32 v1, v2, v1, vcc
	v_cmp_u_f16_e32 vcc, v10, v10
	s_nop 1
	v_cndmask_b32_e32 v2, v1, v10, vcc
	v_mov_b32_e32 v1, 0
	v_lshl_add_u64 v[0:1], s[4:5], 0, v[0:1]
	s_cbranch_scc1 .LBB337_2137
; %bb.2017:
	s_mov_b64 s[6:7], -1
	s_mov_b64 s[4:5], 0
	s_cmp_gt_i32 s18, 25
	s_mov_b64 s[0:1], 0
	s_cbranch_scc0 .LBB337_2050
; %bb.2018:
	s_cmp_gt_i32 s18, 28
	s_cbranch_scc0 .LBB337_2034
; %bb.2019:
	s_cmp_gt_i32 s18, 43
	;; [unrolled: 3-line block ×3, first 2 shown]
	s_cbranch_scc0 .LBB337_2024
; %bb.2021:
	s_cmp_eq_u32 s18, 46
	s_mov_b64 s[0:1], -1
	s_cbranch_scc0 .LBB337_2023
; %bb.2022:
	v_cvt_f32_f16_e32 v3, v2
	s_movk_i32 s0, 0x7fff
	v_cmp_o_f16_e32 vcc, v2, v2
	v_mov_b32_e32 v4, 0x7fc0
	v_bfe_u32 v5, v3, 16, 1
	v_add3_u32 v3, v3, v5, s0
	v_cndmask_b32_sdwa v3, v4, v3, vcc dst_sel:DWORD dst_unused:UNUSED_PAD src0_sel:DWORD src1_sel:WORD_1
	global_store_dword v[0:1], v3, off
	s_mov_b64 s[0:1], 0
.LBB337_2023:
	s_mov_b64 s[6:7], 0
.LBB337_2024:
	s_and_b64 vcc, exec, s[6:7]
	s_cbranch_vccz .LBB337_2029
; %bb.2025:
	s_cmp_eq_u32 s18, 44
	s_mov_b64 s[0:1], -1
	s_cbranch_scc0 .LBB337_2029
; %bb.2026:
	v_cvt_f32_f16_e32 v3, v2
	s_movk_i32 s0, 0xff
	v_mov_b32_e32 v5, 0xff
	v_bfe_u32 v4, v3, 23, 8
	v_cmp_ne_u32_e32 vcc, s0, v4
	s_and_saveexec_b64 s[6:7], vcc
; %bb.2027:
	s_mov_b32 s0, 0x3fffff
	v_lshrrev_b32_e32 v5, 23, v3
	v_and_b32_e32 v6, 0x400000, v3
	v_and_or_b32 v3, v3, s0, v4
	v_cmp_ne_u32_e32 vcc, 0, v6
	v_cmp_ne_u32_e64 s[0:1], 0, v3
	s_and_b64 s[0:1], vcc, s[0:1]
	s_nop 0
	v_cndmask_b32_e64 v3, 0, 1, s[0:1]
	v_add_u32_e32 v5, v5, v3
; %bb.2028:
	s_or_b64 exec, exec, s[6:7]
	s_mov_b64 s[0:1], 0
	global_store_byte v[0:1], v5, off
.LBB337_2029:
	s_mov_b64 s[6:7], 0
.LBB337_2030:
	s_and_b64 vcc, exec, s[6:7]
	s_cbranch_vccz .LBB337_2033
; %bb.2031:
	s_cmp_eq_u32 s18, 29
	s_mov_b64 s[0:1], -1
	s_cbranch_scc0 .LBB337_2033
; %bb.2032:
	v_cvt_f32_f16_e32 v3, v2
	v_mov_b32_e32 v5, 0
	s_mov_b64 s[0:1], 0
	v_cvt_u32_f32_e32 v4, v3
	global_store_dwordx2 v[0:1], v[4:5], off
.LBB337_2033:
	s_mov_b64 s[6:7], 0
.LBB337_2034:
	s_and_b64 vcc, exec, s[6:7]
	s_cbranch_vccz .LBB337_2049
; %bb.2035:
	s_cmp_lt_i32 s18, 27
	s_mov_b64 s[6:7], -1
	s_cbranch_scc1 .LBB337_2041
; %bb.2036:
	s_cmp_gt_i32 s18, 27
	s_cbranch_scc0 .LBB337_2038
; %bb.2037:
	v_cvt_f32_f16_e32 v3, v2
	s_mov_b64 s[6:7], 0
	v_cvt_u32_f32_e32 v3, v3
	global_store_dword v[0:1], v3, off
.LBB337_2038:
	s_andn2_b64 vcc, exec, s[6:7]
	s_cbranch_vccnz .LBB337_2040
; %bb.2039:
	v_cvt_u16_f16_e32 v3, v2
	global_store_short v[0:1], v3, off
.LBB337_2040:
	s_mov_b64 s[6:7], 0
.LBB337_2041:
	s_andn2_b64 vcc, exec, s[6:7]
	s_cbranch_vccnz .LBB337_2049
; %bb.2042:
	v_cvt_f32_f16_e32 v3, v2
	s_mov_b32 s6, 0x43800000
	v_mov_b32_e32 v5, 0x80
	v_and_b32_e32 v4, 0x7fffffff, v3
	v_cmp_gt_u32_e32 vcc, s6, v4
	s_and_saveexec_b64 s[6:7], vcc
	s_cbranch_execz .LBB337_2048
; %bb.2043:
	s_mov_b32 s8, 0x3bffffff
	v_cmp_lt_u32_e32 vcc, s8, v4
	s_mov_b64 s[8:9], 0
                                        ; implicit-def: $vgpr4
	s_and_saveexec_b64 s[10:11], vcc
	s_xor_b64 s[10:11], exec, s[10:11]
	s_cbranch_execz .LBB337_2154
; %bb.2044:
	v_bfe_u32 v4, v3, 20, 1
	s_mov_b32 s12, 0x487ffff
	v_add3_u32 v4, v3, v4, s12
	s_mov_b64 s[8:9], exec
	v_lshrrev_b32_e32 v4, 20, v4
	s_andn2_saveexec_b64 s[10:11], s[10:11]
	s_cbranch_execnz .LBB337_2155
.LBB337_2045:
	s_or_b64 exec, exec, s[10:11]
	v_mov_b32_e32 v5, 0
	s_and_saveexec_b64 s[10:11], s[8:9]
.LBB337_2046:
	v_lshrrev_b32_e32 v3, 24, v3
	s_movk_i32 s8, 0x80
	v_and_or_b32 v5, v3, s8, v4
.LBB337_2047:
	s_or_b64 exec, exec, s[10:11]
.LBB337_2048:
	s_or_b64 exec, exec, s[6:7]
	global_store_byte v[0:1], v5, off
.LBB337_2049:
	s_mov_b64 s[6:7], 0
.LBB337_2050:
	s_and_b64 vcc, exec, s[6:7]
	s_cbranch_vccz .LBB337_2090
; %bb.2051:
	s_cmp_gt_i32 s18, 22
	s_mov_b64 s[4:5], -1
	s_cbranch_scc0 .LBB337_2083
; %bb.2052:
	s_cmp_lt_i32 s18, 24
	s_cbranch_scc1 .LBB337_2072
; %bb.2053:
	s_cmp_gt_i32 s18, 24
	s_cbranch_scc0 .LBB337_2061
; %bb.2054:
	v_cvt_f32_f16_e32 v3, v2
	s_mov_b32 s4, 0x47800000
	v_mov_b32_e32 v5, 0x80
	v_and_b32_e32 v4, 0x7fffffff, v3
	v_cmp_gt_u32_e32 vcc, s4, v4
	s_and_saveexec_b64 s[4:5], vcc
	s_cbranch_execz .LBB337_2060
; %bb.2055:
	s_mov_b32 s6, 0x37ffffff
	v_cmp_lt_u32_e32 vcc, s6, v4
	s_mov_b64 s[6:7], 0
                                        ; implicit-def: $vgpr4
	s_and_saveexec_b64 s[8:9], vcc
	s_xor_b64 s[8:9], exec, s[8:9]
	s_cbranch_execz .LBB337_2157
; %bb.2056:
	v_bfe_u32 v4, v3, 21, 1
	s_mov_b32 s10, 0x88fffff
	v_add3_u32 v4, v3, v4, s10
	s_mov_b64 s[6:7], exec
	v_lshrrev_b32_e32 v4, 21, v4
	s_andn2_saveexec_b64 s[8:9], s[8:9]
	s_cbranch_execnz .LBB337_2158
.LBB337_2057:
	s_or_b64 exec, exec, s[8:9]
	v_mov_b32_e32 v5, 0
	s_and_saveexec_b64 s[8:9], s[6:7]
.LBB337_2058:
	v_lshrrev_b32_e32 v3, 24, v3
	s_movk_i32 s6, 0x80
	v_and_or_b32 v5, v3, s6, v4
.LBB337_2059:
	s_or_b64 exec, exec, s[8:9]
.LBB337_2060:
	s_or_b64 exec, exec, s[4:5]
	s_mov_b64 s[4:5], 0
	global_store_byte v[0:1], v5, off
.LBB337_2061:
	s_and_b64 vcc, exec, s[4:5]
	s_cbranch_vccz .LBB337_2071
; %bb.2062:
	v_cvt_f32_f16_e32 v3, v2
	s_mov_b32 s4, 0x43f00000
                                        ; implicit-def: $vgpr4
	v_and_b32_e32 v5, 0x7fffffff, v3
	v_cmp_gt_u32_e32 vcc, s4, v5
	s_and_saveexec_b64 s[4:5], vcc
	s_xor_b64 s[4:5], exec, s[4:5]
	s_cbranch_execz .LBB337_2068
; %bb.2063:
	s_mov_b32 s6, 0x3c7fffff
	v_cmp_lt_u32_e32 vcc, s6, v5
                                        ; implicit-def: $vgpr4
	s_and_saveexec_b64 s[6:7], vcc
	s_xor_b64 s[6:7], exec, s[6:7]
; %bb.2064:
	v_bfe_u32 v4, v3, 20, 1
	s_mov_b32 s8, 0x407ffff
	v_add3_u32 v4, v3, v4, s8
	v_lshrrev_b32_e32 v5, 20, v4
	v_and_b32_e32 v4, 0xff00000, v4
	s_mov_b32 s8, 0x7f00000
	v_mov_b32_e32 v6, 0x7e
	v_cmp_ne_u32_e32 vcc, s8, v4
	s_nop 1
	v_cndmask_b32_e32 v4, v6, v5, vcc
; %bb.2065:
	s_andn2_saveexec_b64 s[6:7], s[6:7]
; %bb.2066:
	s_mov_b32 s8, 0x46800000
	v_add_f32_e64 v4, |v3|, s8
; %bb.2067:
	s_or_b64 exec, exec, s[6:7]
                                        ; implicit-def: $vgpr5
.LBB337_2068:
	s_andn2_saveexec_b64 s[4:5], s[4:5]
; %bb.2069:
	s_mov_b32 s6, 0x7f800000
	v_mov_b32_e32 v4, 0x7e
	v_mov_b32_e32 v6, 0x7f
	v_cmp_lt_u32_e32 vcc, s6, v5
	s_nop 1
	v_cndmask_b32_e32 v4, v4, v6, vcc
; %bb.2070:
	s_or_b64 exec, exec, s[4:5]
	v_lshrrev_b32_e32 v3, 24, v3
	s_movk_i32 s4, 0x80
	v_and_or_b32 v3, v3, s4, v4
	global_store_byte v[0:1], v3, off
.LBB337_2071:
	s_mov_b64 s[4:5], 0
.LBB337_2072:
	s_andn2_b64 vcc, exec, s[4:5]
	s_cbranch_vccnz .LBB337_2082
; %bb.2073:
	v_cvt_f32_f16_e32 v3, v2
	s_mov_b32 s4, 0x47800000
                                        ; implicit-def: $vgpr4
	v_and_b32_e32 v5, 0x7fffffff, v3
	v_cmp_gt_u32_e32 vcc, s4, v5
	s_and_saveexec_b64 s[4:5], vcc
	s_xor_b64 s[4:5], exec, s[4:5]
	s_cbranch_execz .LBB337_2079
; %bb.2074:
	s_mov_b32 s6, 0x387fffff
	v_cmp_lt_u32_e32 vcc, s6, v5
                                        ; implicit-def: $vgpr4
	s_and_saveexec_b64 s[6:7], vcc
	s_xor_b64 s[6:7], exec, s[6:7]
; %bb.2075:
	v_bfe_u32 v4, v3, 21, 1
	s_mov_b32 s8, 0x80fffff
	v_add3_u32 v4, v3, v4, s8
	v_lshrrev_b32_e32 v4, 21, v4
; %bb.2076:
	s_andn2_saveexec_b64 s[6:7], s[6:7]
; %bb.2077:
	s_mov_b32 s8, 0x43000000
	v_add_f32_e64 v4, |v3|, s8
; %bb.2078:
	s_or_b64 exec, exec, s[6:7]
                                        ; implicit-def: $vgpr5
.LBB337_2079:
	s_andn2_saveexec_b64 s[4:5], s[4:5]
; %bb.2080:
	s_mov_b32 s6, 0x7f800000
	v_mov_b32_e32 v4, 0x7c
	v_mov_b32_e32 v6, 0x7f
	v_cmp_lt_u32_e32 vcc, s6, v5
	s_nop 1
	v_cndmask_b32_e32 v4, v4, v6, vcc
; %bb.2081:
	s_or_b64 exec, exec, s[4:5]
	v_lshrrev_b32_e32 v3, 24, v3
	s_movk_i32 s4, 0x80
	v_and_or_b32 v3, v3, s4, v4
	global_store_byte v[0:1], v3, off
.LBB337_2082:
	s_mov_b64 s[4:5], 0
.LBB337_2083:
	s_andn2_b64 vcc, exec, s[4:5]
	s_mov_b64 s[4:5], 0
	s_cbranch_vccnz .LBB337_2090
; %bb.2084:
	s_cmp_gt_i32 s18, 14
	s_mov_b64 s[6:7], -1
	s_cbranch_scc0 .LBB337_2088
; %bb.2085:
	s_cmp_eq_u32 s18, 15
	s_mov_b64 s[0:1], -1
	s_cbranch_scc0 .LBB337_2087
; %bb.2086:
	v_cvt_f32_f16_e32 v3, v2
	s_movk_i32 s0, 0x7fff
	v_cmp_o_f16_e32 vcc, v2, v2
	v_mov_b32_e32 v4, 0x7fc0
	v_bfe_u32 v5, v3, 16, 1
	v_add3_u32 v3, v3, v5, s0
	v_cndmask_b32_sdwa v3, v4, v3, vcc dst_sel:DWORD dst_unused:UNUSED_PAD src0_sel:DWORD src1_sel:WORD_1
	global_store_short v[0:1], v3, off
	s_mov_b64 s[0:1], 0
.LBB337_2087:
	s_mov_b64 s[6:7], 0
.LBB337_2088:
	s_and_b64 vcc, exec, s[6:7]
	s_cbranch_vccz .LBB337_2090
; %bb.2089:
	s_cmp_lg_u32 s18, 11
	s_mov_b64 s[4:5], -1
	s_cselect_b64 s[0:1], -1, 0
.LBB337_2090:
	s_and_b64 vcc, exec, s[0:1]
	s_cbranch_vccnz .LBB337_2156
.LBB337_2091:
	s_mov_b64 s[0:1], 0
	s_branch .LBB337_2093
.LBB337_2092:
	s_mov_b64 s[0:1], 0
	s_mov_b64 s[4:5], 0
                                        ; implicit-def: $vgpr0_vgpr1
                                        ; implicit-def: $sgpr16
                                        ; implicit-def: $vgpr2
.LBB337_2093:
	s_and_b64 s[6:7], s[0:1], exec
	s_andn2_b64 s[0:1], s[24:25], exec
	s_and_b64 s[2:3], s[2:3], exec
	s_and_b64 s[40:41], s[4:5], exec
	s_or_b64 s[24:25], s[0:1], s[2:3]
.LBB337_2094:
	s_or_b64 exec, exec, s[26:27]
	s_and_saveexec_b64 s[0:1], s[24:25]
	s_cbranch_execz .LBB337_2097
; %bb.2095:
	; divergent unreachable
	s_or_b64 exec, exec, s[0:1]
	s_and_saveexec_b64 s[0:1], s[40:41]
	s_xor_b64 s[0:1], exec, s[0:1]
	s_cbranch_execnz .LBB337_2098
.LBB337_2096:
	s_or_b64 exec, exec, s[0:1]
	s_and_saveexec_b64 s[0:1], s[6:7]
	s_cbranch_execnz .LBB337_2099
	s_branch .LBB337_2136
.LBB337_2097:
	s_or_b64 exec, exec, s[0:1]
	s_and_saveexec_b64 s[0:1], s[40:41]
	s_xor_b64 s[0:1], exec, s[0:1]
	s_cbranch_execz .LBB337_2096
.LBB337_2098:
	s_waitcnt vmcnt(0)
	v_and_b32_e32 v3, 0x7fff, v2
	v_cmp_ne_u16_e32 vcc, 0, v3
	s_nop 1
	v_cndmask_b32_e64 v3, 0, 1, vcc
	global_store_byte v[0:1], v3, off
	s_or_b64 exec, exec, s[0:1]
	s_and_saveexec_b64 s[0:1], s[6:7]
	s_cbranch_execz .LBB337_2136
.LBB337_2099:
	s_sext_i32_i16 s2, s16
	s_cmp_lt_i32 s2, 5
	s_mov_b64 s[0:1], -1
	s_cbranch_scc1 .LBB337_2120
; %bb.2100:
	s_cmp_lt_i32 s2, 8
	s_cbranch_scc1 .LBB337_2110
; %bb.2101:
	s_cmp_lt_i32 s2, 9
	s_cbranch_scc1 .LBB337_2107
; %bb.2102:
	s_cmp_gt_i32 s2, 9
	s_cbranch_scc0 .LBB337_2104
; %bb.2103:
	s_waitcnt vmcnt(0)
	v_cvt_f32_f16_e32 v3, v2
	v_mov_b32_e32 v6, 0
	v_mov_b32_e32 v7, v6
	s_mov_b64 s[0:1], 0
	v_cvt_f64_f32_e32 v[4:5], v3
	global_store_dwordx4 v[0:1], v[4:7], off
.LBB337_2104:
	s_andn2_b64 vcc, exec, s[0:1]
	s_cbranch_vccnz .LBB337_2106
; %bb.2105:
	v_cvt_f32_f16_e32 v4, v2
	v_mov_b32_e32 v5, 0
	s_waitcnt vmcnt(0)
	global_store_dwordx2 v[0:1], v[4:5], off
.LBB337_2106:
	s_mov_b64 s[0:1], 0
.LBB337_2107:
	s_andn2_b64 vcc, exec, s[0:1]
	s_cbranch_vccnz .LBB337_2109
; %bb.2108:
	s_waitcnt vmcnt(0)
	v_and_b32_e32 v3, 0xffff, v2
	global_store_dword v[0:1], v3, off
.LBB337_2109:
	s_mov_b64 s[0:1], 0
.LBB337_2110:
	s_andn2_b64 vcc, exec, s[0:1]
	s_cbranch_vccnz .LBB337_2119
; %bb.2111:
	s_sext_i32_i16 s2, s16
	s_cmp_lt_i32 s2, 6
	s_mov_b64 s[0:1], -1
	s_cbranch_scc1 .LBB337_2117
; %bb.2112:
	s_cmp_gt_i32 s2, 6
	s_cbranch_scc0 .LBB337_2114
; %bb.2113:
	s_waitcnt vmcnt(0)
	v_cvt_f32_f16_e32 v3, v2
	s_mov_b64 s[0:1], 0
	v_cvt_f64_f32_e32 v[4:5], v3
	global_store_dwordx2 v[0:1], v[4:5], off
.LBB337_2114:
	s_andn2_b64 vcc, exec, s[0:1]
	s_cbranch_vccnz .LBB337_2116
; %bb.2115:
	s_waitcnt vmcnt(0)
	v_cvt_f32_f16_e32 v3, v2
	global_store_dword v[0:1], v3, off
.LBB337_2116:
	s_mov_b64 s[0:1], 0
.LBB337_2117:
	s_andn2_b64 vcc, exec, s[0:1]
	s_cbranch_vccnz .LBB337_2119
; %bb.2118:
	s_waitcnt vmcnt(0)
	global_store_short v[0:1], v2, off
.LBB337_2119:
	s_mov_b64 s[0:1], 0
.LBB337_2120:
	s_andn2_b64 vcc, exec, s[0:1]
	s_cbranch_vccnz .LBB337_2136
; %bb.2121:
	s_sext_i32_i16 s2, s16
	s_cmp_lt_i32 s2, 2
	s_mov_b64 s[0:1], -1
	s_cbranch_scc1 .LBB337_2131
; %bb.2122:
	s_cmp_lt_i32 s2, 3
	s_cbranch_scc1 .LBB337_2128
; %bb.2123:
	s_cmp_gt_i32 s2, 3
	s_cbranch_scc0 .LBB337_2125
; %bb.2124:
	s_waitcnt vmcnt(0)
	v_cvt_f32_f16_e32 v3, v2
	s_mov_b64 s[0:1], 0
	v_cvt_i32_f32_e32 v4, v3
	v_ashrrev_i32_e32 v5, 31, v4
	global_store_dwordx2 v[0:1], v[4:5], off
.LBB337_2125:
	s_andn2_b64 vcc, exec, s[0:1]
	s_cbranch_vccnz .LBB337_2127
; %bb.2126:
	s_waitcnt vmcnt(0)
	v_cvt_f32_f16_e32 v3, v2
	v_cvt_i32_f32_e32 v3, v3
	global_store_dword v[0:1], v3, off
.LBB337_2127:
	s_mov_b64 s[0:1], 0
.LBB337_2128:
	s_andn2_b64 vcc, exec, s[0:1]
	s_cbranch_vccnz .LBB337_2130
; %bb.2129:
	s_waitcnt vmcnt(0)
	v_cvt_i16_f16_e32 v3, v2
	global_store_short v[0:1], v3, off
.LBB337_2130:
	s_mov_b64 s[0:1], 0
.LBB337_2131:
	s_andn2_b64 vcc, exec, s[0:1]
	s_cbranch_vccnz .LBB337_2136
; %bb.2132:
	s_sext_i32_i16 s0, s16
	s_cmp_gt_i32 s0, 0
	s_mov_b64 s[0:1], -1
	s_cbranch_scc0 .LBB337_2134
; %bb.2133:
	s_waitcnt vmcnt(0)
	v_cvt_i16_f16_e32 v3, v2
	global_store_byte v[0:1], v3, off
	s_mov_b64 s[0:1], 0
.LBB337_2134:
	s_andn2_b64 vcc, exec, s[0:1]
	s_cbranch_vccnz .LBB337_2136
; %bb.2135:
	v_cvt_f32_f16_e32 v2, v2
	v_cvt_i32_f32_e32 v2, v2
	s_waitcnt vmcnt(0)
	global_store_byte v[0:1], v2, off
	s_endpgm
.LBB337_2136:
	s_endpgm
.LBB337_2137:
	s_mov_b64 s[4:5], 0
	s_mov_b64 s[0:1], -1
	s_branch .LBB337_2093
.LBB337_2138:
	s_trap 2
	s_or_b64 s[2:3], s[2:3], exec
	s_cbranch_execz .LBB337_1607
	s_branch .LBB337_1608
.LBB337_2139:
	s_andn2_saveexec_b64 s[14:15], s[14:15]
	s_cbranch_execz .LBB337_1687
.LBB337_2140:
	s_mov_b32 s18, 0x46000000
	v_add_f32_e64 v8, |v5|, s18
	v_and_b32_e32 v8, 0xff, v8
	v_cmp_ne_u32_e32 vcc, 0, v8
	s_andn2_b64 s[12:13], s[12:13], exec
	s_and_b64 s[18:19], vcc, exec
	s_or_b64 s[12:13], s[12:13], s[18:19]
	s_or_b64 exec, exec, s[14:15]
	v_mov_b32_e32 v9, 0
	s_and_saveexec_b64 s[14:15], s[12:13]
	s_cbranch_execnz .LBB337_1688
	s_branch .LBB337_1689
.LBB337_2141:
	s_trap 2
	s_or_b64 s[2:3], s[2:3], exec
	s_cbranch_execz .LBB337_1735
	s_branch .LBB337_1736
.LBB337_2142:
	s_andn2_saveexec_b64 s[12:13], s[12:13]
	s_cbranch_execz .LBB337_1700
.LBB337_2143:
	s_mov_b32 s14, 0x42800000
	v_add_f32_e64 v8, |v5|, s14
	v_and_b32_e32 v8, 0xff, v8
	v_cmp_ne_u32_e32 vcc, 0, v8
	s_andn2_b64 s[10:11], s[10:11], exec
	s_and_b64 s[14:15], vcc, exec
	s_or_b64 s[10:11], s[10:11], s[14:15]
	s_or_b64 exec, exec, s[12:13]
	v_mov_b32_e32 v9, 0
	s_and_saveexec_b64 s[12:13], s[10:11]
	s_cbranch_execnz .LBB337_1701
	s_branch .LBB337_1702
.LBB337_2144:
	s_andn2_saveexec_b64 s[14:15], s[14:15]
	s_cbranch_execz .LBB337_1806
.LBB337_2145:
	s_mov_b32 s7, 0x46000000
	v_add_f32_e64 v6, |v3|, s7
	v_and_b32_e32 v6, 0xff, v6
	v_cmp_ne_u32_e32 vcc, 0, v6
	s_andn2_b64 s[12:13], s[12:13], exec
	s_and_b64 s[20:21], vcc, exec
	s_or_b64 s[12:13], s[12:13], s[20:21]
	s_or_b64 exec, exec, s[14:15]
	v_mov_b32_e32 v7, 0
	s_and_saveexec_b64 s[14:15], s[12:13]
	s_cbranch_execnz .LBB337_1807
	s_branch .LBB337_1808
.LBB337_2146:
	s_trap 2
	s_or_b64 s[2:3], s[2:3], exec
	s_cbranch_execz .LBB337_1854
	s_branch .LBB337_1855
.LBB337_2147:
	s_andn2_saveexec_b64 s[12:13], s[12:13]
	s_cbranch_execz .LBB337_1819
.LBB337_2148:
	s_mov_b32 s7, 0x42800000
	v_add_f32_e64 v6, |v3|, s7
	v_and_b32_e32 v6, 0xff, v6
	v_cmp_ne_u32_e32 vcc, 0, v6
	s_andn2_b64 s[10:11], s[10:11], exec
	s_and_b64 s[14:15], vcc, exec
	s_or_b64 s[10:11], s[10:11], s[14:15]
	s_or_b64 exec, exec, s[12:13]
	v_mov_b32_e32 v7, 0
	s_and_saveexec_b64 s[12:13], s[10:11]
	s_cbranch_execnz .LBB337_1820
	s_branch .LBB337_1821
.LBB337_2149:
	s_andn2_saveexec_b64 s[14:15], s[14:15]
	s_cbranch_execz .LBB337_1925
.LBB337_2150:
	s_mov_b32 s7, 0x46000000
	v_add_f32_e64 v5, |v4|, s7
	v_and_b32_e32 v5, 0xff, v5
	v_cmp_ne_u32_e32 vcc, 0, v5
	s_andn2_b64 s[12:13], s[12:13], exec
	s_and_b64 s[20:21], vcc, exec
	s_or_b64 s[12:13], s[12:13], s[20:21]
	s_or_b64 exec, exec, s[14:15]
	v_mov_b32_e32 v6, 0
	s_and_saveexec_b64 s[14:15], s[12:13]
	s_cbranch_execnz .LBB337_1926
	s_branch .LBB337_1927
.LBB337_2151:
	s_trap 2
	s_or_b64 s[2:3], s[2:3], exec
	s_cbranch_execz .LBB337_1973
	s_branch .LBB337_1974
.LBB337_2152:
	s_andn2_saveexec_b64 s[12:13], s[12:13]
	s_cbranch_execz .LBB337_1938
.LBB337_2153:
	s_mov_b32 s7, 0x42800000
	v_add_f32_e64 v5, |v4|, s7
	v_and_b32_e32 v5, 0xff, v5
	v_cmp_ne_u32_e32 vcc, 0, v5
	s_andn2_b64 s[10:11], s[10:11], exec
	s_and_b64 s[14:15], vcc, exec
	s_or_b64 s[10:11], s[10:11], s[14:15]
	s_or_b64 exec, exec, s[12:13]
	v_mov_b32_e32 v6, 0
	s_and_saveexec_b64 s[12:13], s[10:11]
	s_cbranch_execnz .LBB337_1939
	s_branch .LBB337_1940
.LBB337_2154:
	s_andn2_saveexec_b64 s[10:11], s[10:11]
	s_cbranch_execz .LBB337_2045
.LBB337_2155:
	s_mov_b32 s12, 0x46000000
	v_add_f32_e64 v4, |v3|, s12
	v_and_b32_e32 v4, 0xff, v4
	v_cmp_ne_u32_e32 vcc, 0, v4
	s_andn2_b64 s[8:9], s[8:9], exec
	s_and_b64 s[12:13], vcc, exec
	s_or_b64 s[8:9], s[8:9], s[12:13]
	s_or_b64 exec, exec, s[10:11]
	v_mov_b32_e32 v5, 0
	s_and_saveexec_b64 s[10:11], s[8:9]
	s_cbranch_execnz .LBB337_2046
	s_branch .LBB337_2047
.LBB337_2156:
	s_mov_b64 s[4:5], 0
	s_or_b64 s[2:3], s[2:3], exec
	s_trap 2
	s_branch .LBB337_2091
.LBB337_2157:
	s_andn2_saveexec_b64 s[8:9], s[8:9]
	s_cbranch_execz .LBB337_2057
.LBB337_2158:
	s_mov_b32 s10, 0x42800000
	v_add_f32_e64 v4, |v3|, s10
	v_and_b32_e32 v4, 0xff, v4
	v_cmp_ne_u32_e32 vcc, 0, v4
	s_andn2_b64 s[6:7], s[6:7], exec
	s_and_b64 s[10:11], vcc, exec
	s_or_b64 s[6:7], s[6:7], s[10:11]
	s_or_b64 exec, exec, s[8:9]
	v_mov_b32_e32 v5, 0
	s_and_saveexec_b64 s[8:9], s[6:7]
	s_cbranch_execnz .LBB337_2058
	s_branch .LBB337_2059
	.section	.rodata,"a",@progbits
	.p2align	6, 0x0
	.amdhsa_kernel _ZN2at6native32elementwise_kernel_manual_unrollILi128ELi4EZNS0_15gpu_kernel_implIZZZNS0_17clamp_kernel_cudaERNS_18TensorIteratorBaseERKN3c106ScalarES8_ENKUlvE_clEvENKUlvE6_clEvEUlNS5_4HalfEE_EEvS4_RKT_EUlibE0_EEviT1_
		.amdhsa_group_segment_fixed_size 0
		.amdhsa_private_segment_fixed_size 0
		.amdhsa_kernarg_size 360
		.amdhsa_user_sgpr_count 2
		.amdhsa_user_sgpr_dispatch_ptr 0
		.amdhsa_user_sgpr_queue_ptr 0
		.amdhsa_user_sgpr_kernarg_segment_ptr 1
		.amdhsa_user_sgpr_dispatch_id 0
		.amdhsa_user_sgpr_kernarg_preload_length 0
		.amdhsa_user_sgpr_kernarg_preload_offset 0
		.amdhsa_user_sgpr_private_segment_size 0
		.amdhsa_uses_dynamic_stack 0
		.amdhsa_enable_private_segment 0
		.amdhsa_system_sgpr_workgroup_id_x 1
		.amdhsa_system_sgpr_workgroup_id_y 0
		.amdhsa_system_sgpr_workgroup_id_z 0
		.amdhsa_system_sgpr_workgroup_info 0
		.amdhsa_system_vgpr_workitem_id 0
		.amdhsa_next_free_vgpr 18
		.amdhsa_next_free_sgpr 80
		.amdhsa_accum_offset 20
		.amdhsa_reserve_vcc 1
		.amdhsa_float_round_mode_32 0
		.amdhsa_float_round_mode_16_64 0
		.amdhsa_float_denorm_mode_32 3
		.amdhsa_float_denorm_mode_16_64 3
		.amdhsa_dx10_clamp 1
		.amdhsa_ieee_mode 1
		.amdhsa_fp16_overflow 0
		.amdhsa_tg_split 0
		.amdhsa_exception_fp_ieee_invalid_op 0
		.amdhsa_exception_fp_denorm_src 0
		.amdhsa_exception_fp_ieee_div_zero 0
		.amdhsa_exception_fp_ieee_overflow 0
		.amdhsa_exception_fp_ieee_underflow 0
		.amdhsa_exception_fp_ieee_inexact 0
		.amdhsa_exception_int_div_zero 0
	.end_amdhsa_kernel
	.section	.text._ZN2at6native32elementwise_kernel_manual_unrollILi128ELi4EZNS0_15gpu_kernel_implIZZZNS0_17clamp_kernel_cudaERNS_18TensorIteratorBaseERKN3c106ScalarES8_ENKUlvE_clEvENKUlvE6_clEvEUlNS5_4HalfEE_EEvS4_RKT_EUlibE0_EEviT1_,"axG",@progbits,_ZN2at6native32elementwise_kernel_manual_unrollILi128ELi4EZNS0_15gpu_kernel_implIZZZNS0_17clamp_kernel_cudaERNS_18TensorIteratorBaseERKN3c106ScalarES8_ENKUlvE_clEvENKUlvE6_clEvEUlNS5_4HalfEE_EEvS4_RKT_EUlibE0_EEviT1_,comdat
.Lfunc_end337:
	.size	_ZN2at6native32elementwise_kernel_manual_unrollILi128ELi4EZNS0_15gpu_kernel_implIZZZNS0_17clamp_kernel_cudaERNS_18TensorIteratorBaseERKN3c106ScalarES8_ENKUlvE_clEvENKUlvE6_clEvEUlNS5_4HalfEE_EEvS4_RKT_EUlibE0_EEviT1_, .Lfunc_end337-_ZN2at6native32elementwise_kernel_manual_unrollILi128ELi4EZNS0_15gpu_kernel_implIZZZNS0_17clamp_kernel_cudaERNS_18TensorIteratorBaseERKN3c106ScalarES8_ENKUlvE_clEvENKUlvE6_clEvEUlNS5_4HalfEE_EEvS4_RKT_EUlibE0_EEviT1_
                                        ; -- End function
	.set _ZN2at6native32elementwise_kernel_manual_unrollILi128ELi4EZNS0_15gpu_kernel_implIZZZNS0_17clamp_kernel_cudaERNS_18TensorIteratorBaseERKN3c106ScalarES8_ENKUlvE_clEvENKUlvE6_clEvEUlNS5_4HalfEE_EEvS4_RKT_EUlibE0_EEviT1_.num_vgpr, 18
	.set _ZN2at6native32elementwise_kernel_manual_unrollILi128ELi4EZNS0_15gpu_kernel_implIZZZNS0_17clamp_kernel_cudaERNS_18TensorIteratorBaseERKN3c106ScalarES8_ENKUlvE_clEvENKUlvE6_clEvEUlNS5_4HalfEE_EEvS4_RKT_EUlibE0_EEviT1_.num_agpr, 0
	.set _ZN2at6native32elementwise_kernel_manual_unrollILi128ELi4EZNS0_15gpu_kernel_implIZZZNS0_17clamp_kernel_cudaERNS_18TensorIteratorBaseERKN3c106ScalarES8_ENKUlvE_clEvENKUlvE6_clEvEUlNS5_4HalfEE_EEvS4_RKT_EUlibE0_EEviT1_.numbered_sgpr, 80
	.set _ZN2at6native32elementwise_kernel_manual_unrollILi128ELi4EZNS0_15gpu_kernel_implIZZZNS0_17clamp_kernel_cudaERNS_18TensorIteratorBaseERKN3c106ScalarES8_ENKUlvE_clEvENKUlvE6_clEvEUlNS5_4HalfEE_EEvS4_RKT_EUlibE0_EEviT1_.num_named_barrier, 0
	.set _ZN2at6native32elementwise_kernel_manual_unrollILi128ELi4EZNS0_15gpu_kernel_implIZZZNS0_17clamp_kernel_cudaERNS_18TensorIteratorBaseERKN3c106ScalarES8_ENKUlvE_clEvENKUlvE6_clEvEUlNS5_4HalfEE_EEvS4_RKT_EUlibE0_EEviT1_.private_seg_size, 0
	.set _ZN2at6native32elementwise_kernel_manual_unrollILi128ELi4EZNS0_15gpu_kernel_implIZZZNS0_17clamp_kernel_cudaERNS_18TensorIteratorBaseERKN3c106ScalarES8_ENKUlvE_clEvENKUlvE6_clEvEUlNS5_4HalfEE_EEvS4_RKT_EUlibE0_EEviT1_.uses_vcc, 1
	.set _ZN2at6native32elementwise_kernel_manual_unrollILi128ELi4EZNS0_15gpu_kernel_implIZZZNS0_17clamp_kernel_cudaERNS_18TensorIteratorBaseERKN3c106ScalarES8_ENKUlvE_clEvENKUlvE6_clEvEUlNS5_4HalfEE_EEvS4_RKT_EUlibE0_EEviT1_.uses_flat_scratch, 0
	.set _ZN2at6native32elementwise_kernel_manual_unrollILi128ELi4EZNS0_15gpu_kernel_implIZZZNS0_17clamp_kernel_cudaERNS_18TensorIteratorBaseERKN3c106ScalarES8_ENKUlvE_clEvENKUlvE6_clEvEUlNS5_4HalfEE_EEvS4_RKT_EUlibE0_EEviT1_.has_dyn_sized_stack, 0
	.set _ZN2at6native32elementwise_kernel_manual_unrollILi128ELi4EZNS0_15gpu_kernel_implIZZZNS0_17clamp_kernel_cudaERNS_18TensorIteratorBaseERKN3c106ScalarES8_ENKUlvE_clEvENKUlvE6_clEvEUlNS5_4HalfEE_EEvS4_RKT_EUlibE0_EEviT1_.has_recursion, 0
	.set _ZN2at6native32elementwise_kernel_manual_unrollILi128ELi4EZNS0_15gpu_kernel_implIZZZNS0_17clamp_kernel_cudaERNS_18TensorIteratorBaseERKN3c106ScalarES8_ENKUlvE_clEvENKUlvE6_clEvEUlNS5_4HalfEE_EEvS4_RKT_EUlibE0_EEviT1_.has_indirect_call, 0
	.section	.AMDGPU.csdata,"",@progbits
; Kernel info:
; codeLenInByte = 41924
; TotalNumSgprs: 86
; NumVgprs: 18
; NumAgprs: 0
; TotalNumVgprs: 18
; ScratchSize: 0
; MemoryBound: 0
; FloatMode: 240
; IeeeMode: 1
; LDSByteSize: 0 bytes/workgroup (compile time only)
; SGPRBlocks: 10
; VGPRBlocks: 2
; NumSGPRsForWavesPerEU: 86
; NumVGPRsForWavesPerEU: 18
; AccumOffset: 20
; Occupancy: 8
; WaveLimiterHint : 1
; COMPUTE_PGM_RSRC2:SCRATCH_EN: 0
; COMPUTE_PGM_RSRC2:USER_SGPR: 2
; COMPUTE_PGM_RSRC2:TRAP_HANDLER: 0
; COMPUTE_PGM_RSRC2:TGID_X_EN: 1
; COMPUTE_PGM_RSRC2:TGID_Y_EN: 0
; COMPUTE_PGM_RSRC2:TGID_Z_EN: 0
; COMPUTE_PGM_RSRC2:TIDIG_COMP_CNT: 0
; COMPUTE_PGM_RSRC3_GFX90A:ACCUM_OFFSET: 4
; COMPUTE_PGM_RSRC3_GFX90A:TG_SPLIT: 0
	.section	.text._ZN2at6native29vectorized_elementwise_kernelILi16EZZZNS0_17clamp_kernel_cudaERNS_18TensorIteratorBaseERKN3c106ScalarES7_ENKUlvE_clEvENKUlvE7_clEvEUlNS4_8BFloat16EE_St5arrayIPcLm2EEEEviT0_T1_,"axG",@progbits,_ZN2at6native29vectorized_elementwise_kernelILi16EZZZNS0_17clamp_kernel_cudaERNS_18TensorIteratorBaseERKN3c106ScalarES7_ENKUlvE_clEvENKUlvE7_clEvEUlNS4_8BFloat16EE_St5arrayIPcLm2EEEEviT0_T1_,comdat
	.globl	_ZN2at6native29vectorized_elementwise_kernelILi16EZZZNS0_17clamp_kernel_cudaERNS_18TensorIteratorBaseERKN3c106ScalarES7_ENKUlvE_clEvENKUlvE7_clEvEUlNS4_8BFloat16EE_St5arrayIPcLm2EEEEviT0_T1_ ; -- Begin function _ZN2at6native29vectorized_elementwise_kernelILi16EZZZNS0_17clamp_kernel_cudaERNS_18TensorIteratorBaseERKN3c106ScalarES7_ENKUlvE_clEvENKUlvE7_clEvEUlNS4_8BFloat16EE_St5arrayIPcLm2EEEEviT0_T1_
	.p2align	8
	.type	_ZN2at6native29vectorized_elementwise_kernelILi16EZZZNS0_17clamp_kernel_cudaERNS_18TensorIteratorBaseERKN3c106ScalarES7_ENKUlvE_clEvENKUlvE7_clEvEUlNS4_8BFloat16EE_St5arrayIPcLm2EEEEviT0_T1_,@function
_ZN2at6native29vectorized_elementwise_kernelILi16EZZZNS0_17clamp_kernel_cudaERNS_18TensorIteratorBaseERKN3c106ScalarES7_ENKUlvE_clEvENKUlvE7_clEvEUlNS4_8BFloat16EE_St5arrayIPcLm2EEEEviT0_T1_: ; @_ZN2at6native29vectorized_elementwise_kernelILi16EZZZNS0_17clamp_kernel_cudaERNS_18TensorIteratorBaseERKN3c106ScalarES7_ENKUlvE_clEvENKUlvE7_clEvEUlNS4_8BFloat16EE_St5arrayIPcLm2EEEEviT0_T1_
; %bb.0:
	s_load_dwordx2 s[8:9], s[0:1], 0x0
	s_load_dwordx4 s[4:7], s[0:1], 0x8
	s_lshl_b32 s2, s2, 11
	s_mov_b64 s[0:1], -1
	s_waitcnt lgkmcnt(0)
	s_sub_i32 s8, s8, s2
	s_cmpk_gt_i32 s8, 0x7ff
	s_cbranch_scc0 .LBB338_2
; %bb.1:
	s_ashr_i32 s3, s2, 31
	s_lshr_b32 s12, s9, 16
	s_lshl_b64 s[0:1], s[2:3], 1
	s_add_u32 s10, s6, s0
	s_addc_u32 s11, s7, s1
	v_lshlrev_b32_e32 v1, 4, v0
	global_load_dwordx4 v[2:5], v1, s[10:11]
	s_lshl_b32 s10, s9, 16
	v_mov_b32_e32 v6, s9
	s_and_b32 s11, s9, 0xffff0000
	v_mov_b32_e32 v7, s12
	s_mov_b32 s3, 0x5040100
	s_add_u32 s0, s4, s0
	s_addc_u32 s1, s5, s1
	s_waitcnt vmcnt(0)
	v_and_b32_e32 v8, 0xffff0000, v2
	v_lshlrev_b32_e32 v9, 16, v2
	v_lshrrev_b32_e32 v10, 16, v2
	v_cmp_lt_f32_e32 vcc, s10, v8
	v_and_b32_e32 v11, 0xffff0000, v3
	v_lshlrev_b32_e32 v12, 16, v3
	v_cndmask_b32_e32 v20, v6, v10, vcc
	v_cmp_lt_f32_e32 vcc, s10, v9
	v_lshrrev_b32_e32 v13, 16, v3
	v_and_b32_e32 v14, 0xffff0000, v4
	v_cndmask_b32_e32 v21, v6, v2, vcc
	v_cmp_lt_f32_e32 vcc, s10, v11
	v_lshlrev_b32_e32 v15, 16, v4
	v_lshrrev_b32_e32 v16, 16, v4
	v_cndmask_b32_e32 v22, v6, v13, vcc
	v_cmp_lt_f32_e32 vcc, s10, v12
	v_and_b32_e32 v17, 0xffff0000, v5
	v_lshlrev_b32_e32 v18, 16, v5
	v_cndmask_b32_e32 v23, v6, v3, vcc
	v_cmp_lt_f32_e32 vcc, s10, v14
	v_lshrrev_b32_e32 v19, 16, v5
	v_lshlrev_b32_e32 v27, 16, v21
	v_cndmask_b32_e32 v24, v6, v16, vcc
	v_cmp_lt_f32_e32 vcc, s10, v15
	v_lshlrev_b32_e32 v28, 16, v20
	v_lshlrev_b32_e32 v29, 16, v23
	v_cndmask_b32_e32 v25, v6, v4, vcc
	v_cmp_lt_f32_e32 vcc, s10, v17
	v_lshlrev_b32_e32 v30, 16, v22
	;; [unrolled: 4-line block ×3, first 2 shown]
	v_lshlrev_b32_e32 v34, 16, v26
	v_cndmask_b32_e32 v6, v6, v5, vcc
	v_cmp_gt_f32_e32 vcc, s11, v27
	v_lshlrev_b32_e32 v33, 16, v6
	s_nop 0
	v_cndmask_b32_e32 v21, v7, v21, vcc
	v_cmp_gt_f32_e32 vcc, s11, v28
	s_nop 1
	v_cndmask_b32_e32 v20, v7, v20, vcc
	v_cmp_gt_f32_e32 vcc, s11, v29
	;; [unrolled: 3-line block ×7, first 2 shown]
	s_nop 1
	v_cndmask_b32_e32 v7, v7, v26, vcc
	v_cmp_u_f32_e32 vcc, v8, v8
	s_nop 1
	v_cndmask_b32_e32 v8, v20, v10, vcc
	v_cmp_u_f32_e32 vcc, v9, v9
	;; [unrolled: 3-line block ×3, first 2 shown]
	v_perm_b32 v2, v8, v2, s3
	s_nop 0
	v_cndmask_b32_e32 v9, v22, v13, vcc
	v_cmp_u_f32_e32 vcc, v12, v12
	s_nop 1
	v_cndmask_b32_e32 v3, v23, v3, vcc
	v_cmp_u_f32_e32 vcc, v14, v14
	v_perm_b32 v3, v9, v3, s3
	s_nop 0
	v_cndmask_b32_e32 v10, v24, v16, vcc
	v_cmp_u_f32_e32 vcc, v15, v15
	s_nop 1
	v_cndmask_b32_e32 v4, v25, v4, vcc
	v_cmp_u_f32_e32 vcc, v17, v17
	v_perm_b32 v4, v10, v4, s3
	s_nop 0
	v_cndmask_b32_e32 v7, v7, v19, vcc
	v_cmp_u_f32_e32 vcc, v18, v18
	s_nop 1
	v_cndmask_b32_e32 v5, v6, v5, vcc
	v_perm_b32 v5, v7, v5, s3
	global_store_dwordx4 v1, v[2:5], s[0:1]
	s_mov_b64 s[0:1], 0
.LBB338_2:
	s_andn2_b64 vcc, exec, s[0:1]
	s_cbranch_vccnz .LBB338_57
; %bb.3:
	v_cmp_gt_i32_e32 vcc, s8, v0
	v_mov_b32_e32 v1, 0
	v_or_b32_e32 v2, s2, v0
	v_mov_b32_e32 v6, 0
	v_mov_b32_e32 v3, v0
	s_and_saveexec_b64 s[0:1], vcc
	s_cbranch_execz .LBB338_5
; %bb.4:
	v_mov_b32_e32 v3, 0
	v_lshl_add_u64 v[4:5], v[2:3], 1, s[6:7]
	global_load_ushort v6, v[4:5], off
	v_or_b32_e32 v3, 0x100, v0
.LBB338_5:
	s_or_b64 exec, exec, s[0:1]
	v_cmp_gt_i32_e64 s[0:1], s8, v3
	s_and_saveexec_b64 s[10:11], s[0:1]
	s_cbranch_execz .LBB338_7
; %bb.6:
	v_add_u32_e32 v4, s2, v3
	v_mov_b32_e32 v5, 0
	v_lshl_add_u64 v[4:5], v[4:5], 1, s[6:7]
	global_load_ushort v1, v[4:5], off
	v_add_u32_e32 v3, 0x100, v3
.LBB338_7:
	s_or_b64 exec, exec, s[10:11]
	v_cmp_gt_i32_e64 s[0:1], s8, v3
	v_mov_b32_e32 v4, 0
	v_mov_b32_e32 v8, 0
	s_and_saveexec_b64 s[10:11], s[0:1]
	s_cbranch_execz .LBB338_9
; %bb.8:
	v_add_u32_e32 v8, s2, v3
	v_mov_b32_e32 v9, 0
	v_lshl_add_u64 v[8:9], v[8:9], 1, s[6:7]
	global_load_ushort v8, v[8:9], off
	v_add_u32_e32 v3, 0x100, v3
.LBB338_9:
	s_or_b64 exec, exec, s[10:11]
	v_cmp_gt_i32_e64 s[0:1], s8, v3
	s_and_saveexec_b64 s[10:11], s[0:1]
	s_cbranch_execz .LBB338_11
; %bb.10:
	v_add_u32_e32 v4, s2, v3
	v_mov_b32_e32 v5, 0
	v_lshl_add_u64 v[4:5], v[4:5], 1, s[6:7]
	global_load_ushort v4, v[4:5], off
	v_add_u32_e32 v3, 0x100, v3
.LBB338_11:
	s_or_b64 exec, exec, s[10:11]
	v_cmp_gt_i32_e64 s[0:1], s8, v3
	v_mov_b32_e32 v5, 0
	v_mov_b32_e32 v9, 0
	s_and_saveexec_b64 s[10:11], s[0:1]
	s_cbranch_execz .LBB338_13
; %bb.12:
	v_add_u32_e32 v10, s2, v3
	v_mov_b32_e32 v11, 0
	v_lshl_add_u64 v[10:11], v[10:11], 1, s[6:7]
	global_load_ushort v9, v[10:11], off
	v_add_u32_e32 v3, 0x100, v3
.LBB338_13:
	;; [unrolled: 24-line block ×3, first 2 shown]
	s_or_b64 exec, exec, s[10:11]
	v_cmp_gt_i32_e64 s[0:1], s8, v3
	s_and_saveexec_b64 s[10:11], s[0:1]
	s_cbranch_execz .LBB338_19
; %bb.18:
	v_add_u32_e32 v12, s2, v3
	v_mov_b32_e32 v13, 0
	v_lshl_add_u64 v[12:13], v[12:13], 1, s[6:7]
	global_load_ushort v7, v[12:13], off
.LBB338_19:
	s_or_b64 exec, exec, s[10:11]
	s_lshr_b32 s3, s9, 16
	s_lshl_b32 s13, s9, 16
	s_and_b32 s12, s9, 0xffff0000
	s_and_saveexec_b64 s[6:7], vcc
	s_cbranch_execz .LBB338_23
; %bb.20:
	s_waitcnt vmcnt(0)
	v_lshlrev_b32_e32 v3, 16, v6
	v_cmp_o_f32_e64 s[0:1], v3, v3
	s_and_saveexec_b64 s[10:11], s[0:1]
; %bb.21:
	v_mov_b32_e32 v11, s9
	v_cmp_lt_f32_e64 s[0:1], s13, v3
	s_nop 1
	v_cndmask_b32_e64 v3, v11, v6, s[0:1]
	v_lshlrev_b32_e32 v6, 16, v3
	v_mov_b32_e32 v11, s3
	v_cmp_gt_f32_e64 s[0:1], s12, v6
	s_nop 1
	v_cndmask_b32_e64 v6, v11, v3, s[0:1]
; %bb.22:
	s_or_b64 exec, exec, s[10:11]
.LBB338_23:
	s_or_b64 exec, exec, s[6:7]
	v_or_b32_e32 v11, 0x100, v0
	v_cmp_gt_i32_e64 s[0:1], s8, v11
	s_and_saveexec_b64 s[6:7], s[0:1]
	s_cbranch_execz .LBB338_27
; %bb.24:
	s_waitcnt vmcnt(0)
	v_lshlrev_b32_e32 v3, 16, v1
	v_cmp_o_f32_e64 s[0:1], v3, v3
	s_and_saveexec_b64 s[10:11], s[0:1]
; %bb.25:
	v_mov_b32_e32 v12, s9
	v_cmp_lt_f32_e64 s[0:1], s13, v3
	s_nop 1
	v_cndmask_b32_e64 v1, v12, v1, s[0:1]
	v_lshlrev_b32_e32 v3, 16, v1
	v_mov_b32_e32 v12, s3
	v_cmp_gt_f32_e64 s[0:1], s12, v3
	s_nop 1
	v_cndmask_b32_e64 v1, v12, v1, s[0:1]
; %bb.26:
	s_or_b64 exec, exec, s[10:11]
.LBB338_27:
	s_or_b64 exec, exec, s[6:7]
	v_or_b32_e32 v3, 0x200, v0
	v_cmp_gt_i32_e64 s[0:1], s8, v3
	s_and_saveexec_b64 s[6:7], s[0:1]
	;; [unrolled: 23-line block ×7, first 2 shown]
	s_cbranch_execnz .LBB338_58
; %bb.48:
	s_or_b64 exec, exec, s[6:7]
	s_and_saveexec_b64 s[0:1], vcc
	s_xor_b64 s[0:1], exec, s[0:1]
	s_cbranch_execnz .LBB338_61
.LBB338_49:
	s_or_b64 exec, exec, s[0:1]
	v_cmp_gt_i32_e32 vcc, s8, v0
	s_and_saveexec_b64 s[0:1], vcc
	s_cbranch_execnz .LBB338_62
.LBB338_50:
	s_or_b64 exec, exec, s[0:1]
	v_cmp_gt_i32_e32 vcc, s8, v0
	s_and_saveexec_b64 s[0:1], vcc
	s_cbranch_execnz .LBB338_63
.LBB338_51:
	s_or_b64 exec, exec, s[0:1]
	v_cmp_gt_i32_e32 vcc, s8, v0
	s_and_saveexec_b64 s[0:1], vcc
	s_cbranch_execnz .LBB338_64
.LBB338_52:
	s_or_b64 exec, exec, s[0:1]
	v_cmp_gt_i32_e32 vcc, s8, v0
	s_and_saveexec_b64 s[0:1], vcc
	s_cbranch_execnz .LBB338_65
.LBB338_53:
	s_or_b64 exec, exec, s[0:1]
	v_cmp_gt_i32_e32 vcc, s8, v0
	s_and_saveexec_b64 s[0:1], vcc
	s_cbranch_execnz .LBB338_66
.LBB338_54:
	s_or_b64 exec, exec, s[0:1]
	v_cmp_gt_i32_e32 vcc, s8, v0
	s_and_saveexec_b64 s[0:1], vcc
	s_cbranch_execnz .LBB338_67
.LBB338_55:
	s_or_b64 exec, exec, s[0:1]
	v_cmp_gt_i32_e32 vcc, s8, v0
	s_and_saveexec_b64 s[0:1], vcc
	s_cbranch_execz .LBB338_57
.LBB338_56:
	v_add_u32_e32 v0, s2, v0
	s_waitcnt vmcnt(0)
	v_mov_b32_e32 v1, 0
	v_lshl_add_u64 v[0:1], v[0:1], 1, s[4:5]
	global_store_short v[0:1], v7, off
.LBB338_57:
	s_endpgm
.LBB338_58:
	s_waitcnt vmcnt(0)
	v_lshlrev_b32_e32 v3, 16, v7
	v_cmp_o_f32_e64 s[0:1], v3, v3
	s_and_saveexec_b64 s[10:11], s[0:1]
; %bb.59:
	v_mov_b32_e32 v12, s9
	v_cmp_lt_f32_e64 s[0:1], s13, v3
	s_nop 1
	v_cndmask_b32_e64 v3, v12, v7, s[0:1]
	v_lshlrev_b32_e32 v7, 16, v3
	v_mov_b32_e32 v12, s3
	v_cmp_gt_f32_e64 s[0:1], s12, v7
	s_nop 1
	v_cndmask_b32_e64 v7, v12, v3, s[0:1]
; %bb.60:
	s_or_b64 exec, exec, s[10:11]
	s_or_b64 exec, exec, s[6:7]
	s_and_saveexec_b64 s[0:1], vcc
	s_xor_b64 s[0:1], exec, s[0:1]
	s_cbranch_execz .LBB338_49
.LBB338_61:
	v_mov_b32_e32 v3, 0
	v_lshl_add_u64 v[2:3], v[2:3], 1, s[4:5]
	v_mov_b32_e32 v0, v11
	s_waitcnt vmcnt(0)
	global_store_short v[2:3], v6, off
	s_or_b64 exec, exec, s[0:1]
	v_cmp_gt_i32_e32 vcc, s8, v0
	s_and_saveexec_b64 s[0:1], vcc
	s_cbranch_execz .LBB338_50
.LBB338_62:
	v_add_u32_e32 v2, s2, v0
	v_mov_b32_e32 v3, 0
	v_lshl_add_u64 v[2:3], v[2:3], 1, s[4:5]
	v_add_u32_e32 v0, 0x100, v0
	s_waitcnt vmcnt(0)
	global_store_short v[2:3], v1, off
	s_or_b64 exec, exec, s[0:1]
	v_cmp_gt_i32_e32 vcc, s8, v0
	s_and_saveexec_b64 s[0:1], vcc
	s_cbranch_execz .LBB338_51
.LBB338_63:
	v_add_u32_e32 v2, s2, v0
	v_mov_b32_e32 v3, 0
	v_lshl_add_u64 v[2:3], v[2:3], 1, s[4:5]
	v_add_u32_e32 v0, 0x100, v0
	s_waitcnt vmcnt(0)
	global_store_short v[2:3], v8, off
	s_or_b64 exec, exec, s[0:1]
	v_cmp_gt_i32_e32 vcc, s8, v0
	s_and_saveexec_b64 s[0:1], vcc
	s_cbranch_execz .LBB338_52
.LBB338_64:
	v_add_u32_e32 v2, s2, v0
	v_mov_b32_e32 v3, 0
	v_lshl_add_u64 v[2:3], v[2:3], 1, s[4:5]
	v_add_u32_e32 v0, 0x100, v0
	s_waitcnt vmcnt(0)
	global_store_short v[2:3], v4, off
	s_or_b64 exec, exec, s[0:1]
	v_cmp_gt_i32_e32 vcc, s8, v0
	s_and_saveexec_b64 s[0:1], vcc
	s_cbranch_execz .LBB338_53
.LBB338_65:
	v_add_u32_e32 v2, s2, v0
	v_mov_b32_e32 v3, 0
	v_lshl_add_u64 v[2:3], v[2:3], 1, s[4:5]
	v_add_u32_e32 v0, 0x100, v0
	s_waitcnt vmcnt(0)
	global_store_short v[2:3], v9, off
	s_or_b64 exec, exec, s[0:1]
	v_cmp_gt_i32_e32 vcc, s8, v0
	s_and_saveexec_b64 s[0:1], vcc
	s_cbranch_execz .LBB338_54
.LBB338_66:
	v_add_u32_e32 v2, s2, v0
	v_mov_b32_e32 v3, 0
	v_lshl_add_u64 v[2:3], v[2:3], 1, s[4:5]
	v_add_u32_e32 v0, 0x100, v0
	s_waitcnt vmcnt(0)
	global_store_short v[2:3], v5, off
	s_or_b64 exec, exec, s[0:1]
	v_cmp_gt_i32_e32 vcc, s8, v0
	s_and_saveexec_b64 s[0:1], vcc
	s_cbranch_execz .LBB338_55
.LBB338_67:
	v_add_u32_e32 v2, s2, v0
	v_mov_b32_e32 v3, 0
	v_lshl_add_u64 v[2:3], v[2:3], 1, s[4:5]
	v_add_u32_e32 v0, 0x100, v0
	s_waitcnt vmcnt(0)
	global_store_short v[2:3], v10, off
	s_or_b64 exec, exec, s[0:1]
	v_cmp_gt_i32_e32 vcc, s8, v0
	s_and_saveexec_b64 s[0:1], vcc
	s_cbranch_execnz .LBB338_56
	s_branch .LBB338_57
	.section	.rodata,"a",@progbits
	.p2align	6, 0x0
	.amdhsa_kernel _ZN2at6native29vectorized_elementwise_kernelILi16EZZZNS0_17clamp_kernel_cudaERNS_18TensorIteratorBaseERKN3c106ScalarES7_ENKUlvE_clEvENKUlvE7_clEvEUlNS4_8BFloat16EE_St5arrayIPcLm2EEEEviT0_T1_
		.amdhsa_group_segment_fixed_size 0
		.amdhsa_private_segment_fixed_size 0
		.amdhsa_kernarg_size 24
		.amdhsa_user_sgpr_count 2
		.amdhsa_user_sgpr_dispatch_ptr 0
		.amdhsa_user_sgpr_queue_ptr 0
		.amdhsa_user_sgpr_kernarg_segment_ptr 1
		.amdhsa_user_sgpr_dispatch_id 0
		.amdhsa_user_sgpr_kernarg_preload_length 0
		.amdhsa_user_sgpr_kernarg_preload_offset 0
		.amdhsa_user_sgpr_private_segment_size 0
		.amdhsa_uses_dynamic_stack 0
		.amdhsa_enable_private_segment 0
		.amdhsa_system_sgpr_workgroup_id_x 1
		.amdhsa_system_sgpr_workgroup_id_y 0
		.amdhsa_system_sgpr_workgroup_id_z 0
		.amdhsa_system_sgpr_workgroup_info 0
		.amdhsa_system_vgpr_workitem_id 0
		.amdhsa_next_free_vgpr 35
		.amdhsa_next_free_sgpr 14
		.amdhsa_accum_offset 36
		.amdhsa_reserve_vcc 1
		.amdhsa_float_round_mode_32 0
		.amdhsa_float_round_mode_16_64 0
		.amdhsa_float_denorm_mode_32 3
		.amdhsa_float_denorm_mode_16_64 3
		.amdhsa_dx10_clamp 1
		.amdhsa_ieee_mode 1
		.amdhsa_fp16_overflow 0
		.amdhsa_tg_split 0
		.amdhsa_exception_fp_ieee_invalid_op 0
		.amdhsa_exception_fp_denorm_src 0
		.amdhsa_exception_fp_ieee_div_zero 0
		.amdhsa_exception_fp_ieee_overflow 0
		.amdhsa_exception_fp_ieee_underflow 0
		.amdhsa_exception_fp_ieee_inexact 0
		.amdhsa_exception_int_div_zero 0
	.end_amdhsa_kernel
	.section	.text._ZN2at6native29vectorized_elementwise_kernelILi16EZZZNS0_17clamp_kernel_cudaERNS_18TensorIteratorBaseERKN3c106ScalarES7_ENKUlvE_clEvENKUlvE7_clEvEUlNS4_8BFloat16EE_St5arrayIPcLm2EEEEviT0_T1_,"axG",@progbits,_ZN2at6native29vectorized_elementwise_kernelILi16EZZZNS0_17clamp_kernel_cudaERNS_18TensorIteratorBaseERKN3c106ScalarES7_ENKUlvE_clEvENKUlvE7_clEvEUlNS4_8BFloat16EE_St5arrayIPcLm2EEEEviT0_T1_,comdat
.Lfunc_end338:
	.size	_ZN2at6native29vectorized_elementwise_kernelILi16EZZZNS0_17clamp_kernel_cudaERNS_18TensorIteratorBaseERKN3c106ScalarES7_ENKUlvE_clEvENKUlvE7_clEvEUlNS4_8BFloat16EE_St5arrayIPcLm2EEEEviT0_T1_, .Lfunc_end338-_ZN2at6native29vectorized_elementwise_kernelILi16EZZZNS0_17clamp_kernel_cudaERNS_18TensorIteratorBaseERKN3c106ScalarES7_ENKUlvE_clEvENKUlvE7_clEvEUlNS4_8BFloat16EE_St5arrayIPcLm2EEEEviT0_T1_
                                        ; -- End function
	.set _ZN2at6native29vectorized_elementwise_kernelILi16EZZZNS0_17clamp_kernel_cudaERNS_18TensorIteratorBaseERKN3c106ScalarES7_ENKUlvE_clEvENKUlvE7_clEvEUlNS4_8BFloat16EE_St5arrayIPcLm2EEEEviT0_T1_.num_vgpr, 35
	.set _ZN2at6native29vectorized_elementwise_kernelILi16EZZZNS0_17clamp_kernel_cudaERNS_18TensorIteratorBaseERKN3c106ScalarES7_ENKUlvE_clEvENKUlvE7_clEvEUlNS4_8BFloat16EE_St5arrayIPcLm2EEEEviT0_T1_.num_agpr, 0
	.set _ZN2at6native29vectorized_elementwise_kernelILi16EZZZNS0_17clamp_kernel_cudaERNS_18TensorIteratorBaseERKN3c106ScalarES7_ENKUlvE_clEvENKUlvE7_clEvEUlNS4_8BFloat16EE_St5arrayIPcLm2EEEEviT0_T1_.numbered_sgpr, 14
	.set _ZN2at6native29vectorized_elementwise_kernelILi16EZZZNS0_17clamp_kernel_cudaERNS_18TensorIteratorBaseERKN3c106ScalarES7_ENKUlvE_clEvENKUlvE7_clEvEUlNS4_8BFloat16EE_St5arrayIPcLm2EEEEviT0_T1_.num_named_barrier, 0
	.set _ZN2at6native29vectorized_elementwise_kernelILi16EZZZNS0_17clamp_kernel_cudaERNS_18TensorIteratorBaseERKN3c106ScalarES7_ENKUlvE_clEvENKUlvE7_clEvEUlNS4_8BFloat16EE_St5arrayIPcLm2EEEEviT0_T1_.private_seg_size, 0
	.set _ZN2at6native29vectorized_elementwise_kernelILi16EZZZNS0_17clamp_kernel_cudaERNS_18TensorIteratorBaseERKN3c106ScalarES7_ENKUlvE_clEvENKUlvE7_clEvEUlNS4_8BFloat16EE_St5arrayIPcLm2EEEEviT0_T1_.uses_vcc, 1
	.set _ZN2at6native29vectorized_elementwise_kernelILi16EZZZNS0_17clamp_kernel_cudaERNS_18TensorIteratorBaseERKN3c106ScalarES7_ENKUlvE_clEvENKUlvE7_clEvEUlNS4_8BFloat16EE_St5arrayIPcLm2EEEEviT0_T1_.uses_flat_scratch, 0
	.set _ZN2at6native29vectorized_elementwise_kernelILi16EZZZNS0_17clamp_kernel_cudaERNS_18TensorIteratorBaseERKN3c106ScalarES7_ENKUlvE_clEvENKUlvE7_clEvEUlNS4_8BFloat16EE_St5arrayIPcLm2EEEEviT0_T1_.has_dyn_sized_stack, 0
	.set _ZN2at6native29vectorized_elementwise_kernelILi16EZZZNS0_17clamp_kernel_cudaERNS_18TensorIteratorBaseERKN3c106ScalarES7_ENKUlvE_clEvENKUlvE7_clEvEUlNS4_8BFloat16EE_St5arrayIPcLm2EEEEviT0_T1_.has_recursion, 0
	.set _ZN2at6native29vectorized_elementwise_kernelILi16EZZZNS0_17clamp_kernel_cudaERNS_18TensorIteratorBaseERKN3c106ScalarES7_ENKUlvE_clEvENKUlvE7_clEvEUlNS4_8BFloat16EE_St5arrayIPcLm2EEEEviT0_T1_.has_indirect_call, 0
	.section	.AMDGPU.csdata,"",@progbits
; Kernel info:
; codeLenInByte = 2320
; TotalNumSgprs: 20
; NumVgprs: 35
; NumAgprs: 0
; TotalNumVgprs: 35
; ScratchSize: 0
; MemoryBound: 0
; FloatMode: 240
; IeeeMode: 1
; LDSByteSize: 0 bytes/workgroup (compile time only)
; SGPRBlocks: 2
; VGPRBlocks: 4
; NumSGPRsForWavesPerEU: 20
; NumVGPRsForWavesPerEU: 35
; AccumOffset: 36
; Occupancy: 8
; WaveLimiterHint : 0
; COMPUTE_PGM_RSRC2:SCRATCH_EN: 0
; COMPUTE_PGM_RSRC2:USER_SGPR: 2
; COMPUTE_PGM_RSRC2:TRAP_HANDLER: 0
; COMPUTE_PGM_RSRC2:TGID_X_EN: 1
; COMPUTE_PGM_RSRC2:TGID_Y_EN: 0
; COMPUTE_PGM_RSRC2:TGID_Z_EN: 0
; COMPUTE_PGM_RSRC2:TIDIG_COMP_CNT: 0
; COMPUTE_PGM_RSRC3_GFX90A:ACCUM_OFFSET: 8
; COMPUTE_PGM_RSRC3_GFX90A:TG_SPLIT: 0
	.section	.text._ZN2at6native29vectorized_elementwise_kernelILi8EZZZNS0_17clamp_kernel_cudaERNS_18TensorIteratorBaseERKN3c106ScalarES7_ENKUlvE_clEvENKUlvE7_clEvEUlNS4_8BFloat16EE_St5arrayIPcLm2EEEEviT0_T1_,"axG",@progbits,_ZN2at6native29vectorized_elementwise_kernelILi8EZZZNS0_17clamp_kernel_cudaERNS_18TensorIteratorBaseERKN3c106ScalarES7_ENKUlvE_clEvENKUlvE7_clEvEUlNS4_8BFloat16EE_St5arrayIPcLm2EEEEviT0_T1_,comdat
	.globl	_ZN2at6native29vectorized_elementwise_kernelILi8EZZZNS0_17clamp_kernel_cudaERNS_18TensorIteratorBaseERKN3c106ScalarES7_ENKUlvE_clEvENKUlvE7_clEvEUlNS4_8BFloat16EE_St5arrayIPcLm2EEEEviT0_T1_ ; -- Begin function _ZN2at6native29vectorized_elementwise_kernelILi8EZZZNS0_17clamp_kernel_cudaERNS_18TensorIteratorBaseERKN3c106ScalarES7_ENKUlvE_clEvENKUlvE7_clEvEUlNS4_8BFloat16EE_St5arrayIPcLm2EEEEviT0_T1_
	.p2align	8
	.type	_ZN2at6native29vectorized_elementwise_kernelILi8EZZZNS0_17clamp_kernel_cudaERNS_18TensorIteratorBaseERKN3c106ScalarES7_ENKUlvE_clEvENKUlvE7_clEvEUlNS4_8BFloat16EE_St5arrayIPcLm2EEEEviT0_T1_,@function
_ZN2at6native29vectorized_elementwise_kernelILi8EZZZNS0_17clamp_kernel_cudaERNS_18TensorIteratorBaseERKN3c106ScalarES7_ENKUlvE_clEvENKUlvE7_clEvEUlNS4_8BFloat16EE_St5arrayIPcLm2EEEEviT0_T1_: ; @_ZN2at6native29vectorized_elementwise_kernelILi8EZZZNS0_17clamp_kernel_cudaERNS_18TensorIteratorBaseERKN3c106ScalarES7_ENKUlvE_clEvENKUlvE7_clEvEUlNS4_8BFloat16EE_St5arrayIPcLm2EEEEviT0_T1_
; %bb.0:
	s_load_dwordx2 s[8:9], s[0:1], 0x0
	s_load_dwordx4 s[4:7], s[0:1], 0x8
	s_lshl_b32 s2, s2, 11
	s_mov_b64 s[0:1], -1
	s_waitcnt lgkmcnt(0)
	s_sub_i32 s8, s8, s2
	s_cmpk_gt_i32 s8, 0x7ff
	s_cbranch_scc0 .LBB339_2
; %bb.1:
	s_ashr_i32 s3, s2, 31
	s_lshr_b32 s12, s9, 16
	s_lshl_b64 s[0:1], s[2:3], 1
	s_add_u32 s10, s6, s0
	s_addc_u32 s11, s7, s1
	v_lshlrev_b32_e32 v1, 4, v0
	global_load_dwordx4 v[2:5], v1, s[10:11]
	s_lshl_b32 s10, s9, 16
	v_mov_b32_e32 v6, s9
	s_and_b32 s11, s9, 0xffff0000
	v_mov_b32_e32 v7, s12
	s_mov_b32 s3, 0x5040100
	s_add_u32 s0, s4, s0
	s_addc_u32 s1, s5, s1
	s_waitcnt vmcnt(0)
	v_and_b32_e32 v8, 0xffff0000, v2
	v_lshlrev_b32_e32 v9, 16, v2
	v_lshrrev_b32_e32 v10, 16, v2
	v_cmp_lt_f32_e32 vcc, s10, v8
	v_and_b32_e32 v11, 0xffff0000, v3
	v_lshlrev_b32_e32 v12, 16, v3
	v_cndmask_b32_e32 v20, v6, v10, vcc
	v_cmp_lt_f32_e32 vcc, s10, v9
	v_lshrrev_b32_e32 v13, 16, v3
	v_and_b32_e32 v14, 0xffff0000, v4
	v_cndmask_b32_e32 v21, v6, v2, vcc
	v_cmp_lt_f32_e32 vcc, s10, v11
	v_lshlrev_b32_e32 v15, 16, v4
	v_lshrrev_b32_e32 v16, 16, v4
	v_cndmask_b32_e32 v22, v6, v13, vcc
	v_cmp_lt_f32_e32 vcc, s10, v12
	v_and_b32_e32 v17, 0xffff0000, v5
	v_lshlrev_b32_e32 v18, 16, v5
	v_cndmask_b32_e32 v23, v6, v3, vcc
	v_cmp_lt_f32_e32 vcc, s10, v14
	v_lshrrev_b32_e32 v19, 16, v5
	v_lshlrev_b32_e32 v27, 16, v21
	v_cndmask_b32_e32 v24, v6, v16, vcc
	v_cmp_lt_f32_e32 vcc, s10, v15
	v_lshlrev_b32_e32 v28, 16, v20
	v_lshlrev_b32_e32 v29, 16, v23
	v_cndmask_b32_e32 v25, v6, v4, vcc
	v_cmp_lt_f32_e32 vcc, s10, v17
	v_lshlrev_b32_e32 v30, 16, v22
	;; [unrolled: 4-line block ×3, first 2 shown]
	v_lshlrev_b32_e32 v34, 16, v26
	v_cndmask_b32_e32 v6, v6, v5, vcc
	v_cmp_gt_f32_e32 vcc, s11, v27
	v_lshlrev_b32_e32 v33, 16, v6
	s_nop 0
	v_cndmask_b32_e32 v21, v7, v21, vcc
	v_cmp_gt_f32_e32 vcc, s11, v28
	s_nop 1
	v_cndmask_b32_e32 v20, v7, v20, vcc
	v_cmp_gt_f32_e32 vcc, s11, v29
	;; [unrolled: 3-line block ×7, first 2 shown]
	s_nop 1
	v_cndmask_b32_e32 v7, v7, v26, vcc
	v_cmp_u_f32_e32 vcc, v8, v8
	s_nop 1
	v_cndmask_b32_e32 v8, v20, v10, vcc
	v_cmp_u_f32_e32 vcc, v9, v9
	;; [unrolled: 3-line block ×3, first 2 shown]
	v_perm_b32 v2, v8, v2, s3
	s_nop 0
	v_cndmask_b32_e32 v9, v22, v13, vcc
	v_cmp_u_f32_e32 vcc, v12, v12
	s_nop 1
	v_cndmask_b32_e32 v3, v23, v3, vcc
	v_cmp_u_f32_e32 vcc, v14, v14
	v_perm_b32 v3, v9, v3, s3
	s_nop 0
	v_cndmask_b32_e32 v10, v24, v16, vcc
	v_cmp_u_f32_e32 vcc, v15, v15
	s_nop 1
	v_cndmask_b32_e32 v4, v25, v4, vcc
	v_cmp_u_f32_e32 vcc, v17, v17
	v_perm_b32 v4, v10, v4, s3
	s_nop 0
	v_cndmask_b32_e32 v7, v7, v19, vcc
	v_cmp_u_f32_e32 vcc, v18, v18
	s_nop 1
	v_cndmask_b32_e32 v5, v6, v5, vcc
	v_perm_b32 v5, v7, v5, s3
	global_store_dwordx4 v1, v[2:5], s[0:1]
	s_mov_b64 s[0:1], 0
.LBB339_2:
	s_andn2_b64 vcc, exec, s[0:1]
	s_cbranch_vccnz .LBB339_57
; %bb.3:
	v_cmp_gt_i32_e32 vcc, s8, v0
	v_mov_b32_e32 v1, 0
	v_or_b32_e32 v2, s2, v0
	v_mov_b32_e32 v6, 0
	v_mov_b32_e32 v3, v0
	s_and_saveexec_b64 s[0:1], vcc
	s_cbranch_execz .LBB339_5
; %bb.4:
	v_mov_b32_e32 v3, 0
	v_lshl_add_u64 v[4:5], v[2:3], 1, s[6:7]
	global_load_ushort v6, v[4:5], off
	v_or_b32_e32 v3, 0x100, v0
.LBB339_5:
	s_or_b64 exec, exec, s[0:1]
	v_cmp_gt_i32_e64 s[0:1], s8, v3
	s_and_saveexec_b64 s[10:11], s[0:1]
	s_cbranch_execz .LBB339_7
; %bb.6:
	v_add_u32_e32 v4, s2, v3
	v_mov_b32_e32 v5, 0
	v_lshl_add_u64 v[4:5], v[4:5], 1, s[6:7]
	global_load_ushort v1, v[4:5], off
	v_add_u32_e32 v3, 0x100, v3
.LBB339_7:
	s_or_b64 exec, exec, s[10:11]
	v_cmp_gt_i32_e64 s[0:1], s8, v3
	v_mov_b32_e32 v4, 0
	v_mov_b32_e32 v8, 0
	s_and_saveexec_b64 s[10:11], s[0:1]
	s_cbranch_execz .LBB339_9
; %bb.8:
	v_add_u32_e32 v8, s2, v3
	v_mov_b32_e32 v9, 0
	v_lshl_add_u64 v[8:9], v[8:9], 1, s[6:7]
	global_load_ushort v8, v[8:9], off
	v_add_u32_e32 v3, 0x100, v3
.LBB339_9:
	s_or_b64 exec, exec, s[10:11]
	v_cmp_gt_i32_e64 s[0:1], s8, v3
	s_and_saveexec_b64 s[10:11], s[0:1]
	s_cbranch_execz .LBB339_11
; %bb.10:
	v_add_u32_e32 v4, s2, v3
	v_mov_b32_e32 v5, 0
	v_lshl_add_u64 v[4:5], v[4:5], 1, s[6:7]
	global_load_ushort v4, v[4:5], off
	v_add_u32_e32 v3, 0x100, v3
.LBB339_11:
	s_or_b64 exec, exec, s[10:11]
	v_cmp_gt_i32_e64 s[0:1], s8, v3
	v_mov_b32_e32 v5, 0
	v_mov_b32_e32 v9, 0
	s_and_saveexec_b64 s[10:11], s[0:1]
	s_cbranch_execz .LBB339_13
; %bb.12:
	v_add_u32_e32 v10, s2, v3
	v_mov_b32_e32 v11, 0
	v_lshl_add_u64 v[10:11], v[10:11], 1, s[6:7]
	global_load_ushort v9, v[10:11], off
	v_add_u32_e32 v3, 0x100, v3
.LBB339_13:
	;; [unrolled: 24-line block ×3, first 2 shown]
	s_or_b64 exec, exec, s[10:11]
	v_cmp_gt_i32_e64 s[0:1], s8, v3
	s_and_saveexec_b64 s[10:11], s[0:1]
	s_cbranch_execz .LBB339_19
; %bb.18:
	v_add_u32_e32 v12, s2, v3
	v_mov_b32_e32 v13, 0
	v_lshl_add_u64 v[12:13], v[12:13], 1, s[6:7]
	global_load_ushort v7, v[12:13], off
.LBB339_19:
	s_or_b64 exec, exec, s[10:11]
	s_lshr_b32 s3, s9, 16
	s_lshl_b32 s13, s9, 16
	s_and_b32 s12, s9, 0xffff0000
	s_and_saveexec_b64 s[6:7], vcc
	s_cbranch_execz .LBB339_23
; %bb.20:
	s_waitcnt vmcnt(0)
	v_lshlrev_b32_e32 v3, 16, v6
	v_cmp_o_f32_e64 s[0:1], v3, v3
	s_and_saveexec_b64 s[10:11], s[0:1]
; %bb.21:
	v_mov_b32_e32 v11, s9
	v_cmp_lt_f32_e64 s[0:1], s13, v3
	s_nop 1
	v_cndmask_b32_e64 v3, v11, v6, s[0:1]
	v_lshlrev_b32_e32 v6, 16, v3
	v_mov_b32_e32 v11, s3
	v_cmp_gt_f32_e64 s[0:1], s12, v6
	s_nop 1
	v_cndmask_b32_e64 v6, v11, v3, s[0:1]
; %bb.22:
	s_or_b64 exec, exec, s[10:11]
.LBB339_23:
	s_or_b64 exec, exec, s[6:7]
	v_or_b32_e32 v11, 0x100, v0
	v_cmp_gt_i32_e64 s[0:1], s8, v11
	s_and_saveexec_b64 s[6:7], s[0:1]
	s_cbranch_execz .LBB339_27
; %bb.24:
	s_waitcnt vmcnt(0)
	v_lshlrev_b32_e32 v3, 16, v1
	v_cmp_o_f32_e64 s[0:1], v3, v3
	s_and_saveexec_b64 s[10:11], s[0:1]
; %bb.25:
	v_mov_b32_e32 v12, s9
	v_cmp_lt_f32_e64 s[0:1], s13, v3
	s_nop 1
	v_cndmask_b32_e64 v1, v12, v1, s[0:1]
	v_lshlrev_b32_e32 v3, 16, v1
	v_mov_b32_e32 v12, s3
	v_cmp_gt_f32_e64 s[0:1], s12, v3
	s_nop 1
	v_cndmask_b32_e64 v1, v12, v1, s[0:1]
; %bb.26:
	s_or_b64 exec, exec, s[10:11]
.LBB339_27:
	s_or_b64 exec, exec, s[6:7]
	v_or_b32_e32 v3, 0x200, v0
	v_cmp_gt_i32_e64 s[0:1], s8, v3
	s_and_saveexec_b64 s[6:7], s[0:1]
	;; [unrolled: 23-line block ×7, first 2 shown]
	s_cbranch_execnz .LBB339_58
; %bb.48:
	s_or_b64 exec, exec, s[6:7]
	s_and_saveexec_b64 s[0:1], vcc
	s_xor_b64 s[0:1], exec, s[0:1]
	s_cbranch_execnz .LBB339_61
.LBB339_49:
	s_or_b64 exec, exec, s[0:1]
	v_cmp_gt_i32_e32 vcc, s8, v0
	s_and_saveexec_b64 s[0:1], vcc
	s_cbranch_execnz .LBB339_62
.LBB339_50:
	s_or_b64 exec, exec, s[0:1]
	v_cmp_gt_i32_e32 vcc, s8, v0
	s_and_saveexec_b64 s[0:1], vcc
	s_cbranch_execnz .LBB339_63
.LBB339_51:
	s_or_b64 exec, exec, s[0:1]
	v_cmp_gt_i32_e32 vcc, s8, v0
	s_and_saveexec_b64 s[0:1], vcc
	s_cbranch_execnz .LBB339_64
.LBB339_52:
	s_or_b64 exec, exec, s[0:1]
	v_cmp_gt_i32_e32 vcc, s8, v0
	s_and_saveexec_b64 s[0:1], vcc
	s_cbranch_execnz .LBB339_65
.LBB339_53:
	s_or_b64 exec, exec, s[0:1]
	v_cmp_gt_i32_e32 vcc, s8, v0
	s_and_saveexec_b64 s[0:1], vcc
	s_cbranch_execnz .LBB339_66
.LBB339_54:
	s_or_b64 exec, exec, s[0:1]
	v_cmp_gt_i32_e32 vcc, s8, v0
	s_and_saveexec_b64 s[0:1], vcc
	s_cbranch_execnz .LBB339_67
.LBB339_55:
	s_or_b64 exec, exec, s[0:1]
	v_cmp_gt_i32_e32 vcc, s8, v0
	s_and_saveexec_b64 s[0:1], vcc
	s_cbranch_execz .LBB339_57
.LBB339_56:
	v_add_u32_e32 v0, s2, v0
	s_waitcnt vmcnt(0)
	v_mov_b32_e32 v1, 0
	v_lshl_add_u64 v[0:1], v[0:1], 1, s[4:5]
	global_store_short v[0:1], v7, off
.LBB339_57:
	s_endpgm
.LBB339_58:
	s_waitcnt vmcnt(0)
	v_lshlrev_b32_e32 v3, 16, v7
	v_cmp_o_f32_e64 s[0:1], v3, v3
	s_and_saveexec_b64 s[10:11], s[0:1]
; %bb.59:
	v_mov_b32_e32 v12, s9
	v_cmp_lt_f32_e64 s[0:1], s13, v3
	s_nop 1
	v_cndmask_b32_e64 v3, v12, v7, s[0:1]
	v_lshlrev_b32_e32 v7, 16, v3
	v_mov_b32_e32 v12, s3
	v_cmp_gt_f32_e64 s[0:1], s12, v7
	s_nop 1
	v_cndmask_b32_e64 v7, v12, v3, s[0:1]
; %bb.60:
	s_or_b64 exec, exec, s[10:11]
	s_or_b64 exec, exec, s[6:7]
	s_and_saveexec_b64 s[0:1], vcc
	s_xor_b64 s[0:1], exec, s[0:1]
	s_cbranch_execz .LBB339_49
.LBB339_61:
	v_mov_b32_e32 v3, 0
	v_lshl_add_u64 v[2:3], v[2:3], 1, s[4:5]
	v_mov_b32_e32 v0, v11
	s_waitcnt vmcnt(0)
	global_store_short v[2:3], v6, off
	s_or_b64 exec, exec, s[0:1]
	v_cmp_gt_i32_e32 vcc, s8, v0
	s_and_saveexec_b64 s[0:1], vcc
	s_cbranch_execz .LBB339_50
.LBB339_62:
	v_add_u32_e32 v2, s2, v0
	v_mov_b32_e32 v3, 0
	v_lshl_add_u64 v[2:3], v[2:3], 1, s[4:5]
	v_add_u32_e32 v0, 0x100, v0
	s_waitcnt vmcnt(0)
	global_store_short v[2:3], v1, off
	s_or_b64 exec, exec, s[0:1]
	v_cmp_gt_i32_e32 vcc, s8, v0
	s_and_saveexec_b64 s[0:1], vcc
	s_cbranch_execz .LBB339_51
.LBB339_63:
	v_add_u32_e32 v2, s2, v0
	v_mov_b32_e32 v3, 0
	v_lshl_add_u64 v[2:3], v[2:3], 1, s[4:5]
	v_add_u32_e32 v0, 0x100, v0
	s_waitcnt vmcnt(0)
	global_store_short v[2:3], v8, off
	s_or_b64 exec, exec, s[0:1]
	v_cmp_gt_i32_e32 vcc, s8, v0
	s_and_saveexec_b64 s[0:1], vcc
	s_cbranch_execz .LBB339_52
.LBB339_64:
	v_add_u32_e32 v2, s2, v0
	v_mov_b32_e32 v3, 0
	v_lshl_add_u64 v[2:3], v[2:3], 1, s[4:5]
	v_add_u32_e32 v0, 0x100, v0
	s_waitcnt vmcnt(0)
	global_store_short v[2:3], v4, off
	s_or_b64 exec, exec, s[0:1]
	v_cmp_gt_i32_e32 vcc, s8, v0
	s_and_saveexec_b64 s[0:1], vcc
	s_cbranch_execz .LBB339_53
.LBB339_65:
	v_add_u32_e32 v2, s2, v0
	v_mov_b32_e32 v3, 0
	v_lshl_add_u64 v[2:3], v[2:3], 1, s[4:5]
	v_add_u32_e32 v0, 0x100, v0
	s_waitcnt vmcnt(0)
	global_store_short v[2:3], v9, off
	s_or_b64 exec, exec, s[0:1]
	v_cmp_gt_i32_e32 vcc, s8, v0
	s_and_saveexec_b64 s[0:1], vcc
	s_cbranch_execz .LBB339_54
.LBB339_66:
	v_add_u32_e32 v2, s2, v0
	v_mov_b32_e32 v3, 0
	v_lshl_add_u64 v[2:3], v[2:3], 1, s[4:5]
	v_add_u32_e32 v0, 0x100, v0
	s_waitcnt vmcnt(0)
	global_store_short v[2:3], v5, off
	s_or_b64 exec, exec, s[0:1]
	v_cmp_gt_i32_e32 vcc, s8, v0
	s_and_saveexec_b64 s[0:1], vcc
	s_cbranch_execz .LBB339_55
.LBB339_67:
	v_add_u32_e32 v2, s2, v0
	v_mov_b32_e32 v3, 0
	v_lshl_add_u64 v[2:3], v[2:3], 1, s[4:5]
	v_add_u32_e32 v0, 0x100, v0
	s_waitcnt vmcnt(0)
	global_store_short v[2:3], v10, off
	s_or_b64 exec, exec, s[0:1]
	v_cmp_gt_i32_e32 vcc, s8, v0
	s_and_saveexec_b64 s[0:1], vcc
	s_cbranch_execnz .LBB339_56
	s_branch .LBB339_57
	.section	.rodata,"a",@progbits
	.p2align	6, 0x0
	.amdhsa_kernel _ZN2at6native29vectorized_elementwise_kernelILi8EZZZNS0_17clamp_kernel_cudaERNS_18TensorIteratorBaseERKN3c106ScalarES7_ENKUlvE_clEvENKUlvE7_clEvEUlNS4_8BFloat16EE_St5arrayIPcLm2EEEEviT0_T1_
		.amdhsa_group_segment_fixed_size 0
		.amdhsa_private_segment_fixed_size 0
		.amdhsa_kernarg_size 24
		.amdhsa_user_sgpr_count 2
		.amdhsa_user_sgpr_dispatch_ptr 0
		.amdhsa_user_sgpr_queue_ptr 0
		.amdhsa_user_sgpr_kernarg_segment_ptr 1
		.amdhsa_user_sgpr_dispatch_id 0
		.amdhsa_user_sgpr_kernarg_preload_length 0
		.amdhsa_user_sgpr_kernarg_preload_offset 0
		.amdhsa_user_sgpr_private_segment_size 0
		.amdhsa_uses_dynamic_stack 0
		.amdhsa_enable_private_segment 0
		.amdhsa_system_sgpr_workgroup_id_x 1
		.amdhsa_system_sgpr_workgroup_id_y 0
		.amdhsa_system_sgpr_workgroup_id_z 0
		.amdhsa_system_sgpr_workgroup_info 0
		.amdhsa_system_vgpr_workitem_id 0
		.amdhsa_next_free_vgpr 35
		.amdhsa_next_free_sgpr 14
		.amdhsa_accum_offset 36
		.amdhsa_reserve_vcc 1
		.amdhsa_float_round_mode_32 0
		.amdhsa_float_round_mode_16_64 0
		.amdhsa_float_denorm_mode_32 3
		.amdhsa_float_denorm_mode_16_64 3
		.amdhsa_dx10_clamp 1
		.amdhsa_ieee_mode 1
		.amdhsa_fp16_overflow 0
		.amdhsa_tg_split 0
		.amdhsa_exception_fp_ieee_invalid_op 0
		.amdhsa_exception_fp_denorm_src 0
		.amdhsa_exception_fp_ieee_div_zero 0
		.amdhsa_exception_fp_ieee_overflow 0
		.amdhsa_exception_fp_ieee_underflow 0
		.amdhsa_exception_fp_ieee_inexact 0
		.amdhsa_exception_int_div_zero 0
	.end_amdhsa_kernel
	.section	.text._ZN2at6native29vectorized_elementwise_kernelILi8EZZZNS0_17clamp_kernel_cudaERNS_18TensorIteratorBaseERKN3c106ScalarES7_ENKUlvE_clEvENKUlvE7_clEvEUlNS4_8BFloat16EE_St5arrayIPcLm2EEEEviT0_T1_,"axG",@progbits,_ZN2at6native29vectorized_elementwise_kernelILi8EZZZNS0_17clamp_kernel_cudaERNS_18TensorIteratorBaseERKN3c106ScalarES7_ENKUlvE_clEvENKUlvE7_clEvEUlNS4_8BFloat16EE_St5arrayIPcLm2EEEEviT0_T1_,comdat
.Lfunc_end339:
	.size	_ZN2at6native29vectorized_elementwise_kernelILi8EZZZNS0_17clamp_kernel_cudaERNS_18TensorIteratorBaseERKN3c106ScalarES7_ENKUlvE_clEvENKUlvE7_clEvEUlNS4_8BFloat16EE_St5arrayIPcLm2EEEEviT0_T1_, .Lfunc_end339-_ZN2at6native29vectorized_elementwise_kernelILi8EZZZNS0_17clamp_kernel_cudaERNS_18TensorIteratorBaseERKN3c106ScalarES7_ENKUlvE_clEvENKUlvE7_clEvEUlNS4_8BFloat16EE_St5arrayIPcLm2EEEEviT0_T1_
                                        ; -- End function
	.set _ZN2at6native29vectorized_elementwise_kernelILi8EZZZNS0_17clamp_kernel_cudaERNS_18TensorIteratorBaseERKN3c106ScalarES7_ENKUlvE_clEvENKUlvE7_clEvEUlNS4_8BFloat16EE_St5arrayIPcLm2EEEEviT0_T1_.num_vgpr, 35
	.set _ZN2at6native29vectorized_elementwise_kernelILi8EZZZNS0_17clamp_kernel_cudaERNS_18TensorIteratorBaseERKN3c106ScalarES7_ENKUlvE_clEvENKUlvE7_clEvEUlNS4_8BFloat16EE_St5arrayIPcLm2EEEEviT0_T1_.num_agpr, 0
	.set _ZN2at6native29vectorized_elementwise_kernelILi8EZZZNS0_17clamp_kernel_cudaERNS_18TensorIteratorBaseERKN3c106ScalarES7_ENKUlvE_clEvENKUlvE7_clEvEUlNS4_8BFloat16EE_St5arrayIPcLm2EEEEviT0_T1_.numbered_sgpr, 14
	.set _ZN2at6native29vectorized_elementwise_kernelILi8EZZZNS0_17clamp_kernel_cudaERNS_18TensorIteratorBaseERKN3c106ScalarES7_ENKUlvE_clEvENKUlvE7_clEvEUlNS4_8BFloat16EE_St5arrayIPcLm2EEEEviT0_T1_.num_named_barrier, 0
	.set _ZN2at6native29vectorized_elementwise_kernelILi8EZZZNS0_17clamp_kernel_cudaERNS_18TensorIteratorBaseERKN3c106ScalarES7_ENKUlvE_clEvENKUlvE7_clEvEUlNS4_8BFloat16EE_St5arrayIPcLm2EEEEviT0_T1_.private_seg_size, 0
	.set _ZN2at6native29vectorized_elementwise_kernelILi8EZZZNS0_17clamp_kernel_cudaERNS_18TensorIteratorBaseERKN3c106ScalarES7_ENKUlvE_clEvENKUlvE7_clEvEUlNS4_8BFloat16EE_St5arrayIPcLm2EEEEviT0_T1_.uses_vcc, 1
	.set _ZN2at6native29vectorized_elementwise_kernelILi8EZZZNS0_17clamp_kernel_cudaERNS_18TensorIteratorBaseERKN3c106ScalarES7_ENKUlvE_clEvENKUlvE7_clEvEUlNS4_8BFloat16EE_St5arrayIPcLm2EEEEviT0_T1_.uses_flat_scratch, 0
	.set _ZN2at6native29vectorized_elementwise_kernelILi8EZZZNS0_17clamp_kernel_cudaERNS_18TensorIteratorBaseERKN3c106ScalarES7_ENKUlvE_clEvENKUlvE7_clEvEUlNS4_8BFloat16EE_St5arrayIPcLm2EEEEviT0_T1_.has_dyn_sized_stack, 0
	.set _ZN2at6native29vectorized_elementwise_kernelILi8EZZZNS0_17clamp_kernel_cudaERNS_18TensorIteratorBaseERKN3c106ScalarES7_ENKUlvE_clEvENKUlvE7_clEvEUlNS4_8BFloat16EE_St5arrayIPcLm2EEEEviT0_T1_.has_recursion, 0
	.set _ZN2at6native29vectorized_elementwise_kernelILi8EZZZNS0_17clamp_kernel_cudaERNS_18TensorIteratorBaseERKN3c106ScalarES7_ENKUlvE_clEvENKUlvE7_clEvEUlNS4_8BFloat16EE_St5arrayIPcLm2EEEEviT0_T1_.has_indirect_call, 0
	.section	.AMDGPU.csdata,"",@progbits
; Kernel info:
; codeLenInByte = 2320
; TotalNumSgprs: 20
; NumVgprs: 35
; NumAgprs: 0
; TotalNumVgprs: 35
; ScratchSize: 0
; MemoryBound: 0
; FloatMode: 240
; IeeeMode: 1
; LDSByteSize: 0 bytes/workgroup (compile time only)
; SGPRBlocks: 2
; VGPRBlocks: 4
; NumSGPRsForWavesPerEU: 20
; NumVGPRsForWavesPerEU: 35
; AccumOffset: 36
; Occupancy: 8
; WaveLimiterHint : 0
; COMPUTE_PGM_RSRC2:SCRATCH_EN: 0
; COMPUTE_PGM_RSRC2:USER_SGPR: 2
; COMPUTE_PGM_RSRC2:TRAP_HANDLER: 0
; COMPUTE_PGM_RSRC2:TGID_X_EN: 1
; COMPUTE_PGM_RSRC2:TGID_Y_EN: 0
; COMPUTE_PGM_RSRC2:TGID_Z_EN: 0
; COMPUTE_PGM_RSRC2:TIDIG_COMP_CNT: 0
; COMPUTE_PGM_RSRC3_GFX90A:ACCUM_OFFSET: 8
; COMPUTE_PGM_RSRC3_GFX90A:TG_SPLIT: 0
	.section	.text._ZN2at6native29vectorized_elementwise_kernelILi4EZZZNS0_17clamp_kernel_cudaERNS_18TensorIteratorBaseERKN3c106ScalarES7_ENKUlvE_clEvENKUlvE7_clEvEUlNS4_8BFloat16EE_St5arrayIPcLm2EEEEviT0_T1_,"axG",@progbits,_ZN2at6native29vectorized_elementwise_kernelILi4EZZZNS0_17clamp_kernel_cudaERNS_18TensorIteratorBaseERKN3c106ScalarES7_ENKUlvE_clEvENKUlvE7_clEvEUlNS4_8BFloat16EE_St5arrayIPcLm2EEEEviT0_T1_,comdat
	.globl	_ZN2at6native29vectorized_elementwise_kernelILi4EZZZNS0_17clamp_kernel_cudaERNS_18TensorIteratorBaseERKN3c106ScalarES7_ENKUlvE_clEvENKUlvE7_clEvEUlNS4_8BFloat16EE_St5arrayIPcLm2EEEEviT0_T1_ ; -- Begin function _ZN2at6native29vectorized_elementwise_kernelILi4EZZZNS0_17clamp_kernel_cudaERNS_18TensorIteratorBaseERKN3c106ScalarES7_ENKUlvE_clEvENKUlvE7_clEvEUlNS4_8BFloat16EE_St5arrayIPcLm2EEEEviT0_T1_
	.p2align	8
	.type	_ZN2at6native29vectorized_elementwise_kernelILi4EZZZNS0_17clamp_kernel_cudaERNS_18TensorIteratorBaseERKN3c106ScalarES7_ENKUlvE_clEvENKUlvE7_clEvEUlNS4_8BFloat16EE_St5arrayIPcLm2EEEEviT0_T1_,@function
_ZN2at6native29vectorized_elementwise_kernelILi4EZZZNS0_17clamp_kernel_cudaERNS_18TensorIteratorBaseERKN3c106ScalarES7_ENKUlvE_clEvENKUlvE7_clEvEUlNS4_8BFloat16EE_St5arrayIPcLm2EEEEviT0_T1_: ; @_ZN2at6native29vectorized_elementwise_kernelILi4EZZZNS0_17clamp_kernel_cudaERNS_18TensorIteratorBaseERKN3c106ScalarES7_ENKUlvE_clEvENKUlvE7_clEvEUlNS4_8BFloat16EE_St5arrayIPcLm2EEEEviT0_T1_
; %bb.0:
	s_load_dwordx2 s[8:9], s[0:1], 0x0
	s_load_dwordx4 s[4:7], s[0:1], 0x8
	s_lshl_b32 s2, s2, 11
	s_mov_b64 s[0:1], -1
	s_waitcnt lgkmcnt(0)
	s_sub_i32 s8, s8, s2
	s_cmpk_gt_i32 s8, 0x7ff
	s_cbranch_scc0 .LBB340_2
; %bb.1:
	s_ashr_i32 s3, s2, 31
	s_lshr_b32 s12, s9, 16
	s_lshl_b64 s[0:1], s[2:3], 1
	s_add_u32 s10, s6, s0
	s_addc_u32 s11, s7, s1
	v_lshlrev_b32_e32 v1, 3, v0
	global_load_dwordx2 v[2:3], v1, s[10:11]
	global_load_dwordx2 v[4:5], v1, s[10:11] offset:2048
	s_lshl_b32 s10, s9, 16
	v_mov_b32_e32 v6, s9
	s_and_b32 s3, s9, 0xffff0000
	v_mov_b32_e32 v7, s12
	s_add_u32 s0, s4, s0
	s_addc_u32 s1, s5, s1
	s_waitcnt vmcnt(1)
	v_lshlrev_b32_e32 v8, 16, v2
	v_and_b32_e32 v10, 0xffff0000, v2
	v_cmp_lt_f32_e32 vcc, s10, v8
	v_lshrrev_b32_e32 v9, 16, v2
	v_lshlrev_b32_e32 v11, 16, v3
	v_cndmask_b32_e32 v20, v6, v2, vcc
	v_cmp_lt_f32_e32 vcc, s10, v10
	v_and_b32_e32 v13, 0xffff0000, v3
	v_lshrrev_b32_e32 v12, 16, v3
	v_cndmask_b32_e32 v21, v6, v9, vcc
	v_cmp_lt_f32_e32 vcc, s10, v11
	s_waitcnt vmcnt(0)
	v_lshlrev_b32_e32 v14, 16, v4
	v_and_b32_e32 v17, 0xffff0000, v4
	v_cndmask_b32_e32 v22, v6, v3, vcc
	v_cmp_lt_f32_e32 vcc, s10, v13
	v_lshrrev_b32_e32 v15, 16, v4
	v_lshlrev_b32_e32 v18, 16, v5
	v_cndmask_b32_e32 v23, v6, v12, vcc
	v_cmp_lt_f32_e32 vcc, s10, v14
	v_and_b32_e32 v16, 0xffff0000, v5
	v_lshrrev_b32_e32 v19, 16, v5
	v_cndmask_b32_e32 v24, v6, v4, vcc
	v_cmp_lt_f32_e32 vcc, s10, v17
	v_lshlrev_b32_e32 v27, 16, v20
	v_lshlrev_b32_e32 v28, 16, v21
	v_cndmask_b32_e32 v25, v6, v15, vcc
	v_cmp_lt_f32_e32 vcc, s10, v18
	v_lshlrev_b32_e32 v29, 16, v22
	v_lshlrev_b32_e32 v30, 16, v23
	;; [unrolled: 4-line block ×3, first 2 shown]
	v_cndmask_b32_e32 v6, v6, v19, vcc
	v_cmp_gt_f32_e32 vcc, s3, v27
	v_lshlrev_b32_e32 v33, 16, v26
	v_lshlrev_b32_e32 v34, 16, v6
	v_cndmask_b32_e32 v20, v7, v20, vcc
	v_cmp_gt_f32_e32 vcc, s3, v28
	s_nop 1
	v_cndmask_b32_e32 v21, v7, v21, vcc
	v_cmp_gt_f32_e32 vcc, s3, v29
	s_nop 1
	;; [unrolled: 3-line block ×7, first 2 shown]
	v_cndmask_b32_e32 v6, v7, v6, vcc
	v_cmp_u_f32_e32 vcc, v8, v8
	s_nop 1
	v_cndmask_b32_e32 v2, v20, v2, vcc
	v_cmp_u_f32_e32 vcc, v10, v10
	v_and_b32_e32 v2, 0xffff, v2
	s_nop 0
	v_cndmask_b32_e32 v7, v21, v9, vcc
	v_cmp_u_f32_e32 vcc, v11, v11
	v_lshlrev_b32_e32 v7, 16, v7
	v_or_b32_e32 v2, v7, v2
	v_cndmask_b32_e32 v3, v22, v3, vcc
	v_cmp_u_f32_e32 vcc, v13, v13
	v_and_b32_e32 v3, 0xffff, v3
	v_or3_b32 v2, v2, 0, 0
	v_cndmask_b32_e32 v8, v23, v12, vcc
	v_cmp_u_f32_e32 vcc, v14, v14
	v_lshlrev_b32_e32 v8, 16, v8
	v_or3_b32 v3, 0, v3, v8
	v_cndmask_b32_e32 v4, v24, v4, vcc
	v_cmp_u_f32_e32 vcc, v17, v17
	v_and_b32_e32 v4, 0xffff, v4
	s_nop 0
	v_cndmask_b32_e32 v9, v25, v15, vcc
	v_cmp_u_f32_e32 vcc, v18, v18
	v_lshlrev_b32_e32 v9, 16, v9
	v_or_b32_e32 v4, v9, v4
	v_cndmask_b32_e32 v5, v26, v5, vcc
	v_cmp_u_f32_e32 vcc, v16, v16
	v_and_b32_e32 v5, 0xffff, v5
	v_or3_b32 v4, v4, 0, 0
	v_cndmask_b32_e32 v6, v6, v19, vcc
	v_lshlrev_b32_e32 v6, 16, v6
	v_or3_b32 v5, 0, v5, v6
	global_store_dwordx2 v1, v[2:3], s[0:1]
	global_store_dwordx2 v1, v[4:5], s[0:1] offset:2048
	s_mov_b64 s[0:1], 0
.LBB340_2:
	s_andn2_b64 vcc, exec, s[0:1]
	s_cbranch_vccnz .LBB340_57
; %bb.3:
	v_cmp_gt_i32_e32 vcc, s8, v0
	v_mov_b32_e32 v1, 0
	v_or_b32_e32 v2, s2, v0
	v_mov_b32_e32 v6, 0
	v_mov_b32_e32 v3, v0
	s_and_saveexec_b64 s[0:1], vcc
	s_cbranch_execz .LBB340_5
; %bb.4:
	v_mov_b32_e32 v3, 0
	v_lshl_add_u64 v[4:5], v[2:3], 1, s[6:7]
	global_load_ushort v6, v[4:5], off
	v_or_b32_e32 v3, 0x100, v0
.LBB340_5:
	s_or_b64 exec, exec, s[0:1]
	v_cmp_gt_i32_e64 s[0:1], s8, v3
	s_and_saveexec_b64 s[10:11], s[0:1]
	s_cbranch_execz .LBB340_7
; %bb.6:
	v_add_u32_e32 v4, s2, v3
	v_mov_b32_e32 v5, 0
	v_lshl_add_u64 v[4:5], v[4:5], 1, s[6:7]
	global_load_ushort v1, v[4:5], off
	v_add_u32_e32 v3, 0x100, v3
.LBB340_7:
	s_or_b64 exec, exec, s[10:11]
	v_cmp_gt_i32_e64 s[0:1], s8, v3
	v_mov_b32_e32 v4, 0
	v_mov_b32_e32 v8, 0
	s_and_saveexec_b64 s[10:11], s[0:1]
	s_cbranch_execz .LBB340_9
; %bb.8:
	v_add_u32_e32 v8, s2, v3
	v_mov_b32_e32 v9, 0
	v_lshl_add_u64 v[8:9], v[8:9], 1, s[6:7]
	global_load_ushort v8, v[8:9], off
	v_add_u32_e32 v3, 0x100, v3
.LBB340_9:
	s_or_b64 exec, exec, s[10:11]
	v_cmp_gt_i32_e64 s[0:1], s8, v3
	s_and_saveexec_b64 s[10:11], s[0:1]
	s_cbranch_execz .LBB340_11
; %bb.10:
	v_add_u32_e32 v4, s2, v3
	v_mov_b32_e32 v5, 0
	v_lshl_add_u64 v[4:5], v[4:5], 1, s[6:7]
	global_load_ushort v4, v[4:5], off
	v_add_u32_e32 v3, 0x100, v3
.LBB340_11:
	s_or_b64 exec, exec, s[10:11]
	v_cmp_gt_i32_e64 s[0:1], s8, v3
	v_mov_b32_e32 v5, 0
	v_mov_b32_e32 v9, 0
	s_and_saveexec_b64 s[10:11], s[0:1]
	s_cbranch_execz .LBB340_13
; %bb.12:
	v_add_u32_e32 v10, s2, v3
	v_mov_b32_e32 v11, 0
	v_lshl_add_u64 v[10:11], v[10:11], 1, s[6:7]
	global_load_ushort v9, v[10:11], off
	v_add_u32_e32 v3, 0x100, v3
.LBB340_13:
	;; [unrolled: 24-line block ×3, first 2 shown]
	s_or_b64 exec, exec, s[10:11]
	v_cmp_gt_i32_e64 s[0:1], s8, v3
	s_and_saveexec_b64 s[10:11], s[0:1]
	s_cbranch_execz .LBB340_19
; %bb.18:
	v_add_u32_e32 v12, s2, v3
	v_mov_b32_e32 v13, 0
	v_lshl_add_u64 v[12:13], v[12:13], 1, s[6:7]
	global_load_ushort v7, v[12:13], off
.LBB340_19:
	s_or_b64 exec, exec, s[10:11]
	s_lshr_b32 s3, s9, 16
	s_lshl_b32 s13, s9, 16
	s_and_b32 s12, s9, 0xffff0000
	s_and_saveexec_b64 s[6:7], vcc
	s_cbranch_execz .LBB340_23
; %bb.20:
	s_waitcnt vmcnt(0)
	v_lshlrev_b32_e32 v3, 16, v6
	v_cmp_o_f32_e64 s[0:1], v3, v3
	s_and_saveexec_b64 s[10:11], s[0:1]
; %bb.21:
	v_mov_b32_e32 v11, s9
	v_cmp_lt_f32_e64 s[0:1], s13, v3
	s_nop 1
	v_cndmask_b32_e64 v3, v11, v6, s[0:1]
	v_lshlrev_b32_e32 v6, 16, v3
	v_mov_b32_e32 v11, s3
	v_cmp_gt_f32_e64 s[0:1], s12, v6
	s_nop 1
	v_cndmask_b32_e64 v6, v11, v3, s[0:1]
; %bb.22:
	s_or_b64 exec, exec, s[10:11]
.LBB340_23:
	s_or_b64 exec, exec, s[6:7]
	v_or_b32_e32 v11, 0x100, v0
	v_cmp_gt_i32_e64 s[0:1], s8, v11
	s_and_saveexec_b64 s[6:7], s[0:1]
	s_cbranch_execz .LBB340_27
; %bb.24:
	s_waitcnt vmcnt(0)
	v_lshlrev_b32_e32 v3, 16, v1
	v_cmp_o_f32_e64 s[0:1], v3, v3
	s_and_saveexec_b64 s[10:11], s[0:1]
; %bb.25:
	v_mov_b32_e32 v12, s9
	v_cmp_lt_f32_e64 s[0:1], s13, v3
	s_nop 1
	v_cndmask_b32_e64 v1, v12, v1, s[0:1]
	v_lshlrev_b32_e32 v3, 16, v1
	v_mov_b32_e32 v12, s3
	v_cmp_gt_f32_e64 s[0:1], s12, v3
	s_nop 1
	v_cndmask_b32_e64 v1, v12, v1, s[0:1]
; %bb.26:
	s_or_b64 exec, exec, s[10:11]
.LBB340_27:
	s_or_b64 exec, exec, s[6:7]
	v_or_b32_e32 v3, 0x200, v0
	v_cmp_gt_i32_e64 s[0:1], s8, v3
	s_and_saveexec_b64 s[6:7], s[0:1]
	;; [unrolled: 23-line block ×7, first 2 shown]
	s_cbranch_execnz .LBB340_58
; %bb.48:
	s_or_b64 exec, exec, s[6:7]
	s_and_saveexec_b64 s[0:1], vcc
	s_xor_b64 s[0:1], exec, s[0:1]
	s_cbranch_execnz .LBB340_61
.LBB340_49:
	s_or_b64 exec, exec, s[0:1]
	v_cmp_gt_i32_e32 vcc, s8, v0
	s_and_saveexec_b64 s[0:1], vcc
	s_cbranch_execnz .LBB340_62
.LBB340_50:
	s_or_b64 exec, exec, s[0:1]
	v_cmp_gt_i32_e32 vcc, s8, v0
	s_and_saveexec_b64 s[0:1], vcc
	s_cbranch_execnz .LBB340_63
.LBB340_51:
	s_or_b64 exec, exec, s[0:1]
	v_cmp_gt_i32_e32 vcc, s8, v0
	s_and_saveexec_b64 s[0:1], vcc
	s_cbranch_execnz .LBB340_64
.LBB340_52:
	s_or_b64 exec, exec, s[0:1]
	v_cmp_gt_i32_e32 vcc, s8, v0
	s_and_saveexec_b64 s[0:1], vcc
	s_cbranch_execnz .LBB340_65
.LBB340_53:
	s_or_b64 exec, exec, s[0:1]
	v_cmp_gt_i32_e32 vcc, s8, v0
	s_and_saveexec_b64 s[0:1], vcc
	s_cbranch_execnz .LBB340_66
.LBB340_54:
	s_or_b64 exec, exec, s[0:1]
	v_cmp_gt_i32_e32 vcc, s8, v0
	s_and_saveexec_b64 s[0:1], vcc
	s_cbranch_execnz .LBB340_67
.LBB340_55:
	s_or_b64 exec, exec, s[0:1]
	v_cmp_gt_i32_e32 vcc, s8, v0
	s_and_saveexec_b64 s[0:1], vcc
	s_cbranch_execz .LBB340_57
.LBB340_56:
	v_add_u32_e32 v0, s2, v0
	s_waitcnt vmcnt(0)
	v_mov_b32_e32 v1, 0
	v_lshl_add_u64 v[0:1], v[0:1], 1, s[4:5]
	global_store_short v[0:1], v7, off
.LBB340_57:
	s_endpgm
.LBB340_58:
	s_waitcnt vmcnt(0)
	v_lshlrev_b32_e32 v3, 16, v7
	v_cmp_o_f32_e64 s[0:1], v3, v3
	s_and_saveexec_b64 s[10:11], s[0:1]
; %bb.59:
	v_mov_b32_e32 v12, s9
	v_cmp_lt_f32_e64 s[0:1], s13, v3
	s_nop 1
	v_cndmask_b32_e64 v3, v12, v7, s[0:1]
	v_lshlrev_b32_e32 v7, 16, v3
	v_mov_b32_e32 v12, s3
	v_cmp_gt_f32_e64 s[0:1], s12, v7
	s_nop 1
	v_cndmask_b32_e64 v7, v12, v3, s[0:1]
; %bb.60:
	s_or_b64 exec, exec, s[10:11]
	s_or_b64 exec, exec, s[6:7]
	s_and_saveexec_b64 s[0:1], vcc
	s_xor_b64 s[0:1], exec, s[0:1]
	s_cbranch_execz .LBB340_49
.LBB340_61:
	v_mov_b32_e32 v3, 0
	v_lshl_add_u64 v[2:3], v[2:3], 1, s[4:5]
	v_mov_b32_e32 v0, v11
	s_waitcnt vmcnt(0)
	global_store_short v[2:3], v6, off
	s_or_b64 exec, exec, s[0:1]
	v_cmp_gt_i32_e32 vcc, s8, v0
	s_and_saveexec_b64 s[0:1], vcc
	s_cbranch_execz .LBB340_50
.LBB340_62:
	v_add_u32_e32 v2, s2, v0
	v_mov_b32_e32 v3, 0
	v_lshl_add_u64 v[2:3], v[2:3], 1, s[4:5]
	v_add_u32_e32 v0, 0x100, v0
	s_waitcnt vmcnt(0)
	global_store_short v[2:3], v1, off
	s_or_b64 exec, exec, s[0:1]
	v_cmp_gt_i32_e32 vcc, s8, v0
	s_and_saveexec_b64 s[0:1], vcc
	s_cbranch_execz .LBB340_51
.LBB340_63:
	v_add_u32_e32 v2, s2, v0
	v_mov_b32_e32 v3, 0
	v_lshl_add_u64 v[2:3], v[2:3], 1, s[4:5]
	v_add_u32_e32 v0, 0x100, v0
	s_waitcnt vmcnt(0)
	global_store_short v[2:3], v8, off
	s_or_b64 exec, exec, s[0:1]
	v_cmp_gt_i32_e32 vcc, s8, v0
	s_and_saveexec_b64 s[0:1], vcc
	s_cbranch_execz .LBB340_52
.LBB340_64:
	v_add_u32_e32 v2, s2, v0
	v_mov_b32_e32 v3, 0
	v_lshl_add_u64 v[2:3], v[2:3], 1, s[4:5]
	v_add_u32_e32 v0, 0x100, v0
	s_waitcnt vmcnt(0)
	global_store_short v[2:3], v4, off
	s_or_b64 exec, exec, s[0:1]
	v_cmp_gt_i32_e32 vcc, s8, v0
	s_and_saveexec_b64 s[0:1], vcc
	s_cbranch_execz .LBB340_53
.LBB340_65:
	v_add_u32_e32 v2, s2, v0
	v_mov_b32_e32 v3, 0
	v_lshl_add_u64 v[2:3], v[2:3], 1, s[4:5]
	v_add_u32_e32 v0, 0x100, v0
	s_waitcnt vmcnt(0)
	global_store_short v[2:3], v9, off
	s_or_b64 exec, exec, s[0:1]
	v_cmp_gt_i32_e32 vcc, s8, v0
	s_and_saveexec_b64 s[0:1], vcc
	s_cbranch_execz .LBB340_54
.LBB340_66:
	v_add_u32_e32 v2, s2, v0
	v_mov_b32_e32 v3, 0
	v_lshl_add_u64 v[2:3], v[2:3], 1, s[4:5]
	v_add_u32_e32 v0, 0x100, v0
	s_waitcnt vmcnt(0)
	global_store_short v[2:3], v5, off
	s_or_b64 exec, exec, s[0:1]
	v_cmp_gt_i32_e32 vcc, s8, v0
	s_and_saveexec_b64 s[0:1], vcc
	s_cbranch_execz .LBB340_55
.LBB340_67:
	v_add_u32_e32 v2, s2, v0
	v_mov_b32_e32 v3, 0
	v_lshl_add_u64 v[2:3], v[2:3], 1, s[4:5]
	v_add_u32_e32 v0, 0x100, v0
	s_waitcnt vmcnt(0)
	global_store_short v[2:3], v10, off
	s_or_b64 exec, exec, s[0:1]
	v_cmp_gt_i32_e32 vcc, s8, v0
	s_and_saveexec_b64 s[0:1], vcc
	s_cbranch_execnz .LBB340_56
	s_branch .LBB340_57
	.section	.rodata,"a",@progbits
	.p2align	6, 0x0
	.amdhsa_kernel _ZN2at6native29vectorized_elementwise_kernelILi4EZZZNS0_17clamp_kernel_cudaERNS_18TensorIteratorBaseERKN3c106ScalarES7_ENKUlvE_clEvENKUlvE7_clEvEUlNS4_8BFloat16EE_St5arrayIPcLm2EEEEviT0_T1_
		.amdhsa_group_segment_fixed_size 0
		.amdhsa_private_segment_fixed_size 0
		.amdhsa_kernarg_size 24
		.amdhsa_user_sgpr_count 2
		.amdhsa_user_sgpr_dispatch_ptr 0
		.amdhsa_user_sgpr_queue_ptr 0
		.amdhsa_user_sgpr_kernarg_segment_ptr 1
		.amdhsa_user_sgpr_dispatch_id 0
		.amdhsa_user_sgpr_kernarg_preload_length 0
		.amdhsa_user_sgpr_kernarg_preload_offset 0
		.amdhsa_user_sgpr_private_segment_size 0
		.amdhsa_uses_dynamic_stack 0
		.amdhsa_enable_private_segment 0
		.amdhsa_system_sgpr_workgroup_id_x 1
		.amdhsa_system_sgpr_workgroup_id_y 0
		.amdhsa_system_sgpr_workgroup_id_z 0
		.amdhsa_system_sgpr_workgroup_info 0
		.amdhsa_system_vgpr_workitem_id 0
		.amdhsa_next_free_vgpr 35
		.amdhsa_next_free_sgpr 14
		.amdhsa_accum_offset 36
		.amdhsa_reserve_vcc 1
		.amdhsa_float_round_mode_32 0
		.amdhsa_float_round_mode_16_64 0
		.amdhsa_float_denorm_mode_32 3
		.amdhsa_float_denorm_mode_16_64 3
		.amdhsa_dx10_clamp 1
		.amdhsa_ieee_mode 1
		.amdhsa_fp16_overflow 0
		.amdhsa_tg_split 0
		.amdhsa_exception_fp_ieee_invalid_op 0
		.amdhsa_exception_fp_denorm_src 0
		.amdhsa_exception_fp_ieee_div_zero 0
		.amdhsa_exception_fp_ieee_overflow 0
		.amdhsa_exception_fp_ieee_underflow 0
		.amdhsa_exception_fp_ieee_inexact 0
		.amdhsa_exception_int_div_zero 0
	.end_amdhsa_kernel
	.section	.text._ZN2at6native29vectorized_elementwise_kernelILi4EZZZNS0_17clamp_kernel_cudaERNS_18TensorIteratorBaseERKN3c106ScalarES7_ENKUlvE_clEvENKUlvE7_clEvEUlNS4_8BFloat16EE_St5arrayIPcLm2EEEEviT0_T1_,"axG",@progbits,_ZN2at6native29vectorized_elementwise_kernelILi4EZZZNS0_17clamp_kernel_cudaERNS_18TensorIteratorBaseERKN3c106ScalarES7_ENKUlvE_clEvENKUlvE7_clEvEUlNS4_8BFloat16EE_St5arrayIPcLm2EEEEviT0_T1_,comdat
.Lfunc_end340:
	.size	_ZN2at6native29vectorized_elementwise_kernelILi4EZZZNS0_17clamp_kernel_cudaERNS_18TensorIteratorBaseERKN3c106ScalarES7_ENKUlvE_clEvENKUlvE7_clEvEUlNS4_8BFloat16EE_St5arrayIPcLm2EEEEviT0_T1_, .Lfunc_end340-_ZN2at6native29vectorized_elementwise_kernelILi4EZZZNS0_17clamp_kernel_cudaERNS_18TensorIteratorBaseERKN3c106ScalarES7_ENKUlvE_clEvENKUlvE7_clEvEUlNS4_8BFloat16EE_St5arrayIPcLm2EEEEviT0_T1_
                                        ; -- End function
	.set _ZN2at6native29vectorized_elementwise_kernelILi4EZZZNS0_17clamp_kernel_cudaERNS_18TensorIteratorBaseERKN3c106ScalarES7_ENKUlvE_clEvENKUlvE7_clEvEUlNS4_8BFloat16EE_St5arrayIPcLm2EEEEviT0_T1_.num_vgpr, 35
	.set _ZN2at6native29vectorized_elementwise_kernelILi4EZZZNS0_17clamp_kernel_cudaERNS_18TensorIteratorBaseERKN3c106ScalarES7_ENKUlvE_clEvENKUlvE7_clEvEUlNS4_8BFloat16EE_St5arrayIPcLm2EEEEviT0_T1_.num_agpr, 0
	.set _ZN2at6native29vectorized_elementwise_kernelILi4EZZZNS0_17clamp_kernel_cudaERNS_18TensorIteratorBaseERKN3c106ScalarES7_ENKUlvE_clEvENKUlvE7_clEvEUlNS4_8BFloat16EE_St5arrayIPcLm2EEEEviT0_T1_.numbered_sgpr, 14
	.set _ZN2at6native29vectorized_elementwise_kernelILi4EZZZNS0_17clamp_kernel_cudaERNS_18TensorIteratorBaseERKN3c106ScalarES7_ENKUlvE_clEvENKUlvE7_clEvEUlNS4_8BFloat16EE_St5arrayIPcLm2EEEEviT0_T1_.num_named_barrier, 0
	.set _ZN2at6native29vectorized_elementwise_kernelILi4EZZZNS0_17clamp_kernel_cudaERNS_18TensorIteratorBaseERKN3c106ScalarES7_ENKUlvE_clEvENKUlvE7_clEvEUlNS4_8BFloat16EE_St5arrayIPcLm2EEEEviT0_T1_.private_seg_size, 0
	.set _ZN2at6native29vectorized_elementwise_kernelILi4EZZZNS0_17clamp_kernel_cudaERNS_18TensorIteratorBaseERKN3c106ScalarES7_ENKUlvE_clEvENKUlvE7_clEvEUlNS4_8BFloat16EE_St5arrayIPcLm2EEEEviT0_T1_.uses_vcc, 1
	.set _ZN2at6native29vectorized_elementwise_kernelILi4EZZZNS0_17clamp_kernel_cudaERNS_18TensorIteratorBaseERKN3c106ScalarES7_ENKUlvE_clEvENKUlvE7_clEvEUlNS4_8BFloat16EE_St5arrayIPcLm2EEEEviT0_T1_.uses_flat_scratch, 0
	.set _ZN2at6native29vectorized_elementwise_kernelILi4EZZZNS0_17clamp_kernel_cudaERNS_18TensorIteratorBaseERKN3c106ScalarES7_ENKUlvE_clEvENKUlvE7_clEvEUlNS4_8BFloat16EE_St5arrayIPcLm2EEEEviT0_T1_.has_dyn_sized_stack, 0
	.set _ZN2at6native29vectorized_elementwise_kernelILi4EZZZNS0_17clamp_kernel_cudaERNS_18TensorIteratorBaseERKN3c106ScalarES7_ENKUlvE_clEvENKUlvE7_clEvEUlNS4_8BFloat16EE_St5arrayIPcLm2EEEEviT0_T1_.has_recursion, 0
	.set _ZN2at6native29vectorized_elementwise_kernelILi4EZZZNS0_17clamp_kernel_cudaERNS_18TensorIteratorBaseERKN3c106ScalarES7_ENKUlvE_clEvENKUlvE7_clEvEUlNS4_8BFloat16EE_St5arrayIPcLm2EEEEviT0_T1_.has_indirect_call, 0
	.section	.AMDGPU.csdata,"",@progbits
; Kernel info:
; codeLenInByte = 2364
; TotalNumSgprs: 20
; NumVgprs: 35
; NumAgprs: 0
; TotalNumVgprs: 35
; ScratchSize: 0
; MemoryBound: 0
; FloatMode: 240
; IeeeMode: 1
; LDSByteSize: 0 bytes/workgroup (compile time only)
; SGPRBlocks: 2
; VGPRBlocks: 4
; NumSGPRsForWavesPerEU: 20
; NumVGPRsForWavesPerEU: 35
; AccumOffset: 36
; Occupancy: 8
; WaveLimiterHint : 1
; COMPUTE_PGM_RSRC2:SCRATCH_EN: 0
; COMPUTE_PGM_RSRC2:USER_SGPR: 2
; COMPUTE_PGM_RSRC2:TRAP_HANDLER: 0
; COMPUTE_PGM_RSRC2:TGID_X_EN: 1
; COMPUTE_PGM_RSRC2:TGID_Y_EN: 0
; COMPUTE_PGM_RSRC2:TGID_Z_EN: 0
; COMPUTE_PGM_RSRC2:TIDIG_COMP_CNT: 0
; COMPUTE_PGM_RSRC3_GFX90A:ACCUM_OFFSET: 8
; COMPUTE_PGM_RSRC3_GFX90A:TG_SPLIT: 0
	.section	.text._ZN2at6native29vectorized_elementwise_kernelILi2EZZZNS0_17clamp_kernel_cudaERNS_18TensorIteratorBaseERKN3c106ScalarES7_ENKUlvE_clEvENKUlvE7_clEvEUlNS4_8BFloat16EE_St5arrayIPcLm2EEEEviT0_T1_,"axG",@progbits,_ZN2at6native29vectorized_elementwise_kernelILi2EZZZNS0_17clamp_kernel_cudaERNS_18TensorIteratorBaseERKN3c106ScalarES7_ENKUlvE_clEvENKUlvE7_clEvEUlNS4_8BFloat16EE_St5arrayIPcLm2EEEEviT0_T1_,comdat
	.globl	_ZN2at6native29vectorized_elementwise_kernelILi2EZZZNS0_17clamp_kernel_cudaERNS_18TensorIteratorBaseERKN3c106ScalarES7_ENKUlvE_clEvENKUlvE7_clEvEUlNS4_8BFloat16EE_St5arrayIPcLm2EEEEviT0_T1_ ; -- Begin function _ZN2at6native29vectorized_elementwise_kernelILi2EZZZNS0_17clamp_kernel_cudaERNS_18TensorIteratorBaseERKN3c106ScalarES7_ENKUlvE_clEvENKUlvE7_clEvEUlNS4_8BFloat16EE_St5arrayIPcLm2EEEEviT0_T1_
	.p2align	8
	.type	_ZN2at6native29vectorized_elementwise_kernelILi2EZZZNS0_17clamp_kernel_cudaERNS_18TensorIteratorBaseERKN3c106ScalarES7_ENKUlvE_clEvENKUlvE7_clEvEUlNS4_8BFloat16EE_St5arrayIPcLm2EEEEviT0_T1_,@function
_ZN2at6native29vectorized_elementwise_kernelILi2EZZZNS0_17clamp_kernel_cudaERNS_18TensorIteratorBaseERKN3c106ScalarES7_ENKUlvE_clEvENKUlvE7_clEvEUlNS4_8BFloat16EE_St5arrayIPcLm2EEEEviT0_T1_: ; @_ZN2at6native29vectorized_elementwise_kernelILi2EZZZNS0_17clamp_kernel_cudaERNS_18TensorIteratorBaseERKN3c106ScalarES7_ENKUlvE_clEvENKUlvE7_clEvEUlNS4_8BFloat16EE_St5arrayIPcLm2EEEEviT0_T1_
; %bb.0:
	s_load_dwordx2 s[8:9], s[0:1], 0x0
	s_load_dwordx4 s[4:7], s[0:1], 0x8
	s_lshl_b32 s2, s2, 11
	s_mov_b64 s[0:1], -1
	s_waitcnt lgkmcnt(0)
	s_sub_i32 s8, s8, s2
	s_cmpk_gt_i32 s8, 0x7ff
	s_cbranch_scc0 .LBB341_10
; %bb.1:
	s_ashr_i32 s3, s2, 31
	s_lshr_b32 s12, s9, 16
	s_lshl_b64 s[0:1], s[2:3], 1
	s_add_u32 s10, s6, s0
	s_addc_u32 s11, s7, s1
	v_lshlrev_b32_e32 v1, 2, v0
	global_load_dword v2, v1, s[10:11]
	global_load_dword v5, v1, s[10:11] offset:1024
	global_load_dword v6, v1, s[10:11] offset:2048
	;; [unrolled: 1-line block ×3, first 2 shown]
	s_lshl_b32 s10, s9, 16
	s_and_b32 s3, s9, 0xffff0000
	v_mov_b32_e32 v4, s10
	s_waitcnt vmcnt(3)
	v_and_b32_e32 v3, 0xffff0000, v2
	v_cmp_o_f32_e32 vcc, v3, v3
	s_and_saveexec_b64 s[10:11], vcc
; %bb.2:
	v_cmp_lt_f32_e32 vcc, v4, v3
	v_mov_b32_e32 v3, s9
	s_nop 0
	v_cndmask_b32_sdwa v3, v3, v2, vcc dst_sel:DWORD dst_unused:UNUSED_PAD src0_sel:DWORD src1_sel:WORD_1
	v_lshlrev_b32_e32 v7, 16, v3
	v_cmp_gt_f32_e32 vcc, s3, v7
	v_mov_b32_e32 v7, s12
	s_nop 0
	v_cndmask_b32_sdwa v3, v7, v3, vcc dst_sel:WORD_1 dst_unused:UNUSED_PAD src0_sel:DWORD src1_sel:DWORD
; %bb.3:
	s_or_b64 exec, exec, s[10:11]
	s_waitcnt vmcnt(2)
	v_and_b32_e32 v7, 0xffff0000, v5
	v_cmp_o_f32_e32 vcc, v7, v7
	s_and_saveexec_b64 s[10:11], vcc
; %bb.4:
	v_cmp_lt_f32_e32 vcc, v4, v7
	v_mov_b32_e32 v7, s9
	s_nop 0
	v_cndmask_b32_sdwa v7, v7, v5, vcc dst_sel:DWORD dst_unused:UNUSED_PAD src0_sel:DWORD src1_sel:WORD_1
	v_lshlrev_b32_e32 v9, 16, v7
	v_cmp_gt_f32_e32 vcc, s3, v9
	v_mov_b32_e32 v9, s12
	s_nop 0
	v_cndmask_b32_sdwa v7, v9, v7, vcc dst_sel:WORD_1 dst_unused:UNUSED_PAD src0_sel:DWORD src1_sel:DWORD
; %bb.5:
	s_or_b64 exec, exec, s[10:11]
	s_waitcnt vmcnt(1)
	v_and_b32_e32 v10, 0xffff0000, v6
	v_lshlrev_b32_e32 v9, 16, v2
	v_cmp_o_f32_e32 vcc, v10, v10
	s_and_saveexec_b64 s[10:11], vcc
; %bb.6:
	v_cmp_lt_f32_e32 vcc, v4, v10
	v_mov_b32_e32 v10, s9
	s_nop 0
	v_cndmask_b32_sdwa v10, v10, v6, vcc dst_sel:DWORD dst_unused:UNUSED_PAD src0_sel:DWORD src1_sel:WORD_1
	v_lshlrev_b32_e32 v11, 16, v10
	v_cmp_gt_f32_e32 vcc, s3, v11
	v_mov_b32_e32 v11, s12
	s_nop 0
	v_cndmask_b32_sdwa v10, v11, v10, vcc dst_sel:WORD_1 dst_unused:UNUSED_PAD src0_sel:DWORD src1_sel:DWORD
; %bb.7:
	s_or_b64 exec, exec, s[10:11]
	s_waitcnt vmcnt(0)
	v_and_b32_e32 v12, 0xffff0000, v8
	v_and_b32_e32 v11, 0xffff, v2
	v_cmp_o_f32_e32 vcc, v12, v12
	s_and_saveexec_b64 s[10:11], vcc
; %bb.8:
	v_cmp_lt_f32_e32 vcc, v4, v12
	v_mov_b32_e32 v12, s9
	s_nop 0
	v_cndmask_b32_sdwa v12, v12, v8, vcc dst_sel:DWORD dst_unused:UNUSED_PAD src0_sel:DWORD src1_sel:WORD_1
	v_lshlrev_b32_e32 v13, 16, v12
	v_cmp_gt_f32_e32 vcc, s3, v13
	v_mov_b32_e32 v13, s12
	s_nop 0
	v_cndmask_b32_sdwa v12, v13, v12, vcc dst_sel:WORD_1 dst_unused:UNUSED_PAD src0_sel:DWORD src1_sel:DWORD
; %bb.9:
	s_or_b64 exec, exec, s[10:11]
	v_lshlrev_b32_e32 v14, 16, v8
	v_mov_b32_e32 v15, s9
	v_cmp_lt_f32_e32 vcc, v4, v14
	v_and_b32_e32 v13, 0xffff, v8
	v_mov_b32_e32 v17, s12
	v_cndmask_b32_e32 v8, v15, v8, vcc
	v_lshlrev_b32_e32 v16, 16, v8
	v_cmp_gt_f32_e32 vcc, s3, v16
	s_add_u32 s0, s4, s0
	s_addc_u32 s1, s5, s1
	v_cndmask_b32_e32 v8, v17, v8, vcc
	v_and_b32_e32 v8, 0xffff, v8
	v_cmp_u_f32_e32 vcc, v14, v14
	v_lshlrev_b32_e32 v14, 16, v6
	s_nop 0
	v_cndmask_b32_e32 v8, v8, v13, vcc
	v_cmp_lt_f32_e32 vcc, v4, v14
	v_and_b32_e32 v13, 0xffff, v6
	s_nop 0
	v_cndmask_b32_e32 v6, v15, v6, vcc
	v_lshlrev_b32_e32 v16, 16, v6
	v_cmp_gt_f32_e32 vcc, s3, v16
	s_nop 1
	v_cndmask_b32_e32 v6, v17, v6, vcc
	v_and_b32_e32 v6, 0xffff, v6
	v_cmp_u_f32_e32 vcc, v14, v14
	v_lshlrev_b32_e32 v14, 16, v5
	s_nop 0
	v_cndmask_b32_e32 v6, v6, v13, vcc
	v_cmp_lt_f32_e32 vcc, v4, v14
	v_and_b32_e32 v13, 0xffff, v5
	s_nop 0
	v_cndmask_b32_e32 v5, v15, v5, vcc
	v_lshlrev_b32_e32 v16, 16, v5
	v_cmp_gt_f32_e32 vcc, s3, v16
	s_nop 1
	v_cndmask_b32_e32 v5, v17, v5, vcc
	v_and_b32_e32 v5, 0xffff, v5
	v_cmp_u_f32_e32 vcc, v14, v14
	s_nop 1
	v_cndmask_b32_e32 v5, v5, v13, vcc
	v_cmp_gt_f32_e32 vcc, v9, v4
	v_or_b32_e32 v5, v7, v5
	s_nop 0
	v_cndmask_b32_e32 v2, v15, v2, vcc
	v_lshlrev_b32_e32 v4, 16, v2
	v_cmp_gt_f32_e32 vcc, s3, v4
	v_or_b32_e32 v4, v10, v6
	s_nop 0
	v_cndmask_b32_e32 v2, v17, v2, vcc
	v_and_b32_e32 v2, 0xffff, v2
	v_cmp_u_f32_e32 vcc, v9, v9
	s_nop 1
	v_cndmask_b32_e32 v2, v2, v11, vcc
	v_or_b32_e32 v2, v3, v2
	v_or_b32_e32 v3, v12, v8
	global_store_dword v1, v2, s[0:1]
	global_store_dword v1, v5, s[0:1] offset:1024
	global_store_dword v1, v4, s[0:1] offset:2048
	;; [unrolled: 1-line block ×3, first 2 shown]
	s_mov_b64 s[0:1], 0
.LBB341_10:
	s_and_b64 vcc, exec, s[0:1]
	s_cbranch_vccz .LBB341_65
; %bb.11:
	v_cmp_gt_i32_e32 vcc, s8, v0
	v_mov_b32_e32 v1, 0
	v_or_b32_e32 v2, s2, v0
	v_mov_b32_e32 v6, 0
	v_mov_b32_e32 v3, v0
	s_and_saveexec_b64 s[0:1], vcc
	s_cbranch_execz .LBB341_13
; %bb.12:
	v_mov_b32_e32 v3, 0
	v_lshl_add_u64 v[4:5], v[2:3], 1, s[6:7]
	global_load_ushort v6, v[4:5], off
	v_or_b32_e32 v3, 0x100, v0
.LBB341_13:
	s_or_b64 exec, exec, s[0:1]
	v_cmp_gt_i32_e64 s[0:1], s8, v3
	s_and_saveexec_b64 s[10:11], s[0:1]
	s_cbranch_execz .LBB341_15
; %bb.14:
	v_add_u32_e32 v4, s2, v3
	v_mov_b32_e32 v5, 0
	v_lshl_add_u64 v[4:5], v[4:5], 1, s[6:7]
	global_load_ushort v1, v[4:5], off
	v_add_u32_e32 v3, 0x100, v3
.LBB341_15:
	s_or_b64 exec, exec, s[10:11]
	v_cmp_gt_i32_e64 s[0:1], s8, v3
	v_mov_b32_e32 v4, 0
	v_mov_b32_e32 v8, 0
	s_and_saveexec_b64 s[10:11], s[0:1]
	s_cbranch_execz .LBB341_17
; %bb.16:
	v_add_u32_e32 v8, s2, v3
	v_mov_b32_e32 v9, 0
	v_lshl_add_u64 v[8:9], v[8:9], 1, s[6:7]
	global_load_ushort v8, v[8:9], off
	v_add_u32_e32 v3, 0x100, v3
.LBB341_17:
	s_or_b64 exec, exec, s[10:11]
	v_cmp_gt_i32_e64 s[0:1], s8, v3
	s_and_saveexec_b64 s[10:11], s[0:1]
	s_cbranch_execz .LBB341_19
; %bb.18:
	v_add_u32_e32 v4, s2, v3
	v_mov_b32_e32 v5, 0
	v_lshl_add_u64 v[4:5], v[4:5], 1, s[6:7]
	global_load_ushort v4, v[4:5], off
	v_add_u32_e32 v3, 0x100, v3
.LBB341_19:
	s_or_b64 exec, exec, s[10:11]
	v_cmp_gt_i32_e64 s[0:1], s8, v3
	v_mov_b32_e32 v5, 0
	v_mov_b32_e32 v9, 0
	s_and_saveexec_b64 s[10:11], s[0:1]
	s_cbranch_execz .LBB341_21
; %bb.20:
	v_add_u32_e32 v10, s2, v3
	v_mov_b32_e32 v11, 0
	v_lshl_add_u64 v[10:11], v[10:11], 1, s[6:7]
	global_load_ushort v9, v[10:11], off
	v_add_u32_e32 v3, 0x100, v3
.LBB341_21:
	;; [unrolled: 24-line block ×3, first 2 shown]
	s_or_b64 exec, exec, s[10:11]
	v_cmp_gt_i32_e64 s[0:1], s8, v3
	s_and_saveexec_b64 s[10:11], s[0:1]
	s_cbranch_execz .LBB341_27
; %bb.26:
	v_add_u32_e32 v12, s2, v3
	v_mov_b32_e32 v13, 0
	v_lshl_add_u64 v[12:13], v[12:13], 1, s[6:7]
	global_load_ushort v7, v[12:13], off
.LBB341_27:
	s_or_b64 exec, exec, s[10:11]
	s_lshr_b32 s3, s9, 16
	s_lshl_b32 s13, s9, 16
	s_and_b32 s12, s9, 0xffff0000
	s_and_saveexec_b64 s[6:7], vcc
	s_cbranch_execz .LBB341_31
; %bb.28:
	s_waitcnt vmcnt(0)
	v_lshlrev_b32_e32 v3, 16, v6
	v_cmp_o_f32_e64 s[0:1], v3, v3
	s_and_saveexec_b64 s[10:11], s[0:1]
; %bb.29:
	v_mov_b32_e32 v11, s9
	v_cmp_lt_f32_e64 s[0:1], s13, v3
	s_nop 1
	v_cndmask_b32_e64 v3, v11, v6, s[0:1]
	v_lshlrev_b32_e32 v6, 16, v3
	v_mov_b32_e32 v11, s3
	v_cmp_gt_f32_e64 s[0:1], s12, v6
	s_nop 1
	v_cndmask_b32_e64 v6, v11, v3, s[0:1]
; %bb.30:
	s_or_b64 exec, exec, s[10:11]
.LBB341_31:
	s_or_b64 exec, exec, s[6:7]
	v_or_b32_e32 v11, 0x100, v0
	v_cmp_gt_i32_e64 s[0:1], s8, v11
	s_and_saveexec_b64 s[6:7], s[0:1]
	s_cbranch_execz .LBB341_35
; %bb.32:
	s_waitcnt vmcnt(0)
	v_lshlrev_b32_e32 v3, 16, v1
	v_cmp_o_f32_e64 s[0:1], v3, v3
	s_and_saveexec_b64 s[10:11], s[0:1]
; %bb.33:
	v_mov_b32_e32 v12, s9
	v_cmp_lt_f32_e64 s[0:1], s13, v3
	s_nop 1
	v_cndmask_b32_e64 v1, v12, v1, s[0:1]
	v_lshlrev_b32_e32 v3, 16, v1
	v_mov_b32_e32 v12, s3
	v_cmp_gt_f32_e64 s[0:1], s12, v3
	s_nop 1
	v_cndmask_b32_e64 v1, v12, v1, s[0:1]
; %bb.34:
	s_or_b64 exec, exec, s[10:11]
.LBB341_35:
	s_or_b64 exec, exec, s[6:7]
	v_or_b32_e32 v3, 0x200, v0
	v_cmp_gt_i32_e64 s[0:1], s8, v3
	s_and_saveexec_b64 s[6:7], s[0:1]
	;; [unrolled: 23-line block ×7, first 2 shown]
	s_cbranch_execnz .LBB341_66
; %bb.56:
	s_or_b64 exec, exec, s[6:7]
	s_and_saveexec_b64 s[0:1], vcc
	s_xor_b64 s[0:1], exec, s[0:1]
	s_cbranch_execnz .LBB341_69
.LBB341_57:
	s_or_b64 exec, exec, s[0:1]
	v_cmp_gt_i32_e32 vcc, s8, v0
	s_and_saveexec_b64 s[0:1], vcc
	s_cbranch_execnz .LBB341_70
.LBB341_58:
	s_or_b64 exec, exec, s[0:1]
	v_cmp_gt_i32_e32 vcc, s8, v0
	s_and_saveexec_b64 s[0:1], vcc
	s_cbranch_execnz .LBB341_71
.LBB341_59:
	s_or_b64 exec, exec, s[0:1]
	v_cmp_gt_i32_e32 vcc, s8, v0
	s_and_saveexec_b64 s[0:1], vcc
	s_cbranch_execnz .LBB341_72
.LBB341_60:
	s_or_b64 exec, exec, s[0:1]
	v_cmp_gt_i32_e32 vcc, s8, v0
	s_and_saveexec_b64 s[0:1], vcc
	s_cbranch_execnz .LBB341_73
.LBB341_61:
	s_or_b64 exec, exec, s[0:1]
	v_cmp_gt_i32_e32 vcc, s8, v0
	s_and_saveexec_b64 s[0:1], vcc
	s_cbranch_execnz .LBB341_74
.LBB341_62:
	s_or_b64 exec, exec, s[0:1]
	v_cmp_gt_i32_e32 vcc, s8, v0
	s_and_saveexec_b64 s[0:1], vcc
	s_cbranch_execnz .LBB341_75
.LBB341_63:
	s_or_b64 exec, exec, s[0:1]
	v_cmp_gt_i32_e32 vcc, s8, v0
	s_and_saveexec_b64 s[0:1], vcc
	s_cbranch_execz .LBB341_65
.LBB341_64:
	v_add_u32_e32 v0, s2, v0
	s_waitcnt vmcnt(0)
	v_mov_b32_e32 v1, 0
	v_lshl_add_u64 v[0:1], v[0:1], 1, s[4:5]
	global_store_short v[0:1], v7, off
.LBB341_65:
	s_endpgm
.LBB341_66:
	s_waitcnt vmcnt(0)
	v_lshlrev_b32_e32 v3, 16, v7
	v_cmp_o_f32_e64 s[0:1], v3, v3
	s_and_saveexec_b64 s[10:11], s[0:1]
; %bb.67:
	v_mov_b32_e32 v12, s9
	v_cmp_lt_f32_e64 s[0:1], s13, v3
	s_nop 1
	v_cndmask_b32_e64 v3, v12, v7, s[0:1]
	v_lshlrev_b32_e32 v7, 16, v3
	v_mov_b32_e32 v12, s3
	v_cmp_gt_f32_e64 s[0:1], s12, v7
	s_nop 1
	v_cndmask_b32_e64 v7, v12, v3, s[0:1]
; %bb.68:
	s_or_b64 exec, exec, s[10:11]
	s_or_b64 exec, exec, s[6:7]
	s_and_saveexec_b64 s[0:1], vcc
	s_xor_b64 s[0:1], exec, s[0:1]
	s_cbranch_execz .LBB341_57
.LBB341_69:
	v_mov_b32_e32 v3, 0
	v_lshl_add_u64 v[2:3], v[2:3], 1, s[4:5]
	v_mov_b32_e32 v0, v11
	s_waitcnt vmcnt(0)
	global_store_short v[2:3], v6, off
	s_or_b64 exec, exec, s[0:1]
	v_cmp_gt_i32_e32 vcc, s8, v0
	s_and_saveexec_b64 s[0:1], vcc
	s_cbranch_execz .LBB341_58
.LBB341_70:
	v_add_u32_e32 v2, s2, v0
	v_mov_b32_e32 v3, 0
	v_lshl_add_u64 v[2:3], v[2:3], 1, s[4:5]
	v_add_u32_e32 v0, 0x100, v0
	s_waitcnt vmcnt(0)
	global_store_short v[2:3], v1, off
	s_or_b64 exec, exec, s[0:1]
	v_cmp_gt_i32_e32 vcc, s8, v0
	s_and_saveexec_b64 s[0:1], vcc
	s_cbranch_execz .LBB341_59
.LBB341_71:
	v_add_u32_e32 v2, s2, v0
	v_mov_b32_e32 v3, 0
	v_lshl_add_u64 v[2:3], v[2:3], 1, s[4:5]
	v_add_u32_e32 v0, 0x100, v0
	s_waitcnt vmcnt(0)
	global_store_short v[2:3], v8, off
	s_or_b64 exec, exec, s[0:1]
	v_cmp_gt_i32_e32 vcc, s8, v0
	s_and_saveexec_b64 s[0:1], vcc
	s_cbranch_execz .LBB341_60
.LBB341_72:
	v_add_u32_e32 v2, s2, v0
	v_mov_b32_e32 v3, 0
	v_lshl_add_u64 v[2:3], v[2:3], 1, s[4:5]
	v_add_u32_e32 v0, 0x100, v0
	s_waitcnt vmcnt(0)
	global_store_short v[2:3], v4, off
	s_or_b64 exec, exec, s[0:1]
	v_cmp_gt_i32_e32 vcc, s8, v0
	s_and_saveexec_b64 s[0:1], vcc
	s_cbranch_execz .LBB341_61
.LBB341_73:
	v_add_u32_e32 v2, s2, v0
	v_mov_b32_e32 v3, 0
	v_lshl_add_u64 v[2:3], v[2:3], 1, s[4:5]
	v_add_u32_e32 v0, 0x100, v0
	s_waitcnt vmcnt(0)
	global_store_short v[2:3], v9, off
	s_or_b64 exec, exec, s[0:1]
	v_cmp_gt_i32_e32 vcc, s8, v0
	s_and_saveexec_b64 s[0:1], vcc
	s_cbranch_execz .LBB341_62
.LBB341_74:
	v_add_u32_e32 v2, s2, v0
	v_mov_b32_e32 v3, 0
	v_lshl_add_u64 v[2:3], v[2:3], 1, s[4:5]
	v_add_u32_e32 v0, 0x100, v0
	s_waitcnt vmcnt(0)
	global_store_short v[2:3], v5, off
	s_or_b64 exec, exec, s[0:1]
	v_cmp_gt_i32_e32 vcc, s8, v0
	s_and_saveexec_b64 s[0:1], vcc
	s_cbranch_execz .LBB341_63
.LBB341_75:
	v_add_u32_e32 v2, s2, v0
	v_mov_b32_e32 v3, 0
	v_lshl_add_u64 v[2:3], v[2:3], 1, s[4:5]
	v_add_u32_e32 v0, 0x100, v0
	s_waitcnt vmcnt(0)
	global_store_short v[2:3], v10, off
	s_or_b64 exec, exec, s[0:1]
	v_cmp_gt_i32_e32 vcc, s8, v0
	s_and_saveexec_b64 s[0:1], vcc
	s_cbranch_execnz .LBB341_64
	s_branch .LBB341_65
	.section	.rodata,"a",@progbits
	.p2align	6, 0x0
	.amdhsa_kernel _ZN2at6native29vectorized_elementwise_kernelILi2EZZZNS0_17clamp_kernel_cudaERNS_18TensorIteratorBaseERKN3c106ScalarES7_ENKUlvE_clEvENKUlvE7_clEvEUlNS4_8BFloat16EE_St5arrayIPcLm2EEEEviT0_T1_
		.amdhsa_group_segment_fixed_size 0
		.amdhsa_private_segment_fixed_size 0
		.amdhsa_kernarg_size 24
		.amdhsa_user_sgpr_count 2
		.amdhsa_user_sgpr_dispatch_ptr 0
		.amdhsa_user_sgpr_queue_ptr 0
		.amdhsa_user_sgpr_kernarg_segment_ptr 1
		.amdhsa_user_sgpr_dispatch_id 0
		.amdhsa_user_sgpr_kernarg_preload_length 0
		.amdhsa_user_sgpr_kernarg_preload_offset 0
		.amdhsa_user_sgpr_private_segment_size 0
		.amdhsa_uses_dynamic_stack 0
		.amdhsa_enable_private_segment 0
		.amdhsa_system_sgpr_workgroup_id_x 1
		.amdhsa_system_sgpr_workgroup_id_y 0
		.amdhsa_system_sgpr_workgroup_id_z 0
		.amdhsa_system_sgpr_workgroup_info 0
		.amdhsa_system_vgpr_workitem_id 0
		.amdhsa_next_free_vgpr 18
		.amdhsa_next_free_sgpr 14
		.amdhsa_accum_offset 20
		.amdhsa_reserve_vcc 1
		.amdhsa_float_round_mode_32 0
		.amdhsa_float_round_mode_16_64 0
		.amdhsa_float_denorm_mode_32 3
		.amdhsa_float_denorm_mode_16_64 3
		.amdhsa_dx10_clamp 1
		.amdhsa_ieee_mode 1
		.amdhsa_fp16_overflow 0
		.amdhsa_tg_split 0
		.amdhsa_exception_fp_ieee_invalid_op 0
		.amdhsa_exception_fp_denorm_src 0
		.amdhsa_exception_fp_ieee_div_zero 0
		.amdhsa_exception_fp_ieee_overflow 0
		.amdhsa_exception_fp_ieee_underflow 0
		.amdhsa_exception_fp_ieee_inexact 0
		.amdhsa_exception_int_div_zero 0
	.end_amdhsa_kernel
	.section	.text._ZN2at6native29vectorized_elementwise_kernelILi2EZZZNS0_17clamp_kernel_cudaERNS_18TensorIteratorBaseERKN3c106ScalarES7_ENKUlvE_clEvENKUlvE7_clEvEUlNS4_8BFloat16EE_St5arrayIPcLm2EEEEviT0_T1_,"axG",@progbits,_ZN2at6native29vectorized_elementwise_kernelILi2EZZZNS0_17clamp_kernel_cudaERNS_18TensorIteratorBaseERKN3c106ScalarES7_ENKUlvE_clEvENKUlvE7_clEvEUlNS4_8BFloat16EE_St5arrayIPcLm2EEEEviT0_T1_,comdat
.Lfunc_end341:
	.size	_ZN2at6native29vectorized_elementwise_kernelILi2EZZZNS0_17clamp_kernel_cudaERNS_18TensorIteratorBaseERKN3c106ScalarES7_ENKUlvE_clEvENKUlvE7_clEvEUlNS4_8BFloat16EE_St5arrayIPcLm2EEEEviT0_T1_, .Lfunc_end341-_ZN2at6native29vectorized_elementwise_kernelILi2EZZZNS0_17clamp_kernel_cudaERNS_18TensorIteratorBaseERKN3c106ScalarES7_ENKUlvE_clEvENKUlvE7_clEvEUlNS4_8BFloat16EE_St5arrayIPcLm2EEEEviT0_T1_
                                        ; -- End function
	.set _ZN2at6native29vectorized_elementwise_kernelILi2EZZZNS0_17clamp_kernel_cudaERNS_18TensorIteratorBaseERKN3c106ScalarES7_ENKUlvE_clEvENKUlvE7_clEvEUlNS4_8BFloat16EE_St5arrayIPcLm2EEEEviT0_T1_.num_vgpr, 18
	.set _ZN2at6native29vectorized_elementwise_kernelILi2EZZZNS0_17clamp_kernel_cudaERNS_18TensorIteratorBaseERKN3c106ScalarES7_ENKUlvE_clEvENKUlvE7_clEvEUlNS4_8BFloat16EE_St5arrayIPcLm2EEEEviT0_T1_.num_agpr, 0
	.set _ZN2at6native29vectorized_elementwise_kernelILi2EZZZNS0_17clamp_kernel_cudaERNS_18TensorIteratorBaseERKN3c106ScalarES7_ENKUlvE_clEvENKUlvE7_clEvEUlNS4_8BFloat16EE_St5arrayIPcLm2EEEEviT0_T1_.numbered_sgpr, 14
	.set _ZN2at6native29vectorized_elementwise_kernelILi2EZZZNS0_17clamp_kernel_cudaERNS_18TensorIteratorBaseERKN3c106ScalarES7_ENKUlvE_clEvENKUlvE7_clEvEUlNS4_8BFloat16EE_St5arrayIPcLm2EEEEviT0_T1_.num_named_barrier, 0
	.set _ZN2at6native29vectorized_elementwise_kernelILi2EZZZNS0_17clamp_kernel_cudaERNS_18TensorIteratorBaseERKN3c106ScalarES7_ENKUlvE_clEvENKUlvE7_clEvEUlNS4_8BFloat16EE_St5arrayIPcLm2EEEEviT0_T1_.private_seg_size, 0
	.set _ZN2at6native29vectorized_elementwise_kernelILi2EZZZNS0_17clamp_kernel_cudaERNS_18TensorIteratorBaseERKN3c106ScalarES7_ENKUlvE_clEvENKUlvE7_clEvEUlNS4_8BFloat16EE_St5arrayIPcLm2EEEEviT0_T1_.uses_vcc, 1
	.set _ZN2at6native29vectorized_elementwise_kernelILi2EZZZNS0_17clamp_kernel_cudaERNS_18TensorIteratorBaseERKN3c106ScalarES7_ENKUlvE_clEvENKUlvE7_clEvEUlNS4_8BFloat16EE_St5arrayIPcLm2EEEEviT0_T1_.uses_flat_scratch, 0
	.set _ZN2at6native29vectorized_elementwise_kernelILi2EZZZNS0_17clamp_kernel_cudaERNS_18TensorIteratorBaseERKN3c106ScalarES7_ENKUlvE_clEvENKUlvE7_clEvEUlNS4_8BFloat16EE_St5arrayIPcLm2EEEEviT0_T1_.has_dyn_sized_stack, 0
	.set _ZN2at6native29vectorized_elementwise_kernelILi2EZZZNS0_17clamp_kernel_cudaERNS_18TensorIteratorBaseERKN3c106ScalarES7_ENKUlvE_clEvENKUlvE7_clEvEUlNS4_8BFloat16EE_St5arrayIPcLm2EEEEviT0_T1_.has_recursion, 0
	.set _ZN2at6native29vectorized_elementwise_kernelILi2EZZZNS0_17clamp_kernel_cudaERNS_18TensorIteratorBaseERKN3c106ScalarES7_ENKUlvE_clEvENKUlvE7_clEvEUlNS4_8BFloat16EE_St5arrayIPcLm2EEEEviT0_T1_.has_indirect_call, 0
	.section	.AMDGPU.csdata,"",@progbits
; Kernel info:
; codeLenInByte = 2496
; TotalNumSgprs: 20
; NumVgprs: 18
; NumAgprs: 0
; TotalNumVgprs: 18
; ScratchSize: 0
; MemoryBound: 0
; FloatMode: 240
; IeeeMode: 1
; LDSByteSize: 0 bytes/workgroup (compile time only)
; SGPRBlocks: 2
; VGPRBlocks: 2
; NumSGPRsForWavesPerEU: 20
; NumVGPRsForWavesPerEU: 18
; AccumOffset: 20
; Occupancy: 8
; WaveLimiterHint : 1
; COMPUTE_PGM_RSRC2:SCRATCH_EN: 0
; COMPUTE_PGM_RSRC2:USER_SGPR: 2
; COMPUTE_PGM_RSRC2:TRAP_HANDLER: 0
; COMPUTE_PGM_RSRC2:TGID_X_EN: 1
; COMPUTE_PGM_RSRC2:TGID_Y_EN: 0
; COMPUTE_PGM_RSRC2:TGID_Z_EN: 0
; COMPUTE_PGM_RSRC2:TIDIG_COMP_CNT: 0
; COMPUTE_PGM_RSRC3_GFX90A:ACCUM_OFFSET: 4
; COMPUTE_PGM_RSRC3_GFX90A:TG_SPLIT: 0
	.section	.text._ZN2at6native27unrolled_elementwise_kernelIZZZNS0_17clamp_kernel_cudaERNS_18TensorIteratorBaseERKN3c106ScalarES7_ENKUlvE_clEvENKUlvE7_clEvEUlNS4_8BFloat16EE_St5arrayIPcLm2EELi4E23TrivialOffsetCalculatorILi1EjESG_NS0_6memory15LoadWithoutCastENSH_16StoreWithoutCastEEEviT_T0_T2_T3_T4_T5_,"axG",@progbits,_ZN2at6native27unrolled_elementwise_kernelIZZZNS0_17clamp_kernel_cudaERNS_18TensorIteratorBaseERKN3c106ScalarES7_ENKUlvE_clEvENKUlvE7_clEvEUlNS4_8BFloat16EE_St5arrayIPcLm2EELi4E23TrivialOffsetCalculatorILi1EjESG_NS0_6memory15LoadWithoutCastENSH_16StoreWithoutCastEEEviT_T0_T2_T3_T4_T5_,comdat
	.globl	_ZN2at6native27unrolled_elementwise_kernelIZZZNS0_17clamp_kernel_cudaERNS_18TensorIteratorBaseERKN3c106ScalarES7_ENKUlvE_clEvENKUlvE7_clEvEUlNS4_8BFloat16EE_St5arrayIPcLm2EELi4E23TrivialOffsetCalculatorILi1EjESG_NS0_6memory15LoadWithoutCastENSH_16StoreWithoutCastEEEviT_T0_T2_T3_T4_T5_ ; -- Begin function _ZN2at6native27unrolled_elementwise_kernelIZZZNS0_17clamp_kernel_cudaERNS_18TensorIteratorBaseERKN3c106ScalarES7_ENKUlvE_clEvENKUlvE7_clEvEUlNS4_8BFloat16EE_St5arrayIPcLm2EELi4E23TrivialOffsetCalculatorILi1EjESG_NS0_6memory15LoadWithoutCastENSH_16StoreWithoutCastEEEviT_T0_T2_T3_T4_T5_
	.p2align	8
	.type	_ZN2at6native27unrolled_elementwise_kernelIZZZNS0_17clamp_kernel_cudaERNS_18TensorIteratorBaseERKN3c106ScalarES7_ENKUlvE_clEvENKUlvE7_clEvEUlNS4_8BFloat16EE_St5arrayIPcLm2EELi4E23TrivialOffsetCalculatorILi1EjESG_NS0_6memory15LoadWithoutCastENSH_16StoreWithoutCastEEEviT_T0_T2_T3_T4_T5_,@function
_ZN2at6native27unrolled_elementwise_kernelIZZZNS0_17clamp_kernel_cudaERNS_18TensorIteratorBaseERKN3c106ScalarES7_ENKUlvE_clEvENKUlvE7_clEvEUlNS4_8BFloat16EE_St5arrayIPcLm2EELi4E23TrivialOffsetCalculatorILi1EjESG_NS0_6memory15LoadWithoutCastENSH_16StoreWithoutCastEEEviT_T0_T2_T3_T4_T5_: ; @_ZN2at6native27unrolled_elementwise_kernelIZZZNS0_17clamp_kernel_cudaERNS_18TensorIteratorBaseERKN3c106ScalarES7_ENKUlvE_clEvENKUlvE7_clEvEUlNS4_8BFloat16EE_St5arrayIPcLm2EELi4E23TrivialOffsetCalculatorILi1EjESG_NS0_6memory15LoadWithoutCastENSH_16StoreWithoutCastEEEviT_T0_T2_T3_T4_T5_
; %bb.0:
	s_load_dwordx2 s[8:9], s[0:1], 0x0
	s_load_dwordx4 s[4:7], s[0:1], 0x8
	s_lshl_b32 s10, s2, 10
	v_mov_b32_e32 v1, 0
	v_or_b32_e32 v2, s10, v0
	s_waitcnt lgkmcnt(0)
	s_sub_i32 s8, s8, s10
	v_cmp_gt_i32_e32 vcc, s8, v0
	v_mov_b32_e32 v5, 0
	v_mov_b32_e32 v3, v0
	s_and_saveexec_b64 s[0:1], vcc
	s_cbranch_execz .LBB342_2
; %bb.1:
	v_mov_b32_e32 v3, 0
	v_lshl_add_u64 v[4:5], v[2:3], 1, s[6:7]
	global_load_ushort v5, v[4:5], off
	v_or_b32_e32 v3, 0x100, v0
.LBB342_2:
	s_or_b64 exec, exec, s[0:1]
	v_cmp_gt_i32_e64 s[0:1], s8, v3
	s_and_saveexec_b64 s[2:3], s[0:1]
	s_cbranch_execz .LBB342_4
; %bb.3:
	v_add_u32_e32 v6, s10, v3
	v_mov_b32_e32 v7, 0
	v_lshl_add_u64 v[6:7], v[6:7], 1, s[6:7]
	global_load_ushort v1, v[6:7], off
	v_add_u32_e32 v3, 0x100, v3
.LBB342_4:
	s_or_b64 exec, exec, s[2:3]
	v_cmp_gt_i32_e64 s[0:1], s8, v3
	v_mov_b32_e32 v4, 0
	v_mov_b32_e32 v6, 0
	s_and_saveexec_b64 s[2:3], s[0:1]
	s_cbranch_execz .LBB342_6
; %bb.5:
	v_add_u32_e32 v6, s10, v3
	v_mov_b32_e32 v7, 0
	v_lshl_add_u64 v[6:7], v[6:7], 1, s[6:7]
	global_load_ushort v6, v[6:7], off
	v_add_u32_e32 v3, 0x100, v3
.LBB342_6:
	s_or_b64 exec, exec, s[2:3]
	v_cmp_gt_i32_e64 s[0:1], s8, v3
	s_and_saveexec_b64 s[2:3], s[0:1]
	s_cbranch_execz .LBB342_8
; %bb.7:
	v_add_u32_e32 v8, s10, v3
	v_mov_b32_e32 v9, 0
	v_lshl_add_u64 v[8:9], v[8:9], 1, s[6:7]
	global_load_ushort v4, v[8:9], off
.LBB342_8:
	s_or_b64 exec, exec, s[2:3]
	s_lshr_b32 s11, s9, 16
	s_lshl_b32 s13, s9, 16
	s_and_b32 s12, s9, 0xffff0000
	s_and_saveexec_b64 s[2:3], vcc
	s_cbranch_execz .LBB342_12
; %bb.9:
	s_waitcnt vmcnt(0)
	v_lshlrev_b32_e32 v3, 16, v5
	v_cmp_o_f32_e64 s[0:1], v3, v3
	s_and_saveexec_b64 s[6:7], s[0:1]
; %bb.10:
	v_mov_b32_e32 v7, s9
	v_cmp_lt_f32_e64 s[0:1], s13, v3
	s_nop 1
	v_cndmask_b32_e64 v3, v7, v5, s[0:1]
	v_lshlrev_b32_e32 v5, 16, v3
	v_mov_b32_e32 v7, s11
	v_cmp_gt_f32_e64 s[0:1], s12, v5
	s_nop 1
	v_cndmask_b32_e64 v5, v7, v3, s[0:1]
; %bb.11:
	s_or_b64 exec, exec, s[6:7]
.LBB342_12:
	s_or_b64 exec, exec, s[2:3]
	v_or_b32_e32 v7, 0x100, v0
	v_cmp_gt_i32_e64 s[0:1], s8, v7
	s_and_saveexec_b64 s[2:3], s[0:1]
	s_cbranch_execz .LBB342_16
; %bb.13:
	s_waitcnt vmcnt(0)
	v_lshlrev_b32_e32 v3, 16, v1
	v_cmp_o_f32_e64 s[0:1], v3, v3
	s_and_saveexec_b64 s[6:7], s[0:1]
; %bb.14:
	v_mov_b32_e32 v8, s9
	v_cmp_lt_f32_e64 s[0:1], s13, v3
	s_nop 1
	v_cndmask_b32_e64 v1, v8, v1, s[0:1]
	v_lshlrev_b32_e32 v3, 16, v1
	v_mov_b32_e32 v8, s11
	v_cmp_gt_f32_e64 s[0:1], s12, v3
	s_nop 1
	v_cndmask_b32_e64 v1, v8, v1, s[0:1]
; %bb.15:
	s_or_b64 exec, exec, s[6:7]
.LBB342_16:
	s_or_b64 exec, exec, s[2:3]
	v_or_b32_e32 v3, 0x200, v0
	v_cmp_gt_i32_e64 s[0:1], s8, v3
	s_and_saveexec_b64 s[2:3], s[0:1]
	;; [unrolled: 23-line block ×3, first 2 shown]
	s_cbranch_execnz .LBB342_26
; %bb.21:
	s_or_b64 exec, exec, s[2:3]
	s_and_saveexec_b64 s[0:1], vcc
	s_xor_b64 s[0:1], exec, s[0:1]
	s_cbranch_execnz .LBB342_29
.LBB342_22:
	s_or_b64 exec, exec, s[0:1]
	v_cmp_gt_i32_e32 vcc, s8, v0
	s_and_saveexec_b64 s[0:1], vcc
	s_cbranch_execnz .LBB342_30
.LBB342_23:
	s_or_b64 exec, exec, s[0:1]
	v_cmp_gt_i32_e32 vcc, s8, v0
	s_and_saveexec_b64 s[0:1], vcc
	s_cbranch_execnz .LBB342_31
.LBB342_24:
	s_or_b64 exec, exec, s[0:1]
	v_cmp_gt_i32_e32 vcc, s8, v0
	s_and_saveexec_b64 s[0:1], vcc
	s_cbranch_execnz .LBB342_32
.LBB342_25:
	s_endpgm
.LBB342_26:
	s_waitcnt vmcnt(0)
	v_lshlrev_b32_e32 v3, 16, v4
	v_cmp_o_f32_e64 s[0:1], v3, v3
	s_and_saveexec_b64 s[6:7], s[0:1]
; %bb.27:
	v_mov_b32_e32 v8, s9
	v_cmp_lt_f32_e64 s[0:1], s13, v3
	s_nop 1
	v_cndmask_b32_e64 v3, v8, v4, s[0:1]
	v_lshlrev_b32_e32 v4, 16, v3
	v_mov_b32_e32 v8, s11
	v_cmp_gt_f32_e64 s[0:1], s12, v4
	s_nop 1
	v_cndmask_b32_e64 v4, v8, v3, s[0:1]
; %bb.28:
	s_or_b64 exec, exec, s[6:7]
	s_or_b64 exec, exec, s[2:3]
	s_and_saveexec_b64 s[0:1], vcc
	s_xor_b64 s[0:1], exec, s[0:1]
	s_cbranch_execz .LBB342_22
.LBB342_29:
	v_mov_b32_e32 v3, 0
	v_lshl_add_u64 v[2:3], v[2:3], 1, s[4:5]
	v_mov_b32_e32 v0, v7
	s_waitcnt vmcnt(0)
	global_store_short v[2:3], v5, off
	s_or_b64 exec, exec, s[0:1]
	v_cmp_gt_i32_e32 vcc, s8, v0
	s_and_saveexec_b64 s[0:1], vcc
	s_cbranch_execz .LBB342_23
.LBB342_30:
	s_waitcnt vmcnt(0)
	v_add_u32_e32 v5, 0x100, v0
	v_add_u32_e32 v2, s10, v0
	v_mov_b32_e32 v3, 0
	v_lshl_add_u64 v[2:3], v[2:3], 1, s[4:5]
	v_mov_b32_e32 v0, v5
	global_store_short v[2:3], v1, off
	s_or_b64 exec, exec, s[0:1]
	v_cmp_gt_i32_e32 vcc, s8, v0
	s_and_saveexec_b64 s[0:1], vcc
	s_cbranch_execz .LBB342_24
.LBB342_31:
	v_add_u32_e32 v2, 0x100, v0
	v_add_u32_e32 v0, s10, v0
	s_waitcnt vmcnt(0)
	v_mov_b32_e32 v1, 0
	v_lshl_add_u64 v[0:1], v[0:1], 1, s[4:5]
	global_store_short v[0:1], v6, off
	v_mov_b32_e32 v0, v2
	s_or_b64 exec, exec, s[0:1]
	v_cmp_gt_i32_e32 vcc, s8, v0
	s_and_saveexec_b64 s[0:1], vcc
	s_cbranch_execz .LBB342_25
.LBB342_32:
	v_add_u32_e32 v0, s10, v0
	s_waitcnt vmcnt(0)
	v_mov_b32_e32 v1, 0
	v_lshl_add_u64 v[0:1], v[0:1], 1, s[4:5]
	global_store_short v[0:1], v4, off
	s_endpgm
	.section	.rodata,"a",@progbits
	.p2align	6, 0x0
	.amdhsa_kernel _ZN2at6native27unrolled_elementwise_kernelIZZZNS0_17clamp_kernel_cudaERNS_18TensorIteratorBaseERKN3c106ScalarES7_ENKUlvE_clEvENKUlvE7_clEvEUlNS4_8BFloat16EE_St5arrayIPcLm2EELi4E23TrivialOffsetCalculatorILi1EjESG_NS0_6memory15LoadWithoutCastENSH_16StoreWithoutCastEEEviT_T0_T2_T3_T4_T5_
		.amdhsa_group_segment_fixed_size 0
		.amdhsa_private_segment_fixed_size 0
		.amdhsa_kernarg_size 28
		.amdhsa_user_sgpr_count 2
		.amdhsa_user_sgpr_dispatch_ptr 0
		.amdhsa_user_sgpr_queue_ptr 0
		.amdhsa_user_sgpr_kernarg_segment_ptr 1
		.amdhsa_user_sgpr_dispatch_id 0
		.amdhsa_user_sgpr_kernarg_preload_length 0
		.amdhsa_user_sgpr_kernarg_preload_offset 0
		.amdhsa_user_sgpr_private_segment_size 0
		.amdhsa_uses_dynamic_stack 0
		.amdhsa_enable_private_segment 0
		.amdhsa_system_sgpr_workgroup_id_x 1
		.amdhsa_system_sgpr_workgroup_id_y 0
		.amdhsa_system_sgpr_workgroup_id_z 0
		.amdhsa_system_sgpr_workgroup_info 0
		.amdhsa_system_vgpr_workitem_id 0
		.amdhsa_next_free_vgpr 10
		.amdhsa_next_free_sgpr 14
		.amdhsa_accum_offset 12
		.amdhsa_reserve_vcc 1
		.amdhsa_float_round_mode_32 0
		.amdhsa_float_round_mode_16_64 0
		.amdhsa_float_denorm_mode_32 3
		.amdhsa_float_denorm_mode_16_64 3
		.amdhsa_dx10_clamp 1
		.amdhsa_ieee_mode 1
		.amdhsa_fp16_overflow 0
		.amdhsa_tg_split 0
		.amdhsa_exception_fp_ieee_invalid_op 0
		.amdhsa_exception_fp_denorm_src 0
		.amdhsa_exception_fp_ieee_div_zero 0
		.amdhsa_exception_fp_ieee_overflow 0
		.amdhsa_exception_fp_ieee_underflow 0
		.amdhsa_exception_fp_ieee_inexact 0
		.amdhsa_exception_int_div_zero 0
	.end_amdhsa_kernel
	.section	.text._ZN2at6native27unrolled_elementwise_kernelIZZZNS0_17clamp_kernel_cudaERNS_18TensorIteratorBaseERKN3c106ScalarES7_ENKUlvE_clEvENKUlvE7_clEvEUlNS4_8BFloat16EE_St5arrayIPcLm2EELi4E23TrivialOffsetCalculatorILi1EjESG_NS0_6memory15LoadWithoutCastENSH_16StoreWithoutCastEEEviT_T0_T2_T3_T4_T5_,"axG",@progbits,_ZN2at6native27unrolled_elementwise_kernelIZZZNS0_17clamp_kernel_cudaERNS_18TensorIteratorBaseERKN3c106ScalarES7_ENKUlvE_clEvENKUlvE7_clEvEUlNS4_8BFloat16EE_St5arrayIPcLm2EELi4E23TrivialOffsetCalculatorILi1EjESG_NS0_6memory15LoadWithoutCastENSH_16StoreWithoutCastEEEviT_T0_T2_T3_T4_T5_,comdat
.Lfunc_end342:
	.size	_ZN2at6native27unrolled_elementwise_kernelIZZZNS0_17clamp_kernel_cudaERNS_18TensorIteratorBaseERKN3c106ScalarES7_ENKUlvE_clEvENKUlvE7_clEvEUlNS4_8BFloat16EE_St5arrayIPcLm2EELi4E23TrivialOffsetCalculatorILi1EjESG_NS0_6memory15LoadWithoutCastENSH_16StoreWithoutCastEEEviT_T0_T2_T3_T4_T5_, .Lfunc_end342-_ZN2at6native27unrolled_elementwise_kernelIZZZNS0_17clamp_kernel_cudaERNS_18TensorIteratorBaseERKN3c106ScalarES7_ENKUlvE_clEvENKUlvE7_clEvEUlNS4_8BFloat16EE_St5arrayIPcLm2EELi4E23TrivialOffsetCalculatorILi1EjESG_NS0_6memory15LoadWithoutCastENSH_16StoreWithoutCastEEEviT_T0_T2_T3_T4_T5_
                                        ; -- End function
	.set _ZN2at6native27unrolled_elementwise_kernelIZZZNS0_17clamp_kernel_cudaERNS_18TensorIteratorBaseERKN3c106ScalarES7_ENKUlvE_clEvENKUlvE7_clEvEUlNS4_8BFloat16EE_St5arrayIPcLm2EELi4E23TrivialOffsetCalculatorILi1EjESG_NS0_6memory15LoadWithoutCastENSH_16StoreWithoutCastEEEviT_T0_T2_T3_T4_T5_.num_vgpr, 10
	.set _ZN2at6native27unrolled_elementwise_kernelIZZZNS0_17clamp_kernel_cudaERNS_18TensorIteratorBaseERKN3c106ScalarES7_ENKUlvE_clEvENKUlvE7_clEvEUlNS4_8BFloat16EE_St5arrayIPcLm2EELi4E23TrivialOffsetCalculatorILi1EjESG_NS0_6memory15LoadWithoutCastENSH_16StoreWithoutCastEEEviT_T0_T2_T3_T4_T5_.num_agpr, 0
	.set _ZN2at6native27unrolled_elementwise_kernelIZZZNS0_17clamp_kernel_cudaERNS_18TensorIteratorBaseERKN3c106ScalarES7_ENKUlvE_clEvENKUlvE7_clEvEUlNS4_8BFloat16EE_St5arrayIPcLm2EELi4E23TrivialOffsetCalculatorILi1EjESG_NS0_6memory15LoadWithoutCastENSH_16StoreWithoutCastEEEviT_T0_T2_T3_T4_T5_.numbered_sgpr, 14
	.set _ZN2at6native27unrolled_elementwise_kernelIZZZNS0_17clamp_kernel_cudaERNS_18TensorIteratorBaseERKN3c106ScalarES7_ENKUlvE_clEvENKUlvE7_clEvEUlNS4_8BFloat16EE_St5arrayIPcLm2EELi4E23TrivialOffsetCalculatorILi1EjESG_NS0_6memory15LoadWithoutCastENSH_16StoreWithoutCastEEEviT_T0_T2_T3_T4_T5_.num_named_barrier, 0
	.set _ZN2at6native27unrolled_elementwise_kernelIZZZNS0_17clamp_kernel_cudaERNS_18TensorIteratorBaseERKN3c106ScalarES7_ENKUlvE_clEvENKUlvE7_clEvEUlNS4_8BFloat16EE_St5arrayIPcLm2EELi4E23TrivialOffsetCalculatorILi1EjESG_NS0_6memory15LoadWithoutCastENSH_16StoreWithoutCastEEEviT_T0_T2_T3_T4_T5_.private_seg_size, 0
	.set _ZN2at6native27unrolled_elementwise_kernelIZZZNS0_17clamp_kernel_cudaERNS_18TensorIteratorBaseERKN3c106ScalarES7_ENKUlvE_clEvENKUlvE7_clEvEUlNS4_8BFloat16EE_St5arrayIPcLm2EELi4E23TrivialOffsetCalculatorILi1EjESG_NS0_6memory15LoadWithoutCastENSH_16StoreWithoutCastEEEviT_T0_T2_T3_T4_T5_.uses_vcc, 1
	.set _ZN2at6native27unrolled_elementwise_kernelIZZZNS0_17clamp_kernel_cudaERNS_18TensorIteratorBaseERKN3c106ScalarES7_ENKUlvE_clEvENKUlvE7_clEvEUlNS4_8BFloat16EE_St5arrayIPcLm2EELi4E23TrivialOffsetCalculatorILi1EjESG_NS0_6memory15LoadWithoutCastENSH_16StoreWithoutCastEEEviT_T0_T2_T3_T4_T5_.uses_flat_scratch, 0
	.set _ZN2at6native27unrolled_elementwise_kernelIZZZNS0_17clamp_kernel_cudaERNS_18TensorIteratorBaseERKN3c106ScalarES7_ENKUlvE_clEvENKUlvE7_clEvEUlNS4_8BFloat16EE_St5arrayIPcLm2EELi4E23TrivialOffsetCalculatorILi1EjESG_NS0_6memory15LoadWithoutCastENSH_16StoreWithoutCastEEEviT_T0_T2_T3_T4_T5_.has_dyn_sized_stack, 0
	.set _ZN2at6native27unrolled_elementwise_kernelIZZZNS0_17clamp_kernel_cudaERNS_18TensorIteratorBaseERKN3c106ScalarES7_ENKUlvE_clEvENKUlvE7_clEvEUlNS4_8BFloat16EE_St5arrayIPcLm2EELi4E23TrivialOffsetCalculatorILi1EjESG_NS0_6memory15LoadWithoutCastENSH_16StoreWithoutCastEEEviT_T0_T2_T3_T4_T5_.has_recursion, 0
	.set _ZN2at6native27unrolled_elementwise_kernelIZZZNS0_17clamp_kernel_cudaERNS_18TensorIteratorBaseERKN3c106ScalarES7_ENKUlvE_clEvENKUlvE7_clEvEUlNS4_8BFloat16EE_St5arrayIPcLm2EELi4E23TrivialOffsetCalculatorILi1EjESG_NS0_6memory15LoadWithoutCastENSH_16StoreWithoutCastEEEviT_T0_T2_T3_T4_T5_.has_indirect_call, 0
	.section	.AMDGPU.csdata,"",@progbits
; Kernel info:
; codeLenInByte = 928
; TotalNumSgprs: 20
; NumVgprs: 10
; NumAgprs: 0
; TotalNumVgprs: 10
; ScratchSize: 0
; MemoryBound: 0
; FloatMode: 240
; IeeeMode: 1
; LDSByteSize: 0 bytes/workgroup (compile time only)
; SGPRBlocks: 2
; VGPRBlocks: 1
; NumSGPRsForWavesPerEU: 20
; NumVGPRsForWavesPerEU: 10
; AccumOffset: 12
; Occupancy: 8
; WaveLimiterHint : 0
; COMPUTE_PGM_RSRC2:SCRATCH_EN: 0
; COMPUTE_PGM_RSRC2:USER_SGPR: 2
; COMPUTE_PGM_RSRC2:TRAP_HANDLER: 0
; COMPUTE_PGM_RSRC2:TGID_X_EN: 1
; COMPUTE_PGM_RSRC2:TGID_Y_EN: 0
; COMPUTE_PGM_RSRC2:TGID_Z_EN: 0
; COMPUTE_PGM_RSRC2:TIDIG_COMP_CNT: 0
; COMPUTE_PGM_RSRC3_GFX90A:ACCUM_OFFSET: 2
; COMPUTE_PGM_RSRC3_GFX90A:TG_SPLIT: 0
	.section	.text._ZN2at6native32elementwise_kernel_manual_unrollILi128ELi8EZNS0_22gpu_kernel_impl_nocastIZZZNS0_17clamp_kernel_cudaERNS_18TensorIteratorBaseERKN3c106ScalarES8_ENKUlvE_clEvENKUlvE7_clEvEUlNS5_8BFloat16EE_EEvS4_RKT_EUlibE_EEviT1_,"axG",@progbits,_ZN2at6native32elementwise_kernel_manual_unrollILi128ELi8EZNS0_22gpu_kernel_impl_nocastIZZZNS0_17clamp_kernel_cudaERNS_18TensorIteratorBaseERKN3c106ScalarES8_ENKUlvE_clEvENKUlvE7_clEvEUlNS5_8BFloat16EE_EEvS4_RKT_EUlibE_EEviT1_,comdat
	.globl	_ZN2at6native32elementwise_kernel_manual_unrollILi128ELi8EZNS0_22gpu_kernel_impl_nocastIZZZNS0_17clamp_kernel_cudaERNS_18TensorIteratorBaseERKN3c106ScalarES8_ENKUlvE_clEvENKUlvE7_clEvEUlNS5_8BFloat16EE_EEvS4_RKT_EUlibE_EEviT1_ ; -- Begin function _ZN2at6native32elementwise_kernel_manual_unrollILi128ELi8EZNS0_22gpu_kernel_impl_nocastIZZZNS0_17clamp_kernel_cudaERNS_18TensorIteratorBaseERKN3c106ScalarES8_ENKUlvE_clEvENKUlvE7_clEvEUlNS5_8BFloat16EE_EEvS4_RKT_EUlibE_EEviT1_
	.p2align	8
	.type	_ZN2at6native32elementwise_kernel_manual_unrollILi128ELi8EZNS0_22gpu_kernel_impl_nocastIZZZNS0_17clamp_kernel_cudaERNS_18TensorIteratorBaseERKN3c106ScalarES8_ENKUlvE_clEvENKUlvE7_clEvEUlNS5_8BFloat16EE_EEvS4_RKT_EUlibE_EEviT1_,@function
_ZN2at6native32elementwise_kernel_manual_unrollILi128ELi8EZNS0_22gpu_kernel_impl_nocastIZZZNS0_17clamp_kernel_cudaERNS_18TensorIteratorBaseERKN3c106ScalarES8_ENKUlvE_clEvENKUlvE7_clEvEUlNS5_8BFloat16EE_EEvS4_RKT_EUlibE_EEviT1_: ; @_ZN2at6native32elementwise_kernel_manual_unrollILi128ELi8EZNS0_22gpu_kernel_impl_nocastIZZZNS0_17clamp_kernel_cudaERNS_18TensorIteratorBaseERKN3c106ScalarES8_ENKUlvE_clEvENKUlvE7_clEvEUlNS5_8BFloat16EE_EEvS4_RKT_EUlibE_EEviT1_
; %bb.0:
	s_load_dword s59, s[0:1], 0x0
	s_load_dword s33, s[0:1], 0x8
	s_add_u32 s34, s0, 8
	s_addc_u32 s35, s1, 0
	v_lshl_or_b32 v24, s2, 10, v0
	v_or_b32_e32 v32, 0x380, v24
	s_waitcnt lgkmcnt(0)
	s_add_i32 s54, s33, -1
	s_cmp_gt_u32 s54, 1
	v_cmp_le_i32_e32 vcc, s59, v32
	s_cselect_b64 s[36:37], -1, 0
	s_and_saveexec_b64 s[0:1], vcc
	s_xor_b64 s[38:39], exec, s[0:1]
	s_cbranch_execz .LBB343_8
; %bb.1:
	s_load_dwordx4 s[20:23], s[34:35], 0x4
	s_load_dwordx2 s[40:41], s[34:35], 0x14
	s_load_dword s55, s[34:35], 0x158
	s_cmp_lg_u32 s33, 0
	s_load_dwordx4 s[24:27], s[34:35], 0xc4
	s_load_dwordx4 s[16:19], s[34:35], 0x148
	s_cselect_b64 s[46:47], -1, 0
	s_add_u32 s44, s34, 0xc4
	s_addc_u32 s45, s35, 0
	s_min_u32 s60, s54, 15
	s_cmp_gt_u32 s33, 1
	s_cselect_b64 s[42:43], -1, 0
	s_waitcnt lgkmcnt(0)
	s_lshr_b32 s56, s55, 16
	s_lshl_b32 s58, s55, 16
	s_pack_lh_b32_b16 s57, 0, s55
	v_cmp_gt_i32_e32 vcc, s59, v24
	s_and_saveexec_b64 s[48:49], vcc
	s_cbranch_execz .LBB343_15
; %bb.2:
	s_andn2_b64 vcc, exec, s[36:37]
	s_cbranch_vccnz .LBB343_23
; %bb.3:
	s_andn2_b64 vcc, exec, s[46:47]
	s_cbranch_vccnz .LBB343_147
; %bb.4:
	s_add_i32 s62, s60, 1
	s_cmp_eq_u32 s54, 2
	s_cbranch_scc1 .LBB343_149
; %bb.5:
	s_and_b32 s61, s62, 28
	s_mov_b32 s63, 0
	v_mov_b32_e32 v0, 0
	v_mov_b32_e32 v2, 0
	s_mov_b64 s[50:51], s[34:35]
	s_mov_b64 s[52:53], s[44:45]
	v_mov_b32_e32 v4, v24
.LBB343_6:                              ; =>This Inner Loop Header: Depth=1
	s_load_dwordx8 s[8:15], s[50:51], 0x4
	s_load_dwordx4 s[28:31], s[50:51], 0x24
	s_load_dwordx8 s[0:7], s[52:53], 0x0
	s_add_u32 s50, s50, 48
	s_addc_u32 s51, s51, 0
	s_waitcnt lgkmcnt(0)
	v_mul_hi_u32 v1, s9, v4
	v_add_u32_e32 v1, v4, v1
	v_lshrrev_b32_e32 v1, s10, v1
	v_mul_lo_u32 v3, v1, s8
	v_mul_hi_u32 v5, s12, v1
	v_sub_u32_e32 v3, v4, v3
	v_add_u32_e32 v4, v1, v5
	v_lshrrev_b32_e32 v4, s13, v4
	v_mul_lo_u32 v6, v4, s11
	v_mul_hi_u32 v7, s15, v4
	v_sub_u32_e32 v1, v1, v6
	v_add_u32_e32 v6, v4, v7
	v_mul_lo_u32 v5, v3, s1
	v_mul_lo_u32 v3, v3, s0
	;; [unrolled: 1-line block ×4, first 2 shown]
	v_lshrrev_b32_e32 v6, s28, v6
	v_add3_u32 v0, v3, v0, v1
	v_mul_hi_u32 v3, s30, v6
	v_add3_u32 v1, v5, v2, v7
	v_mul_lo_u32 v2, v6, s14
	v_add_u32_e32 v3, v6, v3
	v_sub_u32_e32 v2, v4, v2
	v_lshrrev_b32_e32 v4, s31, v3
	s_add_i32 s63, s63, 4
	v_mul_lo_u32 v3, v4, s29
	s_add_u32 s52, s52, 32
	v_sub_u32_e32 v3, v6, v3
	s_addc_u32 s53, s53, 0
	v_mul_lo_u32 v5, v2, s4
	v_mul_lo_u32 v2, v2, s5
	;; [unrolled: 1-line block ×4, first 2 shown]
	s_cmp_lg_u32 s61, s63
	v_add3_u32 v2, v2, v1, v3
	v_add3_u32 v0, v5, v0, v6
	s_cbranch_scc1 .LBB343_6
; %bb.7:
	v_mov_b32_e32 v1, v2
	s_branch .LBB343_150
.LBB343_8:
	s_andn2_saveexec_b64 s[0:1], s[38:39]
	s_cbranch_execz .LBB343_256
.LBB343_9:
	v_cndmask_b32_e64 v0, 0, 1, s[36:37]
	v_cmp_ne_u32_e64 s[0:1], 1, v0
	s_andn2_b64 vcc, exec, s[36:37]
	s_cbranch_vccnz .LBB343_22
; %bb.10:
	s_cmp_lg_u32 s33, 0
	s_mov_b32 s26, 0
	s_cbranch_scc0 .LBB343_25
; %bb.11:
	s_min_u32 s27, s54, 15
	s_add_i32 s27, s27, 1
	s_cmp_eq_u32 s54, 2
	s_cbranch_scc1 .LBB343_26
; %bb.12:
	s_and_b32 s26, s27, 28
	s_add_u32 s2, s34, 0xc4
	s_addc_u32 s3, s35, 0
	s_mov_b32 s28, 0
	v_mov_b32_e32 v0, 0
	v_mov_b32_e32 v2, 0
	s_mov_b64 s[24:25], s[34:35]
	v_mov_b32_e32 v4, v24
.LBB343_13:                             ; =>This Inner Loop Header: Depth=1
	s_load_dwordx8 s[12:19], s[24:25], 0x4
	s_load_dwordx4 s[20:23], s[24:25], 0x24
	s_load_dwordx8 s[4:11], s[2:3], 0x0
	s_add_u32 s24, s24, 48
	s_addc_u32 s25, s25, 0
	s_waitcnt lgkmcnt(0)
	v_mul_hi_u32 v1, s13, v4
	v_add_u32_e32 v1, v4, v1
	v_lshrrev_b32_e32 v1, s14, v1
	v_mul_lo_u32 v3, v1, s12
	v_mul_hi_u32 v5, s16, v1
	v_sub_u32_e32 v3, v4, v3
	v_add_u32_e32 v4, v1, v5
	v_lshrrev_b32_e32 v4, s17, v4
	v_mul_lo_u32 v6, v4, s15
	v_mul_hi_u32 v7, s19, v4
	v_sub_u32_e32 v1, v1, v6
	v_add_u32_e32 v6, v4, v7
	v_mul_lo_u32 v5, v3, s5
	v_mul_lo_u32 v3, v3, s4
	;; [unrolled: 1-line block ×4, first 2 shown]
	v_lshrrev_b32_e32 v6, s20, v6
	v_add3_u32 v0, v3, v0, v1
	v_mul_hi_u32 v3, s22, v6
	v_add3_u32 v1, v5, v2, v7
	v_mul_lo_u32 v2, v6, s18
	v_add_u32_e32 v3, v6, v3
	v_sub_u32_e32 v2, v4, v2
	v_lshrrev_b32_e32 v4, s23, v3
	s_add_i32 s28, s28, 4
	v_mul_lo_u32 v3, v4, s21
	s_add_u32 s2, s2, 32
	v_sub_u32_e32 v3, v6, v3
	s_addc_u32 s3, s3, 0
	v_mul_lo_u32 v5, v2, s8
	v_mul_lo_u32 v2, v2, s9
	;; [unrolled: 1-line block ×4, first 2 shown]
	s_cmp_lg_u32 s26, s28
	v_add3_u32 v2, v2, v1, v3
	v_add3_u32 v0, v5, v0, v6
	s_cbranch_scc1 .LBB343_13
; %bb.14:
	v_mov_b32_e32 v1, v2
	s_and_b32 s6, s27, 3
	s_cmp_eq_u32 s6, 0
	s_cbranch_scc0 .LBB343_27
	s_branch .LBB343_29
.LBB343_15:
	s_or_b64 exec, exec, s[48:49]
	v_cmp_gt_i32_e32 vcc, s59, v24
	s_and_saveexec_b64 s[48:49], vcc
	s_cbranch_execz .LBB343_159
.LBB343_16:
	s_andn2_b64 vcc, exec, s[36:37]
	s_cbranch_vccnz .LBB343_24
; %bb.17:
	s_andn2_b64 vcc, exec, s[46:47]
	s_cbranch_vccnz .LBB343_148
; %bb.18:
	s_add_i32 s62, s60, 1
	s_cmp_eq_u32 s54, 2
	s_cbranch_scc1 .LBB343_168
; %bb.19:
	s_and_b32 s61, s62, 28
	s_mov_b32 s63, 0
	v_mov_b32_e32 v0, 0
	v_mov_b32_e32 v2, 0
	s_mov_b64 s[50:51], s[34:35]
	s_mov_b64 s[52:53], s[44:45]
	v_mov_b32_e32 v4, v24
.LBB343_20:                             ; =>This Inner Loop Header: Depth=1
	s_load_dwordx8 s[8:15], s[50:51], 0x4
	s_load_dwordx4 s[28:31], s[50:51], 0x24
	s_load_dwordx8 s[0:7], s[52:53], 0x0
	s_add_u32 s50, s50, 48
	s_addc_u32 s51, s51, 0
	s_waitcnt lgkmcnt(0)
	v_mul_hi_u32 v1, s9, v4
	v_add_u32_e32 v1, v4, v1
	v_lshrrev_b32_e32 v1, s10, v1
	v_mul_lo_u32 v3, v1, s8
	v_mul_hi_u32 v5, s12, v1
	v_sub_u32_e32 v3, v4, v3
	v_add_u32_e32 v4, v1, v5
	v_lshrrev_b32_e32 v4, s13, v4
	v_mul_lo_u32 v6, v4, s11
	v_mul_hi_u32 v7, s15, v4
	v_sub_u32_e32 v1, v1, v6
	v_add_u32_e32 v6, v4, v7
	v_mul_lo_u32 v5, v3, s1
	v_mul_lo_u32 v3, v3, s0
	;; [unrolled: 1-line block ×4, first 2 shown]
	v_lshrrev_b32_e32 v6, s28, v6
	v_add3_u32 v0, v3, v0, v1
	v_mul_hi_u32 v3, s30, v6
	v_add3_u32 v1, v5, v2, v7
	v_mul_lo_u32 v2, v6, s14
	v_add_u32_e32 v3, v6, v3
	v_sub_u32_e32 v2, v4, v2
	v_lshrrev_b32_e32 v4, s31, v3
	s_add_i32 s63, s63, 4
	v_mul_lo_u32 v3, v4, s29
	s_add_u32 s52, s52, 32
	v_sub_u32_e32 v3, v6, v3
	s_addc_u32 s53, s53, 0
	v_mul_lo_u32 v5, v2, s4
	v_mul_lo_u32 v2, v2, s5
	;; [unrolled: 1-line block ×4, first 2 shown]
	s_cmp_eq_u32 s61, s63
	v_add3_u32 v2, v2, v1, v3
	v_add3_u32 v0, v5, v0, v6
	s_cbranch_scc0 .LBB343_20
; %bb.21:
	v_mov_b32_e32 v1, v2
	s_branch .LBB343_169
.LBB343_22:
                                        ; implicit-def: $vgpr2
                                        ; implicit-def: $vgpr0
	s_branch .LBB343_30
.LBB343_23:
                                        ; implicit-def: $vgpr2
                                        ; implicit-def: $vgpr0
	s_branch .LBB343_154
.LBB343_24:
                                        ; implicit-def: $vgpr2
                                        ; implicit-def: $vgpr0
	s_branch .LBB343_173
.LBB343_25:
	v_mov_b32_e32 v2, 0
	v_mov_b32_e32 v0, 0
	s_branch .LBB343_29
.LBB343_26:
	v_mov_b32_e32 v0, 0
                                        ; implicit-def: $vgpr2
	v_mov_b32_e32 v1, v0
	v_mov_b32_e32 v4, v24
	s_and_b32 s6, s27, 3
	s_cmp_eq_u32 s6, 0
	s_cbranch_scc1 .LBB343_29
.LBB343_27:
	s_lshl_b32 s2, s26, 3
	s_add_u32 s2, s34, s2
	s_addc_u32 s3, s35, 0
	s_add_u32 s2, s2, 0xc4
	s_addc_u32 s3, s3, 0
	s_mul_i32 s4, s26, 12
	s_add_u32 s4, s34, s4
	s_addc_u32 s5, s35, 0
.LBB343_28:                             ; =>This Inner Loop Header: Depth=1
	s_load_dwordx2 s[8:9], s[4:5], 0x4
	s_load_dword s7, s[4:5], 0xc
	s_load_dwordx2 s[10:11], s[2:3], 0x0
	v_mov_b32_e32 v2, v1
	s_add_u32 s4, s4, 12
	s_waitcnt lgkmcnt(0)
	v_mul_hi_u32 v1, s9, v4
	v_add_u32_e32 v1, v4, v1
	v_lshrrev_b32_e32 v1, s7, v1
	s_addc_u32 s5, s5, 0
	v_mul_lo_u32 v3, v1, s8
	s_add_u32 s2, s2, 8
	v_sub_u32_e32 v5, v4, v3
	s_addc_u32 s3, s3, 0
	s_add_i32 s6, s6, -1
	v_mov_b32_e32 v4, v1
	v_mad_u64_u32 v[2:3], s[8:9], v5, s11, v[2:3]
	v_mad_u64_u32 v[0:1], s[8:9], v5, s10, v[0:1]
	s_cmp_lg_u32 s6, 0
	v_mov_b32_e32 v1, v2
	s_cbranch_scc1 .LBB343_28
.LBB343_29:
	s_cbranch_execnz .LBB343_32
.LBB343_30:
	s_load_dwordx4 s[4:7], s[34:35], 0x4
	s_load_dwordx2 s[2:3], s[34:35], 0xc4
	s_cmp_lt_u32 s33, 2
	s_waitcnt lgkmcnt(0)
	v_mul_hi_u32 v0, s5, v24
	v_add_u32_e32 v0, v24, v0
	v_lshrrev_b32_e32 v1, s6, v0
	v_mul_lo_u32 v0, v1, s4
	v_sub_u32_e32 v0, v24, v0
	v_mul_lo_u32 v2, v0, s3
	v_mul_lo_u32 v0, v0, s2
	s_cbranch_scc1 .LBB343_32
; %bb.31:
	s_load_dwordx4 s[4:7], s[34:35], 0x10
	s_load_dwordx2 s[2:3], s[34:35], 0xcc
	s_waitcnt lgkmcnt(0)
	v_mul_hi_u32 v3, s5, v1
	v_add_u32_e32 v3, v1, v3
	v_lshrrev_b32_e32 v3, s6, v3
	v_mul_lo_u32 v3, v3, s4
	v_sub_u32_e32 v3, v1, v3
	v_mad_u64_u32 v[0:1], s[4:5], v3, s2, v[0:1]
	v_mad_u64_u32 v[2:3], s[2:3], v3, s3, v[2:3]
.LBB343_32:
	s_and_b64 vcc, exec, s[0:1]
	v_add_u32_e32 v3, 0x80, v24
	s_cbranch_vccnz .LBB343_38
; %bb.33:
	s_cmp_lg_u32 s33, 0
	s_mov_b32 s26, 0
	s_cbranch_scc0 .LBB343_39
; %bb.34:
	s_min_u32 s27, s54, 15
	s_add_i32 s27, s27, 1
	s_cmp_eq_u32 s54, 2
	s_cbranch_scc1 .LBB343_40
; %bb.35:
	s_and_b32 s26, s27, 28
	s_add_u32 s2, s34, 0xc4
	s_addc_u32 s3, s35, 0
	s_mov_b32 s28, 0
	v_mov_b32_e32 v4, 0
	v_mov_b32_e32 v6, 0
	s_mov_b64 s[24:25], s[34:35]
	v_mov_b32_e32 v8, v3
.LBB343_36:                             ; =>This Inner Loop Header: Depth=1
	s_load_dwordx8 s[12:19], s[24:25], 0x4
	s_load_dwordx4 s[20:23], s[24:25], 0x24
	s_load_dwordx8 s[4:11], s[2:3], 0x0
	s_add_u32 s24, s24, 48
	s_addc_u32 s25, s25, 0
	s_waitcnt lgkmcnt(0)
	v_mul_hi_u32 v1, s13, v8
	v_add_u32_e32 v1, v8, v1
	v_lshrrev_b32_e32 v1, s14, v1
	v_mul_hi_u32 v7, s16, v1
	v_add_u32_e32 v7, v1, v7
	v_lshrrev_b32_e32 v7, s17, v7
	v_mul_lo_u32 v5, v1, s12
	v_mul_lo_u32 v9, v7, s15
	v_mul_hi_u32 v10, s19, v7
	v_sub_u32_e32 v5, v8, v5
	v_sub_u32_e32 v1, v1, v9
	v_add_u32_e32 v9, v7, v10
	v_mul_lo_u32 v8, v5, s5
	v_mul_lo_u32 v5, v5, s4
	;; [unrolled: 1-line block ×4, first 2 shown]
	v_lshrrev_b32_e32 v9, s20, v9
	v_add3_u32 v1, v5, v4, v1
	v_add3_u32 v4, v8, v6, v10
	v_mul_hi_u32 v6, s22, v9
	v_add_u32_e32 v6, v9, v6
	v_lshrrev_b32_e32 v8, s23, v6
	s_add_i32 s28, s28, 4
	v_mul_lo_u32 v5, v9, s18
	v_mul_lo_u32 v6, v8, s21
	s_add_u32 s2, s2, 32
	v_sub_u32_e32 v5, v7, v5
	v_sub_u32_e32 v6, v9, v6
	s_addc_u32 s3, s3, 0
	v_mul_lo_u32 v7, v5, s8
	v_mul_lo_u32 v5, v5, s9
	;; [unrolled: 1-line block ×4, first 2 shown]
	s_cmp_lg_u32 s26, s28
	v_add3_u32 v6, v5, v4, v6
	v_add3_u32 v4, v7, v1, v9
	s_cbranch_scc1 .LBB343_36
; %bb.37:
	v_mov_b32_e32 v1, v6
	s_and_b32 s6, s27, 3
	s_cmp_eq_u32 s6, 0
	s_cbranch_scc0 .LBB343_41
	s_branch .LBB343_43
.LBB343_38:
                                        ; implicit-def: $vgpr6
                                        ; implicit-def: $vgpr4
	s_branch .LBB343_44
.LBB343_39:
	v_mov_b32_e32 v6, 0
	v_mov_b32_e32 v4, 0
	s_branch .LBB343_43
.LBB343_40:
	v_mov_b32_e32 v4, 0
                                        ; implicit-def: $vgpr6
	v_mov_b32_e32 v1, v4
	v_mov_b32_e32 v8, v3
	s_and_b32 s6, s27, 3
	s_cmp_eq_u32 s6, 0
	s_cbranch_scc1 .LBB343_43
.LBB343_41:
	s_lshl_b32 s2, s26, 3
	s_add_u32 s2, s34, s2
	s_addc_u32 s3, s35, 0
	s_add_u32 s2, s2, 0xc4
	s_addc_u32 s3, s3, 0
	s_mul_i32 s4, s26, 12
	s_add_u32 s4, s34, s4
	s_addc_u32 s5, s35, 0
.LBB343_42:                             ; =>This Inner Loop Header: Depth=1
	s_load_dwordx2 s[8:9], s[4:5], 0x4
	s_load_dword s7, s[4:5], 0xc
	s_load_dwordx2 s[10:11], s[2:3], 0x0
	v_mov_b32_e32 v6, v1
	s_add_u32 s4, s4, 12
	s_waitcnt lgkmcnt(0)
	v_mul_hi_u32 v1, s9, v8
	v_add_u32_e32 v1, v8, v1
	v_lshrrev_b32_e32 v1, s7, v1
	s_addc_u32 s5, s5, 0
	v_mul_lo_u32 v5, v1, s8
	s_add_u32 s2, s2, 8
	v_sub_u32_e32 v5, v8, v5
	s_addc_u32 s3, s3, 0
	s_add_i32 s6, s6, -1
	v_mad_u64_u32 v[6:7], s[8:9], v5, s11, v[6:7]
	s_cmp_lg_u32 s6, 0
	v_mov_b32_e32 v8, v1
	v_mad_u64_u32 v[4:5], s[8:9], v5, s10, v[4:5]
	v_mov_b32_e32 v1, v6
	s_cbranch_scc1 .LBB343_42
.LBB343_43:
	s_cbranch_execnz .LBB343_46
.LBB343_44:
	s_load_dwordx4 s[4:7], s[34:35], 0x4
	s_load_dwordx2 s[2:3], s[34:35], 0xc4
	s_cmp_lt_u32 s33, 2
	s_waitcnt lgkmcnt(0)
	v_mul_hi_u32 v1, s5, v3
	v_add_u32_e32 v1, v3, v1
	v_lshrrev_b32_e32 v1, s6, v1
	v_mul_lo_u32 v4, v1, s4
	v_sub_u32_e32 v3, v3, v4
	v_mul_lo_u32 v6, v3, s3
	v_mul_lo_u32 v4, v3, s2
	s_cbranch_scc1 .LBB343_46
; %bb.45:
	s_load_dwordx4 s[4:7], s[34:35], 0x10
	s_load_dwordx2 s[2:3], s[34:35], 0xcc
	s_waitcnt lgkmcnt(0)
	v_mul_hi_u32 v3, s5, v1
	v_add_u32_e32 v3, v1, v3
	v_lshrrev_b32_e32 v3, s6, v3
	v_mul_lo_u32 v3, v3, s4
	v_sub_u32_e32 v1, v1, v3
	v_mad_u64_u32 v[4:5], s[4:5], v1, s2, v[4:5]
	v_mad_u64_u32 v[6:7], s[2:3], v1, s3, v[6:7]
.LBB343_46:
	s_and_b64 vcc, exec, s[0:1]
	v_add_u32_e32 v3, 0x100, v24
	s_cbranch_vccnz .LBB343_52
; %bb.47:
	s_cmp_lg_u32 s33, 0
	s_mov_b32 s26, 0
	s_cbranch_scc0 .LBB343_53
; %bb.48:
	s_min_u32 s27, s54, 15
	s_add_i32 s27, s27, 1
	s_cmp_eq_u32 s54, 2
	s_cbranch_scc1 .LBB343_54
; %bb.49:
	s_and_b32 s26, s27, 28
	s_add_u32 s2, s34, 0xc4
	s_addc_u32 s3, s35, 0
	s_mov_b32 s28, 0
	v_mov_b32_e32 v8, 0
	v_mov_b32_e32 v10, 0
	s_mov_b64 s[24:25], s[34:35]
	v_mov_b32_e32 v5, v3
.LBB343_50:                             ; =>This Inner Loop Header: Depth=1
	s_load_dwordx8 s[12:19], s[24:25], 0x4
	s_load_dwordx4 s[20:23], s[24:25], 0x24
	s_load_dwordx8 s[4:11], s[2:3], 0x0
	s_add_u32 s24, s24, 48
	s_addc_u32 s25, s25, 0
	s_waitcnt lgkmcnt(0)
	v_mul_hi_u32 v1, s13, v5
	v_add_u32_e32 v1, v5, v1
	v_lshrrev_b32_e32 v1, s14, v1
	v_mul_lo_u32 v7, v1, s12
	v_mul_hi_u32 v9, s16, v1
	v_sub_u32_e32 v5, v5, v7
	v_add_u32_e32 v7, v1, v9
	v_lshrrev_b32_e32 v7, s17, v7
	v_mul_lo_u32 v11, v7, s15
	v_mul_hi_u32 v12, s19, v7
	v_sub_u32_e32 v1, v1, v11
	v_add_u32_e32 v11, v7, v12
	v_mul_lo_u32 v9, v5, s5
	v_mul_lo_u32 v5, v5, s4
	;; [unrolled: 1-line block ×4, first 2 shown]
	v_lshrrev_b32_e32 v11, s20, v11
	v_add3_u32 v1, v5, v8, v1
	v_add3_u32 v8, v9, v10, v12
	v_mul_lo_u32 v5, v11, s18
	v_mul_hi_u32 v9, s22, v11
	v_sub_u32_e32 v5, v7, v5
	v_add_u32_e32 v7, v11, v9
	v_mul_lo_u32 v9, v5, s8
	v_mul_lo_u32 v10, v5, s9
	v_lshrrev_b32_e32 v5, s23, v7
	s_add_i32 s28, s28, 4
	v_mul_lo_u32 v7, v5, s21
	s_add_u32 s2, s2, 32
	v_sub_u32_e32 v7, v11, v7
	s_addc_u32 s3, s3, 0
	v_mul_lo_u32 v11, v7, s10
	v_mul_lo_u32 v7, v7, s11
	s_cmp_lg_u32 s26, s28
	v_add3_u32 v10, v10, v8, v7
	v_add3_u32 v8, v9, v1, v11
	s_cbranch_scc1 .LBB343_50
; %bb.51:
	v_mov_b32_e32 v1, v10
	s_and_b32 s6, s27, 3
	s_cmp_eq_u32 s6, 0
	s_cbranch_scc0 .LBB343_55
	s_branch .LBB343_57
.LBB343_52:
                                        ; implicit-def: $vgpr10
                                        ; implicit-def: $vgpr8
	s_branch .LBB343_58
.LBB343_53:
	v_mov_b32_e32 v10, 0
	v_mov_b32_e32 v8, 0
	s_branch .LBB343_57
.LBB343_54:
	v_mov_b32_e32 v8, 0
                                        ; implicit-def: $vgpr10
	v_mov_b32_e32 v1, v8
	v_mov_b32_e32 v5, v3
	s_and_b32 s6, s27, 3
	s_cmp_eq_u32 s6, 0
	s_cbranch_scc1 .LBB343_57
.LBB343_55:
	s_lshl_b32 s2, s26, 3
	s_add_u32 s2, s34, s2
	s_addc_u32 s3, s35, 0
	s_add_u32 s2, s2, 0xc4
	s_addc_u32 s3, s3, 0
	s_mul_i32 s4, s26, 12
	s_add_u32 s4, s34, s4
	s_addc_u32 s5, s35, 0
.LBB343_56:                             ; =>This Inner Loop Header: Depth=1
	s_load_dwordx2 s[8:9], s[4:5], 0x4
	s_load_dword s7, s[4:5], 0xc
	s_load_dwordx2 s[10:11], s[2:3], 0x0
	v_mov_b32_e32 v10, v1
	s_add_u32 s4, s4, 12
	s_waitcnt lgkmcnt(0)
	v_mul_hi_u32 v1, s9, v5
	v_add_u32_e32 v1, v5, v1
	v_lshrrev_b32_e32 v1, s7, v1
	s_addc_u32 s5, s5, 0
	v_mul_lo_u32 v7, v1, s8
	s_add_u32 s2, s2, 8
	v_sub_u32_e32 v7, v5, v7
	s_addc_u32 s3, s3, 0
	s_add_i32 s6, s6, -1
	v_mad_u64_u32 v[10:11], s[8:9], v7, s11, v[10:11]
	s_cmp_lg_u32 s6, 0
	v_mov_b32_e32 v5, v1
	v_mad_u64_u32 v[8:9], s[8:9], v7, s10, v[8:9]
	v_mov_b32_e32 v1, v10
	s_cbranch_scc1 .LBB343_56
.LBB343_57:
	s_cbranch_execnz .LBB343_60
.LBB343_58:
	s_load_dwordx4 s[4:7], s[34:35], 0x4
	s_load_dwordx2 s[2:3], s[34:35], 0xc4
	s_cmp_lt_u32 s33, 2
	s_waitcnt lgkmcnt(0)
	v_mul_hi_u32 v1, s5, v3
	v_add_u32_e32 v1, v3, v1
	v_lshrrev_b32_e32 v1, s6, v1
	v_mul_lo_u32 v5, v1, s4
	v_sub_u32_e32 v3, v3, v5
	v_mul_lo_u32 v10, v3, s3
	v_mul_lo_u32 v8, v3, s2
	s_cbranch_scc1 .LBB343_60
; %bb.59:
	s_load_dwordx4 s[4:7], s[34:35], 0x10
	s_load_dwordx2 s[2:3], s[34:35], 0xcc
	s_waitcnt lgkmcnt(0)
	v_mul_hi_u32 v3, s5, v1
	v_add_u32_e32 v3, v1, v3
	v_lshrrev_b32_e32 v3, s6, v3
	v_mul_lo_u32 v3, v3, s4
	v_sub_u32_e32 v1, v1, v3
	v_mad_u64_u32 v[8:9], s[4:5], v1, s2, v[8:9]
	v_mad_u64_u32 v[10:11], s[2:3], v1, s3, v[10:11]
.LBB343_60:
	s_and_b64 vcc, exec, s[0:1]
	v_add_u32_e32 v3, 0x180, v24
	s_cbranch_vccnz .LBB343_66
; %bb.61:
	s_cmp_lg_u32 s33, 0
	s_mov_b32 s26, 0
	s_cbranch_scc0 .LBB343_67
; %bb.62:
	s_min_u32 s27, s54, 15
	s_add_i32 s27, s27, 1
	s_cmp_eq_u32 s54, 2
	s_cbranch_scc1 .LBB343_68
; %bb.63:
	s_and_b32 s26, s27, 28
	s_add_u32 s2, s34, 0xc4
	s_addc_u32 s3, s35, 0
	s_mov_b32 s28, 0
	v_mov_b32_e32 v12, 0
	v_mov_b32_e32 v14, 0
	s_mov_b64 s[24:25], s[34:35]
	v_mov_b32_e32 v5, v3
.LBB343_64:                             ; =>This Inner Loop Header: Depth=1
	s_load_dwordx8 s[12:19], s[24:25], 0x4
	s_load_dwordx4 s[20:23], s[24:25], 0x24
	s_load_dwordx8 s[4:11], s[2:3], 0x0
	s_add_u32 s24, s24, 48
	s_addc_u32 s25, s25, 0
	s_waitcnt lgkmcnt(0)
	v_mul_hi_u32 v1, s13, v5
	v_add_u32_e32 v1, v5, v1
	v_lshrrev_b32_e32 v1, s14, v1
	v_mul_lo_u32 v7, v1, s12
	v_mul_hi_u32 v9, s16, v1
	v_sub_u32_e32 v5, v5, v7
	v_add_u32_e32 v7, v1, v9
	v_lshrrev_b32_e32 v7, s17, v7
	v_mul_lo_u32 v11, v7, s15
	v_mul_hi_u32 v13, s19, v7
	v_sub_u32_e32 v1, v1, v11
	v_add_u32_e32 v11, v7, v13
	v_mul_lo_u32 v9, v5, s5
	v_mul_lo_u32 v5, v5, s4
	;; [unrolled: 1-line block ×4, first 2 shown]
	v_lshrrev_b32_e32 v11, s20, v11
	v_add3_u32 v1, v5, v12, v1
	v_mul_lo_u32 v5, v11, s18
	v_mul_hi_u32 v12, s22, v11
	v_sub_u32_e32 v5, v7, v5
	v_add_u32_e32 v7, v11, v12
	v_add3_u32 v9, v9, v14, v13
	v_mul_lo_u32 v12, v5, s8
	v_mul_lo_u32 v13, v5, s9
	v_lshrrev_b32_e32 v5, s23, v7
	s_add_i32 s28, s28, 4
	v_mul_lo_u32 v7, v5, s21
	s_add_u32 s2, s2, 32
	v_sub_u32_e32 v7, v11, v7
	s_addc_u32 s3, s3, 0
	v_mul_lo_u32 v11, v7, s10
	v_mul_lo_u32 v7, v7, s11
	s_cmp_lg_u32 s26, s28
	v_add3_u32 v14, v13, v9, v7
	v_add3_u32 v12, v12, v1, v11
	s_cbranch_scc1 .LBB343_64
; %bb.65:
	v_mov_b32_e32 v1, v14
	s_and_b32 s6, s27, 3
	s_cmp_eq_u32 s6, 0
	s_cbranch_scc0 .LBB343_69
	s_branch .LBB343_71
.LBB343_66:
                                        ; implicit-def: $vgpr14
                                        ; implicit-def: $vgpr12
	s_branch .LBB343_72
.LBB343_67:
	v_mov_b32_e32 v14, 0
	v_mov_b32_e32 v12, 0
	s_branch .LBB343_71
.LBB343_68:
	v_mov_b32_e32 v12, 0
                                        ; implicit-def: $vgpr14
	v_mov_b32_e32 v1, v12
	v_mov_b32_e32 v5, v3
	s_and_b32 s6, s27, 3
	s_cmp_eq_u32 s6, 0
	s_cbranch_scc1 .LBB343_71
.LBB343_69:
	s_lshl_b32 s2, s26, 3
	s_add_u32 s2, s34, s2
	s_addc_u32 s3, s35, 0
	s_add_u32 s2, s2, 0xc4
	s_addc_u32 s3, s3, 0
	s_mul_i32 s4, s26, 12
	s_add_u32 s4, s34, s4
	s_addc_u32 s5, s35, 0
.LBB343_70:                             ; =>This Inner Loop Header: Depth=1
	s_load_dwordx2 s[8:9], s[4:5], 0x4
	s_load_dword s7, s[4:5], 0xc
	s_load_dwordx2 s[10:11], s[2:3], 0x0
	v_mov_b32_e32 v14, v1
	s_add_u32 s4, s4, 12
	s_waitcnt lgkmcnt(0)
	v_mul_hi_u32 v1, s9, v5
	v_add_u32_e32 v1, v5, v1
	v_lshrrev_b32_e32 v1, s7, v1
	s_addc_u32 s5, s5, 0
	v_mul_lo_u32 v7, v1, s8
	s_add_u32 s2, s2, 8
	v_sub_u32_e32 v7, v5, v7
	s_addc_u32 s3, s3, 0
	s_add_i32 s6, s6, -1
	v_mad_u64_u32 v[14:15], s[8:9], v7, s11, v[14:15]
	s_cmp_lg_u32 s6, 0
	v_mov_b32_e32 v5, v1
	v_mad_u64_u32 v[12:13], s[8:9], v7, s10, v[12:13]
	v_mov_b32_e32 v1, v14
	s_cbranch_scc1 .LBB343_70
.LBB343_71:
	s_cbranch_execnz .LBB343_74
.LBB343_72:
	s_load_dwordx4 s[4:7], s[34:35], 0x4
	s_load_dwordx2 s[2:3], s[34:35], 0xc4
	s_cmp_lt_u32 s33, 2
	s_waitcnt lgkmcnt(0)
	v_mul_hi_u32 v1, s5, v3
	v_add_u32_e32 v1, v3, v1
	v_lshrrev_b32_e32 v1, s6, v1
	v_mul_lo_u32 v5, v1, s4
	v_sub_u32_e32 v3, v3, v5
	v_mul_lo_u32 v14, v3, s3
	v_mul_lo_u32 v12, v3, s2
	s_cbranch_scc1 .LBB343_74
; %bb.73:
	s_load_dwordx4 s[4:7], s[34:35], 0x10
	s_load_dwordx2 s[2:3], s[34:35], 0xcc
	s_waitcnt lgkmcnt(0)
	v_mul_hi_u32 v3, s5, v1
	v_add_u32_e32 v3, v1, v3
	v_lshrrev_b32_e32 v3, s6, v3
	v_mul_lo_u32 v3, v3, s4
	v_sub_u32_e32 v1, v1, v3
	v_mad_u64_u32 v[12:13], s[4:5], v1, s2, v[12:13]
	v_mad_u64_u32 v[14:15], s[2:3], v1, s3, v[14:15]
.LBB343_74:
	s_and_b64 vcc, exec, s[0:1]
	v_add_u32_e32 v3, 0x200, v24
	s_cbranch_vccnz .LBB343_80
; %bb.75:
	s_cmp_lg_u32 s33, 0
	s_mov_b32 s26, 0
	s_cbranch_scc0 .LBB343_81
; %bb.76:
	s_min_u32 s27, s54, 15
	s_add_i32 s27, s27, 1
	s_cmp_eq_u32 s54, 2
	s_cbranch_scc1 .LBB343_82
; %bb.77:
	s_and_b32 s26, s27, 28
	s_add_u32 s2, s34, 0xc4
	s_addc_u32 s3, s35, 0
	s_mov_b32 s28, 0
	v_mov_b32_e32 v16, 0
	v_mov_b32_e32 v18, 0
	s_mov_b64 s[24:25], s[34:35]
	v_mov_b32_e32 v5, v3
.LBB343_78:                             ; =>This Inner Loop Header: Depth=1
	s_load_dwordx8 s[12:19], s[24:25], 0x4
	s_load_dwordx4 s[20:23], s[24:25], 0x24
	s_load_dwordx8 s[4:11], s[2:3], 0x0
	s_add_u32 s24, s24, 48
	s_addc_u32 s25, s25, 0
	s_waitcnt lgkmcnt(0)
	v_mul_hi_u32 v1, s13, v5
	v_add_u32_e32 v1, v5, v1
	v_lshrrev_b32_e32 v1, s14, v1
	v_mul_lo_u32 v7, v1, s12
	v_mul_hi_u32 v9, s16, v1
	v_sub_u32_e32 v5, v5, v7
	v_add_u32_e32 v7, v1, v9
	v_lshrrev_b32_e32 v7, s17, v7
	v_mul_lo_u32 v11, v7, s15
	v_mul_hi_u32 v13, s19, v7
	v_sub_u32_e32 v1, v1, v11
	v_add_u32_e32 v11, v7, v13
	v_mul_lo_u32 v9, v5, s5
	v_mul_lo_u32 v5, v5, s4
	;; [unrolled: 1-line block ×4, first 2 shown]
	v_lshrrev_b32_e32 v11, s20, v11
	v_add3_u32 v1, v5, v16, v1
	v_add3_u32 v9, v9, v18, v13
	v_mul_lo_u32 v5, v11, s18
	v_mul_hi_u32 v13, s22, v11
	v_sub_u32_e32 v5, v7, v5
	v_add_u32_e32 v7, v11, v13
	v_mul_lo_u32 v13, v5, s8
	v_mul_lo_u32 v15, v5, s9
	v_lshrrev_b32_e32 v5, s23, v7
	s_add_i32 s28, s28, 4
	v_mul_lo_u32 v7, v5, s21
	s_add_u32 s2, s2, 32
	v_sub_u32_e32 v7, v11, v7
	s_addc_u32 s3, s3, 0
	v_mul_lo_u32 v11, v7, s10
	v_mul_lo_u32 v7, v7, s11
	s_cmp_lg_u32 s26, s28
	v_add3_u32 v18, v15, v9, v7
	v_add3_u32 v16, v13, v1, v11
	s_cbranch_scc1 .LBB343_78
; %bb.79:
	v_mov_b32_e32 v1, v18
	s_and_b32 s6, s27, 3
	s_cmp_eq_u32 s6, 0
	s_cbranch_scc0 .LBB343_83
	s_branch .LBB343_85
.LBB343_80:
                                        ; implicit-def: $vgpr18
                                        ; implicit-def: $vgpr16
	s_branch .LBB343_86
.LBB343_81:
	v_mov_b32_e32 v18, 0
	v_mov_b32_e32 v16, 0
	s_branch .LBB343_85
.LBB343_82:
	v_mov_b32_e32 v16, 0
                                        ; implicit-def: $vgpr18
	v_mov_b32_e32 v1, v16
	v_mov_b32_e32 v5, v3
	s_and_b32 s6, s27, 3
	s_cmp_eq_u32 s6, 0
	s_cbranch_scc1 .LBB343_85
.LBB343_83:
	s_lshl_b32 s2, s26, 3
	s_add_u32 s2, s34, s2
	s_addc_u32 s3, s35, 0
	s_add_u32 s2, s2, 0xc4
	s_addc_u32 s3, s3, 0
	s_mul_i32 s4, s26, 12
	s_add_u32 s4, s34, s4
	s_addc_u32 s5, s35, 0
.LBB343_84:                             ; =>This Inner Loop Header: Depth=1
	s_load_dwordx2 s[8:9], s[4:5], 0x4
	s_load_dword s7, s[4:5], 0xc
	s_load_dwordx2 s[10:11], s[2:3], 0x0
	v_mov_b32_e32 v18, v1
	s_add_u32 s4, s4, 12
	s_waitcnt lgkmcnt(0)
	v_mul_hi_u32 v1, s9, v5
	v_add_u32_e32 v1, v5, v1
	v_lshrrev_b32_e32 v1, s7, v1
	s_addc_u32 s5, s5, 0
	v_mul_lo_u32 v7, v1, s8
	s_add_u32 s2, s2, 8
	v_sub_u32_e32 v7, v5, v7
	s_addc_u32 s3, s3, 0
	s_add_i32 s6, s6, -1
	v_mad_u64_u32 v[18:19], s[8:9], v7, s11, v[18:19]
	s_cmp_lg_u32 s6, 0
	v_mov_b32_e32 v5, v1
	v_mad_u64_u32 v[16:17], s[8:9], v7, s10, v[16:17]
	v_mov_b32_e32 v1, v18
	s_cbranch_scc1 .LBB343_84
.LBB343_85:
	s_cbranch_execnz .LBB343_88
.LBB343_86:
	s_load_dwordx4 s[4:7], s[34:35], 0x4
	s_load_dwordx2 s[2:3], s[34:35], 0xc4
	s_cmp_lt_u32 s33, 2
	s_waitcnt lgkmcnt(0)
	v_mul_hi_u32 v1, s5, v3
	v_add_u32_e32 v1, v3, v1
	v_lshrrev_b32_e32 v1, s6, v1
	v_mul_lo_u32 v5, v1, s4
	v_sub_u32_e32 v3, v3, v5
	v_mul_lo_u32 v18, v3, s3
	v_mul_lo_u32 v16, v3, s2
	s_cbranch_scc1 .LBB343_88
; %bb.87:
	s_load_dwordx4 s[4:7], s[34:35], 0x10
	s_load_dwordx2 s[2:3], s[34:35], 0xcc
	s_waitcnt lgkmcnt(0)
	v_mul_hi_u32 v3, s5, v1
	v_add_u32_e32 v3, v1, v3
	v_lshrrev_b32_e32 v3, s6, v3
	v_mul_lo_u32 v3, v3, s4
	v_sub_u32_e32 v1, v1, v3
	v_mad_u64_u32 v[16:17], s[4:5], v1, s2, v[16:17]
	v_mad_u64_u32 v[18:19], s[2:3], v1, s3, v[18:19]
.LBB343_88:
	s_and_b64 vcc, exec, s[0:1]
	v_add_u32_e32 v3, 0x280, v24
	s_cbranch_vccnz .LBB343_94
; %bb.89:
	s_cmp_lg_u32 s33, 0
	s_mov_b32 s26, 0
	s_cbranch_scc0 .LBB343_95
; %bb.90:
	s_min_u32 s27, s54, 15
	s_add_i32 s27, s27, 1
	s_cmp_eq_u32 s54, 2
	s_cbranch_scc1 .LBB343_96
; %bb.91:
	s_and_b32 s26, s27, 28
	s_add_u32 s2, s34, 0xc4
	s_addc_u32 s3, s35, 0
	s_mov_b32 s28, 0
	v_mov_b32_e32 v20, 0
	v_mov_b32_e32 v22, 0
	s_mov_b64 s[24:25], s[34:35]
	v_mov_b32_e32 v5, v3
.LBB343_92:                             ; =>This Inner Loop Header: Depth=1
	s_load_dwordx8 s[12:19], s[24:25], 0x4
	s_load_dwordx4 s[20:23], s[24:25], 0x24
	s_load_dwordx8 s[4:11], s[2:3], 0x0
	s_add_u32 s24, s24, 48
	s_addc_u32 s25, s25, 0
	s_waitcnt lgkmcnt(0)
	v_mul_hi_u32 v1, s13, v5
	v_add_u32_e32 v1, v5, v1
	v_lshrrev_b32_e32 v1, s14, v1
	v_mul_lo_u32 v7, v1, s12
	v_mul_hi_u32 v9, s16, v1
	v_sub_u32_e32 v5, v5, v7
	v_add_u32_e32 v7, v1, v9
	v_lshrrev_b32_e32 v7, s17, v7
	v_mul_lo_u32 v11, v7, s15
	v_mul_hi_u32 v13, s19, v7
	v_sub_u32_e32 v1, v1, v11
	v_add_u32_e32 v11, v7, v13
	v_mul_lo_u32 v9, v5, s5
	v_mul_lo_u32 v5, v5, s4
	;; [unrolled: 1-line block ×4, first 2 shown]
	v_lshrrev_b32_e32 v11, s20, v11
	v_add3_u32 v1, v5, v20, v1
	v_add3_u32 v9, v9, v22, v13
	v_mul_lo_u32 v5, v11, s18
	v_mul_hi_u32 v13, s22, v11
	v_sub_u32_e32 v5, v7, v5
	v_add_u32_e32 v7, v11, v13
	v_mul_lo_u32 v13, v5, s8
	v_mul_lo_u32 v15, v5, s9
	v_lshrrev_b32_e32 v5, s23, v7
	s_add_i32 s28, s28, 4
	v_mul_lo_u32 v7, v5, s21
	s_add_u32 s2, s2, 32
	v_sub_u32_e32 v7, v11, v7
	s_addc_u32 s3, s3, 0
	v_mul_lo_u32 v11, v7, s10
	v_mul_lo_u32 v7, v7, s11
	s_cmp_lg_u32 s26, s28
	v_add3_u32 v22, v15, v9, v7
	v_add3_u32 v20, v13, v1, v11
	s_cbranch_scc1 .LBB343_92
; %bb.93:
	v_mov_b32_e32 v1, v22
	s_and_b32 s6, s27, 3
	s_cmp_eq_u32 s6, 0
	s_cbranch_scc0 .LBB343_97
	s_branch .LBB343_99
.LBB343_94:
                                        ; implicit-def: $vgpr22
                                        ; implicit-def: $vgpr20
	s_branch .LBB343_100
.LBB343_95:
	v_mov_b32_e32 v22, 0
	v_mov_b32_e32 v20, 0
	s_branch .LBB343_99
.LBB343_96:
	v_mov_b32_e32 v20, 0
                                        ; implicit-def: $vgpr22
	v_mov_b32_e32 v1, v20
	v_mov_b32_e32 v5, v3
	s_and_b32 s6, s27, 3
	s_cmp_eq_u32 s6, 0
	s_cbranch_scc1 .LBB343_99
.LBB343_97:
	s_lshl_b32 s2, s26, 3
	s_add_u32 s2, s34, s2
	s_addc_u32 s3, s35, 0
	s_add_u32 s2, s2, 0xc4
	s_addc_u32 s3, s3, 0
	s_mul_i32 s4, s26, 12
	s_add_u32 s4, s34, s4
	s_addc_u32 s5, s35, 0
.LBB343_98:                             ; =>This Inner Loop Header: Depth=1
	s_load_dwordx2 s[8:9], s[4:5], 0x4
	s_load_dword s7, s[4:5], 0xc
	s_load_dwordx2 s[10:11], s[2:3], 0x0
	v_mov_b32_e32 v22, v1
	s_add_u32 s4, s4, 12
	s_waitcnt lgkmcnt(0)
	v_mul_hi_u32 v1, s9, v5
	v_add_u32_e32 v1, v5, v1
	v_lshrrev_b32_e32 v1, s7, v1
	s_addc_u32 s5, s5, 0
	v_mul_lo_u32 v7, v1, s8
	s_add_u32 s2, s2, 8
	v_sub_u32_e32 v7, v5, v7
	s_addc_u32 s3, s3, 0
	s_add_i32 s6, s6, -1
	v_mad_u64_u32 v[22:23], s[8:9], v7, s11, v[22:23]
	s_cmp_lg_u32 s6, 0
	v_mov_b32_e32 v5, v1
	v_mad_u64_u32 v[20:21], s[8:9], v7, s10, v[20:21]
	v_mov_b32_e32 v1, v22
	s_cbranch_scc1 .LBB343_98
.LBB343_99:
	s_cbranch_execnz .LBB343_102
.LBB343_100:
	s_load_dwordx4 s[4:7], s[34:35], 0x4
	s_load_dwordx2 s[2:3], s[34:35], 0xc4
	s_cmp_lt_u32 s33, 2
	s_waitcnt lgkmcnt(0)
	v_mul_hi_u32 v1, s5, v3
	v_add_u32_e32 v1, v3, v1
	v_lshrrev_b32_e32 v1, s6, v1
	v_mul_lo_u32 v5, v1, s4
	v_sub_u32_e32 v3, v3, v5
	v_mul_lo_u32 v22, v3, s3
	v_mul_lo_u32 v20, v3, s2
	s_cbranch_scc1 .LBB343_102
; %bb.101:
	s_load_dwordx4 s[4:7], s[34:35], 0x10
	s_load_dwordx2 s[2:3], s[34:35], 0xcc
	s_waitcnt lgkmcnt(0)
	v_mul_hi_u32 v3, s5, v1
	v_add_u32_e32 v3, v1, v3
	v_lshrrev_b32_e32 v3, s6, v3
	v_mul_lo_u32 v3, v3, s4
	v_sub_u32_e32 v1, v1, v3
	v_mad_u64_u32 v[20:21], s[4:5], v1, s2, v[20:21]
	v_mad_u64_u32 v[22:23], s[2:3], v1, s3, v[22:23]
.LBB343_102:
	s_and_b64 vcc, exec, s[0:1]
	v_add_u32_e32 v3, 0x300, v24
	s_cbranch_vccnz .LBB343_108
; %bb.103:
	s_cmp_lg_u32 s33, 0
	s_mov_b32 s26, 0
	s_cbranch_scc0 .LBB343_109
; %bb.104:
	s_min_u32 s27, s54, 15
	s_add_i32 s27, s27, 1
	s_cmp_eq_u32 s54, 2
	s_cbranch_scc1 .LBB343_110
; %bb.105:
	s_and_b32 s26, s27, 28
	s_add_u32 s2, s34, 0xc4
	s_addc_u32 s3, s35, 0
	s_mov_b32 s28, 0
	v_mov_b32_e32 v24, 0
	v_mov_b32_e32 v26, 0
	s_mov_b64 s[24:25], s[34:35]
	v_mov_b32_e32 v5, v3
.LBB343_106:                            ; =>This Inner Loop Header: Depth=1
	s_load_dwordx8 s[12:19], s[24:25], 0x4
	s_load_dwordx4 s[20:23], s[24:25], 0x24
	s_load_dwordx8 s[4:11], s[2:3], 0x0
	s_add_u32 s24, s24, 48
	s_addc_u32 s25, s25, 0
	s_waitcnt lgkmcnt(0)
	v_mul_hi_u32 v1, s13, v5
	v_add_u32_e32 v1, v5, v1
	v_lshrrev_b32_e32 v1, s14, v1
	v_mul_lo_u32 v7, v1, s12
	v_mul_hi_u32 v9, s16, v1
	v_sub_u32_e32 v5, v5, v7
	v_add_u32_e32 v7, v1, v9
	v_lshrrev_b32_e32 v7, s17, v7
	v_mul_lo_u32 v11, v7, s15
	v_mul_hi_u32 v13, s19, v7
	v_sub_u32_e32 v1, v1, v11
	v_add_u32_e32 v11, v7, v13
	v_mul_lo_u32 v9, v5, s5
	v_mul_lo_u32 v5, v5, s4
	;; [unrolled: 1-line block ×4, first 2 shown]
	v_lshrrev_b32_e32 v11, s20, v11
	v_add3_u32 v1, v5, v24, v1
	v_add3_u32 v9, v9, v26, v13
	v_mul_lo_u32 v5, v11, s18
	v_mul_hi_u32 v13, s22, v11
	v_sub_u32_e32 v5, v7, v5
	v_add_u32_e32 v7, v11, v13
	v_mul_lo_u32 v13, v5, s8
	v_mul_lo_u32 v15, v5, s9
	v_lshrrev_b32_e32 v5, s23, v7
	s_add_i32 s28, s28, 4
	v_mul_lo_u32 v7, v5, s21
	s_add_u32 s2, s2, 32
	v_sub_u32_e32 v7, v11, v7
	s_addc_u32 s3, s3, 0
	v_mul_lo_u32 v11, v7, s10
	v_mul_lo_u32 v7, v7, s11
	s_cmp_lg_u32 s26, s28
	v_add3_u32 v26, v15, v9, v7
	v_add3_u32 v24, v13, v1, v11
	s_cbranch_scc1 .LBB343_106
; %bb.107:
	v_mov_b32_e32 v1, v26
	s_and_b32 s6, s27, 3
	s_cmp_eq_u32 s6, 0
	s_cbranch_scc0 .LBB343_111
	s_branch .LBB343_113
.LBB343_108:
                                        ; implicit-def: $vgpr26
                                        ; implicit-def: $vgpr24
	s_branch .LBB343_114
.LBB343_109:
	v_mov_b32_e32 v26, 0
	v_mov_b32_e32 v24, 0
	s_branch .LBB343_113
.LBB343_110:
	v_mov_b32_e32 v24, 0
                                        ; implicit-def: $vgpr26
	v_mov_b32_e32 v1, v24
	v_mov_b32_e32 v5, v3
	s_and_b32 s6, s27, 3
	s_cmp_eq_u32 s6, 0
	s_cbranch_scc1 .LBB343_113
.LBB343_111:
	s_lshl_b32 s2, s26, 3
	s_add_u32 s2, s34, s2
	s_addc_u32 s3, s35, 0
	s_add_u32 s2, s2, 0xc4
	s_addc_u32 s3, s3, 0
	s_mul_i32 s4, s26, 12
	s_add_u32 s4, s34, s4
	s_addc_u32 s5, s35, 0
.LBB343_112:                            ; =>This Inner Loop Header: Depth=1
	s_load_dwordx2 s[8:9], s[4:5], 0x4
	s_load_dword s7, s[4:5], 0xc
	s_load_dwordx2 s[10:11], s[2:3], 0x0
	v_mov_b32_e32 v26, v1
	s_add_u32 s4, s4, 12
	s_waitcnt lgkmcnt(0)
	v_mul_hi_u32 v1, s9, v5
	v_add_u32_e32 v1, v5, v1
	v_lshrrev_b32_e32 v1, s7, v1
	s_addc_u32 s5, s5, 0
	v_mul_lo_u32 v7, v1, s8
	s_add_u32 s2, s2, 8
	v_sub_u32_e32 v7, v5, v7
	s_addc_u32 s3, s3, 0
	s_add_i32 s6, s6, -1
	v_mad_u64_u32 v[26:27], s[8:9], v7, s11, v[26:27]
	s_cmp_lg_u32 s6, 0
	v_mov_b32_e32 v5, v1
	v_mad_u64_u32 v[24:25], s[8:9], v7, s10, v[24:25]
	v_mov_b32_e32 v1, v26
	s_cbranch_scc1 .LBB343_112
.LBB343_113:
	s_cbranch_execnz .LBB343_116
.LBB343_114:
	s_load_dwordx4 s[4:7], s[34:35], 0x4
	s_load_dwordx2 s[2:3], s[34:35], 0xc4
	s_cmp_lt_u32 s33, 2
	s_waitcnt lgkmcnt(0)
	v_mul_hi_u32 v1, s5, v3
	v_add_u32_e32 v1, v3, v1
	v_lshrrev_b32_e32 v1, s6, v1
	v_mul_lo_u32 v5, v1, s4
	v_sub_u32_e32 v3, v3, v5
	v_mul_lo_u32 v26, v3, s3
	v_mul_lo_u32 v24, v3, s2
	s_cbranch_scc1 .LBB343_116
; %bb.115:
	s_load_dwordx4 s[4:7], s[34:35], 0x10
	s_load_dwordx2 s[2:3], s[34:35], 0xcc
	s_waitcnt lgkmcnt(0)
	v_mul_hi_u32 v3, s5, v1
	v_add_u32_e32 v3, v1, v3
	v_lshrrev_b32_e32 v3, s6, v3
	v_mul_lo_u32 v3, v3, s4
	v_sub_u32_e32 v1, v1, v3
	v_mad_u64_u32 v[24:25], s[4:5], v1, s2, v[24:25]
	v_mad_u64_u32 v[26:27], s[2:3], v1, s3, v[26:27]
.LBB343_116:
	s_and_b64 vcc, exec, s[0:1]
	s_cbranch_vccnz .LBB343_122
; %bb.117:
	s_cmp_lg_u32 s33, 0
	s_mov_b32 s24, 0
	s_cbranch_scc0 .LBB343_123
; %bb.118:
	s_min_u32 s25, s54, 15
	s_add_i32 s25, s25, 1
	s_cmp_eq_u32 s54, 2
	s_cbranch_scc1 .LBB343_124
; %bb.119:
	s_and_b32 s24, s25, 28
	s_add_u32 s20, s34, 0xc4
	s_addc_u32 s21, s35, 0
	s_mov_b32 s26, 0
	v_mov_b32_e32 v28, 0
	v_mov_b32_e32 v30, 0
	s_mov_b64 s[22:23], s[34:35]
	v_mov_b32_e32 v3, v32
.LBB343_120:                            ; =>This Inner Loop Header: Depth=1
	s_load_dwordx8 s[8:15], s[22:23], 0x4
	s_load_dwordx4 s[16:19], s[22:23], 0x24
	s_load_dwordx8 s[0:7], s[20:21], 0x0
	s_add_u32 s22, s22, 48
	s_addc_u32 s23, s23, 0
	s_waitcnt lgkmcnt(0)
	v_mul_hi_u32 v1, s9, v3
	v_add_u32_e32 v1, v3, v1
	v_lshrrev_b32_e32 v1, s10, v1
	v_mul_lo_u32 v5, v1, s8
	v_mul_hi_u32 v7, s12, v1
	v_sub_u32_e32 v3, v3, v5
	v_add_u32_e32 v5, v1, v7
	v_lshrrev_b32_e32 v5, s13, v5
	v_mul_lo_u32 v9, v5, s11
	v_mul_hi_u32 v11, s15, v5
	v_sub_u32_e32 v1, v1, v9
	v_add_u32_e32 v9, v5, v11
	v_mul_lo_u32 v7, v3, s1
	v_mul_lo_u32 v3, v3, s0
	;; [unrolled: 1-line block ×4, first 2 shown]
	v_lshrrev_b32_e32 v9, s16, v9
	v_add3_u32 v1, v3, v28, v1
	v_add3_u32 v7, v7, v30, v11
	v_mul_lo_u32 v3, v9, s14
	v_mul_hi_u32 v11, s18, v9
	v_sub_u32_e32 v3, v5, v3
	v_add_u32_e32 v5, v9, v11
	v_mul_lo_u32 v11, v3, s4
	v_mul_lo_u32 v13, v3, s5
	v_lshrrev_b32_e32 v3, s19, v5
	s_add_i32 s26, s26, 4
	v_mul_lo_u32 v5, v3, s17
	s_add_u32 s20, s20, 32
	v_sub_u32_e32 v5, v9, v5
	s_addc_u32 s21, s21, 0
	v_mul_lo_u32 v9, v5, s6
	v_mul_lo_u32 v5, v5, s7
	s_cmp_lg_u32 s24, s26
	v_add3_u32 v30, v13, v7, v5
	v_add3_u32 v28, v11, v1, v9
	s_cbranch_scc1 .LBB343_120
; %bb.121:
	v_mov_b32_e32 v1, v30
	s_and_b32 s4, s25, 3
	s_cmp_eq_u32 s4, 0
	s_cbranch_scc0 .LBB343_125
	s_branch .LBB343_127
.LBB343_122:
                                        ; implicit-def: $vgpr30
                                        ; implicit-def: $vgpr28
	s_branch .LBB343_128
.LBB343_123:
	v_mov_b32_e32 v30, 0
	v_mov_b32_e32 v28, 0
	s_branch .LBB343_127
.LBB343_124:
	v_mov_b32_e32 v28, 0
                                        ; implicit-def: $vgpr30
	v_mov_b32_e32 v1, v28
	v_mov_b32_e32 v3, v32
	s_and_b32 s4, s25, 3
	s_cmp_eq_u32 s4, 0
	s_cbranch_scc1 .LBB343_127
.LBB343_125:
	s_lshl_b32 s0, s24, 3
	s_add_u32 s0, s34, s0
	s_addc_u32 s1, s35, 0
	s_add_u32 s0, s0, 0xc4
	s_addc_u32 s1, s1, 0
	s_mul_i32 s2, s24, 12
	s_add_u32 s2, s34, s2
	s_addc_u32 s3, s35, 0
.LBB343_126:                            ; =>This Inner Loop Header: Depth=1
	s_load_dwordx2 s[6:7], s[2:3], 0x4
	s_load_dword s5, s[2:3], 0xc
	s_load_dwordx2 s[8:9], s[0:1], 0x0
	v_mov_b32_e32 v30, v1
	s_add_u32 s2, s2, 12
	s_waitcnt lgkmcnt(0)
	v_mul_hi_u32 v1, s7, v3
	v_add_u32_e32 v1, v3, v1
	v_lshrrev_b32_e32 v1, s5, v1
	s_addc_u32 s3, s3, 0
	v_mul_lo_u32 v5, v1, s6
	s_add_u32 s0, s0, 8
	v_sub_u32_e32 v5, v3, v5
	s_addc_u32 s1, s1, 0
	s_add_i32 s4, s4, -1
	v_mad_u64_u32 v[30:31], s[6:7], v5, s9, v[30:31]
	s_cmp_lg_u32 s4, 0
	v_mov_b32_e32 v3, v1
	v_mad_u64_u32 v[28:29], s[6:7], v5, s8, v[28:29]
	v_mov_b32_e32 v1, v30
	s_cbranch_scc1 .LBB343_126
.LBB343_127:
	s_cbranch_execnz .LBB343_130
.LBB343_128:
	s_load_dwordx4 s[0:3], s[34:35], 0x4
	s_load_dwordx2 s[4:5], s[34:35], 0xc4
	s_cmp_lt_u32 s33, 2
	s_waitcnt lgkmcnt(0)
	v_mul_hi_u32 v1, s1, v32
	v_add_u32_e32 v1, v32, v1
	v_lshrrev_b32_e32 v1, s2, v1
	v_mul_lo_u32 v3, v1, s0
	v_sub_u32_e32 v3, v32, v3
	v_mul_lo_u32 v30, v3, s5
	v_mul_lo_u32 v28, v3, s4
	s_cbranch_scc1 .LBB343_130
; %bb.129:
	s_load_dwordx4 s[0:3], s[34:35], 0x10
	s_load_dwordx2 s[4:5], s[34:35], 0xcc
	s_waitcnt lgkmcnt(0)
	v_mul_hi_u32 v3, s1, v1
	v_add_u32_e32 v3, v1, v3
	v_lshrrev_b32_e32 v3, s2, v3
	v_mul_lo_u32 v3, v3, s0
	v_sub_u32_e32 v1, v1, v3
	v_mad_u64_u32 v[28:29], s[0:1], v1, s4, v[28:29]
	v_mad_u64_u32 v[30:31], s[0:1], v1, s5, v[30:31]
.LBB343_130:
	s_load_dwordx4 s[0:3], s[34:35], 0x148
	s_load_dword s6, s[34:35], 0x158
	s_waitcnt lgkmcnt(0)
	global_load_ushort v1, v2, s[2:3]
	s_lshr_b32 s7, s6, 16
	s_waitcnt vmcnt(0)
	v_lshlrev_b32_e32 v2, 16, v1
	v_cmp_o_f32_e32 vcc, v2, v2
	s_and_saveexec_b64 s[4:5], vcc
; %bb.131:
	s_lshl_b32 s8, s6, 16
	v_mov_b32_e32 v3, s6
	v_cmp_lt_f32_e32 vcc, s8, v2
	s_lshl_b32 s8, s7, 16
	s_nop 0
	v_cndmask_b32_e32 v1, v3, v1, vcc
	v_lshlrev_b32_e32 v2, 16, v1
	v_mov_b32_e32 v3, s7
	v_cmp_gt_f32_e32 vcc, s8, v2
	s_nop 1
	v_cndmask_b32_e32 v1, v3, v1, vcc
; %bb.132:
	s_or_b64 exec, exec, s[4:5]
	global_load_ushort v2, v6, s[2:3]
	s_waitcnt vmcnt(0)
	v_lshlrev_b32_e32 v3, 16, v2
	v_cmp_o_f32_e32 vcc, v3, v3
	s_and_saveexec_b64 s[4:5], vcc
; %bb.133:
	s_lshl_b32 s8, s6, 16
	v_mov_b32_e32 v5, s6
	v_cmp_lt_f32_e32 vcc, s8, v3
	s_lshl_b32 s8, s7, 16
	s_nop 0
	v_cndmask_b32_e32 v2, v5, v2, vcc
	v_lshlrev_b32_e32 v3, 16, v2
	v_mov_b32_e32 v5, s7
	v_cmp_gt_f32_e32 vcc, s8, v3
	s_nop 1
	v_cndmask_b32_e32 v2, v5, v2, vcc
; %bb.134:
	s_or_b64 exec, exec, s[4:5]
	global_load_ushort v3, v10, s[2:3]
	;; [unrolled: 19-line block ×7, first 2 shown]
	s_waitcnt vmcnt(0)
	v_lshlrev_b32_e32 v11, 16, v10
	v_cmp_o_f32_e32 vcc, v11, v11
	s_and_saveexec_b64 s[2:3], vcc
; %bb.145:
	s_lshl_b32 s4, s6, 16
	v_mov_b32_e32 v13, s6
	v_cmp_lt_f32_e32 vcc, s4, v11
	s_lshl_b32 s4, s7, 16
	s_nop 0
	v_cndmask_b32_e32 v10, v13, v10, vcc
	v_lshlrev_b32_e32 v11, 16, v10
	v_mov_b32_e32 v13, s7
	v_cmp_gt_f32_e32 vcc, s4, v11
	s_nop 1
	v_cndmask_b32_e32 v10, v13, v10, vcc
; %bb.146:
	s_or_b64 exec, exec, s[2:3]
	global_store_short v0, v1, s[0:1]
	global_store_short v4, v2, s[0:1]
	;; [unrolled: 1-line block ×8, first 2 shown]
	s_endpgm
.LBB343_147:
	v_mov_b32_e32 v2, 0
	v_mov_b32_e32 v0, 0
	s_branch .LBB343_153
.LBB343_148:
	v_mov_b32_e32 v2, 0
	v_mov_b32_e32 v0, 0
	s_branch .LBB343_172
.LBB343_149:
	v_mov_b32_e32 v0, 0
	s_mov_b32 s61, 0
	v_mov_b32_e32 v1, v0
                                        ; implicit-def: $vgpr2
	v_mov_b32_e32 v4, v24
.LBB343_150:
	s_and_b32 s4, s62, 3
	s_cmp_eq_u32 s4, 0
	s_cbranch_scc1 .LBB343_153
; %bb.151:
	s_lshl_b32 s0, s61, 3
	s_add_u32 s0, s34, s0
	s_addc_u32 s1, s35, 0
	s_add_u32 s0, s0, 0xc4
	s_addc_u32 s1, s1, 0
	s_mul_i32 s2, s61, 12
	s_add_u32 s2, s34, s2
	s_addc_u32 s3, s35, 0
.LBB343_152:                            ; =>This Inner Loop Header: Depth=1
	s_load_dwordx2 s[6:7], s[2:3], 0x4
	s_load_dword s5, s[2:3], 0xc
	s_load_dwordx2 s[8:9], s[0:1], 0x0
	v_mov_b32_e32 v2, v1
	s_add_u32 s2, s2, 12
	s_waitcnt lgkmcnt(0)
	v_mul_hi_u32 v1, s7, v4
	v_add_u32_e32 v1, v4, v1
	v_lshrrev_b32_e32 v1, s5, v1
	s_addc_u32 s3, s3, 0
	v_mul_lo_u32 v3, v1, s6
	s_add_u32 s0, s0, 8
	v_sub_u32_e32 v5, v4, v3
	s_addc_u32 s1, s1, 0
	s_add_i32 s4, s4, -1
	v_mov_b32_e32 v4, v1
	v_mad_u64_u32 v[2:3], s[6:7], v5, s9, v[2:3]
	v_mad_u64_u32 v[0:1], s[6:7], v5, s8, v[0:1]
	s_cmp_lg_u32 s4, 0
	v_mov_b32_e32 v1, v2
	s_cbranch_scc1 .LBB343_152
.LBB343_153:
	s_cbranch_execnz .LBB343_156
.LBB343_154:
	v_mul_hi_u32 v0, s21, v24
	v_add_u32_e32 v0, v24, v0
	v_lshrrev_b32_e32 v1, s22, v0
	v_mul_lo_u32 v0, v1, s20
	v_sub_u32_e32 v0, v24, v0
	v_mul_lo_u32 v2, v0, s25
	s_andn2_b64 vcc, exec, s[42:43]
	v_mul_lo_u32 v0, v0, s24
	s_cbranch_vccnz .LBB343_156
; %bb.155:
	v_mul_hi_u32 v3, s40, v1
	v_add_u32_e32 v3, v1, v3
	v_lshrrev_b32_e32 v3, s41, v3
	v_mul_lo_u32 v3, v3, s23
	v_sub_u32_e32 v3, v1, v3
	v_mad_u64_u32 v[0:1], s[0:1], v3, s26, v[0:1]
	v_mad_u64_u32 v[2:3], s[0:1], v3, s27, v[2:3]
.LBB343_156:
	global_load_ushort v1, v2, s[18:19]
	s_waitcnt vmcnt(0)
	v_lshlrev_b32_e32 v2, 16, v1
	v_cmp_o_f32_e32 vcc, v2, v2
	s_and_saveexec_b64 s[0:1], vcc
; %bb.157:
	v_mov_b32_e32 v3, s55
	v_cmp_lt_f32_e32 vcc, s58, v2
	s_nop 1
	v_cndmask_b32_e32 v1, v3, v1, vcc
	v_lshlrev_b32_e32 v2, 16, v1
	v_mov_b32_e32 v3, s56
	v_cmp_gt_f32_e32 vcc, s57, v2
	s_nop 1
	v_cndmask_b32_e32 v1, v3, v1, vcc
; %bb.158:
	s_or_b64 exec, exec, s[0:1]
	v_add_u32_e32 v24, 0x80, v24
	global_store_short v0, v1, s[16:17]
	s_or_b64 exec, exec, s[48:49]
	v_cmp_gt_i32_e32 vcc, s59, v24
	s_and_saveexec_b64 s[48:49], vcc
	s_cbranch_execnz .LBB343_16
.LBB343_159:
	s_or_b64 exec, exec, s[48:49]
	v_cmp_gt_i32_e32 vcc, s59, v24
	s_and_saveexec_b64 s[48:49], vcc
	s_cbranch_execz .LBB343_178
.LBB343_160:
	s_andn2_b64 vcc, exec, s[36:37]
	s_cbranch_vccnz .LBB343_166
; %bb.161:
	s_andn2_b64 vcc, exec, s[46:47]
	s_cbranch_vccnz .LBB343_167
; %bb.162:
	s_add_i32 s62, s60, 1
	s_cmp_eq_u32 s54, 2
	s_cbranch_scc1 .LBB343_187
; %bb.163:
	s_and_b32 s61, s62, 28
	s_mov_b32 s63, 0
	v_mov_b32_e32 v0, 0
	v_mov_b32_e32 v2, 0
	s_mov_b64 s[50:51], s[34:35]
	s_mov_b64 s[52:53], s[44:45]
	v_mov_b32_e32 v4, v24
.LBB343_164:                            ; =>This Inner Loop Header: Depth=1
	s_load_dwordx8 s[8:15], s[50:51], 0x4
	s_load_dwordx4 s[28:31], s[50:51], 0x24
	s_load_dwordx8 s[0:7], s[52:53], 0x0
	s_add_u32 s50, s50, 48
	s_addc_u32 s51, s51, 0
	s_waitcnt lgkmcnt(0)
	v_mul_hi_u32 v1, s9, v4
	v_add_u32_e32 v1, v4, v1
	v_lshrrev_b32_e32 v1, s10, v1
	v_mul_lo_u32 v3, v1, s8
	v_mul_hi_u32 v5, s12, v1
	v_sub_u32_e32 v3, v4, v3
	v_add_u32_e32 v4, v1, v5
	v_lshrrev_b32_e32 v4, s13, v4
	v_mul_lo_u32 v6, v4, s11
	v_mul_hi_u32 v7, s15, v4
	v_sub_u32_e32 v1, v1, v6
	v_add_u32_e32 v6, v4, v7
	v_mul_lo_u32 v5, v3, s1
	v_mul_lo_u32 v3, v3, s0
	;; [unrolled: 1-line block ×4, first 2 shown]
	v_lshrrev_b32_e32 v6, s28, v6
	v_add3_u32 v0, v3, v0, v1
	v_mul_hi_u32 v3, s30, v6
	v_add3_u32 v1, v5, v2, v7
	v_mul_lo_u32 v2, v6, s14
	v_add_u32_e32 v3, v6, v3
	v_sub_u32_e32 v2, v4, v2
	v_lshrrev_b32_e32 v4, s31, v3
	s_add_i32 s63, s63, 4
	v_mul_lo_u32 v3, v4, s29
	s_add_u32 s52, s52, 32
	v_sub_u32_e32 v3, v6, v3
	s_addc_u32 s53, s53, 0
	v_mul_lo_u32 v5, v2, s4
	v_mul_lo_u32 v2, v2, s5
	v_mul_lo_u32 v6, v3, s6
	v_mul_lo_u32 v3, v3, s7
	s_cmp_eq_u32 s61, s63
	v_add3_u32 v2, v2, v1, v3
	v_add3_u32 v0, v5, v0, v6
	s_cbranch_scc0 .LBB343_164
; %bb.165:
	v_mov_b32_e32 v1, v2
	s_branch .LBB343_188
.LBB343_166:
                                        ; implicit-def: $vgpr2
                                        ; implicit-def: $vgpr0
	s_branch .LBB343_192
.LBB343_167:
	v_mov_b32_e32 v2, 0
	v_mov_b32_e32 v0, 0
	s_branch .LBB343_191
.LBB343_168:
	v_mov_b32_e32 v0, 0
	s_mov_b32 s61, 0
	v_mov_b32_e32 v1, v0
                                        ; implicit-def: $vgpr2
	v_mov_b32_e32 v4, v24
.LBB343_169:
	s_and_b32 s4, s62, 3
	s_cmp_eq_u32 s4, 0
	s_cbranch_scc1 .LBB343_172
; %bb.170:
	s_lshl_b32 s0, s61, 3
	s_add_u32 s0, s34, s0
	s_addc_u32 s1, s35, 0
	s_add_u32 s0, s0, 0xc4
	s_addc_u32 s1, s1, 0
	s_mul_i32 s2, s61, 12
	s_add_u32 s2, s34, s2
	s_addc_u32 s3, s35, 0
.LBB343_171:                            ; =>This Inner Loop Header: Depth=1
	s_load_dwordx2 s[6:7], s[2:3], 0x4
	s_load_dword s5, s[2:3], 0xc
	s_load_dwordx2 s[8:9], s[0:1], 0x0
	v_mov_b32_e32 v2, v1
	s_add_u32 s2, s2, 12
	s_waitcnt lgkmcnt(0)
	v_mul_hi_u32 v1, s7, v4
	v_add_u32_e32 v1, v4, v1
	v_lshrrev_b32_e32 v1, s5, v1
	s_addc_u32 s3, s3, 0
	v_mul_lo_u32 v3, v1, s6
	s_add_u32 s0, s0, 8
	v_sub_u32_e32 v5, v4, v3
	s_addc_u32 s1, s1, 0
	s_add_i32 s4, s4, -1
	v_mov_b32_e32 v4, v1
	v_mad_u64_u32 v[2:3], s[6:7], v5, s9, v[2:3]
	v_mad_u64_u32 v[0:1], s[6:7], v5, s8, v[0:1]
	s_cmp_lg_u32 s4, 0
	v_mov_b32_e32 v1, v2
	s_cbranch_scc1 .LBB343_171
.LBB343_172:
	s_cbranch_execnz .LBB343_175
.LBB343_173:
	v_mul_hi_u32 v0, s21, v24
	v_add_u32_e32 v0, v24, v0
	v_lshrrev_b32_e32 v1, s22, v0
	v_mul_lo_u32 v0, v1, s20
	v_sub_u32_e32 v0, v24, v0
	v_mul_lo_u32 v2, v0, s25
	s_andn2_b64 vcc, exec, s[42:43]
	v_mul_lo_u32 v0, v0, s24
	s_cbranch_vccnz .LBB343_175
; %bb.174:
	v_mul_hi_u32 v3, s40, v1
	v_add_u32_e32 v3, v1, v3
	v_lshrrev_b32_e32 v3, s41, v3
	v_mul_lo_u32 v3, v3, s23
	v_sub_u32_e32 v3, v1, v3
	v_mad_u64_u32 v[0:1], s[0:1], v3, s26, v[0:1]
	v_mad_u64_u32 v[2:3], s[0:1], v3, s27, v[2:3]
.LBB343_175:
	global_load_ushort v1, v2, s[18:19]
	s_waitcnt vmcnt(0)
	v_lshlrev_b32_e32 v2, 16, v1
	v_cmp_o_f32_e32 vcc, v2, v2
	s_and_saveexec_b64 s[0:1], vcc
; %bb.176:
	v_mov_b32_e32 v3, s55
	v_cmp_lt_f32_e32 vcc, s58, v2
	s_nop 1
	v_cndmask_b32_e32 v1, v3, v1, vcc
	v_lshlrev_b32_e32 v2, 16, v1
	v_mov_b32_e32 v3, s56
	v_cmp_gt_f32_e32 vcc, s57, v2
	s_nop 1
	v_cndmask_b32_e32 v1, v3, v1, vcc
; %bb.177:
	s_or_b64 exec, exec, s[0:1]
	v_add_u32_e32 v24, 0x80, v24
	global_store_short v0, v1, s[16:17]
	s_or_b64 exec, exec, s[48:49]
	v_cmp_gt_i32_e32 vcc, s59, v24
	s_and_saveexec_b64 s[48:49], vcc
	s_cbranch_execnz .LBB343_160
.LBB343_178:
	s_or_b64 exec, exec, s[48:49]
	v_cmp_gt_i32_e32 vcc, s59, v24
	s_and_saveexec_b64 s[48:49], vcc
	s_cbranch_execz .LBB343_197
.LBB343_179:
	s_andn2_b64 vcc, exec, s[36:37]
	s_cbranch_vccnz .LBB343_185
; %bb.180:
	s_andn2_b64 vcc, exec, s[46:47]
	s_cbranch_vccnz .LBB343_186
; %bb.181:
	s_add_i32 s62, s60, 1
	s_cmp_eq_u32 s54, 2
	s_cbranch_scc1 .LBB343_206
; %bb.182:
	s_and_b32 s61, s62, 28
	s_mov_b32 s63, 0
	v_mov_b32_e32 v0, 0
	v_mov_b32_e32 v2, 0
	s_mov_b64 s[50:51], s[34:35]
	s_mov_b64 s[52:53], s[44:45]
	v_mov_b32_e32 v4, v24
.LBB343_183:                            ; =>This Inner Loop Header: Depth=1
	s_load_dwordx8 s[8:15], s[50:51], 0x4
	s_load_dwordx4 s[28:31], s[50:51], 0x24
	s_load_dwordx8 s[0:7], s[52:53], 0x0
	s_add_u32 s50, s50, 48
	s_addc_u32 s51, s51, 0
	s_waitcnt lgkmcnt(0)
	v_mul_hi_u32 v1, s9, v4
	v_add_u32_e32 v1, v4, v1
	v_lshrrev_b32_e32 v1, s10, v1
	v_mul_lo_u32 v3, v1, s8
	v_mul_hi_u32 v5, s12, v1
	v_sub_u32_e32 v3, v4, v3
	v_add_u32_e32 v4, v1, v5
	v_lshrrev_b32_e32 v4, s13, v4
	v_mul_lo_u32 v6, v4, s11
	v_mul_hi_u32 v7, s15, v4
	v_sub_u32_e32 v1, v1, v6
	v_add_u32_e32 v6, v4, v7
	v_mul_lo_u32 v5, v3, s1
	v_mul_lo_u32 v3, v3, s0
	;; [unrolled: 1-line block ×4, first 2 shown]
	v_lshrrev_b32_e32 v6, s28, v6
	v_add3_u32 v0, v3, v0, v1
	v_mul_hi_u32 v3, s30, v6
	v_add3_u32 v1, v5, v2, v7
	v_mul_lo_u32 v2, v6, s14
	v_add_u32_e32 v3, v6, v3
	v_sub_u32_e32 v2, v4, v2
	v_lshrrev_b32_e32 v4, s31, v3
	s_add_i32 s63, s63, 4
	v_mul_lo_u32 v3, v4, s29
	s_add_u32 s52, s52, 32
	v_sub_u32_e32 v3, v6, v3
	s_addc_u32 s53, s53, 0
	v_mul_lo_u32 v5, v2, s4
	v_mul_lo_u32 v2, v2, s5
	;; [unrolled: 1-line block ×4, first 2 shown]
	s_cmp_eq_u32 s61, s63
	v_add3_u32 v2, v2, v1, v3
	v_add3_u32 v0, v5, v0, v6
	s_cbranch_scc0 .LBB343_183
; %bb.184:
	v_mov_b32_e32 v1, v2
	s_branch .LBB343_207
.LBB343_185:
                                        ; implicit-def: $vgpr2
                                        ; implicit-def: $vgpr0
	s_branch .LBB343_211
.LBB343_186:
	v_mov_b32_e32 v2, 0
	v_mov_b32_e32 v0, 0
	s_branch .LBB343_210
.LBB343_187:
	v_mov_b32_e32 v0, 0
	s_mov_b32 s61, 0
	v_mov_b32_e32 v1, v0
                                        ; implicit-def: $vgpr2
	v_mov_b32_e32 v4, v24
.LBB343_188:
	s_and_b32 s4, s62, 3
	s_cmp_eq_u32 s4, 0
	s_cbranch_scc1 .LBB343_191
; %bb.189:
	s_lshl_b32 s0, s61, 3
	s_add_u32 s0, s34, s0
	s_addc_u32 s1, s35, 0
	s_add_u32 s0, s0, 0xc4
	s_addc_u32 s1, s1, 0
	s_mul_i32 s2, s61, 12
	s_add_u32 s2, s34, s2
	s_addc_u32 s3, s35, 0
.LBB343_190:                            ; =>This Inner Loop Header: Depth=1
	s_load_dwordx2 s[6:7], s[2:3], 0x4
	s_load_dword s5, s[2:3], 0xc
	s_load_dwordx2 s[8:9], s[0:1], 0x0
	v_mov_b32_e32 v2, v1
	s_add_u32 s2, s2, 12
	s_waitcnt lgkmcnt(0)
	v_mul_hi_u32 v1, s7, v4
	v_add_u32_e32 v1, v4, v1
	v_lshrrev_b32_e32 v1, s5, v1
	s_addc_u32 s3, s3, 0
	v_mul_lo_u32 v3, v1, s6
	s_add_u32 s0, s0, 8
	v_sub_u32_e32 v5, v4, v3
	s_addc_u32 s1, s1, 0
	s_add_i32 s4, s4, -1
	v_mov_b32_e32 v4, v1
	v_mad_u64_u32 v[2:3], s[6:7], v5, s9, v[2:3]
	v_mad_u64_u32 v[0:1], s[6:7], v5, s8, v[0:1]
	s_cmp_lg_u32 s4, 0
	v_mov_b32_e32 v1, v2
	s_cbranch_scc1 .LBB343_190
.LBB343_191:
	s_cbranch_execnz .LBB343_194
.LBB343_192:
	v_mul_hi_u32 v0, s21, v24
	v_add_u32_e32 v0, v24, v0
	v_lshrrev_b32_e32 v1, s22, v0
	v_mul_lo_u32 v0, v1, s20
	v_sub_u32_e32 v0, v24, v0
	v_mul_lo_u32 v2, v0, s25
	s_andn2_b64 vcc, exec, s[42:43]
	v_mul_lo_u32 v0, v0, s24
	s_cbranch_vccnz .LBB343_194
; %bb.193:
	v_mul_hi_u32 v3, s40, v1
	v_add_u32_e32 v3, v1, v3
	v_lshrrev_b32_e32 v3, s41, v3
	v_mul_lo_u32 v3, v3, s23
	v_sub_u32_e32 v3, v1, v3
	v_mad_u64_u32 v[0:1], s[0:1], v3, s26, v[0:1]
	v_mad_u64_u32 v[2:3], s[0:1], v3, s27, v[2:3]
.LBB343_194:
	global_load_ushort v1, v2, s[18:19]
	s_waitcnt vmcnt(0)
	v_lshlrev_b32_e32 v2, 16, v1
	v_cmp_o_f32_e32 vcc, v2, v2
	s_and_saveexec_b64 s[0:1], vcc
; %bb.195:
	v_mov_b32_e32 v3, s55
	v_cmp_lt_f32_e32 vcc, s58, v2
	s_nop 1
	v_cndmask_b32_e32 v1, v3, v1, vcc
	v_lshlrev_b32_e32 v2, 16, v1
	v_mov_b32_e32 v3, s56
	v_cmp_gt_f32_e32 vcc, s57, v2
	s_nop 1
	v_cndmask_b32_e32 v1, v3, v1, vcc
; %bb.196:
	s_or_b64 exec, exec, s[0:1]
	v_add_u32_e32 v24, 0x80, v24
	global_store_short v0, v1, s[16:17]
	s_or_b64 exec, exec, s[48:49]
	v_cmp_gt_i32_e32 vcc, s59, v24
	s_and_saveexec_b64 s[48:49], vcc
	s_cbranch_execnz .LBB343_179
.LBB343_197:
	s_or_b64 exec, exec, s[48:49]
	v_cmp_gt_i32_e32 vcc, s59, v24
	s_and_saveexec_b64 s[48:49], vcc
	s_cbranch_execz .LBB343_216
.LBB343_198:
	s_andn2_b64 vcc, exec, s[36:37]
	s_cbranch_vccnz .LBB343_204
; %bb.199:
	s_andn2_b64 vcc, exec, s[46:47]
	s_cbranch_vccnz .LBB343_205
; %bb.200:
	s_add_i32 s62, s60, 1
	s_cmp_eq_u32 s54, 2
	s_cbranch_scc1 .LBB343_225
; %bb.201:
	s_and_b32 s61, s62, 28
	s_mov_b32 s63, 0
	v_mov_b32_e32 v0, 0
	v_mov_b32_e32 v2, 0
	s_mov_b64 s[50:51], s[34:35]
	s_mov_b64 s[52:53], s[44:45]
	v_mov_b32_e32 v4, v24
.LBB343_202:                            ; =>This Inner Loop Header: Depth=1
	s_load_dwordx8 s[8:15], s[50:51], 0x4
	s_load_dwordx4 s[28:31], s[50:51], 0x24
	s_load_dwordx8 s[0:7], s[52:53], 0x0
	s_add_u32 s50, s50, 48
	s_addc_u32 s51, s51, 0
	s_waitcnt lgkmcnt(0)
	v_mul_hi_u32 v1, s9, v4
	v_add_u32_e32 v1, v4, v1
	v_lshrrev_b32_e32 v1, s10, v1
	v_mul_lo_u32 v3, v1, s8
	v_mul_hi_u32 v5, s12, v1
	v_sub_u32_e32 v3, v4, v3
	v_add_u32_e32 v4, v1, v5
	v_lshrrev_b32_e32 v4, s13, v4
	v_mul_lo_u32 v6, v4, s11
	v_mul_hi_u32 v7, s15, v4
	v_sub_u32_e32 v1, v1, v6
	v_add_u32_e32 v6, v4, v7
	v_mul_lo_u32 v5, v3, s1
	v_mul_lo_u32 v3, v3, s0
	;; [unrolled: 1-line block ×4, first 2 shown]
	v_lshrrev_b32_e32 v6, s28, v6
	v_add3_u32 v0, v3, v0, v1
	v_mul_hi_u32 v3, s30, v6
	v_add3_u32 v1, v5, v2, v7
	v_mul_lo_u32 v2, v6, s14
	v_add_u32_e32 v3, v6, v3
	v_sub_u32_e32 v2, v4, v2
	v_lshrrev_b32_e32 v4, s31, v3
	s_add_i32 s63, s63, 4
	v_mul_lo_u32 v3, v4, s29
	s_add_u32 s52, s52, 32
	v_sub_u32_e32 v3, v6, v3
	s_addc_u32 s53, s53, 0
	v_mul_lo_u32 v5, v2, s4
	v_mul_lo_u32 v2, v2, s5
	;; [unrolled: 1-line block ×4, first 2 shown]
	s_cmp_eq_u32 s61, s63
	v_add3_u32 v2, v2, v1, v3
	v_add3_u32 v0, v5, v0, v6
	s_cbranch_scc0 .LBB343_202
; %bb.203:
	v_mov_b32_e32 v1, v2
	s_branch .LBB343_226
.LBB343_204:
                                        ; implicit-def: $vgpr2
                                        ; implicit-def: $vgpr0
	s_branch .LBB343_230
.LBB343_205:
	v_mov_b32_e32 v2, 0
	v_mov_b32_e32 v0, 0
	s_branch .LBB343_229
.LBB343_206:
	v_mov_b32_e32 v0, 0
	s_mov_b32 s61, 0
	v_mov_b32_e32 v1, v0
                                        ; implicit-def: $vgpr2
	v_mov_b32_e32 v4, v24
.LBB343_207:
	s_and_b32 s4, s62, 3
	s_cmp_eq_u32 s4, 0
	s_cbranch_scc1 .LBB343_210
; %bb.208:
	s_lshl_b32 s0, s61, 3
	s_add_u32 s0, s34, s0
	s_addc_u32 s1, s35, 0
	s_add_u32 s0, s0, 0xc4
	s_addc_u32 s1, s1, 0
	s_mul_i32 s2, s61, 12
	s_add_u32 s2, s34, s2
	s_addc_u32 s3, s35, 0
.LBB343_209:                            ; =>This Inner Loop Header: Depth=1
	s_load_dwordx2 s[6:7], s[2:3], 0x4
	s_load_dword s5, s[2:3], 0xc
	s_load_dwordx2 s[8:9], s[0:1], 0x0
	v_mov_b32_e32 v2, v1
	s_add_u32 s2, s2, 12
	s_waitcnt lgkmcnt(0)
	v_mul_hi_u32 v1, s7, v4
	v_add_u32_e32 v1, v4, v1
	v_lshrrev_b32_e32 v1, s5, v1
	s_addc_u32 s3, s3, 0
	v_mul_lo_u32 v3, v1, s6
	s_add_u32 s0, s0, 8
	v_sub_u32_e32 v5, v4, v3
	s_addc_u32 s1, s1, 0
	s_add_i32 s4, s4, -1
	v_mov_b32_e32 v4, v1
	v_mad_u64_u32 v[2:3], s[6:7], v5, s9, v[2:3]
	v_mad_u64_u32 v[0:1], s[6:7], v5, s8, v[0:1]
	s_cmp_lg_u32 s4, 0
	v_mov_b32_e32 v1, v2
	s_cbranch_scc1 .LBB343_209
.LBB343_210:
	s_cbranch_execnz .LBB343_213
.LBB343_211:
	v_mul_hi_u32 v0, s21, v24
	v_add_u32_e32 v0, v24, v0
	v_lshrrev_b32_e32 v1, s22, v0
	v_mul_lo_u32 v0, v1, s20
	v_sub_u32_e32 v0, v24, v0
	v_mul_lo_u32 v2, v0, s25
	s_andn2_b64 vcc, exec, s[42:43]
	v_mul_lo_u32 v0, v0, s24
	s_cbranch_vccnz .LBB343_213
; %bb.212:
	v_mul_hi_u32 v3, s40, v1
	v_add_u32_e32 v3, v1, v3
	v_lshrrev_b32_e32 v3, s41, v3
	v_mul_lo_u32 v3, v3, s23
	v_sub_u32_e32 v3, v1, v3
	v_mad_u64_u32 v[0:1], s[0:1], v3, s26, v[0:1]
	v_mad_u64_u32 v[2:3], s[0:1], v3, s27, v[2:3]
.LBB343_213:
	global_load_ushort v1, v2, s[18:19]
	s_waitcnt vmcnt(0)
	v_lshlrev_b32_e32 v2, 16, v1
	v_cmp_o_f32_e32 vcc, v2, v2
	s_and_saveexec_b64 s[0:1], vcc
; %bb.214:
	v_mov_b32_e32 v3, s55
	v_cmp_lt_f32_e32 vcc, s58, v2
	s_nop 1
	v_cndmask_b32_e32 v1, v3, v1, vcc
	v_lshlrev_b32_e32 v2, 16, v1
	v_mov_b32_e32 v3, s56
	v_cmp_gt_f32_e32 vcc, s57, v2
	s_nop 1
	v_cndmask_b32_e32 v1, v3, v1, vcc
; %bb.215:
	s_or_b64 exec, exec, s[0:1]
	v_add_u32_e32 v24, 0x80, v24
	global_store_short v0, v1, s[16:17]
	s_or_b64 exec, exec, s[48:49]
	v_cmp_gt_i32_e32 vcc, s59, v24
	s_and_saveexec_b64 s[48:49], vcc
	s_cbranch_execnz .LBB343_198
.LBB343_216:
	s_or_b64 exec, exec, s[48:49]
	v_cmp_gt_i32_e32 vcc, s59, v24
	s_and_saveexec_b64 s[48:49], vcc
	s_cbranch_execz .LBB343_235
.LBB343_217:
	s_andn2_b64 vcc, exec, s[36:37]
	s_cbranch_vccnz .LBB343_223
; %bb.218:
	s_andn2_b64 vcc, exec, s[46:47]
	s_cbranch_vccnz .LBB343_224
; %bb.219:
	s_add_i32 s62, s60, 1
	s_cmp_eq_u32 s54, 2
	s_cbranch_scc1 .LBB343_244
; %bb.220:
	s_and_b32 s61, s62, 28
	s_mov_b32 s63, 0
	v_mov_b32_e32 v0, 0
	v_mov_b32_e32 v2, 0
	s_mov_b64 s[50:51], s[34:35]
	s_mov_b64 s[52:53], s[44:45]
	v_mov_b32_e32 v4, v24
.LBB343_221:                            ; =>This Inner Loop Header: Depth=1
	s_load_dwordx8 s[8:15], s[50:51], 0x4
	s_load_dwordx4 s[28:31], s[50:51], 0x24
	s_load_dwordx8 s[0:7], s[52:53], 0x0
	s_add_u32 s50, s50, 48
	s_addc_u32 s51, s51, 0
	s_waitcnt lgkmcnt(0)
	v_mul_hi_u32 v1, s9, v4
	v_add_u32_e32 v1, v4, v1
	v_lshrrev_b32_e32 v1, s10, v1
	v_mul_lo_u32 v3, v1, s8
	v_mul_hi_u32 v5, s12, v1
	v_sub_u32_e32 v3, v4, v3
	v_add_u32_e32 v4, v1, v5
	v_lshrrev_b32_e32 v4, s13, v4
	v_mul_lo_u32 v6, v4, s11
	v_mul_hi_u32 v7, s15, v4
	v_sub_u32_e32 v1, v1, v6
	v_add_u32_e32 v6, v4, v7
	v_mul_lo_u32 v5, v3, s1
	v_mul_lo_u32 v3, v3, s0
	;; [unrolled: 1-line block ×4, first 2 shown]
	v_lshrrev_b32_e32 v6, s28, v6
	v_add3_u32 v0, v3, v0, v1
	v_mul_hi_u32 v3, s30, v6
	v_add3_u32 v1, v5, v2, v7
	v_mul_lo_u32 v2, v6, s14
	v_add_u32_e32 v3, v6, v3
	v_sub_u32_e32 v2, v4, v2
	v_lshrrev_b32_e32 v4, s31, v3
	s_add_i32 s63, s63, 4
	v_mul_lo_u32 v3, v4, s29
	s_add_u32 s52, s52, 32
	v_sub_u32_e32 v3, v6, v3
	s_addc_u32 s53, s53, 0
	v_mul_lo_u32 v5, v2, s4
	v_mul_lo_u32 v2, v2, s5
	;; [unrolled: 1-line block ×4, first 2 shown]
	s_cmp_eq_u32 s61, s63
	v_add3_u32 v2, v2, v1, v3
	v_add3_u32 v0, v5, v0, v6
	s_cbranch_scc0 .LBB343_221
; %bb.222:
	v_mov_b32_e32 v1, v2
	s_branch .LBB343_245
.LBB343_223:
                                        ; implicit-def: $vgpr2
                                        ; implicit-def: $vgpr0
	s_branch .LBB343_249
.LBB343_224:
	v_mov_b32_e32 v2, 0
	v_mov_b32_e32 v0, 0
	s_branch .LBB343_248
.LBB343_225:
	v_mov_b32_e32 v0, 0
	s_mov_b32 s61, 0
	v_mov_b32_e32 v1, v0
                                        ; implicit-def: $vgpr2
	v_mov_b32_e32 v4, v24
.LBB343_226:
	s_and_b32 s4, s62, 3
	s_cmp_eq_u32 s4, 0
	s_cbranch_scc1 .LBB343_229
; %bb.227:
	s_lshl_b32 s0, s61, 3
	s_add_u32 s0, s34, s0
	s_addc_u32 s1, s35, 0
	s_add_u32 s0, s0, 0xc4
	s_addc_u32 s1, s1, 0
	s_mul_i32 s2, s61, 12
	s_add_u32 s2, s34, s2
	s_addc_u32 s3, s35, 0
.LBB343_228:                            ; =>This Inner Loop Header: Depth=1
	s_load_dwordx2 s[6:7], s[2:3], 0x4
	s_load_dword s5, s[2:3], 0xc
	s_load_dwordx2 s[8:9], s[0:1], 0x0
	v_mov_b32_e32 v2, v1
	s_add_u32 s2, s2, 12
	s_waitcnt lgkmcnt(0)
	v_mul_hi_u32 v1, s7, v4
	v_add_u32_e32 v1, v4, v1
	v_lshrrev_b32_e32 v1, s5, v1
	s_addc_u32 s3, s3, 0
	v_mul_lo_u32 v3, v1, s6
	s_add_u32 s0, s0, 8
	v_sub_u32_e32 v5, v4, v3
	s_addc_u32 s1, s1, 0
	s_add_i32 s4, s4, -1
	v_mov_b32_e32 v4, v1
	v_mad_u64_u32 v[2:3], s[6:7], v5, s9, v[2:3]
	v_mad_u64_u32 v[0:1], s[6:7], v5, s8, v[0:1]
	s_cmp_lg_u32 s4, 0
	v_mov_b32_e32 v1, v2
	s_cbranch_scc1 .LBB343_228
.LBB343_229:
	s_cbranch_execnz .LBB343_232
.LBB343_230:
	v_mul_hi_u32 v0, s21, v24
	v_add_u32_e32 v0, v24, v0
	v_lshrrev_b32_e32 v1, s22, v0
	v_mul_lo_u32 v0, v1, s20
	v_sub_u32_e32 v0, v24, v0
	v_mul_lo_u32 v2, v0, s25
	s_andn2_b64 vcc, exec, s[42:43]
	v_mul_lo_u32 v0, v0, s24
	s_cbranch_vccnz .LBB343_232
; %bb.231:
	v_mul_hi_u32 v3, s40, v1
	v_add_u32_e32 v3, v1, v3
	v_lshrrev_b32_e32 v3, s41, v3
	v_mul_lo_u32 v3, v3, s23
	v_sub_u32_e32 v3, v1, v3
	v_mad_u64_u32 v[0:1], s[0:1], v3, s26, v[0:1]
	v_mad_u64_u32 v[2:3], s[0:1], v3, s27, v[2:3]
.LBB343_232:
	global_load_ushort v1, v2, s[18:19]
	s_waitcnt vmcnt(0)
	v_lshlrev_b32_e32 v2, 16, v1
	v_cmp_o_f32_e32 vcc, v2, v2
	s_and_saveexec_b64 s[0:1], vcc
; %bb.233:
	v_mov_b32_e32 v3, s55
	v_cmp_lt_f32_e32 vcc, s58, v2
	s_nop 1
	v_cndmask_b32_e32 v1, v3, v1, vcc
	v_lshlrev_b32_e32 v2, 16, v1
	v_mov_b32_e32 v3, s56
	v_cmp_gt_f32_e32 vcc, s57, v2
	s_nop 1
	v_cndmask_b32_e32 v1, v3, v1, vcc
; %bb.234:
	s_or_b64 exec, exec, s[0:1]
	v_add_u32_e32 v24, 0x80, v24
	global_store_short v0, v1, s[16:17]
	s_or_b64 exec, exec, s[48:49]
	v_cmp_gt_i32_e32 vcc, s59, v24
	s_and_saveexec_b64 s[48:49], vcc
	s_cbranch_execnz .LBB343_217
.LBB343_235:
	s_or_b64 exec, exec, s[48:49]
	v_cmp_gt_i32_e32 vcc, s59, v24
	s_and_saveexec_b64 s[48:49], vcc
	s_cbranch_execz .LBB343_254
.LBB343_236:
	s_andn2_b64 vcc, exec, s[36:37]
	s_cbranch_vccnz .LBB343_242
; %bb.237:
	s_andn2_b64 vcc, exec, s[46:47]
	s_cbranch_vccnz .LBB343_243
; %bb.238:
	s_add_i32 s62, s60, 1
	s_cmp_eq_u32 s54, 2
	s_cbranch_scc1 .LBB343_257
; %bb.239:
	s_and_b32 s61, s62, 28
	s_mov_b32 s63, 0
	v_mov_b32_e32 v0, 0
	v_mov_b32_e32 v2, 0
	s_mov_b64 s[50:51], s[34:35]
	s_mov_b64 s[52:53], s[44:45]
	v_mov_b32_e32 v4, v24
.LBB343_240:                            ; =>This Inner Loop Header: Depth=1
	s_load_dwordx8 s[8:15], s[50:51], 0x4
	s_load_dwordx4 s[28:31], s[50:51], 0x24
	s_load_dwordx8 s[0:7], s[52:53], 0x0
	s_add_u32 s50, s50, 48
	s_addc_u32 s51, s51, 0
	s_waitcnt lgkmcnt(0)
	v_mul_hi_u32 v1, s9, v4
	v_add_u32_e32 v1, v4, v1
	v_lshrrev_b32_e32 v1, s10, v1
	v_mul_lo_u32 v3, v1, s8
	v_mul_hi_u32 v5, s12, v1
	v_sub_u32_e32 v3, v4, v3
	v_add_u32_e32 v4, v1, v5
	v_lshrrev_b32_e32 v4, s13, v4
	v_mul_lo_u32 v6, v4, s11
	v_mul_hi_u32 v7, s15, v4
	v_sub_u32_e32 v1, v1, v6
	v_add_u32_e32 v6, v4, v7
	v_mul_lo_u32 v5, v3, s1
	v_mul_lo_u32 v3, v3, s0
	;; [unrolled: 1-line block ×4, first 2 shown]
	v_lshrrev_b32_e32 v6, s28, v6
	v_add3_u32 v0, v3, v0, v1
	v_mul_hi_u32 v3, s30, v6
	v_add3_u32 v1, v5, v2, v7
	v_mul_lo_u32 v2, v6, s14
	v_add_u32_e32 v3, v6, v3
	v_sub_u32_e32 v2, v4, v2
	v_lshrrev_b32_e32 v4, s31, v3
	s_add_i32 s63, s63, 4
	v_mul_lo_u32 v3, v4, s29
	s_add_u32 s52, s52, 32
	v_sub_u32_e32 v3, v6, v3
	s_addc_u32 s53, s53, 0
	v_mul_lo_u32 v5, v2, s4
	v_mul_lo_u32 v2, v2, s5
	;; [unrolled: 1-line block ×4, first 2 shown]
	s_cmp_eq_u32 s61, s63
	v_add3_u32 v2, v2, v1, v3
	v_add3_u32 v0, v5, v0, v6
	s_cbranch_scc0 .LBB343_240
; %bb.241:
	v_mov_b32_e32 v1, v2
	s_branch .LBB343_258
.LBB343_242:
                                        ; implicit-def: $vgpr2
                                        ; implicit-def: $vgpr0
	s_branch .LBB343_262
.LBB343_243:
	v_mov_b32_e32 v2, 0
	v_mov_b32_e32 v0, 0
	s_branch .LBB343_261
.LBB343_244:
	v_mov_b32_e32 v0, 0
	s_mov_b32 s61, 0
	v_mov_b32_e32 v1, v0
                                        ; implicit-def: $vgpr2
	v_mov_b32_e32 v4, v24
.LBB343_245:
	s_and_b32 s4, s62, 3
	s_cmp_eq_u32 s4, 0
	s_cbranch_scc1 .LBB343_248
; %bb.246:
	s_lshl_b32 s0, s61, 3
	s_add_u32 s0, s34, s0
	s_addc_u32 s1, s35, 0
	s_add_u32 s0, s0, 0xc4
	s_addc_u32 s1, s1, 0
	s_mul_i32 s2, s61, 12
	s_add_u32 s2, s34, s2
	s_addc_u32 s3, s35, 0
.LBB343_247:                            ; =>This Inner Loop Header: Depth=1
	s_load_dwordx2 s[6:7], s[2:3], 0x4
	s_load_dword s5, s[2:3], 0xc
	s_load_dwordx2 s[8:9], s[0:1], 0x0
	v_mov_b32_e32 v2, v1
	s_add_u32 s2, s2, 12
	s_waitcnt lgkmcnt(0)
	v_mul_hi_u32 v1, s7, v4
	v_add_u32_e32 v1, v4, v1
	v_lshrrev_b32_e32 v1, s5, v1
	s_addc_u32 s3, s3, 0
	v_mul_lo_u32 v3, v1, s6
	s_add_u32 s0, s0, 8
	v_sub_u32_e32 v5, v4, v3
	s_addc_u32 s1, s1, 0
	s_add_i32 s4, s4, -1
	v_mov_b32_e32 v4, v1
	v_mad_u64_u32 v[2:3], s[6:7], v5, s9, v[2:3]
	v_mad_u64_u32 v[0:1], s[6:7], v5, s8, v[0:1]
	s_cmp_lg_u32 s4, 0
	v_mov_b32_e32 v1, v2
	s_cbranch_scc1 .LBB343_247
.LBB343_248:
	s_cbranch_execnz .LBB343_251
.LBB343_249:
	v_mul_hi_u32 v0, s21, v24
	v_add_u32_e32 v0, v24, v0
	v_lshrrev_b32_e32 v1, s22, v0
	v_mul_lo_u32 v0, v1, s20
	v_sub_u32_e32 v0, v24, v0
	v_mul_lo_u32 v2, v0, s25
	s_andn2_b64 vcc, exec, s[42:43]
	v_mul_lo_u32 v0, v0, s24
	s_cbranch_vccnz .LBB343_251
; %bb.250:
	v_mul_hi_u32 v3, s40, v1
	v_add_u32_e32 v3, v1, v3
	v_lshrrev_b32_e32 v3, s41, v3
	v_mul_lo_u32 v3, v3, s23
	v_sub_u32_e32 v3, v1, v3
	v_mad_u64_u32 v[0:1], s[0:1], v3, s26, v[0:1]
	v_mad_u64_u32 v[2:3], s[0:1], v3, s27, v[2:3]
.LBB343_251:
	global_load_ushort v1, v2, s[18:19]
	s_waitcnt vmcnt(0)
	v_lshlrev_b32_e32 v2, 16, v1
	v_cmp_o_f32_e32 vcc, v2, v2
	s_and_saveexec_b64 s[0:1], vcc
; %bb.252:
	v_mov_b32_e32 v3, s55
	v_cmp_lt_f32_e32 vcc, s58, v2
	s_nop 1
	v_cndmask_b32_e32 v1, v3, v1, vcc
	v_lshlrev_b32_e32 v2, 16, v1
	v_mov_b32_e32 v3, s56
	v_cmp_gt_f32_e32 vcc, s57, v2
	s_nop 1
	v_cndmask_b32_e32 v1, v3, v1, vcc
; %bb.253:
	s_or_b64 exec, exec, s[0:1]
	v_add_u32_e32 v24, 0x80, v24
	global_store_short v0, v1, s[16:17]
	s_or_b64 exec, exec, s[48:49]
	v_cmp_gt_i32_e32 vcc, s59, v24
	s_and_saveexec_b64 s[48:49], vcc
	s_cbranch_execnz .LBB343_236
.LBB343_254:
	s_or_b64 exec, exec, s[48:49]
	v_cmp_gt_i32_e32 vcc, s59, v24
	s_and_saveexec_b64 s[48:49], vcc
	s_cbranch_execnz .LBB343_267
.LBB343_255:
	s_or_b64 exec, exec, s[48:49]
                                        ; implicit-def: $vgpr32
                                        ; implicit-def: $vgpr24
	s_andn2_saveexec_b64 s[0:1], s[38:39]
	s_cbranch_execnz .LBB343_9
.LBB343_256:
	s_endpgm
.LBB343_257:
	v_mov_b32_e32 v0, 0
	s_mov_b32 s61, 0
	v_mov_b32_e32 v1, v0
                                        ; implicit-def: $vgpr2
	v_mov_b32_e32 v4, v24
.LBB343_258:
	s_and_b32 s4, s62, 3
	s_cmp_eq_u32 s4, 0
	s_cbranch_scc1 .LBB343_261
; %bb.259:
	s_lshl_b32 s0, s61, 3
	s_add_u32 s0, s34, s0
	s_addc_u32 s1, s35, 0
	s_add_u32 s0, s0, 0xc4
	s_addc_u32 s1, s1, 0
	s_mul_i32 s2, s61, 12
	s_add_u32 s2, s34, s2
	s_addc_u32 s3, s35, 0
.LBB343_260:                            ; =>This Inner Loop Header: Depth=1
	s_load_dwordx2 s[6:7], s[2:3], 0x4
	s_load_dword s5, s[2:3], 0xc
	s_load_dwordx2 s[8:9], s[0:1], 0x0
	v_mov_b32_e32 v2, v1
	s_add_u32 s2, s2, 12
	s_waitcnt lgkmcnt(0)
	v_mul_hi_u32 v1, s7, v4
	v_add_u32_e32 v1, v4, v1
	v_lshrrev_b32_e32 v1, s5, v1
	s_addc_u32 s3, s3, 0
	v_mul_lo_u32 v3, v1, s6
	s_add_u32 s0, s0, 8
	v_sub_u32_e32 v5, v4, v3
	s_addc_u32 s1, s1, 0
	s_add_i32 s4, s4, -1
	v_mov_b32_e32 v4, v1
	v_mad_u64_u32 v[2:3], s[6:7], v5, s9, v[2:3]
	v_mad_u64_u32 v[0:1], s[6:7], v5, s8, v[0:1]
	s_cmp_lg_u32 s4, 0
	v_mov_b32_e32 v1, v2
	s_cbranch_scc1 .LBB343_260
.LBB343_261:
	s_cbranch_execnz .LBB343_264
.LBB343_262:
	v_mul_hi_u32 v0, s21, v24
	v_add_u32_e32 v0, v24, v0
	v_lshrrev_b32_e32 v1, s22, v0
	v_mul_lo_u32 v0, v1, s20
	v_sub_u32_e32 v0, v24, v0
	v_mul_lo_u32 v2, v0, s25
	s_andn2_b64 vcc, exec, s[42:43]
	v_mul_lo_u32 v0, v0, s24
	s_cbranch_vccnz .LBB343_264
; %bb.263:
	v_mul_hi_u32 v3, s40, v1
	v_add_u32_e32 v3, v1, v3
	v_lshrrev_b32_e32 v3, s41, v3
	v_mul_lo_u32 v3, v3, s23
	v_sub_u32_e32 v3, v1, v3
	v_mad_u64_u32 v[0:1], s[0:1], v3, s26, v[0:1]
	v_mad_u64_u32 v[2:3], s[0:1], v3, s27, v[2:3]
.LBB343_264:
	global_load_ushort v1, v2, s[18:19]
	s_waitcnt vmcnt(0)
	v_lshlrev_b32_e32 v2, 16, v1
	v_cmp_o_f32_e32 vcc, v2, v2
	s_and_saveexec_b64 s[0:1], vcc
; %bb.265:
	v_mov_b32_e32 v3, s55
	v_cmp_lt_f32_e32 vcc, s58, v2
	s_nop 1
	v_cndmask_b32_e32 v1, v3, v1, vcc
	v_lshlrev_b32_e32 v2, 16, v1
	v_mov_b32_e32 v3, s56
	v_cmp_gt_f32_e32 vcc, s57, v2
	s_nop 1
	v_cndmask_b32_e32 v1, v3, v1, vcc
; %bb.266:
	s_or_b64 exec, exec, s[0:1]
	v_add_u32_e32 v24, 0x80, v24
	global_store_short v0, v1, s[16:17]
	s_or_b64 exec, exec, s[48:49]
	v_cmp_gt_i32_e32 vcc, s59, v24
	s_and_saveexec_b64 s[48:49], vcc
	s_cbranch_execz .LBB343_255
.LBB343_267:
	s_andn2_b64 vcc, exec, s[36:37]
	s_cbranch_vccnz .LBB343_273
; %bb.268:
	s_andn2_b64 vcc, exec, s[46:47]
	s_cbranch_vccnz .LBB343_274
; %bb.269:
	s_add_i32 s60, s60, 1
	s_cmp_eq_u32 s54, 2
	s_cbranch_scc1 .LBB343_275
; %bb.270:
	s_and_b32 s50, s60, 28
	s_mov_b32 s51, 0
	v_mov_b32_e32 v0, 0
	v_mov_b32_e32 v2, 0
	s_mov_b64 s[46:47], s[34:35]
	v_mov_b32_e32 v4, v24
.LBB343_271:                            ; =>This Inner Loop Header: Depth=1
	s_load_dwordx8 s[8:15], s[46:47], 0x4
	s_load_dwordx4 s[28:31], s[46:47], 0x24
	s_load_dwordx8 s[0:7], s[44:45], 0x0
	s_add_u32 s46, s46, 48
	s_addc_u32 s47, s47, 0
	s_waitcnt lgkmcnt(0)
	v_mul_hi_u32 v1, s9, v4
	v_add_u32_e32 v1, v4, v1
	v_lshrrev_b32_e32 v1, s10, v1
	v_mul_lo_u32 v3, v1, s8
	v_mul_hi_u32 v5, s12, v1
	v_sub_u32_e32 v3, v4, v3
	v_add_u32_e32 v4, v1, v5
	v_lshrrev_b32_e32 v4, s13, v4
	v_mul_lo_u32 v6, v4, s11
	v_mul_hi_u32 v7, s15, v4
	v_sub_u32_e32 v1, v1, v6
	v_add_u32_e32 v6, v4, v7
	v_mul_lo_u32 v5, v3, s1
	v_mul_lo_u32 v3, v3, s0
	;; [unrolled: 1-line block ×4, first 2 shown]
	v_lshrrev_b32_e32 v6, s28, v6
	v_add3_u32 v0, v3, v0, v1
	v_mul_hi_u32 v3, s30, v6
	v_add3_u32 v1, v5, v2, v7
	v_mul_lo_u32 v2, v6, s14
	v_add_u32_e32 v3, v6, v3
	v_sub_u32_e32 v2, v4, v2
	v_lshrrev_b32_e32 v4, s31, v3
	s_add_i32 s51, s51, 4
	v_mul_lo_u32 v3, v4, s29
	s_add_u32 s44, s44, 32
	v_sub_u32_e32 v3, v6, v3
	s_addc_u32 s45, s45, 0
	v_mul_lo_u32 v5, v2, s4
	v_mul_lo_u32 v2, v2, s5
	;; [unrolled: 1-line block ×4, first 2 shown]
	s_cmp_eq_u32 s50, s51
	v_add3_u32 v2, v2, v1, v3
	v_add3_u32 v0, v5, v0, v6
	s_cbranch_scc0 .LBB343_271
; %bb.272:
	v_mov_b32_e32 v1, v2
	s_branch .LBB343_276
.LBB343_273:
                                        ; implicit-def: $vgpr2
                                        ; implicit-def: $vgpr0
	s_branch .LBB343_280
.LBB343_274:
	v_mov_b32_e32 v2, 0
	v_mov_b32_e32 v0, 0
	s_branch .LBB343_279
.LBB343_275:
	v_mov_b32_e32 v0, 0
	s_mov_b32 s50, 0
	v_mov_b32_e32 v1, v0
                                        ; implicit-def: $vgpr2
	v_mov_b32_e32 v4, v24
.LBB343_276:
	s_and_b32 s4, s60, 3
	s_cmp_eq_u32 s4, 0
	s_cbranch_scc1 .LBB343_279
; %bb.277:
	s_lshl_b32 s0, s50, 3
	s_add_u32 s0, s34, s0
	s_addc_u32 s1, s35, 0
	s_add_u32 s0, s0, 0xc4
	s_addc_u32 s1, s1, 0
	s_mul_i32 s2, s50, 12
	s_add_u32 s2, s34, s2
	s_addc_u32 s3, s35, 0
.LBB343_278:                            ; =>This Inner Loop Header: Depth=1
	s_load_dwordx2 s[6:7], s[2:3], 0x4
	s_load_dword s5, s[2:3], 0xc
	s_load_dwordx2 s[8:9], s[0:1], 0x0
	v_mov_b32_e32 v2, v1
	s_add_u32 s2, s2, 12
	s_waitcnt lgkmcnt(0)
	v_mul_hi_u32 v1, s7, v4
	v_add_u32_e32 v1, v4, v1
	v_lshrrev_b32_e32 v1, s5, v1
	s_addc_u32 s3, s3, 0
	v_mul_lo_u32 v3, v1, s6
	s_add_u32 s0, s0, 8
	v_sub_u32_e32 v5, v4, v3
	s_addc_u32 s1, s1, 0
	s_add_i32 s4, s4, -1
	v_mov_b32_e32 v4, v1
	v_mad_u64_u32 v[2:3], s[6:7], v5, s9, v[2:3]
	v_mad_u64_u32 v[0:1], s[6:7], v5, s8, v[0:1]
	s_cmp_lg_u32 s4, 0
	v_mov_b32_e32 v1, v2
	s_cbranch_scc1 .LBB343_278
.LBB343_279:
	s_cbranch_execnz .LBB343_282
.LBB343_280:
	v_mul_hi_u32 v0, s21, v24
	v_add_u32_e32 v0, v24, v0
	v_lshrrev_b32_e32 v1, s22, v0
	v_mul_lo_u32 v0, v1, s20
	v_sub_u32_e32 v0, v24, v0
	v_mul_lo_u32 v2, v0, s25
	s_andn2_b64 vcc, exec, s[42:43]
	v_mul_lo_u32 v0, v0, s24
	s_cbranch_vccnz .LBB343_282
; %bb.281:
	v_mul_hi_u32 v3, s40, v1
	v_add_u32_e32 v3, v1, v3
	v_lshrrev_b32_e32 v3, s41, v3
	v_mul_lo_u32 v3, v3, s23
	v_sub_u32_e32 v3, v1, v3
	v_mad_u64_u32 v[0:1], s[0:1], v3, s26, v[0:1]
	v_mad_u64_u32 v[2:3], s[0:1], v3, s27, v[2:3]
.LBB343_282:
	global_load_ushort v1, v2, s[18:19]
	s_waitcnt vmcnt(0)
	v_lshlrev_b32_e32 v2, 16, v1
	v_cmp_o_f32_e32 vcc, v2, v2
	s_and_saveexec_b64 s[0:1], vcc
; %bb.283:
	v_mov_b32_e32 v3, s55
	v_cmp_lt_f32_e32 vcc, s58, v2
	s_nop 1
	v_cndmask_b32_e32 v1, v3, v1, vcc
	v_lshlrev_b32_e32 v2, 16, v1
	v_mov_b32_e32 v3, s56
	v_cmp_gt_f32_e32 vcc, s57, v2
	s_nop 1
	v_cndmask_b32_e32 v1, v3, v1, vcc
; %bb.284:
	s_or_b64 exec, exec, s[0:1]
	global_store_short v0, v1, s[16:17]
	s_or_b64 exec, exec, s[48:49]
                                        ; implicit-def: $vgpr32
                                        ; implicit-def: $vgpr24
	s_andn2_saveexec_b64 s[0:1], s[38:39]
	s_cbranch_execz .LBB343_256
	s_branch .LBB343_9
	.section	.rodata,"a",@progbits
	.p2align	6, 0x0
	.amdhsa_kernel _ZN2at6native32elementwise_kernel_manual_unrollILi128ELi8EZNS0_22gpu_kernel_impl_nocastIZZZNS0_17clamp_kernel_cudaERNS_18TensorIteratorBaseERKN3c106ScalarES8_ENKUlvE_clEvENKUlvE7_clEvEUlNS5_8BFloat16EE_EEvS4_RKT_EUlibE_EEviT1_
		.amdhsa_group_segment_fixed_size 0
		.amdhsa_private_segment_fixed_size 0
		.amdhsa_kernarg_size 360
		.amdhsa_user_sgpr_count 2
		.amdhsa_user_sgpr_dispatch_ptr 0
		.amdhsa_user_sgpr_queue_ptr 0
		.amdhsa_user_sgpr_kernarg_segment_ptr 1
		.amdhsa_user_sgpr_dispatch_id 0
		.amdhsa_user_sgpr_kernarg_preload_length 0
		.amdhsa_user_sgpr_kernarg_preload_offset 0
		.amdhsa_user_sgpr_private_segment_size 0
		.amdhsa_uses_dynamic_stack 0
		.amdhsa_enable_private_segment 0
		.amdhsa_system_sgpr_workgroup_id_x 1
		.amdhsa_system_sgpr_workgroup_id_y 0
		.amdhsa_system_sgpr_workgroup_id_z 0
		.amdhsa_system_sgpr_workgroup_info 0
		.amdhsa_system_vgpr_workitem_id 0
		.amdhsa_next_free_vgpr 33
		.amdhsa_next_free_sgpr 64
		.amdhsa_accum_offset 36
		.amdhsa_reserve_vcc 1
		.amdhsa_float_round_mode_32 0
		.amdhsa_float_round_mode_16_64 0
		.amdhsa_float_denorm_mode_32 3
		.amdhsa_float_denorm_mode_16_64 3
		.amdhsa_dx10_clamp 1
		.amdhsa_ieee_mode 1
		.amdhsa_fp16_overflow 0
		.amdhsa_tg_split 0
		.amdhsa_exception_fp_ieee_invalid_op 0
		.amdhsa_exception_fp_denorm_src 0
		.amdhsa_exception_fp_ieee_div_zero 0
		.amdhsa_exception_fp_ieee_overflow 0
		.amdhsa_exception_fp_ieee_underflow 0
		.amdhsa_exception_fp_ieee_inexact 0
		.amdhsa_exception_int_div_zero 0
	.end_amdhsa_kernel
	.section	.text._ZN2at6native32elementwise_kernel_manual_unrollILi128ELi8EZNS0_22gpu_kernel_impl_nocastIZZZNS0_17clamp_kernel_cudaERNS_18TensorIteratorBaseERKN3c106ScalarES8_ENKUlvE_clEvENKUlvE7_clEvEUlNS5_8BFloat16EE_EEvS4_RKT_EUlibE_EEviT1_,"axG",@progbits,_ZN2at6native32elementwise_kernel_manual_unrollILi128ELi8EZNS0_22gpu_kernel_impl_nocastIZZZNS0_17clamp_kernel_cudaERNS_18TensorIteratorBaseERKN3c106ScalarES8_ENKUlvE_clEvENKUlvE7_clEvEUlNS5_8BFloat16EE_EEvS4_RKT_EUlibE_EEviT1_,comdat
.Lfunc_end343:
	.size	_ZN2at6native32elementwise_kernel_manual_unrollILi128ELi8EZNS0_22gpu_kernel_impl_nocastIZZZNS0_17clamp_kernel_cudaERNS_18TensorIteratorBaseERKN3c106ScalarES8_ENKUlvE_clEvENKUlvE7_clEvEUlNS5_8BFloat16EE_EEvS4_RKT_EUlibE_EEviT1_, .Lfunc_end343-_ZN2at6native32elementwise_kernel_manual_unrollILi128ELi8EZNS0_22gpu_kernel_impl_nocastIZZZNS0_17clamp_kernel_cudaERNS_18TensorIteratorBaseERKN3c106ScalarES8_ENKUlvE_clEvENKUlvE7_clEvEUlNS5_8BFloat16EE_EEvS4_RKT_EUlibE_EEviT1_
                                        ; -- End function
	.set _ZN2at6native32elementwise_kernel_manual_unrollILi128ELi8EZNS0_22gpu_kernel_impl_nocastIZZZNS0_17clamp_kernel_cudaERNS_18TensorIteratorBaseERKN3c106ScalarES8_ENKUlvE_clEvENKUlvE7_clEvEUlNS5_8BFloat16EE_EEvS4_RKT_EUlibE_EEviT1_.num_vgpr, 33
	.set _ZN2at6native32elementwise_kernel_manual_unrollILi128ELi8EZNS0_22gpu_kernel_impl_nocastIZZZNS0_17clamp_kernel_cudaERNS_18TensorIteratorBaseERKN3c106ScalarES8_ENKUlvE_clEvENKUlvE7_clEvEUlNS5_8BFloat16EE_EEvS4_RKT_EUlibE_EEviT1_.num_agpr, 0
	.set _ZN2at6native32elementwise_kernel_manual_unrollILi128ELi8EZNS0_22gpu_kernel_impl_nocastIZZZNS0_17clamp_kernel_cudaERNS_18TensorIteratorBaseERKN3c106ScalarES8_ENKUlvE_clEvENKUlvE7_clEvEUlNS5_8BFloat16EE_EEvS4_RKT_EUlibE_EEviT1_.numbered_sgpr, 64
	.set _ZN2at6native32elementwise_kernel_manual_unrollILi128ELi8EZNS0_22gpu_kernel_impl_nocastIZZZNS0_17clamp_kernel_cudaERNS_18TensorIteratorBaseERKN3c106ScalarES8_ENKUlvE_clEvENKUlvE7_clEvEUlNS5_8BFloat16EE_EEvS4_RKT_EUlibE_EEviT1_.num_named_barrier, 0
	.set _ZN2at6native32elementwise_kernel_manual_unrollILi128ELi8EZNS0_22gpu_kernel_impl_nocastIZZZNS0_17clamp_kernel_cudaERNS_18TensorIteratorBaseERKN3c106ScalarES8_ENKUlvE_clEvENKUlvE7_clEvEUlNS5_8BFloat16EE_EEvS4_RKT_EUlibE_EEviT1_.private_seg_size, 0
	.set _ZN2at6native32elementwise_kernel_manual_unrollILi128ELi8EZNS0_22gpu_kernel_impl_nocastIZZZNS0_17clamp_kernel_cudaERNS_18TensorIteratorBaseERKN3c106ScalarES8_ENKUlvE_clEvENKUlvE7_clEvEUlNS5_8BFloat16EE_EEvS4_RKT_EUlibE_EEviT1_.uses_vcc, 1
	.set _ZN2at6native32elementwise_kernel_manual_unrollILi128ELi8EZNS0_22gpu_kernel_impl_nocastIZZZNS0_17clamp_kernel_cudaERNS_18TensorIteratorBaseERKN3c106ScalarES8_ENKUlvE_clEvENKUlvE7_clEvEUlNS5_8BFloat16EE_EEvS4_RKT_EUlibE_EEviT1_.uses_flat_scratch, 0
	.set _ZN2at6native32elementwise_kernel_manual_unrollILi128ELi8EZNS0_22gpu_kernel_impl_nocastIZZZNS0_17clamp_kernel_cudaERNS_18TensorIteratorBaseERKN3c106ScalarES8_ENKUlvE_clEvENKUlvE7_clEvEUlNS5_8BFloat16EE_EEvS4_RKT_EUlibE_EEviT1_.has_dyn_sized_stack, 0
	.set _ZN2at6native32elementwise_kernel_manual_unrollILi128ELi8EZNS0_22gpu_kernel_impl_nocastIZZZNS0_17clamp_kernel_cudaERNS_18TensorIteratorBaseERKN3c106ScalarES8_ENKUlvE_clEvENKUlvE7_clEvEUlNS5_8BFloat16EE_EEvS4_RKT_EUlibE_EEviT1_.has_recursion, 0
	.set _ZN2at6native32elementwise_kernel_manual_unrollILi128ELi8EZNS0_22gpu_kernel_impl_nocastIZZZNS0_17clamp_kernel_cudaERNS_18TensorIteratorBaseERKN3c106ScalarES8_ENKUlvE_clEvENKUlvE7_clEvEUlNS5_8BFloat16EE_EEvS4_RKT_EUlibE_EEviT1_.has_indirect_call, 0
	.section	.AMDGPU.csdata,"",@progbits
; Kernel info:
; codeLenInByte = 12228
; TotalNumSgprs: 70
; NumVgprs: 33
; NumAgprs: 0
; TotalNumVgprs: 33
; ScratchSize: 0
; MemoryBound: 0
; FloatMode: 240
; IeeeMode: 1
; LDSByteSize: 0 bytes/workgroup (compile time only)
; SGPRBlocks: 8
; VGPRBlocks: 4
; NumSGPRsForWavesPerEU: 70
; NumVGPRsForWavesPerEU: 33
; AccumOffset: 36
; Occupancy: 8
; WaveLimiterHint : 1
; COMPUTE_PGM_RSRC2:SCRATCH_EN: 0
; COMPUTE_PGM_RSRC2:USER_SGPR: 2
; COMPUTE_PGM_RSRC2:TRAP_HANDLER: 0
; COMPUTE_PGM_RSRC2:TGID_X_EN: 1
; COMPUTE_PGM_RSRC2:TGID_Y_EN: 0
; COMPUTE_PGM_RSRC2:TGID_Z_EN: 0
; COMPUTE_PGM_RSRC2:TIDIG_COMP_CNT: 0
; COMPUTE_PGM_RSRC3_GFX90A:ACCUM_OFFSET: 8
; COMPUTE_PGM_RSRC3_GFX90A:TG_SPLIT: 0
	.section	.text._ZN2at6native32elementwise_kernel_manual_unrollILi128ELi4EZNS0_15gpu_kernel_implIZZZNS0_17clamp_kernel_cudaERNS_18TensorIteratorBaseERKN3c106ScalarES8_ENKUlvE_clEvENKUlvE7_clEvEUlNS5_8BFloat16EE_EEvS4_RKT_EUlibE_EEviT1_,"axG",@progbits,_ZN2at6native32elementwise_kernel_manual_unrollILi128ELi4EZNS0_15gpu_kernel_implIZZZNS0_17clamp_kernel_cudaERNS_18TensorIteratorBaseERKN3c106ScalarES8_ENKUlvE_clEvENKUlvE7_clEvEUlNS5_8BFloat16EE_EEvS4_RKT_EUlibE_EEviT1_,comdat
	.globl	_ZN2at6native32elementwise_kernel_manual_unrollILi128ELi4EZNS0_15gpu_kernel_implIZZZNS0_17clamp_kernel_cudaERNS_18TensorIteratorBaseERKN3c106ScalarES8_ENKUlvE_clEvENKUlvE7_clEvEUlNS5_8BFloat16EE_EEvS4_RKT_EUlibE_EEviT1_ ; -- Begin function _ZN2at6native32elementwise_kernel_manual_unrollILi128ELi4EZNS0_15gpu_kernel_implIZZZNS0_17clamp_kernel_cudaERNS_18TensorIteratorBaseERKN3c106ScalarES8_ENKUlvE_clEvENKUlvE7_clEvEUlNS5_8BFloat16EE_EEvS4_RKT_EUlibE_EEviT1_
	.p2align	8
	.type	_ZN2at6native32elementwise_kernel_manual_unrollILi128ELi4EZNS0_15gpu_kernel_implIZZZNS0_17clamp_kernel_cudaERNS_18TensorIteratorBaseERKN3c106ScalarES8_ENKUlvE_clEvENKUlvE7_clEvEUlNS5_8BFloat16EE_EEvS4_RKT_EUlibE_EEviT1_,@function
_ZN2at6native32elementwise_kernel_manual_unrollILi128ELi4EZNS0_15gpu_kernel_implIZZZNS0_17clamp_kernel_cudaERNS_18TensorIteratorBaseERKN3c106ScalarES8_ENKUlvE_clEvENKUlvE7_clEvEUlNS5_8BFloat16EE_EEvS4_RKT_EUlibE_EEviT1_: ; @_ZN2at6native32elementwise_kernel_manual_unrollILi128ELi4EZNS0_15gpu_kernel_implIZZZNS0_17clamp_kernel_cudaERNS_18TensorIteratorBaseERKN3c106ScalarES8_ENKUlvE_clEvENKUlvE7_clEvEUlNS5_8BFloat16EE_EEvS4_RKT_EUlibE_EEviT1_
; %bb.0:
	s_load_dwordx8 s[4:11], s[0:1], 0x8
	s_load_dword s40, s[0:1], 0x0
	v_lshl_or_b32 v4, s2, 9, v0
	v_or_b32_e32 v0, 0x180, v4
	s_mov_b64 s[2:3], 0
	s_waitcnt lgkmcnt(0)
	s_lshr_b32 s33, s10, 16
	s_and_b32 s44, s10, 0xffff
	s_bfe_u32 s45, s11, 0x80008
	v_cmp_le_i32_e32 vcc, s40, v0
	s_mov_b64 s[14:15], 0
	s_and_saveexec_b64 s[0:1], vcc
	s_xor_b64 s[12:13], exec, s[0:1]
	s_cbranch_execz .LBB344_1035
; %bb.1:
	s_lshl_b32 s46, s10, 16
	s_lshl_b32 s10, s33, 16
	v_cmp_gt_i32_e32 vcc, s40, v4
	s_mov_b64 s[20:21], -1
	s_mov_b64 s[22:23], 0
	s_mov_b64 s[16:17], 0
	s_and_saveexec_b64 s[18:19], vcc
	s_cbranch_execz .LBB344_254
; %bb.2:
	v_mul_lo_u32 v0, v4, s9
	v_ashrrev_i32_e32 v1, 31, v0
	s_and_b32 s24, 0xffff, s45
	s_cmp_lt_i32 s24, 11
	v_lshl_add_u64 v[0:1], s[6:7], 0, v[0:1]
	s_cbranch_scc1 .LBB344_9
; %bb.3:
	s_cmp_gt_i32 s24, 25
	s_cbranch_scc0 .LBB344_20
; %bb.4:
	s_cmp_gt_i32 s24, 28
	s_cbranch_scc0 .LBB344_24
	;; [unrolled: 3-line block ×4, first 2 shown]
; %bb.7:
	s_cmp_eq_u32 s24, 46
	s_cbranch_scc0 .LBB344_30
; %bb.8:
	global_load_dword v2, v[0:1], off
	s_mov_b64 s[0:1], -1
	s_branch .LBB344_32
.LBB344_9:
                                        ; implicit-def: $vgpr2
	s_mov_b64 s[0:1], 0
	s_cbranch_execnz .LBB344_205
.LBB344_10:
	s_andn2_b64 vcc, exec, s[0:1]
	s_cbranch_vccnz .LBB344_252
.LBB344_11:
	s_waitcnt vmcnt(0)
	v_lshlrev_b32_e32 v0, 16, v2
	v_cmp_o_f32_e32 vcc, v0, v0
	s_and_saveexec_b64 s[0:1], vcc
; %bb.12:
	v_mov_b32_e32 v1, s44
	v_cmp_lt_f32_e32 vcc, s46, v0
	s_nop 1
	v_cndmask_b32_e32 v0, v1, v2, vcc
	v_lshlrev_b32_e32 v1, 16, v0
	v_mov_b32_e32 v2, s33
	v_cmp_gt_f32_e32 vcc, s10, v1
	s_nop 1
	v_cndmask_b32_e32 v2, v2, v0, vcc
; %bb.13:
	s_or_b64 exec, exec, s[0:1]
	v_mul_lo_u32 v0, v4, s8
	v_ashrrev_i32_e32 v1, 31, v0
	s_and_b32 s26, s11, 0xff
	s_cmp_lt_i32 s26, 11
	v_lshl_add_u64 v[0:1], s[4:5], 0, v[0:1]
	s_cbranch_scc1 .LBB344_21
; %bb.14:
	s_and_b32 s27, 0xffff, s26
	s_cmp_gt_i32 s27, 25
	s_cbranch_scc0 .LBB344_25
; %bb.15:
	s_cmp_gt_i32 s27, 28
	s_cbranch_scc0 .LBB344_27
; %bb.16:
	;; [unrolled: 3-line block ×4, first 2 shown]
	s_mov_b64 s[20:21], 0
	s_mov_b64 s[0:1], -1
	s_cmp_eq_u32 s27, 46
	s_mov_b64 s[14:15], 0
	s_cbranch_scc0 .LBB344_36
; %bb.19:
	v_and_b32_e32 v3, 0xffff, v2
	global_store_dword v[0:1], v3, off
	s_mov_b64 s[14:15], -1
	s_mov_b64 s[0:1], 0
	s_branch .LBB344_36
.LBB344_20:
	s_mov_b64 s[0:1], 0
                                        ; implicit-def: $vgpr2
	s_cbranch_execnz .LBB344_170
	s_branch .LBB344_204
.LBB344_21:
	s_mov_b64 s[0:1], 0
	s_mov_b64 s[14:15], 0
	s_cbranch_execnz .LBB344_105
.LBB344_22:
	s_andn2_b64 vcc, exec, s[14:15]
	s_cbranch_vccnz .LBB344_143
.LBB344_23:
	v_add_u32_e32 v4, 0x80, v4
	s_mov_b64 s[20:21], -1
	s_branch .LBB344_253
.LBB344_24:
	s_mov_b64 s[14:15], -1
	s_mov_b64 s[0:1], 0
                                        ; implicit-def: $vgpr2
	s_branch .LBB344_151
.LBB344_25:
	s_mov_b64 s[20:21], -1
	s_mov_b64 s[0:1], 0
	s_mov_b64 s[14:15], 0
	s_branch .LBB344_63
.LBB344_26:
	s_mov_b64 s[14:15], -1
	s_mov_b64 s[0:1], 0
                                        ; implicit-def: $vgpr2
	s_branch .LBB344_146
.LBB344_27:
	s_mov_b64 s[20:21], -1
	s_mov_b64 s[0:1], 0
	s_mov_b64 s[14:15], 0
	s_branch .LBB344_46
.LBB344_28:
	s_mov_b64 s[14:15], -1
	s_branch .LBB344_31
.LBB344_29:
	s_mov_b64 s[20:21], -1
	s_mov_b64 s[0:1], 0
	s_mov_b64 s[14:15], 0
	s_branch .LBB344_42
.LBB344_30:
	s_mov_b64 s[16:17], -1
.LBB344_31:
	s_mov_b64 s[0:1], 0
                                        ; implicit-def: $vgpr2
.LBB344_32:
	s_and_b64 vcc, exec, s[14:15]
	s_cbranch_vccz .LBB344_145
; %bb.33:
	s_cmp_eq_u32 s24, 44
	s_cbranch_scc0 .LBB344_144
; %bb.34:
	global_load_ubyte v2, v[0:1], off
	s_movk_i32 s14, 0xff
	v_mov_b32_e32 v3, 0x7f800001
	v_mov_b32_e32 v5, 0x400000
	;; [unrolled: 1-line block ×3, first 2 shown]
	s_mov_b64 s[0:1], -1
	s_mov_b64 s[16:17], 0
	s_waitcnt vmcnt(0)
	v_lshlrev_b32_e32 v7, 23, v2
	v_cmp_ne_u32_e32 vcc, s14, v2
	s_nop 1
	v_cndmask_b32_e32 v3, v3, v7, vcc
	v_cmp_ne_u32_e32 vcc, 0, v2
	s_nop 1
	v_cndmask_b32_e32 v2, v5, v3, vcc
	v_add_u32_e32 v3, 0x7fff, v2
	v_cmp_o_f32_e32 vcc, v2, v2
	s_nop 1
	v_cndmask_b32_sdwa v2, v6, v3, vcc dst_sel:DWORD dst_unused:UNUSED_PAD src0_sel:DWORD src1_sel:WORD_1
	s_branch .LBB344_145
.LBB344_35:
	s_mov_b64 s[20:21], -1
	s_mov_b64 s[0:1], 0
	s_mov_b64 s[14:15], 0
.LBB344_36:
	s_and_b64 vcc, exec, s[20:21]
	s_cbranch_vccz .LBB344_41
; %bb.37:
	s_cmp_eq_u32 s27, 44
	s_mov_b64 s[0:1], -1
	s_cbranch_scc0 .LBB344_41
; %bb.38:
	v_and_b32_e32 v5, 0xffff, v2
	v_bfe_u32 v3, v5, 7, 8
	s_movk_i32 s0, 0xff
	v_cmp_ne_u32_e32 vcc, s0, v3
	v_mov_b32_e32 v6, 0xff
	s_and_saveexec_b64 s[14:15], vcc
	s_cbranch_execz .LBB344_40
; %bb.39:
	v_lshlrev_b32_e32 v7, 16, v5
	s_mov_b32 s0, 0x3f0000
	v_lshrrev_b32_e32 v6, 7, v5
	v_and_b32_e32 v5, 64, v5
	v_and_or_b32 v3, v7, s0, v3
	v_cmp_ne_u32_e32 vcc, 0, v5
	v_cmp_ne_u32_e64 s[0:1], 0, v3
	s_and_b64 s[0:1], vcc, s[0:1]
	s_nop 0
	v_cndmask_b32_e64 v3, 0, 1, s[0:1]
	v_add_u32_e32 v6, v6, v3
.LBB344_40:
	s_or_b64 exec, exec, s[14:15]
	s_mov_b64 s[14:15], -1
	s_mov_b64 s[0:1], 0
	global_store_byte v[0:1], v6, off
.LBB344_41:
	s_mov_b64 s[20:21], 0
.LBB344_42:
	s_and_b64 vcc, exec, s[20:21]
	s_cbranch_vccz .LBB344_45
; %bb.43:
	s_cmp_eq_u32 s27, 29
	s_mov_b64 s[0:1], -1
	s_cbranch_scc0 .LBB344_45
; %bb.44:
	v_lshlrev_b32_e32 v3, 16, v2
	v_trunc_f32_e32 v3, v3
	v_mul_f32_e32 v5, 0x2f800000, v3
	v_floor_f32_e32 v5, v5
	v_fmamk_f32 v3, v5, 0xcf800000, v3
	v_cvt_u32_f32_e32 v7, v5
	v_cvt_u32_f32_e32 v6, v3
	s_mov_b64 s[14:15], -1
	s_mov_b64 s[0:1], 0
	s_mov_b64 s[20:21], 0
	global_store_dwordx2 v[0:1], v[6:7], off
	s_branch .LBB344_46
.LBB344_45:
	s_mov_b64 s[20:21], 0
.LBB344_46:
	s_and_b64 vcc, exec, s[20:21]
	s_cbranch_vccz .LBB344_62
; %bb.47:
	s_cmp_lt_i32 s27, 27
	s_mov_b64 s[14:15], -1
	s_cbranch_scc1 .LBB344_53
; %bb.48:
	s_cmp_gt_i32 s27, 27
	s_cbranch_scc0 .LBB344_50
; %bb.49:
	v_lshlrev_b32_e32 v3, 16, v2
	v_cvt_u32_f32_e32 v3, v3
	s_mov_b64 s[14:15], 0
	global_store_dword v[0:1], v3, off
.LBB344_50:
	s_andn2_b64 vcc, exec, s[14:15]
	s_cbranch_vccnz .LBB344_52
; %bb.51:
	v_lshlrev_b32_e32 v3, 16, v2
	v_cvt_u32_f32_e32 v3, v3
	global_store_short v[0:1], v3, off
.LBB344_52:
	s_mov_b64 s[14:15], 0
.LBB344_53:
	s_andn2_b64 vcc, exec, s[14:15]
	s_cbranch_vccnz .LBB344_61
; %bb.54:
	v_lshlrev_b32_e32 v6, 16, v2
	v_and_b32_e32 v5, 0x7fffffff, v6
	s_mov_b32 s14, 0x43800000
	v_cmp_gt_u32_e32 vcc, s14, v5
	v_mov_b32_e32 v7, 0x80
	s_and_saveexec_b64 s[14:15], vcc
	s_cbranch_execz .LBB344_60
; %bb.55:
	s_mov_b32 s20, 0x3bffffff
	v_and_b32_e32 v3, 0xffff, v2
	v_cmp_lt_u32_e32 vcc, s20, v5
	s_mov_b64 s[20:21], 0
                                        ; implicit-def: $vgpr5
	s_and_saveexec_b64 s[24:25], vcc
	s_xor_b64 s[24:25], exec, s[24:25]
	s_cbranch_execz .LBB344_283
; %bb.56:
	v_bfe_u32 v5, v3, 4, 1
	s_mov_b32 s28, 0x487ffff
	v_add3_u32 v5, v6, v5, s28
	s_mov_b64 s[20:21], exec
	v_lshrrev_b32_e32 v5, 20, v5
                                        ; implicit-def: $vgpr6
	s_andn2_saveexec_b64 s[24:25], s[24:25]
	s_cbranch_execnz .LBB344_284
.LBB344_57:
	s_or_b64 exec, exec, s[24:25]
	v_mov_b32_e32 v7, 0
	s_and_saveexec_b64 s[24:25], s[20:21]
.LBB344_58:
	v_lshrrev_b32_e32 v3, 8, v3
	s_movk_i32 s20, 0x80
	v_and_or_b32 v7, v3, s20, v5
.LBB344_59:
	s_or_b64 exec, exec, s[24:25]
.LBB344_60:
	s_or_b64 exec, exec, s[14:15]
	global_store_byte v[0:1], v7, off
.LBB344_61:
	s_mov_b64 s[14:15], -1
.LBB344_62:
	s_mov_b64 s[20:21], 0
.LBB344_63:
	s_and_b64 vcc, exec, s[20:21]
	s_cbranch_vccz .LBB344_104
; %bb.64:
	s_cmp_gt_i32 s27, 22
	s_mov_b64 s[20:21], -1
	s_cbranch_scc0 .LBB344_96
; %bb.65:
	s_cmp_lt_i32 s27, 24
	s_mov_b64 s[14:15], -1
	s_cbranch_scc1 .LBB344_85
; %bb.66:
	s_cmp_gt_i32 s27, 24
	s_cbranch_scc0 .LBB344_74
; %bb.67:
	v_lshlrev_b32_e32 v6, 16, v2
	v_and_b32_e32 v5, 0x7fffffff, v6
	s_mov_b32 s14, 0x47800000
	v_cmp_gt_u32_e32 vcc, s14, v5
	v_mov_b32_e32 v7, 0x80
	s_and_saveexec_b64 s[14:15], vcc
	s_cbranch_execz .LBB344_73
; %bb.68:
	s_mov_b32 s20, 0x37ffffff
	v_and_b32_e32 v3, 0xffff, v2
	v_cmp_lt_u32_e32 vcc, s20, v5
	s_mov_b64 s[20:21], 0
                                        ; implicit-def: $vgpr5
	s_and_saveexec_b64 s[24:25], vcc
	s_xor_b64 s[24:25], exec, s[24:25]
	s_cbranch_execz .LBB344_287
; %bb.69:
	v_bfe_u32 v5, v3, 5, 1
	s_mov_b32 s28, 0x88fffff
	v_add3_u32 v5, v6, v5, s28
	s_mov_b64 s[20:21], exec
	v_lshrrev_b32_e32 v5, 21, v5
                                        ; implicit-def: $vgpr6
	s_andn2_saveexec_b64 s[24:25], s[24:25]
	s_cbranch_execnz .LBB344_288
.LBB344_70:
	s_or_b64 exec, exec, s[24:25]
	v_mov_b32_e32 v7, 0
	s_and_saveexec_b64 s[24:25], s[20:21]
.LBB344_71:
	v_lshrrev_b32_e32 v3, 8, v3
	s_movk_i32 s20, 0x80
	v_and_or_b32 v7, v3, s20, v5
.LBB344_72:
	s_or_b64 exec, exec, s[24:25]
.LBB344_73:
	s_or_b64 exec, exec, s[14:15]
	s_mov_b64 s[14:15], 0
	global_store_byte v[0:1], v7, off
.LBB344_74:
	s_and_b64 vcc, exec, s[14:15]
	s_cbranch_vccz .LBB344_84
; %bb.75:
	v_lshlrev_b32_e32 v6, 16, v2
	v_and_b32_e32 v7, 0x7fffffff, v6
	s_mov_b32 s14, 0x43f00000
	v_and_b32_e32 v3, 0xffff, v2
	v_cmp_gt_u32_e32 vcc, s14, v7
                                        ; implicit-def: $vgpr5
	s_and_saveexec_b64 s[14:15], vcc
	s_xor_b64 s[14:15], exec, s[14:15]
	s_cbranch_execz .LBB344_81
; %bb.76:
	s_mov_b32 s20, 0x3c7fffff
	v_cmp_lt_u32_e32 vcc, s20, v7
                                        ; implicit-def: $vgpr5
	s_and_saveexec_b64 s[20:21], vcc
	s_xor_b64 s[20:21], exec, s[20:21]
; %bb.77:
	v_bfe_u32 v5, v3, 4, 1
	s_mov_b32 s24, 0x407ffff
	v_add3_u32 v5, v6, v5, s24
	v_lshrrev_b32_e32 v6, 20, v5
	v_and_b32_e32 v5, 0xff00000, v5
	s_mov_b32 s24, 0x7f00000
	v_mov_b32_e32 v7, 0x7e
	v_cmp_ne_u32_e32 vcc, s24, v5
	s_nop 1
	v_cndmask_b32_e32 v5, v7, v6, vcc
                                        ; implicit-def: $vgpr6
; %bb.78:
	s_andn2_saveexec_b64 s[20:21], s[20:21]
; %bb.79:
	s_mov_b32 s24, 0x46800000
	v_add_f32_e64 v5, |v6|, s24
; %bb.80:
	s_or_b64 exec, exec, s[20:21]
                                        ; implicit-def: $vgpr7
.LBB344_81:
	s_andn2_saveexec_b64 s[14:15], s[14:15]
; %bb.82:
	s_mov_b32 s20, 0x7f800000
	v_mov_b32_e32 v5, 0x7e
	v_mov_b32_e32 v6, 0x7f
	v_cmp_lt_u32_e32 vcc, s20, v7
	s_nop 1
	v_cndmask_b32_e32 v5, v5, v6, vcc
; %bb.83:
	s_or_b64 exec, exec, s[14:15]
	v_lshrrev_b32_e32 v3, 8, v3
	s_movk_i32 s14, 0x80
	v_and_or_b32 v3, v3, s14, v5
	global_store_byte v[0:1], v3, off
.LBB344_84:
	s_mov_b64 s[14:15], 0
.LBB344_85:
	s_andn2_b64 vcc, exec, s[14:15]
	s_cbranch_vccnz .LBB344_95
; %bb.86:
	v_lshlrev_b32_e32 v6, 16, v2
	v_and_b32_e32 v7, 0x7fffffff, v6
	s_mov_b32 s14, 0x47800000
	v_and_b32_e32 v3, 0xffff, v2
	v_cmp_gt_u32_e32 vcc, s14, v7
                                        ; implicit-def: $vgpr5
	s_and_saveexec_b64 s[14:15], vcc
	s_xor_b64 s[14:15], exec, s[14:15]
	s_cbranch_execz .LBB344_92
; %bb.87:
	s_mov_b32 s20, 0x387fffff
	v_cmp_lt_u32_e32 vcc, s20, v7
                                        ; implicit-def: $vgpr5
	s_and_saveexec_b64 s[20:21], vcc
	s_xor_b64 s[20:21], exec, s[20:21]
; %bb.88:
	v_bfe_u32 v5, v3, 5, 1
	s_mov_b32 s24, 0x80fffff
	v_add3_u32 v5, v6, v5, s24
	v_lshrrev_b32_e32 v5, 21, v5
                                        ; implicit-def: $vgpr6
; %bb.89:
	s_andn2_saveexec_b64 s[20:21], s[20:21]
; %bb.90:
	s_mov_b32 s24, 0x43000000
	v_add_f32_e64 v5, |v6|, s24
; %bb.91:
	s_or_b64 exec, exec, s[20:21]
                                        ; implicit-def: $vgpr7
.LBB344_92:
	s_andn2_saveexec_b64 s[14:15], s[14:15]
; %bb.93:
	s_mov_b32 s20, 0x7f800000
	v_mov_b32_e32 v5, 0x7c
	v_mov_b32_e32 v6, 0x7f
	v_cmp_lt_u32_e32 vcc, s20, v7
	s_nop 1
	v_cndmask_b32_e32 v5, v5, v6, vcc
; %bb.94:
	s_or_b64 exec, exec, s[14:15]
	v_lshrrev_b32_e32 v3, 8, v3
	s_movk_i32 s14, 0x80
	v_and_or_b32 v3, v3, s14, v5
	global_store_byte v[0:1], v3, off
.LBB344_95:
	s_mov_b64 s[20:21], 0
	s_mov_b64 s[14:15], -1
.LBB344_96:
	s_andn2_b64 vcc, exec, s[20:21]
	s_cbranch_vccnz .LBB344_104
; %bb.97:
	s_cmp_gt_i32 s27, 14
	s_mov_b64 s[20:21], -1
	s_cbranch_scc0 .LBB344_101
; %bb.98:
	s_cmp_eq_u32 s27, 15
	s_mov_b64 s[0:1], -1
	s_cbranch_scc0 .LBB344_100
; %bb.99:
	global_store_short v[0:1], v2, off
	s_mov_b64 s[14:15], -1
	s_mov_b64 s[0:1], 0
.LBB344_100:
	s_mov_b64 s[20:21], 0
.LBB344_101:
	s_and_b64 vcc, exec, s[20:21]
	s_cbranch_vccz .LBB344_104
; %bb.102:
	s_cmp_eq_u32 s27, 11
	s_mov_b64 s[0:1], -1
	s_cbranch_scc0 .LBB344_104
; %bb.103:
	v_and_b32_e32 v3, 0x7fff, v2
	v_cmp_ne_u16_e32 vcc, 0, v3
	s_mov_b64 s[14:15], -1
	s_mov_b64 s[0:1], 0
	v_cndmask_b32_e64 v3, 0, 1, vcc
	global_store_byte v[0:1], v3, off
.LBB344_104:
	s_branch .LBB344_22
.LBB344_105:
	s_and_b32 s20, 0xffff, s26
	s_cmp_lt_i32 s20, 5
	s_mov_b64 s[14:15], -1
	s_cbranch_scc1 .LBB344_126
; %bb.106:
	s_cmp_lt_i32 s20, 8
	s_cbranch_scc1 .LBB344_116
; %bb.107:
	s_cmp_lt_i32 s20, 9
	s_cbranch_scc1 .LBB344_113
; %bb.108:
	s_cmp_gt_i32 s20, 9
	s_cbranch_scc0 .LBB344_110
; %bb.109:
	v_lshlrev_b32_e32 v3, 16, v2
	v_mov_b32_e32 v8, 0
	v_cvt_f64_f32_e32 v[6:7], v3
	v_mov_b32_e32 v9, v8
	global_store_dwordx4 v[0:1], v[6:9], off
	s_mov_b64 s[14:15], 0
.LBB344_110:
	s_andn2_b64 vcc, exec, s[14:15]
	s_cbranch_vccnz .LBB344_112
; %bb.111:
	v_lshlrev_b32_e32 v6, 16, v2
	v_mov_b32_e32 v7, 0
	global_store_dwordx2 v[0:1], v[6:7], off
.LBB344_112:
	s_mov_b64 s[14:15], 0
.LBB344_113:
	s_andn2_b64 vcc, exec, s[14:15]
	s_cbranch_vccnz .LBB344_115
; %bb.114:
	v_lshlrev_b32_e32 v3, 16, v2
	v_cvt_f16_f32_e32 v3, v3
	global_store_dword v[0:1], v3, off
.LBB344_115:
	s_mov_b64 s[14:15], 0
.LBB344_116:
	s_andn2_b64 vcc, exec, s[14:15]
	s_cbranch_vccnz .LBB344_125
; %bb.117:
	s_cmp_lt_i32 s20, 6
	s_mov_b64 s[14:15], -1
	s_cbranch_scc1 .LBB344_123
; %bb.118:
	s_cmp_gt_i32 s20, 6
	s_cbranch_scc0 .LBB344_120
; %bb.119:
	v_lshlrev_b32_e32 v3, 16, v2
	v_cvt_f64_f32_e32 v[6:7], v3
	global_store_dwordx2 v[0:1], v[6:7], off
	s_mov_b64 s[14:15], 0
.LBB344_120:
	s_andn2_b64 vcc, exec, s[14:15]
	s_cbranch_vccnz .LBB344_122
; %bb.121:
	v_lshlrev_b32_e32 v3, 16, v2
	global_store_dword v[0:1], v3, off
.LBB344_122:
	s_mov_b64 s[14:15], 0
.LBB344_123:
	s_andn2_b64 vcc, exec, s[14:15]
	s_cbranch_vccnz .LBB344_125
; %bb.124:
	v_lshlrev_b32_e32 v3, 16, v2
	v_cvt_f16_f32_e32 v3, v3
	global_store_short v[0:1], v3, off
.LBB344_125:
	s_mov_b64 s[14:15], 0
.LBB344_126:
	s_andn2_b64 vcc, exec, s[14:15]
	s_cbranch_vccnz .LBB344_142
; %bb.127:
	s_cmp_lt_i32 s20, 2
	s_mov_b64 s[14:15], -1
	s_cbranch_scc1 .LBB344_137
; %bb.128:
	s_cmp_lt_i32 s20, 3
	s_cbranch_scc1 .LBB344_134
; %bb.129:
	s_cmp_gt_i32 s20, 3
	s_cbranch_scc0 .LBB344_131
; %bb.130:
	v_lshlrev_b32_e32 v3, 16, v2
	v_trunc_f32_e32 v3, v3
	s_mov_b32 s14, 0x2f800000
	v_mul_f32_e64 v5, |v3|, s14
	v_floor_f32_e32 v5, v5
	s_mov_b32 s14, 0xcf800000
	v_cvt_u32_f32_e32 v6, v5
	v_fma_f32 v5, v5, s14, |v3|
	v_cvt_u32_f32_e32 v5, v5
	v_ashrrev_i32_e32 v3, 31, v3
	v_xor_b32_e32 v7, v6, v3
	s_mov_b64 s[14:15], 0
	v_xor_b32_e32 v5, v5, v3
	v_sub_co_u32_e32 v6, vcc, v5, v3
	s_nop 1
	v_subb_co_u32_e32 v7, vcc, v7, v3, vcc
	global_store_dwordx2 v[0:1], v[6:7], off
.LBB344_131:
	s_andn2_b64 vcc, exec, s[14:15]
	s_cbranch_vccnz .LBB344_133
; %bb.132:
	v_lshlrev_b32_e32 v3, 16, v2
	v_cvt_i32_f32_e32 v3, v3
	global_store_dword v[0:1], v3, off
.LBB344_133:
	s_mov_b64 s[14:15], 0
.LBB344_134:
	s_andn2_b64 vcc, exec, s[14:15]
	s_cbranch_vccnz .LBB344_136
; %bb.135:
	v_lshlrev_b32_e32 v3, 16, v2
	v_cvt_i32_f32_e32 v3, v3
	global_store_short v[0:1], v3, off
.LBB344_136:
	s_mov_b64 s[14:15], 0
.LBB344_137:
	s_andn2_b64 vcc, exec, s[14:15]
	s_cbranch_vccnz .LBB344_142
; %bb.138:
	s_mov_b64 s[14:15], -1
	s_cmp_gt_i32 s20, 0
	v_lshlrev_b32_e32 v2, 16, v2
	s_cbranch_scc0 .LBB344_140
; %bb.139:
	v_cvt_i32_f32_e32 v3, v2
	s_mov_b64 s[14:15], 0
	global_store_byte v[0:1], v3, off
.LBB344_140:
	s_andn2_b64 vcc, exec, s[14:15]
	s_cbranch_vccnz .LBB344_142
; %bb.141:
	v_trunc_f32_e32 v2, v2
	s_mov_b32 s14, 0x2f800000
	v_mul_f32_e64 v3, |v2|, s14
	v_floor_f32_e32 v3, v3
	s_mov_b32 s14, 0xcf800000
	v_fma_f32 v3, v3, s14, |v2|
	v_cvt_u32_f32_e32 v3, v3
	v_ashrrev_i32_e32 v2, 31, v2
	v_xor_b32_e32 v3, v3, v2
	v_sub_u32_e32 v2, v3, v2
	global_store_byte v[0:1], v2, off
.LBB344_142:
	s_branch .LBB344_23
.LBB344_143:
	s_mov_b64 s[20:21], 0
                                        ; implicit-def: $vgpr4
	s_branch .LBB344_253
.LBB344_144:
	s_mov_b64 s[16:17], -1
                                        ; implicit-def: $vgpr2
.LBB344_145:
	s_mov_b64 s[14:15], 0
.LBB344_146:
	s_and_b64 vcc, exec, s[14:15]
	s_cbranch_vccz .LBB344_150
; %bb.147:
	s_cmp_eq_u32 s24, 29
	s_cbranch_scc0 .LBB344_149
; %bb.148:
	global_load_dwordx2 v[2:3], v[0:1], off
	s_movk_i32 s14, 0x7fff
	s_mov_b64 s[0:1], -1
	s_mov_b64 s[16:17], 0
	s_waitcnt vmcnt(0)
	v_ffbh_u32_e32 v5, v3
	v_min_u32_e32 v5, 32, v5
	v_lshlrev_b64 v[2:3], v5, v[2:3]
	v_min_u32_e32 v2, 1, v2
	v_or_b32_e32 v2, v3, v2
	v_cvt_f32_u32_e32 v2, v2
	v_sub_u32_e32 v3, 32, v5
	v_ldexp_f32 v2, v2, v3
	v_bfe_u32 v3, v2, 16, 1
	v_add3_u32 v2, v2, v3, s14
	v_lshrrev_b32_e32 v2, 16, v2
	s_branch .LBB344_150
.LBB344_149:
	s_mov_b64 s[16:17], -1
                                        ; implicit-def: $vgpr2
.LBB344_150:
	s_mov_b64 s[14:15], 0
.LBB344_151:
	s_and_b64 vcc, exec, s[14:15]
	s_cbranch_vccz .LBB344_169
; %bb.152:
	s_cmp_lt_i32 s24, 27
	s_cbranch_scc1 .LBB344_155
; %bb.153:
	s_cmp_gt_i32 s24, 27
	s_cbranch_scc0 .LBB344_156
; %bb.154:
	global_load_dword v2, v[0:1], off
	s_movk_i32 s0, 0x7fff
	s_waitcnt vmcnt(0)
	v_cvt_f32_u32_e32 v2, v2
	v_bfe_u32 v3, v2, 16, 1
	v_add3_u32 v2, v2, v3, s0
	v_lshrrev_b32_e32 v2, 16, v2
	s_mov_b64 s[0:1], 0
	s_branch .LBB344_157
.LBB344_155:
	s_mov_b64 s[0:1], -1
                                        ; implicit-def: $vgpr2
	s_branch .LBB344_160
.LBB344_156:
	s_mov_b64 s[0:1], -1
                                        ; implicit-def: $vgpr2
.LBB344_157:
	s_andn2_b64 vcc, exec, s[0:1]
	s_cbranch_vccnz .LBB344_159
; %bb.158:
	global_load_ushort v2, v[0:1], off
	s_movk_i32 s0, 0x7fff
	s_waitcnt vmcnt(0)
	v_cvt_f32_u32_e32 v2, v2
	v_bfe_u32 v3, v2, 16, 1
	v_add3_u32 v2, v2, v3, s0
	v_lshrrev_b32_e32 v2, 16, v2
.LBB344_159:
	s_mov_b64 s[0:1], 0
.LBB344_160:
	s_andn2_b64 vcc, exec, s[0:1]
	s_cbranch_vccnz .LBB344_168
; %bb.161:
	global_load_ubyte v2, v[0:1], off
	s_movk_i32 s0, 0x7f
	s_waitcnt vmcnt(0)
	v_cmp_lt_i16_e32 vcc, s0, v2
	s_mov_b64 s[0:1], 0
	s_and_saveexec_b64 s[14:15], vcc
	s_xor_b64 s[14:15], exec, s[14:15]
	s_cbranch_execz .LBB344_181
; %bb.162:
	s_movk_i32 s0, 0x80
	v_cmp_eq_u16_e32 vcc, s0, v2
	s_mov_b64 s[0:1], -1
	s_and_saveexec_b64 s[20:21], vcc
; %bb.163:
	s_xor_b64 s[0:1], exec, -1
; %bb.164:
	s_or_b64 exec, exec, s[20:21]
	s_and_b64 s[0:1], s[0:1], exec
	s_or_saveexec_b64 s[14:15], s[14:15]
	v_mov_b32_e32 v3, 0x7f800001
	s_xor_b64 exec, exec, s[14:15]
	s_cbranch_execnz .LBB344_182
.LBB344_165:
	s_or_b64 exec, exec, s[14:15]
	s_and_saveexec_b64 s[14:15], s[0:1]
	s_cbranch_execz .LBB344_167
.LBB344_166:
	v_lshlrev_b32_e32 v3, 24, v2
	v_and_b32_e32 v2, 0xffff, v2
	v_and_b32_e32 v5, 7, v2
	v_ffbh_u32_e32 v7, v5
	v_min_u32_e32 v7, 32, v7
	v_subrev_u32_e32 v8, 28, v7
	v_bfe_u32 v6, v2, 3, 4
	v_lshlrev_b32_e32 v2, v8, v2
	v_sub_u32_e32 v7, 29, v7
	v_and_b32_e32 v2, 7, v2
	v_cmp_eq_u32_e32 vcc, 0, v6
	v_and_b32_e32 v3, 0x80000000, v3
	s_nop 0
	v_cndmask_b32_e32 v6, v6, v7, vcc
	v_cndmask_b32_e32 v2, v5, v2, vcc
	v_mov_b32_e32 v5, 0x3b800000
	v_lshlrev_b32_e32 v2, 20, v2
	v_lshl_add_u32 v5, v6, 23, v5
	v_or3_b32 v3, v3, v5, v2
.LBB344_167:
	s_or_b64 exec, exec, s[14:15]
	v_bfe_u32 v2, v3, 16, 1
	s_movk_i32 s0, 0x7fff
	v_add3_u32 v2, v3, v2, s0
	v_cmp_o_f32_e32 vcc, v3, v3
	v_mov_b32_e32 v3, 0x7fc0
	s_nop 0
	v_cndmask_b32_sdwa v2, v3, v2, vcc dst_sel:DWORD dst_unused:UNUSED_PAD src0_sel:DWORD src1_sel:WORD_1
.LBB344_168:
	s_mov_b64 s[0:1], -1
.LBB344_169:
	s_branch .LBB344_204
.LBB344_170:
	s_cmp_gt_i32 s24, 22
	s_cbranch_scc0 .LBB344_180
; %bb.171:
	s_cmp_lt_i32 s24, 24
	s_cbranch_scc1 .LBB344_183
; %bb.172:
	s_cmp_gt_i32 s24, 24
	s_cbranch_scc0 .LBB344_184
; %bb.173:
	global_load_ubyte v2, v[0:1], off
	s_movk_i32 s0, 0x7f
	s_waitcnt vmcnt(0)
	v_cmp_lt_i16_e32 vcc, s0, v2
	s_mov_b64 s[0:1], 0
	s_and_saveexec_b64 s[14:15], vcc
	s_xor_b64 s[14:15], exec, s[14:15]
	s_cbranch_execz .LBB344_196
; %bb.174:
	s_movk_i32 s0, 0x80
	v_cmp_eq_u16_e32 vcc, s0, v2
	s_mov_b64 s[0:1], -1
	s_and_saveexec_b64 s[20:21], vcc
; %bb.175:
	s_xor_b64 s[0:1], exec, -1
; %bb.176:
	s_or_b64 exec, exec, s[20:21]
	s_and_b64 s[0:1], s[0:1], exec
	s_or_saveexec_b64 s[14:15], s[14:15]
	v_mov_b32_e32 v3, 0x7f800001
	s_xor_b64 exec, exec, s[14:15]
	s_cbranch_execnz .LBB344_197
.LBB344_177:
	s_or_b64 exec, exec, s[14:15]
	s_and_saveexec_b64 s[14:15], s[0:1]
	s_cbranch_execz .LBB344_179
.LBB344_178:
	v_lshlrev_b32_e32 v3, 24, v2
	v_and_b32_e32 v2, 0xffff, v2
	v_and_b32_e32 v5, 3, v2
	v_ffbh_u32_e32 v7, v5
	v_min_u32_e32 v7, 32, v7
	v_subrev_u32_e32 v8, 29, v7
	v_bfe_u32 v6, v2, 2, 5
	v_lshlrev_b32_e32 v2, v8, v2
	v_sub_u32_e32 v7, 30, v7
	v_and_b32_e32 v2, 3, v2
	v_cmp_eq_u32_e32 vcc, 0, v6
	v_and_b32_e32 v3, 0x80000000, v3
	s_nop 0
	v_cndmask_b32_e32 v6, v6, v7, vcc
	v_cndmask_b32_e32 v2, v5, v2, vcc
	v_mov_b32_e32 v5, 0x37800000
	v_lshlrev_b32_e32 v2, 21, v2
	v_lshl_add_u32 v5, v6, 23, v5
	v_or3_b32 v3, v3, v5, v2
.LBB344_179:
	s_or_b64 exec, exec, s[14:15]
	v_bfe_u32 v2, v3, 16, 1
	s_movk_i32 s0, 0x7fff
	v_add3_u32 v2, v3, v2, s0
	v_cmp_o_f32_e32 vcc, v3, v3
	v_mov_b32_e32 v3, 0x7fc0
	s_mov_b64 s[0:1], 0
	v_cndmask_b32_sdwa v2, v3, v2, vcc dst_sel:DWORD dst_unused:UNUSED_PAD src0_sel:DWORD src1_sel:WORD_1
	s_branch .LBB344_185
.LBB344_180:
	s_mov_b64 s[14:15], -1
                                        ; implicit-def: $vgpr2
	s_branch .LBB344_191
.LBB344_181:
	s_or_saveexec_b64 s[14:15], s[14:15]
	v_mov_b32_e32 v3, 0x7f800001
	s_xor_b64 exec, exec, s[14:15]
	s_cbranch_execz .LBB344_165
.LBB344_182:
	v_cmp_ne_u16_e32 vcc, 0, v2
	s_andn2_b64 s[0:1], s[0:1], exec
	s_and_b64 s[20:21], vcc, exec
	v_mov_b32_e32 v3, 0
	s_or_b64 s[0:1], s[0:1], s[20:21]
	s_or_b64 exec, exec, s[14:15]
	s_and_saveexec_b64 s[14:15], s[0:1]
	s_cbranch_execnz .LBB344_166
	s_branch .LBB344_167
.LBB344_183:
	s_mov_b64 s[0:1], -1
                                        ; implicit-def: $vgpr2
	s_branch .LBB344_188
.LBB344_184:
	s_mov_b64 s[0:1], -1
                                        ; implicit-def: $vgpr2
.LBB344_185:
	s_and_b64 vcc, exec, s[0:1]
	s_cbranch_vccz .LBB344_187
; %bb.186:
	global_load_ubyte v2, v[0:1], off
	s_mov_b32 s0, 0x7f800000
	s_brev_b32 s1, 1
	s_movk_i32 s14, 0x7fff
	s_waitcnt vmcnt(0)
	v_lshlrev_b32_e32 v2, 24, v2
	v_and_b32_e32 v3, 0x7f000000, v2
	v_ffbh_u32_e32 v5, v3
	v_min_u32_e32 v5, 32, v5
	v_sub_u32_e64 v5, v5, 4 clamp
	v_lshlrev_b32_e32 v7, v5, v3
	v_lshlrev_b32_e32 v5, 23, v5
	v_lshrrev_b32_e32 v7, 4, v7
	v_add_u32_e32 v6, 0x1000000, v3
	v_sub_u32_e32 v5, v7, v5
	v_ashrrev_i32_e32 v6, 8, v6
	v_add_u32_e32 v5, 0x3c000000, v5
	v_and_or_b32 v5, v6, s0, v5
	v_cmp_ne_u32_e32 vcc, 0, v3
	s_nop 1
	v_cndmask_b32_e32 v3, 0, v5, vcc
	v_and_or_b32 v2, v2, s1, v3
	v_bfe_u32 v3, v3, 16, 1
	v_add3_u32 v3, v2, v3, s14
	v_cmp_o_f32_e32 vcc, v2, v2
	v_mov_b32_e32 v2, 0x7fc0
	s_nop 0
	v_cndmask_b32_sdwa v2, v2, v3, vcc dst_sel:DWORD dst_unused:UNUSED_PAD src0_sel:DWORD src1_sel:WORD_1
.LBB344_187:
	s_mov_b64 s[0:1], 0
.LBB344_188:
	s_andn2_b64 vcc, exec, s[0:1]
	s_cbranch_vccnz .LBB344_190
; %bb.189:
	global_load_ubyte v2, v[0:1], off
	s_movk_i32 s0, 0x7f00
	s_brev_b32 s1, 16
	s_brev_b32 s14, 1
	s_movk_i32 s15, 0x7fff
	s_waitcnt vmcnt(0)
	v_lshlrev_b16_e32 v3, 8, v2
	v_lshlrev_b32_e32 v2, 25, v2
	v_lshrrev_b32_e32 v5, 4, v2
	v_and_or_b32 v6, v3, s0, 0.5
	v_or_b32_e32 v5, 0x70000000, v5
	v_add_f32_e32 v6, -0.5, v6
	v_mul_f32_e32 v5, 0x7800000, v5
	v_cmp_gt_u32_e32 vcc, s1, v2
	v_bfe_i32 v3, v3, 0, 16
	s_nop 0
	v_cndmask_b32_e32 v2, v5, v6, vcc
	v_and_or_b32 v3, v3, s14, v2
	v_bfe_u32 v2, v2, 16, 1
	v_add3_u32 v2, v3, v2, s15
	v_cmp_o_f32_e32 vcc, v3, v3
	v_mov_b32_e32 v3, 0x7fc0
	s_nop 0
	v_cndmask_b32_sdwa v2, v3, v2, vcc dst_sel:DWORD dst_unused:UNUSED_PAD src0_sel:DWORD src1_sel:WORD_1
.LBB344_190:
	s_mov_b64 s[14:15], 0
	s_mov_b64 s[0:1], -1
.LBB344_191:
	s_andn2_b64 vcc, exec, s[14:15]
	s_cbranch_vccnz .LBB344_204
; %bb.192:
	s_cmp_gt_i32 s24, 14
	s_cbranch_scc0 .LBB344_195
; %bb.193:
	s_cmp_eq_u32 s24, 15
	s_cbranch_scc0 .LBB344_198
; %bb.194:
	global_load_ushort v2, v[0:1], off
	s_mov_b64 s[0:1], -1
	s_mov_b64 s[16:17], 0
	s_branch .LBB344_199
.LBB344_195:
	s_mov_b64 s[14:15], -1
                                        ; implicit-def: $vgpr2
	s_branch .LBB344_200
.LBB344_196:
	s_or_saveexec_b64 s[14:15], s[14:15]
	v_mov_b32_e32 v3, 0x7f800001
	s_xor_b64 exec, exec, s[14:15]
	s_cbranch_execz .LBB344_177
.LBB344_197:
	v_cmp_ne_u16_e32 vcc, 0, v2
	s_andn2_b64 s[0:1], s[0:1], exec
	s_and_b64 s[20:21], vcc, exec
	v_mov_b32_e32 v3, 0
	s_or_b64 s[0:1], s[0:1], s[20:21]
	s_or_b64 exec, exec, s[14:15]
	s_and_saveexec_b64 s[14:15], s[0:1]
	s_cbranch_execnz .LBB344_178
	s_branch .LBB344_179
.LBB344_198:
	s_mov_b64 s[16:17], -1
                                        ; implicit-def: $vgpr2
.LBB344_199:
	s_mov_b64 s[14:15], 0
.LBB344_200:
	s_and_b64 vcc, exec, s[14:15]
	s_cbranch_vccz .LBB344_204
; %bb.201:
	s_cmp_eq_u32 s24, 11
	s_cbranch_scc0 .LBB344_203
; %bb.202:
	global_load_ubyte v2, v[0:1], off
	s_mov_b64 s[0:1], -1
	s_mov_b64 s[16:17], 0
	s_waitcnt vmcnt(0)
	v_cmp_ne_u16_e32 vcc, 0, v2
	s_nop 1
	v_cndmask_b32_e64 v2, 0, 1.0, vcc
	v_lshrrev_b32_e32 v2, 16, v2
	s_branch .LBB344_204
.LBB344_203:
	s_mov_b64 s[16:17], -1
                                        ; implicit-def: $vgpr2
.LBB344_204:
	s_branch .LBB344_10
.LBB344_205:
	s_cmp_lt_i32 s24, 5
	s_cbranch_scc1 .LBB344_210
; %bb.206:
	s_cmp_lt_i32 s24, 8
	s_cbranch_scc1 .LBB344_211
; %bb.207:
	s_cmp_lt_i32 s24, 9
	s_cbranch_scc1 .LBB344_212
; %bb.208:
	s_cmp_gt_i32 s24, 9
	s_cbranch_scc0 .LBB344_213
; %bb.209:
	global_load_dwordx2 v[2:3], v[0:1], off
	s_movk_i32 s0, 0x7fff
	v_mov_b32_e32 v5, 0x7fc0
	s_waitcnt vmcnt(0)
	v_cvt_f32_f64_e32 v2, v[2:3]
	v_bfe_u32 v3, v2, 16, 1
	v_cmp_o_f32_e32 vcc, v2, v2
	v_add3_u32 v2, v2, v3, s0
	s_mov_b64 s[0:1], 0
	v_cndmask_b32_sdwa v2, v5, v2, vcc dst_sel:DWORD dst_unused:UNUSED_PAD src0_sel:DWORD src1_sel:WORD_1
	s_branch .LBB344_214
.LBB344_210:
                                        ; implicit-def: $vgpr2
	s_branch .LBB344_232
.LBB344_211:
	s_mov_b64 s[0:1], -1
                                        ; implicit-def: $vgpr2
	s_branch .LBB344_220
.LBB344_212:
	s_mov_b64 s[0:1], -1
                                        ; implicit-def: $vgpr2
	s_branch .LBB344_217
.LBB344_213:
	s_mov_b64 s[0:1], -1
                                        ; implicit-def: $vgpr2
.LBB344_214:
	s_andn2_b64 vcc, exec, s[0:1]
	s_cbranch_vccnz .LBB344_216
; %bb.215:
	global_load_dword v2, v[0:1], off
	s_movk_i32 s0, 0x7fff
	v_mov_b32_e32 v3, 0x7fc0
	s_waitcnt vmcnt(0)
	v_bfe_u32 v5, v2, 16, 1
	v_cmp_o_f32_e32 vcc, v2, v2
	v_add3_u32 v2, v2, v5, s0
	s_nop 0
	v_cndmask_b32_sdwa v2, v3, v2, vcc dst_sel:DWORD dst_unused:UNUSED_PAD src0_sel:DWORD src1_sel:WORD_1
.LBB344_216:
	s_mov_b64 s[0:1], 0
.LBB344_217:
	s_andn2_b64 vcc, exec, s[0:1]
	s_cbranch_vccnz .LBB344_219
; %bb.218:
	global_load_dword v2, v[0:1], off
	s_movk_i32 s0, 0x7fff
	v_mov_b32_e32 v5, 0x7fc0
	s_waitcnt vmcnt(0)
	v_cvt_f32_f16_e32 v3, v2
	v_cmp_o_f16_e32 vcc, v2, v2
	v_bfe_u32 v2, v3, 16, 1
	v_add3_u32 v2, v3, v2, s0
	v_cndmask_b32_sdwa v2, v5, v2, vcc dst_sel:DWORD dst_unused:UNUSED_PAD src0_sel:DWORD src1_sel:WORD_1
.LBB344_219:
	s_mov_b64 s[0:1], 0
.LBB344_220:
	s_andn2_b64 vcc, exec, s[0:1]
	s_cbranch_vccnz .LBB344_231
; %bb.221:
	s_cmp_lt_i32 s24, 6
	s_cbranch_scc1 .LBB344_224
; %bb.222:
	s_cmp_gt_i32 s24, 6
	s_cbranch_scc0 .LBB344_225
; %bb.223:
	global_load_dwordx2 v[2:3], v[0:1], off
	s_movk_i32 s0, 0x7fff
	v_mov_b32_e32 v5, 0x7fc0
	s_waitcnt vmcnt(0)
	v_cvt_f32_f64_e32 v2, v[2:3]
	v_bfe_u32 v3, v2, 16, 1
	v_cmp_o_f32_e32 vcc, v2, v2
	v_add3_u32 v2, v2, v3, s0
	s_mov_b64 s[0:1], 0
	v_cndmask_b32_sdwa v2, v5, v2, vcc dst_sel:DWORD dst_unused:UNUSED_PAD src0_sel:DWORD src1_sel:WORD_1
	s_branch .LBB344_226
.LBB344_224:
	s_mov_b64 s[0:1], -1
                                        ; implicit-def: $vgpr2
	s_branch .LBB344_229
.LBB344_225:
	s_mov_b64 s[0:1], -1
                                        ; implicit-def: $vgpr2
.LBB344_226:
	s_andn2_b64 vcc, exec, s[0:1]
	s_cbranch_vccnz .LBB344_228
; %bb.227:
	global_load_dword v2, v[0:1], off
	s_movk_i32 s0, 0x7fff
	v_mov_b32_e32 v3, 0x7fc0
	s_waitcnt vmcnt(0)
	v_bfe_u32 v5, v2, 16, 1
	v_cmp_o_f32_e32 vcc, v2, v2
	v_add3_u32 v2, v2, v5, s0
	s_nop 0
	v_cndmask_b32_sdwa v2, v3, v2, vcc dst_sel:DWORD dst_unused:UNUSED_PAD src0_sel:DWORD src1_sel:WORD_1
.LBB344_228:
	s_mov_b64 s[0:1], 0
.LBB344_229:
	s_andn2_b64 vcc, exec, s[0:1]
	s_cbranch_vccnz .LBB344_231
; %bb.230:
	global_load_ushort v2, v[0:1], off
	s_movk_i32 s0, 0x7fff
	v_mov_b32_e32 v5, 0x7fc0
	s_waitcnt vmcnt(0)
	v_cvt_f32_f16_e32 v3, v2
	v_cmp_o_f16_e32 vcc, v2, v2
	v_bfe_u32 v2, v3, 16, 1
	v_add3_u32 v2, v3, v2, s0
	v_cndmask_b32_sdwa v2, v5, v2, vcc dst_sel:DWORD dst_unused:UNUSED_PAD src0_sel:DWORD src1_sel:WORD_1
.LBB344_231:
	s_cbranch_execnz .LBB344_251
.LBB344_232:
	s_cmp_lt_i32 s24, 2
	s_cbranch_scc1 .LBB344_236
; %bb.233:
	s_cmp_lt_i32 s24, 3
	s_cbranch_scc1 .LBB344_237
; %bb.234:
	s_cmp_gt_i32 s24, 3
	s_cbranch_scc0 .LBB344_238
; %bb.235:
	global_load_dwordx2 v[2:3], v[0:1], off
	s_movk_i32 s0, 0x7fff
	s_waitcnt vmcnt(0)
	v_xor_b32_e32 v6, v2, v3
	v_ffbh_i32_e32 v5, v3
	v_ashrrev_i32_e32 v6, 31, v6
	v_add_u32_e32 v5, -1, v5
	v_add_u32_e32 v6, 32, v6
	v_min_u32_e32 v5, v5, v6
	v_lshlrev_b64 v[2:3], v5, v[2:3]
	v_min_u32_e32 v2, 1, v2
	v_or_b32_e32 v2, v3, v2
	v_cvt_f32_i32_e32 v2, v2
	v_sub_u32_e32 v3, 32, v5
	v_ldexp_f32 v2, v2, v3
	v_bfe_u32 v3, v2, 16, 1
	v_add3_u32 v2, v2, v3, s0
	v_lshrrev_b32_e32 v2, 16, v2
	s_mov_b64 s[0:1], 0
	s_branch .LBB344_239
.LBB344_236:
	s_mov_b64 s[0:1], -1
                                        ; implicit-def: $vgpr2
	s_branch .LBB344_245
.LBB344_237:
	s_mov_b64 s[0:1], -1
                                        ; implicit-def: $vgpr2
	s_branch .LBB344_242
.LBB344_238:
	s_mov_b64 s[0:1], -1
                                        ; implicit-def: $vgpr2
.LBB344_239:
	s_andn2_b64 vcc, exec, s[0:1]
	s_cbranch_vccnz .LBB344_241
; %bb.240:
	global_load_dword v2, v[0:1], off
	s_movk_i32 s0, 0x7fff
	s_waitcnt vmcnt(0)
	v_cvt_f32_i32_e32 v2, v2
	v_bfe_u32 v3, v2, 16, 1
	v_add3_u32 v2, v2, v3, s0
	v_lshrrev_b32_e32 v2, 16, v2
.LBB344_241:
	s_mov_b64 s[0:1], 0
.LBB344_242:
	s_andn2_b64 vcc, exec, s[0:1]
	s_cbranch_vccnz .LBB344_244
; %bb.243:
	global_load_sshort v2, v[0:1], off
	s_movk_i32 s0, 0x7fff
	s_waitcnt vmcnt(0)
	v_cvt_f32_i32_e32 v2, v2
	v_bfe_u32 v3, v2, 16, 1
	v_add3_u32 v2, v2, v3, s0
	v_lshrrev_b32_e32 v2, 16, v2
.LBB344_244:
	s_mov_b64 s[0:1], 0
.LBB344_245:
	s_andn2_b64 vcc, exec, s[0:1]
	s_cbranch_vccnz .LBB344_251
; %bb.246:
	s_cmp_gt_i32 s24, 0
	s_cbranch_scc0 .LBB344_248
; %bb.247:
	global_load_sbyte v2, v[0:1], off
	s_movk_i32 s0, 0x7fff
	s_waitcnt vmcnt(0)
	v_cvt_f32_i32_e32 v2, v2
	v_bfe_u32 v3, v2, 16, 1
	v_add3_u32 v2, v2, v3, s0
	v_lshrrev_b32_e32 v2, 16, v2
	s_mov_b64 s[0:1], 0
	s_branch .LBB344_249
.LBB344_248:
	s_mov_b64 s[0:1], -1
                                        ; implicit-def: $vgpr2
.LBB344_249:
	s_andn2_b64 vcc, exec, s[0:1]
	s_cbranch_vccnz .LBB344_251
; %bb.250:
	global_load_ubyte v0, v[0:1], off
	s_movk_i32 s0, 0x7fff
	s_waitcnt vmcnt(0)
	v_cvt_f32_ubyte0_e32 v0, v0
	v_bfe_u32 v1, v0, 16, 1
	v_add3_u32 v0, v0, v1, s0
	v_lshrrev_b32_e32 v2, 16, v0
.LBB344_251:
	s_branch .LBB344_11
.LBB344_252:
	s_mov_b64 s[0:1], 0
                                        ; implicit-def: $vgpr4
	s_mov_b64 s[20:21], 0
.LBB344_253:
	s_and_b64 s[14:15], s[0:1], exec
	s_and_b64 s[16:17], s[16:17], exec
	s_orn2_b64 s[20:21], s[20:21], exec
.LBB344_254:
	s_or_b64 exec, exec, s[18:19]
	s_mov_b64 s[24:25], 0
	s_mov_b64 s[0:1], 0
                                        ; implicit-def: $vgpr0_vgpr1
                                        ; implicit-def: $vgpr2
	s_and_saveexec_b64 s[18:19], s[20:21]
	s_cbranch_execz .LBB344_263
; %bb.255:
	v_cmp_gt_i32_e32 vcc, s40, v4
	s_mov_b64 s[0:1], -1
	s_mov_b64 s[20:21], s[16:17]
	s_mov_b64 s[22:23], s[14:15]
	s_and_saveexec_b64 s[24:25], vcc
	s_cbranch_execz .LBB344_517
; %bb.256:
	v_mul_lo_u32 v0, v4, s9
	v_ashrrev_i32_e32 v1, 31, v0
	s_and_b32 s28, 0xffff, s45
	s_cmp_lt_i32 s28, 11
	v_lshl_add_u64 v[0:1], s[6:7], 0, v[0:1]
	s_cbranch_scc1 .LBB344_266
; %bb.257:
	s_cmp_gt_i32 s28, 25
	s_cbranch_scc0 .LBB344_277
; %bb.258:
	s_cmp_gt_i32 s28, 28
	s_cbranch_scc0 .LBB344_279
	;; [unrolled: 3-line block ×4, first 2 shown]
; %bb.261:
	s_cmp_eq_u32 s28, 46
	s_mov_b64 s[22:23], 0
	s_cbranch_scc0 .LBB344_289
; %bb.262:
	global_load_dword v2, v[0:1], off
	s_mov_b64 s[20:21], 0
	s_branch .LBB344_290
.LBB344_263:
	s_or_b64 exec, exec, s[18:19]
	s_mov_b64 s[18:19], 0
	s_and_saveexec_b64 s[20:21], s[16:17]
	s_cbranch_execnz .LBB344_865
.LBB344_264:
	s_or_b64 exec, exec, s[20:21]
	s_and_saveexec_b64 s[16:17], s[22:23]
	s_xor_b64 s[16:17], exec, s[16:17]
	s_cbranch_execz .LBB344_866
.LBB344_265:
	global_load_ubyte v2, v[0:1], off
	s_or_b64 s[0:1], s[0:1], exec
	s_waitcnt vmcnt(0)
	v_cmp_ne_u16_e32 vcc, 0, v2
	s_nop 1
	v_cndmask_b32_e64 v2, 0, 1.0, vcc
	v_lshrrev_b32_e32 v2, 16, v2
	s_or_b64 exec, exec, s[16:17]
	s_and_saveexec_b64 s[16:17], s[24:25]
	s_cbranch_execz .LBB344_912
	s_branch .LBB344_867
.LBB344_266:
	s_mov_b64 s[0:1], 0
                                        ; implicit-def: $vgpr2
	s_mov_b64 s[20:21], s[16:17]
	s_cbranch_execnz .LBB344_467
.LBB344_267:
	s_andn2_b64 vcc, exec, s[0:1]
	s_cbranch_vccnz .LBB344_515
.LBB344_268:
	s_waitcnt vmcnt(0)
	v_lshlrev_b32_e32 v0, 16, v2
	v_cmp_o_f32_e32 vcc, v0, v0
	s_and_saveexec_b64 s[0:1], vcc
; %bb.269:
	v_mov_b32_e32 v1, s44
	v_cmp_lt_f32_e32 vcc, s46, v0
	s_nop 1
	v_cndmask_b32_e32 v0, v1, v2, vcc
	v_lshlrev_b32_e32 v1, 16, v0
	v_mov_b32_e32 v2, s33
	v_cmp_gt_f32_e32 vcc, s10, v1
	s_nop 1
	v_cndmask_b32_e32 v2, v2, v0, vcc
; %bb.270:
	s_or_b64 exec, exec, s[0:1]
	v_mul_lo_u32 v0, v4, s8
	v_ashrrev_i32_e32 v1, 31, v0
	s_and_b32 s30, s11, 0xff
	s_cmp_lt_i32 s30, 11
	v_lshl_add_u64 v[0:1], s[4:5], 0, v[0:1]
	s_cbranch_scc1 .LBB344_278
; %bb.271:
	s_and_b32 s31, 0xffff, s30
	s_cmp_gt_i32 s31, 25
	s_cbranch_scc0 .LBB344_280
; %bb.272:
	s_cmp_gt_i32 s31, 28
	s_cbranch_scc0 .LBB344_282
; %bb.273:
	;; [unrolled: 3-line block ×4, first 2 shown]
	s_mov_b64 s[26:27], 0
	s_mov_b64 s[0:1], -1
	s_cmp_eq_u32 s31, 46
	s_mov_b64 s[22:23], 0
	s_cbranch_scc0 .LBB344_294
; %bb.276:
	v_and_b32_e32 v3, 0xffff, v2
	global_store_dword v[0:1], v3, off
	s_mov_b64 s[22:23], -1
	s_mov_b64 s[0:1], 0
	s_branch .LBB344_294
.LBB344_277:
	s_mov_b64 s[22:23], -1
	s_mov_b64 s[0:1], 0
	s_mov_b64 s[20:21], s[16:17]
                                        ; implicit-def: $vgpr2
	s_branch .LBB344_431
.LBB344_278:
	s_mov_b64 s[26:27], -1
	s_mov_b64 s[22:23], 0
	s_mov_b64 s[0:1], s[14:15]
	s_branch .LBB344_363
.LBB344_279:
	s_mov_b64 s[22:23], -1
	s_mov_b64 s[0:1], 0
	s_mov_b64 s[20:21], s[16:17]
                                        ; implicit-def: $vgpr2
	s_branch .LBB344_412
.LBB344_280:
	s_mov_b64 s[26:27], -1
	s_mov_b64 s[22:23], 0
	s_mov_b64 s[0:1], s[14:15]
	s_branch .LBB344_321
.LBB344_281:
	s_mov_b64 s[22:23], -1
	s_mov_b64 s[0:1], 0
	s_mov_b64 s[20:21], s[16:17]
                                        ; implicit-def: $vgpr2
	s_branch .LBB344_407
.LBB344_282:
	s_mov_b64 s[26:27], -1
	s_mov_b64 s[22:23], 0
	s_mov_b64 s[0:1], s[14:15]
	s_branch .LBB344_304
.LBB344_283:
	s_andn2_saveexec_b64 s[24:25], s[24:25]
	s_cbranch_execz .LBB344_57
.LBB344_284:
	s_mov_b32 s28, 0x46000000
	v_add_f32_e64 v5, |v6|, s28
	v_and_b32_e32 v5, 0xff, v5
	v_cmp_ne_u32_e32 vcc, 0, v5
	s_andn2_b64 s[20:21], s[20:21], exec
	s_and_b64 s[28:29], vcc, exec
	s_or_b64 s[20:21], s[20:21], s[28:29]
	s_or_b64 exec, exec, s[24:25]
	v_mov_b32_e32 v7, 0
	s_and_saveexec_b64 s[24:25], s[20:21]
	s_cbranch_execnz .LBB344_58
	s_branch .LBB344_59
.LBB344_285:
	s_mov_b64 s[22:23], -1
	s_mov_b64 s[0:1], 0
	s_mov_b64 s[20:21], s[16:17]
                                        ; implicit-def: $vgpr2
	s_branch .LBB344_290
.LBB344_286:
	s_mov_b64 s[26:27], -1
	s_mov_b64 s[22:23], 0
	s_mov_b64 s[0:1], s[14:15]
	s_branch .LBB344_300
.LBB344_287:
	s_andn2_saveexec_b64 s[24:25], s[24:25]
	s_cbranch_execz .LBB344_70
.LBB344_288:
	s_mov_b32 s28, 0x42800000
	v_add_f32_e64 v5, |v6|, s28
	v_and_b32_e32 v5, 0xff, v5
	v_cmp_ne_u32_e32 vcc, 0, v5
	s_andn2_b64 s[20:21], s[20:21], exec
	s_and_b64 s[28:29], vcc, exec
	s_or_b64 s[20:21], s[20:21], s[28:29]
	s_or_b64 exec, exec, s[24:25]
	v_mov_b32_e32 v7, 0
	s_and_saveexec_b64 s[24:25], s[20:21]
	s_cbranch_execnz .LBB344_71
	s_branch .LBB344_72
.LBB344_289:
	s_mov_b64 s[20:21], -1
                                        ; implicit-def: $vgpr2
	s_mov_b64 s[0:1], 0
.LBB344_290:
	s_and_b64 vcc, exec, s[22:23]
	s_cbranch_vccz .LBB344_406
; %bb.291:
	s_cmp_eq_u32 s28, 44
	s_cbranch_scc0 .LBB344_405
; %bb.292:
	global_load_ubyte v2, v[0:1], off
	s_movk_i32 s20, 0xff
	v_mov_b32_e32 v3, 0x7f800001
	v_mov_b32_e32 v5, 0x400000
	;; [unrolled: 1-line block ×3, first 2 shown]
	s_mov_b64 s[0:1], -1
	s_waitcnt vmcnt(0)
	v_lshlrev_b32_e32 v7, 23, v2
	v_cmp_ne_u32_e32 vcc, s20, v2
	s_mov_b64 s[20:21], 0
	s_nop 0
	v_cndmask_b32_e32 v3, v3, v7, vcc
	v_cmp_ne_u32_e32 vcc, 0, v2
	s_nop 1
	v_cndmask_b32_e32 v2, v5, v3, vcc
	v_add_u32_e32 v3, 0x7fff, v2
	v_cmp_o_f32_e32 vcc, v2, v2
	s_nop 1
	v_cndmask_b32_sdwa v2, v6, v3, vcc dst_sel:DWORD dst_unused:UNUSED_PAD src0_sel:DWORD src1_sel:WORD_1
	s_branch .LBB344_406
.LBB344_293:
	s_mov_b64 s[26:27], -1
	s_mov_b64 s[22:23], 0
	s_mov_b64 s[0:1], s[14:15]
.LBB344_294:
	s_and_b64 vcc, exec, s[26:27]
	s_cbranch_vccz .LBB344_299
; %bb.295:
	s_cmp_eq_u32 s31, 44
	s_mov_b64 s[0:1], -1
	s_cbranch_scc0 .LBB344_299
; %bb.296:
	v_and_b32_e32 v5, 0xffff, v2
	v_bfe_u32 v3, v5, 7, 8
	s_movk_i32 s0, 0xff
	v_cmp_ne_u32_e32 vcc, s0, v3
	v_mov_b32_e32 v6, 0xff
	s_and_saveexec_b64 s[22:23], vcc
	s_cbranch_execz .LBB344_298
; %bb.297:
	v_lshlrev_b32_e32 v7, 16, v5
	s_mov_b32 s0, 0x3f0000
	v_lshrrev_b32_e32 v6, 7, v5
	v_and_b32_e32 v5, 64, v5
	v_and_or_b32 v3, v7, s0, v3
	v_cmp_ne_u32_e32 vcc, 0, v5
	v_cmp_ne_u32_e64 s[0:1], 0, v3
	s_and_b64 s[0:1], vcc, s[0:1]
	s_nop 0
	v_cndmask_b32_e64 v3, 0, 1, s[0:1]
	v_add_u32_e32 v6, v6, v3
.LBB344_298:
	s_or_b64 exec, exec, s[22:23]
	s_mov_b64 s[22:23], -1
	s_mov_b64 s[0:1], 0
	global_store_byte v[0:1], v6, off
.LBB344_299:
	s_mov_b64 s[26:27], 0
.LBB344_300:
	s_and_b64 vcc, exec, s[26:27]
	s_cbranch_vccz .LBB344_303
; %bb.301:
	s_cmp_eq_u32 s31, 29
	s_mov_b64 s[0:1], -1
	s_cbranch_scc0 .LBB344_303
; %bb.302:
	v_lshlrev_b32_e32 v3, 16, v2
	v_trunc_f32_e32 v3, v3
	v_mul_f32_e32 v5, 0x2f800000, v3
	v_floor_f32_e32 v5, v5
	v_fmamk_f32 v3, v5, 0xcf800000, v3
	v_cvt_u32_f32_e32 v7, v5
	v_cvt_u32_f32_e32 v6, v3
	s_mov_b64 s[22:23], -1
	s_mov_b64 s[0:1], 0
	s_mov_b64 s[26:27], 0
	global_store_dwordx2 v[0:1], v[6:7], off
	s_branch .LBB344_304
.LBB344_303:
	s_mov_b64 s[26:27], 0
.LBB344_304:
	s_and_b64 vcc, exec, s[26:27]
	s_cbranch_vccz .LBB344_320
; %bb.305:
	s_cmp_lt_i32 s31, 27
	s_mov_b64 s[22:23], -1
	s_cbranch_scc1 .LBB344_311
; %bb.306:
	s_cmp_gt_i32 s31, 27
	s_cbranch_scc0 .LBB344_308
; %bb.307:
	v_lshlrev_b32_e32 v3, 16, v2
	v_cvt_u32_f32_e32 v3, v3
	s_mov_b64 s[22:23], 0
	global_store_dword v[0:1], v3, off
.LBB344_308:
	s_andn2_b64 vcc, exec, s[22:23]
	s_cbranch_vccnz .LBB344_310
; %bb.309:
	v_lshlrev_b32_e32 v3, 16, v2
	v_cvt_u32_f32_e32 v3, v3
	global_store_short v[0:1], v3, off
.LBB344_310:
	s_mov_b64 s[22:23], 0
.LBB344_311:
	s_andn2_b64 vcc, exec, s[22:23]
	s_cbranch_vccnz .LBB344_319
; %bb.312:
	v_lshlrev_b32_e32 v6, 16, v2
	v_and_b32_e32 v5, 0x7fffffff, v6
	s_mov_b32 s22, 0x43800000
	v_cmp_gt_u32_e32 vcc, s22, v5
	v_mov_b32_e32 v7, 0x80
	s_and_saveexec_b64 s[22:23], vcc
	s_cbranch_execz .LBB344_318
; %bb.313:
	s_mov_b32 s26, 0x3bffffff
	v_and_b32_e32 v3, 0xffff, v2
	v_cmp_lt_u32_e32 vcc, s26, v5
	s_mov_b64 s[26:27], 0
                                        ; implicit-def: $vgpr5
	s_and_saveexec_b64 s[28:29], vcc
	s_xor_b64 s[28:29], exec, s[28:29]
	s_cbranch_execz .LBB344_530
; %bb.314:
	v_bfe_u32 v5, v3, 4, 1
	s_mov_b32 s34, 0x487ffff
	v_add3_u32 v5, v6, v5, s34
	s_mov_b64 s[26:27], exec
	v_lshrrev_b32_e32 v5, 20, v5
                                        ; implicit-def: $vgpr6
	s_andn2_saveexec_b64 s[28:29], s[28:29]
	s_cbranch_execnz .LBB344_531
.LBB344_315:
	s_or_b64 exec, exec, s[28:29]
	v_mov_b32_e32 v7, 0
	s_and_saveexec_b64 s[28:29], s[26:27]
.LBB344_316:
	v_lshrrev_b32_e32 v3, 8, v3
	s_movk_i32 s26, 0x80
	v_and_or_b32 v7, v3, s26, v5
.LBB344_317:
	s_or_b64 exec, exec, s[28:29]
.LBB344_318:
	s_or_b64 exec, exec, s[22:23]
	global_store_byte v[0:1], v7, off
.LBB344_319:
	s_mov_b64 s[22:23], -1
.LBB344_320:
	s_mov_b64 s[26:27], 0
.LBB344_321:
	s_and_b64 vcc, exec, s[26:27]
	s_cbranch_vccz .LBB344_362
; %bb.322:
	s_cmp_gt_i32 s31, 22
	s_mov_b64 s[26:27], -1
	s_cbranch_scc0 .LBB344_354
; %bb.323:
	s_cmp_lt_i32 s31, 24
	s_mov_b64 s[22:23], -1
	s_cbranch_scc1 .LBB344_343
; %bb.324:
	s_cmp_gt_i32 s31, 24
	s_cbranch_scc0 .LBB344_332
; %bb.325:
	v_lshlrev_b32_e32 v6, 16, v2
	v_and_b32_e32 v5, 0x7fffffff, v6
	s_mov_b32 s22, 0x47800000
	v_cmp_gt_u32_e32 vcc, s22, v5
	v_mov_b32_e32 v7, 0x80
	s_and_saveexec_b64 s[22:23], vcc
	s_cbranch_execz .LBB344_331
; %bb.326:
	s_mov_b32 s26, 0x37ffffff
	v_and_b32_e32 v3, 0xffff, v2
	v_cmp_lt_u32_e32 vcc, s26, v5
	s_mov_b64 s[26:27], 0
                                        ; implicit-def: $vgpr5
	s_and_saveexec_b64 s[28:29], vcc
	s_xor_b64 s[28:29], exec, s[28:29]
	s_cbranch_execz .LBB344_533
; %bb.327:
	v_bfe_u32 v5, v3, 5, 1
	s_mov_b32 s34, 0x88fffff
	v_add3_u32 v5, v6, v5, s34
	s_mov_b64 s[26:27], exec
	v_lshrrev_b32_e32 v5, 21, v5
                                        ; implicit-def: $vgpr6
	s_andn2_saveexec_b64 s[28:29], s[28:29]
	s_cbranch_execnz .LBB344_534
.LBB344_328:
	s_or_b64 exec, exec, s[28:29]
	v_mov_b32_e32 v7, 0
	s_and_saveexec_b64 s[28:29], s[26:27]
.LBB344_329:
	v_lshrrev_b32_e32 v3, 8, v3
	s_movk_i32 s26, 0x80
	v_and_or_b32 v7, v3, s26, v5
.LBB344_330:
	s_or_b64 exec, exec, s[28:29]
.LBB344_331:
	s_or_b64 exec, exec, s[22:23]
	s_mov_b64 s[22:23], 0
	global_store_byte v[0:1], v7, off
.LBB344_332:
	s_and_b64 vcc, exec, s[22:23]
	s_cbranch_vccz .LBB344_342
; %bb.333:
	v_lshlrev_b32_e32 v6, 16, v2
	v_and_b32_e32 v7, 0x7fffffff, v6
	s_mov_b32 s22, 0x43f00000
	v_and_b32_e32 v3, 0xffff, v2
	v_cmp_gt_u32_e32 vcc, s22, v7
                                        ; implicit-def: $vgpr5
	s_and_saveexec_b64 s[22:23], vcc
	s_xor_b64 s[22:23], exec, s[22:23]
	s_cbranch_execz .LBB344_339
; %bb.334:
	s_mov_b32 s26, 0x3c7fffff
	v_cmp_lt_u32_e32 vcc, s26, v7
                                        ; implicit-def: $vgpr5
	s_and_saveexec_b64 s[26:27], vcc
	s_xor_b64 s[26:27], exec, s[26:27]
; %bb.335:
	v_bfe_u32 v5, v3, 4, 1
	s_mov_b32 s28, 0x407ffff
	v_add3_u32 v5, v6, v5, s28
	v_lshrrev_b32_e32 v6, 20, v5
	v_and_b32_e32 v5, 0xff00000, v5
	s_mov_b32 s28, 0x7f00000
	v_mov_b32_e32 v7, 0x7e
	v_cmp_ne_u32_e32 vcc, s28, v5
	s_nop 1
	v_cndmask_b32_e32 v5, v7, v6, vcc
                                        ; implicit-def: $vgpr6
; %bb.336:
	s_andn2_saveexec_b64 s[26:27], s[26:27]
; %bb.337:
	s_mov_b32 s28, 0x46800000
	v_add_f32_e64 v5, |v6|, s28
; %bb.338:
	s_or_b64 exec, exec, s[26:27]
                                        ; implicit-def: $vgpr7
.LBB344_339:
	s_andn2_saveexec_b64 s[22:23], s[22:23]
; %bb.340:
	s_mov_b32 s26, 0x7f800000
	v_mov_b32_e32 v5, 0x7e
	v_mov_b32_e32 v6, 0x7f
	v_cmp_lt_u32_e32 vcc, s26, v7
	s_nop 1
	v_cndmask_b32_e32 v5, v5, v6, vcc
; %bb.341:
	s_or_b64 exec, exec, s[22:23]
	v_lshrrev_b32_e32 v3, 8, v3
	s_movk_i32 s22, 0x80
	v_and_or_b32 v3, v3, s22, v5
	global_store_byte v[0:1], v3, off
.LBB344_342:
	s_mov_b64 s[22:23], 0
.LBB344_343:
	s_andn2_b64 vcc, exec, s[22:23]
	s_cbranch_vccnz .LBB344_353
; %bb.344:
	v_lshlrev_b32_e32 v6, 16, v2
	v_and_b32_e32 v7, 0x7fffffff, v6
	s_mov_b32 s22, 0x47800000
	v_and_b32_e32 v3, 0xffff, v2
	v_cmp_gt_u32_e32 vcc, s22, v7
                                        ; implicit-def: $vgpr5
	s_and_saveexec_b64 s[22:23], vcc
	s_xor_b64 s[22:23], exec, s[22:23]
	s_cbranch_execz .LBB344_350
; %bb.345:
	s_mov_b32 s26, 0x387fffff
	v_cmp_lt_u32_e32 vcc, s26, v7
                                        ; implicit-def: $vgpr5
	s_and_saveexec_b64 s[26:27], vcc
	s_xor_b64 s[26:27], exec, s[26:27]
; %bb.346:
	v_bfe_u32 v5, v3, 5, 1
	s_mov_b32 s28, 0x80fffff
	v_add3_u32 v5, v6, v5, s28
	v_lshrrev_b32_e32 v5, 21, v5
                                        ; implicit-def: $vgpr6
; %bb.347:
	s_andn2_saveexec_b64 s[26:27], s[26:27]
; %bb.348:
	s_mov_b32 s28, 0x43000000
	v_add_f32_e64 v5, |v6|, s28
; %bb.349:
	s_or_b64 exec, exec, s[26:27]
                                        ; implicit-def: $vgpr7
.LBB344_350:
	s_andn2_saveexec_b64 s[22:23], s[22:23]
; %bb.351:
	s_mov_b32 s26, 0x7f800000
	v_mov_b32_e32 v5, 0x7c
	v_mov_b32_e32 v6, 0x7f
	v_cmp_lt_u32_e32 vcc, s26, v7
	s_nop 1
	v_cndmask_b32_e32 v5, v5, v6, vcc
; %bb.352:
	s_or_b64 exec, exec, s[22:23]
	v_lshrrev_b32_e32 v3, 8, v3
	s_movk_i32 s22, 0x80
	v_and_or_b32 v3, v3, s22, v5
	global_store_byte v[0:1], v3, off
.LBB344_353:
	s_mov_b64 s[26:27], 0
	s_mov_b64 s[22:23], -1
.LBB344_354:
	s_andn2_b64 vcc, exec, s[26:27]
	s_cbranch_vccnz .LBB344_362
; %bb.355:
	s_cmp_gt_i32 s31, 14
	s_mov_b64 s[26:27], -1
	s_cbranch_scc0 .LBB344_359
; %bb.356:
	s_cmp_eq_u32 s31, 15
	s_mov_b64 s[0:1], -1
	s_cbranch_scc0 .LBB344_358
; %bb.357:
	global_store_short v[0:1], v2, off
	s_mov_b64 s[22:23], -1
	s_mov_b64 s[0:1], 0
.LBB344_358:
	s_mov_b64 s[26:27], 0
.LBB344_359:
	s_and_b64 vcc, exec, s[26:27]
	s_cbranch_vccz .LBB344_362
; %bb.360:
	s_cmp_eq_u32 s31, 11
	s_mov_b64 s[0:1], -1
	s_cbranch_scc0 .LBB344_362
; %bb.361:
	v_and_b32_e32 v3, 0x7fff, v2
	v_cmp_ne_u16_e32 vcc, 0, v3
	s_mov_b64 s[22:23], -1
	s_mov_b64 s[0:1], 0
	v_cndmask_b32_e64 v3, 0, 1, vcc
	global_store_byte v[0:1], v3, off
.LBB344_362:
	s_mov_b64 s[26:27], 0
.LBB344_363:
	s_and_b64 vcc, exec, s[26:27]
	s_cbranch_vccz .LBB344_402
; %bb.364:
	s_and_b32 s26, 0xffff, s30
	s_cmp_lt_i32 s26, 5
	s_mov_b64 s[22:23], -1
	s_cbranch_scc1 .LBB344_385
; %bb.365:
	s_cmp_lt_i32 s26, 8
	s_cbranch_scc1 .LBB344_375
; %bb.366:
	s_cmp_lt_i32 s26, 9
	s_cbranch_scc1 .LBB344_372
; %bb.367:
	s_cmp_gt_i32 s26, 9
	s_cbranch_scc0 .LBB344_369
; %bb.368:
	v_lshlrev_b32_e32 v3, 16, v2
	v_mov_b32_e32 v8, 0
	v_cvt_f64_f32_e32 v[6:7], v3
	v_mov_b32_e32 v9, v8
	s_mov_b64 s[22:23], 0
	global_store_dwordx4 v[0:1], v[6:9], off
.LBB344_369:
	s_andn2_b64 vcc, exec, s[22:23]
	s_cbranch_vccnz .LBB344_371
; %bb.370:
	v_lshlrev_b32_e32 v6, 16, v2
	v_mov_b32_e32 v7, 0
	global_store_dwordx2 v[0:1], v[6:7], off
.LBB344_371:
	s_mov_b64 s[22:23], 0
.LBB344_372:
	s_andn2_b64 vcc, exec, s[22:23]
	s_cbranch_vccnz .LBB344_374
; %bb.373:
	v_lshlrev_b32_e32 v3, 16, v2
	v_cvt_f16_f32_e32 v3, v3
	global_store_dword v[0:1], v3, off
.LBB344_374:
	s_mov_b64 s[22:23], 0
.LBB344_375:
	s_andn2_b64 vcc, exec, s[22:23]
	s_cbranch_vccnz .LBB344_384
; %bb.376:
	s_cmp_lt_i32 s26, 6
	s_mov_b64 s[22:23], -1
	s_cbranch_scc1 .LBB344_382
; %bb.377:
	s_cmp_gt_i32 s26, 6
	s_cbranch_scc0 .LBB344_379
; %bb.378:
	v_lshlrev_b32_e32 v3, 16, v2
	v_cvt_f64_f32_e32 v[6:7], v3
	s_mov_b64 s[22:23], 0
	global_store_dwordx2 v[0:1], v[6:7], off
.LBB344_379:
	s_andn2_b64 vcc, exec, s[22:23]
	s_cbranch_vccnz .LBB344_381
; %bb.380:
	v_lshlrev_b32_e32 v3, 16, v2
	global_store_dword v[0:1], v3, off
.LBB344_381:
	s_mov_b64 s[22:23], 0
.LBB344_382:
	s_andn2_b64 vcc, exec, s[22:23]
	s_cbranch_vccnz .LBB344_384
; %bb.383:
	v_lshlrev_b32_e32 v3, 16, v2
	v_cvt_f16_f32_e32 v3, v3
	global_store_short v[0:1], v3, off
.LBB344_384:
	s_mov_b64 s[22:23], 0
.LBB344_385:
	s_andn2_b64 vcc, exec, s[22:23]
	s_cbranch_vccnz .LBB344_401
; %bb.386:
	s_cmp_lt_i32 s26, 2
	s_mov_b64 s[22:23], -1
	s_cbranch_scc1 .LBB344_396
; %bb.387:
	s_cmp_lt_i32 s26, 3
	s_cbranch_scc1 .LBB344_393
; %bb.388:
	s_cmp_gt_i32 s26, 3
	s_cbranch_scc0 .LBB344_390
; %bb.389:
	v_lshlrev_b32_e32 v3, 16, v2
	v_trunc_f32_e32 v3, v3
	s_mov_b32 s22, 0x2f800000
	v_mul_f32_e64 v5, |v3|, s22
	v_floor_f32_e32 v5, v5
	s_mov_b32 s22, 0xcf800000
	v_cvt_u32_f32_e32 v6, v5
	v_fma_f32 v5, v5, s22, |v3|
	v_cvt_u32_f32_e32 v5, v5
	v_ashrrev_i32_e32 v3, 31, v3
	v_xor_b32_e32 v7, v6, v3
	s_mov_b64 s[22:23], 0
	v_xor_b32_e32 v5, v5, v3
	v_sub_co_u32_e32 v6, vcc, v5, v3
	s_nop 1
	v_subb_co_u32_e32 v7, vcc, v7, v3, vcc
	global_store_dwordx2 v[0:1], v[6:7], off
.LBB344_390:
	s_andn2_b64 vcc, exec, s[22:23]
	s_cbranch_vccnz .LBB344_392
; %bb.391:
	v_lshlrev_b32_e32 v3, 16, v2
	v_cvt_i32_f32_e32 v3, v3
	global_store_dword v[0:1], v3, off
.LBB344_392:
	s_mov_b64 s[22:23], 0
.LBB344_393:
	s_andn2_b64 vcc, exec, s[22:23]
	s_cbranch_vccnz .LBB344_395
; %bb.394:
	v_lshlrev_b32_e32 v3, 16, v2
	v_cvt_i32_f32_e32 v3, v3
	global_store_short v[0:1], v3, off
.LBB344_395:
	s_mov_b64 s[22:23], 0
.LBB344_396:
	s_andn2_b64 vcc, exec, s[22:23]
	s_cbranch_vccnz .LBB344_401
; %bb.397:
	s_mov_b64 s[22:23], -1
	s_cmp_gt_i32 s26, 0
	v_lshlrev_b32_e32 v2, 16, v2
	s_cbranch_scc0 .LBB344_399
; %bb.398:
	v_cvt_i32_f32_e32 v3, v2
	s_mov_b64 s[22:23], 0
	global_store_byte v[0:1], v3, off
.LBB344_399:
	s_andn2_b64 vcc, exec, s[22:23]
	s_cbranch_vccnz .LBB344_401
; %bb.400:
	v_trunc_f32_e32 v2, v2
	s_mov_b32 s22, 0x2f800000
	v_mul_f32_e64 v3, |v2|, s22
	v_floor_f32_e32 v3, v3
	s_mov_b32 s22, 0xcf800000
	v_fma_f32 v3, v3, s22, |v2|
	v_cvt_u32_f32_e32 v3, v3
	v_ashrrev_i32_e32 v2, 31, v2
	v_xor_b32_e32 v3, v3, v2
	v_sub_u32_e32 v2, v3, v2
	global_store_byte v[0:1], v2, off
.LBB344_401:
	s_mov_b64 s[22:23], -1
.LBB344_402:
	s_andn2_b64 vcc, exec, s[22:23]
	s_cbranch_vccnz .LBB344_404
; %bb.403:
	v_add_u32_e32 v4, 0x80, v4
	s_mov_b64 s[26:27], -1
	s_branch .LBB344_516
.LBB344_404:
	s_mov_b64 s[26:27], 0
                                        ; implicit-def: $vgpr4
	s_branch .LBB344_516
.LBB344_405:
	s_mov_b64 s[20:21], -1
                                        ; implicit-def: $vgpr2
.LBB344_406:
	s_mov_b64 s[22:23], 0
.LBB344_407:
	s_and_b64 vcc, exec, s[22:23]
	s_cbranch_vccz .LBB344_411
; %bb.408:
	s_cmp_eq_u32 s28, 29
	s_cbranch_scc0 .LBB344_410
; %bb.409:
	global_load_dwordx2 v[2:3], v[0:1], off
	s_movk_i32 s20, 0x7fff
	s_mov_b64 s[0:1], -1
	s_mov_b64 s[22:23], 0
	s_waitcnt vmcnt(0)
	v_ffbh_u32_e32 v5, v3
	v_min_u32_e32 v5, 32, v5
	v_lshlrev_b64 v[2:3], v5, v[2:3]
	v_min_u32_e32 v2, 1, v2
	v_or_b32_e32 v2, v3, v2
	v_cvt_f32_u32_e32 v2, v2
	v_sub_u32_e32 v3, 32, v5
	v_ldexp_f32 v2, v2, v3
	v_bfe_u32 v3, v2, 16, 1
	v_add3_u32 v2, v2, v3, s20
	v_lshrrev_b32_e32 v2, 16, v2
	s_mov_b64 s[20:21], 0
	s_branch .LBB344_412
.LBB344_410:
	s_mov_b64 s[20:21], -1
                                        ; implicit-def: $vgpr2
.LBB344_411:
	s_mov_b64 s[22:23], 0
.LBB344_412:
	s_and_b64 vcc, exec, s[22:23]
	s_cbranch_vccz .LBB344_430
; %bb.413:
	s_cmp_lt_i32 s28, 27
	s_cbranch_scc1 .LBB344_416
; %bb.414:
	s_cmp_gt_i32 s28, 27
	s_cbranch_scc0 .LBB344_417
; %bb.415:
	global_load_dword v2, v[0:1], off
	s_movk_i32 s0, 0x7fff
	s_waitcnt vmcnt(0)
	v_cvt_f32_u32_e32 v2, v2
	v_bfe_u32 v3, v2, 16, 1
	v_add3_u32 v2, v2, v3, s0
	v_lshrrev_b32_e32 v2, 16, v2
	s_mov_b64 s[0:1], 0
	s_branch .LBB344_418
.LBB344_416:
	s_mov_b64 s[0:1], -1
                                        ; implicit-def: $vgpr2
	s_branch .LBB344_421
.LBB344_417:
	s_mov_b64 s[0:1], -1
                                        ; implicit-def: $vgpr2
.LBB344_418:
	s_andn2_b64 vcc, exec, s[0:1]
	s_cbranch_vccnz .LBB344_420
; %bb.419:
	global_load_ushort v2, v[0:1], off
	s_movk_i32 s0, 0x7fff
	s_waitcnt vmcnt(0)
	v_cvt_f32_u32_e32 v2, v2
	v_bfe_u32 v3, v2, 16, 1
	v_add3_u32 v2, v2, v3, s0
	v_lshrrev_b32_e32 v2, 16, v2
.LBB344_420:
	s_mov_b64 s[0:1], 0
.LBB344_421:
	s_andn2_b64 vcc, exec, s[0:1]
	s_cbranch_vccnz .LBB344_429
; %bb.422:
	global_load_ubyte v2, v[0:1], off
	s_movk_i32 s0, 0x7f
	s_waitcnt vmcnt(0)
	v_cmp_lt_i16_e32 vcc, s0, v2
	s_mov_b64 s[0:1], 0
	s_and_saveexec_b64 s[22:23], vcc
	s_xor_b64 s[22:23], exec, s[22:23]
	s_cbranch_execz .LBB344_443
; %bb.423:
	s_movk_i32 s0, 0x80
	v_cmp_eq_u16_e32 vcc, s0, v2
	s_mov_b64 s[0:1], -1
	s_and_saveexec_b64 s[26:27], vcc
; %bb.424:
	s_xor_b64 s[0:1], exec, -1
; %bb.425:
	s_or_b64 exec, exec, s[26:27]
	s_and_b64 s[0:1], s[0:1], exec
	s_or_saveexec_b64 s[22:23], s[22:23]
	v_mov_b32_e32 v3, 0x7f800001
	s_xor_b64 exec, exec, s[22:23]
	s_cbranch_execnz .LBB344_444
.LBB344_426:
	s_or_b64 exec, exec, s[22:23]
	s_and_saveexec_b64 s[22:23], s[0:1]
	s_cbranch_execz .LBB344_428
.LBB344_427:
	v_lshlrev_b32_e32 v3, 24, v2
	v_and_b32_e32 v2, 0xffff, v2
	v_and_b32_e32 v5, 7, v2
	v_ffbh_u32_e32 v7, v5
	v_min_u32_e32 v7, 32, v7
	v_subrev_u32_e32 v8, 28, v7
	v_bfe_u32 v6, v2, 3, 4
	v_lshlrev_b32_e32 v2, v8, v2
	v_sub_u32_e32 v7, 29, v7
	v_and_b32_e32 v2, 7, v2
	v_cmp_eq_u32_e32 vcc, 0, v6
	v_and_b32_e32 v3, 0x80000000, v3
	s_nop 0
	v_cndmask_b32_e32 v6, v6, v7, vcc
	v_cndmask_b32_e32 v2, v5, v2, vcc
	v_mov_b32_e32 v5, 0x3b800000
	v_lshlrev_b32_e32 v2, 20, v2
	v_lshl_add_u32 v5, v6, 23, v5
	v_or3_b32 v3, v3, v5, v2
.LBB344_428:
	s_or_b64 exec, exec, s[22:23]
	v_bfe_u32 v2, v3, 16, 1
	s_movk_i32 s0, 0x7fff
	v_add3_u32 v2, v3, v2, s0
	v_cmp_o_f32_e32 vcc, v3, v3
	v_mov_b32_e32 v3, 0x7fc0
	s_nop 0
	v_cndmask_b32_sdwa v2, v3, v2, vcc dst_sel:DWORD dst_unused:UNUSED_PAD src0_sel:DWORD src1_sel:WORD_1
.LBB344_429:
	s_mov_b64 s[0:1], -1
.LBB344_430:
	s_mov_b64 s[22:23], 0
.LBB344_431:
	s_and_b64 vcc, exec, s[22:23]
	s_cbranch_vccz .LBB344_466
; %bb.432:
	s_cmp_gt_i32 s28, 22
	s_cbranch_scc0 .LBB344_442
; %bb.433:
	s_cmp_lt_i32 s28, 24
	s_cbranch_scc1 .LBB344_445
; %bb.434:
	s_cmp_gt_i32 s28, 24
	s_cbranch_scc0 .LBB344_446
; %bb.435:
	global_load_ubyte v2, v[0:1], off
	s_movk_i32 s0, 0x7f
	s_waitcnt vmcnt(0)
	v_cmp_lt_i16_e32 vcc, s0, v2
	s_mov_b64 s[0:1], 0
	s_and_saveexec_b64 s[22:23], vcc
	s_xor_b64 s[22:23], exec, s[22:23]
	s_cbranch_execz .LBB344_458
; %bb.436:
	s_movk_i32 s0, 0x80
	v_cmp_eq_u16_e32 vcc, s0, v2
	s_mov_b64 s[0:1], -1
	s_and_saveexec_b64 s[26:27], vcc
; %bb.437:
	s_xor_b64 s[0:1], exec, -1
; %bb.438:
	s_or_b64 exec, exec, s[26:27]
	s_and_b64 s[0:1], s[0:1], exec
	s_or_saveexec_b64 s[22:23], s[22:23]
	v_mov_b32_e32 v3, 0x7f800001
	s_xor_b64 exec, exec, s[22:23]
	s_cbranch_execnz .LBB344_459
.LBB344_439:
	s_or_b64 exec, exec, s[22:23]
	s_and_saveexec_b64 s[22:23], s[0:1]
	s_cbranch_execz .LBB344_441
.LBB344_440:
	v_lshlrev_b32_e32 v3, 24, v2
	v_and_b32_e32 v2, 0xffff, v2
	v_and_b32_e32 v5, 3, v2
	v_ffbh_u32_e32 v7, v5
	v_min_u32_e32 v7, 32, v7
	v_subrev_u32_e32 v8, 29, v7
	v_bfe_u32 v6, v2, 2, 5
	v_lshlrev_b32_e32 v2, v8, v2
	v_sub_u32_e32 v7, 30, v7
	v_and_b32_e32 v2, 3, v2
	v_cmp_eq_u32_e32 vcc, 0, v6
	v_and_b32_e32 v3, 0x80000000, v3
	s_nop 0
	v_cndmask_b32_e32 v6, v6, v7, vcc
	v_cndmask_b32_e32 v2, v5, v2, vcc
	v_mov_b32_e32 v5, 0x37800000
	v_lshlrev_b32_e32 v2, 21, v2
	v_lshl_add_u32 v5, v6, 23, v5
	v_or3_b32 v3, v3, v5, v2
.LBB344_441:
	s_or_b64 exec, exec, s[22:23]
	v_bfe_u32 v2, v3, 16, 1
	s_movk_i32 s0, 0x7fff
	v_add3_u32 v2, v3, v2, s0
	v_cmp_o_f32_e32 vcc, v3, v3
	v_mov_b32_e32 v3, 0x7fc0
	s_mov_b64 s[0:1], 0
	v_cndmask_b32_sdwa v2, v3, v2, vcc dst_sel:DWORD dst_unused:UNUSED_PAD src0_sel:DWORD src1_sel:WORD_1
	s_branch .LBB344_447
.LBB344_442:
	s_mov_b64 s[22:23], -1
                                        ; implicit-def: $vgpr2
	s_branch .LBB344_453
.LBB344_443:
	s_or_saveexec_b64 s[22:23], s[22:23]
	v_mov_b32_e32 v3, 0x7f800001
	s_xor_b64 exec, exec, s[22:23]
	s_cbranch_execz .LBB344_426
.LBB344_444:
	v_cmp_ne_u16_e32 vcc, 0, v2
	s_andn2_b64 s[0:1], s[0:1], exec
	s_and_b64 s[26:27], vcc, exec
	v_mov_b32_e32 v3, 0
	s_or_b64 s[0:1], s[0:1], s[26:27]
	s_or_b64 exec, exec, s[22:23]
	s_and_saveexec_b64 s[22:23], s[0:1]
	s_cbranch_execnz .LBB344_427
	s_branch .LBB344_428
.LBB344_445:
	s_mov_b64 s[0:1], -1
                                        ; implicit-def: $vgpr2
	s_branch .LBB344_450
.LBB344_446:
	s_mov_b64 s[0:1], -1
                                        ; implicit-def: $vgpr2
.LBB344_447:
	s_and_b64 vcc, exec, s[0:1]
	s_cbranch_vccz .LBB344_449
; %bb.448:
	global_load_ubyte v2, v[0:1], off
	s_mov_b32 s0, 0x7f800000
	s_brev_b32 s1, 1
	s_movk_i32 s22, 0x7fff
	s_waitcnt vmcnt(0)
	v_lshlrev_b32_e32 v2, 24, v2
	v_and_b32_e32 v3, 0x7f000000, v2
	v_ffbh_u32_e32 v5, v3
	v_min_u32_e32 v5, 32, v5
	v_sub_u32_e64 v5, v5, 4 clamp
	v_lshlrev_b32_e32 v7, v5, v3
	v_lshlrev_b32_e32 v5, 23, v5
	v_lshrrev_b32_e32 v7, 4, v7
	v_add_u32_e32 v6, 0x1000000, v3
	v_sub_u32_e32 v5, v7, v5
	v_ashrrev_i32_e32 v6, 8, v6
	v_add_u32_e32 v5, 0x3c000000, v5
	v_and_or_b32 v5, v6, s0, v5
	v_cmp_ne_u32_e32 vcc, 0, v3
	s_nop 1
	v_cndmask_b32_e32 v3, 0, v5, vcc
	v_and_or_b32 v2, v2, s1, v3
	v_bfe_u32 v3, v3, 16, 1
	v_add3_u32 v3, v2, v3, s22
	v_cmp_o_f32_e32 vcc, v2, v2
	v_mov_b32_e32 v2, 0x7fc0
	s_nop 0
	v_cndmask_b32_sdwa v2, v2, v3, vcc dst_sel:DWORD dst_unused:UNUSED_PAD src0_sel:DWORD src1_sel:WORD_1
.LBB344_449:
	s_mov_b64 s[0:1], 0
.LBB344_450:
	s_andn2_b64 vcc, exec, s[0:1]
	s_cbranch_vccnz .LBB344_452
; %bb.451:
	global_load_ubyte v2, v[0:1], off
	s_movk_i32 s0, 0x7f00
	s_brev_b32 s1, 16
	s_brev_b32 s22, 1
	s_movk_i32 s23, 0x7fff
	s_waitcnt vmcnt(0)
	v_lshlrev_b16_e32 v3, 8, v2
	v_lshlrev_b32_e32 v2, 25, v2
	v_lshrrev_b32_e32 v5, 4, v2
	v_and_or_b32 v6, v3, s0, 0.5
	v_or_b32_e32 v5, 0x70000000, v5
	v_add_f32_e32 v6, -0.5, v6
	v_mul_f32_e32 v5, 0x7800000, v5
	v_cmp_gt_u32_e32 vcc, s1, v2
	v_bfe_i32 v3, v3, 0, 16
	s_nop 0
	v_cndmask_b32_e32 v2, v5, v6, vcc
	v_and_or_b32 v3, v3, s22, v2
	v_bfe_u32 v2, v2, 16, 1
	v_add3_u32 v2, v3, v2, s23
	v_cmp_o_f32_e32 vcc, v3, v3
	v_mov_b32_e32 v3, 0x7fc0
	s_nop 0
	v_cndmask_b32_sdwa v2, v3, v2, vcc dst_sel:DWORD dst_unused:UNUSED_PAD src0_sel:DWORD src1_sel:WORD_1
.LBB344_452:
	s_mov_b64 s[22:23], 0
	s_mov_b64 s[0:1], -1
.LBB344_453:
	s_andn2_b64 vcc, exec, s[22:23]
	s_cbranch_vccnz .LBB344_466
; %bb.454:
	s_cmp_gt_i32 s28, 14
	s_cbranch_scc0 .LBB344_457
; %bb.455:
	s_cmp_eq_u32 s28, 15
	s_cbranch_scc0 .LBB344_460
; %bb.456:
	global_load_ushort v2, v[0:1], off
	s_mov_b64 s[0:1], -1
	s_mov_b64 s[20:21], 0
	s_branch .LBB344_461
.LBB344_457:
	s_mov_b64 s[22:23], -1
                                        ; implicit-def: $vgpr2
	s_branch .LBB344_462
.LBB344_458:
	s_or_saveexec_b64 s[22:23], s[22:23]
	v_mov_b32_e32 v3, 0x7f800001
	s_xor_b64 exec, exec, s[22:23]
	s_cbranch_execz .LBB344_439
.LBB344_459:
	v_cmp_ne_u16_e32 vcc, 0, v2
	s_andn2_b64 s[0:1], s[0:1], exec
	s_and_b64 s[26:27], vcc, exec
	v_mov_b32_e32 v3, 0
	s_or_b64 s[0:1], s[0:1], s[26:27]
	s_or_b64 exec, exec, s[22:23]
	s_and_saveexec_b64 s[22:23], s[0:1]
	s_cbranch_execnz .LBB344_440
	s_branch .LBB344_441
.LBB344_460:
	s_mov_b64 s[20:21], -1
                                        ; implicit-def: $vgpr2
.LBB344_461:
	s_mov_b64 s[22:23], 0
.LBB344_462:
	s_and_b64 vcc, exec, s[22:23]
	s_cbranch_vccz .LBB344_466
; %bb.463:
	s_cmp_eq_u32 s28, 11
	s_cbranch_scc0 .LBB344_465
; %bb.464:
	global_load_ubyte v2, v[0:1], off
	s_mov_b64 s[0:1], -1
	s_mov_b64 s[20:21], 0
	s_waitcnt vmcnt(0)
	v_cmp_ne_u16_e32 vcc, 0, v2
	s_nop 1
	v_cndmask_b32_e64 v2, 0, 1.0, vcc
	v_lshrrev_b32_e32 v2, 16, v2
	s_branch .LBB344_466
.LBB344_465:
	s_mov_b64 s[20:21], -1
                                        ; implicit-def: $vgpr2
.LBB344_466:
	s_branch .LBB344_267
.LBB344_467:
	s_cmp_lt_i32 s28, 5
	s_cbranch_scc1 .LBB344_472
; %bb.468:
	s_cmp_lt_i32 s28, 8
	s_cbranch_scc1 .LBB344_473
; %bb.469:
	;; [unrolled: 3-line block ×3, first 2 shown]
	s_cmp_gt_i32 s28, 9
	s_cbranch_scc0 .LBB344_475
; %bb.471:
	global_load_dwordx2 v[2:3], v[0:1], off
	s_movk_i32 s0, 0x7fff
	v_mov_b32_e32 v5, 0x7fc0
	s_waitcnt vmcnt(0)
	v_cvt_f32_f64_e32 v2, v[2:3]
	v_bfe_u32 v3, v2, 16, 1
	v_cmp_o_f32_e32 vcc, v2, v2
	v_add3_u32 v2, v2, v3, s0
	s_mov_b64 s[0:1], 0
	v_cndmask_b32_sdwa v2, v5, v2, vcc dst_sel:DWORD dst_unused:UNUSED_PAD src0_sel:DWORD src1_sel:WORD_1
	s_branch .LBB344_476
.LBB344_472:
	s_mov_b64 s[0:1], -1
                                        ; implicit-def: $vgpr2
	s_branch .LBB344_494
.LBB344_473:
	s_mov_b64 s[0:1], -1
                                        ; implicit-def: $vgpr2
	s_branch .LBB344_482
.LBB344_474:
	s_mov_b64 s[0:1], -1
                                        ; implicit-def: $vgpr2
	s_branch .LBB344_479
.LBB344_475:
	s_mov_b64 s[0:1], -1
                                        ; implicit-def: $vgpr2
.LBB344_476:
	s_andn2_b64 vcc, exec, s[0:1]
	s_cbranch_vccnz .LBB344_478
; %bb.477:
	global_load_dword v2, v[0:1], off
	s_movk_i32 s0, 0x7fff
	v_mov_b32_e32 v3, 0x7fc0
	s_waitcnt vmcnt(0)
	v_bfe_u32 v5, v2, 16, 1
	v_cmp_o_f32_e32 vcc, v2, v2
	v_add3_u32 v2, v2, v5, s0
	s_nop 0
	v_cndmask_b32_sdwa v2, v3, v2, vcc dst_sel:DWORD dst_unused:UNUSED_PAD src0_sel:DWORD src1_sel:WORD_1
.LBB344_478:
	s_mov_b64 s[0:1], 0
.LBB344_479:
	s_andn2_b64 vcc, exec, s[0:1]
	s_cbranch_vccnz .LBB344_481
; %bb.480:
	global_load_dword v2, v[0:1], off
	s_movk_i32 s0, 0x7fff
	v_mov_b32_e32 v5, 0x7fc0
	s_waitcnt vmcnt(0)
	v_cvt_f32_f16_e32 v3, v2
	v_cmp_o_f16_e32 vcc, v2, v2
	v_bfe_u32 v2, v3, 16, 1
	v_add3_u32 v2, v3, v2, s0
	v_cndmask_b32_sdwa v2, v5, v2, vcc dst_sel:DWORD dst_unused:UNUSED_PAD src0_sel:DWORD src1_sel:WORD_1
.LBB344_481:
	s_mov_b64 s[0:1], 0
.LBB344_482:
	s_andn2_b64 vcc, exec, s[0:1]
	s_cbranch_vccnz .LBB344_493
; %bb.483:
	s_cmp_lt_i32 s28, 6
	s_cbranch_scc1 .LBB344_486
; %bb.484:
	s_cmp_gt_i32 s28, 6
	s_cbranch_scc0 .LBB344_487
; %bb.485:
	global_load_dwordx2 v[2:3], v[0:1], off
	s_movk_i32 s0, 0x7fff
	v_mov_b32_e32 v5, 0x7fc0
	s_waitcnt vmcnt(0)
	v_cvt_f32_f64_e32 v2, v[2:3]
	v_bfe_u32 v3, v2, 16, 1
	v_cmp_o_f32_e32 vcc, v2, v2
	v_add3_u32 v2, v2, v3, s0
	s_mov_b64 s[0:1], 0
	v_cndmask_b32_sdwa v2, v5, v2, vcc dst_sel:DWORD dst_unused:UNUSED_PAD src0_sel:DWORD src1_sel:WORD_1
	s_branch .LBB344_488
.LBB344_486:
	s_mov_b64 s[0:1], -1
                                        ; implicit-def: $vgpr2
	s_branch .LBB344_491
.LBB344_487:
	s_mov_b64 s[0:1], -1
                                        ; implicit-def: $vgpr2
.LBB344_488:
	s_andn2_b64 vcc, exec, s[0:1]
	s_cbranch_vccnz .LBB344_490
; %bb.489:
	global_load_dword v2, v[0:1], off
	s_movk_i32 s0, 0x7fff
	v_mov_b32_e32 v3, 0x7fc0
	s_waitcnt vmcnt(0)
	v_bfe_u32 v5, v2, 16, 1
	v_cmp_o_f32_e32 vcc, v2, v2
	v_add3_u32 v2, v2, v5, s0
	s_nop 0
	v_cndmask_b32_sdwa v2, v3, v2, vcc dst_sel:DWORD dst_unused:UNUSED_PAD src0_sel:DWORD src1_sel:WORD_1
.LBB344_490:
	s_mov_b64 s[0:1], 0
.LBB344_491:
	s_andn2_b64 vcc, exec, s[0:1]
	s_cbranch_vccnz .LBB344_493
; %bb.492:
	global_load_ushort v2, v[0:1], off
	s_movk_i32 s0, 0x7fff
	v_mov_b32_e32 v5, 0x7fc0
	s_waitcnt vmcnt(0)
	v_cvt_f32_f16_e32 v3, v2
	v_cmp_o_f16_e32 vcc, v2, v2
	v_bfe_u32 v2, v3, 16, 1
	v_add3_u32 v2, v3, v2, s0
	v_cndmask_b32_sdwa v2, v5, v2, vcc dst_sel:DWORD dst_unused:UNUSED_PAD src0_sel:DWORD src1_sel:WORD_1
.LBB344_493:
	s_mov_b64 s[0:1], 0
.LBB344_494:
	s_andn2_b64 vcc, exec, s[0:1]
	s_cbranch_vccnz .LBB344_514
; %bb.495:
	s_cmp_lt_i32 s28, 2
	s_cbranch_scc1 .LBB344_499
; %bb.496:
	s_cmp_lt_i32 s28, 3
	s_cbranch_scc1 .LBB344_500
; %bb.497:
	s_cmp_gt_i32 s28, 3
	s_cbranch_scc0 .LBB344_501
; %bb.498:
	global_load_dwordx2 v[2:3], v[0:1], off
	s_movk_i32 s0, 0x7fff
	s_waitcnt vmcnt(0)
	v_xor_b32_e32 v6, v2, v3
	v_ffbh_i32_e32 v5, v3
	v_ashrrev_i32_e32 v6, 31, v6
	v_add_u32_e32 v5, -1, v5
	v_add_u32_e32 v6, 32, v6
	v_min_u32_e32 v5, v5, v6
	v_lshlrev_b64 v[2:3], v5, v[2:3]
	v_min_u32_e32 v2, 1, v2
	v_or_b32_e32 v2, v3, v2
	v_cvt_f32_i32_e32 v2, v2
	v_sub_u32_e32 v3, 32, v5
	v_ldexp_f32 v2, v2, v3
	v_bfe_u32 v3, v2, 16, 1
	v_add3_u32 v2, v2, v3, s0
	v_lshrrev_b32_e32 v2, 16, v2
	s_mov_b64 s[0:1], 0
	s_branch .LBB344_502
.LBB344_499:
	s_mov_b64 s[0:1], -1
                                        ; implicit-def: $vgpr2
	s_branch .LBB344_508
.LBB344_500:
	s_mov_b64 s[0:1], -1
                                        ; implicit-def: $vgpr2
	s_branch .LBB344_505
.LBB344_501:
	s_mov_b64 s[0:1], -1
                                        ; implicit-def: $vgpr2
.LBB344_502:
	s_andn2_b64 vcc, exec, s[0:1]
	s_cbranch_vccnz .LBB344_504
; %bb.503:
	global_load_dword v2, v[0:1], off
	s_movk_i32 s0, 0x7fff
	s_waitcnt vmcnt(0)
	v_cvt_f32_i32_e32 v2, v2
	v_bfe_u32 v3, v2, 16, 1
	v_add3_u32 v2, v2, v3, s0
	v_lshrrev_b32_e32 v2, 16, v2
.LBB344_504:
	s_mov_b64 s[0:1], 0
.LBB344_505:
	s_andn2_b64 vcc, exec, s[0:1]
	s_cbranch_vccnz .LBB344_507
; %bb.506:
	global_load_sshort v2, v[0:1], off
	s_movk_i32 s0, 0x7fff
	s_waitcnt vmcnt(0)
	v_cvt_f32_i32_e32 v2, v2
	v_bfe_u32 v3, v2, 16, 1
	v_add3_u32 v2, v2, v3, s0
	v_lshrrev_b32_e32 v2, 16, v2
.LBB344_507:
	s_mov_b64 s[0:1], 0
.LBB344_508:
	s_andn2_b64 vcc, exec, s[0:1]
	s_cbranch_vccnz .LBB344_514
; %bb.509:
	s_cmp_gt_i32 s28, 0
	s_cbranch_scc0 .LBB344_511
; %bb.510:
	global_load_sbyte v2, v[0:1], off
	s_movk_i32 s0, 0x7fff
	s_waitcnt vmcnt(0)
	v_cvt_f32_i32_e32 v2, v2
	v_bfe_u32 v3, v2, 16, 1
	v_add3_u32 v2, v2, v3, s0
	v_lshrrev_b32_e32 v2, 16, v2
	s_mov_b64 s[0:1], 0
	s_branch .LBB344_512
.LBB344_511:
	s_mov_b64 s[0:1], -1
                                        ; implicit-def: $vgpr2
.LBB344_512:
	s_andn2_b64 vcc, exec, s[0:1]
	s_cbranch_vccnz .LBB344_514
; %bb.513:
	global_load_ubyte v0, v[0:1], off
	s_movk_i32 s0, 0x7fff
	s_waitcnt vmcnt(0)
	v_cvt_f32_ubyte0_e32 v0, v0
	v_bfe_u32 v1, v0, 16, 1
	v_add3_u32 v0, v0, v1, s0
	v_lshrrev_b32_e32 v2, 16, v0
.LBB344_514:
	s_branch .LBB344_268
.LBB344_515:
	s_mov_b64 s[26:27], 0
                                        ; implicit-def: $vgpr4
	s_mov_b64 s[0:1], s[14:15]
.LBB344_516:
	s_andn2_b64 s[22:23], s[14:15], exec
	s_and_b64 s[0:1], s[0:1], exec
	s_or_b64 s[22:23], s[22:23], s[0:1]
	s_andn2_b64 s[0:1], s[16:17], exec
	s_and_b64 s[20:21], s[20:21], exec
	s_or_b64 s[20:21], s[0:1], s[20:21]
	s_orn2_b64 s[0:1], s[26:27], exec
.LBB344_517:
	s_or_b64 exec, exec, s[24:25]
	s_mov_b64 s[26:27], 0
	s_mov_b64 s[28:29], 0
	s_mov_b64 s[30:31], 0
                                        ; implicit-def: $vgpr0_vgpr1
                                        ; implicit-def: $vgpr2
	s_and_saveexec_b64 s[24:25], s[0:1]
	s_cbranch_execz .LBB344_864
; %bb.518:
	v_cmp_gt_i32_e32 vcc, s40, v4
	s_mov_b64 s[36:37], -1
	s_mov_b64 s[0:1], s[20:21]
	s_mov_b64 s[30:31], s[22:23]
	s_and_saveexec_b64 s[26:27], vcc
	s_cbranch_execz .LBB344_778
; %bb.519:
	v_mul_lo_u32 v0, v4, s9
	v_ashrrev_i32_e32 v1, 31, v0
	s_and_b32 s36, 0xffff, s45
	s_cmp_lt_i32 s36, 11
	v_lshl_add_u64 v[0:1], s[6:7], 0, v[0:1]
	s_cbranch_scc1 .LBB344_526
; %bb.520:
	s_cmp_gt_i32 s36, 25
	s_cbranch_scc0 .LBB344_527
; %bb.521:
	s_cmp_gt_i32 s36, 28
	s_cbranch_scc0 .LBB344_528
	;; [unrolled: 3-line block ×4, first 2 shown]
; %bb.524:
	s_cmp_eq_u32 s36, 46
	s_mov_b64 s[30:31], 0
	s_cbranch_scc0 .LBB344_535
; %bb.525:
	global_load_dword v2, v[0:1], off
	s_mov_b64 s[0:1], -1
	s_branch .LBB344_536
.LBB344_526:
	s_mov_b64 s[30:31], -1
	s_mov_b64 s[0:1], 0
                                        ; implicit-def: $vgpr2
	s_mov_b64 s[28:29], s[20:21]
	s_branch .LBB344_601
.LBB344_527:
	s_mov_b64 s[30:31], -1
	s_mov_b64 s[0:1], 0
	s_mov_b64 s[28:29], s[20:21]
                                        ; implicit-def: $vgpr2
	s_branch .LBB344_565
.LBB344_528:
	s_mov_b64 s[30:31], -1
	s_mov_b64 s[0:1], 0
	s_mov_b64 s[28:29], s[20:21]
                                        ; implicit-def: $vgpr2
	s_branch .LBB344_546
.LBB344_529:
	s_mov_b64 s[30:31], -1
	s_mov_b64 s[0:1], 0
	s_mov_b64 s[28:29], s[20:21]
                                        ; implicit-def: $vgpr2
	s_branch .LBB344_541
.LBB344_530:
	s_andn2_saveexec_b64 s[28:29], s[28:29]
	s_cbranch_execz .LBB344_315
.LBB344_531:
	s_mov_b32 s34, 0x46000000
	v_add_f32_e64 v5, |v6|, s34
	v_and_b32_e32 v5, 0xff, v5
	v_cmp_ne_u32_e32 vcc, 0, v5
	s_andn2_b64 s[26:27], s[26:27], exec
	s_and_b64 s[34:35], vcc, exec
	s_or_b64 s[26:27], s[26:27], s[34:35]
	s_or_b64 exec, exec, s[28:29]
	v_mov_b32_e32 v7, 0
	s_and_saveexec_b64 s[28:29], s[26:27]
	s_cbranch_execnz .LBB344_316
	s_branch .LBB344_317
.LBB344_532:
	s_mov_b64 s[30:31], -1
	s_mov_b64 s[0:1], 0
	s_mov_b64 s[28:29], s[20:21]
                                        ; implicit-def: $vgpr2
	s_branch .LBB344_536
.LBB344_533:
	s_andn2_saveexec_b64 s[28:29], s[28:29]
	s_cbranch_execz .LBB344_328
.LBB344_534:
	s_mov_b32 s34, 0x42800000
	v_add_f32_e64 v5, |v6|, s34
	v_and_b32_e32 v5, 0xff, v5
	v_cmp_ne_u32_e32 vcc, 0, v5
	s_andn2_b64 s[26:27], s[26:27], exec
	s_and_b64 s[34:35], vcc, exec
	s_or_b64 s[26:27], s[26:27], s[34:35]
	s_or_b64 exec, exec, s[28:29]
	v_mov_b32_e32 v7, 0
	s_and_saveexec_b64 s[28:29], s[26:27]
	s_cbranch_execnz .LBB344_329
	s_branch .LBB344_330
.LBB344_535:
	s_mov_b64 s[28:29], -1
                                        ; implicit-def: $vgpr2
	s_mov_b64 s[0:1], 0
.LBB344_536:
	s_and_b64 vcc, exec, s[30:31]
	s_cbranch_vccz .LBB344_540
; %bb.537:
	s_cmp_eq_u32 s36, 44
	s_cbranch_scc0 .LBB344_539
; %bb.538:
	global_load_ubyte v2, v[0:1], off
	s_movk_i32 s28, 0xff
	v_mov_b32_e32 v3, 0x7f800001
	v_mov_b32_e32 v5, 0x400000
	;; [unrolled: 1-line block ×3, first 2 shown]
	s_mov_b64 s[0:1], -1
	s_waitcnt vmcnt(0)
	v_lshlrev_b32_e32 v7, 23, v2
	v_cmp_ne_u32_e32 vcc, s28, v2
	s_mov_b64 s[28:29], 0
	s_nop 0
	v_cndmask_b32_e32 v3, v3, v7, vcc
	v_cmp_ne_u32_e32 vcc, 0, v2
	s_nop 1
	v_cndmask_b32_e32 v2, v5, v3, vcc
	v_add_u32_e32 v3, 0x7fff, v2
	v_cmp_o_f32_e32 vcc, v2, v2
	s_nop 1
	v_cndmask_b32_sdwa v2, v6, v3, vcc dst_sel:DWORD dst_unused:UNUSED_PAD src0_sel:DWORD src1_sel:WORD_1
	s_branch .LBB344_540
.LBB344_539:
	s_mov_b64 s[28:29], -1
                                        ; implicit-def: $vgpr2
.LBB344_540:
	s_mov_b64 s[30:31], 0
.LBB344_541:
	s_and_b64 vcc, exec, s[30:31]
	s_cbranch_vccz .LBB344_545
; %bb.542:
	s_cmp_eq_u32 s36, 29
	s_cbranch_scc0 .LBB344_544
; %bb.543:
	global_load_dwordx2 v[2:3], v[0:1], off
	s_movk_i32 s28, 0x7fff
	s_mov_b64 s[0:1], -1
	s_mov_b64 s[30:31], 0
	s_waitcnt vmcnt(0)
	v_ffbh_u32_e32 v5, v3
	v_min_u32_e32 v5, 32, v5
	v_lshlrev_b64 v[2:3], v5, v[2:3]
	v_min_u32_e32 v2, 1, v2
	v_or_b32_e32 v2, v3, v2
	v_cvt_f32_u32_e32 v2, v2
	v_sub_u32_e32 v3, 32, v5
	v_ldexp_f32 v2, v2, v3
	v_bfe_u32 v3, v2, 16, 1
	v_add3_u32 v2, v2, v3, s28
	v_lshrrev_b32_e32 v2, 16, v2
	s_mov_b64 s[28:29], 0
	s_branch .LBB344_546
.LBB344_544:
	s_mov_b64 s[28:29], -1
                                        ; implicit-def: $vgpr2
.LBB344_545:
	s_mov_b64 s[30:31], 0
.LBB344_546:
	s_and_b64 vcc, exec, s[30:31]
	s_cbranch_vccz .LBB344_564
; %bb.547:
	s_cmp_lt_i32 s36, 27
	s_cbranch_scc1 .LBB344_550
; %bb.548:
	s_cmp_gt_i32 s36, 27
	s_cbranch_scc0 .LBB344_551
; %bb.549:
	global_load_dword v2, v[0:1], off
	s_movk_i32 s0, 0x7fff
	s_waitcnt vmcnt(0)
	v_cvt_f32_u32_e32 v2, v2
	v_bfe_u32 v3, v2, 16, 1
	v_add3_u32 v2, v2, v3, s0
	v_lshrrev_b32_e32 v2, 16, v2
	s_mov_b64 s[0:1], 0
	s_branch .LBB344_552
.LBB344_550:
	s_mov_b64 s[0:1], -1
                                        ; implicit-def: $vgpr2
	s_branch .LBB344_555
.LBB344_551:
	s_mov_b64 s[0:1], -1
                                        ; implicit-def: $vgpr2
.LBB344_552:
	s_andn2_b64 vcc, exec, s[0:1]
	s_cbranch_vccnz .LBB344_554
; %bb.553:
	global_load_ushort v2, v[0:1], off
	s_movk_i32 s0, 0x7fff
	s_waitcnt vmcnt(0)
	v_cvt_f32_u32_e32 v2, v2
	v_bfe_u32 v3, v2, 16, 1
	v_add3_u32 v2, v2, v3, s0
	v_lshrrev_b32_e32 v2, 16, v2
.LBB344_554:
	s_mov_b64 s[0:1], 0
.LBB344_555:
	s_andn2_b64 vcc, exec, s[0:1]
	s_cbranch_vccnz .LBB344_563
; %bb.556:
	global_load_ubyte v2, v[0:1], off
	s_movk_i32 s0, 0x7f
	s_waitcnt vmcnt(0)
	v_cmp_lt_i16_e32 vcc, s0, v2
	s_mov_b64 s[0:1], 0
	s_and_saveexec_b64 s[30:31], vcc
	s_xor_b64 s[30:31], exec, s[30:31]
	s_cbranch_execz .LBB344_577
; %bb.557:
	s_movk_i32 s0, 0x80
	v_cmp_eq_u16_e32 vcc, s0, v2
	s_mov_b64 s[0:1], -1
	s_and_saveexec_b64 s[34:35], vcc
; %bb.558:
	s_xor_b64 s[0:1], exec, -1
; %bb.559:
	s_or_b64 exec, exec, s[34:35]
	s_and_b64 s[0:1], s[0:1], exec
	s_or_saveexec_b64 s[30:31], s[30:31]
	v_mov_b32_e32 v3, 0x7f800001
	s_xor_b64 exec, exec, s[30:31]
	s_cbranch_execnz .LBB344_578
.LBB344_560:
	s_or_b64 exec, exec, s[30:31]
	s_and_saveexec_b64 s[30:31], s[0:1]
	s_cbranch_execz .LBB344_562
.LBB344_561:
	v_lshlrev_b32_e32 v3, 24, v2
	v_and_b32_e32 v2, 0xffff, v2
	v_and_b32_e32 v5, 7, v2
	v_ffbh_u32_e32 v7, v5
	v_min_u32_e32 v7, 32, v7
	v_subrev_u32_e32 v8, 28, v7
	v_bfe_u32 v6, v2, 3, 4
	v_lshlrev_b32_e32 v2, v8, v2
	v_sub_u32_e32 v7, 29, v7
	v_and_b32_e32 v2, 7, v2
	v_cmp_eq_u32_e32 vcc, 0, v6
	v_and_b32_e32 v3, 0x80000000, v3
	s_nop 0
	v_cndmask_b32_e32 v6, v6, v7, vcc
	v_cndmask_b32_e32 v2, v5, v2, vcc
	v_mov_b32_e32 v5, 0x3b800000
	v_lshlrev_b32_e32 v2, 20, v2
	v_lshl_add_u32 v5, v6, 23, v5
	v_or3_b32 v3, v3, v5, v2
.LBB344_562:
	s_or_b64 exec, exec, s[30:31]
	v_bfe_u32 v2, v3, 16, 1
	s_movk_i32 s0, 0x7fff
	v_add3_u32 v2, v3, v2, s0
	v_cmp_o_f32_e32 vcc, v3, v3
	v_mov_b32_e32 v3, 0x7fc0
	s_nop 0
	v_cndmask_b32_sdwa v2, v3, v2, vcc dst_sel:DWORD dst_unused:UNUSED_PAD src0_sel:DWORD src1_sel:WORD_1
.LBB344_563:
	s_mov_b64 s[0:1], -1
.LBB344_564:
	s_mov_b64 s[30:31], 0
.LBB344_565:
	s_and_b64 vcc, exec, s[30:31]
	s_cbranch_vccz .LBB344_600
; %bb.566:
	s_cmp_gt_i32 s36, 22
	s_cbranch_scc0 .LBB344_576
; %bb.567:
	s_cmp_lt_i32 s36, 24
	s_cbranch_scc1 .LBB344_579
; %bb.568:
	s_cmp_gt_i32 s36, 24
	s_cbranch_scc0 .LBB344_580
; %bb.569:
	global_load_ubyte v2, v[0:1], off
	s_movk_i32 s0, 0x7f
	s_waitcnt vmcnt(0)
	v_cmp_lt_i16_e32 vcc, s0, v2
	s_mov_b64 s[0:1], 0
	s_and_saveexec_b64 s[30:31], vcc
	s_xor_b64 s[30:31], exec, s[30:31]
	s_cbranch_execz .LBB344_592
; %bb.570:
	s_movk_i32 s0, 0x80
	v_cmp_eq_u16_e32 vcc, s0, v2
	s_mov_b64 s[0:1], -1
	s_and_saveexec_b64 s[34:35], vcc
; %bb.571:
	s_xor_b64 s[0:1], exec, -1
; %bb.572:
	s_or_b64 exec, exec, s[34:35]
	s_and_b64 s[0:1], s[0:1], exec
	s_or_saveexec_b64 s[30:31], s[30:31]
	v_mov_b32_e32 v3, 0x7f800001
	s_xor_b64 exec, exec, s[30:31]
	s_cbranch_execnz .LBB344_593
.LBB344_573:
	s_or_b64 exec, exec, s[30:31]
	s_and_saveexec_b64 s[30:31], s[0:1]
	s_cbranch_execz .LBB344_575
.LBB344_574:
	v_lshlrev_b32_e32 v3, 24, v2
	v_and_b32_e32 v2, 0xffff, v2
	v_and_b32_e32 v5, 3, v2
	v_ffbh_u32_e32 v7, v5
	v_min_u32_e32 v7, 32, v7
	v_subrev_u32_e32 v8, 29, v7
	v_bfe_u32 v6, v2, 2, 5
	v_lshlrev_b32_e32 v2, v8, v2
	v_sub_u32_e32 v7, 30, v7
	v_and_b32_e32 v2, 3, v2
	v_cmp_eq_u32_e32 vcc, 0, v6
	v_and_b32_e32 v3, 0x80000000, v3
	s_nop 0
	v_cndmask_b32_e32 v6, v6, v7, vcc
	v_cndmask_b32_e32 v2, v5, v2, vcc
	v_mov_b32_e32 v5, 0x37800000
	v_lshlrev_b32_e32 v2, 21, v2
	v_lshl_add_u32 v5, v6, 23, v5
	v_or3_b32 v3, v3, v5, v2
.LBB344_575:
	s_or_b64 exec, exec, s[30:31]
	v_bfe_u32 v2, v3, 16, 1
	s_movk_i32 s0, 0x7fff
	v_add3_u32 v2, v3, v2, s0
	v_cmp_o_f32_e32 vcc, v3, v3
	v_mov_b32_e32 v3, 0x7fc0
	s_mov_b64 s[0:1], 0
	v_cndmask_b32_sdwa v2, v3, v2, vcc dst_sel:DWORD dst_unused:UNUSED_PAD src0_sel:DWORD src1_sel:WORD_1
	s_branch .LBB344_581
.LBB344_576:
	s_mov_b64 s[30:31], -1
                                        ; implicit-def: $vgpr2
	s_branch .LBB344_587
.LBB344_577:
	s_or_saveexec_b64 s[30:31], s[30:31]
	v_mov_b32_e32 v3, 0x7f800001
	s_xor_b64 exec, exec, s[30:31]
	s_cbranch_execz .LBB344_560
.LBB344_578:
	v_cmp_ne_u16_e32 vcc, 0, v2
	s_andn2_b64 s[0:1], s[0:1], exec
	s_and_b64 s[34:35], vcc, exec
	v_mov_b32_e32 v3, 0
	s_or_b64 s[0:1], s[0:1], s[34:35]
	s_or_b64 exec, exec, s[30:31]
	s_and_saveexec_b64 s[30:31], s[0:1]
	s_cbranch_execnz .LBB344_561
	s_branch .LBB344_562
.LBB344_579:
	s_mov_b64 s[0:1], -1
                                        ; implicit-def: $vgpr2
	s_branch .LBB344_584
.LBB344_580:
	s_mov_b64 s[0:1], -1
                                        ; implicit-def: $vgpr2
.LBB344_581:
	s_and_b64 vcc, exec, s[0:1]
	s_cbranch_vccz .LBB344_583
; %bb.582:
	global_load_ubyte v2, v[0:1], off
	s_mov_b32 s0, 0x7f800000
	s_brev_b32 s1, 1
	s_movk_i32 s30, 0x7fff
	s_waitcnt vmcnt(0)
	v_lshlrev_b32_e32 v2, 24, v2
	v_and_b32_e32 v3, 0x7f000000, v2
	v_ffbh_u32_e32 v5, v3
	v_min_u32_e32 v5, 32, v5
	v_sub_u32_e64 v5, v5, 4 clamp
	v_lshlrev_b32_e32 v7, v5, v3
	v_lshlrev_b32_e32 v5, 23, v5
	v_lshrrev_b32_e32 v7, 4, v7
	v_add_u32_e32 v6, 0x1000000, v3
	v_sub_u32_e32 v5, v7, v5
	v_ashrrev_i32_e32 v6, 8, v6
	v_add_u32_e32 v5, 0x3c000000, v5
	v_and_or_b32 v5, v6, s0, v5
	v_cmp_ne_u32_e32 vcc, 0, v3
	s_nop 1
	v_cndmask_b32_e32 v3, 0, v5, vcc
	v_and_or_b32 v2, v2, s1, v3
	v_bfe_u32 v3, v3, 16, 1
	v_add3_u32 v3, v2, v3, s30
	v_cmp_o_f32_e32 vcc, v2, v2
	v_mov_b32_e32 v2, 0x7fc0
	s_nop 0
	v_cndmask_b32_sdwa v2, v2, v3, vcc dst_sel:DWORD dst_unused:UNUSED_PAD src0_sel:DWORD src1_sel:WORD_1
.LBB344_583:
	s_mov_b64 s[0:1], 0
.LBB344_584:
	s_andn2_b64 vcc, exec, s[0:1]
	s_cbranch_vccnz .LBB344_586
; %bb.585:
	global_load_ubyte v2, v[0:1], off
	s_movk_i32 s0, 0x7f00
	s_brev_b32 s1, 16
	s_brev_b32 s30, 1
	s_movk_i32 s31, 0x7fff
	s_waitcnt vmcnt(0)
	v_lshlrev_b16_e32 v3, 8, v2
	v_lshlrev_b32_e32 v2, 25, v2
	v_lshrrev_b32_e32 v5, 4, v2
	v_and_or_b32 v6, v3, s0, 0.5
	v_or_b32_e32 v5, 0x70000000, v5
	v_add_f32_e32 v6, -0.5, v6
	v_mul_f32_e32 v5, 0x7800000, v5
	v_cmp_gt_u32_e32 vcc, s1, v2
	v_bfe_i32 v3, v3, 0, 16
	s_nop 0
	v_cndmask_b32_e32 v2, v5, v6, vcc
	v_and_or_b32 v3, v3, s30, v2
	v_bfe_u32 v2, v2, 16, 1
	v_add3_u32 v2, v3, v2, s31
	v_cmp_o_f32_e32 vcc, v3, v3
	v_mov_b32_e32 v3, 0x7fc0
	s_nop 0
	v_cndmask_b32_sdwa v2, v3, v2, vcc dst_sel:DWORD dst_unused:UNUSED_PAD src0_sel:DWORD src1_sel:WORD_1
.LBB344_586:
	s_mov_b64 s[30:31], 0
	s_mov_b64 s[0:1], -1
.LBB344_587:
	s_andn2_b64 vcc, exec, s[30:31]
	s_cbranch_vccnz .LBB344_600
; %bb.588:
	s_cmp_gt_i32 s36, 14
	s_cbranch_scc0 .LBB344_591
; %bb.589:
	s_cmp_eq_u32 s36, 15
	s_cbranch_scc0 .LBB344_594
; %bb.590:
	global_load_ushort v2, v[0:1], off
	s_mov_b64 s[0:1], -1
	s_mov_b64 s[28:29], 0
	s_branch .LBB344_595
.LBB344_591:
	s_mov_b64 s[30:31], -1
                                        ; implicit-def: $vgpr2
	s_branch .LBB344_596
.LBB344_592:
	s_or_saveexec_b64 s[30:31], s[30:31]
	v_mov_b32_e32 v3, 0x7f800001
	s_xor_b64 exec, exec, s[30:31]
	s_cbranch_execz .LBB344_573
.LBB344_593:
	v_cmp_ne_u16_e32 vcc, 0, v2
	s_andn2_b64 s[0:1], s[0:1], exec
	s_and_b64 s[34:35], vcc, exec
	v_mov_b32_e32 v3, 0
	s_or_b64 s[0:1], s[0:1], s[34:35]
	s_or_b64 exec, exec, s[30:31]
	s_and_saveexec_b64 s[30:31], s[0:1]
	s_cbranch_execnz .LBB344_574
	s_branch .LBB344_575
.LBB344_594:
	s_mov_b64 s[28:29], -1
                                        ; implicit-def: $vgpr2
.LBB344_595:
	s_mov_b64 s[30:31], 0
.LBB344_596:
	s_and_b64 vcc, exec, s[30:31]
	s_cbranch_vccz .LBB344_600
; %bb.597:
	s_cmp_eq_u32 s36, 11
	s_cbranch_scc0 .LBB344_599
; %bb.598:
	global_load_ubyte v2, v[0:1], off
	s_mov_b64 s[0:1], -1
	s_mov_b64 s[28:29], 0
	s_waitcnt vmcnt(0)
	v_cmp_ne_u16_e32 vcc, 0, v2
	s_nop 1
	v_cndmask_b32_e64 v2, 0, 1.0, vcc
	v_lshrrev_b32_e32 v2, 16, v2
	s_branch .LBB344_600
.LBB344_599:
	s_mov_b64 s[28:29], -1
                                        ; implicit-def: $vgpr2
.LBB344_600:
	s_mov_b64 s[30:31], 0
.LBB344_601:
	s_and_b64 vcc, exec, s[30:31]
	s_cbranch_vccz .LBB344_650
; %bb.602:
	s_cmp_lt_i32 s36, 5
	s_cbranch_scc1 .LBB344_607
; %bb.603:
	s_cmp_lt_i32 s36, 8
	s_cbranch_scc1 .LBB344_608
	;; [unrolled: 3-line block ×3, first 2 shown]
; %bb.605:
	s_cmp_gt_i32 s36, 9
	s_cbranch_scc0 .LBB344_610
; %bb.606:
	global_load_dwordx2 v[2:3], v[0:1], off
	s_movk_i32 s0, 0x7fff
	v_mov_b32_e32 v5, 0x7fc0
	s_waitcnt vmcnt(0)
	v_cvt_f32_f64_e32 v2, v[2:3]
	v_bfe_u32 v3, v2, 16, 1
	v_cmp_o_f32_e32 vcc, v2, v2
	v_add3_u32 v2, v2, v3, s0
	s_mov_b64 s[0:1], 0
	v_cndmask_b32_sdwa v2, v5, v2, vcc dst_sel:DWORD dst_unused:UNUSED_PAD src0_sel:DWORD src1_sel:WORD_1
	s_branch .LBB344_611
.LBB344_607:
	s_mov_b64 s[0:1], -1
                                        ; implicit-def: $vgpr2
	s_branch .LBB344_629
.LBB344_608:
	s_mov_b64 s[0:1], -1
                                        ; implicit-def: $vgpr2
	s_branch .LBB344_617
.LBB344_609:
	s_mov_b64 s[0:1], -1
                                        ; implicit-def: $vgpr2
	s_branch .LBB344_614
.LBB344_610:
	s_mov_b64 s[0:1], -1
                                        ; implicit-def: $vgpr2
.LBB344_611:
	s_andn2_b64 vcc, exec, s[0:1]
	s_cbranch_vccnz .LBB344_613
; %bb.612:
	global_load_dword v2, v[0:1], off
	s_movk_i32 s0, 0x7fff
	v_mov_b32_e32 v3, 0x7fc0
	s_waitcnt vmcnt(0)
	v_bfe_u32 v5, v2, 16, 1
	v_cmp_o_f32_e32 vcc, v2, v2
	v_add3_u32 v2, v2, v5, s0
	s_nop 0
	v_cndmask_b32_sdwa v2, v3, v2, vcc dst_sel:DWORD dst_unused:UNUSED_PAD src0_sel:DWORD src1_sel:WORD_1
.LBB344_613:
	s_mov_b64 s[0:1], 0
.LBB344_614:
	s_andn2_b64 vcc, exec, s[0:1]
	s_cbranch_vccnz .LBB344_616
; %bb.615:
	global_load_dword v2, v[0:1], off
	s_movk_i32 s0, 0x7fff
	v_mov_b32_e32 v5, 0x7fc0
	s_waitcnt vmcnt(0)
	v_cvt_f32_f16_e32 v3, v2
	v_cmp_o_f16_e32 vcc, v2, v2
	v_bfe_u32 v2, v3, 16, 1
	v_add3_u32 v2, v3, v2, s0
	v_cndmask_b32_sdwa v2, v5, v2, vcc dst_sel:DWORD dst_unused:UNUSED_PAD src0_sel:DWORD src1_sel:WORD_1
.LBB344_616:
	s_mov_b64 s[0:1], 0
.LBB344_617:
	s_andn2_b64 vcc, exec, s[0:1]
	s_cbranch_vccnz .LBB344_628
; %bb.618:
	s_cmp_lt_i32 s36, 6
	s_cbranch_scc1 .LBB344_621
; %bb.619:
	s_cmp_gt_i32 s36, 6
	s_cbranch_scc0 .LBB344_622
; %bb.620:
	global_load_dwordx2 v[2:3], v[0:1], off
	s_movk_i32 s0, 0x7fff
	v_mov_b32_e32 v5, 0x7fc0
	s_waitcnt vmcnt(0)
	v_cvt_f32_f64_e32 v2, v[2:3]
	v_bfe_u32 v3, v2, 16, 1
	v_cmp_o_f32_e32 vcc, v2, v2
	v_add3_u32 v2, v2, v3, s0
	s_mov_b64 s[0:1], 0
	v_cndmask_b32_sdwa v2, v5, v2, vcc dst_sel:DWORD dst_unused:UNUSED_PAD src0_sel:DWORD src1_sel:WORD_1
	s_branch .LBB344_623
.LBB344_621:
	s_mov_b64 s[0:1], -1
                                        ; implicit-def: $vgpr2
	s_branch .LBB344_626
.LBB344_622:
	s_mov_b64 s[0:1], -1
                                        ; implicit-def: $vgpr2
.LBB344_623:
	s_andn2_b64 vcc, exec, s[0:1]
	s_cbranch_vccnz .LBB344_625
; %bb.624:
	global_load_dword v2, v[0:1], off
	s_movk_i32 s0, 0x7fff
	v_mov_b32_e32 v3, 0x7fc0
	s_waitcnt vmcnt(0)
	v_bfe_u32 v5, v2, 16, 1
	v_cmp_o_f32_e32 vcc, v2, v2
	v_add3_u32 v2, v2, v5, s0
	s_nop 0
	v_cndmask_b32_sdwa v2, v3, v2, vcc dst_sel:DWORD dst_unused:UNUSED_PAD src0_sel:DWORD src1_sel:WORD_1
.LBB344_625:
	s_mov_b64 s[0:1], 0
.LBB344_626:
	s_andn2_b64 vcc, exec, s[0:1]
	s_cbranch_vccnz .LBB344_628
; %bb.627:
	global_load_ushort v2, v[0:1], off
	s_movk_i32 s0, 0x7fff
	v_mov_b32_e32 v5, 0x7fc0
	s_waitcnt vmcnt(0)
	v_cvt_f32_f16_e32 v3, v2
	v_cmp_o_f16_e32 vcc, v2, v2
	v_bfe_u32 v2, v3, 16, 1
	v_add3_u32 v2, v3, v2, s0
	v_cndmask_b32_sdwa v2, v5, v2, vcc dst_sel:DWORD dst_unused:UNUSED_PAD src0_sel:DWORD src1_sel:WORD_1
.LBB344_628:
	s_mov_b64 s[0:1], 0
.LBB344_629:
	s_andn2_b64 vcc, exec, s[0:1]
	s_cbranch_vccnz .LBB344_649
; %bb.630:
	s_cmp_lt_i32 s36, 2
	s_cbranch_scc1 .LBB344_634
; %bb.631:
	s_cmp_lt_i32 s36, 3
	s_cbranch_scc1 .LBB344_635
; %bb.632:
	s_cmp_gt_i32 s36, 3
	s_cbranch_scc0 .LBB344_636
; %bb.633:
	global_load_dwordx2 v[2:3], v[0:1], off
	s_movk_i32 s0, 0x7fff
	s_waitcnt vmcnt(0)
	v_xor_b32_e32 v6, v2, v3
	v_ffbh_i32_e32 v5, v3
	v_ashrrev_i32_e32 v6, 31, v6
	v_add_u32_e32 v5, -1, v5
	v_add_u32_e32 v6, 32, v6
	v_min_u32_e32 v5, v5, v6
	v_lshlrev_b64 v[2:3], v5, v[2:3]
	v_min_u32_e32 v2, 1, v2
	v_or_b32_e32 v2, v3, v2
	v_cvt_f32_i32_e32 v2, v2
	v_sub_u32_e32 v3, 32, v5
	v_ldexp_f32 v2, v2, v3
	v_bfe_u32 v3, v2, 16, 1
	v_add3_u32 v2, v2, v3, s0
	v_lshrrev_b32_e32 v2, 16, v2
	s_mov_b64 s[0:1], 0
	s_branch .LBB344_637
.LBB344_634:
	s_mov_b64 s[0:1], -1
                                        ; implicit-def: $vgpr2
	s_branch .LBB344_643
.LBB344_635:
	s_mov_b64 s[0:1], -1
                                        ; implicit-def: $vgpr2
	s_branch .LBB344_640
.LBB344_636:
	s_mov_b64 s[0:1], -1
                                        ; implicit-def: $vgpr2
.LBB344_637:
	s_andn2_b64 vcc, exec, s[0:1]
	s_cbranch_vccnz .LBB344_639
; %bb.638:
	global_load_dword v2, v[0:1], off
	s_movk_i32 s0, 0x7fff
	s_waitcnt vmcnt(0)
	v_cvt_f32_i32_e32 v2, v2
	v_bfe_u32 v3, v2, 16, 1
	v_add3_u32 v2, v2, v3, s0
	v_lshrrev_b32_e32 v2, 16, v2
.LBB344_639:
	s_mov_b64 s[0:1], 0
.LBB344_640:
	s_andn2_b64 vcc, exec, s[0:1]
	s_cbranch_vccnz .LBB344_642
; %bb.641:
	global_load_sshort v2, v[0:1], off
	s_movk_i32 s0, 0x7fff
	s_waitcnt vmcnt(0)
	v_cvt_f32_i32_e32 v2, v2
	v_bfe_u32 v3, v2, 16, 1
	v_add3_u32 v2, v2, v3, s0
	v_lshrrev_b32_e32 v2, 16, v2
.LBB344_642:
	s_mov_b64 s[0:1], 0
.LBB344_643:
	s_andn2_b64 vcc, exec, s[0:1]
	s_cbranch_vccnz .LBB344_649
; %bb.644:
	s_cmp_gt_i32 s36, 0
	s_cbranch_scc0 .LBB344_646
; %bb.645:
	global_load_sbyte v2, v[0:1], off
	s_movk_i32 s0, 0x7fff
	s_waitcnt vmcnt(0)
	v_cvt_f32_i32_e32 v2, v2
	v_bfe_u32 v3, v2, 16, 1
	v_add3_u32 v2, v2, v3, s0
	v_lshrrev_b32_e32 v2, 16, v2
	s_mov_b64 s[0:1], 0
	s_branch .LBB344_647
.LBB344_646:
	s_mov_b64 s[0:1], -1
                                        ; implicit-def: $vgpr2
.LBB344_647:
	s_andn2_b64 vcc, exec, s[0:1]
	s_cbranch_vccnz .LBB344_649
; %bb.648:
	global_load_ubyte v0, v[0:1], off
	s_movk_i32 s0, 0x7fff
	s_waitcnt vmcnt(0)
	v_cvt_f32_ubyte0_e32 v0, v0
	v_bfe_u32 v1, v0, 16, 1
	v_add3_u32 v0, v0, v1, s0
	v_lshrrev_b32_e32 v2, 16, v0
.LBB344_649:
	s_mov_b64 s[0:1], -1
.LBB344_650:
	s_andn2_b64 vcc, exec, s[0:1]
	s_cbranch_vccnz .LBB344_660
; %bb.651:
	s_waitcnt vmcnt(0)
	v_lshlrev_b32_e32 v0, 16, v2
	v_cmp_o_f32_e32 vcc, v0, v0
	s_and_saveexec_b64 s[0:1], vcc
; %bb.652:
	v_mov_b32_e32 v1, s44
	v_cmp_lt_f32_e32 vcc, s46, v0
	s_nop 1
	v_cndmask_b32_e32 v0, v1, v2, vcc
	v_lshlrev_b32_e32 v1, 16, v0
	v_mov_b32_e32 v2, s33
	v_cmp_gt_f32_e32 vcc, s10, v1
	s_nop 1
	v_cndmask_b32_e32 v2, v2, v0, vcc
; %bb.653:
	s_or_b64 exec, exec, s[0:1]
	v_mul_lo_u32 v0, v4, s8
	v_ashrrev_i32_e32 v1, 31, v0
	s_and_b32 s38, s11, 0xff
	s_cmp_lt_i32 s38, 11
	v_lshl_add_u64 v[0:1], s[4:5], 0, v[0:1]
	s_cbranch_scc1 .LBB344_661
; %bb.654:
	s_and_b32 s39, 0xffff, s38
	s_cmp_gt_i32 s39, 25
	s_cbranch_scc0 .LBB344_662
; %bb.655:
	s_cmp_gt_i32 s39, 28
	s_cbranch_scc0 .LBB344_663
; %bb.656:
	;; [unrolled: 3-line block ×4, first 2 shown]
	s_mov_b64 s[34:35], 0
	s_mov_b64 s[0:1], -1
	s_cmp_eq_u32 s39, 46
	s_mov_b64 s[30:31], 0
	s_cbranch_scc0 .LBB344_666
; %bb.659:
	v_and_b32_e32 v3, 0xffff, v2
	global_store_dword v[0:1], v3, off
	s_mov_b64 s[30:31], -1
	s_mov_b64 s[0:1], 0
	s_branch .LBB344_666
.LBB344_660:
	s_mov_b64 s[34:35], 0
                                        ; implicit-def: $vgpr4
	s_mov_b64 s[0:1], s[22:23]
	s_branch .LBB344_777
.LBB344_661:
	s_mov_b64 s[34:35], -1
	s_mov_b64 s[30:31], 0
	s_mov_b64 s[0:1], s[22:23]
	s_branch .LBB344_735
.LBB344_662:
	s_mov_b64 s[34:35], -1
	s_mov_b64 s[30:31], 0
	s_mov_b64 s[0:1], s[22:23]
	s_branch .LBB344_693
.LBB344_663:
	s_mov_b64 s[34:35], -1
	s_mov_b64 s[30:31], 0
	s_mov_b64 s[0:1], s[22:23]
	s_branch .LBB344_676
.LBB344_664:
	s_mov_b64 s[34:35], -1
	s_mov_b64 s[30:31], 0
	s_mov_b64 s[0:1], s[22:23]
	s_branch .LBB344_672
.LBB344_665:
	s_mov_b64 s[34:35], -1
	s_mov_b64 s[30:31], 0
	s_mov_b64 s[0:1], s[22:23]
.LBB344_666:
	s_and_b64 vcc, exec, s[34:35]
	s_cbranch_vccz .LBB344_671
; %bb.667:
	s_cmp_eq_u32 s39, 44
	s_mov_b64 s[0:1], -1
	s_cbranch_scc0 .LBB344_671
; %bb.668:
	v_and_b32_e32 v5, 0xffff, v2
	v_bfe_u32 v3, v5, 7, 8
	s_movk_i32 s0, 0xff
	v_cmp_ne_u32_e32 vcc, s0, v3
	v_mov_b32_e32 v6, 0xff
	s_and_saveexec_b64 s[30:31], vcc
	s_cbranch_execz .LBB344_670
; %bb.669:
	v_lshlrev_b32_e32 v7, 16, v5
	s_mov_b32 s0, 0x3f0000
	v_lshrrev_b32_e32 v6, 7, v5
	v_and_b32_e32 v5, 64, v5
	v_and_or_b32 v3, v7, s0, v3
	v_cmp_ne_u32_e32 vcc, 0, v5
	v_cmp_ne_u32_e64 s[0:1], 0, v3
	s_and_b64 s[0:1], vcc, s[0:1]
	s_nop 0
	v_cndmask_b32_e64 v3, 0, 1, s[0:1]
	v_add_u32_e32 v6, v6, v3
.LBB344_670:
	s_or_b64 exec, exec, s[30:31]
	s_mov_b64 s[30:31], -1
	s_mov_b64 s[0:1], 0
	global_store_byte v[0:1], v6, off
.LBB344_671:
	s_mov_b64 s[34:35], 0
.LBB344_672:
	s_and_b64 vcc, exec, s[34:35]
	s_cbranch_vccz .LBB344_675
; %bb.673:
	s_cmp_eq_u32 s39, 29
	s_mov_b64 s[0:1], -1
	s_cbranch_scc0 .LBB344_675
; %bb.674:
	v_lshlrev_b32_e32 v3, 16, v2
	v_trunc_f32_e32 v3, v3
	v_mul_f32_e32 v5, 0x2f800000, v3
	v_floor_f32_e32 v5, v5
	v_fmamk_f32 v3, v5, 0xcf800000, v3
	v_cvt_u32_f32_e32 v7, v5
	v_cvt_u32_f32_e32 v6, v3
	s_mov_b64 s[30:31], -1
	s_mov_b64 s[0:1], 0
	s_mov_b64 s[34:35], 0
	global_store_dwordx2 v[0:1], v[6:7], off
	s_branch .LBB344_676
.LBB344_675:
	s_mov_b64 s[34:35], 0
.LBB344_676:
	s_and_b64 vcc, exec, s[34:35]
	s_cbranch_vccz .LBB344_692
; %bb.677:
	s_cmp_lt_i32 s39, 27
	s_mov_b64 s[30:31], -1
	s_cbranch_scc1 .LBB344_683
; %bb.678:
	s_cmp_gt_i32 s39, 27
	s_cbranch_scc0 .LBB344_680
; %bb.679:
	v_lshlrev_b32_e32 v3, 16, v2
	v_cvt_u32_f32_e32 v3, v3
	s_mov_b64 s[30:31], 0
	global_store_dword v[0:1], v3, off
.LBB344_680:
	s_andn2_b64 vcc, exec, s[30:31]
	s_cbranch_vccnz .LBB344_682
; %bb.681:
	v_lshlrev_b32_e32 v3, 16, v2
	v_cvt_u32_f32_e32 v3, v3
	global_store_short v[0:1], v3, off
.LBB344_682:
	s_mov_b64 s[30:31], 0
.LBB344_683:
	s_andn2_b64 vcc, exec, s[30:31]
	s_cbranch_vccnz .LBB344_691
; %bb.684:
	v_lshlrev_b32_e32 v6, 16, v2
	v_and_b32_e32 v5, 0x7fffffff, v6
	s_mov_b32 s30, 0x43800000
	v_cmp_gt_u32_e32 vcc, s30, v5
	v_mov_b32_e32 v7, 0x80
	s_and_saveexec_b64 s[30:31], vcc
	s_cbranch_execz .LBB344_690
; %bb.685:
	s_mov_b32 s34, 0x3bffffff
	v_and_b32_e32 v3, 0xffff, v2
	v_cmp_lt_u32_e32 vcc, s34, v5
	s_mov_b64 s[34:35], 0
                                        ; implicit-def: $vgpr5
	s_and_saveexec_b64 s[36:37], vcc
	s_xor_b64 s[36:37], exec, s[36:37]
	s_cbranch_execz .LBB344_791
; %bb.686:
	v_bfe_u32 v5, v3, 4, 1
	s_mov_b32 s41, 0x487ffff
	v_add3_u32 v5, v6, v5, s41
	s_mov_b64 s[34:35], exec
	v_lshrrev_b32_e32 v5, 20, v5
                                        ; implicit-def: $vgpr6
	s_andn2_saveexec_b64 s[36:37], s[36:37]
	s_cbranch_execnz .LBB344_792
.LBB344_687:
	s_or_b64 exec, exec, s[36:37]
	v_mov_b32_e32 v7, 0
	s_and_saveexec_b64 s[36:37], s[34:35]
.LBB344_688:
	v_lshrrev_b32_e32 v3, 8, v3
	s_movk_i32 s34, 0x80
	v_and_or_b32 v7, v3, s34, v5
.LBB344_689:
	s_or_b64 exec, exec, s[36:37]
.LBB344_690:
	s_or_b64 exec, exec, s[30:31]
	global_store_byte v[0:1], v7, off
.LBB344_691:
	s_mov_b64 s[30:31], -1
.LBB344_692:
	s_mov_b64 s[34:35], 0
.LBB344_693:
	s_and_b64 vcc, exec, s[34:35]
	s_cbranch_vccz .LBB344_734
; %bb.694:
	s_cmp_gt_i32 s39, 22
	s_mov_b64 s[34:35], -1
	s_cbranch_scc0 .LBB344_726
; %bb.695:
	s_cmp_lt_i32 s39, 24
	s_mov_b64 s[30:31], -1
	s_cbranch_scc1 .LBB344_715
; %bb.696:
	s_cmp_gt_i32 s39, 24
	s_cbranch_scc0 .LBB344_704
; %bb.697:
	v_lshlrev_b32_e32 v6, 16, v2
	v_and_b32_e32 v5, 0x7fffffff, v6
	s_mov_b32 s30, 0x47800000
	v_cmp_gt_u32_e32 vcc, s30, v5
	v_mov_b32_e32 v7, 0x80
	s_and_saveexec_b64 s[30:31], vcc
	s_cbranch_execz .LBB344_703
; %bb.698:
	s_mov_b32 s34, 0x37ffffff
	v_and_b32_e32 v3, 0xffff, v2
	v_cmp_lt_u32_e32 vcc, s34, v5
	s_mov_b64 s[34:35], 0
                                        ; implicit-def: $vgpr5
	s_and_saveexec_b64 s[36:37], vcc
	s_xor_b64 s[36:37], exec, s[36:37]
	s_cbranch_execz .LBB344_794
; %bb.699:
	v_bfe_u32 v5, v3, 5, 1
	s_mov_b32 s41, 0x88fffff
	v_add3_u32 v5, v6, v5, s41
	s_mov_b64 s[34:35], exec
	v_lshrrev_b32_e32 v5, 21, v5
                                        ; implicit-def: $vgpr6
	s_andn2_saveexec_b64 s[36:37], s[36:37]
	s_cbranch_execnz .LBB344_795
.LBB344_700:
	s_or_b64 exec, exec, s[36:37]
	v_mov_b32_e32 v7, 0
	s_and_saveexec_b64 s[36:37], s[34:35]
.LBB344_701:
	v_lshrrev_b32_e32 v3, 8, v3
	s_movk_i32 s34, 0x80
	v_and_or_b32 v7, v3, s34, v5
.LBB344_702:
	s_or_b64 exec, exec, s[36:37]
.LBB344_703:
	s_or_b64 exec, exec, s[30:31]
	s_mov_b64 s[30:31], 0
	global_store_byte v[0:1], v7, off
.LBB344_704:
	s_and_b64 vcc, exec, s[30:31]
	s_cbranch_vccz .LBB344_714
; %bb.705:
	v_lshlrev_b32_e32 v6, 16, v2
	v_and_b32_e32 v7, 0x7fffffff, v6
	s_mov_b32 s30, 0x43f00000
	v_and_b32_e32 v3, 0xffff, v2
	v_cmp_gt_u32_e32 vcc, s30, v7
                                        ; implicit-def: $vgpr5
	s_and_saveexec_b64 s[30:31], vcc
	s_xor_b64 s[30:31], exec, s[30:31]
	s_cbranch_execz .LBB344_711
; %bb.706:
	s_mov_b32 s34, 0x3c7fffff
	v_cmp_lt_u32_e32 vcc, s34, v7
                                        ; implicit-def: $vgpr5
	s_and_saveexec_b64 s[34:35], vcc
	s_xor_b64 s[34:35], exec, s[34:35]
; %bb.707:
	v_bfe_u32 v5, v3, 4, 1
	s_mov_b32 s36, 0x407ffff
	v_add3_u32 v5, v6, v5, s36
	v_lshrrev_b32_e32 v6, 20, v5
	v_and_b32_e32 v5, 0xff00000, v5
	s_mov_b32 s36, 0x7f00000
	v_mov_b32_e32 v7, 0x7e
	v_cmp_ne_u32_e32 vcc, s36, v5
	s_nop 1
	v_cndmask_b32_e32 v5, v7, v6, vcc
                                        ; implicit-def: $vgpr6
; %bb.708:
	s_andn2_saveexec_b64 s[34:35], s[34:35]
; %bb.709:
	s_mov_b32 s36, 0x46800000
	v_add_f32_e64 v5, |v6|, s36
; %bb.710:
	s_or_b64 exec, exec, s[34:35]
                                        ; implicit-def: $vgpr7
.LBB344_711:
	s_andn2_saveexec_b64 s[30:31], s[30:31]
; %bb.712:
	s_mov_b32 s34, 0x7f800000
	v_mov_b32_e32 v5, 0x7e
	v_mov_b32_e32 v6, 0x7f
	v_cmp_lt_u32_e32 vcc, s34, v7
	s_nop 1
	v_cndmask_b32_e32 v5, v5, v6, vcc
; %bb.713:
	s_or_b64 exec, exec, s[30:31]
	v_lshrrev_b32_e32 v3, 8, v3
	s_movk_i32 s30, 0x80
	v_and_or_b32 v3, v3, s30, v5
	global_store_byte v[0:1], v3, off
.LBB344_714:
	s_mov_b64 s[30:31], 0
.LBB344_715:
	s_andn2_b64 vcc, exec, s[30:31]
	s_cbranch_vccnz .LBB344_725
; %bb.716:
	v_lshlrev_b32_e32 v6, 16, v2
	v_and_b32_e32 v7, 0x7fffffff, v6
	s_mov_b32 s30, 0x47800000
	v_and_b32_e32 v3, 0xffff, v2
	v_cmp_gt_u32_e32 vcc, s30, v7
                                        ; implicit-def: $vgpr5
	s_and_saveexec_b64 s[30:31], vcc
	s_xor_b64 s[30:31], exec, s[30:31]
	s_cbranch_execz .LBB344_722
; %bb.717:
	s_mov_b32 s34, 0x387fffff
	v_cmp_lt_u32_e32 vcc, s34, v7
                                        ; implicit-def: $vgpr5
	s_and_saveexec_b64 s[34:35], vcc
	s_xor_b64 s[34:35], exec, s[34:35]
; %bb.718:
	v_bfe_u32 v5, v3, 5, 1
	s_mov_b32 s36, 0x80fffff
	v_add3_u32 v5, v6, v5, s36
	v_lshrrev_b32_e32 v5, 21, v5
                                        ; implicit-def: $vgpr6
; %bb.719:
	s_andn2_saveexec_b64 s[34:35], s[34:35]
; %bb.720:
	s_mov_b32 s36, 0x43000000
	v_add_f32_e64 v5, |v6|, s36
; %bb.721:
	s_or_b64 exec, exec, s[34:35]
                                        ; implicit-def: $vgpr7
.LBB344_722:
	s_andn2_saveexec_b64 s[30:31], s[30:31]
; %bb.723:
	s_mov_b32 s34, 0x7f800000
	v_mov_b32_e32 v5, 0x7c
	v_mov_b32_e32 v6, 0x7f
	v_cmp_lt_u32_e32 vcc, s34, v7
	s_nop 1
	v_cndmask_b32_e32 v5, v5, v6, vcc
; %bb.724:
	s_or_b64 exec, exec, s[30:31]
	v_lshrrev_b32_e32 v3, 8, v3
	s_movk_i32 s30, 0x80
	v_and_or_b32 v3, v3, s30, v5
	global_store_byte v[0:1], v3, off
.LBB344_725:
	s_mov_b64 s[34:35], 0
	s_mov_b64 s[30:31], -1
.LBB344_726:
	s_andn2_b64 vcc, exec, s[34:35]
	s_cbranch_vccnz .LBB344_734
; %bb.727:
	s_cmp_gt_i32 s39, 14
	s_mov_b64 s[34:35], -1
	s_cbranch_scc0 .LBB344_731
; %bb.728:
	s_cmp_eq_u32 s39, 15
	s_mov_b64 s[0:1], -1
	s_cbranch_scc0 .LBB344_730
; %bb.729:
	global_store_short v[0:1], v2, off
	s_mov_b64 s[30:31], -1
	s_mov_b64 s[0:1], 0
.LBB344_730:
	s_mov_b64 s[34:35], 0
.LBB344_731:
	s_and_b64 vcc, exec, s[34:35]
	s_cbranch_vccz .LBB344_734
; %bb.732:
	s_cmp_eq_u32 s39, 11
	s_mov_b64 s[0:1], -1
	s_cbranch_scc0 .LBB344_734
; %bb.733:
	v_and_b32_e32 v3, 0x7fff, v2
	v_cmp_ne_u16_e32 vcc, 0, v3
	s_mov_b64 s[30:31], -1
	s_mov_b64 s[0:1], 0
	v_cndmask_b32_e64 v3, 0, 1, vcc
	global_store_byte v[0:1], v3, off
.LBB344_734:
	s_mov_b64 s[34:35], 0
.LBB344_735:
	s_and_b64 vcc, exec, s[34:35]
	s_cbranch_vccz .LBB344_774
; %bb.736:
	s_and_b32 s34, 0xffff, s38
	s_cmp_lt_i32 s34, 5
	s_mov_b64 s[30:31], -1
	s_cbranch_scc1 .LBB344_757
; %bb.737:
	s_cmp_lt_i32 s34, 8
	s_cbranch_scc1 .LBB344_747
; %bb.738:
	s_cmp_lt_i32 s34, 9
	s_cbranch_scc1 .LBB344_744
; %bb.739:
	s_cmp_gt_i32 s34, 9
	s_cbranch_scc0 .LBB344_741
; %bb.740:
	v_lshlrev_b32_e32 v3, 16, v2
	v_mov_b32_e32 v8, 0
	v_cvt_f64_f32_e32 v[6:7], v3
	v_mov_b32_e32 v9, v8
	s_mov_b64 s[30:31], 0
	global_store_dwordx4 v[0:1], v[6:9], off
.LBB344_741:
	s_andn2_b64 vcc, exec, s[30:31]
	s_cbranch_vccnz .LBB344_743
; %bb.742:
	v_lshlrev_b32_e32 v6, 16, v2
	v_mov_b32_e32 v7, 0
	global_store_dwordx2 v[0:1], v[6:7], off
.LBB344_743:
	s_mov_b64 s[30:31], 0
.LBB344_744:
	s_andn2_b64 vcc, exec, s[30:31]
	s_cbranch_vccnz .LBB344_746
; %bb.745:
	v_lshlrev_b32_e32 v3, 16, v2
	v_cvt_f16_f32_e32 v3, v3
	global_store_dword v[0:1], v3, off
.LBB344_746:
	s_mov_b64 s[30:31], 0
.LBB344_747:
	s_andn2_b64 vcc, exec, s[30:31]
	s_cbranch_vccnz .LBB344_756
; %bb.748:
	s_cmp_lt_i32 s34, 6
	s_mov_b64 s[30:31], -1
	s_cbranch_scc1 .LBB344_754
; %bb.749:
	s_cmp_gt_i32 s34, 6
	s_cbranch_scc0 .LBB344_751
; %bb.750:
	v_lshlrev_b32_e32 v3, 16, v2
	v_cvt_f64_f32_e32 v[6:7], v3
	s_mov_b64 s[30:31], 0
	global_store_dwordx2 v[0:1], v[6:7], off
.LBB344_751:
	s_andn2_b64 vcc, exec, s[30:31]
	s_cbranch_vccnz .LBB344_753
; %bb.752:
	v_lshlrev_b32_e32 v3, 16, v2
	global_store_dword v[0:1], v3, off
.LBB344_753:
	s_mov_b64 s[30:31], 0
.LBB344_754:
	s_andn2_b64 vcc, exec, s[30:31]
	s_cbranch_vccnz .LBB344_756
; %bb.755:
	v_lshlrev_b32_e32 v3, 16, v2
	v_cvt_f16_f32_e32 v3, v3
	global_store_short v[0:1], v3, off
.LBB344_756:
	s_mov_b64 s[30:31], 0
.LBB344_757:
	s_andn2_b64 vcc, exec, s[30:31]
	s_cbranch_vccnz .LBB344_773
; %bb.758:
	s_cmp_lt_i32 s34, 2
	s_mov_b64 s[30:31], -1
	s_cbranch_scc1 .LBB344_768
; %bb.759:
	s_cmp_lt_i32 s34, 3
	s_cbranch_scc1 .LBB344_765
; %bb.760:
	s_cmp_gt_i32 s34, 3
	s_cbranch_scc0 .LBB344_762
; %bb.761:
	v_lshlrev_b32_e32 v3, 16, v2
	v_trunc_f32_e32 v3, v3
	s_mov_b32 s30, 0x2f800000
	v_mul_f32_e64 v5, |v3|, s30
	v_floor_f32_e32 v5, v5
	s_mov_b32 s30, 0xcf800000
	v_cvt_u32_f32_e32 v6, v5
	v_fma_f32 v5, v5, s30, |v3|
	v_cvt_u32_f32_e32 v5, v5
	v_ashrrev_i32_e32 v3, 31, v3
	v_xor_b32_e32 v7, v6, v3
	s_mov_b64 s[30:31], 0
	v_xor_b32_e32 v5, v5, v3
	v_sub_co_u32_e32 v6, vcc, v5, v3
	s_nop 1
	v_subb_co_u32_e32 v7, vcc, v7, v3, vcc
	global_store_dwordx2 v[0:1], v[6:7], off
.LBB344_762:
	s_andn2_b64 vcc, exec, s[30:31]
	s_cbranch_vccnz .LBB344_764
; %bb.763:
	v_lshlrev_b32_e32 v3, 16, v2
	v_cvt_i32_f32_e32 v3, v3
	global_store_dword v[0:1], v3, off
.LBB344_764:
	s_mov_b64 s[30:31], 0
.LBB344_765:
	s_andn2_b64 vcc, exec, s[30:31]
	s_cbranch_vccnz .LBB344_767
; %bb.766:
	v_lshlrev_b32_e32 v3, 16, v2
	v_cvt_i32_f32_e32 v3, v3
	global_store_short v[0:1], v3, off
.LBB344_767:
	s_mov_b64 s[30:31], 0
.LBB344_768:
	s_andn2_b64 vcc, exec, s[30:31]
	s_cbranch_vccnz .LBB344_773
; %bb.769:
	s_mov_b64 s[30:31], -1
	s_cmp_gt_i32 s34, 0
	v_lshlrev_b32_e32 v2, 16, v2
	s_cbranch_scc0 .LBB344_771
; %bb.770:
	v_cvt_i32_f32_e32 v3, v2
	s_mov_b64 s[30:31], 0
	global_store_byte v[0:1], v3, off
.LBB344_771:
	s_andn2_b64 vcc, exec, s[30:31]
	s_cbranch_vccnz .LBB344_773
; %bb.772:
	v_trunc_f32_e32 v2, v2
	s_mov_b32 s30, 0x2f800000
	v_mul_f32_e64 v3, |v2|, s30
	v_floor_f32_e32 v3, v3
	s_mov_b32 s30, 0xcf800000
	v_fma_f32 v3, v3, s30, |v2|
	v_cvt_u32_f32_e32 v3, v3
	v_ashrrev_i32_e32 v2, 31, v2
	v_xor_b32_e32 v3, v3, v2
	v_sub_u32_e32 v2, v3, v2
	global_store_byte v[0:1], v2, off
.LBB344_773:
	s_mov_b64 s[30:31], -1
.LBB344_774:
	s_andn2_b64 vcc, exec, s[30:31]
	s_cbranch_vccnz .LBB344_776
; %bb.775:
	v_add_u32_e32 v4, 0x80, v4
	s_mov_b64 s[34:35], -1
	s_branch .LBB344_777
.LBB344_776:
	s_mov_b64 s[34:35], 0
                                        ; implicit-def: $vgpr4
.LBB344_777:
	s_andn2_b64 s[30:31], s[22:23], exec
	s_and_b64 s[0:1], s[0:1], exec
	s_or_b64 s[30:31], s[30:31], s[0:1]
	s_andn2_b64 s[0:1], s[20:21], exec
	s_and_b64 s[28:29], s[28:29], exec
	s_or_b64 s[0:1], s[0:1], s[28:29]
	s_orn2_b64 s[36:37], s[34:35], exec
.LBB344_778:
	s_or_b64 exec, exec, s[26:27]
	s_mov_b64 s[34:35], 0
	s_mov_b64 s[28:29], 0
	;; [unrolled: 1-line block ×3, first 2 shown]
                                        ; implicit-def: $vgpr0_vgpr1
                                        ; implicit-def: $vgpr2
	s_and_saveexec_b64 s[26:27], s[36:37]
	s_cbranch_execz .LBB344_863
; %bb.779:
	v_cmp_gt_i32_e32 vcc, s40, v4
	s_mov_b64 s[36:37], 0
	s_mov_b64 s[40:41], s[0:1]
	s_mov_b64 s[42:43], 0
                                        ; implicit-def: $vgpr0_vgpr1
                                        ; implicit-def: $vgpr2
	s_and_saveexec_b64 s[28:29], vcc
	s_cbranch_execz .LBB344_862
; %bb.780:
	v_mul_lo_u32 v0, v4, s9
	v_ashrrev_i32_e32 v1, 31, v0
	s_and_b32 s47, 0xffff, s45
	s_cmp_lt_i32 s47, 11
	v_lshl_add_u64 v[0:1], s[6:7], 0, v[0:1]
	s_cbranch_scc1 .LBB344_787
; %bb.781:
	s_cmp_gt_i32 s47, 25
	s_cbranch_scc0 .LBB344_788
; %bb.782:
	s_cmp_gt_i32 s47, 28
	s_cbranch_scc0 .LBB344_789
	;; [unrolled: 3-line block ×4, first 2 shown]
; %bb.785:
	s_cmp_eq_u32 s47, 46
	s_mov_b64 s[40:41], 0
	s_cbranch_scc0 .LBB344_796
; %bb.786:
	global_load_dword v2, v[0:1], off
	s_mov_b64 s[38:39], -1
	s_branch .LBB344_798
.LBB344_787:
	s_mov_b64 s[40:41], -1
                                        ; implicit-def: $vgpr2
	s_mov_b64 s[34:35], s[0:1]
	s_branch .LBB344_861
.LBB344_788:
	s_mov_b64 s[40:41], -1
	s_mov_b64 s[34:35], s[0:1]
                                        ; implicit-def: $vgpr2
	s_branch .LBB344_827
.LBB344_789:
	s_mov_b64 s[40:41], -1
	s_mov_b64 s[34:35], s[0:1]
                                        ; implicit-def: $vgpr2
	s_branch .LBB344_808
.LBB344_790:
	s_mov_b64 s[40:41], -1
	s_mov_b64 s[34:35], s[0:1]
                                        ; implicit-def: $vgpr2
	s_branch .LBB344_803
.LBB344_791:
	s_andn2_saveexec_b64 s[36:37], s[36:37]
	s_cbranch_execz .LBB344_687
.LBB344_792:
	s_mov_b32 s41, 0x46000000
	v_add_f32_e64 v5, |v6|, s41
	v_and_b32_e32 v5, 0xff, v5
	v_cmp_ne_u32_e32 vcc, 0, v5
	s_andn2_b64 s[34:35], s[34:35], exec
	s_and_b64 s[42:43], vcc, exec
	s_or_b64 s[34:35], s[34:35], s[42:43]
	s_or_b64 exec, exec, s[36:37]
	v_mov_b32_e32 v7, 0
	s_and_saveexec_b64 s[36:37], s[34:35]
	s_cbranch_execnz .LBB344_688
	s_branch .LBB344_689
.LBB344_793:
	s_mov_b64 s[40:41], -1
	s_mov_b64 s[34:35], s[0:1]
	s_branch .LBB344_797
.LBB344_794:
	s_andn2_saveexec_b64 s[36:37], s[36:37]
	s_cbranch_execz .LBB344_700
.LBB344_795:
	s_mov_b32 s41, 0x42800000
	v_add_f32_e64 v5, |v6|, s41
	v_and_b32_e32 v5, 0xff, v5
	v_cmp_ne_u32_e32 vcc, 0, v5
	s_andn2_b64 s[34:35], s[34:35], exec
	s_and_b64 s[42:43], vcc, exec
	s_or_b64 s[34:35], s[34:35], s[42:43]
	s_or_b64 exec, exec, s[36:37]
	v_mov_b32_e32 v7, 0
	s_and_saveexec_b64 s[36:37], s[34:35]
	s_cbranch_execnz .LBB344_701
	s_branch .LBB344_702
.LBB344_796:
	s_mov_b64 s[34:35], -1
.LBB344_797:
                                        ; implicit-def: $vgpr2
.LBB344_798:
	s_and_b64 vcc, exec, s[40:41]
	s_cbranch_vccz .LBB344_802
; %bb.799:
	s_cmp_eq_u32 s47, 44
	s_cbranch_scc0 .LBB344_801
; %bb.800:
	global_load_ubyte v2, v[0:1], off
	s_movk_i32 s38, 0xff
	v_mov_b32_e32 v3, 0x7f800001
	v_mov_b32_e32 v5, 0x400000
	;; [unrolled: 1-line block ×3, first 2 shown]
	s_mov_b64 s[34:35], 0
	s_waitcnt vmcnt(0)
	v_lshlrev_b32_e32 v7, 23, v2
	v_cmp_ne_u32_e32 vcc, s38, v2
	s_mov_b64 s[38:39], -1
	s_nop 0
	v_cndmask_b32_e32 v3, v3, v7, vcc
	v_cmp_ne_u32_e32 vcc, 0, v2
	s_nop 1
	v_cndmask_b32_e32 v2, v5, v3, vcc
	v_add_u32_e32 v3, 0x7fff, v2
	v_cmp_o_f32_e32 vcc, v2, v2
	s_nop 1
	v_cndmask_b32_sdwa v2, v6, v3, vcc dst_sel:DWORD dst_unused:UNUSED_PAD src0_sel:DWORD src1_sel:WORD_1
	s_branch .LBB344_802
.LBB344_801:
	s_mov_b64 s[34:35], -1
                                        ; implicit-def: $vgpr2
.LBB344_802:
	s_mov_b64 s[40:41], 0
.LBB344_803:
	s_and_b64 vcc, exec, s[40:41]
	s_cbranch_vccz .LBB344_807
; %bb.804:
	s_cmp_eq_u32 s47, 29
	s_cbranch_scc0 .LBB344_806
; %bb.805:
	global_load_dwordx2 v[2:3], v[0:1], off
	s_movk_i32 s38, 0x7fff
	s_mov_b64 s[34:35], 0
	s_mov_b64 s[40:41], 0
	s_waitcnt vmcnt(0)
	v_ffbh_u32_e32 v5, v3
	v_min_u32_e32 v5, 32, v5
	v_lshlrev_b64 v[2:3], v5, v[2:3]
	v_min_u32_e32 v2, 1, v2
	v_or_b32_e32 v2, v3, v2
	v_cvt_f32_u32_e32 v2, v2
	v_sub_u32_e32 v3, 32, v5
	v_ldexp_f32 v2, v2, v3
	v_bfe_u32 v3, v2, 16, 1
	v_add3_u32 v2, v2, v3, s38
	v_lshrrev_b32_e32 v2, 16, v2
	s_mov_b64 s[38:39], -1
	s_branch .LBB344_808
.LBB344_806:
	s_mov_b64 s[34:35], -1
                                        ; implicit-def: $vgpr2
.LBB344_807:
	s_mov_b64 s[40:41], 0
.LBB344_808:
	s_and_b64 vcc, exec, s[40:41]
	s_cbranch_vccz .LBB344_826
; %bb.809:
	s_cmp_lt_i32 s47, 27
	s_cbranch_scc1 .LBB344_812
; %bb.810:
	s_cmp_gt_i32 s47, 27
	s_cbranch_scc0 .LBB344_813
; %bb.811:
	global_load_dword v2, v[0:1], off
	s_movk_i32 s38, 0x7fff
	s_waitcnt vmcnt(0)
	v_cvt_f32_u32_e32 v2, v2
	v_bfe_u32 v3, v2, 16, 1
	v_add3_u32 v2, v2, v3, s38
	v_lshrrev_b32_e32 v2, 16, v2
	s_mov_b64 s[38:39], 0
	s_branch .LBB344_814
.LBB344_812:
	s_mov_b64 s[38:39], -1
                                        ; implicit-def: $vgpr2
	s_branch .LBB344_817
.LBB344_813:
	s_mov_b64 s[38:39], -1
                                        ; implicit-def: $vgpr2
.LBB344_814:
	s_andn2_b64 vcc, exec, s[38:39]
	s_cbranch_vccnz .LBB344_816
; %bb.815:
	global_load_ushort v2, v[0:1], off
	s_movk_i32 s38, 0x7fff
	s_waitcnt vmcnt(0)
	v_cvt_f32_u32_e32 v2, v2
	v_bfe_u32 v3, v2, 16, 1
	v_add3_u32 v2, v2, v3, s38
	v_lshrrev_b32_e32 v2, 16, v2
.LBB344_816:
	s_mov_b64 s[38:39], 0
.LBB344_817:
	s_andn2_b64 vcc, exec, s[38:39]
	s_cbranch_vccnz .LBB344_825
; %bb.818:
	global_load_ubyte v2, v[0:1], off
	s_movk_i32 s38, 0x7f
	s_waitcnt vmcnt(0)
	v_cmp_lt_i16_e32 vcc, s38, v2
	s_mov_b64 s[38:39], 0
	s_and_saveexec_b64 s[40:41], vcc
	s_xor_b64 s[40:41], exec, s[40:41]
	s_cbranch_execz .LBB344_839
; %bb.819:
	s_movk_i32 s38, 0x80
	v_cmp_eq_u16_e32 vcc, s38, v2
	s_mov_b64 s[38:39], -1
	s_and_saveexec_b64 s[42:43], vcc
; %bb.820:
	s_xor_b64 s[38:39], exec, -1
; %bb.821:
	s_or_b64 exec, exec, s[42:43]
	s_and_b64 s[38:39], s[38:39], exec
	s_or_saveexec_b64 s[40:41], s[40:41]
	v_mov_b32_e32 v3, 0x7f800001
	s_xor_b64 exec, exec, s[40:41]
	s_cbranch_execnz .LBB344_840
.LBB344_822:
	s_or_b64 exec, exec, s[40:41]
	s_and_saveexec_b64 s[40:41], s[38:39]
	s_cbranch_execz .LBB344_824
.LBB344_823:
	v_lshlrev_b32_e32 v3, 24, v2
	v_and_b32_e32 v2, 0xffff, v2
	v_and_b32_e32 v5, 7, v2
	v_ffbh_u32_e32 v7, v5
	v_min_u32_e32 v7, 32, v7
	v_subrev_u32_e32 v8, 28, v7
	v_bfe_u32 v6, v2, 3, 4
	v_lshlrev_b32_e32 v2, v8, v2
	v_sub_u32_e32 v7, 29, v7
	v_and_b32_e32 v2, 7, v2
	v_cmp_eq_u32_e32 vcc, 0, v6
	v_and_b32_e32 v3, 0x80000000, v3
	s_nop 0
	v_cndmask_b32_e32 v6, v6, v7, vcc
	v_cndmask_b32_e32 v2, v5, v2, vcc
	v_mov_b32_e32 v5, 0x3b800000
	v_lshlrev_b32_e32 v2, 20, v2
	v_lshl_add_u32 v5, v6, 23, v5
	v_or3_b32 v3, v3, v5, v2
.LBB344_824:
	s_or_b64 exec, exec, s[40:41]
	v_bfe_u32 v2, v3, 16, 1
	s_movk_i32 s38, 0x7fff
	v_add3_u32 v2, v3, v2, s38
	v_cmp_o_f32_e32 vcc, v3, v3
	v_mov_b32_e32 v3, 0x7fc0
	s_nop 0
	v_cndmask_b32_sdwa v2, v3, v2, vcc dst_sel:DWORD dst_unused:UNUSED_PAD src0_sel:DWORD src1_sel:WORD_1
.LBB344_825:
	s_mov_b64 s[38:39], -1
.LBB344_826:
	s_mov_b64 s[40:41], 0
.LBB344_827:
	s_and_b64 vcc, exec, s[40:41]
	s_cbranch_vccz .LBB344_860
; %bb.828:
	s_cmp_gt_i32 s47, 22
	s_cbranch_scc0 .LBB344_838
; %bb.829:
	s_cmp_lt_i32 s47, 24
	s_cbranch_scc1 .LBB344_841
; %bb.830:
	s_cmp_gt_i32 s47, 24
	s_cbranch_scc0 .LBB344_842
; %bb.831:
	global_load_ubyte v2, v[0:1], off
	s_movk_i32 s36, 0x7f
	s_waitcnt vmcnt(0)
	v_cmp_lt_i16_e32 vcc, s36, v2
	s_mov_b64 s[36:37], 0
	s_and_saveexec_b64 s[38:39], vcc
	s_xor_b64 s[38:39], exec, s[38:39]
	s_cbranch_execz .LBB344_854
; %bb.832:
	s_movk_i32 s36, 0x80
	v_cmp_eq_u16_e32 vcc, s36, v2
	s_mov_b64 s[36:37], -1
	s_and_saveexec_b64 s[40:41], vcc
; %bb.833:
	s_xor_b64 s[36:37], exec, -1
; %bb.834:
	s_or_b64 exec, exec, s[40:41]
	s_and_b64 s[36:37], s[36:37], exec
	s_or_saveexec_b64 s[38:39], s[38:39]
	v_mov_b32_e32 v3, 0x7f800001
	s_xor_b64 exec, exec, s[38:39]
	s_cbranch_execnz .LBB344_855
.LBB344_835:
	s_or_b64 exec, exec, s[38:39]
	s_and_saveexec_b64 s[38:39], s[36:37]
	s_cbranch_execz .LBB344_837
.LBB344_836:
	v_lshlrev_b32_e32 v3, 24, v2
	v_and_b32_e32 v2, 0xffff, v2
	v_and_b32_e32 v5, 3, v2
	v_ffbh_u32_e32 v7, v5
	v_min_u32_e32 v7, 32, v7
	v_subrev_u32_e32 v8, 29, v7
	v_bfe_u32 v6, v2, 2, 5
	v_lshlrev_b32_e32 v2, v8, v2
	v_sub_u32_e32 v7, 30, v7
	v_and_b32_e32 v2, 3, v2
	v_cmp_eq_u32_e32 vcc, 0, v6
	v_and_b32_e32 v3, 0x80000000, v3
	s_nop 0
	v_cndmask_b32_e32 v6, v6, v7, vcc
	v_cndmask_b32_e32 v2, v5, v2, vcc
	v_mov_b32_e32 v5, 0x37800000
	v_lshlrev_b32_e32 v2, 21, v2
	v_lshl_add_u32 v5, v6, 23, v5
	v_or3_b32 v3, v3, v5, v2
.LBB344_837:
	s_or_b64 exec, exec, s[38:39]
	v_bfe_u32 v2, v3, 16, 1
	s_movk_i32 s36, 0x7fff
	v_add3_u32 v2, v3, v2, s36
	v_cmp_o_f32_e32 vcc, v3, v3
	v_mov_b32_e32 v3, 0x7fc0
	s_mov_b64 s[36:37], 0
	v_cndmask_b32_sdwa v2, v3, v2, vcc dst_sel:DWORD dst_unused:UNUSED_PAD src0_sel:DWORD src1_sel:WORD_1
	s_branch .LBB344_843
.LBB344_838:
	s_mov_b64 s[36:37], -1
                                        ; implicit-def: $vgpr2
	s_branch .LBB344_849
.LBB344_839:
	s_or_saveexec_b64 s[40:41], s[40:41]
	v_mov_b32_e32 v3, 0x7f800001
	s_xor_b64 exec, exec, s[40:41]
	s_cbranch_execz .LBB344_822
.LBB344_840:
	v_cmp_ne_u16_e32 vcc, 0, v2
	s_andn2_b64 s[38:39], s[38:39], exec
	s_and_b64 s[42:43], vcc, exec
	v_mov_b32_e32 v3, 0
	s_or_b64 s[38:39], s[38:39], s[42:43]
	s_or_b64 exec, exec, s[40:41]
	s_and_saveexec_b64 s[40:41], s[38:39]
	s_cbranch_execnz .LBB344_823
	s_branch .LBB344_824
.LBB344_841:
	s_mov_b64 s[36:37], -1
                                        ; implicit-def: $vgpr2
	s_branch .LBB344_846
.LBB344_842:
	s_mov_b64 s[36:37], -1
                                        ; implicit-def: $vgpr2
.LBB344_843:
	s_and_b64 vcc, exec, s[36:37]
	s_cbranch_vccz .LBB344_845
; %bb.844:
	global_load_ubyte v2, v[0:1], off
	s_mov_b32 s36, 0x7f800000
	s_brev_b32 s37, 1
	s_movk_i32 s38, 0x7fff
	s_waitcnt vmcnt(0)
	v_lshlrev_b32_e32 v2, 24, v2
	v_and_b32_e32 v3, 0x7f000000, v2
	v_ffbh_u32_e32 v5, v3
	v_min_u32_e32 v5, 32, v5
	v_sub_u32_e64 v5, v5, 4 clamp
	v_lshlrev_b32_e32 v7, v5, v3
	v_lshlrev_b32_e32 v5, 23, v5
	v_lshrrev_b32_e32 v7, 4, v7
	v_add_u32_e32 v6, 0x1000000, v3
	v_sub_u32_e32 v5, v7, v5
	v_ashrrev_i32_e32 v6, 8, v6
	v_add_u32_e32 v5, 0x3c000000, v5
	v_and_or_b32 v5, v6, s36, v5
	v_cmp_ne_u32_e32 vcc, 0, v3
	s_nop 1
	v_cndmask_b32_e32 v3, 0, v5, vcc
	v_and_or_b32 v2, v2, s37, v3
	v_bfe_u32 v3, v3, 16, 1
	v_add3_u32 v3, v2, v3, s38
	v_cmp_o_f32_e32 vcc, v2, v2
	v_mov_b32_e32 v2, 0x7fc0
	s_nop 0
	v_cndmask_b32_sdwa v2, v2, v3, vcc dst_sel:DWORD dst_unused:UNUSED_PAD src0_sel:DWORD src1_sel:WORD_1
.LBB344_845:
	s_mov_b64 s[36:37], 0
.LBB344_846:
	s_andn2_b64 vcc, exec, s[36:37]
	s_cbranch_vccnz .LBB344_848
; %bb.847:
	global_load_ubyte v2, v[0:1], off
	s_movk_i32 s36, 0x7f00
	s_brev_b32 s37, 16
	s_brev_b32 s38, 1
	s_movk_i32 s39, 0x7fff
	s_waitcnt vmcnt(0)
	v_lshlrev_b16_e32 v3, 8, v2
	v_lshlrev_b32_e32 v2, 25, v2
	v_lshrrev_b32_e32 v5, 4, v2
	v_and_or_b32 v6, v3, s36, 0.5
	v_or_b32_e32 v5, 0x70000000, v5
	v_add_f32_e32 v6, -0.5, v6
	v_mul_f32_e32 v5, 0x7800000, v5
	v_cmp_gt_u32_e32 vcc, s37, v2
	v_bfe_i32 v3, v3, 0, 16
	s_nop 0
	v_cndmask_b32_e32 v2, v5, v6, vcc
	v_and_or_b32 v3, v3, s38, v2
	v_bfe_u32 v2, v2, 16, 1
	v_add3_u32 v2, v3, v2, s39
	v_cmp_o_f32_e32 vcc, v3, v3
	v_mov_b32_e32 v3, 0x7fc0
	s_nop 0
	v_cndmask_b32_sdwa v2, v3, v2, vcc dst_sel:DWORD dst_unused:UNUSED_PAD src0_sel:DWORD src1_sel:WORD_1
.LBB344_848:
	s_mov_b64 s[36:37], 0
	s_mov_b64 s[38:39], -1
.LBB344_849:
	s_andn2_b64 vcc, exec, s[36:37]
	s_mov_b64 s[36:37], 0
	s_cbranch_vccnz .LBB344_860
; %bb.850:
	s_cmp_gt_i32 s47, 14
	s_cbranch_scc0 .LBB344_853
; %bb.851:
	s_cmp_eq_u32 s47, 15
	s_cbranch_scc0 .LBB344_856
; %bb.852:
	global_load_ushort v2, v[0:1], off
	s_mov_b64 s[34:35], 0
	s_mov_b64 s[38:39], -1
	s_branch .LBB344_857
.LBB344_853:
	s_mov_b64 s[40:41], -1
                                        ; implicit-def: $vgpr2
	s_branch .LBB344_858
.LBB344_854:
	s_or_saveexec_b64 s[38:39], s[38:39]
	v_mov_b32_e32 v3, 0x7f800001
	s_xor_b64 exec, exec, s[38:39]
	s_cbranch_execz .LBB344_835
.LBB344_855:
	v_cmp_ne_u16_e32 vcc, 0, v2
	s_andn2_b64 s[36:37], s[36:37], exec
	s_and_b64 s[40:41], vcc, exec
	v_mov_b32_e32 v3, 0
	s_or_b64 s[36:37], s[36:37], s[40:41]
	s_or_b64 exec, exec, s[38:39]
	s_and_saveexec_b64 s[38:39], s[36:37]
	s_cbranch_execnz .LBB344_836
	s_branch .LBB344_837
.LBB344_856:
	s_mov_b64 s[34:35], -1
                                        ; implicit-def: $vgpr2
.LBB344_857:
	s_mov_b64 s[40:41], 0
.LBB344_858:
	s_and_b64 vcc, exec, s[40:41]
	s_cbranch_vccz .LBB344_860
; %bb.859:
	s_cmp_lg_u32 s47, 11
	s_cselect_b64 s[40:41], -1, 0
	s_andn2_b64 s[34:35], s[34:35], exec
	s_and_b64 s[40:41], s[40:41], exec
	s_mov_b64 s[36:37], -1
	s_or_b64 s[34:35], s[34:35], s[40:41]
.LBB344_860:
	s_mov_b64 s[40:41], 0
.LBB344_861:
	s_and_b64 s[42:43], s[40:41], exec
	s_andn2_b64 s[40:41], s[0:1], exec
	s_and_b64 s[34:35], s[34:35], exec
	s_and_b64 s[38:39], s[38:39], exec
	;; [unrolled: 1-line block ×3, first 2 shown]
	s_or_b64 s[40:41], s[40:41], s[34:35]
.LBB344_862:
	s_or_b64 exec, exec, s[28:29]
	s_and_b64 s[34:35], s[36:37], exec
	s_andn2_b64 s[0:1], s[0:1], exec
	s_and_b64 s[36:37], s[40:41], exec
	s_and_b64 s[38:39], s[38:39], exec
	;; [unrolled: 1-line block ×3, first 2 shown]
	s_or_b64 s[0:1], s[0:1], s[36:37]
.LBB344_863:
	s_or_b64 exec, exec, s[26:27]
	s_andn2_b64 s[22:23], s[22:23], exec
	s_and_b64 s[26:27], s[30:31], exec
	s_andn2_b64 s[20:21], s[20:21], exec
	s_and_b64 s[0:1], s[0:1], exec
	s_or_b64 s[22:23], s[22:23], s[26:27]
	s_and_b64 s[30:31], s[38:39], exec
	s_and_b64 s[28:29], s[28:29], exec
	s_and_b64 s[26:27], s[34:35], exec
	s_or_b64 s[20:21], s[20:21], s[0:1]
.LBB344_864:
	s_or_b64 exec, exec, s[24:25]
	s_andn2_b64 s[0:1], s[14:15], exec
	s_and_b64 s[14:15], s[22:23], exec
	s_andn2_b64 s[16:17], s[16:17], exec
	s_and_b64 s[20:21], s[20:21], exec
	s_or_b64 s[14:15], s[0:1], s[14:15]
	s_and_b64 s[0:1], s[30:31], exec
	s_and_b64 s[24:25], s[28:29], exec
	;; [unrolled: 1-line block ×3, first 2 shown]
	s_or_b64 s[16:17], s[16:17], s[20:21]
	s_or_b64 exec, exec, s[18:19]
	s_mov_b64 s[18:19], 0
	s_and_saveexec_b64 s[20:21], s[16:17]
	s_cbranch_execz .LBB344_264
.LBB344_865:
	s_mov_b64 s[18:19], exec
	s_andn2_b64 s[22:23], s[22:23], exec
	s_trap 2
	s_or_b64 exec, exec, s[20:21]
	s_and_saveexec_b64 s[16:17], s[22:23]
	s_xor_b64 s[16:17], exec, s[16:17]
	s_cbranch_execnz .LBB344_265
.LBB344_866:
	s_or_b64 exec, exec, s[16:17]
	s_and_saveexec_b64 s[16:17], s[24:25]
	s_cbranch_execz .LBB344_912
.LBB344_867:
	s_sext_i32_i16 s20, s45
	s_cmp_lt_i32 s20, 5
	s_cbranch_scc1 .LBB344_872
; %bb.868:
	s_cmp_lt_i32 s20, 8
	s_cbranch_scc1 .LBB344_873
; %bb.869:
	;; [unrolled: 3-line block ×3, first 2 shown]
	s_cmp_gt_i32 s20, 9
	s_cbranch_scc0 .LBB344_875
; %bb.871:
	global_load_dwordx2 v[2:3], v[0:1], off
	s_movk_i32 s20, 0x7fff
	v_mov_b32_e32 v5, 0x7fc0
	s_waitcnt vmcnt(0)
	v_cvt_f32_f64_e32 v2, v[2:3]
	v_bfe_u32 v3, v2, 16, 1
	v_cmp_o_f32_e32 vcc, v2, v2
	v_add3_u32 v2, v2, v3, s20
	s_mov_b64 s[20:21], 0
	v_cndmask_b32_sdwa v2, v5, v2, vcc dst_sel:DWORD dst_unused:UNUSED_PAD src0_sel:DWORD src1_sel:WORD_1
	s_branch .LBB344_876
.LBB344_872:
                                        ; implicit-def: $vgpr2
	s_branch .LBB344_893
.LBB344_873:
                                        ; implicit-def: $vgpr2
	s_branch .LBB344_882
.LBB344_874:
	s_mov_b64 s[20:21], -1
                                        ; implicit-def: $vgpr2
	s_branch .LBB344_879
.LBB344_875:
	s_mov_b64 s[20:21], -1
                                        ; implicit-def: $vgpr2
.LBB344_876:
	s_andn2_b64 vcc, exec, s[20:21]
	s_cbranch_vccnz .LBB344_878
; %bb.877:
	global_load_dword v2, v[0:1], off
	s_movk_i32 s20, 0x7fff
	v_mov_b32_e32 v3, 0x7fc0
	s_waitcnt vmcnt(0)
	v_bfe_u32 v5, v2, 16, 1
	v_cmp_o_f32_e32 vcc, v2, v2
	v_add3_u32 v2, v2, v5, s20
	s_nop 0
	v_cndmask_b32_sdwa v2, v3, v2, vcc dst_sel:DWORD dst_unused:UNUSED_PAD src0_sel:DWORD src1_sel:WORD_1
.LBB344_878:
	s_mov_b64 s[20:21], 0
.LBB344_879:
	s_andn2_b64 vcc, exec, s[20:21]
	s_cbranch_vccnz .LBB344_881
; %bb.880:
	global_load_dword v2, v[0:1], off
	s_movk_i32 s20, 0x7fff
	v_mov_b32_e32 v5, 0x7fc0
	s_waitcnt vmcnt(0)
	v_cvt_f32_f16_e32 v3, v2
	v_cmp_o_f16_e32 vcc, v2, v2
	v_bfe_u32 v2, v3, 16, 1
	v_add3_u32 v2, v3, v2, s20
	v_cndmask_b32_sdwa v2, v5, v2, vcc dst_sel:DWORD dst_unused:UNUSED_PAD src0_sel:DWORD src1_sel:WORD_1
.LBB344_881:
	s_cbranch_execnz .LBB344_892
.LBB344_882:
	s_sext_i32_i16 s20, s45
	s_cmp_lt_i32 s20, 6
	s_cbranch_scc1 .LBB344_885
; %bb.883:
	s_cmp_gt_i32 s20, 6
	s_cbranch_scc0 .LBB344_886
; %bb.884:
	global_load_dwordx2 v[2:3], v[0:1], off
	s_movk_i32 s20, 0x7fff
	v_mov_b32_e32 v5, 0x7fc0
	s_waitcnt vmcnt(0)
	v_cvt_f32_f64_e32 v2, v[2:3]
	v_bfe_u32 v3, v2, 16, 1
	v_cmp_o_f32_e32 vcc, v2, v2
	v_add3_u32 v2, v2, v3, s20
	s_mov_b64 s[20:21], 0
	v_cndmask_b32_sdwa v2, v5, v2, vcc dst_sel:DWORD dst_unused:UNUSED_PAD src0_sel:DWORD src1_sel:WORD_1
	s_branch .LBB344_887
.LBB344_885:
	s_mov_b64 s[20:21], -1
                                        ; implicit-def: $vgpr2
	s_branch .LBB344_890
.LBB344_886:
	s_mov_b64 s[20:21], -1
                                        ; implicit-def: $vgpr2
.LBB344_887:
	s_andn2_b64 vcc, exec, s[20:21]
	s_cbranch_vccnz .LBB344_889
; %bb.888:
	global_load_dword v2, v[0:1], off
	s_movk_i32 s20, 0x7fff
	v_mov_b32_e32 v3, 0x7fc0
	s_waitcnt vmcnt(0)
	v_bfe_u32 v5, v2, 16, 1
	v_cmp_o_f32_e32 vcc, v2, v2
	v_add3_u32 v2, v2, v5, s20
	s_nop 0
	v_cndmask_b32_sdwa v2, v3, v2, vcc dst_sel:DWORD dst_unused:UNUSED_PAD src0_sel:DWORD src1_sel:WORD_1
.LBB344_889:
	s_mov_b64 s[20:21], 0
.LBB344_890:
	s_andn2_b64 vcc, exec, s[20:21]
	s_cbranch_vccnz .LBB344_892
; %bb.891:
	global_load_ushort v2, v[0:1], off
	s_movk_i32 s20, 0x7fff
	v_mov_b32_e32 v5, 0x7fc0
	s_waitcnt vmcnt(0)
	v_cvt_f32_f16_e32 v3, v2
	v_cmp_o_f16_e32 vcc, v2, v2
	v_bfe_u32 v2, v3, 16, 1
	v_add3_u32 v2, v3, v2, s20
	v_cndmask_b32_sdwa v2, v5, v2, vcc dst_sel:DWORD dst_unused:UNUSED_PAD src0_sel:DWORD src1_sel:WORD_1
.LBB344_892:
	s_cbranch_execnz .LBB344_911
.LBB344_893:
	s_sext_i32_i16 s20, s45
	s_cmp_lt_i32 s20, 2
	s_cbranch_scc1 .LBB344_897
; %bb.894:
	s_cmp_lt_i32 s20, 3
	s_cbranch_scc1 .LBB344_898
; %bb.895:
	s_cmp_gt_i32 s20, 3
	s_cbranch_scc0 .LBB344_899
; %bb.896:
	global_load_dwordx2 v[2:3], v[0:1], off
	s_movk_i32 s20, 0x7fff
	s_waitcnt vmcnt(0)
	v_xor_b32_e32 v6, v2, v3
	v_ffbh_i32_e32 v5, v3
	v_ashrrev_i32_e32 v6, 31, v6
	v_add_u32_e32 v5, -1, v5
	v_add_u32_e32 v6, 32, v6
	v_min_u32_e32 v5, v5, v6
	v_lshlrev_b64 v[2:3], v5, v[2:3]
	v_min_u32_e32 v2, 1, v2
	v_or_b32_e32 v2, v3, v2
	v_cvt_f32_i32_e32 v2, v2
	v_sub_u32_e32 v3, 32, v5
	v_ldexp_f32 v2, v2, v3
	v_bfe_u32 v3, v2, 16, 1
	v_add3_u32 v2, v2, v3, s20
	v_lshrrev_b32_e32 v2, 16, v2
	s_mov_b64 s[20:21], 0
	s_branch .LBB344_900
.LBB344_897:
                                        ; implicit-def: $vgpr2
	s_branch .LBB344_906
.LBB344_898:
	s_mov_b64 s[20:21], -1
                                        ; implicit-def: $vgpr2
	s_branch .LBB344_903
.LBB344_899:
	s_mov_b64 s[20:21], -1
                                        ; implicit-def: $vgpr2
.LBB344_900:
	s_andn2_b64 vcc, exec, s[20:21]
	s_cbranch_vccnz .LBB344_902
; %bb.901:
	global_load_dword v2, v[0:1], off
	s_movk_i32 s20, 0x7fff
	s_waitcnt vmcnt(0)
	v_cvt_f32_i32_e32 v2, v2
	v_bfe_u32 v3, v2, 16, 1
	v_add3_u32 v2, v2, v3, s20
	v_lshrrev_b32_e32 v2, 16, v2
.LBB344_902:
	s_mov_b64 s[20:21], 0
.LBB344_903:
	s_andn2_b64 vcc, exec, s[20:21]
	s_cbranch_vccnz .LBB344_905
; %bb.904:
	global_load_sshort v2, v[0:1], off
	s_movk_i32 s20, 0x7fff
	s_waitcnt vmcnt(0)
	v_cvt_f32_i32_e32 v2, v2
	v_bfe_u32 v3, v2, 16, 1
	v_add3_u32 v2, v2, v3, s20
	v_lshrrev_b32_e32 v2, 16, v2
.LBB344_905:
	s_cbranch_execnz .LBB344_911
.LBB344_906:
	s_sext_i32_i16 s20, s45
	s_cmp_gt_i32 s20, 0
	s_cbranch_scc0 .LBB344_908
; %bb.907:
	global_load_sbyte v2, v[0:1], off
	s_movk_i32 s20, 0x7fff
	s_waitcnt vmcnt(0)
	v_cvt_f32_i32_e32 v2, v2
	v_bfe_u32 v3, v2, 16, 1
	v_add3_u32 v2, v2, v3, s20
	v_lshrrev_b32_e32 v2, 16, v2
	s_mov_b64 s[20:21], 0
	s_branch .LBB344_909
.LBB344_908:
	s_mov_b64 s[20:21], -1
                                        ; implicit-def: $vgpr2
.LBB344_909:
	s_andn2_b64 vcc, exec, s[20:21]
	s_cbranch_vccnz .LBB344_911
; %bb.910:
	global_load_ubyte v0, v[0:1], off
	s_movk_i32 s20, 0x7fff
	s_waitcnt vmcnt(0)
	v_cvt_f32_ubyte0_e32 v0, v0
	v_bfe_u32 v1, v0, 16, 1
	v_add3_u32 v0, v0, v1, s20
	v_lshrrev_b32_e32 v2, 16, v0
.LBB344_911:
	s_or_b64 s[0:1], s[0:1], exec
.LBB344_912:
	s_or_b64 exec, exec, s[16:17]
	s_mov_b64 s[22:23], 0
	s_mov_b64 s[20:21], 0
                                        ; implicit-def: $sgpr28
                                        ; implicit-def: $vgpr0_vgpr1
	s_and_saveexec_b64 s[16:17], s[0:1]
	s_cbranch_execz .LBB344_932
; %bb.913:
	s_waitcnt vmcnt(0)
	v_lshlrev_b32_e32 v0, 16, v2
	v_cmp_o_f32_e32 vcc, v0, v0
	s_and_saveexec_b64 s[0:1], vcc
; %bb.914:
	v_mov_b32_e32 v1, s44
	v_cmp_lt_f32_e32 vcc, s46, v0
	s_nop 1
	v_cndmask_b32_e32 v0, v1, v2, vcc
	v_lshlrev_b32_e32 v1, 16, v0
	v_mov_b32_e32 v2, s33
	v_cmp_gt_f32_e32 vcc, s10, v1
	s_nop 1
	v_cndmask_b32_e32 v2, v2, v0, vcc
; %bb.915:
	s_or_b64 exec, exec, s[0:1]
	v_mul_lo_u32 v0, v4, s8
	v_ashrrev_i32_e32 v1, 31, v0
	s_and_b32 s28, s11, 0xff
	s_cmp_lt_i32 s28, 11
	v_lshl_add_u64 v[0:1], s[4:5], 0, v[0:1]
	s_cbranch_scc1 .LBB344_935
; %bb.916:
	s_and_b32 s10, 0xffff, s28
	s_mov_b64 s[22:23], -1
	s_cmp_gt_i32 s10, 25
	s_mov_b64 s[0:1], s[14:15]
	s_cbranch_scc0 .LBB344_953
; %bb.917:
	s_mov_b64 s[20:21], -1
	s_cmp_gt_i32 s10, 28
	s_mov_b64 s[0:1], s[14:15]
	s_cbranch_scc0 .LBB344_937
; %bb.918:
	s_cmp_gt_i32 s10, 43
	s_mov_b64 s[0:1], s[14:15]
	s_cbranch_scc0 .LBB344_929
; %bb.919:
	;; [unrolled: 4-line block ×3, first 2 shown]
	s_cmp_eq_u32 s10, 46
	s_mov_b64 s[0:1], -1
	s_cbranch_scc0 .LBB344_922
; %bb.921:
	v_and_b32_e32 v3, 0xffff, v2
	global_store_dword v[0:1], v3, off
	s_mov_b64 s[0:1], 0
.LBB344_922:
	s_mov_b64 s[20:21], 0
.LBB344_923:
	s_and_b64 vcc, exec, s[20:21]
	s_cbranch_vccz .LBB344_928
; %bb.924:
	s_cmp_eq_u32 s10, 44
	s_mov_b64 s[0:1], -1
	s_cbranch_scc0 .LBB344_928
; %bb.925:
	v_and_b32_e32 v4, 0xffff, v2
	v_bfe_u32 v3, v4, 7, 8
	s_movk_i32 s0, 0xff
	v_cmp_ne_u32_e32 vcc, s0, v3
	v_mov_b32_e32 v5, 0xff
	s_and_saveexec_b64 s[20:21], vcc
	s_cbranch_execz .LBB344_927
; %bb.926:
	v_lshlrev_b32_e32 v6, 16, v4
	s_mov_b32 s0, 0x3f0000
	v_lshrrev_b32_e32 v5, 7, v4
	v_and_b32_e32 v4, 64, v4
	v_and_or_b32 v3, v6, s0, v3
	v_cmp_ne_u32_e32 vcc, 0, v4
	v_cmp_ne_u32_e64 s[0:1], 0, v3
	s_and_b64 s[0:1], vcc, s[0:1]
	s_nop 0
	v_cndmask_b32_e64 v3, 0, 1, s[0:1]
	v_add_u32_e32 v5, v5, v3
.LBB344_927:
	s_or_b64 exec, exec, s[20:21]
	s_mov_b64 s[0:1], 0
	global_store_byte v[0:1], v5, off
.LBB344_928:
	s_mov_b64 s[20:21], 0
.LBB344_929:
	s_and_b64 vcc, exec, s[20:21]
	s_cbranch_vccz .LBB344_936
; %bb.930:
	s_cmp_eq_u32 s10, 29
	s_mov_b64 s[0:1], -1
	s_cbranch_scc0 .LBB344_936
; %bb.931:
	v_lshlrev_b32_e32 v3, 16, v2
	v_trunc_f32_e32 v3, v3
	v_mul_f32_e32 v4, 0x2f800000, v3
	v_floor_f32_e32 v4, v4
	v_fmamk_f32 v3, v4, 0xcf800000, v3
	v_cvt_u32_f32_e32 v5, v4
	v_cvt_u32_f32_e32 v4, v3
	s_mov_b64 s[0:1], 0
	s_mov_b64 s[20:21], 0
	global_store_dwordx2 v[0:1], v[4:5], off
	s_branch .LBB344_937
.LBB344_932:
	s_or_b64 exec, exec, s[16:17]
	s_and_saveexec_b64 s[0:1], s[14:15]
	s_cbranch_execnz .LBB344_995
.LBB344_933:
	s_or_b64 exec, exec, s[0:1]
	s_and_saveexec_b64 s[0:1], s[22:23]
	s_xor_b64 s[0:1], exec, s[0:1]
	s_cbranch_execz .LBB344_996
.LBB344_934:
	s_waitcnt vmcnt(0)
	v_and_b32_e32 v3, 0x7fff, v2
	v_cmp_ne_u16_e32 vcc, 0, v3
	s_nop 1
	v_cndmask_b32_e64 v3, 0, 1, vcc
	global_store_byte v[0:1], v3, off
	s_or_b64 exec, exec, s[0:1]
	s_and_saveexec_b64 s[0:1], s[20:21]
	s_xor_b64 s[0:1], exec, s[0:1]
	s_cbranch_execz .LBB344_1034
	s_branch .LBB344_997
.LBB344_935:
	s_mov_b64 s[20:21], -1
	s_mov_b64 s[0:1], s[14:15]
	s_branch .LBB344_994
.LBB344_936:
	s_mov_b64 s[20:21], 0
.LBB344_937:
	s_and_b64 vcc, exec, s[20:21]
	s_cbranch_vccz .LBB344_952
; %bb.938:
	s_cmp_lt_i32 s10, 27
	s_mov_b64 s[20:21], -1
	s_cbranch_scc1 .LBB344_944
; %bb.939:
	s_cmp_gt_i32 s10, 27
	s_cbranch_scc0 .LBB344_941
; %bb.940:
	v_lshlrev_b32_e32 v3, 16, v2
	v_cvt_u32_f32_e32 v3, v3
	s_mov_b64 s[20:21], 0
	global_store_dword v[0:1], v3, off
.LBB344_941:
	s_andn2_b64 vcc, exec, s[20:21]
	s_cbranch_vccnz .LBB344_943
; %bb.942:
	v_lshlrev_b32_e32 v3, 16, v2
	v_cvt_u32_f32_e32 v3, v3
	global_store_short v[0:1], v3, off
.LBB344_943:
	s_mov_b64 s[20:21], 0
.LBB344_944:
	s_andn2_b64 vcc, exec, s[20:21]
	s_cbranch_vccnz .LBB344_952
; %bb.945:
	v_lshlrev_b32_e32 v5, 16, v2
	v_and_b32_e32 v4, 0x7fffffff, v5
	s_mov_b32 s20, 0x43800000
	v_cmp_gt_u32_e32 vcc, s20, v4
	v_mov_b32_e32 v6, 0x80
	s_and_saveexec_b64 s[20:21], vcc
	s_cbranch_execz .LBB344_951
; %bb.946:
	s_mov_b32 s22, 0x3bffffff
	v_and_b32_e32 v3, 0xffff, v2
	v_cmp_lt_u32_e32 vcc, s22, v4
	s_mov_b64 s[22:23], 0
                                        ; implicit-def: $vgpr4
	s_and_saveexec_b64 s[24:25], vcc
	s_xor_b64 s[24:25], exec, s[24:25]
	s_cbranch_execz .LBB344_1049
; %bb.947:
	v_bfe_u32 v4, v3, 4, 1
	s_mov_b32 s26, 0x487ffff
	v_add3_u32 v4, v5, v4, s26
	s_mov_b64 s[22:23], exec
	v_lshrrev_b32_e32 v4, 20, v4
                                        ; implicit-def: $vgpr5
	s_andn2_saveexec_b64 s[24:25], s[24:25]
	s_cbranch_execnz .LBB344_1050
.LBB344_948:
	s_or_b64 exec, exec, s[24:25]
	v_mov_b32_e32 v6, 0
	s_and_saveexec_b64 s[24:25], s[22:23]
.LBB344_949:
	v_lshrrev_b32_e32 v3, 8, v3
	s_movk_i32 s22, 0x80
	v_and_or_b32 v6, v3, s22, v4
.LBB344_950:
	s_or_b64 exec, exec, s[24:25]
.LBB344_951:
	s_or_b64 exec, exec, s[20:21]
	global_store_byte v[0:1], v6, off
.LBB344_952:
	s_mov_b64 s[22:23], 0
.LBB344_953:
	s_mov_b64 s[20:21], 0
	s_and_b64 vcc, exec, s[22:23]
	s_cbranch_vccz .LBB344_993
; %bb.954:
	s_cmp_gt_i32 s10, 22
	s_mov_b64 s[22:23], -1
	s_cbranch_scc0 .LBB344_986
; %bb.955:
	s_cmp_lt_i32 s10, 24
	s_cbranch_scc1 .LBB344_975
; %bb.956:
	s_cmp_gt_i32 s10, 24
	s_cbranch_scc0 .LBB344_964
; %bb.957:
	v_lshlrev_b32_e32 v5, 16, v2
	v_and_b32_e32 v4, 0x7fffffff, v5
	s_mov_b32 s22, 0x47800000
	v_cmp_gt_u32_e32 vcc, s22, v4
	v_mov_b32_e32 v6, 0x80
	s_and_saveexec_b64 s[22:23], vcc
	s_cbranch_execz .LBB344_963
; %bb.958:
	s_mov_b32 s24, 0x37ffffff
	v_and_b32_e32 v3, 0xffff, v2
	v_cmp_lt_u32_e32 vcc, s24, v4
	s_mov_b64 s[24:25], 0
                                        ; implicit-def: $vgpr4
	s_and_saveexec_b64 s[26:27], vcc
	s_xor_b64 s[26:27], exec, s[26:27]
	s_cbranch_execz .LBB344_1175
; %bb.959:
	v_bfe_u32 v4, v3, 5, 1
	s_mov_b32 s29, 0x88fffff
	v_add3_u32 v4, v5, v4, s29
	s_mov_b64 s[24:25], exec
	v_lshrrev_b32_e32 v4, 21, v4
                                        ; implicit-def: $vgpr5
	s_andn2_saveexec_b64 s[26:27], s[26:27]
	s_cbranch_execnz .LBB344_1176
.LBB344_960:
	s_or_b64 exec, exec, s[26:27]
	v_mov_b32_e32 v6, 0
	s_and_saveexec_b64 s[26:27], s[24:25]
.LBB344_961:
	v_lshrrev_b32_e32 v3, 8, v3
	s_movk_i32 s24, 0x80
	v_and_or_b32 v6, v3, s24, v4
.LBB344_962:
	s_or_b64 exec, exec, s[26:27]
.LBB344_963:
	s_or_b64 exec, exec, s[22:23]
	s_mov_b64 s[22:23], 0
	global_store_byte v[0:1], v6, off
.LBB344_964:
	s_and_b64 vcc, exec, s[22:23]
	s_cbranch_vccz .LBB344_974
; %bb.965:
	v_lshlrev_b32_e32 v5, 16, v2
	v_and_b32_e32 v6, 0x7fffffff, v5
	s_mov_b32 s22, 0x43f00000
	v_and_b32_e32 v3, 0xffff, v2
	v_cmp_gt_u32_e32 vcc, s22, v6
                                        ; implicit-def: $vgpr4
	s_and_saveexec_b64 s[22:23], vcc
	s_xor_b64 s[22:23], exec, s[22:23]
	s_cbranch_execz .LBB344_971
; %bb.966:
	s_mov_b32 s24, 0x3c7fffff
	v_cmp_lt_u32_e32 vcc, s24, v6
                                        ; implicit-def: $vgpr4
	s_and_saveexec_b64 s[24:25], vcc
	s_xor_b64 s[24:25], exec, s[24:25]
; %bb.967:
	v_bfe_u32 v4, v3, 4, 1
	s_mov_b32 s26, 0x407ffff
	v_add3_u32 v4, v5, v4, s26
	v_lshrrev_b32_e32 v5, 20, v4
	v_and_b32_e32 v4, 0xff00000, v4
	s_mov_b32 s26, 0x7f00000
	v_mov_b32_e32 v6, 0x7e
	v_cmp_ne_u32_e32 vcc, s26, v4
	s_nop 1
	v_cndmask_b32_e32 v4, v6, v5, vcc
                                        ; implicit-def: $vgpr5
; %bb.968:
	s_andn2_saveexec_b64 s[24:25], s[24:25]
; %bb.969:
	s_mov_b32 s26, 0x46800000
	v_add_f32_e64 v4, |v5|, s26
; %bb.970:
	s_or_b64 exec, exec, s[24:25]
                                        ; implicit-def: $vgpr6
.LBB344_971:
	s_andn2_saveexec_b64 s[22:23], s[22:23]
; %bb.972:
	s_mov_b32 s24, 0x7f800000
	v_mov_b32_e32 v4, 0x7e
	v_mov_b32_e32 v5, 0x7f
	v_cmp_lt_u32_e32 vcc, s24, v6
	s_nop 1
	v_cndmask_b32_e32 v4, v4, v5, vcc
; %bb.973:
	s_or_b64 exec, exec, s[22:23]
	v_lshrrev_b32_e32 v3, 8, v3
	s_movk_i32 s22, 0x80
	v_and_or_b32 v3, v3, s22, v4
	global_store_byte v[0:1], v3, off
.LBB344_974:
	s_mov_b64 s[22:23], 0
.LBB344_975:
	s_andn2_b64 vcc, exec, s[22:23]
	s_cbranch_vccnz .LBB344_985
; %bb.976:
	v_lshlrev_b32_e32 v5, 16, v2
	v_and_b32_e32 v6, 0x7fffffff, v5
	s_mov_b32 s22, 0x47800000
	v_and_b32_e32 v3, 0xffff, v2
	v_cmp_gt_u32_e32 vcc, s22, v6
                                        ; implicit-def: $vgpr4
	s_and_saveexec_b64 s[22:23], vcc
	s_xor_b64 s[22:23], exec, s[22:23]
	s_cbranch_execz .LBB344_982
; %bb.977:
	s_mov_b32 s24, 0x387fffff
	v_cmp_lt_u32_e32 vcc, s24, v6
                                        ; implicit-def: $vgpr4
	s_and_saveexec_b64 s[24:25], vcc
	s_xor_b64 s[24:25], exec, s[24:25]
; %bb.978:
	v_bfe_u32 v4, v3, 5, 1
	s_mov_b32 s26, 0x80fffff
	v_add3_u32 v4, v5, v4, s26
	v_lshrrev_b32_e32 v4, 21, v4
                                        ; implicit-def: $vgpr5
; %bb.979:
	s_andn2_saveexec_b64 s[24:25], s[24:25]
; %bb.980:
	s_mov_b32 s26, 0x43000000
	v_add_f32_e64 v4, |v5|, s26
; %bb.981:
	s_or_b64 exec, exec, s[24:25]
                                        ; implicit-def: $vgpr6
.LBB344_982:
	s_andn2_saveexec_b64 s[22:23], s[22:23]
; %bb.983:
	s_mov_b32 s24, 0x7f800000
	v_mov_b32_e32 v4, 0x7c
	v_mov_b32_e32 v5, 0x7f
	v_cmp_lt_u32_e32 vcc, s24, v6
	s_nop 1
	v_cndmask_b32_e32 v4, v4, v5, vcc
; %bb.984:
	s_or_b64 exec, exec, s[22:23]
	v_lshrrev_b32_e32 v3, 8, v3
	s_movk_i32 s22, 0x80
	v_and_or_b32 v3, v3, s22, v4
	global_store_byte v[0:1], v3, off
.LBB344_985:
	s_mov_b64 s[22:23], 0
.LBB344_986:
	s_andn2_b64 vcc, exec, s[22:23]
	s_mov_b64 s[22:23], 0
	s_cbranch_vccnz .LBB344_994
; %bb.987:
	s_cmp_gt_i32 s10, 14
	s_mov_b64 s[24:25], -1
	s_cbranch_scc0 .LBB344_991
; %bb.988:
	s_cmp_eq_u32 s10, 15
	s_mov_b64 s[0:1], -1
	s_cbranch_scc0 .LBB344_990
; %bb.989:
	global_store_short v[0:1], v2, off
	s_mov_b64 s[0:1], 0
.LBB344_990:
	s_mov_b64 s[24:25], 0
.LBB344_991:
	s_and_b64 vcc, exec, s[24:25]
	s_cbranch_vccz .LBB344_994
; %bb.992:
	s_cmp_lg_u32 s10, 11
	s_cselect_b64 s[24:25], -1, 0
	s_andn2_b64 s[0:1], s[0:1], exec
	s_and_b64 s[24:25], s[24:25], exec
	s_mov_b64 s[22:23], -1
	s_or_b64 s[0:1], s[0:1], s[24:25]
	s_branch .LBB344_994
.LBB344_993:
	s_mov_b64 s[22:23], 0
.LBB344_994:
	s_andn2_b64 s[14:15], s[14:15], exec
	s_and_b64 s[0:1], s[0:1], exec
	s_and_b64 s[20:21], s[20:21], exec
	s_and_b64 s[22:23], s[22:23], exec
	s_or_b64 s[14:15], s[14:15], s[0:1]
	s_or_b64 exec, exec, s[16:17]
	s_and_saveexec_b64 s[0:1], s[14:15]
	s_cbranch_execz .LBB344_933
.LBB344_995:
	s_or_b64 s[18:19], s[18:19], exec
	s_andn2_b64 s[22:23], s[22:23], exec
	s_trap 2
	s_or_b64 exec, exec, s[0:1]
	s_and_saveexec_b64 s[0:1], s[22:23]
	s_xor_b64 s[0:1], exec, s[0:1]
	s_cbranch_execnz .LBB344_934
.LBB344_996:
	s_or_b64 exec, exec, s[0:1]
	s_and_saveexec_b64 s[0:1], s[20:21]
	s_xor_b64 s[0:1], exec, s[0:1]
	s_cbranch_execz .LBB344_1034
.LBB344_997:
	s_sext_i32_i16 s10, s28
	s_cmp_lt_i32 s10, 5
	s_mov_b64 s[14:15], -1
	s_cbranch_scc1 .LBB344_1018
; %bb.998:
	s_cmp_lt_i32 s10, 8
	s_cbranch_scc1 .LBB344_1008
; %bb.999:
	s_cmp_lt_i32 s10, 9
	s_cbranch_scc1 .LBB344_1005
; %bb.1000:
	s_cmp_gt_i32 s10, 9
	s_cbranch_scc0 .LBB344_1002
; %bb.1001:
	s_waitcnt vmcnt(0)
	v_lshlrev_b32_e32 v3, 16, v2
	v_mov_b32_e32 v6, 0
	v_cvt_f64_f32_e32 v[4:5], v3
	v_mov_b32_e32 v7, v6
	s_mov_b64 s[14:15], 0
	global_store_dwordx4 v[0:1], v[4:7], off
.LBB344_1002:
	s_andn2_b64 vcc, exec, s[14:15]
	s_cbranch_vccnz .LBB344_1004
; %bb.1003:
	s_waitcnt vmcnt(0)
	v_lshlrev_b32_e32 v4, 16, v2
	v_mov_b32_e32 v5, 0
	global_store_dwordx2 v[0:1], v[4:5], off
.LBB344_1004:
	s_mov_b64 s[14:15], 0
.LBB344_1005:
	s_andn2_b64 vcc, exec, s[14:15]
	s_cbranch_vccnz .LBB344_1007
; %bb.1006:
	s_waitcnt vmcnt(0)
	v_lshlrev_b32_e32 v3, 16, v2
	v_cvt_f16_f32_e32 v3, v3
	global_store_dword v[0:1], v3, off
.LBB344_1007:
	s_mov_b64 s[14:15], 0
.LBB344_1008:
	s_andn2_b64 vcc, exec, s[14:15]
	s_cbranch_vccnz .LBB344_1017
; %bb.1009:
	s_sext_i32_i16 s10, s28
	s_cmp_lt_i32 s10, 6
	s_mov_b64 s[14:15], -1
	s_cbranch_scc1 .LBB344_1015
; %bb.1010:
	s_cmp_gt_i32 s10, 6
	s_cbranch_scc0 .LBB344_1012
; %bb.1011:
	s_waitcnt vmcnt(0)
	v_lshlrev_b32_e32 v3, 16, v2
	v_cvt_f64_f32_e32 v[4:5], v3
	s_mov_b64 s[14:15], 0
	global_store_dwordx2 v[0:1], v[4:5], off
.LBB344_1012:
	s_andn2_b64 vcc, exec, s[14:15]
	s_cbranch_vccnz .LBB344_1014
; %bb.1013:
	s_waitcnt vmcnt(0)
	v_lshlrev_b32_e32 v3, 16, v2
	global_store_dword v[0:1], v3, off
.LBB344_1014:
	s_mov_b64 s[14:15], 0
.LBB344_1015:
	s_andn2_b64 vcc, exec, s[14:15]
	s_cbranch_vccnz .LBB344_1017
; %bb.1016:
	s_waitcnt vmcnt(0)
	v_lshlrev_b32_e32 v3, 16, v2
	v_cvt_f16_f32_e32 v3, v3
	global_store_short v[0:1], v3, off
.LBB344_1017:
	s_mov_b64 s[14:15], 0
.LBB344_1018:
	s_andn2_b64 vcc, exec, s[14:15]
	s_cbranch_vccnz .LBB344_1034
; %bb.1019:
	s_sext_i32_i16 s10, s28
	s_cmp_lt_i32 s10, 2
	s_mov_b64 s[14:15], -1
	s_cbranch_scc1 .LBB344_1029
; %bb.1020:
	s_cmp_lt_i32 s10, 3
	s_cbranch_scc1 .LBB344_1026
; %bb.1021:
	s_cmp_gt_i32 s10, 3
	s_cbranch_scc0 .LBB344_1023
; %bb.1022:
	s_waitcnt vmcnt(0)
	v_lshlrev_b32_e32 v3, 16, v2
	v_trunc_f32_e32 v3, v3
	s_mov_b32 s10, 0x2f800000
	v_mul_f32_e64 v4, |v3|, s10
	v_floor_f32_e32 v4, v4
	s_mov_b32 s10, 0xcf800000
	v_cvt_u32_f32_e32 v5, v4
	v_fma_f32 v4, v4, s10, |v3|
	v_cvt_u32_f32_e32 v4, v4
	v_ashrrev_i32_e32 v3, 31, v3
	v_xor_b32_e32 v5, v5, v3
	s_mov_b64 s[14:15], 0
	v_xor_b32_e32 v4, v4, v3
	v_sub_co_u32_e32 v4, vcc, v4, v3
	s_nop 1
	v_subb_co_u32_e32 v5, vcc, v5, v3, vcc
	global_store_dwordx2 v[0:1], v[4:5], off
.LBB344_1023:
	s_andn2_b64 vcc, exec, s[14:15]
	s_cbranch_vccnz .LBB344_1025
; %bb.1024:
	s_waitcnt vmcnt(0)
	v_lshlrev_b32_e32 v3, 16, v2
	v_cvt_i32_f32_e32 v3, v3
	global_store_dword v[0:1], v3, off
.LBB344_1025:
	s_mov_b64 s[14:15], 0
.LBB344_1026:
	s_andn2_b64 vcc, exec, s[14:15]
	s_cbranch_vccnz .LBB344_1028
; %bb.1027:
	s_waitcnt vmcnt(0)
	v_lshlrev_b32_e32 v3, 16, v2
	v_cvt_i32_f32_e32 v3, v3
	global_store_short v[0:1], v3, off
.LBB344_1028:
	s_mov_b64 s[14:15], 0
.LBB344_1029:
	s_andn2_b64 vcc, exec, s[14:15]
	s_cbranch_vccnz .LBB344_1034
; %bb.1030:
	s_sext_i32_i16 s10, s28
	s_mov_b64 s[14:15], -1
	s_cmp_gt_i32 s10, 0
	s_waitcnt vmcnt(0)
	v_lshlrev_b32_e32 v2, 16, v2
	s_cbranch_scc0 .LBB344_1032
; %bb.1031:
	v_cvt_i32_f32_e32 v3, v2
	s_mov_b64 s[14:15], 0
	global_store_byte v[0:1], v3, off
.LBB344_1032:
	s_andn2_b64 vcc, exec, s[14:15]
	s_cbranch_vccnz .LBB344_1034
; %bb.1033:
	v_trunc_f32_e32 v2, v2
	s_mov_b32 s10, 0x2f800000
	v_mul_f32_e64 v3, |v2|, s10
	v_floor_f32_e32 v3, v3
	s_mov_b32 s10, 0xcf800000
	v_fma_f32 v3, v3, s10, |v2|
	v_cvt_u32_f32_e32 v3, v3
	v_ashrrev_i32_e32 v2, 31, v2
	v_xor_b32_e32 v3, v3, v2
	v_sub_u32_e32 v2, v3, v2
	global_store_byte v[0:1], v2, off
.LBB344_1034:
	s_or_b64 exec, exec, s[0:1]
	s_and_b64 s[14:15], s[18:19], exec
                                        ; implicit-def: $vgpr4
.LBB344_1035:
	s_or_saveexec_b64 s[12:13], s[12:13]
	s_mov_b64 s[0:1], 0
                                        ; implicit-def: $sgpr20
                                        ; implicit-def: $vgpr0_vgpr1
                                        ; implicit-def: $vgpr8
	s_xor_b64 exec, exec, s[12:13]
	s_cbranch_execz .LBB344_1636
; %bb.1036:
	v_mul_lo_u32 v0, s9, v4
	v_ashrrev_i32_e32 v1, 31, v0
	s_and_b32 s10, 0xffff, s45
	s_cmp_lt_i32 s10, 11
	s_waitcnt vmcnt(0)
	v_lshl_add_u64 v[2:3], s[6:7], 0, v[0:1]
	s_cbranch_scc1 .LBB344_1043
; %bb.1037:
	s_cmp_gt_i32 s10, 25
	s_cbranch_scc0 .LBB344_1045
; %bb.1038:
	s_cmp_gt_i32 s10, 28
	s_cbranch_scc0 .LBB344_1046
	;; [unrolled: 3-line block ×4, first 2 shown]
; %bb.1041:
	s_cmp_eq_u32 s10, 46
	s_mov_b64 s[16:17], 0
	s_cbranch_scc0 .LBB344_1051
; %bb.1042:
	global_load_dword v5, v[2:3], off
	s_mov_b64 s[18:19], -1
	s_branch .LBB344_1052
.LBB344_1043:
	s_mov_b64 s[18:19], 0
                                        ; implicit-def: $vgpr5
	s_mov_b64 s[16:17], s[14:15]
	s_cbranch_execnz .LBB344_1114
.LBB344_1044:
	s_andn2_b64 vcc, exec, s[18:19]
	s_cbranch_vccz .LBB344_1159
	s_branch .LBB344_1633
.LBB344_1045:
	s_mov_b64 s[18:19], 0
                                        ; implicit-def: $vgpr5
	s_cbranch_execnz .LBB344_1079
	s_branch .LBB344_1110
.LBB344_1046:
	s_mov_b64 s[18:19], 0
                                        ; implicit-def: $vgpr5
	s_cbranch_execz .LBB344_1078
	s_branch .LBB344_1061
.LBB344_1047:
	s_mov_b64 s[18:19], 0
                                        ; implicit-def: $vgpr5
	s_cbranch_execnz .LBB344_1057
	s_branch .LBB344_1060
.LBB344_1048:
	s_mov_b64 s[16:17], -1
	s_mov_b64 s[18:19], 0
                                        ; implicit-def: $vgpr5
	s_branch .LBB344_1052
.LBB344_1049:
	s_andn2_saveexec_b64 s[24:25], s[24:25]
	s_cbranch_execz .LBB344_948
.LBB344_1050:
	s_mov_b32 s26, 0x46000000
	v_add_f32_e64 v4, |v5|, s26
	v_and_b32_e32 v4, 0xff, v4
	v_cmp_ne_u32_e32 vcc, 0, v4
	s_andn2_b64 s[22:23], s[22:23], exec
	s_and_b64 s[26:27], vcc, exec
	s_or_b64 s[22:23], s[22:23], s[26:27]
	s_or_b64 exec, exec, s[24:25]
	v_mov_b32_e32 v6, 0
	s_and_saveexec_b64 s[24:25], s[22:23]
	s_cbranch_execnz .LBB344_949
	s_branch .LBB344_950
.LBB344_1051:
	s_mov_b64 s[0:1], -1
                                        ; implicit-def: $vgpr5
	s_mov_b64 s[18:19], 0
.LBB344_1052:
	s_and_b64 vcc, exec, s[16:17]
	s_cbranch_vccz .LBB344_1055
; %bb.1053:
	s_cmp_eq_u32 s10, 44
	s_cbranch_scc0 .LBB344_1056
; %bb.1054:
	global_load_ubyte v1, v[2:3], off
	s_movk_i32 s16, 0xff
	s_waitcnt vmcnt(1)
	v_mov_b32_e32 v5, 0x7f800001
	v_mov_b32_e32 v6, 0x400000
	;; [unrolled: 1-line block ×3, first 2 shown]
	s_mov_b64 s[0:1], 0
	s_mov_b64 s[18:19], -1
	s_waitcnt vmcnt(0)
	v_lshlrev_b32_e32 v8, 23, v1
	v_cmp_ne_u32_e32 vcc, s16, v1
	s_nop 1
	v_cndmask_b32_e32 v5, v5, v8, vcc
	v_cmp_ne_u32_e32 vcc, 0, v1
	s_nop 1
	v_cndmask_b32_e32 v1, v6, v5, vcc
	v_add_u32_e32 v5, 0x7fff, v1
	v_cmp_o_f32_e32 vcc, v1, v1
	s_nop 1
	v_cndmask_b32_sdwa v5, v7, v5, vcc dst_sel:DWORD dst_unused:UNUSED_PAD src0_sel:DWORD src1_sel:WORD_1
.LBB344_1055:
	s_branch .LBB344_1060
.LBB344_1056:
	s_mov_b64 s[0:1], -1
                                        ; implicit-def: $vgpr5
	s_branch .LBB344_1060
.LBB344_1057:
	s_cmp_eq_u32 s10, 29
	s_cbranch_scc0 .LBB344_1059
; %bb.1058:
	global_load_dwordx2 v[6:7], v[2:3], off
	s_movk_i32 s16, 0x7fff
	s_mov_b64 s[0:1], 0
	s_mov_b64 s[18:19], -1
	s_waitcnt vmcnt(0)
	v_ffbh_u32_e32 v1, v7
	v_min_u32_e32 v1, 32, v1
	v_lshlrev_b64 v[6:7], v1, v[6:7]
	v_min_u32_e32 v5, 1, v6
	v_or_b32_e32 v5, v7, v5
	v_cvt_f32_u32_e32 v5, v5
	v_sub_u32_e32 v1, 32, v1
	v_ldexp_f32 v1, v5, v1
	v_bfe_u32 v5, v1, 16, 1
	v_add3_u32 v1, v1, v5, s16
	v_lshrrev_b32_e32 v5, 16, v1
	s_branch .LBB344_1060
.LBB344_1059:
	s_mov_b64 s[0:1], -1
                                        ; implicit-def: $vgpr5
.LBB344_1060:
	s_branch .LBB344_1078
.LBB344_1061:
	s_cmp_lt_i32 s10, 27
	s_cbranch_scc1 .LBB344_1064
; %bb.1062:
	s_cmp_gt_i32 s10, 27
	s_cbranch_scc0 .LBB344_1065
; %bb.1063:
	global_load_dword v1, v[2:3], off
	s_movk_i32 s16, 0x7fff
	s_waitcnt vmcnt(0)
	v_cvt_f32_u32_e32 v1, v1
	v_bfe_u32 v5, v1, 16, 1
	v_add3_u32 v1, v1, v5, s16
	v_lshrrev_b32_e32 v5, 16, v1
	s_mov_b64 s[16:17], 0
	s_branch .LBB344_1066
.LBB344_1064:
	s_mov_b64 s[16:17], -1
                                        ; implicit-def: $vgpr5
	s_branch .LBB344_1069
.LBB344_1065:
	s_mov_b64 s[16:17], -1
                                        ; implicit-def: $vgpr5
.LBB344_1066:
	s_andn2_b64 vcc, exec, s[16:17]
	s_cbranch_vccnz .LBB344_1068
; %bb.1067:
	global_load_ushort v1, v[2:3], off
	s_movk_i32 s16, 0x7fff
	s_waitcnt vmcnt(0)
	v_cvt_f32_u32_e32 v1, v1
	v_bfe_u32 v5, v1, 16, 1
	v_add3_u32 v1, v1, v5, s16
	v_lshrrev_b32_e32 v5, 16, v1
.LBB344_1068:
	s_mov_b64 s[16:17], 0
.LBB344_1069:
	s_andn2_b64 vcc, exec, s[16:17]
	s_cbranch_vccnz .LBB344_1077
; %bb.1070:
	global_load_ubyte v1, v[2:3], off
	s_movk_i32 s16, 0x7f
	s_waitcnt vmcnt(0)
	v_cmp_lt_i16_e32 vcc, s16, v1
	s_mov_b64 s[16:17], 0
	s_and_saveexec_b64 s[18:19], vcc
	s_xor_b64 s[18:19], exec, s[18:19]
	s_cbranch_execz .LBB344_1090
; %bb.1071:
	s_movk_i32 s16, 0x80
	v_cmp_eq_u16_e32 vcc, s16, v1
	s_mov_b64 s[16:17], -1
	s_and_saveexec_b64 s[20:21], vcc
; %bb.1072:
	s_xor_b64 s[16:17], exec, -1
; %bb.1073:
	s_or_b64 exec, exec, s[20:21]
	s_and_b64 s[16:17], s[16:17], exec
	s_or_saveexec_b64 s[18:19], s[18:19]
	v_mov_b32_e32 v5, 0x7f800001
	s_xor_b64 exec, exec, s[18:19]
	s_cbranch_execnz .LBB344_1091
.LBB344_1074:
	s_or_b64 exec, exec, s[18:19]
	s_and_saveexec_b64 s[18:19], s[16:17]
	s_cbranch_execz .LBB344_1076
.LBB344_1075:
	v_lshlrev_b32_e32 v5, 24, v1
	v_and_b32_e32 v1, 0xffff, v1
	v_and_b32_e32 v6, 7, v1
	v_ffbh_u32_e32 v8, v6
	v_min_u32_e32 v8, 32, v8
	v_subrev_u32_e32 v9, 28, v8
	v_bfe_u32 v7, v1, 3, 4
	v_lshlrev_b32_e32 v1, v9, v1
	v_sub_u32_e32 v8, 29, v8
	v_and_b32_e32 v1, 7, v1
	v_cmp_eq_u32_e32 vcc, 0, v7
	v_and_b32_e32 v5, 0x80000000, v5
	s_nop 0
	v_cndmask_b32_e32 v7, v7, v8, vcc
	v_cndmask_b32_e32 v1, v6, v1, vcc
	v_mov_b32_e32 v6, 0x3b800000
	v_lshlrev_b32_e32 v1, 20, v1
	v_lshl_add_u32 v6, v7, 23, v6
	v_or3_b32 v5, v5, v6, v1
.LBB344_1076:
	s_or_b64 exec, exec, s[18:19]
	v_bfe_u32 v1, v5, 16, 1
	s_movk_i32 s16, 0x7fff
	v_add3_u32 v1, v5, v1, s16
	v_cmp_o_f32_e32 vcc, v5, v5
	v_mov_b32_e32 v5, 0x7fc0
	s_nop 0
	v_cndmask_b32_sdwa v5, v5, v1, vcc dst_sel:DWORD dst_unused:UNUSED_PAD src0_sel:DWORD src1_sel:WORD_1
.LBB344_1077:
	s_mov_b64 s[18:19], -1
.LBB344_1078:
	s_branch .LBB344_1110
.LBB344_1079:
	s_cmp_gt_i32 s10, 22
	s_cbranch_scc0 .LBB344_1089
; %bb.1080:
	s_cmp_lt_i32 s10, 24
	s_cbranch_scc1 .LBB344_1092
; %bb.1081:
	s_cmp_gt_i32 s10, 24
	s_cbranch_scc0 .LBB344_1093
; %bb.1082:
	global_load_ubyte v1, v[2:3], off
	s_movk_i32 s2, 0x7f
	s_waitcnt vmcnt(0)
	v_cmp_lt_i16_e32 vcc, s2, v1
	s_mov_b64 s[2:3], 0
	s_and_saveexec_b64 s[16:17], vcc
	s_xor_b64 s[16:17], exec, s[16:17]
	s_cbranch_execz .LBB344_1104
; %bb.1083:
	s_movk_i32 s2, 0x80
	v_cmp_eq_u16_e32 vcc, s2, v1
	s_mov_b64 s[2:3], -1
	s_and_saveexec_b64 s[18:19], vcc
; %bb.1084:
	s_xor_b64 s[2:3], exec, -1
; %bb.1085:
	s_or_b64 exec, exec, s[18:19]
	s_and_b64 s[2:3], s[2:3], exec
	s_or_saveexec_b64 s[16:17], s[16:17]
	v_mov_b32_e32 v5, 0x7f800001
	s_xor_b64 exec, exec, s[16:17]
	s_cbranch_execnz .LBB344_1105
.LBB344_1086:
	s_or_b64 exec, exec, s[16:17]
	s_and_saveexec_b64 s[16:17], s[2:3]
	s_cbranch_execz .LBB344_1088
.LBB344_1087:
	v_lshlrev_b32_e32 v5, 24, v1
	v_and_b32_e32 v1, 0xffff, v1
	v_and_b32_e32 v6, 3, v1
	v_ffbh_u32_e32 v8, v6
	v_min_u32_e32 v8, 32, v8
	v_subrev_u32_e32 v9, 29, v8
	v_bfe_u32 v7, v1, 2, 5
	v_lshlrev_b32_e32 v1, v9, v1
	v_sub_u32_e32 v8, 30, v8
	v_and_b32_e32 v1, 3, v1
	v_cmp_eq_u32_e32 vcc, 0, v7
	v_and_b32_e32 v5, 0x80000000, v5
	s_nop 0
	v_cndmask_b32_e32 v7, v7, v8, vcc
	v_cndmask_b32_e32 v1, v6, v1, vcc
	v_mov_b32_e32 v6, 0x37800000
	v_lshlrev_b32_e32 v1, 21, v1
	v_lshl_add_u32 v6, v7, 23, v6
	v_or3_b32 v5, v5, v6, v1
.LBB344_1088:
	s_or_b64 exec, exec, s[16:17]
	v_bfe_u32 v1, v5, 16, 1
	s_movk_i32 s2, 0x7fff
	v_add3_u32 v1, v5, v1, s2
	v_cmp_o_f32_e32 vcc, v5, v5
	v_mov_b32_e32 v5, 0x7fc0
	s_mov_b64 s[2:3], 0
	v_cndmask_b32_sdwa v5, v5, v1, vcc dst_sel:DWORD dst_unused:UNUSED_PAD src0_sel:DWORD src1_sel:WORD_1
	s_branch .LBB344_1094
.LBB344_1089:
                                        ; implicit-def: $vgpr5
	s_mov_b64 s[2:3], 0
	s_branch .LBB344_1100
.LBB344_1090:
	s_or_saveexec_b64 s[18:19], s[18:19]
	v_mov_b32_e32 v5, 0x7f800001
	s_xor_b64 exec, exec, s[18:19]
	s_cbranch_execz .LBB344_1074
.LBB344_1091:
	v_cmp_ne_u16_e32 vcc, 0, v1
	s_andn2_b64 s[16:17], s[16:17], exec
	s_and_b64 s[20:21], vcc, exec
	v_mov_b32_e32 v5, 0
	s_or_b64 s[16:17], s[16:17], s[20:21]
	s_or_b64 exec, exec, s[18:19]
	s_and_saveexec_b64 s[18:19], s[16:17]
	s_cbranch_execnz .LBB344_1075
	s_branch .LBB344_1076
.LBB344_1092:
	s_mov_b64 s[2:3], -1
                                        ; implicit-def: $vgpr5
	s_branch .LBB344_1097
.LBB344_1093:
	s_mov_b64 s[2:3], -1
                                        ; implicit-def: $vgpr5
.LBB344_1094:
	s_and_b64 vcc, exec, s[2:3]
	s_cbranch_vccz .LBB344_1096
; %bb.1095:
	global_load_ubyte v1, v[2:3], off
	s_mov_b32 s2, 0x7f800000
	s_brev_b32 s3, 1
	s_movk_i32 s16, 0x7fff
	s_waitcnt vmcnt(0)
	v_lshlrev_b32_e32 v1, 24, v1
	v_and_b32_e32 v5, 0x7f000000, v1
	v_ffbh_u32_e32 v6, v5
	v_min_u32_e32 v6, 32, v6
	v_sub_u32_e64 v6, v6, 4 clamp
	v_lshlrev_b32_e32 v8, v6, v5
	v_lshlrev_b32_e32 v6, 23, v6
	v_lshrrev_b32_e32 v8, 4, v8
	v_add_u32_e32 v7, 0x1000000, v5
	v_sub_u32_e32 v6, v8, v6
	v_ashrrev_i32_e32 v7, 8, v7
	v_add_u32_e32 v6, 0x3c000000, v6
	v_and_or_b32 v6, v7, s2, v6
	v_cmp_ne_u32_e32 vcc, 0, v5
	s_nop 1
	v_cndmask_b32_e32 v5, 0, v6, vcc
	v_and_or_b32 v1, v1, s3, v5
	v_bfe_u32 v5, v5, 16, 1
	v_add3_u32 v5, v1, v5, s16
	v_cmp_o_f32_e32 vcc, v1, v1
	v_mov_b32_e32 v1, 0x7fc0
	s_nop 0
	v_cndmask_b32_sdwa v5, v1, v5, vcc dst_sel:DWORD dst_unused:UNUSED_PAD src0_sel:DWORD src1_sel:WORD_1
.LBB344_1096:
	s_mov_b64 s[2:3], 0
.LBB344_1097:
	s_andn2_b64 vcc, exec, s[2:3]
	s_cbranch_vccnz .LBB344_1099
; %bb.1098:
	global_load_ubyte v1, v[2:3], off
	s_movk_i32 s2, 0x7f00
	s_brev_b32 s3, 16
	s_brev_b32 s16, 1
	s_movk_i32 s17, 0x7fff
	s_waitcnt vmcnt(0)
	v_lshlrev_b16_e32 v5, 8, v1
	v_lshlrev_b32_e32 v1, 25, v1
	v_lshrrev_b32_e32 v6, 4, v1
	v_and_or_b32 v7, v5, s2, 0.5
	v_or_b32_e32 v6, 0x70000000, v6
	v_add_f32_e32 v7, -0.5, v7
	v_mul_f32_e32 v6, 0x7800000, v6
	v_cmp_gt_u32_e32 vcc, s3, v1
	v_bfe_i32 v5, v5, 0, 16
	s_nop 0
	v_cndmask_b32_e32 v1, v6, v7, vcc
	v_and_or_b32 v5, v5, s16, v1
	v_bfe_u32 v1, v1, 16, 1
	v_add3_u32 v1, v5, v1, s17
	v_cmp_o_f32_e32 vcc, v5, v5
	v_mov_b32_e32 v5, 0x7fc0
	s_nop 0
	v_cndmask_b32_sdwa v5, v5, v1, vcc dst_sel:DWORD dst_unused:UNUSED_PAD src0_sel:DWORD src1_sel:WORD_1
.LBB344_1099:
	s_mov_b64 s[18:19], -1
	s_mov_b64 s[2:3], 0
	s_cbranch_execnz .LBB344_1110
.LBB344_1100:
	s_cmp_gt_i32 s10, 14
	s_cbranch_scc0 .LBB344_1103
; %bb.1101:
	s_cmp_eq_u32 s10, 15
	s_cbranch_scc0 .LBB344_1106
; %bb.1102:
	global_load_ushort v5, v[2:3], off
	s_mov_b64 s[0:1], 0
	s_mov_b64 s[18:19], -1
	s_branch .LBB344_1107
.LBB344_1103:
	s_mov_b64 s[16:17], -1
                                        ; implicit-def: $vgpr5
	s_branch .LBB344_1108
.LBB344_1104:
	s_or_saveexec_b64 s[16:17], s[16:17]
	v_mov_b32_e32 v5, 0x7f800001
	s_xor_b64 exec, exec, s[16:17]
	s_cbranch_execz .LBB344_1086
.LBB344_1105:
	v_cmp_ne_u16_e32 vcc, 0, v1
	s_andn2_b64 s[2:3], s[2:3], exec
	s_and_b64 s[18:19], vcc, exec
	v_mov_b32_e32 v5, 0
	s_or_b64 s[2:3], s[2:3], s[18:19]
	s_or_b64 exec, exec, s[16:17]
	s_and_saveexec_b64 s[16:17], s[2:3]
	s_cbranch_execnz .LBB344_1087
	s_branch .LBB344_1088
.LBB344_1106:
	s_mov_b64 s[0:1], -1
                                        ; implicit-def: $vgpr5
.LBB344_1107:
	s_mov_b64 s[16:17], 0
.LBB344_1108:
	s_and_b64 vcc, exec, s[16:17]
	s_cbranch_vccz .LBB344_1110
; %bb.1109:
	s_cmp_lg_u32 s10, 11
	s_mov_b64 s[2:3], -1
	s_cselect_b64 s[0:1], -1, 0
.LBB344_1110:
	s_and_b64 vcc, exec, s[0:1]
	s_mov_b64 s[16:17], s[14:15]
	s_cbranch_vccnz .LBB344_1173
; %bb.1111:
	s_andn2_b64 vcc, exec, s[2:3]
	s_cbranch_vccnz .LBB344_1113
.LBB344_1112:
	global_load_ubyte v1, v[2:3], off
	s_mov_b64 s[18:19], -1
	s_waitcnt vmcnt(0)
	v_cmp_ne_u16_e32 vcc, 0, v1
	s_nop 1
	v_cndmask_b32_e64 v1, 0, 1.0, vcc
	v_lshrrev_b32_e32 v5, 16, v1
.LBB344_1113:
	s_branch .LBB344_1044
.LBB344_1114:
	s_cmp_lt_i32 s10, 5
	s_cbranch_scc1 .LBB344_1119
; %bb.1115:
	s_cmp_lt_i32 s10, 8
	s_cbranch_scc1 .LBB344_1120
; %bb.1116:
	;; [unrolled: 3-line block ×3, first 2 shown]
	s_cmp_gt_i32 s10, 9
	s_cbranch_scc0 .LBB344_1122
; %bb.1118:
	global_load_dwordx2 v[6:7], v[2:3], off
	s_movk_i32 s0, 0x7fff
	v_mov_b32_e32 v1, 0x7fc0
	s_waitcnt vmcnt(0)
	v_cvt_f32_f64_e32 v5, v[6:7]
	v_bfe_u32 v6, v5, 16, 1
	v_cmp_o_f32_e32 vcc, v5, v5
	v_add3_u32 v5, v5, v6, s0
	s_mov_b64 s[0:1], 0
	v_cndmask_b32_sdwa v5, v1, v5, vcc dst_sel:DWORD dst_unused:UNUSED_PAD src0_sel:DWORD src1_sel:WORD_1
	s_branch .LBB344_1123
.LBB344_1119:
                                        ; implicit-def: $vgpr5
	s_branch .LBB344_1140
.LBB344_1120:
                                        ; implicit-def: $vgpr5
	s_branch .LBB344_1129
.LBB344_1121:
	s_mov_b64 s[0:1], -1
                                        ; implicit-def: $vgpr5
	s_branch .LBB344_1126
.LBB344_1122:
	s_mov_b64 s[0:1], -1
                                        ; implicit-def: $vgpr5
.LBB344_1123:
	s_andn2_b64 vcc, exec, s[0:1]
	s_cbranch_vccnz .LBB344_1125
; %bb.1124:
	global_load_dword v1, v[2:3], off
	s_movk_i32 s0, 0x7fff
	s_waitcnt vmcnt(1)
	v_mov_b32_e32 v5, 0x7fc0
	s_waitcnt vmcnt(0)
	v_bfe_u32 v6, v1, 16, 1
	v_cmp_o_f32_e32 vcc, v1, v1
	v_add3_u32 v1, v1, v6, s0
	s_nop 0
	v_cndmask_b32_sdwa v5, v5, v1, vcc dst_sel:DWORD dst_unused:UNUSED_PAD src0_sel:DWORD src1_sel:WORD_1
.LBB344_1125:
	s_mov_b64 s[0:1], 0
.LBB344_1126:
	s_andn2_b64 vcc, exec, s[0:1]
	s_cbranch_vccnz .LBB344_1128
; %bb.1127:
	global_load_dword v1, v[2:3], off
	s_movk_i32 s0, 0x7fff
	v_mov_b32_e32 v6, 0x7fc0
	s_waitcnt vmcnt(0)
	v_cvt_f32_f16_e32 v5, v1
	v_cmp_o_f16_e32 vcc, v1, v1
	v_bfe_u32 v1, v5, 16, 1
	v_add3_u32 v1, v5, v1, s0
	v_cndmask_b32_sdwa v5, v6, v1, vcc dst_sel:DWORD dst_unused:UNUSED_PAD src0_sel:DWORD src1_sel:WORD_1
.LBB344_1128:
	s_cbranch_execnz .LBB344_1139
.LBB344_1129:
	s_cmp_lt_i32 s10, 6
	s_cbranch_scc1 .LBB344_1132
; %bb.1130:
	s_cmp_gt_i32 s10, 6
	s_cbranch_scc0 .LBB344_1133
; %bb.1131:
	global_load_dwordx2 v[6:7], v[2:3], off
	s_movk_i32 s0, 0x7fff
	v_mov_b32_e32 v1, 0x7fc0
	s_waitcnt vmcnt(0)
	v_cvt_f32_f64_e32 v5, v[6:7]
	v_bfe_u32 v6, v5, 16, 1
	v_cmp_o_f32_e32 vcc, v5, v5
	v_add3_u32 v5, v5, v6, s0
	s_mov_b64 s[0:1], 0
	v_cndmask_b32_sdwa v5, v1, v5, vcc dst_sel:DWORD dst_unused:UNUSED_PAD src0_sel:DWORD src1_sel:WORD_1
	s_branch .LBB344_1134
.LBB344_1132:
	s_mov_b64 s[0:1], -1
                                        ; implicit-def: $vgpr5
	s_branch .LBB344_1137
.LBB344_1133:
	s_mov_b64 s[0:1], -1
                                        ; implicit-def: $vgpr5
.LBB344_1134:
	s_andn2_b64 vcc, exec, s[0:1]
	s_cbranch_vccnz .LBB344_1136
; %bb.1135:
	global_load_dword v1, v[2:3], off
	s_movk_i32 s0, 0x7fff
	s_waitcnt vmcnt(1)
	v_mov_b32_e32 v5, 0x7fc0
	s_waitcnt vmcnt(0)
	v_bfe_u32 v6, v1, 16, 1
	v_cmp_o_f32_e32 vcc, v1, v1
	v_add3_u32 v1, v1, v6, s0
	s_nop 0
	v_cndmask_b32_sdwa v5, v5, v1, vcc dst_sel:DWORD dst_unused:UNUSED_PAD src0_sel:DWORD src1_sel:WORD_1
.LBB344_1136:
	s_mov_b64 s[0:1], 0
.LBB344_1137:
	s_andn2_b64 vcc, exec, s[0:1]
	s_cbranch_vccnz .LBB344_1139
; %bb.1138:
	global_load_ushort v1, v[2:3], off
	s_movk_i32 s0, 0x7fff
	v_mov_b32_e32 v6, 0x7fc0
	s_waitcnt vmcnt(0)
	v_cvt_f32_f16_e32 v5, v1
	v_cmp_o_f16_e32 vcc, v1, v1
	v_bfe_u32 v1, v5, 16, 1
	v_add3_u32 v1, v5, v1, s0
	v_cndmask_b32_sdwa v5, v6, v1, vcc dst_sel:DWORD dst_unused:UNUSED_PAD src0_sel:DWORD src1_sel:WORD_1
.LBB344_1139:
	s_cbranch_execnz .LBB344_1158
.LBB344_1140:
	s_cmp_lt_i32 s10, 2
	s_cbranch_scc1 .LBB344_1144
; %bb.1141:
	s_cmp_lt_i32 s10, 3
	s_cbranch_scc1 .LBB344_1145
; %bb.1142:
	s_cmp_gt_i32 s10, 3
	s_cbranch_scc0 .LBB344_1146
; %bb.1143:
	global_load_dwordx2 v[6:7], v[2:3], off
	s_movk_i32 s0, 0x7fff
	s_waitcnt vmcnt(0)
	v_xor_b32_e32 v5, v6, v7
	v_ffbh_i32_e32 v1, v7
	v_ashrrev_i32_e32 v5, 31, v5
	v_add_u32_e32 v1, -1, v1
	v_add_u32_e32 v5, 32, v5
	v_min_u32_e32 v1, v1, v5
	v_lshlrev_b64 v[6:7], v1, v[6:7]
	v_min_u32_e32 v5, 1, v6
	v_or_b32_e32 v5, v7, v5
	v_cvt_f32_i32_e32 v5, v5
	v_sub_u32_e32 v1, 32, v1
	v_ldexp_f32 v1, v5, v1
	v_bfe_u32 v5, v1, 16, 1
	v_add3_u32 v1, v1, v5, s0
	v_lshrrev_b32_e32 v5, 16, v1
	s_mov_b64 s[0:1], 0
	s_branch .LBB344_1147
.LBB344_1144:
                                        ; implicit-def: $vgpr5
	s_branch .LBB344_1153
.LBB344_1145:
	s_mov_b64 s[0:1], -1
                                        ; implicit-def: $vgpr5
	s_branch .LBB344_1150
.LBB344_1146:
	s_mov_b64 s[0:1], -1
                                        ; implicit-def: $vgpr5
.LBB344_1147:
	s_andn2_b64 vcc, exec, s[0:1]
	s_cbranch_vccnz .LBB344_1149
; %bb.1148:
	global_load_dword v1, v[2:3], off
	s_movk_i32 s0, 0x7fff
	s_waitcnt vmcnt(0)
	v_cvt_f32_i32_e32 v1, v1
	v_bfe_u32 v5, v1, 16, 1
	v_add3_u32 v1, v1, v5, s0
	v_lshrrev_b32_e32 v5, 16, v1
.LBB344_1149:
	s_mov_b64 s[0:1], 0
.LBB344_1150:
	s_andn2_b64 vcc, exec, s[0:1]
	s_cbranch_vccnz .LBB344_1152
; %bb.1151:
	global_load_sshort v1, v[2:3], off
	s_movk_i32 s0, 0x7fff
	s_waitcnt vmcnt(0)
	v_cvt_f32_i32_e32 v1, v1
	v_bfe_u32 v5, v1, 16, 1
	v_add3_u32 v1, v1, v5, s0
	v_lshrrev_b32_e32 v5, 16, v1
.LBB344_1152:
	s_cbranch_execnz .LBB344_1158
.LBB344_1153:
	s_cmp_gt_i32 s10, 0
	s_cbranch_scc0 .LBB344_1155
; %bb.1154:
	global_load_sbyte v1, v[2:3], off
	s_movk_i32 s0, 0x7fff
	s_waitcnt vmcnt(0)
	v_cvt_f32_i32_e32 v1, v1
	v_bfe_u32 v5, v1, 16, 1
	v_add3_u32 v1, v1, v5, s0
	v_lshrrev_b32_e32 v5, 16, v1
	s_mov_b64 s[0:1], 0
	s_branch .LBB344_1156
.LBB344_1155:
	s_mov_b64 s[0:1], -1
                                        ; implicit-def: $vgpr5
.LBB344_1156:
	s_andn2_b64 vcc, exec, s[0:1]
	s_cbranch_vccnz .LBB344_1158
; %bb.1157:
	global_load_ubyte v1, v[2:3], off
	s_movk_i32 s0, 0x7fff
	s_waitcnt vmcnt(0)
	v_cvt_f32_ubyte0_e32 v1, v1
	v_bfe_u32 v2, v1, 16, 1
	v_add3_u32 v1, v1, v2, s0
	v_lshrrev_b32_e32 v5, 16, v1
.LBB344_1158:
.LBB344_1159:
	s_waitcnt vmcnt(0)
	v_lshlrev_b32_e32 v1, 16, v5
	v_cmp_o_f32_e32 vcc, v1, v1
	s_and_saveexec_b64 s[0:1], vcc
; %bb.1160:
	s_lshl_b32 s2, s44, 16
	v_mov_b32_e32 v2, s44
	v_cmp_lt_f32_e32 vcc, s2, v1
	s_lshl_b32 s2, s33, 16
	v_mov_b32_e32 v3, s33
	v_cndmask_b32_e32 v1, v2, v5, vcc
	v_lshlrev_b32_e32 v2, 16, v1
	v_cmp_gt_f32_e32 vcc, s2, v2
	s_nop 1
	v_cndmask_b32_e32 v5, v3, v1, vcc
; %bb.1161:
	s_or_b64 exec, exec, s[0:1]
	s_lshl_b32 s9, s9, 7
	v_add_u32_e32 v0, s9, v0
	v_ashrrev_i32_e32 v1, 31, v0
	s_cmp_lt_i32 s10, 11
	v_lshl_add_u64 v[2:3], s[6:7], 0, v[0:1]
	s_cbranch_scc1 .LBB344_1168
; %bb.1162:
	s_cmp_gt_i32 s10, 25
	s_mov_b64 s[2:3], 0
	s_cbranch_scc0 .LBB344_1170
; %bb.1163:
	s_cmp_gt_i32 s10, 28
	s_cbranch_scc0 .LBB344_1171
; %bb.1164:
	s_cmp_gt_i32 s10, 43
	;; [unrolled: 3-line block ×3, first 2 shown]
	s_cbranch_scc0 .LBB344_1174
; %bb.1166:
	s_cmp_eq_u32 s10, 46
	s_mov_b64 s[20:21], 0
	s_cbranch_scc0 .LBB344_1177
; %bb.1167:
	global_load_dword v6, v[2:3], off
	s_mov_b64 s[0:1], 0
	s_mov_b64 s[18:19], -1
	s_branch .LBB344_1178
.LBB344_1168:
	s_mov_b64 s[18:19], 0
                                        ; implicit-def: $vgpr6
	s_cbranch_execnz .LBB344_1243
.LBB344_1169:
	s_andn2_b64 vcc, exec, s[18:19]
	s_cbranch_vccnz .LBB344_1633
	s_branch .LBB344_1290
.LBB344_1170:
	s_mov_b64 s[18:19], 0
	s_mov_b64 s[0:1], 0
                                        ; implicit-def: $vgpr6
	s_cbranch_execnz .LBB344_1207
	s_branch .LBB344_1239
.LBB344_1171:
	s_mov_b64 s[20:21], -1
	s_mov_b64 s[18:19], 0
	s_mov_b64 s[0:1], 0
                                        ; implicit-def: $vgpr6
	s_branch .LBB344_1188
.LBB344_1172:
	s_mov_b64 s[20:21], -1
	s_mov_b64 s[18:19], 0
	s_mov_b64 s[0:1], 0
                                        ; implicit-def: $vgpr6
	s_branch .LBB344_1183
.LBB344_1173:
	s_or_b64 s[16:17], s[14:15], exec
	s_trap 2
	s_cbranch_execz .LBB344_1112
	s_branch .LBB344_1113
.LBB344_1174:
	s_mov_b64 s[20:21], -1
	s_mov_b64 s[18:19], 0
	s_mov_b64 s[0:1], 0
                                        ; implicit-def: $vgpr6
	s_branch .LBB344_1178
.LBB344_1175:
	s_andn2_saveexec_b64 s[26:27], s[26:27]
	s_cbranch_execz .LBB344_960
.LBB344_1176:
	s_mov_b32 s29, 0x42800000
	v_add_f32_e64 v4, |v5|, s29
	v_and_b32_e32 v4, 0xff, v4
	v_cmp_ne_u32_e32 vcc, 0, v4
	s_andn2_b64 s[24:25], s[24:25], exec
	s_and_b64 s[30:31], vcc, exec
	s_or_b64 s[24:25], s[24:25], s[30:31]
	s_or_b64 exec, exec, s[26:27]
	v_mov_b32_e32 v6, 0
	s_and_saveexec_b64 s[26:27], s[24:25]
	s_cbranch_execnz .LBB344_961
	s_branch .LBB344_962
.LBB344_1177:
	s_mov_b64 s[0:1], -1
                                        ; implicit-def: $vgpr6
	s_mov_b64 s[18:19], 0
.LBB344_1178:
	s_and_b64 vcc, exec, s[20:21]
	s_cbranch_vccz .LBB344_1182
; %bb.1179:
	s_cmp_eq_u32 s10, 44
	s_cbranch_scc0 .LBB344_1181
; %bb.1180:
	global_load_ubyte v1, v[2:3], off
	s_movk_i32 s18, 0xff
	s_waitcnt vmcnt(1)
	v_mov_b32_e32 v6, 0x7f800001
	v_mov_b32_e32 v7, 0x400000
	;; [unrolled: 1-line block ×3, first 2 shown]
	s_mov_b64 s[0:1], 0
	s_waitcnt vmcnt(0)
	v_lshlrev_b32_e32 v9, 23, v1
	v_cmp_ne_u32_e32 vcc, s18, v1
	s_mov_b64 s[18:19], -1
	s_nop 0
	v_cndmask_b32_e32 v6, v6, v9, vcc
	v_cmp_ne_u32_e32 vcc, 0, v1
	s_nop 1
	v_cndmask_b32_e32 v1, v7, v6, vcc
	v_add_u32_e32 v6, 0x7fff, v1
	v_cmp_o_f32_e32 vcc, v1, v1
	s_nop 1
	v_cndmask_b32_sdwa v6, v8, v6, vcc dst_sel:DWORD dst_unused:UNUSED_PAD src0_sel:DWORD src1_sel:WORD_1
	s_branch .LBB344_1182
.LBB344_1181:
	s_mov_b64 s[0:1], -1
                                        ; implicit-def: $vgpr6
.LBB344_1182:
	s_mov_b64 s[20:21], 0
.LBB344_1183:
	s_and_b64 vcc, exec, s[20:21]
	s_cbranch_vccz .LBB344_1187
; %bb.1184:
	s_cmp_eq_u32 s10, 29
	s_cbranch_scc0 .LBB344_1186
; %bb.1185:
	global_load_dwordx2 v[6:7], v[2:3], off
	s_movk_i32 s18, 0x7fff
	s_mov_b64 s[0:1], 0
	s_mov_b64 s[20:21], 0
	s_waitcnt vmcnt(0)
	v_ffbh_u32_e32 v1, v7
	v_min_u32_e32 v1, 32, v1
	v_lshlrev_b64 v[6:7], v1, v[6:7]
	v_min_u32_e32 v6, 1, v6
	v_or_b32_e32 v6, v7, v6
	v_cvt_f32_u32_e32 v6, v6
	v_sub_u32_e32 v1, 32, v1
	v_ldexp_f32 v1, v6, v1
	v_bfe_u32 v6, v1, 16, 1
	v_add3_u32 v1, v1, v6, s18
	v_lshrrev_b32_e32 v6, 16, v1
	s_mov_b64 s[18:19], -1
	s_branch .LBB344_1188
.LBB344_1186:
	s_mov_b64 s[0:1], -1
                                        ; implicit-def: $vgpr6
.LBB344_1187:
	s_mov_b64 s[20:21], 0
.LBB344_1188:
	s_and_b64 vcc, exec, s[20:21]
	s_cbranch_vccz .LBB344_1206
; %bb.1189:
	s_cmp_lt_i32 s10, 27
	s_cbranch_scc1 .LBB344_1192
; %bb.1190:
	s_cmp_gt_i32 s10, 27
	s_cbranch_scc0 .LBB344_1193
; %bb.1191:
	global_load_dword v1, v[2:3], off
	s_movk_i32 s18, 0x7fff
	s_waitcnt vmcnt(0)
	v_cvt_f32_u32_e32 v1, v1
	v_bfe_u32 v6, v1, 16, 1
	v_add3_u32 v1, v1, v6, s18
	v_lshrrev_b32_e32 v6, 16, v1
	s_mov_b64 s[18:19], 0
	s_branch .LBB344_1194
.LBB344_1192:
	s_mov_b64 s[18:19], -1
                                        ; implicit-def: $vgpr6
	s_branch .LBB344_1197
.LBB344_1193:
	s_mov_b64 s[18:19], -1
                                        ; implicit-def: $vgpr6
.LBB344_1194:
	s_andn2_b64 vcc, exec, s[18:19]
	s_cbranch_vccnz .LBB344_1196
; %bb.1195:
	global_load_ushort v1, v[2:3], off
	s_movk_i32 s18, 0x7fff
	s_waitcnt vmcnt(0)
	v_cvt_f32_u32_e32 v1, v1
	v_bfe_u32 v6, v1, 16, 1
	v_add3_u32 v1, v1, v6, s18
	v_lshrrev_b32_e32 v6, 16, v1
.LBB344_1196:
	s_mov_b64 s[18:19], 0
.LBB344_1197:
	s_andn2_b64 vcc, exec, s[18:19]
	s_cbranch_vccnz .LBB344_1205
; %bb.1198:
	global_load_ubyte v1, v[2:3], off
	s_movk_i32 s18, 0x7f
	s_waitcnt vmcnt(0)
	v_cmp_lt_i16_e32 vcc, s18, v1
	s_mov_b64 s[18:19], 0
	s_and_saveexec_b64 s[20:21], vcc
	s_xor_b64 s[20:21], exec, s[20:21]
	s_cbranch_execz .LBB344_1218
; %bb.1199:
	s_movk_i32 s18, 0x80
	v_cmp_eq_u16_e32 vcc, s18, v1
	s_mov_b64 s[18:19], -1
	s_and_saveexec_b64 s[22:23], vcc
; %bb.1200:
	s_xor_b64 s[18:19], exec, -1
; %bb.1201:
	s_or_b64 exec, exec, s[22:23]
	s_and_b64 s[18:19], s[18:19], exec
	s_or_saveexec_b64 s[20:21], s[20:21]
	v_mov_b32_e32 v6, 0x7f800001
	s_xor_b64 exec, exec, s[20:21]
	s_cbranch_execnz .LBB344_1219
.LBB344_1202:
	s_or_b64 exec, exec, s[20:21]
	s_and_saveexec_b64 s[20:21], s[18:19]
	s_cbranch_execz .LBB344_1204
.LBB344_1203:
	v_lshlrev_b32_e32 v6, 24, v1
	v_and_b32_e32 v1, 0xffff, v1
	v_and_b32_e32 v7, 7, v1
	v_ffbh_u32_e32 v9, v7
	v_min_u32_e32 v9, 32, v9
	v_subrev_u32_e32 v10, 28, v9
	v_bfe_u32 v8, v1, 3, 4
	v_lshlrev_b32_e32 v1, v10, v1
	v_sub_u32_e32 v9, 29, v9
	v_and_b32_e32 v1, 7, v1
	v_cmp_eq_u32_e32 vcc, 0, v8
	v_and_b32_e32 v6, 0x80000000, v6
	s_nop 0
	v_cndmask_b32_e32 v8, v8, v9, vcc
	v_cndmask_b32_e32 v1, v7, v1, vcc
	v_mov_b32_e32 v7, 0x3b800000
	v_lshlrev_b32_e32 v1, 20, v1
	v_lshl_add_u32 v7, v8, 23, v7
	v_or3_b32 v6, v6, v7, v1
.LBB344_1204:
	s_or_b64 exec, exec, s[20:21]
	v_bfe_u32 v1, v6, 16, 1
	s_movk_i32 s18, 0x7fff
	v_add3_u32 v1, v6, v1, s18
	v_cmp_o_f32_e32 vcc, v6, v6
	v_mov_b32_e32 v6, 0x7fc0
	s_nop 0
	v_cndmask_b32_sdwa v6, v6, v1, vcc dst_sel:DWORD dst_unused:UNUSED_PAD src0_sel:DWORD src1_sel:WORD_1
.LBB344_1205:
	s_mov_b64 s[18:19], -1
.LBB344_1206:
	s_branch .LBB344_1239
.LBB344_1207:
	s_cmp_gt_i32 s10, 22
	s_cbranch_scc0 .LBB344_1217
; %bb.1208:
	s_cmp_lt_i32 s10, 24
	s_cbranch_scc1 .LBB344_1220
; %bb.1209:
	s_cmp_gt_i32 s10, 24
	s_cbranch_scc0 .LBB344_1221
; %bb.1210:
	global_load_ubyte v1, v[2:3], off
	s_movk_i32 s2, 0x7f
	s_waitcnt vmcnt(0)
	v_cmp_lt_i16_e32 vcc, s2, v1
	s_mov_b64 s[2:3], 0
	s_and_saveexec_b64 s[18:19], vcc
	s_xor_b64 s[18:19], exec, s[18:19]
	s_cbranch_execz .LBB344_1233
; %bb.1211:
	s_movk_i32 s2, 0x80
	v_cmp_eq_u16_e32 vcc, s2, v1
	s_mov_b64 s[2:3], -1
	s_and_saveexec_b64 s[20:21], vcc
; %bb.1212:
	s_xor_b64 s[2:3], exec, -1
; %bb.1213:
	s_or_b64 exec, exec, s[20:21]
	s_and_b64 s[2:3], s[2:3], exec
	s_or_saveexec_b64 s[18:19], s[18:19]
	v_mov_b32_e32 v6, 0x7f800001
	s_xor_b64 exec, exec, s[18:19]
	s_cbranch_execnz .LBB344_1234
.LBB344_1214:
	s_or_b64 exec, exec, s[18:19]
	s_and_saveexec_b64 s[18:19], s[2:3]
	s_cbranch_execz .LBB344_1216
.LBB344_1215:
	v_lshlrev_b32_e32 v6, 24, v1
	v_and_b32_e32 v1, 0xffff, v1
	v_and_b32_e32 v7, 3, v1
	v_ffbh_u32_e32 v9, v7
	v_min_u32_e32 v9, 32, v9
	v_subrev_u32_e32 v10, 29, v9
	v_bfe_u32 v8, v1, 2, 5
	v_lshlrev_b32_e32 v1, v10, v1
	v_sub_u32_e32 v9, 30, v9
	v_and_b32_e32 v1, 3, v1
	v_cmp_eq_u32_e32 vcc, 0, v8
	v_and_b32_e32 v6, 0x80000000, v6
	s_nop 0
	v_cndmask_b32_e32 v8, v8, v9, vcc
	v_cndmask_b32_e32 v1, v7, v1, vcc
	v_mov_b32_e32 v7, 0x37800000
	v_lshlrev_b32_e32 v1, 21, v1
	v_lshl_add_u32 v7, v8, 23, v7
	v_or3_b32 v6, v6, v7, v1
.LBB344_1216:
	s_or_b64 exec, exec, s[18:19]
	v_bfe_u32 v1, v6, 16, 1
	s_movk_i32 s2, 0x7fff
	v_add3_u32 v1, v6, v1, s2
	v_cmp_o_f32_e32 vcc, v6, v6
	v_mov_b32_e32 v6, 0x7fc0
	s_mov_b64 s[2:3], 0
	v_cndmask_b32_sdwa v6, v6, v1, vcc dst_sel:DWORD dst_unused:UNUSED_PAD src0_sel:DWORD src1_sel:WORD_1
	s_branch .LBB344_1222
.LBB344_1217:
	s_mov_b64 s[2:3], -1
                                        ; implicit-def: $vgpr6
	s_branch .LBB344_1228
.LBB344_1218:
	s_or_saveexec_b64 s[20:21], s[20:21]
	v_mov_b32_e32 v6, 0x7f800001
	s_xor_b64 exec, exec, s[20:21]
	s_cbranch_execz .LBB344_1202
.LBB344_1219:
	v_cmp_ne_u16_e32 vcc, 0, v1
	s_andn2_b64 s[18:19], s[18:19], exec
	s_and_b64 s[22:23], vcc, exec
	v_mov_b32_e32 v6, 0
	s_or_b64 s[18:19], s[18:19], s[22:23]
	s_or_b64 exec, exec, s[20:21]
	s_and_saveexec_b64 s[20:21], s[18:19]
	s_cbranch_execnz .LBB344_1203
	s_branch .LBB344_1204
.LBB344_1220:
	s_mov_b64 s[2:3], -1
                                        ; implicit-def: $vgpr6
	s_branch .LBB344_1225
.LBB344_1221:
	s_mov_b64 s[2:3], -1
                                        ; implicit-def: $vgpr6
.LBB344_1222:
	s_and_b64 vcc, exec, s[2:3]
	s_cbranch_vccz .LBB344_1224
; %bb.1223:
	global_load_ubyte v1, v[2:3], off
	s_mov_b32 s2, 0x7f800000
	s_brev_b32 s3, 1
	s_movk_i32 s18, 0x7fff
	s_waitcnt vmcnt(0)
	v_lshlrev_b32_e32 v1, 24, v1
	v_and_b32_e32 v6, 0x7f000000, v1
	v_ffbh_u32_e32 v7, v6
	v_min_u32_e32 v7, 32, v7
	v_sub_u32_e64 v7, v7, 4 clamp
	v_lshlrev_b32_e32 v9, v7, v6
	v_lshlrev_b32_e32 v7, 23, v7
	v_lshrrev_b32_e32 v9, 4, v9
	v_add_u32_e32 v8, 0x1000000, v6
	v_sub_u32_e32 v7, v9, v7
	v_ashrrev_i32_e32 v8, 8, v8
	v_add_u32_e32 v7, 0x3c000000, v7
	v_and_or_b32 v7, v8, s2, v7
	v_cmp_ne_u32_e32 vcc, 0, v6
	s_nop 1
	v_cndmask_b32_e32 v6, 0, v7, vcc
	v_and_or_b32 v1, v1, s3, v6
	v_bfe_u32 v6, v6, 16, 1
	v_add3_u32 v6, v1, v6, s18
	v_cmp_o_f32_e32 vcc, v1, v1
	v_mov_b32_e32 v1, 0x7fc0
	s_nop 0
	v_cndmask_b32_sdwa v6, v1, v6, vcc dst_sel:DWORD dst_unused:UNUSED_PAD src0_sel:DWORD src1_sel:WORD_1
.LBB344_1224:
	s_mov_b64 s[2:3], 0
.LBB344_1225:
	s_andn2_b64 vcc, exec, s[2:3]
	s_cbranch_vccnz .LBB344_1227
; %bb.1226:
	global_load_ubyte v1, v[2:3], off
	s_movk_i32 s2, 0x7f00
	s_brev_b32 s3, 16
	s_brev_b32 s18, 1
	s_movk_i32 s19, 0x7fff
	s_waitcnt vmcnt(0)
	v_lshlrev_b16_e32 v6, 8, v1
	v_lshlrev_b32_e32 v1, 25, v1
	v_lshrrev_b32_e32 v7, 4, v1
	v_and_or_b32 v8, v6, s2, 0.5
	v_or_b32_e32 v7, 0x70000000, v7
	v_add_f32_e32 v8, -0.5, v8
	v_mul_f32_e32 v7, 0x7800000, v7
	v_cmp_gt_u32_e32 vcc, s3, v1
	v_bfe_i32 v6, v6, 0, 16
	s_nop 0
	v_cndmask_b32_e32 v1, v7, v8, vcc
	v_and_or_b32 v6, v6, s18, v1
	v_bfe_u32 v1, v1, 16, 1
	v_add3_u32 v1, v6, v1, s19
	v_cmp_o_f32_e32 vcc, v6, v6
	v_mov_b32_e32 v6, 0x7fc0
	s_nop 0
	v_cndmask_b32_sdwa v6, v6, v1, vcc dst_sel:DWORD dst_unused:UNUSED_PAD src0_sel:DWORD src1_sel:WORD_1
.LBB344_1227:
	s_mov_b64 s[2:3], 0
	s_mov_b64 s[18:19], -1
.LBB344_1228:
	s_andn2_b64 vcc, exec, s[2:3]
	s_mov_b64 s[2:3], 0
	s_cbranch_vccnz .LBB344_1239
; %bb.1229:
	s_cmp_gt_i32 s10, 14
	s_cbranch_scc0 .LBB344_1232
; %bb.1230:
	s_cmp_eq_u32 s10, 15
	s_cbranch_scc0 .LBB344_1235
; %bb.1231:
	global_load_ushort v6, v[2:3], off
	s_mov_b64 s[0:1], 0
	s_mov_b64 s[18:19], -1
	s_branch .LBB344_1236
.LBB344_1232:
	s_mov_b64 s[20:21], -1
                                        ; implicit-def: $vgpr6
	s_branch .LBB344_1237
.LBB344_1233:
	s_or_saveexec_b64 s[18:19], s[18:19]
	v_mov_b32_e32 v6, 0x7f800001
	s_xor_b64 exec, exec, s[18:19]
	s_cbranch_execz .LBB344_1214
.LBB344_1234:
	v_cmp_ne_u16_e32 vcc, 0, v1
	s_andn2_b64 s[2:3], s[2:3], exec
	s_and_b64 s[20:21], vcc, exec
	v_mov_b32_e32 v6, 0
	s_or_b64 s[2:3], s[2:3], s[20:21]
	s_or_b64 exec, exec, s[18:19]
	s_and_saveexec_b64 s[18:19], s[2:3]
	s_cbranch_execnz .LBB344_1215
	s_branch .LBB344_1216
.LBB344_1235:
	s_mov_b64 s[0:1], -1
                                        ; implicit-def: $vgpr6
.LBB344_1236:
	s_mov_b64 s[20:21], 0
.LBB344_1237:
	s_and_b64 vcc, exec, s[20:21]
	s_cbranch_vccz .LBB344_1239
; %bb.1238:
	s_cmp_lg_u32 s10, 11
	s_mov_b64 s[2:3], -1
	s_cselect_b64 s[0:1], -1, 0
.LBB344_1239:
	s_and_b64 vcc, exec, s[0:1]
	s_cbranch_vccnz .LBB344_1304
; %bb.1240:
	s_andn2_b64 vcc, exec, s[2:3]
	s_cbranch_vccnz .LBB344_1242
.LBB344_1241:
	global_load_ubyte v1, v[2:3], off
	s_mov_b64 s[18:19], -1
	s_waitcnt vmcnt(0)
	v_cmp_ne_u16_e32 vcc, 0, v1
	s_nop 1
	v_cndmask_b32_e64 v1, 0, 1.0, vcc
	v_lshrrev_b32_e32 v6, 16, v1
.LBB344_1242:
	s_branch .LBB344_1169
.LBB344_1243:
	s_cmp_lt_i32 s10, 5
	s_cbranch_scc1 .LBB344_1248
; %bb.1244:
	s_cmp_lt_i32 s10, 8
	s_cbranch_scc1 .LBB344_1249
; %bb.1245:
	;; [unrolled: 3-line block ×3, first 2 shown]
	s_cmp_gt_i32 s10, 9
	s_cbranch_scc0 .LBB344_1251
; %bb.1247:
	global_load_dwordx2 v[6:7], v[2:3], off
	s_movk_i32 s0, 0x7fff
	v_mov_b32_e32 v1, 0x7fc0
	s_waitcnt vmcnt(0)
	v_cvt_f32_f64_e32 v6, v[6:7]
	v_bfe_u32 v7, v6, 16, 1
	v_cmp_o_f32_e32 vcc, v6, v6
	v_add3_u32 v6, v6, v7, s0
	s_mov_b64 s[0:1], 0
	v_cndmask_b32_sdwa v6, v1, v6, vcc dst_sel:DWORD dst_unused:UNUSED_PAD src0_sel:DWORD src1_sel:WORD_1
	s_branch .LBB344_1252
.LBB344_1248:
                                        ; implicit-def: $vgpr6
	s_branch .LBB344_1270
.LBB344_1249:
	s_mov_b64 s[0:1], -1
                                        ; implicit-def: $vgpr6
	s_branch .LBB344_1258
.LBB344_1250:
	s_mov_b64 s[0:1], -1
                                        ; implicit-def: $vgpr6
	s_branch .LBB344_1255
.LBB344_1251:
	s_mov_b64 s[0:1], -1
                                        ; implicit-def: $vgpr6
.LBB344_1252:
	s_andn2_b64 vcc, exec, s[0:1]
	s_cbranch_vccnz .LBB344_1254
; %bb.1253:
	global_load_dword v1, v[2:3], off
	s_movk_i32 s0, 0x7fff
	s_waitcnt vmcnt(1)
	v_mov_b32_e32 v6, 0x7fc0
	s_waitcnt vmcnt(0)
	v_bfe_u32 v7, v1, 16, 1
	v_cmp_o_f32_e32 vcc, v1, v1
	v_add3_u32 v1, v1, v7, s0
	s_nop 0
	v_cndmask_b32_sdwa v6, v6, v1, vcc dst_sel:DWORD dst_unused:UNUSED_PAD src0_sel:DWORD src1_sel:WORD_1
.LBB344_1254:
	s_mov_b64 s[0:1], 0
.LBB344_1255:
	s_andn2_b64 vcc, exec, s[0:1]
	s_cbranch_vccnz .LBB344_1257
; %bb.1256:
	global_load_dword v1, v[2:3], off
	s_movk_i32 s0, 0x7fff
	v_mov_b32_e32 v7, 0x7fc0
	s_waitcnt vmcnt(0)
	v_cvt_f32_f16_e32 v6, v1
	v_cmp_o_f16_e32 vcc, v1, v1
	v_bfe_u32 v1, v6, 16, 1
	v_add3_u32 v1, v6, v1, s0
	v_cndmask_b32_sdwa v6, v7, v1, vcc dst_sel:DWORD dst_unused:UNUSED_PAD src0_sel:DWORD src1_sel:WORD_1
.LBB344_1257:
	s_mov_b64 s[0:1], 0
.LBB344_1258:
	s_andn2_b64 vcc, exec, s[0:1]
	s_cbranch_vccnz .LBB344_1269
; %bb.1259:
	s_cmp_lt_i32 s10, 6
	s_cbranch_scc1 .LBB344_1262
; %bb.1260:
	s_cmp_gt_i32 s10, 6
	s_cbranch_scc0 .LBB344_1263
; %bb.1261:
	global_load_dwordx2 v[6:7], v[2:3], off
	s_movk_i32 s0, 0x7fff
	v_mov_b32_e32 v1, 0x7fc0
	s_waitcnt vmcnt(0)
	v_cvt_f32_f64_e32 v6, v[6:7]
	v_bfe_u32 v7, v6, 16, 1
	v_cmp_o_f32_e32 vcc, v6, v6
	v_add3_u32 v6, v6, v7, s0
	s_mov_b64 s[0:1], 0
	v_cndmask_b32_sdwa v6, v1, v6, vcc dst_sel:DWORD dst_unused:UNUSED_PAD src0_sel:DWORD src1_sel:WORD_1
	s_branch .LBB344_1264
.LBB344_1262:
	s_mov_b64 s[0:1], -1
                                        ; implicit-def: $vgpr6
	s_branch .LBB344_1267
.LBB344_1263:
	s_mov_b64 s[0:1], -1
                                        ; implicit-def: $vgpr6
.LBB344_1264:
	s_andn2_b64 vcc, exec, s[0:1]
	s_cbranch_vccnz .LBB344_1266
; %bb.1265:
	global_load_dword v1, v[2:3], off
	s_movk_i32 s0, 0x7fff
	s_waitcnt vmcnt(1)
	v_mov_b32_e32 v6, 0x7fc0
	s_waitcnt vmcnt(0)
	v_bfe_u32 v7, v1, 16, 1
	v_cmp_o_f32_e32 vcc, v1, v1
	v_add3_u32 v1, v1, v7, s0
	s_nop 0
	v_cndmask_b32_sdwa v6, v6, v1, vcc dst_sel:DWORD dst_unused:UNUSED_PAD src0_sel:DWORD src1_sel:WORD_1
.LBB344_1266:
	s_mov_b64 s[0:1], 0
.LBB344_1267:
	s_andn2_b64 vcc, exec, s[0:1]
	s_cbranch_vccnz .LBB344_1269
; %bb.1268:
	global_load_ushort v1, v[2:3], off
	s_movk_i32 s0, 0x7fff
	v_mov_b32_e32 v7, 0x7fc0
	s_waitcnt vmcnt(0)
	v_cvt_f32_f16_e32 v6, v1
	v_cmp_o_f16_e32 vcc, v1, v1
	v_bfe_u32 v1, v6, 16, 1
	v_add3_u32 v1, v6, v1, s0
	v_cndmask_b32_sdwa v6, v7, v1, vcc dst_sel:DWORD dst_unused:UNUSED_PAD src0_sel:DWORD src1_sel:WORD_1
.LBB344_1269:
	s_cbranch_execnz .LBB344_1289
.LBB344_1270:
	s_cmp_lt_i32 s10, 2
	s_cbranch_scc1 .LBB344_1274
; %bb.1271:
	s_cmp_lt_i32 s10, 3
	s_cbranch_scc1 .LBB344_1275
; %bb.1272:
	s_cmp_gt_i32 s10, 3
	s_cbranch_scc0 .LBB344_1276
; %bb.1273:
	global_load_dwordx2 v[6:7], v[2:3], off
	s_movk_i32 s0, 0x7fff
	s_waitcnt vmcnt(0)
	v_xor_b32_e32 v8, v6, v7
	v_ffbh_i32_e32 v1, v7
	v_ashrrev_i32_e32 v8, 31, v8
	v_add_u32_e32 v1, -1, v1
	v_add_u32_e32 v8, 32, v8
	v_min_u32_e32 v1, v1, v8
	v_lshlrev_b64 v[6:7], v1, v[6:7]
	v_min_u32_e32 v6, 1, v6
	v_or_b32_e32 v6, v7, v6
	v_cvt_f32_i32_e32 v6, v6
	v_sub_u32_e32 v1, 32, v1
	v_ldexp_f32 v1, v6, v1
	v_bfe_u32 v6, v1, 16, 1
	v_add3_u32 v1, v1, v6, s0
	v_lshrrev_b32_e32 v6, 16, v1
	s_mov_b64 s[0:1], 0
	s_branch .LBB344_1277
.LBB344_1274:
	s_mov_b64 s[0:1], -1
                                        ; implicit-def: $vgpr6
	s_branch .LBB344_1283
.LBB344_1275:
	s_mov_b64 s[0:1], -1
                                        ; implicit-def: $vgpr6
	s_branch .LBB344_1280
.LBB344_1276:
	s_mov_b64 s[0:1], -1
                                        ; implicit-def: $vgpr6
.LBB344_1277:
	s_andn2_b64 vcc, exec, s[0:1]
	s_cbranch_vccnz .LBB344_1279
; %bb.1278:
	global_load_dword v1, v[2:3], off
	s_movk_i32 s0, 0x7fff
	s_waitcnt vmcnt(0)
	v_cvt_f32_i32_e32 v1, v1
	v_bfe_u32 v6, v1, 16, 1
	v_add3_u32 v1, v1, v6, s0
	v_lshrrev_b32_e32 v6, 16, v1
.LBB344_1279:
	s_mov_b64 s[0:1], 0
.LBB344_1280:
	s_andn2_b64 vcc, exec, s[0:1]
	s_cbranch_vccnz .LBB344_1282
; %bb.1281:
	global_load_sshort v1, v[2:3], off
	s_movk_i32 s0, 0x7fff
	s_waitcnt vmcnt(0)
	v_cvt_f32_i32_e32 v1, v1
	v_bfe_u32 v6, v1, 16, 1
	v_add3_u32 v1, v1, v6, s0
	v_lshrrev_b32_e32 v6, 16, v1
.LBB344_1282:
	s_mov_b64 s[0:1], 0
.LBB344_1283:
	s_andn2_b64 vcc, exec, s[0:1]
	s_cbranch_vccnz .LBB344_1289
; %bb.1284:
	s_cmp_gt_i32 s10, 0
	s_cbranch_scc0 .LBB344_1286
; %bb.1285:
	global_load_sbyte v1, v[2:3], off
	s_movk_i32 s0, 0x7fff
	s_waitcnt vmcnt(0)
	v_cvt_f32_i32_e32 v1, v1
	v_bfe_u32 v6, v1, 16, 1
	v_add3_u32 v1, v1, v6, s0
	v_lshrrev_b32_e32 v6, 16, v1
	s_mov_b64 s[0:1], 0
	s_branch .LBB344_1287
.LBB344_1286:
	s_mov_b64 s[0:1], -1
                                        ; implicit-def: $vgpr6
.LBB344_1287:
	s_andn2_b64 vcc, exec, s[0:1]
	s_cbranch_vccnz .LBB344_1289
; %bb.1288:
	global_load_ubyte v1, v[2:3], off
	s_movk_i32 s0, 0x7fff
	s_waitcnt vmcnt(0)
	v_cvt_f32_ubyte0_e32 v1, v1
	v_bfe_u32 v2, v1, 16, 1
	v_add3_u32 v1, v1, v2, s0
	v_lshrrev_b32_e32 v6, 16, v1
.LBB344_1289:
.LBB344_1290:
	s_waitcnt vmcnt(0)
	v_lshlrev_b32_e32 v1, 16, v6
	v_cmp_o_f32_e32 vcc, v1, v1
	s_and_saveexec_b64 s[0:1], vcc
; %bb.1291:
	s_lshl_b32 s2, s44, 16
	v_mov_b32_e32 v2, s44
	v_cmp_lt_f32_e32 vcc, s2, v1
	s_lshl_b32 s2, s33, 16
	v_mov_b32_e32 v3, s33
	v_cndmask_b32_e32 v1, v2, v6, vcc
	v_lshlrev_b32_e32 v2, 16, v1
	v_cmp_gt_f32_e32 vcc, s2, v2
	s_nop 1
	v_cndmask_b32_e32 v6, v3, v1, vcc
; %bb.1292:
	s_or_b64 exec, exec, s[0:1]
	v_add_u32_e32 v0, s9, v0
	v_ashrrev_i32_e32 v1, 31, v0
	s_cmp_lt_i32 s10, 11
	v_lshl_add_u64 v[2:3], s[6:7], 0, v[0:1]
	s_cbranch_scc1 .LBB344_1299
; %bb.1293:
	s_cmp_gt_i32 s10, 25
	s_mov_b64 s[2:3], 0
	s_cbranch_scc0 .LBB344_1301
; %bb.1294:
	s_cmp_gt_i32 s10, 28
	s_cbranch_scc0 .LBB344_1302
; %bb.1295:
	s_cmp_gt_i32 s10, 43
	;; [unrolled: 3-line block ×3, first 2 shown]
	s_cbranch_scc0 .LBB344_1305
; %bb.1297:
	s_cmp_eq_u32 s10, 46
	s_mov_b64 s[20:21], 0
	s_cbranch_scc0 .LBB344_1306
; %bb.1298:
	global_load_dword v7, v[2:3], off
	s_mov_b64 s[0:1], 0
	s_mov_b64 s[18:19], -1
	s_branch .LBB344_1307
.LBB344_1299:
	s_mov_b64 s[18:19], 0
                                        ; implicit-def: $vgpr7
	s_cbranch_execnz .LBB344_1373
.LBB344_1300:
	s_andn2_b64 vcc, exec, s[18:19]
	s_cbranch_vccnz .LBB344_1633
	s_branch .LBB344_1421
.LBB344_1301:
	s_mov_b64 s[20:21], -1
	s_mov_b64 s[18:19], 0
	s_mov_b64 s[0:1], 0
                                        ; implicit-def: $vgpr7
	s_branch .LBB344_1336
.LBB344_1302:
	s_mov_b64 s[20:21], -1
	s_mov_b64 s[18:19], 0
	s_mov_b64 s[0:1], 0
                                        ; implicit-def: $vgpr7
	s_branch .LBB344_1317
.LBB344_1303:
	s_mov_b64 s[20:21], -1
	s_mov_b64 s[18:19], 0
	s_mov_b64 s[0:1], 0
                                        ; implicit-def: $vgpr7
	s_branch .LBB344_1312
.LBB344_1304:
	s_trap 2
	s_or_b64 s[16:17], s[16:17], exec
	s_cbranch_execz .LBB344_1241
	s_branch .LBB344_1242
.LBB344_1305:
	s_mov_b64 s[20:21], -1
	s_mov_b64 s[18:19], 0
	s_mov_b64 s[0:1], 0
                                        ; implicit-def: $vgpr7
	s_branch .LBB344_1307
.LBB344_1306:
	s_mov_b64 s[0:1], -1
                                        ; implicit-def: $vgpr7
	s_mov_b64 s[18:19], 0
.LBB344_1307:
	s_and_b64 vcc, exec, s[20:21]
	s_cbranch_vccz .LBB344_1311
; %bb.1308:
	s_cmp_eq_u32 s10, 44
	s_cbranch_scc0 .LBB344_1310
; %bb.1309:
	global_load_ubyte v1, v[2:3], off
	s_movk_i32 s18, 0xff
	s_waitcnt vmcnt(1)
	v_mov_b32_e32 v7, 0x7f800001
	v_mov_b32_e32 v8, 0x400000
	;; [unrolled: 1-line block ×3, first 2 shown]
	s_mov_b64 s[0:1], 0
	s_waitcnt vmcnt(0)
	v_lshlrev_b32_e32 v10, 23, v1
	v_cmp_ne_u32_e32 vcc, s18, v1
	s_mov_b64 s[18:19], -1
	s_nop 0
	v_cndmask_b32_e32 v7, v7, v10, vcc
	v_cmp_ne_u32_e32 vcc, 0, v1
	s_nop 1
	v_cndmask_b32_e32 v1, v8, v7, vcc
	v_add_u32_e32 v7, 0x7fff, v1
	v_cmp_o_f32_e32 vcc, v1, v1
	s_nop 1
	v_cndmask_b32_sdwa v7, v9, v7, vcc dst_sel:DWORD dst_unused:UNUSED_PAD src0_sel:DWORD src1_sel:WORD_1
	s_branch .LBB344_1311
.LBB344_1310:
	s_mov_b64 s[0:1], -1
                                        ; implicit-def: $vgpr7
.LBB344_1311:
	s_mov_b64 s[20:21], 0
.LBB344_1312:
	s_and_b64 vcc, exec, s[20:21]
	s_cbranch_vccz .LBB344_1316
; %bb.1313:
	s_cmp_eq_u32 s10, 29
	s_cbranch_scc0 .LBB344_1315
; %bb.1314:
	global_load_dwordx2 v[8:9], v[2:3], off
	s_movk_i32 s18, 0x7fff
	s_mov_b64 s[0:1], 0
	s_mov_b64 s[20:21], 0
	s_waitcnt vmcnt(0)
	v_ffbh_u32_e32 v1, v9
	v_min_u32_e32 v1, 32, v1
	v_lshlrev_b64 v[8:9], v1, v[8:9]
	v_min_u32_e32 v7, 1, v8
	v_or_b32_e32 v7, v9, v7
	v_cvt_f32_u32_e32 v7, v7
	v_sub_u32_e32 v1, 32, v1
	v_ldexp_f32 v1, v7, v1
	v_bfe_u32 v7, v1, 16, 1
	v_add3_u32 v1, v1, v7, s18
	v_lshrrev_b32_e32 v7, 16, v1
	s_mov_b64 s[18:19], -1
	s_branch .LBB344_1317
.LBB344_1315:
	s_mov_b64 s[0:1], -1
                                        ; implicit-def: $vgpr7
.LBB344_1316:
	s_mov_b64 s[20:21], 0
.LBB344_1317:
	s_and_b64 vcc, exec, s[20:21]
	s_cbranch_vccz .LBB344_1335
; %bb.1318:
	s_cmp_lt_i32 s10, 27
	s_cbranch_scc1 .LBB344_1321
; %bb.1319:
	s_cmp_gt_i32 s10, 27
	s_cbranch_scc0 .LBB344_1322
; %bb.1320:
	global_load_dword v1, v[2:3], off
	s_movk_i32 s18, 0x7fff
	s_waitcnt vmcnt(0)
	v_cvt_f32_u32_e32 v1, v1
	v_bfe_u32 v7, v1, 16, 1
	v_add3_u32 v1, v1, v7, s18
	v_lshrrev_b32_e32 v7, 16, v1
	s_mov_b64 s[18:19], 0
	s_branch .LBB344_1323
.LBB344_1321:
	s_mov_b64 s[18:19], -1
                                        ; implicit-def: $vgpr7
	s_branch .LBB344_1326
.LBB344_1322:
	s_mov_b64 s[18:19], -1
                                        ; implicit-def: $vgpr7
.LBB344_1323:
	s_andn2_b64 vcc, exec, s[18:19]
	s_cbranch_vccnz .LBB344_1325
; %bb.1324:
	global_load_ushort v1, v[2:3], off
	s_movk_i32 s18, 0x7fff
	s_waitcnt vmcnt(0)
	v_cvt_f32_u32_e32 v1, v1
	v_bfe_u32 v7, v1, 16, 1
	v_add3_u32 v1, v1, v7, s18
	v_lshrrev_b32_e32 v7, 16, v1
.LBB344_1325:
	s_mov_b64 s[18:19], 0
.LBB344_1326:
	s_andn2_b64 vcc, exec, s[18:19]
	s_cbranch_vccnz .LBB344_1334
; %bb.1327:
	global_load_ubyte v1, v[2:3], off
	s_movk_i32 s18, 0x7f
	s_waitcnt vmcnt(0)
	v_cmp_lt_i16_e32 vcc, s18, v1
	s_mov_b64 s[18:19], 0
	s_and_saveexec_b64 s[20:21], vcc
	s_xor_b64 s[20:21], exec, s[20:21]
	s_cbranch_execz .LBB344_1348
; %bb.1328:
	s_movk_i32 s18, 0x80
	v_cmp_eq_u16_e32 vcc, s18, v1
	s_mov_b64 s[18:19], -1
	s_and_saveexec_b64 s[22:23], vcc
; %bb.1329:
	s_xor_b64 s[18:19], exec, -1
; %bb.1330:
	s_or_b64 exec, exec, s[22:23]
	s_and_b64 s[18:19], s[18:19], exec
	s_or_saveexec_b64 s[20:21], s[20:21]
	v_mov_b32_e32 v7, 0x7f800001
	s_xor_b64 exec, exec, s[20:21]
	s_cbranch_execnz .LBB344_1349
.LBB344_1331:
	s_or_b64 exec, exec, s[20:21]
	s_and_saveexec_b64 s[20:21], s[18:19]
	s_cbranch_execz .LBB344_1333
.LBB344_1332:
	v_lshlrev_b32_e32 v7, 24, v1
	v_and_b32_e32 v1, 0xffff, v1
	v_and_b32_e32 v8, 7, v1
	v_ffbh_u32_e32 v10, v8
	v_min_u32_e32 v10, 32, v10
	v_subrev_u32_e32 v11, 28, v10
	v_bfe_u32 v9, v1, 3, 4
	v_lshlrev_b32_e32 v1, v11, v1
	v_sub_u32_e32 v10, 29, v10
	v_and_b32_e32 v1, 7, v1
	v_cmp_eq_u32_e32 vcc, 0, v9
	v_and_b32_e32 v7, 0x80000000, v7
	s_nop 0
	v_cndmask_b32_e32 v9, v9, v10, vcc
	v_cndmask_b32_e32 v1, v8, v1, vcc
	v_mov_b32_e32 v8, 0x3b800000
	v_lshlrev_b32_e32 v1, 20, v1
	v_lshl_add_u32 v8, v9, 23, v8
	v_or3_b32 v7, v7, v8, v1
.LBB344_1333:
	s_or_b64 exec, exec, s[20:21]
	v_bfe_u32 v1, v7, 16, 1
	s_movk_i32 s18, 0x7fff
	v_add3_u32 v1, v7, v1, s18
	v_cmp_o_f32_e32 vcc, v7, v7
	v_mov_b32_e32 v7, 0x7fc0
	s_nop 0
	v_cndmask_b32_sdwa v7, v7, v1, vcc dst_sel:DWORD dst_unused:UNUSED_PAD src0_sel:DWORD src1_sel:WORD_1
.LBB344_1334:
	s_mov_b64 s[18:19], -1
.LBB344_1335:
	s_mov_b64 s[20:21], 0
.LBB344_1336:
	s_and_b64 vcc, exec, s[20:21]
	s_cbranch_vccz .LBB344_1369
; %bb.1337:
	s_cmp_gt_i32 s10, 22
	s_cbranch_scc0 .LBB344_1347
; %bb.1338:
	s_cmp_lt_i32 s10, 24
	s_cbranch_scc1 .LBB344_1350
; %bb.1339:
	s_cmp_gt_i32 s10, 24
	s_cbranch_scc0 .LBB344_1351
; %bb.1340:
	global_load_ubyte v1, v[2:3], off
	s_movk_i32 s2, 0x7f
	s_waitcnt vmcnt(0)
	v_cmp_lt_i16_e32 vcc, s2, v1
	s_mov_b64 s[2:3], 0
	s_and_saveexec_b64 s[18:19], vcc
	s_xor_b64 s[18:19], exec, s[18:19]
	s_cbranch_execz .LBB344_1363
; %bb.1341:
	s_movk_i32 s2, 0x80
	v_cmp_eq_u16_e32 vcc, s2, v1
	s_mov_b64 s[2:3], -1
	s_and_saveexec_b64 s[20:21], vcc
; %bb.1342:
	s_xor_b64 s[2:3], exec, -1
; %bb.1343:
	s_or_b64 exec, exec, s[20:21]
	s_and_b64 s[2:3], s[2:3], exec
	s_or_saveexec_b64 s[18:19], s[18:19]
	v_mov_b32_e32 v7, 0x7f800001
	s_xor_b64 exec, exec, s[18:19]
	s_cbranch_execnz .LBB344_1364
.LBB344_1344:
	s_or_b64 exec, exec, s[18:19]
	s_and_saveexec_b64 s[18:19], s[2:3]
	s_cbranch_execz .LBB344_1346
.LBB344_1345:
	v_lshlrev_b32_e32 v7, 24, v1
	v_and_b32_e32 v1, 0xffff, v1
	v_and_b32_e32 v8, 3, v1
	v_ffbh_u32_e32 v10, v8
	v_min_u32_e32 v10, 32, v10
	v_subrev_u32_e32 v11, 29, v10
	v_bfe_u32 v9, v1, 2, 5
	v_lshlrev_b32_e32 v1, v11, v1
	v_sub_u32_e32 v10, 30, v10
	v_and_b32_e32 v1, 3, v1
	v_cmp_eq_u32_e32 vcc, 0, v9
	v_and_b32_e32 v7, 0x80000000, v7
	s_nop 0
	v_cndmask_b32_e32 v9, v9, v10, vcc
	v_cndmask_b32_e32 v1, v8, v1, vcc
	v_mov_b32_e32 v8, 0x37800000
	v_lshlrev_b32_e32 v1, 21, v1
	v_lshl_add_u32 v8, v9, 23, v8
	v_or3_b32 v7, v7, v8, v1
.LBB344_1346:
	s_or_b64 exec, exec, s[18:19]
	v_bfe_u32 v1, v7, 16, 1
	s_movk_i32 s2, 0x7fff
	v_add3_u32 v1, v7, v1, s2
	v_cmp_o_f32_e32 vcc, v7, v7
	v_mov_b32_e32 v7, 0x7fc0
	s_mov_b64 s[2:3], 0
	v_cndmask_b32_sdwa v7, v7, v1, vcc dst_sel:DWORD dst_unused:UNUSED_PAD src0_sel:DWORD src1_sel:WORD_1
	s_branch .LBB344_1352
.LBB344_1347:
	s_mov_b64 s[2:3], -1
                                        ; implicit-def: $vgpr7
	s_branch .LBB344_1358
.LBB344_1348:
	s_or_saveexec_b64 s[20:21], s[20:21]
	v_mov_b32_e32 v7, 0x7f800001
	s_xor_b64 exec, exec, s[20:21]
	s_cbranch_execz .LBB344_1331
.LBB344_1349:
	v_cmp_ne_u16_e32 vcc, 0, v1
	s_andn2_b64 s[18:19], s[18:19], exec
	s_and_b64 s[22:23], vcc, exec
	v_mov_b32_e32 v7, 0
	s_or_b64 s[18:19], s[18:19], s[22:23]
	s_or_b64 exec, exec, s[20:21]
	s_and_saveexec_b64 s[20:21], s[18:19]
	s_cbranch_execnz .LBB344_1332
	s_branch .LBB344_1333
.LBB344_1350:
	s_mov_b64 s[2:3], -1
                                        ; implicit-def: $vgpr7
	s_branch .LBB344_1355
.LBB344_1351:
	s_mov_b64 s[2:3], -1
                                        ; implicit-def: $vgpr7
.LBB344_1352:
	s_and_b64 vcc, exec, s[2:3]
	s_cbranch_vccz .LBB344_1354
; %bb.1353:
	global_load_ubyte v1, v[2:3], off
	s_mov_b32 s2, 0x7f800000
	s_brev_b32 s3, 1
	s_movk_i32 s18, 0x7fff
	s_waitcnt vmcnt(0)
	v_lshlrev_b32_e32 v1, 24, v1
	v_and_b32_e32 v7, 0x7f000000, v1
	v_ffbh_u32_e32 v8, v7
	v_min_u32_e32 v8, 32, v8
	v_sub_u32_e64 v8, v8, 4 clamp
	v_lshlrev_b32_e32 v10, v8, v7
	v_lshlrev_b32_e32 v8, 23, v8
	v_lshrrev_b32_e32 v10, 4, v10
	v_add_u32_e32 v9, 0x1000000, v7
	v_sub_u32_e32 v8, v10, v8
	v_ashrrev_i32_e32 v9, 8, v9
	v_add_u32_e32 v8, 0x3c000000, v8
	v_and_or_b32 v8, v9, s2, v8
	v_cmp_ne_u32_e32 vcc, 0, v7
	s_nop 1
	v_cndmask_b32_e32 v7, 0, v8, vcc
	v_and_or_b32 v1, v1, s3, v7
	v_bfe_u32 v7, v7, 16, 1
	v_add3_u32 v7, v1, v7, s18
	v_cmp_o_f32_e32 vcc, v1, v1
	v_mov_b32_e32 v1, 0x7fc0
	s_nop 0
	v_cndmask_b32_sdwa v7, v1, v7, vcc dst_sel:DWORD dst_unused:UNUSED_PAD src0_sel:DWORD src1_sel:WORD_1
.LBB344_1354:
	s_mov_b64 s[2:3], 0
.LBB344_1355:
	s_andn2_b64 vcc, exec, s[2:3]
	s_cbranch_vccnz .LBB344_1357
; %bb.1356:
	global_load_ubyte v1, v[2:3], off
	s_movk_i32 s2, 0x7f00
	s_brev_b32 s3, 16
	s_brev_b32 s18, 1
	s_movk_i32 s19, 0x7fff
	s_waitcnt vmcnt(0)
	v_lshlrev_b16_e32 v7, 8, v1
	v_lshlrev_b32_e32 v1, 25, v1
	v_lshrrev_b32_e32 v8, 4, v1
	v_and_or_b32 v9, v7, s2, 0.5
	v_or_b32_e32 v8, 0x70000000, v8
	v_add_f32_e32 v9, -0.5, v9
	v_mul_f32_e32 v8, 0x7800000, v8
	v_cmp_gt_u32_e32 vcc, s3, v1
	v_bfe_i32 v7, v7, 0, 16
	s_nop 0
	v_cndmask_b32_e32 v1, v8, v9, vcc
	v_and_or_b32 v7, v7, s18, v1
	v_bfe_u32 v1, v1, 16, 1
	v_add3_u32 v1, v7, v1, s19
	v_cmp_o_f32_e32 vcc, v7, v7
	v_mov_b32_e32 v7, 0x7fc0
	s_nop 0
	v_cndmask_b32_sdwa v7, v7, v1, vcc dst_sel:DWORD dst_unused:UNUSED_PAD src0_sel:DWORD src1_sel:WORD_1
.LBB344_1357:
	s_mov_b64 s[2:3], 0
	s_mov_b64 s[18:19], -1
.LBB344_1358:
	s_andn2_b64 vcc, exec, s[2:3]
	s_mov_b64 s[2:3], 0
	s_cbranch_vccnz .LBB344_1369
; %bb.1359:
	s_cmp_gt_i32 s10, 14
	s_cbranch_scc0 .LBB344_1362
; %bb.1360:
	s_cmp_eq_u32 s10, 15
	s_cbranch_scc0 .LBB344_1365
; %bb.1361:
	global_load_ushort v7, v[2:3], off
	s_mov_b64 s[0:1], 0
	s_mov_b64 s[18:19], -1
	s_branch .LBB344_1366
.LBB344_1362:
	s_mov_b64 s[20:21], -1
                                        ; implicit-def: $vgpr7
	s_branch .LBB344_1367
.LBB344_1363:
	s_or_saveexec_b64 s[18:19], s[18:19]
	v_mov_b32_e32 v7, 0x7f800001
	s_xor_b64 exec, exec, s[18:19]
	s_cbranch_execz .LBB344_1344
.LBB344_1364:
	v_cmp_ne_u16_e32 vcc, 0, v1
	s_andn2_b64 s[2:3], s[2:3], exec
	s_and_b64 s[20:21], vcc, exec
	v_mov_b32_e32 v7, 0
	s_or_b64 s[2:3], s[2:3], s[20:21]
	s_or_b64 exec, exec, s[18:19]
	s_and_saveexec_b64 s[18:19], s[2:3]
	s_cbranch_execnz .LBB344_1345
	s_branch .LBB344_1346
.LBB344_1365:
	s_mov_b64 s[0:1], -1
                                        ; implicit-def: $vgpr7
.LBB344_1366:
	s_mov_b64 s[20:21], 0
.LBB344_1367:
	s_and_b64 vcc, exec, s[20:21]
	s_cbranch_vccz .LBB344_1369
; %bb.1368:
	s_cmp_lg_u32 s10, 11
	s_mov_b64 s[2:3], -1
	s_cselect_b64 s[0:1], -1, 0
.LBB344_1369:
	s_and_b64 vcc, exec, s[0:1]
	s_cbranch_vccnz .LBB344_1434
; %bb.1370:
	s_andn2_b64 vcc, exec, s[2:3]
	s_cbranch_vccnz .LBB344_1372
.LBB344_1371:
	global_load_ubyte v1, v[2:3], off
	s_mov_b64 s[18:19], -1
	s_waitcnt vmcnt(0)
	v_cmp_ne_u16_e32 vcc, 0, v1
	s_nop 1
	v_cndmask_b32_e64 v1, 0, 1.0, vcc
	v_lshrrev_b32_e32 v7, 16, v1
.LBB344_1372:
	s_branch .LBB344_1300
.LBB344_1373:
	s_cmp_lt_i32 s10, 5
	s_cbranch_scc1 .LBB344_1378
; %bb.1374:
	s_cmp_lt_i32 s10, 8
	s_cbranch_scc1 .LBB344_1379
; %bb.1375:
	;; [unrolled: 3-line block ×3, first 2 shown]
	s_cmp_gt_i32 s10, 9
	s_cbranch_scc0 .LBB344_1381
; %bb.1377:
	global_load_dwordx2 v[8:9], v[2:3], off
	s_movk_i32 s0, 0x7fff
	v_mov_b32_e32 v1, 0x7fc0
	s_waitcnt vmcnt(0)
	v_cvt_f32_f64_e32 v7, v[8:9]
	v_bfe_u32 v8, v7, 16, 1
	v_cmp_o_f32_e32 vcc, v7, v7
	v_add3_u32 v7, v7, v8, s0
	s_mov_b64 s[0:1], 0
	v_cndmask_b32_sdwa v7, v1, v7, vcc dst_sel:DWORD dst_unused:UNUSED_PAD src0_sel:DWORD src1_sel:WORD_1
	s_branch .LBB344_1382
.LBB344_1378:
	s_mov_b64 s[0:1], -1
                                        ; implicit-def: $vgpr7
	s_branch .LBB344_1400
.LBB344_1379:
	s_mov_b64 s[0:1], -1
                                        ; implicit-def: $vgpr7
	s_branch .LBB344_1388
.LBB344_1380:
	s_mov_b64 s[0:1], -1
                                        ; implicit-def: $vgpr7
	s_branch .LBB344_1385
.LBB344_1381:
	s_mov_b64 s[0:1], -1
                                        ; implicit-def: $vgpr7
.LBB344_1382:
	s_andn2_b64 vcc, exec, s[0:1]
	s_cbranch_vccnz .LBB344_1384
; %bb.1383:
	global_load_dword v1, v[2:3], off
	s_movk_i32 s0, 0x7fff
	s_waitcnt vmcnt(1)
	v_mov_b32_e32 v7, 0x7fc0
	s_waitcnt vmcnt(0)
	v_bfe_u32 v8, v1, 16, 1
	v_cmp_o_f32_e32 vcc, v1, v1
	v_add3_u32 v1, v1, v8, s0
	s_nop 0
	v_cndmask_b32_sdwa v7, v7, v1, vcc dst_sel:DWORD dst_unused:UNUSED_PAD src0_sel:DWORD src1_sel:WORD_1
.LBB344_1384:
	s_mov_b64 s[0:1], 0
.LBB344_1385:
	s_andn2_b64 vcc, exec, s[0:1]
	s_cbranch_vccnz .LBB344_1387
; %bb.1386:
	global_load_dword v1, v[2:3], off
	s_movk_i32 s0, 0x7fff
	v_mov_b32_e32 v8, 0x7fc0
	s_waitcnt vmcnt(0)
	v_cvt_f32_f16_e32 v7, v1
	v_cmp_o_f16_e32 vcc, v1, v1
	v_bfe_u32 v1, v7, 16, 1
	v_add3_u32 v1, v7, v1, s0
	v_cndmask_b32_sdwa v7, v8, v1, vcc dst_sel:DWORD dst_unused:UNUSED_PAD src0_sel:DWORD src1_sel:WORD_1
.LBB344_1387:
	s_mov_b64 s[0:1], 0
.LBB344_1388:
	s_andn2_b64 vcc, exec, s[0:1]
	s_cbranch_vccnz .LBB344_1399
; %bb.1389:
	s_cmp_lt_i32 s10, 6
	s_cbranch_scc1 .LBB344_1392
; %bb.1390:
	s_cmp_gt_i32 s10, 6
	s_cbranch_scc0 .LBB344_1393
; %bb.1391:
	global_load_dwordx2 v[8:9], v[2:3], off
	s_movk_i32 s0, 0x7fff
	v_mov_b32_e32 v1, 0x7fc0
	s_waitcnt vmcnt(0)
	v_cvt_f32_f64_e32 v7, v[8:9]
	v_bfe_u32 v8, v7, 16, 1
	v_cmp_o_f32_e32 vcc, v7, v7
	v_add3_u32 v7, v7, v8, s0
	s_mov_b64 s[0:1], 0
	v_cndmask_b32_sdwa v7, v1, v7, vcc dst_sel:DWORD dst_unused:UNUSED_PAD src0_sel:DWORD src1_sel:WORD_1
	s_branch .LBB344_1394
.LBB344_1392:
	s_mov_b64 s[0:1], -1
                                        ; implicit-def: $vgpr7
	s_branch .LBB344_1397
.LBB344_1393:
	s_mov_b64 s[0:1], -1
                                        ; implicit-def: $vgpr7
.LBB344_1394:
	s_andn2_b64 vcc, exec, s[0:1]
	s_cbranch_vccnz .LBB344_1396
; %bb.1395:
	global_load_dword v1, v[2:3], off
	s_movk_i32 s0, 0x7fff
	s_waitcnt vmcnt(1)
	v_mov_b32_e32 v7, 0x7fc0
	s_waitcnt vmcnt(0)
	v_bfe_u32 v8, v1, 16, 1
	v_cmp_o_f32_e32 vcc, v1, v1
	v_add3_u32 v1, v1, v8, s0
	s_nop 0
	v_cndmask_b32_sdwa v7, v7, v1, vcc dst_sel:DWORD dst_unused:UNUSED_PAD src0_sel:DWORD src1_sel:WORD_1
.LBB344_1396:
	s_mov_b64 s[0:1], 0
.LBB344_1397:
	s_andn2_b64 vcc, exec, s[0:1]
	s_cbranch_vccnz .LBB344_1399
; %bb.1398:
	global_load_ushort v1, v[2:3], off
	s_movk_i32 s0, 0x7fff
	v_mov_b32_e32 v8, 0x7fc0
	s_waitcnt vmcnt(0)
	v_cvt_f32_f16_e32 v7, v1
	v_cmp_o_f16_e32 vcc, v1, v1
	v_bfe_u32 v1, v7, 16, 1
	v_add3_u32 v1, v7, v1, s0
	v_cndmask_b32_sdwa v7, v8, v1, vcc dst_sel:DWORD dst_unused:UNUSED_PAD src0_sel:DWORD src1_sel:WORD_1
.LBB344_1399:
	s_mov_b64 s[0:1], 0
.LBB344_1400:
	s_andn2_b64 vcc, exec, s[0:1]
	s_cbranch_vccnz .LBB344_1420
; %bb.1401:
	s_cmp_lt_i32 s10, 2
	s_cbranch_scc1 .LBB344_1405
; %bb.1402:
	s_cmp_lt_i32 s10, 3
	s_cbranch_scc1 .LBB344_1406
; %bb.1403:
	s_cmp_gt_i32 s10, 3
	s_cbranch_scc0 .LBB344_1407
; %bb.1404:
	global_load_dwordx2 v[8:9], v[2:3], off
	s_movk_i32 s0, 0x7fff
	s_waitcnt vmcnt(0)
	v_xor_b32_e32 v7, v8, v9
	v_ffbh_i32_e32 v1, v9
	v_ashrrev_i32_e32 v7, 31, v7
	v_add_u32_e32 v1, -1, v1
	v_add_u32_e32 v7, 32, v7
	v_min_u32_e32 v1, v1, v7
	v_lshlrev_b64 v[8:9], v1, v[8:9]
	v_min_u32_e32 v7, 1, v8
	v_or_b32_e32 v7, v9, v7
	v_cvt_f32_i32_e32 v7, v7
	v_sub_u32_e32 v1, 32, v1
	v_ldexp_f32 v1, v7, v1
	v_bfe_u32 v7, v1, 16, 1
	v_add3_u32 v1, v1, v7, s0
	v_lshrrev_b32_e32 v7, 16, v1
	s_mov_b64 s[0:1], 0
	s_branch .LBB344_1408
.LBB344_1405:
	s_mov_b64 s[0:1], -1
                                        ; implicit-def: $vgpr7
	s_branch .LBB344_1414
.LBB344_1406:
	s_mov_b64 s[0:1], -1
                                        ; implicit-def: $vgpr7
	s_branch .LBB344_1411
.LBB344_1407:
	s_mov_b64 s[0:1], -1
                                        ; implicit-def: $vgpr7
.LBB344_1408:
	s_andn2_b64 vcc, exec, s[0:1]
	s_cbranch_vccnz .LBB344_1410
; %bb.1409:
	global_load_dword v1, v[2:3], off
	s_movk_i32 s0, 0x7fff
	s_waitcnt vmcnt(0)
	v_cvt_f32_i32_e32 v1, v1
	v_bfe_u32 v7, v1, 16, 1
	v_add3_u32 v1, v1, v7, s0
	v_lshrrev_b32_e32 v7, 16, v1
.LBB344_1410:
	s_mov_b64 s[0:1], 0
.LBB344_1411:
	s_andn2_b64 vcc, exec, s[0:1]
	s_cbranch_vccnz .LBB344_1413
; %bb.1412:
	global_load_sshort v1, v[2:3], off
	s_movk_i32 s0, 0x7fff
	s_waitcnt vmcnt(0)
	v_cvt_f32_i32_e32 v1, v1
	v_bfe_u32 v7, v1, 16, 1
	v_add3_u32 v1, v1, v7, s0
	v_lshrrev_b32_e32 v7, 16, v1
.LBB344_1413:
	s_mov_b64 s[0:1], 0
.LBB344_1414:
	s_andn2_b64 vcc, exec, s[0:1]
	s_cbranch_vccnz .LBB344_1420
; %bb.1415:
	s_cmp_gt_i32 s10, 0
	s_cbranch_scc0 .LBB344_1417
; %bb.1416:
	global_load_sbyte v1, v[2:3], off
	s_movk_i32 s0, 0x7fff
	s_waitcnt vmcnt(0)
	v_cvt_f32_i32_e32 v1, v1
	v_bfe_u32 v7, v1, 16, 1
	v_add3_u32 v1, v1, v7, s0
	v_lshrrev_b32_e32 v7, 16, v1
	s_mov_b64 s[0:1], 0
	s_branch .LBB344_1418
.LBB344_1417:
	s_mov_b64 s[0:1], -1
                                        ; implicit-def: $vgpr7
.LBB344_1418:
	s_andn2_b64 vcc, exec, s[0:1]
	s_cbranch_vccnz .LBB344_1420
; %bb.1419:
	global_load_ubyte v1, v[2:3], off
	s_movk_i32 s0, 0x7fff
	s_waitcnt vmcnt(0)
	v_cvt_f32_ubyte0_e32 v1, v1
	v_bfe_u32 v2, v1, 16, 1
	v_add3_u32 v1, v1, v2, s0
	v_lshrrev_b32_e32 v7, 16, v1
.LBB344_1420:
.LBB344_1421:
	s_waitcnt vmcnt(0)
	v_lshlrev_b32_e32 v1, 16, v7
	v_cmp_o_f32_e32 vcc, v1, v1
	s_and_saveexec_b64 s[0:1], vcc
; %bb.1422:
	s_lshl_b32 s2, s44, 16
	v_mov_b32_e32 v2, s44
	v_cmp_lt_f32_e32 vcc, s2, v1
	s_lshl_b32 s2, s33, 16
	v_mov_b32_e32 v3, s33
	v_cndmask_b32_e32 v1, v2, v7, vcc
	v_lshlrev_b32_e32 v2, 16, v1
	v_cmp_gt_f32_e32 vcc, s2, v2
	s_nop 1
	v_cndmask_b32_e32 v7, v3, v1, vcc
; %bb.1423:
	s_or_b64 exec, exec, s[0:1]
	v_add_u32_e32 v0, s9, v0
	v_ashrrev_i32_e32 v1, 31, v0
	s_cmp_lt_i32 s10, 11
	v_lshl_add_u64 v[0:1], s[6:7], 0, v[0:1]
	s_cbranch_scc1 .LBB344_1430
; %bb.1424:
	s_cmp_gt_i32 s10, 25
	s_mov_b64 s[2:3], 0
	s_cbranch_scc0 .LBB344_1431
; %bb.1425:
	s_cmp_gt_i32 s10, 28
	s_cbranch_scc0 .LBB344_1432
; %bb.1426:
	s_cmp_gt_i32 s10, 43
	s_cbranch_scc0 .LBB344_1433
; %bb.1427:
	s_cmp_gt_i32 s10, 45
	s_cbranch_scc0 .LBB344_1435
; %bb.1428:
	s_cmp_eq_u32 s10, 46
	s_mov_b64 s[18:19], 0
	s_cbranch_scc0 .LBB344_1436
; %bb.1429:
	global_load_dword v8, v[0:1], off
	s_mov_b64 s[0:1], 0
	s_mov_b64 s[6:7], -1
	s_branch .LBB344_1437
.LBB344_1430:
	s_mov_b64 s[0:1], -1
	s_mov_b64 s[6:7], 0
                                        ; implicit-def: $vgpr8
	s_branch .LBB344_1503
.LBB344_1431:
	s_mov_b64 s[18:19], -1
	s_mov_b64 s[6:7], 0
	s_mov_b64 s[0:1], 0
                                        ; implicit-def: $vgpr8
	s_branch .LBB344_1466
.LBB344_1432:
	s_mov_b64 s[18:19], -1
	s_mov_b64 s[6:7], 0
	s_mov_b64 s[0:1], 0
                                        ; implicit-def: $vgpr8
	s_branch .LBB344_1447
.LBB344_1433:
	s_mov_b64 s[18:19], -1
	s_mov_b64 s[6:7], 0
	s_mov_b64 s[0:1], 0
                                        ; implicit-def: $vgpr8
	s_branch .LBB344_1442
.LBB344_1434:
	s_trap 2
	s_or_b64 s[16:17], s[16:17], exec
	s_cbranch_execz .LBB344_1371
	s_branch .LBB344_1372
.LBB344_1435:
	s_mov_b64 s[18:19], -1
	s_mov_b64 s[6:7], 0
	s_mov_b64 s[0:1], 0
                                        ; implicit-def: $vgpr8
	s_branch .LBB344_1437
.LBB344_1436:
	s_mov_b64 s[0:1], -1
                                        ; implicit-def: $vgpr8
	s_mov_b64 s[6:7], 0
.LBB344_1437:
	s_and_b64 vcc, exec, s[18:19]
	s_cbranch_vccz .LBB344_1441
; %bb.1438:
	s_cmp_eq_u32 s10, 44
	s_cbranch_scc0 .LBB344_1440
; %bb.1439:
	global_load_ubyte v2, v[0:1], off
	s_movk_i32 s6, 0xff
	v_mov_b32_e32 v3, 0x7f800001
	s_waitcnt vmcnt(1)
	v_mov_b32_e32 v8, 0x400000
	v_mov_b32_e32 v9, 0x7fc0
	s_mov_b64 s[0:1], 0
	s_waitcnt vmcnt(0)
	v_lshlrev_b32_e32 v10, 23, v2
	v_cmp_ne_u32_e32 vcc, s6, v2
	s_mov_b64 s[6:7], -1
	s_nop 0
	v_cndmask_b32_e32 v3, v3, v10, vcc
	v_cmp_ne_u32_e32 vcc, 0, v2
	s_nop 1
	v_cndmask_b32_e32 v2, v8, v3, vcc
	v_add_u32_e32 v3, 0x7fff, v2
	v_cmp_o_f32_e32 vcc, v2, v2
	s_nop 1
	v_cndmask_b32_sdwa v8, v9, v3, vcc dst_sel:DWORD dst_unused:UNUSED_PAD src0_sel:DWORD src1_sel:WORD_1
	s_branch .LBB344_1441
.LBB344_1440:
	s_mov_b64 s[0:1], -1
                                        ; implicit-def: $vgpr8
.LBB344_1441:
	s_mov_b64 s[18:19], 0
.LBB344_1442:
	s_and_b64 vcc, exec, s[18:19]
	s_cbranch_vccz .LBB344_1446
; %bb.1443:
	s_cmp_eq_u32 s10, 29
	s_cbranch_scc0 .LBB344_1445
; %bb.1444:
	global_load_dwordx2 v[2:3], v[0:1], off
	s_movk_i32 s6, 0x7fff
	s_mov_b64 s[0:1], 0
	s_mov_b64 s[18:19], 0
	s_waitcnt vmcnt(0)
	v_ffbh_u32_e32 v8, v3
	v_min_u32_e32 v8, 32, v8
	v_lshlrev_b64 v[2:3], v8, v[2:3]
	v_min_u32_e32 v2, 1, v2
	v_or_b32_e32 v2, v3, v2
	v_cvt_f32_u32_e32 v2, v2
	v_sub_u32_e32 v3, 32, v8
	v_ldexp_f32 v2, v2, v3
	v_bfe_u32 v3, v2, 16, 1
	v_add3_u32 v2, v2, v3, s6
	v_lshrrev_b32_e32 v8, 16, v2
	s_mov_b64 s[6:7], -1
	s_branch .LBB344_1447
.LBB344_1445:
	s_mov_b64 s[0:1], -1
                                        ; implicit-def: $vgpr8
.LBB344_1446:
	s_mov_b64 s[18:19], 0
.LBB344_1447:
	s_and_b64 vcc, exec, s[18:19]
	s_cbranch_vccz .LBB344_1465
; %bb.1448:
	s_cmp_lt_i32 s10, 27
	s_cbranch_scc1 .LBB344_1451
; %bb.1449:
	s_cmp_gt_i32 s10, 27
	s_cbranch_scc0 .LBB344_1452
; %bb.1450:
	global_load_dword v2, v[0:1], off
	s_movk_i32 s6, 0x7fff
	s_waitcnt vmcnt(0)
	v_cvt_f32_u32_e32 v2, v2
	v_bfe_u32 v3, v2, 16, 1
	v_add3_u32 v2, v2, v3, s6
	v_lshrrev_b32_e32 v8, 16, v2
	s_mov_b64 s[6:7], 0
	s_branch .LBB344_1453
.LBB344_1451:
	s_mov_b64 s[6:7], -1
                                        ; implicit-def: $vgpr8
	s_branch .LBB344_1456
.LBB344_1452:
	s_mov_b64 s[6:7], -1
                                        ; implicit-def: $vgpr8
.LBB344_1453:
	s_andn2_b64 vcc, exec, s[6:7]
	s_cbranch_vccnz .LBB344_1455
; %bb.1454:
	global_load_ushort v2, v[0:1], off
	s_movk_i32 s6, 0x7fff
	s_waitcnt vmcnt(0)
	v_cvt_f32_u32_e32 v2, v2
	v_bfe_u32 v3, v2, 16, 1
	v_add3_u32 v2, v2, v3, s6
	v_lshrrev_b32_e32 v8, 16, v2
.LBB344_1455:
	s_mov_b64 s[6:7], 0
.LBB344_1456:
	s_andn2_b64 vcc, exec, s[6:7]
	s_cbranch_vccnz .LBB344_1464
; %bb.1457:
	global_load_ubyte v2, v[0:1], off
	s_movk_i32 s6, 0x7f
	s_waitcnt vmcnt(0)
	v_cmp_lt_i16_e32 vcc, s6, v2
	s_mov_b64 s[6:7], 0
	s_and_saveexec_b64 s[18:19], vcc
	s_xor_b64 s[18:19], exec, s[18:19]
	s_cbranch_execz .LBB344_1478
; %bb.1458:
	s_movk_i32 s6, 0x80
	v_cmp_eq_u16_e32 vcc, s6, v2
	s_mov_b64 s[6:7], -1
	s_and_saveexec_b64 s[20:21], vcc
; %bb.1459:
	s_xor_b64 s[6:7], exec, -1
; %bb.1460:
	s_or_b64 exec, exec, s[20:21]
	s_and_b64 s[6:7], s[6:7], exec
	s_or_saveexec_b64 s[18:19], s[18:19]
	v_mov_b32_e32 v3, 0x7f800001
	s_xor_b64 exec, exec, s[18:19]
	s_cbranch_execnz .LBB344_1479
.LBB344_1461:
	s_or_b64 exec, exec, s[18:19]
	s_and_saveexec_b64 s[18:19], s[6:7]
	s_cbranch_execz .LBB344_1463
.LBB344_1462:
	v_lshlrev_b32_e32 v3, 24, v2
	v_and_b32_e32 v2, 0xffff, v2
	v_and_b32_e32 v8, 7, v2
	v_ffbh_u32_e32 v10, v8
	v_min_u32_e32 v10, 32, v10
	v_subrev_u32_e32 v11, 28, v10
	v_bfe_u32 v9, v2, 3, 4
	v_lshlrev_b32_e32 v2, v11, v2
	v_sub_u32_e32 v10, 29, v10
	v_and_b32_e32 v2, 7, v2
	v_cmp_eq_u32_e32 vcc, 0, v9
	v_and_b32_e32 v3, 0x80000000, v3
	s_nop 0
	v_cndmask_b32_e32 v9, v9, v10, vcc
	v_cndmask_b32_e32 v2, v8, v2, vcc
	v_mov_b32_e32 v8, 0x3b800000
	v_lshlrev_b32_e32 v2, 20, v2
	v_lshl_add_u32 v8, v9, 23, v8
	v_or3_b32 v3, v3, v8, v2
.LBB344_1463:
	s_or_b64 exec, exec, s[18:19]
	v_bfe_u32 v2, v3, 16, 1
	s_movk_i32 s6, 0x7fff
	v_add3_u32 v2, v3, v2, s6
	v_cmp_o_f32_e32 vcc, v3, v3
	v_mov_b32_e32 v3, 0x7fc0
	s_nop 0
	v_cndmask_b32_sdwa v8, v3, v2, vcc dst_sel:DWORD dst_unused:UNUSED_PAD src0_sel:DWORD src1_sel:WORD_1
.LBB344_1464:
	s_mov_b64 s[6:7], -1
.LBB344_1465:
	s_mov_b64 s[18:19], 0
.LBB344_1466:
	s_and_b64 vcc, exec, s[18:19]
	s_cbranch_vccz .LBB344_1499
; %bb.1467:
	s_cmp_gt_i32 s10, 22
	s_cbranch_scc0 .LBB344_1477
; %bb.1468:
	s_cmp_lt_i32 s10, 24
	s_cbranch_scc1 .LBB344_1480
; %bb.1469:
	s_cmp_gt_i32 s10, 24
	s_cbranch_scc0 .LBB344_1481
; %bb.1470:
	global_load_ubyte v2, v[0:1], off
	s_movk_i32 s2, 0x7f
	s_waitcnt vmcnt(0)
	v_cmp_lt_i16_e32 vcc, s2, v2
	s_mov_b64 s[2:3], 0
	s_and_saveexec_b64 s[6:7], vcc
	s_xor_b64 s[6:7], exec, s[6:7]
	s_cbranch_execz .LBB344_1493
; %bb.1471:
	s_movk_i32 s2, 0x80
	v_cmp_eq_u16_e32 vcc, s2, v2
	s_mov_b64 s[2:3], -1
	s_and_saveexec_b64 s[18:19], vcc
; %bb.1472:
	s_xor_b64 s[2:3], exec, -1
; %bb.1473:
	s_or_b64 exec, exec, s[18:19]
	s_and_b64 s[2:3], s[2:3], exec
	s_or_saveexec_b64 s[6:7], s[6:7]
	v_mov_b32_e32 v3, 0x7f800001
	s_xor_b64 exec, exec, s[6:7]
	s_cbranch_execnz .LBB344_1494
.LBB344_1474:
	s_or_b64 exec, exec, s[6:7]
	s_and_saveexec_b64 s[6:7], s[2:3]
	s_cbranch_execz .LBB344_1476
.LBB344_1475:
	v_lshlrev_b32_e32 v3, 24, v2
	v_and_b32_e32 v2, 0xffff, v2
	v_and_b32_e32 v8, 3, v2
	v_ffbh_u32_e32 v10, v8
	v_min_u32_e32 v10, 32, v10
	v_subrev_u32_e32 v11, 29, v10
	v_bfe_u32 v9, v2, 2, 5
	v_lshlrev_b32_e32 v2, v11, v2
	v_sub_u32_e32 v10, 30, v10
	v_and_b32_e32 v2, 3, v2
	v_cmp_eq_u32_e32 vcc, 0, v9
	v_and_b32_e32 v3, 0x80000000, v3
	s_nop 0
	v_cndmask_b32_e32 v9, v9, v10, vcc
	v_cndmask_b32_e32 v2, v8, v2, vcc
	v_mov_b32_e32 v8, 0x37800000
	v_lshlrev_b32_e32 v2, 21, v2
	v_lshl_add_u32 v8, v9, 23, v8
	v_or3_b32 v3, v3, v8, v2
.LBB344_1476:
	s_or_b64 exec, exec, s[6:7]
	v_bfe_u32 v2, v3, 16, 1
	s_movk_i32 s2, 0x7fff
	v_add3_u32 v2, v3, v2, s2
	v_cmp_o_f32_e32 vcc, v3, v3
	v_mov_b32_e32 v3, 0x7fc0
	s_mov_b64 s[2:3], 0
	v_cndmask_b32_sdwa v8, v3, v2, vcc dst_sel:DWORD dst_unused:UNUSED_PAD src0_sel:DWORD src1_sel:WORD_1
	s_branch .LBB344_1482
.LBB344_1477:
	s_mov_b64 s[2:3], -1
                                        ; implicit-def: $vgpr8
	s_branch .LBB344_1488
.LBB344_1478:
	s_or_saveexec_b64 s[18:19], s[18:19]
	v_mov_b32_e32 v3, 0x7f800001
	s_xor_b64 exec, exec, s[18:19]
	s_cbranch_execz .LBB344_1461
.LBB344_1479:
	v_cmp_ne_u16_e32 vcc, 0, v2
	s_andn2_b64 s[6:7], s[6:7], exec
	s_and_b64 s[20:21], vcc, exec
	v_mov_b32_e32 v3, 0
	s_or_b64 s[6:7], s[6:7], s[20:21]
	s_or_b64 exec, exec, s[18:19]
	s_and_saveexec_b64 s[18:19], s[6:7]
	s_cbranch_execnz .LBB344_1462
	s_branch .LBB344_1463
.LBB344_1480:
	s_mov_b64 s[2:3], -1
                                        ; implicit-def: $vgpr8
	s_branch .LBB344_1485
.LBB344_1481:
	s_mov_b64 s[2:3], -1
                                        ; implicit-def: $vgpr8
.LBB344_1482:
	s_and_b64 vcc, exec, s[2:3]
	s_cbranch_vccz .LBB344_1484
; %bb.1483:
	global_load_ubyte v2, v[0:1], off
	s_mov_b32 s2, 0x7f800000
	s_brev_b32 s3, 1
	s_movk_i32 s6, 0x7fff
	s_waitcnt vmcnt(0)
	v_lshlrev_b32_e32 v2, 24, v2
	v_and_b32_e32 v3, 0x7f000000, v2
	v_ffbh_u32_e32 v8, v3
	v_min_u32_e32 v8, 32, v8
	v_sub_u32_e64 v8, v8, 4 clamp
	v_lshlrev_b32_e32 v10, v8, v3
	v_lshlrev_b32_e32 v8, 23, v8
	v_lshrrev_b32_e32 v10, 4, v10
	v_add_u32_e32 v9, 0x1000000, v3
	v_sub_u32_e32 v8, v10, v8
	v_ashrrev_i32_e32 v9, 8, v9
	v_add_u32_e32 v8, 0x3c000000, v8
	v_and_or_b32 v8, v9, s2, v8
	v_cmp_ne_u32_e32 vcc, 0, v3
	s_nop 1
	v_cndmask_b32_e32 v3, 0, v8, vcc
	v_and_or_b32 v2, v2, s3, v3
	v_bfe_u32 v3, v3, 16, 1
	v_add3_u32 v3, v2, v3, s6
	v_cmp_o_f32_e32 vcc, v2, v2
	v_mov_b32_e32 v2, 0x7fc0
	s_nop 0
	v_cndmask_b32_sdwa v8, v2, v3, vcc dst_sel:DWORD dst_unused:UNUSED_PAD src0_sel:DWORD src1_sel:WORD_1
.LBB344_1484:
	s_mov_b64 s[2:3], 0
.LBB344_1485:
	s_andn2_b64 vcc, exec, s[2:3]
	s_cbranch_vccnz .LBB344_1487
; %bb.1486:
	global_load_ubyte v2, v[0:1], off
	s_movk_i32 s2, 0x7f00
	s_brev_b32 s3, 16
	s_brev_b32 s6, 1
	s_movk_i32 s7, 0x7fff
	s_waitcnt vmcnt(0)
	v_lshlrev_b16_e32 v3, 8, v2
	v_lshlrev_b32_e32 v2, 25, v2
	v_lshrrev_b32_e32 v8, 4, v2
	v_and_or_b32 v9, v3, s2, 0.5
	v_or_b32_e32 v8, 0x70000000, v8
	v_add_f32_e32 v9, -0.5, v9
	v_mul_f32_e32 v8, 0x7800000, v8
	v_cmp_gt_u32_e32 vcc, s3, v2
	v_bfe_i32 v3, v3, 0, 16
	s_nop 0
	v_cndmask_b32_e32 v2, v8, v9, vcc
	v_and_or_b32 v3, v3, s6, v2
	v_bfe_u32 v2, v2, 16, 1
	v_add3_u32 v2, v3, v2, s7
	v_cmp_o_f32_e32 vcc, v3, v3
	v_mov_b32_e32 v3, 0x7fc0
	s_nop 0
	v_cndmask_b32_sdwa v8, v3, v2, vcc dst_sel:DWORD dst_unused:UNUSED_PAD src0_sel:DWORD src1_sel:WORD_1
.LBB344_1487:
	s_mov_b64 s[2:3], 0
	s_mov_b64 s[6:7], -1
.LBB344_1488:
	s_andn2_b64 vcc, exec, s[2:3]
	s_mov_b64 s[2:3], 0
	s_cbranch_vccnz .LBB344_1499
; %bb.1489:
	s_cmp_gt_i32 s10, 14
	s_cbranch_scc0 .LBB344_1492
; %bb.1490:
	s_cmp_eq_u32 s10, 15
	s_cbranch_scc0 .LBB344_1495
; %bb.1491:
	global_load_ushort v8, v[0:1], off
	s_mov_b64 s[0:1], 0
	s_mov_b64 s[6:7], -1
	s_branch .LBB344_1496
.LBB344_1492:
	s_mov_b64 s[18:19], -1
                                        ; implicit-def: $vgpr8
	s_branch .LBB344_1497
.LBB344_1493:
	s_or_saveexec_b64 s[6:7], s[6:7]
	v_mov_b32_e32 v3, 0x7f800001
	s_xor_b64 exec, exec, s[6:7]
	s_cbranch_execz .LBB344_1474
.LBB344_1494:
	v_cmp_ne_u16_e32 vcc, 0, v2
	s_andn2_b64 s[2:3], s[2:3], exec
	s_and_b64 s[18:19], vcc, exec
	v_mov_b32_e32 v3, 0
	s_or_b64 s[2:3], s[2:3], s[18:19]
	s_or_b64 exec, exec, s[6:7]
	s_and_saveexec_b64 s[6:7], s[2:3]
	s_cbranch_execnz .LBB344_1475
	s_branch .LBB344_1476
.LBB344_1495:
	s_mov_b64 s[0:1], -1
                                        ; implicit-def: $vgpr8
.LBB344_1496:
	s_mov_b64 s[18:19], 0
.LBB344_1497:
	s_and_b64 vcc, exec, s[18:19]
	s_cbranch_vccz .LBB344_1499
; %bb.1498:
	s_cmp_lg_u32 s10, 11
	s_mov_b64 s[2:3], -1
	s_cselect_b64 s[0:1], -1, 0
.LBB344_1499:
	s_and_b64 vcc, exec, s[0:1]
	s_cbranch_vccnz .LBB344_2036
; %bb.1500:
	s_andn2_b64 vcc, exec, s[2:3]
	s_cbranch_vccnz .LBB344_1502
.LBB344_1501:
	global_load_ubyte v2, v[0:1], off
	s_mov_b64 s[6:7], -1
	s_waitcnt vmcnt(0)
	v_cmp_ne_u16_e32 vcc, 0, v2
	s_nop 1
	v_cndmask_b32_e64 v2, 0, 1.0, vcc
	v_lshrrev_b32_e32 v8, 16, v2
.LBB344_1502:
	s_mov_b64 s[0:1], 0
.LBB344_1503:
	s_and_b64 vcc, exec, s[0:1]
	s_cbranch_vccz .LBB344_1552
; %bb.1504:
	s_cmp_lt_i32 s10, 5
	s_cbranch_scc1 .LBB344_1509
; %bb.1505:
	s_cmp_lt_i32 s10, 8
	s_cbranch_scc1 .LBB344_1510
	;; [unrolled: 3-line block ×3, first 2 shown]
; %bb.1507:
	s_cmp_gt_i32 s10, 9
	s_cbranch_scc0 .LBB344_1512
; %bb.1508:
	global_load_dwordx2 v[2:3], v[0:1], off
	s_movk_i32 s0, 0x7fff
	s_waitcnt vmcnt(1)
	v_mov_b32_e32 v8, 0x7fc0
	s_waitcnt vmcnt(0)
	v_cvt_f32_f64_e32 v2, v[2:3]
	v_bfe_u32 v3, v2, 16, 1
	v_cmp_o_f32_e32 vcc, v2, v2
	v_add3_u32 v2, v2, v3, s0
	s_mov_b64 s[0:1], 0
	v_cndmask_b32_sdwa v8, v8, v2, vcc dst_sel:DWORD dst_unused:UNUSED_PAD src0_sel:DWORD src1_sel:WORD_1
	s_branch .LBB344_1513
.LBB344_1509:
	s_mov_b64 s[0:1], -1
                                        ; implicit-def: $vgpr8
	s_branch .LBB344_1531
.LBB344_1510:
	s_mov_b64 s[0:1], -1
                                        ; implicit-def: $vgpr8
	s_branch .LBB344_1519
.LBB344_1511:
	s_mov_b64 s[0:1], -1
                                        ; implicit-def: $vgpr8
	s_branch .LBB344_1516
.LBB344_1512:
	s_mov_b64 s[0:1], -1
                                        ; implicit-def: $vgpr8
.LBB344_1513:
	s_andn2_b64 vcc, exec, s[0:1]
	s_cbranch_vccnz .LBB344_1515
; %bb.1514:
	global_load_dword v2, v[0:1], off
	s_movk_i32 s0, 0x7fff
	v_mov_b32_e32 v3, 0x7fc0
	s_waitcnt vmcnt(0)
	v_bfe_u32 v8, v2, 16, 1
	v_cmp_o_f32_e32 vcc, v2, v2
	v_add3_u32 v2, v2, v8, s0
	s_nop 0
	v_cndmask_b32_sdwa v8, v3, v2, vcc dst_sel:DWORD dst_unused:UNUSED_PAD src0_sel:DWORD src1_sel:WORD_1
.LBB344_1515:
	s_mov_b64 s[0:1], 0
.LBB344_1516:
	s_andn2_b64 vcc, exec, s[0:1]
	s_cbranch_vccnz .LBB344_1518
; %bb.1517:
	global_load_dword v2, v[0:1], off
	s_movk_i32 s0, 0x7fff
	s_waitcnt vmcnt(1)
	v_mov_b32_e32 v8, 0x7fc0
	s_waitcnt vmcnt(0)
	v_cvt_f32_f16_e32 v3, v2
	v_cmp_o_f16_e32 vcc, v2, v2
	v_bfe_u32 v2, v3, 16, 1
	v_add3_u32 v2, v3, v2, s0
	v_cndmask_b32_sdwa v8, v8, v2, vcc dst_sel:DWORD dst_unused:UNUSED_PAD src0_sel:DWORD src1_sel:WORD_1
.LBB344_1518:
	s_mov_b64 s[0:1], 0
.LBB344_1519:
	s_andn2_b64 vcc, exec, s[0:1]
	s_cbranch_vccnz .LBB344_1530
; %bb.1520:
	s_cmp_lt_i32 s10, 6
	s_cbranch_scc1 .LBB344_1523
; %bb.1521:
	s_cmp_gt_i32 s10, 6
	s_cbranch_scc0 .LBB344_1524
; %bb.1522:
	global_load_dwordx2 v[2:3], v[0:1], off
	s_movk_i32 s0, 0x7fff
	s_waitcnt vmcnt(1)
	v_mov_b32_e32 v8, 0x7fc0
	s_waitcnt vmcnt(0)
	v_cvt_f32_f64_e32 v2, v[2:3]
	v_bfe_u32 v3, v2, 16, 1
	v_cmp_o_f32_e32 vcc, v2, v2
	v_add3_u32 v2, v2, v3, s0
	s_mov_b64 s[0:1], 0
	v_cndmask_b32_sdwa v8, v8, v2, vcc dst_sel:DWORD dst_unused:UNUSED_PAD src0_sel:DWORD src1_sel:WORD_1
	s_branch .LBB344_1525
.LBB344_1523:
	s_mov_b64 s[0:1], -1
                                        ; implicit-def: $vgpr8
	s_branch .LBB344_1528
.LBB344_1524:
	s_mov_b64 s[0:1], -1
                                        ; implicit-def: $vgpr8
.LBB344_1525:
	s_andn2_b64 vcc, exec, s[0:1]
	s_cbranch_vccnz .LBB344_1527
; %bb.1526:
	global_load_dword v2, v[0:1], off
	s_movk_i32 s0, 0x7fff
	v_mov_b32_e32 v3, 0x7fc0
	s_waitcnt vmcnt(0)
	v_bfe_u32 v8, v2, 16, 1
	v_cmp_o_f32_e32 vcc, v2, v2
	v_add3_u32 v2, v2, v8, s0
	s_nop 0
	v_cndmask_b32_sdwa v8, v3, v2, vcc dst_sel:DWORD dst_unused:UNUSED_PAD src0_sel:DWORD src1_sel:WORD_1
.LBB344_1527:
	s_mov_b64 s[0:1], 0
.LBB344_1528:
	s_andn2_b64 vcc, exec, s[0:1]
	s_cbranch_vccnz .LBB344_1530
; %bb.1529:
	global_load_ushort v2, v[0:1], off
	s_movk_i32 s0, 0x7fff
	s_waitcnt vmcnt(1)
	v_mov_b32_e32 v8, 0x7fc0
	s_waitcnt vmcnt(0)
	v_cvt_f32_f16_e32 v3, v2
	v_cmp_o_f16_e32 vcc, v2, v2
	v_bfe_u32 v2, v3, 16, 1
	v_add3_u32 v2, v3, v2, s0
	v_cndmask_b32_sdwa v8, v8, v2, vcc dst_sel:DWORD dst_unused:UNUSED_PAD src0_sel:DWORD src1_sel:WORD_1
.LBB344_1530:
	s_mov_b64 s[0:1], 0
.LBB344_1531:
	s_andn2_b64 vcc, exec, s[0:1]
	s_cbranch_vccnz .LBB344_1551
; %bb.1532:
	s_cmp_lt_i32 s10, 2
	s_cbranch_scc1 .LBB344_1536
; %bb.1533:
	s_cmp_lt_i32 s10, 3
	s_cbranch_scc1 .LBB344_1537
; %bb.1534:
	s_cmp_gt_i32 s10, 3
	s_cbranch_scc0 .LBB344_1538
; %bb.1535:
	global_load_dwordx2 v[2:3], v[0:1], off
	s_movk_i32 s0, 0x7fff
	s_waitcnt vmcnt(0)
	v_xor_b32_e32 v9, v2, v3
	v_ffbh_i32_e32 v8, v3
	v_ashrrev_i32_e32 v9, 31, v9
	v_add_u32_e32 v8, -1, v8
	v_add_u32_e32 v9, 32, v9
	v_min_u32_e32 v8, v8, v9
	v_lshlrev_b64 v[2:3], v8, v[2:3]
	v_min_u32_e32 v2, 1, v2
	v_or_b32_e32 v2, v3, v2
	v_cvt_f32_i32_e32 v2, v2
	v_sub_u32_e32 v3, 32, v8
	v_ldexp_f32 v2, v2, v3
	v_bfe_u32 v3, v2, 16, 1
	v_add3_u32 v2, v2, v3, s0
	v_lshrrev_b32_e32 v8, 16, v2
	s_mov_b64 s[0:1], 0
	s_branch .LBB344_1539
.LBB344_1536:
	s_mov_b64 s[0:1], -1
                                        ; implicit-def: $vgpr8
	s_branch .LBB344_1545
.LBB344_1537:
	s_mov_b64 s[0:1], -1
                                        ; implicit-def: $vgpr8
	s_branch .LBB344_1542
.LBB344_1538:
	s_mov_b64 s[0:1], -1
                                        ; implicit-def: $vgpr8
.LBB344_1539:
	s_andn2_b64 vcc, exec, s[0:1]
	s_cbranch_vccnz .LBB344_1541
; %bb.1540:
	global_load_dword v2, v[0:1], off
	s_movk_i32 s0, 0x7fff
	s_waitcnt vmcnt(0)
	v_cvt_f32_i32_e32 v2, v2
	v_bfe_u32 v3, v2, 16, 1
	v_add3_u32 v2, v2, v3, s0
	v_lshrrev_b32_e32 v8, 16, v2
.LBB344_1541:
	s_mov_b64 s[0:1], 0
.LBB344_1542:
	s_andn2_b64 vcc, exec, s[0:1]
	s_cbranch_vccnz .LBB344_1544
; %bb.1543:
	global_load_sshort v2, v[0:1], off
	s_movk_i32 s0, 0x7fff
	s_waitcnt vmcnt(0)
	v_cvt_f32_i32_e32 v2, v2
	v_bfe_u32 v3, v2, 16, 1
	v_add3_u32 v2, v2, v3, s0
	v_lshrrev_b32_e32 v8, 16, v2
.LBB344_1544:
	s_mov_b64 s[0:1], 0
.LBB344_1545:
	s_andn2_b64 vcc, exec, s[0:1]
	s_cbranch_vccnz .LBB344_1551
; %bb.1546:
	s_cmp_gt_i32 s10, 0
	s_cbranch_scc0 .LBB344_1548
; %bb.1547:
	global_load_sbyte v2, v[0:1], off
	s_movk_i32 s0, 0x7fff
	s_waitcnt vmcnt(0)
	v_cvt_f32_i32_e32 v2, v2
	v_bfe_u32 v3, v2, 16, 1
	v_add3_u32 v2, v2, v3, s0
	v_lshrrev_b32_e32 v8, 16, v2
	s_mov_b64 s[0:1], 0
	s_branch .LBB344_1549
.LBB344_1548:
	s_mov_b64 s[0:1], -1
                                        ; implicit-def: $vgpr8
.LBB344_1549:
	s_andn2_b64 vcc, exec, s[0:1]
	s_cbranch_vccnz .LBB344_1551
; %bb.1550:
	global_load_ubyte v0, v[0:1], off
	s_movk_i32 s0, 0x7fff
	s_waitcnt vmcnt(0)
	v_cvt_f32_ubyte0_e32 v0, v0
	v_bfe_u32 v1, v0, 16, 1
	v_add3_u32 v0, v0, v1, s0
	v_lshrrev_b32_e32 v8, 16, v0
.LBB344_1551:
	s_mov_b64 s[6:7], -1
.LBB344_1552:
	s_andn2_b64 vcc, exec, s[6:7]
	s_cbranch_vccnz .LBB344_1633
; %bb.1553:
	s_waitcnt vmcnt(0)
	v_lshlrev_b32_e32 v0, 16, v8
	v_cmp_o_f32_e32 vcc, v0, v0
	s_and_saveexec_b64 s[0:1], vcc
; %bb.1554:
	s_lshl_b32 s2, s44, 16
	v_mov_b32_e32 v1, s44
	v_cmp_lt_f32_e32 vcc, s2, v0
	s_lshl_b32 s2, s33, 16
	v_mov_b32_e32 v2, s33
	v_cndmask_b32_e32 v0, v1, v8, vcc
	v_lshlrev_b32_e32 v1, 16, v0
	v_cmp_gt_f32_e32 vcc, s2, v1
	s_nop 1
	v_cndmask_b32_e32 v8, v2, v0, vcc
; %bb.1555:
	s_or_b64 exec, exec, s[0:1]
	v_mul_lo_u32 v0, s8, v4
	v_ashrrev_i32_e32 v1, 31, v0
	s_and_b32 s20, s11, 0xff
	s_cmp_lt_i32 s20, 11
	v_lshl_add_u64 v[2:3], s[4:5], 0, v[0:1]
	s_cbranch_scc1 .LBB344_1679
; %bb.1556:
	s_and_b32 s9, 0xffff, s20
	s_mov_b64 s[10:11], -1
	s_mov_b64 s[2:3], 0
	s_cmp_gt_i32 s9, 25
	s_mov_b64 s[6:7], 0
	s_mov_b64 s[0:1], 0
	s_cbranch_scc0 .LBB344_1589
; %bb.1557:
	s_cmp_gt_i32 s9, 28
	s_cbranch_scc0 .LBB344_1572
; %bb.1558:
	s_cmp_gt_i32 s9, 43
	;; [unrolled: 3-line block ×3, first 2 shown]
	s_cbranch_scc0 .LBB344_1562
; %bb.1560:
	s_mov_b64 s[0:1], -1
	s_mov_b64 s[10:11], 0
	s_cmp_eq_u32 s9, 46
	s_cbranch_scc0 .LBB344_1562
; %bb.1561:
	v_and_b32_e32 v1, 0xffff, v5
	global_store_dword v[2:3], v1, off
	s_mov_b64 s[0:1], 0
	s_mov_b64 s[6:7], -1
.LBB344_1562:
	s_and_b64 vcc, exec, s[10:11]
	s_cbranch_vccz .LBB344_1567
; %bb.1563:
	s_cmp_eq_u32 s9, 44
	s_mov_b64 s[0:1], -1
	s_cbranch_scc0 .LBB344_1567
; %bb.1564:
	v_and_b32_e32 v4, 0xffff, v5
	v_bfe_u32 v1, v4, 7, 8
	s_movk_i32 s0, 0xff
	v_cmp_ne_u32_e32 vcc, s0, v1
	v_mov_b32_e32 v9, 0xff
	s_and_saveexec_b64 s[6:7], vcc
	s_cbranch_execz .LBB344_1566
; %bb.1565:
	v_lshlrev_b32_e32 v10, 16, v4
	s_mov_b32 s0, 0x3f0000
	v_lshrrev_b32_e32 v9, 7, v4
	v_and_b32_e32 v4, 64, v4
	v_and_or_b32 v1, v10, s0, v1
	v_cmp_ne_u32_e32 vcc, 0, v4
	v_cmp_ne_u32_e64 s[0:1], 0, v1
	s_and_b64 s[0:1], vcc, s[0:1]
	s_nop 0
	v_cndmask_b32_e64 v1, 0, 1, s[0:1]
	v_add_u32_e32 v9, v9, v1
.LBB344_1566:
	s_or_b64 exec, exec, s[6:7]
	s_mov_b64 s[0:1], 0
	s_mov_b64 s[6:7], -1
	global_store_byte v[2:3], v9, off
.LBB344_1567:
	s_mov_b64 s[10:11], 0
.LBB344_1568:
	s_and_b64 vcc, exec, s[10:11]
	s_cbranch_vccz .LBB344_1571
; %bb.1569:
	s_cmp_eq_u32 s9, 29
	s_mov_b64 s[0:1], -1
	s_cbranch_scc0 .LBB344_1571
; %bb.1570:
	v_lshlrev_b32_e32 v1, 16, v5
	v_trunc_f32_e32 v1, v1
	v_mul_f32_e32 v4, 0x2f800000, v1
	v_floor_f32_e32 v4, v4
	v_fmamk_f32 v1, v4, 0xcf800000, v1
	v_cvt_u32_f32_e32 v11, v4
	v_cvt_u32_f32_e32 v10, v1
	s_mov_b64 s[0:1], 0
	s_mov_b64 s[6:7], -1
	global_store_dwordx2 v[2:3], v[10:11], off
.LBB344_1571:
	s_mov_b64 s[10:11], 0
.LBB344_1572:
	s_and_b64 vcc, exec, s[10:11]
	s_cbranch_vccz .LBB344_1588
; %bb.1573:
	s_cmp_lt_i32 s9, 27
	s_mov_b64 s[6:7], -1
	s_cbranch_scc1 .LBB344_1579
; %bb.1574:
	s_cmp_gt_i32 s9, 27
	s_cbranch_scc0 .LBB344_1576
; %bb.1575:
	v_lshlrev_b32_e32 v1, 16, v5
	v_cvt_u32_f32_e32 v1, v1
	s_mov_b64 s[6:7], 0
	global_store_dword v[2:3], v1, off
.LBB344_1576:
	s_andn2_b64 vcc, exec, s[6:7]
	s_cbranch_vccnz .LBB344_1578
; %bb.1577:
	v_lshlrev_b32_e32 v1, 16, v5
	v_cvt_u32_f32_e32 v1, v1
	global_store_short v[2:3], v1, off
.LBB344_1578:
	s_mov_b64 s[6:7], 0
.LBB344_1579:
	s_andn2_b64 vcc, exec, s[6:7]
	s_cbranch_vccnz .LBB344_1587
; %bb.1580:
	v_lshlrev_b32_e32 v9, 16, v5
	v_and_b32_e32 v4, 0x7fffffff, v9
	s_mov_b32 s6, 0x43800000
	v_cmp_gt_u32_e32 vcc, s6, v4
	v_mov_b32_e32 v10, 0x80
	s_and_saveexec_b64 s[6:7], vcc
	s_cbranch_execz .LBB344_1586
; %bb.1581:
	s_mov_b32 s10, 0x3bffffff
	v_and_b32_e32 v1, 0xffff, v5
	v_cmp_lt_u32_e32 vcc, s10, v4
	s_mov_b64 s[10:11], 0
                                        ; implicit-def: $vgpr4
	s_and_saveexec_b64 s[18:19], vcc
	s_xor_b64 s[18:19], exec, s[18:19]
	s_cbranch_execz .LBB344_2037
; %bb.1582:
	v_bfe_u32 v4, v1, 4, 1
	s_mov_b32 s21, 0x487ffff
	v_add3_u32 v4, v9, v4, s21
	s_mov_b64 s[10:11], exec
	v_lshrrev_b32_e32 v4, 20, v4
                                        ; implicit-def: $vgpr9
	s_andn2_saveexec_b64 s[18:19], s[18:19]
	s_cbranch_execnz .LBB344_2038
.LBB344_1583:
	s_or_b64 exec, exec, s[18:19]
	v_mov_b32_e32 v10, 0
	s_and_saveexec_b64 s[18:19], s[10:11]
.LBB344_1584:
	v_lshrrev_b32_e32 v1, 8, v1
	s_movk_i32 s10, 0x80
	v_and_or_b32 v10, v1, s10, v4
.LBB344_1585:
	s_or_b64 exec, exec, s[18:19]
.LBB344_1586:
	s_or_b64 exec, exec, s[6:7]
	global_store_byte v[2:3], v10, off
.LBB344_1587:
	s_mov_b64 s[6:7], -1
.LBB344_1588:
	s_mov_b64 s[10:11], 0
.LBB344_1589:
	s_and_b64 vcc, exec, s[10:11]
	s_cbranch_vccz .LBB344_1629
; %bb.1590:
	s_cmp_gt_i32 s9, 22
	s_mov_b64 s[2:3], -1
	s_cbranch_scc0 .LBB344_1622
; %bb.1591:
	s_cmp_lt_i32 s9, 24
	s_cbranch_scc1 .LBB344_1611
; %bb.1592:
	s_cmp_gt_i32 s9, 24
	s_cbranch_scc0 .LBB344_1600
; %bb.1593:
	v_lshlrev_b32_e32 v9, 16, v5
	v_and_b32_e32 v4, 0x7fffffff, v9
	s_mov_b32 s2, 0x47800000
	v_cmp_gt_u32_e32 vcc, s2, v4
	v_mov_b32_e32 v10, 0x80
	s_and_saveexec_b64 s[2:3], vcc
	s_cbranch_execz .LBB344_1599
; %bb.1594:
	s_mov_b32 s6, 0x37ffffff
	v_and_b32_e32 v1, 0xffff, v5
	v_cmp_lt_u32_e32 vcc, s6, v4
	s_mov_b64 s[6:7], 0
                                        ; implicit-def: $vgpr4
	s_and_saveexec_b64 s[10:11], vcc
	s_xor_b64 s[10:11], exec, s[10:11]
	s_cbranch_execz .LBB344_2040
; %bb.1595:
	v_bfe_u32 v4, v1, 5, 1
	s_mov_b32 s18, 0x88fffff
	v_add3_u32 v4, v9, v4, s18
	s_mov_b64 s[6:7], exec
	v_lshrrev_b32_e32 v4, 21, v4
                                        ; implicit-def: $vgpr9
	s_andn2_saveexec_b64 s[10:11], s[10:11]
	s_cbranch_execnz .LBB344_2041
.LBB344_1596:
	s_or_b64 exec, exec, s[10:11]
	v_mov_b32_e32 v10, 0
	s_and_saveexec_b64 s[10:11], s[6:7]
.LBB344_1597:
	v_lshrrev_b32_e32 v1, 8, v1
	s_movk_i32 s6, 0x80
	v_and_or_b32 v10, v1, s6, v4
.LBB344_1598:
	s_or_b64 exec, exec, s[10:11]
.LBB344_1599:
	s_or_b64 exec, exec, s[2:3]
	s_mov_b64 s[2:3], 0
	global_store_byte v[2:3], v10, off
.LBB344_1600:
	s_and_b64 vcc, exec, s[2:3]
	s_cbranch_vccz .LBB344_1610
; %bb.1601:
	v_lshlrev_b32_e32 v9, 16, v5
	v_and_b32_e32 v10, 0x7fffffff, v9
	s_mov_b32 s2, 0x43f00000
	v_and_b32_e32 v1, 0xffff, v5
	v_cmp_gt_u32_e32 vcc, s2, v10
                                        ; implicit-def: $vgpr4
	s_and_saveexec_b64 s[2:3], vcc
	s_xor_b64 s[2:3], exec, s[2:3]
	s_cbranch_execz .LBB344_1607
; %bb.1602:
	s_mov_b32 s6, 0x3c7fffff
	v_cmp_lt_u32_e32 vcc, s6, v10
                                        ; implicit-def: $vgpr4
	s_and_saveexec_b64 s[6:7], vcc
	s_xor_b64 s[6:7], exec, s[6:7]
; %bb.1603:
	v_bfe_u32 v4, v1, 4, 1
	s_mov_b32 s10, 0x407ffff
	v_add3_u32 v4, v9, v4, s10
	v_lshrrev_b32_e32 v9, 20, v4
	v_and_b32_e32 v4, 0xff00000, v4
	s_mov_b32 s10, 0x7f00000
	v_mov_b32_e32 v10, 0x7e
	v_cmp_ne_u32_e32 vcc, s10, v4
	s_nop 1
	v_cndmask_b32_e32 v4, v10, v9, vcc
                                        ; implicit-def: $vgpr9
; %bb.1604:
	s_andn2_saveexec_b64 s[6:7], s[6:7]
; %bb.1605:
	s_mov_b32 s10, 0x46800000
	v_add_f32_e64 v4, |v9|, s10
; %bb.1606:
	s_or_b64 exec, exec, s[6:7]
                                        ; implicit-def: $vgpr10
.LBB344_1607:
	s_andn2_saveexec_b64 s[2:3], s[2:3]
; %bb.1608:
	s_mov_b32 s6, 0x7f800000
	v_mov_b32_e32 v4, 0x7e
	v_mov_b32_e32 v9, 0x7f
	v_cmp_lt_u32_e32 vcc, s6, v10
	s_nop 1
	v_cndmask_b32_e32 v4, v4, v9, vcc
; %bb.1609:
	s_or_b64 exec, exec, s[2:3]
	v_lshrrev_b32_e32 v1, 8, v1
	s_movk_i32 s2, 0x80
	v_and_or_b32 v1, v1, s2, v4
	global_store_byte v[2:3], v1, off
.LBB344_1610:
	s_mov_b64 s[2:3], 0
.LBB344_1611:
	s_andn2_b64 vcc, exec, s[2:3]
	s_cbranch_vccnz .LBB344_1621
; %bb.1612:
	v_lshlrev_b32_e32 v9, 16, v5
	v_and_b32_e32 v10, 0x7fffffff, v9
	s_mov_b32 s2, 0x47800000
	v_and_b32_e32 v1, 0xffff, v5
	v_cmp_gt_u32_e32 vcc, s2, v10
                                        ; implicit-def: $vgpr4
	s_and_saveexec_b64 s[2:3], vcc
	s_xor_b64 s[2:3], exec, s[2:3]
	s_cbranch_execz .LBB344_1618
; %bb.1613:
	s_mov_b32 s6, 0x387fffff
	v_cmp_lt_u32_e32 vcc, s6, v10
                                        ; implicit-def: $vgpr4
	s_and_saveexec_b64 s[6:7], vcc
	s_xor_b64 s[6:7], exec, s[6:7]
; %bb.1614:
	v_bfe_u32 v4, v1, 5, 1
	s_mov_b32 s10, 0x80fffff
	v_add3_u32 v4, v9, v4, s10
	v_lshrrev_b32_e32 v4, 21, v4
                                        ; implicit-def: $vgpr9
; %bb.1615:
	s_andn2_saveexec_b64 s[6:7], s[6:7]
; %bb.1616:
	s_mov_b32 s10, 0x43000000
	v_add_f32_e64 v4, |v9|, s10
; %bb.1617:
	s_or_b64 exec, exec, s[6:7]
                                        ; implicit-def: $vgpr10
.LBB344_1618:
	s_andn2_saveexec_b64 s[2:3], s[2:3]
; %bb.1619:
	s_mov_b32 s6, 0x7f800000
	v_mov_b32_e32 v4, 0x7c
	v_mov_b32_e32 v9, 0x7f
	v_cmp_lt_u32_e32 vcc, s6, v10
	s_nop 1
	v_cndmask_b32_e32 v4, v4, v9, vcc
; %bb.1620:
	s_or_b64 exec, exec, s[2:3]
	v_lshrrev_b32_e32 v1, 8, v1
	s_movk_i32 s2, 0x80
	v_and_or_b32 v1, v1, s2, v4
	global_store_byte v[2:3], v1, off
.LBB344_1621:
	s_mov_b64 s[2:3], 0
	s_mov_b64 s[6:7], -1
.LBB344_1622:
	s_andn2_b64 vcc, exec, s[2:3]
	s_mov_b64 s[2:3], 0
	s_cbranch_vccnz .LBB344_1629
; %bb.1623:
	s_cmp_gt_i32 s9, 14
	s_mov_b64 s[10:11], -1
	s_cbranch_scc0 .LBB344_1627
; %bb.1624:
	s_cmp_eq_u32 s9, 15
	s_mov_b64 s[0:1], -1
	s_cbranch_scc0 .LBB344_1626
; %bb.1625:
	global_store_short v[2:3], v5, off
	s_mov_b64 s[0:1], 0
	s_mov_b64 s[6:7], -1
.LBB344_1626:
	s_mov_b64 s[10:11], 0
.LBB344_1627:
	s_and_b64 vcc, exec, s[10:11]
	s_cbranch_vccz .LBB344_1629
; %bb.1628:
	s_cmp_lg_u32 s9, 11
	s_mov_b64 s[2:3], -1
	s_cselect_b64 s[0:1], -1, 0
.LBB344_1629:
	s_and_b64 vcc, exec, s[0:1]
	s_cbranch_vccnz .LBB344_2039
; %bb.1630:
	s_andn2_b64 vcc, exec, s[2:3]
	s_cbranch_vccnz .LBB344_1632
.LBB344_1631:
	v_and_b32_e32 v1, 0x7fff, v5
	v_cmp_ne_u16_e32 vcc, 0, v1
	s_mov_b64 s[6:7], -1
	s_nop 0
	v_cndmask_b32_e64 v1, 0, 1, vcc
	global_store_byte v[2:3], v1, off
.LBB344_1632:
	s_mov_b64 s[0:1], 0
	s_branch .LBB344_1680
.LBB344_1633:
	s_mov_b64 s[0:1], 0
                                        ; implicit-def: $sgpr20
                                        ; implicit-def: $vgpr0_vgpr1
                                        ; implicit-def: $vgpr8
.LBB344_1634:
	s_mov_b64 s[2:3], 0
.LBB344_1635:
	s_andn2_b64 s[4:5], s[14:15], exec
	s_and_b64 s[6:7], s[16:17], exec
	s_and_b64 s[0:1], s[0:1], exec
	;; [unrolled: 1-line block ×3, first 2 shown]
	s_or_b64 s[14:15], s[4:5], s[6:7]
.LBB344_1636:
	s_or_b64 exec, exec, s[12:13]
	s_and_saveexec_b64 s[4:5], s[14:15]
	s_cbranch_execz .LBB344_1639
; %bb.1637:
	; divergent unreachable
	s_or_b64 exec, exec, s[4:5]
	s_and_saveexec_b64 s[4:5], s[2:3]
	s_xor_b64 s[2:3], exec, s[4:5]
	s_cbranch_execnz .LBB344_1640
.LBB344_1638:
	s_or_b64 exec, exec, s[2:3]
	s_and_saveexec_b64 s[2:3], s[0:1]
	s_cbranch_execnz .LBB344_1641
	s_branch .LBB344_1678
.LBB344_1639:
	s_or_b64 exec, exec, s[4:5]
	s_and_saveexec_b64 s[4:5], s[2:3]
	s_xor_b64 s[2:3], exec, s[4:5]
	s_cbranch_execz .LBB344_1638
.LBB344_1640:
	s_waitcnt vmcnt(0)
	v_and_b32_e32 v2, 0x7fff, v8
	v_cmp_ne_u16_e32 vcc, 0, v2
	s_nop 1
	v_cndmask_b32_e64 v2, 0, 1, vcc
	global_store_byte v[0:1], v2, off
	s_or_b64 exec, exec, s[2:3]
	s_and_saveexec_b64 s[2:3], s[0:1]
	s_cbranch_execz .LBB344_1678
.LBB344_1641:
	s_sext_i32_i16 s2, s20
	s_cmp_lt_i32 s2, 5
	s_mov_b64 s[0:1], -1
	s_cbranch_scc1 .LBB344_1662
; %bb.1642:
	s_cmp_lt_i32 s2, 8
	s_cbranch_scc1 .LBB344_1652
; %bb.1643:
	s_cmp_lt_i32 s2, 9
	s_cbranch_scc1 .LBB344_1649
; %bb.1644:
	s_cmp_gt_i32 s2, 9
	s_cbranch_scc0 .LBB344_1646
; %bb.1645:
	s_waitcnt vmcnt(0)
	v_lshlrev_b32_e32 v2, 16, v8
	v_mov_b32_e32 v4, 0
	v_cvt_f64_f32_e32 v[2:3], v2
	v_mov_b32_e32 v5, v4
	global_store_dwordx4 v[0:1], v[2:5], off
	s_mov_b64 s[0:1], 0
.LBB344_1646:
	s_andn2_b64 vcc, exec, s[0:1]
	s_cbranch_vccnz .LBB344_1648
; %bb.1647:
	s_waitcnt vmcnt(0)
	v_lshlrev_b32_e32 v2, 16, v8
	v_mov_b32_e32 v3, 0
	global_store_dwordx2 v[0:1], v[2:3], off
.LBB344_1648:
	s_mov_b64 s[0:1], 0
.LBB344_1649:
	s_andn2_b64 vcc, exec, s[0:1]
	s_cbranch_vccnz .LBB344_1651
; %bb.1650:
	s_waitcnt vmcnt(0)
	v_lshlrev_b32_e32 v2, 16, v8
	v_cvt_f16_f32_e32 v2, v2
	global_store_dword v[0:1], v2, off
.LBB344_1651:
	s_mov_b64 s[0:1], 0
.LBB344_1652:
	s_andn2_b64 vcc, exec, s[0:1]
	s_cbranch_vccnz .LBB344_1661
; %bb.1653:
	s_sext_i32_i16 s2, s20
	s_cmp_lt_i32 s2, 6
	s_mov_b64 s[0:1], -1
	s_cbranch_scc1 .LBB344_1659
; %bb.1654:
	s_cmp_gt_i32 s2, 6
	s_cbranch_scc0 .LBB344_1656
; %bb.1655:
	s_waitcnt vmcnt(0)
	v_lshlrev_b32_e32 v2, 16, v8
	v_cvt_f64_f32_e32 v[2:3], v2
	global_store_dwordx2 v[0:1], v[2:3], off
	s_mov_b64 s[0:1], 0
.LBB344_1656:
	s_andn2_b64 vcc, exec, s[0:1]
	s_cbranch_vccnz .LBB344_1658
; %bb.1657:
	s_waitcnt vmcnt(0)
	v_lshlrev_b32_e32 v2, 16, v8
	global_store_dword v[0:1], v2, off
.LBB344_1658:
	s_mov_b64 s[0:1], 0
.LBB344_1659:
	s_andn2_b64 vcc, exec, s[0:1]
	s_cbranch_vccnz .LBB344_1661
; %bb.1660:
	s_waitcnt vmcnt(0)
	v_lshlrev_b32_e32 v2, 16, v8
	v_cvt_f16_f32_e32 v2, v2
	global_store_short v[0:1], v2, off
.LBB344_1661:
	s_mov_b64 s[0:1], 0
.LBB344_1662:
	s_andn2_b64 vcc, exec, s[0:1]
	s_cbranch_vccnz .LBB344_1678
; %bb.1663:
	s_sext_i32_i16 s2, s20
	s_cmp_lt_i32 s2, 2
	s_mov_b64 s[0:1], -1
	s_cbranch_scc1 .LBB344_1673
; %bb.1664:
	s_cmp_lt_i32 s2, 3
	s_cbranch_scc1 .LBB344_1670
; %bb.1665:
	s_cmp_gt_i32 s2, 3
	s_cbranch_scc0 .LBB344_1667
; %bb.1666:
	s_waitcnt vmcnt(0)
	v_lshlrev_b32_e32 v2, 16, v8
	v_trunc_f32_e32 v2, v2
	s_mov_b32 s0, 0x2f800000
	v_mul_f32_e64 v3, |v2|, s0
	v_floor_f32_e32 v3, v3
	s_mov_b32 s0, 0xcf800000
	v_cvt_u32_f32_e32 v4, v3
	v_fma_f32 v3, v3, s0, |v2|
	v_cvt_u32_f32_e32 v3, v3
	v_ashrrev_i32_e32 v5, 31, v2
	v_xor_b32_e32 v4, v4, v5
	s_mov_b64 s[0:1], 0
	v_xor_b32_e32 v2, v3, v5
	v_sub_co_u32_e32 v2, vcc, v2, v5
	s_nop 1
	v_subb_co_u32_e32 v3, vcc, v4, v5, vcc
	global_store_dwordx2 v[0:1], v[2:3], off
.LBB344_1667:
	s_andn2_b64 vcc, exec, s[0:1]
	s_cbranch_vccnz .LBB344_1669
; %bb.1668:
	s_waitcnt vmcnt(0)
	v_lshlrev_b32_e32 v2, 16, v8
	v_cvt_i32_f32_e32 v2, v2
	global_store_dword v[0:1], v2, off
.LBB344_1669:
	s_mov_b64 s[0:1], 0
.LBB344_1670:
	s_andn2_b64 vcc, exec, s[0:1]
	s_cbranch_vccnz .LBB344_1672
; %bb.1671:
	s_waitcnt vmcnt(0)
	v_lshlrev_b32_e32 v2, 16, v8
	v_cvt_i32_f32_e32 v2, v2
	global_store_short v[0:1], v2, off
.LBB344_1672:
	s_mov_b64 s[0:1], 0
.LBB344_1673:
	s_andn2_b64 vcc, exec, s[0:1]
	s_cbranch_vccnz .LBB344_1678
; %bb.1674:
	s_sext_i32_i16 s2, s20
	s_mov_b64 s[0:1], -1
	s_cmp_gt_i32 s2, 0
	s_waitcnt vmcnt(0)
	v_lshlrev_b32_e32 v2, 16, v8
	s_cbranch_scc0 .LBB344_1676
; %bb.1675:
	v_cvt_i32_f32_e32 v3, v2
	s_mov_b64 s[0:1], 0
	global_store_byte v[0:1], v3, off
.LBB344_1676:
	s_andn2_b64 vcc, exec, s[0:1]
	s_cbranch_vccnz .LBB344_1678
; %bb.1677:
	v_trunc_f32_e32 v2, v2
	s_mov_b32 s0, 0x2f800000
	v_mul_f32_e64 v3, |v2|, s0
	v_floor_f32_e32 v3, v3
	s_mov_b32 s0, 0xcf800000
	v_fma_f32 v3, v3, s0, |v2|
	v_cvt_u32_f32_e32 v3, v3
	v_ashrrev_i32_e32 v2, 31, v2
	v_xor_b32_e32 v3, v3, v2
	v_sub_u32_e32 v2, v3, v2
	global_store_byte v[0:1], v2, off
	s_endpgm
.LBB344_1678:
	s_endpgm
.LBB344_1679:
	s_mov_b64 s[0:1], -1
	s_mov_b64 s[6:7], 0
.LBB344_1680:
	s_and_b64 vcc, exec, s[0:1]
	s_cbranch_vccz .LBB344_1719
; %bb.1681:
	s_and_b32 s2, 0xffff, s20
	s_cmp_lt_i32 s2, 5
	s_mov_b64 s[0:1], -1
	s_cbranch_scc1 .LBB344_1702
; %bb.1682:
	s_cmp_lt_i32 s2, 8
	s_cbranch_scc1 .LBB344_1692
; %bb.1683:
	s_cmp_lt_i32 s2, 9
	s_cbranch_scc1 .LBB344_1689
; %bb.1684:
	s_cmp_gt_i32 s2, 9
	s_cbranch_scc0 .LBB344_1686
; %bb.1685:
	v_lshlrev_b32_e32 v1, 16, v5
	v_mov_b32_e32 v12, 0
	v_cvt_f64_f32_e32 v[10:11], v1
	v_mov_b32_e32 v13, v12
	global_store_dwordx4 v[2:3], v[10:13], off
	s_mov_b64 s[0:1], 0
.LBB344_1686:
	s_andn2_b64 vcc, exec, s[0:1]
	s_cbranch_vccnz .LBB344_1688
; %bb.1687:
	v_lshlrev_b32_e32 v10, 16, v5
	v_mov_b32_e32 v11, 0
	global_store_dwordx2 v[2:3], v[10:11], off
.LBB344_1688:
	s_mov_b64 s[0:1], 0
.LBB344_1689:
	s_andn2_b64 vcc, exec, s[0:1]
	s_cbranch_vccnz .LBB344_1691
; %bb.1690:
	v_lshlrev_b32_e32 v1, 16, v5
	v_cvt_f16_f32_e32 v1, v1
	global_store_dword v[2:3], v1, off
.LBB344_1691:
	s_mov_b64 s[0:1], 0
.LBB344_1692:
	s_andn2_b64 vcc, exec, s[0:1]
	s_cbranch_vccnz .LBB344_1701
; %bb.1693:
	s_cmp_lt_i32 s2, 6
	s_mov_b64 s[0:1], -1
	s_cbranch_scc1 .LBB344_1699
; %bb.1694:
	s_cmp_gt_i32 s2, 6
	s_cbranch_scc0 .LBB344_1696
; %bb.1695:
	v_lshlrev_b32_e32 v1, 16, v5
	v_cvt_f64_f32_e32 v[10:11], v1
	global_store_dwordx2 v[2:3], v[10:11], off
	s_mov_b64 s[0:1], 0
.LBB344_1696:
	s_andn2_b64 vcc, exec, s[0:1]
	s_cbranch_vccnz .LBB344_1698
; %bb.1697:
	v_lshlrev_b32_e32 v1, 16, v5
	global_store_dword v[2:3], v1, off
.LBB344_1698:
	s_mov_b64 s[0:1], 0
.LBB344_1699:
	s_andn2_b64 vcc, exec, s[0:1]
	s_cbranch_vccnz .LBB344_1701
; %bb.1700:
	v_lshlrev_b32_e32 v1, 16, v5
	v_cvt_f16_f32_e32 v1, v1
	global_store_short v[2:3], v1, off
.LBB344_1701:
	s_mov_b64 s[0:1], 0
.LBB344_1702:
	s_andn2_b64 vcc, exec, s[0:1]
	s_cbranch_vccnz .LBB344_1718
; %bb.1703:
	s_cmp_lt_i32 s2, 2
	s_mov_b64 s[0:1], -1
	s_cbranch_scc1 .LBB344_1713
; %bb.1704:
	s_cmp_lt_i32 s2, 3
	s_cbranch_scc1 .LBB344_1710
; %bb.1705:
	s_cmp_gt_i32 s2, 3
	s_cbranch_scc0 .LBB344_1707
; %bb.1706:
	v_lshlrev_b32_e32 v1, 16, v5
	v_trunc_f32_e32 v1, v1
	s_mov_b32 s0, 0x2f800000
	v_mul_f32_e64 v4, |v1|, s0
	v_floor_f32_e32 v4, v4
	s_mov_b32 s0, 0xcf800000
	v_cvt_u32_f32_e32 v9, v4
	v_fma_f32 v4, v4, s0, |v1|
	v_cvt_u32_f32_e32 v4, v4
	v_ashrrev_i32_e32 v1, 31, v1
	v_xor_b32_e32 v9, v9, v1
	s_mov_b64 s[0:1], 0
	v_xor_b32_e32 v4, v4, v1
	v_sub_co_u32_e32 v10, vcc, v4, v1
	s_nop 1
	v_subb_co_u32_e32 v11, vcc, v9, v1, vcc
	global_store_dwordx2 v[2:3], v[10:11], off
.LBB344_1707:
	s_andn2_b64 vcc, exec, s[0:1]
	s_cbranch_vccnz .LBB344_1709
; %bb.1708:
	v_lshlrev_b32_e32 v1, 16, v5
	v_cvt_i32_f32_e32 v1, v1
	global_store_dword v[2:3], v1, off
.LBB344_1709:
	s_mov_b64 s[0:1], 0
.LBB344_1710:
	s_andn2_b64 vcc, exec, s[0:1]
	s_cbranch_vccnz .LBB344_1712
; %bb.1711:
	v_lshlrev_b32_e32 v1, 16, v5
	v_cvt_i32_f32_e32 v1, v1
	global_store_short v[2:3], v1, off
.LBB344_1712:
	s_mov_b64 s[0:1], 0
.LBB344_1713:
	s_andn2_b64 vcc, exec, s[0:1]
	s_cbranch_vccnz .LBB344_1718
; %bb.1714:
	s_mov_b64 s[0:1], -1
	s_cmp_gt_i32 s2, 0
	v_lshlrev_b32_e32 v1, 16, v5
	s_cbranch_scc0 .LBB344_1716
; %bb.1715:
	v_cvt_i32_f32_e32 v4, v1
	s_mov_b64 s[0:1], 0
	global_store_byte v[2:3], v4, off
.LBB344_1716:
	s_andn2_b64 vcc, exec, s[0:1]
	s_cbranch_vccnz .LBB344_1718
; %bb.1717:
	v_trunc_f32_e32 v1, v1
	s_mov_b32 s0, 0x2f800000
	v_mul_f32_e64 v4, |v1|, s0
	v_floor_f32_e32 v4, v4
	s_mov_b32 s0, 0xcf800000
	v_fma_f32 v4, v4, s0, |v1|
	v_cvt_u32_f32_e32 v4, v4
	v_ashrrev_i32_e32 v1, 31, v1
	v_xor_b32_e32 v4, v4, v1
	v_sub_u32_e32 v1, v4, v1
	global_store_byte v[2:3], v1, off
.LBB344_1718:
	s_mov_b64 s[6:7], -1
.LBB344_1719:
	s_andn2_b64 vcc, exec, s[6:7]
	s_cbranch_vccnz .LBB344_2034
; %bb.1720:
	s_lshl_b32 s18, s8, 7
	v_add_u32_e32 v0, s18, v0
	v_ashrrev_i32_e32 v1, 31, v0
	s_cmp_lt_i32 s20, 11
	v_lshl_add_u64 v[2:3], s[4:5], 0, v[0:1]
	s_cbranch_scc1 .LBB344_1798
; %bb.1721:
	s_and_b32 s19, 0xffff, s20
	s_mov_b64 s[8:9], -1
	s_mov_b64 s[2:3], 0
	s_cmp_gt_i32 s19, 25
	s_mov_b64 s[6:7], 0
	s_mov_b64 s[0:1], 0
	s_cbranch_scc0 .LBB344_1754
; %bb.1722:
	s_cmp_gt_i32 s19, 28
	s_cbranch_scc0 .LBB344_1737
; %bb.1723:
	s_cmp_gt_i32 s19, 43
	;; [unrolled: 3-line block ×3, first 2 shown]
	s_cbranch_scc0 .LBB344_1727
; %bb.1725:
	s_mov_b64 s[0:1], -1
	s_mov_b64 s[8:9], 0
	s_cmp_eq_u32 s19, 46
	s_cbranch_scc0 .LBB344_1727
; %bb.1726:
	v_and_b32_e32 v1, 0xffff, v6
	global_store_dword v[2:3], v1, off
	s_mov_b64 s[0:1], 0
	s_mov_b64 s[6:7], -1
.LBB344_1727:
	s_and_b64 vcc, exec, s[8:9]
	s_cbranch_vccz .LBB344_1732
; %bb.1728:
	s_cmp_eq_u32 s19, 44
	s_mov_b64 s[0:1], -1
	s_cbranch_scc0 .LBB344_1732
; %bb.1729:
	v_and_b32_e32 v4, 0xffff, v6
	v_bfe_u32 v1, v4, 7, 8
	s_movk_i32 s0, 0xff
	v_cmp_ne_u32_e32 vcc, s0, v1
	v_mov_b32_e32 v5, 0xff
	s_and_saveexec_b64 s[6:7], vcc
	s_cbranch_execz .LBB344_1731
; %bb.1730:
	v_lshlrev_b32_e32 v9, 16, v4
	s_mov_b32 s0, 0x3f0000
	v_lshrrev_b32_e32 v5, 7, v4
	v_and_b32_e32 v4, 64, v4
	v_and_or_b32 v1, v9, s0, v1
	v_cmp_ne_u32_e32 vcc, 0, v4
	v_cmp_ne_u32_e64 s[0:1], 0, v1
	s_and_b64 s[0:1], vcc, s[0:1]
	s_nop 0
	v_cndmask_b32_e64 v1, 0, 1, s[0:1]
	v_add_u32_e32 v5, v5, v1
.LBB344_1731:
	s_or_b64 exec, exec, s[6:7]
	s_mov_b64 s[0:1], 0
	s_mov_b64 s[6:7], -1
	global_store_byte v[2:3], v5, off
.LBB344_1732:
	s_mov_b64 s[8:9], 0
.LBB344_1733:
	s_and_b64 vcc, exec, s[8:9]
	s_cbranch_vccz .LBB344_1736
; %bb.1734:
	s_cmp_eq_u32 s19, 29
	s_mov_b64 s[0:1], -1
	s_cbranch_scc0 .LBB344_1736
; %bb.1735:
	v_lshlrev_b32_e32 v1, 16, v6
	v_trunc_f32_e32 v1, v1
	v_mul_f32_e32 v4, 0x2f800000, v1
	v_floor_f32_e32 v4, v4
	v_fmamk_f32 v1, v4, 0xcf800000, v1
	v_cvt_u32_f32_e32 v5, v4
	v_cvt_u32_f32_e32 v4, v1
	s_mov_b64 s[0:1], 0
	s_mov_b64 s[6:7], -1
	global_store_dwordx2 v[2:3], v[4:5], off
.LBB344_1736:
	s_mov_b64 s[8:9], 0
.LBB344_1737:
	s_and_b64 vcc, exec, s[8:9]
	s_cbranch_vccz .LBB344_1753
; %bb.1738:
	s_cmp_lt_i32 s19, 27
	s_mov_b64 s[6:7], -1
	s_cbranch_scc1 .LBB344_1744
; %bb.1739:
	s_cmp_gt_i32 s19, 27
	s_cbranch_scc0 .LBB344_1741
; %bb.1740:
	v_lshlrev_b32_e32 v1, 16, v6
	v_cvt_u32_f32_e32 v1, v1
	s_mov_b64 s[6:7], 0
	global_store_dword v[2:3], v1, off
.LBB344_1741:
	s_andn2_b64 vcc, exec, s[6:7]
	s_cbranch_vccnz .LBB344_1743
; %bb.1742:
	v_lshlrev_b32_e32 v1, 16, v6
	v_cvt_u32_f32_e32 v1, v1
	global_store_short v[2:3], v1, off
.LBB344_1743:
	s_mov_b64 s[6:7], 0
.LBB344_1744:
	s_andn2_b64 vcc, exec, s[6:7]
	s_cbranch_vccnz .LBB344_1752
; %bb.1745:
	v_lshlrev_b32_e32 v5, 16, v6
	v_and_b32_e32 v4, 0x7fffffff, v5
	s_mov_b32 s6, 0x43800000
	v_cmp_gt_u32_e32 vcc, s6, v4
	v_mov_b32_e32 v9, 0x80
	s_and_saveexec_b64 s[6:7], vcc
	s_cbranch_execz .LBB344_1751
; %bb.1746:
	s_mov_b32 s8, 0x3bffffff
	v_and_b32_e32 v1, 0xffff, v6
	v_cmp_lt_u32_e32 vcc, s8, v4
	s_mov_b64 s[8:9], 0
                                        ; implicit-def: $vgpr4
	s_and_saveexec_b64 s[10:11], vcc
	s_xor_b64 s[10:11], exec, s[10:11]
	s_cbranch_execz .LBB344_2042
; %bb.1747:
	v_bfe_u32 v4, v1, 4, 1
	s_mov_b32 s21, 0x487ffff
	v_add3_u32 v4, v5, v4, s21
	s_mov_b64 s[8:9], exec
	v_lshrrev_b32_e32 v4, 20, v4
                                        ; implicit-def: $vgpr5
	s_andn2_saveexec_b64 s[10:11], s[10:11]
	s_cbranch_execnz .LBB344_2043
.LBB344_1748:
	s_or_b64 exec, exec, s[10:11]
	v_mov_b32_e32 v9, 0
	s_and_saveexec_b64 s[10:11], s[8:9]
.LBB344_1749:
	v_lshrrev_b32_e32 v1, 8, v1
	s_movk_i32 s8, 0x80
	v_and_or_b32 v9, v1, s8, v4
.LBB344_1750:
	s_or_b64 exec, exec, s[10:11]
.LBB344_1751:
	s_or_b64 exec, exec, s[6:7]
	global_store_byte v[2:3], v9, off
.LBB344_1752:
	s_mov_b64 s[6:7], -1
.LBB344_1753:
	s_mov_b64 s[8:9], 0
.LBB344_1754:
	s_and_b64 vcc, exec, s[8:9]
	s_cbranch_vccz .LBB344_1794
; %bb.1755:
	s_cmp_gt_i32 s19, 22
	s_mov_b64 s[2:3], -1
	s_cbranch_scc0 .LBB344_1787
; %bb.1756:
	s_cmp_lt_i32 s19, 24
	s_cbranch_scc1 .LBB344_1776
; %bb.1757:
	s_cmp_gt_i32 s19, 24
	s_cbranch_scc0 .LBB344_1765
; %bb.1758:
	v_lshlrev_b32_e32 v5, 16, v6
	v_and_b32_e32 v4, 0x7fffffff, v5
	s_mov_b32 s2, 0x47800000
	v_cmp_gt_u32_e32 vcc, s2, v4
	v_mov_b32_e32 v9, 0x80
	s_and_saveexec_b64 s[2:3], vcc
	s_cbranch_execz .LBB344_1764
; %bb.1759:
	s_mov_b32 s6, 0x37ffffff
	v_and_b32_e32 v1, 0xffff, v6
	v_cmp_lt_u32_e32 vcc, s6, v4
	s_mov_b64 s[6:7], 0
                                        ; implicit-def: $vgpr4
	s_and_saveexec_b64 s[8:9], vcc
	s_xor_b64 s[8:9], exec, s[8:9]
	s_cbranch_execz .LBB344_2045
; %bb.1760:
	v_bfe_u32 v4, v1, 5, 1
	s_mov_b32 s10, 0x88fffff
	v_add3_u32 v4, v5, v4, s10
	s_mov_b64 s[6:7], exec
	v_lshrrev_b32_e32 v4, 21, v4
                                        ; implicit-def: $vgpr5
	s_andn2_saveexec_b64 s[8:9], s[8:9]
	s_cbranch_execnz .LBB344_2046
.LBB344_1761:
	s_or_b64 exec, exec, s[8:9]
	v_mov_b32_e32 v9, 0
	s_and_saveexec_b64 s[8:9], s[6:7]
.LBB344_1762:
	v_lshrrev_b32_e32 v1, 8, v1
	s_movk_i32 s6, 0x80
	v_and_or_b32 v9, v1, s6, v4
.LBB344_1763:
	s_or_b64 exec, exec, s[8:9]
.LBB344_1764:
	s_or_b64 exec, exec, s[2:3]
	s_mov_b64 s[2:3], 0
	global_store_byte v[2:3], v9, off
.LBB344_1765:
	s_and_b64 vcc, exec, s[2:3]
	s_cbranch_vccz .LBB344_1775
; %bb.1766:
	v_lshlrev_b32_e32 v5, 16, v6
	v_and_b32_e32 v9, 0x7fffffff, v5
	s_mov_b32 s2, 0x43f00000
	v_and_b32_e32 v1, 0xffff, v6
	v_cmp_gt_u32_e32 vcc, s2, v9
                                        ; implicit-def: $vgpr4
	s_and_saveexec_b64 s[2:3], vcc
	s_xor_b64 s[2:3], exec, s[2:3]
	s_cbranch_execz .LBB344_1772
; %bb.1767:
	s_mov_b32 s6, 0x3c7fffff
	v_cmp_lt_u32_e32 vcc, s6, v9
                                        ; implicit-def: $vgpr4
	s_and_saveexec_b64 s[6:7], vcc
	s_xor_b64 s[6:7], exec, s[6:7]
; %bb.1768:
	v_bfe_u32 v4, v1, 4, 1
	s_mov_b32 s8, 0x407ffff
	v_add3_u32 v4, v5, v4, s8
	v_lshrrev_b32_e32 v5, 20, v4
	v_and_b32_e32 v4, 0xff00000, v4
	s_mov_b32 s8, 0x7f00000
	v_mov_b32_e32 v9, 0x7e
	v_cmp_ne_u32_e32 vcc, s8, v4
	s_nop 1
	v_cndmask_b32_e32 v4, v9, v5, vcc
                                        ; implicit-def: $vgpr5
; %bb.1769:
	s_andn2_saveexec_b64 s[6:7], s[6:7]
; %bb.1770:
	s_mov_b32 s8, 0x46800000
	v_add_f32_e64 v4, |v5|, s8
; %bb.1771:
	s_or_b64 exec, exec, s[6:7]
                                        ; implicit-def: $vgpr9
.LBB344_1772:
	s_andn2_saveexec_b64 s[2:3], s[2:3]
; %bb.1773:
	s_mov_b32 s6, 0x7f800000
	v_mov_b32_e32 v4, 0x7e
	v_mov_b32_e32 v5, 0x7f
	v_cmp_lt_u32_e32 vcc, s6, v9
	s_nop 1
	v_cndmask_b32_e32 v4, v4, v5, vcc
; %bb.1774:
	s_or_b64 exec, exec, s[2:3]
	v_lshrrev_b32_e32 v1, 8, v1
	s_movk_i32 s2, 0x80
	v_and_or_b32 v1, v1, s2, v4
	global_store_byte v[2:3], v1, off
.LBB344_1775:
	s_mov_b64 s[2:3], 0
.LBB344_1776:
	s_andn2_b64 vcc, exec, s[2:3]
	s_cbranch_vccnz .LBB344_1786
; %bb.1777:
	v_lshlrev_b32_e32 v5, 16, v6
	v_and_b32_e32 v9, 0x7fffffff, v5
	s_mov_b32 s2, 0x47800000
	v_and_b32_e32 v1, 0xffff, v6
	v_cmp_gt_u32_e32 vcc, s2, v9
                                        ; implicit-def: $vgpr4
	s_and_saveexec_b64 s[2:3], vcc
	s_xor_b64 s[2:3], exec, s[2:3]
	s_cbranch_execz .LBB344_1783
; %bb.1778:
	s_mov_b32 s6, 0x387fffff
	v_cmp_lt_u32_e32 vcc, s6, v9
                                        ; implicit-def: $vgpr4
	s_and_saveexec_b64 s[6:7], vcc
	s_xor_b64 s[6:7], exec, s[6:7]
; %bb.1779:
	v_bfe_u32 v4, v1, 5, 1
	s_mov_b32 s8, 0x80fffff
	v_add3_u32 v4, v5, v4, s8
	v_lshrrev_b32_e32 v4, 21, v4
                                        ; implicit-def: $vgpr5
; %bb.1780:
	s_andn2_saveexec_b64 s[6:7], s[6:7]
; %bb.1781:
	s_mov_b32 s8, 0x43000000
	v_add_f32_e64 v4, |v5|, s8
; %bb.1782:
	s_or_b64 exec, exec, s[6:7]
                                        ; implicit-def: $vgpr9
.LBB344_1783:
	s_andn2_saveexec_b64 s[2:3], s[2:3]
; %bb.1784:
	s_mov_b32 s6, 0x7f800000
	v_mov_b32_e32 v4, 0x7c
	v_mov_b32_e32 v5, 0x7f
	v_cmp_lt_u32_e32 vcc, s6, v9
	s_nop 1
	v_cndmask_b32_e32 v4, v4, v5, vcc
; %bb.1785:
	s_or_b64 exec, exec, s[2:3]
	v_lshrrev_b32_e32 v1, 8, v1
	s_movk_i32 s2, 0x80
	v_and_or_b32 v1, v1, s2, v4
	global_store_byte v[2:3], v1, off
.LBB344_1786:
	s_mov_b64 s[2:3], 0
	s_mov_b64 s[6:7], -1
.LBB344_1787:
	s_andn2_b64 vcc, exec, s[2:3]
	s_mov_b64 s[2:3], 0
	s_cbranch_vccnz .LBB344_1794
; %bb.1788:
	s_cmp_gt_i32 s19, 14
	s_mov_b64 s[8:9], -1
	s_cbranch_scc0 .LBB344_1792
; %bb.1789:
	s_cmp_eq_u32 s19, 15
	s_mov_b64 s[0:1], -1
	s_cbranch_scc0 .LBB344_1791
; %bb.1790:
	global_store_short v[2:3], v6, off
	s_mov_b64 s[0:1], 0
	s_mov_b64 s[6:7], -1
.LBB344_1791:
	s_mov_b64 s[8:9], 0
.LBB344_1792:
	s_and_b64 vcc, exec, s[8:9]
	s_cbranch_vccz .LBB344_1794
; %bb.1793:
	s_cmp_lg_u32 s19, 11
	s_mov_b64 s[2:3], -1
	s_cselect_b64 s[0:1], -1, 0
.LBB344_1794:
	s_and_b64 vcc, exec, s[0:1]
	s_cbranch_vccnz .LBB344_2044
; %bb.1795:
	s_andn2_b64 vcc, exec, s[2:3]
	s_cbranch_vccnz .LBB344_1797
.LBB344_1796:
	v_and_b32_e32 v1, 0x7fff, v6
	v_cmp_ne_u16_e32 vcc, 0, v1
	s_mov_b64 s[6:7], -1
	s_nop 0
	v_cndmask_b32_e64 v1, 0, 1, vcc
	global_store_byte v[2:3], v1, off
.LBB344_1797:
	s_mov_b64 s[0:1], 0
	s_branch .LBB344_1799
.LBB344_1798:
	s_mov_b64 s[0:1], -1
	s_mov_b64 s[6:7], 0
.LBB344_1799:
	s_and_b64 vcc, exec, s[0:1]
	s_cbranch_vccz .LBB344_1838
; %bb.1800:
	s_and_b32 s2, 0xffff, s20
	s_cmp_lt_i32 s2, 5
	s_mov_b64 s[0:1], -1
	s_cbranch_scc1 .LBB344_1821
; %bb.1801:
	s_cmp_lt_i32 s2, 8
	s_cbranch_scc1 .LBB344_1811
; %bb.1802:
	s_cmp_lt_i32 s2, 9
	s_cbranch_scc1 .LBB344_1808
; %bb.1803:
	s_cmp_gt_i32 s2, 9
	s_cbranch_scc0 .LBB344_1805
; %bb.1804:
	v_lshlrev_b32_e32 v1, 16, v6
	v_mov_b32_e32 v12, 0
	v_cvt_f64_f32_e32 v[10:11], v1
	v_mov_b32_e32 v13, v12
	global_store_dwordx4 v[2:3], v[10:13], off
	s_mov_b64 s[0:1], 0
.LBB344_1805:
	s_andn2_b64 vcc, exec, s[0:1]
	s_cbranch_vccnz .LBB344_1807
; %bb.1806:
	v_lshlrev_b32_e32 v4, 16, v6
	v_mov_b32_e32 v5, 0
	global_store_dwordx2 v[2:3], v[4:5], off
.LBB344_1807:
	s_mov_b64 s[0:1], 0
.LBB344_1808:
	s_andn2_b64 vcc, exec, s[0:1]
	s_cbranch_vccnz .LBB344_1810
; %bb.1809:
	v_lshlrev_b32_e32 v1, 16, v6
	v_cvt_f16_f32_e32 v1, v1
	global_store_dword v[2:3], v1, off
.LBB344_1810:
	s_mov_b64 s[0:1], 0
.LBB344_1811:
	s_andn2_b64 vcc, exec, s[0:1]
	s_cbranch_vccnz .LBB344_1820
; %bb.1812:
	s_cmp_lt_i32 s2, 6
	s_mov_b64 s[0:1], -1
	s_cbranch_scc1 .LBB344_1818
; %bb.1813:
	s_cmp_gt_i32 s2, 6
	s_cbranch_scc0 .LBB344_1815
; %bb.1814:
	v_lshlrev_b32_e32 v1, 16, v6
	v_cvt_f64_f32_e32 v[4:5], v1
	global_store_dwordx2 v[2:3], v[4:5], off
	s_mov_b64 s[0:1], 0
.LBB344_1815:
	s_andn2_b64 vcc, exec, s[0:1]
	s_cbranch_vccnz .LBB344_1817
; %bb.1816:
	v_lshlrev_b32_e32 v1, 16, v6
	global_store_dword v[2:3], v1, off
.LBB344_1817:
	s_mov_b64 s[0:1], 0
.LBB344_1818:
	s_andn2_b64 vcc, exec, s[0:1]
	s_cbranch_vccnz .LBB344_1820
; %bb.1819:
	v_lshlrev_b32_e32 v1, 16, v6
	v_cvt_f16_f32_e32 v1, v1
	global_store_short v[2:3], v1, off
.LBB344_1820:
	s_mov_b64 s[0:1], 0
.LBB344_1821:
	s_andn2_b64 vcc, exec, s[0:1]
	s_cbranch_vccnz .LBB344_1837
; %bb.1822:
	s_cmp_lt_i32 s2, 2
	s_mov_b64 s[0:1], -1
	s_cbranch_scc1 .LBB344_1832
; %bb.1823:
	s_cmp_lt_i32 s2, 3
	s_cbranch_scc1 .LBB344_1829
; %bb.1824:
	s_cmp_gt_i32 s2, 3
	s_cbranch_scc0 .LBB344_1826
; %bb.1825:
	v_lshlrev_b32_e32 v1, 16, v6
	v_trunc_f32_e32 v1, v1
	s_mov_b32 s0, 0x2f800000
	v_mul_f32_e64 v4, |v1|, s0
	v_floor_f32_e32 v4, v4
	s_mov_b32 s0, 0xcf800000
	v_cvt_u32_f32_e32 v5, v4
	v_fma_f32 v4, v4, s0, |v1|
	v_cvt_u32_f32_e32 v4, v4
	v_ashrrev_i32_e32 v1, 31, v1
	v_xor_b32_e32 v5, v5, v1
	s_mov_b64 s[0:1], 0
	v_xor_b32_e32 v4, v4, v1
	v_sub_co_u32_e32 v4, vcc, v4, v1
	s_nop 1
	v_subb_co_u32_e32 v5, vcc, v5, v1, vcc
	global_store_dwordx2 v[2:3], v[4:5], off
.LBB344_1826:
	s_andn2_b64 vcc, exec, s[0:1]
	s_cbranch_vccnz .LBB344_1828
; %bb.1827:
	v_lshlrev_b32_e32 v1, 16, v6
	v_cvt_i32_f32_e32 v1, v1
	global_store_dword v[2:3], v1, off
.LBB344_1828:
	s_mov_b64 s[0:1], 0
.LBB344_1829:
	s_andn2_b64 vcc, exec, s[0:1]
	s_cbranch_vccnz .LBB344_1831
; %bb.1830:
	v_lshlrev_b32_e32 v1, 16, v6
	v_cvt_i32_f32_e32 v1, v1
	global_store_short v[2:3], v1, off
.LBB344_1831:
	s_mov_b64 s[0:1], 0
.LBB344_1832:
	s_andn2_b64 vcc, exec, s[0:1]
	s_cbranch_vccnz .LBB344_1837
; %bb.1833:
	s_mov_b64 s[0:1], -1
	s_cmp_gt_i32 s2, 0
	v_lshlrev_b32_e32 v1, 16, v6
	s_cbranch_scc0 .LBB344_1835
; %bb.1834:
	v_cvt_i32_f32_e32 v4, v1
	s_mov_b64 s[0:1], 0
	global_store_byte v[2:3], v4, off
.LBB344_1835:
	s_andn2_b64 vcc, exec, s[0:1]
	s_cbranch_vccnz .LBB344_1837
; %bb.1836:
	v_trunc_f32_e32 v1, v1
	s_mov_b32 s0, 0x2f800000
	v_mul_f32_e64 v4, |v1|, s0
	v_floor_f32_e32 v4, v4
	s_mov_b32 s0, 0xcf800000
	v_fma_f32 v4, v4, s0, |v1|
	v_cvt_u32_f32_e32 v4, v4
	v_ashrrev_i32_e32 v1, 31, v1
	v_xor_b32_e32 v4, v4, v1
	v_sub_u32_e32 v1, v4, v1
	global_store_byte v[2:3], v1, off
.LBB344_1837:
	s_mov_b64 s[6:7], -1
.LBB344_1838:
	s_andn2_b64 vcc, exec, s[6:7]
	s_cbranch_vccnz .LBB344_2034
; %bb.1839:
	v_add_u32_e32 v0, s18, v0
	v_ashrrev_i32_e32 v1, 31, v0
	s_cmp_lt_i32 s20, 11
	v_lshl_add_u64 v[2:3], s[4:5], 0, v[0:1]
	s_cbranch_scc1 .LBB344_1917
; %bb.1840:
	s_and_b32 s19, 0xffff, s20
	s_mov_b64 s[8:9], -1
	s_mov_b64 s[2:3], 0
	s_cmp_gt_i32 s19, 25
	s_mov_b64 s[6:7], 0
	s_mov_b64 s[0:1], 0
	s_cbranch_scc0 .LBB344_1873
; %bb.1841:
	s_cmp_gt_i32 s19, 28
	s_cbranch_scc0 .LBB344_1856
; %bb.1842:
	s_cmp_gt_i32 s19, 43
	;; [unrolled: 3-line block ×3, first 2 shown]
	s_cbranch_scc0 .LBB344_1846
; %bb.1844:
	s_mov_b64 s[0:1], -1
	s_mov_b64 s[8:9], 0
	s_cmp_eq_u32 s19, 46
	s_cbranch_scc0 .LBB344_1846
; %bb.1845:
	v_and_b32_e32 v1, 0xffff, v7
	global_store_dword v[2:3], v1, off
	s_mov_b64 s[0:1], 0
	s_mov_b64 s[6:7], -1
.LBB344_1846:
	s_and_b64 vcc, exec, s[8:9]
	s_cbranch_vccz .LBB344_1851
; %bb.1847:
	s_cmp_eq_u32 s19, 44
	s_mov_b64 s[0:1], -1
	s_cbranch_scc0 .LBB344_1851
; %bb.1848:
	v_and_b32_e32 v4, 0xffff, v7
	v_bfe_u32 v1, v4, 7, 8
	s_movk_i32 s0, 0xff
	v_cmp_ne_u32_e32 vcc, s0, v1
	v_mov_b32_e32 v5, 0xff
	s_and_saveexec_b64 s[6:7], vcc
	s_cbranch_execz .LBB344_1850
; %bb.1849:
	v_lshlrev_b32_e32 v6, 16, v4
	s_mov_b32 s0, 0x3f0000
	v_lshrrev_b32_e32 v5, 7, v4
	v_and_b32_e32 v4, 64, v4
	v_and_or_b32 v1, v6, s0, v1
	v_cmp_ne_u32_e32 vcc, 0, v4
	v_cmp_ne_u32_e64 s[0:1], 0, v1
	s_and_b64 s[0:1], vcc, s[0:1]
	s_nop 0
	v_cndmask_b32_e64 v1, 0, 1, s[0:1]
	v_add_u32_e32 v5, v5, v1
.LBB344_1850:
	s_or_b64 exec, exec, s[6:7]
	s_mov_b64 s[0:1], 0
	s_mov_b64 s[6:7], -1
	global_store_byte v[2:3], v5, off
.LBB344_1851:
	s_mov_b64 s[8:9], 0
.LBB344_1852:
	s_and_b64 vcc, exec, s[8:9]
	s_cbranch_vccz .LBB344_1855
; %bb.1853:
	s_cmp_eq_u32 s19, 29
	s_mov_b64 s[0:1], -1
	s_cbranch_scc0 .LBB344_1855
; %bb.1854:
	v_lshlrev_b32_e32 v1, 16, v7
	v_trunc_f32_e32 v1, v1
	v_mul_f32_e32 v4, 0x2f800000, v1
	v_floor_f32_e32 v4, v4
	v_fmamk_f32 v1, v4, 0xcf800000, v1
	v_cvt_u32_f32_e32 v5, v4
	v_cvt_u32_f32_e32 v4, v1
	s_mov_b64 s[0:1], 0
	s_mov_b64 s[6:7], -1
	global_store_dwordx2 v[2:3], v[4:5], off
.LBB344_1855:
	s_mov_b64 s[8:9], 0
.LBB344_1856:
	s_and_b64 vcc, exec, s[8:9]
	s_cbranch_vccz .LBB344_1872
; %bb.1857:
	s_cmp_lt_i32 s19, 27
	s_mov_b64 s[6:7], -1
	s_cbranch_scc1 .LBB344_1863
; %bb.1858:
	s_cmp_gt_i32 s19, 27
	s_cbranch_scc0 .LBB344_1860
; %bb.1859:
	v_lshlrev_b32_e32 v1, 16, v7
	v_cvt_u32_f32_e32 v1, v1
	s_mov_b64 s[6:7], 0
	global_store_dword v[2:3], v1, off
.LBB344_1860:
	s_andn2_b64 vcc, exec, s[6:7]
	s_cbranch_vccnz .LBB344_1862
; %bb.1861:
	v_lshlrev_b32_e32 v1, 16, v7
	v_cvt_u32_f32_e32 v1, v1
	global_store_short v[2:3], v1, off
.LBB344_1862:
	s_mov_b64 s[6:7], 0
.LBB344_1863:
	s_andn2_b64 vcc, exec, s[6:7]
	s_cbranch_vccnz .LBB344_1871
; %bb.1864:
	v_lshlrev_b32_e32 v5, 16, v7
	v_and_b32_e32 v4, 0x7fffffff, v5
	s_mov_b32 s6, 0x43800000
	v_cmp_gt_u32_e32 vcc, s6, v4
	v_mov_b32_e32 v6, 0x80
	s_and_saveexec_b64 s[6:7], vcc
	s_cbranch_execz .LBB344_1870
; %bb.1865:
	s_mov_b32 s8, 0x3bffffff
	v_and_b32_e32 v1, 0xffff, v7
	v_cmp_lt_u32_e32 vcc, s8, v4
	s_mov_b64 s[8:9], 0
                                        ; implicit-def: $vgpr4
	s_and_saveexec_b64 s[10:11], vcc
	s_xor_b64 s[10:11], exec, s[10:11]
	s_cbranch_execz .LBB344_2047
; %bb.1866:
	v_bfe_u32 v4, v1, 4, 1
	s_mov_b32 s21, 0x487ffff
	v_add3_u32 v4, v5, v4, s21
	s_mov_b64 s[8:9], exec
	v_lshrrev_b32_e32 v4, 20, v4
                                        ; implicit-def: $vgpr5
	s_andn2_saveexec_b64 s[10:11], s[10:11]
	s_cbranch_execnz .LBB344_2048
.LBB344_1867:
	s_or_b64 exec, exec, s[10:11]
	v_mov_b32_e32 v6, 0
	s_and_saveexec_b64 s[10:11], s[8:9]
.LBB344_1868:
	v_lshrrev_b32_e32 v1, 8, v1
	s_movk_i32 s8, 0x80
	v_and_or_b32 v6, v1, s8, v4
.LBB344_1869:
	s_or_b64 exec, exec, s[10:11]
.LBB344_1870:
	s_or_b64 exec, exec, s[6:7]
	global_store_byte v[2:3], v6, off
.LBB344_1871:
	s_mov_b64 s[6:7], -1
.LBB344_1872:
	s_mov_b64 s[8:9], 0
.LBB344_1873:
	s_and_b64 vcc, exec, s[8:9]
	s_cbranch_vccz .LBB344_1913
; %bb.1874:
	s_cmp_gt_i32 s19, 22
	s_mov_b64 s[2:3], -1
	s_cbranch_scc0 .LBB344_1906
; %bb.1875:
	s_cmp_lt_i32 s19, 24
	s_cbranch_scc1 .LBB344_1895
; %bb.1876:
	s_cmp_gt_i32 s19, 24
	s_cbranch_scc0 .LBB344_1884
; %bb.1877:
	v_lshlrev_b32_e32 v5, 16, v7
	v_and_b32_e32 v4, 0x7fffffff, v5
	s_mov_b32 s2, 0x47800000
	v_cmp_gt_u32_e32 vcc, s2, v4
	v_mov_b32_e32 v6, 0x80
	s_and_saveexec_b64 s[2:3], vcc
	s_cbranch_execz .LBB344_1883
; %bb.1878:
	s_mov_b32 s6, 0x37ffffff
	v_and_b32_e32 v1, 0xffff, v7
	v_cmp_lt_u32_e32 vcc, s6, v4
	s_mov_b64 s[6:7], 0
                                        ; implicit-def: $vgpr4
	s_and_saveexec_b64 s[8:9], vcc
	s_xor_b64 s[8:9], exec, s[8:9]
	s_cbranch_execz .LBB344_2050
; %bb.1879:
	v_bfe_u32 v4, v1, 5, 1
	s_mov_b32 s10, 0x88fffff
	v_add3_u32 v4, v5, v4, s10
	s_mov_b64 s[6:7], exec
	v_lshrrev_b32_e32 v4, 21, v4
                                        ; implicit-def: $vgpr5
	s_andn2_saveexec_b64 s[8:9], s[8:9]
	s_cbranch_execnz .LBB344_2051
.LBB344_1880:
	s_or_b64 exec, exec, s[8:9]
	v_mov_b32_e32 v6, 0
	s_and_saveexec_b64 s[8:9], s[6:7]
.LBB344_1881:
	v_lshrrev_b32_e32 v1, 8, v1
	s_movk_i32 s6, 0x80
	v_and_or_b32 v6, v1, s6, v4
.LBB344_1882:
	s_or_b64 exec, exec, s[8:9]
.LBB344_1883:
	s_or_b64 exec, exec, s[2:3]
	s_mov_b64 s[2:3], 0
	global_store_byte v[2:3], v6, off
.LBB344_1884:
	s_and_b64 vcc, exec, s[2:3]
	s_cbranch_vccz .LBB344_1894
; %bb.1885:
	v_lshlrev_b32_e32 v5, 16, v7
	v_and_b32_e32 v6, 0x7fffffff, v5
	s_mov_b32 s2, 0x43f00000
	v_and_b32_e32 v1, 0xffff, v7
	v_cmp_gt_u32_e32 vcc, s2, v6
                                        ; implicit-def: $vgpr4
	s_and_saveexec_b64 s[2:3], vcc
	s_xor_b64 s[2:3], exec, s[2:3]
	s_cbranch_execz .LBB344_1891
; %bb.1886:
	s_mov_b32 s6, 0x3c7fffff
	v_cmp_lt_u32_e32 vcc, s6, v6
                                        ; implicit-def: $vgpr4
	s_and_saveexec_b64 s[6:7], vcc
	s_xor_b64 s[6:7], exec, s[6:7]
; %bb.1887:
	v_bfe_u32 v4, v1, 4, 1
	s_mov_b32 s8, 0x407ffff
	v_add3_u32 v4, v5, v4, s8
	v_lshrrev_b32_e32 v5, 20, v4
	v_and_b32_e32 v4, 0xff00000, v4
	s_mov_b32 s8, 0x7f00000
	v_mov_b32_e32 v6, 0x7e
	v_cmp_ne_u32_e32 vcc, s8, v4
	s_nop 1
	v_cndmask_b32_e32 v4, v6, v5, vcc
                                        ; implicit-def: $vgpr5
; %bb.1888:
	s_andn2_saveexec_b64 s[6:7], s[6:7]
; %bb.1889:
	s_mov_b32 s8, 0x46800000
	v_add_f32_e64 v4, |v5|, s8
; %bb.1890:
	s_or_b64 exec, exec, s[6:7]
                                        ; implicit-def: $vgpr6
.LBB344_1891:
	s_andn2_saveexec_b64 s[2:3], s[2:3]
; %bb.1892:
	s_mov_b32 s6, 0x7f800000
	v_mov_b32_e32 v4, 0x7e
	v_mov_b32_e32 v5, 0x7f
	v_cmp_lt_u32_e32 vcc, s6, v6
	s_nop 1
	v_cndmask_b32_e32 v4, v4, v5, vcc
; %bb.1893:
	s_or_b64 exec, exec, s[2:3]
	v_lshrrev_b32_e32 v1, 8, v1
	s_movk_i32 s2, 0x80
	v_and_or_b32 v1, v1, s2, v4
	global_store_byte v[2:3], v1, off
.LBB344_1894:
	s_mov_b64 s[2:3], 0
.LBB344_1895:
	s_andn2_b64 vcc, exec, s[2:3]
	s_cbranch_vccnz .LBB344_1905
; %bb.1896:
	v_lshlrev_b32_e32 v5, 16, v7
	v_and_b32_e32 v6, 0x7fffffff, v5
	s_mov_b32 s2, 0x47800000
	v_and_b32_e32 v1, 0xffff, v7
	v_cmp_gt_u32_e32 vcc, s2, v6
                                        ; implicit-def: $vgpr4
	s_and_saveexec_b64 s[2:3], vcc
	s_xor_b64 s[2:3], exec, s[2:3]
	s_cbranch_execz .LBB344_1902
; %bb.1897:
	s_mov_b32 s6, 0x387fffff
	v_cmp_lt_u32_e32 vcc, s6, v6
                                        ; implicit-def: $vgpr4
	s_and_saveexec_b64 s[6:7], vcc
	s_xor_b64 s[6:7], exec, s[6:7]
; %bb.1898:
	v_bfe_u32 v4, v1, 5, 1
	s_mov_b32 s8, 0x80fffff
	v_add3_u32 v4, v5, v4, s8
	v_lshrrev_b32_e32 v4, 21, v4
                                        ; implicit-def: $vgpr5
; %bb.1899:
	s_andn2_saveexec_b64 s[6:7], s[6:7]
; %bb.1900:
	s_mov_b32 s8, 0x43000000
	v_add_f32_e64 v4, |v5|, s8
; %bb.1901:
	s_or_b64 exec, exec, s[6:7]
                                        ; implicit-def: $vgpr6
.LBB344_1902:
	s_andn2_saveexec_b64 s[2:3], s[2:3]
; %bb.1903:
	s_mov_b32 s6, 0x7f800000
	v_mov_b32_e32 v4, 0x7c
	v_mov_b32_e32 v5, 0x7f
	v_cmp_lt_u32_e32 vcc, s6, v6
	s_nop 1
	v_cndmask_b32_e32 v4, v4, v5, vcc
; %bb.1904:
	s_or_b64 exec, exec, s[2:3]
	v_lshrrev_b32_e32 v1, 8, v1
	s_movk_i32 s2, 0x80
	v_and_or_b32 v1, v1, s2, v4
	global_store_byte v[2:3], v1, off
.LBB344_1905:
	s_mov_b64 s[2:3], 0
	s_mov_b64 s[6:7], -1
.LBB344_1906:
	s_andn2_b64 vcc, exec, s[2:3]
	s_mov_b64 s[2:3], 0
	s_cbranch_vccnz .LBB344_1913
; %bb.1907:
	s_cmp_gt_i32 s19, 14
	s_mov_b64 s[8:9], -1
	s_cbranch_scc0 .LBB344_1911
; %bb.1908:
	s_cmp_eq_u32 s19, 15
	s_mov_b64 s[0:1], -1
	s_cbranch_scc0 .LBB344_1910
; %bb.1909:
	global_store_short v[2:3], v7, off
	s_mov_b64 s[0:1], 0
	s_mov_b64 s[6:7], -1
.LBB344_1910:
	s_mov_b64 s[8:9], 0
.LBB344_1911:
	s_and_b64 vcc, exec, s[8:9]
	s_cbranch_vccz .LBB344_1913
; %bb.1912:
	s_cmp_lg_u32 s19, 11
	s_mov_b64 s[2:3], -1
	s_cselect_b64 s[0:1], -1, 0
.LBB344_1913:
	s_and_b64 vcc, exec, s[0:1]
	s_cbranch_vccnz .LBB344_2049
; %bb.1914:
	s_andn2_b64 vcc, exec, s[2:3]
	s_cbranch_vccnz .LBB344_1916
.LBB344_1915:
	v_and_b32_e32 v1, 0x7fff, v7
	v_cmp_ne_u16_e32 vcc, 0, v1
	s_mov_b64 s[6:7], -1
	s_nop 0
	v_cndmask_b32_e64 v1, 0, 1, vcc
	global_store_byte v[2:3], v1, off
.LBB344_1916:
	s_mov_b64 s[0:1], 0
	s_branch .LBB344_1918
.LBB344_1917:
	s_mov_b64 s[0:1], -1
	s_mov_b64 s[6:7], 0
.LBB344_1918:
	s_and_b64 vcc, exec, s[0:1]
	s_cbranch_vccz .LBB344_1957
; %bb.1919:
	s_and_b32 s2, 0xffff, s20
	s_cmp_lt_i32 s2, 5
	s_mov_b64 s[0:1], -1
	s_cbranch_scc1 .LBB344_1940
; %bb.1920:
	s_cmp_lt_i32 s2, 8
	s_cbranch_scc1 .LBB344_1930
; %bb.1921:
	s_cmp_lt_i32 s2, 9
	s_cbranch_scc1 .LBB344_1927
; %bb.1922:
	s_cmp_gt_i32 s2, 9
	s_cbranch_scc0 .LBB344_1924
; %bb.1923:
	v_lshlrev_b32_e32 v1, 16, v7
	v_mov_b32_e32 v12, 0
	v_cvt_f64_f32_e32 v[10:11], v1
	v_mov_b32_e32 v13, v12
	global_store_dwordx4 v[2:3], v[10:13], off
	s_mov_b64 s[0:1], 0
.LBB344_1924:
	s_andn2_b64 vcc, exec, s[0:1]
	s_cbranch_vccnz .LBB344_1926
; %bb.1925:
	v_lshlrev_b32_e32 v4, 16, v7
	v_mov_b32_e32 v5, 0
	global_store_dwordx2 v[2:3], v[4:5], off
.LBB344_1926:
	s_mov_b64 s[0:1], 0
.LBB344_1927:
	s_andn2_b64 vcc, exec, s[0:1]
	s_cbranch_vccnz .LBB344_1929
; %bb.1928:
	v_lshlrev_b32_e32 v1, 16, v7
	v_cvt_f16_f32_e32 v1, v1
	global_store_dword v[2:3], v1, off
.LBB344_1929:
	s_mov_b64 s[0:1], 0
.LBB344_1930:
	s_andn2_b64 vcc, exec, s[0:1]
	s_cbranch_vccnz .LBB344_1939
; %bb.1931:
	s_cmp_lt_i32 s2, 6
	s_mov_b64 s[0:1], -1
	s_cbranch_scc1 .LBB344_1937
; %bb.1932:
	s_cmp_gt_i32 s2, 6
	s_cbranch_scc0 .LBB344_1934
; %bb.1933:
	v_lshlrev_b32_e32 v1, 16, v7
	v_cvt_f64_f32_e32 v[4:5], v1
	global_store_dwordx2 v[2:3], v[4:5], off
	s_mov_b64 s[0:1], 0
.LBB344_1934:
	s_andn2_b64 vcc, exec, s[0:1]
	s_cbranch_vccnz .LBB344_1936
; %bb.1935:
	v_lshlrev_b32_e32 v1, 16, v7
	global_store_dword v[2:3], v1, off
.LBB344_1936:
	s_mov_b64 s[0:1], 0
.LBB344_1937:
	s_andn2_b64 vcc, exec, s[0:1]
	s_cbranch_vccnz .LBB344_1939
; %bb.1938:
	v_lshlrev_b32_e32 v1, 16, v7
	v_cvt_f16_f32_e32 v1, v1
	global_store_short v[2:3], v1, off
.LBB344_1939:
	s_mov_b64 s[0:1], 0
.LBB344_1940:
	s_andn2_b64 vcc, exec, s[0:1]
	s_cbranch_vccnz .LBB344_1956
; %bb.1941:
	s_cmp_lt_i32 s2, 2
	s_mov_b64 s[0:1], -1
	s_cbranch_scc1 .LBB344_1951
; %bb.1942:
	s_cmp_lt_i32 s2, 3
	s_cbranch_scc1 .LBB344_1948
; %bb.1943:
	s_cmp_gt_i32 s2, 3
	s_cbranch_scc0 .LBB344_1945
; %bb.1944:
	v_lshlrev_b32_e32 v1, 16, v7
	v_trunc_f32_e32 v1, v1
	s_mov_b32 s0, 0x2f800000
	v_mul_f32_e64 v4, |v1|, s0
	v_floor_f32_e32 v4, v4
	s_mov_b32 s0, 0xcf800000
	v_cvt_u32_f32_e32 v5, v4
	v_fma_f32 v4, v4, s0, |v1|
	v_cvt_u32_f32_e32 v4, v4
	v_ashrrev_i32_e32 v1, 31, v1
	v_xor_b32_e32 v5, v5, v1
	s_mov_b64 s[0:1], 0
	v_xor_b32_e32 v4, v4, v1
	v_sub_co_u32_e32 v4, vcc, v4, v1
	s_nop 1
	v_subb_co_u32_e32 v5, vcc, v5, v1, vcc
	global_store_dwordx2 v[2:3], v[4:5], off
.LBB344_1945:
	s_andn2_b64 vcc, exec, s[0:1]
	s_cbranch_vccnz .LBB344_1947
; %bb.1946:
	v_lshlrev_b32_e32 v1, 16, v7
	v_cvt_i32_f32_e32 v1, v1
	global_store_dword v[2:3], v1, off
.LBB344_1947:
	s_mov_b64 s[0:1], 0
.LBB344_1948:
	s_andn2_b64 vcc, exec, s[0:1]
	s_cbranch_vccnz .LBB344_1950
; %bb.1949:
	v_lshlrev_b32_e32 v1, 16, v7
	v_cvt_i32_f32_e32 v1, v1
	global_store_short v[2:3], v1, off
.LBB344_1950:
	s_mov_b64 s[0:1], 0
.LBB344_1951:
	s_andn2_b64 vcc, exec, s[0:1]
	s_cbranch_vccnz .LBB344_1956
; %bb.1952:
	s_mov_b64 s[0:1], -1
	s_cmp_gt_i32 s2, 0
	v_lshlrev_b32_e32 v1, 16, v7
	s_cbranch_scc0 .LBB344_1954
; %bb.1953:
	v_cvt_i32_f32_e32 v4, v1
	s_mov_b64 s[0:1], 0
	global_store_byte v[2:3], v4, off
.LBB344_1954:
	s_andn2_b64 vcc, exec, s[0:1]
	s_cbranch_vccnz .LBB344_1956
; %bb.1955:
	v_trunc_f32_e32 v1, v1
	s_mov_b32 s0, 0x2f800000
	v_mul_f32_e64 v4, |v1|, s0
	v_floor_f32_e32 v4, v4
	s_mov_b32 s0, 0xcf800000
	v_fma_f32 v4, v4, s0, |v1|
	v_cvt_u32_f32_e32 v4, v4
	v_ashrrev_i32_e32 v1, 31, v1
	v_xor_b32_e32 v4, v4, v1
	v_sub_u32_e32 v1, v4, v1
	global_store_byte v[2:3], v1, off
.LBB344_1956:
	s_mov_b64 s[6:7], -1
.LBB344_1957:
	s_andn2_b64 vcc, exec, s[6:7]
	s_cbranch_vccnz .LBB344_2034
; %bb.1958:
	v_add_u32_e32 v0, s18, v0
	v_ashrrev_i32_e32 v1, 31, v0
	s_cmp_lt_i32 s20, 11
	v_lshl_add_u64 v[0:1], s[4:5], 0, v[0:1]
	s_cbranch_scc1 .LBB344_2035
; %bb.1959:
	s_and_b32 s10, 0xffff, s20
	s_mov_b64 s[4:5], -1
	s_mov_b64 s[2:3], 0
	s_cmp_gt_i32 s10, 25
	s_mov_b64 s[0:1], 0
	s_cbranch_scc0 .LBB344_1992
; %bb.1960:
	s_cmp_gt_i32 s10, 28
	s_cbranch_scc0 .LBB344_1976
; %bb.1961:
	s_cmp_gt_i32 s10, 43
	;; [unrolled: 3-line block ×3, first 2 shown]
	s_cbranch_scc0 .LBB344_1966
; %bb.1963:
	s_cmp_eq_u32 s10, 46
	s_mov_b64 s[0:1], -1
	s_cbranch_scc0 .LBB344_1965
; %bb.1964:
	v_and_b32_e32 v2, 0xffff, v8
	global_store_dword v[0:1], v2, off
	s_mov_b64 s[0:1], 0
.LBB344_1965:
	s_mov_b64 s[4:5], 0
.LBB344_1966:
	s_and_b64 vcc, exec, s[4:5]
	s_cbranch_vccz .LBB344_1971
; %bb.1967:
	s_cmp_eq_u32 s10, 44
	s_mov_b64 s[0:1], -1
	s_cbranch_scc0 .LBB344_1971
; %bb.1968:
	v_and_b32_e32 v3, 0xffff, v8
	v_bfe_u32 v2, v3, 7, 8
	s_movk_i32 s0, 0xff
	v_cmp_ne_u32_e32 vcc, s0, v2
	v_mov_b32_e32 v4, 0xff
	s_and_saveexec_b64 s[4:5], vcc
	s_cbranch_execz .LBB344_1970
; %bb.1969:
	v_lshlrev_b32_e32 v5, 16, v3
	s_mov_b32 s0, 0x3f0000
	v_lshrrev_b32_e32 v4, 7, v3
	v_and_b32_e32 v3, 64, v3
	v_and_or_b32 v2, v5, s0, v2
	v_cmp_ne_u32_e32 vcc, 0, v3
	v_cmp_ne_u32_e64 s[0:1], 0, v2
	s_and_b64 s[0:1], vcc, s[0:1]
	s_nop 0
	v_cndmask_b32_e64 v2, 0, 1, s[0:1]
	v_add_u32_e32 v4, v4, v2
.LBB344_1970:
	s_or_b64 exec, exec, s[4:5]
	s_mov_b64 s[0:1], 0
	global_store_byte v[0:1], v4, off
.LBB344_1971:
	s_mov_b64 s[4:5], 0
.LBB344_1972:
	s_and_b64 vcc, exec, s[4:5]
	s_cbranch_vccz .LBB344_1975
; %bb.1973:
	s_cmp_eq_u32 s10, 29
	s_mov_b64 s[0:1], -1
	s_cbranch_scc0 .LBB344_1975
; %bb.1974:
	v_lshlrev_b32_e32 v2, 16, v8
	v_trunc_f32_e32 v2, v2
	v_mul_f32_e32 v3, 0x2f800000, v2
	v_floor_f32_e32 v4, v3
	v_fmamk_f32 v2, v4, 0xcf800000, v2
	v_cvt_u32_f32_e32 v3, v4
	v_cvt_u32_f32_e32 v2, v2
	s_mov_b64 s[0:1], 0
	global_store_dwordx2 v[0:1], v[2:3], off
.LBB344_1975:
	s_mov_b64 s[4:5], 0
.LBB344_1976:
	s_and_b64 vcc, exec, s[4:5]
	s_cbranch_vccz .LBB344_1991
; %bb.1977:
	s_cmp_lt_i32 s10, 27
	s_mov_b64 s[4:5], -1
	s_cbranch_scc1 .LBB344_1983
; %bb.1978:
	s_cmp_gt_i32 s10, 27
	s_cbranch_scc0 .LBB344_1980
; %bb.1979:
	v_lshlrev_b32_e32 v2, 16, v8
	v_cvt_u32_f32_e32 v2, v2
	s_mov_b64 s[4:5], 0
	global_store_dword v[0:1], v2, off
.LBB344_1980:
	s_andn2_b64 vcc, exec, s[4:5]
	s_cbranch_vccnz .LBB344_1982
; %bb.1981:
	v_lshlrev_b32_e32 v2, 16, v8
	v_cvt_u32_f32_e32 v2, v2
	global_store_short v[0:1], v2, off
.LBB344_1982:
	s_mov_b64 s[4:5], 0
.LBB344_1983:
	s_andn2_b64 vcc, exec, s[4:5]
	s_cbranch_vccnz .LBB344_1991
; %bb.1984:
	v_lshlrev_b32_e32 v4, 16, v8
	v_and_b32_e32 v3, 0x7fffffff, v4
	s_mov_b32 s4, 0x43800000
	v_cmp_gt_u32_e32 vcc, s4, v3
	v_mov_b32_e32 v5, 0x80
	s_and_saveexec_b64 s[4:5], vcc
	s_cbranch_execz .LBB344_1990
; %bb.1985:
	s_mov_b32 s6, 0x3bffffff
	v_and_b32_e32 v2, 0xffff, v8
	v_cmp_lt_u32_e32 vcc, s6, v3
	s_mov_b64 s[6:7], 0
                                        ; implicit-def: $vgpr3
	s_and_saveexec_b64 s[8:9], vcc
	s_xor_b64 s[8:9], exec, s[8:9]
	s_cbranch_execz .LBB344_2052
; %bb.1986:
	v_bfe_u32 v3, v2, 4, 1
	s_mov_b32 s11, 0x487ffff
	v_add3_u32 v3, v4, v3, s11
	s_mov_b64 s[6:7], exec
	v_lshrrev_b32_e32 v3, 20, v3
                                        ; implicit-def: $vgpr4
	s_andn2_saveexec_b64 s[8:9], s[8:9]
	s_cbranch_execnz .LBB344_2053
.LBB344_1987:
	s_or_b64 exec, exec, s[8:9]
	v_mov_b32_e32 v5, 0
	s_and_saveexec_b64 s[8:9], s[6:7]
.LBB344_1988:
	v_lshrrev_b32_e32 v2, 8, v2
	s_movk_i32 s6, 0x80
	v_and_or_b32 v5, v2, s6, v3
.LBB344_1989:
	s_or_b64 exec, exec, s[8:9]
.LBB344_1990:
	s_or_b64 exec, exec, s[4:5]
	global_store_byte v[0:1], v5, off
.LBB344_1991:
	s_mov_b64 s[4:5], 0
.LBB344_1992:
	s_and_b64 vcc, exec, s[4:5]
	s_cbranch_vccz .LBB344_2032
; %bb.1993:
	s_cmp_gt_i32 s10, 22
	s_mov_b64 s[2:3], -1
	s_cbranch_scc0 .LBB344_2025
; %bb.1994:
	s_cmp_lt_i32 s10, 24
	s_cbranch_scc1 .LBB344_2014
; %bb.1995:
	s_cmp_gt_i32 s10, 24
	s_cbranch_scc0 .LBB344_2003
; %bb.1996:
	v_lshlrev_b32_e32 v4, 16, v8
	v_and_b32_e32 v3, 0x7fffffff, v4
	s_mov_b32 s2, 0x47800000
	v_cmp_gt_u32_e32 vcc, s2, v3
	v_mov_b32_e32 v5, 0x80
	s_and_saveexec_b64 s[2:3], vcc
	s_cbranch_execz .LBB344_2002
; %bb.1997:
	s_mov_b32 s4, 0x37ffffff
	v_and_b32_e32 v2, 0xffff, v8
	v_cmp_lt_u32_e32 vcc, s4, v3
	s_mov_b64 s[4:5], 0
                                        ; implicit-def: $vgpr3
	s_and_saveexec_b64 s[6:7], vcc
	s_xor_b64 s[6:7], exec, s[6:7]
	s_cbranch_execz .LBB344_2055
; %bb.1998:
	v_bfe_u32 v3, v2, 5, 1
	s_mov_b32 s8, 0x88fffff
	v_add3_u32 v3, v4, v3, s8
	s_mov_b64 s[4:5], exec
	v_lshrrev_b32_e32 v3, 21, v3
                                        ; implicit-def: $vgpr4
	s_andn2_saveexec_b64 s[6:7], s[6:7]
	s_cbranch_execnz .LBB344_2056
.LBB344_1999:
	s_or_b64 exec, exec, s[6:7]
	v_mov_b32_e32 v5, 0
	s_and_saveexec_b64 s[6:7], s[4:5]
.LBB344_2000:
	v_lshrrev_b32_e32 v2, 8, v2
	s_movk_i32 s4, 0x80
	v_and_or_b32 v5, v2, s4, v3
.LBB344_2001:
	s_or_b64 exec, exec, s[6:7]
.LBB344_2002:
	s_or_b64 exec, exec, s[2:3]
	s_mov_b64 s[2:3], 0
	global_store_byte v[0:1], v5, off
.LBB344_2003:
	s_and_b64 vcc, exec, s[2:3]
	s_cbranch_vccz .LBB344_2013
; %bb.2004:
	v_lshlrev_b32_e32 v4, 16, v8
	v_and_b32_e32 v5, 0x7fffffff, v4
	s_mov_b32 s2, 0x43f00000
	v_and_b32_e32 v2, 0xffff, v8
	v_cmp_gt_u32_e32 vcc, s2, v5
                                        ; implicit-def: $vgpr3
	s_and_saveexec_b64 s[2:3], vcc
	s_xor_b64 s[2:3], exec, s[2:3]
	s_cbranch_execz .LBB344_2010
; %bb.2005:
	s_mov_b32 s4, 0x3c7fffff
	v_cmp_lt_u32_e32 vcc, s4, v5
                                        ; implicit-def: $vgpr3
	s_and_saveexec_b64 s[4:5], vcc
	s_xor_b64 s[4:5], exec, s[4:5]
; %bb.2006:
	v_bfe_u32 v3, v2, 4, 1
	s_mov_b32 s6, 0x407ffff
	v_add3_u32 v3, v4, v3, s6
	v_lshrrev_b32_e32 v4, 20, v3
	v_and_b32_e32 v3, 0xff00000, v3
	s_mov_b32 s6, 0x7f00000
	v_mov_b32_e32 v5, 0x7e
	v_cmp_ne_u32_e32 vcc, s6, v3
	s_nop 1
	v_cndmask_b32_e32 v3, v5, v4, vcc
                                        ; implicit-def: $vgpr4
; %bb.2007:
	s_andn2_saveexec_b64 s[4:5], s[4:5]
; %bb.2008:
	s_mov_b32 s6, 0x46800000
	v_add_f32_e64 v3, |v4|, s6
; %bb.2009:
	s_or_b64 exec, exec, s[4:5]
                                        ; implicit-def: $vgpr5
.LBB344_2010:
	s_andn2_saveexec_b64 s[2:3], s[2:3]
; %bb.2011:
	s_mov_b32 s4, 0x7f800000
	v_mov_b32_e32 v3, 0x7e
	v_mov_b32_e32 v4, 0x7f
	v_cmp_lt_u32_e32 vcc, s4, v5
	s_nop 1
	v_cndmask_b32_e32 v3, v3, v4, vcc
; %bb.2012:
	s_or_b64 exec, exec, s[2:3]
	v_lshrrev_b32_e32 v2, 8, v2
	s_movk_i32 s2, 0x80
	v_and_or_b32 v2, v2, s2, v3
	global_store_byte v[0:1], v2, off
.LBB344_2013:
	s_mov_b64 s[2:3], 0
.LBB344_2014:
	s_andn2_b64 vcc, exec, s[2:3]
	s_cbranch_vccnz .LBB344_2024
; %bb.2015:
	v_lshlrev_b32_e32 v4, 16, v8
	v_and_b32_e32 v5, 0x7fffffff, v4
	s_mov_b32 s2, 0x47800000
	v_and_b32_e32 v2, 0xffff, v8
	v_cmp_gt_u32_e32 vcc, s2, v5
                                        ; implicit-def: $vgpr3
	s_and_saveexec_b64 s[2:3], vcc
	s_xor_b64 s[2:3], exec, s[2:3]
	s_cbranch_execz .LBB344_2021
; %bb.2016:
	s_mov_b32 s4, 0x387fffff
	v_cmp_lt_u32_e32 vcc, s4, v5
                                        ; implicit-def: $vgpr3
	s_and_saveexec_b64 s[4:5], vcc
	s_xor_b64 s[4:5], exec, s[4:5]
; %bb.2017:
	v_bfe_u32 v3, v2, 5, 1
	s_mov_b32 s6, 0x80fffff
	v_add3_u32 v3, v4, v3, s6
	v_lshrrev_b32_e32 v3, 21, v3
                                        ; implicit-def: $vgpr4
; %bb.2018:
	s_andn2_saveexec_b64 s[4:5], s[4:5]
; %bb.2019:
	s_mov_b32 s6, 0x43000000
	v_add_f32_e64 v3, |v4|, s6
; %bb.2020:
	s_or_b64 exec, exec, s[4:5]
                                        ; implicit-def: $vgpr5
.LBB344_2021:
	s_andn2_saveexec_b64 s[2:3], s[2:3]
; %bb.2022:
	s_mov_b32 s4, 0x7f800000
	v_mov_b32_e32 v3, 0x7c
	v_mov_b32_e32 v4, 0x7f
	v_cmp_lt_u32_e32 vcc, s4, v5
	s_nop 1
	v_cndmask_b32_e32 v3, v3, v4, vcc
; %bb.2023:
	s_or_b64 exec, exec, s[2:3]
	v_lshrrev_b32_e32 v2, 8, v2
	s_movk_i32 s2, 0x80
	v_and_or_b32 v2, v2, s2, v3
	global_store_byte v[0:1], v2, off
.LBB344_2024:
	s_mov_b64 s[2:3], 0
.LBB344_2025:
	s_andn2_b64 vcc, exec, s[2:3]
	s_mov_b64 s[2:3], 0
	s_cbranch_vccnz .LBB344_2032
; %bb.2026:
	s_cmp_gt_i32 s10, 14
	s_mov_b64 s[4:5], -1
	s_cbranch_scc0 .LBB344_2030
; %bb.2027:
	s_cmp_eq_u32 s10, 15
	s_mov_b64 s[0:1], -1
	s_cbranch_scc0 .LBB344_2029
; %bb.2028:
	global_store_short v[0:1], v8, off
	s_mov_b64 s[0:1], 0
.LBB344_2029:
	s_mov_b64 s[4:5], 0
.LBB344_2030:
	s_and_b64 vcc, exec, s[4:5]
	s_cbranch_vccz .LBB344_2032
; %bb.2031:
	s_cmp_lg_u32 s10, 11
	s_mov_b64 s[2:3], -1
	s_cselect_b64 s[0:1], -1, 0
.LBB344_2032:
	s_and_b64 vcc, exec, s[0:1]
	s_cbranch_vccnz .LBB344_2054
.LBB344_2033:
	s_mov_b64 s[0:1], 0
	s_branch .LBB344_1635
.LBB344_2034:
	s_mov_b64 s[0:1], 0
                                        ; implicit-def: $sgpr20
                                        ; implicit-def: $vgpr0_vgpr1
	s_branch .LBB344_1634
.LBB344_2035:
	s_mov_b64 s[2:3], 0
	s_mov_b64 s[0:1], -1
	s_branch .LBB344_1635
.LBB344_2036:
	s_trap 2
	s_or_b64 s[16:17], s[16:17], exec
	s_cbranch_execz .LBB344_1501
	s_branch .LBB344_1502
.LBB344_2037:
	s_andn2_saveexec_b64 s[18:19], s[18:19]
	s_cbranch_execz .LBB344_1583
.LBB344_2038:
	s_mov_b32 s21, 0x46000000
	v_add_f32_e64 v4, |v9|, s21
	v_and_b32_e32 v4, 0xff, v4
	v_cmp_ne_u32_e32 vcc, 0, v4
	s_andn2_b64 s[10:11], s[10:11], exec
	s_and_b64 s[22:23], vcc, exec
	s_or_b64 s[10:11], s[10:11], s[22:23]
	s_or_b64 exec, exec, s[18:19]
	v_mov_b32_e32 v10, 0
	s_and_saveexec_b64 s[18:19], s[10:11]
	s_cbranch_execnz .LBB344_1584
	s_branch .LBB344_1585
.LBB344_2039:
	s_trap 2
	s_or_b64 s[16:17], s[16:17], exec
	s_cbranch_execz .LBB344_1631
	s_branch .LBB344_1632
.LBB344_2040:
	s_andn2_saveexec_b64 s[10:11], s[10:11]
	s_cbranch_execz .LBB344_1596
.LBB344_2041:
	s_mov_b32 s18, 0x42800000
	v_add_f32_e64 v4, |v9|, s18
	v_and_b32_e32 v4, 0xff, v4
	v_cmp_ne_u32_e32 vcc, 0, v4
	s_andn2_b64 s[6:7], s[6:7], exec
	s_and_b64 s[18:19], vcc, exec
	s_or_b64 s[6:7], s[6:7], s[18:19]
	s_or_b64 exec, exec, s[10:11]
	v_mov_b32_e32 v10, 0
	s_and_saveexec_b64 s[10:11], s[6:7]
	s_cbranch_execnz .LBB344_1597
	s_branch .LBB344_1598
.LBB344_2042:
	s_andn2_saveexec_b64 s[10:11], s[10:11]
	s_cbranch_execz .LBB344_1748
.LBB344_2043:
	s_mov_b32 s21, 0x46000000
	v_add_f32_e64 v4, |v5|, s21
	v_and_b32_e32 v4, 0xff, v4
	v_cmp_ne_u32_e32 vcc, 0, v4
	s_andn2_b64 s[8:9], s[8:9], exec
	s_and_b64 s[22:23], vcc, exec
	s_or_b64 s[8:9], s[8:9], s[22:23]
	s_or_b64 exec, exec, s[10:11]
	v_mov_b32_e32 v9, 0
	s_and_saveexec_b64 s[10:11], s[8:9]
	s_cbranch_execnz .LBB344_1749
	s_branch .LBB344_1750
.LBB344_2044:
	s_trap 2
	s_or_b64 s[16:17], s[16:17], exec
	s_cbranch_execz .LBB344_1796
	s_branch .LBB344_1797
.LBB344_2045:
	s_andn2_saveexec_b64 s[8:9], s[8:9]
	s_cbranch_execz .LBB344_1761
.LBB344_2046:
	s_mov_b32 s10, 0x42800000
	v_add_f32_e64 v4, |v5|, s10
	v_and_b32_e32 v4, 0xff, v4
	v_cmp_ne_u32_e32 vcc, 0, v4
	s_andn2_b64 s[6:7], s[6:7], exec
	s_and_b64 s[10:11], vcc, exec
	s_or_b64 s[6:7], s[6:7], s[10:11]
	s_or_b64 exec, exec, s[8:9]
	v_mov_b32_e32 v9, 0
	s_and_saveexec_b64 s[8:9], s[6:7]
	s_cbranch_execnz .LBB344_1762
	s_branch .LBB344_1763
.LBB344_2047:
	s_andn2_saveexec_b64 s[10:11], s[10:11]
	s_cbranch_execz .LBB344_1867
.LBB344_2048:
	s_mov_b32 s21, 0x46000000
	v_add_f32_e64 v4, |v5|, s21
	v_and_b32_e32 v4, 0xff, v4
	v_cmp_ne_u32_e32 vcc, 0, v4
	s_andn2_b64 s[8:9], s[8:9], exec
	s_and_b64 s[22:23], vcc, exec
	s_or_b64 s[8:9], s[8:9], s[22:23]
	s_or_b64 exec, exec, s[10:11]
	v_mov_b32_e32 v6, 0
	s_and_saveexec_b64 s[10:11], s[8:9]
	s_cbranch_execnz .LBB344_1868
	s_branch .LBB344_1869
.LBB344_2049:
	s_trap 2
	s_or_b64 s[16:17], s[16:17], exec
	s_cbranch_execz .LBB344_1915
	s_branch .LBB344_1916
.LBB344_2050:
	s_andn2_saveexec_b64 s[8:9], s[8:9]
	s_cbranch_execz .LBB344_1880
.LBB344_2051:
	s_mov_b32 s10, 0x42800000
	v_add_f32_e64 v4, |v5|, s10
	v_and_b32_e32 v4, 0xff, v4
	v_cmp_ne_u32_e32 vcc, 0, v4
	s_andn2_b64 s[6:7], s[6:7], exec
	s_and_b64 s[10:11], vcc, exec
	s_or_b64 s[6:7], s[6:7], s[10:11]
	s_or_b64 exec, exec, s[8:9]
	v_mov_b32_e32 v6, 0
	s_and_saveexec_b64 s[8:9], s[6:7]
	s_cbranch_execnz .LBB344_1881
	s_branch .LBB344_1882
.LBB344_2052:
	s_andn2_saveexec_b64 s[8:9], s[8:9]
	s_cbranch_execz .LBB344_1987
.LBB344_2053:
	s_mov_b32 s11, 0x46000000
	v_add_f32_e64 v3, |v4|, s11
	v_and_b32_e32 v3, 0xff, v3
	v_cmp_ne_u32_e32 vcc, 0, v3
	s_andn2_b64 s[6:7], s[6:7], exec
	s_and_b64 s[18:19], vcc, exec
	s_or_b64 s[6:7], s[6:7], s[18:19]
	s_or_b64 exec, exec, s[8:9]
	v_mov_b32_e32 v5, 0
	s_and_saveexec_b64 s[8:9], s[6:7]
	s_cbranch_execnz .LBB344_1988
	s_branch .LBB344_1989
.LBB344_2054:
	s_mov_b64 s[2:3], 0
	s_or_b64 s[16:17], s[16:17], exec
	s_trap 2
	s_branch .LBB344_2033
.LBB344_2055:
	s_andn2_saveexec_b64 s[6:7], s[6:7]
	s_cbranch_execz .LBB344_1999
.LBB344_2056:
	s_mov_b32 s8, 0x42800000
	v_add_f32_e64 v3, |v4|, s8
	v_and_b32_e32 v3, 0xff, v3
	v_cmp_ne_u32_e32 vcc, 0, v3
	s_andn2_b64 s[4:5], s[4:5], exec
	s_and_b64 s[8:9], vcc, exec
	s_or_b64 s[4:5], s[4:5], s[8:9]
	s_or_b64 exec, exec, s[6:7]
	v_mov_b32_e32 v5, 0
	s_and_saveexec_b64 s[6:7], s[4:5]
	s_cbranch_execnz .LBB344_2000
	s_branch .LBB344_2001
	.section	.rodata,"a",@progbits
	.p2align	6, 0x0
	.amdhsa_kernel _ZN2at6native32elementwise_kernel_manual_unrollILi128ELi4EZNS0_15gpu_kernel_implIZZZNS0_17clamp_kernel_cudaERNS_18TensorIteratorBaseERKN3c106ScalarES8_ENKUlvE_clEvENKUlvE7_clEvEUlNS5_8BFloat16EE_EEvS4_RKT_EUlibE_EEviT1_
		.amdhsa_group_segment_fixed_size 0
		.amdhsa_private_segment_fixed_size 0
		.amdhsa_kernarg_size 40
		.amdhsa_user_sgpr_count 2
		.amdhsa_user_sgpr_dispatch_ptr 0
		.amdhsa_user_sgpr_queue_ptr 0
		.amdhsa_user_sgpr_kernarg_segment_ptr 1
		.amdhsa_user_sgpr_dispatch_id 0
		.amdhsa_user_sgpr_kernarg_preload_length 0
		.amdhsa_user_sgpr_kernarg_preload_offset 0
		.amdhsa_user_sgpr_private_segment_size 0
		.amdhsa_uses_dynamic_stack 0
		.amdhsa_enable_private_segment 0
		.amdhsa_system_sgpr_workgroup_id_x 1
		.amdhsa_system_sgpr_workgroup_id_y 0
		.amdhsa_system_sgpr_workgroup_id_z 0
		.amdhsa_system_sgpr_workgroup_info 0
		.amdhsa_system_vgpr_workitem_id 0
		.amdhsa_next_free_vgpr 14
		.amdhsa_next_free_sgpr 48
		.amdhsa_accum_offset 16
		.amdhsa_reserve_vcc 1
		.amdhsa_float_round_mode_32 0
		.amdhsa_float_round_mode_16_64 0
		.amdhsa_float_denorm_mode_32 3
		.amdhsa_float_denorm_mode_16_64 3
		.amdhsa_dx10_clamp 1
		.amdhsa_ieee_mode 1
		.amdhsa_fp16_overflow 0
		.amdhsa_tg_split 0
		.amdhsa_exception_fp_ieee_invalid_op 0
		.amdhsa_exception_fp_denorm_src 0
		.amdhsa_exception_fp_ieee_div_zero 0
		.amdhsa_exception_fp_ieee_overflow 0
		.amdhsa_exception_fp_ieee_underflow 0
		.amdhsa_exception_fp_ieee_inexact 0
		.amdhsa_exception_int_div_zero 0
	.end_amdhsa_kernel
	.section	.text._ZN2at6native32elementwise_kernel_manual_unrollILi128ELi4EZNS0_15gpu_kernel_implIZZZNS0_17clamp_kernel_cudaERNS_18TensorIteratorBaseERKN3c106ScalarES8_ENKUlvE_clEvENKUlvE7_clEvEUlNS5_8BFloat16EE_EEvS4_RKT_EUlibE_EEviT1_,"axG",@progbits,_ZN2at6native32elementwise_kernel_manual_unrollILi128ELi4EZNS0_15gpu_kernel_implIZZZNS0_17clamp_kernel_cudaERNS_18TensorIteratorBaseERKN3c106ScalarES8_ENKUlvE_clEvENKUlvE7_clEvEUlNS5_8BFloat16EE_EEvS4_RKT_EUlibE_EEviT1_,comdat
.Lfunc_end344:
	.size	_ZN2at6native32elementwise_kernel_manual_unrollILi128ELi4EZNS0_15gpu_kernel_implIZZZNS0_17clamp_kernel_cudaERNS_18TensorIteratorBaseERKN3c106ScalarES8_ENKUlvE_clEvENKUlvE7_clEvEUlNS5_8BFloat16EE_EEvS4_RKT_EUlibE_EEviT1_, .Lfunc_end344-_ZN2at6native32elementwise_kernel_manual_unrollILi128ELi4EZNS0_15gpu_kernel_implIZZZNS0_17clamp_kernel_cudaERNS_18TensorIteratorBaseERKN3c106ScalarES8_ENKUlvE_clEvENKUlvE7_clEvEUlNS5_8BFloat16EE_EEvS4_RKT_EUlibE_EEviT1_
                                        ; -- End function
	.set _ZN2at6native32elementwise_kernel_manual_unrollILi128ELi4EZNS0_15gpu_kernel_implIZZZNS0_17clamp_kernel_cudaERNS_18TensorIteratorBaseERKN3c106ScalarES8_ENKUlvE_clEvENKUlvE7_clEvEUlNS5_8BFloat16EE_EEvS4_RKT_EUlibE_EEviT1_.num_vgpr, 14
	.set _ZN2at6native32elementwise_kernel_manual_unrollILi128ELi4EZNS0_15gpu_kernel_implIZZZNS0_17clamp_kernel_cudaERNS_18TensorIteratorBaseERKN3c106ScalarES8_ENKUlvE_clEvENKUlvE7_clEvEUlNS5_8BFloat16EE_EEvS4_RKT_EUlibE_EEviT1_.num_agpr, 0
	.set _ZN2at6native32elementwise_kernel_manual_unrollILi128ELi4EZNS0_15gpu_kernel_implIZZZNS0_17clamp_kernel_cudaERNS_18TensorIteratorBaseERKN3c106ScalarES8_ENKUlvE_clEvENKUlvE7_clEvEUlNS5_8BFloat16EE_EEvS4_RKT_EUlibE_EEviT1_.numbered_sgpr, 48
	.set _ZN2at6native32elementwise_kernel_manual_unrollILi128ELi4EZNS0_15gpu_kernel_implIZZZNS0_17clamp_kernel_cudaERNS_18TensorIteratorBaseERKN3c106ScalarES8_ENKUlvE_clEvENKUlvE7_clEvEUlNS5_8BFloat16EE_EEvS4_RKT_EUlibE_EEviT1_.num_named_barrier, 0
	.set _ZN2at6native32elementwise_kernel_manual_unrollILi128ELi4EZNS0_15gpu_kernel_implIZZZNS0_17clamp_kernel_cudaERNS_18TensorIteratorBaseERKN3c106ScalarES8_ENKUlvE_clEvENKUlvE7_clEvEUlNS5_8BFloat16EE_EEvS4_RKT_EUlibE_EEviT1_.private_seg_size, 0
	.set _ZN2at6native32elementwise_kernel_manual_unrollILi128ELi4EZNS0_15gpu_kernel_implIZZZNS0_17clamp_kernel_cudaERNS_18TensorIteratorBaseERKN3c106ScalarES8_ENKUlvE_clEvENKUlvE7_clEvEUlNS5_8BFloat16EE_EEvS4_RKT_EUlibE_EEviT1_.uses_vcc, 1
	.set _ZN2at6native32elementwise_kernel_manual_unrollILi128ELi4EZNS0_15gpu_kernel_implIZZZNS0_17clamp_kernel_cudaERNS_18TensorIteratorBaseERKN3c106ScalarES8_ENKUlvE_clEvENKUlvE7_clEvEUlNS5_8BFloat16EE_EEvS4_RKT_EUlibE_EEviT1_.uses_flat_scratch, 0
	.set _ZN2at6native32elementwise_kernel_manual_unrollILi128ELi4EZNS0_15gpu_kernel_implIZZZNS0_17clamp_kernel_cudaERNS_18TensorIteratorBaseERKN3c106ScalarES8_ENKUlvE_clEvENKUlvE7_clEvEUlNS5_8BFloat16EE_EEvS4_RKT_EUlibE_EEviT1_.has_dyn_sized_stack, 0
	.set _ZN2at6native32elementwise_kernel_manual_unrollILi128ELi4EZNS0_15gpu_kernel_implIZZZNS0_17clamp_kernel_cudaERNS_18TensorIteratorBaseERKN3c106ScalarES8_ENKUlvE_clEvENKUlvE7_clEvEUlNS5_8BFloat16EE_EEvS4_RKT_EUlibE_EEviT1_.has_recursion, 0
	.set _ZN2at6native32elementwise_kernel_manual_unrollILi128ELi4EZNS0_15gpu_kernel_implIZZZNS0_17clamp_kernel_cudaERNS_18TensorIteratorBaseERKN3c106ScalarES8_ENKUlvE_clEvENKUlvE7_clEvEUlNS5_8BFloat16EE_EEvS4_RKT_EUlibE_EEviT1_.has_indirect_call, 0
	.section	.AMDGPU.csdata,"",@progbits
; Kernel info:
; codeLenInByte = 38524
; TotalNumSgprs: 54
; NumVgprs: 14
; NumAgprs: 0
; TotalNumVgprs: 14
; ScratchSize: 0
; MemoryBound: 0
; FloatMode: 240
; IeeeMode: 1
; LDSByteSize: 0 bytes/workgroup (compile time only)
; SGPRBlocks: 6
; VGPRBlocks: 1
; NumSGPRsForWavesPerEU: 54
; NumVGPRsForWavesPerEU: 14
; AccumOffset: 16
; Occupancy: 8
; WaveLimiterHint : 0
; COMPUTE_PGM_RSRC2:SCRATCH_EN: 0
; COMPUTE_PGM_RSRC2:USER_SGPR: 2
; COMPUTE_PGM_RSRC2:TRAP_HANDLER: 0
; COMPUTE_PGM_RSRC2:TGID_X_EN: 1
; COMPUTE_PGM_RSRC2:TGID_Y_EN: 0
; COMPUTE_PGM_RSRC2:TGID_Z_EN: 0
; COMPUTE_PGM_RSRC2:TIDIG_COMP_CNT: 0
; COMPUTE_PGM_RSRC3_GFX90A:ACCUM_OFFSET: 3
; COMPUTE_PGM_RSRC3_GFX90A:TG_SPLIT: 0
	.section	.text._ZN2at6native32elementwise_kernel_manual_unrollILi128ELi4EZNS0_15gpu_kernel_implIZZZNS0_17clamp_kernel_cudaERNS_18TensorIteratorBaseERKN3c106ScalarES8_ENKUlvE_clEvENKUlvE7_clEvEUlNS5_8BFloat16EE_EEvS4_RKT_EUlibE0_EEviT1_,"axG",@progbits,_ZN2at6native32elementwise_kernel_manual_unrollILi128ELi4EZNS0_15gpu_kernel_implIZZZNS0_17clamp_kernel_cudaERNS_18TensorIteratorBaseERKN3c106ScalarES8_ENKUlvE_clEvENKUlvE7_clEvEUlNS5_8BFloat16EE_EEvS4_RKT_EUlibE0_EEviT1_,comdat
	.globl	_ZN2at6native32elementwise_kernel_manual_unrollILi128ELi4EZNS0_15gpu_kernel_implIZZZNS0_17clamp_kernel_cudaERNS_18TensorIteratorBaseERKN3c106ScalarES8_ENKUlvE_clEvENKUlvE7_clEvEUlNS5_8BFloat16EE_EEvS4_RKT_EUlibE0_EEviT1_ ; -- Begin function _ZN2at6native32elementwise_kernel_manual_unrollILi128ELi4EZNS0_15gpu_kernel_implIZZZNS0_17clamp_kernel_cudaERNS_18TensorIteratorBaseERKN3c106ScalarES8_ENKUlvE_clEvENKUlvE7_clEvEUlNS5_8BFloat16EE_EEvS4_RKT_EUlibE0_EEviT1_
	.p2align	8
	.type	_ZN2at6native32elementwise_kernel_manual_unrollILi128ELi4EZNS0_15gpu_kernel_implIZZZNS0_17clamp_kernel_cudaERNS_18TensorIteratorBaseERKN3c106ScalarES8_ENKUlvE_clEvENKUlvE7_clEvEUlNS5_8BFloat16EE_EEvS4_RKT_EUlibE0_EEviT1_,@function
_ZN2at6native32elementwise_kernel_manual_unrollILi128ELi4EZNS0_15gpu_kernel_implIZZZNS0_17clamp_kernel_cudaERNS_18TensorIteratorBaseERKN3c106ScalarES8_ENKUlvE_clEvENKUlvE7_clEvEUlNS5_8BFloat16EE_EEvS4_RKT_EUlibE0_EEviT1_: ; @_ZN2at6native32elementwise_kernel_manual_unrollILi128ELi4EZNS0_15gpu_kernel_implIZZZNS0_17clamp_kernel_cudaERNS_18TensorIteratorBaseERKN3c106ScalarES8_ENKUlvE_clEvENKUlvE7_clEvEUlNS5_8BFloat16EE_EEvS4_RKT_EUlibE0_EEviT1_
; %bb.0:
	s_load_dword s72, s[0:1], 0x0
	s_load_dword s33, s[0:1], 0x8
	s_add_u32 s34, s0, 8
	s_addc_u32 s35, s1, 0
	v_lshl_or_b32 v8, s2, 9, v0
	v_or_b32_e32 v16, 0x180, v8
	s_waitcnt lgkmcnt(0)
	s_add_i32 s74, s33, -1
	s_cmp_gt_u32 s74, 1
	v_cmp_le_i32_e32 vcc, s72, v16
	s_cselect_b64 s[42:43], -1, 0
	s_mov_b64 s[40:41], 0
	s_mov_b64 s[24:25], 0
	s_and_saveexec_b64 s[2:3], vcc
	s_xor_b64 s[44:45], exec, s[2:3]
	s_cbranch_execz .LBB345_1098
; %bb.1:
	s_load_dwordx4 s[24:27], s[34:35], 0x4
	s_load_dwordx2 s[48:49], s[34:35], 0x14
	s_load_dwordx2 s[46:47], s[34:35], 0x158
	s_cmp_lg_u32 s33, 0
	s_load_dwordx4 s[28:31], s[34:35], 0xc4
	s_load_dwordx4 s[20:23], s[34:35], 0x148
	s_cselect_b64 s[54:55], -1, 0
	s_add_u32 s52, s34, 0xc4
	s_addc_u32 s53, s35, 0
	s_min_u32 s79, s74, 15
	s_cmp_gt_u32 s33, 1
	s_cselect_b64 s[50:51], -1, 0
	s_waitcnt lgkmcnt(0)
	s_lshr_b32 s75, s46, 16
	s_bfe_u32 s78, s47, 0x80008
	s_lshl_b32 s77, s46, 16
	s_pack_lh_b32_b16 s76, 0, s46
	v_cmp_gt_i32_e32 vcc, s72, v8
	s_mov_b64 s[4:5], -1
	s_mov_b64 s[64:65], 0
	s_mov_b64 s[58:59], 0
	;; [unrolled: 1-line block ×3, first 2 shown]
	s_and_saveexec_b64 s[60:61], vcc
	s_cbranch_execz .LBB345_269
; %bb.2:
	s_andn2_b64 vcc, exec, s[42:43]
	s_cbranch_vccnz .LBB345_8
; %bb.3:
	s_andn2_b64 vcc, exec, s[54:55]
	s_cbranch_vccnz .LBB345_9
; %bb.4:
	s_add_i32 s59, s79, 1
	s_cmp_eq_u32 s74, 2
	s_cbranch_scc1 .LBB345_10
; %bb.5:
	s_and_b32 s58, s59, 28
	s_mov_b32 s62, 0
	v_mov_b32_e32 v0, 0
	v_mov_b32_e32 v2, 0
	s_mov_b64 s[2:3], s[34:35]
	s_mov_b64 s[56:57], s[52:53]
	v_mov_b32_e32 v4, v8
.LBB345_6:                              ; =>This Inner Loop Header: Depth=1
	s_load_dwordx8 s[12:19], s[2:3], 0x4
	s_load_dwordx4 s[36:39], s[2:3], 0x24
	s_load_dwordx8 s[4:11], s[56:57], 0x0
	s_add_u32 s2, s2, 48
	s_addc_u32 s3, s3, 0
	s_waitcnt lgkmcnt(0)
	v_mul_hi_u32 v1, s13, v4
	v_add_u32_e32 v1, v4, v1
	v_lshrrev_b32_e32 v1, s14, v1
	v_mul_lo_u32 v3, v1, s12
	v_mul_hi_u32 v5, s16, v1
	v_sub_u32_e32 v3, v4, v3
	v_add_u32_e32 v4, v1, v5
	v_lshrrev_b32_e32 v4, s17, v4
	v_mul_lo_u32 v6, v4, s15
	v_mul_hi_u32 v7, s19, v4
	v_sub_u32_e32 v1, v1, v6
	v_add_u32_e32 v6, v4, v7
	v_mul_lo_u32 v5, v3, s5
	v_mul_lo_u32 v3, v3, s4
	;; [unrolled: 1-line block ×4, first 2 shown]
	v_lshrrev_b32_e32 v6, s36, v6
	v_add3_u32 v0, v3, v0, v1
	v_mul_hi_u32 v3, s38, v6
	v_add3_u32 v1, v5, v2, v7
	v_mul_lo_u32 v2, v6, s18
	v_add_u32_e32 v3, v6, v3
	v_sub_u32_e32 v2, v4, v2
	v_lshrrev_b32_e32 v4, s39, v3
	s_add_i32 s62, s62, 4
	v_mul_lo_u32 v3, v4, s37
	s_add_u32 s56, s56, 32
	v_sub_u32_e32 v3, v6, v3
	s_addc_u32 s57, s57, 0
	v_mul_lo_u32 v5, v2, s8
	v_mul_lo_u32 v2, v2, s9
	;; [unrolled: 1-line block ×4, first 2 shown]
	s_cmp_lg_u32 s58, s62
	v_add3_u32 v2, v2, v1, v3
	v_add3_u32 v0, v5, v0, v6
	s_cbranch_scc1 .LBB345_6
; %bb.7:
	v_mov_b32_e32 v1, v2
	s_branch .LBB345_11
.LBB345_8:
                                        ; implicit-def: $vgpr2
                                        ; implicit-def: $vgpr0
	s_branch .LBB345_15
.LBB345_9:
	v_mov_b32_e32 v2, 0
	v_mov_b32_e32 v0, 0
	s_branch .LBB345_14
.LBB345_10:
	v_mov_b32_e32 v0, 0
	s_mov_b32 s58, 0
	v_mov_b32_e32 v1, v0
                                        ; implicit-def: $vgpr2
	v_mov_b32_e32 v4, v8
.LBB345_11:
	s_and_b32 s6, s59, 3
	s_cmp_eq_u32 s6, 0
	s_cbranch_scc1 .LBB345_14
; %bb.12:
	s_lshl_b32 s2, s58, 3
	s_add_u32 s2, s34, s2
	s_addc_u32 s3, s35, 0
	s_add_u32 s2, s2, 0xc4
	s_addc_u32 s3, s3, 0
	s_mul_i32 s4, s58, 12
	s_add_u32 s4, s34, s4
	s_addc_u32 s5, s35, 0
.LBB345_13:                             ; =>This Inner Loop Header: Depth=1
	s_load_dwordx2 s[8:9], s[4:5], 0x4
	s_load_dword s7, s[4:5], 0xc
	s_load_dwordx2 s[10:11], s[2:3], 0x0
	v_mov_b32_e32 v2, v1
	s_add_u32 s4, s4, 12
	s_waitcnt lgkmcnt(0)
	v_mul_hi_u32 v1, s9, v4
	v_add_u32_e32 v1, v4, v1
	v_lshrrev_b32_e32 v1, s7, v1
	s_addc_u32 s5, s5, 0
	v_mul_lo_u32 v3, v1, s8
	s_add_u32 s2, s2, 8
	v_sub_u32_e32 v5, v4, v3
	s_addc_u32 s3, s3, 0
	s_add_i32 s6, s6, -1
	v_mov_b32_e32 v4, v1
	v_mad_u64_u32 v[2:3], s[8:9], v5, s11, v[2:3]
	v_mad_u64_u32 v[0:1], s[8:9], v5, s10, v[0:1]
	s_cmp_lg_u32 s6, 0
	v_mov_b32_e32 v1, v2
	s_cbranch_scc1 .LBB345_13
.LBB345_14:
	s_cbranch_execnz .LBB345_17
.LBB345_15:
	v_mul_hi_u32 v0, s25, v8
	v_add_u32_e32 v0, v8, v0
	v_lshrrev_b32_e32 v1, s26, v0
	v_mul_lo_u32 v0, v1, s24
	v_sub_u32_e32 v0, v8, v0
	v_mul_lo_u32 v2, v0, s29
	s_andn2_b64 vcc, exec, s[50:51]
	v_mul_lo_u32 v0, v0, s28
	s_cbranch_vccnz .LBB345_17
; %bb.16:
	v_mul_hi_u32 v3, s48, v1
	v_add_u32_e32 v3, v1, v3
	v_lshrrev_b32_e32 v3, s49, v3
	v_mul_lo_u32 v3, v3, s27
	v_sub_u32_e32 v3, v1, v3
	v_mad_u64_u32 v[0:1], s[2:3], v3, s30, v[0:1]
	v_mad_u64_u32 v[2:3], s[2:3], v3, s31, v[2:3]
.LBB345_17:
	v_mov_b32_e32 v3, 0
	s_and_b32 s10, 0xffff, s78
	s_cmp_lt_i32 s10, 11
	v_lshl_add_u64 v[2:3], s[22:23], 0, v[2:3]
	s_cbranch_scc1 .LBB345_24
; %bb.18:
	s_cmp_gt_i32 s10, 25
	s_cbranch_scc0 .LBB345_35
; %bb.19:
	s_cmp_gt_i32 s10, 28
	s_cbranch_scc0 .LBB345_38
	;; [unrolled: 3-line block ×4, first 2 shown]
; %bb.22:
	s_cmp_eq_u32 s10, 46
	s_mov_b64 s[6:7], 0
	s_cbranch_scc0 .LBB345_44
; %bb.23:
	global_load_dword v4, v[2:3], off
	s_mov_b64 s[2:3], -1
	s_mov_b64 s[4:5], 0
	s_branch .LBB345_46
.LBB345_24:
	s_mov_b64 s[4:5], 0
                                        ; implicit-def: $vgpr4
	s_mov_b64 s[2:3], 0
	s_cbranch_execnz .LBB345_219
.LBB345_25:
	s_andn2_b64 vcc, exec, s[2:3]
	s_cbranch_vccnz .LBB345_266
.LBB345_26:
	s_waitcnt vmcnt(0)
	v_lshlrev_b32_e32 v1, 16, v4
	v_cmp_o_f32_e32 vcc, v1, v1
	s_and_saveexec_b64 s[2:3], vcc
; %bb.27:
	v_mov_b32_e32 v2, s46
	v_cmp_lt_f32_e32 vcc, s77, v1
	v_mov_b32_e32 v3, s75
	s_nop 0
	v_cndmask_b32_e32 v1, v2, v4, vcc
	v_lshlrev_b32_e32 v2, 16, v1
	v_cmp_gt_f32_e32 vcc, s76, v2
	s_nop 1
	v_cndmask_b32_e32 v4, v3, v1, vcc
; %bb.28:
	s_or_b64 exec, exec, s[2:3]
	v_mov_b32_e32 v1, 0
	s_and_b32 s12, s47, 0xff
	s_cmp_lt_i32 s12, 11
	v_lshl_add_u64 v[0:1], s[20:21], 0, v[0:1]
	s_cbranch_scc1 .LBB345_36
; %bb.29:
	s_and_b32 s13, 0xffff, s12
	s_cmp_gt_i32 s13, 25
	s_cbranch_scc0 .LBB345_39
; %bb.30:
	s_cmp_gt_i32 s13, 28
	s_cbranch_scc0 .LBB345_41
; %bb.31:
	;; [unrolled: 3-line block ×4, first 2 shown]
	s_mov_b64 s[8:9], 0
	s_mov_b64 s[2:3], -1
	s_cmp_eq_u32 s13, 46
	s_mov_b64 s[6:7], 0
	s_cbranch_scc0 .LBB345_50
; %bb.34:
	v_and_b32_e32 v2, 0xffff, v4
	global_store_dword v[0:1], v2, off
	s_mov_b64 s[6:7], -1
	s_mov_b64 s[2:3], 0
	s_branch .LBB345_50
.LBB345_35:
	s_mov_b64 s[4:5], 0
	s_mov_b64 s[2:3], 0
                                        ; implicit-def: $vgpr4
	s_cbranch_execnz .LBB345_184
	s_branch .LBB345_218
.LBB345_36:
	s_mov_b64 s[2:3], 0
	s_mov_b64 s[6:7], 0
	s_cbranch_execnz .LBB345_119
.LBB345_37:
	s_andn2_b64 vcc, exec, s[6:7]
	s_cbranch_vccnz .LBB345_267
	s_branch .LBB345_157
.LBB345_38:
	s_mov_b64 s[6:7], -1
	s_mov_b64 s[4:5], 0
	s_mov_b64 s[2:3], 0
                                        ; implicit-def: $vgpr4
	s_branch .LBB345_165
.LBB345_39:
	s_mov_b64 s[8:9], -1
	s_mov_b64 s[2:3], 0
	s_mov_b64 s[6:7], 0
	s_branch .LBB345_77
.LBB345_40:
	s_mov_b64 s[6:7], -1
	s_mov_b64 s[4:5], 0
	s_mov_b64 s[2:3], 0
                                        ; implicit-def: $vgpr4
	s_branch .LBB345_160
.LBB345_41:
	s_mov_b64 s[8:9], -1
	s_mov_b64 s[2:3], 0
	s_mov_b64 s[6:7], 0
	s_branch .LBB345_60
.LBB345_42:
	s_mov_b64 s[6:7], -1
	s_mov_b64 s[4:5], 0
	s_branch .LBB345_45
.LBB345_43:
	s_mov_b64 s[8:9], -1
	s_mov_b64 s[2:3], 0
	s_mov_b64 s[6:7], 0
	s_branch .LBB345_56
.LBB345_44:
	s_mov_b64 s[4:5], -1
.LBB345_45:
	s_mov_b64 s[2:3], 0
                                        ; implicit-def: $vgpr4
.LBB345_46:
	s_and_b64 vcc, exec, s[6:7]
	s_cbranch_vccz .LBB345_159
; %bb.47:
	s_cmp_eq_u32 s10, 44
	s_cbranch_scc0 .LBB345_158
; %bb.48:
	global_load_ubyte v1, v[2:3], off
	s_movk_i32 s4, 0xff
	s_waitcnt vmcnt(1)
	v_mov_b32_e32 v4, 0x7f800001
	v_mov_b32_e32 v5, 0x400000
	;; [unrolled: 1-line block ×3, first 2 shown]
	s_mov_b64 s[2:3], -1
	s_waitcnt vmcnt(0)
	v_lshlrev_b32_e32 v7, 23, v1
	v_cmp_ne_u32_e32 vcc, s4, v1
	s_mov_b64 s[4:5], 0
	s_nop 0
	v_cndmask_b32_e32 v4, v4, v7, vcc
	v_cmp_ne_u32_e32 vcc, 0, v1
	s_nop 1
	v_cndmask_b32_e32 v1, v5, v4, vcc
	v_add_u32_e32 v4, 0x7fff, v1
	v_cmp_o_f32_e32 vcc, v1, v1
	s_nop 1
	v_cndmask_b32_sdwa v4, v6, v4, vcc dst_sel:DWORD dst_unused:UNUSED_PAD src0_sel:DWORD src1_sel:WORD_1
	s_branch .LBB345_159
.LBB345_49:
	s_mov_b64 s[8:9], -1
	s_mov_b64 s[2:3], 0
	s_mov_b64 s[6:7], 0
.LBB345_50:
	s_and_b64 vcc, exec, s[8:9]
	s_cbranch_vccz .LBB345_55
; %bb.51:
	s_cmp_eq_u32 s13, 44
	s_mov_b64 s[2:3], -1
	s_cbranch_scc0 .LBB345_55
; %bb.52:
	v_and_b32_e32 v3, 0xffff, v4
	v_bfe_u32 v2, v3, 7, 8
	s_movk_i32 s2, 0xff
	v_cmp_ne_u32_e32 vcc, s2, v2
	v_mov_b32_e32 v5, 0xff
	s_and_saveexec_b64 s[6:7], vcc
	s_cbranch_execz .LBB345_54
; %bb.53:
	v_lshlrev_b32_e32 v6, 16, v3
	s_mov_b32 s2, 0x3f0000
	v_lshrrev_b32_e32 v5, 7, v3
	v_and_b32_e32 v3, 64, v3
	v_and_or_b32 v2, v6, s2, v2
	v_cmp_ne_u32_e32 vcc, 0, v3
	v_cmp_ne_u32_e64 s[2:3], 0, v2
	s_and_b64 s[2:3], vcc, s[2:3]
	s_nop 0
	v_cndmask_b32_e64 v2, 0, 1, s[2:3]
	v_add_u32_e32 v5, v5, v2
.LBB345_54:
	s_or_b64 exec, exec, s[6:7]
	s_mov_b64 s[6:7], -1
	s_mov_b64 s[2:3], 0
	global_store_byte v[0:1], v5, off
.LBB345_55:
	s_mov_b64 s[8:9], 0
.LBB345_56:
	s_and_b64 vcc, exec, s[8:9]
	s_cbranch_vccz .LBB345_59
; %bb.57:
	s_cmp_eq_u32 s13, 29
	s_mov_b64 s[2:3], -1
	s_cbranch_scc0 .LBB345_59
; %bb.58:
	v_lshlrev_b32_e32 v2, 16, v4
	v_trunc_f32_e32 v2, v2
	v_mul_f32_e32 v3, 0x2f800000, v2
	v_floor_f32_e32 v5, v3
	v_fmamk_f32 v2, v5, 0xcf800000, v2
	v_cvt_u32_f32_e32 v3, v5
	v_cvt_u32_f32_e32 v2, v2
	s_mov_b64 s[6:7], -1
	s_mov_b64 s[2:3], 0
	s_mov_b64 s[8:9], 0
	global_store_dwordx2 v[0:1], v[2:3], off
	s_branch .LBB345_60
.LBB345_59:
	s_mov_b64 s[8:9], 0
.LBB345_60:
	s_and_b64 vcc, exec, s[8:9]
	s_cbranch_vccz .LBB345_76
; %bb.61:
	s_cmp_lt_i32 s13, 27
	s_mov_b64 s[6:7], -1
	s_cbranch_scc1 .LBB345_67
; %bb.62:
	s_cmp_gt_i32 s13, 27
	s_cbranch_scc0 .LBB345_64
; %bb.63:
	v_lshlrev_b32_e32 v2, 16, v4
	v_cvt_u32_f32_e32 v2, v2
	s_mov_b64 s[6:7], 0
	global_store_dword v[0:1], v2, off
.LBB345_64:
	s_andn2_b64 vcc, exec, s[6:7]
	s_cbranch_vccnz .LBB345_66
; %bb.65:
	v_lshlrev_b32_e32 v2, 16, v4
	v_cvt_u32_f32_e32 v2, v2
	global_store_short v[0:1], v2, off
.LBB345_66:
	s_mov_b64 s[6:7], 0
.LBB345_67:
	s_andn2_b64 vcc, exec, s[6:7]
	s_cbranch_vccnz .LBB345_75
; %bb.68:
	v_lshlrev_b32_e32 v5, 16, v4
	v_and_b32_e32 v3, 0x7fffffff, v5
	s_mov_b32 s6, 0x43800000
	v_cmp_gt_u32_e32 vcc, s6, v3
	v_mov_b32_e32 v6, 0x80
	s_and_saveexec_b64 s[6:7], vcc
	s_cbranch_execz .LBB345_74
; %bb.69:
	s_mov_b32 s8, 0x3bffffff
	v_and_b32_e32 v2, 0xffff, v4
	v_cmp_lt_u32_e32 vcc, s8, v3
	s_mov_b64 s[8:9], 0
                                        ; implicit-def: $vgpr3
	s_and_saveexec_b64 s[10:11], vcc
	s_xor_b64 s[10:11], exec, s[10:11]
	s_cbranch_execz .LBB345_313
; %bb.70:
	v_bfe_u32 v3, v2, 4, 1
	s_mov_b32 s14, 0x487ffff
	v_add3_u32 v3, v5, v3, s14
	s_mov_b64 s[8:9], exec
	v_lshrrev_b32_e32 v3, 20, v3
                                        ; implicit-def: $vgpr5
	s_andn2_saveexec_b64 s[10:11], s[10:11]
	s_cbranch_execnz .LBB345_314
.LBB345_71:
	s_or_b64 exec, exec, s[10:11]
	v_mov_b32_e32 v6, 0
	s_and_saveexec_b64 s[10:11], s[8:9]
.LBB345_72:
	v_lshrrev_b32_e32 v2, 8, v2
	s_movk_i32 s8, 0x80
	v_and_or_b32 v6, v2, s8, v3
.LBB345_73:
	s_or_b64 exec, exec, s[10:11]
.LBB345_74:
	s_or_b64 exec, exec, s[6:7]
	global_store_byte v[0:1], v6, off
.LBB345_75:
	s_mov_b64 s[6:7], -1
.LBB345_76:
	s_mov_b64 s[8:9], 0
.LBB345_77:
	s_and_b64 vcc, exec, s[8:9]
	s_cbranch_vccz .LBB345_118
; %bb.78:
	s_cmp_gt_i32 s13, 22
	s_mov_b64 s[8:9], -1
	s_cbranch_scc0 .LBB345_110
; %bb.79:
	s_cmp_lt_i32 s13, 24
	s_mov_b64 s[6:7], -1
	s_cbranch_scc1 .LBB345_99
; %bb.80:
	s_cmp_gt_i32 s13, 24
	s_cbranch_scc0 .LBB345_88
; %bb.81:
	v_lshlrev_b32_e32 v5, 16, v4
	v_and_b32_e32 v3, 0x7fffffff, v5
	s_mov_b32 s6, 0x47800000
	v_cmp_gt_u32_e32 vcc, s6, v3
	v_mov_b32_e32 v6, 0x80
	s_and_saveexec_b64 s[6:7], vcc
	s_cbranch_execz .LBB345_87
; %bb.82:
	s_mov_b32 s8, 0x37ffffff
	v_and_b32_e32 v2, 0xffff, v4
	v_cmp_lt_u32_e32 vcc, s8, v3
	s_mov_b64 s[8:9], 0
                                        ; implicit-def: $vgpr3
	s_and_saveexec_b64 s[10:11], vcc
	s_xor_b64 s[10:11], exec, s[10:11]
	s_cbranch_execz .LBB345_317
; %bb.83:
	v_bfe_u32 v3, v2, 5, 1
	s_mov_b32 s14, 0x88fffff
	v_add3_u32 v3, v5, v3, s14
	s_mov_b64 s[8:9], exec
	v_lshrrev_b32_e32 v3, 21, v3
                                        ; implicit-def: $vgpr5
	s_andn2_saveexec_b64 s[10:11], s[10:11]
	s_cbranch_execnz .LBB345_318
.LBB345_84:
	s_or_b64 exec, exec, s[10:11]
	v_mov_b32_e32 v6, 0
	s_and_saveexec_b64 s[10:11], s[8:9]
.LBB345_85:
	v_lshrrev_b32_e32 v2, 8, v2
	s_movk_i32 s8, 0x80
	v_and_or_b32 v6, v2, s8, v3
.LBB345_86:
	s_or_b64 exec, exec, s[10:11]
.LBB345_87:
	s_or_b64 exec, exec, s[6:7]
	s_mov_b64 s[6:7], 0
	global_store_byte v[0:1], v6, off
.LBB345_88:
	s_and_b64 vcc, exec, s[6:7]
	s_cbranch_vccz .LBB345_98
; %bb.89:
	v_lshlrev_b32_e32 v5, 16, v4
	v_and_b32_e32 v6, 0x7fffffff, v5
	s_mov_b32 s6, 0x43f00000
	v_and_b32_e32 v2, 0xffff, v4
	v_cmp_gt_u32_e32 vcc, s6, v6
                                        ; implicit-def: $vgpr3
	s_and_saveexec_b64 s[6:7], vcc
	s_xor_b64 s[6:7], exec, s[6:7]
	s_cbranch_execz .LBB345_95
; %bb.90:
	s_mov_b32 s8, 0x3c7fffff
	v_cmp_lt_u32_e32 vcc, s8, v6
                                        ; implicit-def: $vgpr3
	s_and_saveexec_b64 s[8:9], vcc
	s_xor_b64 s[8:9], exec, s[8:9]
; %bb.91:
	v_bfe_u32 v3, v2, 4, 1
	s_mov_b32 s10, 0x407ffff
	v_add3_u32 v3, v5, v3, s10
	v_lshrrev_b32_e32 v5, 20, v3
	v_and_b32_e32 v3, 0xff00000, v3
	s_mov_b32 s10, 0x7f00000
	v_mov_b32_e32 v6, 0x7e
	v_cmp_ne_u32_e32 vcc, s10, v3
	s_nop 1
	v_cndmask_b32_e32 v3, v6, v5, vcc
                                        ; implicit-def: $vgpr5
; %bb.92:
	s_andn2_saveexec_b64 s[8:9], s[8:9]
; %bb.93:
	s_mov_b32 s10, 0x46800000
	v_add_f32_e64 v3, |v5|, s10
; %bb.94:
	s_or_b64 exec, exec, s[8:9]
                                        ; implicit-def: $vgpr6
.LBB345_95:
	s_andn2_saveexec_b64 s[6:7], s[6:7]
; %bb.96:
	s_mov_b32 s8, 0x7f800000
	v_mov_b32_e32 v3, 0x7e
	v_mov_b32_e32 v5, 0x7f
	v_cmp_lt_u32_e32 vcc, s8, v6
	s_nop 1
	v_cndmask_b32_e32 v3, v3, v5, vcc
; %bb.97:
	s_or_b64 exec, exec, s[6:7]
	v_lshrrev_b32_e32 v2, 8, v2
	s_movk_i32 s6, 0x80
	v_and_or_b32 v2, v2, s6, v3
	global_store_byte v[0:1], v2, off
.LBB345_98:
	s_mov_b64 s[6:7], 0
.LBB345_99:
	s_andn2_b64 vcc, exec, s[6:7]
	s_cbranch_vccnz .LBB345_109
; %bb.100:
	v_lshlrev_b32_e32 v5, 16, v4
	v_and_b32_e32 v6, 0x7fffffff, v5
	s_mov_b32 s6, 0x47800000
	v_and_b32_e32 v2, 0xffff, v4
	v_cmp_gt_u32_e32 vcc, s6, v6
                                        ; implicit-def: $vgpr3
	s_and_saveexec_b64 s[6:7], vcc
	s_xor_b64 s[6:7], exec, s[6:7]
	s_cbranch_execz .LBB345_106
; %bb.101:
	s_mov_b32 s8, 0x387fffff
	v_cmp_lt_u32_e32 vcc, s8, v6
                                        ; implicit-def: $vgpr3
	s_and_saveexec_b64 s[8:9], vcc
	s_xor_b64 s[8:9], exec, s[8:9]
; %bb.102:
	v_bfe_u32 v3, v2, 5, 1
	s_mov_b32 s10, 0x80fffff
	v_add3_u32 v3, v5, v3, s10
	v_lshrrev_b32_e32 v3, 21, v3
                                        ; implicit-def: $vgpr5
; %bb.103:
	s_andn2_saveexec_b64 s[8:9], s[8:9]
; %bb.104:
	s_mov_b32 s10, 0x43000000
	v_add_f32_e64 v3, |v5|, s10
; %bb.105:
	s_or_b64 exec, exec, s[8:9]
                                        ; implicit-def: $vgpr6
.LBB345_106:
	s_andn2_saveexec_b64 s[6:7], s[6:7]
; %bb.107:
	s_mov_b32 s8, 0x7f800000
	v_mov_b32_e32 v3, 0x7c
	v_mov_b32_e32 v5, 0x7f
	v_cmp_lt_u32_e32 vcc, s8, v6
	s_nop 1
	v_cndmask_b32_e32 v3, v3, v5, vcc
; %bb.108:
	s_or_b64 exec, exec, s[6:7]
	v_lshrrev_b32_e32 v2, 8, v2
	s_movk_i32 s6, 0x80
	v_and_or_b32 v2, v2, s6, v3
	global_store_byte v[0:1], v2, off
.LBB345_109:
	s_mov_b64 s[8:9], 0
	s_mov_b64 s[6:7], -1
.LBB345_110:
	s_andn2_b64 vcc, exec, s[8:9]
	s_cbranch_vccnz .LBB345_118
; %bb.111:
	s_cmp_gt_i32 s13, 14
	s_mov_b64 s[8:9], -1
	s_cbranch_scc0 .LBB345_115
; %bb.112:
	s_cmp_eq_u32 s13, 15
	s_mov_b64 s[2:3], -1
	s_cbranch_scc0 .LBB345_114
; %bb.113:
	global_store_short v[0:1], v4, off
	s_mov_b64 s[6:7], -1
	s_mov_b64 s[2:3], 0
.LBB345_114:
	s_mov_b64 s[8:9], 0
.LBB345_115:
	s_and_b64 vcc, exec, s[8:9]
	s_cbranch_vccz .LBB345_118
; %bb.116:
	s_cmp_eq_u32 s13, 11
	s_mov_b64 s[2:3], -1
	s_cbranch_scc0 .LBB345_118
; %bb.117:
	v_and_b32_e32 v2, 0x7fff, v4
	v_cmp_ne_u16_e32 vcc, 0, v2
	s_mov_b64 s[6:7], -1
	s_mov_b64 s[2:3], 0
	v_cndmask_b32_e64 v2, 0, 1, vcc
	global_store_byte v[0:1], v2, off
.LBB345_118:
	s_branch .LBB345_37
.LBB345_119:
	s_and_b32 s8, 0xffff, s12
	s_cmp_lt_i32 s8, 5
	s_mov_b64 s[6:7], -1
	s_cbranch_scc1 .LBB345_140
; %bb.120:
	s_cmp_lt_i32 s8, 8
	s_cbranch_scc1 .LBB345_130
; %bb.121:
	s_cmp_lt_i32 s8, 9
	s_cbranch_scc1 .LBB345_127
; %bb.122:
	s_cmp_gt_i32 s8, 9
	s_cbranch_scc0 .LBB345_124
; %bb.123:
	v_lshlrev_b32_e32 v2, 16, v4
	v_mov_b32_e32 v12, 0
	v_cvt_f64_f32_e32 v[10:11], v2
	v_mov_b32_e32 v13, v12
	global_store_dwordx4 v[0:1], v[10:13], off
	s_mov_b64 s[6:7], 0
.LBB345_124:
	s_andn2_b64 vcc, exec, s[6:7]
	s_cbranch_vccnz .LBB345_126
; %bb.125:
	v_lshlrev_b32_e32 v2, 16, v4
	v_mov_b32_e32 v3, 0
	global_store_dwordx2 v[0:1], v[2:3], off
.LBB345_126:
	s_mov_b64 s[6:7], 0
.LBB345_127:
	s_andn2_b64 vcc, exec, s[6:7]
	s_cbranch_vccnz .LBB345_129
; %bb.128:
	v_lshlrev_b32_e32 v2, 16, v4
	v_cvt_f16_f32_e32 v2, v2
	global_store_dword v[0:1], v2, off
.LBB345_129:
	s_mov_b64 s[6:7], 0
.LBB345_130:
	s_andn2_b64 vcc, exec, s[6:7]
	s_cbranch_vccnz .LBB345_139
; %bb.131:
	s_cmp_lt_i32 s8, 6
	s_mov_b64 s[6:7], -1
	s_cbranch_scc1 .LBB345_137
; %bb.132:
	s_cmp_gt_i32 s8, 6
	s_cbranch_scc0 .LBB345_134
; %bb.133:
	v_lshlrev_b32_e32 v2, 16, v4
	v_cvt_f64_f32_e32 v[2:3], v2
	global_store_dwordx2 v[0:1], v[2:3], off
	s_mov_b64 s[6:7], 0
.LBB345_134:
	s_andn2_b64 vcc, exec, s[6:7]
	s_cbranch_vccnz .LBB345_136
; %bb.135:
	v_lshlrev_b32_e32 v2, 16, v4
	global_store_dword v[0:1], v2, off
.LBB345_136:
	s_mov_b64 s[6:7], 0
.LBB345_137:
	s_andn2_b64 vcc, exec, s[6:7]
	s_cbranch_vccnz .LBB345_139
; %bb.138:
	v_lshlrev_b32_e32 v2, 16, v4
	v_cvt_f16_f32_e32 v2, v2
	global_store_short v[0:1], v2, off
.LBB345_139:
	s_mov_b64 s[6:7], 0
.LBB345_140:
	s_andn2_b64 vcc, exec, s[6:7]
	s_cbranch_vccnz .LBB345_156
; %bb.141:
	s_cmp_lt_i32 s8, 2
	s_mov_b64 s[6:7], -1
	s_cbranch_scc1 .LBB345_151
; %bb.142:
	s_cmp_lt_i32 s8, 3
	s_cbranch_scc1 .LBB345_148
; %bb.143:
	s_cmp_gt_i32 s8, 3
	s_cbranch_scc0 .LBB345_145
; %bb.144:
	v_lshlrev_b32_e32 v2, 16, v4
	v_trunc_f32_e32 v2, v2
	s_mov_b32 s6, 0x2f800000
	v_mul_f32_e64 v3, |v2|, s6
	v_floor_f32_e32 v3, v3
	s_mov_b32 s6, 0xcf800000
	v_cvt_u32_f32_e32 v5, v3
	v_fma_f32 v3, v3, s6, |v2|
	v_cvt_u32_f32_e32 v3, v3
	v_ashrrev_i32_e32 v6, 31, v2
	v_xor_b32_e32 v5, v5, v6
	s_mov_b64 s[6:7], 0
	v_xor_b32_e32 v2, v3, v6
	v_sub_co_u32_e32 v2, vcc, v2, v6
	s_nop 1
	v_subb_co_u32_e32 v3, vcc, v5, v6, vcc
	global_store_dwordx2 v[0:1], v[2:3], off
.LBB345_145:
	s_andn2_b64 vcc, exec, s[6:7]
	s_cbranch_vccnz .LBB345_147
; %bb.146:
	v_lshlrev_b32_e32 v2, 16, v4
	v_cvt_i32_f32_e32 v2, v2
	global_store_dword v[0:1], v2, off
.LBB345_147:
	s_mov_b64 s[6:7], 0
.LBB345_148:
	s_andn2_b64 vcc, exec, s[6:7]
	s_cbranch_vccnz .LBB345_150
; %bb.149:
	v_lshlrev_b32_e32 v2, 16, v4
	v_cvt_i32_f32_e32 v2, v2
	global_store_short v[0:1], v2, off
.LBB345_150:
	s_mov_b64 s[6:7], 0
.LBB345_151:
	s_andn2_b64 vcc, exec, s[6:7]
	s_cbranch_vccnz .LBB345_156
; %bb.152:
	s_cmp_gt_i32 s8, 0
	s_mov_b64 s[6:7], -1
	s_cbranch_scc0 .LBB345_154
; %bb.153:
	v_lshlrev_b32_e32 v2, 16, v4
	v_cvt_i32_f32_e32 v2, v2
	s_mov_b64 s[6:7], 0
	global_store_byte v[0:1], v2, off
.LBB345_154:
	s_andn2_b64 vcc, exec, s[6:7]
	s_cbranch_vccnz .LBB345_156
; %bb.155:
	v_lshlrev_b32_e32 v2, 16, v4
	v_trunc_f32_e32 v2, v2
	s_mov_b32 s6, 0x2f800000
	v_mul_f32_e64 v3, |v2|, s6
	v_floor_f32_e32 v3, v3
	s_mov_b32 s6, 0xcf800000
	v_fma_f32 v3, v3, s6, |v2|
	v_cvt_u32_f32_e32 v3, v3
	v_ashrrev_i32_e32 v2, 31, v2
	v_xor_b32_e32 v3, v3, v2
	v_sub_u32_e32 v2, v3, v2
	global_store_byte v[0:1], v2, off
.LBB345_156:
.LBB345_157:
	v_add_u32_e32 v8, 0x80, v8
	s_mov_b64 s[6:7], -1
	s_branch .LBB345_268
.LBB345_158:
	s_mov_b64 s[4:5], -1
                                        ; implicit-def: $vgpr4
.LBB345_159:
	s_mov_b64 s[6:7], 0
.LBB345_160:
	s_and_b64 vcc, exec, s[6:7]
	s_cbranch_vccz .LBB345_164
; %bb.161:
	s_cmp_eq_u32 s10, 29
	s_cbranch_scc0 .LBB345_163
; %bb.162:
	global_load_dwordx2 v[4:5], v[2:3], off
	s_movk_i32 s4, 0x7fff
	s_mov_b64 s[2:3], -1
	s_mov_b64 s[6:7], 0
	s_waitcnt vmcnt(0)
	v_ffbh_u32_e32 v1, v5
	v_min_u32_e32 v1, 32, v1
	v_lshlrev_b64 v[4:5], v1, v[4:5]
	v_min_u32_e32 v4, 1, v4
	v_or_b32_e32 v4, v5, v4
	v_cvt_f32_u32_e32 v4, v4
	v_sub_u32_e32 v1, 32, v1
	v_ldexp_f32 v1, v4, v1
	v_bfe_u32 v4, v1, 16, 1
	v_add3_u32 v1, v1, v4, s4
	v_lshrrev_b32_e32 v4, 16, v1
	s_mov_b64 s[4:5], 0
	s_branch .LBB345_165
.LBB345_163:
	s_mov_b64 s[4:5], -1
                                        ; implicit-def: $vgpr4
.LBB345_164:
	s_mov_b64 s[6:7], 0
.LBB345_165:
	s_and_b64 vcc, exec, s[6:7]
	s_cbranch_vccz .LBB345_183
; %bb.166:
	s_cmp_lt_i32 s10, 27
	s_cbranch_scc1 .LBB345_169
; %bb.167:
	s_cmp_gt_i32 s10, 27
	s_cbranch_scc0 .LBB345_170
; %bb.168:
	global_load_dword v1, v[2:3], off
	s_movk_i32 s2, 0x7fff
	s_waitcnt vmcnt(0)
	v_cvt_f32_u32_e32 v1, v1
	v_bfe_u32 v4, v1, 16, 1
	v_add3_u32 v1, v1, v4, s2
	v_lshrrev_b32_e32 v4, 16, v1
	s_mov_b64 s[2:3], 0
	s_branch .LBB345_171
.LBB345_169:
	s_mov_b64 s[2:3], -1
                                        ; implicit-def: $vgpr4
	s_branch .LBB345_174
.LBB345_170:
	s_mov_b64 s[2:3], -1
                                        ; implicit-def: $vgpr4
.LBB345_171:
	s_andn2_b64 vcc, exec, s[2:3]
	s_cbranch_vccnz .LBB345_173
; %bb.172:
	global_load_ushort v1, v[2:3], off
	s_movk_i32 s2, 0x7fff
	s_waitcnt vmcnt(0)
	v_cvt_f32_u32_e32 v1, v1
	v_bfe_u32 v4, v1, 16, 1
	v_add3_u32 v1, v1, v4, s2
	v_lshrrev_b32_e32 v4, 16, v1
.LBB345_173:
	s_mov_b64 s[2:3], 0
.LBB345_174:
	s_andn2_b64 vcc, exec, s[2:3]
	s_cbranch_vccnz .LBB345_182
; %bb.175:
	global_load_ubyte v1, v[2:3], off
	s_movk_i32 s2, 0x7f
	s_waitcnt vmcnt(0)
	v_cmp_lt_i16_e32 vcc, s2, v1
	s_mov_b64 s[2:3], 0
	s_and_saveexec_b64 s[6:7], vcc
	s_xor_b64 s[6:7], exec, s[6:7]
	s_cbranch_execz .LBB345_195
; %bb.176:
	s_movk_i32 s2, 0x80
	v_cmp_eq_u16_e32 vcc, s2, v1
	s_mov_b64 s[2:3], -1
	s_and_saveexec_b64 s[8:9], vcc
; %bb.177:
	s_xor_b64 s[2:3], exec, -1
; %bb.178:
	s_or_b64 exec, exec, s[8:9]
	s_and_b64 s[2:3], s[2:3], exec
	s_or_saveexec_b64 s[6:7], s[6:7]
	v_mov_b32_e32 v4, 0x7f800001
	s_xor_b64 exec, exec, s[6:7]
	s_cbranch_execnz .LBB345_196
.LBB345_179:
	s_or_b64 exec, exec, s[6:7]
	s_and_saveexec_b64 s[6:7], s[2:3]
	s_cbranch_execz .LBB345_181
.LBB345_180:
	v_lshlrev_b32_e32 v4, 24, v1
	v_and_b32_e32 v1, 0xffff, v1
	v_and_b32_e32 v5, 7, v1
	v_ffbh_u32_e32 v7, v5
	v_min_u32_e32 v7, 32, v7
	v_subrev_u32_e32 v9, 28, v7
	v_bfe_u32 v6, v1, 3, 4
	v_lshlrev_b32_e32 v1, v9, v1
	v_sub_u32_e32 v7, 29, v7
	v_and_b32_e32 v1, 7, v1
	v_cmp_eq_u32_e32 vcc, 0, v6
	v_and_b32_e32 v4, 0x80000000, v4
	s_nop 0
	v_cndmask_b32_e32 v6, v6, v7, vcc
	v_cndmask_b32_e32 v1, v5, v1, vcc
	v_mov_b32_e32 v5, 0x3b800000
	v_lshlrev_b32_e32 v1, 20, v1
	v_lshl_add_u32 v5, v6, 23, v5
	v_or3_b32 v4, v4, v5, v1
.LBB345_181:
	s_or_b64 exec, exec, s[6:7]
	v_bfe_u32 v1, v4, 16, 1
	s_movk_i32 s2, 0x7fff
	v_add3_u32 v1, v4, v1, s2
	v_cmp_o_f32_e32 vcc, v4, v4
	v_mov_b32_e32 v4, 0x7fc0
	s_nop 0
	v_cndmask_b32_sdwa v4, v4, v1, vcc dst_sel:DWORD dst_unused:UNUSED_PAD src0_sel:DWORD src1_sel:WORD_1
.LBB345_182:
	s_mov_b64 s[2:3], -1
.LBB345_183:
	s_branch .LBB345_218
.LBB345_184:
	s_cmp_gt_i32 s10, 22
	s_cbranch_scc0 .LBB345_194
; %bb.185:
	s_cmp_lt_i32 s10, 24
	s_cbranch_scc1 .LBB345_197
; %bb.186:
	s_cmp_gt_i32 s10, 24
	s_cbranch_scc0 .LBB345_198
; %bb.187:
	global_load_ubyte v1, v[2:3], off
	s_movk_i32 s2, 0x7f
	s_waitcnt vmcnt(0)
	v_cmp_lt_i16_e32 vcc, s2, v1
	s_mov_b64 s[2:3], 0
	s_and_saveexec_b64 s[6:7], vcc
	s_xor_b64 s[6:7], exec, s[6:7]
	s_cbranch_execz .LBB345_210
; %bb.188:
	s_movk_i32 s2, 0x80
	v_cmp_eq_u16_e32 vcc, s2, v1
	s_mov_b64 s[2:3], -1
	s_and_saveexec_b64 s[8:9], vcc
; %bb.189:
	s_xor_b64 s[2:3], exec, -1
; %bb.190:
	s_or_b64 exec, exec, s[8:9]
	s_and_b64 s[2:3], s[2:3], exec
	s_or_saveexec_b64 s[6:7], s[6:7]
	v_mov_b32_e32 v4, 0x7f800001
	s_xor_b64 exec, exec, s[6:7]
	s_cbranch_execnz .LBB345_211
.LBB345_191:
	s_or_b64 exec, exec, s[6:7]
	s_and_saveexec_b64 s[6:7], s[2:3]
	s_cbranch_execz .LBB345_193
.LBB345_192:
	v_lshlrev_b32_e32 v4, 24, v1
	v_and_b32_e32 v1, 0xffff, v1
	v_and_b32_e32 v5, 3, v1
	v_ffbh_u32_e32 v7, v5
	v_min_u32_e32 v7, 32, v7
	v_subrev_u32_e32 v9, 29, v7
	v_bfe_u32 v6, v1, 2, 5
	v_lshlrev_b32_e32 v1, v9, v1
	v_sub_u32_e32 v7, 30, v7
	v_and_b32_e32 v1, 3, v1
	v_cmp_eq_u32_e32 vcc, 0, v6
	v_and_b32_e32 v4, 0x80000000, v4
	s_nop 0
	v_cndmask_b32_e32 v6, v6, v7, vcc
	v_cndmask_b32_e32 v1, v5, v1, vcc
	v_mov_b32_e32 v5, 0x37800000
	v_lshlrev_b32_e32 v1, 21, v1
	v_lshl_add_u32 v5, v6, 23, v5
	v_or3_b32 v4, v4, v5, v1
.LBB345_193:
	s_or_b64 exec, exec, s[6:7]
	v_bfe_u32 v1, v4, 16, 1
	s_movk_i32 s2, 0x7fff
	v_add3_u32 v1, v4, v1, s2
	v_cmp_o_f32_e32 vcc, v4, v4
	v_mov_b32_e32 v4, 0x7fc0
	s_mov_b64 s[2:3], 0
	v_cndmask_b32_sdwa v4, v4, v1, vcc dst_sel:DWORD dst_unused:UNUSED_PAD src0_sel:DWORD src1_sel:WORD_1
	s_branch .LBB345_199
.LBB345_194:
	s_mov_b64 s[6:7], -1
                                        ; implicit-def: $vgpr4
	s_branch .LBB345_205
.LBB345_195:
	s_or_saveexec_b64 s[6:7], s[6:7]
	v_mov_b32_e32 v4, 0x7f800001
	s_xor_b64 exec, exec, s[6:7]
	s_cbranch_execz .LBB345_179
.LBB345_196:
	v_cmp_ne_u16_e32 vcc, 0, v1
	s_andn2_b64 s[2:3], s[2:3], exec
	s_and_b64 s[8:9], vcc, exec
	v_mov_b32_e32 v4, 0
	s_or_b64 s[2:3], s[2:3], s[8:9]
	s_or_b64 exec, exec, s[6:7]
	s_and_saveexec_b64 s[6:7], s[2:3]
	s_cbranch_execnz .LBB345_180
	s_branch .LBB345_181
.LBB345_197:
	s_mov_b64 s[2:3], -1
                                        ; implicit-def: $vgpr4
	s_branch .LBB345_202
.LBB345_198:
	s_mov_b64 s[2:3], -1
                                        ; implicit-def: $vgpr4
.LBB345_199:
	s_and_b64 vcc, exec, s[2:3]
	s_cbranch_vccz .LBB345_201
; %bb.200:
	global_load_ubyte v1, v[2:3], off
	s_mov_b32 s2, 0x7f800000
	s_brev_b32 s3, 1
	s_movk_i32 s6, 0x7fff
	s_waitcnt vmcnt(0)
	v_lshlrev_b32_e32 v1, 24, v1
	v_and_b32_e32 v4, 0x7f000000, v1
	v_ffbh_u32_e32 v5, v4
	v_min_u32_e32 v5, 32, v5
	v_sub_u32_e64 v5, v5, 4 clamp
	v_lshlrev_b32_e32 v7, v5, v4
	v_lshlrev_b32_e32 v5, 23, v5
	v_lshrrev_b32_e32 v7, 4, v7
	v_add_u32_e32 v6, 0x1000000, v4
	v_sub_u32_e32 v5, v7, v5
	v_ashrrev_i32_e32 v6, 8, v6
	v_add_u32_e32 v5, 0x3c000000, v5
	v_and_or_b32 v5, v6, s2, v5
	v_cmp_ne_u32_e32 vcc, 0, v4
	s_nop 1
	v_cndmask_b32_e32 v4, 0, v5, vcc
	v_and_or_b32 v1, v1, s3, v4
	v_bfe_u32 v4, v4, 16, 1
	v_add3_u32 v4, v1, v4, s6
	v_cmp_o_f32_e32 vcc, v1, v1
	v_mov_b32_e32 v1, 0x7fc0
	s_nop 0
	v_cndmask_b32_sdwa v4, v1, v4, vcc dst_sel:DWORD dst_unused:UNUSED_PAD src0_sel:DWORD src1_sel:WORD_1
.LBB345_201:
	s_mov_b64 s[2:3], 0
.LBB345_202:
	s_andn2_b64 vcc, exec, s[2:3]
	s_cbranch_vccnz .LBB345_204
; %bb.203:
	global_load_ubyte v1, v[2:3], off
	s_movk_i32 s2, 0x7f00
	s_brev_b32 s3, 16
	s_brev_b32 s6, 1
	s_movk_i32 s7, 0x7fff
	s_waitcnt vmcnt(0)
	v_lshlrev_b16_e32 v4, 8, v1
	v_lshlrev_b32_e32 v1, 25, v1
	v_lshrrev_b32_e32 v5, 4, v1
	v_and_or_b32 v6, v4, s2, 0.5
	v_or_b32_e32 v5, 0x70000000, v5
	v_add_f32_e32 v6, -0.5, v6
	v_mul_f32_e32 v5, 0x7800000, v5
	v_cmp_gt_u32_e32 vcc, s3, v1
	v_bfe_i32 v4, v4, 0, 16
	s_nop 0
	v_cndmask_b32_e32 v1, v5, v6, vcc
	v_and_or_b32 v4, v4, s6, v1
	v_bfe_u32 v1, v1, 16, 1
	v_add3_u32 v1, v4, v1, s7
	v_cmp_o_f32_e32 vcc, v4, v4
	v_mov_b32_e32 v4, 0x7fc0
	s_nop 0
	v_cndmask_b32_sdwa v4, v4, v1, vcc dst_sel:DWORD dst_unused:UNUSED_PAD src0_sel:DWORD src1_sel:WORD_1
.LBB345_204:
	s_mov_b64 s[6:7], 0
	s_mov_b64 s[2:3], -1
.LBB345_205:
	s_andn2_b64 vcc, exec, s[6:7]
	s_cbranch_vccnz .LBB345_218
; %bb.206:
	s_cmp_gt_i32 s10, 14
	s_cbranch_scc0 .LBB345_209
; %bb.207:
	s_cmp_eq_u32 s10, 15
	s_cbranch_scc0 .LBB345_212
; %bb.208:
	global_load_ushort v4, v[2:3], off
	s_mov_b64 s[2:3], -1
	s_mov_b64 s[4:5], 0
	s_branch .LBB345_213
.LBB345_209:
	s_mov_b64 s[6:7], -1
                                        ; implicit-def: $vgpr4
	s_branch .LBB345_214
.LBB345_210:
	s_or_saveexec_b64 s[6:7], s[6:7]
	v_mov_b32_e32 v4, 0x7f800001
	s_xor_b64 exec, exec, s[6:7]
	s_cbranch_execz .LBB345_191
.LBB345_211:
	v_cmp_ne_u16_e32 vcc, 0, v1
	s_andn2_b64 s[2:3], s[2:3], exec
	s_and_b64 s[8:9], vcc, exec
	v_mov_b32_e32 v4, 0
	s_or_b64 s[2:3], s[2:3], s[8:9]
	s_or_b64 exec, exec, s[6:7]
	s_and_saveexec_b64 s[6:7], s[2:3]
	s_cbranch_execnz .LBB345_192
	s_branch .LBB345_193
.LBB345_212:
	s_mov_b64 s[4:5], -1
                                        ; implicit-def: $vgpr4
.LBB345_213:
	s_mov_b64 s[6:7], 0
.LBB345_214:
	s_and_b64 vcc, exec, s[6:7]
	s_cbranch_vccz .LBB345_218
; %bb.215:
	s_cmp_eq_u32 s10, 11
	s_cbranch_scc0 .LBB345_217
; %bb.216:
	global_load_ubyte v1, v[2:3], off
	s_mov_b64 s[2:3], -1
	s_mov_b64 s[4:5], 0
	s_waitcnt vmcnt(0)
	v_cmp_ne_u16_e32 vcc, 0, v1
	s_nop 1
	v_cndmask_b32_e64 v1, 0, 1.0, vcc
	v_lshrrev_b32_e32 v4, 16, v1
	s_branch .LBB345_218
.LBB345_217:
	s_mov_b64 s[4:5], -1
                                        ; implicit-def: $vgpr4
.LBB345_218:
	s_branch .LBB345_25
.LBB345_219:
	s_cmp_lt_i32 s10, 5
	s_cbranch_scc1 .LBB345_224
; %bb.220:
	s_cmp_lt_i32 s10, 8
	s_cbranch_scc1 .LBB345_225
; %bb.221:
	;; [unrolled: 3-line block ×3, first 2 shown]
	s_cmp_gt_i32 s10, 9
	s_cbranch_scc0 .LBB345_227
; %bb.223:
	global_load_dwordx2 v[4:5], v[2:3], off
	s_movk_i32 s2, 0x7fff
	v_mov_b32_e32 v1, 0x7fc0
	s_waitcnt vmcnt(0)
	v_cvt_f32_f64_e32 v4, v[4:5]
	v_bfe_u32 v5, v4, 16, 1
	v_cmp_o_f32_e32 vcc, v4, v4
	v_add3_u32 v4, v4, v5, s2
	s_mov_b64 s[2:3], 0
	v_cndmask_b32_sdwa v4, v1, v4, vcc dst_sel:DWORD dst_unused:UNUSED_PAD src0_sel:DWORD src1_sel:WORD_1
	s_branch .LBB345_228
.LBB345_224:
                                        ; implicit-def: $vgpr4
	s_branch .LBB345_246
.LBB345_225:
	s_mov_b64 s[2:3], -1
                                        ; implicit-def: $vgpr4
	s_branch .LBB345_234
.LBB345_226:
	s_mov_b64 s[2:3], -1
                                        ; implicit-def: $vgpr4
	s_branch .LBB345_231
.LBB345_227:
	s_mov_b64 s[2:3], -1
                                        ; implicit-def: $vgpr4
.LBB345_228:
	s_andn2_b64 vcc, exec, s[2:3]
	s_cbranch_vccnz .LBB345_230
; %bb.229:
	global_load_dword v1, v[2:3], off
	s_movk_i32 s2, 0x7fff
	s_waitcnt vmcnt(1)
	v_mov_b32_e32 v4, 0x7fc0
	s_waitcnt vmcnt(0)
	v_bfe_u32 v5, v1, 16, 1
	v_cmp_o_f32_e32 vcc, v1, v1
	v_add3_u32 v1, v1, v5, s2
	s_nop 0
	v_cndmask_b32_sdwa v4, v4, v1, vcc dst_sel:DWORD dst_unused:UNUSED_PAD src0_sel:DWORD src1_sel:WORD_1
.LBB345_230:
	s_mov_b64 s[2:3], 0
.LBB345_231:
	s_andn2_b64 vcc, exec, s[2:3]
	s_cbranch_vccnz .LBB345_233
; %bb.232:
	global_load_dword v1, v[2:3], off
	s_movk_i32 s2, 0x7fff
	v_mov_b32_e32 v5, 0x7fc0
	s_waitcnt vmcnt(0)
	v_cvt_f32_f16_e32 v4, v1
	v_cmp_o_f16_e32 vcc, v1, v1
	v_bfe_u32 v1, v4, 16, 1
	v_add3_u32 v1, v4, v1, s2
	v_cndmask_b32_sdwa v4, v5, v1, vcc dst_sel:DWORD dst_unused:UNUSED_PAD src0_sel:DWORD src1_sel:WORD_1
.LBB345_233:
	s_mov_b64 s[2:3], 0
.LBB345_234:
	s_andn2_b64 vcc, exec, s[2:3]
	s_cbranch_vccnz .LBB345_245
; %bb.235:
	s_cmp_lt_i32 s10, 6
	s_cbranch_scc1 .LBB345_238
; %bb.236:
	s_cmp_gt_i32 s10, 6
	s_cbranch_scc0 .LBB345_239
; %bb.237:
	global_load_dwordx2 v[4:5], v[2:3], off
	s_movk_i32 s2, 0x7fff
	v_mov_b32_e32 v1, 0x7fc0
	s_waitcnt vmcnt(0)
	v_cvt_f32_f64_e32 v4, v[4:5]
	v_bfe_u32 v5, v4, 16, 1
	v_cmp_o_f32_e32 vcc, v4, v4
	v_add3_u32 v4, v4, v5, s2
	s_mov_b64 s[2:3], 0
	v_cndmask_b32_sdwa v4, v1, v4, vcc dst_sel:DWORD dst_unused:UNUSED_PAD src0_sel:DWORD src1_sel:WORD_1
	s_branch .LBB345_240
.LBB345_238:
	s_mov_b64 s[2:3], -1
                                        ; implicit-def: $vgpr4
	s_branch .LBB345_243
.LBB345_239:
	s_mov_b64 s[2:3], -1
                                        ; implicit-def: $vgpr4
.LBB345_240:
	s_andn2_b64 vcc, exec, s[2:3]
	s_cbranch_vccnz .LBB345_242
; %bb.241:
	global_load_dword v1, v[2:3], off
	s_movk_i32 s2, 0x7fff
	s_waitcnt vmcnt(1)
	v_mov_b32_e32 v4, 0x7fc0
	s_waitcnt vmcnt(0)
	v_bfe_u32 v5, v1, 16, 1
	v_cmp_o_f32_e32 vcc, v1, v1
	v_add3_u32 v1, v1, v5, s2
	s_nop 0
	v_cndmask_b32_sdwa v4, v4, v1, vcc dst_sel:DWORD dst_unused:UNUSED_PAD src0_sel:DWORD src1_sel:WORD_1
.LBB345_242:
	s_mov_b64 s[2:3], 0
.LBB345_243:
	s_andn2_b64 vcc, exec, s[2:3]
	s_cbranch_vccnz .LBB345_245
; %bb.244:
	global_load_ushort v1, v[2:3], off
	s_movk_i32 s2, 0x7fff
	v_mov_b32_e32 v5, 0x7fc0
	s_waitcnt vmcnt(0)
	v_cvt_f32_f16_e32 v4, v1
	v_cmp_o_f16_e32 vcc, v1, v1
	v_bfe_u32 v1, v4, 16, 1
	v_add3_u32 v1, v4, v1, s2
	v_cndmask_b32_sdwa v4, v5, v1, vcc dst_sel:DWORD dst_unused:UNUSED_PAD src0_sel:DWORD src1_sel:WORD_1
.LBB345_245:
	s_cbranch_execnz .LBB345_265
.LBB345_246:
	s_cmp_lt_i32 s10, 2
	s_cbranch_scc1 .LBB345_250
; %bb.247:
	s_cmp_lt_i32 s10, 3
	s_cbranch_scc1 .LBB345_251
; %bb.248:
	s_cmp_gt_i32 s10, 3
	s_cbranch_scc0 .LBB345_252
; %bb.249:
	global_load_dwordx2 v[4:5], v[2:3], off
	s_movk_i32 s2, 0x7fff
	s_waitcnt vmcnt(0)
	v_xor_b32_e32 v6, v4, v5
	v_ffbh_i32_e32 v1, v5
	v_ashrrev_i32_e32 v6, 31, v6
	v_add_u32_e32 v1, -1, v1
	v_add_u32_e32 v6, 32, v6
	v_min_u32_e32 v1, v1, v6
	v_lshlrev_b64 v[4:5], v1, v[4:5]
	v_min_u32_e32 v4, 1, v4
	v_or_b32_e32 v4, v5, v4
	v_cvt_f32_i32_e32 v4, v4
	v_sub_u32_e32 v1, 32, v1
	v_ldexp_f32 v1, v4, v1
	v_bfe_u32 v4, v1, 16, 1
	v_add3_u32 v1, v1, v4, s2
	v_lshrrev_b32_e32 v4, 16, v1
	s_mov_b64 s[2:3], 0
	s_branch .LBB345_253
.LBB345_250:
	s_mov_b64 s[2:3], -1
                                        ; implicit-def: $vgpr4
	s_branch .LBB345_259
.LBB345_251:
	s_mov_b64 s[2:3], -1
                                        ; implicit-def: $vgpr4
	s_branch .LBB345_256
.LBB345_252:
	s_mov_b64 s[2:3], -1
                                        ; implicit-def: $vgpr4
.LBB345_253:
	s_andn2_b64 vcc, exec, s[2:3]
	s_cbranch_vccnz .LBB345_255
; %bb.254:
	global_load_dword v1, v[2:3], off
	s_movk_i32 s2, 0x7fff
	s_waitcnt vmcnt(0)
	v_cvt_f32_i32_e32 v1, v1
	v_bfe_u32 v4, v1, 16, 1
	v_add3_u32 v1, v1, v4, s2
	v_lshrrev_b32_e32 v4, 16, v1
.LBB345_255:
	s_mov_b64 s[2:3], 0
.LBB345_256:
	s_andn2_b64 vcc, exec, s[2:3]
	s_cbranch_vccnz .LBB345_258
; %bb.257:
	global_load_sshort v1, v[2:3], off
	s_movk_i32 s2, 0x7fff
	s_waitcnt vmcnt(0)
	v_cvt_f32_i32_e32 v1, v1
	v_bfe_u32 v4, v1, 16, 1
	v_add3_u32 v1, v1, v4, s2
	v_lshrrev_b32_e32 v4, 16, v1
.LBB345_258:
	s_mov_b64 s[2:3], 0
.LBB345_259:
	s_andn2_b64 vcc, exec, s[2:3]
	s_cbranch_vccnz .LBB345_265
; %bb.260:
	s_cmp_gt_i32 s10, 0
	s_cbranch_scc0 .LBB345_262
; %bb.261:
	global_load_sbyte v1, v[2:3], off
	s_movk_i32 s2, 0x7fff
	s_waitcnt vmcnt(0)
	v_cvt_f32_i32_e32 v1, v1
	v_bfe_u32 v4, v1, 16, 1
	v_add3_u32 v1, v1, v4, s2
	v_lshrrev_b32_e32 v4, 16, v1
	s_mov_b64 s[2:3], 0
	s_branch .LBB345_263
.LBB345_262:
	s_mov_b64 s[2:3], -1
                                        ; implicit-def: $vgpr4
.LBB345_263:
	s_andn2_b64 vcc, exec, s[2:3]
	s_cbranch_vccnz .LBB345_265
; %bb.264:
	global_load_ubyte v1, v[2:3], off
	s_movk_i32 s2, 0x7fff
	s_waitcnt vmcnt(0)
	v_cvt_f32_ubyte0_e32 v1, v1
	v_bfe_u32 v2, v1, 16, 1
	v_add3_u32 v1, v1, v2, s2
	v_lshrrev_b32_e32 v4, 16, v1
.LBB345_265:
	s_branch .LBB345_26
.LBB345_266:
	s_mov_b64 s[2:3], 0
.LBB345_267:
	s_mov_b64 s[6:7], 0
                                        ; implicit-def: $vgpr8
.LBB345_268:
	s_and_b64 s[56:57], s[2:3], exec
	s_and_b64 s[58:59], s[4:5], exec
	s_orn2_b64 s[4:5], s[6:7], exec
.LBB345_269:
	s_or_b64 exec, exec, s[60:61]
	s_mov_b64 s[8:9], 0
	s_mov_b64 s[2:3], 0
                                        ; implicit-def: $vgpr2_vgpr3
                                        ; implicit-def: $vgpr0
                                        ; implicit-def: $vgpr4
	s_and_saveexec_b64 s[60:61], s[4:5]
	s_cbranch_execz .LBB345_277
; %bb.270:
	v_cmp_gt_i32_e32 vcc, s72, v8
	s_mov_b64 s[2:3], -1
	s_mov_b64 s[62:63], s[58:59]
	s_mov_b64 s[64:65], s[56:57]
	s_and_saveexec_b64 s[66:67], vcc
	s_cbranch_execz .LBB345_548
; %bb.271:
	s_andn2_b64 vcc, exec, s[42:43]
	s_cbranch_vccnz .LBB345_280
; %bb.272:
	s_andn2_b64 vcc, exec, s[54:55]
	s_cbranch_vccnz .LBB345_281
; %bb.273:
	s_add_i32 s65, s79, 1
	s_cmp_eq_u32 s74, 2
	s_cbranch_scc1 .LBB345_282
; %bb.274:
	s_and_b32 s64, s65, 28
	s_mov_b32 s68, 0
	v_mov_b32_e32 v0, 0
	v_mov_b32_e32 v2, 0
	s_mov_b64 s[2:3], s[34:35]
	s_mov_b64 s[62:63], s[52:53]
	s_waitcnt vmcnt(0)
	v_mov_b32_e32 v4, v8
.LBB345_275:                            ; =>This Inner Loop Header: Depth=1
	s_load_dwordx8 s[12:19], s[2:3], 0x4
	s_load_dwordx4 s[36:39], s[2:3], 0x24
	s_load_dwordx8 s[4:11], s[62:63], 0x0
	s_add_u32 s2, s2, 48
	s_addc_u32 s3, s3, 0
	s_waitcnt lgkmcnt(0)
	v_mul_hi_u32 v1, s13, v4
	v_add_u32_e32 v1, v4, v1
	v_lshrrev_b32_e32 v1, s14, v1
	v_mul_lo_u32 v3, v1, s12
	v_mul_hi_u32 v5, s16, v1
	v_sub_u32_e32 v3, v4, v3
	v_add_u32_e32 v4, v1, v5
	v_lshrrev_b32_e32 v4, s17, v4
	v_mul_lo_u32 v6, v4, s15
	v_mul_hi_u32 v7, s19, v4
	v_sub_u32_e32 v1, v1, v6
	v_add_u32_e32 v6, v4, v7
	v_mul_lo_u32 v5, v3, s5
	v_mul_lo_u32 v3, v3, s4
	;; [unrolled: 1-line block ×4, first 2 shown]
	v_lshrrev_b32_e32 v6, s36, v6
	v_add3_u32 v0, v3, v0, v1
	v_mul_hi_u32 v3, s38, v6
	v_add3_u32 v1, v5, v2, v7
	v_mul_lo_u32 v2, v6, s18
	v_add_u32_e32 v3, v6, v3
	v_sub_u32_e32 v2, v4, v2
	v_lshrrev_b32_e32 v4, s39, v3
	s_add_i32 s68, s68, 4
	v_mul_lo_u32 v3, v4, s37
	s_add_u32 s62, s62, 32
	v_sub_u32_e32 v3, v6, v3
	s_addc_u32 s63, s63, 0
	v_mul_lo_u32 v5, v2, s8
	v_mul_lo_u32 v2, v2, s9
	;; [unrolled: 1-line block ×4, first 2 shown]
	s_cmp_eq_u32 s64, s68
	v_add3_u32 v2, v2, v1, v3
	v_add3_u32 v0, v5, v0, v6
	s_cbranch_scc0 .LBB345_275
; %bb.276:
	v_mov_b32_e32 v1, v2
	s_branch .LBB345_283
.LBB345_277:
	s_or_b64 exec, exec, s[60:61]
	s_mov_b64 s[4:5], 0
	s_and_saveexec_b64 s[6:7], s[58:59]
	s_cbranch_execnz .LBB345_928
.LBB345_278:
	s_or_b64 exec, exec, s[6:7]
	s_and_saveexec_b64 s[6:7], s[64:65]
	s_xor_b64 s[6:7], exec, s[6:7]
	s_cbranch_execz .LBB345_929
.LBB345_279:
	global_load_ubyte v1, v[2:3], off
	s_or_b64 s[2:3], s[2:3], exec
	s_waitcnt vmcnt(0)
	v_cmp_ne_u16_e32 vcc, 0, v1
	s_nop 1
	v_cndmask_b32_e64 v1, 0, 1.0, vcc
	v_lshrrev_b32_e32 v4, 16, v1
	s_or_b64 exec, exec, s[6:7]
	s_and_saveexec_b64 s[6:7], s[8:9]
	s_cbranch_execz .LBB345_975
	s_branch .LBB345_930
.LBB345_280:
                                        ; implicit-def: $vgpr2
                                        ; implicit-def: $vgpr0
	s_andn2_b64 vcc, exec, s[2:3]
	s_cbranch_vccz .LBB345_287
	s_branch .LBB345_289
.LBB345_281:
	v_mov_b32_e32 v2, 0
	v_mov_b32_e32 v0, 0
	s_branch .LBB345_286
.LBB345_282:
	v_mov_b32_e32 v0, 0
	s_mov_b32 s64, 0
	v_mov_b32_e32 v1, v0
                                        ; implicit-def: $vgpr2
	s_waitcnt vmcnt(0)
	v_mov_b32_e32 v4, v8
.LBB345_283:
	s_and_b32 s6, s65, 3
	s_cmp_eq_u32 s6, 0
	s_cbranch_scc1 .LBB345_286
; %bb.284:
	s_lshl_b32 s2, s64, 3
	s_add_u32 s2, s34, s2
	s_addc_u32 s3, s35, 0
	s_add_u32 s2, s2, 0xc4
	s_addc_u32 s3, s3, 0
	s_mul_i32 s4, s64, 12
	s_add_u32 s4, s34, s4
	s_addc_u32 s5, s35, 0
.LBB345_285:                            ; =>This Inner Loop Header: Depth=1
	s_load_dwordx2 s[8:9], s[4:5], 0x4
	s_load_dword s7, s[4:5], 0xc
	s_load_dwordx2 s[10:11], s[2:3], 0x0
	v_mov_b32_e32 v2, v1
	s_add_u32 s4, s4, 12
	s_waitcnt lgkmcnt(0)
	v_mul_hi_u32 v1, s9, v4
	v_add_u32_e32 v1, v4, v1
	v_lshrrev_b32_e32 v1, s7, v1
	s_addc_u32 s5, s5, 0
	v_mul_lo_u32 v3, v1, s8
	s_add_u32 s2, s2, 8
	v_sub_u32_e32 v5, v4, v3
	s_addc_u32 s3, s3, 0
	s_add_i32 s6, s6, -1
	v_mov_b32_e32 v4, v1
	v_mad_u64_u32 v[2:3], s[8:9], v5, s11, v[2:3]
	v_mad_u64_u32 v[0:1], s[8:9], v5, s10, v[0:1]
	s_cmp_lg_u32 s6, 0
	v_mov_b32_e32 v1, v2
	s_cbranch_scc1 .LBB345_285
.LBB345_286:
	s_cbranch_execnz .LBB345_289
.LBB345_287:
	v_mul_hi_u32 v0, s25, v8
	v_add_u32_e32 v0, v8, v0
	v_lshrrev_b32_e32 v1, s26, v0
	v_mul_lo_u32 v0, v1, s24
	v_sub_u32_e32 v0, v8, v0
	v_mul_lo_u32 v2, v0, s29
	s_andn2_b64 vcc, exec, s[50:51]
	v_mul_lo_u32 v0, v0, s28
	s_cbranch_vccnz .LBB345_289
; %bb.288:
	v_mul_hi_u32 v3, s48, v1
	v_add_u32_e32 v3, v1, v3
	v_lshrrev_b32_e32 v3, s49, v3
	v_mul_lo_u32 v3, v3, s27
	v_sub_u32_e32 v3, v1, v3
	v_mad_u64_u32 v[0:1], s[2:3], v3, s30, v[0:1]
	v_mad_u64_u32 v[2:3], s[2:3], v3, s31, v[2:3]
.LBB345_289:
	v_mov_b32_e32 v3, 0
	s_and_b32 s10, 0xffff, s78
	s_cmp_lt_i32 s10, 11
	v_lshl_add_u64 v[2:3], s[22:23], 0, v[2:3]
	s_cbranch_scc1 .LBB345_296
; %bb.290:
	s_cmp_gt_i32 s10, 25
	s_cbranch_scc0 .LBB345_307
; %bb.291:
	s_cmp_gt_i32 s10, 28
	s_cbranch_scc0 .LBB345_309
	;; [unrolled: 3-line block ×4, first 2 shown]
; %bb.294:
	s_cmp_eq_u32 s10, 46
	s_mov_b64 s[6:7], 0
	s_cbranch_scc0 .LBB345_319
; %bb.295:
	global_load_dword v4, v[2:3], off
	s_mov_b64 s[2:3], -1
	s_mov_b64 s[4:5], 0
	s_branch .LBB345_320
.LBB345_296:
	s_mov_b64 s[2:3], 0
                                        ; implicit-def: $vgpr4
	s_mov_b64 s[4:5], s[58:59]
	s_cbranch_execnz .LBB345_497
.LBB345_297:
	s_andn2_b64 vcc, exec, s[2:3]
	s_cbranch_vccnz .LBB345_545
.LBB345_298:
	s_waitcnt vmcnt(0)
	v_lshlrev_b32_e32 v1, 16, v4
	v_cmp_o_f32_e32 vcc, v1, v1
	s_and_saveexec_b64 s[2:3], vcc
; %bb.299:
	v_mov_b32_e32 v2, s46
	v_cmp_lt_f32_e32 vcc, s77, v1
	v_mov_b32_e32 v3, s75
	s_nop 0
	v_cndmask_b32_e32 v1, v2, v4, vcc
	v_lshlrev_b32_e32 v2, 16, v1
	v_cmp_gt_f32_e32 vcc, s76, v2
	s_nop 1
	v_cndmask_b32_e32 v4, v3, v1, vcc
; %bb.300:
	s_or_b64 exec, exec, s[2:3]
	v_mov_b32_e32 v1, 0
	s_and_b32 s12, s47, 0xff
	s_cmp_lt_i32 s12, 11
	v_lshl_add_u64 v[0:1], s[20:21], 0, v[0:1]
	s_cbranch_scc1 .LBB345_308
; %bb.301:
	s_and_b32 s13, 0xffff, s12
	s_cmp_gt_i32 s13, 25
	s_cbranch_scc0 .LBB345_310
; %bb.302:
	s_cmp_gt_i32 s13, 28
	s_cbranch_scc0 .LBB345_312
; %bb.303:
	;; [unrolled: 3-line block ×4, first 2 shown]
	s_mov_b64 s[8:9], 0
	s_mov_b64 s[2:3], -1
	s_cmp_eq_u32 s13, 46
	s_mov_b64 s[6:7], 0
	s_cbranch_scc0 .LBB345_324
; %bb.306:
	v_and_b32_e32 v2, 0xffff, v4
	global_store_dword v[0:1], v2, off
	s_mov_b64 s[6:7], -1
	s_mov_b64 s[2:3], 0
	s_branch .LBB345_324
.LBB345_307:
	s_mov_b64 s[6:7], -1
	s_mov_b64 s[2:3], 0
	s_mov_b64 s[4:5], s[58:59]
                                        ; implicit-def: $vgpr4
	s_branch .LBB345_461
.LBB345_308:
	s_mov_b64 s[8:9], -1
	s_mov_b64 s[6:7], 0
	s_mov_b64 s[2:3], s[56:57]
	s_branch .LBB345_393
.LBB345_309:
	s_mov_b64 s[6:7], -1
	s_mov_b64 s[2:3], 0
	s_mov_b64 s[4:5], s[58:59]
                                        ; implicit-def: $vgpr4
	s_branch .LBB345_442
.LBB345_310:
	s_mov_b64 s[8:9], -1
	s_mov_b64 s[6:7], 0
	s_mov_b64 s[2:3], s[56:57]
	s_branch .LBB345_351
.LBB345_311:
	s_mov_b64 s[6:7], -1
	s_mov_b64 s[2:3], 0
	s_mov_b64 s[4:5], s[58:59]
                                        ; implicit-def: $vgpr4
	s_branch .LBB345_437
.LBB345_312:
	s_mov_b64 s[8:9], -1
	s_mov_b64 s[6:7], 0
	s_mov_b64 s[2:3], s[56:57]
	s_branch .LBB345_334
.LBB345_313:
	s_andn2_saveexec_b64 s[10:11], s[10:11]
	s_cbranch_execz .LBB345_71
.LBB345_314:
	s_mov_b32 s14, 0x46000000
	v_add_f32_e64 v3, |v5|, s14
	v_and_b32_e32 v3, 0xff, v3
	v_cmp_ne_u32_e32 vcc, 0, v3
	s_andn2_b64 s[8:9], s[8:9], exec
	s_and_b64 s[14:15], vcc, exec
	s_or_b64 s[8:9], s[8:9], s[14:15]
	s_or_b64 exec, exec, s[10:11]
	v_mov_b32_e32 v6, 0
	s_and_saveexec_b64 s[10:11], s[8:9]
	s_cbranch_execnz .LBB345_72
	s_branch .LBB345_73
.LBB345_315:
	s_mov_b64 s[6:7], -1
	s_mov_b64 s[2:3], 0
	s_mov_b64 s[4:5], s[58:59]
                                        ; implicit-def: $vgpr4
	s_branch .LBB345_320
.LBB345_316:
	s_mov_b64 s[8:9], -1
	s_mov_b64 s[6:7], 0
	s_mov_b64 s[2:3], s[56:57]
	s_branch .LBB345_330
.LBB345_317:
	s_andn2_saveexec_b64 s[10:11], s[10:11]
	s_cbranch_execz .LBB345_84
.LBB345_318:
	s_mov_b32 s14, 0x42800000
	v_add_f32_e64 v3, |v5|, s14
	v_and_b32_e32 v3, 0xff, v3
	v_cmp_ne_u32_e32 vcc, 0, v3
	s_andn2_b64 s[8:9], s[8:9], exec
	s_and_b64 s[14:15], vcc, exec
	s_or_b64 s[8:9], s[8:9], s[14:15]
	s_or_b64 exec, exec, s[10:11]
	v_mov_b32_e32 v6, 0
	s_and_saveexec_b64 s[10:11], s[8:9]
	s_cbranch_execnz .LBB345_85
	s_branch .LBB345_86
.LBB345_319:
	s_mov_b64 s[4:5], -1
                                        ; implicit-def: $vgpr4
	s_mov_b64 s[2:3], 0
.LBB345_320:
	s_and_b64 vcc, exec, s[6:7]
	s_cbranch_vccz .LBB345_436
; %bb.321:
	s_cmp_eq_u32 s10, 44
	s_cbranch_scc0 .LBB345_435
; %bb.322:
	global_load_ubyte v1, v[2:3], off
	s_movk_i32 s4, 0xff
	s_waitcnt vmcnt(1)
	v_mov_b32_e32 v4, 0x7f800001
	v_mov_b32_e32 v5, 0x400000
	;; [unrolled: 1-line block ×3, first 2 shown]
	s_mov_b64 s[2:3], -1
	s_waitcnt vmcnt(0)
	v_lshlrev_b32_e32 v7, 23, v1
	v_cmp_ne_u32_e32 vcc, s4, v1
	s_mov_b64 s[4:5], 0
	s_nop 0
	v_cndmask_b32_e32 v4, v4, v7, vcc
	v_cmp_ne_u32_e32 vcc, 0, v1
	s_nop 1
	v_cndmask_b32_e32 v1, v5, v4, vcc
	v_add_u32_e32 v4, 0x7fff, v1
	v_cmp_o_f32_e32 vcc, v1, v1
	s_nop 1
	v_cndmask_b32_sdwa v4, v6, v4, vcc dst_sel:DWORD dst_unused:UNUSED_PAD src0_sel:DWORD src1_sel:WORD_1
	s_branch .LBB345_436
.LBB345_323:
	s_mov_b64 s[8:9], -1
	s_mov_b64 s[6:7], 0
	s_mov_b64 s[2:3], s[56:57]
.LBB345_324:
	s_and_b64 vcc, exec, s[8:9]
	s_cbranch_vccz .LBB345_329
; %bb.325:
	s_cmp_eq_u32 s13, 44
	s_mov_b64 s[2:3], -1
	s_cbranch_scc0 .LBB345_329
; %bb.326:
	v_and_b32_e32 v3, 0xffff, v4
	v_bfe_u32 v2, v3, 7, 8
	s_movk_i32 s2, 0xff
	v_cmp_ne_u32_e32 vcc, s2, v2
	v_mov_b32_e32 v5, 0xff
	s_and_saveexec_b64 s[6:7], vcc
	s_cbranch_execz .LBB345_328
; %bb.327:
	v_lshlrev_b32_e32 v6, 16, v3
	s_mov_b32 s2, 0x3f0000
	v_lshrrev_b32_e32 v5, 7, v3
	v_and_b32_e32 v3, 64, v3
	v_and_or_b32 v2, v6, s2, v2
	v_cmp_ne_u32_e32 vcc, 0, v3
	v_cmp_ne_u32_e64 s[2:3], 0, v2
	s_and_b64 s[2:3], vcc, s[2:3]
	s_nop 0
	v_cndmask_b32_e64 v2, 0, 1, s[2:3]
	v_add_u32_e32 v5, v5, v2
.LBB345_328:
	s_or_b64 exec, exec, s[6:7]
	s_mov_b64 s[6:7], -1
	s_mov_b64 s[2:3], 0
	global_store_byte v[0:1], v5, off
.LBB345_329:
	s_mov_b64 s[8:9], 0
.LBB345_330:
	s_and_b64 vcc, exec, s[8:9]
	s_cbranch_vccz .LBB345_333
; %bb.331:
	s_cmp_eq_u32 s13, 29
	s_mov_b64 s[2:3], -1
	s_cbranch_scc0 .LBB345_333
; %bb.332:
	v_lshlrev_b32_e32 v2, 16, v4
	v_trunc_f32_e32 v2, v2
	v_mul_f32_e32 v3, 0x2f800000, v2
	v_floor_f32_e32 v5, v3
	v_fmamk_f32 v2, v5, 0xcf800000, v2
	v_cvt_u32_f32_e32 v3, v5
	v_cvt_u32_f32_e32 v2, v2
	s_mov_b64 s[6:7], -1
	s_mov_b64 s[2:3], 0
	s_mov_b64 s[8:9], 0
	global_store_dwordx2 v[0:1], v[2:3], off
	s_branch .LBB345_334
.LBB345_333:
	s_mov_b64 s[8:9], 0
.LBB345_334:
	s_and_b64 vcc, exec, s[8:9]
	s_cbranch_vccz .LBB345_350
; %bb.335:
	s_cmp_lt_i32 s13, 27
	s_mov_b64 s[6:7], -1
	s_cbranch_scc1 .LBB345_341
; %bb.336:
	s_cmp_gt_i32 s13, 27
	s_cbranch_scc0 .LBB345_338
; %bb.337:
	v_lshlrev_b32_e32 v2, 16, v4
	v_cvt_u32_f32_e32 v2, v2
	s_mov_b64 s[6:7], 0
	global_store_dword v[0:1], v2, off
.LBB345_338:
	s_andn2_b64 vcc, exec, s[6:7]
	s_cbranch_vccnz .LBB345_340
; %bb.339:
	v_lshlrev_b32_e32 v2, 16, v4
	v_cvt_u32_f32_e32 v2, v2
	global_store_short v[0:1], v2, off
.LBB345_340:
	s_mov_b64 s[6:7], 0
.LBB345_341:
	s_andn2_b64 vcc, exec, s[6:7]
	s_cbranch_vccnz .LBB345_349
; %bb.342:
	v_lshlrev_b32_e32 v5, 16, v4
	v_and_b32_e32 v3, 0x7fffffff, v5
	s_mov_b32 s6, 0x43800000
	v_cmp_gt_u32_e32 vcc, s6, v3
	v_mov_b32_e32 v6, 0x80
	s_and_saveexec_b64 s[6:7], vcc
	s_cbranch_execz .LBB345_348
; %bb.343:
	s_mov_b32 s8, 0x3bffffff
	v_and_b32_e32 v2, 0xffff, v4
	v_cmp_lt_u32_e32 vcc, s8, v3
	s_mov_b64 s[8:9], 0
                                        ; implicit-def: $vgpr3
	s_and_saveexec_b64 s[10:11], vcc
	s_xor_b64 s[10:11], exec, s[10:11]
	s_cbranch_execz .LBB345_577
; %bb.344:
	v_bfe_u32 v3, v2, 4, 1
	s_mov_b32 s14, 0x487ffff
	v_add3_u32 v3, v5, v3, s14
	s_mov_b64 s[8:9], exec
	v_lshrrev_b32_e32 v3, 20, v3
                                        ; implicit-def: $vgpr5
	s_andn2_saveexec_b64 s[10:11], s[10:11]
	s_cbranch_execnz .LBB345_578
.LBB345_345:
	s_or_b64 exec, exec, s[10:11]
	v_mov_b32_e32 v6, 0
	s_and_saveexec_b64 s[10:11], s[8:9]
.LBB345_346:
	v_lshrrev_b32_e32 v2, 8, v2
	s_movk_i32 s8, 0x80
	v_and_or_b32 v6, v2, s8, v3
.LBB345_347:
	s_or_b64 exec, exec, s[10:11]
.LBB345_348:
	s_or_b64 exec, exec, s[6:7]
	global_store_byte v[0:1], v6, off
.LBB345_349:
	s_mov_b64 s[6:7], -1
.LBB345_350:
	s_mov_b64 s[8:9], 0
.LBB345_351:
	s_and_b64 vcc, exec, s[8:9]
	s_cbranch_vccz .LBB345_392
; %bb.352:
	s_cmp_gt_i32 s13, 22
	s_mov_b64 s[8:9], -1
	s_cbranch_scc0 .LBB345_384
; %bb.353:
	s_cmp_lt_i32 s13, 24
	s_mov_b64 s[6:7], -1
	s_cbranch_scc1 .LBB345_373
; %bb.354:
	s_cmp_gt_i32 s13, 24
	s_cbranch_scc0 .LBB345_362
; %bb.355:
	v_lshlrev_b32_e32 v5, 16, v4
	v_and_b32_e32 v3, 0x7fffffff, v5
	s_mov_b32 s6, 0x47800000
	v_cmp_gt_u32_e32 vcc, s6, v3
	v_mov_b32_e32 v6, 0x80
	s_and_saveexec_b64 s[6:7], vcc
	s_cbranch_execz .LBB345_361
; %bb.356:
	s_mov_b32 s8, 0x37ffffff
	v_and_b32_e32 v2, 0xffff, v4
	v_cmp_lt_u32_e32 vcc, s8, v3
	s_mov_b64 s[8:9], 0
                                        ; implicit-def: $vgpr3
	s_and_saveexec_b64 s[10:11], vcc
	s_xor_b64 s[10:11], exec, s[10:11]
	s_cbranch_execz .LBB345_580
; %bb.357:
	v_bfe_u32 v3, v2, 5, 1
	s_mov_b32 s14, 0x88fffff
	v_add3_u32 v3, v5, v3, s14
	s_mov_b64 s[8:9], exec
	v_lshrrev_b32_e32 v3, 21, v3
                                        ; implicit-def: $vgpr5
	s_andn2_saveexec_b64 s[10:11], s[10:11]
	s_cbranch_execnz .LBB345_581
.LBB345_358:
	s_or_b64 exec, exec, s[10:11]
	v_mov_b32_e32 v6, 0
	s_and_saveexec_b64 s[10:11], s[8:9]
.LBB345_359:
	v_lshrrev_b32_e32 v2, 8, v2
	s_movk_i32 s8, 0x80
	v_and_or_b32 v6, v2, s8, v3
.LBB345_360:
	s_or_b64 exec, exec, s[10:11]
.LBB345_361:
	s_or_b64 exec, exec, s[6:7]
	s_mov_b64 s[6:7], 0
	global_store_byte v[0:1], v6, off
.LBB345_362:
	s_and_b64 vcc, exec, s[6:7]
	s_cbranch_vccz .LBB345_372
; %bb.363:
	v_lshlrev_b32_e32 v5, 16, v4
	v_and_b32_e32 v6, 0x7fffffff, v5
	s_mov_b32 s6, 0x43f00000
	v_and_b32_e32 v2, 0xffff, v4
	v_cmp_gt_u32_e32 vcc, s6, v6
                                        ; implicit-def: $vgpr3
	s_and_saveexec_b64 s[6:7], vcc
	s_xor_b64 s[6:7], exec, s[6:7]
	s_cbranch_execz .LBB345_369
; %bb.364:
	s_mov_b32 s8, 0x3c7fffff
	v_cmp_lt_u32_e32 vcc, s8, v6
                                        ; implicit-def: $vgpr3
	s_and_saveexec_b64 s[8:9], vcc
	s_xor_b64 s[8:9], exec, s[8:9]
; %bb.365:
	v_bfe_u32 v3, v2, 4, 1
	s_mov_b32 s10, 0x407ffff
	v_add3_u32 v3, v5, v3, s10
	v_lshrrev_b32_e32 v5, 20, v3
	v_and_b32_e32 v3, 0xff00000, v3
	s_mov_b32 s10, 0x7f00000
	v_mov_b32_e32 v6, 0x7e
	v_cmp_ne_u32_e32 vcc, s10, v3
	s_nop 1
	v_cndmask_b32_e32 v3, v6, v5, vcc
                                        ; implicit-def: $vgpr5
; %bb.366:
	s_andn2_saveexec_b64 s[8:9], s[8:9]
; %bb.367:
	s_mov_b32 s10, 0x46800000
	v_add_f32_e64 v3, |v5|, s10
; %bb.368:
	s_or_b64 exec, exec, s[8:9]
                                        ; implicit-def: $vgpr6
.LBB345_369:
	s_andn2_saveexec_b64 s[6:7], s[6:7]
; %bb.370:
	s_mov_b32 s8, 0x7f800000
	v_mov_b32_e32 v3, 0x7e
	v_mov_b32_e32 v5, 0x7f
	v_cmp_lt_u32_e32 vcc, s8, v6
	s_nop 1
	v_cndmask_b32_e32 v3, v3, v5, vcc
; %bb.371:
	s_or_b64 exec, exec, s[6:7]
	v_lshrrev_b32_e32 v2, 8, v2
	s_movk_i32 s6, 0x80
	v_and_or_b32 v2, v2, s6, v3
	global_store_byte v[0:1], v2, off
.LBB345_372:
	s_mov_b64 s[6:7], 0
.LBB345_373:
	s_andn2_b64 vcc, exec, s[6:7]
	s_cbranch_vccnz .LBB345_383
; %bb.374:
	v_lshlrev_b32_e32 v5, 16, v4
	v_and_b32_e32 v6, 0x7fffffff, v5
	s_mov_b32 s6, 0x47800000
	v_and_b32_e32 v2, 0xffff, v4
	v_cmp_gt_u32_e32 vcc, s6, v6
                                        ; implicit-def: $vgpr3
	s_and_saveexec_b64 s[6:7], vcc
	s_xor_b64 s[6:7], exec, s[6:7]
	s_cbranch_execz .LBB345_380
; %bb.375:
	s_mov_b32 s8, 0x387fffff
	v_cmp_lt_u32_e32 vcc, s8, v6
                                        ; implicit-def: $vgpr3
	s_and_saveexec_b64 s[8:9], vcc
	s_xor_b64 s[8:9], exec, s[8:9]
; %bb.376:
	v_bfe_u32 v3, v2, 5, 1
	s_mov_b32 s10, 0x80fffff
	v_add3_u32 v3, v5, v3, s10
	v_lshrrev_b32_e32 v3, 21, v3
                                        ; implicit-def: $vgpr5
; %bb.377:
	s_andn2_saveexec_b64 s[8:9], s[8:9]
; %bb.378:
	s_mov_b32 s10, 0x43000000
	v_add_f32_e64 v3, |v5|, s10
; %bb.379:
	s_or_b64 exec, exec, s[8:9]
                                        ; implicit-def: $vgpr6
.LBB345_380:
	s_andn2_saveexec_b64 s[6:7], s[6:7]
; %bb.381:
	s_mov_b32 s8, 0x7f800000
	v_mov_b32_e32 v3, 0x7c
	v_mov_b32_e32 v5, 0x7f
	v_cmp_lt_u32_e32 vcc, s8, v6
	s_nop 1
	v_cndmask_b32_e32 v3, v3, v5, vcc
; %bb.382:
	s_or_b64 exec, exec, s[6:7]
	v_lshrrev_b32_e32 v2, 8, v2
	s_movk_i32 s6, 0x80
	v_and_or_b32 v2, v2, s6, v3
	global_store_byte v[0:1], v2, off
.LBB345_383:
	s_mov_b64 s[8:9], 0
	s_mov_b64 s[6:7], -1
.LBB345_384:
	s_andn2_b64 vcc, exec, s[8:9]
	s_cbranch_vccnz .LBB345_392
; %bb.385:
	s_cmp_gt_i32 s13, 14
	s_mov_b64 s[8:9], -1
	s_cbranch_scc0 .LBB345_389
; %bb.386:
	s_cmp_eq_u32 s13, 15
	s_mov_b64 s[2:3], -1
	s_cbranch_scc0 .LBB345_388
; %bb.387:
	global_store_short v[0:1], v4, off
	s_mov_b64 s[6:7], -1
	s_mov_b64 s[2:3], 0
.LBB345_388:
	s_mov_b64 s[8:9], 0
.LBB345_389:
	s_and_b64 vcc, exec, s[8:9]
	s_cbranch_vccz .LBB345_392
; %bb.390:
	s_cmp_eq_u32 s13, 11
	s_mov_b64 s[2:3], -1
	s_cbranch_scc0 .LBB345_392
; %bb.391:
	v_and_b32_e32 v2, 0x7fff, v4
	v_cmp_ne_u16_e32 vcc, 0, v2
	s_mov_b64 s[6:7], -1
	s_mov_b64 s[2:3], 0
	v_cndmask_b32_e64 v2, 0, 1, vcc
	global_store_byte v[0:1], v2, off
.LBB345_392:
	s_mov_b64 s[8:9], 0
.LBB345_393:
	s_and_b64 vcc, exec, s[8:9]
	s_cbranch_vccz .LBB345_432
; %bb.394:
	s_and_b32 s8, 0xffff, s12
	s_cmp_lt_i32 s8, 5
	s_mov_b64 s[6:7], -1
	s_cbranch_scc1 .LBB345_415
; %bb.395:
	s_cmp_lt_i32 s8, 8
	s_cbranch_scc1 .LBB345_405
; %bb.396:
	s_cmp_lt_i32 s8, 9
	s_cbranch_scc1 .LBB345_402
; %bb.397:
	s_cmp_gt_i32 s8, 9
	s_cbranch_scc0 .LBB345_399
; %bb.398:
	v_lshlrev_b32_e32 v2, 16, v4
	v_mov_b32_e32 v12, 0
	v_cvt_f64_f32_e32 v[10:11], v2
	v_mov_b32_e32 v13, v12
	s_mov_b64 s[6:7], 0
	global_store_dwordx4 v[0:1], v[10:13], off
.LBB345_399:
	s_andn2_b64 vcc, exec, s[6:7]
	s_cbranch_vccnz .LBB345_401
; %bb.400:
	v_lshlrev_b32_e32 v2, 16, v4
	v_mov_b32_e32 v3, 0
	global_store_dwordx2 v[0:1], v[2:3], off
.LBB345_401:
	s_mov_b64 s[6:7], 0
.LBB345_402:
	s_andn2_b64 vcc, exec, s[6:7]
	s_cbranch_vccnz .LBB345_404
; %bb.403:
	v_lshlrev_b32_e32 v2, 16, v4
	v_cvt_f16_f32_e32 v2, v2
	global_store_dword v[0:1], v2, off
.LBB345_404:
	s_mov_b64 s[6:7], 0
.LBB345_405:
	s_andn2_b64 vcc, exec, s[6:7]
	s_cbranch_vccnz .LBB345_414
; %bb.406:
	s_cmp_lt_i32 s8, 6
	s_mov_b64 s[6:7], -1
	s_cbranch_scc1 .LBB345_412
; %bb.407:
	s_cmp_gt_i32 s8, 6
	s_cbranch_scc0 .LBB345_409
; %bb.408:
	v_lshlrev_b32_e32 v2, 16, v4
	v_cvt_f64_f32_e32 v[2:3], v2
	s_mov_b64 s[6:7], 0
	global_store_dwordx2 v[0:1], v[2:3], off
.LBB345_409:
	s_andn2_b64 vcc, exec, s[6:7]
	s_cbranch_vccnz .LBB345_411
; %bb.410:
	v_lshlrev_b32_e32 v2, 16, v4
	global_store_dword v[0:1], v2, off
.LBB345_411:
	s_mov_b64 s[6:7], 0
.LBB345_412:
	s_andn2_b64 vcc, exec, s[6:7]
	s_cbranch_vccnz .LBB345_414
; %bb.413:
	v_lshlrev_b32_e32 v2, 16, v4
	v_cvt_f16_f32_e32 v2, v2
	global_store_short v[0:1], v2, off
.LBB345_414:
	s_mov_b64 s[6:7], 0
.LBB345_415:
	s_andn2_b64 vcc, exec, s[6:7]
	s_cbranch_vccnz .LBB345_431
; %bb.416:
	s_cmp_lt_i32 s8, 2
	s_mov_b64 s[6:7], -1
	s_cbranch_scc1 .LBB345_426
; %bb.417:
	s_cmp_lt_i32 s8, 3
	s_cbranch_scc1 .LBB345_423
; %bb.418:
	s_cmp_gt_i32 s8, 3
	s_cbranch_scc0 .LBB345_420
; %bb.419:
	v_lshlrev_b32_e32 v2, 16, v4
	v_trunc_f32_e32 v2, v2
	s_mov_b32 s6, 0x2f800000
	v_mul_f32_e64 v3, |v2|, s6
	v_floor_f32_e32 v3, v3
	s_mov_b32 s6, 0xcf800000
	v_cvt_u32_f32_e32 v5, v3
	v_fma_f32 v3, v3, s6, |v2|
	v_cvt_u32_f32_e32 v3, v3
	v_ashrrev_i32_e32 v6, 31, v2
	v_xor_b32_e32 v5, v5, v6
	s_mov_b64 s[6:7], 0
	v_xor_b32_e32 v2, v3, v6
	v_sub_co_u32_e32 v2, vcc, v2, v6
	s_nop 1
	v_subb_co_u32_e32 v3, vcc, v5, v6, vcc
	global_store_dwordx2 v[0:1], v[2:3], off
.LBB345_420:
	s_andn2_b64 vcc, exec, s[6:7]
	s_cbranch_vccnz .LBB345_422
; %bb.421:
	v_lshlrev_b32_e32 v2, 16, v4
	v_cvt_i32_f32_e32 v2, v2
	global_store_dword v[0:1], v2, off
.LBB345_422:
	s_mov_b64 s[6:7], 0
.LBB345_423:
	s_andn2_b64 vcc, exec, s[6:7]
	s_cbranch_vccnz .LBB345_425
; %bb.424:
	v_lshlrev_b32_e32 v2, 16, v4
	v_cvt_i32_f32_e32 v2, v2
	global_store_short v[0:1], v2, off
.LBB345_425:
	s_mov_b64 s[6:7], 0
.LBB345_426:
	s_andn2_b64 vcc, exec, s[6:7]
	s_cbranch_vccnz .LBB345_431
; %bb.427:
	s_mov_b64 s[6:7], -1
	s_cmp_gt_i32 s8, 0
	v_lshlrev_b32_e32 v2, 16, v4
	s_cbranch_scc0 .LBB345_429
; %bb.428:
	v_cvt_i32_f32_e32 v3, v2
	s_mov_b64 s[6:7], 0
	global_store_byte v[0:1], v3, off
.LBB345_429:
	s_andn2_b64 vcc, exec, s[6:7]
	s_cbranch_vccnz .LBB345_431
; %bb.430:
	v_trunc_f32_e32 v2, v2
	s_mov_b32 s6, 0x2f800000
	v_mul_f32_e64 v3, |v2|, s6
	v_floor_f32_e32 v3, v3
	s_mov_b32 s6, 0xcf800000
	v_fma_f32 v3, v3, s6, |v2|
	v_cvt_u32_f32_e32 v3, v3
	v_ashrrev_i32_e32 v2, 31, v2
	v_xor_b32_e32 v3, v3, v2
	v_sub_u32_e32 v2, v3, v2
	global_store_byte v[0:1], v2, off
.LBB345_431:
	s_mov_b64 s[6:7], -1
.LBB345_432:
	s_andn2_b64 vcc, exec, s[6:7]
	s_cbranch_vccnz .LBB345_434
; %bb.433:
	v_add_u32_e32 v8, 0x80, v8
	s_mov_b64 s[6:7], -1
	s_branch .LBB345_547
.LBB345_434:
	s_mov_b64 s[6:7], 0
	s_branch .LBB345_546
.LBB345_435:
	s_mov_b64 s[4:5], -1
                                        ; implicit-def: $vgpr4
.LBB345_436:
	s_mov_b64 s[6:7], 0
.LBB345_437:
	s_and_b64 vcc, exec, s[6:7]
	s_cbranch_vccz .LBB345_441
; %bb.438:
	s_cmp_eq_u32 s10, 29
	s_cbranch_scc0 .LBB345_440
; %bb.439:
	global_load_dwordx2 v[4:5], v[2:3], off
	s_movk_i32 s4, 0x7fff
	s_mov_b64 s[2:3], -1
	s_mov_b64 s[6:7], 0
	s_waitcnt vmcnt(0)
	v_ffbh_u32_e32 v1, v5
	v_min_u32_e32 v1, 32, v1
	v_lshlrev_b64 v[4:5], v1, v[4:5]
	v_min_u32_e32 v4, 1, v4
	v_or_b32_e32 v4, v5, v4
	v_cvt_f32_u32_e32 v4, v4
	v_sub_u32_e32 v1, 32, v1
	v_ldexp_f32 v1, v4, v1
	v_bfe_u32 v4, v1, 16, 1
	v_add3_u32 v1, v1, v4, s4
	v_lshrrev_b32_e32 v4, 16, v1
	s_mov_b64 s[4:5], 0
	s_branch .LBB345_442
.LBB345_440:
	s_mov_b64 s[4:5], -1
                                        ; implicit-def: $vgpr4
.LBB345_441:
	s_mov_b64 s[6:7], 0
.LBB345_442:
	s_and_b64 vcc, exec, s[6:7]
	s_cbranch_vccz .LBB345_460
; %bb.443:
	s_cmp_lt_i32 s10, 27
	s_cbranch_scc1 .LBB345_446
; %bb.444:
	s_cmp_gt_i32 s10, 27
	s_cbranch_scc0 .LBB345_447
; %bb.445:
	global_load_dword v1, v[2:3], off
	s_movk_i32 s2, 0x7fff
	s_waitcnt vmcnt(0)
	v_cvt_f32_u32_e32 v1, v1
	v_bfe_u32 v4, v1, 16, 1
	v_add3_u32 v1, v1, v4, s2
	v_lshrrev_b32_e32 v4, 16, v1
	s_mov_b64 s[2:3], 0
	s_branch .LBB345_448
.LBB345_446:
	s_mov_b64 s[2:3], -1
                                        ; implicit-def: $vgpr4
	s_branch .LBB345_451
.LBB345_447:
	s_mov_b64 s[2:3], -1
                                        ; implicit-def: $vgpr4
.LBB345_448:
	s_andn2_b64 vcc, exec, s[2:3]
	s_cbranch_vccnz .LBB345_450
; %bb.449:
	global_load_ushort v1, v[2:3], off
	s_movk_i32 s2, 0x7fff
	s_waitcnt vmcnt(0)
	v_cvt_f32_u32_e32 v1, v1
	v_bfe_u32 v4, v1, 16, 1
	v_add3_u32 v1, v1, v4, s2
	v_lshrrev_b32_e32 v4, 16, v1
.LBB345_450:
	s_mov_b64 s[2:3], 0
.LBB345_451:
	s_andn2_b64 vcc, exec, s[2:3]
	s_cbranch_vccnz .LBB345_459
; %bb.452:
	global_load_ubyte v1, v[2:3], off
	s_movk_i32 s2, 0x7f
	s_waitcnt vmcnt(0)
	v_cmp_lt_i16_e32 vcc, s2, v1
	s_mov_b64 s[2:3], 0
	s_and_saveexec_b64 s[6:7], vcc
	s_xor_b64 s[6:7], exec, s[6:7]
	s_cbranch_execz .LBB345_473
; %bb.453:
	s_movk_i32 s2, 0x80
	v_cmp_eq_u16_e32 vcc, s2, v1
	s_mov_b64 s[2:3], -1
	s_and_saveexec_b64 s[8:9], vcc
; %bb.454:
	s_xor_b64 s[2:3], exec, -1
; %bb.455:
	s_or_b64 exec, exec, s[8:9]
	s_and_b64 s[2:3], s[2:3], exec
	s_or_saveexec_b64 s[6:7], s[6:7]
	v_mov_b32_e32 v4, 0x7f800001
	s_xor_b64 exec, exec, s[6:7]
	s_cbranch_execnz .LBB345_474
.LBB345_456:
	s_or_b64 exec, exec, s[6:7]
	s_and_saveexec_b64 s[6:7], s[2:3]
	s_cbranch_execz .LBB345_458
.LBB345_457:
	v_lshlrev_b32_e32 v4, 24, v1
	v_and_b32_e32 v1, 0xffff, v1
	v_and_b32_e32 v5, 7, v1
	v_ffbh_u32_e32 v7, v5
	v_min_u32_e32 v7, 32, v7
	v_subrev_u32_e32 v9, 28, v7
	v_bfe_u32 v6, v1, 3, 4
	v_lshlrev_b32_e32 v1, v9, v1
	v_sub_u32_e32 v7, 29, v7
	v_and_b32_e32 v1, 7, v1
	v_cmp_eq_u32_e32 vcc, 0, v6
	v_and_b32_e32 v4, 0x80000000, v4
	s_nop 0
	v_cndmask_b32_e32 v6, v6, v7, vcc
	v_cndmask_b32_e32 v1, v5, v1, vcc
	v_mov_b32_e32 v5, 0x3b800000
	v_lshlrev_b32_e32 v1, 20, v1
	v_lshl_add_u32 v5, v6, 23, v5
	v_or3_b32 v4, v4, v5, v1
.LBB345_458:
	s_or_b64 exec, exec, s[6:7]
	v_bfe_u32 v1, v4, 16, 1
	s_movk_i32 s2, 0x7fff
	v_add3_u32 v1, v4, v1, s2
	v_cmp_o_f32_e32 vcc, v4, v4
	v_mov_b32_e32 v4, 0x7fc0
	s_nop 0
	v_cndmask_b32_sdwa v4, v4, v1, vcc dst_sel:DWORD dst_unused:UNUSED_PAD src0_sel:DWORD src1_sel:WORD_1
.LBB345_459:
	s_mov_b64 s[2:3], -1
.LBB345_460:
	s_mov_b64 s[6:7], 0
.LBB345_461:
	s_and_b64 vcc, exec, s[6:7]
	s_cbranch_vccz .LBB345_496
; %bb.462:
	s_cmp_gt_i32 s10, 22
	s_cbranch_scc0 .LBB345_472
; %bb.463:
	s_cmp_lt_i32 s10, 24
	s_cbranch_scc1 .LBB345_475
; %bb.464:
	s_cmp_gt_i32 s10, 24
	s_cbranch_scc0 .LBB345_476
; %bb.465:
	global_load_ubyte v1, v[2:3], off
	s_movk_i32 s2, 0x7f
	s_waitcnt vmcnt(0)
	v_cmp_lt_i16_e32 vcc, s2, v1
	s_mov_b64 s[2:3], 0
	s_and_saveexec_b64 s[6:7], vcc
	s_xor_b64 s[6:7], exec, s[6:7]
	s_cbranch_execz .LBB345_488
; %bb.466:
	s_movk_i32 s2, 0x80
	v_cmp_eq_u16_e32 vcc, s2, v1
	s_mov_b64 s[2:3], -1
	s_and_saveexec_b64 s[8:9], vcc
; %bb.467:
	s_xor_b64 s[2:3], exec, -1
; %bb.468:
	s_or_b64 exec, exec, s[8:9]
	s_and_b64 s[2:3], s[2:3], exec
	s_or_saveexec_b64 s[6:7], s[6:7]
	v_mov_b32_e32 v4, 0x7f800001
	s_xor_b64 exec, exec, s[6:7]
	s_cbranch_execnz .LBB345_489
.LBB345_469:
	s_or_b64 exec, exec, s[6:7]
	s_and_saveexec_b64 s[6:7], s[2:3]
	s_cbranch_execz .LBB345_471
.LBB345_470:
	v_lshlrev_b32_e32 v4, 24, v1
	v_and_b32_e32 v1, 0xffff, v1
	v_and_b32_e32 v5, 3, v1
	v_ffbh_u32_e32 v7, v5
	v_min_u32_e32 v7, 32, v7
	v_subrev_u32_e32 v9, 29, v7
	v_bfe_u32 v6, v1, 2, 5
	v_lshlrev_b32_e32 v1, v9, v1
	v_sub_u32_e32 v7, 30, v7
	v_and_b32_e32 v1, 3, v1
	v_cmp_eq_u32_e32 vcc, 0, v6
	v_and_b32_e32 v4, 0x80000000, v4
	s_nop 0
	v_cndmask_b32_e32 v6, v6, v7, vcc
	v_cndmask_b32_e32 v1, v5, v1, vcc
	v_mov_b32_e32 v5, 0x37800000
	v_lshlrev_b32_e32 v1, 21, v1
	v_lshl_add_u32 v5, v6, 23, v5
	v_or3_b32 v4, v4, v5, v1
.LBB345_471:
	s_or_b64 exec, exec, s[6:7]
	v_bfe_u32 v1, v4, 16, 1
	s_movk_i32 s2, 0x7fff
	v_add3_u32 v1, v4, v1, s2
	v_cmp_o_f32_e32 vcc, v4, v4
	v_mov_b32_e32 v4, 0x7fc0
	s_mov_b64 s[2:3], 0
	v_cndmask_b32_sdwa v4, v4, v1, vcc dst_sel:DWORD dst_unused:UNUSED_PAD src0_sel:DWORD src1_sel:WORD_1
	s_branch .LBB345_477
.LBB345_472:
	s_mov_b64 s[6:7], -1
                                        ; implicit-def: $vgpr4
	s_branch .LBB345_483
.LBB345_473:
	s_or_saveexec_b64 s[6:7], s[6:7]
	v_mov_b32_e32 v4, 0x7f800001
	s_xor_b64 exec, exec, s[6:7]
	s_cbranch_execz .LBB345_456
.LBB345_474:
	v_cmp_ne_u16_e32 vcc, 0, v1
	s_andn2_b64 s[2:3], s[2:3], exec
	s_and_b64 s[8:9], vcc, exec
	v_mov_b32_e32 v4, 0
	s_or_b64 s[2:3], s[2:3], s[8:9]
	s_or_b64 exec, exec, s[6:7]
	s_and_saveexec_b64 s[6:7], s[2:3]
	s_cbranch_execnz .LBB345_457
	s_branch .LBB345_458
.LBB345_475:
	s_mov_b64 s[2:3], -1
                                        ; implicit-def: $vgpr4
	s_branch .LBB345_480
.LBB345_476:
	s_mov_b64 s[2:3], -1
                                        ; implicit-def: $vgpr4
.LBB345_477:
	s_and_b64 vcc, exec, s[2:3]
	s_cbranch_vccz .LBB345_479
; %bb.478:
	global_load_ubyte v1, v[2:3], off
	s_mov_b32 s2, 0x7f800000
	s_brev_b32 s3, 1
	s_movk_i32 s6, 0x7fff
	s_waitcnt vmcnt(0)
	v_lshlrev_b32_e32 v1, 24, v1
	v_and_b32_e32 v4, 0x7f000000, v1
	v_ffbh_u32_e32 v5, v4
	v_min_u32_e32 v5, 32, v5
	v_sub_u32_e64 v5, v5, 4 clamp
	v_lshlrev_b32_e32 v7, v5, v4
	v_lshlrev_b32_e32 v5, 23, v5
	v_lshrrev_b32_e32 v7, 4, v7
	v_add_u32_e32 v6, 0x1000000, v4
	v_sub_u32_e32 v5, v7, v5
	v_ashrrev_i32_e32 v6, 8, v6
	v_add_u32_e32 v5, 0x3c000000, v5
	v_and_or_b32 v5, v6, s2, v5
	v_cmp_ne_u32_e32 vcc, 0, v4
	s_nop 1
	v_cndmask_b32_e32 v4, 0, v5, vcc
	v_and_or_b32 v1, v1, s3, v4
	v_bfe_u32 v4, v4, 16, 1
	v_add3_u32 v4, v1, v4, s6
	v_cmp_o_f32_e32 vcc, v1, v1
	v_mov_b32_e32 v1, 0x7fc0
	s_nop 0
	v_cndmask_b32_sdwa v4, v1, v4, vcc dst_sel:DWORD dst_unused:UNUSED_PAD src0_sel:DWORD src1_sel:WORD_1
.LBB345_479:
	s_mov_b64 s[2:3], 0
.LBB345_480:
	s_andn2_b64 vcc, exec, s[2:3]
	s_cbranch_vccnz .LBB345_482
; %bb.481:
	global_load_ubyte v1, v[2:3], off
	s_movk_i32 s2, 0x7f00
	s_brev_b32 s3, 16
	s_brev_b32 s6, 1
	s_movk_i32 s7, 0x7fff
	s_waitcnt vmcnt(0)
	v_lshlrev_b16_e32 v4, 8, v1
	v_lshlrev_b32_e32 v1, 25, v1
	v_lshrrev_b32_e32 v5, 4, v1
	v_and_or_b32 v6, v4, s2, 0.5
	v_or_b32_e32 v5, 0x70000000, v5
	v_add_f32_e32 v6, -0.5, v6
	v_mul_f32_e32 v5, 0x7800000, v5
	v_cmp_gt_u32_e32 vcc, s3, v1
	v_bfe_i32 v4, v4, 0, 16
	s_nop 0
	v_cndmask_b32_e32 v1, v5, v6, vcc
	v_and_or_b32 v4, v4, s6, v1
	v_bfe_u32 v1, v1, 16, 1
	v_add3_u32 v1, v4, v1, s7
	v_cmp_o_f32_e32 vcc, v4, v4
	v_mov_b32_e32 v4, 0x7fc0
	s_nop 0
	v_cndmask_b32_sdwa v4, v4, v1, vcc dst_sel:DWORD dst_unused:UNUSED_PAD src0_sel:DWORD src1_sel:WORD_1
.LBB345_482:
	s_mov_b64 s[6:7], 0
	s_mov_b64 s[2:3], -1
.LBB345_483:
	s_andn2_b64 vcc, exec, s[6:7]
	s_cbranch_vccnz .LBB345_496
; %bb.484:
	s_cmp_gt_i32 s10, 14
	s_cbranch_scc0 .LBB345_487
; %bb.485:
	s_cmp_eq_u32 s10, 15
	s_cbranch_scc0 .LBB345_490
; %bb.486:
	global_load_ushort v4, v[2:3], off
	s_mov_b64 s[2:3], -1
	s_mov_b64 s[4:5], 0
	s_branch .LBB345_491
.LBB345_487:
	s_mov_b64 s[6:7], -1
                                        ; implicit-def: $vgpr4
	s_branch .LBB345_492
.LBB345_488:
	s_or_saveexec_b64 s[6:7], s[6:7]
	v_mov_b32_e32 v4, 0x7f800001
	s_xor_b64 exec, exec, s[6:7]
	s_cbranch_execz .LBB345_469
.LBB345_489:
	v_cmp_ne_u16_e32 vcc, 0, v1
	s_andn2_b64 s[2:3], s[2:3], exec
	s_and_b64 s[8:9], vcc, exec
	v_mov_b32_e32 v4, 0
	s_or_b64 s[2:3], s[2:3], s[8:9]
	s_or_b64 exec, exec, s[6:7]
	s_and_saveexec_b64 s[6:7], s[2:3]
	s_cbranch_execnz .LBB345_470
	s_branch .LBB345_471
.LBB345_490:
	s_mov_b64 s[4:5], -1
                                        ; implicit-def: $vgpr4
.LBB345_491:
	s_mov_b64 s[6:7], 0
.LBB345_492:
	s_and_b64 vcc, exec, s[6:7]
	s_cbranch_vccz .LBB345_496
; %bb.493:
	s_cmp_eq_u32 s10, 11
	s_cbranch_scc0 .LBB345_495
; %bb.494:
	global_load_ubyte v1, v[2:3], off
	s_mov_b64 s[2:3], -1
	s_mov_b64 s[4:5], 0
	s_waitcnt vmcnt(0)
	v_cmp_ne_u16_e32 vcc, 0, v1
	s_nop 1
	v_cndmask_b32_e64 v1, 0, 1.0, vcc
	v_lshrrev_b32_e32 v4, 16, v1
	s_branch .LBB345_496
.LBB345_495:
	s_mov_b64 s[4:5], -1
                                        ; implicit-def: $vgpr4
.LBB345_496:
	s_branch .LBB345_297
.LBB345_497:
	s_cmp_lt_i32 s10, 5
	s_cbranch_scc1 .LBB345_502
; %bb.498:
	s_cmp_lt_i32 s10, 8
	s_cbranch_scc1 .LBB345_503
; %bb.499:
	;; [unrolled: 3-line block ×3, first 2 shown]
	s_cmp_gt_i32 s10, 9
	s_cbranch_scc0 .LBB345_505
; %bb.501:
	global_load_dwordx2 v[4:5], v[2:3], off
	s_movk_i32 s2, 0x7fff
	v_mov_b32_e32 v1, 0x7fc0
	s_waitcnt vmcnt(0)
	v_cvt_f32_f64_e32 v4, v[4:5]
	v_bfe_u32 v5, v4, 16, 1
	v_cmp_o_f32_e32 vcc, v4, v4
	v_add3_u32 v4, v4, v5, s2
	s_mov_b64 s[2:3], 0
	v_cndmask_b32_sdwa v4, v1, v4, vcc dst_sel:DWORD dst_unused:UNUSED_PAD src0_sel:DWORD src1_sel:WORD_1
	s_branch .LBB345_506
.LBB345_502:
	s_mov_b64 s[2:3], -1
                                        ; implicit-def: $vgpr4
	s_branch .LBB345_524
.LBB345_503:
	s_mov_b64 s[2:3], -1
                                        ; implicit-def: $vgpr4
	s_branch .LBB345_512
.LBB345_504:
	s_mov_b64 s[2:3], -1
                                        ; implicit-def: $vgpr4
	s_branch .LBB345_509
.LBB345_505:
	s_mov_b64 s[2:3], -1
                                        ; implicit-def: $vgpr4
.LBB345_506:
	s_andn2_b64 vcc, exec, s[2:3]
	s_cbranch_vccnz .LBB345_508
; %bb.507:
	global_load_dword v1, v[2:3], off
	s_movk_i32 s2, 0x7fff
	s_waitcnt vmcnt(1)
	v_mov_b32_e32 v4, 0x7fc0
	s_waitcnt vmcnt(0)
	v_bfe_u32 v5, v1, 16, 1
	v_cmp_o_f32_e32 vcc, v1, v1
	v_add3_u32 v1, v1, v5, s2
	s_nop 0
	v_cndmask_b32_sdwa v4, v4, v1, vcc dst_sel:DWORD dst_unused:UNUSED_PAD src0_sel:DWORD src1_sel:WORD_1
.LBB345_508:
	s_mov_b64 s[2:3], 0
.LBB345_509:
	s_andn2_b64 vcc, exec, s[2:3]
	s_cbranch_vccnz .LBB345_511
; %bb.510:
	global_load_dword v1, v[2:3], off
	s_movk_i32 s2, 0x7fff
	v_mov_b32_e32 v5, 0x7fc0
	s_waitcnt vmcnt(0)
	v_cvt_f32_f16_e32 v4, v1
	v_cmp_o_f16_e32 vcc, v1, v1
	v_bfe_u32 v1, v4, 16, 1
	v_add3_u32 v1, v4, v1, s2
	v_cndmask_b32_sdwa v4, v5, v1, vcc dst_sel:DWORD dst_unused:UNUSED_PAD src0_sel:DWORD src1_sel:WORD_1
.LBB345_511:
	s_mov_b64 s[2:3], 0
.LBB345_512:
	s_andn2_b64 vcc, exec, s[2:3]
	s_cbranch_vccnz .LBB345_523
; %bb.513:
	s_cmp_lt_i32 s10, 6
	s_cbranch_scc1 .LBB345_516
; %bb.514:
	s_cmp_gt_i32 s10, 6
	s_cbranch_scc0 .LBB345_517
; %bb.515:
	global_load_dwordx2 v[4:5], v[2:3], off
	s_movk_i32 s2, 0x7fff
	v_mov_b32_e32 v1, 0x7fc0
	s_waitcnt vmcnt(0)
	v_cvt_f32_f64_e32 v4, v[4:5]
	v_bfe_u32 v5, v4, 16, 1
	v_cmp_o_f32_e32 vcc, v4, v4
	v_add3_u32 v4, v4, v5, s2
	s_mov_b64 s[2:3], 0
	v_cndmask_b32_sdwa v4, v1, v4, vcc dst_sel:DWORD dst_unused:UNUSED_PAD src0_sel:DWORD src1_sel:WORD_1
	s_branch .LBB345_518
.LBB345_516:
	s_mov_b64 s[2:3], -1
                                        ; implicit-def: $vgpr4
	s_branch .LBB345_521
.LBB345_517:
	s_mov_b64 s[2:3], -1
                                        ; implicit-def: $vgpr4
.LBB345_518:
	s_andn2_b64 vcc, exec, s[2:3]
	s_cbranch_vccnz .LBB345_520
; %bb.519:
	global_load_dword v1, v[2:3], off
	s_movk_i32 s2, 0x7fff
	s_waitcnt vmcnt(1)
	v_mov_b32_e32 v4, 0x7fc0
	s_waitcnt vmcnt(0)
	v_bfe_u32 v5, v1, 16, 1
	v_cmp_o_f32_e32 vcc, v1, v1
	v_add3_u32 v1, v1, v5, s2
	s_nop 0
	v_cndmask_b32_sdwa v4, v4, v1, vcc dst_sel:DWORD dst_unused:UNUSED_PAD src0_sel:DWORD src1_sel:WORD_1
.LBB345_520:
	s_mov_b64 s[2:3], 0
.LBB345_521:
	s_andn2_b64 vcc, exec, s[2:3]
	s_cbranch_vccnz .LBB345_523
; %bb.522:
	global_load_ushort v1, v[2:3], off
	s_movk_i32 s2, 0x7fff
	v_mov_b32_e32 v5, 0x7fc0
	s_waitcnt vmcnt(0)
	v_cvt_f32_f16_e32 v4, v1
	v_cmp_o_f16_e32 vcc, v1, v1
	v_bfe_u32 v1, v4, 16, 1
	v_add3_u32 v1, v4, v1, s2
	v_cndmask_b32_sdwa v4, v5, v1, vcc dst_sel:DWORD dst_unused:UNUSED_PAD src0_sel:DWORD src1_sel:WORD_1
.LBB345_523:
	s_mov_b64 s[2:3], 0
.LBB345_524:
	s_andn2_b64 vcc, exec, s[2:3]
	s_cbranch_vccnz .LBB345_544
; %bb.525:
	s_cmp_lt_i32 s10, 2
	s_cbranch_scc1 .LBB345_529
; %bb.526:
	s_cmp_lt_i32 s10, 3
	s_cbranch_scc1 .LBB345_530
; %bb.527:
	s_cmp_gt_i32 s10, 3
	s_cbranch_scc0 .LBB345_531
; %bb.528:
	global_load_dwordx2 v[4:5], v[2:3], off
	s_movk_i32 s2, 0x7fff
	s_waitcnt vmcnt(0)
	v_xor_b32_e32 v6, v4, v5
	v_ffbh_i32_e32 v1, v5
	v_ashrrev_i32_e32 v6, 31, v6
	v_add_u32_e32 v1, -1, v1
	v_add_u32_e32 v6, 32, v6
	v_min_u32_e32 v1, v1, v6
	v_lshlrev_b64 v[4:5], v1, v[4:5]
	v_min_u32_e32 v4, 1, v4
	v_or_b32_e32 v4, v5, v4
	v_cvt_f32_i32_e32 v4, v4
	v_sub_u32_e32 v1, 32, v1
	v_ldexp_f32 v1, v4, v1
	v_bfe_u32 v4, v1, 16, 1
	v_add3_u32 v1, v1, v4, s2
	v_lshrrev_b32_e32 v4, 16, v1
	s_mov_b64 s[2:3], 0
	s_branch .LBB345_532
.LBB345_529:
	s_mov_b64 s[2:3], -1
                                        ; implicit-def: $vgpr4
	s_branch .LBB345_538
.LBB345_530:
	s_mov_b64 s[2:3], -1
                                        ; implicit-def: $vgpr4
	s_branch .LBB345_535
.LBB345_531:
	s_mov_b64 s[2:3], -1
                                        ; implicit-def: $vgpr4
.LBB345_532:
	s_andn2_b64 vcc, exec, s[2:3]
	s_cbranch_vccnz .LBB345_534
; %bb.533:
	global_load_dword v1, v[2:3], off
	s_movk_i32 s2, 0x7fff
	s_waitcnt vmcnt(0)
	v_cvt_f32_i32_e32 v1, v1
	v_bfe_u32 v4, v1, 16, 1
	v_add3_u32 v1, v1, v4, s2
	v_lshrrev_b32_e32 v4, 16, v1
.LBB345_534:
	s_mov_b64 s[2:3], 0
.LBB345_535:
	s_andn2_b64 vcc, exec, s[2:3]
	s_cbranch_vccnz .LBB345_537
; %bb.536:
	global_load_sshort v1, v[2:3], off
	s_movk_i32 s2, 0x7fff
	s_waitcnt vmcnt(0)
	v_cvt_f32_i32_e32 v1, v1
	v_bfe_u32 v4, v1, 16, 1
	v_add3_u32 v1, v1, v4, s2
	v_lshrrev_b32_e32 v4, 16, v1
.LBB345_537:
	s_mov_b64 s[2:3], 0
.LBB345_538:
	s_andn2_b64 vcc, exec, s[2:3]
	s_cbranch_vccnz .LBB345_544
; %bb.539:
	s_cmp_gt_i32 s10, 0
	s_cbranch_scc0 .LBB345_541
; %bb.540:
	global_load_sbyte v1, v[2:3], off
	s_movk_i32 s2, 0x7fff
	s_waitcnt vmcnt(0)
	v_cvt_f32_i32_e32 v1, v1
	v_bfe_u32 v4, v1, 16, 1
	v_add3_u32 v1, v1, v4, s2
	v_lshrrev_b32_e32 v4, 16, v1
	s_mov_b64 s[2:3], 0
	s_branch .LBB345_542
.LBB345_541:
	s_mov_b64 s[2:3], -1
                                        ; implicit-def: $vgpr4
.LBB345_542:
	s_andn2_b64 vcc, exec, s[2:3]
	s_cbranch_vccnz .LBB345_544
; %bb.543:
	global_load_ubyte v1, v[2:3], off
	s_movk_i32 s2, 0x7fff
	s_waitcnt vmcnt(0)
	v_cvt_f32_ubyte0_e32 v1, v1
	v_bfe_u32 v2, v1, 16, 1
	v_add3_u32 v1, v1, v2, s2
	v_lshrrev_b32_e32 v4, 16, v1
.LBB345_544:
	s_branch .LBB345_298
.LBB345_545:
	s_mov_b64 s[6:7], 0
	s_mov_b64 s[2:3], s[56:57]
.LBB345_546:
                                        ; implicit-def: $vgpr8
.LBB345_547:
	s_andn2_b64 s[8:9], s[56:57], exec
	s_and_b64 s[2:3], s[2:3], exec
	s_or_b64 s[64:65], s[8:9], s[2:3]
	s_andn2_b64 s[2:3], s[58:59], exec
	s_and_b64 s[4:5], s[4:5], exec
	s_or_b64 s[62:63], s[2:3], s[4:5]
	s_orn2_b64 s[2:3], s[6:7], exec
.LBB345_548:
	s_or_b64 exec, exec, s[66:67]
	s_mov_b64 s[4:5], 0
	s_mov_b64 s[6:7], 0
	;; [unrolled: 1-line block ×3, first 2 shown]
                                        ; implicit-def: $vgpr2_vgpr3
                                        ; implicit-def: $vgpr0
                                        ; implicit-def: $vgpr4
	s_and_saveexec_b64 s[66:67], s[2:3]
	s_cbranch_execz .LBB345_927
; %bb.549:
	v_cmp_gt_i32_e32 vcc, s72, v8
	s_mov_b64 s[6:7], -1
	s_mov_b64 s[2:3], s[62:63]
	s_mov_b64 s[70:71], s[64:65]
	s_and_saveexec_b64 s[68:69], vcc
	s_cbranch_execz .LBB345_826
; %bb.550:
	s_andn2_b64 vcc, exec, s[42:43]
	s_cbranch_vccnz .LBB345_556
; %bb.551:
	s_andn2_b64 vcc, exec, s[54:55]
	s_cbranch_vccnz .LBB345_557
; %bb.552:
	s_add_i32 s80, s79, 1
	s_cmp_eq_u32 s74, 2
	s_cbranch_scc1 .LBB345_558
; %bb.553:
	s_and_b32 s73, s80, 28
	s_mov_b32 s81, 0
	v_mov_b32_e32 v0, 0
	v_mov_b32_e32 v2, 0
	s_mov_b64 s[2:3], s[34:35]
	s_mov_b64 s[70:71], s[52:53]
	s_waitcnt vmcnt(0)
	v_mov_b32_e32 v4, v8
.LBB345_554:                            ; =>This Inner Loop Header: Depth=1
	s_load_dwordx8 s[12:19], s[2:3], 0x4
	s_load_dwordx4 s[36:39], s[2:3], 0x24
	s_load_dwordx8 s[4:11], s[70:71], 0x0
	s_add_u32 s2, s2, 48
	s_addc_u32 s3, s3, 0
	s_waitcnt lgkmcnt(0)
	v_mul_hi_u32 v1, s13, v4
	v_add_u32_e32 v1, v4, v1
	v_lshrrev_b32_e32 v1, s14, v1
	v_mul_lo_u32 v3, v1, s12
	v_mul_hi_u32 v5, s16, v1
	v_sub_u32_e32 v3, v4, v3
	v_add_u32_e32 v4, v1, v5
	v_lshrrev_b32_e32 v4, s17, v4
	v_mul_lo_u32 v6, v4, s15
	v_mul_hi_u32 v7, s19, v4
	v_sub_u32_e32 v1, v1, v6
	v_add_u32_e32 v6, v4, v7
	v_mul_lo_u32 v5, v3, s5
	v_mul_lo_u32 v3, v3, s4
	;; [unrolled: 1-line block ×4, first 2 shown]
	v_lshrrev_b32_e32 v6, s36, v6
	v_add3_u32 v0, v3, v0, v1
	v_mul_hi_u32 v3, s38, v6
	v_add3_u32 v1, v5, v2, v7
	v_mul_lo_u32 v2, v6, s18
	v_add_u32_e32 v3, v6, v3
	v_sub_u32_e32 v2, v4, v2
	v_lshrrev_b32_e32 v4, s39, v3
	s_add_i32 s81, s81, 4
	v_mul_lo_u32 v3, v4, s37
	s_add_u32 s70, s70, 32
	v_sub_u32_e32 v3, v6, v3
	s_addc_u32 s71, s71, 0
	v_mul_lo_u32 v5, v2, s8
	v_mul_lo_u32 v2, v2, s9
	;; [unrolled: 1-line block ×4, first 2 shown]
	s_cmp_eq_u32 s73, s81
	v_add3_u32 v2, v2, v1, v3
	v_add3_u32 v0, v5, v0, v6
	s_cbranch_scc0 .LBB345_554
; %bb.555:
	v_mov_b32_e32 v1, v2
	s_branch .LBB345_559
.LBB345_556:
	s_mov_b64 s[2:3], -1
                                        ; implicit-def: $vgpr2
                                        ; implicit-def: $vgpr0
	s_branch .LBB345_563
.LBB345_557:
	v_mov_b32_e32 v2, 0
	v_mov_b32_e32 v0, 0
	s_branch .LBB345_562
.LBB345_558:
	v_mov_b32_e32 v0, 0
	s_mov_b32 s73, 0
	v_mov_b32_e32 v1, v0
                                        ; implicit-def: $vgpr2
	s_waitcnt vmcnt(0)
	v_mov_b32_e32 v4, v8
.LBB345_559:
	s_and_b32 s6, s80, 3
	s_cmp_eq_u32 s6, 0
	s_cbranch_scc1 .LBB345_562
; %bb.560:
	s_lshl_b32 s2, s73, 3
	s_add_u32 s2, s34, s2
	s_addc_u32 s3, s35, 0
	s_add_u32 s2, s2, 0xc4
	s_addc_u32 s3, s3, 0
	s_mul_i32 s4, s73, 12
	s_add_u32 s4, s34, s4
	s_addc_u32 s5, s35, 0
.LBB345_561:                            ; =>This Inner Loop Header: Depth=1
	s_load_dwordx2 s[8:9], s[4:5], 0x4
	s_load_dword s7, s[4:5], 0xc
	s_load_dwordx2 s[10:11], s[2:3], 0x0
	v_mov_b32_e32 v2, v1
	s_add_u32 s4, s4, 12
	s_waitcnt lgkmcnt(0)
	v_mul_hi_u32 v1, s9, v4
	v_add_u32_e32 v1, v4, v1
	v_lshrrev_b32_e32 v1, s7, v1
	s_addc_u32 s5, s5, 0
	v_mul_lo_u32 v3, v1, s8
	s_add_u32 s2, s2, 8
	v_sub_u32_e32 v5, v4, v3
	s_addc_u32 s3, s3, 0
	s_add_i32 s6, s6, -1
	v_mov_b32_e32 v4, v1
	v_mad_u64_u32 v[2:3], s[8:9], v5, s11, v[2:3]
	v_mad_u64_u32 v[0:1], s[8:9], v5, s10, v[0:1]
	s_cmp_lg_u32 s6, 0
	v_mov_b32_e32 v1, v2
	s_cbranch_scc1 .LBB345_561
.LBB345_562:
	s_mov_b64 s[2:3], 0
.LBB345_563:
	s_andn2_b64 vcc, exec, s[2:3]
	s_cbranch_vccnz .LBB345_566
; %bb.564:
	v_mul_hi_u32 v0, s25, v8
	v_add_u32_e32 v0, v8, v0
	v_lshrrev_b32_e32 v1, s26, v0
	v_mul_lo_u32 v0, v1, s24
	v_sub_u32_e32 v0, v8, v0
	v_mul_lo_u32 v2, v0, s29
	s_andn2_b64 vcc, exec, s[50:51]
	v_mul_lo_u32 v0, v0, s28
	s_cbranch_vccnz .LBB345_566
; %bb.565:
	v_mul_hi_u32 v3, s48, v1
	v_add_u32_e32 v3, v1, v3
	v_lshrrev_b32_e32 v3, s49, v3
	v_mul_lo_u32 v3, v3, s27
	v_sub_u32_e32 v3, v1, v3
	v_mad_u64_u32 v[0:1], s[2:3], v3, s30, v[0:1]
	v_mad_u64_u32 v[2:3], s[2:3], v3, s31, v[2:3]
.LBB345_566:
	v_mov_b32_e32 v3, 0
	s_and_b32 s10, 0xffff, s78
	s_cmp_lt_i32 s10, 11
	v_lshl_add_u64 v[2:3], s[22:23], 0, v[2:3]
	s_cbranch_scc1 .LBB345_573
; %bb.567:
	s_cmp_gt_i32 s10, 25
	s_cbranch_scc0 .LBB345_574
; %bb.568:
	s_cmp_gt_i32 s10, 28
	s_cbranch_scc0 .LBB345_575
	;; [unrolled: 3-line block ×4, first 2 shown]
; %bb.571:
	s_cmp_eq_u32 s10, 46
	s_mov_b64 s[6:7], 0
	s_cbranch_scc0 .LBB345_582
; %bb.572:
	global_load_dword v4, v[2:3], off
	s_mov_b64 s[2:3], -1
	s_mov_b64 s[4:5], 0
	s_branch .LBB345_583
.LBB345_573:
	s_mov_b64 s[6:7], -1
	s_mov_b64 s[2:3], 0
                                        ; implicit-def: $vgpr4
	s_mov_b64 s[4:5], s[62:63]
	s_branch .LBB345_648
.LBB345_574:
	s_mov_b64 s[6:7], -1
	s_mov_b64 s[2:3], 0
	s_mov_b64 s[4:5], s[62:63]
                                        ; implicit-def: $vgpr4
	s_branch .LBB345_612
.LBB345_575:
	s_mov_b64 s[6:7], -1
	s_mov_b64 s[2:3], 0
	s_mov_b64 s[4:5], s[62:63]
                                        ; implicit-def: $vgpr4
	s_branch .LBB345_593
.LBB345_576:
	s_mov_b64 s[6:7], -1
	s_mov_b64 s[2:3], 0
	s_mov_b64 s[4:5], s[62:63]
                                        ; implicit-def: $vgpr4
	s_branch .LBB345_588
.LBB345_577:
	s_andn2_saveexec_b64 s[10:11], s[10:11]
	s_cbranch_execz .LBB345_345
.LBB345_578:
	s_mov_b32 s14, 0x46000000
	v_add_f32_e64 v3, |v5|, s14
	v_and_b32_e32 v3, 0xff, v3
	v_cmp_ne_u32_e32 vcc, 0, v3
	s_andn2_b64 s[8:9], s[8:9], exec
	s_and_b64 s[14:15], vcc, exec
	s_or_b64 s[8:9], s[8:9], s[14:15]
	s_or_b64 exec, exec, s[10:11]
	v_mov_b32_e32 v6, 0
	s_and_saveexec_b64 s[10:11], s[8:9]
	s_cbranch_execnz .LBB345_346
	s_branch .LBB345_347
.LBB345_579:
	s_mov_b64 s[6:7], -1
	s_mov_b64 s[2:3], 0
	s_mov_b64 s[4:5], s[62:63]
                                        ; implicit-def: $vgpr4
	s_branch .LBB345_583
.LBB345_580:
	s_andn2_saveexec_b64 s[10:11], s[10:11]
	s_cbranch_execz .LBB345_358
.LBB345_581:
	s_mov_b32 s14, 0x42800000
	v_add_f32_e64 v3, |v5|, s14
	v_and_b32_e32 v3, 0xff, v3
	v_cmp_ne_u32_e32 vcc, 0, v3
	s_andn2_b64 s[8:9], s[8:9], exec
	s_and_b64 s[14:15], vcc, exec
	s_or_b64 s[8:9], s[8:9], s[14:15]
	s_or_b64 exec, exec, s[10:11]
	v_mov_b32_e32 v6, 0
	s_and_saveexec_b64 s[10:11], s[8:9]
	s_cbranch_execnz .LBB345_359
	s_branch .LBB345_360
.LBB345_582:
	s_mov_b64 s[4:5], -1
                                        ; implicit-def: $vgpr4
	s_mov_b64 s[2:3], 0
.LBB345_583:
	s_and_b64 vcc, exec, s[6:7]
	s_cbranch_vccz .LBB345_587
; %bb.584:
	s_cmp_eq_u32 s10, 44
	s_cbranch_scc0 .LBB345_586
; %bb.585:
	global_load_ubyte v1, v[2:3], off
	s_movk_i32 s4, 0xff
	s_waitcnt vmcnt(1)
	v_mov_b32_e32 v4, 0x7f800001
	v_mov_b32_e32 v5, 0x400000
	;; [unrolled: 1-line block ×3, first 2 shown]
	s_mov_b64 s[2:3], -1
	s_waitcnt vmcnt(0)
	v_lshlrev_b32_e32 v7, 23, v1
	v_cmp_ne_u32_e32 vcc, s4, v1
	s_mov_b64 s[4:5], 0
	s_nop 0
	v_cndmask_b32_e32 v4, v4, v7, vcc
	v_cmp_ne_u32_e32 vcc, 0, v1
	s_nop 1
	v_cndmask_b32_e32 v1, v5, v4, vcc
	v_add_u32_e32 v4, 0x7fff, v1
	v_cmp_o_f32_e32 vcc, v1, v1
	s_nop 1
	v_cndmask_b32_sdwa v4, v6, v4, vcc dst_sel:DWORD dst_unused:UNUSED_PAD src0_sel:DWORD src1_sel:WORD_1
	s_branch .LBB345_587
.LBB345_586:
	s_mov_b64 s[4:5], -1
                                        ; implicit-def: $vgpr4
.LBB345_587:
	s_mov_b64 s[6:7], 0
.LBB345_588:
	s_and_b64 vcc, exec, s[6:7]
	s_cbranch_vccz .LBB345_592
; %bb.589:
	s_cmp_eq_u32 s10, 29
	s_cbranch_scc0 .LBB345_591
; %bb.590:
	global_load_dwordx2 v[4:5], v[2:3], off
	s_movk_i32 s4, 0x7fff
	s_mov_b64 s[2:3], -1
	s_mov_b64 s[6:7], 0
	s_waitcnt vmcnt(0)
	v_ffbh_u32_e32 v1, v5
	v_min_u32_e32 v1, 32, v1
	v_lshlrev_b64 v[4:5], v1, v[4:5]
	v_min_u32_e32 v4, 1, v4
	v_or_b32_e32 v4, v5, v4
	v_cvt_f32_u32_e32 v4, v4
	v_sub_u32_e32 v1, 32, v1
	v_ldexp_f32 v1, v4, v1
	v_bfe_u32 v4, v1, 16, 1
	v_add3_u32 v1, v1, v4, s4
	v_lshrrev_b32_e32 v4, 16, v1
	s_mov_b64 s[4:5], 0
	s_branch .LBB345_593
.LBB345_591:
	s_mov_b64 s[4:5], -1
                                        ; implicit-def: $vgpr4
.LBB345_592:
	s_mov_b64 s[6:7], 0
.LBB345_593:
	s_and_b64 vcc, exec, s[6:7]
	s_cbranch_vccz .LBB345_611
; %bb.594:
	s_cmp_lt_i32 s10, 27
	s_cbranch_scc1 .LBB345_597
; %bb.595:
	s_cmp_gt_i32 s10, 27
	s_cbranch_scc0 .LBB345_598
; %bb.596:
	global_load_dword v1, v[2:3], off
	s_movk_i32 s2, 0x7fff
	s_waitcnt vmcnt(0)
	v_cvt_f32_u32_e32 v1, v1
	v_bfe_u32 v4, v1, 16, 1
	v_add3_u32 v1, v1, v4, s2
	v_lshrrev_b32_e32 v4, 16, v1
	s_mov_b64 s[2:3], 0
	s_branch .LBB345_599
.LBB345_597:
	s_mov_b64 s[2:3], -1
                                        ; implicit-def: $vgpr4
	s_branch .LBB345_602
.LBB345_598:
	s_mov_b64 s[2:3], -1
                                        ; implicit-def: $vgpr4
.LBB345_599:
	s_andn2_b64 vcc, exec, s[2:3]
	s_cbranch_vccnz .LBB345_601
; %bb.600:
	global_load_ushort v1, v[2:3], off
	s_movk_i32 s2, 0x7fff
	s_waitcnt vmcnt(0)
	v_cvt_f32_u32_e32 v1, v1
	v_bfe_u32 v4, v1, 16, 1
	v_add3_u32 v1, v1, v4, s2
	v_lshrrev_b32_e32 v4, 16, v1
.LBB345_601:
	s_mov_b64 s[2:3], 0
.LBB345_602:
	s_andn2_b64 vcc, exec, s[2:3]
	s_cbranch_vccnz .LBB345_610
; %bb.603:
	global_load_ubyte v1, v[2:3], off
	s_movk_i32 s2, 0x7f
	s_waitcnt vmcnt(0)
	v_cmp_lt_i16_e32 vcc, s2, v1
	s_mov_b64 s[2:3], 0
	s_and_saveexec_b64 s[6:7], vcc
	s_xor_b64 s[6:7], exec, s[6:7]
	s_cbranch_execz .LBB345_624
; %bb.604:
	s_movk_i32 s2, 0x80
	v_cmp_eq_u16_e32 vcc, s2, v1
	s_mov_b64 s[2:3], -1
	s_and_saveexec_b64 s[8:9], vcc
; %bb.605:
	s_xor_b64 s[2:3], exec, -1
; %bb.606:
	s_or_b64 exec, exec, s[8:9]
	s_and_b64 s[2:3], s[2:3], exec
	s_or_saveexec_b64 s[6:7], s[6:7]
	v_mov_b32_e32 v4, 0x7f800001
	s_xor_b64 exec, exec, s[6:7]
	s_cbranch_execnz .LBB345_625
.LBB345_607:
	s_or_b64 exec, exec, s[6:7]
	s_and_saveexec_b64 s[6:7], s[2:3]
	s_cbranch_execz .LBB345_609
.LBB345_608:
	v_lshlrev_b32_e32 v4, 24, v1
	v_and_b32_e32 v1, 0xffff, v1
	v_and_b32_e32 v5, 7, v1
	v_ffbh_u32_e32 v7, v5
	v_min_u32_e32 v7, 32, v7
	v_subrev_u32_e32 v9, 28, v7
	v_bfe_u32 v6, v1, 3, 4
	v_lshlrev_b32_e32 v1, v9, v1
	v_sub_u32_e32 v7, 29, v7
	v_and_b32_e32 v1, 7, v1
	v_cmp_eq_u32_e32 vcc, 0, v6
	v_and_b32_e32 v4, 0x80000000, v4
	s_nop 0
	v_cndmask_b32_e32 v6, v6, v7, vcc
	v_cndmask_b32_e32 v1, v5, v1, vcc
	v_mov_b32_e32 v5, 0x3b800000
	v_lshlrev_b32_e32 v1, 20, v1
	v_lshl_add_u32 v5, v6, 23, v5
	v_or3_b32 v4, v4, v5, v1
.LBB345_609:
	s_or_b64 exec, exec, s[6:7]
	v_bfe_u32 v1, v4, 16, 1
	s_movk_i32 s2, 0x7fff
	v_add3_u32 v1, v4, v1, s2
	v_cmp_o_f32_e32 vcc, v4, v4
	v_mov_b32_e32 v4, 0x7fc0
	s_nop 0
	v_cndmask_b32_sdwa v4, v4, v1, vcc dst_sel:DWORD dst_unused:UNUSED_PAD src0_sel:DWORD src1_sel:WORD_1
.LBB345_610:
	s_mov_b64 s[2:3], -1
.LBB345_611:
	s_mov_b64 s[6:7], 0
.LBB345_612:
	s_and_b64 vcc, exec, s[6:7]
	s_cbranch_vccz .LBB345_647
; %bb.613:
	s_cmp_gt_i32 s10, 22
	s_cbranch_scc0 .LBB345_623
; %bb.614:
	s_cmp_lt_i32 s10, 24
	s_cbranch_scc1 .LBB345_626
; %bb.615:
	s_cmp_gt_i32 s10, 24
	s_cbranch_scc0 .LBB345_627
; %bb.616:
	global_load_ubyte v1, v[2:3], off
	s_movk_i32 s2, 0x7f
	s_waitcnt vmcnt(0)
	v_cmp_lt_i16_e32 vcc, s2, v1
	s_mov_b64 s[2:3], 0
	s_and_saveexec_b64 s[6:7], vcc
	s_xor_b64 s[6:7], exec, s[6:7]
	s_cbranch_execz .LBB345_639
; %bb.617:
	s_movk_i32 s2, 0x80
	v_cmp_eq_u16_e32 vcc, s2, v1
	s_mov_b64 s[2:3], -1
	s_and_saveexec_b64 s[8:9], vcc
; %bb.618:
	s_xor_b64 s[2:3], exec, -1
; %bb.619:
	s_or_b64 exec, exec, s[8:9]
	s_and_b64 s[2:3], s[2:3], exec
	s_or_saveexec_b64 s[6:7], s[6:7]
	v_mov_b32_e32 v4, 0x7f800001
	s_xor_b64 exec, exec, s[6:7]
	s_cbranch_execnz .LBB345_640
.LBB345_620:
	s_or_b64 exec, exec, s[6:7]
	s_and_saveexec_b64 s[6:7], s[2:3]
	s_cbranch_execz .LBB345_622
.LBB345_621:
	v_lshlrev_b32_e32 v4, 24, v1
	v_and_b32_e32 v1, 0xffff, v1
	v_and_b32_e32 v5, 3, v1
	v_ffbh_u32_e32 v7, v5
	v_min_u32_e32 v7, 32, v7
	v_subrev_u32_e32 v9, 29, v7
	v_bfe_u32 v6, v1, 2, 5
	v_lshlrev_b32_e32 v1, v9, v1
	v_sub_u32_e32 v7, 30, v7
	v_and_b32_e32 v1, 3, v1
	v_cmp_eq_u32_e32 vcc, 0, v6
	v_and_b32_e32 v4, 0x80000000, v4
	s_nop 0
	v_cndmask_b32_e32 v6, v6, v7, vcc
	v_cndmask_b32_e32 v1, v5, v1, vcc
	v_mov_b32_e32 v5, 0x37800000
	v_lshlrev_b32_e32 v1, 21, v1
	v_lshl_add_u32 v5, v6, 23, v5
	v_or3_b32 v4, v4, v5, v1
.LBB345_622:
	s_or_b64 exec, exec, s[6:7]
	v_bfe_u32 v1, v4, 16, 1
	s_movk_i32 s2, 0x7fff
	v_add3_u32 v1, v4, v1, s2
	v_cmp_o_f32_e32 vcc, v4, v4
	v_mov_b32_e32 v4, 0x7fc0
	s_mov_b64 s[2:3], 0
	v_cndmask_b32_sdwa v4, v4, v1, vcc dst_sel:DWORD dst_unused:UNUSED_PAD src0_sel:DWORD src1_sel:WORD_1
	s_branch .LBB345_628
.LBB345_623:
	s_mov_b64 s[6:7], -1
                                        ; implicit-def: $vgpr4
	s_branch .LBB345_634
.LBB345_624:
	s_or_saveexec_b64 s[6:7], s[6:7]
	v_mov_b32_e32 v4, 0x7f800001
	s_xor_b64 exec, exec, s[6:7]
	s_cbranch_execz .LBB345_607
.LBB345_625:
	v_cmp_ne_u16_e32 vcc, 0, v1
	s_andn2_b64 s[2:3], s[2:3], exec
	s_and_b64 s[8:9], vcc, exec
	v_mov_b32_e32 v4, 0
	s_or_b64 s[2:3], s[2:3], s[8:9]
	s_or_b64 exec, exec, s[6:7]
	s_and_saveexec_b64 s[6:7], s[2:3]
	s_cbranch_execnz .LBB345_608
	s_branch .LBB345_609
.LBB345_626:
	s_mov_b64 s[2:3], -1
                                        ; implicit-def: $vgpr4
	s_branch .LBB345_631
.LBB345_627:
	s_mov_b64 s[2:3], -1
                                        ; implicit-def: $vgpr4
.LBB345_628:
	s_and_b64 vcc, exec, s[2:3]
	s_cbranch_vccz .LBB345_630
; %bb.629:
	global_load_ubyte v1, v[2:3], off
	s_mov_b32 s2, 0x7f800000
	s_brev_b32 s3, 1
	s_movk_i32 s6, 0x7fff
	s_waitcnt vmcnt(0)
	v_lshlrev_b32_e32 v1, 24, v1
	v_and_b32_e32 v4, 0x7f000000, v1
	v_ffbh_u32_e32 v5, v4
	v_min_u32_e32 v5, 32, v5
	v_sub_u32_e64 v5, v5, 4 clamp
	v_lshlrev_b32_e32 v7, v5, v4
	v_lshlrev_b32_e32 v5, 23, v5
	v_lshrrev_b32_e32 v7, 4, v7
	v_add_u32_e32 v6, 0x1000000, v4
	v_sub_u32_e32 v5, v7, v5
	v_ashrrev_i32_e32 v6, 8, v6
	v_add_u32_e32 v5, 0x3c000000, v5
	v_and_or_b32 v5, v6, s2, v5
	v_cmp_ne_u32_e32 vcc, 0, v4
	s_nop 1
	v_cndmask_b32_e32 v4, 0, v5, vcc
	v_and_or_b32 v1, v1, s3, v4
	v_bfe_u32 v4, v4, 16, 1
	v_add3_u32 v4, v1, v4, s6
	v_cmp_o_f32_e32 vcc, v1, v1
	v_mov_b32_e32 v1, 0x7fc0
	s_nop 0
	v_cndmask_b32_sdwa v4, v1, v4, vcc dst_sel:DWORD dst_unused:UNUSED_PAD src0_sel:DWORD src1_sel:WORD_1
.LBB345_630:
	s_mov_b64 s[2:3], 0
.LBB345_631:
	s_andn2_b64 vcc, exec, s[2:3]
	s_cbranch_vccnz .LBB345_633
; %bb.632:
	global_load_ubyte v1, v[2:3], off
	s_movk_i32 s2, 0x7f00
	s_brev_b32 s3, 16
	s_brev_b32 s6, 1
	s_movk_i32 s7, 0x7fff
	s_waitcnt vmcnt(0)
	v_lshlrev_b16_e32 v4, 8, v1
	v_lshlrev_b32_e32 v1, 25, v1
	v_lshrrev_b32_e32 v5, 4, v1
	v_and_or_b32 v6, v4, s2, 0.5
	v_or_b32_e32 v5, 0x70000000, v5
	v_add_f32_e32 v6, -0.5, v6
	v_mul_f32_e32 v5, 0x7800000, v5
	v_cmp_gt_u32_e32 vcc, s3, v1
	v_bfe_i32 v4, v4, 0, 16
	s_nop 0
	v_cndmask_b32_e32 v1, v5, v6, vcc
	v_and_or_b32 v4, v4, s6, v1
	v_bfe_u32 v1, v1, 16, 1
	v_add3_u32 v1, v4, v1, s7
	v_cmp_o_f32_e32 vcc, v4, v4
	v_mov_b32_e32 v4, 0x7fc0
	s_nop 0
	v_cndmask_b32_sdwa v4, v4, v1, vcc dst_sel:DWORD dst_unused:UNUSED_PAD src0_sel:DWORD src1_sel:WORD_1
.LBB345_633:
	s_mov_b64 s[6:7], 0
	s_mov_b64 s[2:3], -1
.LBB345_634:
	s_andn2_b64 vcc, exec, s[6:7]
	s_cbranch_vccnz .LBB345_647
; %bb.635:
	s_cmp_gt_i32 s10, 14
	s_cbranch_scc0 .LBB345_638
; %bb.636:
	s_cmp_eq_u32 s10, 15
	s_cbranch_scc0 .LBB345_641
; %bb.637:
	global_load_ushort v4, v[2:3], off
	s_mov_b64 s[2:3], -1
	s_mov_b64 s[4:5], 0
	s_branch .LBB345_642
.LBB345_638:
	s_mov_b64 s[6:7], -1
                                        ; implicit-def: $vgpr4
	s_branch .LBB345_643
.LBB345_639:
	s_or_saveexec_b64 s[6:7], s[6:7]
	v_mov_b32_e32 v4, 0x7f800001
	s_xor_b64 exec, exec, s[6:7]
	s_cbranch_execz .LBB345_620
.LBB345_640:
	v_cmp_ne_u16_e32 vcc, 0, v1
	s_andn2_b64 s[2:3], s[2:3], exec
	s_and_b64 s[8:9], vcc, exec
	v_mov_b32_e32 v4, 0
	s_or_b64 s[2:3], s[2:3], s[8:9]
	s_or_b64 exec, exec, s[6:7]
	s_and_saveexec_b64 s[6:7], s[2:3]
	s_cbranch_execnz .LBB345_621
	s_branch .LBB345_622
.LBB345_641:
	s_mov_b64 s[4:5], -1
                                        ; implicit-def: $vgpr4
.LBB345_642:
	s_mov_b64 s[6:7], 0
.LBB345_643:
	s_and_b64 vcc, exec, s[6:7]
	s_cbranch_vccz .LBB345_647
; %bb.644:
	s_cmp_eq_u32 s10, 11
	s_cbranch_scc0 .LBB345_646
; %bb.645:
	global_load_ubyte v1, v[2:3], off
	s_mov_b64 s[2:3], -1
	s_mov_b64 s[4:5], 0
	s_waitcnt vmcnt(0)
	v_cmp_ne_u16_e32 vcc, 0, v1
	s_nop 1
	v_cndmask_b32_e64 v1, 0, 1.0, vcc
	v_lshrrev_b32_e32 v4, 16, v1
	s_branch .LBB345_647
.LBB345_646:
	s_mov_b64 s[4:5], -1
                                        ; implicit-def: $vgpr4
.LBB345_647:
	s_mov_b64 s[6:7], 0
.LBB345_648:
	s_and_b64 vcc, exec, s[6:7]
	s_cbranch_vccz .LBB345_697
; %bb.649:
	s_cmp_lt_i32 s10, 5
	s_cbranch_scc1 .LBB345_654
; %bb.650:
	s_cmp_lt_i32 s10, 8
	s_cbranch_scc1 .LBB345_655
	;; [unrolled: 3-line block ×3, first 2 shown]
; %bb.652:
	s_cmp_gt_i32 s10, 9
	s_cbranch_scc0 .LBB345_657
; %bb.653:
	global_load_dwordx2 v[4:5], v[2:3], off
	s_movk_i32 s2, 0x7fff
	v_mov_b32_e32 v1, 0x7fc0
	s_waitcnt vmcnt(0)
	v_cvt_f32_f64_e32 v4, v[4:5]
	v_bfe_u32 v5, v4, 16, 1
	v_cmp_o_f32_e32 vcc, v4, v4
	v_add3_u32 v4, v4, v5, s2
	s_mov_b64 s[2:3], 0
	v_cndmask_b32_sdwa v4, v1, v4, vcc dst_sel:DWORD dst_unused:UNUSED_PAD src0_sel:DWORD src1_sel:WORD_1
	s_branch .LBB345_658
.LBB345_654:
	s_mov_b64 s[2:3], -1
                                        ; implicit-def: $vgpr4
	s_branch .LBB345_676
.LBB345_655:
	s_mov_b64 s[2:3], -1
                                        ; implicit-def: $vgpr4
	s_branch .LBB345_664
.LBB345_656:
	s_mov_b64 s[2:3], -1
                                        ; implicit-def: $vgpr4
	s_branch .LBB345_661
.LBB345_657:
	s_mov_b64 s[2:3], -1
                                        ; implicit-def: $vgpr4
.LBB345_658:
	s_andn2_b64 vcc, exec, s[2:3]
	s_cbranch_vccnz .LBB345_660
; %bb.659:
	global_load_dword v1, v[2:3], off
	s_movk_i32 s2, 0x7fff
	s_waitcnt vmcnt(1)
	v_mov_b32_e32 v4, 0x7fc0
	s_waitcnt vmcnt(0)
	v_bfe_u32 v5, v1, 16, 1
	v_cmp_o_f32_e32 vcc, v1, v1
	v_add3_u32 v1, v1, v5, s2
	s_nop 0
	v_cndmask_b32_sdwa v4, v4, v1, vcc dst_sel:DWORD dst_unused:UNUSED_PAD src0_sel:DWORD src1_sel:WORD_1
.LBB345_660:
	s_mov_b64 s[2:3], 0
.LBB345_661:
	s_andn2_b64 vcc, exec, s[2:3]
	s_cbranch_vccnz .LBB345_663
; %bb.662:
	global_load_dword v1, v[2:3], off
	s_movk_i32 s2, 0x7fff
	v_mov_b32_e32 v5, 0x7fc0
	s_waitcnt vmcnt(0)
	v_cvt_f32_f16_e32 v4, v1
	v_cmp_o_f16_e32 vcc, v1, v1
	v_bfe_u32 v1, v4, 16, 1
	v_add3_u32 v1, v4, v1, s2
	v_cndmask_b32_sdwa v4, v5, v1, vcc dst_sel:DWORD dst_unused:UNUSED_PAD src0_sel:DWORD src1_sel:WORD_1
.LBB345_663:
	s_mov_b64 s[2:3], 0
.LBB345_664:
	s_andn2_b64 vcc, exec, s[2:3]
	s_cbranch_vccnz .LBB345_675
; %bb.665:
	s_cmp_lt_i32 s10, 6
	s_cbranch_scc1 .LBB345_668
; %bb.666:
	s_cmp_gt_i32 s10, 6
	s_cbranch_scc0 .LBB345_669
; %bb.667:
	global_load_dwordx2 v[4:5], v[2:3], off
	s_movk_i32 s2, 0x7fff
	v_mov_b32_e32 v1, 0x7fc0
	s_waitcnt vmcnt(0)
	v_cvt_f32_f64_e32 v4, v[4:5]
	v_bfe_u32 v5, v4, 16, 1
	v_cmp_o_f32_e32 vcc, v4, v4
	v_add3_u32 v4, v4, v5, s2
	s_mov_b64 s[2:3], 0
	v_cndmask_b32_sdwa v4, v1, v4, vcc dst_sel:DWORD dst_unused:UNUSED_PAD src0_sel:DWORD src1_sel:WORD_1
	s_branch .LBB345_670
.LBB345_668:
	s_mov_b64 s[2:3], -1
                                        ; implicit-def: $vgpr4
	s_branch .LBB345_673
.LBB345_669:
	s_mov_b64 s[2:3], -1
                                        ; implicit-def: $vgpr4
.LBB345_670:
	s_andn2_b64 vcc, exec, s[2:3]
	s_cbranch_vccnz .LBB345_672
; %bb.671:
	global_load_dword v1, v[2:3], off
	s_movk_i32 s2, 0x7fff
	s_waitcnt vmcnt(1)
	v_mov_b32_e32 v4, 0x7fc0
	s_waitcnt vmcnt(0)
	v_bfe_u32 v5, v1, 16, 1
	v_cmp_o_f32_e32 vcc, v1, v1
	v_add3_u32 v1, v1, v5, s2
	s_nop 0
	v_cndmask_b32_sdwa v4, v4, v1, vcc dst_sel:DWORD dst_unused:UNUSED_PAD src0_sel:DWORD src1_sel:WORD_1
.LBB345_672:
	s_mov_b64 s[2:3], 0
.LBB345_673:
	s_andn2_b64 vcc, exec, s[2:3]
	s_cbranch_vccnz .LBB345_675
; %bb.674:
	global_load_ushort v1, v[2:3], off
	s_movk_i32 s2, 0x7fff
	v_mov_b32_e32 v5, 0x7fc0
	s_waitcnt vmcnt(0)
	v_cvt_f32_f16_e32 v4, v1
	v_cmp_o_f16_e32 vcc, v1, v1
	v_bfe_u32 v1, v4, 16, 1
	v_add3_u32 v1, v4, v1, s2
	v_cndmask_b32_sdwa v4, v5, v1, vcc dst_sel:DWORD dst_unused:UNUSED_PAD src0_sel:DWORD src1_sel:WORD_1
.LBB345_675:
	s_mov_b64 s[2:3], 0
.LBB345_676:
	s_andn2_b64 vcc, exec, s[2:3]
	s_cbranch_vccnz .LBB345_696
; %bb.677:
	s_cmp_lt_i32 s10, 2
	s_cbranch_scc1 .LBB345_681
; %bb.678:
	s_cmp_lt_i32 s10, 3
	s_cbranch_scc1 .LBB345_682
; %bb.679:
	s_cmp_gt_i32 s10, 3
	s_cbranch_scc0 .LBB345_683
; %bb.680:
	global_load_dwordx2 v[4:5], v[2:3], off
	s_movk_i32 s2, 0x7fff
	s_waitcnt vmcnt(0)
	v_xor_b32_e32 v6, v4, v5
	v_ffbh_i32_e32 v1, v5
	v_ashrrev_i32_e32 v6, 31, v6
	v_add_u32_e32 v1, -1, v1
	v_add_u32_e32 v6, 32, v6
	v_min_u32_e32 v1, v1, v6
	v_lshlrev_b64 v[4:5], v1, v[4:5]
	v_min_u32_e32 v4, 1, v4
	v_or_b32_e32 v4, v5, v4
	v_cvt_f32_i32_e32 v4, v4
	v_sub_u32_e32 v1, 32, v1
	v_ldexp_f32 v1, v4, v1
	v_bfe_u32 v4, v1, 16, 1
	v_add3_u32 v1, v1, v4, s2
	v_lshrrev_b32_e32 v4, 16, v1
	s_mov_b64 s[2:3], 0
	s_branch .LBB345_684
.LBB345_681:
	s_mov_b64 s[2:3], -1
                                        ; implicit-def: $vgpr4
	s_branch .LBB345_690
.LBB345_682:
	s_mov_b64 s[2:3], -1
                                        ; implicit-def: $vgpr4
	s_branch .LBB345_687
.LBB345_683:
	s_mov_b64 s[2:3], -1
                                        ; implicit-def: $vgpr4
.LBB345_684:
	s_andn2_b64 vcc, exec, s[2:3]
	s_cbranch_vccnz .LBB345_686
; %bb.685:
	global_load_dword v1, v[2:3], off
	s_movk_i32 s2, 0x7fff
	s_waitcnt vmcnt(0)
	v_cvt_f32_i32_e32 v1, v1
	v_bfe_u32 v4, v1, 16, 1
	v_add3_u32 v1, v1, v4, s2
	v_lshrrev_b32_e32 v4, 16, v1
.LBB345_686:
	s_mov_b64 s[2:3], 0
.LBB345_687:
	s_andn2_b64 vcc, exec, s[2:3]
	s_cbranch_vccnz .LBB345_689
; %bb.688:
	global_load_sshort v1, v[2:3], off
	s_movk_i32 s2, 0x7fff
	s_waitcnt vmcnt(0)
	v_cvt_f32_i32_e32 v1, v1
	v_bfe_u32 v4, v1, 16, 1
	v_add3_u32 v1, v1, v4, s2
	v_lshrrev_b32_e32 v4, 16, v1
.LBB345_689:
	s_mov_b64 s[2:3], 0
.LBB345_690:
	s_andn2_b64 vcc, exec, s[2:3]
	s_cbranch_vccnz .LBB345_696
; %bb.691:
	s_cmp_gt_i32 s10, 0
	s_cbranch_scc0 .LBB345_693
; %bb.692:
	global_load_sbyte v1, v[2:3], off
	s_movk_i32 s2, 0x7fff
	s_waitcnt vmcnt(0)
	v_cvt_f32_i32_e32 v1, v1
	v_bfe_u32 v4, v1, 16, 1
	v_add3_u32 v1, v1, v4, s2
	v_lshrrev_b32_e32 v4, 16, v1
	s_mov_b64 s[2:3], 0
	s_branch .LBB345_694
.LBB345_693:
	s_mov_b64 s[2:3], -1
                                        ; implicit-def: $vgpr4
.LBB345_694:
	s_andn2_b64 vcc, exec, s[2:3]
	s_cbranch_vccnz .LBB345_696
; %bb.695:
	global_load_ubyte v1, v[2:3], off
	s_movk_i32 s2, 0x7fff
	s_waitcnt vmcnt(0)
	v_cvt_f32_ubyte0_e32 v1, v1
	v_bfe_u32 v2, v1, 16, 1
	v_add3_u32 v1, v1, v2, s2
	v_lshrrev_b32_e32 v4, 16, v1
.LBB345_696:
	s_mov_b64 s[2:3], -1
.LBB345_697:
	s_andn2_b64 vcc, exec, s[2:3]
	s_cbranch_vccnz .LBB345_707
; %bb.698:
	s_waitcnt vmcnt(0)
	v_lshlrev_b32_e32 v1, 16, v4
	v_cmp_o_f32_e32 vcc, v1, v1
	s_and_saveexec_b64 s[2:3], vcc
; %bb.699:
	v_mov_b32_e32 v2, s46
	v_cmp_lt_f32_e32 vcc, s77, v1
	v_mov_b32_e32 v3, s75
	s_nop 0
	v_cndmask_b32_e32 v1, v2, v4, vcc
	v_lshlrev_b32_e32 v2, 16, v1
	v_cmp_gt_f32_e32 vcc, s76, v2
	s_nop 1
	v_cndmask_b32_e32 v4, v3, v1, vcc
; %bb.700:
	s_or_b64 exec, exec, s[2:3]
	v_mov_b32_e32 v1, 0
	s_and_b32 s12, s47, 0xff
	s_cmp_lt_i32 s12, 11
	v_lshl_add_u64 v[0:1], s[20:21], 0, v[0:1]
	s_cbranch_scc1 .LBB345_708
; %bb.701:
	s_and_b32 s13, 0xffff, s12
	s_cmp_gt_i32 s13, 25
	s_cbranch_scc0 .LBB345_709
; %bb.702:
	s_cmp_gt_i32 s13, 28
	s_cbranch_scc0 .LBB345_710
; %bb.703:
	;; [unrolled: 3-line block ×4, first 2 shown]
	s_mov_b64 s[8:9], 0
	s_mov_b64 s[2:3], -1
	s_cmp_eq_u32 s13, 46
	s_mov_b64 s[6:7], 0
	s_cbranch_scc0 .LBB345_713
; %bb.706:
	v_and_b32_e32 v2, 0xffff, v4
	global_store_dword v[0:1], v2, off
	s_mov_b64 s[6:7], -1
	s_mov_b64 s[2:3], 0
	s_branch .LBB345_713
.LBB345_707:
	s_mov_b64 s[6:7], 0
	s_mov_b64 s[2:3], s[64:65]
	s_branch .LBB345_824
.LBB345_708:
	s_mov_b64 s[8:9], -1
	s_mov_b64 s[6:7], 0
	s_mov_b64 s[2:3], s[64:65]
	s_branch .LBB345_782
.LBB345_709:
	s_mov_b64 s[8:9], -1
	s_mov_b64 s[6:7], 0
	s_mov_b64 s[2:3], s[64:65]
	s_branch .LBB345_740
.LBB345_710:
	s_mov_b64 s[8:9], -1
	s_mov_b64 s[6:7], 0
	s_mov_b64 s[2:3], s[64:65]
	s_branch .LBB345_723
.LBB345_711:
	s_mov_b64 s[8:9], -1
	s_mov_b64 s[6:7], 0
	s_mov_b64 s[2:3], s[64:65]
	s_branch .LBB345_719
.LBB345_712:
	s_mov_b64 s[8:9], -1
	s_mov_b64 s[6:7], 0
	s_mov_b64 s[2:3], s[64:65]
.LBB345_713:
	s_and_b64 vcc, exec, s[8:9]
	s_cbranch_vccz .LBB345_718
; %bb.714:
	s_cmp_eq_u32 s13, 44
	s_mov_b64 s[2:3], -1
	s_cbranch_scc0 .LBB345_718
; %bb.715:
	v_and_b32_e32 v3, 0xffff, v4
	v_bfe_u32 v2, v3, 7, 8
	s_movk_i32 s2, 0xff
	v_cmp_ne_u32_e32 vcc, s2, v2
	v_mov_b32_e32 v5, 0xff
	s_and_saveexec_b64 s[6:7], vcc
	s_cbranch_execz .LBB345_717
; %bb.716:
	v_lshlrev_b32_e32 v6, 16, v3
	s_mov_b32 s2, 0x3f0000
	v_lshrrev_b32_e32 v5, 7, v3
	v_and_b32_e32 v3, 64, v3
	v_and_or_b32 v2, v6, s2, v2
	v_cmp_ne_u32_e32 vcc, 0, v3
	v_cmp_ne_u32_e64 s[2:3], 0, v2
	s_and_b64 s[2:3], vcc, s[2:3]
	s_nop 0
	v_cndmask_b32_e64 v2, 0, 1, s[2:3]
	v_add_u32_e32 v5, v5, v2
.LBB345_717:
	s_or_b64 exec, exec, s[6:7]
	s_mov_b64 s[6:7], -1
	s_mov_b64 s[2:3], 0
	global_store_byte v[0:1], v5, off
.LBB345_718:
	s_mov_b64 s[8:9], 0
.LBB345_719:
	s_and_b64 vcc, exec, s[8:9]
	s_cbranch_vccz .LBB345_722
; %bb.720:
	s_cmp_eq_u32 s13, 29
	s_mov_b64 s[2:3], -1
	s_cbranch_scc0 .LBB345_722
; %bb.721:
	v_lshlrev_b32_e32 v2, 16, v4
	v_trunc_f32_e32 v2, v2
	v_mul_f32_e32 v3, 0x2f800000, v2
	v_floor_f32_e32 v5, v3
	v_fmamk_f32 v2, v5, 0xcf800000, v2
	v_cvt_u32_f32_e32 v3, v5
	v_cvt_u32_f32_e32 v2, v2
	s_mov_b64 s[6:7], -1
	s_mov_b64 s[2:3], 0
	s_mov_b64 s[8:9], 0
	global_store_dwordx2 v[0:1], v[2:3], off
	s_branch .LBB345_723
.LBB345_722:
	s_mov_b64 s[8:9], 0
.LBB345_723:
	s_and_b64 vcc, exec, s[8:9]
	s_cbranch_vccz .LBB345_739
; %bb.724:
	s_cmp_lt_i32 s13, 27
	s_mov_b64 s[6:7], -1
	s_cbranch_scc1 .LBB345_730
; %bb.725:
	s_cmp_gt_i32 s13, 27
	s_cbranch_scc0 .LBB345_727
; %bb.726:
	v_lshlrev_b32_e32 v2, 16, v4
	v_cvt_u32_f32_e32 v2, v2
	s_mov_b64 s[6:7], 0
	global_store_dword v[0:1], v2, off
.LBB345_727:
	s_andn2_b64 vcc, exec, s[6:7]
	s_cbranch_vccnz .LBB345_729
; %bb.728:
	v_lshlrev_b32_e32 v2, 16, v4
	v_cvt_u32_f32_e32 v2, v2
	global_store_short v[0:1], v2, off
.LBB345_729:
	s_mov_b64 s[6:7], 0
.LBB345_730:
	s_andn2_b64 vcc, exec, s[6:7]
	s_cbranch_vccnz .LBB345_738
; %bb.731:
	v_lshlrev_b32_e32 v5, 16, v4
	v_and_b32_e32 v3, 0x7fffffff, v5
	s_mov_b32 s6, 0x43800000
	v_cmp_gt_u32_e32 vcc, s6, v3
	v_mov_b32_e32 v6, 0x80
	s_and_saveexec_b64 s[6:7], vcc
	s_cbranch_execz .LBB345_737
; %bb.732:
	s_mov_b32 s8, 0x3bffffff
	v_and_b32_e32 v2, 0xffff, v4
	v_cmp_lt_u32_e32 vcc, s8, v3
	s_mov_b64 s[8:9], 0
                                        ; implicit-def: $vgpr3
	s_and_saveexec_b64 s[10:11], vcc
	s_xor_b64 s[10:11], exec, s[10:11]
	s_cbranch_execz .LBB345_855
; %bb.733:
	v_bfe_u32 v3, v2, 4, 1
	s_mov_b32 s14, 0x487ffff
	v_add3_u32 v3, v5, v3, s14
	s_mov_b64 s[8:9], exec
	v_lshrrev_b32_e32 v3, 20, v3
                                        ; implicit-def: $vgpr5
	s_andn2_saveexec_b64 s[10:11], s[10:11]
	s_cbranch_execnz .LBB345_856
.LBB345_734:
	s_or_b64 exec, exec, s[10:11]
	v_mov_b32_e32 v6, 0
	s_and_saveexec_b64 s[10:11], s[8:9]
.LBB345_735:
	v_lshrrev_b32_e32 v2, 8, v2
	s_movk_i32 s8, 0x80
	v_and_or_b32 v6, v2, s8, v3
.LBB345_736:
	s_or_b64 exec, exec, s[10:11]
.LBB345_737:
	s_or_b64 exec, exec, s[6:7]
	global_store_byte v[0:1], v6, off
.LBB345_738:
	s_mov_b64 s[6:7], -1
.LBB345_739:
	s_mov_b64 s[8:9], 0
.LBB345_740:
	s_and_b64 vcc, exec, s[8:9]
	s_cbranch_vccz .LBB345_781
; %bb.741:
	s_cmp_gt_i32 s13, 22
	s_mov_b64 s[8:9], -1
	s_cbranch_scc0 .LBB345_773
; %bb.742:
	s_cmp_lt_i32 s13, 24
	s_mov_b64 s[6:7], -1
	s_cbranch_scc1 .LBB345_762
; %bb.743:
	s_cmp_gt_i32 s13, 24
	s_cbranch_scc0 .LBB345_751
; %bb.744:
	v_lshlrev_b32_e32 v5, 16, v4
	v_and_b32_e32 v3, 0x7fffffff, v5
	s_mov_b32 s6, 0x47800000
	v_cmp_gt_u32_e32 vcc, s6, v3
	v_mov_b32_e32 v6, 0x80
	s_and_saveexec_b64 s[6:7], vcc
	s_cbranch_execz .LBB345_750
; %bb.745:
	s_mov_b32 s8, 0x37ffffff
	v_and_b32_e32 v2, 0xffff, v4
	v_cmp_lt_u32_e32 vcc, s8, v3
	s_mov_b64 s[8:9], 0
                                        ; implicit-def: $vgpr3
	s_and_saveexec_b64 s[10:11], vcc
	s_xor_b64 s[10:11], exec, s[10:11]
	s_cbranch_execz .LBB345_858
; %bb.746:
	v_bfe_u32 v3, v2, 5, 1
	s_mov_b32 s14, 0x88fffff
	v_add3_u32 v3, v5, v3, s14
	s_mov_b64 s[8:9], exec
	v_lshrrev_b32_e32 v3, 21, v3
                                        ; implicit-def: $vgpr5
	s_andn2_saveexec_b64 s[10:11], s[10:11]
	s_cbranch_execnz .LBB345_859
.LBB345_747:
	s_or_b64 exec, exec, s[10:11]
	v_mov_b32_e32 v6, 0
	s_and_saveexec_b64 s[10:11], s[8:9]
.LBB345_748:
	v_lshrrev_b32_e32 v2, 8, v2
	s_movk_i32 s8, 0x80
	v_and_or_b32 v6, v2, s8, v3
.LBB345_749:
	s_or_b64 exec, exec, s[10:11]
.LBB345_750:
	s_or_b64 exec, exec, s[6:7]
	s_mov_b64 s[6:7], 0
	global_store_byte v[0:1], v6, off
.LBB345_751:
	s_and_b64 vcc, exec, s[6:7]
	s_cbranch_vccz .LBB345_761
; %bb.752:
	v_lshlrev_b32_e32 v5, 16, v4
	v_and_b32_e32 v6, 0x7fffffff, v5
	s_mov_b32 s6, 0x43f00000
	v_and_b32_e32 v2, 0xffff, v4
	v_cmp_gt_u32_e32 vcc, s6, v6
                                        ; implicit-def: $vgpr3
	s_and_saveexec_b64 s[6:7], vcc
	s_xor_b64 s[6:7], exec, s[6:7]
	s_cbranch_execz .LBB345_758
; %bb.753:
	s_mov_b32 s8, 0x3c7fffff
	v_cmp_lt_u32_e32 vcc, s8, v6
                                        ; implicit-def: $vgpr3
	s_and_saveexec_b64 s[8:9], vcc
	s_xor_b64 s[8:9], exec, s[8:9]
; %bb.754:
	v_bfe_u32 v3, v2, 4, 1
	s_mov_b32 s10, 0x407ffff
	v_add3_u32 v3, v5, v3, s10
	v_lshrrev_b32_e32 v5, 20, v3
	v_and_b32_e32 v3, 0xff00000, v3
	s_mov_b32 s10, 0x7f00000
	v_mov_b32_e32 v6, 0x7e
	v_cmp_ne_u32_e32 vcc, s10, v3
	s_nop 1
	v_cndmask_b32_e32 v3, v6, v5, vcc
                                        ; implicit-def: $vgpr5
; %bb.755:
	s_andn2_saveexec_b64 s[8:9], s[8:9]
; %bb.756:
	s_mov_b32 s10, 0x46800000
	v_add_f32_e64 v3, |v5|, s10
; %bb.757:
	s_or_b64 exec, exec, s[8:9]
                                        ; implicit-def: $vgpr6
.LBB345_758:
	s_andn2_saveexec_b64 s[6:7], s[6:7]
; %bb.759:
	s_mov_b32 s8, 0x7f800000
	v_mov_b32_e32 v3, 0x7e
	v_mov_b32_e32 v5, 0x7f
	v_cmp_lt_u32_e32 vcc, s8, v6
	s_nop 1
	v_cndmask_b32_e32 v3, v3, v5, vcc
; %bb.760:
	s_or_b64 exec, exec, s[6:7]
	v_lshrrev_b32_e32 v2, 8, v2
	s_movk_i32 s6, 0x80
	v_and_or_b32 v2, v2, s6, v3
	global_store_byte v[0:1], v2, off
.LBB345_761:
	s_mov_b64 s[6:7], 0
.LBB345_762:
	s_andn2_b64 vcc, exec, s[6:7]
	s_cbranch_vccnz .LBB345_772
; %bb.763:
	v_lshlrev_b32_e32 v5, 16, v4
	v_and_b32_e32 v6, 0x7fffffff, v5
	s_mov_b32 s6, 0x47800000
	v_and_b32_e32 v2, 0xffff, v4
	v_cmp_gt_u32_e32 vcc, s6, v6
                                        ; implicit-def: $vgpr3
	s_and_saveexec_b64 s[6:7], vcc
	s_xor_b64 s[6:7], exec, s[6:7]
	s_cbranch_execz .LBB345_769
; %bb.764:
	s_mov_b32 s8, 0x387fffff
	v_cmp_lt_u32_e32 vcc, s8, v6
                                        ; implicit-def: $vgpr3
	s_and_saveexec_b64 s[8:9], vcc
	s_xor_b64 s[8:9], exec, s[8:9]
; %bb.765:
	v_bfe_u32 v3, v2, 5, 1
	s_mov_b32 s10, 0x80fffff
	v_add3_u32 v3, v5, v3, s10
	v_lshrrev_b32_e32 v3, 21, v3
                                        ; implicit-def: $vgpr5
; %bb.766:
	s_andn2_saveexec_b64 s[8:9], s[8:9]
; %bb.767:
	s_mov_b32 s10, 0x43000000
	v_add_f32_e64 v3, |v5|, s10
; %bb.768:
	s_or_b64 exec, exec, s[8:9]
                                        ; implicit-def: $vgpr6
.LBB345_769:
	s_andn2_saveexec_b64 s[6:7], s[6:7]
; %bb.770:
	s_mov_b32 s8, 0x7f800000
	v_mov_b32_e32 v3, 0x7c
	v_mov_b32_e32 v5, 0x7f
	v_cmp_lt_u32_e32 vcc, s8, v6
	s_nop 1
	v_cndmask_b32_e32 v3, v3, v5, vcc
; %bb.771:
	s_or_b64 exec, exec, s[6:7]
	v_lshrrev_b32_e32 v2, 8, v2
	s_movk_i32 s6, 0x80
	v_and_or_b32 v2, v2, s6, v3
	global_store_byte v[0:1], v2, off
.LBB345_772:
	s_mov_b64 s[8:9], 0
	s_mov_b64 s[6:7], -1
.LBB345_773:
	s_andn2_b64 vcc, exec, s[8:9]
	s_cbranch_vccnz .LBB345_781
; %bb.774:
	s_cmp_gt_i32 s13, 14
	s_mov_b64 s[8:9], -1
	s_cbranch_scc0 .LBB345_778
; %bb.775:
	s_cmp_eq_u32 s13, 15
	s_mov_b64 s[2:3], -1
	s_cbranch_scc0 .LBB345_777
; %bb.776:
	global_store_short v[0:1], v4, off
	s_mov_b64 s[6:7], -1
	s_mov_b64 s[2:3], 0
.LBB345_777:
	s_mov_b64 s[8:9], 0
.LBB345_778:
	s_and_b64 vcc, exec, s[8:9]
	s_cbranch_vccz .LBB345_781
; %bb.779:
	s_cmp_eq_u32 s13, 11
	s_mov_b64 s[2:3], -1
	s_cbranch_scc0 .LBB345_781
; %bb.780:
	v_and_b32_e32 v2, 0x7fff, v4
	v_cmp_ne_u16_e32 vcc, 0, v2
	s_mov_b64 s[6:7], -1
	s_mov_b64 s[2:3], 0
	v_cndmask_b32_e64 v2, 0, 1, vcc
	global_store_byte v[0:1], v2, off
.LBB345_781:
	s_mov_b64 s[8:9], 0
.LBB345_782:
	s_and_b64 vcc, exec, s[8:9]
	s_cbranch_vccz .LBB345_821
; %bb.783:
	s_and_b32 s8, 0xffff, s12
	s_cmp_lt_i32 s8, 5
	s_mov_b64 s[6:7], -1
	s_cbranch_scc1 .LBB345_804
; %bb.784:
	s_cmp_lt_i32 s8, 8
	s_cbranch_scc1 .LBB345_794
; %bb.785:
	s_cmp_lt_i32 s8, 9
	s_cbranch_scc1 .LBB345_791
; %bb.786:
	s_cmp_gt_i32 s8, 9
	s_cbranch_scc0 .LBB345_788
; %bb.787:
	v_lshlrev_b32_e32 v2, 16, v4
	v_mov_b32_e32 v12, 0
	v_cvt_f64_f32_e32 v[10:11], v2
	v_mov_b32_e32 v13, v12
	s_mov_b64 s[6:7], 0
	global_store_dwordx4 v[0:1], v[10:13], off
.LBB345_788:
	s_andn2_b64 vcc, exec, s[6:7]
	s_cbranch_vccnz .LBB345_790
; %bb.789:
	v_lshlrev_b32_e32 v2, 16, v4
	v_mov_b32_e32 v3, 0
	global_store_dwordx2 v[0:1], v[2:3], off
.LBB345_790:
	s_mov_b64 s[6:7], 0
.LBB345_791:
	s_andn2_b64 vcc, exec, s[6:7]
	s_cbranch_vccnz .LBB345_793
; %bb.792:
	v_lshlrev_b32_e32 v2, 16, v4
	v_cvt_f16_f32_e32 v2, v2
	global_store_dword v[0:1], v2, off
.LBB345_793:
	s_mov_b64 s[6:7], 0
.LBB345_794:
	s_andn2_b64 vcc, exec, s[6:7]
	s_cbranch_vccnz .LBB345_803
; %bb.795:
	s_cmp_lt_i32 s8, 6
	s_mov_b64 s[6:7], -1
	s_cbranch_scc1 .LBB345_801
; %bb.796:
	s_cmp_gt_i32 s8, 6
	s_cbranch_scc0 .LBB345_798
; %bb.797:
	v_lshlrev_b32_e32 v2, 16, v4
	v_cvt_f64_f32_e32 v[2:3], v2
	s_mov_b64 s[6:7], 0
	global_store_dwordx2 v[0:1], v[2:3], off
.LBB345_798:
	s_andn2_b64 vcc, exec, s[6:7]
	s_cbranch_vccnz .LBB345_800
; %bb.799:
	v_lshlrev_b32_e32 v2, 16, v4
	global_store_dword v[0:1], v2, off
.LBB345_800:
	s_mov_b64 s[6:7], 0
.LBB345_801:
	s_andn2_b64 vcc, exec, s[6:7]
	s_cbranch_vccnz .LBB345_803
; %bb.802:
	v_lshlrev_b32_e32 v2, 16, v4
	v_cvt_f16_f32_e32 v2, v2
	global_store_short v[0:1], v2, off
.LBB345_803:
	s_mov_b64 s[6:7], 0
.LBB345_804:
	s_andn2_b64 vcc, exec, s[6:7]
	s_cbranch_vccnz .LBB345_820
; %bb.805:
	s_cmp_lt_i32 s8, 2
	s_mov_b64 s[6:7], -1
	s_cbranch_scc1 .LBB345_815
; %bb.806:
	s_cmp_lt_i32 s8, 3
	s_cbranch_scc1 .LBB345_812
; %bb.807:
	s_cmp_gt_i32 s8, 3
	s_cbranch_scc0 .LBB345_809
; %bb.808:
	v_lshlrev_b32_e32 v2, 16, v4
	v_trunc_f32_e32 v2, v2
	s_mov_b32 s6, 0x2f800000
	v_mul_f32_e64 v3, |v2|, s6
	v_floor_f32_e32 v3, v3
	s_mov_b32 s6, 0xcf800000
	v_cvt_u32_f32_e32 v5, v3
	v_fma_f32 v3, v3, s6, |v2|
	v_cvt_u32_f32_e32 v3, v3
	v_ashrrev_i32_e32 v6, 31, v2
	v_xor_b32_e32 v5, v5, v6
	s_mov_b64 s[6:7], 0
	v_xor_b32_e32 v2, v3, v6
	v_sub_co_u32_e32 v2, vcc, v2, v6
	s_nop 1
	v_subb_co_u32_e32 v3, vcc, v5, v6, vcc
	global_store_dwordx2 v[0:1], v[2:3], off
.LBB345_809:
	s_andn2_b64 vcc, exec, s[6:7]
	s_cbranch_vccnz .LBB345_811
; %bb.810:
	v_lshlrev_b32_e32 v2, 16, v4
	v_cvt_i32_f32_e32 v2, v2
	global_store_dword v[0:1], v2, off
.LBB345_811:
	s_mov_b64 s[6:7], 0
.LBB345_812:
	s_andn2_b64 vcc, exec, s[6:7]
	s_cbranch_vccnz .LBB345_814
; %bb.813:
	v_lshlrev_b32_e32 v2, 16, v4
	v_cvt_i32_f32_e32 v2, v2
	global_store_short v[0:1], v2, off
.LBB345_814:
	s_mov_b64 s[6:7], 0
.LBB345_815:
	s_andn2_b64 vcc, exec, s[6:7]
	s_cbranch_vccnz .LBB345_820
; %bb.816:
	s_mov_b64 s[6:7], -1
	s_cmp_gt_i32 s8, 0
	v_lshlrev_b32_e32 v2, 16, v4
	s_cbranch_scc0 .LBB345_818
; %bb.817:
	v_cvt_i32_f32_e32 v3, v2
	s_mov_b64 s[6:7], 0
	global_store_byte v[0:1], v3, off
.LBB345_818:
	s_andn2_b64 vcc, exec, s[6:7]
	s_cbranch_vccnz .LBB345_820
; %bb.819:
	v_trunc_f32_e32 v2, v2
	s_mov_b32 s6, 0x2f800000
	v_mul_f32_e64 v3, |v2|, s6
	v_floor_f32_e32 v3, v3
	s_mov_b32 s6, 0xcf800000
	v_fma_f32 v3, v3, s6, |v2|
	v_cvt_u32_f32_e32 v3, v3
	v_ashrrev_i32_e32 v2, 31, v2
	v_xor_b32_e32 v3, v3, v2
	v_sub_u32_e32 v2, v3, v2
	global_store_byte v[0:1], v2, off
.LBB345_820:
	s_mov_b64 s[6:7], -1
.LBB345_821:
	s_andn2_b64 vcc, exec, s[6:7]
	s_cbranch_vccnz .LBB345_823
; %bb.822:
	v_add_u32_e32 v8, 0x80, v8
	s_mov_b64 s[6:7], -1
	s_branch .LBB345_825
.LBB345_823:
	s_mov_b64 s[6:7], 0
.LBB345_824:
                                        ; implicit-def: $vgpr8
.LBB345_825:
	s_andn2_b64 s[8:9], s[64:65], exec
	s_and_b64 s[2:3], s[2:3], exec
	s_or_b64 s[70:71], s[8:9], s[2:3]
	s_andn2_b64 s[2:3], s[62:63], exec
	s_and_b64 s[4:5], s[4:5], exec
	s_or_b64 s[2:3], s[2:3], s[4:5]
	s_orn2_b64 s[6:7], s[6:7], exec
.LBB345_826:
	s_or_b64 exec, exec, s[68:69]
	s_mov_b64 s[4:5], 0
	s_mov_b64 s[10:11], 0
	s_mov_b64 s[8:9], 0
                                        ; implicit-def: $vgpr2_vgpr3
                                        ; implicit-def: $vgpr0
                                        ; implicit-def: $vgpr4
	s_and_saveexec_b64 s[68:69], s[6:7]
	s_cbranch_execz .LBB345_926
; %bb.827:
	v_cmp_gt_i32_e32 vcc, s72, v8
	s_mov_b64 s[6:7], 0
	s_mov_b64 s[12:13], s[2:3]
                                        ; implicit-def: $vgpr2_vgpr3
                                        ; implicit-def: $vgpr0
                                        ; implicit-def: $vgpr4
	s_and_saveexec_b64 s[72:73], vcc
	s_cbranch_execz .LBB345_925
; %bb.828:
	s_andn2_b64 vcc, exec, s[42:43]
	s_cbranch_vccnz .LBB345_834
; %bb.829:
	s_andn2_b64 vcc, exec, s[54:55]
	s_cbranch_vccnz .LBB345_835
; %bb.830:
	s_add_i32 s80, s79, 1
	s_cmp_eq_u32 s74, 2
	s_cbranch_scc1 .LBB345_836
; %bb.831:
	s_and_b32 s79, s80, 28
	s_mov_b32 s81, 0
	v_mov_b32_e32 v0, 0
	v_mov_b32_e32 v2, 0
	s_mov_b64 s[54:55], s[34:35]
	s_waitcnt vmcnt(0)
	v_mov_b32_e32 v4, v8
.LBB345_832:                            ; =>This Inner Loop Header: Depth=1
	s_load_dwordx8 s[12:19], s[54:55], 0x4
	s_load_dwordx4 s[36:39], s[54:55], 0x24
	s_load_dwordx8 s[4:11], s[52:53], 0x0
	s_add_u32 s54, s54, 48
	s_addc_u32 s55, s55, 0
	s_waitcnt lgkmcnt(0)
	v_mul_hi_u32 v1, s13, v4
	v_add_u32_e32 v1, v4, v1
	v_lshrrev_b32_e32 v1, s14, v1
	v_mul_lo_u32 v3, v1, s12
	v_mul_hi_u32 v5, s16, v1
	v_sub_u32_e32 v3, v4, v3
	v_add_u32_e32 v4, v1, v5
	v_lshrrev_b32_e32 v4, s17, v4
	v_mul_lo_u32 v6, v4, s15
	v_mul_hi_u32 v7, s19, v4
	v_sub_u32_e32 v1, v1, v6
	v_add_u32_e32 v6, v4, v7
	v_mul_lo_u32 v5, v3, s5
	v_mul_lo_u32 v3, v3, s4
	;; [unrolled: 1-line block ×4, first 2 shown]
	v_lshrrev_b32_e32 v6, s36, v6
	v_add3_u32 v0, v3, v0, v1
	v_mul_hi_u32 v3, s38, v6
	v_add3_u32 v1, v5, v2, v7
	v_mul_lo_u32 v2, v6, s18
	v_add_u32_e32 v3, v6, v3
	v_sub_u32_e32 v2, v4, v2
	v_lshrrev_b32_e32 v4, s39, v3
	s_add_i32 s81, s81, 4
	v_mul_lo_u32 v3, v4, s37
	s_add_u32 s52, s52, 32
	v_sub_u32_e32 v3, v6, v3
	s_addc_u32 s53, s53, 0
	v_mul_lo_u32 v5, v2, s8
	v_mul_lo_u32 v2, v2, s9
	;; [unrolled: 1-line block ×4, first 2 shown]
	s_cmp_eq_u32 s79, s81
	v_add3_u32 v2, v2, v1, v3
	v_add3_u32 v0, v5, v0, v6
	s_cbranch_scc0 .LBB345_832
; %bb.833:
	v_mov_b32_e32 v1, v2
	s_branch .LBB345_837
.LBB345_834:
	s_mov_b64 s[4:5], -1
                                        ; implicit-def: $vgpr2
                                        ; implicit-def: $vgpr0
	s_branch .LBB345_841
.LBB345_835:
	v_mov_b32_e32 v2, 0
	v_mov_b32_e32 v0, 0
	s_branch .LBB345_840
.LBB345_836:
	v_mov_b32_e32 v0, 0
	s_mov_b32 s79, 0
	v_mov_b32_e32 v1, v0
                                        ; implicit-def: $vgpr2
	s_waitcnt vmcnt(0)
	v_mov_b32_e32 v4, v8
.LBB345_837:
	s_and_b32 s8, s80, 3
	s_cmp_eq_u32 s8, 0
	s_cbranch_scc1 .LBB345_840
; %bb.838:
	s_lshl_b32 s4, s79, 3
	s_add_u32 s4, s34, s4
	s_addc_u32 s5, s35, 0
	s_add_u32 s4, s4, 0xc4
	s_addc_u32 s5, s5, 0
	s_mul_i32 s6, s79, 12
	s_add_u32 s6, s34, s6
	s_addc_u32 s7, s35, 0
.LBB345_839:                            ; =>This Inner Loop Header: Depth=1
	s_load_dwordx2 s[10:11], s[6:7], 0x4
	s_load_dword s9, s[6:7], 0xc
	s_load_dwordx2 s[12:13], s[4:5], 0x0
	v_mov_b32_e32 v2, v1
	s_add_u32 s6, s6, 12
	s_waitcnt lgkmcnt(0)
	v_mul_hi_u32 v1, s11, v4
	v_add_u32_e32 v1, v4, v1
	v_lshrrev_b32_e32 v1, s9, v1
	s_addc_u32 s7, s7, 0
	v_mul_lo_u32 v3, v1, s10
	s_add_u32 s4, s4, 8
	v_sub_u32_e32 v5, v4, v3
	s_addc_u32 s5, s5, 0
	s_add_i32 s8, s8, -1
	v_mov_b32_e32 v4, v1
	v_mad_u64_u32 v[2:3], s[10:11], v5, s13, v[2:3]
	v_mad_u64_u32 v[0:1], s[10:11], v5, s12, v[0:1]
	s_cmp_lg_u32 s8, 0
	v_mov_b32_e32 v1, v2
	s_cbranch_scc1 .LBB345_839
.LBB345_840:
	s_mov_b64 s[4:5], 0
.LBB345_841:
	s_andn2_b64 vcc, exec, s[4:5]
	s_cbranch_vccnz .LBB345_844
; %bb.842:
	v_mul_hi_u32 v0, s25, v8
	v_add_u32_e32 v0, v8, v0
	v_lshrrev_b32_e32 v1, s26, v0
	v_mul_lo_u32 v0, v1, s24
	v_sub_u32_e32 v0, v8, v0
	v_mul_lo_u32 v2, v0, s29
	s_andn2_b64 vcc, exec, s[50:51]
	v_mul_lo_u32 v0, v0, s28
	s_cbranch_vccnz .LBB345_844
; %bb.843:
	v_mul_hi_u32 v3, s48, v1
	v_add_u32_e32 v3, v1, v3
	v_lshrrev_b32_e32 v3, s49, v3
	v_mul_lo_u32 v3, v3, s27
	v_sub_u32_e32 v3, v1, v3
	v_mad_u64_u32 v[0:1], s[4:5], v3, s30, v[0:1]
	v_mad_u64_u32 v[2:3], s[4:5], v3, s31, v[2:3]
.LBB345_844:
	v_mov_b32_e32 v3, 0
	s_and_b32 s14, 0xffff, s78
	s_cmp_lt_i32 s14, 11
	v_lshl_add_u64 v[2:3], s[22:23], 0, v[2:3]
	s_cbranch_scc1 .LBB345_851
; %bb.845:
	s_cmp_gt_i32 s14, 25
	s_mov_b64 s[6:7], 0
	s_cbranch_scc0 .LBB345_852
; %bb.846:
	s_cmp_gt_i32 s14, 28
	s_cbranch_scc0 .LBB345_853
; %bb.847:
	s_cmp_gt_i32 s14, 43
	;; [unrolled: 3-line block ×3, first 2 shown]
	s_cbranch_scc0 .LBB345_857
; %bb.849:
	s_cmp_eq_u32 s14, 46
	s_mov_b64 s[10:11], 0
	s_cbranch_scc0 .LBB345_860
; %bb.850:
	global_load_dword v4, v[2:3], off
	s_mov_b64 s[4:5], 0
	s_mov_b64 s[8:9], -1
	s_branch .LBB345_861
.LBB345_851:
	s_mov_b64 s[10:11], -1
	s_mov_b64 s[8:9], 0
	s_mov_b64 s[6:7], 0
	;; [unrolled: 1-line block ×3, first 2 shown]
                                        ; implicit-def: $vgpr4
	s_branch .LBB345_924
.LBB345_852:
	s_mov_b64 s[10:11], -1
	s_mov_b64 s[8:9], 0
	s_mov_b64 s[4:5], s[2:3]
                                        ; implicit-def: $vgpr4
	s_branch .LBB345_890
.LBB345_853:
	s_mov_b64 s[10:11], -1
	s_mov_b64 s[8:9], 0
	s_mov_b64 s[4:5], s[2:3]
                                        ; implicit-def: $vgpr4
	s_branch .LBB345_871
.LBB345_854:
	s_mov_b64 s[10:11], -1
	s_mov_b64 s[8:9], 0
	s_mov_b64 s[4:5], s[2:3]
                                        ; implicit-def: $vgpr4
	s_branch .LBB345_866
.LBB345_855:
	s_andn2_saveexec_b64 s[10:11], s[10:11]
	s_cbranch_execz .LBB345_734
.LBB345_856:
	s_mov_b32 s14, 0x46000000
	v_add_f32_e64 v3, |v5|, s14
	v_and_b32_e32 v3, 0xff, v3
	v_cmp_ne_u32_e32 vcc, 0, v3
	s_andn2_b64 s[8:9], s[8:9], exec
	s_and_b64 s[14:15], vcc, exec
	s_or_b64 s[8:9], s[8:9], s[14:15]
	s_or_b64 exec, exec, s[10:11]
	v_mov_b32_e32 v6, 0
	s_and_saveexec_b64 s[10:11], s[8:9]
	s_cbranch_execnz .LBB345_735
	s_branch .LBB345_736
.LBB345_857:
	s_mov_b64 s[10:11], -1
	s_mov_b64 s[8:9], 0
	s_mov_b64 s[4:5], s[2:3]
                                        ; implicit-def: $vgpr4
	s_branch .LBB345_861
.LBB345_858:
	s_andn2_saveexec_b64 s[10:11], s[10:11]
	s_cbranch_execz .LBB345_747
.LBB345_859:
	s_mov_b32 s14, 0x42800000
	v_add_f32_e64 v3, |v5|, s14
	v_and_b32_e32 v3, 0xff, v3
	v_cmp_ne_u32_e32 vcc, 0, v3
	s_andn2_b64 s[8:9], s[8:9], exec
	s_and_b64 s[14:15], vcc, exec
	s_or_b64 s[8:9], s[8:9], s[14:15]
	s_or_b64 exec, exec, s[10:11]
	v_mov_b32_e32 v6, 0
	s_and_saveexec_b64 s[10:11], s[8:9]
	s_cbranch_execnz .LBB345_748
	s_branch .LBB345_749
.LBB345_860:
	s_mov_b64 s[4:5], -1
                                        ; implicit-def: $vgpr4
	s_mov_b64 s[8:9], 0
.LBB345_861:
	s_and_b64 vcc, exec, s[10:11]
	s_cbranch_vccz .LBB345_865
; %bb.862:
	s_cmp_eq_u32 s14, 44
	s_cbranch_scc0 .LBB345_864
; %bb.863:
	global_load_ubyte v1, v[2:3], off
	s_movk_i32 s8, 0xff
	s_waitcnt vmcnt(1)
	v_mov_b32_e32 v4, 0x7f800001
	v_mov_b32_e32 v5, 0x400000
	v_mov_b32_e32 v6, 0x7fc0
	s_mov_b64 s[4:5], 0
	s_waitcnt vmcnt(0)
	v_lshlrev_b32_e32 v7, 23, v1
	v_cmp_ne_u32_e32 vcc, s8, v1
	s_mov_b64 s[8:9], -1
	s_nop 0
	v_cndmask_b32_e32 v4, v4, v7, vcc
	v_cmp_ne_u32_e32 vcc, 0, v1
	s_nop 1
	v_cndmask_b32_e32 v1, v5, v4, vcc
	v_add_u32_e32 v4, 0x7fff, v1
	v_cmp_o_f32_e32 vcc, v1, v1
	s_nop 1
	v_cndmask_b32_sdwa v4, v6, v4, vcc dst_sel:DWORD dst_unused:UNUSED_PAD src0_sel:DWORD src1_sel:WORD_1
	s_branch .LBB345_865
.LBB345_864:
	s_mov_b64 s[4:5], -1
                                        ; implicit-def: $vgpr4
.LBB345_865:
	s_mov_b64 s[10:11], 0
.LBB345_866:
	s_and_b64 vcc, exec, s[10:11]
	s_cbranch_vccz .LBB345_870
; %bb.867:
	s_cmp_eq_u32 s14, 29
	s_cbranch_scc0 .LBB345_869
; %bb.868:
	global_load_dwordx2 v[4:5], v[2:3], off
	s_movk_i32 s8, 0x7fff
	s_mov_b64 s[4:5], 0
	s_mov_b64 s[10:11], 0
	s_waitcnt vmcnt(0)
	v_ffbh_u32_e32 v1, v5
	v_min_u32_e32 v1, 32, v1
	v_lshlrev_b64 v[4:5], v1, v[4:5]
	v_min_u32_e32 v4, 1, v4
	v_or_b32_e32 v4, v5, v4
	v_cvt_f32_u32_e32 v4, v4
	v_sub_u32_e32 v1, 32, v1
	v_ldexp_f32 v1, v4, v1
	v_bfe_u32 v4, v1, 16, 1
	v_add3_u32 v1, v1, v4, s8
	v_lshrrev_b32_e32 v4, 16, v1
	s_mov_b64 s[8:9], -1
	s_branch .LBB345_871
.LBB345_869:
	s_mov_b64 s[4:5], -1
                                        ; implicit-def: $vgpr4
.LBB345_870:
	s_mov_b64 s[10:11], 0
.LBB345_871:
	s_and_b64 vcc, exec, s[10:11]
	s_cbranch_vccz .LBB345_889
; %bb.872:
	s_cmp_lt_i32 s14, 27
	s_cbranch_scc1 .LBB345_875
; %bb.873:
	s_cmp_gt_i32 s14, 27
	s_cbranch_scc0 .LBB345_876
; %bb.874:
	global_load_dword v1, v[2:3], off
	s_movk_i32 s8, 0x7fff
	s_waitcnt vmcnt(0)
	v_cvt_f32_u32_e32 v1, v1
	v_bfe_u32 v4, v1, 16, 1
	v_add3_u32 v1, v1, v4, s8
	v_lshrrev_b32_e32 v4, 16, v1
	s_mov_b64 s[8:9], 0
	s_branch .LBB345_877
.LBB345_875:
	s_mov_b64 s[8:9], -1
                                        ; implicit-def: $vgpr4
	s_branch .LBB345_880
.LBB345_876:
	s_mov_b64 s[8:9], -1
                                        ; implicit-def: $vgpr4
.LBB345_877:
	s_andn2_b64 vcc, exec, s[8:9]
	s_cbranch_vccnz .LBB345_879
; %bb.878:
	global_load_ushort v1, v[2:3], off
	s_movk_i32 s8, 0x7fff
	s_waitcnt vmcnt(0)
	v_cvt_f32_u32_e32 v1, v1
	v_bfe_u32 v4, v1, 16, 1
	v_add3_u32 v1, v1, v4, s8
	v_lshrrev_b32_e32 v4, 16, v1
.LBB345_879:
	s_mov_b64 s[8:9], 0
.LBB345_880:
	s_andn2_b64 vcc, exec, s[8:9]
	s_cbranch_vccnz .LBB345_888
; %bb.881:
	global_load_ubyte v1, v[2:3], off
	s_movk_i32 s8, 0x7f
	s_waitcnt vmcnt(0)
	v_cmp_lt_i16_e32 vcc, s8, v1
	s_mov_b64 s[8:9], 0
	s_and_saveexec_b64 s[10:11], vcc
	s_xor_b64 s[10:11], exec, s[10:11]
	s_cbranch_execz .LBB345_902
; %bb.882:
	s_movk_i32 s8, 0x80
	v_cmp_eq_u16_e32 vcc, s8, v1
	s_mov_b64 s[8:9], -1
	s_and_saveexec_b64 s[12:13], vcc
; %bb.883:
	s_xor_b64 s[8:9], exec, -1
; %bb.884:
	s_or_b64 exec, exec, s[12:13]
	s_and_b64 s[8:9], s[8:9], exec
	s_or_saveexec_b64 s[10:11], s[10:11]
	v_mov_b32_e32 v4, 0x7f800001
	s_xor_b64 exec, exec, s[10:11]
	s_cbranch_execnz .LBB345_903
.LBB345_885:
	s_or_b64 exec, exec, s[10:11]
	s_and_saveexec_b64 s[10:11], s[8:9]
	s_cbranch_execz .LBB345_887
.LBB345_886:
	v_lshlrev_b32_e32 v4, 24, v1
	v_and_b32_e32 v1, 0xffff, v1
	v_and_b32_e32 v5, 7, v1
	v_ffbh_u32_e32 v7, v5
	v_min_u32_e32 v7, 32, v7
	v_subrev_u32_e32 v8, 28, v7
	v_bfe_u32 v6, v1, 3, 4
	v_lshlrev_b32_e32 v1, v8, v1
	v_sub_u32_e32 v7, 29, v7
	v_and_b32_e32 v1, 7, v1
	v_cmp_eq_u32_e32 vcc, 0, v6
	v_and_b32_e32 v4, 0x80000000, v4
	s_nop 0
	v_cndmask_b32_e32 v6, v6, v7, vcc
	v_cndmask_b32_e32 v1, v5, v1, vcc
	v_mov_b32_e32 v5, 0x3b800000
	v_lshlrev_b32_e32 v1, 20, v1
	v_lshl_add_u32 v5, v6, 23, v5
	v_or3_b32 v4, v4, v5, v1
.LBB345_887:
	s_or_b64 exec, exec, s[10:11]
	v_bfe_u32 v1, v4, 16, 1
	s_movk_i32 s8, 0x7fff
	v_add3_u32 v1, v4, v1, s8
	v_cmp_o_f32_e32 vcc, v4, v4
	v_mov_b32_e32 v4, 0x7fc0
	s_nop 0
	v_cndmask_b32_sdwa v4, v4, v1, vcc dst_sel:DWORD dst_unused:UNUSED_PAD src0_sel:DWORD src1_sel:WORD_1
.LBB345_888:
	s_mov_b64 s[8:9], -1
.LBB345_889:
	s_mov_b64 s[10:11], 0
.LBB345_890:
	s_and_b64 vcc, exec, s[10:11]
	s_cbranch_vccz .LBB345_923
; %bb.891:
	s_cmp_gt_i32 s14, 22
	s_cbranch_scc0 .LBB345_901
; %bb.892:
	s_cmp_lt_i32 s14, 24
	s_cbranch_scc1 .LBB345_904
; %bb.893:
	s_cmp_gt_i32 s14, 24
	s_cbranch_scc0 .LBB345_905
; %bb.894:
	global_load_ubyte v1, v[2:3], off
	s_movk_i32 s6, 0x7f
	s_waitcnt vmcnt(0)
	v_cmp_lt_i16_e32 vcc, s6, v1
	s_mov_b64 s[6:7], 0
	s_and_saveexec_b64 s[8:9], vcc
	s_xor_b64 s[8:9], exec, s[8:9]
	s_cbranch_execz .LBB345_917
; %bb.895:
	s_movk_i32 s6, 0x80
	v_cmp_eq_u16_e32 vcc, s6, v1
	s_mov_b64 s[6:7], -1
	s_and_saveexec_b64 s[10:11], vcc
; %bb.896:
	s_xor_b64 s[6:7], exec, -1
; %bb.897:
	s_or_b64 exec, exec, s[10:11]
	s_and_b64 s[6:7], s[6:7], exec
	s_or_saveexec_b64 s[8:9], s[8:9]
	v_mov_b32_e32 v4, 0x7f800001
	s_xor_b64 exec, exec, s[8:9]
	s_cbranch_execnz .LBB345_918
.LBB345_898:
	s_or_b64 exec, exec, s[8:9]
	s_and_saveexec_b64 s[8:9], s[6:7]
	s_cbranch_execz .LBB345_900
.LBB345_899:
	v_lshlrev_b32_e32 v4, 24, v1
	v_and_b32_e32 v1, 0xffff, v1
	v_and_b32_e32 v5, 3, v1
	v_ffbh_u32_e32 v7, v5
	v_min_u32_e32 v7, 32, v7
	v_subrev_u32_e32 v8, 29, v7
	v_bfe_u32 v6, v1, 2, 5
	v_lshlrev_b32_e32 v1, v8, v1
	v_sub_u32_e32 v7, 30, v7
	v_and_b32_e32 v1, 3, v1
	v_cmp_eq_u32_e32 vcc, 0, v6
	v_and_b32_e32 v4, 0x80000000, v4
	s_nop 0
	v_cndmask_b32_e32 v6, v6, v7, vcc
	v_cndmask_b32_e32 v1, v5, v1, vcc
	v_mov_b32_e32 v5, 0x37800000
	v_lshlrev_b32_e32 v1, 21, v1
	v_lshl_add_u32 v5, v6, 23, v5
	v_or3_b32 v4, v4, v5, v1
.LBB345_900:
	s_or_b64 exec, exec, s[8:9]
	v_bfe_u32 v1, v4, 16, 1
	s_movk_i32 s6, 0x7fff
	v_add3_u32 v1, v4, v1, s6
	v_cmp_o_f32_e32 vcc, v4, v4
	v_mov_b32_e32 v4, 0x7fc0
	s_mov_b64 s[6:7], 0
	v_cndmask_b32_sdwa v4, v4, v1, vcc dst_sel:DWORD dst_unused:UNUSED_PAD src0_sel:DWORD src1_sel:WORD_1
	s_branch .LBB345_906
.LBB345_901:
	s_mov_b64 s[6:7], -1
                                        ; implicit-def: $vgpr4
	s_branch .LBB345_912
.LBB345_902:
	s_or_saveexec_b64 s[10:11], s[10:11]
	v_mov_b32_e32 v4, 0x7f800001
	s_xor_b64 exec, exec, s[10:11]
	s_cbranch_execz .LBB345_885
.LBB345_903:
	v_cmp_ne_u16_e32 vcc, 0, v1
	s_andn2_b64 s[8:9], s[8:9], exec
	s_and_b64 s[12:13], vcc, exec
	v_mov_b32_e32 v4, 0
	s_or_b64 s[8:9], s[8:9], s[12:13]
	s_or_b64 exec, exec, s[10:11]
	s_and_saveexec_b64 s[10:11], s[8:9]
	s_cbranch_execnz .LBB345_886
	s_branch .LBB345_887
.LBB345_904:
	s_mov_b64 s[6:7], -1
                                        ; implicit-def: $vgpr4
	s_branch .LBB345_909
.LBB345_905:
	s_mov_b64 s[6:7], -1
                                        ; implicit-def: $vgpr4
.LBB345_906:
	s_and_b64 vcc, exec, s[6:7]
	s_cbranch_vccz .LBB345_908
; %bb.907:
	global_load_ubyte v1, v[2:3], off
	s_mov_b32 s6, 0x7f800000
	s_brev_b32 s7, 1
	s_movk_i32 s8, 0x7fff
	s_waitcnt vmcnt(0)
	v_lshlrev_b32_e32 v1, 24, v1
	v_and_b32_e32 v4, 0x7f000000, v1
	v_ffbh_u32_e32 v5, v4
	v_min_u32_e32 v5, 32, v5
	v_sub_u32_e64 v5, v5, 4 clamp
	v_lshlrev_b32_e32 v7, v5, v4
	v_lshlrev_b32_e32 v5, 23, v5
	v_lshrrev_b32_e32 v7, 4, v7
	v_add_u32_e32 v6, 0x1000000, v4
	v_sub_u32_e32 v5, v7, v5
	v_ashrrev_i32_e32 v6, 8, v6
	v_add_u32_e32 v5, 0x3c000000, v5
	v_and_or_b32 v5, v6, s6, v5
	v_cmp_ne_u32_e32 vcc, 0, v4
	s_nop 1
	v_cndmask_b32_e32 v4, 0, v5, vcc
	v_and_or_b32 v1, v1, s7, v4
	v_bfe_u32 v4, v4, 16, 1
	v_add3_u32 v4, v1, v4, s8
	v_cmp_o_f32_e32 vcc, v1, v1
	v_mov_b32_e32 v1, 0x7fc0
	s_nop 0
	v_cndmask_b32_sdwa v4, v1, v4, vcc dst_sel:DWORD dst_unused:UNUSED_PAD src0_sel:DWORD src1_sel:WORD_1
.LBB345_908:
	s_mov_b64 s[6:7], 0
.LBB345_909:
	s_andn2_b64 vcc, exec, s[6:7]
	s_cbranch_vccnz .LBB345_911
; %bb.910:
	global_load_ubyte v1, v[2:3], off
	s_movk_i32 s6, 0x7f00
	s_brev_b32 s7, 16
	s_brev_b32 s8, 1
	s_movk_i32 s9, 0x7fff
	s_waitcnt vmcnt(0)
	v_lshlrev_b16_e32 v4, 8, v1
	v_lshlrev_b32_e32 v1, 25, v1
	v_lshrrev_b32_e32 v5, 4, v1
	v_and_or_b32 v6, v4, s6, 0.5
	v_or_b32_e32 v5, 0x70000000, v5
	v_add_f32_e32 v6, -0.5, v6
	v_mul_f32_e32 v5, 0x7800000, v5
	v_cmp_gt_u32_e32 vcc, s7, v1
	v_bfe_i32 v4, v4, 0, 16
	s_nop 0
	v_cndmask_b32_e32 v1, v5, v6, vcc
	v_and_or_b32 v4, v4, s8, v1
	v_bfe_u32 v1, v1, 16, 1
	v_add3_u32 v1, v4, v1, s9
	v_cmp_o_f32_e32 vcc, v4, v4
	v_mov_b32_e32 v4, 0x7fc0
	s_nop 0
	v_cndmask_b32_sdwa v4, v4, v1, vcc dst_sel:DWORD dst_unused:UNUSED_PAD src0_sel:DWORD src1_sel:WORD_1
.LBB345_911:
	s_mov_b64 s[6:7], 0
	s_mov_b64 s[8:9], -1
.LBB345_912:
	s_andn2_b64 vcc, exec, s[6:7]
	s_mov_b64 s[6:7], 0
	s_cbranch_vccnz .LBB345_923
; %bb.913:
	s_cmp_gt_i32 s14, 14
	s_cbranch_scc0 .LBB345_916
; %bb.914:
	s_cmp_eq_u32 s14, 15
	s_cbranch_scc0 .LBB345_919
; %bb.915:
	global_load_ushort v4, v[2:3], off
	s_mov_b64 s[4:5], 0
	s_mov_b64 s[8:9], -1
	s_branch .LBB345_920
.LBB345_916:
	s_mov_b64 s[10:11], -1
                                        ; implicit-def: $vgpr4
	s_branch .LBB345_921
.LBB345_917:
	s_or_saveexec_b64 s[8:9], s[8:9]
	v_mov_b32_e32 v4, 0x7f800001
	s_xor_b64 exec, exec, s[8:9]
	s_cbranch_execz .LBB345_898
.LBB345_918:
	v_cmp_ne_u16_e32 vcc, 0, v1
	s_andn2_b64 s[6:7], s[6:7], exec
	s_and_b64 s[10:11], vcc, exec
	v_mov_b32_e32 v4, 0
	s_or_b64 s[6:7], s[6:7], s[10:11]
	s_or_b64 exec, exec, s[8:9]
	s_and_saveexec_b64 s[8:9], s[6:7]
	s_cbranch_execnz .LBB345_899
	s_branch .LBB345_900
.LBB345_919:
	s_mov_b64 s[4:5], -1
                                        ; implicit-def: $vgpr4
.LBB345_920:
	s_mov_b64 s[10:11], 0
.LBB345_921:
	s_and_b64 vcc, exec, s[10:11]
	s_cbranch_vccz .LBB345_923
; %bb.922:
	s_cmp_lg_u32 s14, 11
	s_cselect_b64 s[10:11], -1, 0
	s_andn2_b64 s[4:5], s[4:5], exec
	s_and_b64 s[10:11], s[10:11], exec
	s_mov_b64 s[6:7], -1
	s_or_b64 s[4:5], s[4:5], s[10:11]
.LBB345_923:
	s_mov_b64 s[10:11], 0
.LBB345_924:
	s_andn2_b64 s[12:13], s[2:3], exec
	s_and_b64 s[4:5], s[4:5], exec
	s_and_b64 s[8:9], s[8:9], exec
	;; [unrolled: 1-line block ×4, first 2 shown]
	s_or_b64 s[12:13], s[12:13], s[4:5]
.LBB345_925:
	s_or_b64 exec, exec, s[72:73]
	s_and_b64 s[4:5], s[6:7], exec
	s_andn2_b64 s[2:3], s[2:3], exec
	s_and_b64 s[6:7], s[12:13], exec
	s_and_b64 s[8:9], s[8:9], exec
	;; [unrolled: 1-line block ×3, first 2 shown]
	s_or_b64 s[2:3], s[2:3], s[6:7]
.LBB345_926:
	s_or_b64 exec, exec, s[68:69]
	s_andn2_b64 s[6:7], s[64:65], exec
	s_and_b64 s[12:13], s[70:71], exec
	s_or_b64 s[64:65], s[6:7], s[12:13]
	s_and_b64 s[6:7], s[10:11], exec
	s_andn2_b64 s[10:11], s[62:63], exec
	s_and_b64 s[2:3], s[2:3], exec
	s_and_b64 s[8:9], s[8:9], exec
	;; [unrolled: 1-line block ×3, first 2 shown]
	s_or_b64 s[62:63], s[10:11], s[2:3]
.LBB345_927:
	s_or_b64 exec, exec, s[66:67]
	s_andn2_b64 s[2:3], s[56:57], exec
	s_and_b64 s[10:11], s[64:65], exec
	s_or_b64 s[56:57], s[2:3], s[10:11]
	s_and_b64 s[2:3], s[8:9], exec
	s_and_b64 s[8:9], s[6:7], exec
	;; [unrolled: 1-line block ×3, first 2 shown]
	s_andn2_b64 s[4:5], s[58:59], exec
	s_and_b64 s[6:7], s[62:63], exec
	s_or_b64 s[58:59], s[4:5], s[6:7]
	s_or_b64 exec, exec, s[60:61]
	s_mov_b64 s[4:5], 0
	s_and_saveexec_b64 s[6:7], s[58:59]
	s_cbranch_execz .LBB345_278
.LBB345_928:
	s_mov_b64 s[4:5], exec
	s_andn2_b64 s[64:65], s[64:65], exec
	s_trap 2
	s_or_b64 exec, exec, s[6:7]
	s_and_saveexec_b64 s[6:7], s[64:65]
	s_xor_b64 s[6:7], exec, s[6:7]
	s_cbranch_execnz .LBB345_279
.LBB345_929:
	s_or_b64 exec, exec, s[6:7]
	s_and_saveexec_b64 s[6:7], s[8:9]
	s_cbranch_execz .LBB345_975
.LBB345_930:
	s_sext_i32_i16 s8, s78
	s_cmp_lt_i32 s8, 5
	s_cbranch_scc1 .LBB345_935
; %bb.931:
	s_cmp_lt_i32 s8, 8
	s_cbranch_scc1 .LBB345_936
; %bb.932:
	;; [unrolled: 3-line block ×3, first 2 shown]
	s_cmp_gt_i32 s8, 9
	s_cbranch_scc0 .LBB345_938
; %bb.934:
	global_load_dwordx2 v[4:5], v[2:3], off
	s_movk_i32 s8, 0x7fff
	v_mov_b32_e32 v1, 0x7fc0
	s_waitcnt vmcnt(0)
	v_cvt_f32_f64_e32 v4, v[4:5]
	v_bfe_u32 v5, v4, 16, 1
	v_cmp_o_f32_e32 vcc, v4, v4
	v_add3_u32 v4, v4, v5, s8
	s_mov_b64 s[8:9], 0
	v_cndmask_b32_sdwa v4, v1, v4, vcc dst_sel:DWORD dst_unused:UNUSED_PAD src0_sel:DWORD src1_sel:WORD_1
	s_branch .LBB345_939
.LBB345_935:
                                        ; implicit-def: $vgpr4
	s_branch .LBB345_956
.LBB345_936:
                                        ; implicit-def: $vgpr4
	s_branch .LBB345_945
.LBB345_937:
	s_mov_b64 s[8:9], -1
                                        ; implicit-def: $vgpr4
	s_branch .LBB345_942
.LBB345_938:
	s_mov_b64 s[8:9], -1
                                        ; implicit-def: $vgpr4
.LBB345_939:
	s_andn2_b64 vcc, exec, s[8:9]
	s_cbranch_vccnz .LBB345_941
; %bb.940:
	global_load_dword v1, v[2:3], off
	s_movk_i32 s8, 0x7fff
	s_waitcnt vmcnt(1)
	v_mov_b32_e32 v4, 0x7fc0
	s_waitcnt vmcnt(0)
	v_bfe_u32 v5, v1, 16, 1
	v_cmp_o_f32_e32 vcc, v1, v1
	v_add3_u32 v1, v1, v5, s8
	s_nop 0
	v_cndmask_b32_sdwa v4, v4, v1, vcc dst_sel:DWORD dst_unused:UNUSED_PAD src0_sel:DWORD src1_sel:WORD_1
.LBB345_941:
	s_mov_b64 s[8:9], 0
.LBB345_942:
	s_andn2_b64 vcc, exec, s[8:9]
	s_cbranch_vccnz .LBB345_944
; %bb.943:
	global_load_dword v1, v[2:3], off
	s_movk_i32 s8, 0x7fff
	v_mov_b32_e32 v5, 0x7fc0
	s_waitcnt vmcnt(0)
	v_cvt_f32_f16_e32 v4, v1
	v_cmp_o_f16_e32 vcc, v1, v1
	v_bfe_u32 v1, v4, 16, 1
	v_add3_u32 v1, v4, v1, s8
	v_cndmask_b32_sdwa v4, v5, v1, vcc dst_sel:DWORD dst_unused:UNUSED_PAD src0_sel:DWORD src1_sel:WORD_1
.LBB345_944:
	s_cbranch_execnz .LBB345_955
.LBB345_945:
	s_sext_i32_i16 s8, s78
	s_cmp_lt_i32 s8, 6
	s_cbranch_scc1 .LBB345_948
; %bb.946:
	s_cmp_gt_i32 s8, 6
	s_cbranch_scc0 .LBB345_949
; %bb.947:
	global_load_dwordx2 v[4:5], v[2:3], off
	s_movk_i32 s8, 0x7fff
	v_mov_b32_e32 v1, 0x7fc0
	s_waitcnt vmcnt(0)
	v_cvt_f32_f64_e32 v4, v[4:5]
	v_bfe_u32 v5, v4, 16, 1
	v_cmp_o_f32_e32 vcc, v4, v4
	v_add3_u32 v4, v4, v5, s8
	s_mov_b64 s[8:9], 0
	v_cndmask_b32_sdwa v4, v1, v4, vcc dst_sel:DWORD dst_unused:UNUSED_PAD src0_sel:DWORD src1_sel:WORD_1
	s_branch .LBB345_950
.LBB345_948:
	s_mov_b64 s[8:9], -1
                                        ; implicit-def: $vgpr4
	s_branch .LBB345_953
.LBB345_949:
	s_mov_b64 s[8:9], -1
                                        ; implicit-def: $vgpr4
.LBB345_950:
	s_andn2_b64 vcc, exec, s[8:9]
	s_cbranch_vccnz .LBB345_952
; %bb.951:
	global_load_dword v1, v[2:3], off
	s_movk_i32 s8, 0x7fff
	s_waitcnt vmcnt(1)
	v_mov_b32_e32 v4, 0x7fc0
	s_waitcnt vmcnt(0)
	v_bfe_u32 v5, v1, 16, 1
	v_cmp_o_f32_e32 vcc, v1, v1
	v_add3_u32 v1, v1, v5, s8
	s_nop 0
	v_cndmask_b32_sdwa v4, v4, v1, vcc dst_sel:DWORD dst_unused:UNUSED_PAD src0_sel:DWORD src1_sel:WORD_1
.LBB345_952:
	s_mov_b64 s[8:9], 0
.LBB345_953:
	s_andn2_b64 vcc, exec, s[8:9]
	s_cbranch_vccnz .LBB345_955
; %bb.954:
	global_load_ushort v1, v[2:3], off
	s_movk_i32 s8, 0x7fff
	v_mov_b32_e32 v5, 0x7fc0
	s_waitcnt vmcnt(0)
	v_cvt_f32_f16_e32 v4, v1
	v_cmp_o_f16_e32 vcc, v1, v1
	v_bfe_u32 v1, v4, 16, 1
	v_add3_u32 v1, v4, v1, s8
	v_cndmask_b32_sdwa v4, v5, v1, vcc dst_sel:DWORD dst_unused:UNUSED_PAD src0_sel:DWORD src1_sel:WORD_1
.LBB345_955:
	s_cbranch_execnz .LBB345_974
.LBB345_956:
	s_sext_i32_i16 s8, s78
	s_cmp_lt_i32 s8, 2
	s_cbranch_scc1 .LBB345_960
; %bb.957:
	s_cmp_lt_i32 s8, 3
	s_cbranch_scc1 .LBB345_961
; %bb.958:
	s_cmp_gt_i32 s8, 3
	s_cbranch_scc0 .LBB345_962
; %bb.959:
	global_load_dwordx2 v[4:5], v[2:3], off
	s_movk_i32 s8, 0x7fff
	s_waitcnt vmcnt(0)
	v_xor_b32_e32 v6, v4, v5
	v_ffbh_i32_e32 v1, v5
	v_ashrrev_i32_e32 v6, 31, v6
	v_add_u32_e32 v1, -1, v1
	v_add_u32_e32 v6, 32, v6
	v_min_u32_e32 v1, v1, v6
	v_lshlrev_b64 v[4:5], v1, v[4:5]
	v_min_u32_e32 v4, 1, v4
	v_or_b32_e32 v4, v5, v4
	v_cvt_f32_i32_e32 v4, v4
	v_sub_u32_e32 v1, 32, v1
	v_ldexp_f32 v1, v4, v1
	v_bfe_u32 v4, v1, 16, 1
	v_add3_u32 v1, v1, v4, s8
	v_lshrrev_b32_e32 v4, 16, v1
	s_mov_b64 s[8:9], 0
	s_branch .LBB345_963
.LBB345_960:
                                        ; implicit-def: $vgpr4
	s_branch .LBB345_969
.LBB345_961:
	s_mov_b64 s[8:9], -1
                                        ; implicit-def: $vgpr4
	s_branch .LBB345_966
.LBB345_962:
	s_mov_b64 s[8:9], -1
                                        ; implicit-def: $vgpr4
.LBB345_963:
	s_andn2_b64 vcc, exec, s[8:9]
	s_cbranch_vccnz .LBB345_965
; %bb.964:
	global_load_dword v1, v[2:3], off
	s_movk_i32 s8, 0x7fff
	s_waitcnt vmcnt(0)
	v_cvt_f32_i32_e32 v1, v1
	v_bfe_u32 v4, v1, 16, 1
	v_add3_u32 v1, v1, v4, s8
	v_lshrrev_b32_e32 v4, 16, v1
.LBB345_965:
	s_mov_b64 s[8:9], 0
.LBB345_966:
	s_andn2_b64 vcc, exec, s[8:9]
	s_cbranch_vccnz .LBB345_968
; %bb.967:
	global_load_sshort v1, v[2:3], off
	s_movk_i32 s8, 0x7fff
	s_waitcnt vmcnt(0)
	v_cvt_f32_i32_e32 v1, v1
	v_bfe_u32 v4, v1, 16, 1
	v_add3_u32 v1, v1, v4, s8
	v_lshrrev_b32_e32 v4, 16, v1
.LBB345_968:
	s_cbranch_execnz .LBB345_974
.LBB345_969:
	s_sext_i32_i16 s8, s78
	s_cmp_gt_i32 s8, 0
	s_cbranch_scc0 .LBB345_971
; %bb.970:
	global_load_sbyte v1, v[2:3], off
	s_movk_i32 s8, 0x7fff
	s_waitcnt vmcnt(0)
	v_cvt_f32_i32_e32 v1, v1
	v_bfe_u32 v4, v1, 16, 1
	v_add3_u32 v1, v1, v4, s8
	v_lshrrev_b32_e32 v4, 16, v1
	s_mov_b64 s[8:9], 0
	s_branch .LBB345_972
.LBB345_971:
	s_mov_b64 s[8:9], -1
                                        ; implicit-def: $vgpr4
.LBB345_972:
	s_andn2_b64 vcc, exec, s[8:9]
	s_cbranch_vccnz .LBB345_974
; %bb.973:
	global_load_ubyte v1, v[2:3], off
	s_movk_i32 s8, 0x7fff
	s_waitcnt vmcnt(0)
	v_cvt_f32_ubyte0_e32 v1, v1
	v_bfe_u32 v2, v1, 16, 1
	v_add3_u32 v1, v1, v2, s8
	v_lshrrev_b32_e32 v4, 16, v1
.LBB345_974:
	s_or_b64 s[2:3], s[2:3], exec
.LBB345_975:
	s_or_b64 exec, exec, s[6:7]
	s_mov_b64 s[10:11], 0
	s_mov_b64 s[8:9], 0
                                        ; implicit-def: $sgpr16
                                        ; implicit-def: $vgpr2_vgpr3
	s_and_saveexec_b64 s[6:7], s[2:3]
	s_cbranch_execz .LBB345_995
; %bb.976:
	s_waitcnt vmcnt(0)
	v_lshlrev_b32_e32 v1, 16, v4
	v_cmp_o_f32_e32 vcc, v1, v1
	s_and_saveexec_b64 s[2:3], vcc
; %bb.977:
	v_mov_b32_e32 v2, s46
	v_cmp_lt_f32_e32 vcc, s77, v1
	v_mov_b32_e32 v3, s75
	s_nop 0
	v_cndmask_b32_e32 v1, v2, v4, vcc
	v_lshlrev_b32_e32 v2, 16, v1
	v_cmp_gt_f32_e32 vcc, s76, v2
	s_nop 1
	v_cndmask_b32_e32 v4, v3, v1, vcc
; %bb.978:
	s_or_b64 exec, exec, s[2:3]
	v_mov_b32_e32 v1, 0
	s_and_b32 s16, s47, 0xff
	s_cmp_lt_i32 s16, 11
	v_lshl_add_u64 v[2:3], s[20:21], 0, v[0:1]
	s_cbranch_scc1 .LBB345_998
; %bb.979:
	s_and_b32 s17, 0xffff, s16
	s_mov_b64 s[10:11], -1
	s_cmp_gt_i32 s17, 25
	s_mov_b64 s[2:3], s[56:57]
	s_cbranch_scc0 .LBB345_1016
; %bb.980:
	s_mov_b64 s[8:9], -1
	s_cmp_gt_i32 s17, 28
	s_mov_b64 s[2:3], s[56:57]
	s_cbranch_scc0 .LBB345_1000
; %bb.981:
	s_cmp_gt_i32 s17, 43
	s_mov_b64 s[2:3], s[56:57]
	s_cbranch_scc0 .LBB345_992
; %bb.982:
	s_cmp_gt_i32 s17, 45
	s_mov_b64 s[2:3], s[56:57]
	s_cbranch_scc0 .LBB345_986
; %bb.983:
	s_cmp_eq_u32 s17, 46
	s_mov_b64 s[2:3], -1
	s_cbranch_scc0 .LBB345_985
; %bb.984:
	v_and_b32_e32 v0, 0xffff, v4
	global_store_dword v[2:3], v0, off
	s_mov_b64 s[2:3], 0
.LBB345_985:
	s_mov_b64 s[8:9], 0
.LBB345_986:
	s_and_b64 vcc, exec, s[8:9]
	s_cbranch_vccz .LBB345_991
; %bb.987:
	s_cmp_eq_u32 s17, 44
	s_mov_b64 s[2:3], -1
	s_cbranch_scc0 .LBB345_991
; %bb.988:
	v_and_b32_e32 v1, 0xffff, v4
	v_bfe_u32 v0, v1, 7, 8
	s_movk_i32 s2, 0xff
	v_cmp_ne_u32_e32 vcc, s2, v0
	v_mov_b32_e32 v5, 0xff
	s_and_saveexec_b64 s[8:9], vcc
	s_cbranch_execz .LBB345_990
; %bb.989:
	v_lshlrev_b32_e32 v6, 16, v1
	s_mov_b32 s2, 0x3f0000
	v_lshrrev_b32_e32 v5, 7, v1
	v_and_b32_e32 v1, 64, v1
	v_and_or_b32 v0, v6, s2, v0
	v_cmp_ne_u32_e32 vcc, 0, v1
	v_cmp_ne_u32_e64 s[2:3], 0, v0
	s_and_b64 s[2:3], vcc, s[2:3]
	s_nop 0
	v_cndmask_b32_e64 v0, 0, 1, s[2:3]
	v_add_u32_e32 v5, v5, v0
.LBB345_990:
	s_or_b64 exec, exec, s[8:9]
	s_mov_b64 s[2:3], 0
	global_store_byte v[2:3], v5, off
.LBB345_991:
	s_mov_b64 s[8:9], 0
.LBB345_992:
	s_and_b64 vcc, exec, s[8:9]
	s_cbranch_vccz .LBB345_999
; %bb.993:
	s_cmp_eq_u32 s17, 29
	s_mov_b64 s[2:3], -1
	s_cbranch_scc0 .LBB345_999
; %bb.994:
	v_lshlrev_b32_e32 v0, 16, v4
	v_trunc_f32_e32 v0, v0
	v_mul_f32_e32 v1, 0x2f800000, v0
	v_floor_f32_e32 v5, v1
	v_fmamk_f32 v0, v5, 0xcf800000, v0
	v_cvt_u32_f32_e32 v1, v5
	v_cvt_u32_f32_e32 v0, v0
	s_mov_b64 s[2:3], 0
	s_mov_b64 s[8:9], 0
	global_store_dwordx2 v[2:3], v[0:1], off
	s_branch .LBB345_1000
.LBB345_995:
	s_or_b64 exec, exec, s[6:7]
	s_and_saveexec_b64 s[2:3], s[56:57]
	s_cbranch_execnz .LBB345_1058
.LBB345_996:
	s_or_b64 exec, exec, s[2:3]
	s_and_saveexec_b64 s[2:3], s[10:11]
	s_xor_b64 s[2:3], exec, s[2:3]
	s_cbranch_execz .LBB345_1059
.LBB345_997:
	s_waitcnt vmcnt(0)
	v_and_b32_e32 v0, 0x7fff, v4
	v_cmp_ne_u16_e32 vcc, 0, v0
	s_nop 1
	v_cndmask_b32_e64 v0, 0, 1, vcc
	global_store_byte v[2:3], v0, off
	s_or_b64 exec, exec, s[2:3]
	s_and_saveexec_b64 s[2:3], s[8:9]
	s_xor_b64 s[2:3], exec, s[2:3]
	s_cbranch_execz .LBB345_1097
	s_branch .LBB345_1060
.LBB345_998:
	s_mov_b64 s[8:9], -1
	s_mov_b64 s[2:3], s[56:57]
	s_branch .LBB345_1057
.LBB345_999:
	s_mov_b64 s[8:9], 0
.LBB345_1000:
	s_and_b64 vcc, exec, s[8:9]
	s_cbranch_vccz .LBB345_1015
; %bb.1001:
	s_cmp_lt_i32 s17, 27
	s_mov_b64 s[8:9], -1
	s_cbranch_scc1 .LBB345_1007
; %bb.1002:
	s_cmp_gt_i32 s17, 27
	s_cbranch_scc0 .LBB345_1004
; %bb.1003:
	v_lshlrev_b32_e32 v0, 16, v4
	v_cvt_u32_f32_e32 v0, v0
	s_mov_b64 s[8:9], 0
	global_store_dword v[2:3], v0, off
.LBB345_1004:
	s_andn2_b64 vcc, exec, s[8:9]
	s_cbranch_vccnz .LBB345_1006
; %bb.1005:
	v_lshlrev_b32_e32 v0, 16, v4
	v_cvt_u32_f32_e32 v0, v0
	global_store_short v[2:3], v0, off
.LBB345_1006:
	s_mov_b64 s[8:9], 0
.LBB345_1007:
	s_andn2_b64 vcc, exec, s[8:9]
	s_cbranch_vccnz .LBB345_1015
; %bb.1008:
	v_lshlrev_b32_e32 v5, 16, v4
	v_and_b32_e32 v1, 0x7fffffff, v5
	s_mov_b32 s8, 0x43800000
	v_cmp_gt_u32_e32 vcc, s8, v1
	v_mov_b32_e32 v6, 0x80
	s_and_saveexec_b64 s[8:9], vcc
	s_cbranch_execz .LBB345_1014
; %bb.1009:
	s_mov_b32 s10, 0x3bffffff
	v_and_b32_e32 v0, 0xffff, v4
	v_cmp_lt_u32_e32 vcc, s10, v1
	s_mov_b64 s[10:11], 0
                                        ; implicit-def: $vgpr1
	s_and_saveexec_b64 s[12:13], vcc
	s_xor_b64 s[12:13], exec, s[12:13]
	s_cbranch_execz .LBB345_1168
; %bb.1010:
	v_bfe_u32 v1, v0, 4, 1
	s_mov_b32 s14, 0x487ffff
	v_add3_u32 v1, v5, v1, s14
	s_mov_b64 s[10:11], exec
	v_lshrrev_b32_e32 v1, 20, v1
                                        ; implicit-def: $vgpr5
	s_andn2_saveexec_b64 s[12:13], s[12:13]
	s_cbranch_execnz .LBB345_1169
.LBB345_1011:
	s_or_b64 exec, exec, s[12:13]
	v_mov_b32_e32 v6, 0
	s_and_saveexec_b64 s[12:13], s[10:11]
.LBB345_1012:
	v_lshrrev_b32_e32 v0, 8, v0
	s_movk_i32 s10, 0x80
	v_and_or_b32 v6, v0, s10, v1
.LBB345_1013:
	s_or_b64 exec, exec, s[12:13]
.LBB345_1014:
	s_or_b64 exec, exec, s[8:9]
	global_store_byte v[2:3], v6, off
.LBB345_1015:
	s_mov_b64 s[10:11], 0
.LBB345_1016:
	s_mov_b64 s[8:9], 0
	s_and_b64 vcc, exec, s[10:11]
	s_cbranch_vccz .LBB345_1056
; %bb.1017:
	s_cmp_gt_i32 s17, 22
	s_mov_b64 s[10:11], -1
	s_cbranch_scc0 .LBB345_1049
; %bb.1018:
	s_cmp_lt_i32 s17, 24
	s_cbranch_scc1 .LBB345_1038
; %bb.1019:
	s_cmp_gt_i32 s17, 24
	s_cbranch_scc0 .LBB345_1027
; %bb.1020:
	v_lshlrev_b32_e32 v5, 16, v4
	v_and_b32_e32 v1, 0x7fffffff, v5
	s_mov_b32 s10, 0x47800000
	v_cmp_gt_u32_e32 vcc, s10, v1
	v_mov_b32_e32 v6, 0x80
	s_and_saveexec_b64 s[10:11], vcc
	s_cbranch_execz .LBB345_1026
; %bb.1021:
	s_mov_b32 s12, 0x37ffffff
	v_and_b32_e32 v0, 0xffff, v4
	v_cmp_lt_u32_e32 vcc, s12, v1
	s_mov_b64 s[12:13], 0
                                        ; implicit-def: $vgpr1
	s_and_saveexec_b64 s[14:15], vcc
	s_xor_b64 s[14:15], exec, s[14:15]
	s_cbranch_execz .LBB345_1294
; %bb.1022:
	v_bfe_u32 v1, v0, 5, 1
	s_mov_b32 s18, 0x88fffff
	v_add3_u32 v1, v5, v1, s18
	s_mov_b64 s[12:13], exec
	v_lshrrev_b32_e32 v1, 21, v1
                                        ; implicit-def: $vgpr5
	s_andn2_saveexec_b64 s[14:15], s[14:15]
	s_cbranch_execnz .LBB345_1295
.LBB345_1023:
	s_or_b64 exec, exec, s[14:15]
	v_mov_b32_e32 v6, 0
	s_and_saveexec_b64 s[14:15], s[12:13]
.LBB345_1024:
	v_lshrrev_b32_e32 v0, 8, v0
	s_movk_i32 s12, 0x80
	v_and_or_b32 v6, v0, s12, v1
.LBB345_1025:
	s_or_b64 exec, exec, s[14:15]
.LBB345_1026:
	s_or_b64 exec, exec, s[10:11]
	s_mov_b64 s[10:11], 0
	global_store_byte v[2:3], v6, off
.LBB345_1027:
	s_and_b64 vcc, exec, s[10:11]
	s_cbranch_vccz .LBB345_1037
; %bb.1028:
	v_lshlrev_b32_e32 v5, 16, v4
	v_and_b32_e32 v6, 0x7fffffff, v5
	s_mov_b32 s10, 0x43f00000
	v_and_b32_e32 v0, 0xffff, v4
	v_cmp_gt_u32_e32 vcc, s10, v6
                                        ; implicit-def: $vgpr1
	s_and_saveexec_b64 s[10:11], vcc
	s_xor_b64 s[10:11], exec, s[10:11]
	s_cbranch_execz .LBB345_1034
; %bb.1029:
	s_mov_b32 s12, 0x3c7fffff
	v_cmp_lt_u32_e32 vcc, s12, v6
                                        ; implicit-def: $vgpr1
	s_and_saveexec_b64 s[12:13], vcc
	s_xor_b64 s[12:13], exec, s[12:13]
; %bb.1030:
	v_bfe_u32 v1, v0, 4, 1
	s_mov_b32 s14, 0x407ffff
	v_add3_u32 v1, v5, v1, s14
	v_lshrrev_b32_e32 v5, 20, v1
	v_and_b32_e32 v1, 0xff00000, v1
	s_mov_b32 s14, 0x7f00000
	v_mov_b32_e32 v6, 0x7e
	v_cmp_ne_u32_e32 vcc, s14, v1
	s_nop 1
	v_cndmask_b32_e32 v1, v6, v5, vcc
                                        ; implicit-def: $vgpr5
; %bb.1031:
	s_andn2_saveexec_b64 s[12:13], s[12:13]
; %bb.1032:
	s_mov_b32 s14, 0x46800000
	v_add_f32_e64 v1, |v5|, s14
; %bb.1033:
	s_or_b64 exec, exec, s[12:13]
                                        ; implicit-def: $vgpr6
.LBB345_1034:
	s_andn2_saveexec_b64 s[10:11], s[10:11]
; %bb.1035:
	s_mov_b32 s12, 0x7f800000
	v_mov_b32_e32 v1, 0x7e
	v_mov_b32_e32 v5, 0x7f
	v_cmp_lt_u32_e32 vcc, s12, v6
	s_nop 1
	v_cndmask_b32_e32 v1, v1, v5, vcc
; %bb.1036:
	s_or_b64 exec, exec, s[10:11]
	v_lshrrev_b32_e32 v0, 8, v0
	s_movk_i32 s10, 0x80
	v_and_or_b32 v0, v0, s10, v1
	global_store_byte v[2:3], v0, off
.LBB345_1037:
	s_mov_b64 s[10:11], 0
.LBB345_1038:
	s_andn2_b64 vcc, exec, s[10:11]
	s_cbranch_vccnz .LBB345_1048
; %bb.1039:
	v_lshlrev_b32_e32 v5, 16, v4
	v_and_b32_e32 v6, 0x7fffffff, v5
	s_mov_b32 s10, 0x47800000
	v_and_b32_e32 v0, 0xffff, v4
	v_cmp_gt_u32_e32 vcc, s10, v6
                                        ; implicit-def: $vgpr1
	s_and_saveexec_b64 s[10:11], vcc
	s_xor_b64 s[10:11], exec, s[10:11]
	s_cbranch_execz .LBB345_1045
; %bb.1040:
	s_mov_b32 s12, 0x387fffff
	v_cmp_lt_u32_e32 vcc, s12, v6
                                        ; implicit-def: $vgpr1
	s_and_saveexec_b64 s[12:13], vcc
	s_xor_b64 s[12:13], exec, s[12:13]
; %bb.1041:
	v_bfe_u32 v1, v0, 5, 1
	s_mov_b32 s14, 0x80fffff
	v_add3_u32 v1, v5, v1, s14
	v_lshrrev_b32_e32 v1, 21, v1
                                        ; implicit-def: $vgpr5
; %bb.1042:
	s_andn2_saveexec_b64 s[12:13], s[12:13]
; %bb.1043:
	s_mov_b32 s14, 0x43000000
	v_add_f32_e64 v1, |v5|, s14
; %bb.1044:
	s_or_b64 exec, exec, s[12:13]
                                        ; implicit-def: $vgpr6
.LBB345_1045:
	s_andn2_saveexec_b64 s[10:11], s[10:11]
; %bb.1046:
	s_mov_b32 s12, 0x7f800000
	v_mov_b32_e32 v1, 0x7c
	v_mov_b32_e32 v5, 0x7f
	v_cmp_lt_u32_e32 vcc, s12, v6
	s_nop 1
	v_cndmask_b32_e32 v1, v1, v5, vcc
; %bb.1047:
	s_or_b64 exec, exec, s[10:11]
	v_lshrrev_b32_e32 v0, 8, v0
	s_movk_i32 s10, 0x80
	v_and_or_b32 v0, v0, s10, v1
	global_store_byte v[2:3], v0, off
.LBB345_1048:
	s_mov_b64 s[10:11], 0
.LBB345_1049:
	s_andn2_b64 vcc, exec, s[10:11]
	s_mov_b64 s[10:11], 0
	s_cbranch_vccnz .LBB345_1057
; %bb.1050:
	s_cmp_gt_i32 s17, 14
	s_mov_b64 s[12:13], -1
	s_cbranch_scc0 .LBB345_1054
; %bb.1051:
	s_cmp_eq_u32 s17, 15
	s_mov_b64 s[2:3], -1
	s_cbranch_scc0 .LBB345_1053
; %bb.1052:
	global_store_short v[2:3], v4, off
	s_mov_b64 s[2:3], 0
.LBB345_1053:
	s_mov_b64 s[12:13], 0
.LBB345_1054:
	s_and_b64 vcc, exec, s[12:13]
	s_cbranch_vccz .LBB345_1057
; %bb.1055:
	s_cmp_lg_u32 s17, 11
	s_cselect_b64 s[12:13], -1, 0
	s_andn2_b64 s[2:3], s[2:3], exec
	s_and_b64 s[12:13], s[12:13], exec
	s_mov_b64 s[10:11], -1
	s_or_b64 s[2:3], s[2:3], s[12:13]
	s_branch .LBB345_1057
.LBB345_1056:
	s_mov_b64 s[10:11], 0
.LBB345_1057:
	s_andn2_b64 s[12:13], s[56:57], exec
	s_and_b64 s[2:3], s[2:3], exec
	s_and_b64 s[8:9], s[8:9], exec
	;; [unrolled: 1-line block ×3, first 2 shown]
	s_or_b64 s[56:57], s[12:13], s[2:3]
	s_or_b64 exec, exec, s[6:7]
	s_and_saveexec_b64 s[2:3], s[56:57]
	s_cbranch_execz .LBB345_996
.LBB345_1058:
	s_or_b64 s[4:5], s[4:5], exec
	s_andn2_b64 s[10:11], s[10:11], exec
	s_trap 2
	s_or_b64 exec, exec, s[2:3]
	s_and_saveexec_b64 s[2:3], s[10:11]
	s_xor_b64 s[2:3], exec, s[2:3]
	s_cbranch_execnz .LBB345_997
.LBB345_1059:
	s_or_b64 exec, exec, s[2:3]
	s_and_saveexec_b64 s[2:3], s[8:9]
	s_xor_b64 s[2:3], exec, s[2:3]
	s_cbranch_execz .LBB345_1097
.LBB345_1060:
	s_sext_i32_i16 s8, s16
	s_cmp_lt_i32 s8, 5
	s_mov_b64 s[6:7], -1
	s_cbranch_scc1 .LBB345_1081
; %bb.1061:
	s_cmp_lt_i32 s8, 8
	s_cbranch_scc1 .LBB345_1071
; %bb.1062:
	s_cmp_lt_i32 s8, 9
	s_cbranch_scc1 .LBB345_1068
; %bb.1063:
	s_cmp_gt_i32 s8, 9
	s_cbranch_scc0 .LBB345_1065
; %bb.1064:
	s_waitcnt vmcnt(0)
	v_lshlrev_b32_e32 v0, 16, v4
	v_mov_b32_e32 v8, 0
	v_cvt_f64_f32_e32 v[6:7], v0
	v_mov_b32_e32 v9, v8
	s_mov_b64 s[6:7], 0
	global_store_dwordx4 v[2:3], v[6:9], off
.LBB345_1065:
	s_andn2_b64 vcc, exec, s[6:7]
	s_cbranch_vccnz .LBB345_1067
; %bb.1066:
	s_waitcnt vmcnt(0)
	v_lshlrev_b32_e32 v0, 16, v4
	v_mov_b32_e32 v1, 0
	global_store_dwordx2 v[2:3], v[0:1], off
.LBB345_1067:
	s_mov_b64 s[6:7], 0
.LBB345_1068:
	s_andn2_b64 vcc, exec, s[6:7]
	s_cbranch_vccnz .LBB345_1070
; %bb.1069:
	s_waitcnt vmcnt(0)
	v_lshlrev_b32_e32 v0, 16, v4
	v_cvt_f16_f32_e32 v0, v0
	global_store_dword v[2:3], v0, off
.LBB345_1070:
	s_mov_b64 s[6:7], 0
.LBB345_1071:
	s_andn2_b64 vcc, exec, s[6:7]
	s_cbranch_vccnz .LBB345_1080
; %bb.1072:
	s_sext_i32_i16 s8, s16
	s_cmp_lt_i32 s8, 6
	s_mov_b64 s[6:7], -1
	s_cbranch_scc1 .LBB345_1078
; %bb.1073:
	s_cmp_gt_i32 s8, 6
	s_cbranch_scc0 .LBB345_1075
; %bb.1074:
	s_waitcnt vmcnt(0)
	v_lshlrev_b32_e32 v0, 16, v4
	v_cvt_f64_f32_e32 v[0:1], v0
	s_mov_b64 s[6:7], 0
	global_store_dwordx2 v[2:3], v[0:1], off
.LBB345_1075:
	s_andn2_b64 vcc, exec, s[6:7]
	s_cbranch_vccnz .LBB345_1077
; %bb.1076:
	s_waitcnt vmcnt(0)
	v_lshlrev_b32_e32 v0, 16, v4
	global_store_dword v[2:3], v0, off
.LBB345_1077:
	s_mov_b64 s[6:7], 0
.LBB345_1078:
	s_andn2_b64 vcc, exec, s[6:7]
	s_cbranch_vccnz .LBB345_1080
; %bb.1079:
	s_waitcnt vmcnt(0)
	v_lshlrev_b32_e32 v0, 16, v4
	v_cvt_f16_f32_e32 v0, v0
	global_store_short v[2:3], v0, off
.LBB345_1080:
	s_mov_b64 s[6:7], 0
.LBB345_1081:
	s_andn2_b64 vcc, exec, s[6:7]
	s_cbranch_vccnz .LBB345_1097
; %bb.1082:
	s_sext_i32_i16 s8, s16
	s_cmp_lt_i32 s8, 2
	s_mov_b64 s[6:7], -1
	s_cbranch_scc1 .LBB345_1092
; %bb.1083:
	s_cmp_lt_i32 s8, 3
	s_cbranch_scc1 .LBB345_1089
; %bb.1084:
	s_cmp_gt_i32 s8, 3
	s_cbranch_scc0 .LBB345_1086
; %bb.1085:
	s_waitcnt vmcnt(0)
	v_lshlrev_b32_e32 v0, 16, v4
	v_trunc_f32_e32 v0, v0
	s_mov_b32 s6, 0x2f800000
	v_mul_f32_e64 v1, |v0|, s6
	v_floor_f32_e32 v1, v1
	s_mov_b32 s6, 0xcf800000
	v_cvt_u32_f32_e32 v5, v1
	v_fma_f32 v1, v1, s6, |v0|
	v_cvt_u32_f32_e32 v1, v1
	v_ashrrev_i32_e32 v6, 31, v0
	v_xor_b32_e32 v5, v5, v6
	s_mov_b64 s[6:7], 0
	v_xor_b32_e32 v0, v1, v6
	v_sub_co_u32_e32 v0, vcc, v0, v6
	s_nop 1
	v_subb_co_u32_e32 v1, vcc, v5, v6, vcc
	global_store_dwordx2 v[2:3], v[0:1], off
.LBB345_1086:
	s_andn2_b64 vcc, exec, s[6:7]
	s_cbranch_vccnz .LBB345_1088
; %bb.1087:
	s_waitcnt vmcnt(0)
	v_lshlrev_b32_e32 v0, 16, v4
	v_cvt_i32_f32_e32 v0, v0
	global_store_dword v[2:3], v0, off
.LBB345_1088:
	s_mov_b64 s[6:7], 0
.LBB345_1089:
	s_andn2_b64 vcc, exec, s[6:7]
	s_cbranch_vccnz .LBB345_1091
; %bb.1090:
	s_waitcnt vmcnt(0)
	v_lshlrev_b32_e32 v0, 16, v4
	v_cvt_i32_f32_e32 v0, v0
	global_store_short v[2:3], v0, off
.LBB345_1091:
	s_mov_b64 s[6:7], 0
.LBB345_1092:
	s_andn2_b64 vcc, exec, s[6:7]
	s_cbranch_vccnz .LBB345_1097
; %bb.1093:
	s_sext_i32_i16 s6, s16
	s_cmp_gt_i32 s6, 0
	s_mov_b64 s[6:7], -1
	s_cbranch_scc0 .LBB345_1095
; %bb.1094:
	s_waitcnt vmcnt(0)
	v_lshlrev_b32_e32 v0, 16, v4
	v_cvt_i32_f32_e32 v0, v0
	s_mov_b64 s[6:7], 0
	global_store_byte v[2:3], v0, off
.LBB345_1095:
	s_andn2_b64 vcc, exec, s[6:7]
	s_cbranch_vccnz .LBB345_1097
; %bb.1096:
	s_waitcnt vmcnt(0)
	v_lshlrev_b32_e32 v0, 16, v4
	v_trunc_f32_e32 v0, v0
	s_mov_b32 s6, 0x2f800000
	v_mul_f32_e64 v1, |v0|, s6
	v_floor_f32_e32 v1, v1
	s_mov_b32 s6, 0xcf800000
	v_fma_f32 v1, v1, s6, |v0|
	v_cvt_u32_f32_e32 v1, v1
	v_ashrrev_i32_e32 v0, 31, v0
	v_xor_b32_e32 v1, v1, v0
	v_sub_u32_e32 v0, v1, v0
	global_store_byte v[2:3], v0, off
.LBB345_1097:
	s_or_b64 exec, exec, s[2:3]
	s_and_b64 s[24:25], s[4:5], exec
                                        ; implicit-def: $vgpr16
                                        ; implicit-def: $vgpr8
.LBB345_1098:
	s_or_saveexec_b64 s[26:27], s[44:45]
	s_mov_b64 s[6:7], 0
                                        ; implicit-def: $vgpr0_vgpr1
                                        ; implicit-def: $sgpr14
                                        ; implicit-def: $vgpr10
	s_xor_b64 exec, exec, s[26:27]
	s_cbranch_execz .LBB345_1755
; %bb.1099:
	v_cndmask_b32_e64 v0, 0, 1, s[42:43]
	v_cmp_ne_u32_e64 s[2:3], 1, v0
	s_andn2_b64 vcc, exec, s[42:43]
	s_cbranch_vccnz .LBB345_1105
; %bb.1100:
	s_cmp_lg_u32 s33, 0
	s_mov_b32 s36, 0
	s_cbranch_scc0 .LBB345_1106
; %bb.1101:
	s_min_u32 s37, s74, 15
	s_add_i32 s37, s37, 1
	s_cmp_eq_u32 s74, 2
	s_cbranch_scc1 .LBB345_1107
; %bb.1102:
	s_and_b32 s36, s37, 28
	s_add_u32 s28, s34, 0xc4
	s_addc_u32 s29, s35, 0
	s_mov_b32 s38, 0
	v_mov_b32_e32 v6, 0
	v_mov_b32_e32 v14, 0
	s_mov_b64 s[30:31], s[34:35]
	v_mov_b32_e32 v0, v8
.LBB345_1103:                           ; =>This Inner Loop Header: Depth=1
	s_load_dwordx8 s[12:19], s[30:31], 0x4
	s_load_dwordx4 s[20:23], s[30:31], 0x24
	s_load_dwordx8 s[4:11], s[28:29], 0x0
	s_add_u32 s30, s30, 48
	s_addc_u32 s31, s31, 0
	s_waitcnt lgkmcnt(0)
	v_mul_hi_u32 v1, s13, v0
	v_add_u32_e32 v1, v0, v1
	v_lshrrev_b32_e32 v1, s14, v1
	v_mul_lo_u32 v2, v1, s12
	v_mul_hi_u32 v3, s16, v1
	v_sub_u32_e32 v0, v0, v2
	v_add_u32_e32 v2, v1, v3
	v_lshrrev_b32_e32 v2, s17, v2
	s_waitcnt vmcnt(0)
	v_mul_lo_u32 v4, v2, s15
	v_mul_hi_u32 v5, s19, v2
	v_sub_u32_e32 v1, v1, v4
	v_add_u32_e32 v4, v2, v5
	v_mul_lo_u32 v3, v0, s5
	v_mul_lo_u32 v0, v0, s4
	;; [unrolled: 1-line block ×4, first 2 shown]
	v_lshrrev_b32_e32 v4, s20, v4
	v_add3_u32 v1, v0, v6, v1
	v_add3_u32 v3, v3, v14, v5
	v_mul_lo_u32 v0, v4, s18
	v_mul_hi_u32 v5, s22, v4
	v_sub_u32_e32 v0, v2, v0
	v_add_u32_e32 v2, v4, v5
	v_mul_lo_u32 v5, v0, s8
	v_mul_lo_u32 v6, v0, s9
	v_lshrrev_b32_e32 v0, s23, v2
	s_add_i32 s38, s38, 4
	v_mul_lo_u32 v2, v0, s21
	s_add_u32 s28, s28, 32
	v_sub_u32_e32 v2, v4, v2
	s_addc_u32 s29, s29, 0
	v_mul_lo_u32 v4, v2, s10
	v_mul_lo_u32 v2, v2, s11
	s_cmp_lg_u32 s36, s38
	v_add3_u32 v14, v6, v3, v2
	v_add3_u32 v6, v5, v1, v4
	s_cbranch_scc1 .LBB345_1103
; %bb.1104:
	v_mov_b32_e32 v1, v14
	s_and_b32 s8, s37, 3
	s_cmp_eq_u32 s8, 0
	s_cbranch_scc0 .LBB345_1108
	s_branch .LBB345_1110
.LBB345_1105:
                                        ; implicit-def: $vgpr14
                                        ; implicit-def: $vgpr6
	s_branch .LBB345_1111
.LBB345_1106:
	v_mov_b32_e32 v14, 0
	v_mov_b32_e32 v6, 0
	s_branch .LBB345_1110
.LBB345_1107:
	v_mov_b32_e32 v6, 0
                                        ; implicit-def: $vgpr14
	v_mov_b32_e32 v1, v6
	v_mov_b32_e32 v0, v8
	s_and_b32 s8, s37, 3
	s_cmp_eq_u32 s8, 0
	s_cbranch_scc1 .LBB345_1110
.LBB345_1108:
	s_lshl_b32 s4, s36, 3
	s_add_u32 s4, s34, s4
	s_addc_u32 s5, s35, 0
	s_add_u32 s4, s4, 0xc4
	s_addc_u32 s5, s5, 0
	s_mul_i32 s6, s36, 12
	s_add_u32 s6, s34, s6
	s_addc_u32 s7, s35, 0
.LBB345_1109:                           ; =>This Inner Loop Header: Depth=1
	s_load_dwordx2 s[10:11], s[6:7], 0x4
	s_load_dword s9, s[6:7], 0xc
	s_load_dwordx2 s[12:13], s[4:5], 0x0
	v_mov_b32_e32 v2, v1
	s_add_u32 s6, s6, 12
	s_waitcnt lgkmcnt(0)
	v_mul_hi_u32 v1, s11, v0
	v_add_u32_e32 v1, v0, v1
	v_lshrrev_b32_e32 v1, s9, v1
	s_addc_u32 s7, s7, 0
	v_mul_lo_u32 v3, v1, s10
	s_add_u32 s4, s4, 8
	v_sub_u32_e32 v3, v0, v3
	s_addc_u32 s5, s5, 0
	s_add_i32 s8, s8, -1
	v_mad_u64_u32 v[14:15], s[10:11], v3, s13, v[2:3]
	s_cmp_lg_u32 s8, 0
	v_mov_b32_e32 v0, v1
	v_mad_u64_u32 v[6:7], s[10:11], v3, s12, v[6:7]
	v_mov_b32_e32 v1, v14
	s_cbranch_scc1 .LBB345_1109
.LBB345_1110:
	s_cbranch_execnz .LBB345_1113
.LBB345_1111:
	s_load_dwordx4 s[4:7], s[34:35], 0x4
	s_load_dwordx2 s[8:9], s[34:35], 0xc4
	s_cmp_lt_u32 s33, 2
	s_waitcnt lgkmcnt(0)
	v_mul_hi_u32 v0, s5, v8
	v_add_u32_e32 v0, v8, v0
	v_lshrrev_b32_e32 v0, s6, v0
	v_mul_lo_u32 v1, v0, s4
	v_sub_u32_e32 v1, v8, v1
	v_mul_lo_u32 v14, v1, s9
	v_mul_lo_u32 v6, v1, s8
	s_cbranch_scc1 .LBB345_1113
; %bb.1112:
	s_load_dwordx4 s[4:7], s[34:35], 0x10
	s_load_dwordx2 s[8:9], s[34:35], 0xcc
	s_waitcnt lgkmcnt(0)
	v_mul_hi_u32 v1, s5, v0
	v_add_u32_e32 v1, v0, v1
	v_lshrrev_b32_e32 v1, s6, v1
	v_mul_lo_u32 v1, v1, s4
	v_sub_u32_e32 v0, v0, v1
	v_mad_u64_u32 v[6:7], s[4:5], v0, s8, v[6:7]
	v_mad_u64_u32 v[14:15], s[4:5], v0, s9, v[14:15]
.LBB345_1113:
	s_and_b64 vcc, exec, s[2:3]
	v_add_u32_e32 v0, 0x80, v8
	s_cbranch_vccnz .LBB345_1119
; %bb.1114:
	s_cmp_lg_u32 s33, 0
	s_mov_b32 s36, 0
	s_cbranch_scc0 .LBB345_1120
; %bb.1115:
	s_min_u32 s37, s74, 15
	s_add_i32 s37, s37, 1
	s_cmp_eq_u32 s74, 2
	s_cbranch_scc1 .LBB345_1121
; %bb.1116:
	s_and_b32 s36, s37, 28
	s_add_u32 s28, s34, 0xc4
	s_addc_u32 s29, s35, 0
	s_mov_b32 s38, 0
	s_waitcnt vmcnt(0)
	v_mov_b32_e32 v4, 0
	v_mov_b32_e32 v12, 0
	s_mov_b64 s[30:31], s[34:35]
	v_mov_b32_e32 v2, v0
.LBB345_1117:                           ; =>This Inner Loop Header: Depth=1
	s_load_dwordx8 s[12:19], s[30:31], 0x4
	s_load_dwordx4 s[20:23], s[30:31], 0x24
	s_load_dwordx8 s[4:11], s[28:29], 0x0
	s_add_u32 s30, s30, 48
	s_addc_u32 s31, s31, 0
	s_waitcnt lgkmcnt(0)
	v_mul_hi_u32 v1, s13, v2
	v_add_u32_e32 v1, v2, v1
	v_lshrrev_b32_e32 v1, s14, v1
	v_mul_lo_u32 v3, v1, s12
	v_mul_hi_u32 v5, s16, v1
	v_sub_u32_e32 v2, v2, v3
	v_add_u32_e32 v3, v1, v5
	v_lshrrev_b32_e32 v3, s17, v3
	v_mul_lo_u32 v7, v3, s15
	v_mul_hi_u32 v9, s19, v3
	v_sub_u32_e32 v1, v1, v7
	v_add_u32_e32 v7, v3, v9
	v_mul_lo_u32 v5, v2, s5
	v_mul_lo_u32 v2, v2, s4
	;; [unrolled: 1-line block ×4, first 2 shown]
	v_lshrrev_b32_e32 v7, s20, v7
	v_add3_u32 v1, v2, v4, v1
	v_add3_u32 v4, v5, v12, v9
	v_mul_lo_u32 v2, v7, s18
	v_mul_hi_u32 v5, s22, v7
	v_sub_u32_e32 v2, v3, v2
	v_add_u32_e32 v3, v7, v5
	v_mul_lo_u32 v5, v2, s8
	v_mul_lo_u32 v9, v2, s9
	v_lshrrev_b32_e32 v2, s23, v3
	s_add_i32 s38, s38, 4
	v_mul_lo_u32 v3, v2, s21
	s_add_u32 s28, s28, 32
	v_sub_u32_e32 v3, v7, v3
	s_addc_u32 s29, s29, 0
	v_mul_lo_u32 v7, v3, s10
	v_mul_lo_u32 v3, v3, s11
	s_cmp_lg_u32 s36, s38
	v_add3_u32 v12, v9, v4, v3
	v_add3_u32 v4, v5, v1, v7
	s_cbranch_scc1 .LBB345_1117
; %bb.1118:
	v_mov_b32_e32 v1, v12
	s_and_b32 s8, s37, 3
	s_cmp_eq_u32 s8, 0
	s_cbranch_scc0 .LBB345_1122
	s_branch .LBB345_1124
.LBB345_1119:
                                        ; implicit-def: $vgpr12
                                        ; implicit-def: $vgpr4
	s_branch .LBB345_1125
.LBB345_1120:
	v_mov_b32_e32 v12, 0
	s_waitcnt vmcnt(0)
	v_mov_b32_e32 v4, 0
	s_branch .LBB345_1124
.LBB345_1121:
	s_waitcnt vmcnt(0)
	v_mov_b32_e32 v4, 0
                                        ; implicit-def: $vgpr12
	v_mov_b32_e32 v1, v4
	v_mov_b32_e32 v2, v0
	s_and_b32 s8, s37, 3
	s_cmp_eq_u32 s8, 0
	s_cbranch_scc1 .LBB345_1124
.LBB345_1122:
	s_lshl_b32 s4, s36, 3
	s_add_u32 s4, s34, s4
	s_addc_u32 s5, s35, 0
	s_add_u32 s4, s4, 0xc4
	s_addc_u32 s5, s5, 0
	s_mul_i32 s6, s36, 12
	s_add_u32 s6, s34, s6
	s_addc_u32 s7, s35, 0
.LBB345_1123:                           ; =>This Inner Loop Header: Depth=1
	s_load_dwordx2 s[10:11], s[6:7], 0x4
	s_load_dword s9, s[6:7], 0xc
	s_load_dwordx2 s[12:13], s[4:5], 0x0
	v_mov_b32_e32 v10, v1
	s_add_u32 s6, s6, 12
	s_waitcnt lgkmcnt(0)
	v_mul_hi_u32 v1, s11, v2
	v_add_u32_e32 v1, v2, v1
	v_lshrrev_b32_e32 v1, s9, v1
	s_addc_u32 s7, s7, 0
	v_mul_lo_u32 v3, v1, s10
	s_add_u32 s4, s4, 8
	v_sub_u32_e32 v3, v2, v3
	s_addc_u32 s5, s5, 0
	s_add_i32 s8, s8, -1
	v_mad_u64_u32 v[12:13], s[10:11], v3, s13, v[10:11]
	s_cmp_lg_u32 s8, 0
	v_mov_b32_e32 v2, v1
	v_mad_u64_u32 v[4:5], s[10:11], v3, s12, v[4:5]
	v_mov_b32_e32 v1, v12
	s_cbranch_scc1 .LBB345_1123
.LBB345_1124:
	s_cbranch_execnz .LBB345_1127
.LBB345_1125:
	s_load_dwordx4 s[4:7], s[34:35], 0x4
	s_load_dwordx2 s[8:9], s[34:35], 0xc4
	s_cmp_lt_u32 s33, 2
	s_waitcnt lgkmcnt(0)
	v_mul_hi_u32 v1, s5, v0
	v_add_u32_e32 v1, v0, v1
	v_lshrrev_b32_e32 v1, s6, v1
	v_mul_lo_u32 v2, v1, s4
	v_sub_u32_e32 v0, v0, v2
	v_mul_lo_u32 v12, v0, s9
	s_waitcnt vmcnt(0)
	v_mul_lo_u32 v4, v0, s8
	s_cbranch_scc1 .LBB345_1127
; %bb.1126:
	s_load_dwordx4 s[4:7], s[34:35], 0x10
	s_load_dwordx2 s[8:9], s[34:35], 0xcc
	s_waitcnt lgkmcnt(0)
	v_mul_hi_u32 v0, s5, v1
	v_add_u32_e32 v0, v1, v0
	v_lshrrev_b32_e32 v0, s6, v0
	v_mul_lo_u32 v0, v0, s4
	v_sub_u32_e32 v0, v1, v0
	v_mad_u64_u32 v[4:5], s[4:5], v0, s8, v[4:5]
	v_mad_u64_u32 v[12:13], s[4:5], v0, s9, v[12:13]
.LBB345_1127:
	s_and_b64 vcc, exec, s[2:3]
	v_add_u32_e32 v0, 0x100, v8
	s_cbranch_vccnz .LBB345_1133
; %bb.1128:
	s_cmp_lg_u32 s33, 0
	s_mov_b32 s36, 0
	s_cbranch_scc0 .LBB345_1134
; %bb.1129:
	s_min_u32 s37, s74, 15
	s_add_i32 s37, s37, 1
	s_cmp_eq_u32 s74, 2
	s_cbranch_scc1 .LBB345_1135
; %bb.1130:
	s_and_b32 s36, s37, 28
	s_add_u32 s28, s34, 0xc4
	s_addc_u32 s29, s35, 0
	s_mov_b32 s38, 0
	v_mov_b32_e32 v2, 0
	v_mov_b32_e32 v10, 0
	s_mov_b64 s[30:31], s[34:35]
	v_mov_b32_e32 v5, v0
.LBB345_1131:                           ; =>This Inner Loop Header: Depth=1
	s_load_dwordx8 s[12:19], s[30:31], 0x4
	s_load_dwordx4 s[20:23], s[30:31], 0x24
	s_load_dwordx8 s[4:11], s[28:29], 0x0
	s_add_u32 s30, s30, 48
	s_addc_u32 s31, s31, 0
	s_waitcnt lgkmcnt(0)
	v_mul_hi_u32 v1, s13, v5
	v_add_u32_e32 v1, v5, v1
	v_lshrrev_b32_e32 v1, s14, v1
	v_mul_lo_u32 v3, v1, s12
	v_mul_hi_u32 v7, s16, v1
	v_sub_u32_e32 v3, v5, v3
	v_add_u32_e32 v5, v1, v7
	v_lshrrev_b32_e32 v5, s17, v5
	v_mul_lo_u32 v8, v5, s15
	v_mul_hi_u32 v9, s19, v5
	v_sub_u32_e32 v1, v1, v8
	v_add_u32_e32 v8, v5, v9
	v_mul_lo_u32 v7, v3, s5
	v_mul_lo_u32 v3, v3, s4
	;; [unrolled: 1-line block ×4, first 2 shown]
	v_lshrrev_b32_e32 v8, s20, v8
	v_add3_u32 v1, v3, v2, v1
	v_add3_u32 v2, v7, v10, v9
	v_mul_lo_u32 v3, v8, s18
	v_mul_hi_u32 v7, s22, v8
	v_sub_u32_e32 v3, v5, v3
	v_add_u32_e32 v5, v8, v7
	v_lshrrev_b32_e32 v5, s23, v5
	s_add_i32 s38, s38, 4
	v_mul_lo_u32 v9, v5, s21
	s_add_u32 s28, s28, 32
	v_sub_u32_e32 v8, v8, v9
	s_addc_u32 s29, s29, 0
	v_mul_lo_u32 v7, v3, s8
	v_mul_lo_u32 v3, v3, s9
	;; [unrolled: 1-line block ×4, first 2 shown]
	s_cmp_lg_u32 s36, s38
	v_add3_u32 v10, v3, v2, v8
	v_add3_u32 v2, v7, v1, v9
	s_cbranch_scc1 .LBB345_1131
; %bb.1132:
	v_mov_b32_e32 v1, v10
	s_and_b32 s8, s37, 3
	s_cmp_eq_u32 s8, 0
	s_cbranch_scc0 .LBB345_1136
	s_branch .LBB345_1138
.LBB345_1133:
                                        ; implicit-def: $vgpr10
                                        ; implicit-def: $vgpr2
	s_branch .LBB345_1139
.LBB345_1134:
	v_mov_b32_e32 v10, 0
	v_mov_b32_e32 v2, 0
	s_branch .LBB345_1138
.LBB345_1135:
	v_mov_b32_e32 v2, 0
                                        ; implicit-def: $vgpr10
	v_mov_b32_e32 v1, v2
	v_mov_b32_e32 v5, v0
	s_and_b32 s8, s37, 3
	s_cmp_eq_u32 s8, 0
	s_cbranch_scc1 .LBB345_1138
.LBB345_1136:
	s_lshl_b32 s4, s36, 3
	s_add_u32 s4, s34, s4
	s_addc_u32 s5, s35, 0
	s_add_u32 s4, s4, 0xc4
	s_addc_u32 s5, s5, 0
	s_mul_i32 s6, s36, 12
	s_add_u32 s6, s34, s6
	s_addc_u32 s7, s35, 0
.LBB345_1137:                           ; =>This Inner Loop Header: Depth=1
	s_load_dwordx2 s[10:11], s[6:7], 0x4
	s_load_dword s9, s[6:7], 0xc
	s_load_dwordx2 s[12:13], s[4:5], 0x0
	v_mov_b32_e32 v8, v1
	s_add_u32 s6, s6, 12
	s_waitcnt lgkmcnt(0)
	v_mul_hi_u32 v1, s11, v5
	v_add_u32_e32 v1, v5, v1
	v_lshrrev_b32_e32 v1, s9, v1
	s_addc_u32 s7, s7, 0
	v_mul_lo_u32 v3, v1, s10
	s_add_u32 s4, s4, 8
	v_sub_u32_e32 v3, v5, v3
	s_addc_u32 s5, s5, 0
	s_add_i32 s8, s8, -1
	v_mad_u64_u32 v[10:11], s[10:11], v3, s13, v[8:9]
	s_cmp_lg_u32 s8, 0
	v_mov_b32_e32 v5, v1
	v_mad_u64_u32 v[2:3], s[10:11], v3, s12, v[2:3]
	v_mov_b32_e32 v1, v10
	s_cbranch_scc1 .LBB345_1137
.LBB345_1138:
	s_cbranch_execnz .LBB345_1141
.LBB345_1139:
	s_load_dwordx4 s[4:7], s[34:35], 0x4
	s_load_dwordx2 s[8:9], s[34:35], 0xc4
	s_cmp_lt_u32 s33, 2
	s_waitcnt lgkmcnt(0)
	v_mul_hi_u32 v1, s5, v0
	v_add_u32_e32 v1, v0, v1
	v_lshrrev_b32_e32 v1, s6, v1
	v_mul_lo_u32 v2, v1, s4
	v_sub_u32_e32 v0, v0, v2
	v_mul_lo_u32 v10, v0, s9
	v_mul_lo_u32 v2, v0, s8
	s_cbranch_scc1 .LBB345_1141
; %bb.1140:
	s_load_dwordx4 s[4:7], s[34:35], 0x10
	s_load_dwordx2 s[8:9], s[34:35], 0xcc
	s_waitcnt lgkmcnt(0)
	v_mul_hi_u32 v0, s5, v1
	v_add_u32_e32 v0, v1, v0
	v_lshrrev_b32_e32 v0, s6, v0
	v_mul_lo_u32 v0, v0, s4
	v_sub_u32_e32 v0, v1, v0
	v_mad_u64_u32 v[2:3], s[4:5], v0, s8, v[2:3]
	v_mad_u64_u32 v[10:11], s[4:5], v0, s9, v[10:11]
.LBB345_1141:
	s_and_b64 vcc, exec, s[2:3]
	s_cbranch_vccnz .LBB345_1147
; %bb.1142:
	s_cmp_lg_u32 s33, 0
	s_mov_b32 s30, 0
	s_cbranch_scc0 .LBB345_1148
; %bb.1143:
	s_min_u32 s31, s74, 15
	s_add_i32 s31, s31, 1
	s_cmp_eq_u32 s74, 2
	s_cbranch_scc1 .LBB345_1149
; %bb.1144:
	s_and_b32 s30, s31, 28
	s_add_u32 s2, s34, 0xc4
	s_addc_u32 s3, s35, 0
	s_mov_b32 s36, 0
	v_mov_b32_e32 v0, 0
	v_mov_b32_e32 v8, 0
	s_mov_b64 s[28:29], s[34:35]
	v_mov_b32_e32 v3, v16
.LBB345_1145:                           ; =>This Inner Loop Header: Depth=1
	s_load_dwordx8 s[12:19], s[28:29], 0x4
	s_load_dwordx4 s[20:23], s[28:29], 0x24
	s_load_dwordx8 s[4:11], s[2:3], 0x0
	s_add_u32 s28, s28, 48
	s_addc_u32 s29, s29, 0
	s_waitcnt lgkmcnt(0)
	v_mul_hi_u32 v1, s13, v3
	v_add_u32_e32 v1, v3, v1
	v_lshrrev_b32_e32 v1, s14, v1
	v_mul_lo_u32 v5, v1, s12
	v_mul_hi_u32 v7, s16, v1
	v_sub_u32_e32 v3, v3, v5
	v_add_u32_e32 v5, v1, v7
	v_lshrrev_b32_e32 v5, s17, v5
	v_mul_lo_u32 v9, v5, s15
	v_mul_hi_u32 v11, s19, v5
	v_sub_u32_e32 v1, v1, v9
	v_add_u32_e32 v9, v5, v11
	v_mul_lo_u32 v7, v3, s5
	v_mul_lo_u32 v3, v3, s4
	;; [unrolled: 1-line block ×4, first 2 shown]
	v_lshrrev_b32_e32 v9, s20, v9
	v_add3_u32 v0, v3, v0, v1
	v_add3_u32 v1, v7, v8, v11
	v_mul_lo_u32 v3, v9, s18
	v_mul_hi_u32 v7, s22, v9
	v_sub_u32_e32 v3, v5, v3
	v_add_u32_e32 v5, v9, v7
	v_mul_lo_u32 v7, v3, s8
	v_mul_lo_u32 v8, v3, s9
	v_lshrrev_b32_e32 v3, s23, v5
	s_add_i32 s36, s36, 4
	v_mul_lo_u32 v5, v3, s21
	s_add_u32 s2, s2, 32
	v_sub_u32_e32 v5, v9, v5
	s_addc_u32 s3, s3, 0
	v_mul_lo_u32 v9, v5, s10
	v_mul_lo_u32 v5, v5, s11
	s_cmp_lg_u32 s30, s36
	v_add3_u32 v8, v8, v1, v5
	v_add3_u32 v0, v7, v0, v9
	s_cbranch_scc1 .LBB345_1145
; %bb.1146:
	v_mov_b32_e32 v1, v8
	s_and_b32 s6, s31, 3
	s_cmp_eq_u32 s6, 0
	s_cbranch_scc0 .LBB345_1150
	s_branch .LBB345_1152
.LBB345_1147:
                                        ; implicit-def: $vgpr8
                                        ; implicit-def: $vgpr0
	s_branch .LBB345_1153
.LBB345_1148:
	v_mov_b32_e32 v8, 0
	v_mov_b32_e32 v0, 0
	s_branch .LBB345_1152
.LBB345_1149:
	v_mov_b32_e32 v0, 0
                                        ; implicit-def: $vgpr8
	v_mov_b32_e32 v1, v0
	v_mov_b32_e32 v3, v16
	s_and_b32 s6, s31, 3
	s_cmp_eq_u32 s6, 0
	s_cbranch_scc1 .LBB345_1152
.LBB345_1150:
	s_lshl_b32 s2, s30, 3
	s_add_u32 s2, s34, s2
	s_addc_u32 s3, s35, 0
	s_add_u32 s2, s2, 0xc4
	s_addc_u32 s3, s3, 0
	s_mul_i32 s4, s30, 12
	s_add_u32 s4, s34, s4
	s_addc_u32 s5, s35, 0
.LBB345_1151:                           ; =>This Inner Loop Header: Depth=1
	s_load_dwordx2 s[8:9], s[4:5], 0x4
	s_load_dword s7, s[4:5], 0xc
	s_load_dwordx2 s[10:11], s[2:3], 0x0
	v_mov_b32_e32 v8, v1
	s_add_u32 s4, s4, 12
	s_waitcnt lgkmcnt(0)
	v_mul_hi_u32 v1, s9, v3
	v_add_u32_e32 v1, v3, v1
	v_lshrrev_b32_e32 v1, s7, v1
	s_addc_u32 s5, s5, 0
	v_mul_lo_u32 v5, v1, s8
	s_add_u32 s2, s2, 8
	v_sub_u32_e32 v5, v3, v5
	s_addc_u32 s3, s3, 0
	s_add_i32 s6, s6, -1
	v_mov_b32_e32 v3, v1
	v_mad_u64_u32 v[8:9], s[8:9], v5, s11, v[8:9]
	v_mad_u64_u32 v[0:1], s[8:9], v5, s10, v[0:1]
	s_cmp_lg_u32 s6, 0
	v_mov_b32_e32 v1, v8
	s_cbranch_scc1 .LBB345_1151
.LBB345_1152:
	s_cbranch_execnz .LBB345_1155
.LBB345_1153:
	s_load_dwordx4 s[4:7], s[34:35], 0x4
	s_load_dwordx2 s[2:3], s[34:35], 0xc4
	s_cmp_lt_u32 s33, 2
	s_waitcnt lgkmcnt(0)
	v_mul_hi_u32 v0, s5, v16
	v_add_u32_e32 v0, v16, v0
	v_lshrrev_b32_e32 v1, s6, v0
	v_mul_lo_u32 v0, v1, s4
	v_sub_u32_e32 v0, v16, v0
	v_mul_lo_u32 v8, v0, s3
	v_mul_lo_u32 v0, v0, s2
	s_cbranch_scc1 .LBB345_1155
; %bb.1154:
	s_load_dwordx4 s[4:7], s[34:35], 0x10
	s_load_dwordx2 s[2:3], s[34:35], 0xcc
	s_waitcnt lgkmcnt(0)
	v_mul_hi_u32 v3, s5, v1
	v_add_u32_e32 v3, v1, v3
	v_lshrrev_b32_e32 v3, s6, v3
	v_mul_lo_u32 v3, v3, s4
	v_sub_u32_e32 v3, v1, v3
	v_mad_u64_u32 v[0:1], s[4:5], v3, s2, v[0:1]
	v_mad_u64_u32 v[8:9], s[2:3], v3, s3, v[8:9]
.LBB345_1155:
	s_load_dword s14, s[0:1], 0x164
	s_load_dwordx4 s[4:7], s[34:35], 0x148
	v_mov_b32_e32 v15, 0
	s_waitcnt lgkmcnt(0)
	s_bfe_u32 s15, s14, 0x80008
	s_cmp_lt_i32 s15, 11
	v_lshl_add_u64 v[14:15], s[6:7], 0, v[14:15]
	s_cbranch_scc1 .LBB345_1162
; %bb.1156:
	s_and_b32 s16, 0xffff, s15
	s_cmp_gt_i32 s16, 25
	s_mov_b64 s[8:9], 0
	s_cbranch_scc0 .LBB345_1164
; %bb.1157:
	s_cmp_gt_i32 s16, 28
	s_cbranch_scc0 .LBB345_1165
; %bb.1158:
	s_cmp_gt_i32 s16, 43
	;; [unrolled: 3-line block ×3, first 2 shown]
	s_cbranch_scc0 .LBB345_1167
; %bb.1160:
	s_cmp_eq_u32 s16, 46
	s_mov_b64 s[2:3], 0
	s_cbranch_scc0 .LBB345_1170
; %bb.1161:
	global_load_dword v1, v[14:15], off
	s_mov_b64 s[0:1], 0
	s_mov_b64 s[10:11], -1
	s_branch .LBB345_1171
.LBB345_1162:
	s_mov_b64 s[10:11], 0
                                        ; implicit-def: $vgpr1
	s_mov_b64 s[2:3], s[24:25]
	s_cbranch_execnz .LBB345_1233
.LBB345_1163:
	s_andn2_b64 vcc, exec, s[10:11]
	s_cbranch_vccz .LBB345_1278
	s_branch .LBB345_1752
.LBB345_1164:
	s_mov_b64 s[10:11], 0
	s_mov_b64 s[0:1], 0
                                        ; implicit-def: $vgpr1
	s_cbranch_execnz .LBB345_1198
	s_branch .LBB345_1229
.LBB345_1165:
	s_mov_b64 s[10:11], 0
	s_mov_b64 s[0:1], 0
                                        ; implicit-def: $vgpr1
	s_cbranch_execz .LBB345_1197
	s_branch .LBB345_1180
.LBB345_1166:
	s_mov_b64 s[10:11], 0
	s_mov_b64 s[0:1], 0
                                        ; implicit-def: $vgpr1
	s_cbranch_execnz .LBB345_1176
	s_branch .LBB345_1179
.LBB345_1167:
	s_mov_b64 s[2:3], -1
	s_mov_b64 s[10:11], 0
	s_mov_b64 s[0:1], 0
                                        ; implicit-def: $vgpr1
	s_branch .LBB345_1171
.LBB345_1168:
	s_andn2_saveexec_b64 s[12:13], s[12:13]
	s_cbranch_execz .LBB345_1011
.LBB345_1169:
	s_mov_b32 s14, 0x46000000
	v_add_f32_e64 v1, |v5|, s14
	v_and_b32_e32 v1, 0xff, v1
	v_cmp_ne_u32_e32 vcc, 0, v1
	s_andn2_b64 s[10:11], s[10:11], exec
	s_and_b64 s[14:15], vcc, exec
	s_or_b64 s[10:11], s[10:11], s[14:15]
	s_or_b64 exec, exec, s[12:13]
	v_mov_b32_e32 v6, 0
	s_and_saveexec_b64 s[12:13], s[10:11]
	s_cbranch_execnz .LBB345_1012
	s_branch .LBB345_1013
.LBB345_1170:
	s_mov_b64 s[0:1], -1
                                        ; implicit-def: $vgpr1
	s_mov_b64 s[10:11], 0
.LBB345_1171:
	s_and_b64 vcc, exec, s[2:3]
	s_cbranch_vccz .LBB345_1174
; %bb.1172:
	s_cmp_eq_u32 s16, 44
	s_cbranch_scc0 .LBB345_1175
; %bb.1173:
	global_load_ubyte v1, v[14:15], off
	s_movk_i32 s2, 0xff
	v_mov_b32_e32 v3, 0x7f800001
	v_mov_b32_e32 v5, 0x400000
	;; [unrolled: 1-line block ×3, first 2 shown]
	s_mov_b64 s[0:1], 0
	s_mov_b64 s[10:11], -1
	s_waitcnt vmcnt(0)
	v_lshlrev_b32_e32 v9, 23, v1
	v_cmp_ne_u32_e32 vcc, s2, v1
	s_nop 1
	v_cndmask_b32_e32 v3, v3, v9, vcc
	v_cmp_ne_u32_e32 vcc, 0, v1
	s_nop 1
	v_cndmask_b32_e32 v1, v5, v3, vcc
	v_add_u32_e32 v3, 0x7fff, v1
	v_cmp_o_f32_e32 vcc, v1, v1
	s_nop 1
	v_cndmask_b32_sdwa v1, v7, v3, vcc dst_sel:DWORD dst_unused:UNUSED_PAD src0_sel:DWORD src1_sel:WORD_1
.LBB345_1174:
	s_branch .LBB345_1179
.LBB345_1175:
	s_mov_b64 s[0:1], -1
                                        ; implicit-def: $vgpr1
	s_branch .LBB345_1179
.LBB345_1176:
	s_cmp_eq_u32 s16, 29
	s_cbranch_scc0 .LBB345_1178
; %bb.1177:
	global_load_dwordx2 v[16:17], v[14:15], off
	s_movk_i32 s2, 0x7fff
	s_mov_b64 s[0:1], 0
	s_mov_b64 s[10:11], -1
	s_waitcnt vmcnt(0)
	v_ffbh_u32_e32 v1, v17
	v_min_u32_e32 v1, 32, v1
	v_lshlrev_b64 v[16:17], v1, v[16:17]
	v_min_u32_e32 v3, 1, v16
	v_or_b32_e32 v3, v17, v3
	v_cvt_f32_u32_e32 v3, v3
	v_sub_u32_e32 v1, 32, v1
	v_ldexp_f32 v1, v3, v1
	v_bfe_u32 v3, v1, 16, 1
	v_add3_u32 v1, v1, v3, s2
	v_lshrrev_b32_e32 v1, 16, v1
	s_branch .LBB345_1179
.LBB345_1178:
	s_mov_b64 s[0:1], -1
                                        ; implicit-def: $vgpr1
.LBB345_1179:
	s_branch .LBB345_1197
.LBB345_1180:
	s_cmp_lt_i32 s16, 27
	s_cbranch_scc1 .LBB345_1183
; %bb.1181:
	s_cmp_gt_i32 s16, 27
	s_cbranch_scc0 .LBB345_1184
; %bb.1182:
	global_load_dword v1, v[14:15], off
	s_movk_i32 s2, 0x7fff
	s_waitcnt vmcnt(0)
	v_cvt_f32_u32_e32 v1, v1
	v_bfe_u32 v3, v1, 16, 1
	v_add3_u32 v1, v1, v3, s2
	v_lshrrev_b32_e32 v1, 16, v1
	s_mov_b64 s[2:3], 0
	s_branch .LBB345_1185
.LBB345_1183:
	s_mov_b64 s[2:3], -1
                                        ; implicit-def: $vgpr1
	s_branch .LBB345_1188
.LBB345_1184:
	s_mov_b64 s[2:3], -1
                                        ; implicit-def: $vgpr1
.LBB345_1185:
	s_andn2_b64 vcc, exec, s[2:3]
	s_cbranch_vccnz .LBB345_1187
; %bb.1186:
	global_load_ushort v1, v[14:15], off
	s_movk_i32 s2, 0x7fff
	s_waitcnt vmcnt(0)
	v_cvt_f32_u32_e32 v1, v1
	v_bfe_u32 v3, v1, 16, 1
	v_add3_u32 v1, v1, v3, s2
	v_lshrrev_b32_e32 v1, 16, v1
.LBB345_1187:
	s_mov_b64 s[2:3], 0
.LBB345_1188:
	s_andn2_b64 vcc, exec, s[2:3]
	s_cbranch_vccnz .LBB345_1196
; %bb.1189:
	global_load_ubyte v1, v[14:15], off
	s_movk_i32 s2, 0x7f
	s_waitcnt vmcnt(0)
	v_cmp_lt_i16_e32 vcc, s2, v1
	s_mov_b64 s[2:3], 0
	s_and_saveexec_b64 s[10:11], vcc
	s_xor_b64 s[10:11], exec, s[10:11]
	s_cbranch_execz .LBB345_1209
; %bb.1190:
	s_movk_i32 s2, 0x80
	v_cmp_eq_u16_e32 vcc, s2, v1
	s_mov_b64 s[2:3], -1
	s_and_saveexec_b64 s[12:13], vcc
; %bb.1191:
	s_xor_b64 s[2:3], exec, -1
; %bb.1192:
	s_or_b64 exec, exec, s[12:13]
	s_and_b64 s[2:3], s[2:3], exec
	s_or_saveexec_b64 s[10:11], s[10:11]
	v_mov_b32_e32 v3, 0x7f800001
	s_xor_b64 exec, exec, s[10:11]
	s_cbranch_execnz .LBB345_1210
.LBB345_1193:
	s_or_b64 exec, exec, s[10:11]
	s_and_saveexec_b64 s[10:11], s[2:3]
	s_cbranch_execz .LBB345_1195
.LBB345_1194:
	v_lshlrev_b32_e32 v3, 24, v1
	v_and_b32_e32 v1, 0xffff, v1
	v_and_b32_e32 v5, 7, v1
	v_ffbh_u32_e32 v9, v5
	v_min_u32_e32 v9, 32, v9
	v_subrev_u32_e32 v11, 28, v9
	v_bfe_u32 v7, v1, 3, 4
	v_lshlrev_b32_e32 v1, v11, v1
	v_sub_u32_e32 v9, 29, v9
	v_and_b32_e32 v1, 7, v1
	v_cmp_eq_u32_e32 vcc, 0, v7
	v_and_b32_e32 v3, 0x80000000, v3
	s_nop 0
	v_cndmask_b32_e32 v7, v7, v9, vcc
	v_cndmask_b32_e32 v1, v5, v1, vcc
	v_mov_b32_e32 v5, 0x3b800000
	v_lshlrev_b32_e32 v1, 20, v1
	v_lshl_add_u32 v5, v7, 23, v5
	v_or3_b32 v3, v3, v5, v1
.LBB345_1195:
	s_or_b64 exec, exec, s[10:11]
	v_bfe_u32 v1, v3, 16, 1
	s_movk_i32 s2, 0x7fff
	v_add3_u32 v1, v3, v1, s2
	v_cmp_o_f32_e32 vcc, v3, v3
	v_mov_b32_e32 v3, 0x7fc0
	s_nop 0
	v_cndmask_b32_sdwa v1, v3, v1, vcc dst_sel:DWORD dst_unused:UNUSED_PAD src0_sel:DWORD src1_sel:WORD_1
.LBB345_1196:
	s_mov_b64 s[10:11], -1
.LBB345_1197:
	s_branch .LBB345_1229
.LBB345_1198:
	s_cmp_gt_i32 s16, 22
	s_cbranch_scc0 .LBB345_1208
; %bb.1199:
	s_cmp_lt_i32 s16, 24
	s_cbranch_scc1 .LBB345_1211
; %bb.1200:
	s_cmp_gt_i32 s16, 24
	s_cbranch_scc0 .LBB345_1212
; %bb.1201:
	global_load_ubyte v1, v[14:15], off
	s_movk_i32 s2, 0x7f
	s_waitcnt vmcnt(0)
	v_cmp_lt_i16_e32 vcc, s2, v1
	s_mov_b64 s[2:3], 0
	s_and_saveexec_b64 s[8:9], vcc
	s_xor_b64 s[8:9], exec, s[8:9]
	s_cbranch_execz .LBB345_1223
; %bb.1202:
	s_movk_i32 s2, 0x80
	v_cmp_eq_u16_e32 vcc, s2, v1
	s_mov_b64 s[2:3], -1
	s_and_saveexec_b64 s[10:11], vcc
; %bb.1203:
	s_xor_b64 s[2:3], exec, -1
; %bb.1204:
	s_or_b64 exec, exec, s[10:11]
	s_and_b64 s[2:3], s[2:3], exec
	s_or_saveexec_b64 s[8:9], s[8:9]
	v_mov_b32_e32 v3, 0x7f800001
	s_xor_b64 exec, exec, s[8:9]
	s_cbranch_execnz .LBB345_1224
.LBB345_1205:
	s_or_b64 exec, exec, s[8:9]
	s_and_saveexec_b64 s[8:9], s[2:3]
	s_cbranch_execz .LBB345_1207
.LBB345_1206:
	v_lshlrev_b32_e32 v3, 24, v1
	v_and_b32_e32 v1, 0xffff, v1
	v_and_b32_e32 v5, 3, v1
	v_ffbh_u32_e32 v9, v5
	v_min_u32_e32 v9, 32, v9
	v_subrev_u32_e32 v11, 29, v9
	v_bfe_u32 v7, v1, 2, 5
	v_lshlrev_b32_e32 v1, v11, v1
	v_sub_u32_e32 v9, 30, v9
	v_and_b32_e32 v1, 3, v1
	v_cmp_eq_u32_e32 vcc, 0, v7
	v_and_b32_e32 v3, 0x80000000, v3
	s_nop 0
	v_cndmask_b32_e32 v7, v7, v9, vcc
	v_cndmask_b32_e32 v1, v5, v1, vcc
	v_mov_b32_e32 v5, 0x37800000
	v_lshlrev_b32_e32 v1, 21, v1
	v_lshl_add_u32 v5, v7, 23, v5
	v_or3_b32 v3, v3, v5, v1
.LBB345_1207:
	s_or_b64 exec, exec, s[8:9]
	v_bfe_u32 v1, v3, 16, 1
	s_movk_i32 s2, 0x7fff
	v_add3_u32 v1, v3, v1, s2
	v_cmp_o_f32_e32 vcc, v3, v3
	v_mov_b32_e32 v3, 0x7fc0
	s_mov_b64 s[2:3], 0
	v_cndmask_b32_sdwa v1, v3, v1, vcc dst_sel:DWORD dst_unused:UNUSED_PAD src0_sel:DWORD src1_sel:WORD_1
	s_branch .LBB345_1213
.LBB345_1208:
                                        ; implicit-def: $vgpr1
	s_mov_b64 s[8:9], 0
	s_branch .LBB345_1219
.LBB345_1209:
	s_or_saveexec_b64 s[10:11], s[10:11]
	v_mov_b32_e32 v3, 0x7f800001
	s_xor_b64 exec, exec, s[10:11]
	s_cbranch_execz .LBB345_1193
.LBB345_1210:
	v_cmp_ne_u16_e32 vcc, 0, v1
	s_andn2_b64 s[2:3], s[2:3], exec
	s_and_b64 s[12:13], vcc, exec
	v_mov_b32_e32 v3, 0
	s_or_b64 s[2:3], s[2:3], s[12:13]
	s_or_b64 exec, exec, s[10:11]
	s_and_saveexec_b64 s[10:11], s[2:3]
	s_cbranch_execnz .LBB345_1194
	s_branch .LBB345_1195
.LBB345_1211:
	s_mov_b64 s[2:3], -1
                                        ; implicit-def: $vgpr1
	s_branch .LBB345_1216
.LBB345_1212:
	s_mov_b64 s[2:3], -1
                                        ; implicit-def: $vgpr1
.LBB345_1213:
	s_and_b64 vcc, exec, s[2:3]
	s_cbranch_vccz .LBB345_1215
; %bb.1214:
	global_load_ubyte v1, v[14:15], off
	s_mov_b32 s2, 0x7f800000
	s_brev_b32 s3, 1
	s_movk_i32 s8, 0x7fff
	s_waitcnt vmcnt(0)
	v_lshlrev_b32_e32 v1, 24, v1
	v_and_b32_e32 v3, 0x7f000000, v1
	v_ffbh_u32_e32 v5, v3
	v_min_u32_e32 v5, 32, v5
	v_sub_u32_e64 v5, v5, 4 clamp
	v_lshlrev_b32_e32 v9, v5, v3
	v_lshlrev_b32_e32 v5, 23, v5
	v_lshrrev_b32_e32 v9, 4, v9
	v_add_u32_e32 v7, 0x1000000, v3
	v_sub_u32_e32 v5, v9, v5
	v_ashrrev_i32_e32 v7, 8, v7
	v_add_u32_e32 v5, 0x3c000000, v5
	v_and_or_b32 v5, v7, s2, v5
	v_cmp_ne_u32_e32 vcc, 0, v3
	s_nop 1
	v_cndmask_b32_e32 v3, 0, v5, vcc
	v_and_or_b32 v1, v1, s3, v3
	v_bfe_u32 v3, v3, 16, 1
	v_add3_u32 v3, v1, v3, s8
	v_cmp_o_f32_e32 vcc, v1, v1
	v_mov_b32_e32 v1, 0x7fc0
	s_nop 0
	v_cndmask_b32_sdwa v1, v1, v3, vcc dst_sel:DWORD dst_unused:UNUSED_PAD src0_sel:DWORD src1_sel:WORD_1
.LBB345_1215:
	s_mov_b64 s[2:3], 0
.LBB345_1216:
	s_andn2_b64 vcc, exec, s[2:3]
	s_cbranch_vccnz .LBB345_1218
; %bb.1217:
	global_load_ubyte v1, v[14:15], off
	s_movk_i32 s2, 0x7f00
	s_brev_b32 s3, 16
	s_brev_b32 s8, 1
	s_movk_i32 s9, 0x7fff
	s_waitcnt vmcnt(0)
	v_lshlrev_b16_e32 v3, 8, v1
	v_lshlrev_b32_e32 v1, 25, v1
	v_lshrrev_b32_e32 v5, 4, v1
	v_and_or_b32 v7, v3, s2, 0.5
	v_or_b32_e32 v5, 0x70000000, v5
	v_add_f32_e32 v7, -0.5, v7
	v_mul_f32_e32 v5, 0x7800000, v5
	v_cmp_gt_u32_e32 vcc, s3, v1
	v_bfe_i32 v3, v3, 0, 16
	s_nop 0
	v_cndmask_b32_e32 v1, v5, v7, vcc
	v_and_or_b32 v3, v3, s8, v1
	v_bfe_u32 v1, v1, 16, 1
	v_add3_u32 v1, v3, v1, s9
	v_cmp_o_f32_e32 vcc, v3, v3
	v_mov_b32_e32 v3, 0x7fc0
	s_nop 0
	v_cndmask_b32_sdwa v1, v3, v1, vcc dst_sel:DWORD dst_unused:UNUSED_PAD src0_sel:DWORD src1_sel:WORD_1
.LBB345_1218:
	s_mov_b64 s[10:11], -1
	s_mov_b64 s[8:9], 0
	s_cbranch_execnz .LBB345_1229
.LBB345_1219:
	s_cmp_gt_i32 s16, 14
	s_cbranch_scc0 .LBB345_1222
; %bb.1220:
	s_cmp_eq_u32 s16, 15
	s_cbranch_scc0 .LBB345_1225
; %bb.1221:
	global_load_ushort v1, v[14:15], off
	s_mov_b64 s[0:1], 0
	s_mov_b64 s[10:11], -1
	s_branch .LBB345_1226
.LBB345_1222:
	s_mov_b64 s[2:3], -1
                                        ; implicit-def: $vgpr1
	s_branch .LBB345_1227
.LBB345_1223:
	s_or_saveexec_b64 s[8:9], s[8:9]
	v_mov_b32_e32 v3, 0x7f800001
	s_xor_b64 exec, exec, s[8:9]
	s_cbranch_execz .LBB345_1205
.LBB345_1224:
	v_cmp_ne_u16_e32 vcc, 0, v1
	s_andn2_b64 s[2:3], s[2:3], exec
	s_and_b64 s[10:11], vcc, exec
	v_mov_b32_e32 v3, 0
	s_or_b64 s[2:3], s[2:3], s[10:11]
	s_or_b64 exec, exec, s[8:9]
	s_and_saveexec_b64 s[8:9], s[2:3]
	s_cbranch_execnz .LBB345_1206
	s_branch .LBB345_1207
.LBB345_1225:
	s_mov_b64 s[0:1], -1
                                        ; implicit-def: $vgpr1
.LBB345_1226:
	s_mov_b64 s[2:3], 0
.LBB345_1227:
	s_and_b64 vcc, exec, s[2:3]
	s_cbranch_vccz .LBB345_1229
; %bb.1228:
	s_cmp_lg_u32 s16, 11
	s_mov_b64 s[8:9], -1
	s_cselect_b64 s[0:1], -1, 0
.LBB345_1229:
	s_and_b64 vcc, exec, s[0:1]
	s_mov_b64 s[2:3], s[24:25]
	s_cbranch_vccnz .LBB345_1292
; %bb.1230:
	s_andn2_b64 vcc, exec, s[8:9]
	s_cbranch_vccnz .LBB345_1232
.LBB345_1231:
	global_load_ubyte v1, v[14:15], off
	s_mov_b64 s[10:11], -1
	s_waitcnt vmcnt(0)
	v_cmp_ne_u16_e32 vcc, 0, v1
	s_nop 1
	v_cndmask_b32_e64 v1, 0, 1.0, vcc
	v_lshrrev_b32_e32 v1, 16, v1
.LBB345_1232:
	s_branch .LBB345_1163
.LBB345_1233:
	s_and_b32 s8, 0xffff, s15
	s_cmp_lt_i32 s8, 5
	s_cbranch_scc1 .LBB345_1238
; %bb.1234:
	s_cmp_lt_i32 s8, 8
	s_cbranch_scc1 .LBB345_1239
; %bb.1235:
	;; [unrolled: 3-line block ×3, first 2 shown]
	s_cmp_gt_i32 s8, 9
	s_cbranch_scc0 .LBB345_1241
; %bb.1237:
	global_load_dwordx2 v[16:17], v[14:15], off
	s_movk_i32 s0, 0x7fff
	s_waitcnt vmcnt(1)
	v_mov_b32_e32 v1, 0x7fc0
	s_waitcnt vmcnt(0)
	v_cvt_f32_f64_e32 v3, v[16:17]
	v_bfe_u32 v5, v3, 16, 1
	v_cmp_o_f32_e32 vcc, v3, v3
	v_add3_u32 v3, v3, v5, s0
	s_mov_b64 s[0:1], 0
	v_cndmask_b32_sdwa v1, v1, v3, vcc dst_sel:DWORD dst_unused:UNUSED_PAD src0_sel:DWORD src1_sel:WORD_1
	s_branch .LBB345_1242
.LBB345_1238:
                                        ; implicit-def: $vgpr1
	s_branch .LBB345_1259
.LBB345_1239:
                                        ; implicit-def: $vgpr1
	s_branch .LBB345_1248
.LBB345_1240:
	s_mov_b64 s[0:1], -1
                                        ; implicit-def: $vgpr1
	s_branch .LBB345_1245
.LBB345_1241:
	s_mov_b64 s[0:1], -1
                                        ; implicit-def: $vgpr1
.LBB345_1242:
	s_andn2_b64 vcc, exec, s[0:1]
	s_cbranch_vccnz .LBB345_1244
; %bb.1243:
	global_load_dword v1, v[14:15], off
	s_movk_i32 s0, 0x7fff
	v_mov_b32_e32 v3, 0x7fc0
	s_waitcnt vmcnt(0)
	v_bfe_u32 v5, v1, 16, 1
	v_cmp_o_f32_e32 vcc, v1, v1
	v_add3_u32 v1, v1, v5, s0
	s_nop 0
	v_cndmask_b32_sdwa v1, v3, v1, vcc dst_sel:DWORD dst_unused:UNUSED_PAD src0_sel:DWORD src1_sel:WORD_1
.LBB345_1244:
	s_mov_b64 s[0:1], 0
.LBB345_1245:
	s_andn2_b64 vcc, exec, s[0:1]
	s_cbranch_vccnz .LBB345_1247
; %bb.1246:
	global_load_dword v1, v[14:15], off
	s_movk_i32 s0, 0x7fff
	v_mov_b32_e32 v5, 0x7fc0
	s_waitcnt vmcnt(0)
	v_cvt_f32_f16_e32 v3, v1
	v_cmp_o_f16_e32 vcc, v1, v1
	v_bfe_u32 v1, v3, 16, 1
	v_add3_u32 v1, v3, v1, s0
	v_cndmask_b32_sdwa v1, v5, v1, vcc dst_sel:DWORD dst_unused:UNUSED_PAD src0_sel:DWORD src1_sel:WORD_1
.LBB345_1247:
	s_cbranch_execnz .LBB345_1258
.LBB345_1248:
	s_cmp_lt_i32 s8, 6
	s_cbranch_scc1 .LBB345_1251
; %bb.1249:
	s_cmp_gt_i32 s8, 6
	s_cbranch_scc0 .LBB345_1252
; %bb.1250:
	global_load_dwordx2 v[16:17], v[14:15], off
	s_movk_i32 s0, 0x7fff
	s_waitcnt vmcnt(1)
	v_mov_b32_e32 v1, 0x7fc0
	s_waitcnt vmcnt(0)
	v_cvt_f32_f64_e32 v3, v[16:17]
	v_bfe_u32 v5, v3, 16, 1
	v_cmp_o_f32_e32 vcc, v3, v3
	v_add3_u32 v3, v3, v5, s0
	s_mov_b64 s[0:1], 0
	v_cndmask_b32_sdwa v1, v1, v3, vcc dst_sel:DWORD dst_unused:UNUSED_PAD src0_sel:DWORD src1_sel:WORD_1
	s_branch .LBB345_1253
.LBB345_1251:
	s_mov_b64 s[0:1], -1
                                        ; implicit-def: $vgpr1
	s_branch .LBB345_1256
.LBB345_1252:
	s_mov_b64 s[0:1], -1
                                        ; implicit-def: $vgpr1
.LBB345_1253:
	s_andn2_b64 vcc, exec, s[0:1]
	s_cbranch_vccnz .LBB345_1255
; %bb.1254:
	global_load_dword v1, v[14:15], off
	s_movk_i32 s0, 0x7fff
	v_mov_b32_e32 v3, 0x7fc0
	s_waitcnt vmcnt(0)
	v_bfe_u32 v5, v1, 16, 1
	v_cmp_o_f32_e32 vcc, v1, v1
	v_add3_u32 v1, v1, v5, s0
	s_nop 0
	v_cndmask_b32_sdwa v1, v3, v1, vcc dst_sel:DWORD dst_unused:UNUSED_PAD src0_sel:DWORD src1_sel:WORD_1
.LBB345_1255:
	s_mov_b64 s[0:1], 0
.LBB345_1256:
	s_andn2_b64 vcc, exec, s[0:1]
	s_cbranch_vccnz .LBB345_1258
; %bb.1257:
	global_load_ushort v1, v[14:15], off
	s_movk_i32 s0, 0x7fff
	v_mov_b32_e32 v5, 0x7fc0
	s_waitcnt vmcnt(0)
	v_cvt_f32_f16_e32 v3, v1
	v_cmp_o_f16_e32 vcc, v1, v1
	v_bfe_u32 v1, v3, 16, 1
	v_add3_u32 v1, v3, v1, s0
	v_cndmask_b32_sdwa v1, v5, v1, vcc dst_sel:DWORD dst_unused:UNUSED_PAD src0_sel:DWORD src1_sel:WORD_1
.LBB345_1258:
	s_cbranch_execnz .LBB345_1277
.LBB345_1259:
	s_cmp_lt_i32 s8, 2
	s_cbranch_scc1 .LBB345_1263
; %bb.1260:
	s_cmp_lt_i32 s8, 3
	s_cbranch_scc1 .LBB345_1264
; %bb.1261:
	s_cmp_gt_i32 s8, 3
	s_cbranch_scc0 .LBB345_1265
; %bb.1262:
	global_load_dwordx2 v[16:17], v[14:15], off
	s_movk_i32 s0, 0x7fff
	s_waitcnt vmcnt(0)
	v_xor_b32_e32 v3, v16, v17
	v_ffbh_i32_e32 v1, v17
	v_ashrrev_i32_e32 v3, 31, v3
	v_add_u32_e32 v1, -1, v1
	v_add_u32_e32 v3, 32, v3
	v_min_u32_e32 v1, v1, v3
	v_lshlrev_b64 v[16:17], v1, v[16:17]
	v_min_u32_e32 v3, 1, v16
	v_or_b32_e32 v3, v17, v3
	v_cvt_f32_i32_e32 v3, v3
	v_sub_u32_e32 v1, 32, v1
	v_ldexp_f32 v1, v3, v1
	v_bfe_u32 v3, v1, 16, 1
	v_add3_u32 v1, v1, v3, s0
	v_lshrrev_b32_e32 v1, 16, v1
	s_mov_b64 s[0:1], 0
	s_branch .LBB345_1266
.LBB345_1263:
                                        ; implicit-def: $vgpr1
	s_branch .LBB345_1272
.LBB345_1264:
	s_mov_b64 s[0:1], -1
                                        ; implicit-def: $vgpr1
	s_branch .LBB345_1269
.LBB345_1265:
	s_mov_b64 s[0:1], -1
                                        ; implicit-def: $vgpr1
.LBB345_1266:
	s_andn2_b64 vcc, exec, s[0:1]
	s_cbranch_vccnz .LBB345_1268
; %bb.1267:
	global_load_dword v1, v[14:15], off
	s_movk_i32 s0, 0x7fff
	s_waitcnt vmcnt(0)
	v_cvt_f32_i32_e32 v1, v1
	v_bfe_u32 v3, v1, 16, 1
	v_add3_u32 v1, v1, v3, s0
	v_lshrrev_b32_e32 v1, 16, v1
.LBB345_1268:
	s_mov_b64 s[0:1], 0
.LBB345_1269:
	s_andn2_b64 vcc, exec, s[0:1]
	s_cbranch_vccnz .LBB345_1271
; %bb.1270:
	global_load_sshort v1, v[14:15], off
	s_movk_i32 s0, 0x7fff
	s_waitcnt vmcnt(0)
	v_cvt_f32_i32_e32 v1, v1
	v_bfe_u32 v3, v1, 16, 1
	v_add3_u32 v1, v1, v3, s0
	v_lshrrev_b32_e32 v1, 16, v1
.LBB345_1271:
	s_cbranch_execnz .LBB345_1277
.LBB345_1272:
	s_cmp_gt_i32 s8, 0
	s_cbranch_scc0 .LBB345_1274
; %bb.1273:
	global_load_sbyte v1, v[14:15], off
	s_movk_i32 s0, 0x7fff
	s_waitcnt vmcnt(0)
	v_cvt_f32_i32_e32 v1, v1
	v_bfe_u32 v3, v1, 16, 1
	v_add3_u32 v1, v1, v3, s0
	v_lshrrev_b32_e32 v1, 16, v1
	s_mov_b64 s[0:1], 0
	s_branch .LBB345_1275
.LBB345_1274:
	s_mov_b64 s[0:1], -1
                                        ; implicit-def: $vgpr1
.LBB345_1275:
	s_andn2_b64 vcc, exec, s[0:1]
	s_cbranch_vccnz .LBB345_1277
; %bb.1276:
	global_load_ubyte v1, v[14:15], off
	s_movk_i32 s0, 0x7fff
	s_waitcnt vmcnt(0)
	v_cvt_f32_ubyte0_e32 v1, v1
	v_bfe_u32 v3, v1, 16, 1
	v_add3_u32 v1, v1, v3, s0
	v_lshrrev_b32_e32 v1, 16, v1
.LBB345_1277:
.LBB345_1278:
	s_load_dword s17, s[34:35], 0x158
	s_waitcnt vmcnt(0)
	v_lshlrev_b32_e32 v3, 16, v1
	v_cmp_o_f32_e32 vcc, v3, v3
	s_waitcnt lgkmcnt(0)
	s_lshr_b32 s16, s17, 16
	s_and_saveexec_b64 s[0:1], vcc
; %bb.1279:
	s_lshl_b32 s8, s17, 16
	v_mov_b32_e32 v5, s17
	v_cmp_lt_f32_e32 vcc, s8, v3
	s_lshl_b32 s8, s16, 16
	s_nop 0
	v_cndmask_b32_e32 v1, v5, v1, vcc
	v_lshlrev_b32_e32 v3, 16, v1
	v_mov_b32_e32 v5, s16
	v_cmp_gt_f32_e32 vcc, s8, v3
	s_nop 1
	v_cndmask_b32_e32 v1, v5, v1, vcc
; %bb.1280:
	s_or_b64 exec, exec, s[0:1]
	s_lshr_b32 s0, s14, 8
	v_mov_b32_e32 v13, 0
	s_and_b32 s18, s0, 0xff
	s_cmp_lt_i32 s18, 11
	v_lshl_add_u64 v[12:13], s[6:7], 0, v[12:13]
	s_cbranch_scc1 .LBB345_1287
; %bb.1281:
	s_and_b32 s19, 0xffff, s18
	s_cmp_gt_i32 s19, 25
	s_mov_b64 s[8:9], 0
	s_cbranch_scc0 .LBB345_1289
; %bb.1282:
	s_cmp_gt_i32 s19, 28
	s_cbranch_scc0 .LBB345_1290
; %bb.1283:
	s_cmp_gt_i32 s19, 43
	;; [unrolled: 3-line block ×3, first 2 shown]
	s_cbranch_scc0 .LBB345_1293
; %bb.1285:
	s_cmp_eq_u32 s19, 46
	s_mov_b64 s[12:13], 0
	s_cbranch_scc0 .LBB345_1296
; %bb.1286:
	global_load_dword v3, v[12:13], off
	s_mov_b64 s[0:1], 0
	s_mov_b64 s[10:11], -1
	s_branch .LBB345_1297
.LBB345_1287:
	s_mov_b64 s[10:11], 0
                                        ; implicit-def: $vgpr3
	s_cbranch_execnz .LBB345_1362
.LBB345_1288:
	s_andn2_b64 vcc, exec, s[10:11]
	s_cbranch_vccnz .LBB345_1752
	s_branch .LBB345_1409
.LBB345_1289:
	s_mov_b64 s[10:11], 0
	s_mov_b64 s[0:1], 0
                                        ; implicit-def: $vgpr3
	s_cbranch_execnz .LBB345_1326
	s_branch .LBB345_1358
.LBB345_1290:
	s_mov_b64 s[12:13], -1
	s_mov_b64 s[10:11], 0
	s_mov_b64 s[0:1], 0
                                        ; implicit-def: $vgpr3
	s_branch .LBB345_1307
.LBB345_1291:
	s_mov_b64 s[12:13], -1
	s_mov_b64 s[10:11], 0
	s_mov_b64 s[0:1], 0
                                        ; implicit-def: $vgpr3
	s_branch .LBB345_1302
.LBB345_1292:
	s_or_b64 s[2:3], s[24:25], exec
	s_trap 2
	s_cbranch_execz .LBB345_1231
	s_branch .LBB345_1232
.LBB345_1293:
	s_mov_b64 s[12:13], -1
	s_mov_b64 s[10:11], 0
	s_mov_b64 s[0:1], 0
                                        ; implicit-def: $vgpr3
	s_branch .LBB345_1297
.LBB345_1294:
	s_andn2_saveexec_b64 s[14:15], s[14:15]
	s_cbranch_execz .LBB345_1023
.LBB345_1295:
	s_mov_b32 s18, 0x42800000
	v_add_f32_e64 v1, |v5|, s18
	v_and_b32_e32 v1, 0xff, v1
	v_cmp_ne_u32_e32 vcc, 0, v1
	s_andn2_b64 s[12:13], s[12:13], exec
	s_and_b64 s[18:19], vcc, exec
	s_or_b64 s[12:13], s[12:13], s[18:19]
	s_or_b64 exec, exec, s[14:15]
	v_mov_b32_e32 v6, 0
	s_and_saveexec_b64 s[14:15], s[12:13]
	s_cbranch_execnz .LBB345_1024
	s_branch .LBB345_1025
.LBB345_1296:
	s_mov_b64 s[0:1], -1
                                        ; implicit-def: $vgpr3
	s_mov_b64 s[10:11], 0
.LBB345_1297:
	s_and_b64 vcc, exec, s[12:13]
	s_cbranch_vccz .LBB345_1301
; %bb.1298:
	s_cmp_eq_u32 s19, 44
	s_cbranch_scc0 .LBB345_1300
; %bb.1299:
	global_load_ubyte v3, v[12:13], off
	s_movk_i32 s10, 0xff
	v_mov_b32_e32 v5, 0x7f800001
	v_mov_b32_e32 v7, 0x400000
	;; [unrolled: 1-line block ×3, first 2 shown]
	s_mov_b64 s[0:1], 0
	s_waitcnt vmcnt(0)
	v_lshlrev_b32_e32 v11, 23, v3
	v_cmp_ne_u32_e32 vcc, s10, v3
	s_mov_b64 s[10:11], -1
	s_nop 0
	v_cndmask_b32_e32 v5, v5, v11, vcc
	v_cmp_ne_u32_e32 vcc, 0, v3
	s_nop 1
	v_cndmask_b32_e32 v3, v7, v5, vcc
	v_add_u32_e32 v5, 0x7fff, v3
	v_cmp_o_f32_e32 vcc, v3, v3
	s_nop 1
	v_cndmask_b32_sdwa v3, v9, v5, vcc dst_sel:DWORD dst_unused:UNUSED_PAD src0_sel:DWORD src1_sel:WORD_1
	s_branch .LBB345_1301
.LBB345_1300:
	s_mov_b64 s[0:1], -1
                                        ; implicit-def: $vgpr3
.LBB345_1301:
	s_mov_b64 s[12:13], 0
.LBB345_1302:
	s_and_b64 vcc, exec, s[12:13]
	s_cbranch_vccz .LBB345_1306
; %bb.1303:
	s_cmp_eq_u32 s19, 29
	s_cbranch_scc0 .LBB345_1305
; %bb.1304:
	global_load_dwordx2 v[14:15], v[12:13], off
	s_movk_i32 s10, 0x7fff
	s_mov_b64 s[0:1], 0
	s_mov_b64 s[12:13], 0
	s_waitcnt vmcnt(0)
	v_ffbh_u32_e32 v3, v15
	v_min_u32_e32 v3, 32, v3
	v_lshlrev_b64 v[14:15], v3, v[14:15]
	v_min_u32_e32 v5, 1, v14
	v_or_b32_e32 v5, v15, v5
	v_cvt_f32_u32_e32 v5, v5
	v_sub_u32_e32 v3, 32, v3
	v_ldexp_f32 v3, v5, v3
	v_bfe_u32 v5, v3, 16, 1
	v_add3_u32 v3, v3, v5, s10
	v_lshrrev_b32_e32 v3, 16, v3
	s_mov_b64 s[10:11], -1
	s_branch .LBB345_1307
.LBB345_1305:
	s_mov_b64 s[0:1], -1
                                        ; implicit-def: $vgpr3
.LBB345_1306:
	s_mov_b64 s[12:13], 0
.LBB345_1307:
	s_and_b64 vcc, exec, s[12:13]
	s_cbranch_vccz .LBB345_1325
; %bb.1308:
	s_cmp_lt_i32 s19, 27
	s_cbranch_scc1 .LBB345_1311
; %bb.1309:
	s_cmp_gt_i32 s19, 27
	s_cbranch_scc0 .LBB345_1312
; %bb.1310:
	global_load_dword v3, v[12:13], off
	s_movk_i32 s10, 0x7fff
	s_waitcnt vmcnt(0)
	v_cvt_f32_u32_e32 v3, v3
	v_bfe_u32 v5, v3, 16, 1
	v_add3_u32 v3, v3, v5, s10
	v_lshrrev_b32_e32 v3, 16, v3
	s_mov_b64 s[10:11], 0
	s_branch .LBB345_1313
.LBB345_1311:
	s_mov_b64 s[10:11], -1
                                        ; implicit-def: $vgpr3
	s_branch .LBB345_1316
.LBB345_1312:
	s_mov_b64 s[10:11], -1
                                        ; implicit-def: $vgpr3
.LBB345_1313:
	s_andn2_b64 vcc, exec, s[10:11]
	s_cbranch_vccnz .LBB345_1315
; %bb.1314:
	global_load_ushort v3, v[12:13], off
	s_movk_i32 s10, 0x7fff
	s_waitcnt vmcnt(0)
	v_cvt_f32_u32_e32 v3, v3
	v_bfe_u32 v5, v3, 16, 1
	v_add3_u32 v3, v3, v5, s10
	v_lshrrev_b32_e32 v3, 16, v3
.LBB345_1315:
	s_mov_b64 s[10:11], 0
.LBB345_1316:
	s_andn2_b64 vcc, exec, s[10:11]
	s_cbranch_vccnz .LBB345_1324
; %bb.1317:
	global_load_ubyte v3, v[12:13], off
	s_movk_i32 s10, 0x7f
	s_waitcnt vmcnt(0)
	v_cmp_lt_i16_e32 vcc, s10, v3
	s_mov_b64 s[10:11], 0
	s_and_saveexec_b64 s[12:13], vcc
	s_xor_b64 s[12:13], exec, s[12:13]
	s_cbranch_execz .LBB345_1337
; %bb.1318:
	s_movk_i32 s10, 0x80
	v_cmp_eq_u16_e32 vcc, s10, v3
	s_mov_b64 s[10:11], -1
	s_and_saveexec_b64 s[14:15], vcc
; %bb.1319:
	s_xor_b64 s[10:11], exec, -1
; %bb.1320:
	s_or_b64 exec, exec, s[14:15]
	s_and_b64 s[10:11], s[10:11], exec
	s_or_saveexec_b64 s[12:13], s[12:13]
	v_mov_b32_e32 v5, 0x7f800001
	s_xor_b64 exec, exec, s[12:13]
	s_cbranch_execnz .LBB345_1338
.LBB345_1321:
	s_or_b64 exec, exec, s[12:13]
	s_and_saveexec_b64 s[12:13], s[10:11]
	s_cbranch_execz .LBB345_1323
.LBB345_1322:
	v_lshlrev_b32_e32 v5, 24, v3
	v_and_b32_e32 v3, 0xffff, v3
	v_and_b32_e32 v7, 7, v3
	v_ffbh_u32_e32 v11, v7
	v_min_u32_e32 v11, 32, v11
	v_subrev_u32_e32 v14, 28, v11
	v_bfe_u32 v9, v3, 3, 4
	v_lshlrev_b32_e32 v3, v14, v3
	v_sub_u32_e32 v11, 29, v11
	v_and_b32_e32 v3, 7, v3
	v_cmp_eq_u32_e32 vcc, 0, v9
	v_and_b32_e32 v5, 0x80000000, v5
	s_nop 0
	v_cndmask_b32_e32 v9, v9, v11, vcc
	v_cndmask_b32_e32 v3, v7, v3, vcc
	v_mov_b32_e32 v7, 0x3b800000
	v_lshlrev_b32_e32 v3, 20, v3
	v_lshl_add_u32 v7, v9, 23, v7
	v_or3_b32 v5, v5, v7, v3
.LBB345_1323:
	s_or_b64 exec, exec, s[12:13]
	v_bfe_u32 v3, v5, 16, 1
	s_movk_i32 s10, 0x7fff
	v_add3_u32 v3, v5, v3, s10
	v_cmp_o_f32_e32 vcc, v5, v5
	v_mov_b32_e32 v5, 0x7fc0
	s_nop 0
	v_cndmask_b32_sdwa v3, v5, v3, vcc dst_sel:DWORD dst_unused:UNUSED_PAD src0_sel:DWORD src1_sel:WORD_1
.LBB345_1324:
	s_mov_b64 s[10:11], -1
.LBB345_1325:
	s_branch .LBB345_1358
.LBB345_1326:
	s_cmp_gt_i32 s19, 22
	s_cbranch_scc0 .LBB345_1336
; %bb.1327:
	s_cmp_lt_i32 s19, 24
	s_cbranch_scc1 .LBB345_1339
; %bb.1328:
	s_cmp_gt_i32 s19, 24
	s_cbranch_scc0 .LBB345_1340
; %bb.1329:
	global_load_ubyte v3, v[12:13], off
	s_movk_i32 s8, 0x7f
	s_waitcnt vmcnt(0)
	v_cmp_lt_i16_e32 vcc, s8, v3
	s_mov_b64 s[8:9], 0
	s_and_saveexec_b64 s[10:11], vcc
	s_xor_b64 s[10:11], exec, s[10:11]
	s_cbranch_execz .LBB345_1352
; %bb.1330:
	s_movk_i32 s8, 0x80
	v_cmp_eq_u16_e32 vcc, s8, v3
	s_mov_b64 s[8:9], -1
	s_and_saveexec_b64 s[12:13], vcc
; %bb.1331:
	s_xor_b64 s[8:9], exec, -1
; %bb.1332:
	s_or_b64 exec, exec, s[12:13]
	s_and_b64 s[8:9], s[8:9], exec
	s_or_saveexec_b64 s[10:11], s[10:11]
	v_mov_b32_e32 v5, 0x7f800001
	s_xor_b64 exec, exec, s[10:11]
	s_cbranch_execnz .LBB345_1353
.LBB345_1333:
	s_or_b64 exec, exec, s[10:11]
	s_and_saveexec_b64 s[10:11], s[8:9]
	s_cbranch_execz .LBB345_1335
.LBB345_1334:
	v_lshlrev_b32_e32 v5, 24, v3
	v_and_b32_e32 v3, 0xffff, v3
	v_and_b32_e32 v7, 3, v3
	v_ffbh_u32_e32 v11, v7
	v_min_u32_e32 v11, 32, v11
	v_subrev_u32_e32 v14, 29, v11
	v_bfe_u32 v9, v3, 2, 5
	v_lshlrev_b32_e32 v3, v14, v3
	v_sub_u32_e32 v11, 30, v11
	v_and_b32_e32 v3, 3, v3
	v_cmp_eq_u32_e32 vcc, 0, v9
	v_and_b32_e32 v5, 0x80000000, v5
	s_nop 0
	v_cndmask_b32_e32 v9, v9, v11, vcc
	v_cndmask_b32_e32 v3, v7, v3, vcc
	v_mov_b32_e32 v7, 0x37800000
	v_lshlrev_b32_e32 v3, 21, v3
	v_lshl_add_u32 v7, v9, 23, v7
	v_or3_b32 v5, v5, v7, v3
.LBB345_1335:
	s_or_b64 exec, exec, s[10:11]
	v_bfe_u32 v3, v5, 16, 1
	s_movk_i32 s8, 0x7fff
	v_add3_u32 v3, v5, v3, s8
	v_cmp_o_f32_e32 vcc, v5, v5
	v_mov_b32_e32 v5, 0x7fc0
	s_mov_b64 s[8:9], 0
	v_cndmask_b32_sdwa v3, v5, v3, vcc dst_sel:DWORD dst_unused:UNUSED_PAD src0_sel:DWORD src1_sel:WORD_1
	s_branch .LBB345_1341
.LBB345_1336:
	s_mov_b64 s[8:9], -1
                                        ; implicit-def: $vgpr3
	s_branch .LBB345_1347
.LBB345_1337:
	s_or_saveexec_b64 s[12:13], s[12:13]
	v_mov_b32_e32 v5, 0x7f800001
	s_xor_b64 exec, exec, s[12:13]
	s_cbranch_execz .LBB345_1321
.LBB345_1338:
	v_cmp_ne_u16_e32 vcc, 0, v3
	s_andn2_b64 s[10:11], s[10:11], exec
	s_and_b64 s[14:15], vcc, exec
	v_mov_b32_e32 v5, 0
	s_or_b64 s[10:11], s[10:11], s[14:15]
	s_or_b64 exec, exec, s[12:13]
	s_and_saveexec_b64 s[12:13], s[10:11]
	s_cbranch_execnz .LBB345_1322
	s_branch .LBB345_1323
.LBB345_1339:
	s_mov_b64 s[8:9], -1
                                        ; implicit-def: $vgpr3
	s_branch .LBB345_1344
.LBB345_1340:
	s_mov_b64 s[8:9], -1
                                        ; implicit-def: $vgpr3
.LBB345_1341:
	s_and_b64 vcc, exec, s[8:9]
	s_cbranch_vccz .LBB345_1343
; %bb.1342:
	global_load_ubyte v3, v[12:13], off
	s_mov_b32 s8, 0x7f800000
	s_brev_b32 s9, 1
	s_movk_i32 s10, 0x7fff
	s_waitcnt vmcnt(0)
	v_lshlrev_b32_e32 v3, 24, v3
	v_and_b32_e32 v5, 0x7f000000, v3
	v_ffbh_u32_e32 v7, v5
	v_min_u32_e32 v7, 32, v7
	v_sub_u32_e64 v7, v7, 4 clamp
	v_lshlrev_b32_e32 v11, v7, v5
	v_lshlrev_b32_e32 v7, 23, v7
	v_lshrrev_b32_e32 v11, 4, v11
	v_add_u32_e32 v9, 0x1000000, v5
	v_sub_u32_e32 v7, v11, v7
	v_ashrrev_i32_e32 v9, 8, v9
	v_add_u32_e32 v7, 0x3c000000, v7
	v_and_or_b32 v7, v9, s8, v7
	v_cmp_ne_u32_e32 vcc, 0, v5
	s_nop 1
	v_cndmask_b32_e32 v5, 0, v7, vcc
	v_and_or_b32 v3, v3, s9, v5
	v_bfe_u32 v5, v5, 16, 1
	v_add3_u32 v5, v3, v5, s10
	v_cmp_o_f32_e32 vcc, v3, v3
	v_mov_b32_e32 v3, 0x7fc0
	s_nop 0
	v_cndmask_b32_sdwa v3, v3, v5, vcc dst_sel:DWORD dst_unused:UNUSED_PAD src0_sel:DWORD src1_sel:WORD_1
.LBB345_1343:
	s_mov_b64 s[8:9], 0
.LBB345_1344:
	s_andn2_b64 vcc, exec, s[8:9]
	s_cbranch_vccnz .LBB345_1346
; %bb.1345:
	global_load_ubyte v3, v[12:13], off
	s_movk_i32 s8, 0x7f00
	s_brev_b32 s9, 16
	s_brev_b32 s10, 1
	s_movk_i32 s11, 0x7fff
	s_waitcnt vmcnt(0)
	v_lshlrev_b16_e32 v5, 8, v3
	v_lshlrev_b32_e32 v3, 25, v3
	v_lshrrev_b32_e32 v7, 4, v3
	v_and_or_b32 v9, v5, s8, 0.5
	v_or_b32_e32 v7, 0x70000000, v7
	v_add_f32_e32 v9, -0.5, v9
	v_mul_f32_e32 v7, 0x7800000, v7
	v_cmp_gt_u32_e32 vcc, s9, v3
	v_bfe_i32 v5, v5, 0, 16
	s_nop 0
	v_cndmask_b32_e32 v3, v7, v9, vcc
	v_and_or_b32 v5, v5, s10, v3
	v_bfe_u32 v3, v3, 16, 1
	v_add3_u32 v3, v5, v3, s11
	v_cmp_o_f32_e32 vcc, v5, v5
	v_mov_b32_e32 v5, 0x7fc0
	s_nop 0
	v_cndmask_b32_sdwa v3, v5, v3, vcc dst_sel:DWORD dst_unused:UNUSED_PAD src0_sel:DWORD src1_sel:WORD_1
.LBB345_1346:
	s_mov_b64 s[8:9], 0
	s_mov_b64 s[10:11], -1
.LBB345_1347:
	s_andn2_b64 vcc, exec, s[8:9]
	s_mov_b64 s[8:9], 0
	s_cbranch_vccnz .LBB345_1358
; %bb.1348:
	s_cmp_gt_i32 s19, 14
	s_cbranch_scc0 .LBB345_1351
; %bb.1349:
	s_cmp_eq_u32 s19, 15
	s_cbranch_scc0 .LBB345_1354
; %bb.1350:
	global_load_ushort v3, v[12:13], off
	s_mov_b64 s[0:1], 0
	s_mov_b64 s[10:11], -1
	s_branch .LBB345_1355
.LBB345_1351:
	s_mov_b64 s[12:13], -1
                                        ; implicit-def: $vgpr3
	s_branch .LBB345_1356
.LBB345_1352:
	s_or_saveexec_b64 s[10:11], s[10:11]
	v_mov_b32_e32 v5, 0x7f800001
	s_xor_b64 exec, exec, s[10:11]
	s_cbranch_execz .LBB345_1333
.LBB345_1353:
	v_cmp_ne_u16_e32 vcc, 0, v3
	s_andn2_b64 s[8:9], s[8:9], exec
	s_and_b64 s[12:13], vcc, exec
	v_mov_b32_e32 v5, 0
	s_or_b64 s[8:9], s[8:9], s[12:13]
	s_or_b64 exec, exec, s[10:11]
	s_and_saveexec_b64 s[10:11], s[8:9]
	s_cbranch_execnz .LBB345_1334
	s_branch .LBB345_1335
.LBB345_1354:
	s_mov_b64 s[0:1], -1
                                        ; implicit-def: $vgpr3
.LBB345_1355:
	s_mov_b64 s[12:13], 0
.LBB345_1356:
	s_and_b64 vcc, exec, s[12:13]
	s_cbranch_vccz .LBB345_1358
; %bb.1357:
	s_cmp_lg_u32 s19, 11
	s_mov_b64 s[8:9], -1
	s_cselect_b64 s[0:1], -1, 0
.LBB345_1358:
	s_and_b64 vcc, exec, s[0:1]
	s_cbranch_vccnz .LBB345_1423
; %bb.1359:
	s_andn2_b64 vcc, exec, s[8:9]
	s_cbranch_vccnz .LBB345_1361
.LBB345_1360:
	global_load_ubyte v3, v[12:13], off
	s_mov_b64 s[10:11], -1
	s_waitcnt vmcnt(0)
	v_cmp_ne_u16_e32 vcc, 0, v3
	s_nop 1
	v_cndmask_b32_e64 v3, 0, 1.0, vcc
	v_lshrrev_b32_e32 v3, 16, v3
.LBB345_1361:
	s_branch .LBB345_1288
.LBB345_1362:
	s_and_b32 s8, 0xffff, s18
	s_cmp_lt_i32 s8, 5
	s_cbranch_scc1 .LBB345_1367
; %bb.1363:
	s_cmp_lt_i32 s8, 8
	s_cbranch_scc1 .LBB345_1368
; %bb.1364:
	;; [unrolled: 3-line block ×3, first 2 shown]
	s_cmp_gt_i32 s8, 9
	s_cbranch_scc0 .LBB345_1370
; %bb.1366:
	global_load_dwordx2 v[14:15], v[12:13], off
	s_movk_i32 s0, 0x7fff
	s_waitcnt vmcnt(1)
	v_mov_b32_e32 v3, 0x7fc0
	s_waitcnt vmcnt(0)
	v_cvt_f32_f64_e32 v5, v[14:15]
	v_bfe_u32 v7, v5, 16, 1
	v_cmp_o_f32_e32 vcc, v5, v5
	v_add3_u32 v5, v5, v7, s0
	s_mov_b64 s[0:1], 0
	v_cndmask_b32_sdwa v3, v3, v5, vcc dst_sel:DWORD dst_unused:UNUSED_PAD src0_sel:DWORD src1_sel:WORD_1
	s_branch .LBB345_1371
.LBB345_1367:
                                        ; implicit-def: $vgpr3
	s_branch .LBB345_1389
.LBB345_1368:
	s_mov_b64 s[0:1], -1
                                        ; implicit-def: $vgpr3
	s_branch .LBB345_1377
.LBB345_1369:
	s_mov_b64 s[0:1], -1
                                        ; implicit-def: $vgpr3
	s_branch .LBB345_1374
.LBB345_1370:
	s_mov_b64 s[0:1], -1
                                        ; implicit-def: $vgpr3
.LBB345_1371:
	s_andn2_b64 vcc, exec, s[0:1]
	s_cbranch_vccnz .LBB345_1373
; %bb.1372:
	global_load_dword v3, v[12:13], off
	s_movk_i32 s0, 0x7fff
	v_mov_b32_e32 v5, 0x7fc0
	s_waitcnt vmcnt(0)
	v_bfe_u32 v7, v3, 16, 1
	v_cmp_o_f32_e32 vcc, v3, v3
	v_add3_u32 v3, v3, v7, s0
	s_nop 0
	v_cndmask_b32_sdwa v3, v5, v3, vcc dst_sel:DWORD dst_unused:UNUSED_PAD src0_sel:DWORD src1_sel:WORD_1
.LBB345_1373:
	s_mov_b64 s[0:1], 0
.LBB345_1374:
	s_andn2_b64 vcc, exec, s[0:1]
	s_cbranch_vccnz .LBB345_1376
; %bb.1375:
	global_load_dword v3, v[12:13], off
	s_movk_i32 s0, 0x7fff
	v_mov_b32_e32 v7, 0x7fc0
	s_waitcnt vmcnt(0)
	v_cvt_f32_f16_e32 v5, v3
	v_cmp_o_f16_e32 vcc, v3, v3
	v_bfe_u32 v3, v5, 16, 1
	v_add3_u32 v3, v5, v3, s0
	v_cndmask_b32_sdwa v3, v7, v3, vcc dst_sel:DWORD dst_unused:UNUSED_PAD src0_sel:DWORD src1_sel:WORD_1
.LBB345_1376:
	s_mov_b64 s[0:1], 0
.LBB345_1377:
	s_andn2_b64 vcc, exec, s[0:1]
	s_cbranch_vccnz .LBB345_1388
; %bb.1378:
	s_cmp_lt_i32 s8, 6
	s_cbranch_scc1 .LBB345_1381
; %bb.1379:
	s_cmp_gt_i32 s8, 6
	s_cbranch_scc0 .LBB345_1382
; %bb.1380:
	global_load_dwordx2 v[14:15], v[12:13], off
	s_movk_i32 s0, 0x7fff
	s_waitcnt vmcnt(1)
	v_mov_b32_e32 v3, 0x7fc0
	s_waitcnt vmcnt(0)
	v_cvt_f32_f64_e32 v5, v[14:15]
	v_bfe_u32 v7, v5, 16, 1
	v_cmp_o_f32_e32 vcc, v5, v5
	v_add3_u32 v5, v5, v7, s0
	s_mov_b64 s[0:1], 0
	v_cndmask_b32_sdwa v3, v3, v5, vcc dst_sel:DWORD dst_unused:UNUSED_PAD src0_sel:DWORD src1_sel:WORD_1
	s_branch .LBB345_1383
.LBB345_1381:
	s_mov_b64 s[0:1], -1
                                        ; implicit-def: $vgpr3
	s_branch .LBB345_1386
.LBB345_1382:
	s_mov_b64 s[0:1], -1
                                        ; implicit-def: $vgpr3
.LBB345_1383:
	s_andn2_b64 vcc, exec, s[0:1]
	s_cbranch_vccnz .LBB345_1385
; %bb.1384:
	global_load_dword v3, v[12:13], off
	s_movk_i32 s0, 0x7fff
	v_mov_b32_e32 v5, 0x7fc0
	s_waitcnt vmcnt(0)
	v_bfe_u32 v7, v3, 16, 1
	v_cmp_o_f32_e32 vcc, v3, v3
	v_add3_u32 v3, v3, v7, s0
	s_nop 0
	v_cndmask_b32_sdwa v3, v5, v3, vcc dst_sel:DWORD dst_unused:UNUSED_PAD src0_sel:DWORD src1_sel:WORD_1
.LBB345_1385:
	s_mov_b64 s[0:1], 0
.LBB345_1386:
	s_andn2_b64 vcc, exec, s[0:1]
	s_cbranch_vccnz .LBB345_1388
; %bb.1387:
	global_load_ushort v3, v[12:13], off
	s_movk_i32 s0, 0x7fff
	v_mov_b32_e32 v7, 0x7fc0
	s_waitcnt vmcnt(0)
	v_cvt_f32_f16_e32 v5, v3
	v_cmp_o_f16_e32 vcc, v3, v3
	v_bfe_u32 v3, v5, 16, 1
	v_add3_u32 v3, v5, v3, s0
	v_cndmask_b32_sdwa v3, v7, v3, vcc dst_sel:DWORD dst_unused:UNUSED_PAD src0_sel:DWORD src1_sel:WORD_1
.LBB345_1388:
	s_cbranch_execnz .LBB345_1408
.LBB345_1389:
	s_cmp_lt_i32 s8, 2
	s_cbranch_scc1 .LBB345_1393
; %bb.1390:
	s_cmp_lt_i32 s8, 3
	s_cbranch_scc1 .LBB345_1394
; %bb.1391:
	s_cmp_gt_i32 s8, 3
	s_cbranch_scc0 .LBB345_1395
; %bb.1392:
	global_load_dwordx2 v[14:15], v[12:13], off
	s_movk_i32 s0, 0x7fff
	s_waitcnt vmcnt(0)
	v_xor_b32_e32 v5, v14, v15
	v_ffbh_i32_e32 v3, v15
	v_ashrrev_i32_e32 v5, 31, v5
	v_add_u32_e32 v3, -1, v3
	v_add_u32_e32 v5, 32, v5
	v_min_u32_e32 v3, v3, v5
	v_lshlrev_b64 v[14:15], v3, v[14:15]
	v_min_u32_e32 v5, 1, v14
	v_or_b32_e32 v5, v15, v5
	v_cvt_f32_i32_e32 v5, v5
	v_sub_u32_e32 v3, 32, v3
	v_ldexp_f32 v3, v5, v3
	v_bfe_u32 v5, v3, 16, 1
	v_add3_u32 v3, v3, v5, s0
	v_lshrrev_b32_e32 v3, 16, v3
	s_mov_b64 s[0:1], 0
	s_branch .LBB345_1396
.LBB345_1393:
	s_mov_b64 s[0:1], -1
                                        ; implicit-def: $vgpr3
	s_branch .LBB345_1402
.LBB345_1394:
	s_mov_b64 s[0:1], -1
                                        ; implicit-def: $vgpr3
	s_branch .LBB345_1399
.LBB345_1395:
	s_mov_b64 s[0:1], -1
                                        ; implicit-def: $vgpr3
.LBB345_1396:
	s_andn2_b64 vcc, exec, s[0:1]
	s_cbranch_vccnz .LBB345_1398
; %bb.1397:
	global_load_dword v3, v[12:13], off
	s_movk_i32 s0, 0x7fff
	s_waitcnt vmcnt(0)
	v_cvt_f32_i32_e32 v3, v3
	v_bfe_u32 v5, v3, 16, 1
	v_add3_u32 v3, v3, v5, s0
	v_lshrrev_b32_e32 v3, 16, v3
.LBB345_1398:
	s_mov_b64 s[0:1], 0
.LBB345_1399:
	s_andn2_b64 vcc, exec, s[0:1]
	s_cbranch_vccnz .LBB345_1401
; %bb.1400:
	global_load_sshort v3, v[12:13], off
	s_movk_i32 s0, 0x7fff
	s_waitcnt vmcnt(0)
	v_cvt_f32_i32_e32 v3, v3
	v_bfe_u32 v5, v3, 16, 1
	v_add3_u32 v3, v3, v5, s0
	v_lshrrev_b32_e32 v3, 16, v3
.LBB345_1401:
	s_mov_b64 s[0:1], 0
.LBB345_1402:
	s_andn2_b64 vcc, exec, s[0:1]
	s_cbranch_vccnz .LBB345_1408
; %bb.1403:
	s_cmp_gt_i32 s8, 0
	s_cbranch_scc0 .LBB345_1405
; %bb.1404:
	global_load_sbyte v3, v[12:13], off
	s_movk_i32 s0, 0x7fff
	s_waitcnt vmcnt(0)
	v_cvt_f32_i32_e32 v3, v3
	v_bfe_u32 v5, v3, 16, 1
	v_add3_u32 v3, v3, v5, s0
	v_lshrrev_b32_e32 v3, 16, v3
	s_mov_b64 s[0:1], 0
	s_branch .LBB345_1406
.LBB345_1405:
	s_mov_b64 s[0:1], -1
                                        ; implicit-def: $vgpr3
.LBB345_1406:
	s_andn2_b64 vcc, exec, s[0:1]
	s_cbranch_vccnz .LBB345_1408
; %bb.1407:
	global_load_ubyte v3, v[12:13], off
	s_movk_i32 s0, 0x7fff
	s_waitcnt vmcnt(0)
	v_cvt_f32_ubyte0_e32 v3, v3
	v_bfe_u32 v5, v3, 16, 1
	v_add3_u32 v3, v3, v5, s0
	v_lshrrev_b32_e32 v3, 16, v3
.LBB345_1408:
.LBB345_1409:
	s_waitcnt vmcnt(0)
	v_lshlrev_b32_e32 v5, 16, v3
	v_cmp_o_f32_e32 vcc, v5, v5
	s_and_saveexec_b64 s[0:1], vcc
; %bb.1410:
	s_lshl_b32 s8, s17, 16
	v_mov_b32_e32 v7, s17
	v_cmp_lt_f32_e32 vcc, s8, v5
	s_lshl_b32 s8, s16, 16
	s_nop 0
	v_cndmask_b32_e32 v3, v7, v3, vcc
	v_lshlrev_b32_e32 v5, 16, v3
	v_mov_b32_e32 v7, s16
	v_cmp_gt_f32_e32 vcc, s8, v5
	s_nop 1
	v_cndmask_b32_e32 v3, v7, v3, vcc
; %bb.1411:
	s_or_b64 exec, exec, s[0:1]
	v_mov_b32_e32 v11, 0
	s_cmp_lt_i32 s18, 11
	v_lshl_add_u64 v[10:11], s[6:7], 0, v[10:11]
	s_cbranch_scc1 .LBB345_1418
; %bb.1412:
	s_and_b32 s19, 0xffff, s18
	s_cmp_gt_i32 s19, 25
	s_mov_b64 s[8:9], 0
	s_cbranch_scc0 .LBB345_1420
; %bb.1413:
	s_cmp_gt_i32 s19, 28
	s_cbranch_scc0 .LBB345_1421
; %bb.1414:
	s_cmp_gt_i32 s19, 43
	s_cbranch_scc0 .LBB345_1422
; %bb.1415:
	s_cmp_gt_i32 s19, 45
	s_cbranch_scc0 .LBB345_1424
; %bb.1416:
	s_cmp_eq_u32 s19, 46
	s_mov_b64 s[12:13], 0
	s_cbranch_scc0 .LBB345_1425
; %bb.1417:
	global_load_dword v12, v[10:11], off
	s_mov_b64 s[0:1], 0
	s_mov_b64 s[10:11], -1
	s_branch .LBB345_1426
.LBB345_1418:
	s_mov_b64 s[10:11], 0
                                        ; implicit-def: $vgpr12
	s_cbranch_execnz .LBB345_1492
.LBB345_1419:
	s_andn2_b64 vcc, exec, s[10:11]
	s_cbranch_vccnz .LBB345_1752
	s_branch .LBB345_1540
.LBB345_1420:
	s_mov_b64 s[12:13], -1
	s_mov_b64 s[10:11], 0
	s_mov_b64 s[0:1], 0
                                        ; implicit-def: $vgpr12
	s_branch .LBB345_1455
.LBB345_1421:
	s_mov_b64 s[12:13], -1
	s_mov_b64 s[10:11], 0
	s_mov_b64 s[0:1], 0
                                        ; implicit-def: $vgpr12
	s_branch .LBB345_1436
.LBB345_1422:
	s_mov_b64 s[12:13], -1
	s_mov_b64 s[10:11], 0
	s_mov_b64 s[0:1], 0
                                        ; implicit-def: $vgpr12
	s_branch .LBB345_1431
.LBB345_1423:
	s_trap 2
	s_or_b64 s[2:3], s[2:3], exec
	s_cbranch_execz .LBB345_1360
	s_branch .LBB345_1361
.LBB345_1424:
	s_mov_b64 s[12:13], -1
	s_mov_b64 s[10:11], 0
	s_mov_b64 s[0:1], 0
                                        ; implicit-def: $vgpr12
	s_branch .LBB345_1426
.LBB345_1425:
	s_mov_b64 s[0:1], -1
                                        ; implicit-def: $vgpr12
	s_mov_b64 s[10:11], 0
.LBB345_1426:
	s_and_b64 vcc, exec, s[12:13]
	s_cbranch_vccz .LBB345_1430
; %bb.1427:
	s_cmp_eq_u32 s19, 44
	s_cbranch_scc0 .LBB345_1429
; %bb.1428:
	global_load_ubyte v5, v[10:11], off
	s_movk_i32 s10, 0xff
	v_mov_b32_e32 v7, 0x7f800001
	v_mov_b32_e32 v9, 0x400000
	s_waitcnt vmcnt(1)
	v_mov_b32_e32 v12, 0x7fc0
	s_mov_b64 s[0:1], 0
	s_waitcnt vmcnt(0)
	v_lshlrev_b32_e32 v13, 23, v5
	v_cmp_ne_u32_e32 vcc, s10, v5
	s_mov_b64 s[10:11], -1
	s_nop 0
	v_cndmask_b32_e32 v7, v7, v13, vcc
	v_cmp_ne_u32_e32 vcc, 0, v5
	s_nop 1
	v_cndmask_b32_e32 v5, v9, v7, vcc
	v_add_u32_e32 v7, 0x7fff, v5
	v_cmp_o_f32_e32 vcc, v5, v5
	s_nop 1
	v_cndmask_b32_sdwa v12, v12, v7, vcc dst_sel:DWORD dst_unused:UNUSED_PAD src0_sel:DWORD src1_sel:WORD_1
	s_branch .LBB345_1430
.LBB345_1429:
	s_mov_b64 s[0:1], -1
                                        ; implicit-def: $vgpr12
.LBB345_1430:
	s_mov_b64 s[12:13], 0
.LBB345_1431:
	s_and_b64 vcc, exec, s[12:13]
	s_cbranch_vccz .LBB345_1435
; %bb.1432:
	s_cmp_eq_u32 s19, 29
	s_cbranch_scc0 .LBB345_1434
; %bb.1433:
	global_load_dwordx2 v[12:13], v[10:11], off
	s_movk_i32 s10, 0x7fff
	s_mov_b64 s[0:1], 0
	s_mov_b64 s[12:13], 0
	s_waitcnt vmcnt(0)
	v_ffbh_u32_e32 v5, v13
	v_min_u32_e32 v5, 32, v5
	v_lshlrev_b64 v[12:13], v5, v[12:13]
	v_min_u32_e32 v7, 1, v12
	v_or_b32_e32 v7, v13, v7
	v_cvt_f32_u32_e32 v7, v7
	v_sub_u32_e32 v5, 32, v5
	v_ldexp_f32 v5, v7, v5
	v_bfe_u32 v7, v5, 16, 1
	v_add3_u32 v5, v5, v7, s10
	v_lshrrev_b32_e32 v12, 16, v5
	s_mov_b64 s[10:11], -1
	s_branch .LBB345_1436
.LBB345_1434:
	s_mov_b64 s[0:1], -1
                                        ; implicit-def: $vgpr12
.LBB345_1435:
	s_mov_b64 s[12:13], 0
.LBB345_1436:
	s_and_b64 vcc, exec, s[12:13]
	s_cbranch_vccz .LBB345_1454
; %bb.1437:
	s_cmp_lt_i32 s19, 27
	s_cbranch_scc1 .LBB345_1440
; %bb.1438:
	s_cmp_gt_i32 s19, 27
	s_cbranch_scc0 .LBB345_1441
; %bb.1439:
	global_load_dword v5, v[10:11], off
	s_movk_i32 s10, 0x7fff
	s_waitcnt vmcnt(0)
	v_cvt_f32_u32_e32 v5, v5
	v_bfe_u32 v7, v5, 16, 1
	v_add3_u32 v5, v5, v7, s10
	v_lshrrev_b32_e32 v12, 16, v5
	s_mov_b64 s[10:11], 0
	s_branch .LBB345_1442
.LBB345_1440:
	s_mov_b64 s[10:11], -1
                                        ; implicit-def: $vgpr12
	s_branch .LBB345_1445
.LBB345_1441:
	s_mov_b64 s[10:11], -1
                                        ; implicit-def: $vgpr12
.LBB345_1442:
	s_andn2_b64 vcc, exec, s[10:11]
	s_cbranch_vccnz .LBB345_1444
; %bb.1443:
	global_load_ushort v5, v[10:11], off
	s_movk_i32 s10, 0x7fff
	s_waitcnt vmcnt(0)
	v_cvt_f32_u32_e32 v5, v5
	v_bfe_u32 v7, v5, 16, 1
	v_add3_u32 v5, v5, v7, s10
	v_lshrrev_b32_e32 v12, 16, v5
.LBB345_1444:
	s_mov_b64 s[10:11], 0
.LBB345_1445:
	s_andn2_b64 vcc, exec, s[10:11]
	s_cbranch_vccnz .LBB345_1453
; %bb.1446:
	global_load_ubyte v5, v[10:11], off
	s_movk_i32 s10, 0x7f
	s_waitcnt vmcnt(0)
	v_cmp_lt_i16_e32 vcc, s10, v5
	s_mov_b64 s[10:11], 0
	s_and_saveexec_b64 s[12:13], vcc
	s_xor_b64 s[12:13], exec, s[12:13]
	s_cbranch_execz .LBB345_1467
; %bb.1447:
	s_movk_i32 s10, 0x80
	v_cmp_eq_u16_e32 vcc, s10, v5
	s_mov_b64 s[10:11], -1
	s_and_saveexec_b64 s[14:15], vcc
; %bb.1448:
	s_xor_b64 s[10:11], exec, -1
; %bb.1449:
	s_or_b64 exec, exec, s[14:15]
	s_and_b64 s[10:11], s[10:11], exec
	s_or_saveexec_b64 s[12:13], s[12:13]
	v_mov_b32_e32 v7, 0x7f800001
	s_xor_b64 exec, exec, s[12:13]
	s_cbranch_execnz .LBB345_1468
.LBB345_1450:
	s_or_b64 exec, exec, s[12:13]
	s_and_saveexec_b64 s[12:13], s[10:11]
	s_cbranch_execz .LBB345_1452
.LBB345_1451:
	v_lshlrev_b32_e32 v7, 24, v5
	v_and_b32_e32 v5, 0xffff, v5
	v_and_b32_e32 v9, 7, v5
	v_ffbh_u32_e32 v13, v9
	v_min_u32_e32 v13, 32, v13
	v_subrev_u32_e32 v14, 28, v13
	v_bfe_u32 v12, v5, 3, 4
	v_lshlrev_b32_e32 v5, v14, v5
	v_sub_u32_e32 v13, 29, v13
	v_and_b32_e32 v5, 7, v5
	v_cmp_eq_u32_e32 vcc, 0, v12
	v_and_b32_e32 v7, 0x80000000, v7
	s_nop 0
	v_cndmask_b32_e32 v12, v12, v13, vcc
	v_cndmask_b32_e32 v5, v9, v5, vcc
	v_mov_b32_e32 v9, 0x3b800000
	v_lshlrev_b32_e32 v5, 20, v5
	v_lshl_add_u32 v9, v12, 23, v9
	v_or3_b32 v7, v7, v9, v5
.LBB345_1452:
	s_or_b64 exec, exec, s[12:13]
	v_bfe_u32 v5, v7, 16, 1
	s_movk_i32 s10, 0x7fff
	v_add3_u32 v5, v7, v5, s10
	v_cmp_o_f32_e32 vcc, v7, v7
	v_mov_b32_e32 v7, 0x7fc0
	s_nop 0
	v_cndmask_b32_sdwa v12, v7, v5, vcc dst_sel:DWORD dst_unused:UNUSED_PAD src0_sel:DWORD src1_sel:WORD_1
.LBB345_1453:
	s_mov_b64 s[10:11], -1
.LBB345_1454:
	s_mov_b64 s[12:13], 0
.LBB345_1455:
	s_and_b64 vcc, exec, s[12:13]
	s_cbranch_vccz .LBB345_1488
; %bb.1456:
	s_cmp_gt_i32 s19, 22
	s_cbranch_scc0 .LBB345_1466
; %bb.1457:
	s_cmp_lt_i32 s19, 24
	s_cbranch_scc1 .LBB345_1469
; %bb.1458:
	s_cmp_gt_i32 s19, 24
	s_cbranch_scc0 .LBB345_1470
; %bb.1459:
	global_load_ubyte v5, v[10:11], off
	s_movk_i32 s8, 0x7f
	s_waitcnt vmcnt(0)
	v_cmp_lt_i16_e32 vcc, s8, v5
	s_mov_b64 s[8:9], 0
	s_and_saveexec_b64 s[10:11], vcc
	s_xor_b64 s[10:11], exec, s[10:11]
	s_cbranch_execz .LBB345_1482
; %bb.1460:
	s_movk_i32 s8, 0x80
	v_cmp_eq_u16_e32 vcc, s8, v5
	s_mov_b64 s[8:9], -1
	s_and_saveexec_b64 s[12:13], vcc
; %bb.1461:
	s_xor_b64 s[8:9], exec, -1
; %bb.1462:
	s_or_b64 exec, exec, s[12:13]
	s_and_b64 s[8:9], s[8:9], exec
	s_or_saveexec_b64 s[10:11], s[10:11]
	v_mov_b32_e32 v7, 0x7f800001
	s_xor_b64 exec, exec, s[10:11]
	s_cbranch_execnz .LBB345_1483
.LBB345_1463:
	s_or_b64 exec, exec, s[10:11]
	s_and_saveexec_b64 s[10:11], s[8:9]
	s_cbranch_execz .LBB345_1465
.LBB345_1464:
	v_lshlrev_b32_e32 v7, 24, v5
	v_and_b32_e32 v5, 0xffff, v5
	v_and_b32_e32 v9, 3, v5
	v_ffbh_u32_e32 v13, v9
	v_min_u32_e32 v13, 32, v13
	v_subrev_u32_e32 v14, 29, v13
	v_bfe_u32 v12, v5, 2, 5
	v_lshlrev_b32_e32 v5, v14, v5
	v_sub_u32_e32 v13, 30, v13
	v_and_b32_e32 v5, 3, v5
	v_cmp_eq_u32_e32 vcc, 0, v12
	v_and_b32_e32 v7, 0x80000000, v7
	s_nop 0
	v_cndmask_b32_e32 v12, v12, v13, vcc
	v_cndmask_b32_e32 v5, v9, v5, vcc
	v_mov_b32_e32 v9, 0x37800000
	v_lshlrev_b32_e32 v5, 21, v5
	v_lshl_add_u32 v9, v12, 23, v9
	v_or3_b32 v7, v7, v9, v5
.LBB345_1465:
	s_or_b64 exec, exec, s[10:11]
	v_bfe_u32 v5, v7, 16, 1
	s_movk_i32 s8, 0x7fff
	v_add3_u32 v5, v7, v5, s8
	v_cmp_o_f32_e32 vcc, v7, v7
	v_mov_b32_e32 v7, 0x7fc0
	s_mov_b64 s[8:9], 0
	v_cndmask_b32_sdwa v12, v7, v5, vcc dst_sel:DWORD dst_unused:UNUSED_PAD src0_sel:DWORD src1_sel:WORD_1
	s_branch .LBB345_1471
.LBB345_1466:
	s_mov_b64 s[8:9], -1
                                        ; implicit-def: $vgpr12
	s_branch .LBB345_1477
.LBB345_1467:
	s_or_saveexec_b64 s[12:13], s[12:13]
	v_mov_b32_e32 v7, 0x7f800001
	s_xor_b64 exec, exec, s[12:13]
	s_cbranch_execz .LBB345_1450
.LBB345_1468:
	v_cmp_ne_u16_e32 vcc, 0, v5
	s_andn2_b64 s[10:11], s[10:11], exec
	s_and_b64 s[14:15], vcc, exec
	v_mov_b32_e32 v7, 0
	s_or_b64 s[10:11], s[10:11], s[14:15]
	s_or_b64 exec, exec, s[12:13]
	s_and_saveexec_b64 s[12:13], s[10:11]
	s_cbranch_execnz .LBB345_1451
	s_branch .LBB345_1452
.LBB345_1469:
	s_mov_b64 s[8:9], -1
                                        ; implicit-def: $vgpr12
	s_branch .LBB345_1474
.LBB345_1470:
	s_mov_b64 s[8:9], -1
                                        ; implicit-def: $vgpr12
.LBB345_1471:
	s_and_b64 vcc, exec, s[8:9]
	s_cbranch_vccz .LBB345_1473
; %bb.1472:
	global_load_ubyte v5, v[10:11], off
	s_mov_b32 s8, 0x7f800000
	s_brev_b32 s9, 1
	s_movk_i32 s10, 0x7fff
	s_waitcnt vmcnt(0)
	v_lshlrev_b32_e32 v5, 24, v5
	v_and_b32_e32 v7, 0x7f000000, v5
	v_ffbh_u32_e32 v9, v7
	v_min_u32_e32 v9, 32, v9
	v_sub_u32_e64 v9, v9, 4 clamp
	v_lshlrev_b32_e32 v13, v9, v7
	v_lshlrev_b32_e32 v9, 23, v9
	v_lshrrev_b32_e32 v13, 4, v13
	v_add_u32_e32 v12, 0x1000000, v7
	v_sub_u32_e32 v9, v13, v9
	v_ashrrev_i32_e32 v12, 8, v12
	v_add_u32_e32 v9, 0x3c000000, v9
	v_and_or_b32 v9, v12, s8, v9
	v_cmp_ne_u32_e32 vcc, 0, v7
	s_nop 1
	v_cndmask_b32_e32 v7, 0, v9, vcc
	v_and_or_b32 v5, v5, s9, v7
	v_bfe_u32 v7, v7, 16, 1
	v_add3_u32 v7, v5, v7, s10
	v_cmp_o_f32_e32 vcc, v5, v5
	v_mov_b32_e32 v5, 0x7fc0
	s_nop 0
	v_cndmask_b32_sdwa v12, v5, v7, vcc dst_sel:DWORD dst_unused:UNUSED_PAD src0_sel:DWORD src1_sel:WORD_1
.LBB345_1473:
	s_mov_b64 s[8:9], 0
.LBB345_1474:
	s_andn2_b64 vcc, exec, s[8:9]
	s_cbranch_vccnz .LBB345_1476
; %bb.1475:
	global_load_ubyte v5, v[10:11], off
	s_movk_i32 s8, 0x7f00
	s_brev_b32 s9, 16
	s_brev_b32 s10, 1
	s_movk_i32 s11, 0x7fff
	s_waitcnt vmcnt(0)
	v_lshlrev_b16_e32 v7, 8, v5
	v_lshlrev_b32_e32 v5, 25, v5
	v_lshrrev_b32_e32 v9, 4, v5
	v_and_or_b32 v12, v7, s8, 0.5
	v_or_b32_e32 v9, 0x70000000, v9
	v_add_f32_e32 v12, -0.5, v12
	v_mul_f32_e32 v9, 0x7800000, v9
	v_cmp_gt_u32_e32 vcc, s9, v5
	v_bfe_i32 v7, v7, 0, 16
	s_nop 0
	v_cndmask_b32_e32 v5, v9, v12, vcc
	v_and_or_b32 v7, v7, s10, v5
	v_bfe_u32 v5, v5, 16, 1
	v_add3_u32 v5, v7, v5, s11
	v_cmp_o_f32_e32 vcc, v7, v7
	v_mov_b32_e32 v7, 0x7fc0
	s_nop 0
	v_cndmask_b32_sdwa v12, v7, v5, vcc dst_sel:DWORD dst_unused:UNUSED_PAD src0_sel:DWORD src1_sel:WORD_1
.LBB345_1476:
	s_mov_b64 s[8:9], 0
	s_mov_b64 s[10:11], -1
.LBB345_1477:
	s_andn2_b64 vcc, exec, s[8:9]
	s_mov_b64 s[8:9], 0
	s_cbranch_vccnz .LBB345_1488
; %bb.1478:
	s_cmp_gt_i32 s19, 14
	s_cbranch_scc0 .LBB345_1481
; %bb.1479:
	s_cmp_eq_u32 s19, 15
	s_cbranch_scc0 .LBB345_1484
; %bb.1480:
	global_load_ushort v12, v[10:11], off
	s_mov_b64 s[0:1], 0
	s_mov_b64 s[10:11], -1
	s_branch .LBB345_1485
.LBB345_1481:
	s_mov_b64 s[12:13], -1
                                        ; implicit-def: $vgpr12
	s_branch .LBB345_1486
.LBB345_1482:
	s_or_saveexec_b64 s[10:11], s[10:11]
	v_mov_b32_e32 v7, 0x7f800001
	s_xor_b64 exec, exec, s[10:11]
	s_cbranch_execz .LBB345_1463
.LBB345_1483:
	v_cmp_ne_u16_e32 vcc, 0, v5
	s_andn2_b64 s[8:9], s[8:9], exec
	s_and_b64 s[12:13], vcc, exec
	v_mov_b32_e32 v7, 0
	s_or_b64 s[8:9], s[8:9], s[12:13]
	s_or_b64 exec, exec, s[10:11]
	s_and_saveexec_b64 s[10:11], s[8:9]
	s_cbranch_execnz .LBB345_1464
	s_branch .LBB345_1465
.LBB345_1484:
	s_mov_b64 s[0:1], -1
                                        ; implicit-def: $vgpr12
.LBB345_1485:
	s_mov_b64 s[12:13], 0
.LBB345_1486:
	s_and_b64 vcc, exec, s[12:13]
	s_cbranch_vccz .LBB345_1488
; %bb.1487:
	s_cmp_lg_u32 s19, 11
	s_mov_b64 s[8:9], -1
	s_cselect_b64 s[0:1], -1, 0
.LBB345_1488:
	s_and_b64 vcc, exec, s[0:1]
	s_cbranch_vccnz .LBB345_1553
; %bb.1489:
	s_andn2_b64 vcc, exec, s[8:9]
	s_cbranch_vccnz .LBB345_1491
.LBB345_1490:
	global_load_ubyte v5, v[10:11], off
	s_mov_b64 s[10:11], -1
	s_waitcnt vmcnt(0)
	v_cmp_ne_u16_e32 vcc, 0, v5
	s_nop 1
	v_cndmask_b32_e64 v5, 0, 1.0, vcc
	v_lshrrev_b32_e32 v12, 16, v5
.LBB345_1491:
	s_branch .LBB345_1419
.LBB345_1492:
	s_and_b32 s8, 0xffff, s18
	s_cmp_lt_i32 s8, 5
	s_cbranch_scc1 .LBB345_1497
; %bb.1493:
	s_cmp_lt_i32 s8, 8
	s_cbranch_scc1 .LBB345_1498
; %bb.1494:
	;; [unrolled: 3-line block ×3, first 2 shown]
	s_cmp_gt_i32 s8, 9
	s_cbranch_scc0 .LBB345_1500
; %bb.1496:
	global_load_dwordx2 v[12:13], v[10:11], off
	s_movk_i32 s0, 0x7fff
	v_mov_b32_e32 v5, 0x7fc0
	s_waitcnt vmcnt(0)
	v_cvt_f32_f64_e32 v7, v[12:13]
	v_bfe_u32 v9, v7, 16, 1
	v_cmp_o_f32_e32 vcc, v7, v7
	v_add3_u32 v7, v7, v9, s0
	s_mov_b64 s[0:1], 0
	v_cndmask_b32_sdwa v12, v5, v7, vcc dst_sel:DWORD dst_unused:UNUSED_PAD src0_sel:DWORD src1_sel:WORD_1
	s_branch .LBB345_1501
.LBB345_1497:
	s_mov_b64 s[0:1], -1
                                        ; implicit-def: $vgpr12
	s_branch .LBB345_1519
.LBB345_1498:
	s_mov_b64 s[0:1], -1
                                        ; implicit-def: $vgpr12
	s_branch .LBB345_1507
.LBB345_1499:
	s_mov_b64 s[0:1], -1
                                        ; implicit-def: $vgpr12
	s_branch .LBB345_1504
.LBB345_1500:
	s_mov_b64 s[0:1], -1
                                        ; implicit-def: $vgpr12
.LBB345_1501:
	s_andn2_b64 vcc, exec, s[0:1]
	s_cbranch_vccnz .LBB345_1503
; %bb.1502:
	global_load_dword v5, v[10:11], off
	s_movk_i32 s0, 0x7fff
	v_mov_b32_e32 v7, 0x7fc0
	s_waitcnt vmcnt(0)
	v_bfe_u32 v9, v5, 16, 1
	v_cmp_o_f32_e32 vcc, v5, v5
	v_add3_u32 v5, v5, v9, s0
	s_nop 0
	v_cndmask_b32_sdwa v12, v7, v5, vcc dst_sel:DWORD dst_unused:UNUSED_PAD src0_sel:DWORD src1_sel:WORD_1
.LBB345_1503:
	s_mov_b64 s[0:1], 0
.LBB345_1504:
	s_andn2_b64 vcc, exec, s[0:1]
	s_cbranch_vccnz .LBB345_1506
; %bb.1505:
	global_load_dword v5, v[10:11], off
	s_movk_i32 s0, 0x7fff
	v_mov_b32_e32 v9, 0x7fc0
	s_waitcnt vmcnt(0)
	v_cvt_f32_f16_e32 v7, v5
	v_cmp_o_f16_e32 vcc, v5, v5
	v_bfe_u32 v5, v7, 16, 1
	v_add3_u32 v5, v7, v5, s0
	v_cndmask_b32_sdwa v12, v9, v5, vcc dst_sel:DWORD dst_unused:UNUSED_PAD src0_sel:DWORD src1_sel:WORD_1
.LBB345_1506:
	s_mov_b64 s[0:1], 0
.LBB345_1507:
	s_andn2_b64 vcc, exec, s[0:1]
	s_cbranch_vccnz .LBB345_1518
; %bb.1508:
	s_cmp_lt_i32 s8, 6
	s_cbranch_scc1 .LBB345_1511
; %bb.1509:
	s_cmp_gt_i32 s8, 6
	s_cbranch_scc0 .LBB345_1512
; %bb.1510:
	global_load_dwordx2 v[12:13], v[10:11], off
	s_movk_i32 s0, 0x7fff
	v_mov_b32_e32 v5, 0x7fc0
	s_waitcnt vmcnt(0)
	v_cvt_f32_f64_e32 v7, v[12:13]
	v_bfe_u32 v9, v7, 16, 1
	v_cmp_o_f32_e32 vcc, v7, v7
	v_add3_u32 v7, v7, v9, s0
	s_mov_b64 s[0:1], 0
	v_cndmask_b32_sdwa v12, v5, v7, vcc dst_sel:DWORD dst_unused:UNUSED_PAD src0_sel:DWORD src1_sel:WORD_1
	s_branch .LBB345_1513
.LBB345_1511:
	s_mov_b64 s[0:1], -1
                                        ; implicit-def: $vgpr12
	s_branch .LBB345_1516
.LBB345_1512:
	s_mov_b64 s[0:1], -1
                                        ; implicit-def: $vgpr12
.LBB345_1513:
	s_andn2_b64 vcc, exec, s[0:1]
	s_cbranch_vccnz .LBB345_1515
; %bb.1514:
	global_load_dword v5, v[10:11], off
	s_movk_i32 s0, 0x7fff
	v_mov_b32_e32 v7, 0x7fc0
	s_waitcnt vmcnt(0)
	v_bfe_u32 v9, v5, 16, 1
	v_cmp_o_f32_e32 vcc, v5, v5
	v_add3_u32 v5, v5, v9, s0
	s_nop 0
	v_cndmask_b32_sdwa v12, v7, v5, vcc dst_sel:DWORD dst_unused:UNUSED_PAD src0_sel:DWORD src1_sel:WORD_1
.LBB345_1515:
	s_mov_b64 s[0:1], 0
.LBB345_1516:
	s_andn2_b64 vcc, exec, s[0:1]
	s_cbranch_vccnz .LBB345_1518
; %bb.1517:
	global_load_ushort v5, v[10:11], off
	s_movk_i32 s0, 0x7fff
	v_mov_b32_e32 v9, 0x7fc0
	s_waitcnt vmcnt(0)
	v_cvt_f32_f16_e32 v7, v5
	v_cmp_o_f16_e32 vcc, v5, v5
	v_bfe_u32 v5, v7, 16, 1
	v_add3_u32 v5, v7, v5, s0
	v_cndmask_b32_sdwa v12, v9, v5, vcc dst_sel:DWORD dst_unused:UNUSED_PAD src0_sel:DWORD src1_sel:WORD_1
.LBB345_1518:
	s_mov_b64 s[0:1], 0
.LBB345_1519:
	s_andn2_b64 vcc, exec, s[0:1]
	s_cbranch_vccnz .LBB345_1539
; %bb.1520:
	s_cmp_lt_i32 s8, 2
	s_cbranch_scc1 .LBB345_1524
; %bb.1521:
	s_cmp_lt_i32 s8, 3
	s_cbranch_scc1 .LBB345_1525
; %bb.1522:
	s_cmp_gt_i32 s8, 3
	s_cbranch_scc0 .LBB345_1526
; %bb.1523:
	global_load_dwordx2 v[12:13], v[10:11], off
	s_movk_i32 s0, 0x7fff
	s_waitcnt vmcnt(0)
	v_xor_b32_e32 v7, v12, v13
	v_ffbh_i32_e32 v5, v13
	v_ashrrev_i32_e32 v7, 31, v7
	v_add_u32_e32 v5, -1, v5
	v_add_u32_e32 v7, 32, v7
	v_min_u32_e32 v5, v5, v7
	v_lshlrev_b64 v[12:13], v5, v[12:13]
	v_min_u32_e32 v7, 1, v12
	v_or_b32_e32 v7, v13, v7
	v_cvt_f32_i32_e32 v7, v7
	v_sub_u32_e32 v5, 32, v5
	v_ldexp_f32 v5, v7, v5
	v_bfe_u32 v7, v5, 16, 1
	v_add3_u32 v5, v5, v7, s0
	v_lshrrev_b32_e32 v12, 16, v5
	s_mov_b64 s[0:1], 0
	s_branch .LBB345_1527
.LBB345_1524:
	s_mov_b64 s[0:1], -1
                                        ; implicit-def: $vgpr12
	s_branch .LBB345_1533
.LBB345_1525:
	s_mov_b64 s[0:1], -1
                                        ; implicit-def: $vgpr12
	s_branch .LBB345_1530
.LBB345_1526:
	s_mov_b64 s[0:1], -1
                                        ; implicit-def: $vgpr12
.LBB345_1527:
	s_andn2_b64 vcc, exec, s[0:1]
	s_cbranch_vccnz .LBB345_1529
; %bb.1528:
	global_load_dword v5, v[10:11], off
	s_movk_i32 s0, 0x7fff
	s_waitcnt vmcnt(0)
	v_cvt_f32_i32_e32 v5, v5
	v_bfe_u32 v7, v5, 16, 1
	v_add3_u32 v5, v5, v7, s0
	v_lshrrev_b32_e32 v12, 16, v5
.LBB345_1529:
	s_mov_b64 s[0:1], 0
.LBB345_1530:
	s_andn2_b64 vcc, exec, s[0:1]
	s_cbranch_vccnz .LBB345_1532
; %bb.1531:
	global_load_sshort v5, v[10:11], off
	s_movk_i32 s0, 0x7fff
	s_waitcnt vmcnt(0)
	v_cvt_f32_i32_e32 v5, v5
	v_bfe_u32 v7, v5, 16, 1
	v_add3_u32 v5, v5, v7, s0
	v_lshrrev_b32_e32 v12, 16, v5
.LBB345_1532:
	s_mov_b64 s[0:1], 0
.LBB345_1533:
	s_andn2_b64 vcc, exec, s[0:1]
	s_cbranch_vccnz .LBB345_1539
; %bb.1534:
	s_cmp_gt_i32 s8, 0
	s_cbranch_scc0 .LBB345_1536
; %bb.1535:
	global_load_sbyte v5, v[10:11], off
	s_movk_i32 s0, 0x7fff
	s_waitcnt vmcnt(0)
	v_cvt_f32_i32_e32 v5, v5
	v_bfe_u32 v7, v5, 16, 1
	v_add3_u32 v5, v5, v7, s0
	v_lshrrev_b32_e32 v12, 16, v5
	s_mov_b64 s[0:1], 0
	s_branch .LBB345_1537
.LBB345_1536:
	s_mov_b64 s[0:1], -1
                                        ; implicit-def: $vgpr12
.LBB345_1537:
	s_andn2_b64 vcc, exec, s[0:1]
	s_cbranch_vccnz .LBB345_1539
; %bb.1538:
	global_load_ubyte v5, v[10:11], off
	s_movk_i32 s0, 0x7fff
	s_waitcnt vmcnt(0)
	v_cvt_f32_ubyte0_e32 v5, v5
	v_bfe_u32 v7, v5, 16, 1
	v_add3_u32 v5, v5, v7, s0
	v_lshrrev_b32_e32 v12, 16, v5
.LBB345_1539:
.LBB345_1540:
	s_waitcnt vmcnt(0)
	v_lshlrev_b32_e32 v5, 16, v12
	v_cmp_o_f32_e32 vcc, v5, v5
	s_and_saveexec_b64 s[0:1], vcc
; %bb.1541:
	s_lshl_b32 s8, s17, 16
	v_mov_b32_e32 v7, s17
	v_cmp_lt_f32_e32 vcc, s8, v5
	s_lshl_b32 s8, s16, 16
	v_mov_b32_e32 v9, s16
	v_cndmask_b32_e32 v5, v7, v12, vcc
	v_lshlrev_b32_e32 v7, 16, v5
	v_cmp_gt_f32_e32 vcc, s8, v7
	s_nop 1
	v_cndmask_b32_e32 v12, v9, v5, vcc
; %bb.1542:
	s_or_b64 exec, exec, s[0:1]
	v_mov_b32_e32 v9, 0
	s_cmp_lt_i32 s18, 11
	v_lshl_add_u64 v[8:9], s[6:7], 0, v[8:9]
	s_cbranch_scc1 .LBB345_1549
; %bb.1543:
	s_and_b32 s14, 0xffff, s18
	s_cmp_gt_i32 s14, 25
	s_mov_b64 s[6:7], 0
	s_cbranch_scc0 .LBB345_1550
; %bb.1544:
	s_cmp_gt_i32 s14, 28
	s_cbranch_scc0 .LBB345_1551
; %bb.1545:
	s_cmp_gt_i32 s14, 43
	;; [unrolled: 3-line block ×3, first 2 shown]
	s_cbranch_scc0 .LBB345_1554
; %bb.1547:
	s_cmp_eq_u32 s14, 46
	s_mov_b64 s[10:11], 0
	s_cbranch_scc0 .LBB345_1555
; %bb.1548:
	global_load_dword v10, v[8:9], off
	s_mov_b64 s[0:1], 0
	s_mov_b64 s[8:9], -1
	s_branch .LBB345_1556
.LBB345_1549:
	s_mov_b64 s[0:1], -1
	s_mov_b64 s[8:9], 0
                                        ; implicit-def: $vgpr10
	s_branch .LBB345_1622
.LBB345_1550:
	s_mov_b64 s[10:11], -1
	s_mov_b64 s[8:9], 0
	s_mov_b64 s[0:1], 0
                                        ; implicit-def: $vgpr10
	s_branch .LBB345_1585
.LBB345_1551:
	s_mov_b64 s[10:11], -1
	s_mov_b64 s[8:9], 0
	s_mov_b64 s[0:1], 0
                                        ; implicit-def: $vgpr10
	s_branch .LBB345_1566
.LBB345_1552:
	s_mov_b64 s[10:11], -1
	s_mov_b64 s[8:9], 0
	s_mov_b64 s[0:1], 0
                                        ; implicit-def: $vgpr10
	s_branch .LBB345_1561
.LBB345_1553:
	s_trap 2
	s_or_b64 s[2:3], s[2:3], exec
	s_cbranch_execz .LBB345_1490
	s_branch .LBB345_1491
.LBB345_1554:
	s_mov_b64 s[10:11], -1
	s_mov_b64 s[8:9], 0
	s_mov_b64 s[0:1], 0
                                        ; implicit-def: $vgpr10
	s_branch .LBB345_1556
.LBB345_1555:
	s_mov_b64 s[0:1], -1
                                        ; implicit-def: $vgpr10
	s_mov_b64 s[8:9], 0
.LBB345_1556:
	s_and_b64 vcc, exec, s[10:11]
	s_cbranch_vccz .LBB345_1560
; %bb.1557:
	s_cmp_eq_u32 s14, 44
	s_cbranch_scc0 .LBB345_1559
; %bb.1558:
	global_load_ubyte v5, v[8:9], off
	s_movk_i32 s8, 0xff
	v_mov_b32_e32 v7, 0x7f800001
	s_waitcnt vmcnt(1)
	v_mov_b32_e32 v10, 0x400000
	v_mov_b32_e32 v11, 0x7fc0
	s_mov_b64 s[0:1], 0
	s_waitcnt vmcnt(0)
	v_lshlrev_b32_e32 v13, 23, v5
	v_cmp_ne_u32_e32 vcc, s8, v5
	s_mov_b64 s[8:9], -1
	s_nop 0
	v_cndmask_b32_e32 v7, v7, v13, vcc
	v_cmp_ne_u32_e32 vcc, 0, v5
	s_nop 1
	v_cndmask_b32_e32 v5, v10, v7, vcc
	v_add_u32_e32 v7, 0x7fff, v5
	v_cmp_o_f32_e32 vcc, v5, v5
	s_nop 1
	v_cndmask_b32_sdwa v10, v11, v7, vcc dst_sel:DWORD dst_unused:UNUSED_PAD src0_sel:DWORD src1_sel:WORD_1
	s_branch .LBB345_1560
.LBB345_1559:
	s_mov_b64 s[0:1], -1
                                        ; implicit-def: $vgpr10
.LBB345_1560:
	s_mov_b64 s[10:11], 0
.LBB345_1561:
	s_and_b64 vcc, exec, s[10:11]
	s_cbranch_vccz .LBB345_1565
; %bb.1562:
	s_cmp_eq_u32 s14, 29
	s_cbranch_scc0 .LBB345_1564
; %bb.1563:
	global_load_dwordx2 v[10:11], v[8:9], off
	s_movk_i32 s8, 0x7fff
	s_mov_b64 s[0:1], 0
	s_mov_b64 s[10:11], 0
	s_waitcnt vmcnt(0)
	v_ffbh_u32_e32 v5, v11
	v_min_u32_e32 v5, 32, v5
	v_lshlrev_b64 v[10:11], v5, v[10:11]
	v_min_u32_e32 v7, 1, v10
	v_or_b32_e32 v7, v11, v7
	v_cvt_f32_u32_e32 v7, v7
	v_sub_u32_e32 v5, 32, v5
	v_ldexp_f32 v5, v7, v5
	v_bfe_u32 v7, v5, 16, 1
	v_add3_u32 v5, v5, v7, s8
	v_lshrrev_b32_e32 v10, 16, v5
	s_mov_b64 s[8:9], -1
	s_branch .LBB345_1566
.LBB345_1564:
	s_mov_b64 s[0:1], -1
                                        ; implicit-def: $vgpr10
.LBB345_1565:
	s_mov_b64 s[10:11], 0
.LBB345_1566:
	s_and_b64 vcc, exec, s[10:11]
	s_cbranch_vccz .LBB345_1584
; %bb.1567:
	s_cmp_lt_i32 s14, 27
	s_cbranch_scc1 .LBB345_1570
; %bb.1568:
	s_cmp_gt_i32 s14, 27
	s_cbranch_scc0 .LBB345_1571
; %bb.1569:
	global_load_dword v5, v[8:9], off
	s_movk_i32 s8, 0x7fff
	s_waitcnt vmcnt(0)
	v_cvt_f32_u32_e32 v5, v5
	v_bfe_u32 v7, v5, 16, 1
	v_add3_u32 v5, v5, v7, s8
	v_lshrrev_b32_e32 v10, 16, v5
	s_mov_b64 s[8:9], 0
	s_branch .LBB345_1572
.LBB345_1570:
	s_mov_b64 s[8:9], -1
                                        ; implicit-def: $vgpr10
	s_branch .LBB345_1575
.LBB345_1571:
	s_mov_b64 s[8:9], -1
                                        ; implicit-def: $vgpr10
.LBB345_1572:
	s_andn2_b64 vcc, exec, s[8:9]
	s_cbranch_vccnz .LBB345_1574
; %bb.1573:
	global_load_ushort v5, v[8:9], off
	s_movk_i32 s8, 0x7fff
	s_waitcnt vmcnt(0)
	v_cvt_f32_u32_e32 v5, v5
	v_bfe_u32 v7, v5, 16, 1
	v_add3_u32 v5, v5, v7, s8
	v_lshrrev_b32_e32 v10, 16, v5
.LBB345_1574:
	s_mov_b64 s[8:9], 0
.LBB345_1575:
	s_andn2_b64 vcc, exec, s[8:9]
	s_cbranch_vccnz .LBB345_1583
; %bb.1576:
	global_load_ubyte v5, v[8:9], off
	s_movk_i32 s8, 0x7f
	s_waitcnt vmcnt(0)
	v_cmp_lt_i16_e32 vcc, s8, v5
	s_mov_b64 s[8:9], 0
	s_and_saveexec_b64 s[10:11], vcc
	s_xor_b64 s[10:11], exec, s[10:11]
	s_cbranch_execz .LBB345_1597
; %bb.1577:
	s_movk_i32 s8, 0x80
	v_cmp_eq_u16_e32 vcc, s8, v5
	s_mov_b64 s[8:9], -1
	s_and_saveexec_b64 s[12:13], vcc
; %bb.1578:
	s_xor_b64 s[8:9], exec, -1
; %bb.1579:
	s_or_b64 exec, exec, s[12:13]
	s_and_b64 s[8:9], s[8:9], exec
	s_or_saveexec_b64 s[10:11], s[10:11]
	v_mov_b32_e32 v7, 0x7f800001
	s_xor_b64 exec, exec, s[10:11]
	s_cbranch_execnz .LBB345_1598
.LBB345_1580:
	s_or_b64 exec, exec, s[10:11]
	s_and_saveexec_b64 s[10:11], s[8:9]
	s_cbranch_execz .LBB345_1582
.LBB345_1581:
	v_lshlrev_b32_e32 v7, 24, v5
	v_and_b32_e32 v5, 0xffff, v5
	v_and_b32_e32 v10, 7, v5
	v_ffbh_u32_e32 v13, v10
	v_min_u32_e32 v13, 32, v13
	v_subrev_u32_e32 v14, 28, v13
	v_bfe_u32 v11, v5, 3, 4
	v_lshlrev_b32_e32 v5, v14, v5
	v_sub_u32_e32 v13, 29, v13
	v_and_b32_e32 v5, 7, v5
	v_cmp_eq_u32_e32 vcc, 0, v11
	v_and_b32_e32 v7, 0x80000000, v7
	s_nop 0
	v_cndmask_b32_e32 v11, v11, v13, vcc
	v_cndmask_b32_e32 v5, v10, v5, vcc
	v_mov_b32_e32 v10, 0x3b800000
	v_lshlrev_b32_e32 v5, 20, v5
	v_lshl_add_u32 v10, v11, 23, v10
	v_or3_b32 v7, v7, v10, v5
.LBB345_1582:
	s_or_b64 exec, exec, s[10:11]
	v_bfe_u32 v5, v7, 16, 1
	s_movk_i32 s8, 0x7fff
	v_add3_u32 v5, v7, v5, s8
	v_cmp_o_f32_e32 vcc, v7, v7
	v_mov_b32_e32 v7, 0x7fc0
	s_nop 0
	v_cndmask_b32_sdwa v10, v7, v5, vcc dst_sel:DWORD dst_unused:UNUSED_PAD src0_sel:DWORD src1_sel:WORD_1
.LBB345_1583:
	s_mov_b64 s[8:9], -1
.LBB345_1584:
	s_mov_b64 s[10:11], 0
.LBB345_1585:
	s_and_b64 vcc, exec, s[10:11]
	s_cbranch_vccz .LBB345_1618
; %bb.1586:
	s_cmp_gt_i32 s14, 22
	s_cbranch_scc0 .LBB345_1596
; %bb.1587:
	s_cmp_lt_i32 s14, 24
	s_cbranch_scc1 .LBB345_1599
; %bb.1588:
	s_cmp_gt_i32 s14, 24
	s_cbranch_scc0 .LBB345_1600
; %bb.1589:
	global_load_ubyte v5, v[8:9], off
	s_movk_i32 s6, 0x7f
	s_waitcnt vmcnt(0)
	v_cmp_lt_i16_e32 vcc, s6, v5
	s_mov_b64 s[6:7], 0
	s_and_saveexec_b64 s[8:9], vcc
	s_xor_b64 s[8:9], exec, s[8:9]
	s_cbranch_execz .LBB345_1612
; %bb.1590:
	s_movk_i32 s6, 0x80
	v_cmp_eq_u16_e32 vcc, s6, v5
	s_mov_b64 s[6:7], -1
	s_and_saveexec_b64 s[10:11], vcc
; %bb.1591:
	s_xor_b64 s[6:7], exec, -1
; %bb.1592:
	s_or_b64 exec, exec, s[10:11]
	s_and_b64 s[6:7], s[6:7], exec
	s_or_saveexec_b64 s[8:9], s[8:9]
	v_mov_b32_e32 v7, 0x7f800001
	s_xor_b64 exec, exec, s[8:9]
	s_cbranch_execnz .LBB345_1613
.LBB345_1593:
	s_or_b64 exec, exec, s[8:9]
	s_and_saveexec_b64 s[8:9], s[6:7]
	s_cbranch_execz .LBB345_1595
.LBB345_1594:
	v_lshlrev_b32_e32 v7, 24, v5
	v_and_b32_e32 v5, 0xffff, v5
	v_and_b32_e32 v10, 3, v5
	v_ffbh_u32_e32 v13, v10
	v_min_u32_e32 v13, 32, v13
	v_subrev_u32_e32 v14, 29, v13
	v_bfe_u32 v11, v5, 2, 5
	v_lshlrev_b32_e32 v5, v14, v5
	v_sub_u32_e32 v13, 30, v13
	v_and_b32_e32 v5, 3, v5
	v_cmp_eq_u32_e32 vcc, 0, v11
	v_and_b32_e32 v7, 0x80000000, v7
	s_nop 0
	v_cndmask_b32_e32 v11, v11, v13, vcc
	v_cndmask_b32_e32 v5, v10, v5, vcc
	v_mov_b32_e32 v10, 0x37800000
	v_lshlrev_b32_e32 v5, 21, v5
	v_lshl_add_u32 v10, v11, 23, v10
	v_or3_b32 v7, v7, v10, v5
.LBB345_1595:
	s_or_b64 exec, exec, s[8:9]
	v_bfe_u32 v5, v7, 16, 1
	s_movk_i32 s6, 0x7fff
	v_add3_u32 v5, v7, v5, s6
	v_cmp_o_f32_e32 vcc, v7, v7
	v_mov_b32_e32 v7, 0x7fc0
	s_mov_b64 s[6:7], 0
	v_cndmask_b32_sdwa v10, v7, v5, vcc dst_sel:DWORD dst_unused:UNUSED_PAD src0_sel:DWORD src1_sel:WORD_1
	s_branch .LBB345_1601
.LBB345_1596:
	s_mov_b64 s[6:7], -1
                                        ; implicit-def: $vgpr10
	s_branch .LBB345_1607
.LBB345_1597:
	s_or_saveexec_b64 s[10:11], s[10:11]
	v_mov_b32_e32 v7, 0x7f800001
	s_xor_b64 exec, exec, s[10:11]
	s_cbranch_execz .LBB345_1580
.LBB345_1598:
	v_cmp_ne_u16_e32 vcc, 0, v5
	s_andn2_b64 s[8:9], s[8:9], exec
	s_and_b64 s[12:13], vcc, exec
	v_mov_b32_e32 v7, 0
	s_or_b64 s[8:9], s[8:9], s[12:13]
	s_or_b64 exec, exec, s[10:11]
	s_and_saveexec_b64 s[10:11], s[8:9]
	s_cbranch_execnz .LBB345_1581
	s_branch .LBB345_1582
.LBB345_1599:
	s_mov_b64 s[6:7], -1
                                        ; implicit-def: $vgpr10
	s_branch .LBB345_1604
.LBB345_1600:
	s_mov_b64 s[6:7], -1
                                        ; implicit-def: $vgpr10
.LBB345_1601:
	s_and_b64 vcc, exec, s[6:7]
	s_cbranch_vccz .LBB345_1603
; %bb.1602:
	global_load_ubyte v5, v[8:9], off
	s_mov_b32 s6, 0x7f800000
	s_brev_b32 s7, 1
	s_movk_i32 s8, 0x7fff
	s_waitcnt vmcnt(0)
	v_lshlrev_b32_e32 v5, 24, v5
	v_and_b32_e32 v7, 0x7f000000, v5
	v_ffbh_u32_e32 v10, v7
	v_min_u32_e32 v10, 32, v10
	v_sub_u32_e64 v10, v10, 4 clamp
	v_lshlrev_b32_e32 v13, v10, v7
	v_lshlrev_b32_e32 v10, 23, v10
	v_lshrrev_b32_e32 v13, 4, v13
	v_add_u32_e32 v11, 0x1000000, v7
	v_sub_u32_e32 v10, v13, v10
	v_ashrrev_i32_e32 v11, 8, v11
	v_add_u32_e32 v10, 0x3c000000, v10
	v_and_or_b32 v10, v11, s6, v10
	v_cmp_ne_u32_e32 vcc, 0, v7
	s_nop 1
	v_cndmask_b32_e32 v7, 0, v10, vcc
	v_and_or_b32 v5, v5, s7, v7
	v_bfe_u32 v7, v7, 16, 1
	v_add3_u32 v7, v5, v7, s8
	v_cmp_o_f32_e32 vcc, v5, v5
	v_mov_b32_e32 v5, 0x7fc0
	s_nop 0
	v_cndmask_b32_sdwa v10, v5, v7, vcc dst_sel:DWORD dst_unused:UNUSED_PAD src0_sel:DWORD src1_sel:WORD_1
.LBB345_1603:
	s_mov_b64 s[6:7], 0
.LBB345_1604:
	s_andn2_b64 vcc, exec, s[6:7]
	s_cbranch_vccnz .LBB345_1606
; %bb.1605:
	global_load_ubyte v5, v[8:9], off
	s_movk_i32 s6, 0x7f00
	s_brev_b32 s7, 16
	s_brev_b32 s8, 1
	s_movk_i32 s9, 0x7fff
	s_waitcnt vmcnt(0)
	v_lshlrev_b16_e32 v7, 8, v5
	v_lshlrev_b32_e32 v5, 25, v5
	v_lshrrev_b32_e32 v10, 4, v5
	v_and_or_b32 v11, v7, s6, 0.5
	v_or_b32_e32 v10, 0x70000000, v10
	v_add_f32_e32 v11, -0.5, v11
	v_mul_f32_e32 v10, 0x7800000, v10
	v_cmp_gt_u32_e32 vcc, s7, v5
	v_bfe_i32 v7, v7, 0, 16
	s_nop 0
	v_cndmask_b32_e32 v5, v10, v11, vcc
	v_and_or_b32 v7, v7, s8, v5
	v_bfe_u32 v5, v5, 16, 1
	v_add3_u32 v5, v7, v5, s9
	v_cmp_o_f32_e32 vcc, v7, v7
	v_mov_b32_e32 v7, 0x7fc0
	s_nop 0
	v_cndmask_b32_sdwa v10, v7, v5, vcc dst_sel:DWORD dst_unused:UNUSED_PAD src0_sel:DWORD src1_sel:WORD_1
.LBB345_1606:
	s_mov_b64 s[6:7], 0
	s_mov_b64 s[8:9], -1
.LBB345_1607:
	s_andn2_b64 vcc, exec, s[6:7]
	s_mov_b64 s[6:7], 0
	s_cbranch_vccnz .LBB345_1618
; %bb.1608:
	s_cmp_gt_i32 s14, 14
	s_cbranch_scc0 .LBB345_1611
; %bb.1609:
	s_cmp_eq_u32 s14, 15
	s_cbranch_scc0 .LBB345_1614
; %bb.1610:
	global_load_ushort v10, v[8:9], off
	s_mov_b64 s[0:1], 0
	s_mov_b64 s[8:9], -1
	s_branch .LBB345_1615
.LBB345_1611:
	s_mov_b64 s[10:11], -1
                                        ; implicit-def: $vgpr10
	s_branch .LBB345_1616
.LBB345_1612:
	s_or_saveexec_b64 s[8:9], s[8:9]
	v_mov_b32_e32 v7, 0x7f800001
	s_xor_b64 exec, exec, s[8:9]
	s_cbranch_execz .LBB345_1593
.LBB345_1613:
	v_cmp_ne_u16_e32 vcc, 0, v5
	s_andn2_b64 s[6:7], s[6:7], exec
	s_and_b64 s[10:11], vcc, exec
	v_mov_b32_e32 v7, 0
	s_or_b64 s[6:7], s[6:7], s[10:11]
	s_or_b64 exec, exec, s[8:9]
	s_and_saveexec_b64 s[8:9], s[6:7]
	s_cbranch_execnz .LBB345_1594
	s_branch .LBB345_1595
.LBB345_1614:
	s_mov_b64 s[0:1], -1
                                        ; implicit-def: $vgpr10
.LBB345_1615:
	s_mov_b64 s[10:11], 0
.LBB345_1616:
	s_and_b64 vcc, exec, s[10:11]
	s_cbranch_vccz .LBB345_1618
; %bb.1617:
	s_cmp_lg_u32 s14, 11
	s_mov_b64 s[6:7], -1
	s_cselect_b64 s[0:1], -1, 0
.LBB345_1618:
	s_and_b64 vcc, exec, s[0:1]
	s_cbranch_vccnz .LBB345_2155
; %bb.1619:
	s_andn2_b64 vcc, exec, s[6:7]
	s_cbranch_vccnz .LBB345_1621
.LBB345_1620:
	global_load_ubyte v5, v[8:9], off
	s_mov_b64 s[8:9], -1
	s_waitcnt vmcnt(0)
	v_cmp_ne_u16_e32 vcc, 0, v5
	s_nop 1
	v_cndmask_b32_e64 v5, 0, 1.0, vcc
	v_lshrrev_b32_e32 v10, 16, v5
.LBB345_1621:
	s_mov_b64 s[0:1], 0
.LBB345_1622:
	s_and_b64 vcc, exec, s[0:1]
	s_cbranch_vccz .LBB345_1671
; %bb.1623:
	s_and_b32 s6, 0xffff, s18
	s_cmp_lt_i32 s6, 5
	s_cbranch_scc1 .LBB345_1628
; %bb.1624:
	s_cmp_lt_i32 s6, 8
	s_cbranch_scc1 .LBB345_1629
; %bb.1625:
	;; [unrolled: 3-line block ×3, first 2 shown]
	s_cmp_gt_i32 s6, 9
	s_cbranch_scc0 .LBB345_1631
; %bb.1627:
	global_load_dwordx2 v[10:11], v[8:9], off
	s_movk_i32 s0, 0x7fff
	v_mov_b32_e32 v5, 0x7fc0
	s_waitcnt vmcnt(0)
	v_cvt_f32_f64_e32 v7, v[10:11]
	v_bfe_u32 v10, v7, 16, 1
	v_cmp_o_f32_e32 vcc, v7, v7
	v_add3_u32 v7, v7, v10, s0
	s_mov_b64 s[0:1], 0
	v_cndmask_b32_sdwa v10, v5, v7, vcc dst_sel:DWORD dst_unused:UNUSED_PAD src0_sel:DWORD src1_sel:WORD_1
	s_branch .LBB345_1632
.LBB345_1628:
	s_mov_b64 s[0:1], -1
                                        ; implicit-def: $vgpr10
	s_branch .LBB345_1650
.LBB345_1629:
	s_mov_b64 s[0:1], -1
                                        ; implicit-def: $vgpr10
	s_branch .LBB345_1638
.LBB345_1630:
	s_mov_b64 s[0:1], -1
                                        ; implicit-def: $vgpr10
	s_branch .LBB345_1635
.LBB345_1631:
	s_mov_b64 s[0:1], -1
                                        ; implicit-def: $vgpr10
.LBB345_1632:
	s_andn2_b64 vcc, exec, s[0:1]
	s_cbranch_vccnz .LBB345_1634
; %bb.1633:
	global_load_dword v5, v[8:9], off
	s_movk_i32 s0, 0x7fff
	v_mov_b32_e32 v7, 0x7fc0
	s_waitcnt vmcnt(0)
	v_bfe_u32 v10, v5, 16, 1
	v_cmp_o_f32_e32 vcc, v5, v5
	v_add3_u32 v5, v5, v10, s0
	s_nop 0
	v_cndmask_b32_sdwa v10, v7, v5, vcc dst_sel:DWORD dst_unused:UNUSED_PAD src0_sel:DWORD src1_sel:WORD_1
.LBB345_1634:
	s_mov_b64 s[0:1], 0
.LBB345_1635:
	s_andn2_b64 vcc, exec, s[0:1]
	s_cbranch_vccnz .LBB345_1637
; %bb.1636:
	global_load_dword v5, v[8:9], off
	s_movk_i32 s0, 0x7fff
	s_waitcnt vmcnt(1)
	v_mov_b32_e32 v10, 0x7fc0
	s_waitcnt vmcnt(0)
	v_cvt_f32_f16_e32 v7, v5
	v_cmp_o_f16_e32 vcc, v5, v5
	v_bfe_u32 v5, v7, 16, 1
	v_add3_u32 v5, v7, v5, s0
	v_cndmask_b32_sdwa v10, v10, v5, vcc dst_sel:DWORD dst_unused:UNUSED_PAD src0_sel:DWORD src1_sel:WORD_1
.LBB345_1637:
	s_mov_b64 s[0:1], 0
.LBB345_1638:
	s_andn2_b64 vcc, exec, s[0:1]
	s_cbranch_vccnz .LBB345_1649
; %bb.1639:
	s_cmp_lt_i32 s6, 6
	s_cbranch_scc1 .LBB345_1642
; %bb.1640:
	s_cmp_gt_i32 s6, 6
	s_cbranch_scc0 .LBB345_1643
; %bb.1641:
	global_load_dwordx2 v[10:11], v[8:9], off
	s_movk_i32 s0, 0x7fff
	v_mov_b32_e32 v5, 0x7fc0
	s_waitcnt vmcnt(0)
	v_cvt_f32_f64_e32 v7, v[10:11]
	v_bfe_u32 v10, v7, 16, 1
	v_cmp_o_f32_e32 vcc, v7, v7
	v_add3_u32 v7, v7, v10, s0
	s_mov_b64 s[0:1], 0
	v_cndmask_b32_sdwa v10, v5, v7, vcc dst_sel:DWORD dst_unused:UNUSED_PAD src0_sel:DWORD src1_sel:WORD_1
	s_branch .LBB345_1644
.LBB345_1642:
	s_mov_b64 s[0:1], -1
                                        ; implicit-def: $vgpr10
	s_branch .LBB345_1647
.LBB345_1643:
	s_mov_b64 s[0:1], -1
                                        ; implicit-def: $vgpr10
.LBB345_1644:
	s_andn2_b64 vcc, exec, s[0:1]
	s_cbranch_vccnz .LBB345_1646
; %bb.1645:
	global_load_dword v5, v[8:9], off
	s_movk_i32 s0, 0x7fff
	v_mov_b32_e32 v7, 0x7fc0
	s_waitcnt vmcnt(0)
	v_bfe_u32 v10, v5, 16, 1
	v_cmp_o_f32_e32 vcc, v5, v5
	v_add3_u32 v5, v5, v10, s0
	s_nop 0
	v_cndmask_b32_sdwa v10, v7, v5, vcc dst_sel:DWORD dst_unused:UNUSED_PAD src0_sel:DWORD src1_sel:WORD_1
.LBB345_1646:
	s_mov_b64 s[0:1], 0
.LBB345_1647:
	s_andn2_b64 vcc, exec, s[0:1]
	s_cbranch_vccnz .LBB345_1649
; %bb.1648:
	global_load_ushort v5, v[8:9], off
	s_movk_i32 s0, 0x7fff
	s_waitcnt vmcnt(1)
	v_mov_b32_e32 v10, 0x7fc0
	s_waitcnt vmcnt(0)
	v_cvt_f32_f16_e32 v7, v5
	v_cmp_o_f16_e32 vcc, v5, v5
	v_bfe_u32 v5, v7, 16, 1
	v_add3_u32 v5, v7, v5, s0
	v_cndmask_b32_sdwa v10, v10, v5, vcc dst_sel:DWORD dst_unused:UNUSED_PAD src0_sel:DWORD src1_sel:WORD_1
.LBB345_1649:
	s_mov_b64 s[0:1], 0
.LBB345_1650:
	s_andn2_b64 vcc, exec, s[0:1]
	s_cbranch_vccnz .LBB345_1670
; %bb.1651:
	s_cmp_lt_i32 s6, 2
	s_cbranch_scc1 .LBB345_1655
; %bb.1652:
	s_cmp_lt_i32 s6, 3
	s_cbranch_scc1 .LBB345_1656
; %bb.1653:
	s_cmp_gt_i32 s6, 3
	s_cbranch_scc0 .LBB345_1657
; %bb.1654:
	global_load_dwordx2 v[10:11], v[8:9], off
	s_movk_i32 s0, 0x7fff
	s_waitcnt vmcnt(0)
	v_xor_b32_e32 v7, v10, v11
	v_ffbh_i32_e32 v5, v11
	v_ashrrev_i32_e32 v7, 31, v7
	v_add_u32_e32 v5, -1, v5
	v_add_u32_e32 v7, 32, v7
	v_min_u32_e32 v5, v5, v7
	v_lshlrev_b64 v[10:11], v5, v[10:11]
	v_min_u32_e32 v7, 1, v10
	v_or_b32_e32 v7, v11, v7
	v_cvt_f32_i32_e32 v7, v7
	v_sub_u32_e32 v5, 32, v5
	v_ldexp_f32 v5, v7, v5
	v_bfe_u32 v7, v5, 16, 1
	v_add3_u32 v5, v5, v7, s0
	v_lshrrev_b32_e32 v10, 16, v5
	s_mov_b64 s[0:1], 0
	s_branch .LBB345_1658
.LBB345_1655:
	s_mov_b64 s[0:1], -1
                                        ; implicit-def: $vgpr10
	s_branch .LBB345_1664
.LBB345_1656:
	s_mov_b64 s[0:1], -1
                                        ; implicit-def: $vgpr10
	s_branch .LBB345_1661
.LBB345_1657:
	s_mov_b64 s[0:1], -1
                                        ; implicit-def: $vgpr10
.LBB345_1658:
	s_andn2_b64 vcc, exec, s[0:1]
	s_cbranch_vccnz .LBB345_1660
; %bb.1659:
	global_load_dword v5, v[8:9], off
	s_movk_i32 s0, 0x7fff
	s_waitcnt vmcnt(0)
	v_cvt_f32_i32_e32 v5, v5
	v_bfe_u32 v7, v5, 16, 1
	v_add3_u32 v5, v5, v7, s0
	v_lshrrev_b32_e32 v10, 16, v5
.LBB345_1660:
	s_mov_b64 s[0:1], 0
.LBB345_1661:
	s_andn2_b64 vcc, exec, s[0:1]
	s_cbranch_vccnz .LBB345_1663
; %bb.1662:
	global_load_sshort v5, v[8:9], off
	s_movk_i32 s0, 0x7fff
	s_waitcnt vmcnt(0)
	v_cvt_f32_i32_e32 v5, v5
	v_bfe_u32 v7, v5, 16, 1
	v_add3_u32 v5, v5, v7, s0
	v_lshrrev_b32_e32 v10, 16, v5
.LBB345_1663:
	s_mov_b64 s[0:1], 0
.LBB345_1664:
	s_andn2_b64 vcc, exec, s[0:1]
	s_cbranch_vccnz .LBB345_1670
; %bb.1665:
	s_cmp_gt_i32 s6, 0
	s_cbranch_scc0 .LBB345_1667
; %bb.1666:
	global_load_sbyte v5, v[8:9], off
	s_movk_i32 s0, 0x7fff
	s_waitcnt vmcnt(0)
	v_cvt_f32_i32_e32 v5, v5
	v_bfe_u32 v7, v5, 16, 1
	v_add3_u32 v5, v5, v7, s0
	v_lshrrev_b32_e32 v10, 16, v5
	s_mov_b64 s[0:1], 0
	s_branch .LBB345_1668
.LBB345_1667:
	s_mov_b64 s[0:1], -1
                                        ; implicit-def: $vgpr10
.LBB345_1668:
	s_andn2_b64 vcc, exec, s[0:1]
	s_cbranch_vccnz .LBB345_1670
; %bb.1669:
	global_load_ubyte v5, v[8:9], off
	s_movk_i32 s0, 0x7fff
	s_waitcnt vmcnt(0)
	v_cvt_f32_ubyte0_e32 v5, v5
	v_bfe_u32 v7, v5, 16, 1
	v_add3_u32 v5, v5, v7, s0
	v_lshrrev_b32_e32 v10, 16, v5
.LBB345_1670:
	s_mov_b64 s[8:9], -1
.LBB345_1671:
	s_andn2_b64 vcc, exec, s[8:9]
	s_cbranch_vccnz .LBB345_1752
; %bb.1672:
	s_waitcnt vmcnt(0)
	v_lshlrev_b32_e32 v5, 16, v10
	v_cmp_o_f32_e32 vcc, v5, v5
	s_and_saveexec_b64 s[0:1], vcc
; %bb.1673:
	s_lshl_b32 s6, s17, 16
	v_mov_b32_e32 v7, s17
	v_cmp_lt_f32_e32 vcc, s6, v5
	s_lshl_b32 s6, s16, 16
	v_mov_b32_e32 v8, s16
	v_cndmask_b32_e32 v5, v7, v10, vcc
	v_lshlrev_b32_e32 v7, 16, v5
	v_cmp_gt_f32_e32 vcc, s6, v7
	s_nop 1
	v_cndmask_b32_e32 v10, v8, v5, vcc
; %bb.1674:
	s_or_b64 exec, exec, s[0:1]
	s_load_dword s0, s[34:35], 0x15c
	v_mov_b32_e32 v7, 0
	v_lshl_add_u64 v[6:7], s[4:5], 0, v[6:7]
	s_waitcnt lgkmcnt(0)
	s_and_b32 s14, s0, 0xff
	s_cmp_lt_i32 s14, 11
	s_cbranch_scc1 .LBB345_1798
; %bb.1675:
	s_and_b32 s15, 0xffff, s14
	s_mov_b64 s[10:11], -1
	s_mov_b64 s[6:7], 0
	s_cmp_gt_i32 s15, 25
	s_mov_b64 s[8:9], 0
	s_mov_b64 s[0:1], 0
	s_cbranch_scc0 .LBB345_1708
; %bb.1676:
	s_cmp_gt_i32 s15, 28
	s_cbranch_scc0 .LBB345_1691
; %bb.1677:
	s_cmp_gt_i32 s15, 43
	;; [unrolled: 3-line block ×3, first 2 shown]
	s_cbranch_scc0 .LBB345_1681
; %bb.1679:
	s_mov_b64 s[0:1], -1
	s_mov_b64 s[10:11], 0
	s_cmp_eq_u32 s15, 46
	s_cbranch_scc0 .LBB345_1681
; %bb.1680:
	v_and_b32_e32 v5, 0xffff, v1
	global_store_dword v[6:7], v5, off
	s_mov_b64 s[0:1], 0
	s_mov_b64 s[8:9], -1
.LBB345_1681:
	s_and_b64 vcc, exec, s[10:11]
	s_cbranch_vccz .LBB345_1686
; %bb.1682:
	s_cmp_eq_u32 s15, 44
	s_mov_b64 s[0:1], -1
	s_cbranch_scc0 .LBB345_1686
; %bb.1683:
	v_and_b32_e32 v8, 0xffff, v1
	v_bfe_u32 v5, v8, 7, 8
	s_movk_i32 s0, 0xff
	v_cmp_ne_u32_e32 vcc, s0, v5
	v_mov_b32_e32 v9, 0xff
	s_and_saveexec_b64 s[8:9], vcc
	s_cbranch_execz .LBB345_1685
; %bb.1684:
	v_lshlrev_b32_e32 v11, 16, v8
	s_mov_b32 s0, 0x3f0000
	v_lshrrev_b32_e32 v9, 7, v8
	v_and_b32_e32 v8, 64, v8
	v_and_or_b32 v5, v11, s0, v5
	v_cmp_ne_u32_e32 vcc, 0, v8
	v_cmp_ne_u32_e64 s[0:1], 0, v5
	s_and_b64 s[0:1], vcc, s[0:1]
	s_nop 0
	v_cndmask_b32_e64 v5, 0, 1, s[0:1]
	v_add_u32_e32 v9, v9, v5
.LBB345_1685:
	s_or_b64 exec, exec, s[8:9]
	s_mov_b64 s[0:1], 0
	s_mov_b64 s[8:9], -1
	global_store_byte v[6:7], v9, off
.LBB345_1686:
	s_mov_b64 s[10:11], 0
.LBB345_1687:
	s_and_b64 vcc, exec, s[10:11]
	s_cbranch_vccz .LBB345_1690
; %bb.1688:
	s_cmp_eq_u32 s15, 29
	s_mov_b64 s[0:1], -1
	s_cbranch_scc0 .LBB345_1690
; %bb.1689:
	v_lshlrev_b32_e32 v5, 16, v1
	v_trunc_f32_e32 v5, v5
	v_mul_f32_e32 v8, 0x2f800000, v5
	v_floor_f32_e32 v8, v8
	v_fmamk_f32 v5, v8, 0xcf800000, v5
	v_cvt_u32_f32_e32 v9, v8
	v_cvt_u32_f32_e32 v8, v5
	s_mov_b64 s[0:1], 0
	s_mov_b64 s[8:9], -1
	global_store_dwordx2 v[6:7], v[8:9], off
.LBB345_1690:
	s_mov_b64 s[10:11], 0
.LBB345_1691:
	s_and_b64 vcc, exec, s[10:11]
	s_cbranch_vccz .LBB345_1707
; %bb.1692:
	s_cmp_lt_i32 s15, 27
	s_mov_b64 s[8:9], -1
	s_cbranch_scc1 .LBB345_1698
; %bb.1693:
	s_cmp_gt_i32 s15, 27
	s_cbranch_scc0 .LBB345_1695
; %bb.1694:
	v_lshlrev_b32_e32 v5, 16, v1
	v_cvt_u32_f32_e32 v5, v5
	s_mov_b64 s[8:9], 0
	global_store_dword v[6:7], v5, off
.LBB345_1695:
	s_andn2_b64 vcc, exec, s[8:9]
	s_cbranch_vccnz .LBB345_1697
; %bb.1696:
	v_lshlrev_b32_e32 v5, 16, v1
	v_cvt_u32_f32_e32 v5, v5
	global_store_short v[6:7], v5, off
.LBB345_1697:
	s_mov_b64 s[8:9], 0
.LBB345_1698:
	s_andn2_b64 vcc, exec, s[8:9]
	s_cbranch_vccnz .LBB345_1706
; %bb.1699:
	v_lshlrev_b32_e32 v9, 16, v1
	v_and_b32_e32 v8, 0x7fffffff, v9
	s_mov_b32 s8, 0x43800000
	v_cmp_gt_u32_e32 vcc, s8, v8
	v_mov_b32_e32 v11, 0x80
	s_and_saveexec_b64 s[8:9], vcc
	s_cbranch_execz .LBB345_1705
; %bb.1700:
	s_mov_b32 s10, 0x3bffffff
	v_and_b32_e32 v5, 0xffff, v1
	v_cmp_lt_u32_e32 vcc, s10, v8
	s_mov_b64 s[10:11], 0
                                        ; implicit-def: $vgpr8
	s_and_saveexec_b64 s[12:13], vcc
	s_xor_b64 s[12:13], exec, s[12:13]
	s_cbranch_execz .LBB345_2156
; %bb.1701:
	v_bfe_u32 v8, v5, 4, 1
	s_mov_b32 s16, 0x487ffff
	v_add3_u32 v8, v9, v8, s16
	s_mov_b64 s[10:11], exec
	v_lshrrev_b32_e32 v8, 20, v8
                                        ; implicit-def: $vgpr9
	s_andn2_saveexec_b64 s[12:13], s[12:13]
	s_cbranch_execnz .LBB345_2157
.LBB345_1702:
	s_or_b64 exec, exec, s[12:13]
	v_mov_b32_e32 v11, 0
	s_and_saveexec_b64 s[12:13], s[10:11]
.LBB345_1703:
	v_lshrrev_b32_e32 v5, 8, v5
	s_movk_i32 s10, 0x80
	v_and_or_b32 v11, v5, s10, v8
.LBB345_1704:
	s_or_b64 exec, exec, s[12:13]
.LBB345_1705:
	s_or_b64 exec, exec, s[8:9]
	global_store_byte v[6:7], v11, off
.LBB345_1706:
	s_mov_b64 s[8:9], -1
.LBB345_1707:
	s_mov_b64 s[10:11], 0
.LBB345_1708:
	s_and_b64 vcc, exec, s[10:11]
	s_cbranch_vccz .LBB345_1748
; %bb.1709:
	s_cmp_gt_i32 s15, 22
	s_mov_b64 s[6:7], -1
	s_cbranch_scc0 .LBB345_1741
; %bb.1710:
	s_cmp_lt_i32 s15, 24
	s_cbranch_scc1 .LBB345_1730
; %bb.1711:
	s_cmp_gt_i32 s15, 24
	s_cbranch_scc0 .LBB345_1719
; %bb.1712:
	v_lshlrev_b32_e32 v9, 16, v1
	v_and_b32_e32 v8, 0x7fffffff, v9
	s_mov_b32 s6, 0x47800000
	v_cmp_gt_u32_e32 vcc, s6, v8
	v_mov_b32_e32 v11, 0x80
	s_and_saveexec_b64 s[6:7], vcc
	s_cbranch_execz .LBB345_1718
; %bb.1713:
	s_mov_b32 s8, 0x37ffffff
	v_and_b32_e32 v5, 0xffff, v1
	v_cmp_lt_u32_e32 vcc, s8, v8
	s_mov_b64 s[8:9], 0
                                        ; implicit-def: $vgpr8
	s_and_saveexec_b64 s[10:11], vcc
	s_xor_b64 s[10:11], exec, s[10:11]
	s_cbranch_execz .LBB345_2159
; %bb.1714:
	v_bfe_u32 v8, v5, 5, 1
	s_mov_b32 s12, 0x88fffff
	v_add3_u32 v8, v9, v8, s12
	s_mov_b64 s[8:9], exec
	v_lshrrev_b32_e32 v8, 21, v8
                                        ; implicit-def: $vgpr9
	s_andn2_saveexec_b64 s[10:11], s[10:11]
	s_cbranch_execnz .LBB345_2160
.LBB345_1715:
	s_or_b64 exec, exec, s[10:11]
	v_mov_b32_e32 v11, 0
	s_and_saveexec_b64 s[10:11], s[8:9]
.LBB345_1716:
	v_lshrrev_b32_e32 v5, 8, v5
	s_movk_i32 s8, 0x80
	v_and_or_b32 v11, v5, s8, v8
.LBB345_1717:
	s_or_b64 exec, exec, s[10:11]
.LBB345_1718:
	s_or_b64 exec, exec, s[6:7]
	s_mov_b64 s[6:7], 0
	global_store_byte v[6:7], v11, off
.LBB345_1719:
	s_and_b64 vcc, exec, s[6:7]
	s_cbranch_vccz .LBB345_1729
; %bb.1720:
	v_lshlrev_b32_e32 v9, 16, v1
	v_and_b32_e32 v11, 0x7fffffff, v9
	s_mov_b32 s6, 0x43f00000
	v_and_b32_e32 v5, 0xffff, v1
	v_cmp_gt_u32_e32 vcc, s6, v11
                                        ; implicit-def: $vgpr8
	s_and_saveexec_b64 s[6:7], vcc
	s_xor_b64 s[6:7], exec, s[6:7]
	s_cbranch_execz .LBB345_1726
; %bb.1721:
	s_mov_b32 s8, 0x3c7fffff
	v_cmp_lt_u32_e32 vcc, s8, v11
                                        ; implicit-def: $vgpr8
	s_and_saveexec_b64 s[8:9], vcc
	s_xor_b64 s[8:9], exec, s[8:9]
; %bb.1722:
	v_bfe_u32 v8, v5, 4, 1
	s_mov_b32 s10, 0x407ffff
	v_add3_u32 v8, v9, v8, s10
	v_lshrrev_b32_e32 v9, 20, v8
	v_and_b32_e32 v8, 0xff00000, v8
	s_mov_b32 s10, 0x7f00000
	v_mov_b32_e32 v11, 0x7e
	v_cmp_ne_u32_e32 vcc, s10, v8
	s_nop 1
	v_cndmask_b32_e32 v8, v11, v9, vcc
                                        ; implicit-def: $vgpr9
; %bb.1723:
	s_andn2_saveexec_b64 s[8:9], s[8:9]
; %bb.1724:
	s_mov_b32 s10, 0x46800000
	v_add_f32_e64 v8, |v9|, s10
; %bb.1725:
	s_or_b64 exec, exec, s[8:9]
                                        ; implicit-def: $vgpr11
.LBB345_1726:
	s_andn2_saveexec_b64 s[6:7], s[6:7]
; %bb.1727:
	s_mov_b32 s8, 0x7f800000
	v_mov_b32_e32 v8, 0x7e
	v_mov_b32_e32 v9, 0x7f
	v_cmp_lt_u32_e32 vcc, s8, v11
	s_nop 1
	v_cndmask_b32_e32 v8, v8, v9, vcc
; %bb.1728:
	s_or_b64 exec, exec, s[6:7]
	v_lshrrev_b32_e32 v5, 8, v5
	s_movk_i32 s6, 0x80
	v_and_or_b32 v5, v5, s6, v8
	global_store_byte v[6:7], v5, off
.LBB345_1729:
	s_mov_b64 s[6:7], 0
.LBB345_1730:
	s_andn2_b64 vcc, exec, s[6:7]
	s_cbranch_vccnz .LBB345_1740
; %bb.1731:
	v_lshlrev_b32_e32 v9, 16, v1
	v_and_b32_e32 v11, 0x7fffffff, v9
	s_mov_b32 s6, 0x47800000
	v_and_b32_e32 v5, 0xffff, v1
	v_cmp_gt_u32_e32 vcc, s6, v11
                                        ; implicit-def: $vgpr8
	s_and_saveexec_b64 s[6:7], vcc
	s_xor_b64 s[6:7], exec, s[6:7]
	s_cbranch_execz .LBB345_1737
; %bb.1732:
	s_mov_b32 s8, 0x387fffff
	v_cmp_lt_u32_e32 vcc, s8, v11
                                        ; implicit-def: $vgpr8
	s_and_saveexec_b64 s[8:9], vcc
	s_xor_b64 s[8:9], exec, s[8:9]
; %bb.1733:
	v_bfe_u32 v8, v5, 5, 1
	s_mov_b32 s10, 0x80fffff
	v_add3_u32 v8, v9, v8, s10
	v_lshrrev_b32_e32 v8, 21, v8
                                        ; implicit-def: $vgpr9
; %bb.1734:
	s_andn2_saveexec_b64 s[8:9], s[8:9]
; %bb.1735:
	s_mov_b32 s10, 0x43000000
	v_add_f32_e64 v8, |v9|, s10
; %bb.1736:
	s_or_b64 exec, exec, s[8:9]
                                        ; implicit-def: $vgpr11
.LBB345_1737:
	s_andn2_saveexec_b64 s[6:7], s[6:7]
; %bb.1738:
	s_mov_b32 s8, 0x7f800000
	v_mov_b32_e32 v8, 0x7c
	v_mov_b32_e32 v9, 0x7f
	v_cmp_lt_u32_e32 vcc, s8, v11
	s_nop 1
	v_cndmask_b32_e32 v8, v8, v9, vcc
; %bb.1739:
	s_or_b64 exec, exec, s[6:7]
	v_lshrrev_b32_e32 v5, 8, v5
	s_movk_i32 s6, 0x80
	v_and_or_b32 v5, v5, s6, v8
	global_store_byte v[6:7], v5, off
.LBB345_1740:
	s_mov_b64 s[6:7], 0
	s_mov_b64 s[8:9], -1
.LBB345_1741:
	s_andn2_b64 vcc, exec, s[6:7]
	s_mov_b64 s[6:7], 0
	s_cbranch_vccnz .LBB345_1748
; %bb.1742:
	s_cmp_gt_i32 s15, 14
	s_mov_b64 s[10:11], -1
	s_cbranch_scc0 .LBB345_1746
; %bb.1743:
	s_cmp_eq_u32 s15, 15
	s_mov_b64 s[0:1], -1
	s_cbranch_scc0 .LBB345_1745
; %bb.1744:
	global_store_short v[6:7], v1, off
	s_mov_b64 s[0:1], 0
	s_mov_b64 s[8:9], -1
.LBB345_1745:
	s_mov_b64 s[10:11], 0
.LBB345_1746:
	s_and_b64 vcc, exec, s[10:11]
	s_cbranch_vccz .LBB345_1748
; %bb.1747:
	s_cmp_lg_u32 s15, 11
	s_mov_b64 s[6:7], -1
	s_cselect_b64 s[0:1], -1, 0
.LBB345_1748:
	s_and_b64 vcc, exec, s[0:1]
	s_cbranch_vccnz .LBB345_2158
; %bb.1749:
	s_andn2_b64 vcc, exec, s[6:7]
	s_cbranch_vccnz .LBB345_1751
.LBB345_1750:
	v_and_b32_e32 v5, 0x7fff, v1
	v_cmp_ne_u16_e32 vcc, 0, v5
	s_mov_b64 s[8:9], -1
	s_nop 0
	v_cndmask_b32_e64 v5, 0, 1, vcc
	global_store_byte v[6:7], v5, off
.LBB345_1751:
	s_mov_b64 s[0:1], 0
	s_branch .LBB345_1799
.LBB345_1752:
	s_mov_b64 s[0:1], 0
                                        ; implicit-def: $vgpr0_vgpr1
                                        ; implicit-def: $sgpr14
                                        ; implicit-def: $vgpr10
.LBB345_1753:
	s_mov_b64 s[4:5], 0
.LBB345_1754:
	s_and_b64 s[6:7], s[0:1], exec
	s_andn2_b64 s[0:1], s[24:25], exec
	s_and_b64 s[2:3], s[2:3], exec
	s_and_b64 s[40:41], s[4:5], exec
	s_or_b64 s[24:25], s[0:1], s[2:3]
.LBB345_1755:
	s_or_b64 exec, exec, s[26:27]
	s_and_saveexec_b64 s[0:1], s[24:25]
	s_cbranch_execz .LBB345_1758
; %bb.1756:
	; divergent unreachable
	s_or_b64 exec, exec, s[0:1]
	s_and_saveexec_b64 s[0:1], s[40:41]
	s_xor_b64 s[0:1], exec, s[0:1]
	s_cbranch_execnz .LBB345_1759
.LBB345_1757:
	s_or_b64 exec, exec, s[0:1]
	s_and_saveexec_b64 s[0:1], s[6:7]
	s_cbranch_execnz .LBB345_1760
	s_branch .LBB345_1797
.LBB345_1758:
	s_or_b64 exec, exec, s[0:1]
	s_and_saveexec_b64 s[0:1], s[40:41]
	s_xor_b64 s[0:1], exec, s[0:1]
	s_cbranch_execz .LBB345_1757
.LBB345_1759:
	s_waitcnt vmcnt(0)
	v_and_b32_e32 v2, 0x7fff, v10
	v_cmp_ne_u16_e32 vcc, 0, v2
	s_nop 1
	v_cndmask_b32_e64 v2, 0, 1, vcc
	global_store_byte v[0:1], v2, off
	s_or_b64 exec, exec, s[0:1]
	s_and_saveexec_b64 s[0:1], s[6:7]
	s_cbranch_execz .LBB345_1797
.LBB345_1760:
	s_sext_i32_i16 s2, s14
	s_cmp_lt_i32 s2, 5
	s_mov_b64 s[0:1], -1
	s_cbranch_scc1 .LBB345_1781
; %bb.1761:
	s_cmp_lt_i32 s2, 8
	s_cbranch_scc1 .LBB345_1771
; %bb.1762:
	s_cmp_lt_i32 s2, 9
	s_cbranch_scc1 .LBB345_1768
; %bb.1763:
	s_cmp_gt_i32 s2, 9
	s_cbranch_scc0 .LBB345_1765
; %bb.1764:
	s_waitcnt vmcnt(0)
	v_lshlrev_b32_e32 v2, 16, v10
	v_mov_b32_e32 v4, 0
	v_cvt_f64_f32_e32 v[2:3], v2
	v_mov_b32_e32 v5, v4
	global_store_dwordx4 v[0:1], v[2:5], off
	s_mov_b64 s[0:1], 0
.LBB345_1765:
	s_andn2_b64 vcc, exec, s[0:1]
	s_cbranch_vccnz .LBB345_1767
; %bb.1766:
	s_waitcnt vmcnt(0)
	v_lshlrev_b32_e32 v2, 16, v10
	v_mov_b32_e32 v3, 0
	global_store_dwordx2 v[0:1], v[2:3], off
.LBB345_1767:
	s_mov_b64 s[0:1], 0
.LBB345_1768:
	s_andn2_b64 vcc, exec, s[0:1]
	s_cbranch_vccnz .LBB345_1770
; %bb.1769:
	s_waitcnt vmcnt(0)
	v_lshlrev_b32_e32 v2, 16, v10
	v_cvt_f16_f32_e32 v2, v2
	global_store_dword v[0:1], v2, off
.LBB345_1770:
	s_mov_b64 s[0:1], 0
.LBB345_1771:
	s_andn2_b64 vcc, exec, s[0:1]
	s_cbranch_vccnz .LBB345_1780
; %bb.1772:
	s_sext_i32_i16 s2, s14
	s_cmp_lt_i32 s2, 6
	s_mov_b64 s[0:1], -1
	s_cbranch_scc1 .LBB345_1778
; %bb.1773:
	s_cmp_gt_i32 s2, 6
	s_cbranch_scc0 .LBB345_1775
; %bb.1774:
	s_waitcnt vmcnt(0)
	v_lshlrev_b32_e32 v2, 16, v10
	v_cvt_f64_f32_e32 v[2:3], v2
	global_store_dwordx2 v[0:1], v[2:3], off
	s_mov_b64 s[0:1], 0
.LBB345_1775:
	s_andn2_b64 vcc, exec, s[0:1]
	s_cbranch_vccnz .LBB345_1777
; %bb.1776:
	s_waitcnt vmcnt(0)
	v_lshlrev_b32_e32 v2, 16, v10
	global_store_dword v[0:1], v2, off
.LBB345_1777:
	s_mov_b64 s[0:1], 0
.LBB345_1778:
	s_andn2_b64 vcc, exec, s[0:1]
	s_cbranch_vccnz .LBB345_1780
; %bb.1779:
	s_waitcnt vmcnt(0)
	v_lshlrev_b32_e32 v2, 16, v10
	v_cvt_f16_f32_e32 v2, v2
	global_store_short v[0:1], v2, off
.LBB345_1780:
	s_mov_b64 s[0:1], 0
.LBB345_1781:
	s_andn2_b64 vcc, exec, s[0:1]
	s_cbranch_vccnz .LBB345_1797
; %bb.1782:
	s_sext_i32_i16 s2, s14
	s_cmp_lt_i32 s2, 2
	s_mov_b64 s[0:1], -1
	s_cbranch_scc1 .LBB345_1792
; %bb.1783:
	s_cmp_lt_i32 s2, 3
	s_cbranch_scc1 .LBB345_1789
; %bb.1784:
	s_cmp_gt_i32 s2, 3
	s_cbranch_scc0 .LBB345_1786
; %bb.1785:
	s_waitcnt vmcnt(0)
	v_lshlrev_b32_e32 v2, 16, v10
	v_trunc_f32_e32 v2, v2
	s_mov_b32 s0, 0x2f800000
	v_mul_f32_e64 v3, |v2|, s0
	v_floor_f32_e32 v3, v3
	s_mov_b32 s0, 0xcf800000
	v_cvt_u32_f32_e32 v4, v3
	v_fma_f32 v3, v3, s0, |v2|
	v_cvt_u32_f32_e32 v3, v3
	v_ashrrev_i32_e32 v5, 31, v2
	v_xor_b32_e32 v4, v4, v5
	s_mov_b64 s[0:1], 0
	v_xor_b32_e32 v2, v3, v5
	v_sub_co_u32_e32 v2, vcc, v2, v5
	s_nop 1
	v_subb_co_u32_e32 v3, vcc, v4, v5, vcc
	global_store_dwordx2 v[0:1], v[2:3], off
.LBB345_1786:
	s_andn2_b64 vcc, exec, s[0:1]
	s_cbranch_vccnz .LBB345_1788
; %bb.1787:
	s_waitcnt vmcnt(0)
	v_lshlrev_b32_e32 v2, 16, v10
	v_cvt_i32_f32_e32 v2, v2
	global_store_dword v[0:1], v2, off
.LBB345_1788:
	s_mov_b64 s[0:1], 0
.LBB345_1789:
	s_andn2_b64 vcc, exec, s[0:1]
	s_cbranch_vccnz .LBB345_1791
; %bb.1790:
	s_waitcnt vmcnt(0)
	v_lshlrev_b32_e32 v2, 16, v10
	v_cvt_i32_f32_e32 v2, v2
	global_store_short v[0:1], v2, off
.LBB345_1791:
	s_mov_b64 s[0:1], 0
.LBB345_1792:
	s_andn2_b64 vcc, exec, s[0:1]
	s_cbranch_vccnz .LBB345_1797
; %bb.1793:
	s_sext_i32_i16 s0, s14
	s_cmp_gt_i32 s0, 0
	s_mov_b64 s[0:1], -1
	s_cbranch_scc0 .LBB345_1795
; %bb.1794:
	s_waitcnt vmcnt(0)
	v_lshlrev_b32_e32 v2, 16, v10
	v_cvt_i32_f32_e32 v2, v2
	s_mov_b64 s[0:1], 0
	global_store_byte v[0:1], v2, off
.LBB345_1795:
	s_andn2_b64 vcc, exec, s[0:1]
	s_cbranch_vccnz .LBB345_1797
; %bb.1796:
	s_waitcnt vmcnt(0)
	v_lshlrev_b32_e32 v2, 16, v10
	v_trunc_f32_e32 v2, v2
	s_mov_b32 s0, 0x2f800000
	v_mul_f32_e64 v3, |v2|, s0
	v_floor_f32_e32 v3, v3
	s_mov_b32 s0, 0xcf800000
	v_fma_f32 v3, v3, s0, |v2|
	v_cvt_u32_f32_e32 v3, v3
	v_ashrrev_i32_e32 v2, 31, v2
	v_xor_b32_e32 v3, v3, v2
	v_sub_u32_e32 v2, v3, v2
	global_store_byte v[0:1], v2, off
	s_endpgm
.LBB345_1797:
	s_endpgm
.LBB345_1798:
	s_mov_b64 s[0:1], -1
	s_mov_b64 s[8:9], 0
.LBB345_1799:
	s_and_b64 vcc, exec, s[0:1]
	s_cbranch_vccz .LBB345_1838
; %bb.1800:
	s_and_b32 s6, 0xffff, s14
	s_cmp_lt_i32 s6, 5
	s_mov_b64 s[0:1], -1
	s_cbranch_scc1 .LBB345_1821
; %bb.1801:
	s_cmp_lt_i32 s6, 8
	s_cbranch_scc1 .LBB345_1811
; %bb.1802:
	s_cmp_lt_i32 s6, 9
	s_cbranch_scc1 .LBB345_1808
; %bb.1803:
	s_cmp_gt_i32 s6, 9
	s_cbranch_scc0 .LBB345_1805
; %bb.1804:
	v_lshlrev_b32_e32 v5, 16, v1
	v_mov_b32_e32 v16, 0
	v_cvt_f64_f32_e32 v[14:15], v5
	v_mov_b32_e32 v17, v16
	global_store_dwordx4 v[6:7], v[14:17], off
	s_mov_b64 s[0:1], 0
.LBB345_1805:
	s_andn2_b64 vcc, exec, s[0:1]
	s_cbranch_vccnz .LBB345_1807
; %bb.1806:
	v_lshlrev_b32_e32 v8, 16, v1
	v_mov_b32_e32 v9, 0
	global_store_dwordx2 v[6:7], v[8:9], off
.LBB345_1807:
	s_mov_b64 s[0:1], 0
.LBB345_1808:
	s_andn2_b64 vcc, exec, s[0:1]
	s_cbranch_vccnz .LBB345_1810
; %bb.1809:
	v_lshlrev_b32_e32 v5, 16, v1
	v_cvt_f16_f32_e32 v5, v5
	global_store_dword v[6:7], v5, off
.LBB345_1810:
	s_mov_b64 s[0:1], 0
.LBB345_1811:
	s_andn2_b64 vcc, exec, s[0:1]
	s_cbranch_vccnz .LBB345_1820
; %bb.1812:
	s_cmp_lt_i32 s6, 6
	s_mov_b64 s[0:1], -1
	s_cbranch_scc1 .LBB345_1818
; %bb.1813:
	s_cmp_gt_i32 s6, 6
	s_cbranch_scc0 .LBB345_1815
; %bb.1814:
	v_lshlrev_b32_e32 v5, 16, v1
	v_cvt_f64_f32_e32 v[8:9], v5
	global_store_dwordx2 v[6:7], v[8:9], off
	s_mov_b64 s[0:1], 0
.LBB345_1815:
	s_andn2_b64 vcc, exec, s[0:1]
	s_cbranch_vccnz .LBB345_1817
; %bb.1816:
	v_lshlrev_b32_e32 v5, 16, v1
	global_store_dword v[6:7], v5, off
.LBB345_1817:
	s_mov_b64 s[0:1], 0
.LBB345_1818:
	s_andn2_b64 vcc, exec, s[0:1]
	s_cbranch_vccnz .LBB345_1820
; %bb.1819:
	v_lshlrev_b32_e32 v5, 16, v1
	v_cvt_f16_f32_e32 v5, v5
	global_store_short v[6:7], v5, off
.LBB345_1820:
	s_mov_b64 s[0:1], 0
.LBB345_1821:
	s_andn2_b64 vcc, exec, s[0:1]
	s_cbranch_vccnz .LBB345_1837
; %bb.1822:
	s_cmp_lt_i32 s6, 2
	s_mov_b64 s[0:1], -1
	s_cbranch_scc1 .LBB345_1832
; %bb.1823:
	s_cmp_lt_i32 s6, 3
	s_cbranch_scc1 .LBB345_1829
; %bb.1824:
	s_cmp_gt_i32 s6, 3
	s_cbranch_scc0 .LBB345_1826
; %bb.1825:
	v_lshlrev_b32_e32 v5, 16, v1
	v_trunc_f32_e32 v5, v5
	s_mov_b32 s0, 0x2f800000
	v_mul_f32_e64 v8, |v5|, s0
	v_floor_f32_e32 v8, v8
	s_mov_b32 s0, 0xcf800000
	v_cvt_u32_f32_e32 v9, v8
	v_fma_f32 v8, v8, s0, |v5|
	v_cvt_u32_f32_e32 v8, v8
	v_ashrrev_i32_e32 v5, 31, v5
	v_xor_b32_e32 v9, v9, v5
	s_mov_b64 s[0:1], 0
	v_xor_b32_e32 v8, v8, v5
	v_sub_co_u32_e32 v8, vcc, v8, v5
	s_nop 1
	v_subb_co_u32_e32 v9, vcc, v9, v5, vcc
	global_store_dwordx2 v[6:7], v[8:9], off
.LBB345_1826:
	s_andn2_b64 vcc, exec, s[0:1]
	s_cbranch_vccnz .LBB345_1828
; %bb.1827:
	v_lshlrev_b32_e32 v5, 16, v1
	v_cvt_i32_f32_e32 v5, v5
	global_store_dword v[6:7], v5, off
.LBB345_1828:
	s_mov_b64 s[0:1], 0
.LBB345_1829:
	s_andn2_b64 vcc, exec, s[0:1]
	s_cbranch_vccnz .LBB345_1831
; %bb.1830:
	v_lshlrev_b32_e32 v5, 16, v1
	v_cvt_i32_f32_e32 v5, v5
	global_store_short v[6:7], v5, off
.LBB345_1831:
	s_mov_b64 s[0:1], 0
.LBB345_1832:
	s_andn2_b64 vcc, exec, s[0:1]
	s_cbranch_vccnz .LBB345_1837
; %bb.1833:
	s_mov_b64 s[0:1], -1
	s_cmp_gt_i32 s6, 0
	v_lshlrev_b32_e32 v1, 16, v1
	s_cbranch_scc0 .LBB345_1835
; %bb.1834:
	v_cvt_i32_f32_e32 v5, v1
	s_mov_b64 s[0:1], 0
	global_store_byte v[6:7], v5, off
.LBB345_1835:
	s_andn2_b64 vcc, exec, s[0:1]
	s_cbranch_vccnz .LBB345_1837
; %bb.1836:
	v_trunc_f32_e32 v1, v1
	s_mov_b32 s0, 0x2f800000
	v_mul_f32_e64 v5, |v1|, s0
	v_floor_f32_e32 v5, v5
	s_mov_b32 s0, 0xcf800000
	v_fma_f32 v5, v5, s0, |v1|
	v_cvt_u32_f32_e32 v5, v5
	v_ashrrev_i32_e32 v1, 31, v1
	v_xor_b32_e32 v5, v5, v1
	v_sub_u32_e32 v1, v5, v1
	global_store_byte v[6:7], v1, off
.LBB345_1837:
	s_mov_b64 s[8:9], -1
.LBB345_1838:
	s_andn2_b64 vcc, exec, s[8:9]
	s_cbranch_vccnz .LBB345_2153
; %bb.1839:
	v_mov_b32_e32 v5, 0
	s_and_b32 s15, 0xffff, s14
	s_cmp_lt_i32 s15, 11
	v_lshl_add_u64 v[4:5], s[4:5], 0, v[4:5]
	s_cbranch_scc1 .LBB345_1917
; %bb.1840:
	s_mov_b64 s[10:11], -1
	s_mov_b64 s[6:7], 0
	s_cmp_gt_i32 s15, 25
	s_mov_b64 s[8:9], 0
	s_mov_b64 s[0:1], 0
	s_cbranch_scc0 .LBB345_1873
; %bb.1841:
	s_cmp_gt_i32 s15, 28
	s_cbranch_scc0 .LBB345_1856
; %bb.1842:
	s_cmp_gt_i32 s15, 43
	;; [unrolled: 3-line block ×3, first 2 shown]
	s_cbranch_scc0 .LBB345_1846
; %bb.1844:
	s_mov_b64 s[0:1], -1
	s_mov_b64 s[10:11], 0
	s_cmp_eq_u32 s15, 46
	s_cbranch_scc0 .LBB345_1846
; %bb.1845:
	v_and_b32_e32 v1, 0xffff, v3
	global_store_dword v[4:5], v1, off
	s_mov_b64 s[0:1], 0
	s_mov_b64 s[8:9], -1
.LBB345_1846:
	s_and_b64 vcc, exec, s[10:11]
	s_cbranch_vccz .LBB345_1851
; %bb.1847:
	s_cmp_eq_u32 s15, 44
	s_mov_b64 s[0:1], -1
	s_cbranch_scc0 .LBB345_1851
; %bb.1848:
	v_and_b32_e32 v6, 0xffff, v3
	v_bfe_u32 v1, v6, 7, 8
	s_movk_i32 s0, 0xff
	v_cmp_ne_u32_e32 vcc, s0, v1
	v_mov_b32_e32 v7, 0xff
	s_and_saveexec_b64 s[8:9], vcc
	s_cbranch_execz .LBB345_1850
; %bb.1849:
	v_lshlrev_b32_e32 v8, 16, v6
	s_mov_b32 s0, 0x3f0000
	v_lshrrev_b32_e32 v7, 7, v6
	v_and_b32_e32 v6, 64, v6
	v_and_or_b32 v1, v8, s0, v1
	v_cmp_ne_u32_e32 vcc, 0, v6
	v_cmp_ne_u32_e64 s[0:1], 0, v1
	s_and_b64 s[0:1], vcc, s[0:1]
	s_nop 0
	v_cndmask_b32_e64 v1, 0, 1, s[0:1]
	v_add_u32_e32 v7, v7, v1
.LBB345_1850:
	s_or_b64 exec, exec, s[8:9]
	s_mov_b64 s[0:1], 0
	s_mov_b64 s[8:9], -1
	global_store_byte v[4:5], v7, off
.LBB345_1851:
	s_mov_b64 s[10:11], 0
.LBB345_1852:
	s_and_b64 vcc, exec, s[10:11]
	s_cbranch_vccz .LBB345_1855
; %bb.1853:
	s_cmp_eq_u32 s15, 29
	s_mov_b64 s[0:1], -1
	s_cbranch_scc0 .LBB345_1855
; %bb.1854:
	v_lshlrev_b32_e32 v1, 16, v3
	v_trunc_f32_e32 v1, v1
	v_mul_f32_e32 v6, 0x2f800000, v1
	v_floor_f32_e32 v6, v6
	v_fmamk_f32 v1, v6, 0xcf800000, v1
	v_cvt_u32_f32_e32 v7, v6
	v_cvt_u32_f32_e32 v6, v1
	s_mov_b64 s[0:1], 0
	s_mov_b64 s[8:9], -1
	global_store_dwordx2 v[4:5], v[6:7], off
.LBB345_1855:
	s_mov_b64 s[10:11], 0
.LBB345_1856:
	s_and_b64 vcc, exec, s[10:11]
	s_cbranch_vccz .LBB345_1872
; %bb.1857:
	s_cmp_lt_i32 s15, 27
	s_mov_b64 s[8:9], -1
	s_cbranch_scc1 .LBB345_1863
; %bb.1858:
	s_cmp_gt_i32 s15, 27
	s_cbranch_scc0 .LBB345_1860
; %bb.1859:
	v_lshlrev_b32_e32 v1, 16, v3
	v_cvt_u32_f32_e32 v1, v1
	s_mov_b64 s[8:9], 0
	global_store_dword v[4:5], v1, off
.LBB345_1860:
	s_andn2_b64 vcc, exec, s[8:9]
	s_cbranch_vccnz .LBB345_1862
; %bb.1861:
	v_lshlrev_b32_e32 v1, 16, v3
	v_cvt_u32_f32_e32 v1, v1
	global_store_short v[4:5], v1, off
.LBB345_1862:
	s_mov_b64 s[8:9], 0
.LBB345_1863:
	s_andn2_b64 vcc, exec, s[8:9]
	s_cbranch_vccnz .LBB345_1871
; %bb.1864:
	v_lshlrev_b32_e32 v7, 16, v3
	v_and_b32_e32 v6, 0x7fffffff, v7
	s_mov_b32 s8, 0x43800000
	v_cmp_gt_u32_e32 vcc, s8, v6
	v_mov_b32_e32 v8, 0x80
	s_and_saveexec_b64 s[8:9], vcc
	s_cbranch_execz .LBB345_1870
; %bb.1865:
	s_mov_b32 s10, 0x3bffffff
	v_and_b32_e32 v1, 0xffff, v3
	v_cmp_lt_u32_e32 vcc, s10, v6
	s_mov_b64 s[10:11], 0
                                        ; implicit-def: $vgpr6
	s_and_saveexec_b64 s[12:13], vcc
	s_xor_b64 s[12:13], exec, s[12:13]
	s_cbranch_execz .LBB345_2161
; %bb.1866:
	v_bfe_u32 v6, v1, 4, 1
	s_mov_b32 s16, 0x487ffff
	v_add3_u32 v6, v7, v6, s16
	s_mov_b64 s[10:11], exec
	v_lshrrev_b32_e32 v6, 20, v6
                                        ; implicit-def: $vgpr7
	s_andn2_saveexec_b64 s[12:13], s[12:13]
	s_cbranch_execnz .LBB345_2162
.LBB345_1867:
	s_or_b64 exec, exec, s[12:13]
	v_mov_b32_e32 v8, 0
	s_and_saveexec_b64 s[12:13], s[10:11]
.LBB345_1868:
	v_lshrrev_b32_e32 v1, 8, v1
	s_movk_i32 s10, 0x80
	v_and_or_b32 v8, v1, s10, v6
.LBB345_1869:
	s_or_b64 exec, exec, s[12:13]
.LBB345_1870:
	s_or_b64 exec, exec, s[8:9]
	global_store_byte v[4:5], v8, off
.LBB345_1871:
	s_mov_b64 s[8:9], -1
.LBB345_1872:
	s_mov_b64 s[10:11], 0
.LBB345_1873:
	s_and_b64 vcc, exec, s[10:11]
	s_cbranch_vccz .LBB345_1913
; %bb.1874:
	s_cmp_gt_i32 s15, 22
	s_mov_b64 s[6:7], -1
	s_cbranch_scc0 .LBB345_1906
; %bb.1875:
	s_cmp_lt_i32 s15, 24
	s_cbranch_scc1 .LBB345_1895
; %bb.1876:
	s_cmp_gt_i32 s15, 24
	s_cbranch_scc0 .LBB345_1884
; %bb.1877:
	v_lshlrev_b32_e32 v7, 16, v3
	v_and_b32_e32 v6, 0x7fffffff, v7
	s_mov_b32 s6, 0x47800000
	v_cmp_gt_u32_e32 vcc, s6, v6
	v_mov_b32_e32 v8, 0x80
	s_and_saveexec_b64 s[6:7], vcc
	s_cbranch_execz .LBB345_1883
; %bb.1878:
	s_mov_b32 s8, 0x37ffffff
	v_and_b32_e32 v1, 0xffff, v3
	v_cmp_lt_u32_e32 vcc, s8, v6
	s_mov_b64 s[8:9], 0
                                        ; implicit-def: $vgpr6
	s_and_saveexec_b64 s[10:11], vcc
	s_xor_b64 s[10:11], exec, s[10:11]
	s_cbranch_execz .LBB345_2164
; %bb.1879:
	v_bfe_u32 v6, v1, 5, 1
	s_mov_b32 s12, 0x88fffff
	v_add3_u32 v6, v7, v6, s12
	s_mov_b64 s[8:9], exec
	v_lshrrev_b32_e32 v6, 21, v6
                                        ; implicit-def: $vgpr7
	s_andn2_saveexec_b64 s[10:11], s[10:11]
	s_cbranch_execnz .LBB345_2165
.LBB345_1880:
	s_or_b64 exec, exec, s[10:11]
	v_mov_b32_e32 v8, 0
	s_and_saveexec_b64 s[10:11], s[8:9]
.LBB345_1881:
	v_lshrrev_b32_e32 v1, 8, v1
	s_movk_i32 s8, 0x80
	v_and_or_b32 v8, v1, s8, v6
.LBB345_1882:
	s_or_b64 exec, exec, s[10:11]
.LBB345_1883:
	s_or_b64 exec, exec, s[6:7]
	s_mov_b64 s[6:7], 0
	global_store_byte v[4:5], v8, off
.LBB345_1884:
	s_and_b64 vcc, exec, s[6:7]
	s_cbranch_vccz .LBB345_1894
; %bb.1885:
	v_lshlrev_b32_e32 v7, 16, v3
	v_and_b32_e32 v8, 0x7fffffff, v7
	s_mov_b32 s6, 0x43f00000
	v_and_b32_e32 v1, 0xffff, v3
	v_cmp_gt_u32_e32 vcc, s6, v8
                                        ; implicit-def: $vgpr6
	s_and_saveexec_b64 s[6:7], vcc
	s_xor_b64 s[6:7], exec, s[6:7]
	s_cbranch_execz .LBB345_1891
; %bb.1886:
	s_mov_b32 s8, 0x3c7fffff
	v_cmp_lt_u32_e32 vcc, s8, v8
                                        ; implicit-def: $vgpr6
	s_and_saveexec_b64 s[8:9], vcc
	s_xor_b64 s[8:9], exec, s[8:9]
; %bb.1887:
	v_bfe_u32 v6, v1, 4, 1
	s_mov_b32 s10, 0x407ffff
	v_add3_u32 v6, v7, v6, s10
	v_lshrrev_b32_e32 v7, 20, v6
	v_and_b32_e32 v6, 0xff00000, v6
	s_mov_b32 s10, 0x7f00000
	v_mov_b32_e32 v8, 0x7e
	v_cmp_ne_u32_e32 vcc, s10, v6
	s_nop 1
	v_cndmask_b32_e32 v6, v8, v7, vcc
                                        ; implicit-def: $vgpr7
; %bb.1888:
	s_andn2_saveexec_b64 s[8:9], s[8:9]
; %bb.1889:
	s_mov_b32 s10, 0x46800000
	v_add_f32_e64 v6, |v7|, s10
; %bb.1890:
	s_or_b64 exec, exec, s[8:9]
                                        ; implicit-def: $vgpr8
.LBB345_1891:
	s_andn2_saveexec_b64 s[6:7], s[6:7]
; %bb.1892:
	s_mov_b32 s8, 0x7f800000
	v_mov_b32_e32 v6, 0x7e
	v_mov_b32_e32 v7, 0x7f
	v_cmp_lt_u32_e32 vcc, s8, v8
	s_nop 1
	v_cndmask_b32_e32 v6, v6, v7, vcc
; %bb.1893:
	s_or_b64 exec, exec, s[6:7]
	v_lshrrev_b32_e32 v1, 8, v1
	s_movk_i32 s6, 0x80
	v_and_or_b32 v1, v1, s6, v6
	global_store_byte v[4:5], v1, off
.LBB345_1894:
	s_mov_b64 s[6:7], 0
.LBB345_1895:
	s_andn2_b64 vcc, exec, s[6:7]
	s_cbranch_vccnz .LBB345_1905
; %bb.1896:
	v_lshlrev_b32_e32 v7, 16, v3
	v_and_b32_e32 v8, 0x7fffffff, v7
	s_mov_b32 s6, 0x47800000
	v_and_b32_e32 v1, 0xffff, v3
	v_cmp_gt_u32_e32 vcc, s6, v8
                                        ; implicit-def: $vgpr6
	s_and_saveexec_b64 s[6:7], vcc
	s_xor_b64 s[6:7], exec, s[6:7]
	s_cbranch_execz .LBB345_1902
; %bb.1897:
	s_mov_b32 s8, 0x387fffff
	v_cmp_lt_u32_e32 vcc, s8, v8
                                        ; implicit-def: $vgpr6
	s_and_saveexec_b64 s[8:9], vcc
	s_xor_b64 s[8:9], exec, s[8:9]
; %bb.1898:
	v_bfe_u32 v6, v1, 5, 1
	s_mov_b32 s10, 0x80fffff
	v_add3_u32 v6, v7, v6, s10
	v_lshrrev_b32_e32 v6, 21, v6
                                        ; implicit-def: $vgpr7
; %bb.1899:
	s_andn2_saveexec_b64 s[8:9], s[8:9]
; %bb.1900:
	s_mov_b32 s10, 0x43000000
	v_add_f32_e64 v6, |v7|, s10
; %bb.1901:
	s_or_b64 exec, exec, s[8:9]
                                        ; implicit-def: $vgpr8
.LBB345_1902:
	s_andn2_saveexec_b64 s[6:7], s[6:7]
; %bb.1903:
	s_mov_b32 s8, 0x7f800000
	v_mov_b32_e32 v6, 0x7c
	v_mov_b32_e32 v7, 0x7f
	v_cmp_lt_u32_e32 vcc, s8, v8
	s_nop 1
	v_cndmask_b32_e32 v6, v6, v7, vcc
; %bb.1904:
	s_or_b64 exec, exec, s[6:7]
	v_lshrrev_b32_e32 v1, 8, v1
	s_movk_i32 s6, 0x80
	v_and_or_b32 v1, v1, s6, v6
	global_store_byte v[4:5], v1, off
.LBB345_1905:
	s_mov_b64 s[6:7], 0
	s_mov_b64 s[8:9], -1
.LBB345_1906:
	s_andn2_b64 vcc, exec, s[6:7]
	s_mov_b64 s[6:7], 0
	s_cbranch_vccnz .LBB345_1913
; %bb.1907:
	s_cmp_gt_i32 s15, 14
	s_mov_b64 s[10:11], -1
	s_cbranch_scc0 .LBB345_1911
; %bb.1908:
	s_cmp_eq_u32 s15, 15
	s_mov_b64 s[0:1], -1
	s_cbranch_scc0 .LBB345_1910
; %bb.1909:
	global_store_short v[4:5], v3, off
	s_mov_b64 s[0:1], 0
	s_mov_b64 s[8:9], -1
.LBB345_1910:
	s_mov_b64 s[10:11], 0
.LBB345_1911:
	s_and_b64 vcc, exec, s[10:11]
	s_cbranch_vccz .LBB345_1913
; %bb.1912:
	s_cmp_lg_u32 s15, 11
	s_mov_b64 s[6:7], -1
	s_cselect_b64 s[0:1], -1, 0
.LBB345_1913:
	s_and_b64 vcc, exec, s[0:1]
	s_cbranch_vccnz .LBB345_2163
; %bb.1914:
	s_andn2_b64 vcc, exec, s[6:7]
	s_cbranch_vccnz .LBB345_1916
.LBB345_1915:
	v_and_b32_e32 v1, 0x7fff, v3
	v_cmp_ne_u16_e32 vcc, 0, v1
	s_mov_b64 s[8:9], -1
	s_nop 0
	v_cndmask_b32_e64 v1, 0, 1, vcc
	global_store_byte v[4:5], v1, off
.LBB345_1916:
	s_mov_b64 s[0:1], 0
	s_branch .LBB345_1918
.LBB345_1917:
	s_mov_b64 s[0:1], -1
	s_mov_b64 s[8:9], 0
.LBB345_1918:
	s_and_b64 vcc, exec, s[0:1]
	s_cbranch_vccz .LBB345_1957
; %bb.1919:
	s_cmp_lt_i32 s15, 5
	s_mov_b64 s[0:1], -1
	s_cbranch_scc1 .LBB345_1940
; %bb.1920:
	s_cmp_lt_i32 s15, 8
	s_cbranch_scc1 .LBB345_1930
; %bb.1921:
	s_cmp_lt_i32 s15, 9
	s_cbranch_scc1 .LBB345_1927
; %bb.1922:
	s_cmp_gt_i32 s15, 9
	s_cbranch_scc0 .LBB345_1924
; %bb.1923:
	v_lshlrev_b32_e32 v1, 16, v3
	v_mov_b32_e32 v8, 0
	v_cvt_f64_f32_e32 v[6:7], v1
	v_mov_b32_e32 v9, v8
	global_store_dwordx4 v[4:5], v[6:9], off
	s_mov_b64 s[0:1], 0
.LBB345_1924:
	s_andn2_b64 vcc, exec, s[0:1]
	s_cbranch_vccnz .LBB345_1926
; %bb.1925:
	v_lshlrev_b32_e32 v6, 16, v3
	v_mov_b32_e32 v7, 0
	global_store_dwordx2 v[4:5], v[6:7], off
.LBB345_1926:
	s_mov_b64 s[0:1], 0
.LBB345_1927:
	s_andn2_b64 vcc, exec, s[0:1]
	s_cbranch_vccnz .LBB345_1929
; %bb.1928:
	v_lshlrev_b32_e32 v1, 16, v3
	v_cvt_f16_f32_e32 v1, v1
	global_store_dword v[4:5], v1, off
.LBB345_1929:
	s_mov_b64 s[0:1], 0
.LBB345_1930:
	s_andn2_b64 vcc, exec, s[0:1]
	s_cbranch_vccnz .LBB345_1939
; %bb.1931:
	s_cmp_lt_i32 s15, 6
	s_mov_b64 s[0:1], -1
	s_cbranch_scc1 .LBB345_1937
; %bb.1932:
	s_cmp_gt_i32 s15, 6
	s_cbranch_scc0 .LBB345_1934
; %bb.1933:
	v_lshlrev_b32_e32 v1, 16, v3
	v_cvt_f64_f32_e32 v[6:7], v1
	global_store_dwordx2 v[4:5], v[6:7], off
	s_mov_b64 s[0:1], 0
.LBB345_1934:
	s_andn2_b64 vcc, exec, s[0:1]
	s_cbranch_vccnz .LBB345_1936
; %bb.1935:
	v_lshlrev_b32_e32 v1, 16, v3
	global_store_dword v[4:5], v1, off
.LBB345_1936:
	s_mov_b64 s[0:1], 0
.LBB345_1937:
	s_andn2_b64 vcc, exec, s[0:1]
	s_cbranch_vccnz .LBB345_1939
; %bb.1938:
	v_lshlrev_b32_e32 v1, 16, v3
	v_cvt_f16_f32_e32 v1, v1
	global_store_short v[4:5], v1, off
.LBB345_1939:
	s_mov_b64 s[0:1], 0
.LBB345_1940:
	s_andn2_b64 vcc, exec, s[0:1]
	s_cbranch_vccnz .LBB345_1956
; %bb.1941:
	s_cmp_lt_i32 s15, 2
	s_mov_b64 s[0:1], -1
	s_cbranch_scc1 .LBB345_1951
; %bb.1942:
	s_cmp_lt_i32 s15, 3
	s_cbranch_scc1 .LBB345_1948
; %bb.1943:
	s_cmp_gt_i32 s15, 3
	s_cbranch_scc0 .LBB345_1945
; %bb.1944:
	v_lshlrev_b32_e32 v1, 16, v3
	v_trunc_f32_e32 v1, v1
	s_mov_b32 s0, 0x2f800000
	v_mul_f32_e64 v6, |v1|, s0
	v_floor_f32_e32 v6, v6
	s_mov_b32 s0, 0xcf800000
	v_cvt_u32_f32_e32 v7, v6
	v_fma_f32 v6, v6, s0, |v1|
	v_cvt_u32_f32_e32 v6, v6
	v_ashrrev_i32_e32 v1, 31, v1
	v_xor_b32_e32 v7, v7, v1
	s_mov_b64 s[0:1], 0
	v_xor_b32_e32 v6, v6, v1
	v_sub_co_u32_e32 v6, vcc, v6, v1
	s_nop 1
	v_subb_co_u32_e32 v7, vcc, v7, v1, vcc
	global_store_dwordx2 v[4:5], v[6:7], off
.LBB345_1945:
	s_andn2_b64 vcc, exec, s[0:1]
	s_cbranch_vccnz .LBB345_1947
; %bb.1946:
	v_lshlrev_b32_e32 v1, 16, v3
	v_cvt_i32_f32_e32 v1, v1
	global_store_dword v[4:5], v1, off
.LBB345_1947:
	s_mov_b64 s[0:1], 0
.LBB345_1948:
	s_andn2_b64 vcc, exec, s[0:1]
	s_cbranch_vccnz .LBB345_1950
; %bb.1949:
	v_lshlrev_b32_e32 v1, 16, v3
	v_cvt_i32_f32_e32 v1, v1
	global_store_short v[4:5], v1, off
.LBB345_1950:
	s_mov_b64 s[0:1], 0
.LBB345_1951:
	s_andn2_b64 vcc, exec, s[0:1]
	s_cbranch_vccnz .LBB345_1956
; %bb.1952:
	s_mov_b64 s[0:1], -1
	s_cmp_gt_i32 s15, 0
	v_lshlrev_b32_e32 v1, 16, v3
	s_cbranch_scc0 .LBB345_1954
; %bb.1953:
	v_cvt_i32_f32_e32 v3, v1
	s_mov_b64 s[0:1], 0
	global_store_byte v[4:5], v3, off
.LBB345_1954:
	s_andn2_b64 vcc, exec, s[0:1]
	s_cbranch_vccnz .LBB345_1956
; %bb.1955:
	v_trunc_f32_e32 v1, v1
	s_mov_b32 s0, 0x2f800000
	v_mul_f32_e64 v3, |v1|, s0
	v_floor_f32_e32 v3, v3
	s_mov_b32 s0, 0xcf800000
	v_fma_f32 v3, v3, s0, |v1|
	v_cvt_u32_f32_e32 v3, v3
	v_ashrrev_i32_e32 v1, 31, v1
	v_xor_b32_e32 v3, v3, v1
	v_sub_u32_e32 v1, v3, v1
	global_store_byte v[4:5], v1, off
.LBB345_1956:
	s_mov_b64 s[8:9], -1
.LBB345_1957:
	s_andn2_b64 vcc, exec, s[8:9]
	s_cbranch_vccnz .LBB345_2153
; %bb.1958:
	v_mov_b32_e32 v3, 0
	s_cmp_lt_i32 s15, 11
	v_lshl_add_u64 v[2:3], s[4:5], 0, v[2:3]
	s_cbranch_scc1 .LBB345_2036
; %bb.1959:
	s_mov_b64 s[10:11], -1
	s_mov_b64 s[6:7], 0
	s_cmp_gt_i32 s15, 25
	s_mov_b64 s[8:9], 0
	s_mov_b64 s[0:1], 0
	s_cbranch_scc0 .LBB345_1992
; %bb.1960:
	s_cmp_gt_i32 s15, 28
	s_cbranch_scc0 .LBB345_1975
; %bb.1961:
	s_cmp_gt_i32 s15, 43
	;; [unrolled: 3-line block ×3, first 2 shown]
	s_cbranch_scc0 .LBB345_1965
; %bb.1963:
	s_mov_b64 s[0:1], -1
	s_mov_b64 s[10:11], 0
	s_cmp_eq_u32 s15, 46
	s_cbranch_scc0 .LBB345_1965
; %bb.1964:
	v_and_b32_e32 v1, 0xffff, v12
	global_store_dword v[2:3], v1, off
	s_mov_b64 s[0:1], 0
	s_mov_b64 s[8:9], -1
.LBB345_1965:
	s_and_b64 vcc, exec, s[10:11]
	s_cbranch_vccz .LBB345_1970
; %bb.1966:
	s_cmp_eq_u32 s15, 44
	s_mov_b64 s[0:1], -1
	s_cbranch_scc0 .LBB345_1970
; %bb.1967:
	v_and_b32_e32 v4, 0xffff, v12
	v_bfe_u32 v1, v4, 7, 8
	s_movk_i32 s0, 0xff
	v_cmp_ne_u32_e32 vcc, s0, v1
	v_mov_b32_e32 v5, 0xff
	s_and_saveexec_b64 s[8:9], vcc
	s_cbranch_execz .LBB345_1969
; %bb.1968:
	v_lshlrev_b32_e32 v6, 16, v4
	s_mov_b32 s0, 0x3f0000
	v_lshrrev_b32_e32 v5, 7, v4
	v_and_b32_e32 v4, 64, v4
	v_and_or_b32 v1, v6, s0, v1
	v_cmp_ne_u32_e32 vcc, 0, v4
	v_cmp_ne_u32_e64 s[0:1], 0, v1
	s_and_b64 s[0:1], vcc, s[0:1]
	s_nop 0
	v_cndmask_b32_e64 v1, 0, 1, s[0:1]
	v_add_u32_e32 v5, v5, v1
.LBB345_1969:
	s_or_b64 exec, exec, s[8:9]
	s_mov_b64 s[0:1], 0
	s_mov_b64 s[8:9], -1
	global_store_byte v[2:3], v5, off
.LBB345_1970:
	s_mov_b64 s[10:11], 0
.LBB345_1971:
	s_and_b64 vcc, exec, s[10:11]
	s_cbranch_vccz .LBB345_1974
; %bb.1972:
	s_cmp_eq_u32 s15, 29
	s_mov_b64 s[0:1], -1
	s_cbranch_scc0 .LBB345_1974
; %bb.1973:
	v_lshlrev_b32_e32 v1, 16, v12
	v_trunc_f32_e32 v1, v1
	v_mul_f32_e32 v4, 0x2f800000, v1
	v_floor_f32_e32 v4, v4
	v_fmamk_f32 v1, v4, 0xcf800000, v1
	v_cvt_u32_f32_e32 v5, v4
	v_cvt_u32_f32_e32 v4, v1
	s_mov_b64 s[0:1], 0
	s_mov_b64 s[8:9], -1
	global_store_dwordx2 v[2:3], v[4:5], off
.LBB345_1974:
	s_mov_b64 s[10:11], 0
.LBB345_1975:
	s_and_b64 vcc, exec, s[10:11]
	s_cbranch_vccz .LBB345_1991
; %bb.1976:
	s_cmp_lt_i32 s15, 27
	s_mov_b64 s[8:9], -1
	s_cbranch_scc1 .LBB345_1982
; %bb.1977:
	s_cmp_gt_i32 s15, 27
	s_cbranch_scc0 .LBB345_1979
; %bb.1978:
	v_lshlrev_b32_e32 v1, 16, v12
	v_cvt_u32_f32_e32 v1, v1
	s_mov_b64 s[8:9], 0
	global_store_dword v[2:3], v1, off
.LBB345_1979:
	s_andn2_b64 vcc, exec, s[8:9]
	s_cbranch_vccnz .LBB345_1981
; %bb.1980:
	v_lshlrev_b32_e32 v1, 16, v12
	v_cvt_u32_f32_e32 v1, v1
	global_store_short v[2:3], v1, off
.LBB345_1981:
	s_mov_b64 s[8:9], 0
.LBB345_1982:
	s_andn2_b64 vcc, exec, s[8:9]
	s_cbranch_vccnz .LBB345_1990
; %bb.1983:
	v_lshlrev_b32_e32 v5, 16, v12
	v_and_b32_e32 v4, 0x7fffffff, v5
	s_mov_b32 s8, 0x43800000
	v_cmp_gt_u32_e32 vcc, s8, v4
	v_mov_b32_e32 v6, 0x80
	s_and_saveexec_b64 s[8:9], vcc
	s_cbranch_execz .LBB345_1989
; %bb.1984:
	s_mov_b32 s10, 0x3bffffff
	v_and_b32_e32 v1, 0xffff, v12
	v_cmp_lt_u32_e32 vcc, s10, v4
	s_mov_b64 s[10:11], 0
                                        ; implicit-def: $vgpr4
	s_and_saveexec_b64 s[12:13], vcc
	s_xor_b64 s[12:13], exec, s[12:13]
	s_cbranch_execz .LBB345_2166
; %bb.1985:
	v_bfe_u32 v4, v1, 4, 1
	s_mov_b32 s16, 0x487ffff
	v_add3_u32 v4, v5, v4, s16
	s_mov_b64 s[10:11], exec
	v_lshrrev_b32_e32 v4, 20, v4
                                        ; implicit-def: $vgpr5
	s_andn2_saveexec_b64 s[12:13], s[12:13]
	s_cbranch_execnz .LBB345_2167
.LBB345_1986:
	s_or_b64 exec, exec, s[12:13]
	v_mov_b32_e32 v6, 0
	s_and_saveexec_b64 s[12:13], s[10:11]
.LBB345_1987:
	v_lshrrev_b32_e32 v1, 8, v1
	s_movk_i32 s10, 0x80
	v_and_or_b32 v6, v1, s10, v4
.LBB345_1988:
	s_or_b64 exec, exec, s[12:13]
.LBB345_1989:
	s_or_b64 exec, exec, s[8:9]
	global_store_byte v[2:3], v6, off
.LBB345_1990:
	s_mov_b64 s[8:9], -1
.LBB345_1991:
	s_mov_b64 s[10:11], 0
.LBB345_1992:
	s_and_b64 vcc, exec, s[10:11]
	s_cbranch_vccz .LBB345_2032
; %bb.1993:
	s_cmp_gt_i32 s15, 22
	s_mov_b64 s[6:7], -1
	s_cbranch_scc0 .LBB345_2025
; %bb.1994:
	s_cmp_lt_i32 s15, 24
	s_cbranch_scc1 .LBB345_2014
; %bb.1995:
	s_cmp_gt_i32 s15, 24
	s_cbranch_scc0 .LBB345_2003
; %bb.1996:
	v_lshlrev_b32_e32 v5, 16, v12
	v_and_b32_e32 v4, 0x7fffffff, v5
	s_mov_b32 s6, 0x47800000
	v_cmp_gt_u32_e32 vcc, s6, v4
	v_mov_b32_e32 v6, 0x80
	s_and_saveexec_b64 s[6:7], vcc
	s_cbranch_execz .LBB345_2002
; %bb.1997:
	s_mov_b32 s8, 0x37ffffff
	v_and_b32_e32 v1, 0xffff, v12
	v_cmp_lt_u32_e32 vcc, s8, v4
	s_mov_b64 s[8:9], 0
                                        ; implicit-def: $vgpr4
	s_and_saveexec_b64 s[10:11], vcc
	s_xor_b64 s[10:11], exec, s[10:11]
	s_cbranch_execz .LBB345_2169
; %bb.1998:
	v_bfe_u32 v4, v1, 5, 1
	s_mov_b32 s12, 0x88fffff
	v_add3_u32 v4, v5, v4, s12
	s_mov_b64 s[8:9], exec
	v_lshrrev_b32_e32 v4, 21, v4
                                        ; implicit-def: $vgpr5
	s_andn2_saveexec_b64 s[10:11], s[10:11]
	s_cbranch_execnz .LBB345_2170
.LBB345_1999:
	s_or_b64 exec, exec, s[10:11]
	v_mov_b32_e32 v6, 0
	s_and_saveexec_b64 s[10:11], s[8:9]
.LBB345_2000:
	v_lshrrev_b32_e32 v1, 8, v1
	s_movk_i32 s8, 0x80
	v_and_or_b32 v6, v1, s8, v4
.LBB345_2001:
	s_or_b64 exec, exec, s[10:11]
.LBB345_2002:
	s_or_b64 exec, exec, s[6:7]
	s_mov_b64 s[6:7], 0
	global_store_byte v[2:3], v6, off
.LBB345_2003:
	s_and_b64 vcc, exec, s[6:7]
	s_cbranch_vccz .LBB345_2013
; %bb.2004:
	v_lshlrev_b32_e32 v5, 16, v12
	v_and_b32_e32 v6, 0x7fffffff, v5
	s_mov_b32 s6, 0x43f00000
	v_and_b32_e32 v1, 0xffff, v12
	v_cmp_gt_u32_e32 vcc, s6, v6
                                        ; implicit-def: $vgpr4
	s_and_saveexec_b64 s[6:7], vcc
	s_xor_b64 s[6:7], exec, s[6:7]
	s_cbranch_execz .LBB345_2010
; %bb.2005:
	s_mov_b32 s8, 0x3c7fffff
	v_cmp_lt_u32_e32 vcc, s8, v6
                                        ; implicit-def: $vgpr4
	s_and_saveexec_b64 s[8:9], vcc
	s_xor_b64 s[8:9], exec, s[8:9]
; %bb.2006:
	v_bfe_u32 v4, v1, 4, 1
	s_mov_b32 s10, 0x407ffff
	v_add3_u32 v4, v5, v4, s10
	v_lshrrev_b32_e32 v5, 20, v4
	v_and_b32_e32 v4, 0xff00000, v4
	s_mov_b32 s10, 0x7f00000
	v_mov_b32_e32 v6, 0x7e
	v_cmp_ne_u32_e32 vcc, s10, v4
	s_nop 1
	v_cndmask_b32_e32 v4, v6, v5, vcc
                                        ; implicit-def: $vgpr5
; %bb.2007:
	s_andn2_saveexec_b64 s[8:9], s[8:9]
; %bb.2008:
	s_mov_b32 s10, 0x46800000
	v_add_f32_e64 v4, |v5|, s10
; %bb.2009:
	s_or_b64 exec, exec, s[8:9]
                                        ; implicit-def: $vgpr6
.LBB345_2010:
	s_andn2_saveexec_b64 s[6:7], s[6:7]
; %bb.2011:
	s_mov_b32 s8, 0x7f800000
	v_mov_b32_e32 v4, 0x7e
	v_mov_b32_e32 v5, 0x7f
	v_cmp_lt_u32_e32 vcc, s8, v6
	s_nop 1
	v_cndmask_b32_e32 v4, v4, v5, vcc
; %bb.2012:
	s_or_b64 exec, exec, s[6:7]
	v_lshrrev_b32_e32 v1, 8, v1
	s_movk_i32 s6, 0x80
	v_and_or_b32 v1, v1, s6, v4
	global_store_byte v[2:3], v1, off
.LBB345_2013:
	s_mov_b64 s[6:7], 0
.LBB345_2014:
	s_andn2_b64 vcc, exec, s[6:7]
	s_cbranch_vccnz .LBB345_2024
; %bb.2015:
	v_lshlrev_b32_e32 v5, 16, v12
	v_and_b32_e32 v6, 0x7fffffff, v5
	s_mov_b32 s6, 0x47800000
	v_and_b32_e32 v1, 0xffff, v12
	v_cmp_gt_u32_e32 vcc, s6, v6
                                        ; implicit-def: $vgpr4
	s_and_saveexec_b64 s[6:7], vcc
	s_xor_b64 s[6:7], exec, s[6:7]
	s_cbranch_execz .LBB345_2021
; %bb.2016:
	s_mov_b32 s8, 0x387fffff
	v_cmp_lt_u32_e32 vcc, s8, v6
                                        ; implicit-def: $vgpr4
	s_and_saveexec_b64 s[8:9], vcc
	s_xor_b64 s[8:9], exec, s[8:9]
; %bb.2017:
	v_bfe_u32 v4, v1, 5, 1
	s_mov_b32 s10, 0x80fffff
	v_add3_u32 v4, v5, v4, s10
	v_lshrrev_b32_e32 v4, 21, v4
                                        ; implicit-def: $vgpr5
; %bb.2018:
	s_andn2_saveexec_b64 s[8:9], s[8:9]
; %bb.2019:
	s_mov_b32 s10, 0x43000000
	v_add_f32_e64 v4, |v5|, s10
; %bb.2020:
	s_or_b64 exec, exec, s[8:9]
                                        ; implicit-def: $vgpr6
.LBB345_2021:
	s_andn2_saveexec_b64 s[6:7], s[6:7]
; %bb.2022:
	s_mov_b32 s8, 0x7f800000
	v_mov_b32_e32 v4, 0x7c
	v_mov_b32_e32 v5, 0x7f
	v_cmp_lt_u32_e32 vcc, s8, v6
	s_nop 1
	v_cndmask_b32_e32 v4, v4, v5, vcc
; %bb.2023:
	s_or_b64 exec, exec, s[6:7]
	v_lshrrev_b32_e32 v1, 8, v1
	s_movk_i32 s6, 0x80
	v_and_or_b32 v1, v1, s6, v4
	global_store_byte v[2:3], v1, off
.LBB345_2024:
	s_mov_b64 s[6:7], 0
	s_mov_b64 s[8:9], -1
.LBB345_2025:
	s_andn2_b64 vcc, exec, s[6:7]
	s_mov_b64 s[6:7], 0
	s_cbranch_vccnz .LBB345_2032
; %bb.2026:
	s_cmp_gt_i32 s15, 14
	s_mov_b64 s[10:11], -1
	s_cbranch_scc0 .LBB345_2030
; %bb.2027:
	s_cmp_eq_u32 s15, 15
	s_mov_b64 s[0:1], -1
	s_cbranch_scc0 .LBB345_2029
; %bb.2028:
	global_store_short v[2:3], v12, off
	s_mov_b64 s[0:1], 0
	s_mov_b64 s[8:9], -1
.LBB345_2029:
	s_mov_b64 s[10:11], 0
.LBB345_2030:
	s_and_b64 vcc, exec, s[10:11]
	s_cbranch_vccz .LBB345_2032
; %bb.2031:
	s_cmp_lg_u32 s15, 11
	s_mov_b64 s[6:7], -1
	s_cselect_b64 s[0:1], -1, 0
.LBB345_2032:
	s_and_b64 vcc, exec, s[0:1]
	s_cbranch_vccnz .LBB345_2168
; %bb.2033:
	s_andn2_b64 vcc, exec, s[6:7]
	s_cbranch_vccnz .LBB345_2035
.LBB345_2034:
	v_and_b32_e32 v1, 0x7fff, v12
	v_cmp_ne_u16_e32 vcc, 0, v1
	s_mov_b64 s[8:9], -1
	s_nop 0
	v_cndmask_b32_e64 v1, 0, 1, vcc
	global_store_byte v[2:3], v1, off
.LBB345_2035:
	s_mov_b64 s[0:1], 0
	s_branch .LBB345_2037
.LBB345_2036:
	s_mov_b64 s[0:1], -1
	s_mov_b64 s[8:9], 0
.LBB345_2037:
	s_and_b64 vcc, exec, s[0:1]
	s_cbranch_vccz .LBB345_2076
; %bb.2038:
	s_cmp_lt_i32 s15, 5
	s_mov_b64 s[0:1], -1
	s_cbranch_scc1 .LBB345_2059
; %bb.2039:
	s_cmp_lt_i32 s15, 8
	s_cbranch_scc1 .LBB345_2049
; %bb.2040:
	s_cmp_lt_i32 s15, 9
	s_cbranch_scc1 .LBB345_2046
; %bb.2041:
	s_cmp_gt_i32 s15, 9
	s_cbranch_scc0 .LBB345_2043
; %bb.2042:
	v_lshlrev_b32_e32 v1, 16, v12
	v_mov_b32_e32 v6, 0
	v_cvt_f64_f32_e32 v[4:5], v1
	v_mov_b32_e32 v7, v6
	global_store_dwordx4 v[2:3], v[4:7], off
	s_mov_b64 s[0:1], 0
.LBB345_2043:
	s_andn2_b64 vcc, exec, s[0:1]
	s_cbranch_vccnz .LBB345_2045
; %bb.2044:
	v_lshlrev_b32_e32 v4, 16, v12
	v_mov_b32_e32 v5, 0
	global_store_dwordx2 v[2:3], v[4:5], off
.LBB345_2045:
	s_mov_b64 s[0:1], 0
.LBB345_2046:
	s_andn2_b64 vcc, exec, s[0:1]
	s_cbranch_vccnz .LBB345_2048
; %bb.2047:
	v_lshlrev_b32_e32 v1, 16, v12
	v_cvt_f16_f32_e32 v1, v1
	global_store_dword v[2:3], v1, off
.LBB345_2048:
	s_mov_b64 s[0:1], 0
.LBB345_2049:
	s_andn2_b64 vcc, exec, s[0:1]
	s_cbranch_vccnz .LBB345_2058
; %bb.2050:
	s_cmp_lt_i32 s15, 6
	s_mov_b64 s[0:1], -1
	s_cbranch_scc1 .LBB345_2056
; %bb.2051:
	s_cmp_gt_i32 s15, 6
	s_cbranch_scc0 .LBB345_2053
; %bb.2052:
	v_lshlrev_b32_e32 v1, 16, v12
	v_cvt_f64_f32_e32 v[4:5], v1
	global_store_dwordx2 v[2:3], v[4:5], off
	s_mov_b64 s[0:1], 0
.LBB345_2053:
	s_andn2_b64 vcc, exec, s[0:1]
	s_cbranch_vccnz .LBB345_2055
; %bb.2054:
	v_lshlrev_b32_e32 v1, 16, v12
	global_store_dword v[2:3], v1, off
.LBB345_2055:
	s_mov_b64 s[0:1], 0
.LBB345_2056:
	s_andn2_b64 vcc, exec, s[0:1]
	s_cbranch_vccnz .LBB345_2058
; %bb.2057:
	v_lshlrev_b32_e32 v1, 16, v12
	v_cvt_f16_f32_e32 v1, v1
	global_store_short v[2:3], v1, off
.LBB345_2058:
	s_mov_b64 s[0:1], 0
.LBB345_2059:
	s_andn2_b64 vcc, exec, s[0:1]
	s_cbranch_vccnz .LBB345_2075
; %bb.2060:
	s_cmp_lt_i32 s15, 2
	s_mov_b64 s[0:1], -1
	s_cbranch_scc1 .LBB345_2070
; %bb.2061:
	s_cmp_lt_i32 s15, 3
	s_cbranch_scc1 .LBB345_2067
; %bb.2062:
	s_cmp_gt_i32 s15, 3
	s_cbranch_scc0 .LBB345_2064
; %bb.2063:
	v_lshlrev_b32_e32 v1, 16, v12
	v_trunc_f32_e32 v1, v1
	s_mov_b32 s0, 0x2f800000
	v_mul_f32_e64 v4, |v1|, s0
	v_floor_f32_e32 v4, v4
	s_mov_b32 s0, 0xcf800000
	v_cvt_u32_f32_e32 v5, v4
	v_fma_f32 v4, v4, s0, |v1|
	v_cvt_u32_f32_e32 v4, v4
	v_ashrrev_i32_e32 v1, 31, v1
	v_xor_b32_e32 v5, v5, v1
	s_mov_b64 s[0:1], 0
	v_xor_b32_e32 v4, v4, v1
	v_sub_co_u32_e32 v4, vcc, v4, v1
	s_nop 1
	v_subb_co_u32_e32 v5, vcc, v5, v1, vcc
	global_store_dwordx2 v[2:3], v[4:5], off
.LBB345_2064:
	s_andn2_b64 vcc, exec, s[0:1]
	s_cbranch_vccnz .LBB345_2066
; %bb.2065:
	v_lshlrev_b32_e32 v1, 16, v12
	v_cvt_i32_f32_e32 v1, v1
	global_store_dword v[2:3], v1, off
.LBB345_2066:
	s_mov_b64 s[0:1], 0
.LBB345_2067:
	s_andn2_b64 vcc, exec, s[0:1]
	s_cbranch_vccnz .LBB345_2069
; %bb.2068:
	v_lshlrev_b32_e32 v1, 16, v12
	v_cvt_i32_f32_e32 v1, v1
	global_store_short v[2:3], v1, off
.LBB345_2069:
	s_mov_b64 s[0:1], 0
.LBB345_2070:
	s_andn2_b64 vcc, exec, s[0:1]
	s_cbranch_vccnz .LBB345_2075
; %bb.2071:
	s_cmp_gt_i32 s15, 0
	s_mov_b64 s[0:1], -1
	s_cbranch_scc0 .LBB345_2073
; %bb.2072:
	v_lshlrev_b32_e32 v1, 16, v12
	v_cvt_i32_f32_e32 v1, v1
	s_mov_b64 s[0:1], 0
	global_store_byte v[2:3], v1, off
.LBB345_2073:
	s_andn2_b64 vcc, exec, s[0:1]
	s_cbranch_vccnz .LBB345_2075
; %bb.2074:
	v_lshlrev_b32_e32 v1, 16, v12
	v_trunc_f32_e32 v1, v1
	s_mov_b32 s0, 0x2f800000
	v_mul_f32_e64 v4, |v1|, s0
	v_floor_f32_e32 v4, v4
	s_mov_b32 s0, 0xcf800000
	v_fma_f32 v4, v4, s0, |v1|
	v_cvt_u32_f32_e32 v4, v4
	v_ashrrev_i32_e32 v1, 31, v1
	v_xor_b32_e32 v4, v4, v1
	v_sub_u32_e32 v1, v4, v1
	global_store_byte v[2:3], v1, off
.LBB345_2075:
	s_mov_b64 s[8:9], -1
.LBB345_2076:
	s_andn2_b64 vcc, exec, s[8:9]
	s_cbranch_vccnz .LBB345_2153
; %bb.2077:
	v_mov_b32_e32 v1, 0
	s_cmp_lt_i32 s15, 11
	v_lshl_add_u64 v[0:1], s[4:5], 0, v[0:1]
	s_cbranch_scc1 .LBB345_2154
; %bb.2078:
	s_mov_b64 s[6:7], -1
	s_mov_b64 s[4:5], 0
	s_cmp_gt_i32 s15, 25
	s_mov_b64 s[0:1], 0
	s_cbranch_scc0 .LBB345_2111
; %bb.2079:
	s_cmp_gt_i32 s15, 28
	s_cbranch_scc0 .LBB345_2095
; %bb.2080:
	s_cmp_gt_i32 s15, 43
	;; [unrolled: 3-line block ×3, first 2 shown]
	s_cbranch_scc0 .LBB345_2085
; %bb.2082:
	s_cmp_eq_u32 s15, 46
	s_mov_b64 s[0:1], -1
	s_cbranch_scc0 .LBB345_2084
; %bb.2083:
	v_and_b32_e32 v2, 0xffff, v10
	global_store_dword v[0:1], v2, off
	s_mov_b64 s[0:1], 0
.LBB345_2084:
	s_mov_b64 s[6:7], 0
.LBB345_2085:
	s_and_b64 vcc, exec, s[6:7]
	s_cbranch_vccz .LBB345_2090
; %bb.2086:
	s_cmp_eq_u32 s15, 44
	s_mov_b64 s[0:1], -1
	s_cbranch_scc0 .LBB345_2090
; %bb.2087:
	v_and_b32_e32 v3, 0xffff, v10
	v_bfe_u32 v2, v3, 7, 8
	s_movk_i32 s0, 0xff
	v_cmp_ne_u32_e32 vcc, s0, v2
	v_mov_b32_e32 v4, 0xff
	s_and_saveexec_b64 s[6:7], vcc
	s_cbranch_execz .LBB345_2089
; %bb.2088:
	v_lshlrev_b32_e32 v5, 16, v3
	s_mov_b32 s0, 0x3f0000
	v_lshrrev_b32_e32 v4, 7, v3
	v_and_b32_e32 v3, 64, v3
	v_and_or_b32 v2, v5, s0, v2
	v_cmp_ne_u32_e32 vcc, 0, v3
	v_cmp_ne_u32_e64 s[0:1], 0, v2
	s_and_b64 s[0:1], vcc, s[0:1]
	s_nop 0
	v_cndmask_b32_e64 v2, 0, 1, s[0:1]
	v_add_u32_e32 v4, v4, v2
.LBB345_2089:
	s_or_b64 exec, exec, s[6:7]
	s_mov_b64 s[0:1], 0
	global_store_byte v[0:1], v4, off
.LBB345_2090:
	s_mov_b64 s[6:7], 0
.LBB345_2091:
	s_and_b64 vcc, exec, s[6:7]
	s_cbranch_vccz .LBB345_2094
; %bb.2092:
	s_cmp_eq_u32 s15, 29
	s_mov_b64 s[0:1], -1
	s_cbranch_scc0 .LBB345_2094
; %bb.2093:
	v_lshlrev_b32_e32 v2, 16, v10
	v_trunc_f32_e32 v2, v2
	v_mul_f32_e32 v3, 0x2f800000, v2
	v_floor_f32_e32 v4, v3
	v_fmamk_f32 v2, v4, 0xcf800000, v2
	v_cvt_u32_f32_e32 v3, v4
	v_cvt_u32_f32_e32 v2, v2
	s_mov_b64 s[0:1], 0
	global_store_dwordx2 v[0:1], v[2:3], off
.LBB345_2094:
	s_mov_b64 s[6:7], 0
.LBB345_2095:
	s_and_b64 vcc, exec, s[6:7]
	s_cbranch_vccz .LBB345_2110
; %bb.2096:
	s_cmp_lt_i32 s15, 27
	s_mov_b64 s[6:7], -1
	s_cbranch_scc1 .LBB345_2102
; %bb.2097:
	s_cmp_gt_i32 s15, 27
	s_cbranch_scc0 .LBB345_2099
; %bb.2098:
	v_lshlrev_b32_e32 v2, 16, v10
	v_cvt_u32_f32_e32 v2, v2
	s_mov_b64 s[6:7], 0
	global_store_dword v[0:1], v2, off
.LBB345_2099:
	s_andn2_b64 vcc, exec, s[6:7]
	s_cbranch_vccnz .LBB345_2101
; %bb.2100:
	v_lshlrev_b32_e32 v2, 16, v10
	v_cvt_u32_f32_e32 v2, v2
	global_store_short v[0:1], v2, off
.LBB345_2101:
	s_mov_b64 s[6:7], 0
.LBB345_2102:
	s_andn2_b64 vcc, exec, s[6:7]
	s_cbranch_vccnz .LBB345_2110
; %bb.2103:
	v_lshlrev_b32_e32 v4, 16, v10
	v_and_b32_e32 v3, 0x7fffffff, v4
	s_mov_b32 s6, 0x43800000
	v_cmp_gt_u32_e32 vcc, s6, v3
	v_mov_b32_e32 v5, 0x80
	s_and_saveexec_b64 s[6:7], vcc
	s_cbranch_execz .LBB345_2109
; %bb.2104:
	s_mov_b32 s8, 0x3bffffff
	v_and_b32_e32 v2, 0xffff, v10
	v_cmp_lt_u32_e32 vcc, s8, v3
	s_mov_b64 s[8:9], 0
                                        ; implicit-def: $vgpr3
	s_and_saveexec_b64 s[10:11], vcc
	s_xor_b64 s[10:11], exec, s[10:11]
	s_cbranch_execz .LBB345_2171
; %bb.2105:
	v_bfe_u32 v3, v2, 4, 1
	s_mov_b32 s12, 0x487ffff
	v_add3_u32 v3, v4, v3, s12
	s_mov_b64 s[8:9], exec
	v_lshrrev_b32_e32 v3, 20, v3
                                        ; implicit-def: $vgpr4
	s_andn2_saveexec_b64 s[10:11], s[10:11]
	s_cbranch_execnz .LBB345_2172
.LBB345_2106:
	s_or_b64 exec, exec, s[10:11]
	v_mov_b32_e32 v5, 0
	s_and_saveexec_b64 s[10:11], s[8:9]
.LBB345_2107:
	v_lshrrev_b32_e32 v2, 8, v2
	s_movk_i32 s8, 0x80
	v_and_or_b32 v5, v2, s8, v3
.LBB345_2108:
	s_or_b64 exec, exec, s[10:11]
.LBB345_2109:
	s_or_b64 exec, exec, s[6:7]
	global_store_byte v[0:1], v5, off
.LBB345_2110:
	s_mov_b64 s[6:7], 0
.LBB345_2111:
	s_and_b64 vcc, exec, s[6:7]
	s_cbranch_vccz .LBB345_2151
; %bb.2112:
	s_cmp_gt_i32 s15, 22
	s_mov_b64 s[4:5], -1
	s_cbranch_scc0 .LBB345_2144
; %bb.2113:
	s_cmp_lt_i32 s15, 24
	s_cbranch_scc1 .LBB345_2133
; %bb.2114:
	s_cmp_gt_i32 s15, 24
	s_cbranch_scc0 .LBB345_2122
; %bb.2115:
	v_lshlrev_b32_e32 v4, 16, v10
	v_and_b32_e32 v3, 0x7fffffff, v4
	s_mov_b32 s4, 0x47800000
	v_cmp_gt_u32_e32 vcc, s4, v3
	v_mov_b32_e32 v5, 0x80
	s_and_saveexec_b64 s[4:5], vcc
	s_cbranch_execz .LBB345_2121
; %bb.2116:
	s_mov_b32 s6, 0x37ffffff
	v_and_b32_e32 v2, 0xffff, v10
	v_cmp_lt_u32_e32 vcc, s6, v3
	s_mov_b64 s[6:7], 0
                                        ; implicit-def: $vgpr3
	s_and_saveexec_b64 s[8:9], vcc
	s_xor_b64 s[8:9], exec, s[8:9]
	s_cbranch_execz .LBB345_2174
; %bb.2117:
	v_bfe_u32 v3, v2, 5, 1
	s_mov_b32 s10, 0x88fffff
	v_add3_u32 v3, v4, v3, s10
	s_mov_b64 s[6:7], exec
	v_lshrrev_b32_e32 v3, 21, v3
                                        ; implicit-def: $vgpr4
	s_andn2_saveexec_b64 s[8:9], s[8:9]
	s_cbranch_execnz .LBB345_2175
.LBB345_2118:
	s_or_b64 exec, exec, s[8:9]
	v_mov_b32_e32 v5, 0
	s_and_saveexec_b64 s[8:9], s[6:7]
.LBB345_2119:
	v_lshrrev_b32_e32 v2, 8, v2
	s_movk_i32 s6, 0x80
	v_and_or_b32 v5, v2, s6, v3
.LBB345_2120:
	s_or_b64 exec, exec, s[8:9]
.LBB345_2121:
	s_or_b64 exec, exec, s[4:5]
	s_mov_b64 s[4:5], 0
	global_store_byte v[0:1], v5, off
.LBB345_2122:
	s_and_b64 vcc, exec, s[4:5]
	s_cbranch_vccz .LBB345_2132
; %bb.2123:
	v_lshlrev_b32_e32 v4, 16, v10
	v_and_b32_e32 v5, 0x7fffffff, v4
	s_mov_b32 s4, 0x43f00000
	v_and_b32_e32 v2, 0xffff, v10
	v_cmp_gt_u32_e32 vcc, s4, v5
                                        ; implicit-def: $vgpr3
	s_and_saveexec_b64 s[4:5], vcc
	s_xor_b64 s[4:5], exec, s[4:5]
	s_cbranch_execz .LBB345_2129
; %bb.2124:
	s_mov_b32 s6, 0x3c7fffff
	v_cmp_lt_u32_e32 vcc, s6, v5
                                        ; implicit-def: $vgpr3
	s_and_saveexec_b64 s[6:7], vcc
	s_xor_b64 s[6:7], exec, s[6:7]
; %bb.2125:
	v_bfe_u32 v3, v2, 4, 1
	s_mov_b32 s8, 0x407ffff
	v_add3_u32 v3, v4, v3, s8
	v_lshrrev_b32_e32 v4, 20, v3
	v_and_b32_e32 v3, 0xff00000, v3
	s_mov_b32 s8, 0x7f00000
	v_mov_b32_e32 v5, 0x7e
	v_cmp_ne_u32_e32 vcc, s8, v3
	s_nop 1
	v_cndmask_b32_e32 v3, v5, v4, vcc
                                        ; implicit-def: $vgpr4
; %bb.2126:
	s_andn2_saveexec_b64 s[6:7], s[6:7]
; %bb.2127:
	s_mov_b32 s8, 0x46800000
	v_add_f32_e64 v3, |v4|, s8
; %bb.2128:
	s_or_b64 exec, exec, s[6:7]
                                        ; implicit-def: $vgpr5
.LBB345_2129:
	s_andn2_saveexec_b64 s[4:5], s[4:5]
; %bb.2130:
	s_mov_b32 s6, 0x7f800000
	v_mov_b32_e32 v3, 0x7e
	v_mov_b32_e32 v4, 0x7f
	v_cmp_lt_u32_e32 vcc, s6, v5
	s_nop 1
	v_cndmask_b32_e32 v3, v3, v4, vcc
; %bb.2131:
	s_or_b64 exec, exec, s[4:5]
	v_lshrrev_b32_e32 v2, 8, v2
	s_movk_i32 s4, 0x80
	v_and_or_b32 v2, v2, s4, v3
	global_store_byte v[0:1], v2, off
.LBB345_2132:
	s_mov_b64 s[4:5], 0
.LBB345_2133:
	s_andn2_b64 vcc, exec, s[4:5]
	s_cbranch_vccnz .LBB345_2143
; %bb.2134:
	v_lshlrev_b32_e32 v4, 16, v10
	v_and_b32_e32 v5, 0x7fffffff, v4
	s_mov_b32 s4, 0x47800000
	v_and_b32_e32 v2, 0xffff, v10
	v_cmp_gt_u32_e32 vcc, s4, v5
                                        ; implicit-def: $vgpr3
	s_and_saveexec_b64 s[4:5], vcc
	s_xor_b64 s[4:5], exec, s[4:5]
	s_cbranch_execz .LBB345_2140
; %bb.2135:
	s_mov_b32 s6, 0x387fffff
	v_cmp_lt_u32_e32 vcc, s6, v5
                                        ; implicit-def: $vgpr3
	s_and_saveexec_b64 s[6:7], vcc
	s_xor_b64 s[6:7], exec, s[6:7]
; %bb.2136:
	v_bfe_u32 v3, v2, 5, 1
	s_mov_b32 s8, 0x80fffff
	v_add3_u32 v3, v4, v3, s8
	v_lshrrev_b32_e32 v3, 21, v3
                                        ; implicit-def: $vgpr4
; %bb.2137:
	s_andn2_saveexec_b64 s[6:7], s[6:7]
; %bb.2138:
	s_mov_b32 s8, 0x43000000
	v_add_f32_e64 v3, |v4|, s8
; %bb.2139:
	s_or_b64 exec, exec, s[6:7]
                                        ; implicit-def: $vgpr5
.LBB345_2140:
	s_andn2_saveexec_b64 s[4:5], s[4:5]
; %bb.2141:
	s_mov_b32 s6, 0x7f800000
	v_mov_b32_e32 v3, 0x7c
	v_mov_b32_e32 v4, 0x7f
	v_cmp_lt_u32_e32 vcc, s6, v5
	s_nop 1
	v_cndmask_b32_e32 v3, v3, v4, vcc
; %bb.2142:
	s_or_b64 exec, exec, s[4:5]
	v_lshrrev_b32_e32 v2, 8, v2
	s_movk_i32 s4, 0x80
	v_and_or_b32 v2, v2, s4, v3
	global_store_byte v[0:1], v2, off
.LBB345_2143:
	s_mov_b64 s[4:5], 0
.LBB345_2144:
	s_andn2_b64 vcc, exec, s[4:5]
	s_mov_b64 s[4:5], 0
	s_cbranch_vccnz .LBB345_2151
; %bb.2145:
	s_cmp_gt_i32 s15, 14
	s_mov_b64 s[6:7], -1
	s_cbranch_scc0 .LBB345_2149
; %bb.2146:
	s_cmp_eq_u32 s15, 15
	s_mov_b64 s[0:1], -1
	s_cbranch_scc0 .LBB345_2148
; %bb.2147:
	global_store_short v[0:1], v10, off
	s_mov_b64 s[0:1], 0
.LBB345_2148:
	s_mov_b64 s[6:7], 0
.LBB345_2149:
	s_and_b64 vcc, exec, s[6:7]
	s_cbranch_vccz .LBB345_2151
; %bb.2150:
	s_cmp_lg_u32 s15, 11
	s_mov_b64 s[4:5], -1
	s_cselect_b64 s[0:1], -1, 0
.LBB345_2151:
	s_and_b64 vcc, exec, s[0:1]
	s_cbranch_vccnz .LBB345_2173
.LBB345_2152:
	s_mov_b64 s[0:1], 0
	s_branch .LBB345_1754
.LBB345_2153:
	s_mov_b64 s[0:1], 0
                                        ; implicit-def: $vgpr0_vgpr1
                                        ; implicit-def: $sgpr14
	s_branch .LBB345_1753
.LBB345_2154:
	s_mov_b64 s[4:5], 0
	s_mov_b64 s[0:1], -1
	s_branch .LBB345_1754
.LBB345_2155:
	s_trap 2
	s_or_b64 s[2:3], s[2:3], exec
	s_cbranch_execz .LBB345_1620
	s_branch .LBB345_1621
.LBB345_2156:
	s_andn2_saveexec_b64 s[12:13], s[12:13]
	s_cbranch_execz .LBB345_1702
.LBB345_2157:
	s_mov_b32 s16, 0x46000000
	v_add_f32_e64 v8, |v9|, s16
	v_and_b32_e32 v8, 0xff, v8
	v_cmp_ne_u32_e32 vcc, 0, v8
	s_andn2_b64 s[10:11], s[10:11], exec
	s_and_b64 s[16:17], vcc, exec
	s_or_b64 s[10:11], s[10:11], s[16:17]
	s_or_b64 exec, exec, s[12:13]
	v_mov_b32_e32 v11, 0
	s_and_saveexec_b64 s[12:13], s[10:11]
	s_cbranch_execnz .LBB345_1703
	s_branch .LBB345_1704
.LBB345_2158:
	s_trap 2
	s_or_b64 s[2:3], s[2:3], exec
	s_cbranch_execz .LBB345_1750
	s_branch .LBB345_1751
.LBB345_2159:
	s_andn2_saveexec_b64 s[10:11], s[10:11]
	s_cbranch_execz .LBB345_1715
.LBB345_2160:
	s_mov_b32 s12, 0x42800000
	v_add_f32_e64 v8, |v9|, s12
	v_and_b32_e32 v8, 0xff, v8
	v_cmp_ne_u32_e32 vcc, 0, v8
	s_andn2_b64 s[8:9], s[8:9], exec
	s_and_b64 s[12:13], vcc, exec
	s_or_b64 s[8:9], s[8:9], s[12:13]
	s_or_b64 exec, exec, s[10:11]
	v_mov_b32_e32 v11, 0
	s_and_saveexec_b64 s[10:11], s[8:9]
	s_cbranch_execnz .LBB345_1716
	s_branch .LBB345_1717
.LBB345_2161:
	s_andn2_saveexec_b64 s[12:13], s[12:13]
	s_cbranch_execz .LBB345_1867
.LBB345_2162:
	s_mov_b32 s16, 0x46000000
	v_add_f32_e64 v6, |v7|, s16
	v_and_b32_e32 v6, 0xff, v6
	v_cmp_ne_u32_e32 vcc, 0, v6
	s_andn2_b64 s[10:11], s[10:11], exec
	s_and_b64 s[16:17], vcc, exec
	s_or_b64 s[10:11], s[10:11], s[16:17]
	s_or_b64 exec, exec, s[12:13]
	v_mov_b32_e32 v8, 0
	s_and_saveexec_b64 s[12:13], s[10:11]
	s_cbranch_execnz .LBB345_1868
	s_branch .LBB345_1869
.LBB345_2163:
	s_trap 2
	s_or_b64 s[2:3], s[2:3], exec
	s_cbranch_execz .LBB345_1915
	s_branch .LBB345_1916
.LBB345_2164:
	s_andn2_saveexec_b64 s[10:11], s[10:11]
	s_cbranch_execz .LBB345_1880
.LBB345_2165:
	s_mov_b32 s12, 0x42800000
	v_add_f32_e64 v6, |v7|, s12
	v_and_b32_e32 v6, 0xff, v6
	v_cmp_ne_u32_e32 vcc, 0, v6
	s_andn2_b64 s[8:9], s[8:9], exec
	s_and_b64 s[12:13], vcc, exec
	s_or_b64 s[8:9], s[8:9], s[12:13]
	s_or_b64 exec, exec, s[10:11]
	v_mov_b32_e32 v8, 0
	s_and_saveexec_b64 s[10:11], s[8:9]
	s_cbranch_execnz .LBB345_1881
	s_branch .LBB345_1882
.LBB345_2166:
	s_andn2_saveexec_b64 s[12:13], s[12:13]
	s_cbranch_execz .LBB345_1986
.LBB345_2167:
	s_mov_b32 s16, 0x46000000
	v_add_f32_e64 v4, |v5|, s16
	v_and_b32_e32 v4, 0xff, v4
	v_cmp_ne_u32_e32 vcc, 0, v4
	s_andn2_b64 s[10:11], s[10:11], exec
	s_and_b64 s[16:17], vcc, exec
	s_or_b64 s[10:11], s[10:11], s[16:17]
	s_or_b64 exec, exec, s[12:13]
	v_mov_b32_e32 v6, 0
	s_and_saveexec_b64 s[12:13], s[10:11]
	s_cbranch_execnz .LBB345_1987
	s_branch .LBB345_1988
.LBB345_2168:
	s_trap 2
	s_or_b64 s[2:3], s[2:3], exec
	s_cbranch_execz .LBB345_2034
	s_branch .LBB345_2035
.LBB345_2169:
	s_andn2_saveexec_b64 s[10:11], s[10:11]
	s_cbranch_execz .LBB345_1999
.LBB345_2170:
	s_mov_b32 s12, 0x42800000
	v_add_f32_e64 v4, |v5|, s12
	v_and_b32_e32 v4, 0xff, v4
	v_cmp_ne_u32_e32 vcc, 0, v4
	s_andn2_b64 s[8:9], s[8:9], exec
	s_and_b64 s[12:13], vcc, exec
	s_or_b64 s[8:9], s[8:9], s[12:13]
	s_or_b64 exec, exec, s[10:11]
	v_mov_b32_e32 v6, 0
	s_and_saveexec_b64 s[10:11], s[8:9]
	s_cbranch_execnz .LBB345_2000
	s_branch .LBB345_2001
.LBB345_2171:
	s_andn2_saveexec_b64 s[10:11], s[10:11]
	s_cbranch_execz .LBB345_2106
.LBB345_2172:
	s_mov_b32 s12, 0x46000000
	v_add_f32_e64 v3, |v4|, s12
	v_and_b32_e32 v3, 0xff, v3
	v_cmp_ne_u32_e32 vcc, 0, v3
	s_andn2_b64 s[8:9], s[8:9], exec
	s_and_b64 s[12:13], vcc, exec
	s_or_b64 s[8:9], s[8:9], s[12:13]
	s_or_b64 exec, exec, s[10:11]
	v_mov_b32_e32 v5, 0
	s_and_saveexec_b64 s[10:11], s[8:9]
	s_cbranch_execnz .LBB345_2107
	s_branch .LBB345_2108
.LBB345_2173:
	s_mov_b64 s[4:5], 0
	s_or_b64 s[2:3], s[2:3], exec
	s_trap 2
	s_branch .LBB345_2152
.LBB345_2174:
	s_andn2_saveexec_b64 s[8:9], s[8:9]
	s_cbranch_execz .LBB345_2118
.LBB345_2175:
	s_mov_b32 s10, 0x42800000
	v_add_f32_e64 v3, |v4|, s10
	v_and_b32_e32 v3, 0xff, v3
	v_cmp_ne_u32_e32 vcc, 0, v3
	s_andn2_b64 s[6:7], s[6:7], exec
	s_and_b64 s[10:11], vcc, exec
	s_or_b64 s[6:7], s[6:7], s[10:11]
	s_or_b64 exec, exec, s[8:9]
	v_mov_b32_e32 v5, 0
	s_and_saveexec_b64 s[8:9], s[6:7]
	s_cbranch_execnz .LBB345_2119
	s_branch .LBB345_2120
	.section	.rodata,"a",@progbits
	.p2align	6, 0x0
	.amdhsa_kernel _ZN2at6native32elementwise_kernel_manual_unrollILi128ELi4EZNS0_15gpu_kernel_implIZZZNS0_17clamp_kernel_cudaERNS_18TensorIteratorBaseERKN3c106ScalarES8_ENKUlvE_clEvENKUlvE7_clEvEUlNS5_8BFloat16EE_EEvS4_RKT_EUlibE0_EEviT1_
		.amdhsa_group_segment_fixed_size 0
		.amdhsa_private_segment_fixed_size 0
		.amdhsa_kernarg_size 360
		.amdhsa_user_sgpr_count 2
		.amdhsa_user_sgpr_dispatch_ptr 0
		.amdhsa_user_sgpr_queue_ptr 0
		.amdhsa_user_sgpr_kernarg_segment_ptr 1
		.amdhsa_user_sgpr_dispatch_id 0
		.amdhsa_user_sgpr_kernarg_preload_length 0
		.amdhsa_user_sgpr_kernarg_preload_offset 0
		.amdhsa_user_sgpr_private_segment_size 0
		.amdhsa_uses_dynamic_stack 0
		.amdhsa_enable_private_segment 0
		.amdhsa_system_sgpr_workgroup_id_x 1
		.amdhsa_system_sgpr_workgroup_id_y 0
		.amdhsa_system_sgpr_workgroup_id_z 0
		.amdhsa_system_sgpr_workgroup_info 0
		.amdhsa_system_vgpr_workitem_id 0
		.amdhsa_next_free_vgpr 18
		.amdhsa_next_free_sgpr 82
		.amdhsa_accum_offset 20
		.amdhsa_reserve_vcc 1
		.amdhsa_float_round_mode_32 0
		.amdhsa_float_round_mode_16_64 0
		.amdhsa_float_denorm_mode_32 3
		.amdhsa_float_denorm_mode_16_64 3
		.amdhsa_dx10_clamp 1
		.amdhsa_ieee_mode 1
		.amdhsa_fp16_overflow 0
		.amdhsa_tg_split 0
		.amdhsa_exception_fp_ieee_invalid_op 0
		.amdhsa_exception_fp_denorm_src 0
		.amdhsa_exception_fp_ieee_div_zero 0
		.amdhsa_exception_fp_ieee_overflow 0
		.amdhsa_exception_fp_ieee_underflow 0
		.amdhsa_exception_fp_ieee_inexact 0
		.amdhsa_exception_int_div_zero 0
	.end_amdhsa_kernel
	.section	.text._ZN2at6native32elementwise_kernel_manual_unrollILi128ELi4EZNS0_15gpu_kernel_implIZZZNS0_17clamp_kernel_cudaERNS_18TensorIteratorBaseERKN3c106ScalarES8_ENKUlvE_clEvENKUlvE7_clEvEUlNS5_8BFloat16EE_EEvS4_RKT_EUlibE0_EEviT1_,"axG",@progbits,_ZN2at6native32elementwise_kernel_manual_unrollILi128ELi4EZNS0_15gpu_kernel_implIZZZNS0_17clamp_kernel_cudaERNS_18TensorIteratorBaseERKN3c106ScalarES8_ENKUlvE_clEvENKUlvE7_clEvEUlNS5_8BFloat16EE_EEvS4_RKT_EUlibE0_EEviT1_,comdat
.Lfunc_end345:
	.size	_ZN2at6native32elementwise_kernel_manual_unrollILi128ELi4EZNS0_15gpu_kernel_implIZZZNS0_17clamp_kernel_cudaERNS_18TensorIteratorBaseERKN3c106ScalarES8_ENKUlvE_clEvENKUlvE7_clEvEUlNS5_8BFloat16EE_EEvS4_RKT_EUlibE0_EEviT1_, .Lfunc_end345-_ZN2at6native32elementwise_kernel_manual_unrollILi128ELi4EZNS0_15gpu_kernel_implIZZZNS0_17clamp_kernel_cudaERNS_18TensorIteratorBaseERKN3c106ScalarES8_ENKUlvE_clEvENKUlvE7_clEvEUlNS5_8BFloat16EE_EEvS4_RKT_EUlibE0_EEviT1_
                                        ; -- End function
	.set _ZN2at6native32elementwise_kernel_manual_unrollILi128ELi4EZNS0_15gpu_kernel_implIZZZNS0_17clamp_kernel_cudaERNS_18TensorIteratorBaseERKN3c106ScalarES8_ENKUlvE_clEvENKUlvE7_clEvEUlNS5_8BFloat16EE_EEvS4_RKT_EUlibE0_EEviT1_.num_vgpr, 18
	.set _ZN2at6native32elementwise_kernel_manual_unrollILi128ELi4EZNS0_15gpu_kernel_implIZZZNS0_17clamp_kernel_cudaERNS_18TensorIteratorBaseERKN3c106ScalarES8_ENKUlvE_clEvENKUlvE7_clEvEUlNS5_8BFloat16EE_EEvS4_RKT_EUlibE0_EEviT1_.num_agpr, 0
	.set _ZN2at6native32elementwise_kernel_manual_unrollILi128ELi4EZNS0_15gpu_kernel_implIZZZNS0_17clamp_kernel_cudaERNS_18TensorIteratorBaseERKN3c106ScalarES8_ENKUlvE_clEvENKUlvE7_clEvEUlNS5_8BFloat16EE_EEvS4_RKT_EUlibE0_EEviT1_.numbered_sgpr, 82
	.set _ZN2at6native32elementwise_kernel_manual_unrollILi128ELi4EZNS0_15gpu_kernel_implIZZZNS0_17clamp_kernel_cudaERNS_18TensorIteratorBaseERKN3c106ScalarES8_ENKUlvE_clEvENKUlvE7_clEvEUlNS5_8BFloat16EE_EEvS4_RKT_EUlibE0_EEviT1_.num_named_barrier, 0
	.set _ZN2at6native32elementwise_kernel_manual_unrollILi128ELi4EZNS0_15gpu_kernel_implIZZZNS0_17clamp_kernel_cudaERNS_18TensorIteratorBaseERKN3c106ScalarES8_ENKUlvE_clEvENKUlvE7_clEvEUlNS5_8BFloat16EE_EEvS4_RKT_EUlibE0_EEviT1_.private_seg_size, 0
	.set _ZN2at6native32elementwise_kernel_manual_unrollILi128ELi4EZNS0_15gpu_kernel_implIZZZNS0_17clamp_kernel_cudaERNS_18TensorIteratorBaseERKN3c106ScalarES8_ENKUlvE_clEvENKUlvE7_clEvEUlNS5_8BFloat16EE_EEvS4_RKT_EUlibE0_EEviT1_.uses_vcc, 1
	.set _ZN2at6native32elementwise_kernel_manual_unrollILi128ELi4EZNS0_15gpu_kernel_implIZZZNS0_17clamp_kernel_cudaERNS_18TensorIteratorBaseERKN3c106ScalarES8_ENKUlvE_clEvENKUlvE7_clEvEUlNS5_8BFloat16EE_EEvS4_RKT_EUlibE0_EEviT1_.uses_flat_scratch, 0
	.set _ZN2at6native32elementwise_kernel_manual_unrollILi128ELi4EZNS0_15gpu_kernel_implIZZZNS0_17clamp_kernel_cudaERNS_18TensorIteratorBaseERKN3c106ScalarES8_ENKUlvE_clEvENKUlvE7_clEvEUlNS5_8BFloat16EE_EEvS4_RKT_EUlibE0_EEviT1_.has_dyn_sized_stack, 0
	.set _ZN2at6native32elementwise_kernel_manual_unrollILi128ELi4EZNS0_15gpu_kernel_implIZZZNS0_17clamp_kernel_cudaERNS_18TensorIteratorBaseERKN3c106ScalarES8_ENKUlvE_clEvENKUlvE7_clEvEUlNS5_8BFloat16EE_EEvS4_RKT_EUlibE0_EEviT1_.has_recursion, 0
	.set _ZN2at6native32elementwise_kernel_manual_unrollILi128ELi4EZNS0_15gpu_kernel_implIZZZNS0_17clamp_kernel_cudaERNS_18TensorIteratorBaseERKN3c106ScalarES8_ENKUlvE_clEvENKUlvE7_clEvEUlNS5_8BFloat16EE_EEvS4_RKT_EUlibE0_EEviT1_.has_indirect_call, 0
	.section	.AMDGPU.csdata,"",@progbits
; Kernel info:
; codeLenInByte = 44056
; TotalNumSgprs: 88
; NumVgprs: 18
; NumAgprs: 0
; TotalNumVgprs: 18
; ScratchSize: 0
; MemoryBound: 0
; FloatMode: 240
; IeeeMode: 1
; LDSByteSize: 0 bytes/workgroup (compile time only)
; SGPRBlocks: 10
; VGPRBlocks: 2
; NumSGPRsForWavesPerEU: 88
; NumVGPRsForWavesPerEU: 18
; AccumOffset: 20
; Occupancy: 8
; WaveLimiterHint : 1
; COMPUTE_PGM_RSRC2:SCRATCH_EN: 0
; COMPUTE_PGM_RSRC2:USER_SGPR: 2
; COMPUTE_PGM_RSRC2:TRAP_HANDLER: 0
; COMPUTE_PGM_RSRC2:TGID_X_EN: 1
; COMPUTE_PGM_RSRC2:TGID_Y_EN: 0
; COMPUTE_PGM_RSRC2:TGID_Z_EN: 0
; COMPUTE_PGM_RSRC2:TIDIG_COMP_CNT: 0
; COMPUTE_PGM_RSRC3_GFX90A:ACCUM_OFFSET: 4
; COMPUTE_PGM_RSRC3_GFX90A:TG_SPLIT: 0
	.section	.text._ZN2at6native29vectorized_elementwise_kernelILi16EZZZNS0_21clamp_min_kernel_cudaERNS_18TensorIteratorBaseERKN3c106ScalarEENKUlvE_clEvENKUlvE_clEvEUlhE_St5arrayIPcLm2EEEEviT0_T1_,"axG",@progbits,_ZN2at6native29vectorized_elementwise_kernelILi16EZZZNS0_21clamp_min_kernel_cudaERNS_18TensorIteratorBaseERKN3c106ScalarEENKUlvE_clEvENKUlvE_clEvEUlhE_St5arrayIPcLm2EEEEviT0_T1_,comdat
	.globl	_ZN2at6native29vectorized_elementwise_kernelILi16EZZZNS0_21clamp_min_kernel_cudaERNS_18TensorIteratorBaseERKN3c106ScalarEENKUlvE_clEvENKUlvE_clEvEUlhE_St5arrayIPcLm2EEEEviT0_T1_ ; -- Begin function _ZN2at6native29vectorized_elementwise_kernelILi16EZZZNS0_21clamp_min_kernel_cudaERNS_18TensorIteratorBaseERKN3c106ScalarEENKUlvE_clEvENKUlvE_clEvEUlhE_St5arrayIPcLm2EEEEviT0_T1_
	.p2align	8
	.type	_ZN2at6native29vectorized_elementwise_kernelILi16EZZZNS0_21clamp_min_kernel_cudaERNS_18TensorIteratorBaseERKN3c106ScalarEENKUlvE_clEvENKUlvE_clEvEUlhE_St5arrayIPcLm2EEEEviT0_T1_,@function
_ZN2at6native29vectorized_elementwise_kernelILi16EZZZNS0_21clamp_min_kernel_cudaERNS_18TensorIteratorBaseERKN3c106ScalarEENKUlvE_clEvENKUlvE_clEvEUlhE_St5arrayIPcLm2EEEEviT0_T1_: ; @_ZN2at6native29vectorized_elementwise_kernelILi16EZZZNS0_21clamp_min_kernel_cudaERNS_18TensorIteratorBaseERKN3c106ScalarEENKUlvE_clEvENKUlvE_clEvEUlhE_St5arrayIPcLm2EEEEviT0_T1_
; %bb.0:
	s_load_dwordx2 s[8:9], s[0:1], 0x0
	s_load_dwordx4 s[4:7], s[0:1], 0x8
	s_lshl_b32 s33, s2, 12
	s_mov_b64 s[0:1], -1
	s_waitcnt lgkmcnt(0)
	s_sub_i32 s8, s8, s33
	s_cmpk_gt_i32 s8, 0xfff
	s_cbranch_scc0 .LBB346_2
; %bb.1:
	s_ashr_i32 s2, s33, 31
	s_add_u32 s0, s6, s33
	s_addc_u32 s1, s7, s2
	v_lshlrev_b32_e32 v1, 4, v0
	global_load_dwordx4 v[2:5], v1, s[0:1]
	s_movk_i32 s3, 0xff
	s_add_u32 s0, s4, s33
	s_addc_u32 s1, s5, s2
	s_and_b32 s2, s9, 0xff
	s_waitcnt vmcnt(0)
	v_and_b32_sdwa v6, v2, s3 dst_sel:DWORD dst_unused:UNUSED_PAD src0_sel:WORD_1 src1_sel:DWORD
	v_and_b32_sdwa v7, v3, s3 dst_sel:DWORD dst_unused:UNUSED_PAD src0_sel:WORD_1 src1_sel:DWORD
	;; [unrolled: 1-line block ×4, first 2 shown]
	v_max_u16_sdwa v10, v3, s2 dst_sel:DWORD dst_unused:UNUSED_PAD src0_sel:BYTE_0 src1_sel:DWORD
	v_max_u16_sdwa v11, v3, s2 dst_sel:BYTE_1 dst_unused:UNUSED_PAD src0_sel:BYTE_1 src1_sel:DWORD
	v_max_u16_sdwa v3, v3, s2 dst_sel:BYTE_1 dst_unused:UNUSED_PAD src0_sel:BYTE_3 src1_sel:DWORD
	v_max_u16_sdwa v12, v2, s2 dst_sel:DWORD dst_unused:UNUSED_PAD src0_sel:BYTE_0 src1_sel:DWORD
	v_max_u16_sdwa v13, v2, s2 dst_sel:BYTE_1 dst_unused:UNUSED_PAD src0_sel:BYTE_1 src1_sel:DWORD
	v_max_u16_sdwa v2, v2, s2 dst_sel:BYTE_1 dst_unused:UNUSED_PAD src0_sel:BYTE_3 src1_sel:DWORD
	;; [unrolled: 3-line block ×4, first 2 shown]
	v_max_u16_e32 v7, s2, v7
	v_max_u16_e32 v6, s2, v6
	;; [unrolled: 1-line block ×4, first 2 shown]
	v_or_b32_e32 v10, v10, v11
	v_or_b32_e32 v11, v12, v13
	;; [unrolled: 1-line block ×4, first 2 shown]
	v_or_b32_sdwa v3, v7, v3 dst_sel:WORD_1 dst_unused:UNUSED_PAD src0_sel:DWORD src1_sel:DWORD
	v_or_b32_sdwa v2, v6, v2 dst_sel:WORD_1 dst_unused:UNUSED_PAD src0_sel:DWORD src1_sel:DWORD
	;; [unrolled: 1-line block ×4, first 2 shown]
	v_or_b32_sdwa v3, v10, v3 dst_sel:DWORD dst_unused:UNUSED_PAD src0_sel:WORD_0 src1_sel:DWORD
	v_or_b32_sdwa v2, v11, v2 dst_sel:DWORD dst_unused:UNUSED_PAD src0_sel:WORD_0 src1_sel:DWORD
	;; [unrolled: 1-line block ×4, first 2 shown]
	global_store_dwordx4 v1, v[2:5], s[0:1]
	s_mov_b64 s[0:1], 0
.LBB346_2:
	s_andn2_b64 vcc, exec, s[0:1]
	s_cbranch_vccnz .LBB346_52
; %bb.3:
	v_cmp_gt_i32_e32 vcc, s8, v0
	v_or_b32_e32 v1, 0x100, v0
	v_mov_b32_e32 v20, 0
	v_mov_b32_e32 v7, s9
	v_or_b32_e32 v6, s33, v0
	v_mov_b32_e32 v19, 0
	v_mov_b32_e32 v18, 0
	;; [unrolled: 1-line block ×14, first 2 shown]
	s_and_saveexec_b64 s[2:3], vcc
	s_cbranch_execz .LBB346_35
; %bb.4:
	global_load_ubyte v8, v6, s[6:7]
	v_cmp_gt_u32_e64 s[0:1], s8, v1
	v_mov_b32_e32 v9, 0
	v_mov_b32_e32 v7, s9
	;; [unrolled: 1-line block ×15, first 2 shown]
	s_and_saveexec_b64 s[10:11], s[0:1]
	s_cbranch_execz .LBB346_34
; %bb.5:
	v_add_u32_e32 v2, s33, v0
	global_load_ubyte v9, v2, s[6:7] offset:256
	v_or_b32_e32 v4, 0x200, v0
	v_mov_b32_e32 v3, 0
	v_cmp_gt_u32_e64 s[0:1], s8, v4
	v_mov_b32_e32 v7, s9
	v_mov_b32_e32 v4, 0
	;; [unrolled: 1-line block ×13, first 2 shown]
	s_and_saveexec_b64 s[12:13], s[0:1]
	s_cbranch_execz .LBB346_33
; %bb.6:
	v_lshl_add_u64 v[4:5], s[6:7], 0, v[2:3]
	global_load_ubyte v2, v[4:5], off offset:512
	v_or_b32_e32 v7, 0x300, v0
	v_cmp_gt_u32_e64 s[0:1], s8, v7
	v_mov_b32_e32 v7, s9
	v_mov_b32_e32 v10, 0
	;; [unrolled: 1-line block ×12, first 2 shown]
	s_and_saveexec_b64 s[6:7], s[0:1]
	s_cbranch_execz .LBB346_32
; %bb.7:
	global_load_ubyte v3, v[4:5], off offset:768
	v_or_b32_e32 v7, 0x400, v0
	v_cmp_gt_u32_e64 s[0:1], s8, v7
	v_mov_b32_e32 v10, 0
	v_mov_b32_e32 v7, s9
	;; [unrolled: 1-line block ×12, first 2 shown]
	s_and_saveexec_b64 s[14:15], s[0:1]
	s_cbranch_execz .LBB346_31
; %bb.8:
	global_load_ubyte v10, v[4:5], off offset:1024
	v_or_b32_e32 v7, 0x500, v0
	v_cmp_gt_u32_e64 s[0:1], s8, v7
	v_mov_b32_e32 v11, 0
	v_mov_b32_e32 v7, s9
	;; [unrolled: 1-line block ×11, first 2 shown]
	s_and_saveexec_b64 s[16:17], s[0:1]
	s_cbranch_execz .LBB346_30
; %bb.9:
	global_load_ubyte v11, v[4:5], off offset:1280
	v_or_b32_e32 v7, 0x600, v0
	v_cmp_gt_u32_e64 s[0:1], s8, v7
	v_mov_b32_e32 v12, 0
	v_mov_b32_e32 v7, s9
	;; [unrolled: 1-line block ×10, first 2 shown]
	s_and_saveexec_b64 s[18:19], s[0:1]
	s_cbranch_execz .LBB346_29
; %bb.10:
	global_load_ubyte v12, v[4:5], off offset:1536
	v_or_b32_e32 v7, 0x700, v0
	v_cmp_gt_u32_e64 s[0:1], s8, v7
	v_mov_b32_e32 v13, 0
	v_mov_b32_e32 v7, s9
	;; [unrolled: 1-line block ×9, first 2 shown]
	s_and_saveexec_b64 s[20:21], s[0:1]
	s_cbranch_execz .LBB346_28
; %bb.11:
	global_load_ubyte v13, v[4:5], off offset:1792
	v_or_b32_e32 v7, 0x800, v0
	v_cmp_gt_u32_e64 s[0:1], s8, v7
	v_mov_b32_e32 v14, 0
	v_mov_b32_e32 v7, s9
	;; [unrolled: 1-line block ×8, first 2 shown]
	s_and_saveexec_b64 s[22:23], s[0:1]
	s_cbranch_execz .LBB346_27
; %bb.12:
	global_load_ubyte v14, v[4:5], off offset:2048
	v_or_b32_e32 v7, 0x900, v0
	v_cmp_gt_u32_e64 s[0:1], s8, v7
	v_mov_b32_e32 v15, 0
	v_mov_b32_e32 v7, s9
	;; [unrolled: 1-line block ×7, first 2 shown]
	s_and_saveexec_b64 s[24:25], s[0:1]
	s_cbranch_execz .LBB346_26
; %bb.13:
	global_load_ubyte v15, v[4:5], off offset:2304
	v_or_b32_e32 v7, 0xa00, v0
	v_cmp_gt_u32_e64 s[0:1], s8, v7
	v_mov_b32_e32 v16, 0
	v_mov_b32_e32 v7, s9
	;; [unrolled: 1-line block ×6, first 2 shown]
	s_and_saveexec_b64 s[26:27], s[0:1]
	s_cbranch_execz .LBB346_25
; %bb.14:
	global_load_ubyte v16, v[4:5], off offset:2560
	v_or_b32_e32 v7, 0xb00, v0
	v_cmp_gt_u32_e64 s[0:1], s8, v7
	v_mov_b32_e32 v17, 0
	v_mov_b32_e32 v7, s9
	;; [unrolled: 1-line block ×5, first 2 shown]
	s_and_saveexec_b64 s[28:29], s[0:1]
	s_cbranch_execz .LBB346_24
; %bb.15:
	global_load_ubyte v17, v[4:5], off offset:2816
	v_or_b32_e32 v7, 0xc00, v0
	v_cmp_gt_u32_e64 s[0:1], s8, v7
	v_mov_b32_e32 v18, 0
	v_mov_b32_e32 v7, s9
	;; [unrolled: 1-line block ×4, first 2 shown]
	s_and_saveexec_b64 s[30:31], s[0:1]
	s_cbranch_execz .LBB346_23
; %bb.16:
	global_load_ubyte v18, v[4:5], off offset:3072
	v_or_b32_e32 v7, 0xd00, v0
	v_cmp_gt_u32_e64 s[0:1], s8, v7
	v_mov_b32_e32 v19, 0
	v_mov_b32_e32 v7, s9
	;; [unrolled: 1-line block ×3, first 2 shown]
	s_and_saveexec_b64 s[34:35], s[0:1]
	s_cbranch_execz .LBB346_22
; %bb.17:
	global_load_ubyte v19, v[4:5], off offset:3328
	v_or_b32_e32 v7, 0xe00, v0
	v_cmp_gt_u32_e64 s[0:1], s8, v7
	v_mov_b32_e32 v20, 0
	v_mov_b32_e32 v7, s9
	s_and_saveexec_b64 s[36:37], s[0:1]
	s_cbranch_execz .LBB346_21
; %bb.18:
	global_load_ubyte v20, v[4:5], off offset:3584
	v_or_b32_e32 v7, 0xf00, v0
	v_cmp_gt_u32_e64 s[0:1], s8, v7
	v_mov_b32_e32 v7, s9
	s_and_saveexec_b64 s[38:39], s[0:1]
	s_cbranch_execz .LBB346_20
; %bb.19:
	global_load_ubyte v4, v[4:5], off offset:3840
	s_and_b32 s0, s9, 0xff
	s_waitcnt vmcnt(0)
	v_max_u16_e32 v7, s0, v4
.LBB346_20:
	s_or_b64 exec, exec, s[38:39]
.LBB346_21:
	s_or_b64 exec, exec, s[36:37]
.LBB346_22:
	s_or_b64 exec, exec, s[34:35]
.LBB346_23:
	s_or_b64 exec, exec, s[30:31]
.LBB346_24:
	s_or_b64 exec, exec, s[28:29]
.LBB346_25:
	s_or_b64 exec, exec, s[26:27]
.LBB346_26:
	s_or_b64 exec, exec, s[24:25]
.LBB346_27:
	s_or_b64 exec, exec, s[22:23]
.LBB346_28:
	s_or_b64 exec, exec, s[20:21]
.LBB346_29:
	s_or_b64 exec, exec, s[18:19]
.LBB346_30:
	s_or_b64 exec, exec, s[16:17]
.LBB346_31:
	s_or_b64 exec, exec, s[14:15]
.LBB346_32:
	s_or_b64 exec, exec, s[6:7]
	s_waitcnt vmcnt(0)
	v_mov_b32_e32 v4, v3
	v_mov_b32_e32 v3, v2
.LBB346_33:
	s_or_b64 exec, exec, s[12:13]
.LBB346_34:
	s_or_b64 exec, exec, s[10:11]
.LBB346_35:
	s_or_b64 exec, exec, s[2:3]
	s_and_b32 s3, s9, 0xff
	s_waitcnt vmcnt(0)
	v_max_u16_sdwa v2, v8, s3 dst_sel:DWORD dst_unused:UNUSED_PAD src0_sel:BYTE_0 src1_sel:DWORD
	s_movk_i32 s2, 0xff
	v_cndmask_b32_e32 v2, 0, v2, vcc
	v_max_u16_sdwa v5, v9, s3 dst_sel:BYTE_1 dst_unused:UNUSED_PAD src0_sel:BYTE_0 src1_sel:DWORD
	v_cmp_gt_i32_e64 s[0:1], s8, v1
	v_bitop3_b16 v5, v2, v5, s2 bitop3:0xec
	v_and_b32_e32 v5, 0xffff, v5
	v_cndmask_b32_e64 v2, v2, v5, s[0:1]
	v_or_b32_e32 v5, 0x200, v0
	v_max_u16_sdwa v3, v3, s3 dst_sel:WORD_1 dst_unused:UNUSED_PAD src0_sel:BYTE_0 src1_sel:DWORD
	v_cmp_gt_i32_e64 s[0:1], s8, v5
	v_or_b32_e32 v3, v2, v3
	v_max_u16_sdwa v4, v4, s3 dst_sel:BYTE_1 dst_unused:UNUSED_PAD src0_sel:BYTE_0 src1_sel:DWORD
	v_cndmask_b32_e64 v2, v2, v3, s[0:1]
	v_lshrrev_b32_e32 v3, 16, v2
	v_bitop3_b16 v3, v3, v4, s2 bitop3:0xec
	s_mov_b32 s6, 0xffff
	v_or_b32_e32 v5, 0x300, v0
	v_lshlrev_b32_e32 v3, 16, v3
	v_and_or_b32 v3, v2, s6, v3
	v_cmp_gt_i32_e64 s[0:1], s8, v5
	s_movk_i32 s7, 0xff00
	v_max_u16_sdwa v4, v11, s3 dst_sel:BYTE_1 dst_unused:UNUSED_PAD src0_sel:BYTE_0 src1_sel:DWORD
	v_cndmask_b32_e64 v5, v2, v3, s[0:1]
	v_max_u16_sdwa v2, v10, s3 dst_sel:DWORD dst_unused:UNUSED_PAD src0_sel:BYTE_0 src1_sel:DWORD
	v_bitop3_b16 v2, v2, 0, s7 bitop3:0xf8
	v_or_b32_e32 v3, 0x400, v0
	v_and_b32_e32 v2, 0xffff, v2
	v_cmp_gt_i32_e64 s[0:1], s8, v3
	v_or_b32_e32 v3, 0x500, v0
	v_max_u16_sdwa v8, v13, s3 dst_sel:BYTE_1 dst_unused:UNUSED_PAD src0_sel:BYTE_0 src1_sel:DWORD
	v_cndmask_b32_e64 v2, 0, v2, s[0:1]
	v_bitop3_b16 v4, v2, v4, s2 bitop3:0xec
	v_and_b32_e32 v4, 0xffff, v4
	v_cmp_gt_i32_e64 s[0:1], s8, v3
	v_max_u16_sdwa v9, v17, s3 dst_sel:BYTE_1 dst_unused:UNUSED_PAD src0_sel:BYTE_0 src1_sel:DWORD
	s_nop 0
	v_cndmask_b32_e64 v2, v2, v4, s[0:1]
	v_lshrrev_b32_e32 v3, 16, v2
	v_max_u16_sdwa v4, v12, s3 dst_sel:DWORD dst_unused:UNUSED_PAD src0_sel:BYTE_0 src1_sel:DWORD
	v_bitop3_b16 v3, v4, v3, s7 bitop3:0xf8
	v_or_b32_e32 v4, 0x600, v0
	v_lshlrev_b32_e32 v3, 16, v3
	v_and_or_b32 v3, v2, s6, v3
	v_cmp_gt_i32_e64 s[0:1], s8, v4
	v_or_b32_e32 v4, 0x700, v0
	s_nop 0
	v_cndmask_b32_e64 v2, v2, v3, s[0:1]
	v_lshrrev_b32_e32 v3, 16, v2
	v_bitop3_b16 v3, v3, v8, s2 bitop3:0xec
	v_lshlrev_b32_e32 v3, 16, v3
	v_and_or_b32 v3, v2, s6, v3
	v_cmp_gt_i32_e64 s[0:1], s8, v4
	v_max_u16_sdwa v8, v15, s3 dst_sel:BYTE_1 dst_unused:UNUSED_PAD src0_sel:BYTE_0 src1_sel:DWORD
	s_nop 0
	v_cndmask_b32_e64 v4, v2, v3, s[0:1]
	v_or_b32_e32 v2, 0x800, v0
	v_max_u16_sdwa v3, v14, s3 dst_sel:DWORD dst_unused:UNUSED_PAD src0_sel:BYTE_0 src1_sel:DWORD
	v_cmp_gt_i32_e64 s[0:1], s8, v2
	s_nop 1
	v_cndmask_b32_e64 v2, 0, v3, s[0:1]
	v_or_b32_e32 v3, 0x900, v0
	v_bitop3_b16 v8, v2, v8, s2 bitop3:0xec
	v_and_b32_e32 v8, 0xffff, v8
	v_cmp_gt_i32_e64 s[0:1], s8, v3
	v_or_b32_e32 v3, 0xa00, v0
	s_nop 0
	v_cndmask_b32_e64 v2, v2, v8, s[0:1]
	v_max_u16_sdwa v8, v16, s3 dst_sel:WORD_1 dst_unused:UNUSED_PAD src0_sel:BYTE_0 src1_sel:DWORD
	v_cmp_gt_i32_e64 s[0:1], s8, v3
	v_or_b32_e32 v8, v2, v8
	s_nop 0
	v_cndmask_b32_e64 v2, v2, v8, s[0:1]
	v_lshrrev_b32_e32 v3, 16, v2
	v_bitop3_b16 v3, v3, v9, s2 bitop3:0xec
	v_or_b32_e32 v8, 0xb00, v0
	v_lshlrev_b32_e32 v3, 16, v3
	v_and_or_b32 v3, v2, s6, v3
	v_cmp_gt_i32_e64 s[0:1], s8, v8
	v_max_u16_sdwa v8, v18, s3 dst_sel:DWORD dst_unused:UNUSED_PAD src0_sel:BYTE_0 src1_sel:DWORD
	v_max_u16_sdwa v9, v19, s3 dst_sel:BYTE_1 dst_unused:UNUSED_PAD src0_sel:BYTE_0 src1_sel:DWORD
	v_cndmask_b32_e64 v3, v2, v3, s[0:1]
	v_or_b32_e32 v2, 0xc00, v0
	v_cmp_gt_i32_e64 s[0:1], s8, v2
	s_nop 1
	v_cndmask_b32_e64 v2, 0, v8, s[0:1]
	v_or_b32_e32 v8, 0xd00, v0
	v_bitop3_b16 v9, v2, v9, s2 bitop3:0xec
	v_and_b32_e32 v9, 0xffff, v9
	v_cmp_gt_i32_e64 s[0:1], s8, v8
	s_nop 1
	v_cndmask_b32_e64 v2, v2, v9, s[0:1]
	v_lshrrev_b32_e32 v8, 16, v2
	v_max_u16_sdwa v9, v20, s3 dst_sel:DWORD dst_unused:UNUSED_PAD src0_sel:BYTE_0 src1_sel:DWORD
	v_bitop3_b16 v8, v9, v8, s7 bitop3:0xf8
	v_or_b32_e32 v9, 0xe00, v0
	v_lshlrev_b32_e32 v8, 16, v8
	v_and_or_b32 v8, v2, s6, v8
	v_cmp_gt_i32_e64 s[0:1], s8, v9
	s_nop 1
	v_cndmask_b32_e64 v2, v2, v8, s[0:1]
	v_or_b32_e32 v8, 0xf00, v0
	s_mov_b32 s0, 0x60504
	v_perm_b32 v7, v2, v7, s0
	v_cmp_gt_i32_e64 s[0:1], s8, v8
	s_nop 1
	v_cndmask_b32_e64 v2, v2, v7, s[0:1]
	s_and_saveexec_b64 s[0:1], vcc
	s_cbranch_execnz .LBB346_53
; %bb.36:
	s_or_b64 exec, exec, s[0:1]
	v_cmp_gt_i32_e32 vcc, s8, v0
	s_and_saveexec_b64 s[0:1], vcc
	s_cbranch_execnz .LBB346_54
.LBB346_37:
	s_or_b64 exec, exec, s[0:1]
	v_cmp_gt_i32_e32 vcc, s8, v0
	s_and_saveexec_b64 s[0:1], vcc
	s_cbranch_execnz .LBB346_55
.LBB346_38:
	s_or_b64 exec, exec, s[0:1]
	v_cmp_gt_i32_e32 vcc, s8, v0
	s_and_saveexec_b64 s[0:1], vcc
	s_cbranch_execnz .LBB346_56
.LBB346_39:
	s_or_b64 exec, exec, s[0:1]
	v_cmp_gt_i32_e32 vcc, s8, v0
	s_and_saveexec_b64 s[0:1], vcc
	s_cbranch_execnz .LBB346_57
.LBB346_40:
	s_or_b64 exec, exec, s[0:1]
	v_cmp_gt_i32_e32 vcc, s8, v0
	s_and_saveexec_b64 s[0:1], vcc
	s_cbranch_execnz .LBB346_58
.LBB346_41:
	s_or_b64 exec, exec, s[0:1]
	v_cmp_gt_i32_e32 vcc, s8, v0
	s_and_saveexec_b64 s[0:1], vcc
	s_cbranch_execnz .LBB346_59
.LBB346_42:
	s_or_b64 exec, exec, s[0:1]
	v_cmp_gt_i32_e32 vcc, s8, v0
	s_and_saveexec_b64 s[0:1], vcc
	s_cbranch_execnz .LBB346_60
.LBB346_43:
	s_or_b64 exec, exec, s[0:1]
	v_cmp_gt_i32_e32 vcc, s8, v0
	s_and_saveexec_b64 s[0:1], vcc
	s_cbranch_execnz .LBB346_61
.LBB346_44:
	s_or_b64 exec, exec, s[0:1]
	v_cmp_gt_i32_e32 vcc, s8, v0
	s_and_saveexec_b64 s[0:1], vcc
	s_cbranch_execnz .LBB346_62
.LBB346_45:
	s_or_b64 exec, exec, s[0:1]
	v_cmp_gt_i32_e32 vcc, s8, v0
	s_and_saveexec_b64 s[0:1], vcc
	s_cbranch_execnz .LBB346_63
.LBB346_46:
	s_or_b64 exec, exec, s[0:1]
	v_cmp_gt_i32_e32 vcc, s8, v0
	s_and_saveexec_b64 s[0:1], vcc
	s_cbranch_execnz .LBB346_64
.LBB346_47:
	s_or_b64 exec, exec, s[0:1]
	v_cmp_gt_i32_e32 vcc, s8, v0
	s_and_saveexec_b64 s[0:1], vcc
	s_cbranch_execnz .LBB346_65
.LBB346_48:
	s_or_b64 exec, exec, s[0:1]
	v_cmp_gt_i32_e32 vcc, s8, v0
	s_and_saveexec_b64 s[0:1], vcc
	s_cbranch_execnz .LBB346_66
.LBB346_49:
	s_or_b64 exec, exec, s[0:1]
	v_cmp_gt_i32_e32 vcc, s8, v0
	s_and_saveexec_b64 s[0:1], vcc
	s_cbranch_execnz .LBB346_67
.LBB346_50:
	s_or_b64 exec, exec, s[0:1]
	v_cmp_gt_i32_e32 vcc, s8, v0
	s_and_saveexec_b64 s[0:1], vcc
	s_cbranch_execz .LBB346_52
.LBB346_51:
	v_lshrrev_b32_e32 v1, 24, v2
	v_add_u32_e32 v0, s33, v0
	global_store_byte v0, v1, s[4:5]
.LBB346_52:
	s_endpgm
.LBB346_53:
	v_mov_b32_e32 v0, v1
	global_store_byte v6, v5, s[4:5]
	s_or_b64 exec, exec, s[0:1]
	v_cmp_gt_i32_e32 vcc, s8, v0
	s_and_saveexec_b64 s[0:1], vcc
	s_cbranch_execz .LBB346_37
.LBB346_54:
	v_lshrrev_b32_e32 v1, 8, v5
	v_add_u32_e32 v6, s33, v0
	v_add_u32_e32 v0, 0x100, v0
	global_store_byte v6, v1, s[4:5]
	s_or_b64 exec, exec, s[0:1]
	v_cmp_gt_i32_e32 vcc, s8, v0
	s_and_saveexec_b64 s[0:1], vcc
	s_cbranch_execz .LBB346_38
.LBB346_55:
	v_add_u32_e32 v1, s33, v0
	v_add_u32_e32 v0, 0x100, v0
	global_store_byte_d16_hi v1, v5, s[4:5]
	s_or_b64 exec, exec, s[0:1]
	v_cmp_gt_i32_e32 vcc, s8, v0
	s_and_saveexec_b64 s[0:1], vcc
	s_cbranch_execz .LBB346_39
.LBB346_56:
	v_lshrrev_b32_e32 v1, 24, v5
	v_add_u32_e32 v5, s33, v0
	v_add_u32_e32 v0, 0x100, v0
	global_store_byte v5, v1, s[4:5]
	s_or_b64 exec, exec, s[0:1]
	v_cmp_gt_i32_e32 vcc, s8, v0
	s_and_saveexec_b64 s[0:1], vcc
	s_cbranch_execz .LBB346_40
.LBB346_57:
	v_add_u32_e32 v1, s33, v0
	v_add_u32_e32 v0, 0x100, v0
	global_store_byte v1, v4, s[4:5]
	s_or_b64 exec, exec, s[0:1]
	v_cmp_gt_i32_e32 vcc, s8, v0
	s_and_saveexec_b64 s[0:1], vcc
	s_cbranch_execz .LBB346_41
.LBB346_58:
	v_lshrrev_b32_e32 v1, 8, v4
	v_add_u32_e32 v5, s33, v0
	v_add_u32_e32 v0, 0x100, v0
	global_store_byte v5, v1, s[4:5]
	s_or_b64 exec, exec, s[0:1]
	v_cmp_gt_i32_e32 vcc, s8, v0
	s_and_saveexec_b64 s[0:1], vcc
	s_cbranch_execz .LBB346_42
.LBB346_59:
	v_add_u32_e32 v1, s33, v0
	v_add_u32_e32 v0, 0x100, v0
	global_store_byte_d16_hi v1, v4, s[4:5]
	s_or_b64 exec, exec, s[0:1]
	v_cmp_gt_i32_e32 vcc, s8, v0
	s_and_saveexec_b64 s[0:1], vcc
	s_cbranch_execz .LBB346_43
.LBB346_60:
	v_lshrrev_b32_e32 v1, 24, v4
	v_add_u32_e32 v4, s33, v0
	v_add_u32_e32 v0, 0x100, v0
	global_store_byte v4, v1, s[4:5]
	s_or_b64 exec, exec, s[0:1]
	v_cmp_gt_i32_e32 vcc, s8, v0
	s_and_saveexec_b64 s[0:1], vcc
	s_cbranch_execz .LBB346_44
.LBB346_61:
	v_add_u32_e32 v1, s33, v0
	v_add_u32_e32 v0, 0x100, v0
	global_store_byte v1, v3, s[4:5]
	s_or_b64 exec, exec, s[0:1]
	v_cmp_gt_i32_e32 vcc, s8, v0
	s_and_saveexec_b64 s[0:1], vcc
	s_cbranch_execz .LBB346_45
.LBB346_62:
	v_lshrrev_b32_e32 v1, 8, v3
	v_add_u32_e32 v4, s33, v0
	v_add_u32_e32 v0, 0x100, v0
	global_store_byte v4, v1, s[4:5]
	s_or_b64 exec, exec, s[0:1]
	v_cmp_gt_i32_e32 vcc, s8, v0
	s_and_saveexec_b64 s[0:1], vcc
	s_cbranch_execz .LBB346_46
.LBB346_63:
	v_add_u32_e32 v1, s33, v0
	v_add_u32_e32 v0, 0x100, v0
	global_store_byte_d16_hi v1, v3, s[4:5]
	s_or_b64 exec, exec, s[0:1]
	v_cmp_gt_i32_e32 vcc, s8, v0
	s_and_saveexec_b64 s[0:1], vcc
	s_cbranch_execz .LBB346_47
.LBB346_64:
	v_lshrrev_b32_e32 v1, 24, v3
	v_add_u32_e32 v3, s33, v0
	v_add_u32_e32 v0, 0x100, v0
	global_store_byte v3, v1, s[4:5]
	s_or_b64 exec, exec, s[0:1]
	v_cmp_gt_i32_e32 vcc, s8, v0
	s_and_saveexec_b64 s[0:1], vcc
	s_cbranch_execz .LBB346_48
.LBB346_65:
	v_add_u32_e32 v1, s33, v0
	v_add_u32_e32 v0, 0x100, v0
	global_store_byte v1, v2, s[4:5]
	s_or_b64 exec, exec, s[0:1]
	v_cmp_gt_i32_e32 vcc, s8, v0
	s_and_saveexec_b64 s[0:1], vcc
	s_cbranch_execz .LBB346_49
.LBB346_66:
	v_lshrrev_b32_e32 v1, 8, v2
	v_add_u32_e32 v3, s33, v0
	v_add_u32_e32 v0, 0x100, v0
	global_store_byte v3, v1, s[4:5]
	s_or_b64 exec, exec, s[0:1]
	v_cmp_gt_i32_e32 vcc, s8, v0
	s_and_saveexec_b64 s[0:1], vcc
	s_cbranch_execz .LBB346_50
.LBB346_67:
	v_add_u32_e32 v1, s33, v0
	v_add_u32_e32 v0, 0x100, v0
	global_store_byte_d16_hi v1, v2, s[4:5]
	s_or_b64 exec, exec, s[0:1]
	v_cmp_gt_i32_e32 vcc, s8, v0
	s_and_saveexec_b64 s[0:1], vcc
	s_cbranch_execnz .LBB346_51
	s_branch .LBB346_52
	.section	.rodata,"a",@progbits
	.p2align	6, 0x0
	.amdhsa_kernel _ZN2at6native29vectorized_elementwise_kernelILi16EZZZNS0_21clamp_min_kernel_cudaERNS_18TensorIteratorBaseERKN3c106ScalarEENKUlvE_clEvENKUlvE_clEvEUlhE_St5arrayIPcLm2EEEEviT0_T1_
		.amdhsa_group_segment_fixed_size 0
		.amdhsa_private_segment_fixed_size 0
		.amdhsa_kernarg_size 24
		.amdhsa_user_sgpr_count 2
		.amdhsa_user_sgpr_dispatch_ptr 0
		.amdhsa_user_sgpr_queue_ptr 0
		.amdhsa_user_sgpr_kernarg_segment_ptr 1
		.amdhsa_user_sgpr_dispatch_id 0
		.amdhsa_user_sgpr_kernarg_preload_length 0
		.amdhsa_user_sgpr_kernarg_preload_offset 0
		.amdhsa_user_sgpr_private_segment_size 0
		.amdhsa_uses_dynamic_stack 0
		.amdhsa_enable_private_segment 0
		.amdhsa_system_sgpr_workgroup_id_x 1
		.amdhsa_system_sgpr_workgroup_id_y 0
		.amdhsa_system_sgpr_workgroup_id_z 0
		.amdhsa_system_sgpr_workgroup_info 0
		.amdhsa_system_vgpr_workitem_id 0
		.amdhsa_next_free_vgpr 21
		.amdhsa_next_free_sgpr 40
		.amdhsa_accum_offset 24
		.amdhsa_reserve_vcc 1
		.amdhsa_float_round_mode_32 0
		.amdhsa_float_round_mode_16_64 0
		.amdhsa_float_denorm_mode_32 3
		.amdhsa_float_denorm_mode_16_64 3
		.amdhsa_dx10_clamp 1
		.amdhsa_ieee_mode 1
		.amdhsa_fp16_overflow 0
		.amdhsa_tg_split 0
		.amdhsa_exception_fp_ieee_invalid_op 0
		.amdhsa_exception_fp_denorm_src 0
		.amdhsa_exception_fp_ieee_div_zero 0
		.amdhsa_exception_fp_ieee_overflow 0
		.amdhsa_exception_fp_ieee_underflow 0
		.amdhsa_exception_fp_ieee_inexact 0
		.amdhsa_exception_int_div_zero 0
	.end_amdhsa_kernel
	.section	.text._ZN2at6native29vectorized_elementwise_kernelILi16EZZZNS0_21clamp_min_kernel_cudaERNS_18TensorIteratorBaseERKN3c106ScalarEENKUlvE_clEvENKUlvE_clEvEUlhE_St5arrayIPcLm2EEEEviT0_T1_,"axG",@progbits,_ZN2at6native29vectorized_elementwise_kernelILi16EZZZNS0_21clamp_min_kernel_cudaERNS_18TensorIteratorBaseERKN3c106ScalarEENKUlvE_clEvENKUlvE_clEvEUlhE_St5arrayIPcLm2EEEEviT0_T1_,comdat
.Lfunc_end346:
	.size	_ZN2at6native29vectorized_elementwise_kernelILi16EZZZNS0_21clamp_min_kernel_cudaERNS_18TensorIteratorBaseERKN3c106ScalarEENKUlvE_clEvENKUlvE_clEvEUlhE_St5arrayIPcLm2EEEEviT0_T1_, .Lfunc_end346-_ZN2at6native29vectorized_elementwise_kernelILi16EZZZNS0_21clamp_min_kernel_cudaERNS_18TensorIteratorBaseERKN3c106ScalarEENKUlvE_clEvENKUlvE_clEvEUlhE_St5arrayIPcLm2EEEEviT0_T1_
                                        ; -- End function
	.set _ZN2at6native29vectorized_elementwise_kernelILi16EZZZNS0_21clamp_min_kernel_cudaERNS_18TensorIteratorBaseERKN3c106ScalarEENKUlvE_clEvENKUlvE_clEvEUlhE_St5arrayIPcLm2EEEEviT0_T1_.num_vgpr, 21
	.set _ZN2at6native29vectorized_elementwise_kernelILi16EZZZNS0_21clamp_min_kernel_cudaERNS_18TensorIteratorBaseERKN3c106ScalarEENKUlvE_clEvENKUlvE_clEvEUlhE_St5arrayIPcLm2EEEEviT0_T1_.num_agpr, 0
	.set _ZN2at6native29vectorized_elementwise_kernelILi16EZZZNS0_21clamp_min_kernel_cudaERNS_18TensorIteratorBaseERKN3c106ScalarEENKUlvE_clEvENKUlvE_clEvEUlhE_St5arrayIPcLm2EEEEviT0_T1_.numbered_sgpr, 40
	.set _ZN2at6native29vectorized_elementwise_kernelILi16EZZZNS0_21clamp_min_kernel_cudaERNS_18TensorIteratorBaseERKN3c106ScalarEENKUlvE_clEvENKUlvE_clEvEUlhE_St5arrayIPcLm2EEEEviT0_T1_.num_named_barrier, 0
	.set _ZN2at6native29vectorized_elementwise_kernelILi16EZZZNS0_21clamp_min_kernel_cudaERNS_18TensorIteratorBaseERKN3c106ScalarEENKUlvE_clEvENKUlvE_clEvEUlhE_St5arrayIPcLm2EEEEviT0_T1_.private_seg_size, 0
	.set _ZN2at6native29vectorized_elementwise_kernelILi16EZZZNS0_21clamp_min_kernel_cudaERNS_18TensorIteratorBaseERKN3c106ScalarEENKUlvE_clEvENKUlvE_clEvEUlhE_St5arrayIPcLm2EEEEviT0_T1_.uses_vcc, 1
	.set _ZN2at6native29vectorized_elementwise_kernelILi16EZZZNS0_21clamp_min_kernel_cudaERNS_18TensorIteratorBaseERKN3c106ScalarEENKUlvE_clEvENKUlvE_clEvEUlhE_St5arrayIPcLm2EEEEviT0_T1_.uses_flat_scratch, 0
	.set _ZN2at6native29vectorized_elementwise_kernelILi16EZZZNS0_21clamp_min_kernel_cudaERNS_18TensorIteratorBaseERKN3c106ScalarEENKUlvE_clEvENKUlvE_clEvEUlhE_St5arrayIPcLm2EEEEviT0_T1_.has_dyn_sized_stack, 0
	.set _ZN2at6native29vectorized_elementwise_kernelILi16EZZZNS0_21clamp_min_kernel_cudaERNS_18TensorIteratorBaseERKN3c106ScalarEENKUlvE_clEvENKUlvE_clEvEUlhE_St5arrayIPcLm2EEEEviT0_T1_.has_recursion, 0
	.set _ZN2at6native29vectorized_elementwise_kernelILi16EZZZNS0_21clamp_min_kernel_cudaERNS_18TensorIteratorBaseERKN3c106ScalarEENKUlvE_clEvENKUlvE_clEvEUlhE_St5arrayIPcLm2EEEEviT0_T1_.has_indirect_call, 0
	.section	.AMDGPU.csdata,"",@progbits
; Kernel info:
; codeLenInByte = 3080
; TotalNumSgprs: 46
; NumVgprs: 21
; NumAgprs: 0
; TotalNumVgprs: 21
; ScratchSize: 0
; MemoryBound: 0
; FloatMode: 240
; IeeeMode: 1
; LDSByteSize: 0 bytes/workgroup (compile time only)
; SGPRBlocks: 5
; VGPRBlocks: 2
; NumSGPRsForWavesPerEU: 46
; NumVGPRsForWavesPerEU: 21
; AccumOffset: 24
; Occupancy: 8
; WaveLimiterHint : 0
; COMPUTE_PGM_RSRC2:SCRATCH_EN: 0
; COMPUTE_PGM_RSRC2:USER_SGPR: 2
; COMPUTE_PGM_RSRC2:TRAP_HANDLER: 0
; COMPUTE_PGM_RSRC2:TGID_X_EN: 1
; COMPUTE_PGM_RSRC2:TGID_Y_EN: 0
; COMPUTE_PGM_RSRC2:TGID_Z_EN: 0
; COMPUTE_PGM_RSRC2:TIDIG_COMP_CNT: 0
; COMPUTE_PGM_RSRC3_GFX90A:ACCUM_OFFSET: 5
; COMPUTE_PGM_RSRC3_GFX90A:TG_SPLIT: 0
	.section	.text._ZN2at6native29vectorized_elementwise_kernelILi8EZZZNS0_21clamp_min_kernel_cudaERNS_18TensorIteratorBaseERKN3c106ScalarEENKUlvE_clEvENKUlvE_clEvEUlhE_St5arrayIPcLm2EEEEviT0_T1_,"axG",@progbits,_ZN2at6native29vectorized_elementwise_kernelILi8EZZZNS0_21clamp_min_kernel_cudaERNS_18TensorIteratorBaseERKN3c106ScalarEENKUlvE_clEvENKUlvE_clEvEUlhE_St5arrayIPcLm2EEEEviT0_T1_,comdat
	.globl	_ZN2at6native29vectorized_elementwise_kernelILi8EZZZNS0_21clamp_min_kernel_cudaERNS_18TensorIteratorBaseERKN3c106ScalarEENKUlvE_clEvENKUlvE_clEvEUlhE_St5arrayIPcLm2EEEEviT0_T1_ ; -- Begin function _ZN2at6native29vectorized_elementwise_kernelILi8EZZZNS0_21clamp_min_kernel_cudaERNS_18TensorIteratorBaseERKN3c106ScalarEENKUlvE_clEvENKUlvE_clEvEUlhE_St5arrayIPcLm2EEEEviT0_T1_
	.p2align	8
	.type	_ZN2at6native29vectorized_elementwise_kernelILi8EZZZNS0_21clamp_min_kernel_cudaERNS_18TensorIteratorBaseERKN3c106ScalarEENKUlvE_clEvENKUlvE_clEvEUlhE_St5arrayIPcLm2EEEEviT0_T1_,@function
_ZN2at6native29vectorized_elementwise_kernelILi8EZZZNS0_21clamp_min_kernel_cudaERNS_18TensorIteratorBaseERKN3c106ScalarEENKUlvE_clEvENKUlvE_clEvEUlhE_St5arrayIPcLm2EEEEviT0_T1_: ; @_ZN2at6native29vectorized_elementwise_kernelILi8EZZZNS0_21clamp_min_kernel_cudaERNS_18TensorIteratorBaseERKN3c106ScalarEENKUlvE_clEvENKUlvE_clEvEUlhE_St5arrayIPcLm2EEEEviT0_T1_
; %bb.0:
	s_load_dwordx2 s[8:9], s[0:1], 0x0
	s_load_dwordx4 s[4:7], s[0:1], 0x8
	s_lshl_b32 s33, s2, 12
	s_mov_b64 s[0:1], -1
	s_waitcnt lgkmcnt(0)
	s_sub_i32 s8, s8, s33
	s_cmpk_gt_i32 s8, 0xfff
	s_cbranch_scc0 .LBB347_2
; %bb.1:
	s_ashr_i32 s2, s33, 31
	s_add_u32 s0, s6, s33
	s_addc_u32 s1, s7, s2
	v_lshlrev_b32_e32 v1, 3, v0
	global_load_dwordx2 v[2:3], v1, s[0:1]
	global_load_dwordx2 v[4:5], v1, s[0:1] offset:2048
	s_movk_i32 s3, 0xff
	s_and_b32 s10, s9, 0xff
	s_add_u32 s0, s4, s33
	s_addc_u32 s1, s5, s2
	s_waitcnt vmcnt(1)
	v_lshrrev_b32_e32 v7, 8, v2
	v_and_b32_sdwa v8, v2, s3 dst_sel:DWORD dst_unused:UNUSED_PAD src0_sel:WORD_1 src1_sel:DWORD
	v_lshrrev_b32_e32 v10, 8, v3
	v_and_b32_sdwa v11, v3, s3 dst_sel:DWORD dst_unused:UNUSED_PAD src0_sel:WORD_1 src1_sel:DWORD
	v_max_u16_sdwa v6, v2, s10 dst_sel:DWORD dst_unused:UNUSED_PAD src0_sel:BYTE_0 src1_sel:DWORD
	v_max_u16_sdwa v2, v2, s10 dst_sel:BYTE_1 dst_unused:UNUSED_PAD src0_sel:BYTE_3 src1_sel:DWORD
	v_max_u16_sdwa v9, v3, s10 dst_sel:DWORD dst_unused:UNUSED_PAD src0_sel:BYTE_0 src1_sel:DWORD
	v_max_u16_sdwa v3, v3, s10 dst_sel:BYTE_1 dst_unused:UNUSED_PAD src0_sel:BYTE_3 src1_sel:DWORD
	s_waitcnt vmcnt(0)
	v_lshrrev_b32_e32 v13, 8, v4
	v_and_b32_sdwa v14, v4, s3 dst_sel:DWORD dst_unused:UNUSED_PAD src0_sel:WORD_1 src1_sel:DWORD
	v_lshrrev_b32_e32 v16, 8, v5
	v_and_b32_sdwa v17, v5, s3 dst_sel:DWORD dst_unused:UNUSED_PAD src0_sel:WORD_1 src1_sel:DWORD
	v_max_u16_e32 v8, s10, v8
	v_max_u16_sdwa v7, v7, s10 dst_sel:BYTE_1 dst_unused:UNUSED_PAD src0_sel:BYTE_0 src1_sel:DWORD
	v_max_u16_sdwa v10, v10, s10 dst_sel:BYTE_1 dst_unused:UNUSED_PAD src0_sel:BYTE_0 src1_sel:DWORD
	v_max_u16_e32 v11, s10, v11
	v_max_u16_sdwa v12, v4, s10 dst_sel:DWORD dst_unused:UNUSED_PAD src0_sel:BYTE_0 src1_sel:DWORD
	v_max_u16_sdwa v4, v4, s10 dst_sel:BYTE_1 dst_unused:UNUSED_PAD src0_sel:BYTE_3 src1_sel:DWORD
	v_max_u16_sdwa v15, v5, s10 dst_sel:DWORD dst_unused:UNUSED_PAD src0_sel:BYTE_0 src1_sel:DWORD
	v_max_u16_sdwa v5, v5, s10 dst_sel:BYTE_1 dst_unused:UNUSED_PAD src0_sel:BYTE_3 src1_sel:DWORD
	v_max_u16_sdwa v13, v13, s10 dst_sel:BYTE_1 dst_unused:UNUSED_PAD src0_sel:BYTE_0 src1_sel:DWORD
	v_max_u16_e32 v14, s10, v14
	v_max_u16_sdwa v16, v16, s10 dst_sel:BYTE_1 dst_unused:UNUSED_PAD src0_sel:BYTE_0 src1_sel:DWORD
	v_max_u16_e32 v17, s10, v17
	v_or_b32_sdwa v2, v8, v2 dst_sel:WORD_1 dst_unused:UNUSED_PAD src0_sel:DWORD src1_sel:DWORD
	v_or_b32_e32 v6, v6, v7
	v_or_b32_e32 v7, v9, v10
	v_or_b32_sdwa v3, v11, v3 dst_sel:WORD_1 dst_unused:UNUSED_PAD src0_sel:DWORD src1_sel:DWORD
	v_or_b32_e32 v8, v12, v13
	v_or_b32_sdwa v4, v14, v4 dst_sel:WORD_1 dst_unused:UNUSED_PAD src0_sel:DWORD src1_sel:DWORD
	;; [unrolled: 2-line block ×3, first 2 shown]
	v_or_b32_sdwa v2, v6, v2 dst_sel:DWORD dst_unused:UNUSED_PAD src0_sel:WORD_0 src1_sel:DWORD
	v_or_b32_sdwa v3, v7, v3 dst_sel:DWORD dst_unused:UNUSED_PAD src0_sel:WORD_0 src1_sel:DWORD
	;; [unrolled: 1-line block ×4, first 2 shown]
	global_store_dwordx2 v1, v[2:3], s[0:1]
	global_store_dwordx2 v1, v[4:5], s[0:1] offset:2048
	s_mov_b64 s[0:1], 0
.LBB347_2:
	s_andn2_b64 vcc, exec, s[0:1]
	s_cbranch_vccnz .LBB347_52
; %bb.3:
	v_cmp_gt_i32_e32 vcc, s8, v0
	v_or_b32_e32 v1, 0x100, v0
	v_mov_b32_e32 v20, 0
	v_mov_b32_e32 v7, s9
	v_or_b32_e32 v6, s33, v0
	v_mov_b32_e32 v19, 0
	v_mov_b32_e32 v18, 0
	;; [unrolled: 1-line block ×14, first 2 shown]
	s_and_saveexec_b64 s[2:3], vcc
	s_cbranch_execz .LBB347_35
; %bb.4:
	global_load_ubyte v8, v6, s[6:7]
	v_cmp_gt_u32_e64 s[0:1], s8, v1
	v_mov_b32_e32 v9, 0
	v_mov_b32_e32 v7, s9
	;; [unrolled: 1-line block ×15, first 2 shown]
	s_and_saveexec_b64 s[10:11], s[0:1]
	s_cbranch_execz .LBB347_34
; %bb.5:
	v_add_u32_e32 v2, s33, v0
	global_load_ubyte v9, v2, s[6:7] offset:256
	v_or_b32_e32 v4, 0x200, v0
	v_mov_b32_e32 v3, 0
	v_cmp_gt_u32_e64 s[0:1], s8, v4
	v_mov_b32_e32 v7, s9
	v_mov_b32_e32 v4, 0
	;; [unrolled: 1-line block ×13, first 2 shown]
	s_and_saveexec_b64 s[12:13], s[0:1]
	s_cbranch_execz .LBB347_33
; %bb.6:
	v_lshl_add_u64 v[4:5], s[6:7], 0, v[2:3]
	global_load_ubyte v2, v[4:5], off offset:512
	v_or_b32_e32 v7, 0x300, v0
	v_cmp_gt_u32_e64 s[0:1], s8, v7
	v_mov_b32_e32 v7, s9
	v_mov_b32_e32 v10, 0
	;; [unrolled: 1-line block ×12, first 2 shown]
	s_and_saveexec_b64 s[6:7], s[0:1]
	s_cbranch_execz .LBB347_32
; %bb.7:
	global_load_ubyte v3, v[4:5], off offset:768
	v_or_b32_e32 v7, 0x400, v0
	v_cmp_gt_u32_e64 s[0:1], s8, v7
	v_mov_b32_e32 v10, 0
	v_mov_b32_e32 v7, s9
	;; [unrolled: 1-line block ×12, first 2 shown]
	s_and_saveexec_b64 s[14:15], s[0:1]
	s_cbranch_execz .LBB347_31
; %bb.8:
	global_load_ubyte v10, v[4:5], off offset:1024
	v_or_b32_e32 v7, 0x500, v0
	v_cmp_gt_u32_e64 s[0:1], s8, v7
	v_mov_b32_e32 v11, 0
	v_mov_b32_e32 v7, s9
	v_mov_b32_e32 v12, 0
	v_mov_b32_e32 v13, 0
	v_mov_b32_e32 v14, 0
	v_mov_b32_e32 v15, 0
	v_mov_b32_e32 v16, 0
	v_mov_b32_e32 v17, 0
	v_mov_b32_e32 v18, 0
	v_mov_b32_e32 v19, 0
	v_mov_b32_e32 v20, 0
	s_and_saveexec_b64 s[16:17], s[0:1]
	s_cbranch_execz .LBB347_30
; %bb.9:
	global_load_ubyte v11, v[4:5], off offset:1280
	v_or_b32_e32 v7, 0x600, v0
	v_cmp_gt_u32_e64 s[0:1], s8, v7
	v_mov_b32_e32 v12, 0
	v_mov_b32_e32 v7, s9
	;; [unrolled: 1-line block ×10, first 2 shown]
	s_and_saveexec_b64 s[18:19], s[0:1]
	s_cbranch_execz .LBB347_29
; %bb.10:
	global_load_ubyte v12, v[4:5], off offset:1536
	v_or_b32_e32 v7, 0x700, v0
	v_cmp_gt_u32_e64 s[0:1], s8, v7
	v_mov_b32_e32 v13, 0
	v_mov_b32_e32 v7, s9
	;; [unrolled: 1-line block ×9, first 2 shown]
	s_and_saveexec_b64 s[20:21], s[0:1]
	s_cbranch_execz .LBB347_28
; %bb.11:
	global_load_ubyte v13, v[4:5], off offset:1792
	v_or_b32_e32 v7, 0x800, v0
	v_cmp_gt_u32_e64 s[0:1], s8, v7
	v_mov_b32_e32 v14, 0
	v_mov_b32_e32 v7, s9
	;; [unrolled: 1-line block ×8, first 2 shown]
	s_and_saveexec_b64 s[22:23], s[0:1]
	s_cbranch_execz .LBB347_27
; %bb.12:
	global_load_ubyte v14, v[4:5], off offset:2048
	v_or_b32_e32 v7, 0x900, v0
	v_cmp_gt_u32_e64 s[0:1], s8, v7
	v_mov_b32_e32 v15, 0
	v_mov_b32_e32 v7, s9
	;; [unrolled: 1-line block ×7, first 2 shown]
	s_and_saveexec_b64 s[24:25], s[0:1]
	s_cbranch_execz .LBB347_26
; %bb.13:
	global_load_ubyte v15, v[4:5], off offset:2304
	v_or_b32_e32 v7, 0xa00, v0
	v_cmp_gt_u32_e64 s[0:1], s8, v7
	v_mov_b32_e32 v16, 0
	v_mov_b32_e32 v7, s9
	;; [unrolled: 1-line block ×6, first 2 shown]
	s_and_saveexec_b64 s[26:27], s[0:1]
	s_cbranch_execz .LBB347_25
; %bb.14:
	global_load_ubyte v16, v[4:5], off offset:2560
	v_or_b32_e32 v7, 0xb00, v0
	v_cmp_gt_u32_e64 s[0:1], s8, v7
	v_mov_b32_e32 v17, 0
	v_mov_b32_e32 v7, s9
	v_mov_b32_e32 v18, 0
	v_mov_b32_e32 v19, 0
	v_mov_b32_e32 v20, 0
	s_and_saveexec_b64 s[28:29], s[0:1]
	s_cbranch_execz .LBB347_24
; %bb.15:
	global_load_ubyte v17, v[4:5], off offset:2816
	v_or_b32_e32 v7, 0xc00, v0
	v_cmp_gt_u32_e64 s[0:1], s8, v7
	v_mov_b32_e32 v18, 0
	v_mov_b32_e32 v7, s9
	;; [unrolled: 1-line block ×4, first 2 shown]
	s_and_saveexec_b64 s[30:31], s[0:1]
	s_cbranch_execz .LBB347_23
; %bb.16:
	global_load_ubyte v18, v[4:5], off offset:3072
	v_or_b32_e32 v7, 0xd00, v0
	v_cmp_gt_u32_e64 s[0:1], s8, v7
	v_mov_b32_e32 v19, 0
	v_mov_b32_e32 v7, s9
	;; [unrolled: 1-line block ×3, first 2 shown]
	s_and_saveexec_b64 s[34:35], s[0:1]
	s_cbranch_execz .LBB347_22
; %bb.17:
	global_load_ubyte v19, v[4:5], off offset:3328
	v_or_b32_e32 v7, 0xe00, v0
	v_cmp_gt_u32_e64 s[0:1], s8, v7
	v_mov_b32_e32 v20, 0
	v_mov_b32_e32 v7, s9
	s_and_saveexec_b64 s[36:37], s[0:1]
	s_cbranch_execz .LBB347_21
; %bb.18:
	global_load_ubyte v20, v[4:5], off offset:3584
	v_or_b32_e32 v7, 0xf00, v0
	v_cmp_gt_u32_e64 s[0:1], s8, v7
	v_mov_b32_e32 v7, s9
	s_and_saveexec_b64 s[38:39], s[0:1]
	s_cbranch_execz .LBB347_20
; %bb.19:
	global_load_ubyte v4, v[4:5], off offset:3840
	s_and_b32 s0, s9, 0xff
	s_waitcnt vmcnt(0)
	v_max_u16_e32 v7, s0, v4
.LBB347_20:
	s_or_b64 exec, exec, s[38:39]
.LBB347_21:
	s_or_b64 exec, exec, s[36:37]
.LBB347_22:
	s_or_b64 exec, exec, s[34:35]
.LBB347_23:
	s_or_b64 exec, exec, s[30:31]
.LBB347_24:
	s_or_b64 exec, exec, s[28:29]
.LBB347_25:
	s_or_b64 exec, exec, s[26:27]
.LBB347_26:
	s_or_b64 exec, exec, s[24:25]
.LBB347_27:
	s_or_b64 exec, exec, s[22:23]
.LBB347_28:
	s_or_b64 exec, exec, s[20:21]
.LBB347_29:
	s_or_b64 exec, exec, s[18:19]
.LBB347_30:
	s_or_b64 exec, exec, s[16:17]
.LBB347_31:
	s_or_b64 exec, exec, s[14:15]
.LBB347_32:
	s_or_b64 exec, exec, s[6:7]
	s_waitcnt vmcnt(0)
	v_mov_b32_e32 v4, v3
	v_mov_b32_e32 v3, v2
.LBB347_33:
	s_or_b64 exec, exec, s[12:13]
.LBB347_34:
	s_or_b64 exec, exec, s[10:11]
.LBB347_35:
	s_or_b64 exec, exec, s[2:3]
	s_and_b32 s3, s9, 0xff
	s_waitcnt vmcnt(0)
	v_max_u16_sdwa v2, v8, s3 dst_sel:DWORD dst_unused:UNUSED_PAD src0_sel:BYTE_0 src1_sel:DWORD
	s_movk_i32 s2, 0xff
	v_cndmask_b32_e32 v2, 0, v2, vcc
	v_max_u16_sdwa v5, v9, s3 dst_sel:BYTE_1 dst_unused:UNUSED_PAD src0_sel:BYTE_0 src1_sel:DWORD
	v_cmp_gt_i32_e64 s[0:1], s8, v1
	v_bitop3_b16 v5, v2, v5, s2 bitop3:0xec
	v_and_b32_e32 v5, 0xffff, v5
	v_cndmask_b32_e64 v2, v2, v5, s[0:1]
	v_or_b32_e32 v5, 0x200, v0
	v_max_u16_sdwa v3, v3, s3 dst_sel:WORD_1 dst_unused:UNUSED_PAD src0_sel:BYTE_0 src1_sel:DWORD
	v_cmp_gt_i32_e64 s[0:1], s8, v5
	v_or_b32_e32 v3, v2, v3
	v_max_u16_sdwa v4, v4, s3 dst_sel:BYTE_1 dst_unused:UNUSED_PAD src0_sel:BYTE_0 src1_sel:DWORD
	v_cndmask_b32_e64 v2, v2, v3, s[0:1]
	v_lshrrev_b32_e32 v3, 16, v2
	v_bitop3_b16 v3, v3, v4, s2 bitop3:0xec
	s_mov_b32 s6, 0xffff
	v_or_b32_e32 v5, 0x300, v0
	v_lshlrev_b32_e32 v3, 16, v3
	v_and_or_b32 v3, v2, s6, v3
	v_cmp_gt_i32_e64 s[0:1], s8, v5
	s_movk_i32 s7, 0xff00
	v_max_u16_sdwa v4, v11, s3 dst_sel:BYTE_1 dst_unused:UNUSED_PAD src0_sel:BYTE_0 src1_sel:DWORD
	v_cndmask_b32_e64 v5, v2, v3, s[0:1]
	v_max_u16_sdwa v2, v10, s3 dst_sel:DWORD dst_unused:UNUSED_PAD src0_sel:BYTE_0 src1_sel:DWORD
	v_bitop3_b16 v2, v2, 0, s7 bitop3:0xf8
	v_or_b32_e32 v3, 0x400, v0
	v_and_b32_e32 v2, 0xffff, v2
	v_cmp_gt_i32_e64 s[0:1], s8, v3
	v_or_b32_e32 v3, 0x500, v0
	v_max_u16_sdwa v8, v13, s3 dst_sel:BYTE_1 dst_unused:UNUSED_PAD src0_sel:BYTE_0 src1_sel:DWORD
	v_cndmask_b32_e64 v2, 0, v2, s[0:1]
	v_bitop3_b16 v4, v2, v4, s2 bitop3:0xec
	v_and_b32_e32 v4, 0xffff, v4
	v_cmp_gt_i32_e64 s[0:1], s8, v3
	v_max_u16_sdwa v9, v17, s3 dst_sel:BYTE_1 dst_unused:UNUSED_PAD src0_sel:BYTE_0 src1_sel:DWORD
	s_nop 0
	v_cndmask_b32_e64 v2, v2, v4, s[0:1]
	v_lshrrev_b32_e32 v3, 16, v2
	v_max_u16_sdwa v4, v12, s3 dst_sel:DWORD dst_unused:UNUSED_PAD src0_sel:BYTE_0 src1_sel:DWORD
	v_bitop3_b16 v3, v4, v3, s7 bitop3:0xf8
	v_or_b32_e32 v4, 0x600, v0
	v_lshlrev_b32_e32 v3, 16, v3
	v_and_or_b32 v3, v2, s6, v3
	v_cmp_gt_i32_e64 s[0:1], s8, v4
	v_or_b32_e32 v4, 0x700, v0
	s_nop 0
	v_cndmask_b32_e64 v2, v2, v3, s[0:1]
	v_lshrrev_b32_e32 v3, 16, v2
	v_bitop3_b16 v3, v3, v8, s2 bitop3:0xec
	v_lshlrev_b32_e32 v3, 16, v3
	v_and_or_b32 v3, v2, s6, v3
	v_cmp_gt_i32_e64 s[0:1], s8, v4
	v_max_u16_sdwa v8, v15, s3 dst_sel:BYTE_1 dst_unused:UNUSED_PAD src0_sel:BYTE_0 src1_sel:DWORD
	s_nop 0
	v_cndmask_b32_e64 v4, v2, v3, s[0:1]
	v_or_b32_e32 v2, 0x800, v0
	v_max_u16_sdwa v3, v14, s3 dst_sel:DWORD dst_unused:UNUSED_PAD src0_sel:BYTE_0 src1_sel:DWORD
	v_cmp_gt_i32_e64 s[0:1], s8, v2
	s_nop 1
	v_cndmask_b32_e64 v2, 0, v3, s[0:1]
	v_or_b32_e32 v3, 0x900, v0
	v_bitop3_b16 v8, v2, v8, s2 bitop3:0xec
	v_and_b32_e32 v8, 0xffff, v8
	v_cmp_gt_i32_e64 s[0:1], s8, v3
	v_or_b32_e32 v3, 0xa00, v0
	s_nop 0
	v_cndmask_b32_e64 v2, v2, v8, s[0:1]
	v_max_u16_sdwa v8, v16, s3 dst_sel:WORD_1 dst_unused:UNUSED_PAD src0_sel:BYTE_0 src1_sel:DWORD
	v_cmp_gt_i32_e64 s[0:1], s8, v3
	v_or_b32_e32 v8, v2, v8
	s_nop 0
	v_cndmask_b32_e64 v2, v2, v8, s[0:1]
	v_lshrrev_b32_e32 v3, 16, v2
	v_bitop3_b16 v3, v3, v9, s2 bitop3:0xec
	v_or_b32_e32 v8, 0xb00, v0
	v_lshlrev_b32_e32 v3, 16, v3
	v_and_or_b32 v3, v2, s6, v3
	v_cmp_gt_i32_e64 s[0:1], s8, v8
	v_max_u16_sdwa v8, v18, s3 dst_sel:DWORD dst_unused:UNUSED_PAD src0_sel:BYTE_0 src1_sel:DWORD
	v_max_u16_sdwa v9, v19, s3 dst_sel:BYTE_1 dst_unused:UNUSED_PAD src0_sel:BYTE_0 src1_sel:DWORD
	v_cndmask_b32_e64 v3, v2, v3, s[0:1]
	v_or_b32_e32 v2, 0xc00, v0
	v_cmp_gt_i32_e64 s[0:1], s8, v2
	s_nop 1
	v_cndmask_b32_e64 v2, 0, v8, s[0:1]
	v_or_b32_e32 v8, 0xd00, v0
	v_bitop3_b16 v9, v2, v9, s2 bitop3:0xec
	v_and_b32_e32 v9, 0xffff, v9
	v_cmp_gt_i32_e64 s[0:1], s8, v8
	s_nop 1
	v_cndmask_b32_e64 v2, v2, v9, s[0:1]
	v_lshrrev_b32_e32 v8, 16, v2
	v_max_u16_sdwa v9, v20, s3 dst_sel:DWORD dst_unused:UNUSED_PAD src0_sel:BYTE_0 src1_sel:DWORD
	v_bitop3_b16 v8, v9, v8, s7 bitop3:0xf8
	v_or_b32_e32 v9, 0xe00, v0
	v_lshlrev_b32_e32 v8, 16, v8
	v_and_or_b32 v8, v2, s6, v8
	v_cmp_gt_i32_e64 s[0:1], s8, v9
	s_nop 1
	v_cndmask_b32_e64 v2, v2, v8, s[0:1]
	v_or_b32_e32 v8, 0xf00, v0
	s_mov_b32 s0, 0x60504
	v_perm_b32 v7, v2, v7, s0
	v_cmp_gt_i32_e64 s[0:1], s8, v8
	s_nop 1
	v_cndmask_b32_e64 v2, v2, v7, s[0:1]
	s_and_saveexec_b64 s[0:1], vcc
	s_cbranch_execnz .LBB347_53
; %bb.36:
	s_or_b64 exec, exec, s[0:1]
	v_cmp_gt_i32_e32 vcc, s8, v0
	s_and_saveexec_b64 s[0:1], vcc
	s_cbranch_execnz .LBB347_54
.LBB347_37:
	s_or_b64 exec, exec, s[0:1]
	v_cmp_gt_i32_e32 vcc, s8, v0
	s_and_saveexec_b64 s[0:1], vcc
	s_cbranch_execnz .LBB347_55
.LBB347_38:
	s_or_b64 exec, exec, s[0:1]
	v_cmp_gt_i32_e32 vcc, s8, v0
	s_and_saveexec_b64 s[0:1], vcc
	s_cbranch_execnz .LBB347_56
.LBB347_39:
	s_or_b64 exec, exec, s[0:1]
	v_cmp_gt_i32_e32 vcc, s8, v0
	s_and_saveexec_b64 s[0:1], vcc
	s_cbranch_execnz .LBB347_57
.LBB347_40:
	s_or_b64 exec, exec, s[0:1]
	v_cmp_gt_i32_e32 vcc, s8, v0
	s_and_saveexec_b64 s[0:1], vcc
	s_cbranch_execnz .LBB347_58
.LBB347_41:
	s_or_b64 exec, exec, s[0:1]
	v_cmp_gt_i32_e32 vcc, s8, v0
	s_and_saveexec_b64 s[0:1], vcc
	s_cbranch_execnz .LBB347_59
.LBB347_42:
	s_or_b64 exec, exec, s[0:1]
	v_cmp_gt_i32_e32 vcc, s8, v0
	s_and_saveexec_b64 s[0:1], vcc
	s_cbranch_execnz .LBB347_60
.LBB347_43:
	s_or_b64 exec, exec, s[0:1]
	v_cmp_gt_i32_e32 vcc, s8, v0
	s_and_saveexec_b64 s[0:1], vcc
	s_cbranch_execnz .LBB347_61
.LBB347_44:
	s_or_b64 exec, exec, s[0:1]
	v_cmp_gt_i32_e32 vcc, s8, v0
	s_and_saveexec_b64 s[0:1], vcc
	s_cbranch_execnz .LBB347_62
.LBB347_45:
	s_or_b64 exec, exec, s[0:1]
	v_cmp_gt_i32_e32 vcc, s8, v0
	s_and_saveexec_b64 s[0:1], vcc
	s_cbranch_execnz .LBB347_63
.LBB347_46:
	s_or_b64 exec, exec, s[0:1]
	v_cmp_gt_i32_e32 vcc, s8, v0
	s_and_saveexec_b64 s[0:1], vcc
	s_cbranch_execnz .LBB347_64
.LBB347_47:
	s_or_b64 exec, exec, s[0:1]
	v_cmp_gt_i32_e32 vcc, s8, v0
	s_and_saveexec_b64 s[0:1], vcc
	s_cbranch_execnz .LBB347_65
.LBB347_48:
	s_or_b64 exec, exec, s[0:1]
	v_cmp_gt_i32_e32 vcc, s8, v0
	s_and_saveexec_b64 s[0:1], vcc
	s_cbranch_execnz .LBB347_66
.LBB347_49:
	s_or_b64 exec, exec, s[0:1]
	v_cmp_gt_i32_e32 vcc, s8, v0
	s_and_saveexec_b64 s[0:1], vcc
	s_cbranch_execnz .LBB347_67
.LBB347_50:
	s_or_b64 exec, exec, s[0:1]
	v_cmp_gt_i32_e32 vcc, s8, v0
	s_and_saveexec_b64 s[0:1], vcc
	s_cbranch_execz .LBB347_52
.LBB347_51:
	v_lshrrev_b32_e32 v1, 24, v2
	v_add_u32_e32 v0, s33, v0
	global_store_byte v0, v1, s[4:5]
.LBB347_52:
	s_endpgm
.LBB347_53:
	v_mov_b32_e32 v0, v1
	global_store_byte v6, v5, s[4:5]
	s_or_b64 exec, exec, s[0:1]
	v_cmp_gt_i32_e32 vcc, s8, v0
	s_and_saveexec_b64 s[0:1], vcc
	s_cbranch_execz .LBB347_37
.LBB347_54:
	v_lshrrev_b32_e32 v1, 8, v5
	v_add_u32_e32 v6, s33, v0
	v_add_u32_e32 v0, 0x100, v0
	global_store_byte v6, v1, s[4:5]
	s_or_b64 exec, exec, s[0:1]
	v_cmp_gt_i32_e32 vcc, s8, v0
	s_and_saveexec_b64 s[0:1], vcc
	s_cbranch_execz .LBB347_38
.LBB347_55:
	v_add_u32_e32 v1, s33, v0
	v_add_u32_e32 v0, 0x100, v0
	global_store_byte_d16_hi v1, v5, s[4:5]
	s_or_b64 exec, exec, s[0:1]
	v_cmp_gt_i32_e32 vcc, s8, v0
	s_and_saveexec_b64 s[0:1], vcc
	s_cbranch_execz .LBB347_39
.LBB347_56:
	v_lshrrev_b32_e32 v1, 24, v5
	v_add_u32_e32 v5, s33, v0
	v_add_u32_e32 v0, 0x100, v0
	global_store_byte v5, v1, s[4:5]
	s_or_b64 exec, exec, s[0:1]
	v_cmp_gt_i32_e32 vcc, s8, v0
	s_and_saveexec_b64 s[0:1], vcc
	s_cbranch_execz .LBB347_40
.LBB347_57:
	v_add_u32_e32 v1, s33, v0
	v_add_u32_e32 v0, 0x100, v0
	global_store_byte v1, v4, s[4:5]
	s_or_b64 exec, exec, s[0:1]
	v_cmp_gt_i32_e32 vcc, s8, v0
	s_and_saveexec_b64 s[0:1], vcc
	s_cbranch_execz .LBB347_41
.LBB347_58:
	v_lshrrev_b32_e32 v1, 8, v4
	v_add_u32_e32 v5, s33, v0
	v_add_u32_e32 v0, 0x100, v0
	global_store_byte v5, v1, s[4:5]
	s_or_b64 exec, exec, s[0:1]
	v_cmp_gt_i32_e32 vcc, s8, v0
	s_and_saveexec_b64 s[0:1], vcc
	s_cbranch_execz .LBB347_42
.LBB347_59:
	v_add_u32_e32 v1, s33, v0
	v_add_u32_e32 v0, 0x100, v0
	global_store_byte_d16_hi v1, v4, s[4:5]
	s_or_b64 exec, exec, s[0:1]
	v_cmp_gt_i32_e32 vcc, s8, v0
	s_and_saveexec_b64 s[0:1], vcc
	s_cbranch_execz .LBB347_43
.LBB347_60:
	v_lshrrev_b32_e32 v1, 24, v4
	v_add_u32_e32 v4, s33, v0
	v_add_u32_e32 v0, 0x100, v0
	global_store_byte v4, v1, s[4:5]
	s_or_b64 exec, exec, s[0:1]
	v_cmp_gt_i32_e32 vcc, s8, v0
	s_and_saveexec_b64 s[0:1], vcc
	s_cbranch_execz .LBB347_44
.LBB347_61:
	v_add_u32_e32 v1, s33, v0
	v_add_u32_e32 v0, 0x100, v0
	global_store_byte v1, v3, s[4:5]
	s_or_b64 exec, exec, s[0:1]
	v_cmp_gt_i32_e32 vcc, s8, v0
	s_and_saveexec_b64 s[0:1], vcc
	s_cbranch_execz .LBB347_45
.LBB347_62:
	v_lshrrev_b32_e32 v1, 8, v3
	v_add_u32_e32 v4, s33, v0
	v_add_u32_e32 v0, 0x100, v0
	global_store_byte v4, v1, s[4:5]
	s_or_b64 exec, exec, s[0:1]
	v_cmp_gt_i32_e32 vcc, s8, v0
	s_and_saveexec_b64 s[0:1], vcc
	s_cbranch_execz .LBB347_46
.LBB347_63:
	v_add_u32_e32 v1, s33, v0
	v_add_u32_e32 v0, 0x100, v0
	global_store_byte_d16_hi v1, v3, s[4:5]
	s_or_b64 exec, exec, s[0:1]
	v_cmp_gt_i32_e32 vcc, s8, v0
	s_and_saveexec_b64 s[0:1], vcc
	s_cbranch_execz .LBB347_47
.LBB347_64:
	v_lshrrev_b32_e32 v1, 24, v3
	v_add_u32_e32 v3, s33, v0
	v_add_u32_e32 v0, 0x100, v0
	global_store_byte v3, v1, s[4:5]
	s_or_b64 exec, exec, s[0:1]
	v_cmp_gt_i32_e32 vcc, s8, v0
	s_and_saveexec_b64 s[0:1], vcc
	s_cbranch_execz .LBB347_48
.LBB347_65:
	v_add_u32_e32 v1, s33, v0
	v_add_u32_e32 v0, 0x100, v0
	global_store_byte v1, v2, s[4:5]
	s_or_b64 exec, exec, s[0:1]
	v_cmp_gt_i32_e32 vcc, s8, v0
	s_and_saveexec_b64 s[0:1], vcc
	s_cbranch_execz .LBB347_49
.LBB347_66:
	v_lshrrev_b32_e32 v1, 8, v2
	v_add_u32_e32 v3, s33, v0
	v_add_u32_e32 v0, 0x100, v0
	global_store_byte v3, v1, s[4:5]
	s_or_b64 exec, exec, s[0:1]
	v_cmp_gt_i32_e32 vcc, s8, v0
	s_and_saveexec_b64 s[0:1], vcc
	s_cbranch_execz .LBB347_50
.LBB347_67:
	v_add_u32_e32 v1, s33, v0
	v_add_u32_e32 v0, 0x100, v0
	global_store_byte_d16_hi v1, v2, s[4:5]
	s_or_b64 exec, exec, s[0:1]
	v_cmp_gt_i32_e32 vcc, s8, v0
	s_and_saveexec_b64 s[0:1], vcc
	s_cbranch_execnz .LBB347_51
	s_branch .LBB347_52
	.section	.rodata,"a",@progbits
	.p2align	6, 0x0
	.amdhsa_kernel _ZN2at6native29vectorized_elementwise_kernelILi8EZZZNS0_21clamp_min_kernel_cudaERNS_18TensorIteratorBaseERKN3c106ScalarEENKUlvE_clEvENKUlvE_clEvEUlhE_St5arrayIPcLm2EEEEviT0_T1_
		.amdhsa_group_segment_fixed_size 0
		.amdhsa_private_segment_fixed_size 0
		.amdhsa_kernarg_size 24
		.amdhsa_user_sgpr_count 2
		.amdhsa_user_sgpr_dispatch_ptr 0
		.amdhsa_user_sgpr_queue_ptr 0
		.amdhsa_user_sgpr_kernarg_segment_ptr 1
		.amdhsa_user_sgpr_dispatch_id 0
		.amdhsa_user_sgpr_kernarg_preload_length 0
		.amdhsa_user_sgpr_kernarg_preload_offset 0
		.amdhsa_user_sgpr_private_segment_size 0
		.amdhsa_uses_dynamic_stack 0
		.amdhsa_enable_private_segment 0
		.amdhsa_system_sgpr_workgroup_id_x 1
		.amdhsa_system_sgpr_workgroup_id_y 0
		.amdhsa_system_sgpr_workgroup_id_z 0
		.amdhsa_system_sgpr_workgroup_info 0
		.amdhsa_system_vgpr_workitem_id 0
		.amdhsa_next_free_vgpr 21
		.amdhsa_next_free_sgpr 40
		.amdhsa_accum_offset 24
		.amdhsa_reserve_vcc 1
		.amdhsa_float_round_mode_32 0
		.amdhsa_float_round_mode_16_64 0
		.amdhsa_float_denorm_mode_32 3
		.amdhsa_float_denorm_mode_16_64 3
		.amdhsa_dx10_clamp 1
		.amdhsa_ieee_mode 1
		.amdhsa_fp16_overflow 0
		.amdhsa_tg_split 0
		.amdhsa_exception_fp_ieee_invalid_op 0
		.amdhsa_exception_fp_denorm_src 0
		.amdhsa_exception_fp_ieee_div_zero 0
		.amdhsa_exception_fp_ieee_overflow 0
		.amdhsa_exception_fp_ieee_underflow 0
		.amdhsa_exception_fp_ieee_inexact 0
		.amdhsa_exception_int_div_zero 0
	.end_amdhsa_kernel
	.section	.text._ZN2at6native29vectorized_elementwise_kernelILi8EZZZNS0_21clamp_min_kernel_cudaERNS_18TensorIteratorBaseERKN3c106ScalarEENKUlvE_clEvENKUlvE_clEvEUlhE_St5arrayIPcLm2EEEEviT0_T1_,"axG",@progbits,_ZN2at6native29vectorized_elementwise_kernelILi8EZZZNS0_21clamp_min_kernel_cudaERNS_18TensorIteratorBaseERKN3c106ScalarEENKUlvE_clEvENKUlvE_clEvEUlhE_St5arrayIPcLm2EEEEviT0_T1_,comdat
.Lfunc_end347:
	.size	_ZN2at6native29vectorized_elementwise_kernelILi8EZZZNS0_21clamp_min_kernel_cudaERNS_18TensorIteratorBaseERKN3c106ScalarEENKUlvE_clEvENKUlvE_clEvEUlhE_St5arrayIPcLm2EEEEviT0_T1_, .Lfunc_end347-_ZN2at6native29vectorized_elementwise_kernelILi8EZZZNS0_21clamp_min_kernel_cudaERNS_18TensorIteratorBaseERKN3c106ScalarEENKUlvE_clEvENKUlvE_clEvEUlhE_St5arrayIPcLm2EEEEviT0_T1_
                                        ; -- End function
	.set _ZN2at6native29vectorized_elementwise_kernelILi8EZZZNS0_21clamp_min_kernel_cudaERNS_18TensorIteratorBaseERKN3c106ScalarEENKUlvE_clEvENKUlvE_clEvEUlhE_St5arrayIPcLm2EEEEviT0_T1_.num_vgpr, 21
	.set _ZN2at6native29vectorized_elementwise_kernelILi8EZZZNS0_21clamp_min_kernel_cudaERNS_18TensorIteratorBaseERKN3c106ScalarEENKUlvE_clEvENKUlvE_clEvEUlhE_St5arrayIPcLm2EEEEviT0_T1_.num_agpr, 0
	.set _ZN2at6native29vectorized_elementwise_kernelILi8EZZZNS0_21clamp_min_kernel_cudaERNS_18TensorIteratorBaseERKN3c106ScalarEENKUlvE_clEvENKUlvE_clEvEUlhE_St5arrayIPcLm2EEEEviT0_T1_.numbered_sgpr, 40
	.set _ZN2at6native29vectorized_elementwise_kernelILi8EZZZNS0_21clamp_min_kernel_cudaERNS_18TensorIteratorBaseERKN3c106ScalarEENKUlvE_clEvENKUlvE_clEvEUlhE_St5arrayIPcLm2EEEEviT0_T1_.num_named_barrier, 0
	.set _ZN2at6native29vectorized_elementwise_kernelILi8EZZZNS0_21clamp_min_kernel_cudaERNS_18TensorIteratorBaseERKN3c106ScalarEENKUlvE_clEvENKUlvE_clEvEUlhE_St5arrayIPcLm2EEEEviT0_T1_.private_seg_size, 0
	.set _ZN2at6native29vectorized_elementwise_kernelILi8EZZZNS0_21clamp_min_kernel_cudaERNS_18TensorIteratorBaseERKN3c106ScalarEENKUlvE_clEvENKUlvE_clEvEUlhE_St5arrayIPcLm2EEEEviT0_T1_.uses_vcc, 1
	.set _ZN2at6native29vectorized_elementwise_kernelILi8EZZZNS0_21clamp_min_kernel_cudaERNS_18TensorIteratorBaseERKN3c106ScalarEENKUlvE_clEvENKUlvE_clEvEUlhE_St5arrayIPcLm2EEEEviT0_T1_.uses_flat_scratch, 0
	.set _ZN2at6native29vectorized_elementwise_kernelILi8EZZZNS0_21clamp_min_kernel_cudaERNS_18TensorIteratorBaseERKN3c106ScalarEENKUlvE_clEvENKUlvE_clEvEUlhE_St5arrayIPcLm2EEEEviT0_T1_.has_dyn_sized_stack, 0
	.set _ZN2at6native29vectorized_elementwise_kernelILi8EZZZNS0_21clamp_min_kernel_cudaERNS_18TensorIteratorBaseERKN3c106ScalarEENKUlvE_clEvENKUlvE_clEvEUlhE_St5arrayIPcLm2EEEEviT0_T1_.has_recursion, 0
	.set _ZN2at6native29vectorized_elementwise_kernelILi8EZZZNS0_21clamp_min_kernel_cudaERNS_18TensorIteratorBaseERKN3c106ScalarEENKUlvE_clEvENKUlvE_clEvEUlhE_St5arrayIPcLm2EEEEviT0_T1_.has_indirect_call, 0
	.section	.AMDGPU.csdata,"",@progbits
; Kernel info:
; codeLenInByte = 3116
; TotalNumSgprs: 46
; NumVgprs: 21
; NumAgprs: 0
; TotalNumVgprs: 21
; ScratchSize: 0
; MemoryBound: 0
; FloatMode: 240
; IeeeMode: 1
; LDSByteSize: 0 bytes/workgroup (compile time only)
; SGPRBlocks: 5
; VGPRBlocks: 2
; NumSGPRsForWavesPerEU: 46
; NumVGPRsForWavesPerEU: 21
; AccumOffset: 24
; Occupancy: 8
; WaveLimiterHint : 1
; COMPUTE_PGM_RSRC2:SCRATCH_EN: 0
; COMPUTE_PGM_RSRC2:USER_SGPR: 2
; COMPUTE_PGM_RSRC2:TRAP_HANDLER: 0
; COMPUTE_PGM_RSRC2:TGID_X_EN: 1
; COMPUTE_PGM_RSRC2:TGID_Y_EN: 0
; COMPUTE_PGM_RSRC2:TGID_Z_EN: 0
; COMPUTE_PGM_RSRC2:TIDIG_COMP_CNT: 0
; COMPUTE_PGM_RSRC3_GFX90A:ACCUM_OFFSET: 5
; COMPUTE_PGM_RSRC3_GFX90A:TG_SPLIT: 0
	.section	.text._ZN2at6native29vectorized_elementwise_kernelILi4EZZZNS0_21clamp_min_kernel_cudaERNS_18TensorIteratorBaseERKN3c106ScalarEENKUlvE_clEvENKUlvE_clEvEUlhE_St5arrayIPcLm2EEEEviT0_T1_,"axG",@progbits,_ZN2at6native29vectorized_elementwise_kernelILi4EZZZNS0_21clamp_min_kernel_cudaERNS_18TensorIteratorBaseERKN3c106ScalarEENKUlvE_clEvENKUlvE_clEvEUlhE_St5arrayIPcLm2EEEEviT0_T1_,comdat
	.globl	_ZN2at6native29vectorized_elementwise_kernelILi4EZZZNS0_21clamp_min_kernel_cudaERNS_18TensorIteratorBaseERKN3c106ScalarEENKUlvE_clEvENKUlvE_clEvEUlhE_St5arrayIPcLm2EEEEviT0_T1_ ; -- Begin function _ZN2at6native29vectorized_elementwise_kernelILi4EZZZNS0_21clamp_min_kernel_cudaERNS_18TensorIteratorBaseERKN3c106ScalarEENKUlvE_clEvENKUlvE_clEvEUlhE_St5arrayIPcLm2EEEEviT0_T1_
	.p2align	8
	.type	_ZN2at6native29vectorized_elementwise_kernelILi4EZZZNS0_21clamp_min_kernel_cudaERNS_18TensorIteratorBaseERKN3c106ScalarEENKUlvE_clEvENKUlvE_clEvEUlhE_St5arrayIPcLm2EEEEviT0_T1_,@function
_ZN2at6native29vectorized_elementwise_kernelILi4EZZZNS0_21clamp_min_kernel_cudaERNS_18TensorIteratorBaseERKN3c106ScalarEENKUlvE_clEvENKUlvE_clEvEUlhE_St5arrayIPcLm2EEEEviT0_T1_: ; @_ZN2at6native29vectorized_elementwise_kernelILi4EZZZNS0_21clamp_min_kernel_cudaERNS_18TensorIteratorBaseERKN3c106ScalarEENKUlvE_clEvENKUlvE_clEvEUlhE_St5arrayIPcLm2EEEEviT0_T1_
; %bb.0:
	s_load_dwordx2 s[8:9], s[0:1], 0x0
	s_load_dwordx4 s[4:7], s[0:1], 0x8
	s_lshl_b32 s33, s2, 12
	s_mov_b64 s[0:1], -1
	s_waitcnt lgkmcnt(0)
	s_sub_i32 s8, s8, s33
	s_cmpk_gt_i32 s8, 0xfff
	s_cbranch_scc0 .LBB348_2
; %bb.1:
	s_ashr_i32 s2, s33, 31
	s_add_u32 s0, s6, s33
	s_addc_u32 s1, s7, s2
	v_lshlrev_b32_e32 v1, 2, v0
	global_load_dword v2, v1, s[0:1]
	global_load_dword v3, v1, s[0:1] offset:1024
	global_load_dword v4, v1, s[0:1] offset:2048
	global_load_dword v5, v1, s[0:1] offset:3072
	s_movk_i32 s3, 0xff
	s_and_b32 s10, s9, 0xff
	s_add_u32 s0, s4, s33
	s_addc_u32 s1, s5, s2
	s_waitcnt vmcnt(3)
	v_lshrrev_b32_e32 v7, 8, v2
	v_and_b32_sdwa v8, v2, s3 dst_sel:DWORD dst_unused:UNUSED_PAD src0_sel:WORD_1 src1_sel:DWORD
	v_max_u16_sdwa v6, v2, s10 dst_sel:DWORD dst_unused:UNUSED_PAD src0_sel:BYTE_0 src1_sel:DWORD
	v_max_u16_sdwa v2, v2, s10 dst_sel:BYTE_1 dst_unused:UNUSED_PAD src0_sel:BYTE_3 src1_sel:DWORD
	s_waitcnt vmcnt(2)
	v_lshrrev_b32_e32 v10, 8, v3
	v_and_b32_sdwa v11, v3, s3 dst_sel:DWORD dst_unused:UNUSED_PAD src0_sel:WORD_1 src1_sel:DWORD
	s_waitcnt vmcnt(1)
	v_lshrrev_b32_e32 v13, 8, v4
	v_and_b32_sdwa v14, v4, s3 dst_sel:DWORD dst_unused:UNUSED_PAD src0_sel:WORD_1 src1_sel:DWORD
	;; [unrolled: 3-line block ×3, first 2 shown]
	v_max_u16_sdwa v7, v7, s10 dst_sel:BYTE_1 dst_unused:UNUSED_PAD src0_sel:BYTE_0 src1_sel:DWORD
	v_max_u16_e32 v8, s10, v8
	v_max_u16_sdwa v9, v3, s10 dst_sel:DWORD dst_unused:UNUSED_PAD src0_sel:BYTE_0 src1_sel:DWORD
	v_max_u16_sdwa v3, v3, s10 dst_sel:BYTE_1 dst_unused:UNUSED_PAD src0_sel:BYTE_3 src1_sel:DWORD
	v_max_u16_sdwa v12, v4, s10 dst_sel:DWORD dst_unused:UNUSED_PAD src0_sel:BYTE_0 src1_sel:DWORD
	v_max_u16_sdwa v4, v4, s10 dst_sel:BYTE_1 dst_unused:UNUSED_PAD src0_sel:BYTE_3 src1_sel:DWORD
	;; [unrolled: 2-line block ×3, first 2 shown]
	v_max_u16_sdwa v10, v10, s10 dst_sel:BYTE_1 dst_unused:UNUSED_PAD src0_sel:BYTE_0 src1_sel:DWORD
	v_max_u16_e32 v11, s10, v11
	v_max_u16_sdwa v13, v13, s10 dst_sel:BYTE_1 dst_unused:UNUSED_PAD src0_sel:BYTE_0 src1_sel:DWORD
	v_max_u16_e32 v14, s10, v14
	;; [unrolled: 2-line block ×3, first 2 shown]
	v_or_b32_e32 v6, v6, v7
	v_or_b32_sdwa v2, v8, v2 dst_sel:WORD_1 dst_unused:UNUSED_PAD src0_sel:DWORD src1_sel:DWORD
	v_or_b32_e32 v15, v15, v16
	v_or_b32_sdwa v5, v17, v5 dst_sel:WORD_1 dst_unused:UNUSED_PAD src0_sel:DWORD src1_sel:DWORD
	;; [unrolled: 2-line block ×4, first 2 shown]
	v_or_b32_sdwa v2, v6, v2 dst_sel:DWORD dst_unused:UNUSED_PAD src0_sel:WORD_0 src1_sel:DWORD
	v_or_b32_sdwa v5, v15, v5 dst_sel:DWORD dst_unused:UNUSED_PAD src0_sel:WORD_0 src1_sel:DWORD
	;; [unrolled: 1-line block ×4, first 2 shown]
	global_store_dword v1, v2, s[0:1]
	global_store_dword v1, v3, s[0:1] offset:1024
	global_store_dword v1, v4, s[0:1] offset:2048
	;; [unrolled: 1-line block ×3, first 2 shown]
	s_mov_b64 s[0:1], 0
.LBB348_2:
	s_andn2_b64 vcc, exec, s[0:1]
	s_cbranch_vccnz .LBB348_52
; %bb.3:
	v_cmp_gt_i32_e32 vcc, s8, v0
	v_or_b32_e32 v1, 0x100, v0
	v_mov_b32_e32 v20, 0
	v_mov_b32_e32 v7, s9
	v_or_b32_e32 v6, s33, v0
	v_mov_b32_e32 v19, 0
	v_mov_b32_e32 v18, 0
	;; [unrolled: 1-line block ×14, first 2 shown]
	s_and_saveexec_b64 s[2:3], vcc
	s_cbranch_execz .LBB348_35
; %bb.4:
	global_load_ubyte v8, v6, s[6:7]
	v_cmp_gt_u32_e64 s[0:1], s8, v1
	v_mov_b32_e32 v9, 0
	v_mov_b32_e32 v7, s9
	;; [unrolled: 1-line block ×15, first 2 shown]
	s_and_saveexec_b64 s[10:11], s[0:1]
	s_cbranch_execz .LBB348_34
; %bb.5:
	v_add_u32_e32 v2, s33, v0
	global_load_ubyte v9, v2, s[6:7] offset:256
	v_or_b32_e32 v4, 0x200, v0
	v_mov_b32_e32 v3, 0
	v_cmp_gt_u32_e64 s[0:1], s8, v4
	v_mov_b32_e32 v7, s9
	v_mov_b32_e32 v4, 0
	v_mov_b32_e32 v10, 0
	v_mov_b32_e32 v11, 0
	v_mov_b32_e32 v12, 0
	v_mov_b32_e32 v13, 0
	v_mov_b32_e32 v14, 0
	v_mov_b32_e32 v15, 0
	v_mov_b32_e32 v16, 0
	v_mov_b32_e32 v17, 0
	v_mov_b32_e32 v18, 0
	v_mov_b32_e32 v19, 0
	v_mov_b32_e32 v20, 0
	s_and_saveexec_b64 s[12:13], s[0:1]
	s_cbranch_execz .LBB348_33
; %bb.6:
	v_lshl_add_u64 v[4:5], s[6:7], 0, v[2:3]
	global_load_ubyte v2, v[4:5], off offset:512
	v_or_b32_e32 v7, 0x300, v0
	v_cmp_gt_u32_e64 s[0:1], s8, v7
	v_mov_b32_e32 v7, s9
	v_mov_b32_e32 v10, 0
	v_mov_b32_e32 v11, 0
	v_mov_b32_e32 v12, 0
	v_mov_b32_e32 v13, 0
	v_mov_b32_e32 v14, 0
	v_mov_b32_e32 v15, 0
	v_mov_b32_e32 v16, 0
	v_mov_b32_e32 v17, 0
	v_mov_b32_e32 v18, 0
	v_mov_b32_e32 v19, 0
	v_mov_b32_e32 v20, 0
	s_and_saveexec_b64 s[6:7], s[0:1]
	s_cbranch_execz .LBB348_32
; %bb.7:
	global_load_ubyte v3, v[4:5], off offset:768
	v_or_b32_e32 v7, 0x400, v0
	v_cmp_gt_u32_e64 s[0:1], s8, v7
	v_mov_b32_e32 v10, 0
	v_mov_b32_e32 v7, s9
	v_mov_b32_e32 v11, 0
	v_mov_b32_e32 v12, 0
	v_mov_b32_e32 v13, 0
	v_mov_b32_e32 v14, 0
	v_mov_b32_e32 v15, 0
	v_mov_b32_e32 v16, 0
	v_mov_b32_e32 v17, 0
	v_mov_b32_e32 v18, 0
	v_mov_b32_e32 v19, 0
	v_mov_b32_e32 v20, 0
	s_and_saveexec_b64 s[14:15], s[0:1]
	s_cbranch_execz .LBB348_31
; %bb.8:
	global_load_ubyte v10, v[4:5], off offset:1024
	v_or_b32_e32 v7, 0x500, v0
	v_cmp_gt_u32_e64 s[0:1], s8, v7
	v_mov_b32_e32 v11, 0
	v_mov_b32_e32 v7, s9
	;; [unrolled: 1-line block ×11, first 2 shown]
	s_and_saveexec_b64 s[16:17], s[0:1]
	s_cbranch_execz .LBB348_30
; %bb.9:
	global_load_ubyte v11, v[4:5], off offset:1280
	v_or_b32_e32 v7, 0x600, v0
	v_cmp_gt_u32_e64 s[0:1], s8, v7
	v_mov_b32_e32 v12, 0
	v_mov_b32_e32 v7, s9
	;; [unrolled: 1-line block ×10, first 2 shown]
	s_and_saveexec_b64 s[18:19], s[0:1]
	s_cbranch_execz .LBB348_29
; %bb.10:
	global_load_ubyte v12, v[4:5], off offset:1536
	v_or_b32_e32 v7, 0x700, v0
	v_cmp_gt_u32_e64 s[0:1], s8, v7
	v_mov_b32_e32 v13, 0
	v_mov_b32_e32 v7, s9
	;; [unrolled: 1-line block ×9, first 2 shown]
	s_and_saveexec_b64 s[20:21], s[0:1]
	s_cbranch_execz .LBB348_28
; %bb.11:
	global_load_ubyte v13, v[4:5], off offset:1792
	v_or_b32_e32 v7, 0x800, v0
	v_cmp_gt_u32_e64 s[0:1], s8, v7
	v_mov_b32_e32 v14, 0
	v_mov_b32_e32 v7, s9
	;; [unrolled: 1-line block ×8, first 2 shown]
	s_and_saveexec_b64 s[22:23], s[0:1]
	s_cbranch_execz .LBB348_27
; %bb.12:
	global_load_ubyte v14, v[4:5], off offset:2048
	v_or_b32_e32 v7, 0x900, v0
	v_cmp_gt_u32_e64 s[0:1], s8, v7
	v_mov_b32_e32 v15, 0
	v_mov_b32_e32 v7, s9
	;; [unrolled: 1-line block ×7, first 2 shown]
	s_and_saveexec_b64 s[24:25], s[0:1]
	s_cbranch_execz .LBB348_26
; %bb.13:
	global_load_ubyte v15, v[4:5], off offset:2304
	v_or_b32_e32 v7, 0xa00, v0
	v_cmp_gt_u32_e64 s[0:1], s8, v7
	v_mov_b32_e32 v16, 0
	v_mov_b32_e32 v7, s9
	;; [unrolled: 1-line block ×6, first 2 shown]
	s_and_saveexec_b64 s[26:27], s[0:1]
	s_cbranch_execz .LBB348_25
; %bb.14:
	global_load_ubyte v16, v[4:5], off offset:2560
	v_or_b32_e32 v7, 0xb00, v0
	v_cmp_gt_u32_e64 s[0:1], s8, v7
	v_mov_b32_e32 v17, 0
	v_mov_b32_e32 v7, s9
	;; [unrolled: 1-line block ×5, first 2 shown]
	s_and_saveexec_b64 s[28:29], s[0:1]
	s_cbranch_execz .LBB348_24
; %bb.15:
	global_load_ubyte v17, v[4:5], off offset:2816
	v_or_b32_e32 v7, 0xc00, v0
	v_cmp_gt_u32_e64 s[0:1], s8, v7
	v_mov_b32_e32 v18, 0
	v_mov_b32_e32 v7, s9
	;; [unrolled: 1-line block ×4, first 2 shown]
	s_and_saveexec_b64 s[30:31], s[0:1]
	s_cbranch_execz .LBB348_23
; %bb.16:
	global_load_ubyte v18, v[4:5], off offset:3072
	v_or_b32_e32 v7, 0xd00, v0
	v_cmp_gt_u32_e64 s[0:1], s8, v7
	v_mov_b32_e32 v19, 0
	v_mov_b32_e32 v7, s9
	;; [unrolled: 1-line block ×3, first 2 shown]
	s_and_saveexec_b64 s[34:35], s[0:1]
	s_cbranch_execz .LBB348_22
; %bb.17:
	global_load_ubyte v19, v[4:5], off offset:3328
	v_or_b32_e32 v7, 0xe00, v0
	v_cmp_gt_u32_e64 s[0:1], s8, v7
	v_mov_b32_e32 v20, 0
	v_mov_b32_e32 v7, s9
	s_and_saveexec_b64 s[36:37], s[0:1]
	s_cbranch_execz .LBB348_21
; %bb.18:
	global_load_ubyte v20, v[4:5], off offset:3584
	v_or_b32_e32 v7, 0xf00, v0
	v_cmp_gt_u32_e64 s[0:1], s8, v7
	v_mov_b32_e32 v7, s9
	s_and_saveexec_b64 s[38:39], s[0:1]
	s_cbranch_execz .LBB348_20
; %bb.19:
	global_load_ubyte v4, v[4:5], off offset:3840
	s_and_b32 s0, s9, 0xff
	s_waitcnt vmcnt(0)
	v_max_u16_e32 v7, s0, v4
.LBB348_20:
	s_or_b64 exec, exec, s[38:39]
.LBB348_21:
	s_or_b64 exec, exec, s[36:37]
.LBB348_22:
	s_or_b64 exec, exec, s[34:35]
.LBB348_23:
	s_or_b64 exec, exec, s[30:31]
.LBB348_24:
	s_or_b64 exec, exec, s[28:29]
.LBB348_25:
	s_or_b64 exec, exec, s[26:27]
.LBB348_26:
	s_or_b64 exec, exec, s[24:25]
.LBB348_27:
	s_or_b64 exec, exec, s[22:23]
.LBB348_28:
	s_or_b64 exec, exec, s[20:21]
.LBB348_29:
	s_or_b64 exec, exec, s[18:19]
.LBB348_30:
	s_or_b64 exec, exec, s[16:17]
.LBB348_31:
	s_or_b64 exec, exec, s[14:15]
.LBB348_32:
	s_or_b64 exec, exec, s[6:7]
	s_waitcnt vmcnt(0)
	v_mov_b32_e32 v4, v3
	v_mov_b32_e32 v3, v2
.LBB348_33:
	s_or_b64 exec, exec, s[12:13]
.LBB348_34:
	s_or_b64 exec, exec, s[10:11]
.LBB348_35:
	s_or_b64 exec, exec, s[2:3]
	s_and_b32 s3, s9, 0xff
	s_waitcnt vmcnt(0)
	v_max_u16_sdwa v2, v8, s3 dst_sel:DWORD dst_unused:UNUSED_PAD src0_sel:BYTE_0 src1_sel:DWORD
	s_movk_i32 s2, 0xff
	v_cndmask_b32_e32 v2, 0, v2, vcc
	v_max_u16_sdwa v5, v9, s3 dst_sel:BYTE_1 dst_unused:UNUSED_PAD src0_sel:BYTE_0 src1_sel:DWORD
	v_cmp_gt_i32_e64 s[0:1], s8, v1
	v_bitop3_b16 v5, v2, v5, s2 bitop3:0xec
	v_and_b32_e32 v5, 0xffff, v5
	v_cndmask_b32_e64 v2, v2, v5, s[0:1]
	v_or_b32_e32 v5, 0x200, v0
	v_max_u16_sdwa v3, v3, s3 dst_sel:WORD_1 dst_unused:UNUSED_PAD src0_sel:BYTE_0 src1_sel:DWORD
	v_cmp_gt_i32_e64 s[0:1], s8, v5
	v_or_b32_e32 v3, v2, v3
	v_max_u16_sdwa v4, v4, s3 dst_sel:BYTE_1 dst_unused:UNUSED_PAD src0_sel:BYTE_0 src1_sel:DWORD
	v_cndmask_b32_e64 v2, v2, v3, s[0:1]
	v_lshrrev_b32_e32 v3, 16, v2
	v_bitop3_b16 v3, v3, v4, s2 bitop3:0xec
	s_mov_b32 s6, 0xffff
	v_or_b32_e32 v5, 0x300, v0
	v_lshlrev_b32_e32 v3, 16, v3
	v_and_or_b32 v3, v2, s6, v3
	v_cmp_gt_i32_e64 s[0:1], s8, v5
	s_movk_i32 s7, 0xff00
	v_max_u16_sdwa v4, v11, s3 dst_sel:BYTE_1 dst_unused:UNUSED_PAD src0_sel:BYTE_0 src1_sel:DWORD
	v_cndmask_b32_e64 v5, v2, v3, s[0:1]
	v_max_u16_sdwa v2, v10, s3 dst_sel:DWORD dst_unused:UNUSED_PAD src0_sel:BYTE_0 src1_sel:DWORD
	v_bitop3_b16 v2, v2, 0, s7 bitop3:0xf8
	v_or_b32_e32 v3, 0x400, v0
	v_and_b32_e32 v2, 0xffff, v2
	v_cmp_gt_i32_e64 s[0:1], s8, v3
	v_or_b32_e32 v3, 0x500, v0
	v_max_u16_sdwa v8, v13, s3 dst_sel:BYTE_1 dst_unused:UNUSED_PAD src0_sel:BYTE_0 src1_sel:DWORD
	v_cndmask_b32_e64 v2, 0, v2, s[0:1]
	v_bitop3_b16 v4, v2, v4, s2 bitop3:0xec
	v_and_b32_e32 v4, 0xffff, v4
	v_cmp_gt_i32_e64 s[0:1], s8, v3
	v_max_u16_sdwa v9, v17, s3 dst_sel:BYTE_1 dst_unused:UNUSED_PAD src0_sel:BYTE_0 src1_sel:DWORD
	s_nop 0
	v_cndmask_b32_e64 v2, v2, v4, s[0:1]
	v_lshrrev_b32_e32 v3, 16, v2
	v_max_u16_sdwa v4, v12, s3 dst_sel:DWORD dst_unused:UNUSED_PAD src0_sel:BYTE_0 src1_sel:DWORD
	v_bitop3_b16 v3, v4, v3, s7 bitop3:0xf8
	v_or_b32_e32 v4, 0x600, v0
	v_lshlrev_b32_e32 v3, 16, v3
	v_and_or_b32 v3, v2, s6, v3
	v_cmp_gt_i32_e64 s[0:1], s8, v4
	v_or_b32_e32 v4, 0x700, v0
	s_nop 0
	v_cndmask_b32_e64 v2, v2, v3, s[0:1]
	v_lshrrev_b32_e32 v3, 16, v2
	v_bitop3_b16 v3, v3, v8, s2 bitop3:0xec
	v_lshlrev_b32_e32 v3, 16, v3
	v_and_or_b32 v3, v2, s6, v3
	v_cmp_gt_i32_e64 s[0:1], s8, v4
	v_max_u16_sdwa v8, v15, s3 dst_sel:BYTE_1 dst_unused:UNUSED_PAD src0_sel:BYTE_0 src1_sel:DWORD
	s_nop 0
	v_cndmask_b32_e64 v4, v2, v3, s[0:1]
	v_or_b32_e32 v2, 0x800, v0
	v_max_u16_sdwa v3, v14, s3 dst_sel:DWORD dst_unused:UNUSED_PAD src0_sel:BYTE_0 src1_sel:DWORD
	v_cmp_gt_i32_e64 s[0:1], s8, v2
	s_nop 1
	v_cndmask_b32_e64 v2, 0, v3, s[0:1]
	v_or_b32_e32 v3, 0x900, v0
	v_bitop3_b16 v8, v2, v8, s2 bitop3:0xec
	v_and_b32_e32 v8, 0xffff, v8
	v_cmp_gt_i32_e64 s[0:1], s8, v3
	v_or_b32_e32 v3, 0xa00, v0
	s_nop 0
	v_cndmask_b32_e64 v2, v2, v8, s[0:1]
	v_max_u16_sdwa v8, v16, s3 dst_sel:WORD_1 dst_unused:UNUSED_PAD src0_sel:BYTE_0 src1_sel:DWORD
	v_cmp_gt_i32_e64 s[0:1], s8, v3
	v_or_b32_e32 v8, v2, v8
	s_nop 0
	v_cndmask_b32_e64 v2, v2, v8, s[0:1]
	v_lshrrev_b32_e32 v3, 16, v2
	v_bitop3_b16 v3, v3, v9, s2 bitop3:0xec
	v_or_b32_e32 v8, 0xb00, v0
	v_lshlrev_b32_e32 v3, 16, v3
	v_and_or_b32 v3, v2, s6, v3
	v_cmp_gt_i32_e64 s[0:1], s8, v8
	v_max_u16_sdwa v8, v18, s3 dst_sel:DWORD dst_unused:UNUSED_PAD src0_sel:BYTE_0 src1_sel:DWORD
	v_max_u16_sdwa v9, v19, s3 dst_sel:BYTE_1 dst_unused:UNUSED_PAD src0_sel:BYTE_0 src1_sel:DWORD
	v_cndmask_b32_e64 v3, v2, v3, s[0:1]
	v_or_b32_e32 v2, 0xc00, v0
	v_cmp_gt_i32_e64 s[0:1], s8, v2
	s_nop 1
	v_cndmask_b32_e64 v2, 0, v8, s[0:1]
	v_or_b32_e32 v8, 0xd00, v0
	v_bitop3_b16 v9, v2, v9, s2 bitop3:0xec
	v_and_b32_e32 v9, 0xffff, v9
	v_cmp_gt_i32_e64 s[0:1], s8, v8
	s_nop 1
	v_cndmask_b32_e64 v2, v2, v9, s[0:1]
	v_lshrrev_b32_e32 v8, 16, v2
	v_max_u16_sdwa v9, v20, s3 dst_sel:DWORD dst_unused:UNUSED_PAD src0_sel:BYTE_0 src1_sel:DWORD
	v_bitop3_b16 v8, v9, v8, s7 bitop3:0xf8
	v_or_b32_e32 v9, 0xe00, v0
	v_lshlrev_b32_e32 v8, 16, v8
	v_and_or_b32 v8, v2, s6, v8
	v_cmp_gt_i32_e64 s[0:1], s8, v9
	s_nop 1
	v_cndmask_b32_e64 v2, v2, v8, s[0:1]
	v_or_b32_e32 v8, 0xf00, v0
	s_mov_b32 s0, 0x60504
	v_perm_b32 v7, v2, v7, s0
	v_cmp_gt_i32_e64 s[0:1], s8, v8
	s_nop 1
	v_cndmask_b32_e64 v2, v2, v7, s[0:1]
	s_and_saveexec_b64 s[0:1], vcc
	s_cbranch_execnz .LBB348_53
; %bb.36:
	s_or_b64 exec, exec, s[0:1]
	v_cmp_gt_i32_e32 vcc, s8, v0
	s_and_saveexec_b64 s[0:1], vcc
	s_cbranch_execnz .LBB348_54
.LBB348_37:
	s_or_b64 exec, exec, s[0:1]
	v_cmp_gt_i32_e32 vcc, s8, v0
	s_and_saveexec_b64 s[0:1], vcc
	s_cbranch_execnz .LBB348_55
.LBB348_38:
	s_or_b64 exec, exec, s[0:1]
	v_cmp_gt_i32_e32 vcc, s8, v0
	s_and_saveexec_b64 s[0:1], vcc
	s_cbranch_execnz .LBB348_56
.LBB348_39:
	s_or_b64 exec, exec, s[0:1]
	v_cmp_gt_i32_e32 vcc, s8, v0
	s_and_saveexec_b64 s[0:1], vcc
	s_cbranch_execnz .LBB348_57
.LBB348_40:
	s_or_b64 exec, exec, s[0:1]
	v_cmp_gt_i32_e32 vcc, s8, v0
	s_and_saveexec_b64 s[0:1], vcc
	s_cbranch_execnz .LBB348_58
.LBB348_41:
	s_or_b64 exec, exec, s[0:1]
	v_cmp_gt_i32_e32 vcc, s8, v0
	s_and_saveexec_b64 s[0:1], vcc
	s_cbranch_execnz .LBB348_59
.LBB348_42:
	s_or_b64 exec, exec, s[0:1]
	v_cmp_gt_i32_e32 vcc, s8, v0
	s_and_saveexec_b64 s[0:1], vcc
	s_cbranch_execnz .LBB348_60
.LBB348_43:
	s_or_b64 exec, exec, s[0:1]
	v_cmp_gt_i32_e32 vcc, s8, v0
	s_and_saveexec_b64 s[0:1], vcc
	s_cbranch_execnz .LBB348_61
.LBB348_44:
	s_or_b64 exec, exec, s[0:1]
	v_cmp_gt_i32_e32 vcc, s8, v0
	s_and_saveexec_b64 s[0:1], vcc
	s_cbranch_execnz .LBB348_62
.LBB348_45:
	s_or_b64 exec, exec, s[0:1]
	v_cmp_gt_i32_e32 vcc, s8, v0
	s_and_saveexec_b64 s[0:1], vcc
	s_cbranch_execnz .LBB348_63
.LBB348_46:
	s_or_b64 exec, exec, s[0:1]
	v_cmp_gt_i32_e32 vcc, s8, v0
	s_and_saveexec_b64 s[0:1], vcc
	s_cbranch_execnz .LBB348_64
.LBB348_47:
	s_or_b64 exec, exec, s[0:1]
	v_cmp_gt_i32_e32 vcc, s8, v0
	s_and_saveexec_b64 s[0:1], vcc
	s_cbranch_execnz .LBB348_65
.LBB348_48:
	s_or_b64 exec, exec, s[0:1]
	v_cmp_gt_i32_e32 vcc, s8, v0
	s_and_saveexec_b64 s[0:1], vcc
	s_cbranch_execnz .LBB348_66
.LBB348_49:
	s_or_b64 exec, exec, s[0:1]
	v_cmp_gt_i32_e32 vcc, s8, v0
	s_and_saveexec_b64 s[0:1], vcc
	s_cbranch_execnz .LBB348_67
.LBB348_50:
	s_or_b64 exec, exec, s[0:1]
	v_cmp_gt_i32_e32 vcc, s8, v0
	s_and_saveexec_b64 s[0:1], vcc
	s_cbranch_execz .LBB348_52
.LBB348_51:
	v_lshrrev_b32_e32 v1, 24, v2
	v_add_u32_e32 v0, s33, v0
	global_store_byte v0, v1, s[4:5]
.LBB348_52:
	s_endpgm
.LBB348_53:
	v_mov_b32_e32 v0, v1
	global_store_byte v6, v5, s[4:5]
	s_or_b64 exec, exec, s[0:1]
	v_cmp_gt_i32_e32 vcc, s8, v0
	s_and_saveexec_b64 s[0:1], vcc
	s_cbranch_execz .LBB348_37
.LBB348_54:
	v_lshrrev_b32_e32 v1, 8, v5
	v_add_u32_e32 v6, s33, v0
	v_add_u32_e32 v0, 0x100, v0
	global_store_byte v6, v1, s[4:5]
	s_or_b64 exec, exec, s[0:1]
	v_cmp_gt_i32_e32 vcc, s8, v0
	s_and_saveexec_b64 s[0:1], vcc
	s_cbranch_execz .LBB348_38
.LBB348_55:
	v_add_u32_e32 v1, s33, v0
	v_add_u32_e32 v0, 0x100, v0
	global_store_byte_d16_hi v1, v5, s[4:5]
	s_or_b64 exec, exec, s[0:1]
	v_cmp_gt_i32_e32 vcc, s8, v0
	s_and_saveexec_b64 s[0:1], vcc
	s_cbranch_execz .LBB348_39
.LBB348_56:
	v_lshrrev_b32_e32 v1, 24, v5
	v_add_u32_e32 v5, s33, v0
	v_add_u32_e32 v0, 0x100, v0
	global_store_byte v5, v1, s[4:5]
	s_or_b64 exec, exec, s[0:1]
	v_cmp_gt_i32_e32 vcc, s8, v0
	s_and_saveexec_b64 s[0:1], vcc
	s_cbranch_execz .LBB348_40
.LBB348_57:
	v_add_u32_e32 v1, s33, v0
	v_add_u32_e32 v0, 0x100, v0
	global_store_byte v1, v4, s[4:5]
	s_or_b64 exec, exec, s[0:1]
	v_cmp_gt_i32_e32 vcc, s8, v0
	s_and_saveexec_b64 s[0:1], vcc
	s_cbranch_execz .LBB348_41
.LBB348_58:
	v_lshrrev_b32_e32 v1, 8, v4
	v_add_u32_e32 v5, s33, v0
	v_add_u32_e32 v0, 0x100, v0
	global_store_byte v5, v1, s[4:5]
	s_or_b64 exec, exec, s[0:1]
	v_cmp_gt_i32_e32 vcc, s8, v0
	s_and_saveexec_b64 s[0:1], vcc
	s_cbranch_execz .LBB348_42
.LBB348_59:
	v_add_u32_e32 v1, s33, v0
	v_add_u32_e32 v0, 0x100, v0
	global_store_byte_d16_hi v1, v4, s[4:5]
	s_or_b64 exec, exec, s[0:1]
	v_cmp_gt_i32_e32 vcc, s8, v0
	s_and_saveexec_b64 s[0:1], vcc
	s_cbranch_execz .LBB348_43
.LBB348_60:
	v_lshrrev_b32_e32 v1, 24, v4
	v_add_u32_e32 v4, s33, v0
	v_add_u32_e32 v0, 0x100, v0
	global_store_byte v4, v1, s[4:5]
	s_or_b64 exec, exec, s[0:1]
	v_cmp_gt_i32_e32 vcc, s8, v0
	s_and_saveexec_b64 s[0:1], vcc
	s_cbranch_execz .LBB348_44
.LBB348_61:
	v_add_u32_e32 v1, s33, v0
	v_add_u32_e32 v0, 0x100, v0
	global_store_byte v1, v3, s[4:5]
	s_or_b64 exec, exec, s[0:1]
	v_cmp_gt_i32_e32 vcc, s8, v0
	s_and_saveexec_b64 s[0:1], vcc
	s_cbranch_execz .LBB348_45
.LBB348_62:
	v_lshrrev_b32_e32 v1, 8, v3
	v_add_u32_e32 v4, s33, v0
	v_add_u32_e32 v0, 0x100, v0
	global_store_byte v4, v1, s[4:5]
	s_or_b64 exec, exec, s[0:1]
	v_cmp_gt_i32_e32 vcc, s8, v0
	s_and_saveexec_b64 s[0:1], vcc
	s_cbranch_execz .LBB348_46
.LBB348_63:
	v_add_u32_e32 v1, s33, v0
	v_add_u32_e32 v0, 0x100, v0
	global_store_byte_d16_hi v1, v3, s[4:5]
	s_or_b64 exec, exec, s[0:1]
	v_cmp_gt_i32_e32 vcc, s8, v0
	s_and_saveexec_b64 s[0:1], vcc
	s_cbranch_execz .LBB348_47
.LBB348_64:
	v_lshrrev_b32_e32 v1, 24, v3
	v_add_u32_e32 v3, s33, v0
	v_add_u32_e32 v0, 0x100, v0
	global_store_byte v3, v1, s[4:5]
	s_or_b64 exec, exec, s[0:1]
	v_cmp_gt_i32_e32 vcc, s8, v0
	s_and_saveexec_b64 s[0:1], vcc
	s_cbranch_execz .LBB348_48
.LBB348_65:
	v_add_u32_e32 v1, s33, v0
	v_add_u32_e32 v0, 0x100, v0
	global_store_byte v1, v2, s[4:5]
	s_or_b64 exec, exec, s[0:1]
	v_cmp_gt_i32_e32 vcc, s8, v0
	s_and_saveexec_b64 s[0:1], vcc
	s_cbranch_execz .LBB348_49
.LBB348_66:
	v_lshrrev_b32_e32 v1, 8, v2
	v_add_u32_e32 v3, s33, v0
	v_add_u32_e32 v0, 0x100, v0
	global_store_byte v3, v1, s[4:5]
	s_or_b64 exec, exec, s[0:1]
	v_cmp_gt_i32_e32 vcc, s8, v0
	s_and_saveexec_b64 s[0:1], vcc
	s_cbranch_execz .LBB348_50
.LBB348_67:
	v_add_u32_e32 v1, s33, v0
	v_add_u32_e32 v0, 0x100, v0
	global_store_byte_d16_hi v1, v2, s[4:5]
	s_or_b64 exec, exec, s[0:1]
	v_cmp_gt_i32_e32 vcc, s8, v0
	s_and_saveexec_b64 s[0:1], vcc
	s_cbranch_execnz .LBB348_51
	s_branch .LBB348_52
	.section	.rodata,"a",@progbits
	.p2align	6, 0x0
	.amdhsa_kernel _ZN2at6native29vectorized_elementwise_kernelILi4EZZZNS0_21clamp_min_kernel_cudaERNS_18TensorIteratorBaseERKN3c106ScalarEENKUlvE_clEvENKUlvE_clEvEUlhE_St5arrayIPcLm2EEEEviT0_T1_
		.amdhsa_group_segment_fixed_size 0
		.amdhsa_private_segment_fixed_size 0
		.amdhsa_kernarg_size 24
		.amdhsa_user_sgpr_count 2
		.amdhsa_user_sgpr_dispatch_ptr 0
		.amdhsa_user_sgpr_queue_ptr 0
		.amdhsa_user_sgpr_kernarg_segment_ptr 1
		.amdhsa_user_sgpr_dispatch_id 0
		.amdhsa_user_sgpr_kernarg_preload_length 0
		.amdhsa_user_sgpr_kernarg_preload_offset 0
		.amdhsa_user_sgpr_private_segment_size 0
		.amdhsa_uses_dynamic_stack 0
		.amdhsa_enable_private_segment 0
		.amdhsa_system_sgpr_workgroup_id_x 1
		.amdhsa_system_sgpr_workgroup_id_y 0
		.amdhsa_system_sgpr_workgroup_id_z 0
		.amdhsa_system_sgpr_workgroup_info 0
		.amdhsa_system_vgpr_workitem_id 0
		.amdhsa_next_free_vgpr 21
		.amdhsa_next_free_sgpr 40
		.amdhsa_accum_offset 24
		.amdhsa_reserve_vcc 1
		.amdhsa_float_round_mode_32 0
		.amdhsa_float_round_mode_16_64 0
		.amdhsa_float_denorm_mode_32 3
		.amdhsa_float_denorm_mode_16_64 3
		.amdhsa_dx10_clamp 1
		.amdhsa_ieee_mode 1
		.amdhsa_fp16_overflow 0
		.amdhsa_tg_split 0
		.amdhsa_exception_fp_ieee_invalid_op 0
		.amdhsa_exception_fp_denorm_src 0
		.amdhsa_exception_fp_ieee_div_zero 0
		.amdhsa_exception_fp_ieee_overflow 0
		.amdhsa_exception_fp_ieee_underflow 0
		.amdhsa_exception_fp_ieee_inexact 0
		.amdhsa_exception_int_div_zero 0
	.end_amdhsa_kernel
	.section	.text._ZN2at6native29vectorized_elementwise_kernelILi4EZZZNS0_21clamp_min_kernel_cudaERNS_18TensorIteratorBaseERKN3c106ScalarEENKUlvE_clEvENKUlvE_clEvEUlhE_St5arrayIPcLm2EEEEviT0_T1_,"axG",@progbits,_ZN2at6native29vectorized_elementwise_kernelILi4EZZZNS0_21clamp_min_kernel_cudaERNS_18TensorIteratorBaseERKN3c106ScalarEENKUlvE_clEvENKUlvE_clEvEUlhE_St5arrayIPcLm2EEEEviT0_T1_,comdat
.Lfunc_end348:
	.size	_ZN2at6native29vectorized_elementwise_kernelILi4EZZZNS0_21clamp_min_kernel_cudaERNS_18TensorIteratorBaseERKN3c106ScalarEENKUlvE_clEvENKUlvE_clEvEUlhE_St5arrayIPcLm2EEEEviT0_T1_, .Lfunc_end348-_ZN2at6native29vectorized_elementwise_kernelILi4EZZZNS0_21clamp_min_kernel_cudaERNS_18TensorIteratorBaseERKN3c106ScalarEENKUlvE_clEvENKUlvE_clEvEUlhE_St5arrayIPcLm2EEEEviT0_T1_
                                        ; -- End function
	.set _ZN2at6native29vectorized_elementwise_kernelILi4EZZZNS0_21clamp_min_kernel_cudaERNS_18TensorIteratorBaseERKN3c106ScalarEENKUlvE_clEvENKUlvE_clEvEUlhE_St5arrayIPcLm2EEEEviT0_T1_.num_vgpr, 21
	.set _ZN2at6native29vectorized_elementwise_kernelILi4EZZZNS0_21clamp_min_kernel_cudaERNS_18TensorIteratorBaseERKN3c106ScalarEENKUlvE_clEvENKUlvE_clEvEUlhE_St5arrayIPcLm2EEEEviT0_T1_.num_agpr, 0
	.set _ZN2at6native29vectorized_elementwise_kernelILi4EZZZNS0_21clamp_min_kernel_cudaERNS_18TensorIteratorBaseERKN3c106ScalarEENKUlvE_clEvENKUlvE_clEvEUlhE_St5arrayIPcLm2EEEEviT0_T1_.numbered_sgpr, 40
	.set _ZN2at6native29vectorized_elementwise_kernelILi4EZZZNS0_21clamp_min_kernel_cudaERNS_18TensorIteratorBaseERKN3c106ScalarEENKUlvE_clEvENKUlvE_clEvEUlhE_St5arrayIPcLm2EEEEviT0_T1_.num_named_barrier, 0
	.set _ZN2at6native29vectorized_elementwise_kernelILi4EZZZNS0_21clamp_min_kernel_cudaERNS_18TensorIteratorBaseERKN3c106ScalarEENKUlvE_clEvENKUlvE_clEvEUlhE_St5arrayIPcLm2EEEEviT0_T1_.private_seg_size, 0
	.set _ZN2at6native29vectorized_elementwise_kernelILi4EZZZNS0_21clamp_min_kernel_cudaERNS_18TensorIteratorBaseERKN3c106ScalarEENKUlvE_clEvENKUlvE_clEvEUlhE_St5arrayIPcLm2EEEEviT0_T1_.uses_vcc, 1
	.set _ZN2at6native29vectorized_elementwise_kernelILi4EZZZNS0_21clamp_min_kernel_cudaERNS_18TensorIteratorBaseERKN3c106ScalarEENKUlvE_clEvENKUlvE_clEvEUlhE_St5arrayIPcLm2EEEEviT0_T1_.uses_flat_scratch, 0
	.set _ZN2at6native29vectorized_elementwise_kernelILi4EZZZNS0_21clamp_min_kernel_cudaERNS_18TensorIteratorBaseERKN3c106ScalarEENKUlvE_clEvENKUlvE_clEvEUlhE_St5arrayIPcLm2EEEEviT0_T1_.has_dyn_sized_stack, 0
	.set _ZN2at6native29vectorized_elementwise_kernelILi4EZZZNS0_21clamp_min_kernel_cudaERNS_18TensorIteratorBaseERKN3c106ScalarEENKUlvE_clEvENKUlvE_clEvEUlhE_St5arrayIPcLm2EEEEviT0_T1_.has_recursion, 0
	.set _ZN2at6native29vectorized_elementwise_kernelILi4EZZZNS0_21clamp_min_kernel_cudaERNS_18TensorIteratorBaseERKN3c106ScalarEENKUlvE_clEvENKUlvE_clEvEUlhE_St5arrayIPcLm2EEEEviT0_T1_.has_indirect_call, 0
	.section	.AMDGPU.csdata,"",@progbits
; Kernel info:
; codeLenInByte = 3156
; TotalNumSgprs: 46
; NumVgprs: 21
; NumAgprs: 0
; TotalNumVgprs: 21
; ScratchSize: 0
; MemoryBound: 0
; FloatMode: 240
; IeeeMode: 1
; LDSByteSize: 0 bytes/workgroup (compile time only)
; SGPRBlocks: 5
; VGPRBlocks: 2
; NumSGPRsForWavesPerEU: 46
; NumVGPRsForWavesPerEU: 21
; AccumOffset: 24
; Occupancy: 8
; WaveLimiterHint : 1
; COMPUTE_PGM_RSRC2:SCRATCH_EN: 0
; COMPUTE_PGM_RSRC2:USER_SGPR: 2
; COMPUTE_PGM_RSRC2:TRAP_HANDLER: 0
; COMPUTE_PGM_RSRC2:TGID_X_EN: 1
; COMPUTE_PGM_RSRC2:TGID_Y_EN: 0
; COMPUTE_PGM_RSRC2:TGID_Z_EN: 0
; COMPUTE_PGM_RSRC2:TIDIG_COMP_CNT: 0
; COMPUTE_PGM_RSRC3_GFX90A:ACCUM_OFFSET: 5
; COMPUTE_PGM_RSRC3_GFX90A:TG_SPLIT: 0
	.section	.text._ZN2at6native29vectorized_elementwise_kernelILi2EZZZNS0_21clamp_min_kernel_cudaERNS_18TensorIteratorBaseERKN3c106ScalarEENKUlvE_clEvENKUlvE_clEvEUlhE_St5arrayIPcLm2EEEEviT0_T1_,"axG",@progbits,_ZN2at6native29vectorized_elementwise_kernelILi2EZZZNS0_21clamp_min_kernel_cudaERNS_18TensorIteratorBaseERKN3c106ScalarEENKUlvE_clEvENKUlvE_clEvEUlhE_St5arrayIPcLm2EEEEviT0_T1_,comdat
	.globl	_ZN2at6native29vectorized_elementwise_kernelILi2EZZZNS0_21clamp_min_kernel_cudaERNS_18TensorIteratorBaseERKN3c106ScalarEENKUlvE_clEvENKUlvE_clEvEUlhE_St5arrayIPcLm2EEEEviT0_T1_ ; -- Begin function _ZN2at6native29vectorized_elementwise_kernelILi2EZZZNS0_21clamp_min_kernel_cudaERNS_18TensorIteratorBaseERKN3c106ScalarEENKUlvE_clEvENKUlvE_clEvEUlhE_St5arrayIPcLm2EEEEviT0_T1_
	.p2align	8
	.type	_ZN2at6native29vectorized_elementwise_kernelILi2EZZZNS0_21clamp_min_kernel_cudaERNS_18TensorIteratorBaseERKN3c106ScalarEENKUlvE_clEvENKUlvE_clEvEUlhE_St5arrayIPcLm2EEEEviT0_T1_,@function
_ZN2at6native29vectorized_elementwise_kernelILi2EZZZNS0_21clamp_min_kernel_cudaERNS_18TensorIteratorBaseERKN3c106ScalarEENKUlvE_clEvENKUlvE_clEvEUlhE_St5arrayIPcLm2EEEEviT0_T1_: ; @_ZN2at6native29vectorized_elementwise_kernelILi2EZZZNS0_21clamp_min_kernel_cudaERNS_18TensorIteratorBaseERKN3c106ScalarEENKUlvE_clEvENKUlvE_clEvEUlhE_St5arrayIPcLm2EEEEviT0_T1_
; %bb.0:
	s_load_dwordx2 s[8:9], s[0:1], 0x0
	s_load_dwordx4 s[4:7], s[0:1], 0x8
	s_lshl_b32 s33, s2, 12
	s_mov_b64 s[0:1], -1
	s_waitcnt lgkmcnt(0)
	s_sub_i32 s8, s8, s33
	s_cmpk_gt_i32 s8, 0xfff
	s_cbranch_scc0 .LBB349_2
; %bb.1:
	s_ashr_i32 s2, s33, 31
	s_add_u32 s0, s6, s33
	s_addc_u32 s1, s7, s2
	v_lshlrev_b32_e32 v1, 1, v0
	global_load_ushort v2, v1, s[0:1]
	global_load_ushort v3, v1, s[0:1] offset:512
	global_load_ushort v4, v1, s[0:1] offset:1024
	;; [unrolled: 1-line block ×7, first 2 shown]
	s_and_b32 s3, s9, 0xff
	s_add_u32 s0, s4, s33
	s_addc_u32 s1, s5, s2
	s_waitcnt vmcnt(7)
	v_max_u16_sdwa v10, v2, s3 dst_sel:DWORD dst_unused:UNUSED_PAD src0_sel:BYTE_0 src1_sel:DWORD
	v_max_u16_sdwa v2, v2, s3 dst_sel:BYTE_1 dst_unused:UNUSED_PAD src0_sel:BYTE_1 src1_sel:DWORD
	s_waitcnt vmcnt(6)
	v_max_u16_sdwa v11, v3, s3 dst_sel:DWORD dst_unused:UNUSED_PAD src0_sel:BYTE_0 src1_sel:DWORD
	v_max_u16_sdwa v3, v3, s3 dst_sel:BYTE_1 dst_unused:UNUSED_PAD src0_sel:BYTE_1 src1_sel:DWORD
	;; [unrolled: 3-line block ×8, first 2 shown]
	v_or_b32_e32 v2, v10, v2
	v_or_b32_e32 v9, v17, v9
	;; [unrolled: 1-line block ×8, first 2 shown]
	global_store_short v1, v2, s[0:1]
	global_store_short v1, v3, s[0:1] offset:512
	global_store_short v1, v4, s[0:1] offset:1024
	global_store_short v1, v5, s[0:1] offset:1536
	global_store_short v1, v6, s[0:1] offset:2048
	global_store_short v1, v7, s[0:1] offset:2560
	global_store_short v1, v8, s[0:1] offset:3072
	global_store_short v1, v9, s[0:1] offset:3584
	s_mov_b64 s[0:1], 0
.LBB349_2:
	s_andn2_b64 vcc, exec, s[0:1]
	s_cbranch_vccnz .LBB349_52
; %bb.3:
	v_cmp_gt_i32_e32 vcc, s8, v0
	v_or_b32_e32 v1, 0x100, v0
	v_mov_b32_e32 v20, 0
	v_mov_b32_e32 v7, s9
	v_or_b32_e32 v6, s33, v0
	v_mov_b32_e32 v19, 0
	v_mov_b32_e32 v18, 0
	;; [unrolled: 1-line block ×14, first 2 shown]
	s_and_saveexec_b64 s[2:3], vcc
	s_cbranch_execz .LBB349_35
; %bb.4:
	global_load_ubyte v8, v6, s[6:7]
	v_cmp_gt_u32_e64 s[0:1], s8, v1
	v_mov_b32_e32 v9, 0
	v_mov_b32_e32 v7, s9
	;; [unrolled: 1-line block ×15, first 2 shown]
	s_and_saveexec_b64 s[10:11], s[0:1]
	s_cbranch_execz .LBB349_34
; %bb.5:
	v_add_u32_e32 v2, s33, v0
	global_load_ubyte v9, v2, s[6:7] offset:256
	v_or_b32_e32 v4, 0x200, v0
	v_mov_b32_e32 v3, 0
	v_cmp_gt_u32_e64 s[0:1], s8, v4
	v_mov_b32_e32 v7, s9
	v_mov_b32_e32 v4, 0
	;; [unrolled: 1-line block ×13, first 2 shown]
	s_and_saveexec_b64 s[12:13], s[0:1]
	s_cbranch_execz .LBB349_33
; %bb.6:
	v_lshl_add_u64 v[4:5], s[6:7], 0, v[2:3]
	global_load_ubyte v2, v[4:5], off offset:512
	v_or_b32_e32 v7, 0x300, v0
	v_cmp_gt_u32_e64 s[0:1], s8, v7
	v_mov_b32_e32 v7, s9
	v_mov_b32_e32 v10, 0
	;; [unrolled: 1-line block ×12, first 2 shown]
	s_and_saveexec_b64 s[6:7], s[0:1]
	s_cbranch_execz .LBB349_32
; %bb.7:
	global_load_ubyte v3, v[4:5], off offset:768
	v_or_b32_e32 v7, 0x400, v0
	v_cmp_gt_u32_e64 s[0:1], s8, v7
	v_mov_b32_e32 v10, 0
	v_mov_b32_e32 v7, s9
	;; [unrolled: 1-line block ×12, first 2 shown]
	s_and_saveexec_b64 s[14:15], s[0:1]
	s_cbranch_execz .LBB349_31
; %bb.8:
	global_load_ubyte v10, v[4:5], off offset:1024
	v_or_b32_e32 v7, 0x500, v0
	v_cmp_gt_u32_e64 s[0:1], s8, v7
	v_mov_b32_e32 v11, 0
	v_mov_b32_e32 v7, s9
	;; [unrolled: 1-line block ×11, first 2 shown]
	s_and_saveexec_b64 s[16:17], s[0:1]
	s_cbranch_execz .LBB349_30
; %bb.9:
	global_load_ubyte v11, v[4:5], off offset:1280
	v_or_b32_e32 v7, 0x600, v0
	v_cmp_gt_u32_e64 s[0:1], s8, v7
	v_mov_b32_e32 v12, 0
	v_mov_b32_e32 v7, s9
	;; [unrolled: 1-line block ×10, first 2 shown]
	s_and_saveexec_b64 s[18:19], s[0:1]
	s_cbranch_execz .LBB349_29
; %bb.10:
	global_load_ubyte v12, v[4:5], off offset:1536
	v_or_b32_e32 v7, 0x700, v0
	v_cmp_gt_u32_e64 s[0:1], s8, v7
	v_mov_b32_e32 v13, 0
	v_mov_b32_e32 v7, s9
	;; [unrolled: 1-line block ×9, first 2 shown]
	s_and_saveexec_b64 s[20:21], s[0:1]
	s_cbranch_execz .LBB349_28
; %bb.11:
	global_load_ubyte v13, v[4:5], off offset:1792
	v_or_b32_e32 v7, 0x800, v0
	v_cmp_gt_u32_e64 s[0:1], s8, v7
	v_mov_b32_e32 v14, 0
	v_mov_b32_e32 v7, s9
	;; [unrolled: 1-line block ×8, first 2 shown]
	s_and_saveexec_b64 s[22:23], s[0:1]
	s_cbranch_execz .LBB349_27
; %bb.12:
	global_load_ubyte v14, v[4:5], off offset:2048
	v_or_b32_e32 v7, 0x900, v0
	v_cmp_gt_u32_e64 s[0:1], s8, v7
	v_mov_b32_e32 v15, 0
	v_mov_b32_e32 v7, s9
	;; [unrolled: 1-line block ×7, first 2 shown]
	s_and_saveexec_b64 s[24:25], s[0:1]
	s_cbranch_execz .LBB349_26
; %bb.13:
	global_load_ubyte v15, v[4:5], off offset:2304
	v_or_b32_e32 v7, 0xa00, v0
	v_cmp_gt_u32_e64 s[0:1], s8, v7
	v_mov_b32_e32 v16, 0
	v_mov_b32_e32 v7, s9
	;; [unrolled: 1-line block ×6, first 2 shown]
	s_and_saveexec_b64 s[26:27], s[0:1]
	s_cbranch_execz .LBB349_25
; %bb.14:
	global_load_ubyte v16, v[4:5], off offset:2560
	v_or_b32_e32 v7, 0xb00, v0
	v_cmp_gt_u32_e64 s[0:1], s8, v7
	v_mov_b32_e32 v17, 0
	v_mov_b32_e32 v7, s9
	;; [unrolled: 1-line block ×5, first 2 shown]
	s_and_saveexec_b64 s[28:29], s[0:1]
	s_cbranch_execz .LBB349_24
; %bb.15:
	global_load_ubyte v17, v[4:5], off offset:2816
	v_or_b32_e32 v7, 0xc00, v0
	v_cmp_gt_u32_e64 s[0:1], s8, v7
	v_mov_b32_e32 v18, 0
	v_mov_b32_e32 v7, s9
	;; [unrolled: 1-line block ×4, first 2 shown]
	s_and_saveexec_b64 s[30:31], s[0:1]
	s_cbranch_execz .LBB349_23
; %bb.16:
	global_load_ubyte v18, v[4:5], off offset:3072
	v_or_b32_e32 v7, 0xd00, v0
	v_cmp_gt_u32_e64 s[0:1], s8, v7
	v_mov_b32_e32 v19, 0
	v_mov_b32_e32 v7, s9
	;; [unrolled: 1-line block ×3, first 2 shown]
	s_and_saveexec_b64 s[34:35], s[0:1]
	s_cbranch_execz .LBB349_22
; %bb.17:
	global_load_ubyte v19, v[4:5], off offset:3328
	v_or_b32_e32 v7, 0xe00, v0
	v_cmp_gt_u32_e64 s[0:1], s8, v7
	v_mov_b32_e32 v20, 0
	v_mov_b32_e32 v7, s9
	s_and_saveexec_b64 s[36:37], s[0:1]
	s_cbranch_execz .LBB349_21
; %bb.18:
	global_load_ubyte v20, v[4:5], off offset:3584
	v_or_b32_e32 v7, 0xf00, v0
	v_cmp_gt_u32_e64 s[0:1], s8, v7
	v_mov_b32_e32 v7, s9
	s_and_saveexec_b64 s[38:39], s[0:1]
	s_cbranch_execz .LBB349_20
; %bb.19:
	global_load_ubyte v4, v[4:5], off offset:3840
	s_and_b32 s0, s9, 0xff
	s_waitcnt vmcnt(0)
	v_max_u16_e32 v7, s0, v4
.LBB349_20:
	s_or_b64 exec, exec, s[38:39]
.LBB349_21:
	s_or_b64 exec, exec, s[36:37]
.LBB349_22:
	s_or_b64 exec, exec, s[34:35]
.LBB349_23:
	s_or_b64 exec, exec, s[30:31]
.LBB349_24:
	s_or_b64 exec, exec, s[28:29]
.LBB349_25:
	s_or_b64 exec, exec, s[26:27]
.LBB349_26:
	s_or_b64 exec, exec, s[24:25]
.LBB349_27:
	s_or_b64 exec, exec, s[22:23]
.LBB349_28:
	s_or_b64 exec, exec, s[20:21]
.LBB349_29:
	s_or_b64 exec, exec, s[18:19]
.LBB349_30:
	s_or_b64 exec, exec, s[16:17]
.LBB349_31:
	s_or_b64 exec, exec, s[14:15]
.LBB349_32:
	s_or_b64 exec, exec, s[6:7]
	s_waitcnt vmcnt(0)
	v_mov_b32_e32 v4, v3
	v_mov_b32_e32 v3, v2
.LBB349_33:
	s_or_b64 exec, exec, s[12:13]
.LBB349_34:
	s_or_b64 exec, exec, s[10:11]
.LBB349_35:
	s_or_b64 exec, exec, s[2:3]
	s_and_b32 s3, s9, 0xff
	s_waitcnt vmcnt(0)
	v_max_u16_sdwa v2, v8, s3 dst_sel:DWORD dst_unused:UNUSED_PAD src0_sel:BYTE_0 src1_sel:DWORD
	s_movk_i32 s2, 0xff
	v_cndmask_b32_e32 v2, 0, v2, vcc
	v_max_u16_sdwa v5, v9, s3 dst_sel:BYTE_1 dst_unused:UNUSED_PAD src0_sel:BYTE_0 src1_sel:DWORD
	v_cmp_gt_i32_e64 s[0:1], s8, v1
	v_bitop3_b16 v5, v2, v5, s2 bitop3:0xec
	v_and_b32_e32 v5, 0xffff, v5
	v_cndmask_b32_e64 v2, v2, v5, s[0:1]
	v_or_b32_e32 v5, 0x200, v0
	v_max_u16_sdwa v3, v3, s3 dst_sel:WORD_1 dst_unused:UNUSED_PAD src0_sel:BYTE_0 src1_sel:DWORD
	v_cmp_gt_i32_e64 s[0:1], s8, v5
	v_or_b32_e32 v3, v2, v3
	v_max_u16_sdwa v4, v4, s3 dst_sel:BYTE_1 dst_unused:UNUSED_PAD src0_sel:BYTE_0 src1_sel:DWORD
	v_cndmask_b32_e64 v2, v2, v3, s[0:1]
	v_lshrrev_b32_e32 v3, 16, v2
	v_bitop3_b16 v3, v3, v4, s2 bitop3:0xec
	s_mov_b32 s6, 0xffff
	v_or_b32_e32 v5, 0x300, v0
	v_lshlrev_b32_e32 v3, 16, v3
	v_and_or_b32 v3, v2, s6, v3
	v_cmp_gt_i32_e64 s[0:1], s8, v5
	s_movk_i32 s7, 0xff00
	v_max_u16_sdwa v4, v11, s3 dst_sel:BYTE_1 dst_unused:UNUSED_PAD src0_sel:BYTE_0 src1_sel:DWORD
	v_cndmask_b32_e64 v5, v2, v3, s[0:1]
	v_max_u16_sdwa v2, v10, s3 dst_sel:DWORD dst_unused:UNUSED_PAD src0_sel:BYTE_0 src1_sel:DWORD
	v_bitop3_b16 v2, v2, 0, s7 bitop3:0xf8
	v_or_b32_e32 v3, 0x400, v0
	v_and_b32_e32 v2, 0xffff, v2
	v_cmp_gt_i32_e64 s[0:1], s8, v3
	v_or_b32_e32 v3, 0x500, v0
	v_max_u16_sdwa v8, v13, s3 dst_sel:BYTE_1 dst_unused:UNUSED_PAD src0_sel:BYTE_0 src1_sel:DWORD
	v_cndmask_b32_e64 v2, 0, v2, s[0:1]
	v_bitop3_b16 v4, v2, v4, s2 bitop3:0xec
	v_and_b32_e32 v4, 0xffff, v4
	v_cmp_gt_i32_e64 s[0:1], s8, v3
	v_max_u16_sdwa v9, v17, s3 dst_sel:BYTE_1 dst_unused:UNUSED_PAD src0_sel:BYTE_0 src1_sel:DWORD
	s_nop 0
	v_cndmask_b32_e64 v2, v2, v4, s[0:1]
	v_lshrrev_b32_e32 v3, 16, v2
	v_max_u16_sdwa v4, v12, s3 dst_sel:DWORD dst_unused:UNUSED_PAD src0_sel:BYTE_0 src1_sel:DWORD
	v_bitop3_b16 v3, v4, v3, s7 bitop3:0xf8
	v_or_b32_e32 v4, 0x600, v0
	v_lshlrev_b32_e32 v3, 16, v3
	v_and_or_b32 v3, v2, s6, v3
	v_cmp_gt_i32_e64 s[0:1], s8, v4
	v_or_b32_e32 v4, 0x700, v0
	s_nop 0
	v_cndmask_b32_e64 v2, v2, v3, s[0:1]
	v_lshrrev_b32_e32 v3, 16, v2
	v_bitop3_b16 v3, v3, v8, s2 bitop3:0xec
	v_lshlrev_b32_e32 v3, 16, v3
	v_and_or_b32 v3, v2, s6, v3
	v_cmp_gt_i32_e64 s[0:1], s8, v4
	v_max_u16_sdwa v8, v15, s3 dst_sel:BYTE_1 dst_unused:UNUSED_PAD src0_sel:BYTE_0 src1_sel:DWORD
	s_nop 0
	v_cndmask_b32_e64 v4, v2, v3, s[0:1]
	v_or_b32_e32 v2, 0x800, v0
	v_max_u16_sdwa v3, v14, s3 dst_sel:DWORD dst_unused:UNUSED_PAD src0_sel:BYTE_0 src1_sel:DWORD
	v_cmp_gt_i32_e64 s[0:1], s8, v2
	s_nop 1
	v_cndmask_b32_e64 v2, 0, v3, s[0:1]
	v_or_b32_e32 v3, 0x900, v0
	v_bitop3_b16 v8, v2, v8, s2 bitop3:0xec
	v_and_b32_e32 v8, 0xffff, v8
	v_cmp_gt_i32_e64 s[0:1], s8, v3
	v_or_b32_e32 v3, 0xa00, v0
	s_nop 0
	v_cndmask_b32_e64 v2, v2, v8, s[0:1]
	v_max_u16_sdwa v8, v16, s3 dst_sel:WORD_1 dst_unused:UNUSED_PAD src0_sel:BYTE_0 src1_sel:DWORD
	v_cmp_gt_i32_e64 s[0:1], s8, v3
	v_or_b32_e32 v8, v2, v8
	s_nop 0
	v_cndmask_b32_e64 v2, v2, v8, s[0:1]
	v_lshrrev_b32_e32 v3, 16, v2
	v_bitop3_b16 v3, v3, v9, s2 bitop3:0xec
	v_or_b32_e32 v8, 0xb00, v0
	v_lshlrev_b32_e32 v3, 16, v3
	v_and_or_b32 v3, v2, s6, v3
	v_cmp_gt_i32_e64 s[0:1], s8, v8
	v_max_u16_sdwa v8, v18, s3 dst_sel:DWORD dst_unused:UNUSED_PAD src0_sel:BYTE_0 src1_sel:DWORD
	v_max_u16_sdwa v9, v19, s3 dst_sel:BYTE_1 dst_unused:UNUSED_PAD src0_sel:BYTE_0 src1_sel:DWORD
	v_cndmask_b32_e64 v3, v2, v3, s[0:1]
	v_or_b32_e32 v2, 0xc00, v0
	v_cmp_gt_i32_e64 s[0:1], s8, v2
	s_nop 1
	v_cndmask_b32_e64 v2, 0, v8, s[0:1]
	v_or_b32_e32 v8, 0xd00, v0
	v_bitop3_b16 v9, v2, v9, s2 bitop3:0xec
	v_and_b32_e32 v9, 0xffff, v9
	v_cmp_gt_i32_e64 s[0:1], s8, v8
	s_nop 1
	v_cndmask_b32_e64 v2, v2, v9, s[0:1]
	v_lshrrev_b32_e32 v8, 16, v2
	v_max_u16_sdwa v9, v20, s3 dst_sel:DWORD dst_unused:UNUSED_PAD src0_sel:BYTE_0 src1_sel:DWORD
	v_bitop3_b16 v8, v9, v8, s7 bitop3:0xf8
	v_or_b32_e32 v9, 0xe00, v0
	v_lshlrev_b32_e32 v8, 16, v8
	v_and_or_b32 v8, v2, s6, v8
	v_cmp_gt_i32_e64 s[0:1], s8, v9
	s_nop 1
	v_cndmask_b32_e64 v2, v2, v8, s[0:1]
	v_or_b32_e32 v8, 0xf00, v0
	s_mov_b32 s0, 0x60504
	v_perm_b32 v7, v2, v7, s0
	v_cmp_gt_i32_e64 s[0:1], s8, v8
	s_nop 1
	v_cndmask_b32_e64 v2, v2, v7, s[0:1]
	s_and_saveexec_b64 s[0:1], vcc
	s_cbranch_execnz .LBB349_53
; %bb.36:
	s_or_b64 exec, exec, s[0:1]
	v_cmp_gt_i32_e32 vcc, s8, v0
	s_and_saveexec_b64 s[0:1], vcc
	s_cbranch_execnz .LBB349_54
.LBB349_37:
	s_or_b64 exec, exec, s[0:1]
	v_cmp_gt_i32_e32 vcc, s8, v0
	s_and_saveexec_b64 s[0:1], vcc
	s_cbranch_execnz .LBB349_55
.LBB349_38:
	s_or_b64 exec, exec, s[0:1]
	v_cmp_gt_i32_e32 vcc, s8, v0
	s_and_saveexec_b64 s[0:1], vcc
	s_cbranch_execnz .LBB349_56
.LBB349_39:
	s_or_b64 exec, exec, s[0:1]
	v_cmp_gt_i32_e32 vcc, s8, v0
	s_and_saveexec_b64 s[0:1], vcc
	s_cbranch_execnz .LBB349_57
.LBB349_40:
	s_or_b64 exec, exec, s[0:1]
	v_cmp_gt_i32_e32 vcc, s8, v0
	s_and_saveexec_b64 s[0:1], vcc
	s_cbranch_execnz .LBB349_58
.LBB349_41:
	s_or_b64 exec, exec, s[0:1]
	v_cmp_gt_i32_e32 vcc, s8, v0
	s_and_saveexec_b64 s[0:1], vcc
	s_cbranch_execnz .LBB349_59
.LBB349_42:
	s_or_b64 exec, exec, s[0:1]
	v_cmp_gt_i32_e32 vcc, s8, v0
	s_and_saveexec_b64 s[0:1], vcc
	s_cbranch_execnz .LBB349_60
.LBB349_43:
	s_or_b64 exec, exec, s[0:1]
	v_cmp_gt_i32_e32 vcc, s8, v0
	s_and_saveexec_b64 s[0:1], vcc
	s_cbranch_execnz .LBB349_61
.LBB349_44:
	s_or_b64 exec, exec, s[0:1]
	v_cmp_gt_i32_e32 vcc, s8, v0
	s_and_saveexec_b64 s[0:1], vcc
	s_cbranch_execnz .LBB349_62
.LBB349_45:
	s_or_b64 exec, exec, s[0:1]
	v_cmp_gt_i32_e32 vcc, s8, v0
	s_and_saveexec_b64 s[0:1], vcc
	s_cbranch_execnz .LBB349_63
.LBB349_46:
	s_or_b64 exec, exec, s[0:1]
	v_cmp_gt_i32_e32 vcc, s8, v0
	s_and_saveexec_b64 s[0:1], vcc
	s_cbranch_execnz .LBB349_64
.LBB349_47:
	s_or_b64 exec, exec, s[0:1]
	v_cmp_gt_i32_e32 vcc, s8, v0
	s_and_saveexec_b64 s[0:1], vcc
	s_cbranch_execnz .LBB349_65
.LBB349_48:
	s_or_b64 exec, exec, s[0:1]
	v_cmp_gt_i32_e32 vcc, s8, v0
	s_and_saveexec_b64 s[0:1], vcc
	s_cbranch_execnz .LBB349_66
.LBB349_49:
	s_or_b64 exec, exec, s[0:1]
	v_cmp_gt_i32_e32 vcc, s8, v0
	s_and_saveexec_b64 s[0:1], vcc
	s_cbranch_execnz .LBB349_67
.LBB349_50:
	s_or_b64 exec, exec, s[0:1]
	v_cmp_gt_i32_e32 vcc, s8, v0
	s_and_saveexec_b64 s[0:1], vcc
	s_cbranch_execz .LBB349_52
.LBB349_51:
	v_lshrrev_b32_e32 v1, 24, v2
	v_add_u32_e32 v0, s33, v0
	global_store_byte v0, v1, s[4:5]
.LBB349_52:
	s_endpgm
.LBB349_53:
	v_mov_b32_e32 v0, v1
	global_store_byte v6, v5, s[4:5]
	s_or_b64 exec, exec, s[0:1]
	v_cmp_gt_i32_e32 vcc, s8, v0
	s_and_saveexec_b64 s[0:1], vcc
	s_cbranch_execz .LBB349_37
.LBB349_54:
	v_lshrrev_b32_e32 v1, 8, v5
	v_add_u32_e32 v6, s33, v0
	v_add_u32_e32 v0, 0x100, v0
	global_store_byte v6, v1, s[4:5]
	s_or_b64 exec, exec, s[0:1]
	v_cmp_gt_i32_e32 vcc, s8, v0
	s_and_saveexec_b64 s[0:1], vcc
	s_cbranch_execz .LBB349_38
.LBB349_55:
	v_add_u32_e32 v1, s33, v0
	v_add_u32_e32 v0, 0x100, v0
	global_store_byte_d16_hi v1, v5, s[4:5]
	s_or_b64 exec, exec, s[0:1]
	v_cmp_gt_i32_e32 vcc, s8, v0
	s_and_saveexec_b64 s[0:1], vcc
	s_cbranch_execz .LBB349_39
.LBB349_56:
	v_lshrrev_b32_e32 v1, 24, v5
	v_add_u32_e32 v5, s33, v0
	v_add_u32_e32 v0, 0x100, v0
	global_store_byte v5, v1, s[4:5]
	s_or_b64 exec, exec, s[0:1]
	v_cmp_gt_i32_e32 vcc, s8, v0
	s_and_saveexec_b64 s[0:1], vcc
	s_cbranch_execz .LBB349_40
.LBB349_57:
	v_add_u32_e32 v1, s33, v0
	v_add_u32_e32 v0, 0x100, v0
	global_store_byte v1, v4, s[4:5]
	s_or_b64 exec, exec, s[0:1]
	v_cmp_gt_i32_e32 vcc, s8, v0
	s_and_saveexec_b64 s[0:1], vcc
	s_cbranch_execz .LBB349_41
.LBB349_58:
	v_lshrrev_b32_e32 v1, 8, v4
	v_add_u32_e32 v5, s33, v0
	v_add_u32_e32 v0, 0x100, v0
	global_store_byte v5, v1, s[4:5]
	s_or_b64 exec, exec, s[0:1]
	v_cmp_gt_i32_e32 vcc, s8, v0
	s_and_saveexec_b64 s[0:1], vcc
	s_cbranch_execz .LBB349_42
.LBB349_59:
	v_add_u32_e32 v1, s33, v0
	v_add_u32_e32 v0, 0x100, v0
	global_store_byte_d16_hi v1, v4, s[4:5]
	s_or_b64 exec, exec, s[0:1]
	v_cmp_gt_i32_e32 vcc, s8, v0
	s_and_saveexec_b64 s[0:1], vcc
	s_cbranch_execz .LBB349_43
.LBB349_60:
	v_lshrrev_b32_e32 v1, 24, v4
	v_add_u32_e32 v4, s33, v0
	v_add_u32_e32 v0, 0x100, v0
	global_store_byte v4, v1, s[4:5]
	s_or_b64 exec, exec, s[0:1]
	v_cmp_gt_i32_e32 vcc, s8, v0
	s_and_saveexec_b64 s[0:1], vcc
	s_cbranch_execz .LBB349_44
.LBB349_61:
	v_add_u32_e32 v1, s33, v0
	v_add_u32_e32 v0, 0x100, v0
	global_store_byte v1, v3, s[4:5]
	s_or_b64 exec, exec, s[0:1]
	v_cmp_gt_i32_e32 vcc, s8, v0
	s_and_saveexec_b64 s[0:1], vcc
	s_cbranch_execz .LBB349_45
.LBB349_62:
	v_lshrrev_b32_e32 v1, 8, v3
	v_add_u32_e32 v4, s33, v0
	v_add_u32_e32 v0, 0x100, v0
	global_store_byte v4, v1, s[4:5]
	s_or_b64 exec, exec, s[0:1]
	v_cmp_gt_i32_e32 vcc, s8, v0
	s_and_saveexec_b64 s[0:1], vcc
	s_cbranch_execz .LBB349_46
.LBB349_63:
	v_add_u32_e32 v1, s33, v0
	v_add_u32_e32 v0, 0x100, v0
	global_store_byte_d16_hi v1, v3, s[4:5]
	s_or_b64 exec, exec, s[0:1]
	v_cmp_gt_i32_e32 vcc, s8, v0
	s_and_saveexec_b64 s[0:1], vcc
	s_cbranch_execz .LBB349_47
.LBB349_64:
	v_lshrrev_b32_e32 v1, 24, v3
	v_add_u32_e32 v3, s33, v0
	v_add_u32_e32 v0, 0x100, v0
	global_store_byte v3, v1, s[4:5]
	s_or_b64 exec, exec, s[0:1]
	v_cmp_gt_i32_e32 vcc, s8, v0
	s_and_saveexec_b64 s[0:1], vcc
	s_cbranch_execz .LBB349_48
.LBB349_65:
	v_add_u32_e32 v1, s33, v0
	v_add_u32_e32 v0, 0x100, v0
	global_store_byte v1, v2, s[4:5]
	s_or_b64 exec, exec, s[0:1]
	v_cmp_gt_i32_e32 vcc, s8, v0
	s_and_saveexec_b64 s[0:1], vcc
	s_cbranch_execz .LBB349_49
.LBB349_66:
	v_lshrrev_b32_e32 v1, 8, v2
	v_add_u32_e32 v3, s33, v0
	v_add_u32_e32 v0, 0x100, v0
	global_store_byte v3, v1, s[4:5]
	s_or_b64 exec, exec, s[0:1]
	v_cmp_gt_i32_e32 vcc, s8, v0
	s_and_saveexec_b64 s[0:1], vcc
	s_cbranch_execz .LBB349_50
.LBB349_67:
	v_add_u32_e32 v1, s33, v0
	v_add_u32_e32 v0, 0x100, v0
	global_store_byte_d16_hi v1, v2, s[4:5]
	s_or_b64 exec, exec, s[0:1]
	v_cmp_gt_i32_e32 vcc, s8, v0
	s_and_saveexec_b64 s[0:1], vcc
	s_cbranch_execnz .LBB349_51
	s_branch .LBB349_52
	.section	.rodata,"a",@progbits
	.p2align	6, 0x0
	.amdhsa_kernel _ZN2at6native29vectorized_elementwise_kernelILi2EZZZNS0_21clamp_min_kernel_cudaERNS_18TensorIteratorBaseERKN3c106ScalarEENKUlvE_clEvENKUlvE_clEvEUlhE_St5arrayIPcLm2EEEEviT0_T1_
		.amdhsa_group_segment_fixed_size 0
		.amdhsa_private_segment_fixed_size 0
		.amdhsa_kernarg_size 24
		.amdhsa_user_sgpr_count 2
		.amdhsa_user_sgpr_dispatch_ptr 0
		.amdhsa_user_sgpr_queue_ptr 0
		.amdhsa_user_sgpr_kernarg_segment_ptr 1
		.amdhsa_user_sgpr_dispatch_id 0
		.amdhsa_user_sgpr_kernarg_preload_length 0
		.amdhsa_user_sgpr_kernarg_preload_offset 0
		.amdhsa_user_sgpr_private_segment_size 0
		.amdhsa_uses_dynamic_stack 0
		.amdhsa_enable_private_segment 0
		.amdhsa_system_sgpr_workgroup_id_x 1
		.amdhsa_system_sgpr_workgroup_id_y 0
		.amdhsa_system_sgpr_workgroup_id_z 0
		.amdhsa_system_sgpr_workgroup_info 0
		.amdhsa_system_vgpr_workitem_id 0
		.amdhsa_next_free_vgpr 21
		.amdhsa_next_free_sgpr 40
		.amdhsa_accum_offset 24
		.amdhsa_reserve_vcc 1
		.amdhsa_float_round_mode_32 0
		.amdhsa_float_round_mode_16_64 0
		.amdhsa_float_denorm_mode_32 3
		.amdhsa_float_denorm_mode_16_64 3
		.amdhsa_dx10_clamp 1
		.amdhsa_ieee_mode 1
		.amdhsa_fp16_overflow 0
		.amdhsa_tg_split 0
		.amdhsa_exception_fp_ieee_invalid_op 0
		.amdhsa_exception_fp_denorm_src 0
		.amdhsa_exception_fp_ieee_div_zero 0
		.amdhsa_exception_fp_ieee_overflow 0
		.amdhsa_exception_fp_ieee_underflow 0
		.amdhsa_exception_fp_ieee_inexact 0
		.amdhsa_exception_int_div_zero 0
	.end_amdhsa_kernel
	.section	.text._ZN2at6native29vectorized_elementwise_kernelILi2EZZZNS0_21clamp_min_kernel_cudaERNS_18TensorIteratorBaseERKN3c106ScalarEENKUlvE_clEvENKUlvE_clEvEUlhE_St5arrayIPcLm2EEEEviT0_T1_,"axG",@progbits,_ZN2at6native29vectorized_elementwise_kernelILi2EZZZNS0_21clamp_min_kernel_cudaERNS_18TensorIteratorBaseERKN3c106ScalarEENKUlvE_clEvENKUlvE_clEvEUlhE_St5arrayIPcLm2EEEEviT0_T1_,comdat
.Lfunc_end349:
	.size	_ZN2at6native29vectorized_elementwise_kernelILi2EZZZNS0_21clamp_min_kernel_cudaERNS_18TensorIteratorBaseERKN3c106ScalarEENKUlvE_clEvENKUlvE_clEvEUlhE_St5arrayIPcLm2EEEEviT0_T1_, .Lfunc_end349-_ZN2at6native29vectorized_elementwise_kernelILi2EZZZNS0_21clamp_min_kernel_cudaERNS_18TensorIteratorBaseERKN3c106ScalarEENKUlvE_clEvENKUlvE_clEvEUlhE_St5arrayIPcLm2EEEEviT0_T1_
                                        ; -- End function
	.set _ZN2at6native29vectorized_elementwise_kernelILi2EZZZNS0_21clamp_min_kernel_cudaERNS_18TensorIteratorBaseERKN3c106ScalarEENKUlvE_clEvENKUlvE_clEvEUlhE_St5arrayIPcLm2EEEEviT0_T1_.num_vgpr, 21
	.set _ZN2at6native29vectorized_elementwise_kernelILi2EZZZNS0_21clamp_min_kernel_cudaERNS_18TensorIteratorBaseERKN3c106ScalarEENKUlvE_clEvENKUlvE_clEvEUlhE_St5arrayIPcLm2EEEEviT0_T1_.num_agpr, 0
	.set _ZN2at6native29vectorized_elementwise_kernelILi2EZZZNS0_21clamp_min_kernel_cudaERNS_18TensorIteratorBaseERKN3c106ScalarEENKUlvE_clEvENKUlvE_clEvEUlhE_St5arrayIPcLm2EEEEviT0_T1_.numbered_sgpr, 40
	.set _ZN2at6native29vectorized_elementwise_kernelILi2EZZZNS0_21clamp_min_kernel_cudaERNS_18TensorIteratorBaseERKN3c106ScalarEENKUlvE_clEvENKUlvE_clEvEUlhE_St5arrayIPcLm2EEEEviT0_T1_.num_named_barrier, 0
	.set _ZN2at6native29vectorized_elementwise_kernelILi2EZZZNS0_21clamp_min_kernel_cudaERNS_18TensorIteratorBaseERKN3c106ScalarEENKUlvE_clEvENKUlvE_clEvEUlhE_St5arrayIPcLm2EEEEviT0_T1_.private_seg_size, 0
	.set _ZN2at6native29vectorized_elementwise_kernelILi2EZZZNS0_21clamp_min_kernel_cudaERNS_18TensorIteratorBaseERKN3c106ScalarEENKUlvE_clEvENKUlvE_clEvEUlhE_St5arrayIPcLm2EEEEviT0_T1_.uses_vcc, 1
	.set _ZN2at6native29vectorized_elementwise_kernelILi2EZZZNS0_21clamp_min_kernel_cudaERNS_18TensorIteratorBaseERKN3c106ScalarEENKUlvE_clEvENKUlvE_clEvEUlhE_St5arrayIPcLm2EEEEviT0_T1_.uses_flat_scratch, 0
	.set _ZN2at6native29vectorized_elementwise_kernelILi2EZZZNS0_21clamp_min_kernel_cudaERNS_18TensorIteratorBaseERKN3c106ScalarEENKUlvE_clEvENKUlvE_clEvEUlhE_St5arrayIPcLm2EEEEviT0_T1_.has_dyn_sized_stack, 0
	.set _ZN2at6native29vectorized_elementwise_kernelILi2EZZZNS0_21clamp_min_kernel_cudaERNS_18TensorIteratorBaseERKN3c106ScalarEENKUlvE_clEvENKUlvE_clEvEUlhE_St5arrayIPcLm2EEEEviT0_T1_.has_recursion, 0
	.set _ZN2at6native29vectorized_elementwise_kernelILi2EZZZNS0_21clamp_min_kernel_cudaERNS_18TensorIteratorBaseERKN3c106ScalarEENKUlvE_clEvENKUlvE_clEvEUlhE_St5arrayIPcLm2EEEEviT0_T1_.has_indirect_call, 0
	.section	.AMDGPU.csdata,"",@progbits
; Kernel info:
; codeLenInByte = 3152
; TotalNumSgprs: 46
; NumVgprs: 21
; NumAgprs: 0
; TotalNumVgprs: 21
; ScratchSize: 0
; MemoryBound: 0
; FloatMode: 240
; IeeeMode: 1
; LDSByteSize: 0 bytes/workgroup (compile time only)
; SGPRBlocks: 5
; VGPRBlocks: 2
; NumSGPRsForWavesPerEU: 46
; NumVGPRsForWavesPerEU: 21
; AccumOffset: 24
; Occupancy: 8
; WaveLimiterHint : 1
; COMPUTE_PGM_RSRC2:SCRATCH_EN: 0
; COMPUTE_PGM_RSRC2:USER_SGPR: 2
; COMPUTE_PGM_RSRC2:TRAP_HANDLER: 0
; COMPUTE_PGM_RSRC2:TGID_X_EN: 1
; COMPUTE_PGM_RSRC2:TGID_Y_EN: 0
; COMPUTE_PGM_RSRC2:TGID_Z_EN: 0
; COMPUTE_PGM_RSRC2:TIDIG_COMP_CNT: 0
; COMPUTE_PGM_RSRC3_GFX90A:ACCUM_OFFSET: 5
; COMPUTE_PGM_RSRC3_GFX90A:TG_SPLIT: 0
	.section	.text._ZN2at6native27unrolled_elementwise_kernelIZZZNS0_21clamp_min_kernel_cudaERNS_18TensorIteratorBaseERKN3c106ScalarEENKUlvE_clEvENKUlvE_clEvEUlhE_St5arrayIPcLm2EELi4E23TrivialOffsetCalculatorILi1EjESF_NS0_6memory15LoadWithoutCastENSG_16StoreWithoutCastEEEviT_T0_T2_T3_T4_T5_,"axG",@progbits,_ZN2at6native27unrolled_elementwise_kernelIZZZNS0_21clamp_min_kernel_cudaERNS_18TensorIteratorBaseERKN3c106ScalarEENKUlvE_clEvENKUlvE_clEvEUlhE_St5arrayIPcLm2EELi4E23TrivialOffsetCalculatorILi1EjESF_NS0_6memory15LoadWithoutCastENSG_16StoreWithoutCastEEEviT_T0_T2_T3_T4_T5_,comdat
	.globl	_ZN2at6native27unrolled_elementwise_kernelIZZZNS0_21clamp_min_kernel_cudaERNS_18TensorIteratorBaseERKN3c106ScalarEENKUlvE_clEvENKUlvE_clEvEUlhE_St5arrayIPcLm2EELi4E23TrivialOffsetCalculatorILi1EjESF_NS0_6memory15LoadWithoutCastENSG_16StoreWithoutCastEEEviT_T0_T2_T3_T4_T5_ ; -- Begin function _ZN2at6native27unrolled_elementwise_kernelIZZZNS0_21clamp_min_kernel_cudaERNS_18TensorIteratorBaseERKN3c106ScalarEENKUlvE_clEvENKUlvE_clEvEUlhE_St5arrayIPcLm2EELi4E23TrivialOffsetCalculatorILi1EjESF_NS0_6memory15LoadWithoutCastENSG_16StoreWithoutCastEEEviT_T0_T2_T3_T4_T5_
	.p2align	8
	.type	_ZN2at6native27unrolled_elementwise_kernelIZZZNS0_21clamp_min_kernel_cudaERNS_18TensorIteratorBaseERKN3c106ScalarEENKUlvE_clEvENKUlvE_clEvEUlhE_St5arrayIPcLm2EELi4E23TrivialOffsetCalculatorILi1EjESF_NS0_6memory15LoadWithoutCastENSG_16StoreWithoutCastEEEviT_T0_T2_T3_T4_T5_,@function
_ZN2at6native27unrolled_elementwise_kernelIZZZNS0_21clamp_min_kernel_cudaERNS_18TensorIteratorBaseERKN3c106ScalarEENKUlvE_clEvENKUlvE_clEvEUlhE_St5arrayIPcLm2EELi4E23TrivialOffsetCalculatorILi1EjESF_NS0_6memory15LoadWithoutCastENSG_16StoreWithoutCastEEEviT_T0_T2_T3_T4_T5_: ; @_ZN2at6native27unrolled_elementwise_kernelIZZZNS0_21clamp_min_kernel_cudaERNS_18TensorIteratorBaseERKN3c106ScalarEENKUlvE_clEvENKUlvE_clEvEUlhE_St5arrayIPcLm2EELi4E23TrivialOffsetCalculatorILi1EjESF_NS0_6memory15LoadWithoutCastENSG_16StoreWithoutCastEEEviT_T0_T2_T3_T4_T5_
; %bb.0:
	s_load_dwordx2 s[8:9], s[0:1], 0x0
	s_load_dwordx4 s[4:7], s[0:1], 0x8
	s_lshl_b32 s16, s2, 10
	v_or_b32_e32 v1, 0x100, v0
	v_mov_b32_e32 v3, 0
	s_waitcnt lgkmcnt(0)
	s_sub_i32 s8, s8, s16
	v_cmp_gt_i32_e32 vcc, s8, v0
	v_mov_b32_e32 v4, s9
	v_or_b32_e32 v2, s16, v0
	v_mov_b32_e32 v6, 0
	v_mov_b32_e32 v5, 0
	s_and_saveexec_b64 s[2:3], vcc
	s_cbranch_execz .LBB350_8
; %bb.1:
	global_load_ubyte v5, v2, s[6:7]
	v_cmp_gt_u32_e64 s[0:1], s8, v1
	v_mov_b32_e32 v6, 0
	v_mov_b32_e32 v4, s9
	;; [unrolled: 1-line block ×3, first 2 shown]
	s_and_saveexec_b64 s[10:11], s[0:1]
	s_cbranch_execz .LBB350_7
; %bb.2:
	v_add_u32_e32 v3, s16, v1
	global_load_ubyte v6, v3, s[6:7]
	v_or_b32_e32 v7, 0x200, v0
	v_cmp_gt_u32_e64 s[0:1], s8, v7
	v_mov_b32_e32 v3, 0
	v_mov_b32_e32 v4, s9
	s_and_saveexec_b64 s[12:13], s[0:1]
	s_cbranch_execz .LBB350_6
; %bb.3:
	v_add_u32_e32 v3, s16, v7
	global_load_ubyte v3, v3, s[6:7]
	v_or_b32_e32 v7, 0x300, v0
	v_cmp_gt_u32_e64 s[0:1], s8, v7
	v_mov_b32_e32 v4, s9
	s_and_saveexec_b64 s[14:15], s[0:1]
	s_cbranch_execz .LBB350_5
; %bb.4:
	v_add_u32_e32 v4, s16, v7
	global_load_ubyte v4, v4, s[6:7]
	s_and_b32 s0, s9, 0xff
	s_waitcnt vmcnt(0)
	v_max_u16_e32 v4, s0, v4
.LBB350_5:
	s_or_b64 exec, exec, s[14:15]
.LBB350_6:
	s_or_b64 exec, exec, s[12:13]
.LBB350_7:
	s_or_b64 exec, exec, s[10:11]
.LBB350_8:
	s_or_b64 exec, exec, s[2:3]
	s_and_b32 s2, s9, 0xff
	s_waitcnt vmcnt(0)
	v_max_u16_sdwa v5, v5, s2 dst_sel:DWORD dst_unused:UNUSED_PAD src0_sel:BYTE_0 src1_sel:DWORD
	v_cndmask_b32_e32 v5, 0, v5, vcc
	v_max_u16_sdwa v6, v6, s2 dst_sel:BYTE_1 dst_unused:UNUSED_PAD src0_sel:BYTE_0 src1_sel:DWORD
	v_cmp_gt_i32_e64 s[0:1], s8, v1
	v_or_b32_e32 v6, v5, v6
	v_and_b32_e32 v6, 0xffff, v6
	v_cndmask_b32_e64 v5, v5, v6, s[0:1]
	v_or_b32_e32 v6, 0x200, v0
	v_max_u16_sdwa v3, v3, s2 dst_sel:WORD_1 dst_unused:UNUSED_PAD src0_sel:BYTE_0 src1_sel:DWORD
	v_cmp_gt_i32_e64 s[0:1], s8, v6
	v_or_b32_e32 v3, v5, v3
	s_mov_b32 s3, 0xffff
	v_cndmask_b32_e64 v3, v5, v3, s[0:1]
	s_mov_b32 s0, 0xc0c0006
	v_perm_b32 v4, v3, v4, s0
	v_or_b32_e32 v5, 0x300, v0
	v_lshlrev_b32_e32 v4, 16, v4
	v_and_or_b32 v4, v3, s3, v4
	v_cmp_gt_i32_e64 s[0:1], s8, v5
	s_nop 1
	v_cndmask_b32_e64 v3, v3, v4, s[0:1]
	s_and_saveexec_b64 s[0:1], vcc
	s_cbranch_execnz .LBB350_13
; %bb.9:
	s_or_b64 exec, exec, s[0:1]
	v_cmp_gt_i32_e32 vcc, s8, v0
	s_and_saveexec_b64 s[0:1], vcc
	s_cbranch_execnz .LBB350_14
.LBB350_10:
	s_or_b64 exec, exec, s[0:1]
	v_cmp_gt_i32_e32 vcc, s8, v0
	s_and_saveexec_b64 s[0:1], vcc
	s_cbranch_execnz .LBB350_15
.LBB350_11:
	s_or_b64 exec, exec, s[0:1]
	v_cmp_gt_i32_e32 vcc, s8, v0
	s_and_saveexec_b64 s[0:1], vcc
	s_cbranch_execnz .LBB350_16
.LBB350_12:
	s_endpgm
.LBB350_13:
	v_mov_b32_e32 v0, v1
	global_store_byte v2, v3, s[4:5]
	s_or_b64 exec, exec, s[0:1]
	v_cmp_gt_i32_e32 vcc, s8, v0
	s_and_saveexec_b64 s[0:1], vcc
	s_cbranch_execz .LBB350_10
.LBB350_14:
	v_add_u32_e32 v1, 0x100, v0
	v_add_u32_e32 v0, s16, v0
	v_lshrrev_b32_e32 v2, 8, v3
	global_store_byte v0, v2, s[4:5]
	v_mov_b32_e32 v0, v1
	s_or_b64 exec, exec, s[0:1]
	v_cmp_gt_i32_e32 vcc, s8, v0
	s_and_saveexec_b64 s[0:1], vcc
	s_cbranch_execz .LBB350_11
.LBB350_15:
	v_add_u32_e32 v1, 0x100, v0
	v_add_u32_e32 v0, s16, v0
	global_store_byte_d16_hi v0, v3, s[4:5]
	v_mov_b32_e32 v0, v1
	s_or_b64 exec, exec, s[0:1]
	v_cmp_gt_i32_e32 vcc, s8, v0
	s_and_saveexec_b64 s[0:1], vcc
	s_cbranch_execz .LBB350_12
.LBB350_16:
	v_add_u32_e32 v0, s16, v0
	v_lshrrev_b32_e32 v1, 24, v3
	global_store_byte v0, v1, s[4:5]
	s_endpgm
	.section	.rodata,"a",@progbits
	.p2align	6, 0x0
	.amdhsa_kernel _ZN2at6native27unrolled_elementwise_kernelIZZZNS0_21clamp_min_kernel_cudaERNS_18TensorIteratorBaseERKN3c106ScalarEENKUlvE_clEvENKUlvE_clEvEUlhE_St5arrayIPcLm2EELi4E23TrivialOffsetCalculatorILi1EjESF_NS0_6memory15LoadWithoutCastENSG_16StoreWithoutCastEEEviT_T0_T2_T3_T4_T5_
		.amdhsa_group_segment_fixed_size 0
		.amdhsa_private_segment_fixed_size 0
		.amdhsa_kernarg_size 28
		.amdhsa_user_sgpr_count 2
		.amdhsa_user_sgpr_dispatch_ptr 0
		.amdhsa_user_sgpr_queue_ptr 0
		.amdhsa_user_sgpr_kernarg_segment_ptr 1
		.amdhsa_user_sgpr_dispatch_id 0
		.amdhsa_user_sgpr_kernarg_preload_length 0
		.amdhsa_user_sgpr_kernarg_preload_offset 0
		.amdhsa_user_sgpr_private_segment_size 0
		.amdhsa_uses_dynamic_stack 0
		.amdhsa_enable_private_segment 0
		.amdhsa_system_sgpr_workgroup_id_x 1
		.amdhsa_system_sgpr_workgroup_id_y 0
		.amdhsa_system_sgpr_workgroup_id_z 0
		.amdhsa_system_sgpr_workgroup_info 0
		.amdhsa_system_vgpr_workitem_id 0
		.amdhsa_next_free_vgpr 8
		.amdhsa_next_free_sgpr 17
		.amdhsa_accum_offset 8
		.amdhsa_reserve_vcc 1
		.amdhsa_float_round_mode_32 0
		.amdhsa_float_round_mode_16_64 0
		.amdhsa_float_denorm_mode_32 3
		.amdhsa_float_denorm_mode_16_64 3
		.amdhsa_dx10_clamp 1
		.amdhsa_ieee_mode 1
		.amdhsa_fp16_overflow 0
		.amdhsa_tg_split 0
		.amdhsa_exception_fp_ieee_invalid_op 0
		.amdhsa_exception_fp_denorm_src 0
		.amdhsa_exception_fp_ieee_div_zero 0
		.amdhsa_exception_fp_ieee_overflow 0
		.amdhsa_exception_fp_ieee_underflow 0
		.amdhsa_exception_fp_ieee_inexact 0
		.amdhsa_exception_int_div_zero 0
	.end_amdhsa_kernel
	.section	.text._ZN2at6native27unrolled_elementwise_kernelIZZZNS0_21clamp_min_kernel_cudaERNS_18TensorIteratorBaseERKN3c106ScalarEENKUlvE_clEvENKUlvE_clEvEUlhE_St5arrayIPcLm2EELi4E23TrivialOffsetCalculatorILi1EjESF_NS0_6memory15LoadWithoutCastENSG_16StoreWithoutCastEEEviT_T0_T2_T3_T4_T5_,"axG",@progbits,_ZN2at6native27unrolled_elementwise_kernelIZZZNS0_21clamp_min_kernel_cudaERNS_18TensorIteratorBaseERKN3c106ScalarEENKUlvE_clEvENKUlvE_clEvEUlhE_St5arrayIPcLm2EELi4E23TrivialOffsetCalculatorILi1EjESF_NS0_6memory15LoadWithoutCastENSG_16StoreWithoutCastEEEviT_T0_T2_T3_T4_T5_,comdat
.Lfunc_end350:
	.size	_ZN2at6native27unrolled_elementwise_kernelIZZZNS0_21clamp_min_kernel_cudaERNS_18TensorIteratorBaseERKN3c106ScalarEENKUlvE_clEvENKUlvE_clEvEUlhE_St5arrayIPcLm2EELi4E23TrivialOffsetCalculatorILi1EjESF_NS0_6memory15LoadWithoutCastENSG_16StoreWithoutCastEEEviT_T0_T2_T3_T4_T5_, .Lfunc_end350-_ZN2at6native27unrolled_elementwise_kernelIZZZNS0_21clamp_min_kernel_cudaERNS_18TensorIteratorBaseERKN3c106ScalarEENKUlvE_clEvENKUlvE_clEvEUlhE_St5arrayIPcLm2EELi4E23TrivialOffsetCalculatorILi1EjESF_NS0_6memory15LoadWithoutCastENSG_16StoreWithoutCastEEEviT_T0_T2_T3_T4_T5_
                                        ; -- End function
	.set _ZN2at6native27unrolled_elementwise_kernelIZZZNS0_21clamp_min_kernel_cudaERNS_18TensorIteratorBaseERKN3c106ScalarEENKUlvE_clEvENKUlvE_clEvEUlhE_St5arrayIPcLm2EELi4E23TrivialOffsetCalculatorILi1EjESF_NS0_6memory15LoadWithoutCastENSG_16StoreWithoutCastEEEviT_T0_T2_T3_T4_T5_.num_vgpr, 8
	.set _ZN2at6native27unrolled_elementwise_kernelIZZZNS0_21clamp_min_kernel_cudaERNS_18TensorIteratorBaseERKN3c106ScalarEENKUlvE_clEvENKUlvE_clEvEUlhE_St5arrayIPcLm2EELi4E23TrivialOffsetCalculatorILi1EjESF_NS0_6memory15LoadWithoutCastENSG_16StoreWithoutCastEEEviT_T0_T2_T3_T4_T5_.num_agpr, 0
	.set _ZN2at6native27unrolled_elementwise_kernelIZZZNS0_21clamp_min_kernel_cudaERNS_18TensorIteratorBaseERKN3c106ScalarEENKUlvE_clEvENKUlvE_clEvEUlhE_St5arrayIPcLm2EELi4E23TrivialOffsetCalculatorILi1EjESF_NS0_6memory15LoadWithoutCastENSG_16StoreWithoutCastEEEviT_T0_T2_T3_T4_T5_.numbered_sgpr, 17
	.set _ZN2at6native27unrolled_elementwise_kernelIZZZNS0_21clamp_min_kernel_cudaERNS_18TensorIteratorBaseERKN3c106ScalarEENKUlvE_clEvENKUlvE_clEvEUlhE_St5arrayIPcLm2EELi4E23TrivialOffsetCalculatorILi1EjESF_NS0_6memory15LoadWithoutCastENSG_16StoreWithoutCastEEEviT_T0_T2_T3_T4_T5_.num_named_barrier, 0
	.set _ZN2at6native27unrolled_elementwise_kernelIZZZNS0_21clamp_min_kernel_cudaERNS_18TensorIteratorBaseERKN3c106ScalarEENKUlvE_clEvENKUlvE_clEvEUlhE_St5arrayIPcLm2EELi4E23TrivialOffsetCalculatorILi1EjESF_NS0_6memory15LoadWithoutCastENSG_16StoreWithoutCastEEEviT_T0_T2_T3_T4_T5_.private_seg_size, 0
	.set _ZN2at6native27unrolled_elementwise_kernelIZZZNS0_21clamp_min_kernel_cudaERNS_18TensorIteratorBaseERKN3c106ScalarEENKUlvE_clEvENKUlvE_clEvEUlhE_St5arrayIPcLm2EELi4E23TrivialOffsetCalculatorILi1EjESF_NS0_6memory15LoadWithoutCastENSG_16StoreWithoutCastEEEviT_T0_T2_T3_T4_T5_.uses_vcc, 1
	.set _ZN2at6native27unrolled_elementwise_kernelIZZZNS0_21clamp_min_kernel_cudaERNS_18TensorIteratorBaseERKN3c106ScalarEENKUlvE_clEvENKUlvE_clEvEUlhE_St5arrayIPcLm2EELi4E23TrivialOffsetCalculatorILi1EjESF_NS0_6memory15LoadWithoutCastENSG_16StoreWithoutCastEEEviT_T0_T2_T3_T4_T5_.uses_flat_scratch, 0
	.set _ZN2at6native27unrolled_elementwise_kernelIZZZNS0_21clamp_min_kernel_cudaERNS_18TensorIteratorBaseERKN3c106ScalarEENKUlvE_clEvENKUlvE_clEvEUlhE_St5arrayIPcLm2EELi4E23TrivialOffsetCalculatorILi1EjESF_NS0_6memory15LoadWithoutCastENSG_16StoreWithoutCastEEEviT_T0_T2_T3_T4_T5_.has_dyn_sized_stack, 0
	.set _ZN2at6native27unrolled_elementwise_kernelIZZZNS0_21clamp_min_kernel_cudaERNS_18TensorIteratorBaseERKN3c106ScalarEENKUlvE_clEvENKUlvE_clEvEUlhE_St5arrayIPcLm2EELi4E23TrivialOffsetCalculatorILi1EjESF_NS0_6memory15LoadWithoutCastENSG_16StoreWithoutCastEEEviT_T0_T2_T3_T4_T5_.has_recursion, 0
	.set _ZN2at6native27unrolled_elementwise_kernelIZZZNS0_21clamp_min_kernel_cudaERNS_18TensorIteratorBaseERKN3c106ScalarEENKUlvE_clEvENKUlvE_clEvEUlhE_St5arrayIPcLm2EELi4E23TrivialOffsetCalculatorILi1EjESF_NS0_6memory15LoadWithoutCastENSG_16StoreWithoutCastEEEviT_T0_T2_T3_T4_T5_.has_indirect_call, 0
	.section	.AMDGPU.csdata,"",@progbits
; Kernel info:
; codeLenInByte = 584
; TotalNumSgprs: 23
; NumVgprs: 8
; NumAgprs: 0
; TotalNumVgprs: 8
; ScratchSize: 0
; MemoryBound: 0
; FloatMode: 240
; IeeeMode: 1
; LDSByteSize: 0 bytes/workgroup (compile time only)
; SGPRBlocks: 2
; VGPRBlocks: 0
; NumSGPRsForWavesPerEU: 23
; NumVGPRsForWavesPerEU: 8
; AccumOffset: 8
; Occupancy: 8
; WaveLimiterHint : 0
; COMPUTE_PGM_RSRC2:SCRATCH_EN: 0
; COMPUTE_PGM_RSRC2:USER_SGPR: 2
; COMPUTE_PGM_RSRC2:TRAP_HANDLER: 0
; COMPUTE_PGM_RSRC2:TGID_X_EN: 1
; COMPUTE_PGM_RSRC2:TGID_Y_EN: 0
; COMPUTE_PGM_RSRC2:TGID_Z_EN: 0
; COMPUTE_PGM_RSRC2:TIDIG_COMP_CNT: 0
; COMPUTE_PGM_RSRC3_GFX90A:ACCUM_OFFSET: 1
; COMPUTE_PGM_RSRC3_GFX90A:TG_SPLIT: 0
	.section	.text._ZN2at6native32elementwise_kernel_manual_unrollILi128ELi8EZNS0_22gpu_kernel_impl_nocastIZZZNS0_21clamp_min_kernel_cudaERNS_18TensorIteratorBaseERKN3c106ScalarEENKUlvE_clEvENKUlvE_clEvEUlhE_EEvS4_RKT_EUlibE_EEviT1_,"axG",@progbits,_ZN2at6native32elementwise_kernel_manual_unrollILi128ELi8EZNS0_22gpu_kernel_impl_nocastIZZZNS0_21clamp_min_kernel_cudaERNS_18TensorIteratorBaseERKN3c106ScalarEENKUlvE_clEvENKUlvE_clEvEUlhE_EEvS4_RKT_EUlibE_EEviT1_,comdat
	.globl	_ZN2at6native32elementwise_kernel_manual_unrollILi128ELi8EZNS0_22gpu_kernel_impl_nocastIZZZNS0_21clamp_min_kernel_cudaERNS_18TensorIteratorBaseERKN3c106ScalarEENKUlvE_clEvENKUlvE_clEvEUlhE_EEvS4_RKT_EUlibE_EEviT1_ ; -- Begin function _ZN2at6native32elementwise_kernel_manual_unrollILi128ELi8EZNS0_22gpu_kernel_impl_nocastIZZZNS0_21clamp_min_kernel_cudaERNS_18TensorIteratorBaseERKN3c106ScalarEENKUlvE_clEvENKUlvE_clEvEUlhE_EEvS4_RKT_EUlibE_EEviT1_
	.p2align	8
	.type	_ZN2at6native32elementwise_kernel_manual_unrollILi128ELi8EZNS0_22gpu_kernel_impl_nocastIZZZNS0_21clamp_min_kernel_cudaERNS_18TensorIteratorBaseERKN3c106ScalarEENKUlvE_clEvENKUlvE_clEvEUlhE_EEvS4_RKT_EUlibE_EEviT1_,@function
_ZN2at6native32elementwise_kernel_manual_unrollILi128ELi8EZNS0_22gpu_kernel_impl_nocastIZZZNS0_21clamp_min_kernel_cudaERNS_18TensorIteratorBaseERKN3c106ScalarEENKUlvE_clEvENKUlvE_clEvEUlhE_EEvS4_RKT_EUlibE_EEviT1_: ; @_ZN2at6native32elementwise_kernel_manual_unrollILi128ELi8EZNS0_22gpu_kernel_impl_nocastIZZZNS0_21clamp_min_kernel_cudaERNS_18TensorIteratorBaseERKN3c106ScalarEENKUlvE_clEvENKUlvE_clEvEUlhE_EEvS4_RKT_EUlibE_EEviT1_
; %bb.0:
	s_load_dword s56, s[0:1], 0x0
	s_load_dword s33, s[0:1], 0x8
	s_add_u32 s34, s0, 8
	s_addc_u32 s35, s1, 0
	v_lshl_or_b32 v24, s2, 10, v0
	v_or_b32_e32 v32, 0x380, v24
	s_waitcnt lgkmcnt(0)
	s_add_i32 s54, s33, -1
	s_cmp_gt_u32 s54, 1
	v_cmp_le_i32_e32 vcc, s56, v32
	s_cselect_b64 s[36:37], -1, 0
	s_and_saveexec_b64 s[0:1], vcc
	s_xor_b64 s[38:39], exec, s[0:1]
	s_cbranch_execz .LBB351_8
; %bb.1:
	s_load_dwordx4 s[24:27], s[34:35], 0x4
	s_load_dwordx2 s[40:41], s[34:35], 0x14
	s_load_dwordx4 s[20:23], s[34:35], 0xc4
	s_load_dwordx4 s[16:19], s[34:35], 0x148
	s_load_dword s55, s[34:35], 0x158
	s_cmp_lg_u32 s33, 0
	s_cselect_b64 s[46:47], -1, 0
	s_add_u32 s44, s34, 0xc4
	s_addc_u32 s45, s35, 0
	s_min_u32 s57, s54, 15
	s_cmp_gt_u32 s33, 1
	s_cselect_b64 s[42:43], -1, 0
	v_cmp_gt_i32_e32 vcc, s56, v24
	s_and_saveexec_b64 s[48:49], vcc
	s_cbranch_execz .LBB351_15
; %bb.2:
	s_andn2_b64 vcc, exec, s[36:37]
	s_cbranch_vccnz .LBB351_23
; %bb.3:
	s_andn2_b64 vcc, exec, s[46:47]
	s_cbranch_vccnz .LBB351_131
; %bb.4:
	s_add_i32 s59, s57, 1
	s_cmp_eq_u32 s54, 2
	s_cbranch_scc1 .LBB351_133
; %bb.5:
	s_and_b32 s58, s59, 28
	s_mov_b32 s60, 0
	v_mov_b32_e32 v0, 0
	v_mov_b32_e32 v2, 0
	s_mov_b64 s[50:51], s[34:35]
	s_mov_b64 s[52:53], s[44:45]
	v_mov_b32_e32 v4, v24
.LBB351_6:                              ; =>This Inner Loop Header: Depth=1
	s_load_dwordx8 s[8:15], s[50:51], 0x4
	s_load_dwordx4 s[28:31], s[50:51], 0x24
	s_load_dwordx8 s[0:7], s[52:53], 0x0
	s_add_u32 s50, s50, 48
	s_addc_u32 s51, s51, 0
	s_waitcnt lgkmcnt(0)
	v_mul_hi_u32 v1, s9, v4
	v_add_u32_e32 v1, v4, v1
	v_lshrrev_b32_e32 v1, s10, v1
	v_mul_lo_u32 v3, v1, s8
	v_mul_hi_u32 v5, s12, v1
	v_sub_u32_e32 v3, v4, v3
	v_add_u32_e32 v4, v1, v5
	v_lshrrev_b32_e32 v4, s13, v4
	v_mul_lo_u32 v6, v4, s11
	v_mul_hi_u32 v7, s15, v4
	v_sub_u32_e32 v1, v1, v6
	v_add_u32_e32 v6, v4, v7
	v_mul_lo_u32 v5, v3, s1
	v_mul_lo_u32 v3, v3, s0
	;; [unrolled: 1-line block ×4, first 2 shown]
	v_lshrrev_b32_e32 v6, s28, v6
	v_add3_u32 v0, v3, v0, v1
	v_mul_hi_u32 v3, s30, v6
	v_add3_u32 v1, v5, v2, v7
	v_mul_lo_u32 v2, v6, s14
	v_add_u32_e32 v3, v6, v3
	v_sub_u32_e32 v2, v4, v2
	v_lshrrev_b32_e32 v4, s31, v3
	s_add_i32 s60, s60, 4
	v_mul_lo_u32 v3, v4, s29
	s_add_u32 s52, s52, 32
	v_sub_u32_e32 v3, v6, v3
	s_addc_u32 s53, s53, 0
	v_mul_lo_u32 v5, v2, s4
	v_mul_lo_u32 v2, v2, s5
	;; [unrolled: 1-line block ×4, first 2 shown]
	s_cmp_lg_u32 s58, s60
	v_add3_u32 v2, v2, v1, v3
	v_add3_u32 v0, v5, v0, v6
	s_cbranch_scc1 .LBB351_6
; %bb.7:
	v_mov_b32_e32 v1, v2
	s_branch .LBB351_134
.LBB351_8:
	s_andn2_saveexec_b64 s[0:1], s[38:39]
	s_cbranch_execz .LBB351_228
.LBB351_9:
	v_cndmask_b32_e64 v0, 0, 1, s[36:37]
	v_cmp_ne_u32_e64 s[0:1], 1, v0
	s_andn2_b64 vcc, exec, s[36:37]
	s_cbranch_vccnz .LBB351_22
; %bb.10:
	s_cmp_lg_u32 s33, 0
	s_waitcnt lgkmcnt(0)
	s_mov_b32 s26, 0
	s_cbranch_scc0 .LBB351_25
; %bb.11:
	s_min_u32 s27, s54, 15
	s_add_i32 s27, s27, 1
	s_cmp_eq_u32 s54, 2
	s_cbranch_scc1 .LBB351_26
; %bb.12:
	s_and_b32 s26, s27, 28
	s_add_u32 s2, s34, 0xc4
	s_addc_u32 s3, s35, 0
	s_mov_b32 s28, 0
	v_mov_b32_e32 v0, 0
	v_mov_b32_e32 v2, 0
	s_mov_b64 s[24:25], s[34:35]
	v_mov_b32_e32 v4, v24
.LBB351_13:                             ; =>This Inner Loop Header: Depth=1
	s_load_dwordx8 s[12:19], s[24:25], 0x4
	s_load_dwordx4 s[20:23], s[24:25], 0x24
	s_load_dwordx8 s[4:11], s[2:3], 0x0
	s_add_u32 s24, s24, 48
	s_addc_u32 s25, s25, 0
	s_waitcnt lgkmcnt(0)
	v_mul_hi_u32 v1, s13, v4
	v_add_u32_e32 v1, v4, v1
	v_lshrrev_b32_e32 v1, s14, v1
	v_mul_lo_u32 v3, v1, s12
	v_mul_hi_u32 v5, s16, v1
	v_sub_u32_e32 v3, v4, v3
	v_add_u32_e32 v4, v1, v5
	v_lshrrev_b32_e32 v4, s17, v4
	v_mul_lo_u32 v6, v4, s15
	v_mul_hi_u32 v7, s19, v4
	v_sub_u32_e32 v1, v1, v6
	v_add_u32_e32 v6, v4, v7
	v_mul_lo_u32 v5, v3, s5
	v_mul_lo_u32 v3, v3, s4
	v_mul_lo_u32 v7, v1, s7
	v_mul_lo_u32 v1, v1, s6
	v_lshrrev_b32_e32 v6, s20, v6
	v_add3_u32 v0, v3, v0, v1
	v_mul_hi_u32 v3, s22, v6
	v_add3_u32 v1, v5, v2, v7
	v_mul_lo_u32 v2, v6, s18
	v_add_u32_e32 v3, v6, v3
	v_sub_u32_e32 v2, v4, v2
	v_lshrrev_b32_e32 v4, s23, v3
	s_add_i32 s28, s28, 4
	v_mul_lo_u32 v3, v4, s21
	s_add_u32 s2, s2, 32
	v_sub_u32_e32 v3, v6, v3
	s_addc_u32 s3, s3, 0
	v_mul_lo_u32 v5, v2, s8
	v_mul_lo_u32 v2, v2, s9
	;; [unrolled: 1-line block ×4, first 2 shown]
	s_cmp_lg_u32 s26, s28
	v_add3_u32 v2, v2, v1, v3
	v_add3_u32 v0, v5, v0, v6
	s_cbranch_scc1 .LBB351_13
; %bb.14:
	v_mov_b32_e32 v1, v2
	s_and_b32 s6, s27, 3
	s_cmp_eq_u32 s6, 0
	s_cbranch_scc0 .LBB351_27
	s_branch .LBB351_29
.LBB351_15:
	s_or_b64 exec, exec, s[48:49]
	v_cmp_gt_i32_e32 vcc, s56, v24
	s_and_saveexec_b64 s[48:49], vcc
	s_cbranch_execz .LBB351_141
.LBB351_16:
	s_andn2_b64 vcc, exec, s[36:37]
	s_cbranch_vccnz .LBB351_24
; %bb.17:
	s_andn2_b64 vcc, exec, s[46:47]
	s_cbranch_vccnz .LBB351_132
; %bb.18:
	s_add_i32 s59, s57, 1
	s_cmp_eq_u32 s54, 2
	s_cbranch_scc1 .LBB351_150
; %bb.19:
	s_and_b32 s58, s59, 28
	s_mov_b32 s60, 0
	v_mov_b32_e32 v0, 0
	v_mov_b32_e32 v2, 0
	s_mov_b64 s[50:51], s[34:35]
	s_mov_b64 s[52:53], s[44:45]
	v_mov_b32_e32 v4, v24
.LBB351_20:                             ; =>This Inner Loop Header: Depth=1
	s_load_dwordx8 s[8:15], s[50:51], 0x4
	s_load_dwordx4 s[28:31], s[50:51], 0x24
	s_load_dwordx8 s[0:7], s[52:53], 0x0
	s_add_u32 s50, s50, 48
	s_addc_u32 s51, s51, 0
	s_waitcnt lgkmcnt(0)
	v_mul_hi_u32 v1, s9, v4
	v_add_u32_e32 v1, v4, v1
	v_lshrrev_b32_e32 v1, s10, v1
	v_mul_lo_u32 v3, v1, s8
	v_mul_hi_u32 v5, s12, v1
	v_sub_u32_e32 v3, v4, v3
	v_add_u32_e32 v4, v1, v5
	v_lshrrev_b32_e32 v4, s13, v4
	v_mul_lo_u32 v6, v4, s11
	v_mul_hi_u32 v7, s15, v4
	v_sub_u32_e32 v1, v1, v6
	v_add_u32_e32 v6, v4, v7
	v_mul_lo_u32 v5, v3, s1
	v_mul_lo_u32 v3, v3, s0
	;; [unrolled: 1-line block ×4, first 2 shown]
	v_lshrrev_b32_e32 v6, s28, v6
	v_add3_u32 v0, v3, v0, v1
	v_mul_hi_u32 v3, s30, v6
	v_add3_u32 v1, v5, v2, v7
	v_mul_lo_u32 v2, v6, s14
	v_add_u32_e32 v3, v6, v3
	v_sub_u32_e32 v2, v4, v2
	v_lshrrev_b32_e32 v4, s31, v3
	s_add_i32 s60, s60, 4
	v_mul_lo_u32 v3, v4, s29
	s_add_u32 s52, s52, 32
	v_sub_u32_e32 v3, v6, v3
	s_addc_u32 s53, s53, 0
	v_mul_lo_u32 v5, v2, s4
	v_mul_lo_u32 v2, v2, s5
	;; [unrolled: 1-line block ×4, first 2 shown]
	s_cmp_eq_u32 s58, s60
	v_add3_u32 v2, v2, v1, v3
	v_add3_u32 v0, v5, v0, v6
	s_cbranch_scc0 .LBB351_20
; %bb.21:
	v_mov_b32_e32 v1, v2
	s_branch .LBB351_151
.LBB351_22:
                                        ; implicit-def: $vgpr2
                                        ; implicit-def: $vgpr0
	s_branch .LBB351_30
.LBB351_23:
                                        ; implicit-def: $vgpr2
                                        ; implicit-def: $vgpr0
	s_branch .LBB351_138
.LBB351_24:
                                        ; implicit-def: $vgpr2
                                        ; implicit-def: $vgpr0
	s_branch .LBB351_155
.LBB351_25:
	v_mov_b32_e32 v2, 0
	v_mov_b32_e32 v0, 0
	s_branch .LBB351_29
.LBB351_26:
	v_mov_b32_e32 v0, 0
                                        ; implicit-def: $vgpr2
	v_mov_b32_e32 v1, v0
	v_mov_b32_e32 v4, v24
	s_and_b32 s6, s27, 3
	s_cmp_eq_u32 s6, 0
	s_cbranch_scc1 .LBB351_29
.LBB351_27:
	s_lshl_b32 s2, s26, 3
	s_add_u32 s2, s34, s2
	s_addc_u32 s3, s35, 0
	s_add_u32 s2, s2, 0xc4
	s_addc_u32 s3, s3, 0
	s_mul_i32 s4, s26, 12
	s_add_u32 s4, s34, s4
	s_addc_u32 s5, s35, 0
.LBB351_28:                             ; =>This Inner Loop Header: Depth=1
	s_load_dwordx2 s[8:9], s[4:5], 0x4
	s_load_dword s7, s[4:5], 0xc
	s_load_dwordx2 s[10:11], s[2:3], 0x0
	v_mov_b32_e32 v2, v1
	s_add_u32 s4, s4, 12
	s_waitcnt lgkmcnt(0)
	v_mul_hi_u32 v1, s9, v4
	v_add_u32_e32 v1, v4, v1
	v_lshrrev_b32_e32 v1, s7, v1
	s_addc_u32 s5, s5, 0
	v_mul_lo_u32 v3, v1, s8
	s_add_u32 s2, s2, 8
	v_sub_u32_e32 v5, v4, v3
	s_addc_u32 s3, s3, 0
	s_add_i32 s6, s6, -1
	v_mov_b32_e32 v4, v1
	v_mad_u64_u32 v[2:3], s[8:9], v5, s11, v[2:3]
	v_mad_u64_u32 v[0:1], s[8:9], v5, s10, v[0:1]
	s_cmp_lg_u32 s6, 0
	v_mov_b32_e32 v1, v2
	s_cbranch_scc1 .LBB351_28
.LBB351_29:
	s_cbranch_execnz .LBB351_32
.LBB351_30:
	s_load_dwordx4 s[4:7], s[34:35], 0x4
	s_load_dwordx2 s[2:3], s[34:35], 0xc4
	s_cmp_lt_u32 s33, 2
	s_waitcnt lgkmcnt(0)
	v_mul_hi_u32 v0, s5, v24
	v_add_u32_e32 v0, v24, v0
	v_lshrrev_b32_e32 v1, s6, v0
	v_mul_lo_u32 v0, v1, s4
	v_sub_u32_e32 v0, v24, v0
	v_mul_lo_u32 v2, v0, s3
	v_mul_lo_u32 v0, v0, s2
	s_cbranch_scc1 .LBB351_32
; %bb.31:
	s_load_dwordx4 s[4:7], s[34:35], 0x10
	s_load_dwordx2 s[2:3], s[34:35], 0xcc
	s_waitcnt lgkmcnt(0)
	v_mul_hi_u32 v3, s5, v1
	v_add_u32_e32 v3, v1, v3
	v_lshrrev_b32_e32 v3, s6, v3
	v_mul_lo_u32 v3, v3, s4
	v_sub_u32_e32 v3, v1, v3
	v_mad_u64_u32 v[0:1], s[4:5], v3, s2, v[0:1]
	v_mad_u64_u32 v[2:3], s[2:3], v3, s3, v[2:3]
.LBB351_32:
	s_and_b64 vcc, exec, s[0:1]
	v_add_u32_e32 v3, 0x80, v24
	s_cbranch_vccnz .LBB351_38
; %bb.33:
	s_cmp_lg_u32 s33, 0
	s_waitcnt lgkmcnt(0)
	s_mov_b32 s26, 0
	s_cbranch_scc0 .LBB351_39
; %bb.34:
	s_min_u32 s27, s54, 15
	s_add_i32 s27, s27, 1
	s_cmp_eq_u32 s54, 2
	s_cbranch_scc1 .LBB351_40
; %bb.35:
	s_and_b32 s26, s27, 28
	s_add_u32 s2, s34, 0xc4
	s_addc_u32 s3, s35, 0
	s_mov_b32 s28, 0
	v_mov_b32_e32 v4, 0
	v_mov_b32_e32 v6, 0
	s_mov_b64 s[24:25], s[34:35]
	v_mov_b32_e32 v8, v3
.LBB351_36:                             ; =>This Inner Loop Header: Depth=1
	s_load_dwordx8 s[12:19], s[24:25], 0x4
	s_load_dwordx4 s[20:23], s[24:25], 0x24
	s_load_dwordx8 s[4:11], s[2:3], 0x0
	s_add_u32 s24, s24, 48
	s_addc_u32 s25, s25, 0
	s_waitcnt lgkmcnt(0)
	v_mul_hi_u32 v1, s13, v8
	v_add_u32_e32 v1, v8, v1
	v_lshrrev_b32_e32 v1, s14, v1
	v_mul_hi_u32 v7, s16, v1
	v_add_u32_e32 v7, v1, v7
	v_lshrrev_b32_e32 v7, s17, v7
	v_mul_lo_u32 v5, v1, s12
	v_mul_lo_u32 v9, v7, s15
	v_mul_hi_u32 v10, s19, v7
	v_sub_u32_e32 v5, v8, v5
	v_sub_u32_e32 v1, v1, v9
	v_add_u32_e32 v9, v7, v10
	v_mul_lo_u32 v8, v5, s5
	v_mul_lo_u32 v5, v5, s4
	;; [unrolled: 1-line block ×4, first 2 shown]
	v_lshrrev_b32_e32 v9, s20, v9
	v_add3_u32 v1, v5, v4, v1
	v_add3_u32 v4, v8, v6, v10
	v_mul_hi_u32 v6, s22, v9
	v_add_u32_e32 v6, v9, v6
	v_lshrrev_b32_e32 v8, s23, v6
	s_add_i32 s28, s28, 4
	v_mul_lo_u32 v5, v9, s18
	v_mul_lo_u32 v6, v8, s21
	s_add_u32 s2, s2, 32
	v_sub_u32_e32 v5, v7, v5
	v_sub_u32_e32 v6, v9, v6
	s_addc_u32 s3, s3, 0
	v_mul_lo_u32 v7, v5, s8
	v_mul_lo_u32 v5, v5, s9
	;; [unrolled: 1-line block ×4, first 2 shown]
	s_cmp_lg_u32 s26, s28
	v_add3_u32 v6, v5, v4, v6
	v_add3_u32 v4, v7, v1, v9
	s_cbranch_scc1 .LBB351_36
; %bb.37:
	v_mov_b32_e32 v1, v6
	s_and_b32 s6, s27, 3
	s_cmp_eq_u32 s6, 0
	s_cbranch_scc0 .LBB351_41
	s_branch .LBB351_43
.LBB351_38:
                                        ; implicit-def: $vgpr6
                                        ; implicit-def: $vgpr4
	s_branch .LBB351_44
.LBB351_39:
	v_mov_b32_e32 v6, 0
	v_mov_b32_e32 v4, 0
	s_branch .LBB351_43
.LBB351_40:
	v_mov_b32_e32 v4, 0
                                        ; implicit-def: $vgpr6
	v_mov_b32_e32 v1, v4
	v_mov_b32_e32 v8, v3
	s_and_b32 s6, s27, 3
	s_cmp_eq_u32 s6, 0
	s_cbranch_scc1 .LBB351_43
.LBB351_41:
	s_lshl_b32 s2, s26, 3
	s_add_u32 s2, s34, s2
	s_addc_u32 s3, s35, 0
	s_add_u32 s2, s2, 0xc4
	s_addc_u32 s3, s3, 0
	s_mul_i32 s4, s26, 12
	s_add_u32 s4, s34, s4
	s_addc_u32 s5, s35, 0
.LBB351_42:                             ; =>This Inner Loop Header: Depth=1
	s_load_dwordx2 s[8:9], s[4:5], 0x4
	s_load_dword s7, s[4:5], 0xc
	s_load_dwordx2 s[10:11], s[2:3], 0x0
	v_mov_b32_e32 v6, v1
	s_add_u32 s4, s4, 12
	s_waitcnt lgkmcnt(0)
	v_mul_hi_u32 v1, s9, v8
	v_add_u32_e32 v1, v8, v1
	v_lshrrev_b32_e32 v1, s7, v1
	s_addc_u32 s5, s5, 0
	v_mul_lo_u32 v5, v1, s8
	s_add_u32 s2, s2, 8
	v_sub_u32_e32 v5, v8, v5
	s_addc_u32 s3, s3, 0
	s_add_i32 s6, s6, -1
	v_mad_u64_u32 v[6:7], s[8:9], v5, s11, v[6:7]
	s_cmp_lg_u32 s6, 0
	v_mov_b32_e32 v8, v1
	v_mad_u64_u32 v[4:5], s[8:9], v5, s10, v[4:5]
	v_mov_b32_e32 v1, v6
	s_cbranch_scc1 .LBB351_42
.LBB351_43:
	s_cbranch_execnz .LBB351_46
.LBB351_44:
	s_load_dwordx4 s[4:7], s[34:35], 0x4
	s_load_dwordx2 s[2:3], s[34:35], 0xc4
	s_cmp_lt_u32 s33, 2
	s_waitcnt lgkmcnt(0)
	v_mul_hi_u32 v1, s5, v3
	v_add_u32_e32 v1, v3, v1
	v_lshrrev_b32_e32 v1, s6, v1
	v_mul_lo_u32 v4, v1, s4
	v_sub_u32_e32 v3, v3, v4
	v_mul_lo_u32 v6, v3, s3
	v_mul_lo_u32 v4, v3, s2
	s_cbranch_scc1 .LBB351_46
; %bb.45:
	s_load_dwordx4 s[4:7], s[34:35], 0x10
	s_load_dwordx2 s[2:3], s[34:35], 0xcc
	s_waitcnt lgkmcnt(0)
	v_mul_hi_u32 v3, s5, v1
	v_add_u32_e32 v3, v1, v3
	v_lshrrev_b32_e32 v3, s6, v3
	v_mul_lo_u32 v3, v3, s4
	v_sub_u32_e32 v1, v1, v3
	v_mad_u64_u32 v[4:5], s[4:5], v1, s2, v[4:5]
	v_mad_u64_u32 v[6:7], s[2:3], v1, s3, v[6:7]
.LBB351_46:
	s_and_b64 vcc, exec, s[0:1]
	v_add_u32_e32 v3, 0x100, v24
	s_cbranch_vccnz .LBB351_52
; %bb.47:
	s_cmp_lg_u32 s33, 0
	s_waitcnt lgkmcnt(0)
	s_mov_b32 s26, 0
	s_cbranch_scc0 .LBB351_53
; %bb.48:
	s_min_u32 s27, s54, 15
	s_add_i32 s27, s27, 1
	s_cmp_eq_u32 s54, 2
	s_cbranch_scc1 .LBB351_54
; %bb.49:
	s_and_b32 s26, s27, 28
	s_add_u32 s2, s34, 0xc4
	s_addc_u32 s3, s35, 0
	s_mov_b32 s28, 0
	v_mov_b32_e32 v8, 0
	v_mov_b32_e32 v10, 0
	s_mov_b64 s[24:25], s[34:35]
	v_mov_b32_e32 v5, v3
.LBB351_50:                             ; =>This Inner Loop Header: Depth=1
	s_load_dwordx8 s[12:19], s[24:25], 0x4
	s_load_dwordx4 s[20:23], s[24:25], 0x24
	s_load_dwordx8 s[4:11], s[2:3], 0x0
	s_add_u32 s24, s24, 48
	s_addc_u32 s25, s25, 0
	s_waitcnt lgkmcnt(0)
	v_mul_hi_u32 v1, s13, v5
	v_add_u32_e32 v1, v5, v1
	v_lshrrev_b32_e32 v1, s14, v1
	v_mul_lo_u32 v7, v1, s12
	v_mul_hi_u32 v9, s16, v1
	v_sub_u32_e32 v5, v5, v7
	v_add_u32_e32 v7, v1, v9
	v_lshrrev_b32_e32 v7, s17, v7
	v_mul_lo_u32 v11, v7, s15
	v_mul_hi_u32 v12, s19, v7
	v_sub_u32_e32 v1, v1, v11
	v_add_u32_e32 v11, v7, v12
	v_mul_lo_u32 v9, v5, s5
	v_mul_lo_u32 v5, v5, s4
	;; [unrolled: 1-line block ×4, first 2 shown]
	v_lshrrev_b32_e32 v11, s20, v11
	v_add3_u32 v1, v5, v8, v1
	v_add3_u32 v8, v9, v10, v12
	v_mul_lo_u32 v5, v11, s18
	v_mul_hi_u32 v9, s22, v11
	v_sub_u32_e32 v5, v7, v5
	v_add_u32_e32 v7, v11, v9
	v_mul_lo_u32 v9, v5, s8
	v_mul_lo_u32 v10, v5, s9
	v_lshrrev_b32_e32 v5, s23, v7
	s_add_i32 s28, s28, 4
	v_mul_lo_u32 v7, v5, s21
	s_add_u32 s2, s2, 32
	v_sub_u32_e32 v7, v11, v7
	s_addc_u32 s3, s3, 0
	v_mul_lo_u32 v11, v7, s10
	v_mul_lo_u32 v7, v7, s11
	s_cmp_lg_u32 s26, s28
	v_add3_u32 v10, v10, v8, v7
	v_add3_u32 v8, v9, v1, v11
	s_cbranch_scc1 .LBB351_50
; %bb.51:
	v_mov_b32_e32 v1, v10
	s_and_b32 s6, s27, 3
	s_cmp_eq_u32 s6, 0
	s_cbranch_scc0 .LBB351_55
	s_branch .LBB351_57
.LBB351_52:
                                        ; implicit-def: $vgpr10
                                        ; implicit-def: $vgpr8
	s_branch .LBB351_58
.LBB351_53:
	v_mov_b32_e32 v10, 0
	v_mov_b32_e32 v8, 0
	s_branch .LBB351_57
.LBB351_54:
	v_mov_b32_e32 v8, 0
                                        ; implicit-def: $vgpr10
	v_mov_b32_e32 v1, v8
	v_mov_b32_e32 v5, v3
	s_and_b32 s6, s27, 3
	s_cmp_eq_u32 s6, 0
	s_cbranch_scc1 .LBB351_57
.LBB351_55:
	s_lshl_b32 s2, s26, 3
	s_add_u32 s2, s34, s2
	s_addc_u32 s3, s35, 0
	s_add_u32 s2, s2, 0xc4
	s_addc_u32 s3, s3, 0
	s_mul_i32 s4, s26, 12
	s_add_u32 s4, s34, s4
	s_addc_u32 s5, s35, 0
.LBB351_56:                             ; =>This Inner Loop Header: Depth=1
	s_load_dwordx2 s[8:9], s[4:5], 0x4
	s_load_dword s7, s[4:5], 0xc
	s_load_dwordx2 s[10:11], s[2:3], 0x0
	v_mov_b32_e32 v10, v1
	s_add_u32 s4, s4, 12
	s_waitcnt lgkmcnt(0)
	v_mul_hi_u32 v1, s9, v5
	v_add_u32_e32 v1, v5, v1
	v_lshrrev_b32_e32 v1, s7, v1
	s_addc_u32 s5, s5, 0
	v_mul_lo_u32 v7, v1, s8
	s_add_u32 s2, s2, 8
	v_sub_u32_e32 v7, v5, v7
	s_addc_u32 s3, s3, 0
	s_add_i32 s6, s6, -1
	v_mad_u64_u32 v[10:11], s[8:9], v7, s11, v[10:11]
	s_cmp_lg_u32 s6, 0
	v_mov_b32_e32 v5, v1
	v_mad_u64_u32 v[8:9], s[8:9], v7, s10, v[8:9]
	v_mov_b32_e32 v1, v10
	s_cbranch_scc1 .LBB351_56
.LBB351_57:
	s_cbranch_execnz .LBB351_60
.LBB351_58:
	s_load_dwordx4 s[4:7], s[34:35], 0x4
	s_load_dwordx2 s[2:3], s[34:35], 0xc4
	s_cmp_lt_u32 s33, 2
	s_waitcnt lgkmcnt(0)
	v_mul_hi_u32 v1, s5, v3
	v_add_u32_e32 v1, v3, v1
	v_lshrrev_b32_e32 v1, s6, v1
	v_mul_lo_u32 v5, v1, s4
	v_sub_u32_e32 v3, v3, v5
	v_mul_lo_u32 v10, v3, s3
	v_mul_lo_u32 v8, v3, s2
	s_cbranch_scc1 .LBB351_60
; %bb.59:
	s_load_dwordx4 s[4:7], s[34:35], 0x10
	s_load_dwordx2 s[2:3], s[34:35], 0xcc
	s_waitcnt lgkmcnt(0)
	v_mul_hi_u32 v3, s5, v1
	v_add_u32_e32 v3, v1, v3
	v_lshrrev_b32_e32 v3, s6, v3
	v_mul_lo_u32 v3, v3, s4
	v_sub_u32_e32 v1, v1, v3
	v_mad_u64_u32 v[8:9], s[4:5], v1, s2, v[8:9]
	v_mad_u64_u32 v[10:11], s[2:3], v1, s3, v[10:11]
.LBB351_60:
	s_and_b64 vcc, exec, s[0:1]
	v_add_u32_e32 v3, 0x180, v24
	s_cbranch_vccnz .LBB351_66
; %bb.61:
	s_cmp_lg_u32 s33, 0
	s_waitcnt lgkmcnt(0)
	s_mov_b32 s26, 0
	s_cbranch_scc0 .LBB351_67
; %bb.62:
	s_min_u32 s27, s54, 15
	s_add_i32 s27, s27, 1
	s_cmp_eq_u32 s54, 2
	s_cbranch_scc1 .LBB351_68
; %bb.63:
	s_and_b32 s26, s27, 28
	s_add_u32 s2, s34, 0xc4
	s_addc_u32 s3, s35, 0
	s_mov_b32 s28, 0
	v_mov_b32_e32 v12, 0
	v_mov_b32_e32 v14, 0
	s_mov_b64 s[24:25], s[34:35]
	v_mov_b32_e32 v5, v3
.LBB351_64:                             ; =>This Inner Loop Header: Depth=1
	s_load_dwordx8 s[12:19], s[24:25], 0x4
	s_load_dwordx4 s[20:23], s[24:25], 0x24
	s_load_dwordx8 s[4:11], s[2:3], 0x0
	s_add_u32 s24, s24, 48
	s_addc_u32 s25, s25, 0
	s_waitcnt lgkmcnt(0)
	v_mul_hi_u32 v1, s13, v5
	v_add_u32_e32 v1, v5, v1
	v_lshrrev_b32_e32 v1, s14, v1
	v_mul_lo_u32 v7, v1, s12
	v_mul_hi_u32 v9, s16, v1
	v_sub_u32_e32 v5, v5, v7
	v_add_u32_e32 v7, v1, v9
	v_lshrrev_b32_e32 v7, s17, v7
	v_mul_lo_u32 v11, v7, s15
	v_mul_hi_u32 v13, s19, v7
	v_sub_u32_e32 v1, v1, v11
	v_add_u32_e32 v11, v7, v13
	v_mul_lo_u32 v9, v5, s5
	v_mul_lo_u32 v5, v5, s4
	;; [unrolled: 1-line block ×4, first 2 shown]
	v_lshrrev_b32_e32 v11, s20, v11
	v_add3_u32 v1, v5, v12, v1
	v_mul_lo_u32 v5, v11, s18
	v_mul_hi_u32 v12, s22, v11
	v_sub_u32_e32 v5, v7, v5
	v_add_u32_e32 v7, v11, v12
	v_add3_u32 v9, v9, v14, v13
	v_mul_lo_u32 v12, v5, s8
	v_mul_lo_u32 v13, v5, s9
	v_lshrrev_b32_e32 v5, s23, v7
	s_add_i32 s28, s28, 4
	v_mul_lo_u32 v7, v5, s21
	s_add_u32 s2, s2, 32
	v_sub_u32_e32 v7, v11, v7
	s_addc_u32 s3, s3, 0
	v_mul_lo_u32 v11, v7, s10
	v_mul_lo_u32 v7, v7, s11
	s_cmp_lg_u32 s26, s28
	v_add3_u32 v14, v13, v9, v7
	v_add3_u32 v12, v12, v1, v11
	s_cbranch_scc1 .LBB351_64
; %bb.65:
	v_mov_b32_e32 v1, v14
	s_and_b32 s6, s27, 3
	s_cmp_eq_u32 s6, 0
	s_cbranch_scc0 .LBB351_69
	s_branch .LBB351_71
.LBB351_66:
                                        ; implicit-def: $vgpr14
                                        ; implicit-def: $vgpr12
	s_branch .LBB351_72
.LBB351_67:
	v_mov_b32_e32 v14, 0
	v_mov_b32_e32 v12, 0
	s_branch .LBB351_71
.LBB351_68:
	v_mov_b32_e32 v12, 0
                                        ; implicit-def: $vgpr14
	v_mov_b32_e32 v1, v12
	v_mov_b32_e32 v5, v3
	s_and_b32 s6, s27, 3
	s_cmp_eq_u32 s6, 0
	s_cbranch_scc1 .LBB351_71
.LBB351_69:
	s_lshl_b32 s2, s26, 3
	s_add_u32 s2, s34, s2
	s_addc_u32 s3, s35, 0
	s_add_u32 s2, s2, 0xc4
	s_addc_u32 s3, s3, 0
	s_mul_i32 s4, s26, 12
	s_add_u32 s4, s34, s4
	s_addc_u32 s5, s35, 0
.LBB351_70:                             ; =>This Inner Loop Header: Depth=1
	s_load_dwordx2 s[8:9], s[4:5], 0x4
	s_load_dword s7, s[4:5], 0xc
	s_load_dwordx2 s[10:11], s[2:3], 0x0
	v_mov_b32_e32 v14, v1
	s_add_u32 s4, s4, 12
	s_waitcnt lgkmcnt(0)
	v_mul_hi_u32 v1, s9, v5
	v_add_u32_e32 v1, v5, v1
	v_lshrrev_b32_e32 v1, s7, v1
	s_addc_u32 s5, s5, 0
	v_mul_lo_u32 v7, v1, s8
	s_add_u32 s2, s2, 8
	v_sub_u32_e32 v7, v5, v7
	s_addc_u32 s3, s3, 0
	s_add_i32 s6, s6, -1
	v_mad_u64_u32 v[14:15], s[8:9], v7, s11, v[14:15]
	s_cmp_lg_u32 s6, 0
	v_mov_b32_e32 v5, v1
	v_mad_u64_u32 v[12:13], s[8:9], v7, s10, v[12:13]
	v_mov_b32_e32 v1, v14
	s_cbranch_scc1 .LBB351_70
.LBB351_71:
	s_cbranch_execnz .LBB351_74
.LBB351_72:
	s_load_dwordx4 s[4:7], s[34:35], 0x4
	s_load_dwordx2 s[2:3], s[34:35], 0xc4
	s_cmp_lt_u32 s33, 2
	s_waitcnt lgkmcnt(0)
	v_mul_hi_u32 v1, s5, v3
	v_add_u32_e32 v1, v3, v1
	v_lshrrev_b32_e32 v1, s6, v1
	v_mul_lo_u32 v5, v1, s4
	v_sub_u32_e32 v3, v3, v5
	v_mul_lo_u32 v14, v3, s3
	v_mul_lo_u32 v12, v3, s2
	s_cbranch_scc1 .LBB351_74
; %bb.73:
	s_load_dwordx4 s[4:7], s[34:35], 0x10
	s_load_dwordx2 s[2:3], s[34:35], 0xcc
	s_waitcnt lgkmcnt(0)
	v_mul_hi_u32 v3, s5, v1
	v_add_u32_e32 v3, v1, v3
	v_lshrrev_b32_e32 v3, s6, v3
	v_mul_lo_u32 v3, v3, s4
	v_sub_u32_e32 v1, v1, v3
	v_mad_u64_u32 v[12:13], s[4:5], v1, s2, v[12:13]
	v_mad_u64_u32 v[14:15], s[2:3], v1, s3, v[14:15]
.LBB351_74:
	s_and_b64 vcc, exec, s[0:1]
	v_add_u32_e32 v3, 0x200, v24
	s_cbranch_vccnz .LBB351_80
; %bb.75:
	s_cmp_lg_u32 s33, 0
	s_waitcnt lgkmcnt(0)
	s_mov_b32 s26, 0
	s_cbranch_scc0 .LBB351_81
; %bb.76:
	s_min_u32 s27, s54, 15
	s_add_i32 s27, s27, 1
	s_cmp_eq_u32 s54, 2
	s_cbranch_scc1 .LBB351_82
; %bb.77:
	s_and_b32 s26, s27, 28
	s_add_u32 s2, s34, 0xc4
	s_addc_u32 s3, s35, 0
	s_mov_b32 s28, 0
	v_mov_b32_e32 v16, 0
	v_mov_b32_e32 v18, 0
	s_mov_b64 s[24:25], s[34:35]
	v_mov_b32_e32 v5, v3
.LBB351_78:                             ; =>This Inner Loop Header: Depth=1
	s_load_dwordx8 s[12:19], s[24:25], 0x4
	s_load_dwordx4 s[20:23], s[24:25], 0x24
	s_load_dwordx8 s[4:11], s[2:3], 0x0
	s_add_u32 s24, s24, 48
	s_addc_u32 s25, s25, 0
	s_waitcnt lgkmcnt(0)
	v_mul_hi_u32 v1, s13, v5
	v_add_u32_e32 v1, v5, v1
	v_lshrrev_b32_e32 v1, s14, v1
	v_mul_lo_u32 v7, v1, s12
	v_mul_hi_u32 v9, s16, v1
	v_sub_u32_e32 v5, v5, v7
	v_add_u32_e32 v7, v1, v9
	v_lshrrev_b32_e32 v7, s17, v7
	v_mul_lo_u32 v11, v7, s15
	v_mul_hi_u32 v13, s19, v7
	v_sub_u32_e32 v1, v1, v11
	v_add_u32_e32 v11, v7, v13
	v_mul_lo_u32 v9, v5, s5
	v_mul_lo_u32 v5, v5, s4
	;; [unrolled: 1-line block ×4, first 2 shown]
	v_lshrrev_b32_e32 v11, s20, v11
	v_add3_u32 v1, v5, v16, v1
	v_add3_u32 v9, v9, v18, v13
	v_mul_lo_u32 v5, v11, s18
	v_mul_hi_u32 v13, s22, v11
	v_sub_u32_e32 v5, v7, v5
	v_add_u32_e32 v7, v11, v13
	v_mul_lo_u32 v13, v5, s8
	v_mul_lo_u32 v15, v5, s9
	v_lshrrev_b32_e32 v5, s23, v7
	s_add_i32 s28, s28, 4
	v_mul_lo_u32 v7, v5, s21
	s_add_u32 s2, s2, 32
	v_sub_u32_e32 v7, v11, v7
	s_addc_u32 s3, s3, 0
	v_mul_lo_u32 v11, v7, s10
	v_mul_lo_u32 v7, v7, s11
	s_cmp_lg_u32 s26, s28
	v_add3_u32 v18, v15, v9, v7
	v_add3_u32 v16, v13, v1, v11
	s_cbranch_scc1 .LBB351_78
; %bb.79:
	v_mov_b32_e32 v1, v18
	s_and_b32 s6, s27, 3
	s_cmp_eq_u32 s6, 0
	s_cbranch_scc0 .LBB351_83
	s_branch .LBB351_85
.LBB351_80:
                                        ; implicit-def: $vgpr18
                                        ; implicit-def: $vgpr16
	s_branch .LBB351_86
.LBB351_81:
	v_mov_b32_e32 v18, 0
	v_mov_b32_e32 v16, 0
	s_branch .LBB351_85
.LBB351_82:
	v_mov_b32_e32 v16, 0
                                        ; implicit-def: $vgpr18
	v_mov_b32_e32 v1, v16
	v_mov_b32_e32 v5, v3
	s_and_b32 s6, s27, 3
	s_cmp_eq_u32 s6, 0
	s_cbranch_scc1 .LBB351_85
.LBB351_83:
	s_lshl_b32 s2, s26, 3
	s_add_u32 s2, s34, s2
	s_addc_u32 s3, s35, 0
	s_add_u32 s2, s2, 0xc4
	s_addc_u32 s3, s3, 0
	s_mul_i32 s4, s26, 12
	s_add_u32 s4, s34, s4
	s_addc_u32 s5, s35, 0
.LBB351_84:                             ; =>This Inner Loop Header: Depth=1
	s_load_dwordx2 s[8:9], s[4:5], 0x4
	s_load_dword s7, s[4:5], 0xc
	s_load_dwordx2 s[10:11], s[2:3], 0x0
	v_mov_b32_e32 v18, v1
	s_add_u32 s4, s4, 12
	s_waitcnt lgkmcnt(0)
	v_mul_hi_u32 v1, s9, v5
	v_add_u32_e32 v1, v5, v1
	v_lshrrev_b32_e32 v1, s7, v1
	s_addc_u32 s5, s5, 0
	v_mul_lo_u32 v7, v1, s8
	s_add_u32 s2, s2, 8
	v_sub_u32_e32 v7, v5, v7
	s_addc_u32 s3, s3, 0
	s_add_i32 s6, s6, -1
	v_mad_u64_u32 v[18:19], s[8:9], v7, s11, v[18:19]
	s_cmp_lg_u32 s6, 0
	v_mov_b32_e32 v5, v1
	v_mad_u64_u32 v[16:17], s[8:9], v7, s10, v[16:17]
	v_mov_b32_e32 v1, v18
	s_cbranch_scc1 .LBB351_84
.LBB351_85:
	s_cbranch_execnz .LBB351_88
.LBB351_86:
	s_load_dwordx4 s[4:7], s[34:35], 0x4
	s_load_dwordx2 s[2:3], s[34:35], 0xc4
	s_cmp_lt_u32 s33, 2
	s_waitcnt lgkmcnt(0)
	v_mul_hi_u32 v1, s5, v3
	v_add_u32_e32 v1, v3, v1
	v_lshrrev_b32_e32 v1, s6, v1
	v_mul_lo_u32 v5, v1, s4
	v_sub_u32_e32 v3, v3, v5
	v_mul_lo_u32 v18, v3, s3
	v_mul_lo_u32 v16, v3, s2
	s_cbranch_scc1 .LBB351_88
; %bb.87:
	s_load_dwordx4 s[4:7], s[34:35], 0x10
	s_load_dwordx2 s[2:3], s[34:35], 0xcc
	s_waitcnt lgkmcnt(0)
	v_mul_hi_u32 v3, s5, v1
	v_add_u32_e32 v3, v1, v3
	v_lshrrev_b32_e32 v3, s6, v3
	v_mul_lo_u32 v3, v3, s4
	v_sub_u32_e32 v1, v1, v3
	v_mad_u64_u32 v[16:17], s[4:5], v1, s2, v[16:17]
	v_mad_u64_u32 v[18:19], s[2:3], v1, s3, v[18:19]
.LBB351_88:
	s_and_b64 vcc, exec, s[0:1]
	v_add_u32_e32 v3, 0x280, v24
	s_cbranch_vccnz .LBB351_94
; %bb.89:
	s_cmp_lg_u32 s33, 0
	s_waitcnt lgkmcnt(0)
	s_mov_b32 s26, 0
	s_cbranch_scc0 .LBB351_95
; %bb.90:
	s_min_u32 s27, s54, 15
	s_add_i32 s27, s27, 1
	s_cmp_eq_u32 s54, 2
	s_cbranch_scc1 .LBB351_96
; %bb.91:
	s_and_b32 s26, s27, 28
	s_add_u32 s2, s34, 0xc4
	s_addc_u32 s3, s35, 0
	s_mov_b32 s28, 0
	v_mov_b32_e32 v20, 0
	v_mov_b32_e32 v22, 0
	s_mov_b64 s[24:25], s[34:35]
	v_mov_b32_e32 v5, v3
.LBB351_92:                             ; =>This Inner Loop Header: Depth=1
	s_load_dwordx8 s[12:19], s[24:25], 0x4
	s_load_dwordx4 s[20:23], s[24:25], 0x24
	s_load_dwordx8 s[4:11], s[2:3], 0x0
	s_add_u32 s24, s24, 48
	s_addc_u32 s25, s25, 0
	s_waitcnt lgkmcnt(0)
	v_mul_hi_u32 v1, s13, v5
	v_add_u32_e32 v1, v5, v1
	v_lshrrev_b32_e32 v1, s14, v1
	v_mul_lo_u32 v7, v1, s12
	v_mul_hi_u32 v9, s16, v1
	v_sub_u32_e32 v5, v5, v7
	v_add_u32_e32 v7, v1, v9
	v_lshrrev_b32_e32 v7, s17, v7
	v_mul_lo_u32 v11, v7, s15
	v_mul_hi_u32 v13, s19, v7
	v_sub_u32_e32 v1, v1, v11
	v_add_u32_e32 v11, v7, v13
	v_mul_lo_u32 v9, v5, s5
	v_mul_lo_u32 v5, v5, s4
	;; [unrolled: 1-line block ×4, first 2 shown]
	v_lshrrev_b32_e32 v11, s20, v11
	v_add3_u32 v1, v5, v20, v1
	v_add3_u32 v9, v9, v22, v13
	v_mul_lo_u32 v5, v11, s18
	v_mul_hi_u32 v13, s22, v11
	v_sub_u32_e32 v5, v7, v5
	v_add_u32_e32 v7, v11, v13
	v_mul_lo_u32 v13, v5, s8
	v_mul_lo_u32 v15, v5, s9
	v_lshrrev_b32_e32 v5, s23, v7
	s_add_i32 s28, s28, 4
	v_mul_lo_u32 v7, v5, s21
	s_add_u32 s2, s2, 32
	v_sub_u32_e32 v7, v11, v7
	s_addc_u32 s3, s3, 0
	v_mul_lo_u32 v11, v7, s10
	v_mul_lo_u32 v7, v7, s11
	s_cmp_lg_u32 s26, s28
	v_add3_u32 v22, v15, v9, v7
	v_add3_u32 v20, v13, v1, v11
	s_cbranch_scc1 .LBB351_92
; %bb.93:
	v_mov_b32_e32 v1, v22
	s_and_b32 s6, s27, 3
	s_cmp_eq_u32 s6, 0
	s_cbranch_scc0 .LBB351_97
	s_branch .LBB351_99
.LBB351_94:
                                        ; implicit-def: $vgpr22
                                        ; implicit-def: $vgpr20
	s_branch .LBB351_100
.LBB351_95:
	v_mov_b32_e32 v22, 0
	v_mov_b32_e32 v20, 0
	s_branch .LBB351_99
.LBB351_96:
	v_mov_b32_e32 v20, 0
                                        ; implicit-def: $vgpr22
	v_mov_b32_e32 v1, v20
	v_mov_b32_e32 v5, v3
	s_and_b32 s6, s27, 3
	s_cmp_eq_u32 s6, 0
	s_cbranch_scc1 .LBB351_99
.LBB351_97:
	s_lshl_b32 s2, s26, 3
	s_add_u32 s2, s34, s2
	s_addc_u32 s3, s35, 0
	s_add_u32 s2, s2, 0xc4
	s_addc_u32 s3, s3, 0
	s_mul_i32 s4, s26, 12
	s_add_u32 s4, s34, s4
	s_addc_u32 s5, s35, 0
.LBB351_98:                             ; =>This Inner Loop Header: Depth=1
	s_load_dwordx2 s[8:9], s[4:5], 0x4
	s_load_dword s7, s[4:5], 0xc
	s_load_dwordx2 s[10:11], s[2:3], 0x0
	v_mov_b32_e32 v22, v1
	s_add_u32 s4, s4, 12
	s_waitcnt lgkmcnt(0)
	v_mul_hi_u32 v1, s9, v5
	v_add_u32_e32 v1, v5, v1
	v_lshrrev_b32_e32 v1, s7, v1
	s_addc_u32 s5, s5, 0
	v_mul_lo_u32 v7, v1, s8
	s_add_u32 s2, s2, 8
	v_sub_u32_e32 v7, v5, v7
	s_addc_u32 s3, s3, 0
	s_add_i32 s6, s6, -1
	v_mad_u64_u32 v[22:23], s[8:9], v7, s11, v[22:23]
	s_cmp_lg_u32 s6, 0
	v_mov_b32_e32 v5, v1
	v_mad_u64_u32 v[20:21], s[8:9], v7, s10, v[20:21]
	v_mov_b32_e32 v1, v22
	s_cbranch_scc1 .LBB351_98
.LBB351_99:
	s_cbranch_execnz .LBB351_102
.LBB351_100:
	s_load_dwordx4 s[4:7], s[34:35], 0x4
	s_load_dwordx2 s[2:3], s[34:35], 0xc4
	s_cmp_lt_u32 s33, 2
	s_waitcnt lgkmcnt(0)
	v_mul_hi_u32 v1, s5, v3
	v_add_u32_e32 v1, v3, v1
	v_lshrrev_b32_e32 v1, s6, v1
	v_mul_lo_u32 v5, v1, s4
	v_sub_u32_e32 v3, v3, v5
	v_mul_lo_u32 v22, v3, s3
	v_mul_lo_u32 v20, v3, s2
	s_cbranch_scc1 .LBB351_102
; %bb.101:
	s_load_dwordx4 s[4:7], s[34:35], 0x10
	s_load_dwordx2 s[2:3], s[34:35], 0xcc
	s_waitcnt lgkmcnt(0)
	v_mul_hi_u32 v3, s5, v1
	v_add_u32_e32 v3, v1, v3
	v_lshrrev_b32_e32 v3, s6, v3
	v_mul_lo_u32 v3, v3, s4
	v_sub_u32_e32 v1, v1, v3
	v_mad_u64_u32 v[20:21], s[4:5], v1, s2, v[20:21]
	v_mad_u64_u32 v[22:23], s[2:3], v1, s3, v[22:23]
.LBB351_102:
	s_and_b64 vcc, exec, s[0:1]
	v_add_u32_e32 v3, 0x300, v24
	s_cbranch_vccnz .LBB351_108
; %bb.103:
	s_cmp_lg_u32 s33, 0
	s_waitcnt lgkmcnt(0)
	s_mov_b32 s26, 0
	s_cbranch_scc0 .LBB351_109
; %bb.104:
	s_min_u32 s27, s54, 15
	s_add_i32 s27, s27, 1
	s_cmp_eq_u32 s54, 2
	s_cbranch_scc1 .LBB351_110
; %bb.105:
	s_and_b32 s26, s27, 28
	s_add_u32 s2, s34, 0xc4
	s_addc_u32 s3, s35, 0
	s_mov_b32 s28, 0
	v_mov_b32_e32 v24, 0
	v_mov_b32_e32 v26, 0
	s_mov_b64 s[24:25], s[34:35]
	v_mov_b32_e32 v5, v3
.LBB351_106:                            ; =>This Inner Loop Header: Depth=1
	s_load_dwordx8 s[12:19], s[24:25], 0x4
	s_load_dwordx4 s[20:23], s[24:25], 0x24
	s_load_dwordx8 s[4:11], s[2:3], 0x0
	s_add_u32 s24, s24, 48
	s_addc_u32 s25, s25, 0
	s_waitcnt lgkmcnt(0)
	v_mul_hi_u32 v1, s13, v5
	v_add_u32_e32 v1, v5, v1
	v_lshrrev_b32_e32 v1, s14, v1
	v_mul_lo_u32 v7, v1, s12
	v_mul_hi_u32 v9, s16, v1
	v_sub_u32_e32 v5, v5, v7
	v_add_u32_e32 v7, v1, v9
	v_lshrrev_b32_e32 v7, s17, v7
	v_mul_lo_u32 v11, v7, s15
	v_mul_hi_u32 v13, s19, v7
	v_sub_u32_e32 v1, v1, v11
	v_add_u32_e32 v11, v7, v13
	v_mul_lo_u32 v9, v5, s5
	v_mul_lo_u32 v5, v5, s4
	;; [unrolled: 1-line block ×4, first 2 shown]
	v_lshrrev_b32_e32 v11, s20, v11
	v_add3_u32 v1, v5, v24, v1
	v_add3_u32 v9, v9, v26, v13
	v_mul_lo_u32 v5, v11, s18
	v_mul_hi_u32 v13, s22, v11
	v_sub_u32_e32 v5, v7, v5
	v_add_u32_e32 v7, v11, v13
	v_mul_lo_u32 v13, v5, s8
	v_mul_lo_u32 v15, v5, s9
	v_lshrrev_b32_e32 v5, s23, v7
	s_add_i32 s28, s28, 4
	v_mul_lo_u32 v7, v5, s21
	s_add_u32 s2, s2, 32
	v_sub_u32_e32 v7, v11, v7
	s_addc_u32 s3, s3, 0
	v_mul_lo_u32 v11, v7, s10
	v_mul_lo_u32 v7, v7, s11
	s_cmp_lg_u32 s26, s28
	v_add3_u32 v26, v15, v9, v7
	v_add3_u32 v24, v13, v1, v11
	s_cbranch_scc1 .LBB351_106
; %bb.107:
	v_mov_b32_e32 v1, v26
	s_and_b32 s6, s27, 3
	s_cmp_eq_u32 s6, 0
	s_cbranch_scc0 .LBB351_111
	s_branch .LBB351_113
.LBB351_108:
                                        ; implicit-def: $vgpr26
                                        ; implicit-def: $vgpr24
	s_branch .LBB351_114
.LBB351_109:
	v_mov_b32_e32 v26, 0
	v_mov_b32_e32 v24, 0
	s_branch .LBB351_113
.LBB351_110:
	v_mov_b32_e32 v24, 0
                                        ; implicit-def: $vgpr26
	v_mov_b32_e32 v1, v24
	v_mov_b32_e32 v5, v3
	s_and_b32 s6, s27, 3
	s_cmp_eq_u32 s6, 0
	s_cbranch_scc1 .LBB351_113
.LBB351_111:
	s_lshl_b32 s2, s26, 3
	s_add_u32 s2, s34, s2
	s_addc_u32 s3, s35, 0
	s_add_u32 s2, s2, 0xc4
	s_addc_u32 s3, s3, 0
	s_mul_i32 s4, s26, 12
	s_add_u32 s4, s34, s4
	s_addc_u32 s5, s35, 0
.LBB351_112:                            ; =>This Inner Loop Header: Depth=1
	s_load_dwordx2 s[8:9], s[4:5], 0x4
	s_load_dword s7, s[4:5], 0xc
	s_load_dwordx2 s[10:11], s[2:3], 0x0
	v_mov_b32_e32 v26, v1
	s_add_u32 s4, s4, 12
	s_waitcnt lgkmcnt(0)
	v_mul_hi_u32 v1, s9, v5
	v_add_u32_e32 v1, v5, v1
	v_lshrrev_b32_e32 v1, s7, v1
	s_addc_u32 s5, s5, 0
	v_mul_lo_u32 v7, v1, s8
	s_add_u32 s2, s2, 8
	v_sub_u32_e32 v7, v5, v7
	s_addc_u32 s3, s3, 0
	s_add_i32 s6, s6, -1
	v_mad_u64_u32 v[26:27], s[8:9], v7, s11, v[26:27]
	s_cmp_lg_u32 s6, 0
	v_mov_b32_e32 v5, v1
	v_mad_u64_u32 v[24:25], s[8:9], v7, s10, v[24:25]
	v_mov_b32_e32 v1, v26
	s_cbranch_scc1 .LBB351_112
.LBB351_113:
	s_cbranch_execnz .LBB351_116
.LBB351_114:
	s_load_dwordx4 s[4:7], s[34:35], 0x4
	s_load_dwordx2 s[2:3], s[34:35], 0xc4
	s_cmp_lt_u32 s33, 2
	s_waitcnt lgkmcnt(0)
	v_mul_hi_u32 v1, s5, v3
	v_add_u32_e32 v1, v3, v1
	v_lshrrev_b32_e32 v1, s6, v1
	v_mul_lo_u32 v5, v1, s4
	v_sub_u32_e32 v3, v3, v5
	v_mul_lo_u32 v26, v3, s3
	v_mul_lo_u32 v24, v3, s2
	s_cbranch_scc1 .LBB351_116
; %bb.115:
	s_load_dwordx4 s[4:7], s[34:35], 0x10
	s_load_dwordx2 s[2:3], s[34:35], 0xcc
	s_waitcnt lgkmcnt(0)
	v_mul_hi_u32 v3, s5, v1
	v_add_u32_e32 v3, v1, v3
	v_lshrrev_b32_e32 v3, s6, v3
	v_mul_lo_u32 v3, v3, s4
	v_sub_u32_e32 v1, v1, v3
	v_mad_u64_u32 v[24:25], s[4:5], v1, s2, v[24:25]
	v_mad_u64_u32 v[26:27], s[2:3], v1, s3, v[26:27]
.LBB351_116:
	s_and_b64 vcc, exec, s[0:1]
	s_cbranch_vccnz .LBB351_122
; %bb.117:
	s_cmp_lg_u32 s33, 0
	s_waitcnt lgkmcnt(0)
	s_mov_b32 s24, 0
	s_cbranch_scc0 .LBB351_123
; %bb.118:
	s_min_u32 s25, s54, 15
	s_add_i32 s25, s25, 1
	s_cmp_eq_u32 s54, 2
	s_cbranch_scc1 .LBB351_124
; %bb.119:
	s_and_b32 s24, s25, 28
	s_add_u32 s20, s34, 0xc4
	s_addc_u32 s21, s35, 0
	s_mov_b32 s26, 0
	v_mov_b32_e32 v28, 0
	v_mov_b32_e32 v30, 0
	s_mov_b64 s[22:23], s[34:35]
	v_mov_b32_e32 v3, v32
.LBB351_120:                            ; =>This Inner Loop Header: Depth=1
	s_load_dwordx8 s[8:15], s[22:23], 0x4
	s_load_dwordx4 s[16:19], s[22:23], 0x24
	s_load_dwordx8 s[0:7], s[20:21], 0x0
	s_add_u32 s22, s22, 48
	s_addc_u32 s23, s23, 0
	s_waitcnt lgkmcnt(0)
	v_mul_hi_u32 v1, s9, v3
	v_add_u32_e32 v1, v3, v1
	v_lshrrev_b32_e32 v1, s10, v1
	v_mul_lo_u32 v5, v1, s8
	v_mul_hi_u32 v7, s12, v1
	v_sub_u32_e32 v3, v3, v5
	v_add_u32_e32 v5, v1, v7
	v_lshrrev_b32_e32 v5, s13, v5
	v_mul_lo_u32 v9, v5, s11
	v_mul_hi_u32 v11, s15, v5
	v_sub_u32_e32 v1, v1, v9
	v_add_u32_e32 v9, v5, v11
	v_mul_lo_u32 v7, v3, s1
	v_mul_lo_u32 v3, v3, s0
	;; [unrolled: 1-line block ×4, first 2 shown]
	v_lshrrev_b32_e32 v9, s16, v9
	v_add3_u32 v1, v3, v28, v1
	v_add3_u32 v7, v7, v30, v11
	v_mul_lo_u32 v3, v9, s14
	v_mul_hi_u32 v11, s18, v9
	v_sub_u32_e32 v3, v5, v3
	v_add_u32_e32 v5, v9, v11
	v_mul_lo_u32 v11, v3, s4
	v_mul_lo_u32 v13, v3, s5
	v_lshrrev_b32_e32 v3, s19, v5
	s_add_i32 s26, s26, 4
	v_mul_lo_u32 v5, v3, s17
	s_add_u32 s20, s20, 32
	v_sub_u32_e32 v5, v9, v5
	s_addc_u32 s21, s21, 0
	v_mul_lo_u32 v9, v5, s6
	v_mul_lo_u32 v5, v5, s7
	s_cmp_lg_u32 s24, s26
	v_add3_u32 v30, v13, v7, v5
	v_add3_u32 v28, v11, v1, v9
	s_cbranch_scc1 .LBB351_120
; %bb.121:
	v_mov_b32_e32 v1, v30
	s_and_b32 s4, s25, 3
	s_cmp_eq_u32 s4, 0
	s_cbranch_scc0 .LBB351_125
	s_branch .LBB351_127
.LBB351_122:
                                        ; implicit-def: $vgpr30
                                        ; implicit-def: $vgpr28
	s_branch .LBB351_128
.LBB351_123:
	v_mov_b32_e32 v30, 0
	v_mov_b32_e32 v28, 0
	s_branch .LBB351_127
.LBB351_124:
	v_mov_b32_e32 v28, 0
                                        ; implicit-def: $vgpr30
	v_mov_b32_e32 v1, v28
	v_mov_b32_e32 v3, v32
	s_and_b32 s4, s25, 3
	s_cmp_eq_u32 s4, 0
	s_cbranch_scc1 .LBB351_127
.LBB351_125:
	s_lshl_b32 s0, s24, 3
	s_add_u32 s0, s34, s0
	s_addc_u32 s1, s35, 0
	s_add_u32 s0, s0, 0xc4
	s_addc_u32 s1, s1, 0
	s_mul_i32 s2, s24, 12
	s_add_u32 s2, s34, s2
	s_addc_u32 s3, s35, 0
.LBB351_126:                            ; =>This Inner Loop Header: Depth=1
	s_load_dwordx2 s[6:7], s[2:3], 0x4
	s_load_dword s5, s[2:3], 0xc
	s_load_dwordx2 s[8:9], s[0:1], 0x0
	v_mov_b32_e32 v30, v1
	s_add_u32 s2, s2, 12
	s_waitcnt lgkmcnt(0)
	v_mul_hi_u32 v1, s7, v3
	v_add_u32_e32 v1, v3, v1
	v_lshrrev_b32_e32 v1, s5, v1
	s_addc_u32 s3, s3, 0
	v_mul_lo_u32 v5, v1, s6
	s_add_u32 s0, s0, 8
	v_sub_u32_e32 v5, v3, v5
	s_addc_u32 s1, s1, 0
	s_add_i32 s4, s4, -1
	v_mad_u64_u32 v[30:31], s[6:7], v5, s9, v[30:31]
	s_cmp_lg_u32 s4, 0
	v_mov_b32_e32 v3, v1
	v_mad_u64_u32 v[28:29], s[6:7], v5, s8, v[28:29]
	v_mov_b32_e32 v1, v30
	s_cbranch_scc1 .LBB351_126
.LBB351_127:
	s_cbranch_execnz .LBB351_130
.LBB351_128:
	s_load_dwordx4 s[0:3], s[34:35], 0x4
	s_load_dwordx2 s[4:5], s[34:35], 0xc4
	s_cmp_lt_u32 s33, 2
	s_waitcnt lgkmcnt(0)
	v_mul_hi_u32 v1, s1, v32
	v_add_u32_e32 v1, v32, v1
	v_lshrrev_b32_e32 v1, s2, v1
	v_mul_lo_u32 v3, v1, s0
	v_sub_u32_e32 v3, v32, v3
	v_mul_lo_u32 v30, v3, s5
	v_mul_lo_u32 v28, v3, s4
	s_cbranch_scc1 .LBB351_130
; %bb.129:
	s_load_dwordx4 s[0:3], s[34:35], 0x10
	s_load_dwordx2 s[4:5], s[34:35], 0xcc
	s_waitcnt lgkmcnt(0)
	v_mul_hi_u32 v3, s1, v1
	v_add_u32_e32 v3, v1, v3
	v_lshrrev_b32_e32 v3, s2, v3
	v_mul_lo_u32 v3, v3, s0
	v_sub_u32_e32 v1, v1, v3
	v_mad_u64_u32 v[28:29], s[0:1], v1, s4, v[28:29]
	v_mad_u64_u32 v[30:31], s[0:1], v1, s5, v[30:31]
.LBB351_130:
	s_load_dwordx4 s[0:3], s[34:35], 0x148
	s_load_dword s4, s[34:35], 0x158
	s_waitcnt lgkmcnt(0)
	global_load_ubyte v1, v2, s[2:3]
	global_load_ubyte v3, v6, s[2:3]
	;; [unrolled: 1-line block ×8, first 2 shown]
	s_and_b32 s2, s4, 0xff
	s_waitcnt vmcnt(7)
	v_max_u16_e32 v1, s2, v1
	s_waitcnt vmcnt(6)
	v_max_u16_e32 v2, s2, v3
	;; [unrolled: 2-line block ×8, first 2 shown]
	global_store_byte v0, v1, s[0:1]
	global_store_byte v4, v2, s[0:1]
	;; [unrolled: 1-line block ×8, first 2 shown]
	s_endpgm
.LBB351_131:
	v_mov_b32_e32 v2, 0
	v_mov_b32_e32 v0, 0
	s_branch .LBB351_137
.LBB351_132:
	v_mov_b32_e32 v2, 0
	v_mov_b32_e32 v0, 0
	s_branch .LBB351_154
.LBB351_133:
	v_mov_b32_e32 v0, 0
	s_mov_b32 s58, 0
	v_mov_b32_e32 v1, v0
                                        ; implicit-def: $vgpr2
	v_mov_b32_e32 v4, v24
.LBB351_134:
	s_and_b32 s4, s59, 3
	s_cmp_eq_u32 s4, 0
	s_cbranch_scc1 .LBB351_137
; %bb.135:
	s_lshl_b32 s0, s58, 3
	s_add_u32 s0, s34, s0
	s_addc_u32 s1, s35, 0
	s_add_u32 s0, s0, 0xc4
	s_addc_u32 s1, s1, 0
	s_mul_i32 s2, s58, 12
	s_add_u32 s2, s34, s2
	s_addc_u32 s3, s35, 0
.LBB351_136:                            ; =>This Inner Loop Header: Depth=1
	s_load_dwordx2 s[6:7], s[2:3], 0x4
	s_load_dword s5, s[2:3], 0xc
	s_load_dwordx2 s[8:9], s[0:1], 0x0
	v_mov_b32_e32 v2, v1
	s_add_u32 s2, s2, 12
	s_waitcnt lgkmcnt(0)
	v_mul_hi_u32 v1, s7, v4
	v_add_u32_e32 v1, v4, v1
	v_lshrrev_b32_e32 v1, s5, v1
	s_addc_u32 s3, s3, 0
	v_mul_lo_u32 v3, v1, s6
	s_add_u32 s0, s0, 8
	v_sub_u32_e32 v5, v4, v3
	s_addc_u32 s1, s1, 0
	s_add_i32 s4, s4, -1
	v_mov_b32_e32 v4, v1
	v_mad_u64_u32 v[2:3], s[6:7], v5, s9, v[2:3]
	v_mad_u64_u32 v[0:1], s[6:7], v5, s8, v[0:1]
	s_cmp_lg_u32 s4, 0
	v_mov_b32_e32 v1, v2
	s_cbranch_scc1 .LBB351_136
.LBB351_137:
	s_cbranch_execnz .LBB351_140
.LBB351_138:
	s_waitcnt lgkmcnt(0)
	v_mul_hi_u32 v0, s25, v24
	v_add_u32_e32 v0, v24, v0
	v_lshrrev_b32_e32 v1, s26, v0
	v_mul_lo_u32 v0, v1, s24
	v_sub_u32_e32 v0, v24, v0
	v_mul_lo_u32 v2, v0, s21
	s_andn2_b64 vcc, exec, s[42:43]
	v_mul_lo_u32 v0, v0, s20
	s_cbranch_vccnz .LBB351_140
; %bb.139:
	v_mul_hi_u32 v3, s40, v1
	v_add_u32_e32 v3, v1, v3
	v_lshrrev_b32_e32 v3, s41, v3
	v_mul_lo_u32 v3, v3, s27
	v_sub_u32_e32 v3, v1, v3
	v_mad_u64_u32 v[0:1], s[0:1], v3, s22, v[0:1]
	v_mad_u64_u32 v[2:3], s[0:1], v3, s23, v[2:3]
.LBB351_140:
	s_waitcnt lgkmcnt(0)
	global_load_ubyte v1, v2, s[18:19]
	s_and_b32 s0, s55, 0xff
	v_add_u32_e32 v24, 0x80, v24
	s_waitcnt vmcnt(0)
	v_max_u16_e32 v1, s0, v1
	global_store_byte v0, v1, s[16:17]
	s_or_b64 exec, exec, s[48:49]
	v_cmp_gt_i32_e32 vcc, s56, v24
	s_and_saveexec_b64 s[48:49], vcc
	s_cbranch_execnz .LBB351_16
.LBB351_141:
	s_or_b64 exec, exec, s[48:49]
	v_cmp_gt_i32_e32 vcc, s56, v24
	s_and_saveexec_b64 s[48:49], vcc
	s_cbranch_execz .LBB351_158
.LBB351_142:
	s_andn2_b64 vcc, exec, s[36:37]
	s_cbranch_vccnz .LBB351_148
; %bb.143:
	s_andn2_b64 vcc, exec, s[46:47]
	s_cbranch_vccnz .LBB351_149
; %bb.144:
	s_add_i32 s59, s57, 1
	s_cmp_eq_u32 s54, 2
	s_cbranch_scc1 .LBB351_167
; %bb.145:
	s_and_b32 s58, s59, 28
	s_mov_b32 s60, 0
	v_mov_b32_e32 v0, 0
	v_mov_b32_e32 v2, 0
	s_mov_b64 s[50:51], s[34:35]
	s_mov_b64 s[52:53], s[44:45]
	v_mov_b32_e32 v4, v24
.LBB351_146:                            ; =>This Inner Loop Header: Depth=1
	s_load_dwordx8 s[8:15], s[50:51], 0x4
	s_load_dwordx4 s[28:31], s[50:51], 0x24
	s_load_dwordx8 s[0:7], s[52:53], 0x0
	s_add_u32 s50, s50, 48
	s_addc_u32 s51, s51, 0
	s_waitcnt lgkmcnt(0)
	v_mul_hi_u32 v1, s9, v4
	v_add_u32_e32 v1, v4, v1
	v_lshrrev_b32_e32 v1, s10, v1
	v_mul_lo_u32 v3, v1, s8
	v_mul_hi_u32 v5, s12, v1
	v_sub_u32_e32 v3, v4, v3
	v_add_u32_e32 v4, v1, v5
	v_lshrrev_b32_e32 v4, s13, v4
	v_mul_lo_u32 v6, v4, s11
	v_mul_hi_u32 v7, s15, v4
	v_sub_u32_e32 v1, v1, v6
	v_add_u32_e32 v6, v4, v7
	v_mul_lo_u32 v5, v3, s1
	v_mul_lo_u32 v3, v3, s0
	;; [unrolled: 1-line block ×4, first 2 shown]
	v_lshrrev_b32_e32 v6, s28, v6
	v_add3_u32 v0, v3, v0, v1
	v_mul_hi_u32 v3, s30, v6
	v_add3_u32 v1, v5, v2, v7
	v_mul_lo_u32 v2, v6, s14
	v_add_u32_e32 v3, v6, v3
	v_sub_u32_e32 v2, v4, v2
	v_lshrrev_b32_e32 v4, s31, v3
	s_add_i32 s60, s60, 4
	v_mul_lo_u32 v3, v4, s29
	s_add_u32 s52, s52, 32
	v_sub_u32_e32 v3, v6, v3
	s_addc_u32 s53, s53, 0
	v_mul_lo_u32 v5, v2, s4
	v_mul_lo_u32 v2, v2, s5
	;; [unrolled: 1-line block ×4, first 2 shown]
	s_cmp_eq_u32 s58, s60
	v_add3_u32 v2, v2, v1, v3
	v_add3_u32 v0, v5, v0, v6
	s_cbranch_scc0 .LBB351_146
; %bb.147:
	v_mov_b32_e32 v1, v2
	s_branch .LBB351_168
.LBB351_148:
                                        ; implicit-def: $vgpr2
                                        ; implicit-def: $vgpr0
	s_branch .LBB351_172
.LBB351_149:
	v_mov_b32_e32 v2, 0
	v_mov_b32_e32 v0, 0
	s_branch .LBB351_171
.LBB351_150:
	v_mov_b32_e32 v0, 0
	s_mov_b32 s58, 0
	v_mov_b32_e32 v1, v0
                                        ; implicit-def: $vgpr2
	v_mov_b32_e32 v4, v24
.LBB351_151:
	s_and_b32 s4, s59, 3
	s_cmp_eq_u32 s4, 0
	s_cbranch_scc1 .LBB351_154
; %bb.152:
	s_lshl_b32 s0, s58, 3
	s_add_u32 s0, s34, s0
	s_addc_u32 s1, s35, 0
	s_add_u32 s0, s0, 0xc4
	s_addc_u32 s1, s1, 0
	s_mul_i32 s2, s58, 12
	s_add_u32 s2, s34, s2
	s_addc_u32 s3, s35, 0
.LBB351_153:                            ; =>This Inner Loop Header: Depth=1
	s_load_dwordx2 s[6:7], s[2:3], 0x4
	s_load_dword s5, s[2:3], 0xc
	s_load_dwordx2 s[8:9], s[0:1], 0x0
	v_mov_b32_e32 v2, v1
	s_add_u32 s2, s2, 12
	s_waitcnt lgkmcnt(0)
	v_mul_hi_u32 v1, s7, v4
	v_add_u32_e32 v1, v4, v1
	v_lshrrev_b32_e32 v1, s5, v1
	s_addc_u32 s3, s3, 0
	v_mul_lo_u32 v3, v1, s6
	s_add_u32 s0, s0, 8
	v_sub_u32_e32 v5, v4, v3
	s_addc_u32 s1, s1, 0
	s_add_i32 s4, s4, -1
	v_mov_b32_e32 v4, v1
	v_mad_u64_u32 v[2:3], s[6:7], v5, s9, v[2:3]
	v_mad_u64_u32 v[0:1], s[6:7], v5, s8, v[0:1]
	s_cmp_lg_u32 s4, 0
	v_mov_b32_e32 v1, v2
	s_cbranch_scc1 .LBB351_153
.LBB351_154:
	s_cbranch_execnz .LBB351_157
.LBB351_155:
	s_waitcnt lgkmcnt(0)
	v_mul_hi_u32 v0, s25, v24
	v_add_u32_e32 v0, v24, v0
	v_lshrrev_b32_e32 v1, s26, v0
	v_mul_lo_u32 v0, v1, s24
	v_sub_u32_e32 v0, v24, v0
	v_mul_lo_u32 v2, v0, s21
	s_andn2_b64 vcc, exec, s[42:43]
	v_mul_lo_u32 v0, v0, s20
	s_cbranch_vccnz .LBB351_157
; %bb.156:
	v_mul_hi_u32 v3, s40, v1
	v_add_u32_e32 v3, v1, v3
	v_lshrrev_b32_e32 v3, s41, v3
	v_mul_lo_u32 v3, v3, s27
	v_sub_u32_e32 v3, v1, v3
	v_mad_u64_u32 v[0:1], s[0:1], v3, s22, v[0:1]
	v_mad_u64_u32 v[2:3], s[0:1], v3, s23, v[2:3]
.LBB351_157:
	s_waitcnt lgkmcnt(0)
	global_load_ubyte v1, v2, s[18:19]
	s_and_b32 s0, s55, 0xff
	v_add_u32_e32 v24, 0x80, v24
	s_waitcnt vmcnt(0)
	v_max_u16_e32 v1, s0, v1
	global_store_byte v0, v1, s[16:17]
	s_or_b64 exec, exec, s[48:49]
	v_cmp_gt_i32_e32 vcc, s56, v24
	s_and_saveexec_b64 s[48:49], vcc
	s_cbranch_execnz .LBB351_142
.LBB351_158:
	s_or_b64 exec, exec, s[48:49]
	v_cmp_gt_i32_e32 vcc, s56, v24
	s_and_saveexec_b64 s[48:49], vcc
	s_cbranch_execz .LBB351_175
.LBB351_159:
	s_andn2_b64 vcc, exec, s[36:37]
	s_cbranch_vccnz .LBB351_165
; %bb.160:
	s_andn2_b64 vcc, exec, s[46:47]
	s_cbranch_vccnz .LBB351_166
; %bb.161:
	s_add_i32 s59, s57, 1
	s_cmp_eq_u32 s54, 2
	s_cbranch_scc1 .LBB351_184
; %bb.162:
	s_and_b32 s58, s59, 28
	s_mov_b32 s60, 0
	v_mov_b32_e32 v0, 0
	v_mov_b32_e32 v2, 0
	s_mov_b64 s[50:51], s[34:35]
	s_mov_b64 s[52:53], s[44:45]
	v_mov_b32_e32 v4, v24
.LBB351_163:                            ; =>This Inner Loop Header: Depth=1
	s_load_dwordx8 s[8:15], s[50:51], 0x4
	s_load_dwordx4 s[28:31], s[50:51], 0x24
	s_load_dwordx8 s[0:7], s[52:53], 0x0
	s_add_u32 s50, s50, 48
	s_addc_u32 s51, s51, 0
	s_waitcnt lgkmcnt(0)
	v_mul_hi_u32 v1, s9, v4
	v_add_u32_e32 v1, v4, v1
	v_lshrrev_b32_e32 v1, s10, v1
	v_mul_lo_u32 v3, v1, s8
	v_mul_hi_u32 v5, s12, v1
	v_sub_u32_e32 v3, v4, v3
	v_add_u32_e32 v4, v1, v5
	v_lshrrev_b32_e32 v4, s13, v4
	v_mul_lo_u32 v6, v4, s11
	v_mul_hi_u32 v7, s15, v4
	v_sub_u32_e32 v1, v1, v6
	v_add_u32_e32 v6, v4, v7
	v_mul_lo_u32 v5, v3, s1
	v_mul_lo_u32 v3, v3, s0
	v_mul_lo_u32 v7, v1, s3
	v_mul_lo_u32 v1, v1, s2
	v_lshrrev_b32_e32 v6, s28, v6
	v_add3_u32 v0, v3, v0, v1
	v_mul_hi_u32 v3, s30, v6
	v_add3_u32 v1, v5, v2, v7
	v_mul_lo_u32 v2, v6, s14
	v_add_u32_e32 v3, v6, v3
	v_sub_u32_e32 v2, v4, v2
	v_lshrrev_b32_e32 v4, s31, v3
	s_add_i32 s60, s60, 4
	v_mul_lo_u32 v3, v4, s29
	s_add_u32 s52, s52, 32
	v_sub_u32_e32 v3, v6, v3
	s_addc_u32 s53, s53, 0
	v_mul_lo_u32 v5, v2, s4
	v_mul_lo_u32 v2, v2, s5
	;; [unrolled: 1-line block ×4, first 2 shown]
	s_cmp_eq_u32 s58, s60
	v_add3_u32 v2, v2, v1, v3
	v_add3_u32 v0, v5, v0, v6
	s_cbranch_scc0 .LBB351_163
; %bb.164:
	v_mov_b32_e32 v1, v2
	s_branch .LBB351_185
.LBB351_165:
                                        ; implicit-def: $vgpr2
                                        ; implicit-def: $vgpr0
	s_branch .LBB351_189
.LBB351_166:
	v_mov_b32_e32 v2, 0
	v_mov_b32_e32 v0, 0
	s_branch .LBB351_188
.LBB351_167:
	v_mov_b32_e32 v0, 0
	s_mov_b32 s58, 0
	v_mov_b32_e32 v1, v0
                                        ; implicit-def: $vgpr2
	v_mov_b32_e32 v4, v24
.LBB351_168:
	s_and_b32 s4, s59, 3
	s_cmp_eq_u32 s4, 0
	s_cbranch_scc1 .LBB351_171
; %bb.169:
	s_lshl_b32 s0, s58, 3
	s_add_u32 s0, s34, s0
	s_addc_u32 s1, s35, 0
	s_add_u32 s0, s0, 0xc4
	s_addc_u32 s1, s1, 0
	s_mul_i32 s2, s58, 12
	s_add_u32 s2, s34, s2
	s_addc_u32 s3, s35, 0
.LBB351_170:                            ; =>This Inner Loop Header: Depth=1
	s_load_dwordx2 s[6:7], s[2:3], 0x4
	s_load_dword s5, s[2:3], 0xc
	s_load_dwordx2 s[8:9], s[0:1], 0x0
	v_mov_b32_e32 v2, v1
	s_add_u32 s2, s2, 12
	s_waitcnt lgkmcnt(0)
	v_mul_hi_u32 v1, s7, v4
	v_add_u32_e32 v1, v4, v1
	v_lshrrev_b32_e32 v1, s5, v1
	s_addc_u32 s3, s3, 0
	v_mul_lo_u32 v3, v1, s6
	s_add_u32 s0, s0, 8
	v_sub_u32_e32 v5, v4, v3
	s_addc_u32 s1, s1, 0
	s_add_i32 s4, s4, -1
	v_mov_b32_e32 v4, v1
	v_mad_u64_u32 v[2:3], s[6:7], v5, s9, v[2:3]
	v_mad_u64_u32 v[0:1], s[6:7], v5, s8, v[0:1]
	s_cmp_lg_u32 s4, 0
	v_mov_b32_e32 v1, v2
	s_cbranch_scc1 .LBB351_170
.LBB351_171:
	s_cbranch_execnz .LBB351_174
.LBB351_172:
	s_waitcnt lgkmcnt(0)
	v_mul_hi_u32 v0, s25, v24
	v_add_u32_e32 v0, v24, v0
	v_lshrrev_b32_e32 v1, s26, v0
	v_mul_lo_u32 v0, v1, s24
	v_sub_u32_e32 v0, v24, v0
	v_mul_lo_u32 v2, v0, s21
	s_andn2_b64 vcc, exec, s[42:43]
	v_mul_lo_u32 v0, v0, s20
	s_cbranch_vccnz .LBB351_174
; %bb.173:
	v_mul_hi_u32 v3, s40, v1
	v_add_u32_e32 v3, v1, v3
	v_lshrrev_b32_e32 v3, s41, v3
	v_mul_lo_u32 v3, v3, s27
	v_sub_u32_e32 v3, v1, v3
	v_mad_u64_u32 v[0:1], s[0:1], v3, s22, v[0:1]
	v_mad_u64_u32 v[2:3], s[0:1], v3, s23, v[2:3]
.LBB351_174:
	s_waitcnt lgkmcnt(0)
	global_load_ubyte v1, v2, s[18:19]
	s_and_b32 s0, s55, 0xff
	v_add_u32_e32 v24, 0x80, v24
	s_waitcnt vmcnt(0)
	v_max_u16_e32 v1, s0, v1
	global_store_byte v0, v1, s[16:17]
	s_or_b64 exec, exec, s[48:49]
	v_cmp_gt_i32_e32 vcc, s56, v24
	s_and_saveexec_b64 s[48:49], vcc
	s_cbranch_execnz .LBB351_159
.LBB351_175:
	s_or_b64 exec, exec, s[48:49]
	v_cmp_gt_i32_e32 vcc, s56, v24
	s_and_saveexec_b64 s[48:49], vcc
	s_cbranch_execz .LBB351_192
.LBB351_176:
	s_andn2_b64 vcc, exec, s[36:37]
	s_cbranch_vccnz .LBB351_182
; %bb.177:
	s_andn2_b64 vcc, exec, s[46:47]
	s_cbranch_vccnz .LBB351_183
; %bb.178:
	s_add_i32 s59, s57, 1
	s_cmp_eq_u32 s54, 2
	s_cbranch_scc1 .LBB351_201
; %bb.179:
	s_and_b32 s58, s59, 28
	s_mov_b32 s60, 0
	v_mov_b32_e32 v0, 0
	v_mov_b32_e32 v2, 0
	s_mov_b64 s[50:51], s[34:35]
	s_mov_b64 s[52:53], s[44:45]
	v_mov_b32_e32 v4, v24
.LBB351_180:                            ; =>This Inner Loop Header: Depth=1
	s_load_dwordx8 s[8:15], s[50:51], 0x4
	s_load_dwordx4 s[28:31], s[50:51], 0x24
	s_load_dwordx8 s[0:7], s[52:53], 0x0
	s_add_u32 s50, s50, 48
	s_addc_u32 s51, s51, 0
	s_waitcnt lgkmcnt(0)
	v_mul_hi_u32 v1, s9, v4
	v_add_u32_e32 v1, v4, v1
	v_lshrrev_b32_e32 v1, s10, v1
	v_mul_lo_u32 v3, v1, s8
	v_mul_hi_u32 v5, s12, v1
	v_sub_u32_e32 v3, v4, v3
	v_add_u32_e32 v4, v1, v5
	v_lshrrev_b32_e32 v4, s13, v4
	v_mul_lo_u32 v6, v4, s11
	v_mul_hi_u32 v7, s15, v4
	v_sub_u32_e32 v1, v1, v6
	v_add_u32_e32 v6, v4, v7
	v_mul_lo_u32 v5, v3, s1
	v_mul_lo_u32 v3, v3, s0
	;; [unrolled: 1-line block ×4, first 2 shown]
	v_lshrrev_b32_e32 v6, s28, v6
	v_add3_u32 v0, v3, v0, v1
	v_mul_hi_u32 v3, s30, v6
	v_add3_u32 v1, v5, v2, v7
	v_mul_lo_u32 v2, v6, s14
	v_add_u32_e32 v3, v6, v3
	v_sub_u32_e32 v2, v4, v2
	v_lshrrev_b32_e32 v4, s31, v3
	s_add_i32 s60, s60, 4
	v_mul_lo_u32 v3, v4, s29
	s_add_u32 s52, s52, 32
	v_sub_u32_e32 v3, v6, v3
	s_addc_u32 s53, s53, 0
	v_mul_lo_u32 v5, v2, s4
	v_mul_lo_u32 v2, v2, s5
	;; [unrolled: 1-line block ×4, first 2 shown]
	s_cmp_eq_u32 s58, s60
	v_add3_u32 v2, v2, v1, v3
	v_add3_u32 v0, v5, v0, v6
	s_cbranch_scc0 .LBB351_180
; %bb.181:
	v_mov_b32_e32 v1, v2
	s_branch .LBB351_202
.LBB351_182:
                                        ; implicit-def: $vgpr2
                                        ; implicit-def: $vgpr0
	s_branch .LBB351_206
.LBB351_183:
	v_mov_b32_e32 v2, 0
	v_mov_b32_e32 v0, 0
	s_branch .LBB351_205
.LBB351_184:
	v_mov_b32_e32 v0, 0
	s_mov_b32 s58, 0
	v_mov_b32_e32 v1, v0
                                        ; implicit-def: $vgpr2
	v_mov_b32_e32 v4, v24
.LBB351_185:
	s_and_b32 s4, s59, 3
	s_cmp_eq_u32 s4, 0
	s_cbranch_scc1 .LBB351_188
; %bb.186:
	s_lshl_b32 s0, s58, 3
	s_add_u32 s0, s34, s0
	s_addc_u32 s1, s35, 0
	s_add_u32 s0, s0, 0xc4
	s_addc_u32 s1, s1, 0
	s_mul_i32 s2, s58, 12
	s_add_u32 s2, s34, s2
	s_addc_u32 s3, s35, 0
.LBB351_187:                            ; =>This Inner Loop Header: Depth=1
	s_load_dwordx2 s[6:7], s[2:3], 0x4
	s_load_dword s5, s[2:3], 0xc
	s_load_dwordx2 s[8:9], s[0:1], 0x0
	v_mov_b32_e32 v2, v1
	s_add_u32 s2, s2, 12
	s_waitcnt lgkmcnt(0)
	v_mul_hi_u32 v1, s7, v4
	v_add_u32_e32 v1, v4, v1
	v_lshrrev_b32_e32 v1, s5, v1
	s_addc_u32 s3, s3, 0
	v_mul_lo_u32 v3, v1, s6
	s_add_u32 s0, s0, 8
	v_sub_u32_e32 v5, v4, v3
	s_addc_u32 s1, s1, 0
	s_add_i32 s4, s4, -1
	v_mov_b32_e32 v4, v1
	v_mad_u64_u32 v[2:3], s[6:7], v5, s9, v[2:3]
	v_mad_u64_u32 v[0:1], s[6:7], v5, s8, v[0:1]
	s_cmp_lg_u32 s4, 0
	v_mov_b32_e32 v1, v2
	s_cbranch_scc1 .LBB351_187
.LBB351_188:
	s_cbranch_execnz .LBB351_191
.LBB351_189:
	s_waitcnt lgkmcnt(0)
	v_mul_hi_u32 v0, s25, v24
	v_add_u32_e32 v0, v24, v0
	v_lshrrev_b32_e32 v1, s26, v0
	v_mul_lo_u32 v0, v1, s24
	v_sub_u32_e32 v0, v24, v0
	v_mul_lo_u32 v2, v0, s21
	s_andn2_b64 vcc, exec, s[42:43]
	v_mul_lo_u32 v0, v0, s20
	s_cbranch_vccnz .LBB351_191
; %bb.190:
	v_mul_hi_u32 v3, s40, v1
	v_add_u32_e32 v3, v1, v3
	v_lshrrev_b32_e32 v3, s41, v3
	v_mul_lo_u32 v3, v3, s27
	v_sub_u32_e32 v3, v1, v3
	v_mad_u64_u32 v[0:1], s[0:1], v3, s22, v[0:1]
	v_mad_u64_u32 v[2:3], s[0:1], v3, s23, v[2:3]
.LBB351_191:
	s_waitcnt lgkmcnt(0)
	global_load_ubyte v1, v2, s[18:19]
	s_and_b32 s0, s55, 0xff
	v_add_u32_e32 v24, 0x80, v24
	s_waitcnt vmcnt(0)
	v_max_u16_e32 v1, s0, v1
	global_store_byte v0, v1, s[16:17]
	s_or_b64 exec, exec, s[48:49]
	v_cmp_gt_i32_e32 vcc, s56, v24
	s_and_saveexec_b64 s[48:49], vcc
	s_cbranch_execnz .LBB351_176
.LBB351_192:
	s_or_b64 exec, exec, s[48:49]
	v_cmp_gt_i32_e32 vcc, s56, v24
	s_and_saveexec_b64 s[48:49], vcc
	s_cbranch_execz .LBB351_209
.LBB351_193:
	s_andn2_b64 vcc, exec, s[36:37]
	s_cbranch_vccnz .LBB351_199
; %bb.194:
	s_andn2_b64 vcc, exec, s[46:47]
	s_cbranch_vccnz .LBB351_200
; %bb.195:
	s_add_i32 s59, s57, 1
	s_cmp_eq_u32 s54, 2
	s_cbranch_scc1 .LBB351_218
; %bb.196:
	s_and_b32 s58, s59, 28
	s_mov_b32 s60, 0
	v_mov_b32_e32 v0, 0
	v_mov_b32_e32 v2, 0
	s_mov_b64 s[50:51], s[34:35]
	s_mov_b64 s[52:53], s[44:45]
	v_mov_b32_e32 v4, v24
.LBB351_197:                            ; =>This Inner Loop Header: Depth=1
	s_load_dwordx8 s[8:15], s[50:51], 0x4
	s_load_dwordx4 s[28:31], s[50:51], 0x24
	s_load_dwordx8 s[0:7], s[52:53], 0x0
	s_add_u32 s50, s50, 48
	s_addc_u32 s51, s51, 0
	s_waitcnt lgkmcnt(0)
	v_mul_hi_u32 v1, s9, v4
	v_add_u32_e32 v1, v4, v1
	v_lshrrev_b32_e32 v1, s10, v1
	v_mul_lo_u32 v3, v1, s8
	v_mul_hi_u32 v5, s12, v1
	v_sub_u32_e32 v3, v4, v3
	v_add_u32_e32 v4, v1, v5
	v_lshrrev_b32_e32 v4, s13, v4
	v_mul_lo_u32 v6, v4, s11
	v_mul_hi_u32 v7, s15, v4
	v_sub_u32_e32 v1, v1, v6
	v_add_u32_e32 v6, v4, v7
	v_mul_lo_u32 v5, v3, s1
	v_mul_lo_u32 v3, v3, s0
	;; [unrolled: 1-line block ×4, first 2 shown]
	v_lshrrev_b32_e32 v6, s28, v6
	v_add3_u32 v0, v3, v0, v1
	v_mul_hi_u32 v3, s30, v6
	v_add3_u32 v1, v5, v2, v7
	v_mul_lo_u32 v2, v6, s14
	v_add_u32_e32 v3, v6, v3
	v_sub_u32_e32 v2, v4, v2
	v_lshrrev_b32_e32 v4, s31, v3
	s_add_i32 s60, s60, 4
	v_mul_lo_u32 v3, v4, s29
	s_add_u32 s52, s52, 32
	v_sub_u32_e32 v3, v6, v3
	s_addc_u32 s53, s53, 0
	v_mul_lo_u32 v5, v2, s4
	v_mul_lo_u32 v2, v2, s5
	;; [unrolled: 1-line block ×4, first 2 shown]
	s_cmp_eq_u32 s58, s60
	v_add3_u32 v2, v2, v1, v3
	v_add3_u32 v0, v5, v0, v6
	s_cbranch_scc0 .LBB351_197
; %bb.198:
	v_mov_b32_e32 v1, v2
	s_branch .LBB351_219
.LBB351_199:
                                        ; implicit-def: $vgpr2
                                        ; implicit-def: $vgpr0
	s_branch .LBB351_223
.LBB351_200:
	v_mov_b32_e32 v2, 0
	v_mov_b32_e32 v0, 0
	s_branch .LBB351_222
.LBB351_201:
	v_mov_b32_e32 v0, 0
	s_mov_b32 s58, 0
	v_mov_b32_e32 v1, v0
                                        ; implicit-def: $vgpr2
	v_mov_b32_e32 v4, v24
.LBB351_202:
	s_and_b32 s4, s59, 3
	s_cmp_eq_u32 s4, 0
	s_cbranch_scc1 .LBB351_205
; %bb.203:
	s_lshl_b32 s0, s58, 3
	s_add_u32 s0, s34, s0
	s_addc_u32 s1, s35, 0
	s_add_u32 s0, s0, 0xc4
	s_addc_u32 s1, s1, 0
	s_mul_i32 s2, s58, 12
	s_add_u32 s2, s34, s2
	s_addc_u32 s3, s35, 0
.LBB351_204:                            ; =>This Inner Loop Header: Depth=1
	s_load_dwordx2 s[6:7], s[2:3], 0x4
	s_load_dword s5, s[2:3], 0xc
	s_load_dwordx2 s[8:9], s[0:1], 0x0
	v_mov_b32_e32 v2, v1
	s_add_u32 s2, s2, 12
	s_waitcnt lgkmcnt(0)
	v_mul_hi_u32 v1, s7, v4
	v_add_u32_e32 v1, v4, v1
	v_lshrrev_b32_e32 v1, s5, v1
	s_addc_u32 s3, s3, 0
	v_mul_lo_u32 v3, v1, s6
	s_add_u32 s0, s0, 8
	v_sub_u32_e32 v5, v4, v3
	s_addc_u32 s1, s1, 0
	s_add_i32 s4, s4, -1
	v_mov_b32_e32 v4, v1
	v_mad_u64_u32 v[2:3], s[6:7], v5, s9, v[2:3]
	v_mad_u64_u32 v[0:1], s[6:7], v5, s8, v[0:1]
	s_cmp_lg_u32 s4, 0
	v_mov_b32_e32 v1, v2
	s_cbranch_scc1 .LBB351_204
.LBB351_205:
	s_cbranch_execnz .LBB351_208
.LBB351_206:
	s_waitcnt lgkmcnt(0)
	v_mul_hi_u32 v0, s25, v24
	v_add_u32_e32 v0, v24, v0
	v_lshrrev_b32_e32 v1, s26, v0
	v_mul_lo_u32 v0, v1, s24
	v_sub_u32_e32 v0, v24, v0
	v_mul_lo_u32 v2, v0, s21
	s_andn2_b64 vcc, exec, s[42:43]
	v_mul_lo_u32 v0, v0, s20
	s_cbranch_vccnz .LBB351_208
; %bb.207:
	v_mul_hi_u32 v3, s40, v1
	v_add_u32_e32 v3, v1, v3
	v_lshrrev_b32_e32 v3, s41, v3
	v_mul_lo_u32 v3, v3, s27
	v_sub_u32_e32 v3, v1, v3
	v_mad_u64_u32 v[0:1], s[0:1], v3, s22, v[0:1]
	v_mad_u64_u32 v[2:3], s[0:1], v3, s23, v[2:3]
.LBB351_208:
	s_waitcnt lgkmcnt(0)
	global_load_ubyte v1, v2, s[18:19]
	s_and_b32 s0, s55, 0xff
	v_add_u32_e32 v24, 0x80, v24
	s_waitcnt vmcnt(0)
	v_max_u16_e32 v1, s0, v1
	global_store_byte v0, v1, s[16:17]
	s_or_b64 exec, exec, s[48:49]
	v_cmp_gt_i32_e32 vcc, s56, v24
	s_and_saveexec_b64 s[48:49], vcc
	s_cbranch_execnz .LBB351_193
.LBB351_209:
	s_or_b64 exec, exec, s[48:49]
	v_cmp_gt_i32_e32 vcc, s56, v24
	s_and_saveexec_b64 s[48:49], vcc
	s_cbranch_execz .LBB351_226
.LBB351_210:
	s_andn2_b64 vcc, exec, s[36:37]
	s_cbranch_vccnz .LBB351_216
; %bb.211:
	s_andn2_b64 vcc, exec, s[46:47]
	s_cbranch_vccnz .LBB351_217
; %bb.212:
	s_add_i32 s59, s57, 1
	s_cmp_eq_u32 s54, 2
	s_cbranch_scc1 .LBB351_229
; %bb.213:
	s_and_b32 s58, s59, 28
	s_mov_b32 s60, 0
	v_mov_b32_e32 v0, 0
	v_mov_b32_e32 v2, 0
	s_mov_b64 s[50:51], s[34:35]
	s_mov_b64 s[52:53], s[44:45]
	v_mov_b32_e32 v4, v24
.LBB351_214:                            ; =>This Inner Loop Header: Depth=1
	s_load_dwordx8 s[8:15], s[50:51], 0x4
	s_load_dwordx4 s[28:31], s[50:51], 0x24
	s_load_dwordx8 s[0:7], s[52:53], 0x0
	s_add_u32 s50, s50, 48
	s_addc_u32 s51, s51, 0
	s_waitcnt lgkmcnt(0)
	v_mul_hi_u32 v1, s9, v4
	v_add_u32_e32 v1, v4, v1
	v_lshrrev_b32_e32 v1, s10, v1
	v_mul_lo_u32 v3, v1, s8
	v_mul_hi_u32 v5, s12, v1
	v_sub_u32_e32 v3, v4, v3
	v_add_u32_e32 v4, v1, v5
	v_lshrrev_b32_e32 v4, s13, v4
	v_mul_lo_u32 v6, v4, s11
	v_mul_hi_u32 v7, s15, v4
	v_sub_u32_e32 v1, v1, v6
	v_add_u32_e32 v6, v4, v7
	v_mul_lo_u32 v5, v3, s1
	v_mul_lo_u32 v3, v3, s0
	;; [unrolled: 1-line block ×4, first 2 shown]
	v_lshrrev_b32_e32 v6, s28, v6
	v_add3_u32 v0, v3, v0, v1
	v_mul_hi_u32 v3, s30, v6
	v_add3_u32 v1, v5, v2, v7
	v_mul_lo_u32 v2, v6, s14
	v_add_u32_e32 v3, v6, v3
	v_sub_u32_e32 v2, v4, v2
	v_lshrrev_b32_e32 v4, s31, v3
	s_add_i32 s60, s60, 4
	v_mul_lo_u32 v3, v4, s29
	s_add_u32 s52, s52, 32
	v_sub_u32_e32 v3, v6, v3
	s_addc_u32 s53, s53, 0
	v_mul_lo_u32 v5, v2, s4
	v_mul_lo_u32 v2, v2, s5
	;; [unrolled: 1-line block ×4, first 2 shown]
	s_cmp_eq_u32 s58, s60
	v_add3_u32 v2, v2, v1, v3
	v_add3_u32 v0, v5, v0, v6
	s_cbranch_scc0 .LBB351_214
; %bb.215:
	v_mov_b32_e32 v1, v2
	s_branch .LBB351_230
.LBB351_216:
                                        ; implicit-def: $vgpr2
                                        ; implicit-def: $vgpr0
	s_branch .LBB351_234
.LBB351_217:
	v_mov_b32_e32 v2, 0
	v_mov_b32_e32 v0, 0
	s_branch .LBB351_233
.LBB351_218:
	v_mov_b32_e32 v0, 0
	s_mov_b32 s58, 0
	v_mov_b32_e32 v1, v0
                                        ; implicit-def: $vgpr2
	v_mov_b32_e32 v4, v24
.LBB351_219:
	s_and_b32 s4, s59, 3
	s_cmp_eq_u32 s4, 0
	s_cbranch_scc1 .LBB351_222
; %bb.220:
	s_lshl_b32 s0, s58, 3
	s_add_u32 s0, s34, s0
	s_addc_u32 s1, s35, 0
	s_add_u32 s0, s0, 0xc4
	s_addc_u32 s1, s1, 0
	s_mul_i32 s2, s58, 12
	s_add_u32 s2, s34, s2
	s_addc_u32 s3, s35, 0
.LBB351_221:                            ; =>This Inner Loop Header: Depth=1
	s_load_dwordx2 s[6:7], s[2:3], 0x4
	s_load_dword s5, s[2:3], 0xc
	s_load_dwordx2 s[8:9], s[0:1], 0x0
	v_mov_b32_e32 v2, v1
	s_add_u32 s2, s2, 12
	s_waitcnt lgkmcnt(0)
	v_mul_hi_u32 v1, s7, v4
	v_add_u32_e32 v1, v4, v1
	v_lshrrev_b32_e32 v1, s5, v1
	s_addc_u32 s3, s3, 0
	v_mul_lo_u32 v3, v1, s6
	s_add_u32 s0, s0, 8
	v_sub_u32_e32 v5, v4, v3
	s_addc_u32 s1, s1, 0
	s_add_i32 s4, s4, -1
	v_mov_b32_e32 v4, v1
	v_mad_u64_u32 v[2:3], s[6:7], v5, s9, v[2:3]
	v_mad_u64_u32 v[0:1], s[6:7], v5, s8, v[0:1]
	s_cmp_lg_u32 s4, 0
	v_mov_b32_e32 v1, v2
	s_cbranch_scc1 .LBB351_221
.LBB351_222:
	s_cbranch_execnz .LBB351_225
.LBB351_223:
	s_waitcnt lgkmcnt(0)
	v_mul_hi_u32 v0, s25, v24
	v_add_u32_e32 v0, v24, v0
	v_lshrrev_b32_e32 v1, s26, v0
	v_mul_lo_u32 v0, v1, s24
	v_sub_u32_e32 v0, v24, v0
	v_mul_lo_u32 v2, v0, s21
	s_andn2_b64 vcc, exec, s[42:43]
	v_mul_lo_u32 v0, v0, s20
	s_cbranch_vccnz .LBB351_225
; %bb.224:
	v_mul_hi_u32 v3, s40, v1
	v_add_u32_e32 v3, v1, v3
	v_lshrrev_b32_e32 v3, s41, v3
	v_mul_lo_u32 v3, v3, s27
	v_sub_u32_e32 v3, v1, v3
	v_mad_u64_u32 v[0:1], s[0:1], v3, s22, v[0:1]
	v_mad_u64_u32 v[2:3], s[0:1], v3, s23, v[2:3]
.LBB351_225:
	s_waitcnt lgkmcnt(0)
	global_load_ubyte v1, v2, s[18:19]
	s_and_b32 s0, s55, 0xff
	v_add_u32_e32 v24, 0x80, v24
	s_waitcnt vmcnt(0)
	v_max_u16_e32 v1, s0, v1
	global_store_byte v0, v1, s[16:17]
	s_or_b64 exec, exec, s[48:49]
	v_cmp_gt_i32_e32 vcc, s56, v24
	s_and_saveexec_b64 s[48:49], vcc
	s_cbranch_execnz .LBB351_210
.LBB351_226:
	s_or_b64 exec, exec, s[48:49]
	v_cmp_gt_i32_e32 vcc, s56, v24
	s_and_saveexec_b64 s[48:49], vcc
	s_cbranch_execnz .LBB351_237
.LBB351_227:
	s_or_b64 exec, exec, s[48:49]
                                        ; implicit-def: $vgpr32
                                        ; implicit-def: $vgpr24
	s_andn2_saveexec_b64 s[0:1], s[38:39]
	s_cbranch_execnz .LBB351_9
.LBB351_228:
	s_endpgm
.LBB351_229:
	v_mov_b32_e32 v0, 0
	s_mov_b32 s58, 0
	v_mov_b32_e32 v1, v0
                                        ; implicit-def: $vgpr2
	v_mov_b32_e32 v4, v24
.LBB351_230:
	s_and_b32 s4, s59, 3
	s_cmp_eq_u32 s4, 0
	s_cbranch_scc1 .LBB351_233
; %bb.231:
	s_lshl_b32 s0, s58, 3
	s_add_u32 s0, s34, s0
	s_addc_u32 s1, s35, 0
	s_add_u32 s0, s0, 0xc4
	s_addc_u32 s1, s1, 0
	s_mul_i32 s2, s58, 12
	s_add_u32 s2, s34, s2
	s_addc_u32 s3, s35, 0
.LBB351_232:                            ; =>This Inner Loop Header: Depth=1
	s_load_dwordx2 s[6:7], s[2:3], 0x4
	s_load_dword s5, s[2:3], 0xc
	s_load_dwordx2 s[8:9], s[0:1], 0x0
	v_mov_b32_e32 v2, v1
	s_add_u32 s2, s2, 12
	s_waitcnt lgkmcnt(0)
	v_mul_hi_u32 v1, s7, v4
	v_add_u32_e32 v1, v4, v1
	v_lshrrev_b32_e32 v1, s5, v1
	s_addc_u32 s3, s3, 0
	v_mul_lo_u32 v3, v1, s6
	s_add_u32 s0, s0, 8
	v_sub_u32_e32 v5, v4, v3
	s_addc_u32 s1, s1, 0
	s_add_i32 s4, s4, -1
	v_mov_b32_e32 v4, v1
	v_mad_u64_u32 v[2:3], s[6:7], v5, s9, v[2:3]
	v_mad_u64_u32 v[0:1], s[6:7], v5, s8, v[0:1]
	s_cmp_lg_u32 s4, 0
	v_mov_b32_e32 v1, v2
	s_cbranch_scc1 .LBB351_232
.LBB351_233:
	s_cbranch_execnz .LBB351_236
.LBB351_234:
	s_waitcnt lgkmcnt(0)
	v_mul_hi_u32 v0, s25, v24
	v_add_u32_e32 v0, v24, v0
	v_lshrrev_b32_e32 v1, s26, v0
	v_mul_lo_u32 v0, v1, s24
	v_sub_u32_e32 v0, v24, v0
	v_mul_lo_u32 v2, v0, s21
	s_andn2_b64 vcc, exec, s[42:43]
	v_mul_lo_u32 v0, v0, s20
	s_cbranch_vccnz .LBB351_236
; %bb.235:
	v_mul_hi_u32 v3, s40, v1
	v_add_u32_e32 v3, v1, v3
	v_lshrrev_b32_e32 v3, s41, v3
	v_mul_lo_u32 v3, v3, s27
	v_sub_u32_e32 v3, v1, v3
	v_mad_u64_u32 v[0:1], s[0:1], v3, s22, v[0:1]
	v_mad_u64_u32 v[2:3], s[0:1], v3, s23, v[2:3]
.LBB351_236:
	s_waitcnt lgkmcnt(0)
	global_load_ubyte v1, v2, s[18:19]
	s_and_b32 s0, s55, 0xff
	v_add_u32_e32 v24, 0x80, v24
	s_waitcnt vmcnt(0)
	v_max_u16_e32 v1, s0, v1
	global_store_byte v0, v1, s[16:17]
	s_or_b64 exec, exec, s[48:49]
	v_cmp_gt_i32_e32 vcc, s56, v24
	s_and_saveexec_b64 s[48:49], vcc
	s_cbranch_execz .LBB351_227
.LBB351_237:
	s_andn2_b64 vcc, exec, s[36:37]
	s_cbranch_vccnz .LBB351_243
; %bb.238:
	s_andn2_b64 vcc, exec, s[46:47]
	s_cbranch_vccnz .LBB351_244
; %bb.239:
	s_add_i32 s57, s57, 1
	s_cmp_eq_u32 s54, 2
	s_cbranch_scc1 .LBB351_245
; %bb.240:
	s_and_b32 s50, s57, 28
	s_mov_b32 s51, 0
	v_mov_b32_e32 v0, 0
	v_mov_b32_e32 v2, 0
	s_mov_b64 s[46:47], s[34:35]
	v_mov_b32_e32 v4, v24
.LBB351_241:                            ; =>This Inner Loop Header: Depth=1
	s_load_dwordx8 s[8:15], s[46:47], 0x4
	s_load_dwordx4 s[28:31], s[46:47], 0x24
	s_load_dwordx8 s[0:7], s[44:45], 0x0
	s_add_u32 s46, s46, 48
	s_addc_u32 s47, s47, 0
	s_waitcnt lgkmcnt(0)
	v_mul_hi_u32 v1, s9, v4
	v_add_u32_e32 v1, v4, v1
	v_lshrrev_b32_e32 v1, s10, v1
	v_mul_lo_u32 v3, v1, s8
	v_mul_hi_u32 v5, s12, v1
	v_sub_u32_e32 v3, v4, v3
	v_add_u32_e32 v4, v1, v5
	v_lshrrev_b32_e32 v4, s13, v4
	v_mul_lo_u32 v6, v4, s11
	v_mul_hi_u32 v7, s15, v4
	v_sub_u32_e32 v1, v1, v6
	v_add_u32_e32 v6, v4, v7
	v_mul_lo_u32 v5, v3, s1
	v_mul_lo_u32 v3, v3, s0
	;; [unrolled: 1-line block ×4, first 2 shown]
	v_lshrrev_b32_e32 v6, s28, v6
	v_add3_u32 v0, v3, v0, v1
	v_mul_hi_u32 v3, s30, v6
	v_add3_u32 v1, v5, v2, v7
	v_mul_lo_u32 v2, v6, s14
	v_add_u32_e32 v3, v6, v3
	v_sub_u32_e32 v2, v4, v2
	v_lshrrev_b32_e32 v4, s31, v3
	s_add_i32 s51, s51, 4
	v_mul_lo_u32 v3, v4, s29
	s_add_u32 s44, s44, 32
	v_sub_u32_e32 v3, v6, v3
	s_addc_u32 s45, s45, 0
	v_mul_lo_u32 v5, v2, s4
	v_mul_lo_u32 v2, v2, s5
	;; [unrolled: 1-line block ×4, first 2 shown]
	s_cmp_eq_u32 s50, s51
	v_add3_u32 v2, v2, v1, v3
	v_add3_u32 v0, v5, v0, v6
	s_cbranch_scc0 .LBB351_241
; %bb.242:
	v_mov_b32_e32 v1, v2
	s_branch .LBB351_246
.LBB351_243:
                                        ; implicit-def: $vgpr2
                                        ; implicit-def: $vgpr0
	s_branch .LBB351_250
.LBB351_244:
	v_mov_b32_e32 v2, 0
	v_mov_b32_e32 v0, 0
	s_branch .LBB351_249
.LBB351_245:
	v_mov_b32_e32 v0, 0
	s_mov_b32 s50, 0
	v_mov_b32_e32 v1, v0
                                        ; implicit-def: $vgpr2
	v_mov_b32_e32 v4, v24
.LBB351_246:
	s_and_b32 s4, s57, 3
	s_cmp_eq_u32 s4, 0
	s_cbranch_scc1 .LBB351_249
; %bb.247:
	s_lshl_b32 s0, s50, 3
	s_add_u32 s0, s34, s0
	s_addc_u32 s1, s35, 0
	s_add_u32 s0, s0, 0xc4
	s_addc_u32 s1, s1, 0
	s_mul_i32 s2, s50, 12
	s_add_u32 s2, s34, s2
	s_addc_u32 s3, s35, 0
.LBB351_248:                            ; =>This Inner Loop Header: Depth=1
	s_load_dwordx2 s[6:7], s[2:3], 0x4
	s_load_dword s5, s[2:3], 0xc
	s_load_dwordx2 s[8:9], s[0:1], 0x0
	v_mov_b32_e32 v2, v1
	s_add_u32 s2, s2, 12
	s_waitcnt lgkmcnt(0)
	v_mul_hi_u32 v1, s7, v4
	v_add_u32_e32 v1, v4, v1
	v_lshrrev_b32_e32 v1, s5, v1
	s_addc_u32 s3, s3, 0
	v_mul_lo_u32 v3, v1, s6
	s_add_u32 s0, s0, 8
	v_sub_u32_e32 v5, v4, v3
	s_addc_u32 s1, s1, 0
	s_add_i32 s4, s4, -1
	v_mov_b32_e32 v4, v1
	v_mad_u64_u32 v[2:3], s[6:7], v5, s9, v[2:3]
	v_mad_u64_u32 v[0:1], s[6:7], v5, s8, v[0:1]
	s_cmp_lg_u32 s4, 0
	v_mov_b32_e32 v1, v2
	s_cbranch_scc1 .LBB351_248
.LBB351_249:
	s_cbranch_execnz .LBB351_252
.LBB351_250:
	s_waitcnt lgkmcnt(0)
	v_mul_hi_u32 v0, s25, v24
	v_add_u32_e32 v0, v24, v0
	v_lshrrev_b32_e32 v1, s26, v0
	v_mul_lo_u32 v0, v1, s24
	v_sub_u32_e32 v0, v24, v0
	v_mul_lo_u32 v2, v0, s21
	s_andn2_b64 vcc, exec, s[42:43]
	v_mul_lo_u32 v0, v0, s20
	s_cbranch_vccnz .LBB351_252
; %bb.251:
	v_mul_hi_u32 v3, s40, v1
	v_add_u32_e32 v3, v1, v3
	v_lshrrev_b32_e32 v3, s41, v3
	v_mul_lo_u32 v3, v3, s27
	v_sub_u32_e32 v3, v1, v3
	v_mad_u64_u32 v[0:1], s[0:1], v3, s22, v[0:1]
	v_mad_u64_u32 v[2:3], s[0:1], v3, s23, v[2:3]
.LBB351_252:
	s_waitcnt lgkmcnt(0)
	global_load_ubyte v1, v2, s[18:19]
	s_and_b32 s0, s55, 0xff
	s_waitcnt vmcnt(0)
	v_max_u16_e32 v1, s0, v1
	global_store_byte v0, v1, s[16:17]
	s_or_b64 exec, exec, s[48:49]
                                        ; implicit-def: $vgpr32
                                        ; implicit-def: $vgpr24
	s_andn2_saveexec_b64 s[0:1], s[38:39]
	s_cbranch_execz .LBB351_228
	s_branch .LBB351_9
	.section	.rodata,"a",@progbits
	.p2align	6, 0x0
	.amdhsa_kernel _ZN2at6native32elementwise_kernel_manual_unrollILi128ELi8EZNS0_22gpu_kernel_impl_nocastIZZZNS0_21clamp_min_kernel_cudaERNS_18TensorIteratorBaseERKN3c106ScalarEENKUlvE_clEvENKUlvE_clEvEUlhE_EEvS4_RKT_EUlibE_EEviT1_
		.amdhsa_group_segment_fixed_size 0
		.amdhsa_private_segment_fixed_size 0
		.amdhsa_kernarg_size 360
		.amdhsa_user_sgpr_count 2
		.amdhsa_user_sgpr_dispatch_ptr 0
		.amdhsa_user_sgpr_queue_ptr 0
		.amdhsa_user_sgpr_kernarg_segment_ptr 1
		.amdhsa_user_sgpr_dispatch_id 0
		.amdhsa_user_sgpr_kernarg_preload_length 0
		.amdhsa_user_sgpr_kernarg_preload_offset 0
		.amdhsa_user_sgpr_private_segment_size 0
		.amdhsa_uses_dynamic_stack 0
		.amdhsa_enable_private_segment 0
		.amdhsa_system_sgpr_workgroup_id_x 1
		.amdhsa_system_sgpr_workgroup_id_y 0
		.amdhsa_system_sgpr_workgroup_id_z 0
		.amdhsa_system_sgpr_workgroup_info 0
		.amdhsa_system_vgpr_workitem_id 0
		.amdhsa_next_free_vgpr 33
		.amdhsa_next_free_sgpr 61
		.amdhsa_accum_offset 36
		.amdhsa_reserve_vcc 1
		.amdhsa_float_round_mode_32 0
		.amdhsa_float_round_mode_16_64 0
		.amdhsa_float_denorm_mode_32 3
		.amdhsa_float_denorm_mode_16_64 3
		.amdhsa_dx10_clamp 1
		.amdhsa_ieee_mode 1
		.amdhsa_fp16_overflow 0
		.amdhsa_tg_split 0
		.amdhsa_exception_fp_ieee_invalid_op 0
		.amdhsa_exception_fp_denorm_src 0
		.amdhsa_exception_fp_ieee_div_zero 0
		.amdhsa_exception_fp_ieee_overflow 0
		.amdhsa_exception_fp_ieee_underflow 0
		.amdhsa_exception_fp_ieee_inexact 0
		.amdhsa_exception_int_div_zero 0
	.end_amdhsa_kernel
	.section	.text._ZN2at6native32elementwise_kernel_manual_unrollILi128ELi8EZNS0_22gpu_kernel_impl_nocastIZZZNS0_21clamp_min_kernel_cudaERNS_18TensorIteratorBaseERKN3c106ScalarEENKUlvE_clEvENKUlvE_clEvEUlhE_EEvS4_RKT_EUlibE_EEviT1_,"axG",@progbits,_ZN2at6native32elementwise_kernel_manual_unrollILi128ELi8EZNS0_22gpu_kernel_impl_nocastIZZZNS0_21clamp_min_kernel_cudaERNS_18TensorIteratorBaseERKN3c106ScalarEENKUlvE_clEvENKUlvE_clEvEUlhE_EEvS4_RKT_EUlibE_EEviT1_,comdat
.Lfunc_end351:
	.size	_ZN2at6native32elementwise_kernel_manual_unrollILi128ELi8EZNS0_22gpu_kernel_impl_nocastIZZZNS0_21clamp_min_kernel_cudaERNS_18TensorIteratorBaseERKN3c106ScalarEENKUlvE_clEvENKUlvE_clEvEUlhE_EEvS4_RKT_EUlibE_EEviT1_, .Lfunc_end351-_ZN2at6native32elementwise_kernel_manual_unrollILi128ELi8EZNS0_22gpu_kernel_impl_nocastIZZZNS0_21clamp_min_kernel_cudaERNS_18TensorIteratorBaseERKN3c106ScalarEENKUlvE_clEvENKUlvE_clEvEUlhE_EEvS4_RKT_EUlibE_EEviT1_
                                        ; -- End function
	.set _ZN2at6native32elementwise_kernel_manual_unrollILi128ELi8EZNS0_22gpu_kernel_impl_nocastIZZZNS0_21clamp_min_kernel_cudaERNS_18TensorIteratorBaseERKN3c106ScalarEENKUlvE_clEvENKUlvE_clEvEUlhE_EEvS4_RKT_EUlibE_EEviT1_.num_vgpr, 33
	.set _ZN2at6native32elementwise_kernel_manual_unrollILi128ELi8EZNS0_22gpu_kernel_impl_nocastIZZZNS0_21clamp_min_kernel_cudaERNS_18TensorIteratorBaseERKN3c106ScalarEENKUlvE_clEvENKUlvE_clEvEUlhE_EEvS4_RKT_EUlibE_EEviT1_.num_agpr, 0
	.set _ZN2at6native32elementwise_kernel_manual_unrollILi128ELi8EZNS0_22gpu_kernel_impl_nocastIZZZNS0_21clamp_min_kernel_cudaERNS_18TensorIteratorBaseERKN3c106ScalarEENKUlvE_clEvENKUlvE_clEvEUlhE_EEvS4_RKT_EUlibE_EEviT1_.numbered_sgpr, 61
	.set _ZN2at6native32elementwise_kernel_manual_unrollILi128ELi8EZNS0_22gpu_kernel_impl_nocastIZZZNS0_21clamp_min_kernel_cudaERNS_18TensorIteratorBaseERKN3c106ScalarEENKUlvE_clEvENKUlvE_clEvEUlhE_EEvS4_RKT_EUlibE_EEviT1_.num_named_barrier, 0
	.set _ZN2at6native32elementwise_kernel_manual_unrollILi128ELi8EZNS0_22gpu_kernel_impl_nocastIZZZNS0_21clamp_min_kernel_cudaERNS_18TensorIteratorBaseERKN3c106ScalarEENKUlvE_clEvENKUlvE_clEvEUlhE_EEvS4_RKT_EUlibE_EEviT1_.private_seg_size, 0
	.set _ZN2at6native32elementwise_kernel_manual_unrollILi128ELi8EZNS0_22gpu_kernel_impl_nocastIZZZNS0_21clamp_min_kernel_cudaERNS_18TensorIteratorBaseERKN3c106ScalarEENKUlvE_clEvENKUlvE_clEvEUlhE_EEvS4_RKT_EUlibE_EEviT1_.uses_vcc, 1
	.set _ZN2at6native32elementwise_kernel_manual_unrollILi128ELi8EZNS0_22gpu_kernel_impl_nocastIZZZNS0_21clamp_min_kernel_cudaERNS_18TensorIteratorBaseERKN3c106ScalarEENKUlvE_clEvENKUlvE_clEvEUlhE_EEvS4_RKT_EUlibE_EEviT1_.uses_flat_scratch, 0
	.set _ZN2at6native32elementwise_kernel_manual_unrollILi128ELi8EZNS0_22gpu_kernel_impl_nocastIZZZNS0_21clamp_min_kernel_cudaERNS_18TensorIteratorBaseERKN3c106ScalarEENKUlvE_clEvENKUlvE_clEvEUlhE_EEvS4_RKT_EUlibE_EEviT1_.has_dyn_sized_stack, 0
	.set _ZN2at6native32elementwise_kernel_manual_unrollILi128ELi8EZNS0_22gpu_kernel_impl_nocastIZZZNS0_21clamp_min_kernel_cudaERNS_18TensorIteratorBaseERKN3c106ScalarEENKUlvE_clEvENKUlvE_clEvEUlhE_EEvS4_RKT_EUlibE_EEviT1_.has_recursion, 0
	.set _ZN2at6native32elementwise_kernel_manual_unrollILi128ELi8EZNS0_22gpu_kernel_impl_nocastIZZZNS0_21clamp_min_kernel_cudaERNS_18TensorIteratorBaseERKN3c106ScalarEENKUlvE_clEvENKUlvE_clEvEUlhE_EEvS4_RKT_EUlibE_EEviT1_.has_indirect_call, 0
	.section	.AMDGPU.csdata,"",@progbits
; Kernel info:
; codeLenInByte = 11544
; TotalNumSgprs: 67
; NumVgprs: 33
; NumAgprs: 0
; TotalNumVgprs: 33
; ScratchSize: 0
; MemoryBound: 0
; FloatMode: 240
; IeeeMode: 1
; LDSByteSize: 0 bytes/workgroup (compile time only)
; SGPRBlocks: 8
; VGPRBlocks: 4
; NumSGPRsForWavesPerEU: 67
; NumVGPRsForWavesPerEU: 33
; AccumOffset: 36
; Occupancy: 8
; WaveLimiterHint : 1
; COMPUTE_PGM_RSRC2:SCRATCH_EN: 0
; COMPUTE_PGM_RSRC2:USER_SGPR: 2
; COMPUTE_PGM_RSRC2:TRAP_HANDLER: 0
; COMPUTE_PGM_RSRC2:TGID_X_EN: 1
; COMPUTE_PGM_RSRC2:TGID_Y_EN: 0
; COMPUTE_PGM_RSRC2:TGID_Z_EN: 0
; COMPUTE_PGM_RSRC2:TIDIG_COMP_CNT: 0
; COMPUTE_PGM_RSRC3_GFX90A:ACCUM_OFFSET: 8
; COMPUTE_PGM_RSRC3_GFX90A:TG_SPLIT: 0
	.section	.text._ZN2at6native32elementwise_kernel_manual_unrollILi128ELi4EZNS0_15gpu_kernel_implIZZZNS0_21clamp_min_kernel_cudaERNS_18TensorIteratorBaseERKN3c106ScalarEENKUlvE_clEvENKUlvE_clEvEUlhE_EEvS4_RKT_EUlibE_EEviT1_,"axG",@progbits,_ZN2at6native32elementwise_kernel_manual_unrollILi128ELi4EZNS0_15gpu_kernel_implIZZZNS0_21clamp_min_kernel_cudaERNS_18TensorIteratorBaseERKN3c106ScalarEENKUlvE_clEvENKUlvE_clEvEUlhE_EEvS4_RKT_EUlibE_EEviT1_,comdat
	.globl	_ZN2at6native32elementwise_kernel_manual_unrollILi128ELi4EZNS0_15gpu_kernel_implIZZZNS0_21clamp_min_kernel_cudaERNS_18TensorIteratorBaseERKN3c106ScalarEENKUlvE_clEvENKUlvE_clEvEUlhE_EEvS4_RKT_EUlibE_EEviT1_ ; -- Begin function _ZN2at6native32elementwise_kernel_manual_unrollILi128ELi4EZNS0_15gpu_kernel_implIZZZNS0_21clamp_min_kernel_cudaERNS_18TensorIteratorBaseERKN3c106ScalarEENKUlvE_clEvENKUlvE_clEvEUlhE_EEvS4_RKT_EUlibE_EEviT1_
	.p2align	8
	.type	_ZN2at6native32elementwise_kernel_manual_unrollILi128ELi4EZNS0_15gpu_kernel_implIZZZNS0_21clamp_min_kernel_cudaERNS_18TensorIteratorBaseERKN3c106ScalarEENKUlvE_clEvENKUlvE_clEvEUlhE_EEvS4_RKT_EUlibE_EEviT1_,@function
_ZN2at6native32elementwise_kernel_manual_unrollILi128ELi4EZNS0_15gpu_kernel_implIZZZNS0_21clamp_min_kernel_cudaERNS_18TensorIteratorBaseERKN3c106ScalarEENKUlvE_clEvENKUlvE_clEvEUlhE_EEvS4_RKT_EUlibE_EEviT1_: ; @_ZN2at6native32elementwise_kernel_manual_unrollILi128ELi4EZNS0_15gpu_kernel_implIZZZNS0_21clamp_min_kernel_cudaERNS_18TensorIteratorBaseERKN3c106ScalarEENKUlvE_clEvENKUlvE_clEvEUlhE_EEvS4_RKT_EUlibE_EEviT1_
; %bb.0:
	s_load_dword s33, s[0:1], 0x20
	s_load_dwordx2 s[8:9], s[0:1], 0x18
	s_load_dword s38, s[0:1], 0x0
	s_load_dwordx4 s[4:7], s[0:1], 0x8
	v_lshl_or_b32 v10, s2, 9, v0
	v_or_b32_e32 v0, 0x180, v10
	s_waitcnt lgkmcnt(0)
	s_lshr_b32 s42, s33, 8
	s_lshr_b32 s43, s33, 16
	v_cmp_le_i32_e32 vcc, s38, v0
	s_mov_b64 s[2:3], 0
	s_mov_b64 s[12:13], 0
	s_and_saveexec_b64 s[0:1], vcc
	s_xor_b64 s[10:11], exec, s[0:1]
	s_cbranch_execz .LBB352_1011
; %bb.1:
	v_cmp_gt_i32_e32 vcc, s38, v10
	s_mov_b64 s[18:19], -1
	s_mov_b64 s[20:21], 0
	s_mov_b64 s[14:15], 0
	s_and_saveexec_b64 s[16:17], vcc
	s_cbranch_execz .LBB352_248
; %bb.2:
	v_mul_lo_u32 v0, v10, s9
	v_ashrrev_i32_e32 v1, 31, v0
	s_and_b32 s18, s43, 0xff
	s_cmp_lt_i32 s18, 11
	v_lshl_add_u64 v[0:1], s[6:7], 0, v[0:1]
	s_cbranch_scc1 .LBB352_9
; %bb.3:
	s_and_b32 s19, 0xffff, s18
	s_cmp_gt_i32 s19, 25
	s_cbranch_scc0 .LBB352_18
; %bb.4:
	s_cmp_gt_i32 s19, 28
	s_cbranch_scc0 .LBB352_22
; %bb.5:
	;; [unrolled: 3-line block ×4, first 2 shown]
	s_cmp_eq_u32 s19, 46
	s_cbranch_scc0 .LBB352_28
; %bb.8:
	global_load_dword v2, v[0:1], off
	s_mov_b32 s0, 0x2f800000
	s_mov_b32 s1, 0xcf800000
	s_waitcnt vmcnt(0)
	v_lshlrev_b32_e32 v2, 16, v2
	v_trunc_f32_e32 v2, v2
	v_mul_f32_e64 v3, |v2|, s0
	v_floor_f32_e32 v3, v3
	v_fma_f32 v3, v3, s1, |v2|
	v_cvt_u32_f32_e32 v3, v3
	v_ashrrev_i32_e32 v2, 31, v2
	s_mov_b64 s[0:1], -1
	v_xor_b32_e32 v3, v3, v2
	v_sub_u32_e32 v2, v3, v2
	s_branch .LBB352_30
.LBB352_9:
                                        ; implicit-def: $vgpr2
	s_mov_b64 s[0:1], 0
	s_cbranch_execnz .LBB352_199
.LBB352_10:
	s_andn2_b64 vcc, exec, s[0:1]
	s_cbranch_vccnz .LBB352_246
.LBB352_11:
	s_and_b32 s0, s33, 0xff
	s_waitcnt vmcnt(0)
	v_max_u16_sdwa v0, v2, s0 dst_sel:DWORD dst_unused:UNUSED_PAD src0_sel:BYTE_0 src1_sel:DWORD
	v_mul_lo_u32 v2, v10, s8
	v_ashrrev_i32_e32 v3, 31, v2
	s_and_b32 s24, s42, 0xff
	s_cmp_lt_i32 s24, 11
	v_lshl_add_u64 v[2:3], s[4:5], 0, v[2:3]
	s_cbranch_scc1 .LBB352_19
; %bb.12:
	s_and_b32 s25, 0xffff, s24
	s_cmp_gt_i32 s25, 25
	s_cbranch_scc0 .LBB352_23
; %bb.13:
	s_cmp_gt_i32 s25, 28
	s_cbranch_scc0 .LBB352_25
; %bb.14:
	;; [unrolled: 3-line block ×4, first 2 shown]
	s_mov_b64 s[18:19], 0
	s_mov_b64 s[0:1], -1
	s_cmp_eq_u32 s25, 46
	s_mov_b64 s[12:13], 0
	s_cbranch_scc0 .LBB352_34
; %bb.17:
	v_cvt_f32_ubyte0_e32 v1, v0
	v_bfe_u32 v4, v1, 16, 1
	s_movk_i32 s0, 0x7fff
	v_add3_u32 v1, v1, v4, s0
	v_lshrrev_b32_e32 v1, 16, v1
	global_store_dword v[2:3], v1, off
	s_mov_b64 s[12:13], -1
	s_mov_b64 s[0:1], 0
	s_branch .LBB352_34
.LBB352_18:
	s_mov_b64 s[0:1], 0
                                        ; implicit-def: $vgpr2
	s_cbranch_execnz .LBB352_166
	s_branch .LBB352_198
.LBB352_19:
	s_mov_b64 s[0:1], 0
	s_mov_b64 s[12:13], 0
	s_cbranch_execnz .LBB352_103
.LBB352_20:
	s_andn2_b64 vcc, exec, s[12:13]
	s_cbranch_vccnz .LBB352_141
.LBB352_21:
	v_add_u32_e32 v10, 0x80, v10
	s_mov_b64 s[18:19], -1
	s_branch .LBB352_247
.LBB352_22:
	s_mov_b64 s[12:13], -1
	s_mov_b64 s[0:1], 0
                                        ; implicit-def: $vgpr2
	s_branch .LBB352_149
.LBB352_23:
	s_mov_b64 s[18:19], -1
	s_mov_b64 s[0:1], 0
	s_mov_b64 s[12:13], 0
	s_branch .LBB352_61
.LBB352_24:
	s_mov_b64 s[12:13], -1
	s_mov_b64 s[0:1], 0
                                        ; implicit-def: $vgpr2
	s_branch .LBB352_144
.LBB352_25:
	s_mov_b64 s[18:19], -1
	s_mov_b64 s[0:1], 0
	s_mov_b64 s[12:13], 0
	s_branch .LBB352_44
.LBB352_26:
	s_mov_b64 s[12:13], -1
	s_branch .LBB352_29
.LBB352_27:
	s_mov_b64 s[18:19], -1
	s_mov_b64 s[0:1], 0
	s_mov_b64 s[12:13], 0
	s_branch .LBB352_40
.LBB352_28:
	s_mov_b64 s[14:15], -1
.LBB352_29:
	s_mov_b64 s[0:1], 0
                                        ; implicit-def: $vgpr2
.LBB352_30:
	s_and_b64 vcc, exec, s[12:13]
	s_cbranch_vccz .LBB352_143
; %bb.31:
	s_cmp_eq_u32 s19, 44
	s_cbranch_scc0 .LBB352_142
; %bb.32:
	global_load_ubyte v2, v[0:1], off
	s_mov_b32 s0, 0x2f800000
	s_mov_b32 s1, 0xcf800000
	s_mov_b64 s[14:15], 0
	s_waitcnt vmcnt(0)
	v_lshlrev_b32_e32 v3, 23, v2
	v_trunc_f32_e32 v3, v3
	v_mul_f32_e64 v4, |v3|, s0
	v_floor_f32_e32 v4, v4
	v_fma_f32 v4, v4, s1, |v3|
	v_cvt_u32_f32_e32 v4, v4
	v_ashrrev_i32_e32 v3, 31, v3
	v_cmp_ne_u32_e32 vcc, 0, v2
	s_mov_b64 s[0:1], -1
	v_xor_b32_e32 v4, v4, v3
	v_sub_u32_e32 v3, v4, v3
	v_cndmask_b32_e32 v2, 0, v3, vcc
	s_branch .LBB352_143
.LBB352_33:
	s_mov_b64 s[18:19], -1
	s_mov_b64 s[0:1], 0
	s_mov_b64 s[12:13], 0
.LBB352_34:
	s_and_b64 vcc, exec, s[18:19]
	s_cbranch_vccz .LBB352_39
; %bb.35:
	s_cmp_eq_u32 s25, 44
	s_mov_b64 s[0:1], -1
	s_cbranch_scc0 .LBB352_39
; %bb.36:
	v_cvt_f32_ubyte0_e32 v4, v0
	v_lshrrev_b32_e32 v1, 23, v4
	s_movk_i32 s0, 0xff
	v_cmp_ne_u32_e32 vcc, s0, v1
	v_mov_b32_e32 v5, 0xff
	s_and_saveexec_b64 s[12:13], vcc
; %bb.37:
	s_mov_b32 s0, 0x3fffff
	v_and_b32_e32 v5, 0x400000, v4
	v_and_or_b32 v4, v4, s0, v1
	v_cmp_ne_u32_e32 vcc, 0, v5
	v_cmp_ne_u32_e64 s[0:1], 0, v4
	s_and_b64 s[0:1], vcc, s[0:1]
	s_nop 0
	v_cndmask_b32_e64 v4, 0, 1, s[0:1]
	v_add_u32_e32 v5, v1, v4
; %bb.38:
	s_or_b64 exec, exec, s[12:13]
	s_mov_b64 s[12:13], -1
	s_mov_b64 s[0:1], 0
	global_store_byte v[2:3], v5, off
.LBB352_39:
	s_mov_b64 s[18:19], 0
.LBB352_40:
	s_and_b64 vcc, exec, s[18:19]
	s_cbranch_vccz .LBB352_43
; %bb.41:
	s_cmp_eq_u32 s25, 29
	s_mov_b64 s[0:1], -1
	s_cbranch_scc0 .LBB352_43
; %bb.42:
	s_mov_b32 s0, 0
	v_mov_b32_e32 v1, s0
	global_store_dwordx2 v[2:3], v[0:1], off
	s_mov_b64 s[12:13], -1
	s_mov_b64 s[0:1], 0
.LBB352_43:
	s_mov_b64 s[18:19], 0
.LBB352_44:
	s_and_b64 vcc, exec, s[18:19]
	s_cbranch_vccz .LBB352_60
; %bb.45:
	s_cmp_lt_i32 s25, 27
	s_mov_b64 s[12:13], -1
	s_cbranch_scc1 .LBB352_51
; %bb.46:
	s_cmp_gt_i32 s25, 27
	s_cbranch_scc0 .LBB352_48
; %bb.47:
	s_mov_b64 s[12:13], 0
	global_store_dword v[2:3], v0, off
.LBB352_48:
	s_andn2_b64 vcc, exec, s[12:13]
	s_cbranch_vccnz .LBB352_50
; %bb.49:
	global_store_short v[2:3], v0, off
.LBB352_50:
	s_mov_b64 s[12:13], 0
.LBB352_51:
	s_andn2_b64 vcc, exec, s[12:13]
	s_cbranch_vccnz .LBB352_59
; %bb.52:
	v_cvt_f32_ubyte0_e32 v4, v0
	s_mov_b32 s12, 0x43800000
	v_cmp_gt_u32_e32 vcc, s12, v4
	v_mov_b32_e32 v5, 0x80
	s_and_saveexec_b64 s[12:13], vcc
	s_cbranch_execz .LBB352_58
; %bb.53:
	s_mov_b32 s18, 0x3bffffff
	v_cmp_lt_u32_e32 vcc, s18, v4
	s_mov_b64 s[18:19], 0
                                        ; implicit-def: $vgpr1
	s_and_saveexec_b64 s[22:23], vcc
	s_xor_b64 s[22:23], exec, s[22:23]
	s_cbranch_execz .LBB352_275
; %bb.54:
	v_bfe_u32 v1, v4, 20, 1
	s_mov_b32 s26, 0x487ffff
	v_add3_u32 v1, v4, v1, s26
	s_mov_b64 s[18:19], exec
	v_lshrrev_b32_e32 v1, 20, v1
                                        ; implicit-def: $vgpr4
	s_andn2_saveexec_b64 s[22:23], s[22:23]
	s_cbranch_execnz .LBB352_276
.LBB352_55:
	s_or_b64 exec, exec, s[22:23]
	v_mov_b32_e32 v5, 0
	s_and_saveexec_b64 s[22:23], s[18:19]
.LBB352_56:
	v_mov_b32_e32 v5, v1
.LBB352_57:
	s_or_b64 exec, exec, s[22:23]
.LBB352_58:
	s_or_b64 exec, exec, s[12:13]
	global_store_byte v[2:3], v5, off
.LBB352_59:
	s_mov_b64 s[12:13], -1
.LBB352_60:
	s_mov_b64 s[18:19], 0
.LBB352_61:
	s_and_b64 vcc, exec, s[18:19]
	s_cbranch_vccz .LBB352_102
; %bb.62:
	s_cmp_gt_i32 s25, 22
	s_mov_b64 s[18:19], -1
	s_cbranch_scc0 .LBB352_94
; %bb.63:
	s_cmp_lt_i32 s25, 24
	s_mov_b64 s[12:13], -1
	s_cbranch_scc1 .LBB352_83
; %bb.64:
	s_cmp_gt_i32 s25, 24
	s_cbranch_scc0 .LBB352_72
; %bb.65:
	v_cvt_f32_ubyte0_e32 v4, v0
	s_mov_b32 s12, 0x47800000
	v_cmp_gt_u32_e32 vcc, s12, v4
	v_mov_b32_e32 v5, 0x80
	s_and_saveexec_b64 s[12:13], vcc
	s_cbranch_execz .LBB352_71
; %bb.66:
	s_mov_b32 s18, 0x37ffffff
	v_cmp_lt_u32_e32 vcc, s18, v4
	s_mov_b64 s[18:19], 0
                                        ; implicit-def: $vgpr1
	s_and_saveexec_b64 s[22:23], vcc
	s_xor_b64 s[22:23], exec, s[22:23]
	s_cbranch_execz .LBB352_279
; %bb.67:
	v_bfe_u32 v1, v4, 21, 1
	s_mov_b32 s26, 0x88fffff
	v_add3_u32 v1, v4, v1, s26
	s_mov_b64 s[18:19], exec
	v_lshrrev_b32_e32 v1, 21, v1
                                        ; implicit-def: $vgpr4
	s_andn2_saveexec_b64 s[22:23], s[22:23]
	s_cbranch_execnz .LBB352_280
.LBB352_68:
	s_or_b64 exec, exec, s[22:23]
	v_mov_b32_e32 v5, 0
	s_and_saveexec_b64 s[22:23], s[18:19]
.LBB352_69:
	v_mov_b32_e32 v5, v1
.LBB352_70:
	s_or_b64 exec, exec, s[22:23]
.LBB352_71:
	s_or_b64 exec, exec, s[12:13]
	s_mov_b64 s[12:13], 0
	global_store_byte v[2:3], v5, off
.LBB352_72:
	s_and_b64 vcc, exec, s[12:13]
	s_cbranch_vccz .LBB352_82
; %bb.73:
	v_cvt_f32_ubyte0_e32 v1, v0
	s_mov_b32 s12, 0x43f00000
	v_cmp_gt_u32_e32 vcc, s12, v1
                                        ; implicit-def: $vgpr4
	s_and_saveexec_b64 s[12:13], vcc
	s_xor_b64 s[12:13], exec, s[12:13]
	s_cbranch_execz .LBB352_79
; %bb.74:
	s_mov_b32 s18, 0x3c7fffff
	v_cmp_lt_u32_e32 vcc, s18, v1
                                        ; implicit-def: $vgpr4
	s_and_saveexec_b64 s[18:19], vcc
	s_xor_b64 s[18:19], exec, s[18:19]
; %bb.75:
	v_bfe_u32 v4, v1, 20, 1
	s_mov_b32 s22, 0x407ffff
	v_add3_u32 v1, v1, v4, s22
	v_lshrrev_b32_e32 v4, 20, v1
	v_and_b32_e32 v1, 0xff00000, v1
	s_mov_b32 s22, 0x7f00000
	v_mov_b32_e32 v5, 0x7e
	v_cmp_ne_u32_e32 vcc, s22, v1
                                        ; implicit-def: $vgpr1
	s_nop 1
	v_cndmask_b32_e32 v4, v5, v4, vcc
; %bb.76:
	s_andn2_saveexec_b64 s[18:19], s[18:19]
; %bb.77:
	v_add_f32_e32 v4, 0x46800000, v1
; %bb.78:
	s_or_b64 exec, exec, s[18:19]
                                        ; implicit-def: $vgpr1
.LBB352_79:
	s_andn2_saveexec_b64 s[12:13], s[12:13]
; %bb.80:
	s_mov_b32 s18, 0x7f800000
	v_mov_b32_e32 v4, 0x7e
	v_mov_b32_e32 v5, 0x7f
	v_cmp_lt_u32_e32 vcc, s18, v1
	s_nop 1
	v_cndmask_b32_e32 v4, v4, v5, vcc
; %bb.81:
	s_or_b64 exec, exec, s[12:13]
	global_store_byte v[2:3], v4, off
.LBB352_82:
	s_mov_b64 s[12:13], 0
.LBB352_83:
	s_andn2_b64 vcc, exec, s[12:13]
	s_cbranch_vccnz .LBB352_93
; %bb.84:
	v_cvt_f32_ubyte0_e32 v1, v0
	s_mov_b32 s12, 0x47800000
	v_cmp_gt_u32_e32 vcc, s12, v1
                                        ; implicit-def: $vgpr4
	s_and_saveexec_b64 s[12:13], vcc
	s_xor_b64 s[12:13], exec, s[12:13]
	s_cbranch_execz .LBB352_90
; %bb.85:
	s_mov_b32 s18, 0x387fffff
	v_cmp_lt_u32_e32 vcc, s18, v1
                                        ; implicit-def: $vgpr4
	s_and_saveexec_b64 s[18:19], vcc
	s_xor_b64 s[18:19], exec, s[18:19]
; %bb.86:
	v_bfe_u32 v4, v1, 21, 1
	s_mov_b32 s22, 0x80fffff
	v_add3_u32 v1, v1, v4, s22
	v_lshrrev_b32_e32 v4, 21, v1
                                        ; implicit-def: $vgpr1
; %bb.87:
	s_andn2_saveexec_b64 s[18:19], s[18:19]
; %bb.88:
	v_add_f32_e32 v4, 0x43000000, v1
; %bb.89:
	s_or_b64 exec, exec, s[18:19]
                                        ; implicit-def: $vgpr1
.LBB352_90:
	s_andn2_saveexec_b64 s[12:13], s[12:13]
; %bb.91:
	s_mov_b32 s18, 0x7f800000
	v_mov_b32_e32 v4, 0x7c
	v_mov_b32_e32 v5, 0x7f
	v_cmp_lt_u32_e32 vcc, s18, v1
	s_nop 1
	v_cndmask_b32_e32 v4, v4, v5, vcc
; %bb.92:
	s_or_b64 exec, exec, s[12:13]
	global_store_byte v[2:3], v4, off
.LBB352_93:
	s_mov_b64 s[18:19], 0
	s_mov_b64 s[12:13], -1
.LBB352_94:
	s_andn2_b64 vcc, exec, s[18:19]
	s_cbranch_vccnz .LBB352_102
; %bb.95:
	s_cmp_gt_i32 s25, 14
	s_mov_b64 s[18:19], -1
	s_cbranch_scc0 .LBB352_99
; %bb.96:
	s_cmp_eq_u32 s25, 15
	s_mov_b64 s[0:1], -1
	s_cbranch_scc0 .LBB352_98
; %bb.97:
	v_cvt_f32_ubyte0_e32 v1, v0
	v_bfe_u32 v4, v1, 16, 1
	s_movk_i32 s0, 0x7fff
	v_add3_u32 v1, v1, v4, s0
	global_store_short_d16_hi v[2:3], v1, off
	s_mov_b64 s[12:13], -1
	s_mov_b64 s[0:1], 0
.LBB352_98:
	s_mov_b64 s[18:19], 0
.LBB352_99:
	s_and_b64 vcc, exec, s[18:19]
	s_cbranch_vccz .LBB352_102
; %bb.100:
	s_cmp_eq_u32 s25, 11
	s_mov_b64 s[0:1], -1
	s_cbranch_scc0 .LBB352_102
; %bb.101:
	v_cmp_ne_u16_e32 vcc, 0, v0
	s_mov_b64 s[12:13], -1
	s_mov_b64 s[0:1], 0
	v_cndmask_b32_e64 v1, 0, 1, vcc
	global_store_byte v[2:3], v1, off
.LBB352_102:
	s_branch .LBB352_20
.LBB352_103:
	s_and_b32 s18, 0xffff, s24
	s_cmp_lt_i32 s18, 5
	s_mov_b64 s[12:13], -1
	s_cbranch_scc1 .LBB352_124
; %bb.104:
	s_cmp_lt_i32 s18, 8
	s_cbranch_scc1 .LBB352_114
; %bb.105:
	s_cmp_lt_i32 s18, 9
	s_cbranch_scc1 .LBB352_111
; %bb.106:
	s_cmp_gt_i32 s18, 9
	s_cbranch_scc0 .LBB352_108
; %bb.107:
	v_mov_b32_e32 v6, 0
	v_cvt_f64_u32_e32 v[4:5], v0
	v_mov_b32_e32 v7, v6
	global_store_dwordx4 v[2:3], v[4:7], off
	s_mov_b64 s[12:13], 0
.LBB352_108:
	s_andn2_b64 vcc, exec, s[12:13]
	s_cbranch_vccnz .LBB352_110
; %bb.109:
	v_cvt_f32_ubyte0_e32 v4, v0
	v_mov_b32_e32 v5, 0
	global_store_dwordx2 v[2:3], v[4:5], off
.LBB352_110:
	s_mov_b64 s[12:13], 0
.LBB352_111:
	s_andn2_b64 vcc, exec, s[12:13]
	s_cbranch_vccnz .LBB352_113
; %bb.112:
	v_cvt_f16_u16_e32 v1, v0
	global_store_dword v[2:3], v1, off
.LBB352_113:
	s_mov_b64 s[12:13], 0
.LBB352_114:
	s_andn2_b64 vcc, exec, s[12:13]
	s_cbranch_vccnz .LBB352_123
; %bb.115:
	s_cmp_lt_i32 s18, 6
	s_mov_b64 s[12:13], -1
	s_cbranch_scc1 .LBB352_121
; %bb.116:
	s_cmp_gt_i32 s18, 6
	s_cbranch_scc0 .LBB352_118
; %bb.117:
	v_cvt_f64_u32_e32 v[4:5], v0
	global_store_dwordx2 v[2:3], v[4:5], off
	s_mov_b64 s[12:13], 0
.LBB352_118:
	s_andn2_b64 vcc, exec, s[12:13]
	s_cbranch_vccnz .LBB352_120
; %bb.119:
	v_cvt_f32_ubyte0_e32 v1, v0
	global_store_dword v[2:3], v1, off
.LBB352_120:
	s_mov_b64 s[12:13], 0
.LBB352_121:
	s_andn2_b64 vcc, exec, s[12:13]
	s_cbranch_vccnz .LBB352_123
; %bb.122:
	v_cvt_f16_u16_e32 v1, v0
	global_store_short v[2:3], v1, off
.LBB352_123:
	s_mov_b64 s[12:13], 0
.LBB352_124:
	s_andn2_b64 vcc, exec, s[12:13]
	s_cbranch_vccnz .LBB352_140
; %bb.125:
	s_cmp_lt_i32 s18, 2
	s_mov_b64 s[12:13], -1
	s_cbranch_scc1 .LBB352_135
; %bb.126:
	s_cmp_lt_i32 s18, 3
	s_cbranch_scc1 .LBB352_132
; %bb.127:
	s_cmp_gt_i32 s18, 3
	s_cbranch_scc0 .LBB352_129
; %bb.128:
	s_mov_b32 s12, 0
	v_mov_b32_e32 v1, s12
	global_store_dwordx2 v[2:3], v[0:1], off
	s_mov_b64 s[12:13], 0
.LBB352_129:
	s_andn2_b64 vcc, exec, s[12:13]
	s_cbranch_vccnz .LBB352_131
; %bb.130:
	global_store_dword v[2:3], v0, off
.LBB352_131:
	s_mov_b64 s[12:13], 0
.LBB352_132:
	s_andn2_b64 vcc, exec, s[12:13]
	s_cbranch_vccnz .LBB352_134
; %bb.133:
	global_store_short v[2:3], v0, off
.LBB352_134:
	s_mov_b64 s[12:13], 0
.LBB352_135:
	s_andn2_b64 vcc, exec, s[12:13]
	s_cbranch_vccnz .LBB352_140
; %bb.136:
	s_cmp_gt_i32 s18, 0
	s_mov_b64 s[12:13], -1
	s_cbranch_scc0 .LBB352_138
; %bb.137:
	global_store_byte v[2:3], v0, off
	s_mov_b64 s[12:13], 0
.LBB352_138:
	s_andn2_b64 vcc, exec, s[12:13]
	s_cbranch_vccnz .LBB352_140
; %bb.139:
	global_store_byte v[2:3], v0, off
.LBB352_140:
	s_branch .LBB352_21
.LBB352_141:
	s_mov_b64 s[18:19], 0
                                        ; implicit-def: $vgpr10
	s_branch .LBB352_247
.LBB352_142:
	s_mov_b64 s[14:15], -1
                                        ; implicit-def: $vgpr2
.LBB352_143:
	s_mov_b64 s[12:13], 0
.LBB352_144:
	s_and_b64 vcc, exec, s[12:13]
	s_cbranch_vccz .LBB352_148
; %bb.145:
	s_cmp_eq_u32 s19, 29
	s_cbranch_scc0 .LBB352_147
; %bb.146:
	global_load_dwordx2 v[2:3], v[0:1], off
	s_mov_b64 s[0:1], -1
	s_mov_b64 s[14:15], 0
	s_branch .LBB352_148
.LBB352_147:
	s_mov_b64 s[14:15], -1
                                        ; implicit-def: $vgpr2
.LBB352_148:
	s_mov_b64 s[12:13], 0
.LBB352_149:
	s_and_b64 vcc, exec, s[12:13]
	s_cbranch_vccz .LBB352_165
; %bb.150:
	s_cmp_lt_i32 s19, 27
	s_cbranch_scc1 .LBB352_153
; %bb.151:
	s_cmp_gt_i32 s19, 27
	s_cbranch_scc0 .LBB352_154
; %bb.152:
	global_load_dword v2, v[0:1], off
	s_mov_b64 s[0:1], 0
	s_branch .LBB352_155
.LBB352_153:
	s_mov_b64 s[0:1], -1
                                        ; implicit-def: $vgpr2
	s_branch .LBB352_158
.LBB352_154:
	s_mov_b64 s[0:1], -1
                                        ; implicit-def: $vgpr2
.LBB352_155:
	s_andn2_b64 vcc, exec, s[0:1]
	s_cbranch_vccnz .LBB352_157
; %bb.156:
	global_load_ushort v2, v[0:1], off
.LBB352_157:
	s_mov_b64 s[0:1], 0
.LBB352_158:
	s_andn2_b64 vcc, exec, s[0:1]
	s_cbranch_vccnz .LBB352_164
; %bb.159:
	global_load_ubyte v3, v[0:1], off
	s_movk_i32 s0, 0x7f
	s_mov_b64 s[12:13], 0
	s_waitcnt vmcnt(0)
	v_cmp_lt_i16_e32 vcc, s0, v3
	s_and_saveexec_b64 s[0:1], vcc
	s_xor_b64 s[0:1], exec, s[0:1]
	s_cbranch_execz .LBB352_175
; %bb.160:
	s_movk_i32 s12, 0x80
	v_cmp_ne_u16_e32 vcc, s12, v3
	s_and_b64 s[12:13], vcc, exec
	s_andn2_saveexec_b64 s[0:1], s[0:1]
	s_cbranch_execnz .LBB352_176
.LBB352_161:
	s_or_b64 exec, exec, s[0:1]
	v_mov_b32_e32 v2, 0
	s_and_saveexec_b64 s[0:1], s[12:13]
	s_cbranch_execz .LBB352_163
.LBB352_162:
	v_lshlrev_b32_e32 v2, 24, v3
	v_and_b32_e32 v3, 0xffff, v3
	v_and_b32_e32 v4, 7, v3
	v_ffbh_u32_e32 v6, v4
	v_min_u32_e32 v6, 32, v6
	v_subrev_u32_e32 v7, 28, v6
	v_bfe_u32 v5, v3, 3, 4
	v_lshlrev_b32_e32 v3, v7, v3
	v_sub_u32_e32 v6, 29, v6
	v_and_b32_e32 v3, 7, v3
	v_cmp_eq_u32_e32 vcc, 0, v5
	v_and_b32_e32 v2, 0x80000000, v2
	s_mov_b32 s12, 0x2f800000
	v_cndmask_b32_e32 v5, v5, v6, vcc
	v_cndmask_b32_e32 v3, v4, v3, vcc
	v_mov_b32_e32 v4, 0x3b800000
	v_lshlrev_b32_e32 v3, 20, v3
	v_lshl_add_u32 v4, v5, 23, v4
	v_or3_b32 v2, v2, v4, v3
	v_trunc_f32_e32 v2, v2
	v_mul_f32_e64 v3, |v2|, s12
	v_floor_f32_e32 v3, v3
	s_mov_b32 s12, 0xcf800000
	v_fma_f32 v3, v3, s12, |v2|
	v_cvt_u32_f32_e32 v3, v3
	v_ashrrev_i32_e32 v2, 31, v2
	v_xor_b32_e32 v3, v3, v2
	v_sub_u32_e32 v2, v3, v2
.LBB352_163:
	s_or_b64 exec, exec, s[0:1]
.LBB352_164:
	s_mov_b64 s[0:1], -1
.LBB352_165:
	s_branch .LBB352_198
.LBB352_166:
	s_cmp_gt_i32 s19, 22
	s_cbranch_scc0 .LBB352_174
; %bb.167:
	s_cmp_lt_i32 s19, 24
	s_cbranch_scc1 .LBB352_177
; %bb.168:
	s_cmp_gt_i32 s19, 24
	s_cbranch_scc0 .LBB352_178
; %bb.169:
	global_load_ubyte v3, v[0:1], off
	s_movk_i32 s0, 0x7f
	s_mov_b64 s[12:13], 0
	s_waitcnt vmcnt(0)
	v_cmp_lt_i16_e32 vcc, s0, v3
	s_and_saveexec_b64 s[0:1], vcc
	s_xor_b64 s[0:1], exec, s[0:1]
	s_cbranch_execz .LBB352_190
; %bb.170:
	s_movk_i32 s12, 0x80
	v_cmp_ne_u16_e32 vcc, s12, v3
	s_and_b64 s[12:13], vcc, exec
	s_andn2_saveexec_b64 s[0:1], s[0:1]
	s_cbranch_execnz .LBB352_191
.LBB352_171:
	s_or_b64 exec, exec, s[0:1]
	v_mov_b32_e32 v2, 0
	s_and_saveexec_b64 s[0:1], s[12:13]
	s_cbranch_execz .LBB352_173
.LBB352_172:
	v_lshlrev_b32_e32 v2, 24, v3
	v_and_b32_e32 v3, 0xffff, v3
	v_and_b32_e32 v4, 3, v3
	v_ffbh_u32_e32 v6, v4
	v_min_u32_e32 v6, 32, v6
	v_subrev_u32_e32 v7, 29, v6
	v_bfe_u32 v5, v3, 2, 5
	v_lshlrev_b32_e32 v3, v7, v3
	v_sub_u32_e32 v6, 30, v6
	v_and_b32_e32 v3, 3, v3
	v_cmp_eq_u32_e32 vcc, 0, v5
	v_and_b32_e32 v2, 0x80000000, v2
	s_mov_b32 s12, 0x2f800000
	v_cndmask_b32_e32 v5, v5, v6, vcc
	v_cndmask_b32_e32 v3, v4, v3, vcc
	v_mov_b32_e32 v4, 0x37800000
	v_lshlrev_b32_e32 v3, 21, v3
	v_lshl_add_u32 v4, v5, 23, v4
	v_or3_b32 v2, v2, v4, v3
	v_trunc_f32_e32 v2, v2
	v_mul_f32_e64 v3, |v2|, s12
	v_floor_f32_e32 v3, v3
	s_mov_b32 s12, 0xcf800000
	v_fma_f32 v3, v3, s12, |v2|
	v_cvt_u32_f32_e32 v3, v3
	v_ashrrev_i32_e32 v2, 31, v2
	v_xor_b32_e32 v3, v3, v2
	v_sub_u32_e32 v2, v3, v2
.LBB352_173:
	s_or_b64 exec, exec, s[0:1]
	s_mov_b64 s[0:1], 0
	s_branch .LBB352_179
.LBB352_174:
	s_mov_b64 s[12:13], -1
                                        ; implicit-def: $vgpr2
	s_branch .LBB352_185
.LBB352_175:
	s_andn2_saveexec_b64 s[0:1], s[0:1]
	s_cbranch_execz .LBB352_161
.LBB352_176:
	v_cmp_ne_u16_e32 vcc, 0, v3
	s_andn2_b64 s[12:13], s[12:13], exec
	s_and_b64 s[22:23], vcc, exec
	s_or_b64 s[12:13], s[12:13], s[22:23]
	s_or_b64 exec, exec, s[0:1]
	v_mov_b32_e32 v2, 0
	s_and_saveexec_b64 s[0:1], s[12:13]
	s_cbranch_execnz .LBB352_162
	s_branch .LBB352_163
.LBB352_177:
	s_mov_b64 s[0:1], -1
                                        ; implicit-def: $vgpr2
	s_branch .LBB352_182
.LBB352_178:
	s_mov_b64 s[0:1], -1
                                        ; implicit-def: $vgpr2
.LBB352_179:
	s_and_b64 vcc, exec, s[0:1]
	s_cbranch_vccz .LBB352_181
; %bb.180:
	global_load_ubyte v2, v[0:1], off
	s_mov_b32 s0, 0x7f800000
	s_brev_b32 s1, 1
	s_mov_b32 s12, 0x2f800000
	s_waitcnt vmcnt(0)
	v_lshlrev_b32_e32 v2, 24, v2
	v_and_b32_e32 v3, 0x7f000000, v2
	v_ffbh_u32_e32 v4, v3
	v_min_u32_e32 v4, 32, v4
	v_sub_u32_e64 v4, v4, 4 clamp
	v_lshlrev_b32_e32 v6, v4, v3
	v_lshlrev_b32_e32 v4, 23, v4
	v_lshrrev_b32_e32 v6, 4, v6
	v_add_u32_e32 v5, 0x1000000, v3
	v_sub_u32_e32 v4, v6, v4
	v_ashrrev_i32_e32 v5, 8, v5
	v_add_u32_e32 v4, 0x3c000000, v4
	v_and_or_b32 v4, v5, s0, v4
	v_cmp_ne_u32_e32 vcc, 0, v3
	s_mov_b32 s0, 0xcf800000
	s_nop 0
	v_cndmask_b32_e32 v3, 0, v4, vcc
	v_and_or_b32 v2, v2, s1, v3
	v_trunc_f32_e32 v2, v2
	v_mul_f32_e64 v3, |v2|, s12
	v_floor_f32_e32 v3, v3
	v_fma_f32 v3, v3, s0, |v2|
	v_cvt_u32_f32_e32 v3, v3
	v_ashrrev_i32_e32 v2, 31, v2
	v_xor_b32_e32 v3, v3, v2
	v_sub_u32_e32 v2, v3, v2
.LBB352_181:
	s_mov_b64 s[0:1], 0
.LBB352_182:
	s_andn2_b64 vcc, exec, s[0:1]
	s_cbranch_vccnz .LBB352_184
; %bb.183:
	global_load_ubyte v2, v[0:1], off
	s_movk_i32 s0, 0x7f00
	s_brev_b32 s1, 16
	s_brev_b32 s12, 1
	s_mov_b32 s13, 0x2f800000
	s_waitcnt vmcnt(0)
	v_lshlrev_b16_e32 v3, 8, v2
	v_lshlrev_b32_e32 v2, 25, v2
	v_lshrrev_b32_e32 v4, 4, v2
	v_and_or_b32 v5, v3, s0, 0.5
	v_or_b32_e32 v4, 0x70000000, v4
	v_add_f32_e32 v5, -0.5, v5
	v_mul_f32_e32 v4, 0x7800000, v4
	v_cmp_gt_u32_e32 vcc, s1, v2
	v_bfe_i32 v3, v3, 0, 16
	s_mov_b32 s0, 0xcf800000
	v_cndmask_b32_e32 v2, v4, v5, vcc
	v_and_or_b32 v2, v3, s12, v2
	v_trunc_f32_e32 v2, v2
	v_mul_f32_e64 v3, |v2|, s13
	v_floor_f32_e32 v3, v3
	v_fma_f32 v3, v3, s0, |v2|
	v_cvt_u32_f32_e32 v3, v3
	v_ashrrev_i32_e32 v2, 31, v2
	v_xor_b32_e32 v3, v3, v2
	v_sub_u32_e32 v2, v3, v2
.LBB352_184:
	s_mov_b64 s[12:13], 0
	s_mov_b64 s[0:1], -1
.LBB352_185:
	s_andn2_b64 vcc, exec, s[12:13]
	s_cbranch_vccnz .LBB352_198
; %bb.186:
	s_cmp_gt_i32 s19, 14
	s_cbranch_scc0 .LBB352_189
; %bb.187:
	s_cmp_eq_u32 s19, 15
	s_cbranch_scc0 .LBB352_192
; %bb.188:
	global_load_ushort v2, v[0:1], off
	s_mov_b32 s0, 0x2f800000
	s_mov_b32 s1, 0xcf800000
	s_mov_b64 s[14:15], 0
	s_waitcnt vmcnt(0)
	v_lshlrev_b32_e32 v2, 16, v2
	v_trunc_f32_e32 v2, v2
	v_mul_f32_e64 v3, |v2|, s0
	v_floor_f32_e32 v3, v3
	v_fma_f32 v3, v3, s1, |v2|
	v_cvt_u32_f32_e32 v3, v3
	v_ashrrev_i32_e32 v2, 31, v2
	s_mov_b64 s[0:1], -1
	v_xor_b32_e32 v3, v3, v2
	v_sub_u32_e32 v2, v3, v2
	s_branch .LBB352_193
.LBB352_189:
	s_mov_b64 s[12:13], -1
                                        ; implicit-def: $vgpr2
	s_branch .LBB352_194
.LBB352_190:
	s_andn2_saveexec_b64 s[0:1], s[0:1]
	s_cbranch_execz .LBB352_171
.LBB352_191:
	v_cmp_ne_u16_e32 vcc, 0, v3
	s_andn2_b64 s[12:13], s[12:13], exec
	s_and_b64 s[22:23], vcc, exec
	s_or_b64 s[12:13], s[12:13], s[22:23]
	s_or_b64 exec, exec, s[0:1]
	v_mov_b32_e32 v2, 0
	s_and_saveexec_b64 s[0:1], s[12:13]
	s_cbranch_execnz .LBB352_172
	s_branch .LBB352_173
.LBB352_192:
	s_mov_b64 s[14:15], -1
                                        ; implicit-def: $vgpr2
.LBB352_193:
	s_mov_b64 s[12:13], 0
.LBB352_194:
	s_and_b64 vcc, exec, s[12:13]
	s_cbranch_vccz .LBB352_198
; %bb.195:
	s_cmp_eq_u32 s19, 11
	s_cbranch_scc0 .LBB352_197
; %bb.196:
	global_load_ubyte v2, v[0:1], off
	s_mov_b64 s[0:1], -1
	s_mov_b64 s[14:15], 0
	s_waitcnt vmcnt(0)
	v_cmp_ne_u16_e32 vcc, 0, v2
	s_nop 1
	v_cndmask_b32_e64 v2, 0, 1, vcc
	s_branch .LBB352_198
.LBB352_197:
	s_mov_b64 s[14:15], -1
                                        ; implicit-def: $vgpr2
.LBB352_198:
	s_branch .LBB352_10
.LBB352_199:
	s_and_b32 s12, 0xffff, s18
	s_cmp_lt_i32 s12, 5
	s_cbranch_scc1 .LBB352_204
; %bb.200:
	s_cmp_lt_i32 s12, 8
	s_cbranch_scc1 .LBB352_205
; %bb.201:
	;; [unrolled: 3-line block ×3, first 2 shown]
	s_cmp_gt_i32 s12, 9
	s_cbranch_scc0 .LBB352_207
; %bb.203:
	global_load_dwordx2 v[2:3], v[0:1], off
	s_movk_i32 s0, 0xffe0
	s_waitcnt vmcnt(0)
	v_trunc_f64_e32 v[2:3], v[2:3]
	v_ldexp_f64 v[4:5], v[2:3], s0
	v_floor_f64_e32 v[4:5], v[4:5]
	v_fmac_f64_e32 v[2:3], 0xc1f00000, v[4:5]
	v_cvt_u32_f64_e32 v2, v[2:3]
	s_mov_b64 s[0:1], 0
	s_branch .LBB352_208
.LBB352_204:
                                        ; implicit-def: $vgpr2
	s_branch .LBB352_226
.LBB352_205:
	s_mov_b64 s[0:1], -1
                                        ; implicit-def: $vgpr2
	s_branch .LBB352_214
.LBB352_206:
	s_mov_b64 s[0:1], -1
                                        ; implicit-def: $vgpr2
	s_branch .LBB352_211
.LBB352_207:
	s_mov_b64 s[0:1], -1
                                        ; implicit-def: $vgpr2
.LBB352_208:
	s_andn2_b64 vcc, exec, s[0:1]
	s_cbranch_vccnz .LBB352_210
; %bb.209:
	global_load_dword v2, v[0:1], off
	s_mov_b32 s0, 0x2f800000
	s_waitcnt vmcnt(0)
	v_trunc_f32_e32 v2, v2
	v_mul_f32_e64 v3, |v2|, s0
	v_floor_f32_e32 v3, v3
	s_mov_b32 s0, 0xcf800000
	v_fma_f32 v3, v3, s0, |v2|
	v_cvt_u32_f32_e32 v3, v3
	v_ashrrev_i32_e32 v2, 31, v2
	v_xor_b32_e32 v3, v3, v2
	v_sub_u32_e32 v2, v3, v2
.LBB352_210:
	s_mov_b64 s[0:1], 0
.LBB352_211:
	s_andn2_b64 vcc, exec, s[0:1]
	s_cbranch_vccnz .LBB352_213
; %bb.212:
	global_load_dword v2, v[0:1], off
	s_waitcnt vmcnt(0)
	v_cvt_f32_f16_e32 v2, v2
	v_cvt_i32_f32_e32 v2, v2
.LBB352_213:
	s_mov_b64 s[0:1], 0
.LBB352_214:
	s_andn2_b64 vcc, exec, s[0:1]
	s_cbranch_vccnz .LBB352_225
; %bb.215:
	s_cmp_lt_i32 s12, 6
	s_cbranch_scc1 .LBB352_218
; %bb.216:
	s_cmp_gt_i32 s12, 6
	s_cbranch_scc0 .LBB352_219
; %bb.217:
	global_load_dwordx2 v[2:3], v[0:1], off
	s_movk_i32 s0, 0xffe0
	s_waitcnt vmcnt(0)
	v_trunc_f64_e32 v[2:3], v[2:3]
	v_ldexp_f64 v[4:5], v[2:3], s0
	v_floor_f64_e32 v[4:5], v[4:5]
	v_fmac_f64_e32 v[2:3], 0xc1f00000, v[4:5]
	v_cvt_u32_f64_e32 v2, v[2:3]
	s_mov_b64 s[0:1], 0
	s_branch .LBB352_220
.LBB352_218:
	s_mov_b64 s[0:1], -1
                                        ; implicit-def: $vgpr2
	s_branch .LBB352_223
.LBB352_219:
	s_mov_b64 s[0:1], -1
                                        ; implicit-def: $vgpr2
.LBB352_220:
	s_andn2_b64 vcc, exec, s[0:1]
	s_cbranch_vccnz .LBB352_222
; %bb.221:
	global_load_dword v2, v[0:1], off
	s_mov_b32 s0, 0x2f800000
	s_waitcnt vmcnt(0)
	v_trunc_f32_e32 v2, v2
	v_mul_f32_e64 v3, |v2|, s0
	v_floor_f32_e32 v3, v3
	s_mov_b32 s0, 0xcf800000
	v_fma_f32 v3, v3, s0, |v2|
	v_cvt_u32_f32_e32 v3, v3
	v_ashrrev_i32_e32 v2, 31, v2
	v_xor_b32_e32 v3, v3, v2
	v_sub_u32_e32 v2, v3, v2
.LBB352_222:
	s_mov_b64 s[0:1], 0
.LBB352_223:
	s_andn2_b64 vcc, exec, s[0:1]
	s_cbranch_vccnz .LBB352_225
; %bb.224:
	global_load_ushort v2, v[0:1], off
	s_waitcnt vmcnt(0)
	v_cvt_f32_f16_e32 v2, v2
	v_cvt_i32_f32_e32 v2, v2
.LBB352_225:
	s_cbranch_execnz .LBB352_245
.LBB352_226:
	s_cmp_lt_i32 s12, 2
	s_cbranch_scc1 .LBB352_230
; %bb.227:
	s_cmp_lt_i32 s12, 3
	s_cbranch_scc1 .LBB352_231
; %bb.228:
	s_cmp_gt_i32 s12, 3
	s_cbranch_scc0 .LBB352_232
; %bb.229:
	global_load_dwordx2 v[2:3], v[0:1], off
	s_mov_b64 s[0:1], 0
	s_branch .LBB352_233
.LBB352_230:
	s_mov_b64 s[0:1], -1
                                        ; implicit-def: $vgpr2
	s_branch .LBB352_239
.LBB352_231:
	s_mov_b64 s[0:1], -1
                                        ; implicit-def: $vgpr2
	s_branch .LBB352_236
.LBB352_232:
	s_mov_b64 s[0:1], -1
                                        ; implicit-def: $vgpr2
.LBB352_233:
	s_andn2_b64 vcc, exec, s[0:1]
	s_cbranch_vccnz .LBB352_235
; %bb.234:
	global_load_dword v2, v[0:1], off
.LBB352_235:
	s_mov_b64 s[0:1], 0
.LBB352_236:
	s_andn2_b64 vcc, exec, s[0:1]
	s_cbranch_vccnz .LBB352_238
; %bb.237:
	global_load_ushort v2, v[0:1], off
.LBB352_238:
	s_mov_b64 s[0:1], 0
.LBB352_239:
	s_andn2_b64 vcc, exec, s[0:1]
	s_cbranch_vccnz .LBB352_245
; %bb.240:
	s_cmp_gt_i32 s12, 0
	s_cbranch_scc0 .LBB352_242
; %bb.241:
	global_load_ubyte v2, v[0:1], off
	s_mov_b64 s[0:1], 0
	s_branch .LBB352_243
.LBB352_242:
	s_mov_b64 s[0:1], -1
                                        ; implicit-def: $vgpr2
.LBB352_243:
	s_andn2_b64 vcc, exec, s[0:1]
	s_cbranch_vccnz .LBB352_245
; %bb.244:
	global_load_ubyte v2, v[0:1], off
.LBB352_245:
	s_branch .LBB352_11
.LBB352_246:
	s_mov_b64 s[0:1], 0
                                        ; implicit-def: $vgpr10
	s_mov_b64 s[18:19], 0
.LBB352_247:
	s_and_b64 s[12:13], s[0:1], exec
	s_and_b64 s[14:15], s[14:15], exec
	s_orn2_b64 s[18:19], s[18:19], exec
.LBB352_248:
	s_or_b64 exec, exec, s[16:17]
	s_mov_b64 s[22:23], 0
	s_mov_b64 s[0:1], 0
                                        ; implicit-def: $sgpr44
                                        ; implicit-def: $vgpr0_vgpr1
                                        ; implicit-def: $vgpr4
	s_and_saveexec_b64 s[16:17], s[18:19]
	s_cbranch_execz .LBB352_257
; %bb.249:
	v_cmp_gt_i32_e32 vcc, s38, v10
	s_mov_b64 s[0:1], -1
	s_mov_b64 s[18:19], s[14:15]
	s_mov_b64 s[20:21], s[12:13]
	s_and_saveexec_b64 s[22:23], vcc
	s_cbranch_execz .LBB352_505
; %bb.250:
	v_mul_lo_u32 v0, v10, s9
	v_ashrrev_i32_e32 v1, 31, v0
	s_and_b32 s24, s43, 0xff
	s_cmp_lt_i32 s24, 11
	v_lshl_add_u64 v[0:1], s[6:7], 0, v[0:1]
	s_cbranch_scc1 .LBB352_260
; %bb.251:
	s_and_b32 s25, 0xffff, s24
	s_cmp_gt_i32 s25, 25
	s_cbranch_scc0 .LBB352_269
; %bb.252:
	s_cmp_gt_i32 s25, 28
	s_cbranch_scc0 .LBB352_271
; %bb.253:
	;; [unrolled: 3-line block ×4, first 2 shown]
	s_cmp_eq_u32 s25, 46
	s_mov_b64 s[20:21], 0
	s_cbranch_scc0 .LBB352_281
; %bb.256:
	global_load_dword v2, v[0:1], off
	s_mov_b32 s0, 0x2f800000
	s_mov_b32 s1, 0xcf800000
	s_mov_b64 s[18:19], 0
	s_waitcnt vmcnt(0)
	v_lshlrev_b32_e32 v2, 16, v2
	v_trunc_f32_e32 v2, v2
	v_mul_f32_e64 v3, |v2|, s0
	v_floor_f32_e32 v3, v3
	v_fma_f32 v3, v3, s1, |v2|
	v_cvt_u32_f32_e32 v3, v3
	v_ashrrev_i32_e32 v2, 31, v2
	s_mov_b64 s[0:1], -1
	v_xor_b32_e32 v3, v3, v2
	v_sub_u32_e32 v2, v3, v2
	s_branch .LBB352_282
.LBB352_257:
	s_or_b64 exec, exec, s[16:17]
	s_mov_b64 s[16:17], 0
	s_and_saveexec_b64 s[18:19], s[14:15]
	s_cbranch_execnz .LBB352_843
.LBB352_258:
	s_or_b64 exec, exec, s[18:19]
	s_and_saveexec_b64 s[14:15], s[20:21]
	s_xor_b64 s[14:15], exec, s[14:15]
	s_cbranch_execz .LBB352_844
.LBB352_259:
	global_load_ubyte v2, v[0:1], off
	s_or_b64 s[0:1], s[0:1], exec
	s_waitcnt vmcnt(0)
	v_cmp_ne_u16_e32 vcc, 0, v2
	s_nop 1
	v_cndmask_b32_e64 v4, 0, 1, vcc
	s_or_b64 exec, exec, s[14:15]
	s_and_saveexec_b64 s[14:15], s[22:23]
	s_cbranch_execz .LBB352_890
	s_branch .LBB352_845
.LBB352_260:
	s_mov_b64 s[0:1], 0
                                        ; implicit-def: $vgpr2
	s_mov_b64 s[18:19], s[14:15]
	s_cbranch_execnz .LBB352_455
.LBB352_261:
	s_andn2_b64 vcc, exec, s[0:1]
	s_cbranch_vccnz .LBB352_503
.LBB352_262:
	s_and_b32 s0, s33, 0xff
	s_waitcnt vmcnt(0)
	v_max_u16_sdwa v0, v2, s0 dst_sel:DWORD dst_unused:UNUSED_PAD src0_sel:BYTE_0 src1_sel:DWORD
	v_mul_lo_u32 v2, v10, s8
	v_ashrrev_i32_e32 v3, 31, v2
	s_and_b32 s28, s42, 0xff
	s_cmp_lt_i32 s28, 11
	v_lshl_add_u64 v[2:3], s[4:5], 0, v[2:3]
	s_cbranch_scc1 .LBB352_270
; %bb.263:
	s_and_b32 s29, 0xffff, s28
	s_cmp_gt_i32 s29, 25
	s_cbranch_scc0 .LBB352_272
; %bb.264:
	s_cmp_gt_i32 s29, 28
	s_cbranch_scc0 .LBB352_274
; %bb.265:
	;; [unrolled: 3-line block ×4, first 2 shown]
	s_mov_b64 s[24:25], 0
	s_mov_b64 s[0:1], -1
	s_cmp_eq_u32 s29, 46
	s_mov_b64 s[20:21], 0
	s_cbranch_scc0 .LBB352_286
; %bb.268:
	v_cvt_f32_ubyte0_e32 v1, v0
	v_bfe_u32 v4, v1, 16, 1
	s_movk_i32 s0, 0x7fff
	v_add3_u32 v1, v1, v4, s0
	v_lshrrev_b32_e32 v1, 16, v1
	global_store_dword v[2:3], v1, off
	s_mov_b64 s[20:21], -1
	s_mov_b64 s[0:1], 0
	s_branch .LBB352_286
.LBB352_269:
	s_mov_b64 s[20:21], -1
	s_mov_b64 s[0:1], 0
	s_mov_b64 s[18:19], s[14:15]
                                        ; implicit-def: $vgpr2
	s_branch .LBB352_421
.LBB352_270:
	s_mov_b64 s[24:25], -1
	s_mov_b64 s[20:21], 0
	s_mov_b64 s[0:1], s[12:13]
	s_branch .LBB352_355
.LBB352_271:
	s_mov_b64 s[20:21], -1
	s_mov_b64 s[0:1], 0
	s_mov_b64 s[18:19], s[14:15]
                                        ; implicit-def: $vgpr2
	s_branch .LBB352_404
.LBB352_272:
	s_mov_b64 s[24:25], -1
	s_mov_b64 s[20:21], 0
	s_mov_b64 s[0:1], s[12:13]
	s_branch .LBB352_313
.LBB352_273:
	s_mov_b64 s[20:21], -1
	s_mov_b64 s[0:1], 0
	s_mov_b64 s[18:19], s[14:15]
                                        ; implicit-def: $vgpr2
	s_branch .LBB352_399
.LBB352_274:
	s_mov_b64 s[24:25], -1
	s_mov_b64 s[20:21], 0
	s_mov_b64 s[0:1], s[12:13]
	s_branch .LBB352_296
.LBB352_275:
	s_andn2_saveexec_b64 s[22:23], s[22:23]
	s_cbranch_execz .LBB352_55
.LBB352_276:
	v_add_f32_e32 v1, 0x46000000, v4
	v_and_b32_e32 v1, 0xff, v1
	v_cmp_ne_u32_e32 vcc, 0, v1
	s_andn2_b64 s[18:19], s[18:19], exec
	s_and_b64 s[26:27], vcc, exec
	s_or_b64 s[18:19], s[18:19], s[26:27]
	s_or_b64 exec, exec, s[22:23]
	v_mov_b32_e32 v5, 0
	s_and_saveexec_b64 s[22:23], s[18:19]
	s_cbranch_execnz .LBB352_56
	s_branch .LBB352_57
.LBB352_277:
	s_mov_b64 s[20:21], -1
	s_mov_b64 s[0:1], 0
	s_mov_b64 s[18:19], s[14:15]
                                        ; implicit-def: $vgpr2
	s_branch .LBB352_282
.LBB352_278:
	s_mov_b64 s[24:25], -1
	s_mov_b64 s[20:21], 0
	s_mov_b64 s[0:1], s[12:13]
	s_branch .LBB352_292
.LBB352_279:
	s_andn2_saveexec_b64 s[22:23], s[22:23]
	s_cbranch_execz .LBB352_68
.LBB352_280:
	v_add_f32_e32 v1, 0x42800000, v4
	v_and_b32_e32 v1, 0xff, v1
	v_cmp_ne_u32_e32 vcc, 0, v1
	s_andn2_b64 s[18:19], s[18:19], exec
	s_and_b64 s[26:27], vcc, exec
	s_or_b64 s[18:19], s[18:19], s[26:27]
	s_or_b64 exec, exec, s[22:23]
	v_mov_b32_e32 v5, 0
	s_and_saveexec_b64 s[22:23], s[18:19]
	s_cbranch_execnz .LBB352_69
	s_branch .LBB352_70
.LBB352_281:
	s_mov_b64 s[18:19], -1
                                        ; implicit-def: $vgpr2
	s_mov_b64 s[0:1], 0
.LBB352_282:
	s_and_b64 vcc, exec, s[20:21]
	s_cbranch_vccz .LBB352_398
; %bb.283:
	s_cmp_eq_u32 s25, 44
	s_cbranch_scc0 .LBB352_397
; %bb.284:
	global_load_ubyte v2, v[0:1], off
	s_mov_b32 s0, 0x2f800000
	s_mov_b32 s1, 0xcf800000
	s_mov_b64 s[18:19], 0
	s_waitcnt vmcnt(0)
	v_lshlrev_b32_e32 v3, 23, v2
	v_trunc_f32_e32 v3, v3
	v_mul_f32_e64 v4, |v3|, s0
	v_floor_f32_e32 v4, v4
	v_fma_f32 v4, v4, s1, |v3|
	v_cvt_u32_f32_e32 v4, v4
	v_ashrrev_i32_e32 v3, 31, v3
	v_cmp_ne_u32_e32 vcc, 0, v2
	s_mov_b64 s[0:1], -1
	v_xor_b32_e32 v4, v4, v3
	v_sub_u32_e32 v3, v4, v3
	v_cndmask_b32_e32 v2, 0, v3, vcc
	s_branch .LBB352_398
.LBB352_285:
	s_mov_b64 s[24:25], -1
	s_mov_b64 s[20:21], 0
	s_mov_b64 s[0:1], s[12:13]
.LBB352_286:
	s_and_b64 vcc, exec, s[24:25]
	s_cbranch_vccz .LBB352_291
; %bb.287:
	s_cmp_eq_u32 s29, 44
	s_mov_b64 s[0:1], -1
	s_cbranch_scc0 .LBB352_291
; %bb.288:
	v_cvt_f32_ubyte0_e32 v4, v0
	v_lshrrev_b32_e32 v1, 23, v4
	s_movk_i32 s0, 0xff
	v_cmp_ne_u32_e32 vcc, s0, v1
	v_mov_b32_e32 v5, 0xff
	s_and_saveexec_b64 s[20:21], vcc
; %bb.289:
	s_mov_b32 s0, 0x3fffff
	v_and_b32_e32 v5, 0x400000, v4
	v_and_or_b32 v4, v4, s0, v1
	v_cmp_ne_u32_e32 vcc, 0, v5
	v_cmp_ne_u32_e64 s[0:1], 0, v4
	s_and_b64 s[0:1], vcc, s[0:1]
	s_nop 0
	v_cndmask_b32_e64 v4, 0, 1, s[0:1]
	v_add_u32_e32 v5, v1, v4
; %bb.290:
	s_or_b64 exec, exec, s[20:21]
	s_mov_b64 s[20:21], -1
	s_mov_b64 s[0:1], 0
	global_store_byte v[2:3], v5, off
.LBB352_291:
	s_mov_b64 s[24:25], 0
.LBB352_292:
	s_and_b64 vcc, exec, s[24:25]
	s_cbranch_vccz .LBB352_295
; %bb.293:
	s_cmp_eq_u32 s29, 29
	s_mov_b64 s[0:1], -1
	s_cbranch_scc0 .LBB352_295
; %bb.294:
	s_mov_b32 s0, 0
	v_mov_b32_e32 v1, s0
	global_store_dwordx2 v[2:3], v[0:1], off
	s_mov_b64 s[20:21], -1
	s_mov_b64 s[0:1], 0
.LBB352_295:
	s_mov_b64 s[24:25], 0
.LBB352_296:
	s_and_b64 vcc, exec, s[24:25]
	s_cbranch_vccz .LBB352_312
; %bb.297:
	s_cmp_lt_i32 s29, 27
	s_mov_b64 s[20:21], -1
	s_cbranch_scc1 .LBB352_303
; %bb.298:
	s_cmp_gt_i32 s29, 27
	s_cbranch_scc0 .LBB352_300
; %bb.299:
	s_mov_b64 s[20:21], 0
	global_store_dword v[2:3], v0, off
.LBB352_300:
	s_andn2_b64 vcc, exec, s[20:21]
	s_cbranch_vccnz .LBB352_302
; %bb.301:
	global_store_short v[2:3], v0, off
.LBB352_302:
	s_mov_b64 s[20:21], 0
.LBB352_303:
	s_andn2_b64 vcc, exec, s[20:21]
	s_cbranch_vccnz .LBB352_311
; %bb.304:
	v_cvt_f32_ubyte0_e32 v4, v0
	s_mov_b32 s20, 0x43800000
	v_cmp_gt_u32_e32 vcc, s20, v4
	v_mov_b32_e32 v5, 0x80
	s_and_saveexec_b64 s[20:21], vcc
	s_cbranch_execz .LBB352_310
; %bb.305:
	s_mov_b32 s24, 0x3bffffff
	v_cmp_lt_u32_e32 vcc, s24, v4
	s_mov_b64 s[24:25], 0
                                        ; implicit-def: $vgpr1
	s_and_saveexec_b64 s[26:27], vcc
	s_xor_b64 s[26:27], exec, s[26:27]
	s_cbranch_execz .LBB352_518
; %bb.306:
	v_bfe_u32 v1, v4, 20, 1
	s_mov_b32 s30, 0x487ffff
	v_add3_u32 v1, v4, v1, s30
	s_mov_b64 s[24:25], exec
	v_lshrrev_b32_e32 v1, 20, v1
                                        ; implicit-def: $vgpr4
	s_andn2_saveexec_b64 s[26:27], s[26:27]
	s_cbranch_execnz .LBB352_519
.LBB352_307:
	s_or_b64 exec, exec, s[26:27]
	v_mov_b32_e32 v5, 0
	s_and_saveexec_b64 s[26:27], s[24:25]
.LBB352_308:
	v_mov_b32_e32 v5, v1
.LBB352_309:
	s_or_b64 exec, exec, s[26:27]
.LBB352_310:
	s_or_b64 exec, exec, s[20:21]
	global_store_byte v[2:3], v5, off
.LBB352_311:
	s_mov_b64 s[20:21], -1
.LBB352_312:
	s_mov_b64 s[24:25], 0
.LBB352_313:
	s_and_b64 vcc, exec, s[24:25]
	s_cbranch_vccz .LBB352_354
; %bb.314:
	s_cmp_gt_i32 s29, 22
	s_mov_b64 s[24:25], -1
	s_cbranch_scc0 .LBB352_346
; %bb.315:
	s_cmp_lt_i32 s29, 24
	s_mov_b64 s[20:21], -1
	s_cbranch_scc1 .LBB352_335
; %bb.316:
	s_cmp_gt_i32 s29, 24
	s_cbranch_scc0 .LBB352_324
; %bb.317:
	v_cvt_f32_ubyte0_e32 v4, v0
	s_mov_b32 s20, 0x47800000
	v_cmp_gt_u32_e32 vcc, s20, v4
	v_mov_b32_e32 v5, 0x80
	s_and_saveexec_b64 s[20:21], vcc
	s_cbranch_execz .LBB352_323
; %bb.318:
	s_mov_b32 s24, 0x37ffffff
	v_cmp_lt_u32_e32 vcc, s24, v4
	s_mov_b64 s[24:25], 0
                                        ; implicit-def: $vgpr1
	s_and_saveexec_b64 s[26:27], vcc
	s_xor_b64 s[26:27], exec, s[26:27]
	s_cbranch_execz .LBB352_521
; %bb.319:
	v_bfe_u32 v1, v4, 21, 1
	s_mov_b32 s30, 0x88fffff
	v_add3_u32 v1, v4, v1, s30
	s_mov_b64 s[24:25], exec
	v_lshrrev_b32_e32 v1, 21, v1
                                        ; implicit-def: $vgpr4
	s_andn2_saveexec_b64 s[26:27], s[26:27]
	s_cbranch_execnz .LBB352_522
.LBB352_320:
	s_or_b64 exec, exec, s[26:27]
	v_mov_b32_e32 v5, 0
	s_and_saveexec_b64 s[26:27], s[24:25]
.LBB352_321:
	v_mov_b32_e32 v5, v1
.LBB352_322:
	s_or_b64 exec, exec, s[26:27]
.LBB352_323:
	s_or_b64 exec, exec, s[20:21]
	s_mov_b64 s[20:21], 0
	global_store_byte v[2:3], v5, off
.LBB352_324:
	s_and_b64 vcc, exec, s[20:21]
	s_cbranch_vccz .LBB352_334
; %bb.325:
	v_cvt_f32_ubyte0_e32 v1, v0
	s_mov_b32 s20, 0x43f00000
	v_cmp_gt_u32_e32 vcc, s20, v1
                                        ; implicit-def: $vgpr4
	s_and_saveexec_b64 s[20:21], vcc
	s_xor_b64 s[20:21], exec, s[20:21]
	s_cbranch_execz .LBB352_331
; %bb.326:
	s_mov_b32 s24, 0x3c7fffff
	v_cmp_lt_u32_e32 vcc, s24, v1
                                        ; implicit-def: $vgpr4
	s_and_saveexec_b64 s[24:25], vcc
	s_xor_b64 s[24:25], exec, s[24:25]
; %bb.327:
	v_bfe_u32 v4, v1, 20, 1
	s_mov_b32 s26, 0x407ffff
	v_add3_u32 v1, v1, v4, s26
	v_lshrrev_b32_e32 v4, 20, v1
	v_and_b32_e32 v1, 0xff00000, v1
	s_mov_b32 s26, 0x7f00000
	v_mov_b32_e32 v5, 0x7e
	v_cmp_ne_u32_e32 vcc, s26, v1
                                        ; implicit-def: $vgpr1
	s_nop 1
	v_cndmask_b32_e32 v4, v5, v4, vcc
; %bb.328:
	s_andn2_saveexec_b64 s[24:25], s[24:25]
; %bb.329:
	v_add_f32_e32 v4, 0x46800000, v1
; %bb.330:
	s_or_b64 exec, exec, s[24:25]
                                        ; implicit-def: $vgpr1
.LBB352_331:
	s_andn2_saveexec_b64 s[20:21], s[20:21]
; %bb.332:
	s_mov_b32 s24, 0x7f800000
	v_mov_b32_e32 v4, 0x7e
	v_mov_b32_e32 v5, 0x7f
	v_cmp_lt_u32_e32 vcc, s24, v1
	s_nop 1
	v_cndmask_b32_e32 v4, v4, v5, vcc
; %bb.333:
	s_or_b64 exec, exec, s[20:21]
	global_store_byte v[2:3], v4, off
.LBB352_334:
	s_mov_b64 s[20:21], 0
.LBB352_335:
	s_andn2_b64 vcc, exec, s[20:21]
	s_cbranch_vccnz .LBB352_345
; %bb.336:
	v_cvt_f32_ubyte0_e32 v1, v0
	s_mov_b32 s20, 0x47800000
	v_cmp_gt_u32_e32 vcc, s20, v1
                                        ; implicit-def: $vgpr4
	s_and_saveexec_b64 s[20:21], vcc
	s_xor_b64 s[20:21], exec, s[20:21]
	s_cbranch_execz .LBB352_342
; %bb.337:
	s_mov_b32 s24, 0x387fffff
	v_cmp_lt_u32_e32 vcc, s24, v1
                                        ; implicit-def: $vgpr4
	s_and_saveexec_b64 s[24:25], vcc
	s_xor_b64 s[24:25], exec, s[24:25]
; %bb.338:
	v_bfe_u32 v4, v1, 21, 1
	s_mov_b32 s26, 0x80fffff
	v_add3_u32 v1, v1, v4, s26
	v_lshrrev_b32_e32 v4, 21, v1
                                        ; implicit-def: $vgpr1
; %bb.339:
	s_andn2_saveexec_b64 s[24:25], s[24:25]
; %bb.340:
	v_add_f32_e32 v4, 0x43000000, v1
; %bb.341:
	s_or_b64 exec, exec, s[24:25]
                                        ; implicit-def: $vgpr1
.LBB352_342:
	s_andn2_saveexec_b64 s[20:21], s[20:21]
; %bb.343:
	s_mov_b32 s24, 0x7f800000
	v_mov_b32_e32 v4, 0x7c
	v_mov_b32_e32 v5, 0x7f
	v_cmp_lt_u32_e32 vcc, s24, v1
	s_nop 1
	v_cndmask_b32_e32 v4, v4, v5, vcc
; %bb.344:
	s_or_b64 exec, exec, s[20:21]
	global_store_byte v[2:3], v4, off
.LBB352_345:
	s_mov_b64 s[24:25], 0
	s_mov_b64 s[20:21], -1
.LBB352_346:
	s_andn2_b64 vcc, exec, s[24:25]
	s_cbranch_vccnz .LBB352_354
; %bb.347:
	s_cmp_gt_i32 s29, 14
	s_mov_b64 s[24:25], -1
	s_cbranch_scc0 .LBB352_351
; %bb.348:
	s_cmp_eq_u32 s29, 15
	s_mov_b64 s[0:1], -1
	s_cbranch_scc0 .LBB352_350
; %bb.349:
	v_cvt_f32_ubyte0_e32 v1, v0
	v_bfe_u32 v4, v1, 16, 1
	s_movk_i32 s0, 0x7fff
	v_add3_u32 v1, v1, v4, s0
	global_store_short_d16_hi v[2:3], v1, off
	s_mov_b64 s[20:21], -1
	s_mov_b64 s[0:1], 0
.LBB352_350:
	s_mov_b64 s[24:25], 0
.LBB352_351:
	s_and_b64 vcc, exec, s[24:25]
	s_cbranch_vccz .LBB352_354
; %bb.352:
	s_cmp_eq_u32 s29, 11
	s_mov_b64 s[0:1], -1
	s_cbranch_scc0 .LBB352_354
; %bb.353:
	v_cmp_ne_u16_e32 vcc, 0, v0
	s_mov_b64 s[20:21], -1
	s_mov_b64 s[0:1], 0
	v_cndmask_b32_e64 v1, 0, 1, vcc
	global_store_byte v[2:3], v1, off
.LBB352_354:
	s_mov_b64 s[24:25], 0
.LBB352_355:
	s_and_b64 vcc, exec, s[24:25]
	s_cbranch_vccz .LBB352_394
; %bb.356:
	s_and_b32 s24, 0xffff, s28
	s_cmp_lt_i32 s24, 5
	s_mov_b64 s[20:21], -1
	s_cbranch_scc1 .LBB352_377
; %bb.357:
	s_cmp_lt_i32 s24, 8
	s_cbranch_scc1 .LBB352_367
; %bb.358:
	s_cmp_lt_i32 s24, 9
	s_cbranch_scc1 .LBB352_364
; %bb.359:
	s_cmp_gt_i32 s24, 9
	s_cbranch_scc0 .LBB352_361
; %bb.360:
	v_mov_b32_e32 v6, 0
	v_cvt_f64_u32_e32 v[4:5], v0
	v_mov_b32_e32 v7, v6
	s_mov_b64 s[20:21], 0
	global_store_dwordx4 v[2:3], v[4:7], off
.LBB352_361:
	s_andn2_b64 vcc, exec, s[20:21]
	s_cbranch_vccnz .LBB352_363
; %bb.362:
	v_cvt_f32_ubyte0_e32 v4, v0
	v_mov_b32_e32 v5, 0
	global_store_dwordx2 v[2:3], v[4:5], off
.LBB352_363:
	s_mov_b64 s[20:21], 0
.LBB352_364:
	s_andn2_b64 vcc, exec, s[20:21]
	s_cbranch_vccnz .LBB352_366
; %bb.365:
	v_cvt_f16_u16_e32 v1, v0
	global_store_dword v[2:3], v1, off
.LBB352_366:
	s_mov_b64 s[20:21], 0
.LBB352_367:
	s_andn2_b64 vcc, exec, s[20:21]
	s_cbranch_vccnz .LBB352_376
; %bb.368:
	s_cmp_lt_i32 s24, 6
	s_mov_b64 s[20:21], -1
	s_cbranch_scc1 .LBB352_374
; %bb.369:
	s_cmp_gt_i32 s24, 6
	s_cbranch_scc0 .LBB352_371
; %bb.370:
	v_cvt_f64_u32_e32 v[4:5], v0
	s_mov_b64 s[20:21], 0
	global_store_dwordx2 v[2:3], v[4:5], off
.LBB352_371:
	s_andn2_b64 vcc, exec, s[20:21]
	s_cbranch_vccnz .LBB352_373
; %bb.372:
	v_cvt_f32_ubyte0_e32 v1, v0
	global_store_dword v[2:3], v1, off
.LBB352_373:
	s_mov_b64 s[20:21], 0
.LBB352_374:
	s_andn2_b64 vcc, exec, s[20:21]
	s_cbranch_vccnz .LBB352_376
; %bb.375:
	v_cvt_f16_u16_e32 v1, v0
	global_store_short v[2:3], v1, off
.LBB352_376:
	s_mov_b64 s[20:21], 0
.LBB352_377:
	s_andn2_b64 vcc, exec, s[20:21]
	s_cbranch_vccnz .LBB352_393
; %bb.378:
	s_cmp_lt_i32 s24, 2
	s_mov_b64 s[20:21], -1
	s_cbranch_scc1 .LBB352_388
; %bb.379:
	s_cmp_lt_i32 s24, 3
	s_cbranch_scc1 .LBB352_385
; %bb.380:
	s_cmp_gt_i32 s24, 3
	s_cbranch_scc0 .LBB352_382
; %bb.381:
	s_mov_b32 s20, 0
	v_mov_b32_e32 v1, s20
	s_mov_b64 s[20:21], 0
	global_store_dwordx2 v[2:3], v[0:1], off
.LBB352_382:
	s_andn2_b64 vcc, exec, s[20:21]
	s_cbranch_vccnz .LBB352_384
; %bb.383:
	global_store_dword v[2:3], v0, off
.LBB352_384:
	s_mov_b64 s[20:21], 0
.LBB352_385:
	s_andn2_b64 vcc, exec, s[20:21]
	s_cbranch_vccnz .LBB352_387
; %bb.386:
	global_store_short v[2:3], v0, off
.LBB352_387:
	s_mov_b64 s[20:21], 0
.LBB352_388:
	s_andn2_b64 vcc, exec, s[20:21]
	s_cbranch_vccnz .LBB352_393
; %bb.389:
	s_cmp_gt_i32 s24, 0
	s_mov_b64 s[20:21], -1
	s_cbranch_scc0 .LBB352_391
; %bb.390:
	s_mov_b64 s[20:21], 0
	global_store_byte v[2:3], v0, off
.LBB352_391:
	s_andn2_b64 vcc, exec, s[20:21]
	s_cbranch_vccnz .LBB352_393
; %bb.392:
	global_store_byte v[2:3], v0, off
.LBB352_393:
	s_mov_b64 s[20:21], -1
.LBB352_394:
	s_andn2_b64 vcc, exec, s[20:21]
	s_cbranch_vccnz .LBB352_396
; %bb.395:
	v_add_u32_e32 v10, 0x80, v10
	s_mov_b64 s[24:25], -1
	s_branch .LBB352_504
.LBB352_396:
	s_mov_b64 s[24:25], 0
                                        ; implicit-def: $vgpr10
	s_branch .LBB352_504
.LBB352_397:
	s_mov_b64 s[18:19], -1
                                        ; implicit-def: $vgpr2
.LBB352_398:
	s_mov_b64 s[20:21], 0
.LBB352_399:
	s_and_b64 vcc, exec, s[20:21]
	s_cbranch_vccz .LBB352_403
; %bb.400:
	s_cmp_eq_u32 s25, 29
	s_cbranch_scc0 .LBB352_402
; %bb.401:
	global_load_dwordx2 v[2:3], v[0:1], off
	s_mov_b64 s[0:1], -1
	s_mov_b64 s[18:19], 0
	s_branch .LBB352_403
.LBB352_402:
	s_mov_b64 s[18:19], -1
                                        ; implicit-def: $vgpr2
.LBB352_403:
	s_mov_b64 s[20:21], 0
.LBB352_404:
	s_and_b64 vcc, exec, s[20:21]
	s_cbranch_vccz .LBB352_420
; %bb.405:
	s_cmp_lt_i32 s25, 27
	s_cbranch_scc1 .LBB352_408
; %bb.406:
	s_cmp_gt_i32 s25, 27
	s_cbranch_scc0 .LBB352_409
; %bb.407:
	global_load_dword v2, v[0:1], off
	s_mov_b64 s[0:1], 0
	s_branch .LBB352_410
.LBB352_408:
	s_mov_b64 s[0:1], -1
                                        ; implicit-def: $vgpr2
	s_branch .LBB352_413
.LBB352_409:
	s_mov_b64 s[0:1], -1
                                        ; implicit-def: $vgpr2
.LBB352_410:
	s_andn2_b64 vcc, exec, s[0:1]
	s_cbranch_vccnz .LBB352_412
; %bb.411:
	global_load_ushort v2, v[0:1], off
.LBB352_412:
	s_mov_b64 s[0:1], 0
.LBB352_413:
	s_andn2_b64 vcc, exec, s[0:1]
	s_cbranch_vccnz .LBB352_419
; %bb.414:
	global_load_ubyte v3, v[0:1], off
	s_movk_i32 s0, 0x7f
	s_mov_b64 s[20:21], 0
	s_waitcnt vmcnt(0)
	v_cmp_lt_i16_e32 vcc, s0, v3
	s_and_saveexec_b64 s[0:1], vcc
	s_xor_b64 s[0:1], exec, s[0:1]
	s_cbranch_execz .LBB352_431
; %bb.415:
	s_movk_i32 s20, 0x80
	v_cmp_ne_u16_e32 vcc, s20, v3
	s_and_b64 s[20:21], vcc, exec
	s_andn2_saveexec_b64 s[0:1], s[0:1]
	s_cbranch_execnz .LBB352_432
.LBB352_416:
	s_or_b64 exec, exec, s[0:1]
	v_mov_b32_e32 v2, 0
	s_and_saveexec_b64 s[0:1], s[20:21]
	s_cbranch_execz .LBB352_418
.LBB352_417:
	v_lshlrev_b32_e32 v2, 24, v3
	v_and_b32_e32 v3, 0xffff, v3
	v_and_b32_e32 v4, 7, v3
	v_ffbh_u32_e32 v6, v4
	v_min_u32_e32 v6, 32, v6
	v_subrev_u32_e32 v7, 28, v6
	v_bfe_u32 v5, v3, 3, 4
	v_lshlrev_b32_e32 v3, v7, v3
	v_sub_u32_e32 v6, 29, v6
	v_and_b32_e32 v3, 7, v3
	v_cmp_eq_u32_e32 vcc, 0, v5
	v_and_b32_e32 v2, 0x80000000, v2
	s_mov_b32 s20, 0x2f800000
	v_cndmask_b32_e32 v5, v5, v6, vcc
	v_cndmask_b32_e32 v3, v4, v3, vcc
	v_mov_b32_e32 v4, 0x3b800000
	v_lshlrev_b32_e32 v3, 20, v3
	v_lshl_add_u32 v4, v5, 23, v4
	v_or3_b32 v2, v2, v4, v3
	v_trunc_f32_e32 v2, v2
	v_mul_f32_e64 v3, |v2|, s20
	v_floor_f32_e32 v3, v3
	s_mov_b32 s20, 0xcf800000
	v_fma_f32 v3, v3, s20, |v2|
	v_cvt_u32_f32_e32 v3, v3
	v_ashrrev_i32_e32 v2, 31, v2
	v_xor_b32_e32 v3, v3, v2
	v_sub_u32_e32 v2, v3, v2
.LBB352_418:
	s_or_b64 exec, exec, s[0:1]
.LBB352_419:
	s_mov_b64 s[0:1], -1
.LBB352_420:
	s_mov_b64 s[20:21], 0
.LBB352_421:
	s_and_b64 vcc, exec, s[20:21]
	s_cbranch_vccz .LBB352_454
; %bb.422:
	s_cmp_gt_i32 s25, 22
	s_cbranch_scc0 .LBB352_430
; %bb.423:
	s_cmp_lt_i32 s25, 24
	s_cbranch_scc1 .LBB352_433
; %bb.424:
	s_cmp_gt_i32 s25, 24
	s_cbranch_scc0 .LBB352_434
; %bb.425:
	global_load_ubyte v3, v[0:1], off
	s_movk_i32 s0, 0x7f
	s_mov_b64 s[20:21], 0
	s_waitcnt vmcnt(0)
	v_cmp_lt_i16_e32 vcc, s0, v3
	s_and_saveexec_b64 s[0:1], vcc
	s_xor_b64 s[0:1], exec, s[0:1]
	s_cbranch_execz .LBB352_446
; %bb.426:
	s_movk_i32 s20, 0x80
	v_cmp_ne_u16_e32 vcc, s20, v3
	s_and_b64 s[20:21], vcc, exec
	s_andn2_saveexec_b64 s[0:1], s[0:1]
	s_cbranch_execnz .LBB352_447
.LBB352_427:
	s_or_b64 exec, exec, s[0:1]
	v_mov_b32_e32 v2, 0
	s_and_saveexec_b64 s[0:1], s[20:21]
	s_cbranch_execz .LBB352_429
.LBB352_428:
	v_lshlrev_b32_e32 v2, 24, v3
	v_and_b32_e32 v3, 0xffff, v3
	v_and_b32_e32 v4, 3, v3
	v_ffbh_u32_e32 v6, v4
	v_min_u32_e32 v6, 32, v6
	v_subrev_u32_e32 v7, 29, v6
	v_bfe_u32 v5, v3, 2, 5
	v_lshlrev_b32_e32 v3, v7, v3
	v_sub_u32_e32 v6, 30, v6
	v_and_b32_e32 v3, 3, v3
	v_cmp_eq_u32_e32 vcc, 0, v5
	v_and_b32_e32 v2, 0x80000000, v2
	s_mov_b32 s20, 0x2f800000
	v_cndmask_b32_e32 v5, v5, v6, vcc
	v_cndmask_b32_e32 v3, v4, v3, vcc
	v_mov_b32_e32 v4, 0x37800000
	v_lshlrev_b32_e32 v3, 21, v3
	v_lshl_add_u32 v4, v5, 23, v4
	v_or3_b32 v2, v2, v4, v3
	v_trunc_f32_e32 v2, v2
	v_mul_f32_e64 v3, |v2|, s20
	v_floor_f32_e32 v3, v3
	s_mov_b32 s20, 0xcf800000
	v_fma_f32 v3, v3, s20, |v2|
	v_cvt_u32_f32_e32 v3, v3
	v_ashrrev_i32_e32 v2, 31, v2
	v_xor_b32_e32 v3, v3, v2
	v_sub_u32_e32 v2, v3, v2
.LBB352_429:
	s_or_b64 exec, exec, s[0:1]
	s_mov_b64 s[0:1], 0
	s_branch .LBB352_435
.LBB352_430:
	s_mov_b64 s[20:21], -1
                                        ; implicit-def: $vgpr2
	s_branch .LBB352_441
.LBB352_431:
	s_andn2_saveexec_b64 s[0:1], s[0:1]
	s_cbranch_execz .LBB352_416
.LBB352_432:
	v_cmp_ne_u16_e32 vcc, 0, v3
	s_andn2_b64 s[20:21], s[20:21], exec
	s_and_b64 s[26:27], vcc, exec
	s_or_b64 s[20:21], s[20:21], s[26:27]
	s_or_b64 exec, exec, s[0:1]
	v_mov_b32_e32 v2, 0
	s_and_saveexec_b64 s[0:1], s[20:21]
	s_cbranch_execnz .LBB352_417
	s_branch .LBB352_418
.LBB352_433:
	s_mov_b64 s[0:1], -1
                                        ; implicit-def: $vgpr2
	s_branch .LBB352_438
.LBB352_434:
	s_mov_b64 s[0:1], -1
                                        ; implicit-def: $vgpr2
.LBB352_435:
	s_and_b64 vcc, exec, s[0:1]
	s_cbranch_vccz .LBB352_437
; %bb.436:
	global_load_ubyte v2, v[0:1], off
	s_mov_b32 s0, 0x7f800000
	s_brev_b32 s1, 1
	s_mov_b32 s20, 0x2f800000
	s_waitcnt vmcnt(0)
	v_lshlrev_b32_e32 v2, 24, v2
	v_and_b32_e32 v3, 0x7f000000, v2
	v_ffbh_u32_e32 v4, v3
	v_min_u32_e32 v4, 32, v4
	v_sub_u32_e64 v4, v4, 4 clamp
	v_lshlrev_b32_e32 v6, v4, v3
	v_lshlrev_b32_e32 v4, 23, v4
	v_lshrrev_b32_e32 v6, 4, v6
	v_add_u32_e32 v5, 0x1000000, v3
	v_sub_u32_e32 v4, v6, v4
	v_ashrrev_i32_e32 v5, 8, v5
	v_add_u32_e32 v4, 0x3c000000, v4
	v_and_or_b32 v4, v5, s0, v4
	v_cmp_ne_u32_e32 vcc, 0, v3
	s_mov_b32 s0, 0xcf800000
	s_nop 0
	v_cndmask_b32_e32 v3, 0, v4, vcc
	v_and_or_b32 v2, v2, s1, v3
	v_trunc_f32_e32 v2, v2
	v_mul_f32_e64 v3, |v2|, s20
	v_floor_f32_e32 v3, v3
	v_fma_f32 v3, v3, s0, |v2|
	v_cvt_u32_f32_e32 v3, v3
	v_ashrrev_i32_e32 v2, 31, v2
	v_xor_b32_e32 v3, v3, v2
	v_sub_u32_e32 v2, v3, v2
.LBB352_437:
	s_mov_b64 s[0:1], 0
.LBB352_438:
	s_andn2_b64 vcc, exec, s[0:1]
	s_cbranch_vccnz .LBB352_440
; %bb.439:
	global_load_ubyte v2, v[0:1], off
	s_movk_i32 s0, 0x7f00
	s_brev_b32 s1, 16
	s_brev_b32 s20, 1
	s_mov_b32 s21, 0x2f800000
	s_waitcnt vmcnt(0)
	v_lshlrev_b16_e32 v3, 8, v2
	v_lshlrev_b32_e32 v2, 25, v2
	v_lshrrev_b32_e32 v4, 4, v2
	v_and_or_b32 v5, v3, s0, 0.5
	v_or_b32_e32 v4, 0x70000000, v4
	v_add_f32_e32 v5, -0.5, v5
	v_mul_f32_e32 v4, 0x7800000, v4
	v_cmp_gt_u32_e32 vcc, s1, v2
	v_bfe_i32 v3, v3, 0, 16
	s_mov_b32 s0, 0xcf800000
	v_cndmask_b32_e32 v2, v4, v5, vcc
	v_and_or_b32 v2, v3, s20, v2
	v_trunc_f32_e32 v2, v2
	v_mul_f32_e64 v3, |v2|, s21
	v_floor_f32_e32 v3, v3
	v_fma_f32 v3, v3, s0, |v2|
	v_cvt_u32_f32_e32 v3, v3
	v_ashrrev_i32_e32 v2, 31, v2
	v_xor_b32_e32 v3, v3, v2
	v_sub_u32_e32 v2, v3, v2
.LBB352_440:
	s_mov_b64 s[20:21], 0
	s_mov_b64 s[0:1], -1
.LBB352_441:
	s_andn2_b64 vcc, exec, s[20:21]
	s_cbranch_vccnz .LBB352_454
; %bb.442:
	s_cmp_gt_i32 s25, 14
	s_cbranch_scc0 .LBB352_445
; %bb.443:
	s_cmp_eq_u32 s25, 15
	s_cbranch_scc0 .LBB352_448
; %bb.444:
	global_load_ushort v2, v[0:1], off
	s_mov_b32 s0, 0x2f800000
	s_mov_b32 s1, 0xcf800000
	s_mov_b64 s[18:19], 0
	s_waitcnt vmcnt(0)
	v_lshlrev_b32_e32 v2, 16, v2
	v_trunc_f32_e32 v2, v2
	v_mul_f32_e64 v3, |v2|, s0
	v_floor_f32_e32 v3, v3
	v_fma_f32 v3, v3, s1, |v2|
	v_cvt_u32_f32_e32 v3, v3
	v_ashrrev_i32_e32 v2, 31, v2
	s_mov_b64 s[0:1], -1
	v_xor_b32_e32 v3, v3, v2
	v_sub_u32_e32 v2, v3, v2
	s_branch .LBB352_449
.LBB352_445:
	s_mov_b64 s[20:21], -1
                                        ; implicit-def: $vgpr2
	s_branch .LBB352_450
.LBB352_446:
	s_andn2_saveexec_b64 s[0:1], s[0:1]
	s_cbranch_execz .LBB352_427
.LBB352_447:
	v_cmp_ne_u16_e32 vcc, 0, v3
	s_andn2_b64 s[20:21], s[20:21], exec
	s_and_b64 s[26:27], vcc, exec
	s_or_b64 s[20:21], s[20:21], s[26:27]
	s_or_b64 exec, exec, s[0:1]
	v_mov_b32_e32 v2, 0
	s_and_saveexec_b64 s[0:1], s[20:21]
	s_cbranch_execnz .LBB352_428
	s_branch .LBB352_429
.LBB352_448:
	s_mov_b64 s[18:19], -1
                                        ; implicit-def: $vgpr2
.LBB352_449:
	s_mov_b64 s[20:21], 0
.LBB352_450:
	s_and_b64 vcc, exec, s[20:21]
	s_cbranch_vccz .LBB352_454
; %bb.451:
	s_cmp_eq_u32 s25, 11
	s_cbranch_scc0 .LBB352_453
; %bb.452:
	global_load_ubyte v2, v[0:1], off
	s_mov_b64 s[0:1], -1
	s_mov_b64 s[18:19], 0
	s_waitcnt vmcnt(0)
	v_cmp_ne_u16_e32 vcc, 0, v2
	s_nop 1
	v_cndmask_b32_e64 v2, 0, 1, vcc
	s_branch .LBB352_454
.LBB352_453:
	s_mov_b64 s[18:19], -1
                                        ; implicit-def: $vgpr2
.LBB352_454:
	s_branch .LBB352_261
.LBB352_455:
	s_and_b32 s20, 0xffff, s24
	s_cmp_lt_i32 s20, 5
	s_cbranch_scc1 .LBB352_460
; %bb.456:
	s_cmp_lt_i32 s20, 8
	s_cbranch_scc1 .LBB352_461
; %bb.457:
	;; [unrolled: 3-line block ×3, first 2 shown]
	s_cmp_gt_i32 s20, 9
	s_cbranch_scc0 .LBB352_463
; %bb.459:
	global_load_dwordx2 v[2:3], v[0:1], off
	s_movk_i32 s0, 0xffe0
	s_waitcnt vmcnt(0)
	v_trunc_f64_e32 v[2:3], v[2:3]
	v_ldexp_f64 v[4:5], v[2:3], s0
	v_floor_f64_e32 v[4:5], v[4:5]
	v_fmac_f64_e32 v[2:3], 0xc1f00000, v[4:5]
	v_cvt_u32_f64_e32 v2, v[2:3]
	s_mov_b64 s[0:1], 0
	s_branch .LBB352_464
.LBB352_460:
	s_mov_b64 s[0:1], -1
                                        ; implicit-def: $vgpr2
	s_branch .LBB352_482
.LBB352_461:
	s_mov_b64 s[0:1], -1
                                        ; implicit-def: $vgpr2
	s_branch .LBB352_470
.LBB352_462:
	s_mov_b64 s[0:1], -1
                                        ; implicit-def: $vgpr2
	s_branch .LBB352_467
.LBB352_463:
	s_mov_b64 s[0:1], -1
                                        ; implicit-def: $vgpr2
.LBB352_464:
	s_andn2_b64 vcc, exec, s[0:1]
	s_cbranch_vccnz .LBB352_466
; %bb.465:
	global_load_dword v2, v[0:1], off
	s_mov_b32 s0, 0x2f800000
	s_waitcnt vmcnt(0)
	v_trunc_f32_e32 v2, v2
	v_mul_f32_e64 v3, |v2|, s0
	v_floor_f32_e32 v3, v3
	s_mov_b32 s0, 0xcf800000
	v_fma_f32 v3, v3, s0, |v2|
	v_cvt_u32_f32_e32 v3, v3
	v_ashrrev_i32_e32 v2, 31, v2
	v_xor_b32_e32 v3, v3, v2
	v_sub_u32_e32 v2, v3, v2
.LBB352_466:
	s_mov_b64 s[0:1], 0
.LBB352_467:
	s_andn2_b64 vcc, exec, s[0:1]
	s_cbranch_vccnz .LBB352_469
; %bb.468:
	global_load_dword v2, v[0:1], off
	s_waitcnt vmcnt(0)
	v_cvt_f32_f16_e32 v2, v2
	v_cvt_i32_f32_e32 v2, v2
.LBB352_469:
	s_mov_b64 s[0:1], 0
.LBB352_470:
	s_andn2_b64 vcc, exec, s[0:1]
	s_cbranch_vccnz .LBB352_481
; %bb.471:
	s_cmp_lt_i32 s20, 6
	s_cbranch_scc1 .LBB352_474
; %bb.472:
	s_cmp_gt_i32 s20, 6
	s_cbranch_scc0 .LBB352_475
; %bb.473:
	global_load_dwordx2 v[2:3], v[0:1], off
	s_movk_i32 s0, 0xffe0
	s_waitcnt vmcnt(0)
	v_trunc_f64_e32 v[2:3], v[2:3]
	v_ldexp_f64 v[4:5], v[2:3], s0
	v_floor_f64_e32 v[4:5], v[4:5]
	v_fmac_f64_e32 v[2:3], 0xc1f00000, v[4:5]
	v_cvt_u32_f64_e32 v2, v[2:3]
	s_mov_b64 s[0:1], 0
	s_branch .LBB352_476
.LBB352_474:
	s_mov_b64 s[0:1], -1
                                        ; implicit-def: $vgpr2
	s_branch .LBB352_479
.LBB352_475:
	s_mov_b64 s[0:1], -1
                                        ; implicit-def: $vgpr2
.LBB352_476:
	s_andn2_b64 vcc, exec, s[0:1]
	s_cbranch_vccnz .LBB352_478
; %bb.477:
	global_load_dword v2, v[0:1], off
	s_mov_b32 s0, 0x2f800000
	s_waitcnt vmcnt(0)
	v_trunc_f32_e32 v2, v2
	v_mul_f32_e64 v3, |v2|, s0
	v_floor_f32_e32 v3, v3
	s_mov_b32 s0, 0xcf800000
	v_fma_f32 v3, v3, s0, |v2|
	v_cvt_u32_f32_e32 v3, v3
	v_ashrrev_i32_e32 v2, 31, v2
	v_xor_b32_e32 v3, v3, v2
	v_sub_u32_e32 v2, v3, v2
.LBB352_478:
	s_mov_b64 s[0:1], 0
.LBB352_479:
	s_andn2_b64 vcc, exec, s[0:1]
	s_cbranch_vccnz .LBB352_481
; %bb.480:
	global_load_ushort v2, v[0:1], off
	s_waitcnt vmcnt(0)
	v_cvt_f32_f16_e32 v2, v2
	v_cvt_i32_f32_e32 v2, v2
.LBB352_481:
	s_mov_b64 s[0:1], 0
.LBB352_482:
	s_andn2_b64 vcc, exec, s[0:1]
	s_cbranch_vccnz .LBB352_502
; %bb.483:
	s_cmp_lt_i32 s20, 2
	s_cbranch_scc1 .LBB352_487
; %bb.484:
	s_cmp_lt_i32 s20, 3
	s_cbranch_scc1 .LBB352_488
; %bb.485:
	s_cmp_gt_i32 s20, 3
	s_cbranch_scc0 .LBB352_489
; %bb.486:
	global_load_dwordx2 v[2:3], v[0:1], off
	s_mov_b64 s[0:1], 0
	s_branch .LBB352_490
.LBB352_487:
	s_mov_b64 s[0:1], -1
                                        ; implicit-def: $vgpr2
	s_branch .LBB352_496
.LBB352_488:
	s_mov_b64 s[0:1], -1
                                        ; implicit-def: $vgpr2
	s_branch .LBB352_493
.LBB352_489:
	s_mov_b64 s[0:1], -1
                                        ; implicit-def: $vgpr2
.LBB352_490:
	s_andn2_b64 vcc, exec, s[0:1]
	s_cbranch_vccnz .LBB352_492
; %bb.491:
	global_load_dword v2, v[0:1], off
.LBB352_492:
	s_mov_b64 s[0:1], 0
.LBB352_493:
	s_andn2_b64 vcc, exec, s[0:1]
	s_cbranch_vccnz .LBB352_495
; %bb.494:
	global_load_ushort v2, v[0:1], off
.LBB352_495:
	s_mov_b64 s[0:1], 0
.LBB352_496:
	s_andn2_b64 vcc, exec, s[0:1]
	s_cbranch_vccnz .LBB352_502
; %bb.497:
	s_cmp_gt_i32 s20, 0
	s_cbranch_scc0 .LBB352_499
; %bb.498:
	global_load_ubyte v2, v[0:1], off
	s_mov_b64 s[0:1], 0
	s_branch .LBB352_500
.LBB352_499:
	s_mov_b64 s[0:1], -1
                                        ; implicit-def: $vgpr2
.LBB352_500:
	s_andn2_b64 vcc, exec, s[0:1]
	s_cbranch_vccnz .LBB352_502
; %bb.501:
	global_load_ubyte v2, v[0:1], off
.LBB352_502:
	s_branch .LBB352_262
.LBB352_503:
	s_mov_b64 s[24:25], 0
                                        ; implicit-def: $vgpr10
	s_mov_b64 s[0:1], s[12:13]
.LBB352_504:
	s_andn2_b64 s[20:21], s[12:13], exec
	s_and_b64 s[0:1], s[0:1], exec
	s_or_b64 s[20:21], s[20:21], s[0:1]
	s_andn2_b64 s[0:1], s[14:15], exec
	s_and_b64 s[18:19], s[18:19], exec
	s_or_b64 s[18:19], s[0:1], s[18:19]
	s_orn2_b64 s[0:1], s[24:25], exec
.LBB352_505:
	s_or_b64 exec, exec, s[22:23]
	s_mov_b64 s[24:25], 0
	s_mov_b64 s[26:27], 0
	;; [unrolled: 1-line block ×3, first 2 shown]
                                        ; implicit-def: $sgpr44
                                        ; implicit-def: $vgpr0_vgpr1
                                        ; implicit-def: $vgpr4
	s_and_saveexec_b64 s[22:23], s[0:1]
	s_cbranch_execz .LBB352_842
; %bb.506:
	v_cmp_gt_i32_e32 vcc, s38, v10
	s_mov_b64 s[34:35], -1
	s_mov_b64 s[0:1], s[18:19]
	s_mov_b64 s[28:29], s[20:21]
	s_and_saveexec_b64 s[24:25], vcc
	s_cbranch_execz .LBB352_760
; %bb.507:
	v_mul_lo_u32 v0, v10, s9
	v_ashrrev_i32_e32 v1, 31, v0
	s_and_b32 s30, s43, 0xff
	s_cmp_lt_i32 s30, 11
	v_lshl_add_u64 v[0:1], s[6:7], 0, v[0:1]
	s_cbranch_scc1 .LBB352_514
; %bb.508:
	s_and_b32 s31, 0xffff, s30
	s_cmp_gt_i32 s31, 25
	s_cbranch_scc0 .LBB352_515
; %bb.509:
	s_cmp_gt_i32 s31, 28
	s_cbranch_scc0 .LBB352_516
; %bb.510:
	;; [unrolled: 3-line block ×4, first 2 shown]
	s_cmp_eq_u32 s31, 46
	s_mov_b64 s[28:29], 0
	s_cbranch_scc0 .LBB352_523
; %bb.513:
	global_load_dword v2, v[0:1], off
	s_mov_b32 s0, 0x2f800000
	s_mov_b32 s1, 0xcf800000
	s_waitcnt vmcnt(0)
	v_lshlrev_b32_e32 v2, 16, v2
	v_trunc_f32_e32 v2, v2
	v_mul_f32_e64 v3, |v2|, s0
	v_floor_f32_e32 v3, v3
	v_fma_f32 v3, v3, s1, |v2|
	v_cvt_u32_f32_e32 v3, v3
	v_ashrrev_i32_e32 v2, 31, v2
	s_mov_b64 s[0:1], -1
	v_xor_b32_e32 v3, v3, v2
	v_sub_u32_e32 v2, v3, v2
	s_branch .LBB352_524
.LBB352_514:
	s_mov_b64 s[28:29], -1
	s_mov_b64 s[0:1], 0
                                        ; implicit-def: $vgpr2
	s_mov_b64 s[26:27], s[18:19]
	s_branch .LBB352_585
.LBB352_515:
	s_mov_b64 s[28:29], -1
	s_mov_b64 s[0:1], 0
	s_mov_b64 s[26:27], s[18:19]
                                        ; implicit-def: $vgpr2
	s_branch .LBB352_551
.LBB352_516:
	s_mov_b64 s[28:29], -1
	s_mov_b64 s[0:1], 0
	s_mov_b64 s[26:27], s[18:19]
                                        ; implicit-def: $vgpr2
	s_branch .LBB352_534
.LBB352_517:
	s_mov_b64 s[28:29], -1
	s_mov_b64 s[0:1], 0
	s_mov_b64 s[26:27], s[18:19]
                                        ; implicit-def: $vgpr2
	s_branch .LBB352_529
.LBB352_518:
	s_andn2_saveexec_b64 s[26:27], s[26:27]
	s_cbranch_execz .LBB352_307
.LBB352_519:
	v_add_f32_e32 v1, 0x46000000, v4
	v_and_b32_e32 v1, 0xff, v1
	v_cmp_ne_u32_e32 vcc, 0, v1
	s_andn2_b64 s[24:25], s[24:25], exec
	s_and_b64 s[30:31], vcc, exec
	s_or_b64 s[24:25], s[24:25], s[30:31]
	s_or_b64 exec, exec, s[26:27]
	v_mov_b32_e32 v5, 0
	s_and_saveexec_b64 s[26:27], s[24:25]
	s_cbranch_execnz .LBB352_308
	s_branch .LBB352_309
.LBB352_520:
	s_mov_b64 s[28:29], -1
	s_mov_b64 s[0:1], 0
	s_mov_b64 s[26:27], s[18:19]
                                        ; implicit-def: $vgpr2
	s_branch .LBB352_524
.LBB352_521:
	s_andn2_saveexec_b64 s[26:27], s[26:27]
	s_cbranch_execz .LBB352_320
.LBB352_522:
	v_add_f32_e32 v1, 0x42800000, v4
	v_and_b32_e32 v1, 0xff, v1
	v_cmp_ne_u32_e32 vcc, 0, v1
	s_andn2_b64 s[24:25], s[24:25], exec
	s_and_b64 s[30:31], vcc, exec
	s_or_b64 s[24:25], s[24:25], s[30:31]
	s_or_b64 exec, exec, s[26:27]
	v_mov_b32_e32 v5, 0
	s_and_saveexec_b64 s[26:27], s[24:25]
	s_cbranch_execnz .LBB352_321
	s_branch .LBB352_322
.LBB352_523:
	s_mov_b64 s[26:27], -1
                                        ; implicit-def: $vgpr2
	s_mov_b64 s[0:1], 0
.LBB352_524:
	s_and_b64 vcc, exec, s[28:29]
	s_cbranch_vccz .LBB352_528
; %bb.525:
	s_cmp_eq_u32 s31, 44
	s_cbranch_scc0 .LBB352_527
; %bb.526:
	global_load_ubyte v2, v[0:1], off
	s_mov_b32 s0, 0x2f800000
	s_mov_b32 s1, 0xcf800000
	s_mov_b64 s[26:27], 0
	s_waitcnt vmcnt(0)
	v_lshlrev_b32_e32 v3, 23, v2
	v_trunc_f32_e32 v3, v3
	v_mul_f32_e64 v4, |v3|, s0
	v_floor_f32_e32 v4, v4
	v_fma_f32 v4, v4, s1, |v3|
	v_cvt_u32_f32_e32 v4, v4
	v_ashrrev_i32_e32 v3, 31, v3
	v_cmp_ne_u32_e32 vcc, 0, v2
	s_mov_b64 s[0:1], -1
	v_xor_b32_e32 v4, v4, v3
	v_sub_u32_e32 v3, v4, v3
	v_cndmask_b32_e32 v2, 0, v3, vcc
	s_branch .LBB352_528
.LBB352_527:
	s_mov_b64 s[26:27], -1
                                        ; implicit-def: $vgpr2
.LBB352_528:
	s_mov_b64 s[28:29], 0
.LBB352_529:
	s_and_b64 vcc, exec, s[28:29]
	s_cbranch_vccz .LBB352_533
; %bb.530:
	s_cmp_eq_u32 s31, 29
	s_cbranch_scc0 .LBB352_532
; %bb.531:
	global_load_dwordx2 v[2:3], v[0:1], off
	s_mov_b64 s[0:1], -1
	s_mov_b64 s[26:27], 0
	s_branch .LBB352_533
.LBB352_532:
	s_mov_b64 s[26:27], -1
                                        ; implicit-def: $vgpr2
.LBB352_533:
	s_mov_b64 s[28:29], 0
.LBB352_534:
	s_and_b64 vcc, exec, s[28:29]
	s_cbranch_vccz .LBB352_550
; %bb.535:
	s_cmp_lt_i32 s31, 27
	s_cbranch_scc1 .LBB352_538
; %bb.536:
	s_cmp_gt_i32 s31, 27
	s_cbranch_scc0 .LBB352_539
; %bb.537:
	global_load_dword v2, v[0:1], off
	s_mov_b64 s[0:1], 0
	s_branch .LBB352_540
.LBB352_538:
	s_mov_b64 s[0:1], -1
                                        ; implicit-def: $vgpr2
	s_branch .LBB352_543
.LBB352_539:
	s_mov_b64 s[0:1], -1
                                        ; implicit-def: $vgpr2
.LBB352_540:
	s_andn2_b64 vcc, exec, s[0:1]
	s_cbranch_vccnz .LBB352_542
; %bb.541:
	global_load_ushort v2, v[0:1], off
.LBB352_542:
	s_mov_b64 s[0:1], 0
.LBB352_543:
	s_andn2_b64 vcc, exec, s[0:1]
	s_cbranch_vccnz .LBB352_549
; %bb.544:
	global_load_ubyte v3, v[0:1], off
	s_movk_i32 s0, 0x7f
	s_mov_b64 s[28:29], 0
	s_waitcnt vmcnt(0)
	v_cmp_lt_i16_e32 vcc, s0, v3
	s_and_saveexec_b64 s[0:1], vcc
	s_xor_b64 s[0:1], exec, s[0:1]
	s_cbranch_execz .LBB352_561
; %bb.545:
	s_movk_i32 s28, 0x80
	v_cmp_ne_u16_e32 vcc, s28, v3
	s_and_b64 s[28:29], vcc, exec
	s_andn2_saveexec_b64 s[0:1], s[0:1]
	s_cbranch_execnz .LBB352_562
.LBB352_546:
	s_or_b64 exec, exec, s[0:1]
	v_mov_b32_e32 v2, 0
	s_and_saveexec_b64 s[0:1], s[28:29]
	s_cbranch_execz .LBB352_548
.LBB352_547:
	v_lshlrev_b32_e32 v2, 24, v3
	v_and_b32_e32 v3, 0xffff, v3
	v_and_b32_e32 v4, 7, v3
	v_ffbh_u32_e32 v6, v4
	v_min_u32_e32 v6, 32, v6
	v_subrev_u32_e32 v7, 28, v6
	v_bfe_u32 v5, v3, 3, 4
	v_lshlrev_b32_e32 v3, v7, v3
	v_sub_u32_e32 v6, 29, v6
	v_and_b32_e32 v3, 7, v3
	v_cmp_eq_u32_e32 vcc, 0, v5
	v_and_b32_e32 v2, 0x80000000, v2
	s_mov_b32 s28, 0x2f800000
	v_cndmask_b32_e32 v5, v5, v6, vcc
	v_cndmask_b32_e32 v3, v4, v3, vcc
	v_mov_b32_e32 v4, 0x3b800000
	v_lshlrev_b32_e32 v3, 20, v3
	v_lshl_add_u32 v4, v5, 23, v4
	v_or3_b32 v2, v2, v4, v3
	v_trunc_f32_e32 v2, v2
	v_mul_f32_e64 v3, |v2|, s28
	v_floor_f32_e32 v3, v3
	s_mov_b32 s28, 0xcf800000
	v_fma_f32 v3, v3, s28, |v2|
	v_cvt_u32_f32_e32 v3, v3
	v_ashrrev_i32_e32 v2, 31, v2
	v_xor_b32_e32 v3, v3, v2
	v_sub_u32_e32 v2, v3, v2
.LBB352_548:
	s_or_b64 exec, exec, s[0:1]
.LBB352_549:
	s_mov_b64 s[0:1], -1
.LBB352_550:
	s_mov_b64 s[28:29], 0
.LBB352_551:
	s_and_b64 vcc, exec, s[28:29]
	s_cbranch_vccz .LBB352_584
; %bb.552:
	s_cmp_gt_i32 s31, 22
	s_cbranch_scc0 .LBB352_560
; %bb.553:
	s_cmp_lt_i32 s31, 24
	s_cbranch_scc1 .LBB352_563
; %bb.554:
	s_cmp_gt_i32 s31, 24
	s_cbranch_scc0 .LBB352_564
; %bb.555:
	global_load_ubyte v3, v[0:1], off
	s_movk_i32 s0, 0x7f
	s_mov_b64 s[28:29], 0
	s_waitcnt vmcnt(0)
	v_cmp_lt_i16_e32 vcc, s0, v3
	s_and_saveexec_b64 s[0:1], vcc
	s_xor_b64 s[0:1], exec, s[0:1]
	s_cbranch_execz .LBB352_576
; %bb.556:
	s_movk_i32 s28, 0x80
	v_cmp_ne_u16_e32 vcc, s28, v3
	s_and_b64 s[28:29], vcc, exec
	s_andn2_saveexec_b64 s[0:1], s[0:1]
	s_cbranch_execnz .LBB352_577
.LBB352_557:
	s_or_b64 exec, exec, s[0:1]
	v_mov_b32_e32 v2, 0
	s_and_saveexec_b64 s[0:1], s[28:29]
	s_cbranch_execz .LBB352_559
.LBB352_558:
	v_lshlrev_b32_e32 v2, 24, v3
	v_and_b32_e32 v3, 0xffff, v3
	v_and_b32_e32 v4, 3, v3
	v_ffbh_u32_e32 v6, v4
	v_min_u32_e32 v6, 32, v6
	v_subrev_u32_e32 v7, 29, v6
	v_bfe_u32 v5, v3, 2, 5
	v_lshlrev_b32_e32 v3, v7, v3
	v_sub_u32_e32 v6, 30, v6
	v_and_b32_e32 v3, 3, v3
	v_cmp_eq_u32_e32 vcc, 0, v5
	v_and_b32_e32 v2, 0x80000000, v2
	s_mov_b32 s28, 0x2f800000
	v_cndmask_b32_e32 v5, v5, v6, vcc
	v_cndmask_b32_e32 v3, v4, v3, vcc
	v_mov_b32_e32 v4, 0x37800000
	v_lshlrev_b32_e32 v3, 21, v3
	v_lshl_add_u32 v4, v5, 23, v4
	v_or3_b32 v2, v2, v4, v3
	v_trunc_f32_e32 v2, v2
	v_mul_f32_e64 v3, |v2|, s28
	v_floor_f32_e32 v3, v3
	s_mov_b32 s28, 0xcf800000
	v_fma_f32 v3, v3, s28, |v2|
	v_cvt_u32_f32_e32 v3, v3
	v_ashrrev_i32_e32 v2, 31, v2
	v_xor_b32_e32 v3, v3, v2
	v_sub_u32_e32 v2, v3, v2
.LBB352_559:
	s_or_b64 exec, exec, s[0:1]
	s_mov_b64 s[0:1], 0
	s_branch .LBB352_565
.LBB352_560:
	s_mov_b64 s[28:29], -1
                                        ; implicit-def: $vgpr2
	s_branch .LBB352_571
.LBB352_561:
	s_andn2_saveexec_b64 s[0:1], s[0:1]
	s_cbranch_execz .LBB352_546
.LBB352_562:
	v_cmp_ne_u16_e32 vcc, 0, v3
	s_andn2_b64 s[28:29], s[28:29], exec
	s_and_b64 s[34:35], vcc, exec
	s_or_b64 s[28:29], s[28:29], s[34:35]
	s_or_b64 exec, exec, s[0:1]
	v_mov_b32_e32 v2, 0
	s_and_saveexec_b64 s[0:1], s[28:29]
	s_cbranch_execnz .LBB352_547
	s_branch .LBB352_548
.LBB352_563:
	s_mov_b64 s[0:1], -1
                                        ; implicit-def: $vgpr2
	s_branch .LBB352_568
.LBB352_564:
	s_mov_b64 s[0:1], -1
                                        ; implicit-def: $vgpr2
.LBB352_565:
	s_and_b64 vcc, exec, s[0:1]
	s_cbranch_vccz .LBB352_567
; %bb.566:
	global_load_ubyte v2, v[0:1], off
	s_mov_b32 s0, 0x7f800000
	s_brev_b32 s1, 1
	s_mov_b32 s28, 0x2f800000
	s_waitcnt vmcnt(0)
	v_lshlrev_b32_e32 v2, 24, v2
	v_and_b32_e32 v3, 0x7f000000, v2
	v_ffbh_u32_e32 v4, v3
	v_min_u32_e32 v4, 32, v4
	v_sub_u32_e64 v4, v4, 4 clamp
	v_lshlrev_b32_e32 v6, v4, v3
	v_lshlrev_b32_e32 v4, 23, v4
	v_lshrrev_b32_e32 v6, 4, v6
	v_add_u32_e32 v5, 0x1000000, v3
	v_sub_u32_e32 v4, v6, v4
	v_ashrrev_i32_e32 v5, 8, v5
	v_add_u32_e32 v4, 0x3c000000, v4
	v_and_or_b32 v4, v5, s0, v4
	v_cmp_ne_u32_e32 vcc, 0, v3
	s_mov_b32 s0, 0xcf800000
	s_nop 0
	v_cndmask_b32_e32 v3, 0, v4, vcc
	v_and_or_b32 v2, v2, s1, v3
	v_trunc_f32_e32 v2, v2
	v_mul_f32_e64 v3, |v2|, s28
	v_floor_f32_e32 v3, v3
	v_fma_f32 v3, v3, s0, |v2|
	v_cvt_u32_f32_e32 v3, v3
	v_ashrrev_i32_e32 v2, 31, v2
	v_xor_b32_e32 v3, v3, v2
	v_sub_u32_e32 v2, v3, v2
.LBB352_567:
	s_mov_b64 s[0:1], 0
.LBB352_568:
	s_andn2_b64 vcc, exec, s[0:1]
	s_cbranch_vccnz .LBB352_570
; %bb.569:
	global_load_ubyte v2, v[0:1], off
	s_movk_i32 s0, 0x7f00
	s_brev_b32 s1, 16
	s_brev_b32 s28, 1
	s_mov_b32 s29, 0x2f800000
	s_waitcnt vmcnt(0)
	v_lshlrev_b16_e32 v3, 8, v2
	v_lshlrev_b32_e32 v2, 25, v2
	v_lshrrev_b32_e32 v4, 4, v2
	v_and_or_b32 v5, v3, s0, 0.5
	v_or_b32_e32 v4, 0x70000000, v4
	v_add_f32_e32 v5, -0.5, v5
	v_mul_f32_e32 v4, 0x7800000, v4
	v_cmp_gt_u32_e32 vcc, s1, v2
	v_bfe_i32 v3, v3, 0, 16
	s_mov_b32 s0, 0xcf800000
	v_cndmask_b32_e32 v2, v4, v5, vcc
	v_and_or_b32 v2, v3, s28, v2
	v_trunc_f32_e32 v2, v2
	v_mul_f32_e64 v3, |v2|, s29
	v_floor_f32_e32 v3, v3
	v_fma_f32 v3, v3, s0, |v2|
	v_cvt_u32_f32_e32 v3, v3
	v_ashrrev_i32_e32 v2, 31, v2
	v_xor_b32_e32 v3, v3, v2
	v_sub_u32_e32 v2, v3, v2
.LBB352_570:
	s_mov_b64 s[28:29], 0
	s_mov_b64 s[0:1], -1
.LBB352_571:
	s_andn2_b64 vcc, exec, s[28:29]
	s_cbranch_vccnz .LBB352_584
; %bb.572:
	s_cmp_gt_i32 s31, 14
	s_cbranch_scc0 .LBB352_575
; %bb.573:
	s_cmp_eq_u32 s31, 15
	s_cbranch_scc0 .LBB352_578
; %bb.574:
	global_load_ushort v2, v[0:1], off
	s_mov_b32 s0, 0x2f800000
	s_mov_b32 s1, 0xcf800000
	s_mov_b64 s[26:27], 0
	s_waitcnt vmcnt(0)
	v_lshlrev_b32_e32 v2, 16, v2
	v_trunc_f32_e32 v2, v2
	v_mul_f32_e64 v3, |v2|, s0
	v_floor_f32_e32 v3, v3
	v_fma_f32 v3, v3, s1, |v2|
	v_cvt_u32_f32_e32 v3, v3
	v_ashrrev_i32_e32 v2, 31, v2
	s_mov_b64 s[0:1], -1
	v_xor_b32_e32 v3, v3, v2
	v_sub_u32_e32 v2, v3, v2
	s_branch .LBB352_579
.LBB352_575:
	s_mov_b64 s[28:29], -1
                                        ; implicit-def: $vgpr2
	s_branch .LBB352_580
.LBB352_576:
	s_andn2_saveexec_b64 s[0:1], s[0:1]
	s_cbranch_execz .LBB352_557
.LBB352_577:
	v_cmp_ne_u16_e32 vcc, 0, v3
	s_andn2_b64 s[28:29], s[28:29], exec
	s_and_b64 s[34:35], vcc, exec
	s_or_b64 s[28:29], s[28:29], s[34:35]
	s_or_b64 exec, exec, s[0:1]
	v_mov_b32_e32 v2, 0
	s_and_saveexec_b64 s[0:1], s[28:29]
	s_cbranch_execnz .LBB352_558
	s_branch .LBB352_559
.LBB352_578:
	s_mov_b64 s[26:27], -1
                                        ; implicit-def: $vgpr2
.LBB352_579:
	s_mov_b64 s[28:29], 0
.LBB352_580:
	s_and_b64 vcc, exec, s[28:29]
	s_cbranch_vccz .LBB352_584
; %bb.581:
	s_cmp_eq_u32 s31, 11
	s_cbranch_scc0 .LBB352_583
; %bb.582:
	global_load_ubyte v2, v[0:1], off
	s_mov_b64 s[0:1], -1
	s_mov_b64 s[26:27], 0
	s_waitcnt vmcnt(0)
	v_cmp_ne_u16_e32 vcc, 0, v2
	s_nop 1
	v_cndmask_b32_e64 v2, 0, 1, vcc
	s_branch .LBB352_584
.LBB352_583:
	s_mov_b64 s[26:27], -1
                                        ; implicit-def: $vgpr2
.LBB352_584:
	s_mov_b64 s[28:29], 0
.LBB352_585:
	s_and_b64 vcc, exec, s[28:29]
	s_cbranch_vccz .LBB352_634
; %bb.586:
	s_and_b32 s28, 0xffff, s30
	s_cmp_lt_i32 s28, 5
	s_cbranch_scc1 .LBB352_591
; %bb.587:
	s_cmp_lt_i32 s28, 8
	s_cbranch_scc1 .LBB352_592
; %bb.588:
	;; [unrolled: 3-line block ×3, first 2 shown]
	s_cmp_gt_i32 s28, 9
	s_cbranch_scc0 .LBB352_594
; %bb.590:
	global_load_dwordx2 v[2:3], v[0:1], off
	s_movk_i32 s0, 0xffe0
	s_waitcnt vmcnt(0)
	v_trunc_f64_e32 v[2:3], v[2:3]
	v_ldexp_f64 v[4:5], v[2:3], s0
	v_floor_f64_e32 v[4:5], v[4:5]
	v_fmac_f64_e32 v[2:3], 0xc1f00000, v[4:5]
	v_cvt_u32_f64_e32 v2, v[2:3]
	s_mov_b64 s[0:1], 0
	s_branch .LBB352_595
.LBB352_591:
	s_mov_b64 s[0:1], -1
                                        ; implicit-def: $vgpr2
	s_branch .LBB352_613
.LBB352_592:
	s_mov_b64 s[0:1], -1
                                        ; implicit-def: $vgpr2
	s_branch .LBB352_601
.LBB352_593:
	s_mov_b64 s[0:1], -1
                                        ; implicit-def: $vgpr2
	s_branch .LBB352_598
.LBB352_594:
	s_mov_b64 s[0:1], -1
                                        ; implicit-def: $vgpr2
.LBB352_595:
	s_andn2_b64 vcc, exec, s[0:1]
	s_cbranch_vccnz .LBB352_597
; %bb.596:
	global_load_dword v2, v[0:1], off
	s_mov_b32 s0, 0x2f800000
	s_waitcnt vmcnt(0)
	v_trunc_f32_e32 v2, v2
	v_mul_f32_e64 v3, |v2|, s0
	v_floor_f32_e32 v3, v3
	s_mov_b32 s0, 0xcf800000
	v_fma_f32 v3, v3, s0, |v2|
	v_cvt_u32_f32_e32 v3, v3
	v_ashrrev_i32_e32 v2, 31, v2
	v_xor_b32_e32 v3, v3, v2
	v_sub_u32_e32 v2, v3, v2
.LBB352_597:
	s_mov_b64 s[0:1], 0
.LBB352_598:
	s_andn2_b64 vcc, exec, s[0:1]
	s_cbranch_vccnz .LBB352_600
; %bb.599:
	global_load_dword v2, v[0:1], off
	s_waitcnt vmcnt(0)
	v_cvt_f32_f16_e32 v2, v2
	v_cvt_i32_f32_e32 v2, v2
.LBB352_600:
	s_mov_b64 s[0:1], 0
.LBB352_601:
	s_andn2_b64 vcc, exec, s[0:1]
	s_cbranch_vccnz .LBB352_612
; %bb.602:
	s_cmp_lt_i32 s28, 6
	s_cbranch_scc1 .LBB352_605
; %bb.603:
	s_cmp_gt_i32 s28, 6
	s_cbranch_scc0 .LBB352_606
; %bb.604:
	global_load_dwordx2 v[2:3], v[0:1], off
	s_movk_i32 s0, 0xffe0
	s_waitcnt vmcnt(0)
	v_trunc_f64_e32 v[2:3], v[2:3]
	v_ldexp_f64 v[4:5], v[2:3], s0
	v_floor_f64_e32 v[4:5], v[4:5]
	v_fmac_f64_e32 v[2:3], 0xc1f00000, v[4:5]
	v_cvt_u32_f64_e32 v2, v[2:3]
	s_mov_b64 s[0:1], 0
	s_branch .LBB352_607
.LBB352_605:
	s_mov_b64 s[0:1], -1
                                        ; implicit-def: $vgpr2
	s_branch .LBB352_610
.LBB352_606:
	s_mov_b64 s[0:1], -1
                                        ; implicit-def: $vgpr2
.LBB352_607:
	s_andn2_b64 vcc, exec, s[0:1]
	s_cbranch_vccnz .LBB352_609
; %bb.608:
	global_load_dword v2, v[0:1], off
	s_mov_b32 s0, 0x2f800000
	s_waitcnt vmcnt(0)
	v_trunc_f32_e32 v2, v2
	v_mul_f32_e64 v3, |v2|, s0
	v_floor_f32_e32 v3, v3
	s_mov_b32 s0, 0xcf800000
	v_fma_f32 v3, v3, s0, |v2|
	v_cvt_u32_f32_e32 v3, v3
	v_ashrrev_i32_e32 v2, 31, v2
	v_xor_b32_e32 v3, v3, v2
	v_sub_u32_e32 v2, v3, v2
.LBB352_609:
	s_mov_b64 s[0:1], 0
.LBB352_610:
	s_andn2_b64 vcc, exec, s[0:1]
	s_cbranch_vccnz .LBB352_612
; %bb.611:
	global_load_ushort v2, v[0:1], off
	s_waitcnt vmcnt(0)
	v_cvt_f32_f16_e32 v2, v2
	v_cvt_i32_f32_e32 v2, v2
.LBB352_612:
	s_mov_b64 s[0:1], 0
.LBB352_613:
	s_andn2_b64 vcc, exec, s[0:1]
	s_cbranch_vccnz .LBB352_633
; %bb.614:
	s_cmp_lt_i32 s28, 2
	s_cbranch_scc1 .LBB352_618
; %bb.615:
	s_cmp_lt_i32 s28, 3
	s_cbranch_scc1 .LBB352_619
; %bb.616:
	s_cmp_gt_i32 s28, 3
	s_cbranch_scc0 .LBB352_620
; %bb.617:
	global_load_dwordx2 v[2:3], v[0:1], off
	s_mov_b64 s[0:1], 0
	s_branch .LBB352_621
.LBB352_618:
	s_mov_b64 s[0:1], -1
                                        ; implicit-def: $vgpr2
	s_branch .LBB352_627
.LBB352_619:
	s_mov_b64 s[0:1], -1
                                        ; implicit-def: $vgpr2
	s_branch .LBB352_624
.LBB352_620:
	s_mov_b64 s[0:1], -1
                                        ; implicit-def: $vgpr2
.LBB352_621:
	s_andn2_b64 vcc, exec, s[0:1]
	s_cbranch_vccnz .LBB352_623
; %bb.622:
	global_load_dword v2, v[0:1], off
.LBB352_623:
	s_mov_b64 s[0:1], 0
.LBB352_624:
	s_andn2_b64 vcc, exec, s[0:1]
	s_cbranch_vccnz .LBB352_626
; %bb.625:
	global_load_ushort v2, v[0:1], off
.LBB352_626:
	s_mov_b64 s[0:1], 0
.LBB352_627:
	s_andn2_b64 vcc, exec, s[0:1]
	s_cbranch_vccnz .LBB352_633
; %bb.628:
	s_cmp_gt_i32 s28, 0
	s_cbranch_scc0 .LBB352_630
; %bb.629:
	global_load_ubyte v2, v[0:1], off
	s_mov_b64 s[0:1], 0
	s_branch .LBB352_631
.LBB352_630:
	s_mov_b64 s[0:1], -1
                                        ; implicit-def: $vgpr2
.LBB352_631:
	s_andn2_b64 vcc, exec, s[0:1]
	s_cbranch_vccnz .LBB352_633
; %bb.632:
	global_load_ubyte v2, v[0:1], off
.LBB352_633:
	s_mov_b64 s[0:1], -1
.LBB352_634:
	s_andn2_b64 vcc, exec, s[0:1]
	s_cbranch_vccnz .LBB352_642
; %bb.635:
	s_and_b32 s0, s33, 0xff
	s_waitcnt vmcnt(0)
	v_max_u16_sdwa v0, v2, s0 dst_sel:DWORD dst_unused:UNUSED_PAD src0_sel:BYTE_0 src1_sel:DWORD
	v_mul_lo_u32 v2, v10, s8
	v_ashrrev_i32_e32 v3, 31, v2
	s_and_b32 s36, s42, 0xff
	s_cmp_lt_i32 s36, 11
	v_lshl_add_u64 v[2:3], s[4:5], 0, v[2:3]
	s_cbranch_scc1 .LBB352_643
; %bb.636:
	s_and_b32 s37, 0xffff, s36
	s_cmp_gt_i32 s37, 25
	s_cbranch_scc0 .LBB352_644
; %bb.637:
	s_cmp_gt_i32 s37, 28
	s_cbranch_scc0 .LBB352_645
; %bb.638:
	;; [unrolled: 3-line block ×4, first 2 shown]
	s_mov_b64 s[30:31], 0
	s_mov_b64 s[0:1], -1
	s_cmp_eq_u32 s37, 46
	s_mov_b64 s[28:29], 0
	s_cbranch_scc0 .LBB352_648
; %bb.641:
	v_cvt_f32_ubyte0_e32 v1, v0
	v_bfe_u32 v4, v1, 16, 1
	s_movk_i32 s0, 0x7fff
	v_add3_u32 v1, v1, v4, s0
	v_lshrrev_b32_e32 v1, 16, v1
	global_store_dword v[2:3], v1, off
	s_mov_b64 s[28:29], -1
	s_mov_b64 s[0:1], 0
	s_branch .LBB352_648
.LBB352_642:
	s_mov_b64 s[30:31], 0
                                        ; implicit-def: $vgpr10
	s_mov_b64 s[0:1], s[20:21]
	s_branch .LBB352_759
.LBB352_643:
	s_mov_b64 s[30:31], -1
	s_mov_b64 s[28:29], 0
	s_mov_b64 s[0:1], s[20:21]
	s_branch .LBB352_717
.LBB352_644:
	s_mov_b64 s[30:31], -1
	s_mov_b64 s[28:29], 0
	s_mov_b64 s[0:1], s[20:21]
	s_branch .LBB352_675
.LBB352_645:
	s_mov_b64 s[30:31], -1
	s_mov_b64 s[28:29], 0
	s_mov_b64 s[0:1], s[20:21]
	s_branch .LBB352_658
.LBB352_646:
	s_mov_b64 s[30:31], -1
	s_mov_b64 s[28:29], 0
	s_mov_b64 s[0:1], s[20:21]
	s_branch .LBB352_654
.LBB352_647:
	s_mov_b64 s[30:31], -1
	s_mov_b64 s[28:29], 0
	s_mov_b64 s[0:1], s[20:21]
.LBB352_648:
	s_and_b64 vcc, exec, s[30:31]
	s_cbranch_vccz .LBB352_653
; %bb.649:
	s_cmp_eq_u32 s37, 44
	s_mov_b64 s[0:1], -1
	s_cbranch_scc0 .LBB352_653
; %bb.650:
	v_cvt_f32_ubyte0_e32 v4, v0
	v_lshrrev_b32_e32 v1, 23, v4
	s_movk_i32 s0, 0xff
	v_cmp_ne_u32_e32 vcc, s0, v1
	v_mov_b32_e32 v5, 0xff
	s_and_saveexec_b64 s[28:29], vcc
; %bb.651:
	s_mov_b32 s0, 0x3fffff
	v_and_b32_e32 v5, 0x400000, v4
	v_and_or_b32 v4, v4, s0, v1
	v_cmp_ne_u32_e32 vcc, 0, v5
	v_cmp_ne_u32_e64 s[0:1], 0, v4
	s_and_b64 s[0:1], vcc, s[0:1]
	s_nop 0
	v_cndmask_b32_e64 v4, 0, 1, s[0:1]
	v_add_u32_e32 v5, v1, v4
; %bb.652:
	s_or_b64 exec, exec, s[28:29]
	s_mov_b64 s[28:29], -1
	s_mov_b64 s[0:1], 0
	global_store_byte v[2:3], v5, off
.LBB352_653:
	s_mov_b64 s[30:31], 0
.LBB352_654:
	s_and_b64 vcc, exec, s[30:31]
	s_cbranch_vccz .LBB352_657
; %bb.655:
	s_cmp_eq_u32 s37, 29
	s_mov_b64 s[0:1], -1
	s_cbranch_scc0 .LBB352_657
; %bb.656:
	s_mov_b32 s0, 0
	v_mov_b32_e32 v1, s0
	global_store_dwordx2 v[2:3], v[0:1], off
	s_mov_b64 s[28:29], -1
	s_mov_b64 s[0:1], 0
.LBB352_657:
	s_mov_b64 s[30:31], 0
.LBB352_658:
	s_and_b64 vcc, exec, s[30:31]
	s_cbranch_vccz .LBB352_674
; %bb.659:
	s_cmp_lt_i32 s37, 27
	s_mov_b64 s[28:29], -1
	s_cbranch_scc1 .LBB352_665
; %bb.660:
	s_cmp_gt_i32 s37, 27
	s_cbranch_scc0 .LBB352_662
; %bb.661:
	s_mov_b64 s[28:29], 0
	global_store_dword v[2:3], v0, off
.LBB352_662:
	s_andn2_b64 vcc, exec, s[28:29]
	s_cbranch_vccnz .LBB352_664
; %bb.663:
	global_store_short v[2:3], v0, off
.LBB352_664:
	s_mov_b64 s[28:29], 0
.LBB352_665:
	s_andn2_b64 vcc, exec, s[28:29]
	s_cbranch_vccnz .LBB352_673
; %bb.666:
	v_cvt_f32_ubyte0_e32 v4, v0
	s_mov_b32 s28, 0x43800000
	v_cmp_gt_u32_e32 vcc, s28, v4
	v_mov_b32_e32 v5, 0x80
	s_and_saveexec_b64 s[28:29], vcc
	s_cbranch_execz .LBB352_672
; %bb.667:
	s_mov_b32 s30, 0x3bffffff
	v_cmp_lt_u32_e32 vcc, s30, v4
	s_mov_b64 s[30:31], 0
                                        ; implicit-def: $vgpr1
	s_and_saveexec_b64 s[34:35], vcc
	s_xor_b64 s[34:35], exec, s[34:35]
	s_cbranch_execz .LBB352_773
; %bb.668:
	v_bfe_u32 v1, v4, 20, 1
	s_mov_b32 s39, 0x487ffff
	v_add3_u32 v1, v4, v1, s39
	s_mov_b64 s[30:31], exec
	v_lshrrev_b32_e32 v1, 20, v1
                                        ; implicit-def: $vgpr4
	s_andn2_saveexec_b64 s[34:35], s[34:35]
	s_cbranch_execnz .LBB352_774
.LBB352_669:
	s_or_b64 exec, exec, s[34:35]
	v_mov_b32_e32 v5, 0
	s_and_saveexec_b64 s[34:35], s[30:31]
.LBB352_670:
	v_mov_b32_e32 v5, v1
.LBB352_671:
	s_or_b64 exec, exec, s[34:35]
.LBB352_672:
	s_or_b64 exec, exec, s[28:29]
	global_store_byte v[2:3], v5, off
.LBB352_673:
	s_mov_b64 s[28:29], -1
.LBB352_674:
	s_mov_b64 s[30:31], 0
.LBB352_675:
	s_and_b64 vcc, exec, s[30:31]
	s_cbranch_vccz .LBB352_716
; %bb.676:
	s_cmp_gt_i32 s37, 22
	s_mov_b64 s[30:31], -1
	s_cbranch_scc0 .LBB352_708
; %bb.677:
	s_cmp_lt_i32 s37, 24
	s_mov_b64 s[28:29], -1
	s_cbranch_scc1 .LBB352_697
; %bb.678:
	s_cmp_gt_i32 s37, 24
	s_cbranch_scc0 .LBB352_686
; %bb.679:
	v_cvt_f32_ubyte0_e32 v4, v0
	s_mov_b32 s28, 0x47800000
	v_cmp_gt_u32_e32 vcc, s28, v4
	v_mov_b32_e32 v5, 0x80
	s_and_saveexec_b64 s[28:29], vcc
	s_cbranch_execz .LBB352_685
; %bb.680:
	s_mov_b32 s30, 0x37ffffff
	v_cmp_lt_u32_e32 vcc, s30, v4
	s_mov_b64 s[30:31], 0
                                        ; implicit-def: $vgpr1
	s_and_saveexec_b64 s[34:35], vcc
	s_xor_b64 s[34:35], exec, s[34:35]
	s_cbranch_execz .LBB352_776
; %bb.681:
	v_bfe_u32 v1, v4, 21, 1
	s_mov_b32 s39, 0x88fffff
	v_add3_u32 v1, v4, v1, s39
	s_mov_b64 s[30:31], exec
	v_lshrrev_b32_e32 v1, 21, v1
                                        ; implicit-def: $vgpr4
	s_andn2_saveexec_b64 s[34:35], s[34:35]
	s_cbranch_execnz .LBB352_777
.LBB352_682:
	s_or_b64 exec, exec, s[34:35]
	v_mov_b32_e32 v5, 0
	s_and_saveexec_b64 s[34:35], s[30:31]
.LBB352_683:
	v_mov_b32_e32 v5, v1
.LBB352_684:
	s_or_b64 exec, exec, s[34:35]
.LBB352_685:
	s_or_b64 exec, exec, s[28:29]
	s_mov_b64 s[28:29], 0
	global_store_byte v[2:3], v5, off
.LBB352_686:
	s_and_b64 vcc, exec, s[28:29]
	s_cbranch_vccz .LBB352_696
; %bb.687:
	v_cvt_f32_ubyte0_e32 v1, v0
	s_mov_b32 s28, 0x43f00000
	v_cmp_gt_u32_e32 vcc, s28, v1
                                        ; implicit-def: $vgpr4
	s_and_saveexec_b64 s[28:29], vcc
	s_xor_b64 s[28:29], exec, s[28:29]
	s_cbranch_execz .LBB352_693
; %bb.688:
	s_mov_b32 s30, 0x3c7fffff
	v_cmp_lt_u32_e32 vcc, s30, v1
                                        ; implicit-def: $vgpr4
	s_and_saveexec_b64 s[30:31], vcc
	s_xor_b64 s[30:31], exec, s[30:31]
; %bb.689:
	v_bfe_u32 v4, v1, 20, 1
	s_mov_b32 s34, 0x407ffff
	v_add3_u32 v1, v1, v4, s34
	v_lshrrev_b32_e32 v4, 20, v1
	v_and_b32_e32 v1, 0xff00000, v1
	s_mov_b32 s34, 0x7f00000
	v_mov_b32_e32 v5, 0x7e
	v_cmp_ne_u32_e32 vcc, s34, v1
                                        ; implicit-def: $vgpr1
	s_nop 1
	v_cndmask_b32_e32 v4, v5, v4, vcc
; %bb.690:
	s_andn2_saveexec_b64 s[30:31], s[30:31]
; %bb.691:
	v_add_f32_e32 v4, 0x46800000, v1
; %bb.692:
	s_or_b64 exec, exec, s[30:31]
                                        ; implicit-def: $vgpr1
.LBB352_693:
	s_andn2_saveexec_b64 s[28:29], s[28:29]
; %bb.694:
	s_mov_b32 s30, 0x7f800000
	v_mov_b32_e32 v4, 0x7e
	v_mov_b32_e32 v5, 0x7f
	v_cmp_lt_u32_e32 vcc, s30, v1
	s_nop 1
	v_cndmask_b32_e32 v4, v4, v5, vcc
; %bb.695:
	s_or_b64 exec, exec, s[28:29]
	global_store_byte v[2:3], v4, off
.LBB352_696:
	s_mov_b64 s[28:29], 0
.LBB352_697:
	s_andn2_b64 vcc, exec, s[28:29]
	s_cbranch_vccnz .LBB352_707
; %bb.698:
	v_cvt_f32_ubyte0_e32 v1, v0
	s_mov_b32 s28, 0x47800000
	v_cmp_gt_u32_e32 vcc, s28, v1
                                        ; implicit-def: $vgpr4
	s_and_saveexec_b64 s[28:29], vcc
	s_xor_b64 s[28:29], exec, s[28:29]
	s_cbranch_execz .LBB352_704
; %bb.699:
	s_mov_b32 s30, 0x387fffff
	v_cmp_lt_u32_e32 vcc, s30, v1
                                        ; implicit-def: $vgpr4
	s_and_saveexec_b64 s[30:31], vcc
	s_xor_b64 s[30:31], exec, s[30:31]
; %bb.700:
	v_bfe_u32 v4, v1, 21, 1
	s_mov_b32 s34, 0x80fffff
	v_add3_u32 v1, v1, v4, s34
	v_lshrrev_b32_e32 v4, 21, v1
                                        ; implicit-def: $vgpr1
; %bb.701:
	s_andn2_saveexec_b64 s[30:31], s[30:31]
; %bb.702:
	v_add_f32_e32 v4, 0x43000000, v1
; %bb.703:
	s_or_b64 exec, exec, s[30:31]
                                        ; implicit-def: $vgpr1
.LBB352_704:
	s_andn2_saveexec_b64 s[28:29], s[28:29]
; %bb.705:
	s_mov_b32 s30, 0x7f800000
	v_mov_b32_e32 v4, 0x7c
	v_mov_b32_e32 v5, 0x7f
	v_cmp_lt_u32_e32 vcc, s30, v1
	s_nop 1
	v_cndmask_b32_e32 v4, v4, v5, vcc
; %bb.706:
	s_or_b64 exec, exec, s[28:29]
	global_store_byte v[2:3], v4, off
.LBB352_707:
	s_mov_b64 s[30:31], 0
	s_mov_b64 s[28:29], -1
.LBB352_708:
	s_andn2_b64 vcc, exec, s[30:31]
	s_cbranch_vccnz .LBB352_716
; %bb.709:
	s_cmp_gt_i32 s37, 14
	s_mov_b64 s[30:31], -1
	s_cbranch_scc0 .LBB352_713
; %bb.710:
	s_cmp_eq_u32 s37, 15
	s_mov_b64 s[0:1], -1
	s_cbranch_scc0 .LBB352_712
; %bb.711:
	v_cvt_f32_ubyte0_e32 v1, v0
	v_bfe_u32 v4, v1, 16, 1
	s_movk_i32 s0, 0x7fff
	v_add3_u32 v1, v1, v4, s0
	global_store_short_d16_hi v[2:3], v1, off
	s_mov_b64 s[28:29], -1
	s_mov_b64 s[0:1], 0
.LBB352_712:
	s_mov_b64 s[30:31], 0
.LBB352_713:
	s_and_b64 vcc, exec, s[30:31]
	s_cbranch_vccz .LBB352_716
; %bb.714:
	s_cmp_eq_u32 s37, 11
	s_mov_b64 s[0:1], -1
	s_cbranch_scc0 .LBB352_716
; %bb.715:
	v_cmp_ne_u16_e32 vcc, 0, v0
	s_mov_b64 s[28:29], -1
	s_mov_b64 s[0:1], 0
	v_cndmask_b32_e64 v1, 0, 1, vcc
	global_store_byte v[2:3], v1, off
.LBB352_716:
	s_mov_b64 s[30:31], 0
.LBB352_717:
	s_and_b64 vcc, exec, s[30:31]
	s_cbranch_vccz .LBB352_756
; %bb.718:
	s_and_b32 s30, 0xffff, s36
	s_cmp_lt_i32 s30, 5
	s_mov_b64 s[28:29], -1
	s_cbranch_scc1 .LBB352_739
; %bb.719:
	s_cmp_lt_i32 s30, 8
	s_cbranch_scc1 .LBB352_729
; %bb.720:
	s_cmp_lt_i32 s30, 9
	s_cbranch_scc1 .LBB352_726
; %bb.721:
	s_cmp_gt_i32 s30, 9
	s_cbranch_scc0 .LBB352_723
; %bb.722:
	v_mov_b32_e32 v6, 0
	v_cvt_f64_u32_e32 v[4:5], v0
	v_mov_b32_e32 v7, v6
	s_mov_b64 s[28:29], 0
	global_store_dwordx4 v[2:3], v[4:7], off
.LBB352_723:
	s_andn2_b64 vcc, exec, s[28:29]
	s_cbranch_vccnz .LBB352_725
; %bb.724:
	v_cvt_f32_ubyte0_e32 v4, v0
	v_mov_b32_e32 v5, 0
	global_store_dwordx2 v[2:3], v[4:5], off
.LBB352_725:
	s_mov_b64 s[28:29], 0
.LBB352_726:
	s_andn2_b64 vcc, exec, s[28:29]
	s_cbranch_vccnz .LBB352_728
; %bb.727:
	v_cvt_f16_u16_e32 v1, v0
	global_store_dword v[2:3], v1, off
.LBB352_728:
	s_mov_b64 s[28:29], 0
.LBB352_729:
	s_andn2_b64 vcc, exec, s[28:29]
	s_cbranch_vccnz .LBB352_738
; %bb.730:
	s_cmp_lt_i32 s30, 6
	s_mov_b64 s[28:29], -1
	s_cbranch_scc1 .LBB352_736
; %bb.731:
	s_cmp_gt_i32 s30, 6
	s_cbranch_scc0 .LBB352_733
; %bb.732:
	v_cvt_f64_u32_e32 v[4:5], v0
	s_mov_b64 s[28:29], 0
	global_store_dwordx2 v[2:3], v[4:5], off
.LBB352_733:
	s_andn2_b64 vcc, exec, s[28:29]
	s_cbranch_vccnz .LBB352_735
; %bb.734:
	v_cvt_f32_ubyte0_e32 v1, v0
	global_store_dword v[2:3], v1, off
.LBB352_735:
	s_mov_b64 s[28:29], 0
.LBB352_736:
	s_andn2_b64 vcc, exec, s[28:29]
	s_cbranch_vccnz .LBB352_738
; %bb.737:
	v_cvt_f16_u16_e32 v1, v0
	global_store_short v[2:3], v1, off
.LBB352_738:
	s_mov_b64 s[28:29], 0
.LBB352_739:
	s_andn2_b64 vcc, exec, s[28:29]
	s_cbranch_vccnz .LBB352_755
; %bb.740:
	s_cmp_lt_i32 s30, 2
	s_mov_b64 s[28:29], -1
	s_cbranch_scc1 .LBB352_750
; %bb.741:
	s_cmp_lt_i32 s30, 3
	s_cbranch_scc1 .LBB352_747
; %bb.742:
	s_cmp_gt_i32 s30, 3
	s_cbranch_scc0 .LBB352_744
; %bb.743:
	s_mov_b32 s28, 0
	v_mov_b32_e32 v1, s28
	s_mov_b64 s[28:29], 0
	global_store_dwordx2 v[2:3], v[0:1], off
.LBB352_744:
	s_andn2_b64 vcc, exec, s[28:29]
	s_cbranch_vccnz .LBB352_746
; %bb.745:
	global_store_dword v[2:3], v0, off
.LBB352_746:
	s_mov_b64 s[28:29], 0
.LBB352_747:
	s_andn2_b64 vcc, exec, s[28:29]
	s_cbranch_vccnz .LBB352_749
; %bb.748:
	global_store_short v[2:3], v0, off
.LBB352_749:
	s_mov_b64 s[28:29], 0
.LBB352_750:
	s_andn2_b64 vcc, exec, s[28:29]
	s_cbranch_vccnz .LBB352_755
; %bb.751:
	s_cmp_gt_i32 s30, 0
	s_mov_b64 s[28:29], -1
	s_cbranch_scc0 .LBB352_753
; %bb.752:
	s_mov_b64 s[28:29], 0
	global_store_byte v[2:3], v0, off
.LBB352_753:
	s_andn2_b64 vcc, exec, s[28:29]
	s_cbranch_vccnz .LBB352_755
; %bb.754:
	global_store_byte v[2:3], v0, off
.LBB352_755:
	s_mov_b64 s[28:29], -1
.LBB352_756:
	s_andn2_b64 vcc, exec, s[28:29]
	s_cbranch_vccnz .LBB352_758
; %bb.757:
	v_add_u32_e32 v10, 0x80, v10
	s_mov_b64 s[30:31], -1
	s_branch .LBB352_759
.LBB352_758:
	s_mov_b64 s[30:31], 0
                                        ; implicit-def: $vgpr10
.LBB352_759:
	s_andn2_b64 s[28:29], s[20:21], exec
	s_and_b64 s[0:1], s[0:1], exec
	s_or_b64 s[28:29], s[28:29], s[0:1]
	s_andn2_b64 s[0:1], s[18:19], exec
	s_and_b64 s[26:27], s[26:27], exec
	s_or_b64 s[0:1], s[0:1], s[26:27]
	s_orn2_b64 s[34:35], s[30:31], exec
.LBB352_760:
	s_or_b64 exec, exec, s[24:25]
	s_mov_b64 s[30:31], 0
	s_mov_b64 s[26:27], 0
	;; [unrolled: 1-line block ×3, first 2 shown]
                                        ; implicit-def: $sgpr44
                                        ; implicit-def: $vgpr0_vgpr1
                                        ; implicit-def: $vgpr4
	s_and_saveexec_b64 s[24:25], s[34:35]
	s_cbranch_execz .LBB352_841
; %bb.761:
	v_cmp_gt_i32_e32 vcc, s38, v10
	s_mov_b64 s[34:35], 0
	s_mov_b64 s[38:39], s[0:1]
	;; [unrolled: 1-line block ×3, first 2 shown]
                                        ; implicit-def: $sgpr44
                                        ; implicit-def: $vgpr0_vgpr1
                                        ; implicit-def: $vgpr4
	s_and_saveexec_b64 s[26:27], vcc
	s_cbranch_execz .LBB352_840
; %bb.762:
	v_mul_lo_u32 v0, v10, s9
	v_ashrrev_i32_e32 v1, 31, v0
	s_and_b32 s44, s43, 0xff
	s_cmp_lt_i32 s44, 11
	v_lshl_add_u64 v[0:1], s[6:7], 0, v[0:1]
	s_cbranch_scc1 .LBB352_769
; %bb.763:
	s_and_b32 s40, 0xffff, s44
	s_cmp_gt_i32 s40, 25
	s_cbranch_scc0 .LBB352_770
; %bb.764:
	s_cmp_gt_i32 s40, 28
	s_cbranch_scc0 .LBB352_771
; %bb.765:
	;; [unrolled: 3-line block ×4, first 2 shown]
	s_cmp_eq_u32 s40, 46
	s_mov_b64 s[38:39], 0
	s_cbranch_scc0 .LBB352_778
; %bb.768:
	global_load_dword v2, v[0:1], off
	s_mov_b32 s30, 0x2f800000
	s_mov_b32 s31, 0xcf800000
	s_mov_b64 s[36:37], -1
	s_waitcnt vmcnt(0)
	v_lshlrev_b32_e32 v2, 16, v2
	v_trunc_f32_e32 v2, v2
	v_mul_f32_e64 v3, |v2|, s30
	v_floor_f32_e32 v3, v3
	v_fma_f32 v3, v3, s31, |v2|
	v_cvt_u32_f32_e32 v3, v3
	v_ashrrev_i32_e32 v2, 31, v2
	s_mov_b64 s[30:31], 0
	v_xor_b32_e32 v3, v3, v2
	v_sub_u32_e32 v4, v3, v2
	s_branch .LBB352_780
.LBB352_769:
	s_mov_b64 s[38:39], -1
                                        ; implicit-def: $vgpr4
	s_mov_b64 s[30:31], s[0:1]
	s_branch .LBB352_839
.LBB352_770:
	s_mov_b64 s[38:39], -1
	s_mov_b64 s[30:31], s[0:1]
                                        ; implicit-def: $vgpr4
	s_branch .LBB352_807
.LBB352_771:
	s_mov_b64 s[38:39], -1
	s_mov_b64 s[30:31], s[0:1]
                                        ; implicit-def: $vgpr4
	s_branch .LBB352_790
.LBB352_772:
	s_mov_b64 s[38:39], -1
	s_mov_b64 s[30:31], s[0:1]
                                        ; implicit-def: $vgpr4
	s_branch .LBB352_785
.LBB352_773:
	s_andn2_saveexec_b64 s[34:35], s[34:35]
	s_cbranch_execz .LBB352_669
.LBB352_774:
	v_add_f32_e32 v1, 0x46000000, v4
	v_and_b32_e32 v1, 0xff, v1
	v_cmp_ne_u32_e32 vcc, 0, v1
	s_andn2_b64 s[30:31], s[30:31], exec
	s_and_b64 s[40:41], vcc, exec
	s_or_b64 s[30:31], s[30:31], s[40:41]
	s_or_b64 exec, exec, s[34:35]
	v_mov_b32_e32 v5, 0
	s_and_saveexec_b64 s[34:35], s[30:31]
	s_cbranch_execnz .LBB352_670
	s_branch .LBB352_671
.LBB352_775:
	s_mov_b64 s[38:39], -1
	s_mov_b64 s[30:31], s[0:1]
	s_branch .LBB352_779
.LBB352_776:
	s_andn2_saveexec_b64 s[34:35], s[34:35]
	s_cbranch_execz .LBB352_682
.LBB352_777:
	v_add_f32_e32 v1, 0x42800000, v4
	v_and_b32_e32 v1, 0xff, v1
	v_cmp_ne_u32_e32 vcc, 0, v1
	s_andn2_b64 s[30:31], s[30:31], exec
	s_and_b64 s[40:41], vcc, exec
	s_or_b64 s[30:31], s[30:31], s[40:41]
	s_or_b64 exec, exec, s[34:35]
	v_mov_b32_e32 v5, 0
	s_and_saveexec_b64 s[34:35], s[30:31]
	s_cbranch_execnz .LBB352_683
	s_branch .LBB352_684
.LBB352_778:
	s_mov_b64 s[30:31], -1
.LBB352_779:
                                        ; implicit-def: $vgpr4
.LBB352_780:
	s_and_b64 vcc, exec, s[38:39]
	s_cbranch_vccz .LBB352_784
; %bb.781:
	s_cmp_eq_u32 s40, 44
	s_cbranch_scc0 .LBB352_783
; %bb.782:
	global_load_ubyte v2, v[0:1], off
	s_mov_b32 s30, 0x2f800000
	s_mov_b32 s31, 0xcf800000
	s_mov_b64 s[36:37], -1
	s_waitcnt vmcnt(0)
	v_lshlrev_b32_e32 v3, 23, v2
	v_trunc_f32_e32 v3, v3
	v_mul_f32_e64 v4, |v3|, s30
	v_floor_f32_e32 v4, v4
	v_fma_f32 v4, v4, s31, |v3|
	v_cvt_u32_f32_e32 v4, v4
	v_ashrrev_i32_e32 v3, 31, v3
	v_cmp_ne_u32_e32 vcc, 0, v2
	s_mov_b64 s[30:31], 0
	v_xor_b32_e32 v4, v4, v3
	v_sub_u32_e32 v3, v4, v3
	v_cndmask_b32_e32 v4, 0, v3, vcc
	s_branch .LBB352_784
.LBB352_783:
	s_mov_b64 s[30:31], -1
                                        ; implicit-def: $vgpr4
.LBB352_784:
	s_mov_b64 s[38:39], 0
.LBB352_785:
	s_and_b64 vcc, exec, s[38:39]
	s_cbranch_vccz .LBB352_789
; %bb.786:
	s_cmp_eq_u32 s40, 29
	s_cbranch_scc0 .LBB352_788
; %bb.787:
	global_load_dwordx2 v[4:5], v[0:1], off
	s_mov_b64 s[30:31], 0
	s_mov_b64 s[36:37], -1
	s_branch .LBB352_789
.LBB352_788:
	s_mov_b64 s[30:31], -1
                                        ; implicit-def: $vgpr4
.LBB352_789:
	s_mov_b64 s[38:39], 0
.LBB352_790:
	s_and_b64 vcc, exec, s[38:39]
	s_cbranch_vccz .LBB352_806
; %bb.791:
	s_cmp_lt_i32 s40, 27
	s_cbranch_scc1 .LBB352_794
; %bb.792:
	s_cmp_gt_i32 s40, 27
	s_cbranch_scc0 .LBB352_795
; %bb.793:
	global_load_dword v4, v[0:1], off
	s_mov_b64 s[36:37], 0
	s_branch .LBB352_796
.LBB352_794:
	s_mov_b64 s[36:37], -1
                                        ; implicit-def: $vgpr4
	s_branch .LBB352_799
.LBB352_795:
	s_mov_b64 s[36:37], -1
                                        ; implicit-def: $vgpr4
.LBB352_796:
	s_andn2_b64 vcc, exec, s[36:37]
	s_cbranch_vccnz .LBB352_798
; %bb.797:
	global_load_ushort v4, v[0:1], off
.LBB352_798:
	s_mov_b64 s[36:37], 0
.LBB352_799:
	s_andn2_b64 vcc, exec, s[36:37]
	s_cbranch_vccnz .LBB352_805
; %bb.800:
	global_load_ubyte v2, v[0:1], off
	s_movk_i32 s36, 0x7f
	s_mov_b64 s[38:39], 0
	s_waitcnt vmcnt(0)
	v_cmp_lt_i16_e32 vcc, s36, v2
	s_and_saveexec_b64 s[36:37], vcc
	s_xor_b64 s[36:37], exec, s[36:37]
	s_cbranch_execz .LBB352_817
; %bb.801:
	s_movk_i32 s38, 0x80
	v_cmp_ne_u16_e32 vcc, s38, v2
	s_and_b64 s[38:39], vcc, exec
	s_andn2_saveexec_b64 s[36:37], s[36:37]
	s_cbranch_execnz .LBB352_818
.LBB352_802:
	s_or_b64 exec, exec, s[36:37]
	v_mov_b32_e32 v4, 0
	s_and_saveexec_b64 s[36:37], s[38:39]
	s_cbranch_execz .LBB352_804
.LBB352_803:
	v_lshlrev_b32_e32 v3, 24, v2
	v_and_b32_e32 v2, 0xffff, v2
	v_and_b32_e32 v4, 7, v2
	v_ffbh_u32_e32 v6, v4
	v_min_u32_e32 v6, 32, v6
	v_subrev_u32_e32 v7, 28, v6
	v_bfe_u32 v5, v2, 3, 4
	v_lshlrev_b32_e32 v2, v7, v2
	v_sub_u32_e32 v6, 29, v6
	v_and_b32_e32 v2, 7, v2
	v_cmp_eq_u32_e32 vcc, 0, v5
	v_and_b32_e32 v3, 0x80000000, v3
	s_mov_b32 s38, 0x2f800000
	v_cndmask_b32_e32 v5, v5, v6, vcc
	v_cndmask_b32_e32 v2, v4, v2, vcc
	v_mov_b32_e32 v4, 0x3b800000
	v_lshlrev_b32_e32 v2, 20, v2
	v_lshl_add_u32 v4, v5, 23, v4
	v_or3_b32 v2, v3, v4, v2
	v_trunc_f32_e32 v2, v2
	v_mul_f32_e64 v3, |v2|, s38
	v_floor_f32_e32 v3, v3
	s_mov_b32 s38, 0xcf800000
	v_fma_f32 v3, v3, s38, |v2|
	v_cvt_u32_f32_e32 v3, v3
	v_ashrrev_i32_e32 v2, 31, v2
	v_xor_b32_e32 v3, v3, v2
	v_sub_u32_e32 v4, v3, v2
.LBB352_804:
	s_or_b64 exec, exec, s[36:37]
.LBB352_805:
	s_mov_b64 s[36:37], -1
.LBB352_806:
	s_mov_b64 s[38:39], 0
.LBB352_807:
	s_and_b64 vcc, exec, s[38:39]
	s_cbranch_vccz .LBB352_838
; %bb.808:
	s_cmp_gt_i32 s40, 22
	s_cbranch_scc0 .LBB352_816
; %bb.809:
	s_cmp_lt_i32 s40, 24
	s_cbranch_scc1 .LBB352_819
; %bb.810:
	s_cmp_gt_i32 s40, 24
	s_cbranch_scc0 .LBB352_820
; %bb.811:
	global_load_ubyte v2, v[0:1], off
	s_movk_i32 s34, 0x7f
	s_mov_b64 s[36:37], 0
	s_waitcnt vmcnt(0)
	v_cmp_lt_i16_e32 vcc, s34, v2
	s_and_saveexec_b64 s[34:35], vcc
	s_xor_b64 s[34:35], exec, s[34:35]
	s_cbranch_execz .LBB352_832
; %bb.812:
	s_movk_i32 s36, 0x80
	v_cmp_ne_u16_e32 vcc, s36, v2
	s_and_b64 s[36:37], vcc, exec
	s_andn2_saveexec_b64 s[34:35], s[34:35]
	s_cbranch_execnz .LBB352_833
.LBB352_813:
	s_or_b64 exec, exec, s[34:35]
	v_mov_b32_e32 v4, 0
	s_and_saveexec_b64 s[34:35], s[36:37]
	s_cbranch_execz .LBB352_815
.LBB352_814:
	v_lshlrev_b32_e32 v3, 24, v2
	v_and_b32_e32 v2, 0xffff, v2
	v_and_b32_e32 v4, 3, v2
	v_ffbh_u32_e32 v6, v4
	v_min_u32_e32 v6, 32, v6
	v_subrev_u32_e32 v7, 29, v6
	v_bfe_u32 v5, v2, 2, 5
	v_lshlrev_b32_e32 v2, v7, v2
	v_sub_u32_e32 v6, 30, v6
	v_and_b32_e32 v2, 3, v2
	v_cmp_eq_u32_e32 vcc, 0, v5
	v_and_b32_e32 v3, 0x80000000, v3
	s_mov_b32 s36, 0x2f800000
	v_cndmask_b32_e32 v5, v5, v6, vcc
	v_cndmask_b32_e32 v2, v4, v2, vcc
	v_mov_b32_e32 v4, 0x37800000
	v_lshlrev_b32_e32 v2, 21, v2
	v_lshl_add_u32 v4, v5, 23, v4
	v_or3_b32 v2, v3, v4, v2
	v_trunc_f32_e32 v2, v2
	v_mul_f32_e64 v3, |v2|, s36
	v_floor_f32_e32 v3, v3
	s_mov_b32 s36, 0xcf800000
	v_fma_f32 v3, v3, s36, |v2|
	v_cvt_u32_f32_e32 v3, v3
	v_ashrrev_i32_e32 v2, 31, v2
	v_xor_b32_e32 v3, v3, v2
	v_sub_u32_e32 v4, v3, v2
.LBB352_815:
	s_or_b64 exec, exec, s[34:35]
	s_mov_b64 s[34:35], 0
	s_branch .LBB352_821
.LBB352_816:
	s_mov_b64 s[34:35], -1
                                        ; implicit-def: $vgpr4
	s_branch .LBB352_827
.LBB352_817:
	s_andn2_saveexec_b64 s[36:37], s[36:37]
	s_cbranch_execz .LBB352_802
.LBB352_818:
	v_cmp_ne_u16_e32 vcc, 0, v2
	s_andn2_b64 s[38:39], s[38:39], exec
	s_and_b64 s[46:47], vcc, exec
	s_or_b64 s[38:39], s[38:39], s[46:47]
	s_or_b64 exec, exec, s[36:37]
	v_mov_b32_e32 v4, 0
	s_and_saveexec_b64 s[36:37], s[38:39]
	s_cbranch_execnz .LBB352_803
	s_branch .LBB352_804
.LBB352_819:
	s_mov_b64 s[34:35], -1
                                        ; implicit-def: $vgpr4
	s_branch .LBB352_824
.LBB352_820:
	s_mov_b64 s[34:35], -1
                                        ; implicit-def: $vgpr4
.LBB352_821:
	s_and_b64 vcc, exec, s[34:35]
	s_cbranch_vccz .LBB352_823
; %bb.822:
	global_load_ubyte v2, v[0:1], off
	s_mov_b32 s34, 0x7f800000
	s_brev_b32 s35, 1
	s_mov_b32 s36, 0x2f800000
	s_waitcnt vmcnt(0)
	v_lshlrev_b32_e32 v2, 24, v2
	v_and_b32_e32 v3, 0x7f000000, v2
	v_ffbh_u32_e32 v4, v3
	v_min_u32_e32 v4, 32, v4
	v_sub_u32_e64 v4, v4, 4 clamp
	v_lshlrev_b32_e32 v6, v4, v3
	v_lshlrev_b32_e32 v4, 23, v4
	v_lshrrev_b32_e32 v6, 4, v6
	v_add_u32_e32 v5, 0x1000000, v3
	v_sub_u32_e32 v4, v6, v4
	v_ashrrev_i32_e32 v5, 8, v5
	v_add_u32_e32 v4, 0x3c000000, v4
	v_and_or_b32 v4, v5, s34, v4
	v_cmp_ne_u32_e32 vcc, 0, v3
	s_mov_b32 s34, 0xcf800000
	s_nop 0
	v_cndmask_b32_e32 v3, 0, v4, vcc
	v_and_or_b32 v2, v2, s35, v3
	v_trunc_f32_e32 v2, v2
	v_mul_f32_e64 v3, |v2|, s36
	v_floor_f32_e32 v3, v3
	v_fma_f32 v3, v3, s34, |v2|
	v_cvt_u32_f32_e32 v3, v3
	v_ashrrev_i32_e32 v2, 31, v2
	v_xor_b32_e32 v3, v3, v2
	v_sub_u32_e32 v4, v3, v2
.LBB352_823:
	s_mov_b64 s[34:35], 0
.LBB352_824:
	s_andn2_b64 vcc, exec, s[34:35]
	s_cbranch_vccnz .LBB352_826
; %bb.825:
	global_load_ubyte v2, v[0:1], off
	s_movk_i32 s34, 0x7f00
	s_brev_b32 s35, 16
	s_brev_b32 s36, 1
	s_mov_b32 s37, 0x2f800000
	s_waitcnt vmcnt(0)
	v_lshlrev_b16_e32 v3, 8, v2
	v_lshlrev_b32_e32 v2, 25, v2
	v_lshrrev_b32_e32 v4, 4, v2
	v_and_or_b32 v5, v3, s34, 0.5
	v_or_b32_e32 v4, 0x70000000, v4
	v_add_f32_e32 v5, -0.5, v5
	v_mul_f32_e32 v4, 0x7800000, v4
	v_cmp_gt_u32_e32 vcc, s35, v2
	v_bfe_i32 v3, v3, 0, 16
	s_mov_b32 s34, 0xcf800000
	v_cndmask_b32_e32 v2, v4, v5, vcc
	v_and_or_b32 v2, v3, s36, v2
	v_trunc_f32_e32 v2, v2
	v_mul_f32_e64 v3, |v2|, s37
	v_floor_f32_e32 v3, v3
	v_fma_f32 v3, v3, s34, |v2|
	v_cvt_u32_f32_e32 v3, v3
	v_ashrrev_i32_e32 v2, 31, v2
	v_xor_b32_e32 v3, v3, v2
	v_sub_u32_e32 v4, v3, v2
.LBB352_826:
	s_mov_b64 s[34:35], 0
	s_mov_b64 s[36:37], -1
.LBB352_827:
	s_andn2_b64 vcc, exec, s[34:35]
	s_mov_b64 s[34:35], 0
	s_cbranch_vccnz .LBB352_838
; %bb.828:
	s_cmp_gt_i32 s40, 14
	s_cbranch_scc0 .LBB352_831
; %bb.829:
	s_cmp_eq_u32 s40, 15
	s_cbranch_scc0 .LBB352_834
; %bb.830:
	global_load_ushort v2, v[0:1], off
	s_mov_b32 s30, 0x2f800000
	s_mov_b32 s31, 0xcf800000
	s_mov_b64 s[36:37], -1
	s_waitcnt vmcnt(0)
	v_lshlrev_b32_e32 v2, 16, v2
	v_trunc_f32_e32 v2, v2
	v_mul_f32_e64 v3, |v2|, s30
	v_floor_f32_e32 v3, v3
	v_fma_f32 v3, v3, s31, |v2|
	v_cvt_u32_f32_e32 v3, v3
	v_ashrrev_i32_e32 v2, 31, v2
	s_mov_b64 s[30:31], 0
	v_xor_b32_e32 v3, v3, v2
	v_sub_u32_e32 v4, v3, v2
	s_branch .LBB352_835
.LBB352_831:
	s_mov_b64 s[38:39], -1
                                        ; implicit-def: $vgpr4
	s_branch .LBB352_836
.LBB352_832:
	s_andn2_saveexec_b64 s[34:35], s[34:35]
	s_cbranch_execz .LBB352_813
.LBB352_833:
	v_cmp_ne_u16_e32 vcc, 0, v2
	s_andn2_b64 s[36:37], s[36:37], exec
	s_and_b64 s[38:39], vcc, exec
	s_or_b64 s[36:37], s[36:37], s[38:39]
	s_or_b64 exec, exec, s[34:35]
	v_mov_b32_e32 v4, 0
	s_and_saveexec_b64 s[34:35], s[36:37]
	s_cbranch_execnz .LBB352_814
	s_branch .LBB352_815
.LBB352_834:
	s_mov_b64 s[30:31], -1
                                        ; implicit-def: $vgpr4
.LBB352_835:
	s_mov_b64 s[38:39], 0
.LBB352_836:
	s_and_b64 vcc, exec, s[38:39]
	s_cbranch_vccz .LBB352_838
; %bb.837:
	s_cmp_lg_u32 s40, 11
	s_cselect_b64 s[38:39], -1, 0
	s_andn2_b64 s[30:31], s[30:31], exec
	s_and_b64 s[38:39], s[38:39], exec
	s_mov_b64 s[34:35], -1
	s_or_b64 s[30:31], s[30:31], s[38:39]
.LBB352_838:
	s_mov_b64 s[38:39], 0
.LBB352_839:
	s_and_b64 s[40:41], s[38:39], exec
	s_andn2_b64 s[38:39], s[0:1], exec
	s_and_b64 s[30:31], s[30:31], exec
	s_and_b64 s[36:37], s[36:37], exec
	;; [unrolled: 1-line block ×3, first 2 shown]
	s_or_b64 s[38:39], s[38:39], s[30:31]
.LBB352_840:
	s_or_b64 exec, exec, s[26:27]
	s_and_b64 s[30:31], s[34:35], exec
	s_andn2_b64 s[0:1], s[0:1], exec
	s_and_b64 s[34:35], s[38:39], exec
	s_and_b64 s[36:37], s[36:37], exec
	;; [unrolled: 1-line block ×3, first 2 shown]
	s_or_b64 s[0:1], s[0:1], s[34:35]
.LBB352_841:
	s_or_b64 exec, exec, s[24:25]
	s_andn2_b64 s[20:21], s[20:21], exec
	s_and_b64 s[24:25], s[28:29], exec
	s_andn2_b64 s[18:19], s[18:19], exec
	s_and_b64 s[0:1], s[0:1], exec
	s_or_b64 s[20:21], s[20:21], s[24:25]
	s_and_b64 s[28:29], s[36:37], exec
	s_and_b64 s[26:27], s[26:27], exec
	;; [unrolled: 1-line block ×3, first 2 shown]
	s_or_b64 s[18:19], s[18:19], s[0:1]
.LBB352_842:
	s_or_b64 exec, exec, s[22:23]
	s_andn2_b64 s[0:1], s[12:13], exec
	s_and_b64 s[12:13], s[20:21], exec
	s_andn2_b64 s[14:15], s[14:15], exec
	s_and_b64 s[18:19], s[18:19], exec
	s_or_b64 s[12:13], s[0:1], s[12:13]
	s_and_b64 s[0:1], s[28:29], exec
	s_and_b64 s[22:23], s[26:27], exec
	;; [unrolled: 1-line block ×3, first 2 shown]
	s_or_b64 s[14:15], s[14:15], s[18:19]
	s_or_b64 exec, exec, s[16:17]
	s_mov_b64 s[16:17], 0
	s_and_saveexec_b64 s[18:19], s[14:15]
	s_cbranch_execz .LBB352_258
.LBB352_843:
	s_mov_b64 s[16:17], exec
	s_andn2_b64 s[20:21], s[20:21], exec
	s_trap 2
	s_or_b64 exec, exec, s[18:19]
	s_and_saveexec_b64 s[14:15], s[20:21]
	s_xor_b64 s[14:15], exec, s[14:15]
	s_cbranch_execnz .LBB352_259
.LBB352_844:
	s_or_b64 exec, exec, s[14:15]
	s_and_saveexec_b64 s[14:15], s[22:23]
	s_cbranch_execz .LBB352_890
.LBB352_845:
	s_sext_i32_i16 s18, s44
	s_cmp_lt_i32 s18, 5
	s_cbranch_scc1 .LBB352_850
; %bb.846:
	s_cmp_lt_i32 s18, 8
	s_cbranch_scc1 .LBB352_851
; %bb.847:
	;; [unrolled: 3-line block ×3, first 2 shown]
	s_cmp_gt_i32 s18, 9
	s_cbranch_scc0 .LBB352_853
; %bb.849:
	global_load_dwordx2 v[2:3], v[0:1], off
	s_movk_i32 s18, 0xffe0
	s_waitcnt vmcnt(0)
	v_trunc_f64_e32 v[2:3], v[2:3]
	v_ldexp_f64 v[4:5], v[2:3], s18
	v_floor_f64_e32 v[4:5], v[4:5]
	v_fmac_f64_e32 v[2:3], 0xc1f00000, v[4:5]
	v_cvt_u32_f64_e32 v4, v[2:3]
	s_mov_b64 s[18:19], 0
	s_branch .LBB352_854
.LBB352_850:
                                        ; implicit-def: $vgpr4
	s_branch .LBB352_871
.LBB352_851:
                                        ; implicit-def: $vgpr4
	s_branch .LBB352_860
.LBB352_852:
	s_mov_b64 s[18:19], -1
                                        ; implicit-def: $vgpr4
	s_branch .LBB352_857
.LBB352_853:
	s_mov_b64 s[18:19], -1
                                        ; implicit-def: $vgpr4
.LBB352_854:
	s_andn2_b64 vcc, exec, s[18:19]
	s_cbranch_vccnz .LBB352_856
; %bb.855:
	global_load_dword v2, v[0:1], off
	s_mov_b32 s18, 0x2f800000
	s_waitcnt vmcnt(0)
	v_trunc_f32_e32 v2, v2
	v_mul_f32_e64 v3, |v2|, s18
	v_floor_f32_e32 v3, v3
	s_mov_b32 s18, 0xcf800000
	v_fma_f32 v3, v3, s18, |v2|
	v_cvt_u32_f32_e32 v3, v3
	v_ashrrev_i32_e32 v2, 31, v2
	v_xor_b32_e32 v3, v3, v2
	v_sub_u32_e32 v4, v3, v2
.LBB352_856:
	s_mov_b64 s[18:19], 0
.LBB352_857:
	s_andn2_b64 vcc, exec, s[18:19]
	s_cbranch_vccnz .LBB352_859
; %bb.858:
	global_load_dword v2, v[0:1], off
	s_waitcnt vmcnt(0)
	v_cvt_f32_f16_e32 v2, v2
	v_cvt_i32_f32_e32 v4, v2
.LBB352_859:
	s_cbranch_execnz .LBB352_870
.LBB352_860:
	s_sext_i32_i16 s18, s44
	s_cmp_lt_i32 s18, 6
	s_cbranch_scc1 .LBB352_863
; %bb.861:
	s_cmp_gt_i32 s18, 6
	s_cbranch_scc0 .LBB352_864
; %bb.862:
	global_load_dwordx2 v[2:3], v[0:1], off
	s_movk_i32 s18, 0xffe0
	s_waitcnt vmcnt(0)
	v_trunc_f64_e32 v[2:3], v[2:3]
	v_ldexp_f64 v[4:5], v[2:3], s18
	v_floor_f64_e32 v[4:5], v[4:5]
	v_fmac_f64_e32 v[2:3], 0xc1f00000, v[4:5]
	v_cvt_u32_f64_e32 v4, v[2:3]
	s_mov_b64 s[18:19], 0
	s_branch .LBB352_865
.LBB352_863:
	s_mov_b64 s[18:19], -1
                                        ; implicit-def: $vgpr4
	s_branch .LBB352_868
.LBB352_864:
	s_mov_b64 s[18:19], -1
                                        ; implicit-def: $vgpr4
.LBB352_865:
	s_andn2_b64 vcc, exec, s[18:19]
	s_cbranch_vccnz .LBB352_867
; %bb.866:
	global_load_dword v2, v[0:1], off
	s_mov_b32 s18, 0x2f800000
	s_waitcnt vmcnt(0)
	v_trunc_f32_e32 v2, v2
	v_mul_f32_e64 v3, |v2|, s18
	v_floor_f32_e32 v3, v3
	s_mov_b32 s18, 0xcf800000
	v_fma_f32 v3, v3, s18, |v2|
	v_cvt_u32_f32_e32 v3, v3
	v_ashrrev_i32_e32 v2, 31, v2
	v_xor_b32_e32 v3, v3, v2
	v_sub_u32_e32 v4, v3, v2
.LBB352_867:
	s_mov_b64 s[18:19], 0
.LBB352_868:
	s_andn2_b64 vcc, exec, s[18:19]
	s_cbranch_vccnz .LBB352_870
; %bb.869:
	global_load_ushort v2, v[0:1], off
	s_waitcnt vmcnt(0)
	v_cvt_f32_f16_e32 v2, v2
	v_cvt_i32_f32_e32 v4, v2
.LBB352_870:
	s_cbranch_execnz .LBB352_889
.LBB352_871:
	s_sext_i32_i16 s18, s44
	s_cmp_lt_i32 s18, 2
	s_cbranch_scc1 .LBB352_875
; %bb.872:
	s_cmp_lt_i32 s18, 3
	s_cbranch_scc1 .LBB352_876
; %bb.873:
	s_cmp_gt_i32 s18, 3
	s_cbranch_scc0 .LBB352_877
; %bb.874:
	global_load_dwordx2 v[4:5], v[0:1], off
	s_mov_b64 s[18:19], 0
	s_branch .LBB352_878
.LBB352_875:
                                        ; implicit-def: $vgpr4
	s_branch .LBB352_884
.LBB352_876:
	s_mov_b64 s[18:19], -1
                                        ; implicit-def: $vgpr4
	s_branch .LBB352_881
.LBB352_877:
	s_mov_b64 s[18:19], -1
                                        ; implicit-def: $vgpr4
.LBB352_878:
	s_andn2_b64 vcc, exec, s[18:19]
	s_cbranch_vccnz .LBB352_880
; %bb.879:
	global_load_dword v4, v[0:1], off
.LBB352_880:
	s_mov_b64 s[18:19], 0
.LBB352_881:
	s_andn2_b64 vcc, exec, s[18:19]
	s_cbranch_vccnz .LBB352_883
; %bb.882:
	global_load_ushort v4, v[0:1], off
.LBB352_883:
	s_cbranch_execnz .LBB352_889
.LBB352_884:
	s_sext_i32_i16 s18, s44
	s_cmp_gt_i32 s18, 0
	s_cbranch_scc0 .LBB352_886
; %bb.885:
	global_load_ubyte v4, v[0:1], off
	s_mov_b64 s[18:19], 0
	s_branch .LBB352_887
.LBB352_886:
	s_mov_b64 s[18:19], -1
                                        ; implicit-def: $vgpr4
.LBB352_887:
	s_andn2_b64 vcc, exec, s[18:19]
	s_cbranch_vccnz .LBB352_889
; %bb.888:
	global_load_ubyte v4, v[0:1], off
.LBB352_889:
	s_or_b64 s[0:1], s[0:1], exec
.LBB352_890:
	s_or_b64 exec, exec, s[14:15]
	s_mov_b64 s[20:21], 0
	s_mov_b64 s[18:19], 0
                                        ; implicit-def: $sgpr26
                                        ; implicit-def: $vgpr2_vgpr3
                                        ; implicit-def: $vgpr0
	s_and_saveexec_b64 s[14:15], s[0:1]
	s_cbranch_execz .LBB352_965
; %bb.891:
	s_waitcnt vmcnt(0)
	v_mul_lo_u32 v2, v10, s8
	s_and_b32 s0, s33, 0xff
	v_ashrrev_i32_e32 v3, 31, v2
	s_and_b32 s26, s42, 0xff
	v_max_u16_sdwa v0, v4, s0 dst_sel:DWORD dst_unused:UNUSED_PAD src0_sel:BYTE_0 src1_sel:DWORD
	s_cmp_lt_i32 s26, 11
	v_lshl_add_u64 v[2:3], s[4:5], 0, v[2:3]
	s_cbranch_scc1 .LBB352_968
; %bb.892:
	s_and_b32 s27, 0xffff, s26
	s_mov_b64 s[20:21], -1
	s_cmp_gt_i32 s27, 25
	s_mov_b64 s[0:1], s[12:13]
	s_cbranch_scc0 .LBB352_925
; %bb.893:
	s_mov_b64 s[18:19], -1
	s_cmp_gt_i32 s27, 28
	s_mov_b64 s[0:1], s[12:13]
	s_cbranch_scc0 .LBB352_909
; %bb.894:
	s_cmp_gt_i32 s27, 43
	s_mov_b64 s[0:1], s[12:13]
	s_cbranch_scc0 .LBB352_905
; %bb.895:
	;; [unrolled: 4-line block ×3, first 2 shown]
	s_cmp_eq_u32 s27, 46
	s_mov_b64 s[0:1], -1
	s_cbranch_scc0 .LBB352_898
; %bb.897:
	v_cvt_f32_ubyte0_e32 v1, v0
	v_bfe_u32 v4, v1, 16, 1
	s_movk_i32 s0, 0x7fff
	v_add3_u32 v1, v1, v4, s0
	v_lshrrev_b32_e32 v1, 16, v1
	global_store_dword v[2:3], v1, off
	s_mov_b64 s[0:1], 0
.LBB352_898:
	s_mov_b64 s[18:19], 0
.LBB352_899:
	s_and_b64 vcc, exec, s[18:19]
	s_cbranch_vccz .LBB352_904
; %bb.900:
	s_cmp_eq_u32 s27, 44
	s_mov_b64 s[0:1], -1
	s_cbranch_scc0 .LBB352_904
; %bb.901:
	v_cvt_f32_ubyte0_e32 v4, v0
	v_lshrrev_b32_e32 v1, 23, v4
	s_movk_i32 s0, 0xff
	v_cmp_ne_u32_e32 vcc, s0, v1
	v_mov_b32_e32 v5, 0xff
	s_and_saveexec_b64 s[18:19], vcc
; %bb.902:
	s_mov_b32 s0, 0x3fffff
	v_and_b32_e32 v5, 0x400000, v4
	v_and_or_b32 v4, v4, s0, v1
	v_cmp_ne_u32_e32 vcc, 0, v5
	v_cmp_ne_u32_e64 s[0:1], 0, v4
	s_and_b64 s[0:1], vcc, s[0:1]
	s_nop 0
	v_cndmask_b32_e64 v4, 0, 1, s[0:1]
	v_add_u32_e32 v5, v1, v4
; %bb.903:
	s_or_b64 exec, exec, s[18:19]
	s_mov_b64 s[0:1], 0
	global_store_byte v[2:3], v5, off
.LBB352_904:
	s_mov_b64 s[18:19], 0
.LBB352_905:
	s_and_b64 vcc, exec, s[18:19]
	s_cbranch_vccz .LBB352_908
; %bb.906:
	s_cmp_eq_u32 s27, 29
	s_mov_b64 s[0:1], -1
	s_cbranch_scc0 .LBB352_908
; %bb.907:
	s_mov_b32 s0, 0
	v_mov_b32_e32 v1, s0
	global_store_dwordx2 v[2:3], v[0:1], off
	s_mov_b64 s[0:1], 0
.LBB352_908:
	s_mov_b64 s[18:19], 0
.LBB352_909:
	s_and_b64 vcc, exec, s[18:19]
	s_cbranch_vccz .LBB352_924
; %bb.910:
	s_cmp_lt_i32 s27, 27
	s_mov_b64 s[18:19], -1
	s_cbranch_scc1 .LBB352_916
; %bb.911:
	s_cmp_gt_i32 s27, 27
	s_cbranch_scc0 .LBB352_913
; %bb.912:
	s_mov_b64 s[18:19], 0
	global_store_dword v[2:3], v0, off
.LBB352_913:
	s_andn2_b64 vcc, exec, s[18:19]
	s_cbranch_vccnz .LBB352_915
; %bb.914:
	global_store_short v[2:3], v0, off
.LBB352_915:
	s_mov_b64 s[18:19], 0
.LBB352_916:
	s_andn2_b64 vcc, exec, s[18:19]
	s_cbranch_vccnz .LBB352_924
; %bb.917:
	v_cvt_f32_ubyte0_e32 v4, v0
	s_mov_b32 s18, 0x43800000
	v_cmp_gt_u32_e32 vcc, s18, v4
	v_mov_b32_e32 v5, 0x80
	s_and_saveexec_b64 s[18:19], vcc
	s_cbranch_execz .LBB352_923
; %bb.918:
	s_mov_b32 s20, 0x3bffffff
	v_cmp_lt_u32_e32 vcc, s20, v4
	s_mov_b64 s[20:21], 0
                                        ; implicit-def: $vgpr1
	s_and_saveexec_b64 s[22:23], vcc
	s_xor_b64 s[22:23], exec, s[22:23]
	s_cbranch_execz .LBB352_1025
; %bb.919:
	v_bfe_u32 v1, v4, 20, 1
	s_mov_b32 s24, 0x487ffff
	v_add3_u32 v1, v4, v1, s24
	s_mov_b64 s[20:21], exec
	v_lshrrev_b32_e32 v1, 20, v1
                                        ; implicit-def: $vgpr4
	s_andn2_saveexec_b64 s[22:23], s[22:23]
	s_cbranch_execnz .LBB352_1026
.LBB352_920:
	s_or_b64 exec, exec, s[22:23]
	v_mov_b32_e32 v5, 0
	s_and_saveexec_b64 s[22:23], s[20:21]
.LBB352_921:
	v_mov_b32_e32 v5, v1
.LBB352_922:
	s_or_b64 exec, exec, s[22:23]
.LBB352_923:
	s_or_b64 exec, exec, s[18:19]
	global_store_byte v[2:3], v5, off
.LBB352_924:
	s_mov_b64 s[20:21], 0
.LBB352_925:
	s_mov_b64 s[18:19], 0
	s_and_b64 vcc, exec, s[20:21]
	s_cbranch_vccz .LBB352_969
; %bb.926:
	s_cmp_gt_i32 s27, 22
	s_mov_b64 s[20:21], -1
	s_cbranch_scc0 .LBB352_958
; %bb.927:
	s_cmp_lt_i32 s27, 24
	s_cbranch_scc1 .LBB352_947
; %bb.928:
	s_cmp_gt_i32 s27, 24
	s_cbranch_scc0 .LBB352_936
; %bb.929:
	v_cvt_f32_ubyte0_e32 v4, v0
	s_mov_b32 s20, 0x47800000
	v_cmp_gt_u32_e32 vcc, s20, v4
	v_mov_b32_e32 v5, 0x80
	s_and_saveexec_b64 s[20:21], vcc
	s_cbranch_execz .LBB352_935
; %bb.930:
	s_mov_b32 s22, 0x37ffffff
	v_cmp_lt_u32_e32 vcc, s22, v4
	s_mov_b64 s[22:23], 0
                                        ; implicit-def: $vgpr1
	s_and_saveexec_b64 s[24:25], vcc
	s_xor_b64 s[24:25], exec, s[24:25]
	s_cbranch_execz .LBB352_1145
; %bb.931:
	v_bfe_u32 v1, v4, 21, 1
	s_mov_b32 s28, 0x88fffff
	v_add3_u32 v1, v4, v1, s28
	s_mov_b64 s[22:23], exec
	v_lshrrev_b32_e32 v1, 21, v1
                                        ; implicit-def: $vgpr4
	s_andn2_saveexec_b64 s[24:25], s[24:25]
	s_cbranch_execnz .LBB352_1146
.LBB352_932:
	s_or_b64 exec, exec, s[24:25]
	v_mov_b32_e32 v5, 0
	s_and_saveexec_b64 s[24:25], s[22:23]
.LBB352_933:
	v_mov_b32_e32 v5, v1
.LBB352_934:
	s_or_b64 exec, exec, s[24:25]
.LBB352_935:
	s_or_b64 exec, exec, s[20:21]
	s_mov_b64 s[20:21], 0
	global_store_byte v[2:3], v5, off
.LBB352_936:
	s_and_b64 vcc, exec, s[20:21]
	s_cbranch_vccz .LBB352_946
; %bb.937:
	v_cvt_f32_ubyte0_e32 v1, v0
	s_mov_b32 s20, 0x43f00000
	v_cmp_gt_u32_e32 vcc, s20, v1
                                        ; implicit-def: $vgpr4
	s_and_saveexec_b64 s[20:21], vcc
	s_xor_b64 s[20:21], exec, s[20:21]
	s_cbranch_execz .LBB352_943
; %bb.938:
	s_mov_b32 s22, 0x3c7fffff
	v_cmp_lt_u32_e32 vcc, s22, v1
                                        ; implicit-def: $vgpr4
	s_and_saveexec_b64 s[22:23], vcc
	s_xor_b64 s[22:23], exec, s[22:23]
; %bb.939:
	v_bfe_u32 v4, v1, 20, 1
	s_mov_b32 s24, 0x407ffff
	v_add3_u32 v1, v1, v4, s24
	v_lshrrev_b32_e32 v4, 20, v1
	v_and_b32_e32 v1, 0xff00000, v1
	s_mov_b32 s24, 0x7f00000
	v_mov_b32_e32 v5, 0x7e
	v_cmp_ne_u32_e32 vcc, s24, v1
                                        ; implicit-def: $vgpr1
	s_nop 1
	v_cndmask_b32_e32 v4, v5, v4, vcc
; %bb.940:
	s_andn2_saveexec_b64 s[22:23], s[22:23]
; %bb.941:
	v_add_f32_e32 v4, 0x46800000, v1
; %bb.942:
	s_or_b64 exec, exec, s[22:23]
                                        ; implicit-def: $vgpr1
.LBB352_943:
	s_andn2_saveexec_b64 s[20:21], s[20:21]
; %bb.944:
	s_mov_b32 s22, 0x7f800000
	v_mov_b32_e32 v4, 0x7e
	v_mov_b32_e32 v5, 0x7f
	v_cmp_lt_u32_e32 vcc, s22, v1
	s_nop 1
	v_cndmask_b32_e32 v4, v4, v5, vcc
; %bb.945:
	s_or_b64 exec, exec, s[20:21]
	global_store_byte v[2:3], v4, off
.LBB352_946:
	s_mov_b64 s[20:21], 0
.LBB352_947:
	s_andn2_b64 vcc, exec, s[20:21]
	s_cbranch_vccnz .LBB352_957
; %bb.948:
	v_cvt_f32_ubyte0_e32 v1, v0
	s_mov_b32 s20, 0x47800000
	v_cmp_gt_u32_e32 vcc, s20, v1
                                        ; implicit-def: $vgpr4
	s_and_saveexec_b64 s[20:21], vcc
	s_xor_b64 s[20:21], exec, s[20:21]
	s_cbranch_execz .LBB352_954
; %bb.949:
	s_mov_b32 s22, 0x387fffff
	v_cmp_lt_u32_e32 vcc, s22, v1
                                        ; implicit-def: $vgpr4
	s_and_saveexec_b64 s[22:23], vcc
	s_xor_b64 s[22:23], exec, s[22:23]
; %bb.950:
	v_bfe_u32 v4, v1, 21, 1
	s_mov_b32 s24, 0x80fffff
	v_add3_u32 v1, v1, v4, s24
	v_lshrrev_b32_e32 v4, 21, v1
                                        ; implicit-def: $vgpr1
; %bb.951:
	s_andn2_saveexec_b64 s[22:23], s[22:23]
; %bb.952:
	v_add_f32_e32 v4, 0x43000000, v1
; %bb.953:
	s_or_b64 exec, exec, s[22:23]
                                        ; implicit-def: $vgpr1
.LBB352_954:
	s_andn2_saveexec_b64 s[20:21], s[20:21]
; %bb.955:
	s_mov_b32 s22, 0x7f800000
	v_mov_b32_e32 v4, 0x7c
	v_mov_b32_e32 v5, 0x7f
	v_cmp_lt_u32_e32 vcc, s22, v1
	s_nop 1
	v_cndmask_b32_e32 v4, v4, v5, vcc
; %bb.956:
	s_or_b64 exec, exec, s[20:21]
	global_store_byte v[2:3], v4, off
.LBB352_957:
	s_mov_b64 s[20:21], 0
.LBB352_958:
	s_andn2_b64 vcc, exec, s[20:21]
	s_mov_b64 s[20:21], 0
	s_cbranch_vccnz .LBB352_970
; %bb.959:
	s_cmp_gt_i32 s27, 14
	s_mov_b64 s[22:23], -1
	s_cbranch_scc0 .LBB352_963
; %bb.960:
	s_cmp_eq_u32 s27, 15
	s_mov_b64 s[0:1], -1
	s_cbranch_scc0 .LBB352_962
; %bb.961:
	v_cvt_f32_ubyte0_e32 v1, v0
	v_bfe_u32 v4, v1, 16, 1
	s_movk_i32 s0, 0x7fff
	v_add3_u32 v1, v1, v4, s0
	global_store_short_d16_hi v[2:3], v1, off
	s_mov_b64 s[0:1], 0
.LBB352_962:
	s_mov_b64 s[22:23], 0
.LBB352_963:
	s_and_b64 vcc, exec, s[22:23]
	s_cbranch_vccz .LBB352_970
; %bb.964:
	s_cmp_lg_u32 s27, 11
	s_cselect_b64 s[22:23], -1, 0
	s_andn2_b64 s[0:1], s[0:1], exec
	s_and_b64 s[22:23], s[22:23], exec
	s_mov_b64 s[20:21], -1
	s_or_b64 s[0:1], s[0:1], s[22:23]
	s_branch .LBB352_970
.LBB352_965:
	s_or_b64 exec, exec, s[14:15]
	s_and_saveexec_b64 s[0:1], s[12:13]
	s_cbranch_execnz .LBB352_971
.LBB352_966:
	s_or_b64 exec, exec, s[0:1]
	s_and_saveexec_b64 s[0:1], s[20:21]
	s_xor_b64 s[0:1], exec, s[0:1]
	s_cbranch_execz .LBB352_972
.LBB352_967:
	v_mov_b32_e32 v1, 0
	v_cmp_ne_u16_sdwa s[12:13], v0, v1 src0_sel:BYTE_0 src1_sel:DWORD
	s_nop 1
	v_cndmask_b32_e64 v1, 0, 1, s[12:13]
	s_waitcnt vmcnt(0)
	global_store_byte v[2:3], v1, off
	s_or_b64 exec, exec, s[0:1]
	s_and_saveexec_b64 s[0:1], s[18:19]
	s_xor_b64 s[0:1], exec, s[0:1]
	s_cbranch_execz .LBB352_1010
	s_branch .LBB352_973
.LBB352_968:
	s_mov_b64 s[18:19], -1
	s_mov_b64 s[0:1], s[12:13]
	s_branch .LBB352_970
.LBB352_969:
	s_mov_b64 s[20:21], 0
.LBB352_970:
	s_andn2_b64 s[12:13], s[12:13], exec
	s_and_b64 s[0:1], s[0:1], exec
	s_and_b64 s[18:19], s[18:19], exec
	;; [unrolled: 1-line block ×3, first 2 shown]
	s_or_b64 s[12:13], s[12:13], s[0:1]
	s_or_b64 exec, exec, s[14:15]
	s_and_saveexec_b64 s[0:1], s[12:13]
	s_cbranch_execz .LBB352_966
.LBB352_971:
	s_or_b64 s[16:17], s[16:17], exec
	s_andn2_b64 s[20:21], s[20:21], exec
	s_trap 2
	s_or_b64 exec, exec, s[0:1]
	s_and_saveexec_b64 s[0:1], s[20:21]
	s_xor_b64 s[0:1], exec, s[0:1]
	s_cbranch_execnz .LBB352_967
.LBB352_972:
	s_or_b64 exec, exec, s[0:1]
	s_and_saveexec_b64 s[0:1], s[18:19]
	s_xor_b64 s[0:1], exec, s[0:1]
	s_cbranch_execz .LBB352_1010
.LBB352_973:
	s_sext_i32_i16 s14, s26
	s_cmp_lt_i32 s14, 5
	s_mov_b64 s[12:13], -1
	s_cbranch_scc1 .LBB352_994
; %bb.974:
	s_cmp_lt_i32 s14, 8
	s_cbranch_scc1 .LBB352_984
; %bb.975:
	s_cmp_lt_i32 s14, 9
	s_cbranch_scc1 .LBB352_981
; %bb.976:
	s_cmp_gt_i32 s14, 9
	s_cbranch_scc0 .LBB352_978
; %bb.977:
	s_mov_b32 s12, 0xffff
	v_and_b32_sdwa v1, s12, v0 dst_sel:DWORD dst_unused:UNUSED_PAD src0_sel:DWORD src1_sel:BYTE_0
	v_mov_b32_e32 v6, 0
	s_waitcnt vmcnt(0)
	v_cvt_f64_u32_e32 v[4:5], v1
	v_mov_b32_e32 v7, v6
	s_mov_b64 s[12:13], 0
	global_store_dwordx4 v[2:3], v[4:7], off
.LBB352_978:
	s_andn2_b64 vcc, exec, s[12:13]
	s_cbranch_vccnz .LBB352_980
; %bb.979:
	s_waitcnt vmcnt(0)
	v_cvt_f32_ubyte0_e32 v4, v0
	v_mov_b32_e32 v5, 0
	global_store_dwordx2 v[2:3], v[4:5], off
.LBB352_980:
	s_mov_b64 s[12:13], 0
.LBB352_981:
	s_andn2_b64 vcc, exec, s[12:13]
	s_cbranch_vccnz .LBB352_983
; %bb.982:
	v_cvt_f16_u16_sdwa v1, v0 dst_sel:DWORD dst_unused:UNUSED_PAD src0_sel:BYTE_0
	s_waitcnt vmcnt(0)
	global_store_dword v[2:3], v1, off
.LBB352_983:
	s_mov_b64 s[12:13], 0
.LBB352_984:
	s_andn2_b64 vcc, exec, s[12:13]
	s_cbranch_vccnz .LBB352_993
; %bb.985:
	s_sext_i32_i16 s14, s26
	s_cmp_lt_i32 s14, 6
	s_mov_b64 s[12:13], -1
	s_cbranch_scc1 .LBB352_991
; %bb.986:
	s_cmp_gt_i32 s14, 6
	s_cbranch_scc0 .LBB352_988
; %bb.987:
	s_mov_b32 s12, 0xffff
	v_and_b32_sdwa v1, s12, v0 dst_sel:DWORD dst_unused:UNUSED_PAD src0_sel:DWORD src1_sel:BYTE_0
	s_waitcnt vmcnt(0)
	v_cvt_f64_u32_e32 v[4:5], v1
	s_mov_b64 s[12:13], 0
	global_store_dwordx2 v[2:3], v[4:5], off
.LBB352_988:
	s_andn2_b64 vcc, exec, s[12:13]
	s_cbranch_vccnz .LBB352_990
; %bb.989:
	v_cvt_f32_ubyte0_e32 v1, v0
	s_waitcnt vmcnt(0)
	global_store_dword v[2:3], v1, off
.LBB352_990:
	s_mov_b64 s[12:13], 0
.LBB352_991:
	s_andn2_b64 vcc, exec, s[12:13]
	s_cbranch_vccnz .LBB352_993
; %bb.992:
	v_cvt_f16_u16_sdwa v1, v0 dst_sel:DWORD dst_unused:UNUSED_PAD src0_sel:BYTE_0
	s_waitcnt vmcnt(0)
	global_store_short v[2:3], v1, off
.LBB352_993:
	s_mov_b64 s[12:13], 0
.LBB352_994:
	s_andn2_b64 vcc, exec, s[12:13]
	s_cbranch_vccnz .LBB352_1010
; %bb.995:
	s_sext_i32_i16 s14, s26
	s_cmp_lt_i32 s14, 2
	s_mov_b64 s[12:13], -1
	s_cbranch_scc1 .LBB352_1005
; %bb.996:
	s_cmp_lt_i32 s14, 3
	s_cbranch_scc1 .LBB352_1002
; %bb.997:
	s_cmp_gt_i32 s14, 3
	s_cbranch_scc0 .LBB352_999
; %bb.998:
	s_waitcnt vmcnt(0)
	v_and_b32_e32 v4, 0xff, v0
	v_mov_b32_e32 v5, 0
	s_mov_b64 s[12:13], 0
	global_store_dwordx2 v[2:3], v[4:5], off
.LBB352_999:
	s_andn2_b64 vcc, exec, s[12:13]
	s_cbranch_vccnz .LBB352_1001
; %bb.1000:
	v_and_b32_e32 v1, 0xff, v0
	s_waitcnt vmcnt(0)
	global_store_dword v[2:3], v1, off
.LBB352_1001:
	s_mov_b64 s[12:13], 0
.LBB352_1002:
	s_andn2_b64 vcc, exec, s[12:13]
	s_cbranch_vccnz .LBB352_1004
; %bb.1003:
	v_and_b32_e32 v1, 0xff, v0
	s_waitcnt vmcnt(0)
	global_store_short v[2:3], v1, off
.LBB352_1004:
	s_mov_b64 s[12:13], 0
.LBB352_1005:
	s_andn2_b64 vcc, exec, s[12:13]
	s_cbranch_vccnz .LBB352_1010
; %bb.1006:
	s_sext_i32_i16 s12, s26
	s_cmp_gt_i32 s12, 0
	s_mov_b64 s[12:13], -1
	s_cbranch_scc0 .LBB352_1008
; %bb.1007:
	s_mov_b64 s[12:13], 0
	s_waitcnt vmcnt(0)
	global_store_byte v[2:3], v0, off
.LBB352_1008:
	s_andn2_b64 vcc, exec, s[12:13]
	s_cbranch_vccnz .LBB352_1010
; %bb.1009:
	s_waitcnt vmcnt(0)
	global_store_byte v[2:3], v0, off
.LBB352_1010:
	s_or_b64 exec, exec, s[0:1]
	s_and_b64 s[12:13], s[16:17], exec
                                        ; implicit-def: $vgpr10
.LBB352_1011:
	s_or_saveexec_b64 s[10:11], s[10:11]
	s_mov_b64 s[0:1], 0
                                        ; implicit-def: $sgpr20
                                        ; implicit-def: $vgpr0_vgpr1
                                        ; implicit-def: $vgpr2
	s_xor_b64 exec, exec, s[10:11]
	s_cbranch_execz .LBB352_1942
; %bb.1012:
	s_waitcnt vmcnt(0)
	v_mul_lo_u32 v2, s9, v10
	v_ashrrev_i32_e32 v3, 31, v2
	s_and_b32 s20, s43, 0xff
	s_cmp_lt_i32 s20, 11
	v_lshl_add_u64 v[4:5], s[6:7], 0, v[2:3]
	s_cbranch_scc1 .LBB352_1019
; %bb.1013:
	s_and_b32 s18, 0xffff, s20
	s_cmp_gt_i32 s18, 25
	s_cbranch_scc0 .LBB352_1021
; %bb.1014:
	s_cmp_gt_i32 s18, 28
	s_cbranch_scc0 .LBB352_1022
; %bb.1015:
	;; [unrolled: 3-line block ×4, first 2 shown]
	s_cmp_eq_u32 s18, 46
	s_mov_b64 s[14:15], 0
	s_cbranch_scc0 .LBB352_1027
; %bb.1018:
	global_load_dword v0, v[4:5], off
	s_mov_b32 s0, 0x2f800000
	s_mov_b32 s1, 0xcf800000
	s_mov_b64 s[16:17], -1
	s_waitcnt vmcnt(0)
	v_lshlrev_b32_e32 v0, 16, v0
	v_trunc_f32_e32 v0, v0
	v_mul_f32_e64 v1, |v0|, s0
	v_floor_f32_e32 v1, v1
	v_fma_f32 v1, v1, s1, |v0|
	v_cvt_u32_f32_e32 v1, v1
	v_ashrrev_i32_e32 v0, 31, v0
	s_mov_b64 s[0:1], 0
	v_xor_b32_e32 v1, v1, v0
	v_sub_u32_e32 v0, v1, v0
	s_branch .LBB352_1028
.LBB352_1019:
	s_mov_b64 s[16:17], 0
                                        ; implicit-def: $vgpr0
	s_mov_b64 s[14:15], s[12:13]
	s_cbranch_execnz .LBB352_1086
.LBB352_1020:
	s_andn2_b64 vcc, exec, s[16:17]
	s_cbranch_vccz .LBB352_1131
	s_branch .LBB352_1940
.LBB352_1021:
	s_mov_b64 s[16:17], 0
                                        ; implicit-def: $vgpr0
	s_cbranch_execnz .LBB352_1053
	s_branch .LBB352_1082
.LBB352_1022:
	s_mov_b64 s[16:17], 0
                                        ; implicit-def: $vgpr0
	s_cbranch_execz .LBB352_1052
	s_branch .LBB352_1037
.LBB352_1023:
	s_mov_b64 s[16:17], 0
                                        ; implicit-def: $vgpr0
	s_cbranch_execnz .LBB352_1033
	s_branch .LBB352_1036
.LBB352_1024:
	s_mov_b64 s[14:15], -1
	s_mov_b64 s[16:17], 0
                                        ; implicit-def: $vgpr0
	s_branch .LBB352_1028
.LBB352_1025:
	s_andn2_saveexec_b64 s[22:23], s[22:23]
	s_cbranch_execz .LBB352_920
.LBB352_1026:
	v_add_f32_e32 v1, 0x46000000, v4
	v_and_b32_e32 v1, 0xff, v1
	v_cmp_ne_u32_e32 vcc, 0, v1
	s_andn2_b64 s[20:21], s[20:21], exec
	s_and_b64 s[24:25], vcc, exec
	s_or_b64 s[20:21], s[20:21], s[24:25]
	s_or_b64 exec, exec, s[22:23]
	v_mov_b32_e32 v5, 0
	s_and_saveexec_b64 s[22:23], s[20:21]
	s_cbranch_execnz .LBB352_921
	s_branch .LBB352_922
.LBB352_1027:
	s_mov_b64 s[0:1], -1
                                        ; implicit-def: $vgpr0
	s_mov_b64 s[16:17], 0
.LBB352_1028:
	s_and_b64 vcc, exec, s[14:15]
	s_cbranch_vccz .LBB352_1031
; %bb.1029:
	s_cmp_eq_u32 s18, 44
	s_cbranch_scc0 .LBB352_1032
; %bb.1030:
	global_load_ubyte v0, v[4:5], off
	s_mov_b32 s0, 0x2f800000
	s_mov_b32 s1, 0xcf800000
	s_mov_b64 s[16:17], -1
	s_waitcnt vmcnt(0)
	v_lshlrev_b32_e32 v1, 23, v0
	v_trunc_f32_e32 v1, v1
	v_mul_f32_e64 v3, |v1|, s0
	v_floor_f32_e32 v3, v3
	v_fma_f32 v3, v3, s1, |v1|
	v_cvt_u32_f32_e32 v3, v3
	v_ashrrev_i32_e32 v1, 31, v1
	v_cmp_ne_u32_e32 vcc, 0, v0
	s_mov_b64 s[0:1], 0
	v_xor_b32_e32 v3, v3, v1
	v_sub_u32_e32 v1, v3, v1
	v_cndmask_b32_e32 v0, 0, v1, vcc
.LBB352_1031:
	s_branch .LBB352_1036
.LBB352_1032:
	s_mov_b64 s[0:1], -1
                                        ; implicit-def: $vgpr0
	s_branch .LBB352_1036
.LBB352_1033:
	s_cmp_eq_u32 s18, 29
	s_cbranch_scc0 .LBB352_1035
; %bb.1034:
	global_load_dwordx2 v[0:1], v[4:5], off
	s_mov_b64 s[0:1], 0
	s_mov_b64 s[16:17], -1
	s_branch .LBB352_1036
.LBB352_1035:
	s_mov_b64 s[0:1], -1
                                        ; implicit-def: $vgpr0
.LBB352_1036:
	s_branch .LBB352_1052
.LBB352_1037:
	s_cmp_lt_i32 s18, 27
	s_cbranch_scc1 .LBB352_1040
; %bb.1038:
	s_cmp_gt_i32 s18, 27
	s_cbranch_scc0 .LBB352_1041
; %bb.1039:
	global_load_dword v0, v[4:5], off
	s_mov_b64 s[14:15], 0
	s_branch .LBB352_1042
.LBB352_1040:
	s_mov_b64 s[14:15], -1
                                        ; implicit-def: $vgpr0
	s_branch .LBB352_1045
.LBB352_1041:
	s_mov_b64 s[14:15], -1
                                        ; implicit-def: $vgpr0
.LBB352_1042:
	s_andn2_b64 vcc, exec, s[14:15]
	s_cbranch_vccnz .LBB352_1044
; %bb.1043:
	global_load_ushort v0, v[4:5], off
.LBB352_1044:
	s_mov_b64 s[14:15], 0
.LBB352_1045:
	s_andn2_b64 vcc, exec, s[14:15]
	s_cbranch_vccnz .LBB352_1051
; %bb.1046:
	global_load_ubyte v1, v[4:5], off
	s_movk_i32 s14, 0x7f
	s_mov_b64 s[16:17], 0
	s_waitcnt vmcnt(0)
	v_cmp_lt_i16_e32 vcc, s14, v1
	s_and_saveexec_b64 s[14:15], vcc
	s_xor_b64 s[14:15], exec, s[14:15]
	s_cbranch_execz .LBB352_1062
; %bb.1047:
	s_movk_i32 s16, 0x80
	v_cmp_ne_u16_e32 vcc, s16, v1
	s_and_b64 s[16:17], vcc, exec
	s_andn2_saveexec_b64 s[14:15], s[14:15]
	s_cbranch_execnz .LBB352_1063
.LBB352_1048:
	s_or_b64 exec, exec, s[14:15]
	v_mov_b32_e32 v0, 0
	s_and_saveexec_b64 s[14:15], s[16:17]
	s_cbranch_execz .LBB352_1050
.LBB352_1049:
	v_lshlrev_b32_e32 v0, 24, v1
	v_and_b32_e32 v1, 0xffff, v1
	v_and_b32_e32 v3, 7, v1
	v_ffbh_u32_e32 v7, v3
	v_min_u32_e32 v7, 32, v7
	v_subrev_u32_e32 v8, 28, v7
	v_bfe_u32 v6, v1, 3, 4
	v_lshlrev_b32_e32 v1, v8, v1
	v_sub_u32_e32 v7, 29, v7
	v_and_b32_e32 v1, 7, v1
	v_cmp_eq_u32_e32 vcc, 0, v6
	v_and_b32_e32 v0, 0x80000000, v0
	s_mov_b32 s16, 0x2f800000
	v_cndmask_b32_e32 v6, v6, v7, vcc
	v_cndmask_b32_e32 v1, v3, v1, vcc
	v_mov_b32_e32 v3, 0x3b800000
	v_lshlrev_b32_e32 v1, 20, v1
	v_lshl_add_u32 v3, v6, 23, v3
	v_or3_b32 v0, v0, v3, v1
	v_trunc_f32_e32 v0, v0
	v_mul_f32_e64 v1, |v0|, s16
	v_floor_f32_e32 v1, v1
	s_mov_b32 s16, 0xcf800000
	v_fma_f32 v1, v1, s16, |v0|
	v_cvt_u32_f32_e32 v1, v1
	v_ashrrev_i32_e32 v0, 31, v0
	v_xor_b32_e32 v1, v1, v0
	v_sub_u32_e32 v0, v1, v0
.LBB352_1050:
	s_or_b64 exec, exec, s[14:15]
.LBB352_1051:
	s_mov_b64 s[16:17], -1
.LBB352_1052:
	s_branch .LBB352_1082
.LBB352_1053:
	s_cmp_gt_i32 s18, 22
	s_cbranch_scc0 .LBB352_1061
; %bb.1054:
	s_cmp_lt_i32 s18, 24
	s_cbranch_scc1 .LBB352_1064
; %bb.1055:
	s_cmp_gt_i32 s18, 24
	s_cbranch_scc0 .LBB352_1065
; %bb.1056:
	global_load_ubyte v1, v[4:5], off
	s_movk_i32 s2, 0x7f
	s_mov_b64 s[14:15], 0
	s_waitcnt vmcnt(0)
	v_cmp_lt_i16_e32 vcc, s2, v1
	s_and_saveexec_b64 s[2:3], vcc
	s_xor_b64 s[2:3], exec, s[2:3]
	s_cbranch_execz .LBB352_1076
; %bb.1057:
	s_movk_i32 s14, 0x80
	v_cmp_ne_u16_e32 vcc, s14, v1
	s_and_b64 s[14:15], vcc, exec
	s_andn2_saveexec_b64 s[2:3], s[2:3]
	s_cbranch_execnz .LBB352_1077
.LBB352_1058:
	s_or_b64 exec, exec, s[2:3]
	v_mov_b32_e32 v0, 0
	s_and_saveexec_b64 s[2:3], s[14:15]
	s_cbranch_execz .LBB352_1060
.LBB352_1059:
	v_lshlrev_b32_e32 v0, 24, v1
	v_and_b32_e32 v1, 0xffff, v1
	v_and_b32_e32 v3, 3, v1
	v_ffbh_u32_e32 v7, v3
	v_min_u32_e32 v7, 32, v7
	v_subrev_u32_e32 v8, 29, v7
	v_bfe_u32 v6, v1, 2, 5
	v_lshlrev_b32_e32 v1, v8, v1
	v_sub_u32_e32 v7, 30, v7
	v_and_b32_e32 v1, 3, v1
	v_cmp_eq_u32_e32 vcc, 0, v6
	v_and_b32_e32 v0, 0x80000000, v0
	s_mov_b32 s14, 0x2f800000
	v_cndmask_b32_e32 v6, v6, v7, vcc
	v_cndmask_b32_e32 v1, v3, v1, vcc
	v_mov_b32_e32 v3, 0x37800000
	v_lshlrev_b32_e32 v1, 21, v1
	v_lshl_add_u32 v3, v6, 23, v3
	v_or3_b32 v0, v0, v3, v1
	v_trunc_f32_e32 v0, v0
	v_mul_f32_e64 v1, |v0|, s14
	v_floor_f32_e32 v1, v1
	s_mov_b32 s14, 0xcf800000
	v_fma_f32 v1, v1, s14, |v0|
	v_cvt_u32_f32_e32 v1, v1
	v_ashrrev_i32_e32 v0, 31, v0
	v_xor_b32_e32 v1, v1, v0
	v_sub_u32_e32 v0, v1, v0
.LBB352_1060:
	s_or_b64 exec, exec, s[2:3]
	s_mov_b64 s[2:3], 0
	s_branch .LBB352_1066
.LBB352_1061:
                                        ; implicit-def: $vgpr0
	s_mov_b64 s[2:3], 0
	s_branch .LBB352_1072
.LBB352_1062:
	s_andn2_saveexec_b64 s[14:15], s[14:15]
	s_cbranch_execz .LBB352_1048
.LBB352_1063:
	v_cmp_ne_u16_e32 vcc, 0, v1
	s_andn2_b64 s[16:17], s[16:17], exec
	s_and_b64 s[22:23], vcc, exec
	s_or_b64 s[16:17], s[16:17], s[22:23]
	s_or_b64 exec, exec, s[14:15]
	v_mov_b32_e32 v0, 0
	s_and_saveexec_b64 s[14:15], s[16:17]
	s_cbranch_execnz .LBB352_1049
	s_branch .LBB352_1050
.LBB352_1064:
	s_mov_b64 s[2:3], -1
                                        ; implicit-def: $vgpr0
	s_branch .LBB352_1069
.LBB352_1065:
	s_mov_b64 s[2:3], -1
                                        ; implicit-def: $vgpr0
.LBB352_1066:
	s_and_b64 vcc, exec, s[2:3]
	s_cbranch_vccz .LBB352_1068
; %bb.1067:
	global_load_ubyte v0, v[4:5], off
	s_mov_b32 s2, 0x7f800000
	s_brev_b32 s3, 1
	s_mov_b32 s14, 0x2f800000
	s_waitcnt vmcnt(0)
	v_lshlrev_b32_e32 v0, 24, v0
	v_and_b32_e32 v1, 0x7f000000, v0
	v_ffbh_u32_e32 v3, v1
	v_min_u32_e32 v3, 32, v3
	v_sub_u32_e64 v3, v3, 4 clamp
	v_lshlrev_b32_e32 v7, v3, v1
	v_lshlrev_b32_e32 v3, 23, v3
	v_lshrrev_b32_e32 v7, 4, v7
	v_add_u32_e32 v6, 0x1000000, v1
	v_sub_u32_e32 v3, v7, v3
	v_ashrrev_i32_e32 v6, 8, v6
	v_add_u32_e32 v3, 0x3c000000, v3
	v_and_or_b32 v3, v6, s2, v3
	v_cmp_ne_u32_e32 vcc, 0, v1
	s_mov_b32 s2, 0xcf800000
	s_nop 0
	v_cndmask_b32_e32 v1, 0, v3, vcc
	v_and_or_b32 v0, v0, s3, v1
	v_trunc_f32_e32 v0, v0
	v_mul_f32_e64 v1, |v0|, s14
	v_floor_f32_e32 v1, v1
	v_fma_f32 v1, v1, s2, |v0|
	v_cvt_u32_f32_e32 v1, v1
	v_ashrrev_i32_e32 v0, 31, v0
	v_xor_b32_e32 v1, v1, v0
	v_sub_u32_e32 v0, v1, v0
.LBB352_1068:
	s_mov_b64 s[2:3], 0
.LBB352_1069:
	s_andn2_b64 vcc, exec, s[2:3]
	s_cbranch_vccnz .LBB352_1071
; %bb.1070:
	global_load_ubyte v0, v[4:5], off
	s_movk_i32 s2, 0x7f00
	s_brev_b32 s3, 16
	s_brev_b32 s14, 1
	s_mov_b32 s15, 0x2f800000
	s_waitcnt vmcnt(0)
	v_lshlrev_b16_e32 v1, 8, v0
	v_lshlrev_b32_e32 v0, 25, v0
	v_lshrrev_b32_e32 v3, 4, v0
	v_and_or_b32 v6, v1, s2, 0.5
	v_or_b32_e32 v3, 0x70000000, v3
	v_add_f32_e32 v6, -0.5, v6
	v_mul_f32_e32 v3, 0x7800000, v3
	v_cmp_gt_u32_e32 vcc, s3, v0
	v_bfe_i32 v1, v1, 0, 16
	s_mov_b32 s2, 0xcf800000
	v_cndmask_b32_e32 v0, v3, v6, vcc
	v_and_or_b32 v0, v1, s14, v0
	v_trunc_f32_e32 v0, v0
	v_mul_f32_e64 v1, |v0|, s15
	v_floor_f32_e32 v1, v1
	v_fma_f32 v1, v1, s2, |v0|
	v_cvt_u32_f32_e32 v1, v1
	v_ashrrev_i32_e32 v0, 31, v0
	v_xor_b32_e32 v1, v1, v0
	v_sub_u32_e32 v0, v1, v0
.LBB352_1071:
	s_mov_b64 s[16:17], -1
	s_mov_b64 s[2:3], 0
	s_cbranch_execnz .LBB352_1082
.LBB352_1072:
	s_cmp_gt_i32 s18, 14
	s_cbranch_scc0 .LBB352_1075
; %bb.1073:
	s_cmp_eq_u32 s18, 15
	s_cbranch_scc0 .LBB352_1078
; %bb.1074:
	global_load_ushort v0, v[4:5], off
	s_mov_b32 s0, 0x2f800000
	s_mov_b32 s1, 0xcf800000
	s_mov_b64 s[16:17], -1
	s_waitcnt vmcnt(0)
	v_lshlrev_b32_e32 v0, 16, v0
	v_trunc_f32_e32 v0, v0
	v_mul_f32_e64 v1, |v0|, s0
	v_floor_f32_e32 v1, v1
	v_fma_f32 v1, v1, s1, |v0|
	v_cvt_u32_f32_e32 v1, v1
	v_ashrrev_i32_e32 v0, 31, v0
	s_mov_b64 s[0:1], 0
	v_xor_b32_e32 v1, v1, v0
	v_sub_u32_e32 v0, v1, v0
	s_branch .LBB352_1079
.LBB352_1075:
	s_mov_b64 s[14:15], -1
                                        ; implicit-def: $vgpr0
	s_branch .LBB352_1080
.LBB352_1076:
	s_andn2_saveexec_b64 s[2:3], s[2:3]
	s_cbranch_execz .LBB352_1058
.LBB352_1077:
	v_cmp_ne_u16_e32 vcc, 0, v1
	s_andn2_b64 s[14:15], s[14:15], exec
	s_and_b64 s[16:17], vcc, exec
	s_or_b64 s[14:15], s[14:15], s[16:17]
	s_or_b64 exec, exec, s[2:3]
	v_mov_b32_e32 v0, 0
	s_and_saveexec_b64 s[2:3], s[14:15]
	s_cbranch_execnz .LBB352_1059
	s_branch .LBB352_1060
.LBB352_1078:
	s_mov_b64 s[0:1], -1
                                        ; implicit-def: $vgpr0
.LBB352_1079:
	s_mov_b64 s[14:15], 0
.LBB352_1080:
	s_and_b64 vcc, exec, s[14:15]
	s_cbranch_vccz .LBB352_1082
; %bb.1081:
	s_cmp_lg_u32 s18, 11
	s_mov_b64 s[2:3], -1
	s_cselect_b64 s[0:1], -1, 0
.LBB352_1082:
	s_and_b64 vcc, exec, s[0:1]
	s_mov_b64 s[14:15], s[12:13]
	s_cbranch_vccnz .LBB352_1143
; %bb.1083:
	s_andn2_b64 vcc, exec, s[2:3]
	s_cbranch_vccnz .LBB352_1085
.LBB352_1084:
	global_load_ubyte v0, v[4:5], off
	s_mov_b64 s[16:17], -1
	s_waitcnt vmcnt(0)
	v_cmp_ne_u16_e32 vcc, 0, v0
	s_nop 1
	v_cndmask_b32_e64 v0, 0, 1, vcc
.LBB352_1085:
	s_branch .LBB352_1020
.LBB352_1086:
	s_and_b32 s2, 0xffff, s20
	s_cmp_lt_i32 s2, 5
	s_cbranch_scc1 .LBB352_1091
; %bb.1087:
	s_cmp_lt_i32 s2, 8
	s_cbranch_scc1 .LBB352_1092
; %bb.1088:
	;; [unrolled: 3-line block ×3, first 2 shown]
	s_cmp_gt_i32 s2, 9
	s_cbranch_scc0 .LBB352_1094
; %bb.1090:
	global_load_dwordx2 v[0:1], v[4:5], off
	s_movk_i32 s0, 0xffe0
	s_waitcnt vmcnt(0)
	v_trunc_f64_e32 v[0:1], v[0:1]
	v_ldexp_f64 v[6:7], v[0:1], s0
	v_floor_f64_e32 v[6:7], v[6:7]
	v_fmac_f64_e32 v[0:1], 0xc1f00000, v[6:7]
	v_cvt_u32_f64_e32 v0, v[0:1]
	s_mov_b64 s[0:1], 0
	s_branch .LBB352_1095
.LBB352_1091:
                                        ; implicit-def: $vgpr0
	s_branch .LBB352_1112
.LBB352_1092:
                                        ; implicit-def: $vgpr0
	s_branch .LBB352_1101
.LBB352_1093:
	s_mov_b64 s[0:1], -1
                                        ; implicit-def: $vgpr0
	s_branch .LBB352_1098
.LBB352_1094:
	s_mov_b64 s[0:1], -1
                                        ; implicit-def: $vgpr0
.LBB352_1095:
	s_andn2_b64 vcc, exec, s[0:1]
	s_cbranch_vccnz .LBB352_1097
; %bb.1096:
	global_load_dword v0, v[4:5], off
	s_mov_b32 s0, 0x2f800000
	s_waitcnt vmcnt(0)
	v_trunc_f32_e32 v0, v0
	v_mul_f32_e64 v1, |v0|, s0
	v_floor_f32_e32 v1, v1
	s_mov_b32 s0, 0xcf800000
	v_fma_f32 v1, v1, s0, |v0|
	v_cvt_u32_f32_e32 v1, v1
	v_ashrrev_i32_e32 v0, 31, v0
	v_xor_b32_e32 v1, v1, v0
	v_sub_u32_e32 v0, v1, v0
.LBB352_1097:
	s_mov_b64 s[0:1], 0
.LBB352_1098:
	s_andn2_b64 vcc, exec, s[0:1]
	s_cbranch_vccnz .LBB352_1100
; %bb.1099:
	global_load_dword v0, v[4:5], off
	s_waitcnt vmcnt(0)
	v_cvt_f32_f16_e32 v0, v0
	v_cvt_i32_f32_e32 v0, v0
.LBB352_1100:
	s_cbranch_execnz .LBB352_1111
.LBB352_1101:
	s_cmp_lt_i32 s2, 6
	s_cbranch_scc1 .LBB352_1104
; %bb.1102:
	s_cmp_gt_i32 s2, 6
	s_cbranch_scc0 .LBB352_1105
; %bb.1103:
	global_load_dwordx2 v[0:1], v[4:5], off
	s_movk_i32 s0, 0xffe0
	s_waitcnt vmcnt(0)
	v_trunc_f64_e32 v[0:1], v[0:1]
	v_ldexp_f64 v[6:7], v[0:1], s0
	v_floor_f64_e32 v[6:7], v[6:7]
	v_fmac_f64_e32 v[0:1], 0xc1f00000, v[6:7]
	v_cvt_u32_f64_e32 v0, v[0:1]
	s_mov_b64 s[0:1], 0
	s_branch .LBB352_1106
.LBB352_1104:
	s_mov_b64 s[0:1], -1
                                        ; implicit-def: $vgpr0
	s_branch .LBB352_1109
.LBB352_1105:
	s_mov_b64 s[0:1], -1
                                        ; implicit-def: $vgpr0
.LBB352_1106:
	s_andn2_b64 vcc, exec, s[0:1]
	s_cbranch_vccnz .LBB352_1108
; %bb.1107:
	global_load_dword v0, v[4:5], off
	s_mov_b32 s0, 0x2f800000
	s_waitcnt vmcnt(0)
	v_trunc_f32_e32 v0, v0
	v_mul_f32_e64 v1, |v0|, s0
	v_floor_f32_e32 v1, v1
	s_mov_b32 s0, 0xcf800000
	v_fma_f32 v1, v1, s0, |v0|
	v_cvt_u32_f32_e32 v1, v1
	v_ashrrev_i32_e32 v0, 31, v0
	v_xor_b32_e32 v1, v1, v0
	v_sub_u32_e32 v0, v1, v0
.LBB352_1108:
	s_mov_b64 s[0:1], 0
.LBB352_1109:
	s_andn2_b64 vcc, exec, s[0:1]
	s_cbranch_vccnz .LBB352_1111
; %bb.1110:
	global_load_ushort v0, v[4:5], off
	s_waitcnt vmcnt(0)
	v_cvt_f32_f16_e32 v0, v0
	v_cvt_i32_f32_e32 v0, v0
.LBB352_1111:
	s_cbranch_execnz .LBB352_1130
.LBB352_1112:
	s_cmp_lt_i32 s2, 2
	s_cbranch_scc1 .LBB352_1116
; %bb.1113:
	s_cmp_lt_i32 s2, 3
	s_cbranch_scc1 .LBB352_1117
; %bb.1114:
	s_cmp_gt_i32 s2, 3
	s_cbranch_scc0 .LBB352_1118
; %bb.1115:
	global_load_dwordx2 v[0:1], v[4:5], off
	s_mov_b64 s[0:1], 0
	s_branch .LBB352_1119
.LBB352_1116:
                                        ; implicit-def: $vgpr0
	s_branch .LBB352_1125
.LBB352_1117:
	s_mov_b64 s[0:1], -1
                                        ; implicit-def: $vgpr0
	s_branch .LBB352_1122
.LBB352_1118:
	s_mov_b64 s[0:1], -1
                                        ; implicit-def: $vgpr0
.LBB352_1119:
	s_andn2_b64 vcc, exec, s[0:1]
	s_cbranch_vccnz .LBB352_1121
; %bb.1120:
	global_load_dword v0, v[4:5], off
.LBB352_1121:
	s_mov_b64 s[0:1], 0
.LBB352_1122:
	s_andn2_b64 vcc, exec, s[0:1]
	s_cbranch_vccnz .LBB352_1124
; %bb.1123:
	global_load_ushort v0, v[4:5], off
.LBB352_1124:
	s_cbranch_execnz .LBB352_1130
.LBB352_1125:
	s_cmp_gt_i32 s2, 0
	s_cbranch_scc0 .LBB352_1127
; %bb.1126:
	global_load_ubyte v0, v[4:5], off
	s_mov_b64 s[0:1], 0
	s_branch .LBB352_1128
.LBB352_1127:
	s_mov_b64 s[0:1], -1
                                        ; implicit-def: $vgpr0
.LBB352_1128:
	s_andn2_b64 vcc, exec, s[0:1]
	s_cbranch_vccnz .LBB352_1130
; %bb.1129:
	global_load_ubyte v0, v[4:5], off
.LBB352_1130:
.LBB352_1131:
	s_lshl_b32 s9, s9, 7
	v_add_u32_e32 v4, s9, v2
	v_ashrrev_i32_e32 v5, 31, v4
	s_cmp_lt_i32 s20, 11
	v_lshl_add_u64 v[6:7], s[6:7], 0, v[4:5]
	s_cbranch_scc1 .LBB352_1138
; %bb.1132:
	s_and_b32 s21, 0xffff, s20
	s_cmp_gt_i32 s21, 25
	s_mov_b64 s[2:3], 0
	s_cbranch_scc0 .LBB352_1140
; %bb.1133:
	s_cmp_gt_i32 s21, 28
	s_cbranch_scc0 .LBB352_1141
; %bb.1134:
	s_cmp_gt_i32 s21, 43
	;; [unrolled: 3-line block ×3, first 2 shown]
	s_cbranch_scc0 .LBB352_1144
; %bb.1136:
	s_cmp_eq_u32 s21, 46
	s_mov_b64 s[18:19], 0
	s_cbranch_scc0 .LBB352_1147
; %bb.1137:
	global_load_dword v1, v[6:7], off
	s_mov_b32 s0, 0x2f800000
	s_mov_b32 s1, 0xcf800000
	s_mov_b64 s[16:17], -1
	s_waitcnt vmcnt(0)
	v_lshlrev_b32_e32 v1, 16, v1
	v_trunc_f32_e32 v1, v1
	v_mul_f32_e64 v2, |v1|, s0
	v_floor_f32_e32 v2, v2
	v_fma_f32 v2, v2, s1, |v1|
	v_cvt_u32_f32_e32 v2, v2
	v_ashrrev_i32_e32 v1, 31, v1
	s_mov_b64 s[0:1], 0
	v_xor_b32_e32 v2, v2, v1
	v_sub_u32_e32 v2, v2, v1
	s_branch .LBB352_1148
.LBB352_1138:
	s_mov_b64 s[16:17], 0
                                        ; implicit-def: $vgpr2
	s_cbranch_execnz .LBB352_1209
.LBB352_1139:
	s_andn2_b64 vcc, exec, s[16:17]
	s_cbranch_vccnz .LBB352_1940
	s_branch .LBB352_1256
.LBB352_1140:
	s_mov_b64 s[16:17], 0
	s_mov_b64 s[0:1], 0
                                        ; implicit-def: $vgpr2
	s_cbranch_execnz .LBB352_1175
	s_branch .LBB352_1205
.LBB352_1141:
	s_mov_b64 s[18:19], -1
	s_mov_b64 s[16:17], 0
	s_mov_b64 s[0:1], 0
                                        ; implicit-def: $vgpr2
	s_branch .LBB352_1158
.LBB352_1142:
	s_mov_b64 s[18:19], -1
	s_mov_b64 s[16:17], 0
	s_mov_b64 s[0:1], 0
                                        ; implicit-def: $vgpr2
	s_branch .LBB352_1153
.LBB352_1143:
	s_or_b64 s[14:15], s[12:13], exec
	s_trap 2
	s_cbranch_execz .LBB352_1084
	s_branch .LBB352_1085
.LBB352_1144:
	s_mov_b64 s[18:19], -1
	s_mov_b64 s[16:17], 0
	s_mov_b64 s[0:1], 0
                                        ; implicit-def: $vgpr2
	s_branch .LBB352_1148
.LBB352_1145:
	s_andn2_saveexec_b64 s[24:25], s[24:25]
	s_cbranch_execz .LBB352_932
.LBB352_1146:
	v_add_f32_e32 v1, 0x42800000, v4
	v_and_b32_e32 v1, 0xff, v1
	v_cmp_ne_u32_e32 vcc, 0, v1
	s_andn2_b64 s[22:23], s[22:23], exec
	s_and_b64 s[28:29], vcc, exec
	s_or_b64 s[22:23], s[22:23], s[28:29]
	s_or_b64 exec, exec, s[24:25]
	v_mov_b32_e32 v5, 0
	s_and_saveexec_b64 s[24:25], s[22:23]
	s_cbranch_execnz .LBB352_933
	s_branch .LBB352_934
.LBB352_1147:
	s_mov_b64 s[0:1], -1
                                        ; implicit-def: $vgpr2
	s_mov_b64 s[16:17], 0
.LBB352_1148:
	s_and_b64 vcc, exec, s[18:19]
	s_cbranch_vccz .LBB352_1152
; %bb.1149:
	s_cmp_eq_u32 s21, 44
	s_cbranch_scc0 .LBB352_1151
; %bb.1150:
	global_load_ubyte v1, v[6:7], off
	s_mov_b32 s0, 0x2f800000
	s_mov_b32 s1, 0xcf800000
	s_mov_b64 s[16:17], -1
	s_waitcnt vmcnt(0)
	v_lshlrev_b32_e32 v2, 23, v1
	v_trunc_f32_e32 v2, v2
	v_mul_f32_e64 v3, |v2|, s0
	v_floor_f32_e32 v3, v3
	v_fma_f32 v3, v3, s1, |v2|
	v_cvt_u32_f32_e32 v3, v3
	v_ashrrev_i32_e32 v2, 31, v2
	v_cmp_ne_u32_e32 vcc, 0, v1
	s_mov_b64 s[0:1], 0
	v_xor_b32_e32 v3, v3, v2
	v_sub_u32_e32 v2, v3, v2
	v_cndmask_b32_e32 v2, 0, v2, vcc
	s_branch .LBB352_1152
.LBB352_1151:
	s_mov_b64 s[0:1], -1
                                        ; implicit-def: $vgpr2
.LBB352_1152:
	s_mov_b64 s[18:19], 0
.LBB352_1153:
	s_and_b64 vcc, exec, s[18:19]
	s_cbranch_vccz .LBB352_1157
; %bb.1154:
	s_cmp_eq_u32 s21, 29
	s_cbranch_scc0 .LBB352_1156
; %bb.1155:
	global_load_dwordx2 v[2:3], v[6:7], off
	s_mov_b64 s[0:1], 0
	s_mov_b64 s[16:17], -1
	s_branch .LBB352_1157
.LBB352_1156:
	s_mov_b64 s[0:1], -1
                                        ; implicit-def: $vgpr2
.LBB352_1157:
	s_mov_b64 s[18:19], 0
.LBB352_1158:
	s_and_b64 vcc, exec, s[18:19]
	s_cbranch_vccz .LBB352_1174
; %bb.1159:
	s_cmp_lt_i32 s21, 27
	s_cbranch_scc1 .LBB352_1162
; %bb.1160:
	s_cmp_gt_i32 s21, 27
	s_cbranch_scc0 .LBB352_1163
; %bb.1161:
	global_load_dword v2, v[6:7], off
	s_mov_b64 s[16:17], 0
	s_branch .LBB352_1164
.LBB352_1162:
	s_mov_b64 s[16:17], -1
                                        ; implicit-def: $vgpr2
	s_branch .LBB352_1167
.LBB352_1163:
	s_mov_b64 s[16:17], -1
                                        ; implicit-def: $vgpr2
.LBB352_1164:
	s_andn2_b64 vcc, exec, s[16:17]
	s_cbranch_vccnz .LBB352_1166
; %bb.1165:
	global_load_ushort v2, v[6:7], off
.LBB352_1166:
	s_mov_b64 s[16:17], 0
.LBB352_1167:
	s_andn2_b64 vcc, exec, s[16:17]
	s_cbranch_vccnz .LBB352_1173
; %bb.1168:
	global_load_ubyte v1, v[6:7], off
	s_movk_i32 s16, 0x7f
	s_mov_b64 s[18:19], 0
	s_waitcnt vmcnt(0)
	v_cmp_lt_i16_e32 vcc, s16, v1
	s_and_saveexec_b64 s[16:17], vcc
	s_xor_b64 s[16:17], exec, s[16:17]
	s_cbranch_execz .LBB352_1184
; %bb.1169:
	s_movk_i32 s18, 0x80
	v_cmp_ne_u16_e32 vcc, s18, v1
	s_and_b64 s[18:19], vcc, exec
	s_andn2_saveexec_b64 s[16:17], s[16:17]
	s_cbranch_execnz .LBB352_1185
.LBB352_1170:
	s_or_b64 exec, exec, s[16:17]
	v_mov_b32_e32 v2, 0
	s_and_saveexec_b64 s[16:17], s[18:19]
	s_cbranch_execz .LBB352_1172
.LBB352_1171:
	v_lshlrev_b32_e32 v2, 24, v1
	v_and_b32_e32 v1, 0xffff, v1
	v_and_b32_e32 v3, 7, v1
	v_ffbh_u32_e32 v8, v3
	v_min_u32_e32 v8, 32, v8
	v_subrev_u32_e32 v9, 28, v8
	v_bfe_u32 v5, v1, 3, 4
	v_lshlrev_b32_e32 v1, v9, v1
	v_sub_u32_e32 v8, 29, v8
	v_and_b32_e32 v1, 7, v1
	v_cmp_eq_u32_e32 vcc, 0, v5
	v_and_b32_e32 v2, 0x80000000, v2
	s_mov_b32 s18, 0x2f800000
	v_cndmask_b32_e32 v5, v5, v8, vcc
	v_cndmask_b32_e32 v1, v3, v1, vcc
	v_mov_b32_e32 v3, 0x3b800000
	v_lshlrev_b32_e32 v1, 20, v1
	v_lshl_add_u32 v3, v5, 23, v3
	v_or3_b32 v1, v2, v3, v1
	v_trunc_f32_e32 v1, v1
	v_mul_f32_e64 v2, |v1|, s18
	v_floor_f32_e32 v2, v2
	s_mov_b32 s18, 0xcf800000
	v_fma_f32 v2, v2, s18, |v1|
	v_cvt_u32_f32_e32 v2, v2
	v_ashrrev_i32_e32 v1, 31, v1
	v_xor_b32_e32 v2, v2, v1
	v_sub_u32_e32 v2, v2, v1
.LBB352_1172:
	s_or_b64 exec, exec, s[16:17]
.LBB352_1173:
	s_mov_b64 s[16:17], -1
.LBB352_1174:
	s_branch .LBB352_1205
.LBB352_1175:
	s_cmp_gt_i32 s21, 22
	s_cbranch_scc0 .LBB352_1183
; %bb.1176:
	s_cmp_lt_i32 s21, 24
	s_cbranch_scc1 .LBB352_1186
; %bb.1177:
	s_cmp_gt_i32 s21, 24
	s_cbranch_scc0 .LBB352_1187
; %bb.1178:
	global_load_ubyte v1, v[6:7], off
	s_movk_i32 s2, 0x7f
	s_mov_b64 s[16:17], 0
	s_waitcnt vmcnt(0)
	v_cmp_lt_i16_e32 vcc, s2, v1
	s_and_saveexec_b64 s[2:3], vcc
	s_xor_b64 s[2:3], exec, s[2:3]
	s_cbranch_execz .LBB352_1199
; %bb.1179:
	s_movk_i32 s16, 0x80
	v_cmp_ne_u16_e32 vcc, s16, v1
	s_and_b64 s[16:17], vcc, exec
	s_andn2_saveexec_b64 s[2:3], s[2:3]
	s_cbranch_execnz .LBB352_1200
.LBB352_1180:
	s_or_b64 exec, exec, s[2:3]
	v_mov_b32_e32 v2, 0
	s_and_saveexec_b64 s[2:3], s[16:17]
	s_cbranch_execz .LBB352_1182
.LBB352_1181:
	v_lshlrev_b32_e32 v2, 24, v1
	v_and_b32_e32 v1, 0xffff, v1
	v_and_b32_e32 v3, 3, v1
	v_ffbh_u32_e32 v8, v3
	v_min_u32_e32 v8, 32, v8
	v_subrev_u32_e32 v9, 29, v8
	v_bfe_u32 v5, v1, 2, 5
	v_lshlrev_b32_e32 v1, v9, v1
	v_sub_u32_e32 v8, 30, v8
	v_and_b32_e32 v1, 3, v1
	v_cmp_eq_u32_e32 vcc, 0, v5
	v_and_b32_e32 v2, 0x80000000, v2
	s_mov_b32 s16, 0x2f800000
	v_cndmask_b32_e32 v5, v5, v8, vcc
	v_cndmask_b32_e32 v1, v3, v1, vcc
	v_mov_b32_e32 v3, 0x37800000
	v_lshlrev_b32_e32 v1, 21, v1
	v_lshl_add_u32 v3, v5, 23, v3
	v_or3_b32 v1, v2, v3, v1
	v_trunc_f32_e32 v1, v1
	v_mul_f32_e64 v2, |v1|, s16
	v_floor_f32_e32 v2, v2
	s_mov_b32 s16, 0xcf800000
	v_fma_f32 v2, v2, s16, |v1|
	v_cvt_u32_f32_e32 v2, v2
	v_ashrrev_i32_e32 v1, 31, v1
	v_xor_b32_e32 v2, v2, v1
	v_sub_u32_e32 v2, v2, v1
.LBB352_1182:
	s_or_b64 exec, exec, s[2:3]
	s_mov_b64 s[2:3], 0
	s_branch .LBB352_1188
.LBB352_1183:
	s_mov_b64 s[2:3], -1
                                        ; implicit-def: $vgpr2
	s_branch .LBB352_1194
.LBB352_1184:
	s_andn2_saveexec_b64 s[16:17], s[16:17]
	s_cbranch_execz .LBB352_1170
.LBB352_1185:
	v_cmp_ne_u16_e32 vcc, 0, v1
	s_andn2_b64 s[18:19], s[18:19], exec
	s_and_b64 s[22:23], vcc, exec
	s_or_b64 s[18:19], s[18:19], s[22:23]
	s_or_b64 exec, exec, s[16:17]
	v_mov_b32_e32 v2, 0
	s_and_saveexec_b64 s[16:17], s[18:19]
	s_cbranch_execnz .LBB352_1171
	s_branch .LBB352_1172
.LBB352_1186:
	s_mov_b64 s[2:3], -1
                                        ; implicit-def: $vgpr2
	s_branch .LBB352_1191
.LBB352_1187:
	s_mov_b64 s[2:3], -1
                                        ; implicit-def: $vgpr2
.LBB352_1188:
	s_and_b64 vcc, exec, s[2:3]
	s_cbranch_vccz .LBB352_1190
; %bb.1189:
	global_load_ubyte v1, v[6:7], off
	s_mov_b32 s2, 0x7f800000
	s_brev_b32 s3, 1
	s_mov_b32 s16, 0x2f800000
	s_waitcnt vmcnt(0)
	v_lshlrev_b32_e32 v1, 24, v1
	v_and_b32_e32 v2, 0x7f000000, v1
	v_ffbh_u32_e32 v3, v2
	v_min_u32_e32 v3, 32, v3
	v_sub_u32_e64 v3, v3, 4 clamp
	v_lshlrev_b32_e32 v8, v3, v2
	v_lshlrev_b32_e32 v3, 23, v3
	v_lshrrev_b32_e32 v8, 4, v8
	v_add_u32_e32 v5, 0x1000000, v2
	v_sub_u32_e32 v3, v8, v3
	v_ashrrev_i32_e32 v5, 8, v5
	v_add_u32_e32 v3, 0x3c000000, v3
	v_and_or_b32 v3, v5, s2, v3
	v_cmp_ne_u32_e32 vcc, 0, v2
	s_mov_b32 s2, 0xcf800000
	s_nop 0
	v_cndmask_b32_e32 v2, 0, v3, vcc
	v_and_or_b32 v1, v1, s3, v2
	v_trunc_f32_e32 v1, v1
	v_mul_f32_e64 v2, |v1|, s16
	v_floor_f32_e32 v2, v2
	v_fma_f32 v2, v2, s2, |v1|
	v_cvt_u32_f32_e32 v2, v2
	v_ashrrev_i32_e32 v1, 31, v1
	v_xor_b32_e32 v2, v2, v1
	v_sub_u32_e32 v2, v2, v1
.LBB352_1190:
	s_mov_b64 s[2:3], 0
.LBB352_1191:
	s_andn2_b64 vcc, exec, s[2:3]
	s_cbranch_vccnz .LBB352_1193
; %bb.1192:
	global_load_ubyte v1, v[6:7], off
	s_movk_i32 s2, 0x7f00
	s_brev_b32 s3, 16
	s_brev_b32 s16, 1
	s_mov_b32 s17, 0x2f800000
	s_waitcnt vmcnt(0)
	v_lshlrev_b16_e32 v2, 8, v1
	v_lshlrev_b32_e32 v1, 25, v1
	v_lshrrev_b32_e32 v3, 4, v1
	v_and_or_b32 v5, v2, s2, 0.5
	v_or_b32_e32 v3, 0x70000000, v3
	v_add_f32_e32 v5, -0.5, v5
	v_mul_f32_e32 v3, 0x7800000, v3
	v_cmp_gt_u32_e32 vcc, s3, v1
	v_bfe_i32 v2, v2, 0, 16
	s_mov_b32 s2, 0xcf800000
	v_cndmask_b32_e32 v1, v3, v5, vcc
	v_and_or_b32 v1, v2, s16, v1
	v_trunc_f32_e32 v1, v1
	v_mul_f32_e64 v2, |v1|, s17
	v_floor_f32_e32 v2, v2
	v_fma_f32 v2, v2, s2, |v1|
	v_cvt_u32_f32_e32 v2, v2
	v_ashrrev_i32_e32 v1, 31, v1
	v_xor_b32_e32 v2, v2, v1
	v_sub_u32_e32 v2, v2, v1
.LBB352_1193:
	s_mov_b64 s[2:3], 0
	s_mov_b64 s[16:17], -1
.LBB352_1194:
	s_andn2_b64 vcc, exec, s[2:3]
	s_mov_b64 s[2:3], 0
	s_cbranch_vccnz .LBB352_1205
; %bb.1195:
	s_cmp_gt_i32 s21, 14
	s_cbranch_scc0 .LBB352_1198
; %bb.1196:
	s_cmp_eq_u32 s21, 15
	s_cbranch_scc0 .LBB352_1201
; %bb.1197:
	global_load_ushort v1, v[6:7], off
	s_mov_b32 s0, 0x2f800000
	s_mov_b32 s1, 0xcf800000
	s_mov_b64 s[16:17], -1
	s_waitcnt vmcnt(0)
	v_lshlrev_b32_e32 v1, 16, v1
	v_trunc_f32_e32 v1, v1
	v_mul_f32_e64 v2, |v1|, s0
	v_floor_f32_e32 v2, v2
	v_fma_f32 v2, v2, s1, |v1|
	v_cvt_u32_f32_e32 v2, v2
	v_ashrrev_i32_e32 v1, 31, v1
	s_mov_b64 s[0:1], 0
	v_xor_b32_e32 v2, v2, v1
	v_sub_u32_e32 v2, v2, v1
	s_branch .LBB352_1202
.LBB352_1198:
	s_mov_b64 s[18:19], -1
                                        ; implicit-def: $vgpr2
	s_branch .LBB352_1203
.LBB352_1199:
	s_andn2_saveexec_b64 s[2:3], s[2:3]
	s_cbranch_execz .LBB352_1180
.LBB352_1200:
	v_cmp_ne_u16_e32 vcc, 0, v1
	s_andn2_b64 s[16:17], s[16:17], exec
	s_and_b64 s[18:19], vcc, exec
	s_or_b64 s[16:17], s[16:17], s[18:19]
	s_or_b64 exec, exec, s[2:3]
	v_mov_b32_e32 v2, 0
	s_and_saveexec_b64 s[2:3], s[16:17]
	s_cbranch_execnz .LBB352_1181
	s_branch .LBB352_1182
.LBB352_1201:
	s_mov_b64 s[0:1], -1
                                        ; implicit-def: $vgpr2
.LBB352_1202:
	s_mov_b64 s[18:19], 0
.LBB352_1203:
	s_and_b64 vcc, exec, s[18:19]
	s_cbranch_vccz .LBB352_1205
; %bb.1204:
	s_cmp_lg_u32 s21, 11
	s_mov_b64 s[2:3], -1
	s_cselect_b64 s[0:1], -1, 0
.LBB352_1205:
	s_and_b64 vcc, exec, s[0:1]
	s_cbranch_vccnz .LBB352_1268
; %bb.1206:
	s_andn2_b64 vcc, exec, s[2:3]
	s_cbranch_vccnz .LBB352_1208
.LBB352_1207:
	global_load_ubyte v1, v[6:7], off
	s_mov_b64 s[16:17], -1
	s_waitcnt vmcnt(0)
	v_cmp_ne_u16_e32 vcc, 0, v1
	s_nop 1
	v_cndmask_b32_e64 v2, 0, 1, vcc
.LBB352_1208:
	s_branch .LBB352_1139
.LBB352_1209:
	s_and_b32 s2, 0xffff, s20
	s_cmp_lt_i32 s2, 5
	s_cbranch_scc1 .LBB352_1214
; %bb.1210:
	s_cmp_lt_i32 s2, 8
	s_cbranch_scc1 .LBB352_1215
; %bb.1211:
	;; [unrolled: 3-line block ×3, first 2 shown]
	s_cmp_gt_i32 s2, 9
	s_cbranch_scc0 .LBB352_1217
; %bb.1213:
	global_load_dwordx2 v[2:3], v[6:7], off
	s_movk_i32 s0, 0xffe0
	s_waitcnt vmcnt(0)
	v_trunc_f64_e32 v[2:3], v[2:3]
	v_ldexp_f64 v[8:9], v[2:3], s0
	v_floor_f64_e32 v[8:9], v[8:9]
	v_fmac_f64_e32 v[2:3], 0xc1f00000, v[8:9]
	v_cvt_u32_f64_e32 v2, v[2:3]
	s_mov_b64 s[0:1], 0
	s_branch .LBB352_1218
.LBB352_1214:
                                        ; implicit-def: $vgpr2
	s_branch .LBB352_1236
.LBB352_1215:
	s_mov_b64 s[0:1], -1
                                        ; implicit-def: $vgpr2
	s_branch .LBB352_1224
.LBB352_1216:
	s_mov_b64 s[0:1], -1
                                        ; implicit-def: $vgpr2
	s_branch .LBB352_1221
.LBB352_1217:
	s_mov_b64 s[0:1], -1
                                        ; implicit-def: $vgpr2
.LBB352_1218:
	s_andn2_b64 vcc, exec, s[0:1]
	s_cbranch_vccnz .LBB352_1220
; %bb.1219:
	global_load_dword v1, v[6:7], off
	s_mov_b32 s0, 0x2f800000
	s_waitcnt vmcnt(0)
	v_trunc_f32_e32 v1, v1
	v_mul_f32_e64 v2, |v1|, s0
	v_floor_f32_e32 v2, v2
	s_mov_b32 s0, 0xcf800000
	v_fma_f32 v2, v2, s0, |v1|
	v_cvt_u32_f32_e32 v2, v2
	v_ashrrev_i32_e32 v1, 31, v1
	v_xor_b32_e32 v2, v2, v1
	v_sub_u32_e32 v2, v2, v1
.LBB352_1220:
	s_mov_b64 s[0:1], 0
.LBB352_1221:
	s_andn2_b64 vcc, exec, s[0:1]
	s_cbranch_vccnz .LBB352_1223
; %bb.1222:
	global_load_dword v1, v[6:7], off
	s_waitcnt vmcnt(0)
	v_cvt_f32_f16_e32 v1, v1
	v_cvt_i32_f32_e32 v2, v1
.LBB352_1223:
	s_mov_b64 s[0:1], 0
.LBB352_1224:
	s_andn2_b64 vcc, exec, s[0:1]
	s_cbranch_vccnz .LBB352_1235
; %bb.1225:
	s_cmp_lt_i32 s2, 6
	s_cbranch_scc1 .LBB352_1228
; %bb.1226:
	s_cmp_gt_i32 s2, 6
	s_cbranch_scc0 .LBB352_1229
; %bb.1227:
	global_load_dwordx2 v[2:3], v[6:7], off
	s_movk_i32 s0, 0xffe0
	s_waitcnt vmcnt(0)
	v_trunc_f64_e32 v[2:3], v[2:3]
	v_ldexp_f64 v[8:9], v[2:3], s0
	v_floor_f64_e32 v[8:9], v[8:9]
	v_fmac_f64_e32 v[2:3], 0xc1f00000, v[8:9]
	v_cvt_u32_f64_e32 v2, v[2:3]
	s_mov_b64 s[0:1], 0
	s_branch .LBB352_1230
.LBB352_1228:
	s_mov_b64 s[0:1], -1
                                        ; implicit-def: $vgpr2
	s_branch .LBB352_1233
.LBB352_1229:
	s_mov_b64 s[0:1], -1
                                        ; implicit-def: $vgpr2
.LBB352_1230:
	s_andn2_b64 vcc, exec, s[0:1]
	s_cbranch_vccnz .LBB352_1232
; %bb.1231:
	global_load_dword v1, v[6:7], off
	s_mov_b32 s0, 0x2f800000
	s_waitcnt vmcnt(0)
	v_trunc_f32_e32 v1, v1
	v_mul_f32_e64 v2, |v1|, s0
	v_floor_f32_e32 v2, v2
	s_mov_b32 s0, 0xcf800000
	v_fma_f32 v2, v2, s0, |v1|
	v_cvt_u32_f32_e32 v2, v2
	v_ashrrev_i32_e32 v1, 31, v1
	v_xor_b32_e32 v2, v2, v1
	v_sub_u32_e32 v2, v2, v1
.LBB352_1232:
	s_mov_b64 s[0:1], 0
.LBB352_1233:
	s_andn2_b64 vcc, exec, s[0:1]
	s_cbranch_vccnz .LBB352_1235
; %bb.1234:
	global_load_ushort v1, v[6:7], off
	s_waitcnt vmcnt(0)
	v_cvt_f32_f16_e32 v1, v1
	v_cvt_i32_f32_e32 v2, v1
.LBB352_1235:
	s_cbranch_execnz .LBB352_1255
.LBB352_1236:
	s_cmp_lt_i32 s2, 2
	s_cbranch_scc1 .LBB352_1240
; %bb.1237:
	s_cmp_lt_i32 s2, 3
	s_cbranch_scc1 .LBB352_1241
; %bb.1238:
	s_cmp_gt_i32 s2, 3
	s_cbranch_scc0 .LBB352_1242
; %bb.1239:
	global_load_dwordx2 v[2:3], v[6:7], off
	s_mov_b64 s[0:1], 0
	s_branch .LBB352_1243
.LBB352_1240:
	s_mov_b64 s[0:1], -1
                                        ; implicit-def: $vgpr2
	s_branch .LBB352_1249
.LBB352_1241:
	s_mov_b64 s[0:1], -1
                                        ; implicit-def: $vgpr2
	s_branch .LBB352_1246
.LBB352_1242:
	s_mov_b64 s[0:1], -1
                                        ; implicit-def: $vgpr2
.LBB352_1243:
	s_andn2_b64 vcc, exec, s[0:1]
	s_cbranch_vccnz .LBB352_1245
; %bb.1244:
	global_load_dword v2, v[6:7], off
.LBB352_1245:
	s_mov_b64 s[0:1], 0
.LBB352_1246:
	s_andn2_b64 vcc, exec, s[0:1]
	s_cbranch_vccnz .LBB352_1248
; %bb.1247:
	global_load_ushort v2, v[6:7], off
.LBB352_1248:
	s_mov_b64 s[0:1], 0
.LBB352_1249:
	s_andn2_b64 vcc, exec, s[0:1]
	s_cbranch_vccnz .LBB352_1255
; %bb.1250:
	s_cmp_gt_i32 s2, 0
	s_cbranch_scc0 .LBB352_1252
; %bb.1251:
	global_load_ubyte v2, v[6:7], off
	s_mov_b64 s[0:1], 0
	s_branch .LBB352_1253
.LBB352_1252:
	s_mov_b64 s[0:1], -1
                                        ; implicit-def: $vgpr2
.LBB352_1253:
	s_andn2_b64 vcc, exec, s[0:1]
	s_cbranch_vccnz .LBB352_1255
; %bb.1254:
	global_load_ubyte v2, v[6:7], off
.LBB352_1255:
.LBB352_1256:
	v_add_u32_e32 v6, s9, v4
	v_ashrrev_i32_e32 v7, 31, v6
	s_cmp_lt_i32 s20, 11
	v_lshl_add_u64 v[8:9], s[6:7], 0, v[6:7]
	s_cbranch_scc1 .LBB352_1263
; %bb.1257:
	s_and_b32 s21, 0xffff, s20
	s_cmp_gt_i32 s21, 25
	s_mov_b64 s[2:3], 0
	s_cbranch_scc0 .LBB352_1265
; %bb.1258:
	s_cmp_gt_i32 s21, 28
	s_cbranch_scc0 .LBB352_1266
; %bb.1259:
	s_cmp_gt_i32 s21, 43
	;; [unrolled: 3-line block ×3, first 2 shown]
	s_cbranch_scc0 .LBB352_1269
; %bb.1261:
	s_cmp_eq_u32 s21, 46
	s_mov_b64 s[18:19], 0
	s_cbranch_scc0 .LBB352_1270
; %bb.1262:
	global_load_dword v1, v[8:9], off
	s_mov_b32 s0, 0x2f800000
	s_mov_b32 s1, 0xcf800000
	s_mov_b64 s[16:17], -1
	s_waitcnt vmcnt(0)
	v_lshlrev_b32_e32 v1, 16, v1
	v_trunc_f32_e32 v1, v1
	v_mul_f32_e64 v3, |v1|, s0
	v_floor_f32_e32 v3, v3
	v_fma_f32 v3, v3, s1, |v1|
	v_cvt_u32_f32_e32 v3, v3
	v_ashrrev_i32_e32 v1, 31, v1
	s_mov_b64 s[0:1], 0
	v_xor_b32_e32 v3, v3, v1
	v_sub_u32_e32 v4, v3, v1
	s_branch .LBB352_1271
.LBB352_1263:
	s_mov_b64 s[16:17], 0
                                        ; implicit-def: $vgpr4
	s_cbranch_execnz .LBB352_1333
.LBB352_1264:
	s_andn2_b64 vcc, exec, s[16:17]
	s_cbranch_vccnz .LBB352_1940
	s_branch .LBB352_1381
.LBB352_1265:
	s_mov_b64 s[18:19], -1
	s_mov_b64 s[16:17], 0
	s_mov_b64 s[0:1], 0
                                        ; implicit-def: $vgpr4
	s_branch .LBB352_1298
.LBB352_1266:
	s_mov_b64 s[18:19], -1
	s_mov_b64 s[16:17], 0
	s_mov_b64 s[0:1], 0
                                        ; implicit-def: $vgpr4
	s_branch .LBB352_1281
.LBB352_1267:
	s_mov_b64 s[18:19], -1
	s_mov_b64 s[16:17], 0
	s_mov_b64 s[0:1], 0
                                        ; implicit-def: $vgpr4
	s_branch .LBB352_1276
.LBB352_1268:
	s_trap 2
	s_or_b64 s[14:15], s[14:15], exec
	s_cbranch_execz .LBB352_1207
	s_branch .LBB352_1208
.LBB352_1269:
	s_mov_b64 s[18:19], -1
	s_mov_b64 s[16:17], 0
	s_mov_b64 s[0:1], 0
                                        ; implicit-def: $vgpr4
	s_branch .LBB352_1271
.LBB352_1270:
	s_mov_b64 s[0:1], -1
                                        ; implicit-def: $vgpr4
	s_mov_b64 s[16:17], 0
.LBB352_1271:
	s_and_b64 vcc, exec, s[18:19]
	s_cbranch_vccz .LBB352_1275
; %bb.1272:
	s_cmp_eq_u32 s21, 44
	s_cbranch_scc0 .LBB352_1274
; %bb.1273:
	global_load_ubyte v1, v[8:9], off
	s_mov_b32 s0, 0x2f800000
	s_mov_b32 s1, 0xcf800000
	s_mov_b64 s[16:17], -1
	s_waitcnt vmcnt(0)
	v_lshlrev_b32_e32 v3, 23, v1
	v_trunc_f32_e32 v3, v3
	v_mul_f32_e64 v4, |v3|, s0
	v_floor_f32_e32 v4, v4
	v_fma_f32 v4, v4, s1, |v3|
	v_cvt_u32_f32_e32 v4, v4
	v_ashrrev_i32_e32 v3, 31, v3
	v_cmp_ne_u32_e32 vcc, 0, v1
	s_mov_b64 s[0:1], 0
	v_xor_b32_e32 v4, v4, v3
	v_sub_u32_e32 v3, v4, v3
	v_cndmask_b32_e32 v4, 0, v3, vcc
	s_branch .LBB352_1275
.LBB352_1274:
	s_mov_b64 s[0:1], -1
                                        ; implicit-def: $vgpr4
.LBB352_1275:
	s_mov_b64 s[18:19], 0
.LBB352_1276:
	s_and_b64 vcc, exec, s[18:19]
	s_cbranch_vccz .LBB352_1280
; %bb.1277:
	s_cmp_eq_u32 s21, 29
	s_cbranch_scc0 .LBB352_1279
; %bb.1278:
	global_load_dwordx2 v[4:5], v[8:9], off
	s_mov_b64 s[0:1], 0
	s_mov_b64 s[16:17], -1
	s_branch .LBB352_1280
.LBB352_1279:
	s_mov_b64 s[0:1], -1
                                        ; implicit-def: $vgpr4
.LBB352_1280:
	s_mov_b64 s[18:19], 0
.LBB352_1281:
	s_and_b64 vcc, exec, s[18:19]
	s_cbranch_vccz .LBB352_1297
; %bb.1282:
	s_cmp_lt_i32 s21, 27
	s_cbranch_scc1 .LBB352_1285
; %bb.1283:
	s_cmp_gt_i32 s21, 27
	s_cbranch_scc0 .LBB352_1286
; %bb.1284:
	global_load_dword v4, v[8:9], off
	s_mov_b64 s[16:17], 0
	s_branch .LBB352_1287
.LBB352_1285:
	s_mov_b64 s[16:17], -1
                                        ; implicit-def: $vgpr4
	s_branch .LBB352_1290
.LBB352_1286:
	s_mov_b64 s[16:17], -1
                                        ; implicit-def: $vgpr4
.LBB352_1287:
	s_andn2_b64 vcc, exec, s[16:17]
	s_cbranch_vccnz .LBB352_1289
; %bb.1288:
	global_load_ushort v4, v[8:9], off
.LBB352_1289:
	s_mov_b64 s[16:17], 0
.LBB352_1290:
	s_andn2_b64 vcc, exec, s[16:17]
	s_cbranch_vccnz .LBB352_1296
; %bb.1291:
	global_load_ubyte v1, v[8:9], off
	s_movk_i32 s16, 0x7f
	s_mov_b64 s[18:19], 0
	s_waitcnt vmcnt(0)
	v_cmp_lt_i16_e32 vcc, s16, v1
	s_and_saveexec_b64 s[16:17], vcc
	s_xor_b64 s[16:17], exec, s[16:17]
	s_cbranch_execz .LBB352_1308
; %bb.1292:
	s_movk_i32 s18, 0x80
	v_cmp_ne_u16_e32 vcc, s18, v1
	s_and_b64 s[18:19], vcc, exec
	s_andn2_saveexec_b64 s[16:17], s[16:17]
	s_cbranch_execnz .LBB352_1309
.LBB352_1293:
	s_or_b64 exec, exec, s[16:17]
	v_mov_b32_e32 v4, 0
	s_and_saveexec_b64 s[16:17], s[18:19]
	s_cbranch_execz .LBB352_1295
.LBB352_1294:
	v_lshlrev_b32_e32 v3, 24, v1
	v_and_b32_e32 v1, 0xffff, v1
	v_and_b32_e32 v4, 7, v1
	v_ffbh_u32_e32 v7, v4
	v_min_u32_e32 v7, 32, v7
	v_subrev_u32_e32 v11, 28, v7
	v_bfe_u32 v5, v1, 3, 4
	v_lshlrev_b32_e32 v1, v11, v1
	v_sub_u32_e32 v7, 29, v7
	v_and_b32_e32 v1, 7, v1
	v_cmp_eq_u32_e32 vcc, 0, v5
	v_and_b32_e32 v3, 0x80000000, v3
	s_mov_b32 s18, 0x2f800000
	v_cndmask_b32_e32 v5, v5, v7, vcc
	v_cndmask_b32_e32 v1, v4, v1, vcc
	v_mov_b32_e32 v4, 0x3b800000
	v_lshlrev_b32_e32 v1, 20, v1
	v_lshl_add_u32 v4, v5, 23, v4
	v_or3_b32 v1, v3, v4, v1
	v_trunc_f32_e32 v1, v1
	v_mul_f32_e64 v3, |v1|, s18
	v_floor_f32_e32 v3, v3
	s_mov_b32 s18, 0xcf800000
	v_fma_f32 v3, v3, s18, |v1|
	v_cvt_u32_f32_e32 v3, v3
	v_ashrrev_i32_e32 v1, 31, v1
	v_xor_b32_e32 v3, v3, v1
	v_sub_u32_e32 v4, v3, v1
.LBB352_1295:
	s_or_b64 exec, exec, s[16:17]
.LBB352_1296:
	s_mov_b64 s[16:17], -1
.LBB352_1297:
	s_mov_b64 s[18:19], 0
.LBB352_1298:
	s_and_b64 vcc, exec, s[18:19]
	s_cbranch_vccz .LBB352_1329
; %bb.1299:
	s_cmp_gt_i32 s21, 22
	s_cbranch_scc0 .LBB352_1307
; %bb.1300:
	s_cmp_lt_i32 s21, 24
	s_cbranch_scc1 .LBB352_1310
; %bb.1301:
	s_cmp_gt_i32 s21, 24
	s_cbranch_scc0 .LBB352_1311
; %bb.1302:
	global_load_ubyte v1, v[8:9], off
	s_movk_i32 s2, 0x7f
	s_mov_b64 s[16:17], 0
	s_waitcnt vmcnt(0)
	v_cmp_lt_i16_e32 vcc, s2, v1
	s_and_saveexec_b64 s[2:3], vcc
	s_xor_b64 s[2:3], exec, s[2:3]
	s_cbranch_execz .LBB352_1323
; %bb.1303:
	s_movk_i32 s16, 0x80
	v_cmp_ne_u16_e32 vcc, s16, v1
	s_and_b64 s[16:17], vcc, exec
	s_andn2_saveexec_b64 s[2:3], s[2:3]
	s_cbranch_execnz .LBB352_1324
.LBB352_1304:
	s_or_b64 exec, exec, s[2:3]
	v_mov_b32_e32 v4, 0
	s_and_saveexec_b64 s[2:3], s[16:17]
	s_cbranch_execz .LBB352_1306
.LBB352_1305:
	v_lshlrev_b32_e32 v3, 24, v1
	v_and_b32_e32 v1, 0xffff, v1
	v_and_b32_e32 v4, 3, v1
	v_ffbh_u32_e32 v7, v4
	v_min_u32_e32 v7, 32, v7
	v_subrev_u32_e32 v11, 29, v7
	v_bfe_u32 v5, v1, 2, 5
	v_lshlrev_b32_e32 v1, v11, v1
	v_sub_u32_e32 v7, 30, v7
	v_and_b32_e32 v1, 3, v1
	v_cmp_eq_u32_e32 vcc, 0, v5
	v_and_b32_e32 v3, 0x80000000, v3
	s_mov_b32 s16, 0x2f800000
	v_cndmask_b32_e32 v5, v5, v7, vcc
	v_cndmask_b32_e32 v1, v4, v1, vcc
	v_mov_b32_e32 v4, 0x37800000
	v_lshlrev_b32_e32 v1, 21, v1
	v_lshl_add_u32 v4, v5, 23, v4
	v_or3_b32 v1, v3, v4, v1
	v_trunc_f32_e32 v1, v1
	v_mul_f32_e64 v3, |v1|, s16
	v_floor_f32_e32 v3, v3
	s_mov_b32 s16, 0xcf800000
	v_fma_f32 v3, v3, s16, |v1|
	v_cvt_u32_f32_e32 v3, v3
	v_ashrrev_i32_e32 v1, 31, v1
	v_xor_b32_e32 v3, v3, v1
	v_sub_u32_e32 v4, v3, v1
.LBB352_1306:
	s_or_b64 exec, exec, s[2:3]
	s_mov_b64 s[2:3], 0
	s_branch .LBB352_1312
.LBB352_1307:
	s_mov_b64 s[2:3], -1
                                        ; implicit-def: $vgpr4
	s_branch .LBB352_1318
.LBB352_1308:
	s_andn2_saveexec_b64 s[16:17], s[16:17]
	s_cbranch_execz .LBB352_1293
.LBB352_1309:
	v_cmp_ne_u16_e32 vcc, 0, v1
	s_andn2_b64 s[18:19], s[18:19], exec
	s_and_b64 s[22:23], vcc, exec
	s_or_b64 s[18:19], s[18:19], s[22:23]
	s_or_b64 exec, exec, s[16:17]
	v_mov_b32_e32 v4, 0
	s_and_saveexec_b64 s[16:17], s[18:19]
	s_cbranch_execnz .LBB352_1294
	s_branch .LBB352_1295
.LBB352_1310:
	s_mov_b64 s[2:3], -1
                                        ; implicit-def: $vgpr4
	s_branch .LBB352_1315
.LBB352_1311:
	s_mov_b64 s[2:3], -1
                                        ; implicit-def: $vgpr4
.LBB352_1312:
	s_and_b64 vcc, exec, s[2:3]
	s_cbranch_vccz .LBB352_1314
; %bb.1313:
	global_load_ubyte v1, v[8:9], off
	s_mov_b32 s2, 0x7f800000
	s_brev_b32 s3, 1
	s_mov_b32 s16, 0x2f800000
	s_waitcnt vmcnt(0)
	v_lshlrev_b32_e32 v1, 24, v1
	v_and_b32_e32 v3, 0x7f000000, v1
	v_ffbh_u32_e32 v4, v3
	v_min_u32_e32 v4, 32, v4
	v_sub_u32_e64 v4, v4, 4 clamp
	v_lshlrev_b32_e32 v7, v4, v3
	v_lshlrev_b32_e32 v4, 23, v4
	v_lshrrev_b32_e32 v7, 4, v7
	v_add_u32_e32 v5, 0x1000000, v3
	v_sub_u32_e32 v4, v7, v4
	v_ashrrev_i32_e32 v5, 8, v5
	v_add_u32_e32 v4, 0x3c000000, v4
	v_and_or_b32 v4, v5, s2, v4
	v_cmp_ne_u32_e32 vcc, 0, v3
	s_mov_b32 s2, 0xcf800000
	s_nop 0
	v_cndmask_b32_e32 v3, 0, v4, vcc
	v_and_or_b32 v1, v1, s3, v3
	v_trunc_f32_e32 v1, v1
	v_mul_f32_e64 v3, |v1|, s16
	v_floor_f32_e32 v3, v3
	v_fma_f32 v3, v3, s2, |v1|
	v_cvt_u32_f32_e32 v3, v3
	v_ashrrev_i32_e32 v1, 31, v1
	v_xor_b32_e32 v3, v3, v1
	v_sub_u32_e32 v4, v3, v1
.LBB352_1314:
	s_mov_b64 s[2:3], 0
.LBB352_1315:
	s_andn2_b64 vcc, exec, s[2:3]
	s_cbranch_vccnz .LBB352_1317
; %bb.1316:
	global_load_ubyte v1, v[8:9], off
	s_movk_i32 s2, 0x7f00
	s_brev_b32 s3, 16
	s_brev_b32 s16, 1
	s_mov_b32 s17, 0x2f800000
	s_waitcnt vmcnt(0)
	v_lshlrev_b16_e32 v3, 8, v1
	v_lshlrev_b32_e32 v1, 25, v1
	v_lshrrev_b32_e32 v4, 4, v1
	v_and_or_b32 v5, v3, s2, 0.5
	v_or_b32_e32 v4, 0x70000000, v4
	v_add_f32_e32 v5, -0.5, v5
	v_mul_f32_e32 v4, 0x7800000, v4
	v_cmp_gt_u32_e32 vcc, s3, v1
	v_bfe_i32 v3, v3, 0, 16
	s_mov_b32 s2, 0xcf800000
	v_cndmask_b32_e32 v1, v4, v5, vcc
	v_and_or_b32 v1, v3, s16, v1
	v_trunc_f32_e32 v1, v1
	v_mul_f32_e64 v3, |v1|, s17
	v_floor_f32_e32 v3, v3
	v_fma_f32 v3, v3, s2, |v1|
	v_cvt_u32_f32_e32 v3, v3
	v_ashrrev_i32_e32 v1, 31, v1
	v_xor_b32_e32 v3, v3, v1
	v_sub_u32_e32 v4, v3, v1
.LBB352_1317:
	s_mov_b64 s[2:3], 0
	s_mov_b64 s[16:17], -1
.LBB352_1318:
	s_andn2_b64 vcc, exec, s[2:3]
	s_mov_b64 s[2:3], 0
	s_cbranch_vccnz .LBB352_1329
; %bb.1319:
	s_cmp_gt_i32 s21, 14
	s_cbranch_scc0 .LBB352_1322
; %bb.1320:
	s_cmp_eq_u32 s21, 15
	s_cbranch_scc0 .LBB352_1325
; %bb.1321:
	global_load_ushort v1, v[8:9], off
	s_mov_b32 s0, 0x2f800000
	s_mov_b32 s1, 0xcf800000
	s_mov_b64 s[16:17], -1
	s_waitcnt vmcnt(0)
	v_lshlrev_b32_e32 v1, 16, v1
	v_trunc_f32_e32 v1, v1
	v_mul_f32_e64 v3, |v1|, s0
	v_floor_f32_e32 v3, v3
	v_fma_f32 v3, v3, s1, |v1|
	v_cvt_u32_f32_e32 v3, v3
	v_ashrrev_i32_e32 v1, 31, v1
	s_mov_b64 s[0:1], 0
	v_xor_b32_e32 v3, v3, v1
	v_sub_u32_e32 v4, v3, v1
	s_branch .LBB352_1326
.LBB352_1322:
	s_mov_b64 s[18:19], -1
                                        ; implicit-def: $vgpr4
	s_branch .LBB352_1327
.LBB352_1323:
	s_andn2_saveexec_b64 s[2:3], s[2:3]
	s_cbranch_execz .LBB352_1304
.LBB352_1324:
	v_cmp_ne_u16_e32 vcc, 0, v1
	s_andn2_b64 s[16:17], s[16:17], exec
	s_and_b64 s[18:19], vcc, exec
	s_or_b64 s[16:17], s[16:17], s[18:19]
	s_or_b64 exec, exec, s[2:3]
	v_mov_b32_e32 v4, 0
	s_and_saveexec_b64 s[2:3], s[16:17]
	s_cbranch_execnz .LBB352_1305
	s_branch .LBB352_1306
.LBB352_1325:
	s_mov_b64 s[0:1], -1
                                        ; implicit-def: $vgpr4
.LBB352_1326:
	s_mov_b64 s[18:19], 0
.LBB352_1327:
	s_and_b64 vcc, exec, s[18:19]
	s_cbranch_vccz .LBB352_1329
; %bb.1328:
	s_cmp_lg_u32 s21, 11
	s_mov_b64 s[2:3], -1
	s_cselect_b64 s[0:1], -1, 0
.LBB352_1329:
	s_and_b64 vcc, exec, s[0:1]
	s_cbranch_vccnz .LBB352_1392
; %bb.1330:
	s_andn2_b64 vcc, exec, s[2:3]
	s_cbranch_vccnz .LBB352_1332
.LBB352_1331:
	global_load_ubyte v1, v[8:9], off
	s_mov_b64 s[16:17], -1
	s_waitcnt vmcnt(0)
	v_cmp_ne_u16_e32 vcc, 0, v1
	s_nop 1
	v_cndmask_b32_e64 v4, 0, 1, vcc
.LBB352_1332:
	s_branch .LBB352_1264
.LBB352_1333:
	s_and_b32 s2, 0xffff, s20
	s_cmp_lt_i32 s2, 5
	s_cbranch_scc1 .LBB352_1338
; %bb.1334:
	s_cmp_lt_i32 s2, 8
	s_cbranch_scc1 .LBB352_1339
; %bb.1335:
	;; [unrolled: 3-line block ×3, first 2 shown]
	s_cmp_gt_i32 s2, 9
	s_cbranch_scc0 .LBB352_1341
; %bb.1337:
	global_load_dwordx2 v[4:5], v[8:9], off
	s_movk_i32 s0, 0xffe0
	s_waitcnt vmcnt(0)
	v_trunc_f64_e32 v[4:5], v[4:5]
	v_ldexp_f64 v[12:13], v[4:5], s0
	v_floor_f64_e32 v[12:13], v[12:13]
	v_fmac_f64_e32 v[4:5], 0xc1f00000, v[12:13]
	v_cvt_u32_f64_e32 v4, v[4:5]
	s_mov_b64 s[0:1], 0
	s_branch .LBB352_1342
.LBB352_1338:
	s_mov_b64 s[0:1], -1
                                        ; implicit-def: $vgpr4
	s_branch .LBB352_1360
.LBB352_1339:
	s_mov_b64 s[0:1], -1
                                        ; implicit-def: $vgpr4
	s_branch .LBB352_1348
.LBB352_1340:
	s_mov_b64 s[0:1], -1
                                        ; implicit-def: $vgpr4
	s_branch .LBB352_1345
.LBB352_1341:
	s_mov_b64 s[0:1], -1
                                        ; implicit-def: $vgpr4
.LBB352_1342:
	s_andn2_b64 vcc, exec, s[0:1]
	s_cbranch_vccnz .LBB352_1344
; %bb.1343:
	global_load_dword v1, v[8:9], off
	s_mov_b32 s0, 0x2f800000
	s_waitcnt vmcnt(0)
	v_trunc_f32_e32 v1, v1
	v_mul_f32_e64 v3, |v1|, s0
	v_floor_f32_e32 v3, v3
	s_mov_b32 s0, 0xcf800000
	v_fma_f32 v3, v3, s0, |v1|
	v_cvt_u32_f32_e32 v3, v3
	v_ashrrev_i32_e32 v1, 31, v1
	v_xor_b32_e32 v3, v3, v1
	v_sub_u32_e32 v4, v3, v1
.LBB352_1344:
	s_mov_b64 s[0:1], 0
.LBB352_1345:
	s_andn2_b64 vcc, exec, s[0:1]
	s_cbranch_vccnz .LBB352_1347
; %bb.1346:
	global_load_dword v1, v[8:9], off
	s_waitcnt vmcnt(0)
	v_cvt_f32_f16_e32 v1, v1
	v_cvt_i32_f32_e32 v4, v1
.LBB352_1347:
	s_mov_b64 s[0:1], 0
.LBB352_1348:
	s_andn2_b64 vcc, exec, s[0:1]
	s_cbranch_vccnz .LBB352_1359
; %bb.1349:
	s_cmp_lt_i32 s2, 6
	s_cbranch_scc1 .LBB352_1352
; %bb.1350:
	s_cmp_gt_i32 s2, 6
	s_cbranch_scc0 .LBB352_1353
; %bb.1351:
	global_load_dwordx2 v[4:5], v[8:9], off
	s_movk_i32 s0, 0xffe0
	s_waitcnt vmcnt(0)
	v_trunc_f64_e32 v[4:5], v[4:5]
	v_ldexp_f64 v[12:13], v[4:5], s0
	v_floor_f64_e32 v[12:13], v[12:13]
	v_fmac_f64_e32 v[4:5], 0xc1f00000, v[12:13]
	v_cvt_u32_f64_e32 v4, v[4:5]
	s_mov_b64 s[0:1], 0
	s_branch .LBB352_1354
.LBB352_1352:
	s_mov_b64 s[0:1], -1
                                        ; implicit-def: $vgpr4
	s_branch .LBB352_1357
.LBB352_1353:
	s_mov_b64 s[0:1], -1
                                        ; implicit-def: $vgpr4
.LBB352_1354:
	s_andn2_b64 vcc, exec, s[0:1]
	s_cbranch_vccnz .LBB352_1356
; %bb.1355:
	global_load_dword v1, v[8:9], off
	s_mov_b32 s0, 0x2f800000
	s_waitcnt vmcnt(0)
	v_trunc_f32_e32 v1, v1
	v_mul_f32_e64 v3, |v1|, s0
	v_floor_f32_e32 v3, v3
	s_mov_b32 s0, 0xcf800000
	v_fma_f32 v3, v3, s0, |v1|
	v_cvt_u32_f32_e32 v3, v3
	v_ashrrev_i32_e32 v1, 31, v1
	v_xor_b32_e32 v3, v3, v1
	v_sub_u32_e32 v4, v3, v1
.LBB352_1356:
	s_mov_b64 s[0:1], 0
.LBB352_1357:
	s_andn2_b64 vcc, exec, s[0:1]
	s_cbranch_vccnz .LBB352_1359
; %bb.1358:
	global_load_ushort v1, v[8:9], off
	s_waitcnt vmcnt(0)
	v_cvt_f32_f16_e32 v1, v1
	v_cvt_i32_f32_e32 v4, v1
.LBB352_1359:
	s_mov_b64 s[0:1], 0
.LBB352_1360:
	s_andn2_b64 vcc, exec, s[0:1]
	s_cbranch_vccnz .LBB352_1380
; %bb.1361:
	s_cmp_lt_i32 s2, 2
	s_cbranch_scc1 .LBB352_1365
; %bb.1362:
	s_cmp_lt_i32 s2, 3
	s_cbranch_scc1 .LBB352_1366
; %bb.1363:
	s_cmp_gt_i32 s2, 3
	s_cbranch_scc0 .LBB352_1367
; %bb.1364:
	global_load_dwordx2 v[4:5], v[8:9], off
	s_mov_b64 s[0:1], 0
	s_branch .LBB352_1368
.LBB352_1365:
	s_mov_b64 s[0:1], -1
                                        ; implicit-def: $vgpr4
	s_branch .LBB352_1374
.LBB352_1366:
	s_mov_b64 s[0:1], -1
                                        ; implicit-def: $vgpr4
	s_branch .LBB352_1371
.LBB352_1367:
	s_mov_b64 s[0:1], -1
                                        ; implicit-def: $vgpr4
.LBB352_1368:
	s_andn2_b64 vcc, exec, s[0:1]
	s_cbranch_vccnz .LBB352_1370
; %bb.1369:
	global_load_dword v4, v[8:9], off
.LBB352_1370:
	s_mov_b64 s[0:1], 0
.LBB352_1371:
	s_andn2_b64 vcc, exec, s[0:1]
	s_cbranch_vccnz .LBB352_1373
; %bb.1372:
	global_load_ushort v4, v[8:9], off
.LBB352_1373:
	s_mov_b64 s[0:1], 0
.LBB352_1374:
	s_andn2_b64 vcc, exec, s[0:1]
	s_cbranch_vccnz .LBB352_1380
; %bb.1375:
	s_cmp_gt_i32 s2, 0
	s_cbranch_scc0 .LBB352_1377
; %bb.1376:
	global_load_ubyte v4, v[8:9], off
	s_mov_b64 s[0:1], 0
	s_branch .LBB352_1378
.LBB352_1377:
	s_mov_b64 s[0:1], -1
                                        ; implicit-def: $vgpr4
.LBB352_1378:
	s_andn2_b64 vcc, exec, s[0:1]
	s_cbranch_vccnz .LBB352_1380
; %bb.1379:
	global_load_ubyte v4, v[8:9], off
.LBB352_1380:
.LBB352_1381:
	v_add_u32_e32 v6, s9, v6
	v_ashrrev_i32_e32 v7, 31, v6
	s_cmp_lt_i32 s20, 11
	v_lshl_add_u64 v[8:9], s[6:7], 0, v[6:7]
	s_cbranch_scc1 .LBB352_1388
; %bb.1382:
	s_and_b32 s9, 0xffff, s20
	s_cmp_gt_i32 s9, 25
	s_mov_b64 s[2:3], 0
	s_cbranch_scc0 .LBB352_1389
; %bb.1383:
	s_cmp_gt_i32 s9, 28
	s_cbranch_scc0 .LBB352_1390
; %bb.1384:
	s_cmp_gt_i32 s9, 43
	;; [unrolled: 3-line block ×3, first 2 shown]
	s_cbranch_scc0 .LBB352_1393
; %bb.1386:
	s_cmp_eq_u32 s9, 46
	s_mov_b64 s[16:17], 0
	s_cbranch_scc0 .LBB352_1394
; %bb.1387:
	global_load_dword v1, v[8:9], off
	s_mov_b32 s0, 0x2f800000
	s_mov_b32 s1, 0xcf800000
	s_mov_b64 s[6:7], -1
	s_waitcnt vmcnt(0)
	v_lshlrev_b32_e32 v1, 16, v1
	v_trunc_f32_e32 v1, v1
	v_mul_f32_e64 v3, |v1|, s0
	v_floor_f32_e32 v3, v3
	v_fma_f32 v3, v3, s1, |v1|
	v_cvt_u32_f32_e32 v3, v3
	v_ashrrev_i32_e32 v1, 31, v1
	s_mov_b64 s[0:1], 0
	v_xor_b32_e32 v3, v3, v1
	v_sub_u32_e32 v6, v3, v1
	s_branch .LBB352_1395
.LBB352_1388:
	s_mov_b64 s[0:1], -1
	s_mov_b64 s[6:7], 0
                                        ; implicit-def: $vgpr6
	s_branch .LBB352_1457
.LBB352_1389:
	s_mov_b64 s[16:17], -1
	s_mov_b64 s[6:7], 0
	s_mov_b64 s[0:1], 0
                                        ; implicit-def: $vgpr6
	s_branch .LBB352_1422
.LBB352_1390:
	s_mov_b64 s[16:17], -1
	s_mov_b64 s[6:7], 0
	s_mov_b64 s[0:1], 0
                                        ; implicit-def: $vgpr6
	s_branch .LBB352_1405
.LBB352_1391:
	s_mov_b64 s[16:17], -1
	s_mov_b64 s[6:7], 0
	s_mov_b64 s[0:1], 0
                                        ; implicit-def: $vgpr6
	s_branch .LBB352_1400
.LBB352_1392:
	s_trap 2
	s_or_b64 s[14:15], s[14:15], exec
	s_cbranch_execz .LBB352_1331
	s_branch .LBB352_1332
.LBB352_1393:
	s_mov_b64 s[16:17], -1
	s_mov_b64 s[6:7], 0
	s_mov_b64 s[0:1], 0
                                        ; implicit-def: $vgpr6
	s_branch .LBB352_1395
.LBB352_1394:
	s_mov_b64 s[0:1], -1
                                        ; implicit-def: $vgpr6
	s_mov_b64 s[6:7], 0
.LBB352_1395:
	s_and_b64 vcc, exec, s[16:17]
	s_cbranch_vccz .LBB352_1399
; %bb.1396:
	s_cmp_eq_u32 s9, 44
	s_cbranch_scc0 .LBB352_1398
; %bb.1397:
	global_load_ubyte v1, v[8:9], off
	s_mov_b32 s0, 0x2f800000
	s_mov_b32 s1, 0xcf800000
	s_mov_b64 s[6:7], -1
	s_waitcnt vmcnt(0)
	v_lshlrev_b32_e32 v3, 23, v1
	v_trunc_f32_e32 v3, v3
	v_mul_f32_e64 v5, |v3|, s0
	v_floor_f32_e32 v5, v5
	v_fma_f32 v5, v5, s1, |v3|
	v_cvt_u32_f32_e32 v5, v5
	v_ashrrev_i32_e32 v3, 31, v3
	v_cmp_ne_u32_e32 vcc, 0, v1
	s_mov_b64 s[0:1], 0
	v_xor_b32_e32 v5, v5, v3
	v_sub_u32_e32 v3, v5, v3
	v_cndmask_b32_e32 v6, 0, v3, vcc
	s_branch .LBB352_1399
.LBB352_1398:
	s_mov_b64 s[0:1], -1
                                        ; implicit-def: $vgpr6
.LBB352_1399:
	s_mov_b64 s[16:17], 0
.LBB352_1400:
	s_and_b64 vcc, exec, s[16:17]
	s_cbranch_vccz .LBB352_1404
; %bb.1401:
	s_cmp_eq_u32 s9, 29
	s_cbranch_scc0 .LBB352_1403
; %bb.1402:
	global_load_dwordx2 v[6:7], v[8:9], off
	s_mov_b64 s[0:1], 0
	s_mov_b64 s[6:7], -1
	s_branch .LBB352_1404
.LBB352_1403:
	s_mov_b64 s[0:1], -1
                                        ; implicit-def: $vgpr6
.LBB352_1404:
	s_mov_b64 s[16:17], 0
.LBB352_1405:
	s_and_b64 vcc, exec, s[16:17]
	s_cbranch_vccz .LBB352_1421
; %bb.1406:
	s_cmp_lt_i32 s9, 27
	s_cbranch_scc1 .LBB352_1409
; %bb.1407:
	s_cmp_gt_i32 s9, 27
	s_cbranch_scc0 .LBB352_1410
; %bb.1408:
	global_load_dword v6, v[8:9], off
	s_mov_b64 s[6:7], 0
	s_branch .LBB352_1411
.LBB352_1409:
	s_mov_b64 s[6:7], -1
                                        ; implicit-def: $vgpr6
	s_branch .LBB352_1414
.LBB352_1410:
	s_mov_b64 s[6:7], -1
                                        ; implicit-def: $vgpr6
.LBB352_1411:
	s_andn2_b64 vcc, exec, s[6:7]
	s_cbranch_vccnz .LBB352_1413
; %bb.1412:
	global_load_ushort v6, v[8:9], off
.LBB352_1413:
	s_mov_b64 s[6:7], 0
.LBB352_1414:
	s_andn2_b64 vcc, exec, s[6:7]
	s_cbranch_vccnz .LBB352_1420
; %bb.1415:
	global_load_ubyte v1, v[8:9], off
	s_movk_i32 s6, 0x7f
	s_mov_b64 s[16:17], 0
	s_waitcnt vmcnt(0)
	v_cmp_lt_i16_e32 vcc, s6, v1
	s_and_saveexec_b64 s[6:7], vcc
	s_xor_b64 s[6:7], exec, s[6:7]
	s_cbranch_execz .LBB352_1432
; %bb.1416:
	s_movk_i32 s16, 0x80
	v_cmp_ne_u16_e32 vcc, s16, v1
	s_and_b64 s[16:17], vcc, exec
	s_andn2_saveexec_b64 s[6:7], s[6:7]
	s_cbranch_execnz .LBB352_1433
.LBB352_1417:
	s_or_b64 exec, exec, s[6:7]
	v_mov_b32_e32 v6, 0
	s_and_saveexec_b64 s[6:7], s[16:17]
	s_cbranch_execz .LBB352_1419
.LBB352_1418:
	v_lshlrev_b32_e32 v3, 24, v1
	v_and_b32_e32 v1, 0xffff, v1
	v_and_b32_e32 v5, 7, v1
	v_ffbh_u32_e32 v7, v5
	v_min_u32_e32 v7, 32, v7
	v_subrev_u32_e32 v11, 28, v7
	v_bfe_u32 v6, v1, 3, 4
	v_lshlrev_b32_e32 v1, v11, v1
	v_sub_u32_e32 v7, 29, v7
	v_and_b32_e32 v1, 7, v1
	v_cmp_eq_u32_e32 vcc, 0, v6
	v_and_b32_e32 v3, 0x80000000, v3
	s_mov_b32 s16, 0x2f800000
	v_cndmask_b32_e32 v6, v6, v7, vcc
	v_cndmask_b32_e32 v1, v5, v1, vcc
	v_mov_b32_e32 v5, 0x3b800000
	v_lshlrev_b32_e32 v1, 20, v1
	v_lshl_add_u32 v5, v6, 23, v5
	v_or3_b32 v1, v3, v5, v1
	v_trunc_f32_e32 v1, v1
	v_mul_f32_e64 v3, |v1|, s16
	v_floor_f32_e32 v3, v3
	s_mov_b32 s16, 0xcf800000
	v_fma_f32 v3, v3, s16, |v1|
	v_cvt_u32_f32_e32 v3, v3
	v_ashrrev_i32_e32 v1, 31, v1
	v_xor_b32_e32 v3, v3, v1
	v_sub_u32_e32 v6, v3, v1
.LBB352_1419:
	s_or_b64 exec, exec, s[6:7]
.LBB352_1420:
	s_mov_b64 s[6:7], -1
.LBB352_1421:
	s_mov_b64 s[16:17], 0
.LBB352_1422:
	s_and_b64 vcc, exec, s[16:17]
	s_cbranch_vccz .LBB352_1453
; %bb.1423:
	s_cmp_gt_i32 s9, 22
	s_cbranch_scc0 .LBB352_1431
; %bb.1424:
	s_cmp_lt_i32 s9, 24
	s_cbranch_scc1 .LBB352_1434
; %bb.1425:
	s_cmp_gt_i32 s9, 24
	s_cbranch_scc0 .LBB352_1435
; %bb.1426:
	global_load_ubyte v1, v[8:9], off
	s_movk_i32 s2, 0x7f
	s_mov_b64 s[6:7], 0
	s_waitcnt vmcnt(0)
	v_cmp_lt_i16_e32 vcc, s2, v1
	s_and_saveexec_b64 s[2:3], vcc
	s_xor_b64 s[2:3], exec, s[2:3]
	s_cbranch_execz .LBB352_1447
; %bb.1427:
	s_movk_i32 s6, 0x80
	v_cmp_ne_u16_e32 vcc, s6, v1
	s_and_b64 s[6:7], vcc, exec
	s_andn2_saveexec_b64 s[2:3], s[2:3]
	s_cbranch_execnz .LBB352_1448
.LBB352_1428:
	s_or_b64 exec, exec, s[2:3]
	v_mov_b32_e32 v6, 0
	s_and_saveexec_b64 s[2:3], s[6:7]
	s_cbranch_execz .LBB352_1430
.LBB352_1429:
	v_lshlrev_b32_e32 v3, 24, v1
	v_and_b32_e32 v1, 0xffff, v1
	v_and_b32_e32 v5, 3, v1
	v_ffbh_u32_e32 v7, v5
	v_min_u32_e32 v7, 32, v7
	v_subrev_u32_e32 v11, 29, v7
	v_bfe_u32 v6, v1, 2, 5
	v_lshlrev_b32_e32 v1, v11, v1
	v_sub_u32_e32 v7, 30, v7
	v_and_b32_e32 v1, 3, v1
	v_cmp_eq_u32_e32 vcc, 0, v6
	v_and_b32_e32 v3, 0x80000000, v3
	s_mov_b32 s6, 0x2f800000
	v_cndmask_b32_e32 v6, v6, v7, vcc
	v_cndmask_b32_e32 v1, v5, v1, vcc
	v_mov_b32_e32 v5, 0x37800000
	v_lshlrev_b32_e32 v1, 21, v1
	v_lshl_add_u32 v5, v6, 23, v5
	v_or3_b32 v1, v3, v5, v1
	v_trunc_f32_e32 v1, v1
	v_mul_f32_e64 v3, |v1|, s6
	v_floor_f32_e32 v3, v3
	s_mov_b32 s6, 0xcf800000
	v_fma_f32 v3, v3, s6, |v1|
	v_cvt_u32_f32_e32 v3, v3
	v_ashrrev_i32_e32 v1, 31, v1
	v_xor_b32_e32 v3, v3, v1
	v_sub_u32_e32 v6, v3, v1
.LBB352_1430:
	s_or_b64 exec, exec, s[2:3]
	s_mov_b64 s[2:3], 0
	s_branch .LBB352_1436
.LBB352_1431:
	s_mov_b64 s[2:3], -1
                                        ; implicit-def: $vgpr6
	s_branch .LBB352_1442
.LBB352_1432:
	s_andn2_saveexec_b64 s[6:7], s[6:7]
	s_cbranch_execz .LBB352_1417
.LBB352_1433:
	v_cmp_ne_u16_e32 vcc, 0, v1
	s_andn2_b64 s[16:17], s[16:17], exec
	s_and_b64 s[18:19], vcc, exec
	s_or_b64 s[16:17], s[16:17], s[18:19]
	s_or_b64 exec, exec, s[6:7]
	v_mov_b32_e32 v6, 0
	s_and_saveexec_b64 s[6:7], s[16:17]
	s_cbranch_execnz .LBB352_1418
	s_branch .LBB352_1419
.LBB352_1434:
	s_mov_b64 s[2:3], -1
                                        ; implicit-def: $vgpr6
	s_branch .LBB352_1439
.LBB352_1435:
	s_mov_b64 s[2:3], -1
                                        ; implicit-def: $vgpr6
.LBB352_1436:
	s_and_b64 vcc, exec, s[2:3]
	s_cbranch_vccz .LBB352_1438
; %bb.1437:
	global_load_ubyte v1, v[8:9], off
	s_mov_b32 s2, 0x7f800000
	s_brev_b32 s3, 1
	s_mov_b32 s6, 0x2f800000
	s_waitcnt vmcnt(0)
	v_lshlrev_b32_e32 v1, 24, v1
	v_and_b32_e32 v3, 0x7f000000, v1
	v_ffbh_u32_e32 v5, v3
	v_min_u32_e32 v5, 32, v5
	v_sub_u32_e64 v5, v5, 4 clamp
	v_lshlrev_b32_e32 v7, v5, v3
	v_lshlrev_b32_e32 v5, 23, v5
	v_lshrrev_b32_e32 v7, 4, v7
	v_add_u32_e32 v6, 0x1000000, v3
	v_sub_u32_e32 v5, v7, v5
	v_ashrrev_i32_e32 v6, 8, v6
	v_add_u32_e32 v5, 0x3c000000, v5
	v_and_or_b32 v5, v6, s2, v5
	v_cmp_ne_u32_e32 vcc, 0, v3
	s_mov_b32 s2, 0xcf800000
	s_nop 0
	v_cndmask_b32_e32 v3, 0, v5, vcc
	v_and_or_b32 v1, v1, s3, v3
	v_trunc_f32_e32 v1, v1
	v_mul_f32_e64 v3, |v1|, s6
	v_floor_f32_e32 v3, v3
	v_fma_f32 v3, v3, s2, |v1|
	v_cvt_u32_f32_e32 v3, v3
	v_ashrrev_i32_e32 v1, 31, v1
	v_xor_b32_e32 v3, v3, v1
	v_sub_u32_e32 v6, v3, v1
.LBB352_1438:
	s_mov_b64 s[2:3], 0
.LBB352_1439:
	s_andn2_b64 vcc, exec, s[2:3]
	s_cbranch_vccnz .LBB352_1441
; %bb.1440:
	global_load_ubyte v1, v[8:9], off
	s_movk_i32 s2, 0x7f00
	s_brev_b32 s3, 16
	s_brev_b32 s6, 1
	s_mov_b32 s7, 0x2f800000
	s_waitcnt vmcnt(0)
	v_lshlrev_b16_e32 v3, 8, v1
	v_lshlrev_b32_e32 v1, 25, v1
	v_lshrrev_b32_e32 v5, 4, v1
	v_and_or_b32 v6, v3, s2, 0.5
	v_or_b32_e32 v5, 0x70000000, v5
	v_add_f32_e32 v6, -0.5, v6
	v_mul_f32_e32 v5, 0x7800000, v5
	v_cmp_gt_u32_e32 vcc, s3, v1
	v_bfe_i32 v3, v3, 0, 16
	s_mov_b32 s2, 0xcf800000
	v_cndmask_b32_e32 v1, v5, v6, vcc
	v_and_or_b32 v1, v3, s6, v1
	v_trunc_f32_e32 v1, v1
	v_mul_f32_e64 v3, |v1|, s7
	v_floor_f32_e32 v3, v3
	v_fma_f32 v3, v3, s2, |v1|
	v_cvt_u32_f32_e32 v3, v3
	v_ashrrev_i32_e32 v1, 31, v1
	v_xor_b32_e32 v3, v3, v1
	v_sub_u32_e32 v6, v3, v1
.LBB352_1441:
	s_mov_b64 s[2:3], 0
	s_mov_b64 s[6:7], -1
.LBB352_1442:
	s_andn2_b64 vcc, exec, s[2:3]
	s_mov_b64 s[2:3], 0
	s_cbranch_vccnz .LBB352_1453
; %bb.1443:
	s_cmp_gt_i32 s9, 14
	s_cbranch_scc0 .LBB352_1446
; %bb.1444:
	s_cmp_eq_u32 s9, 15
	s_cbranch_scc0 .LBB352_1449
; %bb.1445:
	global_load_ushort v1, v[8:9], off
	s_mov_b32 s0, 0x2f800000
	s_mov_b32 s1, 0xcf800000
	s_mov_b64 s[6:7], -1
	s_waitcnt vmcnt(0)
	v_lshlrev_b32_e32 v1, 16, v1
	v_trunc_f32_e32 v1, v1
	v_mul_f32_e64 v3, |v1|, s0
	v_floor_f32_e32 v3, v3
	v_fma_f32 v3, v3, s1, |v1|
	v_cvt_u32_f32_e32 v3, v3
	v_ashrrev_i32_e32 v1, 31, v1
	s_mov_b64 s[0:1], 0
	v_xor_b32_e32 v3, v3, v1
	v_sub_u32_e32 v6, v3, v1
	s_branch .LBB352_1450
.LBB352_1446:
	s_mov_b64 s[16:17], -1
                                        ; implicit-def: $vgpr6
	s_branch .LBB352_1451
.LBB352_1447:
	s_andn2_saveexec_b64 s[2:3], s[2:3]
	s_cbranch_execz .LBB352_1428
.LBB352_1448:
	v_cmp_ne_u16_e32 vcc, 0, v1
	s_andn2_b64 s[6:7], s[6:7], exec
	s_and_b64 s[16:17], vcc, exec
	s_or_b64 s[6:7], s[6:7], s[16:17]
	s_or_b64 exec, exec, s[2:3]
	v_mov_b32_e32 v6, 0
	s_and_saveexec_b64 s[2:3], s[6:7]
	s_cbranch_execnz .LBB352_1429
	s_branch .LBB352_1430
.LBB352_1449:
	s_mov_b64 s[0:1], -1
                                        ; implicit-def: $vgpr6
.LBB352_1450:
	s_mov_b64 s[16:17], 0
.LBB352_1451:
	s_and_b64 vcc, exec, s[16:17]
	s_cbranch_vccz .LBB352_1453
; %bb.1452:
	s_cmp_lg_u32 s9, 11
	s_mov_b64 s[2:3], -1
	s_cselect_b64 s[0:1], -1, 0
.LBB352_1453:
	s_and_b64 vcc, exec, s[0:1]
	s_cbranch_vccnz .LBB352_1986
; %bb.1454:
	s_andn2_b64 vcc, exec, s[2:3]
	s_cbranch_vccnz .LBB352_1456
.LBB352_1455:
	global_load_ubyte v1, v[8:9], off
	s_mov_b64 s[6:7], -1
	s_waitcnt vmcnt(0)
	v_cmp_ne_u16_e32 vcc, 0, v1
	s_nop 1
	v_cndmask_b32_e64 v6, 0, 1, vcc
.LBB352_1456:
	s_mov_b64 s[0:1], 0
.LBB352_1457:
	s_and_b64 vcc, exec, s[0:1]
	s_cbranch_vccz .LBB352_1506
; %bb.1458:
	s_and_b32 s2, 0xffff, s20
	s_cmp_lt_i32 s2, 5
	s_cbranch_scc1 .LBB352_1463
; %bb.1459:
	s_cmp_lt_i32 s2, 8
	s_cbranch_scc1 .LBB352_1464
; %bb.1460:
	;; [unrolled: 3-line block ×3, first 2 shown]
	s_cmp_gt_i32 s2, 9
	s_cbranch_scc0 .LBB352_1466
; %bb.1462:
	global_load_dwordx2 v[6:7], v[8:9], off
	s_movk_i32 s0, 0xffe0
	s_waitcnt vmcnt(0)
	v_trunc_f64_e32 v[6:7], v[6:7]
	v_ldexp_f64 v[12:13], v[6:7], s0
	v_floor_f64_e32 v[12:13], v[12:13]
	v_fmac_f64_e32 v[6:7], 0xc1f00000, v[12:13]
	v_cvt_u32_f64_e32 v6, v[6:7]
	s_mov_b64 s[0:1], 0
	s_branch .LBB352_1467
.LBB352_1463:
	s_mov_b64 s[0:1], -1
                                        ; implicit-def: $vgpr6
	s_branch .LBB352_1485
.LBB352_1464:
	s_mov_b64 s[0:1], -1
                                        ; implicit-def: $vgpr6
	s_branch .LBB352_1473
.LBB352_1465:
	s_mov_b64 s[0:1], -1
                                        ; implicit-def: $vgpr6
	s_branch .LBB352_1470
.LBB352_1466:
	s_mov_b64 s[0:1], -1
                                        ; implicit-def: $vgpr6
.LBB352_1467:
	s_andn2_b64 vcc, exec, s[0:1]
	s_cbranch_vccnz .LBB352_1469
; %bb.1468:
	global_load_dword v1, v[8:9], off
	s_mov_b32 s0, 0x2f800000
	s_waitcnt vmcnt(0)
	v_trunc_f32_e32 v1, v1
	v_mul_f32_e64 v3, |v1|, s0
	v_floor_f32_e32 v3, v3
	s_mov_b32 s0, 0xcf800000
	v_fma_f32 v3, v3, s0, |v1|
	v_cvt_u32_f32_e32 v3, v3
	v_ashrrev_i32_e32 v1, 31, v1
	v_xor_b32_e32 v3, v3, v1
	v_sub_u32_e32 v6, v3, v1
.LBB352_1469:
	s_mov_b64 s[0:1], 0
.LBB352_1470:
	s_andn2_b64 vcc, exec, s[0:1]
	s_cbranch_vccnz .LBB352_1472
; %bb.1471:
	global_load_dword v1, v[8:9], off
	s_waitcnt vmcnt(0)
	v_cvt_f32_f16_e32 v1, v1
	v_cvt_i32_f32_e32 v6, v1
.LBB352_1472:
	s_mov_b64 s[0:1], 0
.LBB352_1473:
	s_andn2_b64 vcc, exec, s[0:1]
	s_cbranch_vccnz .LBB352_1484
; %bb.1474:
	s_cmp_lt_i32 s2, 6
	s_cbranch_scc1 .LBB352_1477
; %bb.1475:
	s_cmp_gt_i32 s2, 6
	s_cbranch_scc0 .LBB352_1478
; %bb.1476:
	global_load_dwordx2 v[6:7], v[8:9], off
	s_movk_i32 s0, 0xffe0
	s_waitcnt vmcnt(0)
	v_trunc_f64_e32 v[6:7], v[6:7]
	v_ldexp_f64 v[12:13], v[6:7], s0
	v_floor_f64_e32 v[12:13], v[12:13]
	v_fmac_f64_e32 v[6:7], 0xc1f00000, v[12:13]
	v_cvt_u32_f64_e32 v6, v[6:7]
	s_mov_b64 s[0:1], 0
	s_branch .LBB352_1479
.LBB352_1477:
	s_mov_b64 s[0:1], -1
                                        ; implicit-def: $vgpr6
	s_branch .LBB352_1482
.LBB352_1478:
	s_mov_b64 s[0:1], -1
                                        ; implicit-def: $vgpr6
.LBB352_1479:
	s_andn2_b64 vcc, exec, s[0:1]
	s_cbranch_vccnz .LBB352_1481
; %bb.1480:
	global_load_dword v1, v[8:9], off
	s_mov_b32 s0, 0x2f800000
	s_waitcnt vmcnt(0)
	v_trunc_f32_e32 v1, v1
	v_mul_f32_e64 v3, |v1|, s0
	v_floor_f32_e32 v3, v3
	s_mov_b32 s0, 0xcf800000
	v_fma_f32 v3, v3, s0, |v1|
	v_cvt_u32_f32_e32 v3, v3
	v_ashrrev_i32_e32 v1, 31, v1
	v_xor_b32_e32 v3, v3, v1
	v_sub_u32_e32 v6, v3, v1
.LBB352_1481:
	s_mov_b64 s[0:1], 0
.LBB352_1482:
	s_andn2_b64 vcc, exec, s[0:1]
	s_cbranch_vccnz .LBB352_1484
; %bb.1483:
	global_load_ushort v1, v[8:9], off
	s_waitcnt vmcnt(0)
	v_cvt_f32_f16_e32 v1, v1
	v_cvt_i32_f32_e32 v6, v1
.LBB352_1484:
	s_mov_b64 s[0:1], 0
.LBB352_1485:
	s_andn2_b64 vcc, exec, s[0:1]
	s_cbranch_vccnz .LBB352_1505
; %bb.1486:
	s_cmp_lt_i32 s2, 2
	s_cbranch_scc1 .LBB352_1490
; %bb.1487:
	s_cmp_lt_i32 s2, 3
	s_cbranch_scc1 .LBB352_1491
; %bb.1488:
	s_cmp_gt_i32 s2, 3
	s_cbranch_scc0 .LBB352_1492
; %bb.1489:
	global_load_dwordx2 v[6:7], v[8:9], off
	s_mov_b64 s[0:1], 0
	s_branch .LBB352_1493
.LBB352_1490:
	s_mov_b64 s[0:1], -1
                                        ; implicit-def: $vgpr6
	s_branch .LBB352_1499
.LBB352_1491:
	s_mov_b64 s[0:1], -1
                                        ; implicit-def: $vgpr6
	s_branch .LBB352_1496
.LBB352_1492:
	s_mov_b64 s[0:1], -1
                                        ; implicit-def: $vgpr6
.LBB352_1493:
	s_andn2_b64 vcc, exec, s[0:1]
	s_cbranch_vccnz .LBB352_1495
; %bb.1494:
	global_load_dword v6, v[8:9], off
.LBB352_1495:
	s_mov_b64 s[0:1], 0
.LBB352_1496:
	s_andn2_b64 vcc, exec, s[0:1]
	s_cbranch_vccnz .LBB352_1498
; %bb.1497:
	global_load_ushort v6, v[8:9], off
.LBB352_1498:
	s_mov_b64 s[0:1], 0
.LBB352_1499:
	s_andn2_b64 vcc, exec, s[0:1]
	s_cbranch_vccnz .LBB352_1505
; %bb.1500:
	s_cmp_gt_i32 s2, 0
	s_cbranch_scc0 .LBB352_1502
; %bb.1501:
	global_load_ubyte v6, v[8:9], off
	s_mov_b64 s[0:1], 0
	s_branch .LBB352_1503
.LBB352_1502:
	s_mov_b64 s[0:1], -1
                                        ; implicit-def: $vgpr6
.LBB352_1503:
	s_andn2_b64 vcc, exec, s[0:1]
	s_cbranch_vccnz .LBB352_1505
; %bb.1504:
	global_load_ubyte v6, v[8:9], off
.LBB352_1505:
	s_mov_b64 s[6:7], -1
.LBB352_1506:
	s_andn2_b64 vcc, exec, s[6:7]
	s_cbranch_vccnz .LBB352_1940
; %bb.1507:
	s_and_b32 s21, s33, 0xff
	s_waitcnt vmcnt(0)
	v_max_u16_sdwa v8, v0, s21 dst_sel:DWORD dst_unused:UNUSED_PAD src0_sel:BYTE_0 src1_sel:DWORD
	v_mul_lo_u32 v0, s8, v10
	v_ashrrev_i32_e32 v1, 31, v0
	s_and_b32 s20, s42, 0xff
	s_cmp_lt_i32 s20, 11
	v_lshl_add_u64 v[10:11], s[4:5], 0, v[0:1]
	s_cbranch_scc1 .LBB352_1585
; %bb.1508:
	s_and_b32 s9, 0xffff, s20
	s_mov_b64 s[16:17], -1
	s_mov_b64 s[2:3], 0
	s_cmp_gt_i32 s9, 25
	s_mov_b64 s[6:7], 0
	s_mov_b64 s[0:1], 0
	s_cbranch_scc0 .LBB352_1541
; %bb.1509:
	s_cmp_gt_i32 s9, 28
	s_cbranch_scc0 .LBB352_1524
; %bb.1510:
	s_cmp_gt_i32 s9, 43
	;; [unrolled: 3-line block ×3, first 2 shown]
	s_cbranch_scc0 .LBB352_1514
; %bb.1512:
	s_mov_b64 s[0:1], -1
	s_mov_b64 s[16:17], 0
	s_cmp_eq_u32 s9, 46
	s_cbranch_scc0 .LBB352_1514
; %bb.1513:
	v_cvt_f32_ubyte0_e32 v1, v8
	v_bfe_u32 v3, v1, 16, 1
	s_movk_i32 s0, 0x7fff
	v_add3_u32 v1, v1, v3, s0
	v_lshrrev_b32_e32 v1, 16, v1
	global_store_dword v[10:11], v1, off
	s_mov_b64 s[0:1], 0
	s_mov_b64 s[6:7], -1
.LBB352_1514:
	s_and_b64 vcc, exec, s[16:17]
	s_cbranch_vccz .LBB352_1519
; %bb.1515:
	s_cmp_eq_u32 s9, 44
	s_mov_b64 s[0:1], -1
	s_cbranch_scc0 .LBB352_1519
; %bb.1516:
	v_cvt_f32_ubyte0_e32 v3, v8
	v_lshrrev_b32_e32 v1, 23, v3
	s_movk_i32 s0, 0xff
	v_cmp_ne_u32_e32 vcc, s0, v1
	v_mov_b32_e32 v5, 0xff
	s_and_saveexec_b64 s[6:7], vcc
; %bb.1517:
	s_mov_b32 s0, 0x3fffff
	v_and_b32_e32 v5, 0x400000, v3
	v_and_or_b32 v3, v3, s0, v1
	v_cmp_ne_u32_e32 vcc, 0, v5
	v_cmp_ne_u32_e64 s[0:1], 0, v3
	s_and_b64 s[0:1], vcc, s[0:1]
	s_nop 0
	v_cndmask_b32_e64 v3, 0, 1, s[0:1]
	v_add_u32_e32 v5, v1, v3
; %bb.1518:
	s_or_b64 exec, exec, s[6:7]
	s_mov_b64 s[0:1], 0
	s_mov_b64 s[6:7], -1
	global_store_byte v[10:11], v5, off
.LBB352_1519:
	s_mov_b64 s[16:17], 0
.LBB352_1520:
	s_and_b64 vcc, exec, s[16:17]
	s_cbranch_vccz .LBB352_1523
; %bb.1521:
	s_cmp_eq_u32 s9, 29
	s_mov_b64 s[0:1], -1
	s_cbranch_scc0 .LBB352_1523
; %bb.1522:
	s_mov_b32 s0, 0
	v_mov_b32_e32 v9, s0
	global_store_dwordx2 v[10:11], v[8:9], off
	s_mov_b64 s[0:1], 0
	s_mov_b64 s[6:7], -1
.LBB352_1523:
	s_mov_b64 s[16:17], 0
.LBB352_1524:
	s_and_b64 vcc, exec, s[16:17]
	s_cbranch_vccz .LBB352_1540
; %bb.1525:
	s_cmp_lt_i32 s9, 27
	s_mov_b64 s[6:7], -1
	s_cbranch_scc1 .LBB352_1531
; %bb.1526:
	s_cmp_gt_i32 s9, 27
	s_cbranch_scc0 .LBB352_1528
; %bb.1527:
	s_mov_b64 s[6:7], 0
	global_store_dword v[10:11], v8, off
.LBB352_1528:
	s_andn2_b64 vcc, exec, s[6:7]
	s_cbranch_vccnz .LBB352_1530
; %bb.1529:
	global_store_short v[10:11], v8, off
.LBB352_1530:
	s_mov_b64 s[6:7], 0
.LBB352_1531:
	s_andn2_b64 vcc, exec, s[6:7]
	s_cbranch_vccnz .LBB352_1539
; %bb.1532:
	v_cvt_f32_ubyte0_e32 v3, v8
	s_mov_b32 s6, 0x43800000
	v_cmp_gt_u32_e32 vcc, s6, v3
	v_mov_b32_e32 v5, 0x80
	s_and_saveexec_b64 s[6:7], vcc
	s_cbranch_execz .LBB352_1538
; %bb.1533:
	s_mov_b32 s16, 0x3bffffff
	v_cmp_lt_u32_e32 vcc, s16, v3
	s_mov_b64 s[16:17], 0
                                        ; implicit-def: $vgpr1
	s_and_saveexec_b64 s[18:19], vcc
	s_xor_b64 s[18:19], exec, s[18:19]
	s_cbranch_execz .LBB352_1987
; %bb.1534:
	v_bfe_u32 v1, v3, 20, 1
	s_mov_b32 s22, 0x487ffff
	v_add3_u32 v1, v3, v1, s22
	s_mov_b64 s[16:17], exec
	v_lshrrev_b32_e32 v1, 20, v1
                                        ; implicit-def: $vgpr3
	s_andn2_saveexec_b64 s[18:19], s[18:19]
	s_cbranch_execnz .LBB352_1988
.LBB352_1535:
	s_or_b64 exec, exec, s[18:19]
	v_mov_b32_e32 v5, 0
	s_and_saveexec_b64 s[18:19], s[16:17]
.LBB352_1536:
	v_mov_b32_e32 v5, v1
.LBB352_1537:
	s_or_b64 exec, exec, s[18:19]
.LBB352_1538:
	s_or_b64 exec, exec, s[6:7]
	global_store_byte v[10:11], v5, off
.LBB352_1539:
	s_mov_b64 s[6:7], -1
.LBB352_1540:
	s_mov_b64 s[16:17], 0
.LBB352_1541:
	s_and_b64 vcc, exec, s[16:17]
	s_cbranch_vccz .LBB352_1581
; %bb.1542:
	s_cmp_gt_i32 s9, 22
	s_mov_b64 s[2:3], -1
	s_cbranch_scc0 .LBB352_1574
; %bb.1543:
	s_cmp_lt_i32 s9, 24
	s_cbranch_scc1 .LBB352_1563
; %bb.1544:
	s_cmp_gt_i32 s9, 24
	s_cbranch_scc0 .LBB352_1552
; %bb.1545:
	v_cvt_f32_ubyte0_e32 v3, v8
	s_mov_b32 s2, 0x47800000
	v_cmp_gt_u32_e32 vcc, s2, v3
	v_mov_b32_e32 v5, 0x80
	s_and_saveexec_b64 s[2:3], vcc
	s_cbranch_execz .LBB352_1551
; %bb.1546:
	s_mov_b32 s6, 0x37ffffff
	v_cmp_lt_u32_e32 vcc, s6, v3
	s_mov_b64 s[6:7], 0
                                        ; implicit-def: $vgpr1
	s_and_saveexec_b64 s[16:17], vcc
	s_xor_b64 s[16:17], exec, s[16:17]
	s_cbranch_execz .LBB352_1990
; %bb.1547:
	v_bfe_u32 v1, v3, 21, 1
	s_mov_b32 s18, 0x88fffff
	v_add3_u32 v1, v3, v1, s18
	s_mov_b64 s[6:7], exec
	v_lshrrev_b32_e32 v1, 21, v1
                                        ; implicit-def: $vgpr3
	s_andn2_saveexec_b64 s[16:17], s[16:17]
	s_cbranch_execnz .LBB352_1991
.LBB352_1548:
	s_or_b64 exec, exec, s[16:17]
	v_mov_b32_e32 v5, 0
	s_and_saveexec_b64 s[16:17], s[6:7]
.LBB352_1549:
	v_mov_b32_e32 v5, v1
.LBB352_1550:
	s_or_b64 exec, exec, s[16:17]
.LBB352_1551:
	s_or_b64 exec, exec, s[2:3]
	s_mov_b64 s[2:3], 0
	global_store_byte v[10:11], v5, off
.LBB352_1552:
	s_and_b64 vcc, exec, s[2:3]
	s_cbranch_vccz .LBB352_1562
; %bb.1553:
	v_cvt_f32_ubyte0_e32 v1, v8
	s_mov_b32 s2, 0x43f00000
	v_cmp_gt_u32_e32 vcc, s2, v1
                                        ; implicit-def: $vgpr3
	s_and_saveexec_b64 s[2:3], vcc
	s_xor_b64 s[2:3], exec, s[2:3]
	s_cbranch_execz .LBB352_1559
; %bb.1554:
	s_mov_b32 s6, 0x3c7fffff
	v_cmp_lt_u32_e32 vcc, s6, v1
                                        ; implicit-def: $vgpr3
	s_and_saveexec_b64 s[6:7], vcc
	s_xor_b64 s[6:7], exec, s[6:7]
; %bb.1555:
	v_bfe_u32 v3, v1, 20, 1
	s_mov_b32 s16, 0x407ffff
	v_add3_u32 v1, v1, v3, s16
	v_lshrrev_b32_e32 v3, 20, v1
	v_and_b32_e32 v1, 0xff00000, v1
	s_mov_b32 s16, 0x7f00000
	v_mov_b32_e32 v5, 0x7e
	v_cmp_ne_u32_e32 vcc, s16, v1
                                        ; implicit-def: $vgpr1
	s_nop 1
	v_cndmask_b32_e32 v3, v5, v3, vcc
; %bb.1556:
	s_andn2_saveexec_b64 s[6:7], s[6:7]
; %bb.1557:
	v_add_f32_e32 v3, 0x46800000, v1
; %bb.1558:
	s_or_b64 exec, exec, s[6:7]
                                        ; implicit-def: $vgpr1
.LBB352_1559:
	s_andn2_saveexec_b64 s[2:3], s[2:3]
; %bb.1560:
	s_mov_b32 s6, 0x7f800000
	v_mov_b32_e32 v3, 0x7e
	v_mov_b32_e32 v5, 0x7f
	v_cmp_lt_u32_e32 vcc, s6, v1
	s_nop 1
	v_cndmask_b32_e32 v3, v3, v5, vcc
; %bb.1561:
	s_or_b64 exec, exec, s[2:3]
	global_store_byte v[10:11], v3, off
.LBB352_1562:
	s_mov_b64 s[2:3], 0
.LBB352_1563:
	s_andn2_b64 vcc, exec, s[2:3]
	s_cbranch_vccnz .LBB352_1573
; %bb.1564:
	v_cvt_f32_ubyte0_e32 v1, v8
	s_mov_b32 s2, 0x47800000
	v_cmp_gt_u32_e32 vcc, s2, v1
                                        ; implicit-def: $vgpr3
	s_and_saveexec_b64 s[2:3], vcc
	s_xor_b64 s[2:3], exec, s[2:3]
	s_cbranch_execz .LBB352_1570
; %bb.1565:
	s_mov_b32 s6, 0x387fffff
	v_cmp_lt_u32_e32 vcc, s6, v1
                                        ; implicit-def: $vgpr3
	s_and_saveexec_b64 s[6:7], vcc
	s_xor_b64 s[6:7], exec, s[6:7]
; %bb.1566:
	v_bfe_u32 v3, v1, 21, 1
	s_mov_b32 s16, 0x80fffff
	v_add3_u32 v1, v1, v3, s16
	v_lshrrev_b32_e32 v3, 21, v1
                                        ; implicit-def: $vgpr1
; %bb.1567:
	s_andn2_saveexec_b64 s[6:7], s[6:7]
; %bb.1568:
	v_add_f32_e32 v3, 0x43000000, v1
; %bb.1569:
	s_or_b64 exec, exec, s[6:7]
                                        ; implicit-def: $vgpr1
.LBB352_1570:
	s_andn2_saveexec_b64 s[2:3], s[2:3]
; %bb.1571:
	s_mov_b32 s6, 0x7f800000
	v_mov_b32_e32 v3, 0x7c
	v_mov_b32_e32 v5, 0x7f
	v_cmp_lt_u32_e32 vcc, s6, v1
	s_nop 1
	v_cndmask_b32_e32 v3, v3, v5, vcc
; %bb.1572:
	s_or_b64 exec, exec, s[2:3]
	global_store_byte v[10:11], v3, off
.LBB352_1573:
	s_mov_b64 s[2:3], 0
	s_mov_b64 s[6:7], -1
.LBB352_1574:
	s_andn2_b64 vcc, exec, s[2:3]
	s_mov_b64 s[2:3], 0
	s_cbranch_vccnz .LBB352_1581
; %bb.1575:
	s_cmp_gt_i32 s9, 14
	s_mov_b64 s[16:17], -1
	s_cbranch_scc0 .LBB352_1579
; %bb.1576:
	s_cmp_eq_u32 s9, 15
	s_mov_b64 s[0:1], -1
	s_cbranch_scc0 .LBB352_1578
; %bb.1577:
	v_cvt_f32_ubyte0_e32 v1, v8
	v_bfe_u32 v3, v1, 16, 1
	s_movk_i32 s0, 0x7fff
	v_add3_u32 v1, v1, v3, s0
	global_store_short_d16_hi v[10:11], v1, off
	s_mov_b64 s[0:1], 0
	s_mov_b64 s[6:7], -1
.LBB352_1578:
	s_mov_b64 s[16:17], 0
.LBB352_1579:
	s_and_b64 vcc, exec, s[16:17]
	s_cbranch_vccz .LBB352_1581
; %bb.1580:
	s_cmp_lg_u32 s9, 11
	s_mov_b64 s[2:3], -1
	s_cselect_b64 s[0:1], -1, 0
.LBB352_1581:
	s_and_b64 vcc, exec, s[0:1]
	s_cbranch_vccnz .LBB352_1989
; %bb.1582:
	s_andn2_b64 vcc, exec, s[2:3]
	s_cbranch_vccnz .LBB352_1584
.LBB352_1583:
	v_cmp_ne_u16_e32 vcc, 0, v8
	s_mov_b64 s[6:7], -1
	s_nop 0
	v_cndmask_b32_e64 v1, 0, 1, vcc
	global_store_byte v[10:11], v1, off
.LBB352_1584:
	s_mov_b64 s[0:1], 0
	s_branch .LBB352_1586
.LBB352_1585:
	s_mov_b64 s[0:1], -1
	s_mov_b64 s[6:7], 0
.LBB352_1586:
	s_and_b64 vcc, exec, s[0:1]
	s_cbranch_vccz .LBB352_1625
; %bb.1587:
	s_and_b32 s2, 0xffff, s20
	s_cmp_lt_i32 s2, 5
	s_mov_b64 s[0:1], -1
	s_cbranch_scc1 .LBB352_1608
; %bb.1588:
	s_cmp_lt_i32 s2, 8
	s_cbranch_scc1 .LBB352_1598
; %bb.1589:
	s_cmp_lt_i32 s2, 9
	s_cbranch_scc1 .LBB352_1595
; %bb.1590:
	s_cmp_gt_i32 s2, 9
	s_cbranch_scc0 .LBB352_1592
; %bb.1591:
	v_mov_b32_e32 v14, 0
	v_cvt_f64_u32_e32 v[12:13], v8
	v_mov_b32_e32 v15, v14
	global_store_dwordx4 v[10:11], v[12:15], off
	s_mov_b64 s[0:1], 0
.LBB352_1592:
	s_andn2_b64 vcc, exec, s[0:1]
	s_cbranch_vccnz .LBB352_1594
; %bb.1593:
	v_cvt_f32_ubyte0_e32 v12, v8
	v_mov_b32_e32 v13, 0
	global_store_dwordx2 v[10:11], v[12:13], off
.LBB352_1594:
	s_mov_b64 s[0:1], 0
.LBB352_1595:
	s_andn2_b64 vcc, exec, s[0:1]
	s_cbranch_vccnz .LBB352_1597
; %bb.1596:
	v_cvt_f16_u16_e32 v1, v8
	global_store_dword v[10:11], v1, off
.LBB352_1597:
	s_mov_b64 s[0:1], 0
.LBB352_1598:
	s_andn2_b64 vcc, exec, s[0:1]
	s_cbranch_vccnz .LBB352_1607
; %bb.1599:
	s_cmp_lt_i32 s2, 6
	s_mov_b64 s[0:1], -1
	s_cbranch_scc1 .LBB352_1605
; %bb.1600:
	s_cmp_gt_i32 s2, 6
	s_cbranch_scc0 .LBB352_1602
; %bb.1601:
	v_cvt_f64_u32_e32 v[12:13], v8
	global_store_dwordx2 v[10:11], v[12:13], off
	s_mov_b64 s[0:1], 0
.LBB352_1602:
	s_andn2_b64 vcc, exec, s[0:1]
	s_cbranch_vccnz .LBB352_1604
; %bb.1603:
	v_cvt_f32_ubyte0_e32 v1, v8
	global_store_dword v[10:11], v1, off
.LBB352_1604:
	s_mov_b64 s[0:1], 0
.LBB352_1605:
	s_andn2_b64 vcc, exec, s[0:1]
	s_cbranch_vccnz .LBB352_1607
; %bb.1606:
	v_cvt_f16_u16_e32 v1, v8
	global_store_short v[10:11], v1, off
.LBB352_1607:
	s_mov_b64 s[0:1], 0
.LBB352_1608:
	s_andn2_b64 vcc, exec, s[0:1]
	s_cbranch_vccnz .LBB352_1624
; %bb.1609:
	s_cmp_lt_i32 s2, 2
	s_mov_b64 s[0:1], -1
	s_cbranch_scc1 .LBB352_1619
; %bb.1610:
	s_cmp_lt_i32 s2, 3
	s_cbranch_scc1 .LBB352_1616
; %bb.1611:
	s_cmp_gt_i32 s2, 3
	s_cbranch_scc0 .LBB352_1613
; %bb.1612:
	s_mov_b32 s0, 0
	v_mov_b32_e32 v9, s0
	global_store_dwordx2 v[10:11], v[8:9], off
	s_mov_b64 s[0:1], 0
.LBB352_1613:
	s_andn2_b64 vcc, exec, s[0:1]
	s_cbranch_vccnz .LBB352_1615
; %bb.1614:
	global_store_dword v[10:11], v8, off
.LBB352_1615:
	s_mov_b64 s[0:1], 0
.LBB352_1616:
	s_andn2_b64 vcc, exec, s[0:1]
	s_cbranch_vccnz .LBB352_1618
; %bb.1617:
	global_store_short v[10:11], v8, off
.LBB352_1618:
	s_mov_b64 s[0:1], 0
.LBB352_1619:
	s_andn2_b64 vcc, exec, s[0:1]
	s_cbranch_vccnz .LBB352_1624
; %bb.1620:
	s_cmp_gt_i32 s2, 0
	s_mov_b64 s[0:1], -1
	s_cbranch_scc0 .LBB352_1622
; %bb.1621:
	global_store_byte v[10:11], v8, off
	s_mov_b64 s[0:1], 0
.LBB352_1622:
	s_andn2_b64 vcc, exec, s[0:1]
	s_cbranch_vccnz .LBB352_1624
; %bb.1623:
	global_store_byte v[10:11], v8, off
.LBB352_1624:
	s_mov_b64 s[6:7], -1
.LBB352_1625:
	s_andn2_b64 vcc, exec, s[6:7]
	s_cbranch_vccnz .LBB352_1940
; %bb.1626:
	s_lshl_b32 s18, s8, 7
	v_add_u32_e32 v0, s18, v0
	v_ashrrev_i32_e32 v1, 31, v0
	v_max_u16_sdwa v2, v2, s21 dst_sel:DWORD dst_unused:UNUSED_PAD src0_sel:BYTE_0 src1_sel:DWORD
	s_cmp_lt_i32 s20, 11
	v_lshl_add_u64 v[8:9], s[4:5], 0, v[0:1]
	s_cbranch_scc1 .LBB352_1704
; %bb.1627:
	s_and_b32 s19, 0xffff, s20
	s_mov_b64 s[8:9], -1
	s_mov_b64 s[2:3], 0
	s_cmp_gt_i32 s19, 25
	s_mov_b64 s[6:7], 0
	s_mov_b64 s[0:1], 0
	s_cbranch_scc0 .LBB352_1660
; %bb.1628:
	s_cmp_gt_i32 s19, 28
	s_cbranch_scc0 .LBB352_1643
; %bb.1629:
	s_cmp_gt_i32 s19, 43
	;; [unrolled: 3-line block ×3, first 2 shown]
	s_cbranch_scc0 .LBB352_1633
; %bb.1631:
	s_mov_b64 s[0:1], -1
	s_mov_b64 s[8:9], 0
	s_cmp_eq_u32 s19, 46
	s_cbranch_scc0 .LBB352_1633
; %bb.1632:
	v_cvt_f32_ubyte0_e32 v1, v2
	v_bfe_u32 v3, v1, 16, 1
	s_movk_i32 s0, 0x7fff
	v_add3_u32 v1, v1, v3, s0
	v_lshrrev_b32_e32 v1, 16, v1
	global_store_dword v[8:9], v1, off
	s_mov_b64 s[0:1], 0
	s_mov_b64 s[6:7], -1
.LBB352_1633:
	s_and_b64 vcc, exec, s[8:9]
	s_cbranch_vccz .LBB352_1638
; %bb.1634:
	s_cmp_eq_u32 s19, 44
	s_mov_b64 s[0:1], -1
	s_cbranch_scc0 .LBB352_1638
; %bb.1635:
	v_cvt_f32_ubyte0_e32 v3, v2
	v_lshrrev_b32_e32 v1, 23, v3
	s_movk_i32 s0, 0xff
	v_cmp_ne_u32_e32 vcc, s0, v1
	v_mov_b32_e32 v5, 0xff
	s_and_saveexec_b64 s[6:7], vcc
; %bb.1636:
	s_mov_b32 s0, 0x3fffff
	v_and_b32_e32 v5, 0x400000, v3
	v_and_or_b32 v3, v3, s0, v1
	v_cmp_ne_u32_e32 vcc, 0, v5
	v_cmp_ne_u32_e64 s[0:1], 0, v3
	s_and_b64 s[0:1], vcc, s[0:1]
	s_nop 0
	v_cndmask_b32_e64 v3, 0, 1, s[0:1]
	v_add_u32_e32 v5, v1, v3
; %bb.1637:
	s_or_b64 exec, exec, s[6:7]
	s_mov_b64 s[0:1], 0
	s_mov_b64 s[6:7], -1
	global_store_byte v[8:9], v5, off
.LBB352_1638:
	s_mov_b64 s[8:9], 0
.LBB352_1639:
	s_and_b64 vcc, exec, s[8:9]
	s_cbranch_vccz .LBB352_1642
; %bb.1640:
	s_cmp_eq_u32 s19, 29
	s_mov_b64 s[0:1], -1
	s_cbranch_scc0 .LBB352_1642
; %bb.1641:
	s_mov_b32 s0, 0
	v_mov_b32_e32 v3, s0
	global_store_dwordx2 v[8:9], v[2:3], off
	s_mov_b64 s[0:1], 0
	s_mov_b64 s[6:7], -1
.LBB352_1642:
	s_mov_b64 s[8:9], 0
.LBB352_1643:
	s_and_b64 vcc, exec, s[8:9]
	s_cbranch_vccz .LBB352_1659
; %bb.1644:
	s_cmp_lt_i32 s19, 27
	s_mov_b64 s[6:7], -1
	s_cbranch_scc1 .LBB352_1650
; %bb.1645:
	s_cmp_gt_i32 s19, 27
	s_cbranch_scc0 .LBB352_1647
; %bb.1646:
	s_mov_b64 s[6:7], 0
	global_store_dword v[8:9], v2, off
.LBB352_1647:
	s_andn2_b64 vcc, exec, s[6:7]
	s_cbranch_vccnz .LBB352_1649
; %bb.1648:
	global_store_short v[8:9], v2, off
.LBB352_1649:
	s_mov_b64 s[6:7], 0
.LBB352_1650:
	s_andn2_b64 vcc, exec, s[6:7]
	s_cbranch_vccnz .LBB352_1658
; %bb.1651:
	v_cvt_f32_ubyte0_e32 v3, v2
	s_mov_b32 s6, 0x43800000
	v_cmp_gt_u32_e32 vcc, s6, v3
	v_mov_b32_e32 v5, 0x80
	s_and_saveexec_b64 s[6:7], vcc
	s_cbranch_execz .LBB352_1657
; %bb.1652:
	s_mov_b32 s8, 0x3bffffff
	v_cmp_lt_u32_e32 vcc, s8, v3
	s_mov_b64 s[8:9], 0
                                        ; implicit-def: $vgpr1
	s_and_saveexec_b64 s[16:17], vcc
	s_xor_b64 s[16:17], exec, s[16:17]
	s_cbranch_execz .LBB352_1992
; %bb.1653:
	v_bfe_u32 v1, v3, 20, 1
	s_mov_b32 s22, 0x487ffff
	v_add3_u32 v1, v3, v1, s22
	s_mov_b64 s[8:9], exec
	v_lshrrev_b32_e32 v1, 20, v1
                                        ; implicit-def: $vgpr3
	s_andn2_saveexec_b64 s[16:17], s[16:17]
	s_cbranch_execnz .LBB352_1993
.LBB352_1654:
	s_or_b64 exec, exec, s[16:17]
	v_mov_b32_e32 v5, 0
	s_and_saveexec_b64 s[16:17], s[8:9]
.LBB352_1655:
	v_mov_b32_e32 v5, v1
.LBB352_1656:
	s_or_b64 exec, exec, s[16:17]
.LBB352_1657:
	s_or_b64 exec, exec, s[6:7]
	global_store_byte v[8:9], v5, off
.LBB352_1658:
	s_mov_b64 s[6:7], -1
.LBB352_1659:
	s_mov_b64 s[8:9], 0
.LBB352_1660:
	s_and_b64 vcc, exec, s[8:9]
	s_cbranch_vccz .LBB352_1700
; %bb.1661:
	s_cmp_gt_i32 s19, 22
	s_mov_b64 s[2:3], -1
	s_cbranch_scc0 .LBB352_1693
; %bb.1662:
	s_cmp_lt_i32 s19, 24
	s_cbranch_scc1 .LBB352_1682
; %bb.1663:
	s_cmp_gt_i32 s19, 24
	s_cbranch_scc0 .LBB352_1671
; %bb.1664:
	v_cvt_f32_ubyte0_e32 v3, v2
	s_mov_b32 s2, 0x47800000
	v_cmp_gt_u32_e32 vcc, s2, v3
	v_mov_b32_e32 v5, 0x80
	s_and_saveexec_b64 s[2:3], vcc
	s_cbranch_execz .LBB352_1670
; %bb.1665:
	s_mov_b32 s6, 0x37ffffff
	v_cmp_lt_u32_e32 vcc, s6, v3
	s_mov_b64 s[6:7], 0
                                        ; implicit-def: $vgpr1
	s_and_saveexec_b64 s[8:9], vcc
	s_xor_b64 s[8:9], exec, s[8:9]
	s_cbranch_execz .LBB352_1995
; %bb.1666:
	v_bfe_u32 v1, v3, 21, 1
	s_mov_b32 s16, 0x88fffff
	v_add3_u32 v1, v3, v1, s16
	s_mov_b64 s[6:7], exec
	v_lshrrev_b32_e32 v1, 21, v1
                                        ; implicit-def: $vgpr3
	s_andn2_saveexec_b64 s[8:9], s[8:9]
	s_cbranch_execnz .LBB352_1996
.LBB352_1667:
	s_or_b64 exec, exec, s[8:9]
	v_mov_b32_e32 v5, 0
	s_and_saveexec_b64 s[8:9], s[6:7]
.LBB352_1668:
	v_mov_b32_e32 v5, v1
.LBB352_1669:
	s_or_b64 exec, exec, s[8:9]
.LBB352_1670:
	s_or_b64 exec, exec, s[2:3]
	s_mov_b64 s[2:3], 0
	global_store_byte v[8:9], v5, off
.LBB352_1671:
	s_and_b64 vcc, exec, s[2:3]
	s_cbranch_vccz .LBB352_1681
; %bb.1672:
	v_cvt_f32_ubyte0_e32 v1, v2
	s_mov_b32 s2, 0x43f00000
	v_cmp_gt_u32_e32 vcc, s2, v1
                                        ; implicit-def: $vgpr3
	s_and_saveexec_b64 s[2:3], vcc
	s_xor_b64 s[2:3], exec, s[2:3]
	s_cbranch_execz .LBB352_1678
; %bb.1673:
	s_mov_b32 s6, 0x3c7fffff
	v_cmp_lt_u32_e32 vcc, s6, v1
                                        ; implicit-def: $vgpr3
	s_and_saveexec_b64 s[6:7], vcc
	s_xor_b64 s[6:7], exec, s[6:7]
; %bb.1674:
	v_bfe_u32 v3, v1, 20, 1
	s_mov_b32 s8, 0x407ffff
	v_add3_u32 v1, v1, v3, s8
	v_lshrrev_b32_e32 v3, 20, v1
	v_and_b32_e32 v1, 0xff00000, v1
	s_mov_b32 s8, 0x7f00000
	v_mov_b32_e32 v5, 0x7e
	v_cmp_ne_u32_e32 vcc, s8, v1
                                        ; implicit-def: $vgpr1
	s_nop 1
	v_cndmask_b32_e32 v3, v5, v3, vcc
; %bb.1675:
	s_andn2_saveexec_b64 s[6:7], s[6:7]
; %bb.1676:
	v_add_f32_e32 v3, 0x46800000, v1
; %bb.1677:
	s_or_b64 exec, exec, s[6:7]
                                        ; implicit-def: $vgpr1
.LBB352_1678:
	s_andn2_saveexec_b64 s[2:3], s[2:3]
; %bb.1679:
	s_mov_b32 s6, 0x7f800000
	v_mov_b32_e32 v3, 0x7e
	v_mov_b32_e32 v5, 0x7f
	v_cmp_lt_u32_e32 vcc, s6, v1
	s_nop 1
	v_cndmask_b32_e32 v3, v3, v5, vcc
; %bb.1680:
	s_or_b64 exec, exec, s[2:3]
	global_store_byte v[8:9], v3, off
.LBB352_1681:
	s_mov_b64 s[2:3], 0
.LBB352_1682:
	s_andn2_b64 vcc, exec, s[2:3]
	s_cbranch_vccnz .LBB352_1692
; %bb.1683:
	v_cvt_f32_ubyte0_e32 v1, v2
	s_mov_b32 s2, 0x47800000
	v_cmp_gt_u32_e32 vcc, s2, v1
                                        ; implicit-def: $vgpr3
	s_and_saveexec_b64 s[2:3], vcc
	s_xor_b64 s[2:3], exec, s[2:3]
	s_cbranch_execz .LBB352_1689
; %bb.1684:
	s_mov_b32 s6, 0x387fffff
	v_cmp_lt_u32_e32 vcc, s6, v1
                                        ; implicit-def: $vgpr3
	s_and_saveexec_b64 s[6:7], vcc
	s_xor_b64 s[6:7], exec, s[6:7]
; %bb.1685:
	v_bfe_u32 v3, v1, 21, 1
	s_mov_b32 s8, 0x80fffff
	v_add3_u32 v1, v1, v3, s8
	v_lshrrev_b32_e32 v3, 21, v1
                                        ; implicit-def: $vgpr1
; %bb.1686:
	s_andn2_saveexec_b64 s[6:7], s[6:7]
; %bb.1687:
	v_add_f32_e32 v3, 0x43000000, v1
; %bb.1688:
	s_or_b64 exec, exec, s[6:7]
                                        ; implicit-def: $vgpr1
.LBB352_1689:
	s_andn2_saveexec_b64 s[2:3], s[2:3]
; %bb.1690:
	s_mov_b32 s6, 0x7f800000
	v_mov_b32_e32 v3, 0x7c
	v_mov_b32_e32 v5, 0x7f
	v_cmp_lt_u32_e32 vcc, s6, v1
	s_nop 1
	v_cndmask_b32_e32 v3, v3, v5, vcc
; %bb.1691:
	s_or_b64 exec, exec, s[2:3]
	global_store_byte v[8:9], v3, off
.LBB352_1692:
	s_mov_b64 s[2:3], 0
	s_mov_b64 s[6:7], -1
.LBB352_1693:
	s_andn2_b64 vcc, exec, s[2:3]
	s_mov_b64 s[2:3], 0
	s_cbranch_vccnz .LBB352_1700
; %bb.1694:
	s_cmp_gt_i32 s19, 14
	s_mov_b64 s[8:9], -1
	s_cbranch_scc0 .LBB352_1698
; %bb.1695:
	s_cmp_eq_u32 s19, 15
	s_mov_b64 s[0:1], -1
	s_cbranch_scc0 .LBB352_1697
; %bb.1696:
	v_cvt_f32_ubyte0_e32 v1, v2
	v_bfe_u32 v3, v1, 16, 1
	s_movk_i32 s0, 0x7fff
	v_add3_u32 v1, v1, v3, s0
	global_store_short_d16_hi v[8:9], v1, off
	s_mov_b64 s[0:1], 0
	s_mov_b64 s[6:7], -1
.LBB352_1697:
	s_mov_b64 s[8:9], 0
.LBB352_1698:
	s_and_b64 vcc, exec, s[8:9]
	s_cbranch_vccz .LBB352_1700
; %bb.1699:
	s_cmp_lg_u32 s19, 11
	s_mov_b64 s[2:3], -1
	s_cselect_b64 s[0:1], -1, 0
.LBB352_1700:
	s_and_b64 vcc, exec, s[0:1]
	s_cbranch_vccnz .LBB352_1994
; %bb.1701:
	s_andn2_b64 vcc, exec, s[2:3]
	s_cbranch_vccnz .LBB352_1703
.LBB352_1702:
	v_cmp_ne_u16_e32 vcc, 0, v2
	s_mov_b64 s[6:7], -1
	s_nop 0
	v_cndmask_b32_e64 v1, 0, 1, vcc
	global_store_byte v[8:9], v1, off
.LBB352_1703:
	s_mov_b64 s[0:1], 0
	s_branch .LBB352_1705
.LBB352_1704:
	s_mov_b64 s[0:1], -1
	s_mov_b64 s[6:7], 0
.LBB352_1705:
	s_and_b64 vcc, exec, s[0:1]
	s_cbranch_vccz .LBB352_1744
; %bb.1706:
	s_and_b32 s2, 0xffff, s20
	s_cmp_lt_i32 s2, 5
	s_mov_b64 s[0:1], -1
	s_cbranch_scc1 .LBB352_1727
; %bb.1707:
	s_cmp_lt_i32 s2, 8
	s_cbranch_scc1 .LBB352_1717
; %bb.1708:
	s_cmp_lt_i32 s2, 9
	s_cbranch_scc1 .LBB352_1714
; %bb.1709:
	s_cmp_gt_i32 s2, 9
	s_cbranch_scc0 .LBB352_1711
; %bb.1710:
	v_mov_b32_e32 v12, 0
	v_cvt_f64_u32_e32 v[10:11], v2
	v_mov_b32_e32 v13, v12
	global_store_dwordx4 v[8:9], v[10:13], off
	s_mov_b64 s[0:1], 0
.LBB352_1711:
	s_andn2_b64 vcc, exec, s[0:1]
	s_cbranch_vccnz .LBB352_1713
; %bb.1712:
	v_cvt_f32_ubyte0_e32 v10, v2
	v_mov_b32_e32 v11, 0
	global_store_dwordx2 v[8:9], v[10:11], off
.LBB352_1713:
	s_mov_b64 s[0:1], 0
.LBB352_1714:
	s_andn2_b64 vcc, exec, s[0:1]
	s_cbranch_vccnz .LBB352_1716
; %bb.1715:
	v_cvt_f16_u16_e32 v1, v2
	global_store_dword v[8:9], v1, off
.LBB352_1716:
	s_mov_b64 s[0:1], 0
.LBB352_1717:
	s_andn2_b64 vcc, exec, s[0:1]
	s_cbranch_vccnz .LBB352_1726
; %bb.1718:
	s_cmp_lt_i32 s2, 6
	s_mov_b64 s[0:1], -1
	s_cbranch_scc1 .LBB352_1724
; %bb.1719:
	s_cmp_gt_i32 s2, 6
	s_cbranch_scc0 .LBB352_1721
; %bb.1720:
	v_cvt_f64_u32_e32 v[10:11], v2
	global_store_dwordx2 v[8:9], v[10:11], off
	s_mov_b64 s[0:1], 0
.LBB352_1721:
	s_andn2_b64 vcc, exec, s[0:1]
	s_cbranch_vccnz .LBB352_1723
; %bb.1722:
	v_cvt_f32_ubyte0_e32 v1, v2
	global_store_dword v[8:9], v1, off
.LBB352_1723:
	s_mov_b64 s[0:1], 0
.LBB352_1724:
	s_andn2_b64 vcc, exec, s[0:1]
	s_cbranch_vccnz .LBB352_1726
; %bb.1725:
	v_cvt_f16_u16_e32 v1, v2
	global_store_short v[8:9], v1, off
.LBB352_1726:
	s_mov_b64 s[0:1], 0
.LBB352_1727:
	s_andn2_b64 vcc, exec, s[0:1]
	s_cbranch_vccnz .LBB352_1743
; %bb.1728:
	s_cmp_lt_i32 s2, 2
	s_mov_b64 s[0:1], -1
	s_cbranch_scc1 .LBB352_1738
; %bb.1729:
	s_cmp_lt_i32 s2, 3
	s_cbranch_scc1 .LBB352_1735
; %bb.1730:
	s_cmp_gt_i32 s2, 3
	s_cbranch_scc0 .LBB352_1732
; %bb.1731:
	s_mov_b32 s0, 0
	v_mov_b32_e32 v3, s0
	global_store_dwordx2 v[8:9], v[2:3], off
	s_mov_b64 s[0:1], 0
.LBB352_1732:
	s_andn2_b64 vcc, exec, s[0:1]
	s_cbranch_vccnz .LBB352_1734
; %bb.1733:
	global_store_dword v[8:9], v2, off
.LBB352_1734:
	s_mov_b64 s[0:1], 0
.LBB352_1735:
	s_andn2_b64 vcc, exec, s[0:1]
	s_cbranch_vccnz .LBB352_1737
; %bb.1736:
	global_store_short v[8:9], v2, off
.LBB352_1737:
	s_mov_b64 s[0:1], 0
.LBB352_1738:
	s_andn2_b64 vcc, exec, s[0:1]
	s_cbranch_vccnz .LBB352_1743
; %bb.1739:
	s_cmp_gt_i32 s2, 0
	s_mov_b64 s[0:1], -1
	s_cbranch_scc0 .LBB352_1741
; %bb.1740:
	global_store_byte v[8:9], v2, off
	s_mov_b64 s[0:1], 0
.LBB352_1741:
	s_andn2_b64 vcc, exec, s[0:1]
	s_cbranch_vccnz .LBB352_1743
; %bb.1742:
	global_store_byte v[8:9], v2, off
.LBB352_1743:
	s_mov_b64 s[6:7], -1
.LBB352_1744:
	s_andn2_b64 vcc, exec, s[6:7]
	s_cbranch_vccnz .LBB352_1940
; %bb.1745:
	v_add_u32_e32 v0, s18, v0
	v_ashrrev_i32_e32 v1, 31, v0
	v_max_u16_sdwa v2, v4, s21 dst_sel:DWORD dst_unused:UNUSED_PAD src0_sel:BYTE_0 src1_sel:DWORD
	s_cmp_lt_i32 s20, 11
	v_lshl_add_u64 v[4:5], s[4:5], 0, v[0:1]
	s_cbranch_scc1 .LBB352_1823
; %bb.1746:
	s_and_b32 s19, 0xffff, s20
	s_mov_b64 s[8:9], -1
	s_mov_b64 s[2:3], 0
	s_cmp_gt_i32 s19, 25
	s_mov_b64 s[6:7], 0
	s_mov_b64 s[0:1], 0
	s_cbranch_scc0 .LBB352_1779
; %bb.1747:
	s_cmp_gt_i32 s19, 28
	s_cbranch_scc0 .LBB352_1762
; %bb.1748:
	s_cmp_gt_i32 s19, 43
	;; [unrolled: 3-line block ×3, first 2 shown]
	s_cbranch_scc0 .LBB352_1752
; %bb.1750:
	s_mov_b64 s[0:1], -1
	s_mov_b64 s[8:9], 0
	s_cmp_eq_u32 s19, 46
	s_cbranch_scc0 .LBB352_1752
; %bb.1751:
	v_cvt_f32_ubyte0_e32 v1, v2
	v_bfe_u32 v3, v1, 16, 1
	s_movk_i32 s0, 0x7fff
	v_add3_u32 v1, v1, v3, s0
	v_lshrrev_b32_e32 v1, 16, v1
	global_store_dword v[4:5], v1, off
	s_mov_b64 s[0:1], 0
	s_mov_b64 s[6:7], -1
.LBB352_1752:
	s_and_b64 vcc, exec, s[8:9]
	s_cbranch_vccz .LBB352_1757
; %bb.1753:
	s_cmp_eq_u32 s19, 44
	s_mov_b64 s[0:1], -1
	s_cbranch_scc0 .LBB352_1757
; %bb.1754:
	v_cvt_f32_ubyte0_e32 v3, v2
	v_lshrrev_b32_e32 v1, 23, v3
	s_movk_i32 s0, 0xff
	v_cmp_ne_u32_e32 vcc, s0, v1
	v_mov_b32_e32 v7, 0xff
	s_and_saveexec_b64 s[6:7], vcc
; %bb.1755:
	s_mov_b32 s0, 0x3fffff
	v_and_b32_e32 v7, 0x400000, v3
	v_and_or_b32 v3, v3, s0, v1
	v_cmp_ne_u32_e32 vcc, 0, v7
	v_cmp_ne_u32_e64 s[0:1], 0, v3
	s_and_b64 s[0:1], vcc, s[0:1]
	s_nop 0
	v_cndmask_b32_e64 v3, 0, 1, s[0:1]
	v_add_u32_e32 v7, v1, v3
; %bb.1756:
	s_or_b64 exec, exec, s[6:7]
	s_mov_b64 s[0:1], 0
	s_mov_b64 s[6:7], -1
	global_store_byte v[4:5], v7, off
.LBB352_1757:
	s_mov_b64 s[8:9], 0
.LBB352_1758:
	s_and_b64 vcc, exec, s[8:9]
	s_cbranch_vccz .LBB352_1761
; %bb.1759:
	s_cmp_eq_u32 s19, 29
	s_mov_b64 s[0:1], -1
	s_cbranch_scc0 .LBB352_1761
; %bb.1760:
	s_mov_b32 s0, 0
	v_mov_b32_e32 v3, s0
	global_store_dwordx2 v[4:5], v[2:3], off
	s_mov_b64 s[0:1], 0
	s_mov_b64 s[6:7], -1
.LBB352_1761:
	s_mov_b64 s[8:9], 0
.LBB352_1762:
	s_and_b64 vcc, exec, s[8:9]
	s_cbranch_vccz .LBB352_1778
; %bb.1763:
	s_cmp_lt_i32 s19, 27
	s_mov_b64 s[6:7], -1
	s_cbranch_scc1 .LBB352_1769
; %bb.1764:
	s_cmp_gt_i32 s19, 27
	s_cbranch_scc0 .LBB352_1766
; %bb.1765:
	s_mov_b64 s[6:7], 0
	global_store_dword v[4:5], v2, off
.LBB352_1766:
	s_andn2_b64 vcc, exec, s[6:7]
	s_cbranch_vccnz .LBB352_1768
; %bb.1767:
	global_store_short v[4:5], v2, off
.LBB352_1768:
	s_mov_b64 s[6:7], 0
.LBB352_1769:
	s_andn2_b64 vcc, exec, s[6:7]
	s_cbranch_vccnz .LBB352_1777
; %bb.1770:
	v_cvt_f32_ubyte0_e32 v3, v2
	s_mov_b32 s6, 0x43800000
	v_cmp_gt_u32_e32 vcc, s6, v3
	v_mov_b32_e32 v7, 0x80
	s_and_saveexec_b64 s[6:7], vcc
	s_cbranch_execz .LBB352_1776
; %bb.1771:
	s_mov_b32 s8, 0x3bffffff
	v_cmp_lt_u32_e32 vcc, s8, v3
	s_mov_b64 s[8:9], 0
                                        ; implicit-def: $vgpr1
	s_and_saveexec_b64 s[16:17], vcc
	s_xor_b64 s[16:17], exec, s[16:17]
	s_cbranch_execz .LBB352_1997
; %bb.1772:
	v_bfe_u32 v1, v3, 20, 1
	s_mov_b32 s22, 0x487ffff
	v_add3_u32 v1, v3, v1, s22
	s_mov_b64 s[8:9], exec
	v_lshrrev_b32_e32 v1, 20, v1
                                        ; implicit-def: $vgpr3
	s_andn2_saveexec_b64 s[16:17], s[16:17]
	s_cbranch_execnz .LBB352_1998
.LBB352_1773:
	s_or_b64 exec, exec, s[16:17]
	v_mov_b32_e32 v7, 0
	s_and_saveexec_b64 s[16:17], s[8:9]
.LBB352_1774:
	v_mov_b32_e32 v7, v1
.LBB352_1775:
	s_or_b64 exec, exec, s[16:17]
.LBB352_1776:
	s_or_b64 exec, exec, s[6:7]
	global_store_byte v[4:5], v7, off
.LBB352_1777:
	s_mov_b64 s[6:7], -1
.LBB352_1778:
	s_mov_b64 s[8:9], 0
.LBB352_1779:
	s_and_b64 vcc, exec, s[8:9]
	s_cbranch_vccz .LBB352_1819
; %bb.1780:
	s_cmp_gt_i32 s19, 22
	s_mov_b64 s[2:3], -1
	s_cbranch_scc0 .LBB352_1812
; %bb.1781:
	s_cmp_lt_i32 s19, 24
	s_cbranch_scc1 .LBB352_1801
; %bb.1782:
	s_cmp_gt_i32 s19, 24
	s_cbranch_scc0 .LBB352_1790
; %bb.1783:
	v_cvt_f32_ubyte0_e32 v3, v2
	s_mov_b32 s2, 0x47800000
	v_cmp_gt_u32_e32 vcc, s2, v3
	v_mov_b32_e32 v7, 0x80
	s_and_saveexec_b64 s[2:3], vcc
	s_cbranch_execz .LBB352_1789
; %bb.1784:
	s_mov_b32 s6, 0x37ffffff
	v_cmp_lt_u32_e32 vcc, s6, v3
	s_mov_b64 s[6:7], 0
                                        ; implicit-def: $vgpr1
	s_and_saveexec_b64 s[8:9], vcc
	s_xor_b64 s[8:9], exec, s[8:9]
	s_cbranch_execz .LBB352_2000
; %bb.1785:
	v_bfe_u32 v1, v3, 21, 1
	s_mov_b32 s16, 0x88fffff
	v_add3_u32 v1, v3, v1, s16
	s_mov_b64 s[6:7], exec
	v_lshrrev_b32_e32 v1, 21, v1
                                        ; implicit-def: $vgpr3
	s_andn2_saveexec_b64 s[8:9], s[8:9]
	s_cbranch_execnz .LBB352_2001
.LBB352_1786:
	s_or_b64 exec, exec, s[8:9]
	v_mov_b32_e32 v7, 0
	s_and_saveexec_b64 s[8:9], s[6:7]
.LBB352_1787:
	v_mov_b32_e32 v7, v1
.LBB352_1788:
	s_or_b64 exec, exec, s[8:9]
.LBB352_1789:
	s_or_b64 exec, exec, s[2:3]
	s_mov_b64 s[2:3], 0
	global_store_byte v[4:5], v7, off
.LBB352_1790:
	s_and_b64 vcc, exec, s[2:3]
	s_cbranch_vccz .LBB352_1800
; %bb.1791:
	v_cvt_f32_ubyte0_e32 v1, v2
	s_mov_b32 s2, 0x43f00000
	v_cmp_gt_u32_e32 vcc, s2, v1
                                        ; implicit-def: $vgpr3
	s_and_saveexec_b64 s[2:3], vcc
	s_xor_b64 s[2:3], exec, s[2:3]
	s_cbranch_execz .LBB352_1797
; %bb.1792:
	s_mov_b32 s6, 0x3c7fffff
	v_cmp_lt_u32_e32 vcc, s6, v1
                                        ; implicit-def: $vgpr3
	s_and_saveexec_b64 s[6:7], vcc
	s_xor_b64 s[6:7], exec, s[6:7]
; %bb.1793:
	v_bfe_u32 v3, v1, 20, 1
	s_mov_b32 s8, 0x407ffff
	v_add3_u32 v1, v1, v3, s8
	v_lshrrev_b32_e32 v3, 20, v1
	v_and_b32_e32 v1, 0xff00000, v1
	s_mov_b32 s8, 0x7f00000
	v_mov_b32_e32 v7, 0x7e
	v_cmp_ne_u32_e32 vcc, s8, v1
                                        ; implicit-def: $vgpr1
	s_nop 1
	v_cndmask_b32_e32 v3, v7, v3, vcc
; %bb.1794:
	s_andn2_saveexec_b64 s[6:7], s[6:7]
; %bb.1795:
	v_add_f32_e32 v3, 0x46800000, v1
; %bb.1796:
	s_or_b64 exec, exec, s[6:7]
                                        ; implicit-def: $vgpr1
.LBB352_1797:
	s_andn2_saveexec_b64 s[2:3], s[2:3]
; %bb.1798:
	s_mov_b32 s6, 0x7f800000
	v_mov_b32_e32 v3, 0x7e
	v_mov_b32_e32 v7, 0x7f
	v_cmp_lt_u32_e32 vcc, s6, v1
	s_nop 1
	v_cndmask_b32_e32 v3, v3, v7, vcc
; %bb.1799:
	s_or_b64 exec, exec, s[2:3]
	global_store_byte v[4:5], v3, off
.LBB352_1800:
	s_mov_b64 s[2:3], 0
.LBB352_1801:
	s_andn2_b64 vcc, exec, s[2:3]
	s_cbranch_vccnz .LBB352_1811
; %bb.1802:
	v_cvt_f32_ubyte0_e32 v1, v2
	s_mov_b32 s2, 0x47800000
	v_cmp_gt_u32_e32 vcc, s2, v1
                                        ; implicit-def: $vgpr3
	s_and_saveexec_b64 s[2:3], vcc
	s_xor_b64 s[2:3], exec, s[2:3]
	s_cbranch_execz .LBB352_1808
; %bb.1803:
	s_mov_b32 s6, 0x387fffff
	v_cmp_lt_u32_e32 vcc, s6, v1
                                        ; implicit-def: $vgpr3
	s_and_saveexec_b64 s[6:7], vcc
	s_xor_b64 s[6:7], exec, s[6:7]
; %bb.1804:
	v_bfe_u32 v3, v1, 21, 1
	s_mov_b32 s8, 0x80fffff
	v_add3_u32 v1, v1, v3, s8
	v_lshrrev_b32_e32 v3, 21, v1
                                        ; implicit-def: $vgpr1
; %bb.1805:
	s_andn2_saveexec_b64 s[6:7], s[6:7]
; %bb.1806:
	v_add_f32_e32 v3, 0x43000000, v1
; %bb.1807:
	s_or_b64 exec, exec, s[6:7]
                                        ; implicit-def: $vgpr1
.LBB352_1808:
	s_andn2_saveexec_b64 s[2:3], s[2:3]
; %bb.1809:
	s_mov_b32 s6, 0x7f800000
	v_mov_b32_e32 v3, 0x7c
	v_mov_b32_e32 v7, 0x7f
	v_cmp_lt_u32_e32 vcc, s6, v1
	s_nop 1
	v_cndmask_b32_e32 v3, v3, v7, vcc
; %bb.1810:
	s_or_b64 exec, exec, s[2:3]
	global_store_byte v[4:5], v3, off
.LBB352_1811:
	s_mov_b64 s[2:3], 0
	s_mov_b64 s[6:7], -1
.LBB352_1812:
	s_andn2_b64 vcc, exec, s[2:3]
	s_mov_b64 s[2:3], 0
	s_cbranch_vccnz .LBB352_1819
; %bb.1813:
	s_cmp_gt_i32 s19, 14
	s_mov_b64 s[8:9], -1
	s_cbranch_scc0 .LBB352_1817
; %bb.1814:
	s_cmp_eq_u32 s19, 15
	s_mov_b64 s[0:1], -1
	s_cbranch_scc0 .LBB352_1816
; %bb.1815:
	v_cvt_f32_ubyte0_e32 v1, v2
	v_bfe_u32 v3, v1, 16, 1
	s_movk_i32 s0, 0x7fff
	v_add3_u32 v1, v1, v3, s0
	global_store_short_d16_hi v[4:5], v1, off
	s_mov_b64 s[0:1], 0
	s_mov_b64 s[6:7], -1
.LBB352_1816:
	s_mov_b64 s[8:9], 0
.LBB352_1817:
	s_and_b64 vcc, exec, s[8:9]
	s_cbranch_vccz .LBB352_1819
; %bb.1818:
	s_cmp_lg_u32 s19, 11
	s_mov_b64 s[2:3], -1
	s_cselect_b64 s[0:1], -1, 0
.LBB352_1819:
	s_and_b64 vcc, exec, s[0:1]
	s_cbranch_vccnz .LBB352_1999
; %bb.1820:
	s_andn2_b64 vcc, exec, s[2:3]
	s_cbranch_vccnz .LBB352_1822
.LBB352_1821:
	v_cmp_ne_u16_e32 vcc, 0, v2
	s_mov_b64 s[6:7], -1
	s_nop 0
	v_cndmask_b32_e64 v1, 0, 1, vcc
	global_store_byte v[4:5], v1, off
.LBB352_1822:
	s_mov_b64 s[0:1], 0
	s_branch .LBB352_1824
.LBB352_1823:
	s_mov_b64 s[0:1], -1
	s_mov_b64 s[6:7], 0
.LBB352_1824:
	s_and_b64 vcc, exec, s[0:1]
	s_cbranch_vccz .LBB352_1863
; %bb.1825:
	s_and_b32 s2, 0xffff, s20
	s_cmp_lt_i32 s2, 5
	s_mov_b64 s[0:1], -1
	s_cbranch_scc1 .LBB352_1846
; %bb.1826:
	s_cmp_lt_i32 s2, 8
	s_cbranch_scc1 .LBB352_1836
; %bb.1827:
	s_cmp_lt_i32 s2, 9
	s_cbranch_scc1 .LBB352_1833
; %bb.1828:
	s_cmp_gt_i32 s2, 9
	s_cbranch_scc0 .LBB352_1830
; %bb.1829:
	v_mov_b32_e32 v10, 0
	v_cvt_f64_u32_e32 v[8:9], v2
	v_mov_b32_e32 v11, v10
	global_store_dwordx4 v[4:5], v[8:11], off
	s_mov_b64 s[0:1], 0
.LBB352_1830:
	s_andn2_b64 vcc, exec, s[0:1]
	s_cbranch_vccnz .LBB352_1832
; %bb.1831:
	v_cvt_f32_ubyte0_e32 v8, v2
	v_mov_b32_e32 v9, 0
	global_store_dwordx2 v[4:5], v[8:9], off
.LBB352_1832:
	s_mov_b64 s[0:1], 0
.LBB352_1833:
	s_andn2_b64 vcc, exec, s[0:1]
	s_cbranch_vccnz .LBB352_1835
; %bb.1834:
	v_cvt_f16_u16_e32 v1, v2
	global_store_dword v[4:5], v1, off
.LBB352_1835:
	s_mov_b64 s[0:1], 0
.LBB352_1836:
	s_andn2_b64 vcc, exec, s[0:1]
	s_cbranch_vccnz .LBB352_1845
; %bb.1837:
	s_cmp_lt_i32 s2, 6
	s_mov_b64 s[0:1], -1
	s_cbranch_scc1 .LBB352_1843
; %bb.1838:
	s_cmp_gt_i32 s2, 6
	s_cbranch_scc0 .LBB352_1840
; %bb.1839:
	v_cvt_f64_u32_e32 v[8:9], v2
	global_store_dwordx2 v[4:5], v[8:9], off
	s_mov_b64 s[0:1], 0
.LBB352_1840:
	s_andn2_b64 vcc, exec, s[0:1]
	s_cbranch_vccnz .LBB352_1842
; %bb.1841:
	v_cvt_f32_ubyte0_e32 v1, v2
	global_store_dword v[4:5], v1, off
.LBB352_1842:
	s_mov_b64 s[0:1], 0
.LBB352_1843:
	s_andn2_b64 vcc, exec, s[0:1]
	s_cbranch_vccnz .LBB352_1845
; %bb.1844:
	v_cvt_f16_u16_e32 v1, v2
	global_store_short v[4:5], v1, off
.LBB352_1845:
	s_mov_b64 s[0:1], 0
.LBB352_1846:
	s_andn2_b64 vcc, exec, s[0:1]
	s_cbranch_vccnz .LBB352_1862
; %bb.1847:
	s_cmp_lt_i32 s2, 2
	s_mov_b64 s[0:1], -1
	s_cbranch_scc1 .LBB352_1857
; %bb.1848:
	s_cmp_lt_i32 s2, 3
	s_cbranch_scc1 .LBB352_1854
; %bb.1849:
	s_cmp_gt_i32 s2, 3
	s_cbranch_scc0 .LBB352_1851
; %bb.1850:
	s_mov_b32 s0, 0
	v_mov_b32_e32 v3, s0
	global_store_dwordx2 v[4:5], v[2:3], off
	s_mov_b64 s[0:1], 0
.LBB352_1851:
	s_andn2_b64 vcc, exec, s[0:1]
	s_cbranch_vccnz .LBB352_1853
; %bb.1852:
	global_store_dword v[4:5], v2, off
.LBB352_1853:
	s_mov_b64 s[0:1], 0
.LBB352_1854:
	s_andn2_b64 vcc, exec, s[0:1]
	s_cbranch_vccnz .LBB352_1856
; %bb.1855:
	global_store_short v[4:5], v2, off
.LBB352_1856:
	s_mov_b64 s[0:1], 0
.LBB352_1857:
	s_andn2_b64 vcc, exec, s[0:1]
	s_cbranch_vccnz .LBB352_1862
; %bb.1858:
	s_cmp_gt_i32 s2, 0
	s_mov_b64 s[0:1], -1
	s_cbranch_scc0 .LBB352_1860
; %bb.1859:
	global_store_byte v[4:5], v2, off
	s_mov_b64 s[0:1], 0
.LBB352_1860:
	s_andn2_b64 vcc, exec, s[0:1]
	s_cbranch_vccnz .LBB352_1862
; %bb.1861:
	global_store_byte v[4:5], v2, off
.LBB352_1862:
	s_mov_b64 s[6:7], -1
.LBB352_1863:
	s_andn2_b64 vcc, exec, s[6:7]
	s_cbranch_vccnz .LBB352_1940
; %bb.1864:
	v_add_u32_e32 v0, s18, v0
	v_ashrrev_i32_e32 v1, 31, v0
	v_max_u16_sdwa v2, v6, s21 dst_sel:DWORD dst_unused:UNUSED_PAD src0_sel:BYTE_0 src1_sel:DWORD
	s_cmp_lt_i32 s20, 11
	v_lshl_add_u64 v[0:1], s[4:5], 0, v[0:1]
	s_cbranch_scc1 .LBB352_1985
; %bb.1865:
	s_and_b32 s16, 0xffff, s20
	s_mov_b64 s[4:5], -1
	s_mov_b64 s[2:3], 0
	s_cmp_gt_i32 s16, 25
	s_mov_b64 s[0:1], 0
	s_cbranch_scc0 .LBB352_1898
; %bb.1866:
	s_cmp_gt_i32 s16, 28
	s_cbranch_scc0 .LBB352_1882
; %bb.1867:
	s_cmp_gt_i32 s16, 43
	;; [unrolled: 3-line block ×3, first 2 shown]
	s_cbranch_scc0 .LBB352_1872
; %bb.1869:
	s_cmp_eq_u32 s16, 46
	s_mov_b64 s[0:1], -1
	s_cbranch_scc0 .LBB352_1871
; %bb.1870:
	v_cvt_f32_ubyte0_e32 v3, v2
	v_bfe_u32 v4, v3, 16, 1
	s_movk_i32 s0, 0x7fff
	v_add3_u32 v3, v3, v4, s0
	v_lshrrev_b32_e32 v3, 16, v3
	global_store_dword v[0:1], v3, off
	s_mov_b64 s[0:1], 0
.LBB352_1871:
	s_mov_b64 s[4:5], 0
.LBB352_1872:
	s_and_b64 vcc, exec, s[4:5]
	s_cbranch_vccz .LBB352_1877
; %bb.1873:
	s_cmp_eq_u32 s16, 44
	s_mov_b64 s[0:1], -1
	s_cbranch_scc0 .LBB352_1877
; %bb.1874:
	v_cvt_f32_ubyte0_e32 v4, v2
	v_lshrrev_b32_e32 v3, 23, v4
	s_movk_i32 s0, 0xff
	v_cmp_ne_u32_e32 vcc, s0, v3
	v_mov_b32_e32 v5, 0xff
	s_and_saveexec_b64 s[4:5], vcc
; %bb.1875:
	s_mov_b32 s0, 0x3fffff
	v_and_b32_e32 v5, 0x400000, v4
	v_and_or_b32 v4, v4, s0, v3
	v_cmp_ne_u32_e32 vcc, 0, v5
	v_cmp_ne_u32_e64 s[0:1], 0, v4
	s_and_b64 s[0:1], vcc, s[0:1]
	s_nop 0
	v_cndmask_b32_e64 v4, 0, 1, s[0:1]
	v_add_u32_e32 v5, v3, v4
; %bb.1876:
	s_or_b64 exec, exec, s[4:5]
	s_mov_b64 s[0:1], 0
	global_store_byte v[0:1], v5, off
.LBB352_1877:
	s_mov_b64 s[4:5], 0
.LBB352_1878:
	s_and_b64 vcc, exec, s[4:5]
	s_cbranch_vccz .LBB352_1881
; %bb.1879:
	s_cmp_eq_u32 s16, 29
	s_mov_b64 s[0:1], -1
	s_cbranch_scc0 .LBB352_1881
; %bb.1880:
	s_mov_b32 s0, 0
	v_mov_b32_e32 v3, s0
	global_store_dwordx2 v[0:1], v[2:3], off
	s_mov_b64 s[0:1], 0
.LBB352_1881:
	s_mov_b64 s[4:5], 0
.LBB352_1882:
	s_and_b64 vcc, exec, s[4:5]
	s_cbranch_vccz .LBB352_1897
; %bb.1883:
	s_cmp_lt_i32 s16, 27
	s_mov_b64 s[4:5], -1
	s_cbranch_scc1 .LBB352_1889
; %bb.1884:
	s_cmp_gt_i32 s16, 27
	s_cbranch_scc0 .LBB352_1886
; %bb.1885:
	global_store_dword v[0:1], v2, off
	s_mov_b64 s[4:5], 0
.LBB352_1886:
	s_andn2_b64 vcc, exec, s[4:5]
	s_cbranch_vccnz .LBB352_1888
; %bb.1887:
	global_store_short v[0:1], v2, off
.LBB352_1888:
	s_mov_b64 s[4:5], 0
.LBB352_1889:
	s_andn2_b64 vcc, exec, s[4:5]
	s_cbranch_vccnz .LBB352_1897
; %bb.1890:
	v_cvt_f32_ubyte0_e32 v4, v2
	s_mov_b32 s4, 0x43800000
	v_cmp_gt_u32_e32 vcc, s4, v4
	v_mov_b32_e32 v5, 0x80
	s_and_saveexec_b64 s[4:5], vcc
	s_cbranch_execz .LBB352_1896
; %bb.1891:
	s_mov_b32 s6, 0x3bffffff
	v_cmp_lt_u32_e32 vcc, s6, v4
	s_mov_b64 s[6:7], 0
                                        ; implicit-def: $vgpr3
	s_and_saveexec_b64 s[8:9], vcc
	s_xor_b64 s[8:9], exec, s[8:9]
	s_cbranch_execz .LBB352_2002
; %bb.1892:
	v_bfe_u32 v3, v4, 20, 1
	s_mov_b32 s17, 0x487ffff
	v_add3_u32 v3, v4, v3, s17
	s_mov_b64 s[6:7], exec
	v_lshrrev_b32_e32 v3, 20, v3
                                        ; implicit-def: $vgpr4
	s_andn2_saveexec_b64 s[8:9], s[8:9]
	s_cbranch_execnz .LBB352_2003
.LBB352_1893:
	s_or_b64 exec, exec, s[8:9]
	v_mov_b32_e32 v5, 0
	s_and_saveexec_b64 s[8:9], s[6:7]
.LBB352_1894:
	v_mov_b32_e32 v5, v3
.LBB352_1895:
	s_or_b64 exec, exec, s[8:9]
.LBB352_1896:
	s_or_b64 exec, exec, s[4:5]
	global_store_byte v[0:1], v5, off
.LBB352_1897:
	s_mov_b64 s[4:5], 0
.LBB352_1898:
	s_and_b64 vcc, exec, s[4:5]
	s_cbranch_vccz .LBB352_1938
; %bb.1899:
	s_cmp_gt_i32 s16, 22
	s_mov_b64 s[2:3], -1
	s_cbranch_scc0 .LBB352_1931
; %bb.1900:
	s_cmp_lt_i32 s16, 24
	s_cbranch_scc1 .LBB352_1920
; %bb.1901:
	s_cmp_gt_i32 s16, 24
	s_cbranch_scc0 .LBB352_1909
; %bb.1902:
	v_cvt_f32_ubyte0_e32 v4, v2
	s_mov_b32 s2, 0x47800000
	v_cmp_gt_u32_e32 vcc, s2, v4
	v_mov_b32_e32 v5, 0x80
	s_and_saveexec_b64 s[2:3], vcc
	s_cbranch_execz .LBB352_1908
; %bb.1903:
	s_mov_b32 s4, 0x37ffffff
	v_cmp_lt_u32_e32 vcc, s4, v4
	s_mov_b64 s[4:5], 0
                                        ; implicit-def: $vgpr3
	s_and_saveexec_b64 s[6:7], vcc
	s_xor_b64 s[6:7], exec, s[6:7]
	s_cbranch_execz .LBB352_2005
; %bb.1904:
	v_bfe_u32 v3, v4, 21, 1
	s_mov_b32 s8, 0x88fffff
	v_add3_u32 v3, v4, v3, s8
	s_mov_b64 s[4:5], exec
	v_lshrrev_b32_e32 v3, 21, v3
                                        ; implicit-def: $vgpr4
	s_andn2_saveexec_b64 s[6:7], s[6:7]
	s_cbranch_execnz .LBB352_2006
.LBB352_1905:
	s_or_b64 exec, exec, s[6:7]
	v_mov_b32_e32 v5, 0
	s_and_saveexec_b64 s[6:7], s[4:5]
.LBB352_1906:
	v_mov_b32_e32 v5, v3
.LBB352_1907:
	s_or_b64 exec, exec, s[6:7]
.LBB352_1908:
	s_or_b64 exec, exec, s[2:3]
	s_mov_b64 s[2:3], 0
	global_store_byte v[0:1], v5, off
.LBB352_1909:
	s_and_b64 vcc, exec, s[2:3]
	s_cbranch_vccz .LBB352_1919
; %bb.1910:
	v_cvt_f32_ubyte0_e32 v3, v2
	s_mov_b32 s2, 0x43f00000
	v_cmp_gt_u32_e32 vcc, s2, v3
                                        ; implicit-def: $vgpr4
	s_and_saveexec_b64 s[2:3], vcc
	s_xor_b64 s[2:3], exec, s[2:3]
	s_cbranch_execz .LBB352_1916
; %bb.1911:
	s_mov_b32 s4, 0x3c7fffff
	v_cmp_lt_u32_e32 vcc, s4, v3
                                        ; implicit-def: $vgpr4
	s_and_saveexec_b64 s[4:5], vcc
	s_xor_b64 s[4:5], exec, s[4:5]
; %bb.1912:
	v_bfe_u32 v4, v3, 20, 1
	s_mov_b32 s6, 0x407ffff
	v_add3_u32 v3, v3, v4, s6
	v_lshrrev_b32_e32 v4, 20, v3
	v_and_b32_e32 v3, 0xff00000, v3
	s_mov_b32 s6, 0x7f00000
	v_mov_b32_e32 v5, 0x7e
	v_cmp_ne_u32_e32 vcc, s6, v3
                                        ; implicit-def: $vgpr3
	s_nop 1
	v_cndmask_b32_e32 v4, v5, v4, vcc
; %bb.1913:
	s_andn2_saveexec_b64 s[4:5], s[4:5]
; %bb.1914:
	v_add_f32_e32 v4, 0x46800000, v3
; %bb.1915:
	s_or_b64 exec, exec, s[4:5]
                                        ; implicit-def: $vgpr3
.LBB352_1916:
	s_andn2_saveexec_b64 s[2:3], s[2:3]
; %bb.1917:
	s_mov_b32 s4, 0x7f800000
	v_mov_b32_e32 v4, 0x7e
	v_mov_b32_e32 v5, 0x7f
	v_cmp_lt_u32_e32 vcc, s4, v3
	s_nop 1
	v_cndmask_b32_e32 v4, v4, v5, vcc
; %bb.1918:
	s_or_b64 exec, exec, s[2:3]
	global_store_byte v[0:1], v4, off
.LBB352_1919:
	s_mov_b64 s[2:3], 0
.LBB352_1920:
	s_andn2_b64 vcc, exec, s[2:3]
	s_cbranch_vccnz .LBB352_1930
; %bb.1921:
	v_cvt_f32_ubyte0_e32 v3, v2
	s_mov_b32 s2, 0x47800000
	v_cmp_gt_u32_e32 vcc, s2, v3
                                        ; implicit-def: $vgpr4
	s_and_saveexec_b64 s[2:3], vcc
	s_xor_b64 s[2:3], exec, s[2:3]
	s_cbranch_execz .LBB352_1927
; %bb.1922:
	s_mov_b32 s4, 0x387fffff
	v_cmp_lt_u32_e32 vcc, s4, v3
                                        ; implicit-def: $vgpr4
	s_and_saveexec_b64 s[4:5], vcc
	s_xor_b64 s[4:5], exec, s[4:5]
; %bb.1923:
	v_bfe_u32 v4, v3, 21, 1
	s_mov_b32 s6, 0x80fffff
	v_add3_u32 v3, v3, v4, s6
	v_lshrrev_b32_e32 v4, 21, v3
                                        ; implicit-def: $vgpr3
; %bb.1924:
	s_andn2_saveexec_b64 s[4:5], s[4:5]
; %bb.1925:
	v_add_f32_e32 v4, 0x43000000, v3
; %bb.1926:
	s_or_b64 exec, exec, s[4:5]
                                        ; implicit-def: $vgpr3
.LBB352_1927:
	s_andn2_saveexec_b64 s[2:3], s[2:3]
; %bb.1928:
	s_mov_b32 s4, 0x7f800000
	v_mov_b32_e32 v4, 0x7c
	v_mov_b32_e32 v5, 0x7f
	v_cmp_lt_u32_e32 vcc, s4, v3
	s_nop 1
	v_cndmask_b32_e32 v4, v4, v5, vcc
; %bb.1929:
	s_or_b64 exec, exec, s[2:3]
	global_store_byte v[0:1], v4, off
.LBB352_1930:
	s_mov_b64 s[2:3], 0
.LBB352_1931:
	s_andn2_b64 vcc, exec, s[2:3]
	s_mov_b64 s[2:3], 0
	s_cbranch_vccnz .LBB352_1938
; %bb.1932:
	s_cmp_gt_i32 s16, 14
	s_mov_b64 s[4:5], -1
	s_cbranch_scc0 .LBB352_1936
; %bb.1933:
	s_cmp_eq_u32 s16, 15
	s_mov_b64 s[0:1], -1
	s_cbranch_scc0 .LBB352_1935
; %bb.1934:
	v_cvt_f32_ubyte0_e32 v3, v2
	v_bfe_u32 v4, v3, 16, 1
	s_movk_i32 s0, 0x7fff
	v_add3_u32 v3, v3, v4, s0
	global_store_short_d16_hi v[0:1], v3, off
	s_mov_b64 s[0:1], 0
.LBB352_1935:
	s_mov_b64 s[4:5], 0
.LBB352_1936:
	s_and_b64 vcc, exec, s[4:5]
	s_cbranch_vccz .LBB352_1938
; %bb.1937:
	s_cmp_lg_u32 s16, 11
	s_mov_b64 s[2:3], -1
	s_cselect_b64 s[0:1], -1, 0
.LBB352_1938:
	s_and_b64 vcc, exec, s[0:1]
	s_cbranch_vccnz .LBB352_2004
.LBB352_1939:
	s_mov_b64 s[0:1], 0
	s_branch .LBB352_1941
.LBB352_1940:
	s_mov_b64 s[0:1], 0
	s_mov_b64 s[2:3], 0
                                        ; implicit-def: $sgpr20
                                        ; implicit-def: $vgpr0_vgpr1
                                        ; implicit-def: $vgpr2
.LBB352_1941:
	s_andn2_b64 s[4:5], s[12:13], exec
	s_and_b64 s[6:7], s[14:15], exec
	s_and_b64 s[0:1], s[0:1], exec
	;; [unrolled: 1-line block ×3, first 2 shown]
	s_or_b64 s[12:13], s[4:5], s[6:7]
.LBB352_1942:
	s_or_b64 exec, exec, s[10:11]
	s_and_saveexec_b64 s[4:5], s[12:13]
	s_cbranch_execz .LBB352_1945
; %bb.1943:
	; divergent unreachable
	s_or_b64 exec, exec, s[4:5]
	s_and_saveexec_b64 s[4:5], s[2:3]
	s_xor_b64 s[2:3], exec, s[4:5]
	s_cbranch_execnz .LBB352_1946
.LBB352_1944:
	s_or_b64 exec, exec, s[2:3]
	s_and_saveexec_b64 s[2:3], s[0:1]
	s_cbranch_execnz .LBB352_1947
	s_branch .LBB352_1984
.LBB352_1945:
	s_or_b64 exec, exec, s[4:5]
	s_and_saveexec_b64 s[4:5], s[2:3]
	s_xor_b64 s[2:3], exec, s[4:5]
	s_cbranch_execz .LBB352_1944
.LBB352_1946:
	s_waitcnt vmcnt(0)
	v_mov_b32_e32 v3, 0
	v_cmp_ne_u16_sdwa s[4:5], v2, v3 src0_sel:BYTE_0 src1_sel:DWORD
	s_nop 1
	v_cndmask_b32_e64 v3, 0, 1, s[4:5]
	global_store_byte v[0:1], v3, off
	s_or_b64 exec, exec, s[2:3]
	s_and_saveexec_b64 s[2:3], s[0:1]
	s_cbranch_execz .LBB352_1984
.LBB352_1947:
	s_sext_i32_i16 s2, s20
	s_cmp_lt_i32 s2, 5
	s_mov_b64 s[0:1], -1
	s_cbranch_scc1 .LBB352_1968
; %bb.1948:
	s_cmp_lt_i32 s2, 8
	s_cbranch_scc1 .LBB352_1958
; %bb.1949:
	s_cmp_lt_i32 s2, 9
	s_cbranch_scc1 .LBB352_1955
; %bb.1950:
	s_cmp_gt_i32 s2, 9
	s_cbranch_scc0 .LBB352_1952
; %bb.1951:
	s_mov_b32 s0, 0xffff
	s_waitcnt vmcnt(0)
	v_and_b32_sdwa v3, s0, v2 dst_sel:DWORD dst_unused:UNUSED_PAD src0_sel:DWORD src1_sel:BYTE_0
	v_mov_b32_e32 v6, 0
	v_cvt_f64_u32_e32 v[4:5], v3
	v_mov_b32_e32 v7, v6
	global_store_dwordx4 v[0:1], v[4:7], off
	s_mov_b64 s[0:1], 0
.LBB352_1952:
	s_andn2_b64 vcc, exec, s[0:1]
	s_cbranch_vccnz .LBB352_1954
; %bb.1953:
	s_waitcnt vmcnt(0)
	v_cvt_f32_ubyte0_e32 v4, v2
	v_mov_b32_e32 v5, 0
	global_store_dwordx2 v[0:1], v[4:5], off
.LBB352_1954:
	s_mov_b64 s[0:1], 0
.LBB352_1955:
	s_andn2_b64 vcc, exec, s[0:1]
	s_cbranch_vccnz .LBB352_1957
; %bb.1956:
	s_waitcnt vmcnt(0)
	v_cvt_f16_u16_sdwa v3, v2 dst_sel:DWORD dst_unused:UNUSED_PAD src0_sel:BYTE_0
	global_store_dword v[0:1], v3, off
.LBB352_1957:
	s_mov_b64 s[0:1], 0
.LBB352_1958:
	s_andn2_b64 vcc, exec, s[0:1]
	s_cbranch_vccnz .LBB352_1967
; %bb.1959:
	s_sext_i32_i16 s2, s20
	s_cmp_lt_i32 s2, 6
	s_mov_b64 s[0:1], -1
	s_cbranch_scc1 .LBB352_1965
; %bb.1960:
	s_cmp_gt_i32 s2, 6
	s_cbranch_scc0 .LBB352_1962
; %bb.1961:
	s_mov_b32 s0, 0xffff
	s_waitcnt vmcnt(0)
	v_and_b32_sdwa v3, s0, v2 dst_sel:DWORD dst_unused:UNUSED_PAD src0_sel:DWORD src1_sel:BYTE_0
	v_cvt_f64_u32_e32 v[4:5], v3
	global_store_dwordx2 v[0:1], v[4:5], off
	s_mov_b64 s[0:1], 0
.LBB352_1962:
	s_andn2_b64 vcc, exec, s[0:1]
	s_cbranch_vccnz .LBB352_1964
; %bb.1963:
	s_waitcnt vmcnt(0)
	v_cvt_f32_ubyte0_e32 v3, v2
	global_store_dword v[0:1], v3, off
.LBB352_1964:
	s_mov_b64 s[0:1], 0
.LBB352_1965:
	s_andn2_b64 vcc, exec, s[0:1]
	s_cbranch_vccnz .LBB352_1967
; %bb.1966:
	s_waitcnt vmcnt(0)
	v_cvt_f16_u16_sdwa v3, v2 dst_sel:DWORD dst_unused:UNUSED_PAD src0_sel:BYTE_0
	global_store_short v[0:1], v3, off
.LBB352_1967:
	s_mov_b64 s[0:1], 0
.LBB352_1968:
	s_andn2_b64 vcc, exec, s[0:1]
	s_cbranch_vccnz .LBB352_1984
; %bb.1969:
	s_sext_i32_i16 s2, s20
	s_cmp_lt_i32 s2, 2
	s_mov_b64 s[0:1], -1
	s_cbranch_scc1 .LBB352_1979
; %bb.1970:
	s_cmp_lt_i32 s2, 3
	s_cbranch_scc1 .LBB352_1976
; %bb.1971:
	s_cmp_gt_i32 s2, 3
	s_cbranch_scc0 .LBB352_1973
; %bb.1972:
	s_waitcnt vmcnt(0)
	v_and_b32_e32 v4, 0xff, v2
	v_mov_b32_e32 v5, 0
	global_store_dwordx2 v[0:1], v[4:5], off
	s_mov_b64 s[0:1], 0
.LBB352_1973:
	s_andn2_b64 vcc, exec, s[0:1]
	s_cbranch_vccnz .LBB352_1975
; %bb.1974:
	s_waitcnt vmcnt(0)
	v_and_b32_e32 v3, 0xff, v2
	global_store_dword v[0:1], v3, off
.LBB352_1975:
	s_mov_b64 s[0:1], 0
.LBB352_1976:
	s_andn2_b64 vcc, exec, s[0:1]
	s_cbranch_vccnz .LBB352_1978
; %bb.1977:
	s_waitcnt vmcnt(0)
	v_and_b32_e32 v3, 0xff, v2
	global_store_short v[0:1], v3, off
.LBB352_1978:
	s_mov_b64 s[0:1], 0
.LBB352_1979:
	s_andn2_b64 vcc, exec, s[0:1]
	s_cbranch_vccnz .LBB352_1984
; %bb.1980:
	s_sext_i32_i16 s0, s20
	s_cmp_gt_i32 s0, 0
	s_mov_b64 s[0:1], -1
	s_cbranch_scc0 .LBB352_1982
; %bb.1981:
	s_waitcnt vmcnt(0)
	global_store_byte v[0:1], v2, off
	s_mov_b64 s[0:1], 0
.LBB352_1982:
	s_andn2_b64 vcc, exec, s[0:1]
	s_cbranch_vccnz .LBB352_1984
; %bb.1983:
	s_waitcnt vmcnt(0)
	global_store_byte v[0:1], v2, off
	s_endpgm
.LBB352_1984:
	s_endpgm
.LBB352_1985:
	s_mov_b64 s[2:3], 0
	s_mov_b64 s[0:1], -1
	s_branch .LBB352_1941
.LBB352_1986:
	s_trap 2
	s_or_b64 s[14:15], s[14:15], exec
	s_cbranch_execz .LBB352_1455
	s_branch .LBB352_1456
.LBB352_1987:
	s_andn2_saveexec_b64 s[18:19], s[18:19]
	s_cbranch_execz .LBB352_1535
.LBB352_1988:
	v_add_f32_e32 v1, 0x46000000, v3
	v_and_b32_e32 v1, 0xff, v1
	v_cmp_ne_u32_e32 vcc, 0, v1
	s_andn2_b64 s[16:17], s[16:17], exec
	s_and_b64 s[22:23], vcc, exec
	s_or_b64 s[16:17], s[16:17], s[22:23]
	s_or_b64 exec, exec, s[18:19]
	v_mov_b32_e32 v5, 0
	s_and_saveexec_b64 s[18:19], s[16:17]
	s_cbranch_execnz .LBB352_1536
	s_branch .LBB352_1537
.LBB352_1989:
	s_trap 2
	s_or_b64 s[14:15], s[14:15], exec
	s_cbranch_execz .LBB352_1583
	s_branch .LBB352_1584
.LBB352_1990:
	s_andn2_saveexec_b64 s[16:17], s[16:17]
	s_cbranch_execz .LBB352_1548
.LBB352_1991:
	v_add_f32_e32 v1, 0x42800000, v3
	v_and_b32_e32 v1, 0xff, v1
	v_cmp_ne_u32_e32 vcc, 0, v1
	s_andn2_b64 s[6:7], s[6:7], exec
	s_and_b64 s[18:19], vcc, exec
	s_or_b64 s[6:7], s[6:7], s[18:19]
	s_or_b64 exec, exec, s[16:17]
	v_mov_b32_e32 v5, 0
	s_and_saveexec_b64 s[16:17], s[6:7]
	s_cbranch_execnz .LBB352_1549
	s_branch .LBB352_1550
.LBB352_1992:
	s_andn2_saveexec_b64 s[16:17], s[16:17]
	s_cbranch_execz .LBB352_1654
.LBB352_1993:
	v_add_f32_e32 v1, 0x46000000, v3
	v_and_b32_e32 v1, 0xff, v1
	v_cmp_ne_u32_e32 vcc, 0, v1
	s_andn2_b64 s[8:9], s[8:9], exec
	s_and_b64 s[22:23], vcc, exec
	s_or_b64 s[8:9], s[8:9], s[22:23]
	s_or_b64 exec, exec, s[16:17]
	v_mov_b32_e32 v5, 0
	s_and_saveexec_b64 s[16:17], s[8:9]
	s_cbranch_execnz .LBB352_1655
	s_branch .LBB352_1656
.LBB352_1994:
	s_trap 2
	s_or_b64 s[14:15], s[14:15], exec
	s_cbranch_execz .LBB352_1702
	s_branch .LBB352_1703
.LBB352_1995:
	s_andn2_saveexec_b64 s[8:9], s[8:9]
	s_cbranch_execz .LBB352_1667
.LBB352_1996:
	v_add_f32_e32 v1, 0x42800000, v3
	v_and_b32_e32 v1, 0xff, v1
	v_cmp_ne_u32_e32 vcc, 0, v1
	s_andn2_b64 s[6:7], s[6:7], exec
	s_and_b64 s[16:17], vcc, exec
	s_or_b64 s[6:7], s[6:7], s[16:17]
	s_or_b64 exec, exec, s[8:9]
	v_mov_b32_e32 v5, 0
	s_and_saveexec_b64 s[8:9], s[6:7]
	s_cbranch_execnz .LBB352_1668
	s_branch .LBB352_1669
.LBB352_1997:
	s_andn2_saveexec_b64 s[16:17], s[16:17]
	s_cbranch_execz .LBB352_1773
.LBB352_1998:
	v_add_f32_e32 v1, 0x46000000, v3
	v_and_b32_e32 v1, 0xff, v1
	v_cmp_ne_u32_e32 vcc, 0, v1
	s_andn2_b64 s[8:9], s[8:9], exec
	s_and_b64 s[22:23], vcc, exec
	s_or_b64 s[8:9], s[8:9], s[22:23]
	s_or_b64 exec, exec, s[16:17]
	v_mov_b32_e32 v7, 0
	s_and_saveexec_b64 s[16:17], s[8:9]
	s_cbranch_execnz .LBB352_1774
	s_branch .LBB352_1775
.LBB352_1999:
	s_trap 2
	s_or_b64 s[14:15], s[14:15], exec
	s_cbranch_execz .LBB352_1821
	s_branch .LBB352_1822
.LBB352_2000:
	s_andn2_saveexec_b64 s[8:9], s[8:9]
	s_cbranch_execz .LBB352_1786
.LBB352_2001:
	v_add_f32_e32 v1, 0x42800000, v3
	v_and_b32_e32 v1, 0xff, v1
	v_cmp_ne_u32_e32 vcc, 0, v1
	s_andn2_b64 s[6:7], s[6:7], exec
	s_and_b64 s[16:17], vcc, exec
	s_or_b64 s[6:7], s[6:7], s[16:17]
	s_or_b64 exec, exec, s[8:9]
	v_mov_b32_e32 v7, 0
	s_and_saveexec_b64 s[8:9], s[6:7]
	s_cbranch_execnz .LBB352_1787
	s_branch .LBB352_1788
.LBB352_2002:
	s_andn2_saveexec_b64 s[8:9], s[8:9]
	s_cbranch_execz .LBB352_1893
.LBB352_2003:
	v_add_f32_e32 v3, 0x46000000, v4
	v_and_b32_e32 v3, 0xff, v3
	v_cmp_ne_u32_e32 vcc, 0, v3
	s_andn2_b64 s[6:7], s[6:7], exec
	s_and_b64 s[18:19], vcc, exec
	s_or_b64 s[6:7], s[6:7], s[18:19]
	s_or_b64 exec, exec, s[8:9]
	v_mov_b32_e32 v5, 0
	s_and_saveexec_b64 s[8:9], s[6:7]
	s_cbranch_execnz .LBB352_1894
	s_branch .LBB352_1895
.LBB352_2004:
	s_mov_b64 s[2:3], 0
	s_or_b64 s[14:15], s[14:15], exec
	s_trap 2
	s_branch .LBB352_1939
.LBB352_2005:
	s_andn2_saveexec_b64 s[6:7], s[6:7]
	s_cbranch_execz .LBB352_1905
.LBB352_2006:
	v_add_f32_e32 v3, 0x42800000, v4
	v_and_b32_e32 v3, 0xff, v3
	v_cmp_ne_u32_e32 vcc, 0, v3
	s_andn2_b64 s[4:5], s[4:5], exec
	s_and_b64 s[8:9], vcc, exec
	s_or_b64 s[4:5], s[4:5], s[8:9]
	s_or_b64 exec, exec, s[6:7]
	v_mov_b32_e32 v5, 0
	s_and_saveexec_b64 s[6:7], s[4:5]
	s_cbranch_execnz .LBB352_1906
	s_branch .LBB352_1907
	.section	.rodata,"a",@progbits
	.p2align	6, 0x0
	.amdhsa_kernel _ZN2at6native32elementwise_kernel_manual_unrollILi128ELi4EZNS0_15gpu_kernel_implIZZZNS0_21clamp_min_kernel_cudaERNS_18TensorIteratorBaseERKN3c106ScalarEENKUlvE_clEvENKUlvE_clEvEUlhE_EEvS4_RKT_EUlibE_EEviT1_
		.amdhsa_group_segment_fixed_size 0
		.amdhsa_private_segment_fixed_size 0
		.amdhsa_kernarg_size 40
		.amdhsa_user_sgpr_count 2
		.amdhsa_user_sgpr_dispatch_ptr 0
		.amdhsa_user_sgpr_queue_ptr 0
		.amdhsa_user_sgpr_kernarg_segment_ptr 1
		.amdhsa_user_sgpr_dispatch_id 0
		.amdhsa_user_sgpr_kernarg_preload_length 0
		.amdhsa_user_sgpr_kernarg_preload_offset 0
		.amdhsa_user_sgpr_private_segment_size 0
		.amdhsa_uses_dynamic_stack 0
		.amdhsa_enable_private_segment 0
		.amdhsa_system_sgpr_workgroup_id_x 1
		.amdhsa_system_sgpr_workgroup_id_y 0
		.amdhsa_system_sgpr_workgroup_id_z 0
		.amdhsa_system_sgpr_workgroup_info 0
		.amdhsa_system_vgpr_workitem_id 0
		.amdhsa_next_free_vgpr 16
		.amdhsa_next_free_sgpr 48
		.amdhsa_accum_offset 16
		.amdhsa_reserve_vcc 1
		.amdhsa_float_round_mode_32 0
		.amdhsa_float_round_mode_16_64 0
		.amdhsa_float_denorm_mode_32 3
		.amdhsa_float_denorm_mode_16_64 3
		.amdhsa_dx10_clamp 1
		.amdhsa_ieee_mode 1
		.amdhsa_fp16_overflow 0
		.amdhsa_tg_split 0
		.amdhsa_exception_fp_ieee_invalid_op 0
		.amdhsa_exception_fp_denorm_src 0
		.amdhsa_exception_fp_ieee_div_zero 0
		.amdhsa_exception_fp_ieee_overflow 0
		.amdhsa_exception_fp_ieee_underflow 0
		.amdhsa_exception_fp_ieee_inexact 0
		.amdhsa_exception_int_div_zero 0
	.end_amdhsa_kernel
	.section	.text._ZN2at6native32elementwise_kernel_manual_unrollILi128ELi4EZNS0_15gpu_kernel_implIZZZNS0_21clamp_min_kernel_cudaERNS_18TensorIteratorBaseERKN3c106ScalarEENKUlvE_clEvENKUlvE_clEvEUlhE_EEvS4_RKT_EUlibE_EEviT1_,"axG",@progbits,_ZN2at6native32elementwise_kernel_manual_unrollILi128ELi4EZNS0_15gpu_kernel_implIZZZNS0_21clamp_min_kernel_cudaERNS_18TensorIteratorBaseERKN3c106ScalarEENKUlvE_clEvENKUlvE_clEvEUlhE_EEvS4_RKT_EUlibE_EEviT1_,comdat
.Lfunc_end352:
	.size	_ZN2at6native32elementwise_kernel_manual_unrollILi128ELi4EZNS0_15gpu_kernel_implIZZZNS0_21clamp_min_kernel_cudaERNS_18TensorIteratorBaseERKN3c106ScalarEENKUlvE_clEvENKUlvE_clEvEUlhE_EEvS4_RKT_EUlibE_EEviT1_, .Lfunc_end352-_ZN2at6native32elementwise_kernel_manual_unrollILi128ELi4EZNS0_15gpu_kernel_implIZZZNS0_21clamp_min_kernel_cudaERNS_18TensorIteratorBaseERKN3c106ScalarEENKUlvE_clEvENKUlvE_clEvEUlhE_EEvS4_RKT_EUlibE_EEviT1_
                                        ; -- End function
	.set _ZN2at6native32elementwise_kernel_manual_unrollILi128ELi4EZNS0_15gpu_kernel_implIZZZNS0_21clamp_min_kernel_cudaERNS_18TensorIteratorBaseERKN3c106ScalarEENKUlvE_clEvENKUlvE_clEvEUlhE_EEvS4_RKT_EUlibE_EEviT1_.num_vgpr, 16
	.set _ZN2at6native32elementwise_kernel_manual_unrollILi128ELi4EZNS0_15gpu_kernel_implIZZZNS0_21clamp_min_kernel_cudaERNS_18TensorIteratorBaseERKN3c106ScalarEENKUlvE_clEvENKUlvE_clEvEUlhE_EEvS4_RKT_EUlibE_EEviT1_.num_agpr, 0
	.set _ZN2at6native32elementwise_kernel_manual_unrollILi128ELi4EZNS0_15gpu_kernel_implIZZZNS0_21clamp_min_kernel_cudaERNS_18TensorIteratorBaseERKN3c106ScalarEENKUlvE_clEvENKUlvE_clEvEUlhE_EEvS4_RKT_EUlibE_EEviT1_.numbered_sgpr, 48
	.set _ZN2at6native32elementwise_kernel_manual_unrollILi128ELi4EZNS0_15gpu_kernel_implIZZZNS0_21clamp_min_kernel_cudaERNS_18TensorIteratorBaseERKN3c106ScalarEENKUlvE_clEvENKUlvE_clEvEUlhE_EEvS4_RKT_EUlibE_EEviT1_.num_named_barrier, 0
	.set _ZN2at6native32elementwise_kernel_manual_unrollILi128ELi4EZNS0_15gpu_kernel_implIZZZNS0_21clamp_min_kernel_cudaERNS_18TensorIteratorBaseERKN3c106ScalarEENKUlvE_clEvENKUlvE_clEvEUlhE_EEvS4_RKT_EUlibE_EEviT1_.private_seg_size, 0
	.set _ZN2at6native32elementwise_kernel_manual_unrollILi128ELi4EZNS0_15gpu_kernel_implIZZZNS0_21clamp_min_kernel_cudaERNS_18TensorIteratorBaseERKN3c106ScalarEENKUlvE_clEvENKUlvE_clEvEUlhE_EEvS4_RKT_EUlibE_EEviT1_.uses_vcc, 1
	.set _ZN2at6native32elementwise_kernel_manual_unrollILi128ELi4EZNS0_15gpu_kernel_implIZZZNS0_21clamp_min_kernel_cudaERNS_18TensorIteratorBaseERKN3c106ScalarEENKUlvE_clEvENKUlvE_clEvEUlhE_EEvS4_RKT_EUlibE_EEviT1_.uses_flat_scratch, 0
	.set _ZN2at6native32elementwise_kernel_manual_unrollILi128ELi4EZNS0_15gpu_kernel_implIZZZNS0_21clamp_min_kernel_cudaERNS_18TensorIteratorBaseERKN3c106ScalarEENKUlvE_clEvENKUlvE_clEvEUlhE_EEvS4_RKT_EUlibE_EEviT1_.has_dyn_sized_stack, 0
	.set _ZN2at6native32elementwise_kernel_manual_unrollILi128ELi4EZNS0_15gpu_kernel_implIZZZNS0_21clamp_min_kernel_cudaERNS_18TensorIteratorBaseERKN3c106ScalarEENKUlvE_clEvENKUlvE_clEvEUlhE_EEvS4_RKT_EUlibE_EEviT1_.has_recursion, 0
	.set _ZN2at6native32elementwise_kernel_manual_unrollILi128ELi4EZNS0_15gpu_kernel_implIZZZNS0_21clamp_min_kernel_cudaERNS_18TensorIteratorBaseERKN3c106ScalarEENKUlvE_clEvENKUlvE_clEvEUlhE_EEvS4_RKT_EUlibE_EEviT1_.has_indirect_call, 0
	.section	.AMDGPU.csdata,"",@progbits
; Kernel info:
; codeLenInByte = 32928
; TotalNumSgprs: 54
; NumVgprs: 16
; NumAgprs: 0
; TotalNumVgprs: 16
; ScratchSize: 0
; MemoryBound: 1
; FloatMode: 240
; IeeeMode: 1
; LDSByteSize: 0 bytes/workgroup (compile time only)
; SGPRBlocks: 6
; VGPRBlocks: 1
; NumSGPRsForWavesPerEU: 54
; NumVGPRsForWavesPerEU: 16
; AccumOffset: 16
; Occupancy: 8
; WaveLimiterHint : 0
; COMPUTE_PGM_RSRC2:SCRATCH_EN: 0
; COMPUTE_PGM_RSRC2:USER_SGPR: 2
; COMPUTE_PGM_RSRC2:TRAP_HANDLER: 0
; COMPUTE_PGM_RSRC2:TGID_X_EN: 1
; COMPUTE_PGM_RSRC2:TGID_Y_EN: 0
; COMPUTE_PGM_RSRC2:TGID_Z_EN: 0
; COMPUTE_PGM_RSRC2:TIDIG_COMP_CNT: 0
; COMPUTE_PGM_RSRC3_GFX90A:ACCUM_OFFSET: 3
; COMPUTE_PGM_RSRC3_GFX90A:TG_SPLIT: 0
	.section	.text._ZN2at6native32elementwise_kernel_manual_unrollILi128ELi4EZNS0_15gpu_kernel_implIZZZNS0_21clamp_min_kernel_cudaERNS_18TensorIteratorBaseERKN3c106ScalarEENKUlvE_clEvENKUlvE_clEvEUlhE_EEvS4_RKT_EUlibE0_EEviT1_,"axG",@progbits,_ZN2at6native32elementwise_kernel_manual_unrollILi128ELi4EZNS0_15gpu_kernel_implIZZZNS0_21clamp_min_kernel_cudaERNS_18TensorIteratorBaseERKN3c106ScalarEENKUlvE_clEvENKUlvE_clEvEUlhE_EEvS4_RKT_EUlibE0_EEviT1_,comdat
	.globl	_ZN2at6native32elementwise_kernel_manual_unrollILi128ELi4EZNS0_15gpu_kernel_implIZZZNS0_21clamp_min_kernel_cudaERNS_18TensorIteratorBaseERKN3c106ScalarEENKUlvE_clEvENKUlvE_clEvEUlhE_EEvS4_RKT_EUlibE0_EEviT1_ ; -- Begin function _ZN2at6native32elementwise_kernel_manual_unrollILi128ELi4EZNS0_15gpu_kernel_implIZZZNS0_21clamp_min_kernel_cudaERNS_18TensorIteratorBaseERKN3c106ScalarEENKUlvE_clEvENKUlvE_clEvEUlhE_EEvS4_RKT_EUlibE0_EEviT1_
	.p2align	8
	.type	_ZN2at6native32elementwise_kernel_manual_unrollILi128ELi4EZNS0_15gpu_kernel_implIZZZNS0_21clamp_min_kernel_cudaERNS_18TensorIteratorBaseERKN3c106ScalarEENKUlvE_clEvENKUlvE_clEvEUlhE_EEvS4_RKT_EUlibE0_EEviT1_,@function
_ZN2at6native32elementwise_kernel_manual_unrollILi128ELi4EZNS0_15gpu_kernel_implIZZZNS0_21clamp_min_kernel_cudaERNS_18TensorIteratorBaseERKN3c106ScalarEENKUlvE_clEvENKUlvE_clEvEUlhE_EEvS4_RKT_EUlibE0_EEviT1_: ; @_ZN2at6native32elementwise_kernel_manual_unrollILi128ELi4EZNS0_15gpu_kernel_implIZZZNS0_21clamp_min_kernel_cudaERNS_18TensorIteratorBaseERKN3c106ScalarEENKUlvE_clEvENKUlvE_clEvEUlhE_EEvS4_RKT_EUlibE0_EEviT1_
; %bb.0:
	s_load_dword s70, s[0:1], 0x0
	s_load_dword s33, s[0:1], 0x8
	s_add_u32 s34, s0, 8
	s_addc_u32 s35, s1, 0
	v_lshl_or_b32 v12, s2, 9, v0
	v_or_b32_e32 v16, 0x180, v12
	s_waitcnt lgkmcnt(0)
	s_add_i32 s72, s33, -1
	s_cmp_gt_u32 s72, 1
	v_cmp_le_i32_e32 vcc, s70, v16
	s_cselect_b64 s[42:43], -1, 0
	s_mov_b64 s[40:41], 0
	s_mov_b64 s[24:25], 0
	s_and_saveexec_b64 s[2:3], vcc
	s_xor_b64 s[44:45], exec, s[2:3]
	s_cbranch_execz .LBB353_1074
; %bb.1:
	s_load_dwordx4 s[24:27], s[34:35], 0x4
	s_load_dwordx2 s[46:47], s[34:35], 0x14
	s_load_dword s74, s[34:35], 0x158
	s_cmp_lg_u32 s33, 0
	s_load_dwordx4 s[28:31], s[34:35], 0xc4
	s_load_dwordx4 s[20:23], s[34:35], 0x148
	s_cselect_b64 s[52:53], -1, 0
	s_add_u32 s50, s34, 0xc4
	s_addc_u32 s51, s35, 0
	s_min_u32 s76, s72, 15
	s_cmp_gt_u32 s33, 1
	s_cselect_b64 s[48:49], -1, 0
	s_waitcnt lgkmcnt(0)
	s_lshr_b32 s73, s74, 8
	s_lshr_b32 s75, s74, 16
	v_cmp_gt_i32_e32 vcc, s70, v12
	s_mov_b64 s[4:5], -1
	s_mov_b64 s[62:63], 0
	s_mov_b64 s[56:57], 0
	;; [unrolled: 1-line block ×3, first 2 shown]
	s_and_saveexec_b64 s[58:59], vcc
	s_cbranch_execz .LBB353_263
; %bb.2:
	s_andn2_b64 vcc, exec, s[42:43]
	s_cbranch_vccnz .LBB353_8
; %bb.3:
	s_andn2_b64 vcc, exec, s[52:53]
	s_cbranch_vccnz .LBB353_9
; %bb.4:
	s_add_i32 s57, s76, 1
	s_cmp_eq_u32 s72, 2
	s_cbranch_scc1 .LBB353_10
; %bb.5:
	s_and_b32 s56, s57, 28
	s_mov_b32 s60, 0
	v_mov_b32_e32 v0, 0
	v_mov_b32_e32 v2, 0
	s_mov_b64 s[2:3], s[34:35]
	s_mov_b64 s[54:55], s[50:51]
	v_mov_b32_e32 v4, v12
.LBB353_6:                              ; =>This Inner Loop Header: Depth=1
	s_load_dwordx8 s[12:19], s[2:3], 0x4
	s_load_dwordx4 s[36:39], s[2:3], 0x24
	s_load_dwordx8 s[4:11], s[54:55], 0x0
	s_add_u32 s2, s2, 48
	s_addc_u32 s3, s3, 0
	s_waitcnt lgkmcnt(0)
	v_mul_hi_u32 v1, s13, v4
	v_add_u32_e32 v1, v4, v1
	v_lshrrev_b32_e32 v1, s14, v1
	v_mul_lo_u32 v3, v1, s12
	v_mul_hi_u32 v5, s16, v1
	v_sub_u32_e32 v3, v4, v3
	v_add_u32_e32 v4, v1, v5
	v_lshrrev_b32_e32 v4, s17, v4
	v_mul_lo_u32 v6, v4, s15
	v_mul_hi_u32 v7, s19, v4
	v_sub_u32_e32 v1, v1, v6
	v_add_u32_e32 v6, v4, v7
	v_mul_lo_u32 v5, v3, s5
	v_mul_lo_u32 v3, v3, s4
	;; [unrolled: 1-line block ×4, first 2 shown]
	v_lshrrev_b32_e32 v6, s36, v6
	v_add3_u32 v0, v3, v0, v1
	v_mul_hi_u32 v3, s38, v6
	v_add3_u32 v1, v5, v2, v7
	v_mul_lo_u32 v2, v6, s18
	v_add_u32_e32 v3, v6, v3
	v_sub_u32_e32 v2, v4, v2
	v_lshrrev_b32_e32 v4, s39, v3
	s_add_i32 s60, s60, 4
	v_mul_lo_u32 v3, v4, s37
	s_add_u32 s54, s54, 32
	v_sub_u32_e32 v3, v6, v3
	s_addc_u32 s55, s55, 0
	v_mul_lo_u32 v5, v2, s8
	v_mul_lo_u32 v2, v2, s9
	;; [unrolled: 1-line block ×4, first 2 shown]
	s_cmp_lg_u32 s56, s60
	v_add3_u32 v2, v2, v1, v3
	v_add3_u32 v0, v5, v0, v6
	s_cbranch_scc1 .LBB353_6
; %bb.7:
	v_mov_b32_e32 v1, v2
	s_branch .LBB353_11
.LBB353_8:
                                        ; implicit-def: $vgpr2
                                        ; implicit-def: $vgpr0
	s_branch .LBB353_15
.LBB353_9:
	v_mov_b32_e32 v2, 0
	v_mov_b32_e32 v0, 0
	s_branch .LBB353_14
.LBB353_10:
	v_mov_b32_e32 v0, 0
	s_mov_b32 s56, 0
	v_mov_b32_e32 v1, v0
                                        ; implicit-def: $vgpr2
	v_mov_b32_e32 v4, v12
.LBB353_11:
	s_and_b32 s6, s57, 3
	s_cmp_eq_u32 s6, 0
	s_cbranch_scc1 .LBB353_14
; %bb.12:
	s_lshl_b32 s2, s56, 3
	s_add_u32 s2, s34, s2
	s_addc_u32 s3, s35, 0
	s_add_u32 s2, s2, 0xc4
	s_addc_u32 s3, s3, 0
	s_mul_i32 s4, s56, 12
	s_add_u32 s4, s34, s4
	s_addc_u32 s5, s35, 0
.LBB353_13:                             ; =>This Inner Loop Header: Depth=1
	s_load_dwordx2 s[8:9], s[4:5], 0x4
	s_load_dword s7, s[4:5], 0xc
	s_load_dwordx2 s[10:11], s[2:3], 0x0
	v_mov_b32_e32 v2, v1
	s_add_u32 s4, s4, 12
	s_waitcnt lgkmcnt(0)
	v_mul_hi_u32 v1, s9, v4
	v_add_u32_e32 v1, v4, v1
	v_lshrrev_b32_e32 v1, s7, v1
	s_addc_u32 s5, s5, 0
	v_mul_lo_u32 v3, v1, s8
	s_add_u32 s2, s2, 8
	v_sub_u32_e32 v5, v4, v3
	s_addc_u32 s3, s3, 0
	s_add_i32 s6, s6, -1
	v_mov_b32_e32 v4, v1
	v_mad_u64_u32 v[2:3], s[8:9], v5, s11, v[2:3]
	v_mad_u64_u32 v[0:1], s[8:9], v5, s10, v[0:1]
	s_cmp_lg_u32 s6, 0
	v_mov_b32_e32 v1, v2
	s_cbranch_scc1 .LBB353_13
.LBB353_14:
	s_cbranch_execnz .LBB353_17
.LBB353_15:
	v_mul_hi_u32 v0, s25, v12
	v_add_u32_e32 v0, v12, v0
	v_lshrrev_b32_e32 v1, s26, v0
	v_mul_lo_u32 v0, v1, s24
	v_sub_u32_e32 v0, v12, v0
	v_mul_lo_u32 v2, v0, s29
	s_andn2_b64 vcc, exec, s[48:49]
	v_mul_lo_u32 v0, v0, s28
	s_cbranch_vccnz .LBB353_17
; %bb.16:
	v_mul_hi_u32 v3, s46, v1
	v_add_u32_e32 v3, v1, v3
	v_lshrrev_b32_e32 v3, s47, v3
	v_mul_lo_u32 v3, v3, s27
	v_sub_u32_e32 v3, v1, v3
	v_mad_u64_u32 v[0:1], s[2:3], v3, s30, v[0:1]
	v_mad_u64_u32 v[2:3], s[2:3], v3, s31, v[2:3]
.LBB353_17:
	v_mov_b32_e32 v3, 0
	s_and_b32 s8, s75, 0xff
	s_cmp_lt_i32 s8, 11
	v_lshl_add_u64 v[2:3], s[22:23], 0, v[2:3]
	s_cbranch_scc1 .LBB353_24
; %bb.18:
	s_and_b32 s9, 0xffff, s8
	s_cmp_gt_i32 s9, 25
	s_cbranch_scc0 .LBB353_33
; %bb.19:
	s_cmp_gt_i32 s9, 28
	s_cbranch_scc0 .LBB353_36
; %bb.20:
	s_cmp_gt_i32 s9, 43
	s_cbranch_scc0 .LBB353_38
; %bb.21:
	s_cmp_gt_i32 s9, 45
	s_cbranch_scc0 .LBB353_40
; %bb.22:
	s_cmp_eq_u32 s9, 46
	s_mov_b64 s[6:7], 0
	s_cbranch_scc0 .LBB353_42
; %bb.23:
	global_load_dword v1, v[2:3], off
	s_mov_b32 s2, 0x2f800000
	s_mov_b32 s3, 0xcf800000
	s_mov_b64 s[4:5], 0
	s_waitcnt vmcnt(0)
	v_lshlrev_b32_e32 v1, 16, v1
	v_trunc_f32_e32 v1, v1
	v_mul_f32_e64 v4, |v1|, s2
	v_floor_f32_e32 v4, v4
	v_fma_f32 v4, v4, s3, |v1|
	v_cvt_u32_f32_e32 v4, v4
	v_ashrrev_i32_e32 v1, 31, v1
	s_mov_b64 s[2:3], -1
	v_xor_b32_e32 v4, v4, v1
	v_sub_u32_e32 v4, v4, v1
	s_branch .LBB353_44
.LBB353_24:
	s_mov_b64 s[4:5], 0
                                        ; implicit-def: $vgpr4
	s_mov_b64 s[2:3], 0
	s_cbranch_execnz .LBB353_213
.LBB353_25:
	s_andn2_b64 vcc, exec, s[2:3]
	s_cbranch_vccnz .LBB353_260
.LBB353_26:
	s_and_b32 s2, s74, 0xff
	v_mov_b32_e32 v1, 0
	s_and_b32 s12, s73, 0xff
	s_waitcnt vmcnt(0)
	v_max_u16_sdwa v2, v4, s2 dst_sel:DWORD dst_unused:UNUSED_PAD src0_sel:BYTE_0 src1_sel:DWORD
	s_cmp_lt_i32 s12, 11
	v_lshl_add_u64 v[0:1], s[20:21], 0, v[0:1]
	s_cbranch_scc1 .LBB353_34
; %bb.27:
	s_and_b32 s13, 0xffff, s12
	s_cmp_gt_i32 s13, 25
	s_cbranch_scc0 .LBB353_37
; %bb.28:
	s_cmp_gt_i32 s13, 28
	s_cbranch_scc0 .LBB353_39
; %bb.29:
	;; [unrolled: 3-line block ×4, first 2 shown]
	s_mov_b64 s[8:9], 0
	s_mov_b64 s[2:3], -1
	s_cmp_eq_u32 s13, 46
	s_mov_b64 s[6:7], 0
	s_cbranch_scc0 .LBB353_48
; %bb.32:
	v_cvt_f32_ubyte0_e32 v3, v2
	v_bfe_u32 v4, v3, 16, 1
	s_movk_i32 s2, 0x7fff
	v_add3_u32 v3, v3, v4, s2
	v_lshrrev_b32_e32 v3, 16, v3
	global_store_dword v[0:1], v3, off
	s_mov_b64 s[6:7], -1
	s_mov_b64 s[2:3], 0
	s_branch .LBB353_48
.LBB353_33:
	s_mov_b64 s[4:5], 0
	s_mov_b64 s[2:3], 0
                                        ; implicit-def: $vgpr4
	s_cbranch_execnz .LBB353_180
	s_branch .LBB353_212
.LBB353_34:
	s_mov_b64 s[2:3], 0
	s_mov_b64 s[6:7], 0
	s_cbranch_execnz .LBB353_117
.LBB353_35:
	s_andn2_b64 vcc, exec, s[6:7]
	s_cbranch_vccnz .LBB353_261
	s_branch .LBB353_155
.LBB353_36:
	s_mov_b64 s[6:7], -1
	s_mov_b64 s[4:5], 0
	s_mov_b64 s[2:3], 0
                                        ; implicit-def: $vgpr4
	s_branch .LBB353_163
.LBB353_37:
	s_mov_b64 s[8:9], -1
	s_mov_b64 s[2:3], 0
	s_mov_b64 s[6:7], 0
	s_branch .LBB353_75
.LBB353_38:
	s_mov_b64 s[6:7], -1
	s_mov_b64 s[4:5], 0
	s_mov_b64 s[2:3], 0
                                        ; implicit-def: $vgpr4
	s_branch .LBB353_158
.LBB353_39:
	s_mov_b64 s[8:9], -1
	s_mov_b64 s[2:3], 0
	s_mov_b64 s[6:7], 0
	s_branch .LBB353_58
.LBB353_40:
	s_mov_b64 s[6:7], -1
	s_mov_b64 s[4:5], 0
	s_branch .LBB353_43
.LBB353_41:
	s_mov_b64 s[8:9], -1
	s_mov_b64 s[2:3], 0
	s_mov_b64 s[6:7], 0
	s_branch .LBB353_54
.LBB353_42:
	s_mov_b64 s[4:5], -1
.LBB353_43:
	s_mov_b64 s[2:3], 0
                                        ; implicit-def: $vgpr4
.LBB353_44:
	s_and_b64 vcc, exec, s[6:7]
	s_cbranch_vccz .LBB353_157
; %bb.45:
	s_cmp_eq_u32 s9, 44
	s_cbranch_scc0 .LBB353_156
; %bb.46:
	global_load_ubyte v1, v[2:3], off
	s_mov_b32 s2, 0x2f800000
	s_mov_b32 s3, 0xcf800000
	s_mov_b64 s[4:5], 0
	s_waitcnt vmcnt(0)
	v_lshlrev_b32_e32 v4, 23, v1
	v_trunc_f32_e32 v4, v4
	v_mul_f32_e64 v5, |v4|, s2
	v_floor_f32_e32 v5, v5
	v_fma_f32 v5, v5, s3, |v4|
	v_cvt_u32_f32_e32 v5, v5
	v_ashrrev_i32_e32 v4, 31, v4
	v_cmp_ne_u32_e32 vcc, 0, v1
	s_mov_b64 s[2:3], -1
	v_xor_b32_e32 v5, v5, v4
	v_sub_u32_e32 v4, v5, v4
	v_cndmask_b32_e32 v4, 0, v4, vcc
	s_branch .LBB353_157
.LBB353_47:
	s_mov_b64 s[8:9], -1
	s_mov_b64 s[2:3], 0
	s_mov_b64 s[6:7], 0
.LBB353_48:
	s_and_b64 vcc, exec, s[8:9]
	s_cbranch_vccz .LBB353_53
; %bb.49:
	s_cmp_eq_u32 s13, 44
	s_mov_b64 s[2:3], -1
	s_cbranch_scc0 .LBB353_53
; %bb.50:
	v_cvt_f32_ubyte0_e32 v4, v2
	v_lshrrev_b32_e32 v3, 23, v4
	s_movk_i32 s2, 0xff
	v_cmp_ne_u32_e32 vcc, s2, v3
	v_mov_b32_e32 v5, 0xff
	s_and_saveexec_b64 s[6:7], vcc
; %bb.51:
	s_mov_b32 s2, 0x3fffff
	v_and_b32_e32 v5, 0x400000, v4
	v_and_or_b32 v4, v4, s2, v3
	v_cmp_ne_u32_e32 vcc, 0, v5
	v_cmp_ne_u32_e64 s[2:3], 0, v4
	s_and_b64 s[2:3], vcc, s[2:3]
	s_nop 0
	v_cndmask_b32_e64 v4, 0, 1, s[2:3]
	v_add_u32_e32 v5, v3, v4
; %bb.52:
	s_or_b64 exec, exec, s[6:7]
	s_mov_b64 s[6:7], -1
	s_mov_b64 s[2:3], 0
	global_store_byte v[0:1], v5, off
.LBB353_53:
	s_mov_b64 s[8:9], 0
.LBB353_54:
	s_and_b64 vcc, exec, s[8:9]
	s_cbranch_vccz .LBB353_57
; %bb.55:
	s_cmp_eq_u32 s13, 29
	s_mov_b64 s[2:3], -1
	s_cbranch_scc0 .LBB353_57
; %bb.56:
	s_mov_b32 s2, 0
	v_mov_b32_e32 v3, s2
	global_store_dwordx2 v[0:1], v[2:3], off
	s_mov_b64 s[6:7], -1
	s_mov_b64 s[2:3], 0
.LBB353_57:
	s_mov_b64 s[8:9], 0
.LBB353_58:
	s_and_b64 vcc, exec, s[8:9]
	s_cbranch_vccz .LBB353_74
; %bb.59:
	s_cmp_lt_i32 s13, 27
	s_mov_b64 s[6:7], -1
	s_cbranch_scc1 .LBB353_65
; %bb.60:
	s_cmp_gt_i32 s13, 27
	s_cbranch_scc0 .LBB353_62
; %bb.61:
	s_mov_b64 s[6:7], 0
	global_store_dword v[0:1], v2, off
.LBB353_62:
	s_andn2_b64 vcc, exec, s[6:7]
	s_cbranch_vccnz .LBB353_64
; %bb.63:
	global_store_short v[0:1], v2, off
.LBB353_64:
	s_mov_b64 s[6:7], 0
.LBB353_65:
	s_andn2_b64 vcc, exec, s[6:7]
	s_cbranch_vccnz .LBB353_73
; %bb.66:
	v_cvt_f32_ubyte0_e32 v4, v2
	s_mov_b32 s6, 0x43800000
	v_cmp_gt_u32_e32 vcc, s6, v4
	v_mov_b32_e32 v5, 0x80
	s_and_saveexec_b64 s[6:7], vcc
	s_cbranch_execz .LBB353_72
; %bb.67:
	s_mov_b32 s8, 0x3bffffff
	v_cmp_lt_u32_e32 vcc, s8, v4
	s_mov_b64 s[8:9], 0
                                        ; implicit-def: $vgpr3
	s_and_saveexec_b64 s[10:11], vcc
	s_xor_b64 s[10:11], exec, s[10:11]
	s_cbranch_execz .LBB353_305
; %bb.68:
	v_bfe_u32 v3, v4, 20, 1
	s_mov_b32 s14, 0x487ffff
	v_add3_u32 v3, v4, v3, s14
	s_mov_b64 s[8:9], exec
	v_lshrrev_b32_e32 v3, 20, v3
                                        ; implicit-def: $vgpr4
	s_andn2_saveexec_b64 s[10:11], s[10:11]
	s_cbranch_execnz .LBB353_306
.LBB353_69:
	s_or_b64 exec, exec, s[10:11]
	v_mov_b32_e32 v5, 0
	s_and_saveexec_b64 s[10:11], s[8:9]
.LBB353_70:
	v_mov_b32_e32 v5, v3
.LBB353_71:
	s_or_b64 exec, exec, s[10:11]
.LBB353_72:
	s_or_b64 exec, exec, s[6:7]
	global_store_byte v[0:1], v5, off
.LBB353_73:
	s_mov_b64 s[6:7], -1
.LBB353_74:
	s_mov_b64 s[8:9], 0
.LBB353_75:
	s_and_b64 vcc, exec, s[8:9]
	s_cbranch_vccz .LBB353_116
; %bb.76:
	s_cmp_gt_i32 s13, 22
	s_mov_b64 s[8:9], -1
	s_cbranch_scc0 .LBB353_108
; %bb.77:
	s_cmp_lt_i32 s13, 24
	s_mov_b64 s[6:7], -1
	s_cbranch_scc1 .LBB353_97
; %bb.78:
	s_cmp_gt_i32 s13, 24
	s_cbranch_scc0 .LBB353_86
; %bb.79:
	v_cvt_f32_ubyte0_e32 v4, v2
	s_mov_b32 s6, 0x47800000
	v_cmp_gt_u32_e32 vcc, s6, v4
	v_mov_b32_e32 v5, 0x80
	s_and_saveexec_b64 s[6:7], vcc
	s_cbranch_execz .LBB353_85
; %bb.80:
	s_mov_b32 s8, 0x37ffffff
	v_cmp_lt_u32_e32 vcc, s8, v4
	s_mov_b64 s[8:9], 0
                                        ; implicit-def: $vgpr3
	s_and_saveexec_b64 s[10:11], vcc
	s_xor_b64 s[10:11], exec, s[10:11]
	s_cbranch_execz .LBB353_309
; %bb.81:
	v_bfe_u32 v3, v4, 21, 1
	s_mov_b32 s14, 0x88fffff
	v_add3_u32 v3, v4, v3, s14
	s_mov_b64 s[8:9], exec
	v_lshrrev_b32_e32 v3, 21, v3
                                        ; implicit-def: $vgpr4
	s_andn2_saveexec_b64 s[10:11], s[10:11]
	s_cbranch_execnz .LBB353_310
.LBB353_82:
	s_or_b64 exec, exec, s[10:11]
	v_mov_b32_e32 v5, 0
	s_and_saveexec_b64 s[10:11], s[8:9]
.LBB353_83:
	v_mov_b32_e32 v5, v3
.LBB353_84:
	s_or_b64 exec, exec, s[10:11]
.LBB353_85:
	s_or_b64 exec, exec, s[6:7]
	s_mov_b64 s[6:7], 0
	global_store_byte v[0:1], v5, off
.LBB353_86:
	s_and_b64 vcc, exec, s[6:7]
	s_cbranch_vccz .LBB353_96
; %bb.87:
	v_cvt_f32_ubyte0_e32 v3, v2
	s_mov_b32 s6, 0x43f00000
	v_cmp_gt_u32_e32 vcc, s6, v3
                                        ; implicit-def: $vgpr4
	s_and_saveexec_b64 s[6:7], vcc
	s_xor_b64 s[6:7], exec, s[6:7]
	s_cbranch_execz .LBB353_93
; %bb.88:
	s_mov_b32 s8, 0x3c7fffff
	v_cmp_lt_u32_e32 vcc, s8, v3
                                        ; implicit-def: $vgpr4
	s_and_saveexec_b64 s[8:9], vcc
	s_xor_b64 s[8:9], exec, s[8:9]
; %bb.89:
	v_bfe_u32 v4, v3, 20, 1
	s_mov_b32 s10, 0x407ffff
	v_add3_u32 v3, v3, v4, s10
	v_lshrrev_b32_e32 v4, 20, v3
	v_and_b32_e32 v3, 0xff00000, v3
	s_mov_b32 s10, 0x7f00000
	v_mov_b32_e32 v5, 0x7e
	v_cmp_ne_u32_e32 vcc, s10, v3
                                        ; implicit-def: $vgpr3
	s_nop 1
	v_cndmask_b32_e32 v4, v5, v4, vcc
; %bb.90:
	s_andn2_saveexec_b64 s[8:9], s[8:9]
; %bb.91:
	v_add_f32_e32 v4, 0x46800000, v3
; %bb.92:
	s_or_b64 exec, exec, s[8:9]
                                        ; implicit-def: $vgpr3
.LBB353_93:
	s_andn2_saveexec_b64 s[6:7], s[6:7]
; %bb.94:
	s_mov_b32 s8, 0x7f800000
	v_mov_b32_e32 v4, 0x7e
	v_mov_b32_e32 v5, 0x7f
	v_cmp_lt_u32_e32 vcc, s8, v3
	s_nop 1
	v_cndmask_b32_e32 v4, v4, v5, vcc
; %bb.95:
	s_or_b64 exec, exec, s[6:7]
	global_store_byte v[0:1], v4, off
.LBB353_96:
	s_mov_b64 s[6:7], 0
.LBB353_97:
	s_andn2_b64 vcc, exec, s[6:7]
	s_cbranch_vccnz .LBB353_107
; %bb.98:
	v_cvt_f32_ubyte0_e32 v3, v2
	s_mov_b32 s6, 0x47800000
	v_cmp_gt_u32_e32 vcc, s6, v3
                                        ; implicit-def: $vgpr4
	s_and_saveexec_b64 s[6:7], vcc
	s_xor_b64 s[6:7], exec, s[6:7]
	s_cbranch_execz .LBB353_104
; %bb.99:
	s_mov_b32 s8, 0x387fffff
	v_cmp_lt_u32_e32 vcc, s8, v3
                                        ; implicit-def: $vgpr4
	s_and_saveexec_b64 s[8:9], vcc
	s_xor_b64 s[8:9], exec, s[8:9]
; %bb.100:
	v_bfe_u32 v4, v3, 21, 1
	s_mov_b32 s10, 0x80fffff
	v_add3_u32 v3, v3, v4, s10
	v_lshrrev_b32_e32 v4, 21, v3
                                        ; implicit-def: $vgpr3
; %bb.101:
	s_andn2_saveexec_b64 s[8:9], s[8:9]
; %bb.102:
	v_add_f32_e32 v4, 0x43000000, v3
; %bb.103:
	s_or_b64 exec, exec, s[8:9]
                                        ; implicit-def: $vgpr3
.LBB353_104:
	s_andn2_saveexec_b64 s[6:7], s[6:7]
; %bb.105:
	s_mov_b32 s8, 0x7f800000
	v_mov_b32_e32 v4, 0x7c
	v_mov_b32_e32 v5, 0x7f
	v_cmp_lt_u32_e32 vcc, s8, v3
	s_nop 1
	v_cndmask_b32_e32 v4, v4, v5, vcc
; %bb.106:
	s_or_b64 exec, exec, s[6:7]
	global_store_byte v[0:1], v4, off
.LBB353_107:
	s_mov_b64 s[8:9], 0
	s_mov_b64 s[6:7], -1
.LBB353_108:
	s_andn2_b64 vcc, exec, s[8:9]
	s_cbranch_vccnz .LBB353_116
; %bb.109:
	s_cmp_gt_i32 s13, 14
	s_mov_b64 s[8:9], -1
	s_cbranch_scc0 .LBB353_113
; %bb.110:
	s_cmp_eq_u32 s13, 15
	s_mov_b64 s[2:3], -1
	s_cbranch_scc0 .LBB353_112
; %bb.111:
	v_cvt_f32_ubyte0_e32 v3, v2
	v_bfe_u32 v4, v3, 16, 1
	s_movk_i32 s2, 0x7fff
	v_add3_u32 v3, v3, v4, s2
	global_store_short_d16_hi v[0:1], v3, off
	s_mov_b64 s[6:7], -1
	s_mov_b64 s[2:3], 0
.LBB353_112:
	s_mov_b64 s[8:9], 0
.LBB353_113:
	s_and_b64 vcc, exec, s[8:9]
	s_cbranch_vccz .LBB353_116
; %bb.114:
	s_cmp_eq_u32 s13, 11
	s_mov_b64 s[2:3], -1
	s_cbranch_scc0 .LBB353_116
; %bb.115:
	v_cmp_ne_u16_e32 vcc, 0, v2
	s_mov_b64 s[6:7], -1
	s_mov_b64 s[2:3], 0
	v_cndmask_b32_e64 v3, 0, 1, vcc
	global_store_byte v[0:1], v3, off
.LBB353_116:
	s_branch .LBB353_35
.LBB353_117:
	s_and_b32 s8, 0xffff, s12
	s_cmp_lt_i32 s8, 5
	s_mov_b64 s[6:7], -1
	s_cbranch_scc1 .LBB353_138
; %bb.118:
	s_cmp_lt_i32 s8, 8
	s_cbranch_scc1 .LBB353_128
; %bb.119:
	s_cmp_lt_i32 s8, 9
	s_cbranch_scc1 .LBB353_125
; %bb.120:
	s_cmp_gt_i32 s8, 9
	s_cbranch_scc0 .LBB353_122
; %bb.121:
	v_mov_b32_e32 v6, 0
	v_cvt_f64_u32_e32 v[4:5], v2
	v_mov_b32_e32 v7, v6
	global_store_dwordx4 v[0:1], v[4:7], off
	s_mov_b64 s[6:7], 0
.LBB353_122:
	s_andn2_b64 vcc, exec, s[6:7]
	s_cbranch_vccnz .LBB353_124
; %bb.123:
	v_cvt_f32_ubyte0_e32 v4, v2
	v_mov_b32_e32 v5, 0
	global_store_dwordx2 v[0:1], v[4:5], off
.LBB353_124:
	s_mov_b64 s[6:7], 0
.LBB353_125:
	s_andn2_b64 vcc, exec, s[6:7]
	s_cbranch_vccnz .LBB353_127
; %bb.126:
	v_cvt_f16_u16_e32 v3, v2
	global_store_dword v[0:1], v3, off
.LBB353_127:
	s_mov_b64 s[6:7], 0
.LBB353_128:
	s_andn2_b64 vcc, exec, s[6:7]
	s_cbranch_vccnz .LBB353_137
; %bb.129:
	s_cmp_lt_i32 s8, 6
	s_mov_b64 s[6:7], -1
	s_cbranch_scc1 .LBB353_135
; %bb.130:
	s_cmp_gt_i32 s8, 6
	s_cbranch_scc0 .LBB353_132
; %bb.131:
	v_cvt_f64_u32_e32 v[4:5], v2
	global_store_dwordx2 v[0:1], v[4:5], off
	s_mov_b64 s[6:7], 0
.LBB353_132:
	s_andn2_b64 vcc, exec, s[6:7]
	s_cbranch_vccnz .LBB353_134
; %bb.133:
	v_cvt_f32_ubyte0_e32 v3, v2
	global_store_dword v[0:1], v3, off
.LBB353_134:
	s_mov_b64 s[6:7], 0
.LBB353_135:
	s_andn2_b64 vcc, exec, s[6:7]
	s_cbranch_vccnz .LBB353_137
; %bb.136:
	v_cvt_f16_u16_e32 v3, v2
	global_store_short v[0:1], v3, off
.LBB353_137:
	s_mov_b64 s[6:7], 0
.LBB353_138:
	s_andn2_b64 vcc, exec, s[6:7]
	s_cbranch_vccnz .LBB353_154
; %bb.139:
	s_cmp_lt_i32 s8, 2
	s_mov_b64 s[6:7], -1
	s_cbranch_scc1 .LBB353_149
; %bb.140:
	s_cmp_lt_i32 s8, 3
	s_cbranch_scc1 .LBB353_146
; %bb.141:
	s_cmp_gt_i32 s8, 3
	s_cbranch_scc0 .LBB353_143
; %bb.142:
	s_mov_b32 s6, 0
	v_mov_b32_e32 v3, s6
	global_store_dwordx2 v[0:1], v[2:3], off
	s_mov_b64 s[6:7], 0
.LBB353_143:
	s_andn2_b64 vcc, exec, s[6:7]
	s_cbranch_vccnz .LBB353_145
; %bb.144:
	global_store_dword v[0:1], v2, off
.LBB353_145:
	s_mov_b64 s[6:7], 0
.LBB353_146:
	s_andn2_b64 vcc, exec, s[6:7]
	s_cbranch_vccnz .LBB353_148
; %bb.147:
	global_store_short v[0:1], v2, off
.LBB353_148:
	s_mov_b64 s[6:7], 0
.LBB353_149:
	s_andn2_b64 vcc, exec, s[6:7]
	s_cbranch_vccnz .LBB353_154
; %bb.150:
	s_cmp_gt_i32 s8, 0
	s_mov_b64 s[6:7], -1
	s_cbranch_scc0 .LBB353_152
; %bb.151:
	global_store_byte v[0:1], v2, off
	s_mov_b64 s[6:7], 0
.LBB353_152:
	s_andn2_b64 vcc, exec, s[6:7]
	s_cbranch_vccnz .LBB353_154
; %bb.153:
	global_store_byte v[0:1], v2, off
.LBB353_154:
.LBB353_155:
	v_add_u32_e32 v12, 0x80, v12
	s_mov_b64 s[6:7], -1
	s_branch .LBB353_262
.LBB353_156:
	s_mov_b64 s[4:5], -1
                                        ; implicit-def: $vgpr4
.LBB353_157:
	s_mov_b64 s[6:7], 0
.LBB353_158:
	s_and_b64 vcc, exec, s[6:7]
	s_cbranch_vccz .LBB353_162
; %bb.159:
	s_cmp_eq_u32 s9, 29
	s_cbranch_scc0 .LBB353_161
; %bb.160:
	global_load_dwordx2 v[4:5], v[2:3], off
	s_mov_b64 s[2:3], -1
	s_mov_b64 s[4:5], 0
	s_branch .LBB353_162
.LBB353_161:
	s_mov_b64 s[4:5], -1
                                        ; implicit-def: $vgpr4
.LBB353_162:
	s_mov_b64 s[6:7], 0
.LBB353_163:
	s_and_b64 vcc, exec, s[6:7]
	s_cbranch_vccz .LBB353_179
; %bb.164:
	s_cmp_lt_i32 s9, 27
	s_cbranch_scc1 .LBB353_167
; %bb.165:
	s_cmp_gt_i32 s9, 27
	s_cbranch_scc0 .LBB353_168
; %bb.166:
	global_load_dword v4, v[2:3], off
	s_mov_b64 s[2:3], 0
	s_branch .LBB353_169
.LBB353_167:
	s_mov_b64 s[2:3], -1
                                        ; implicit-def: $vgpr4
	s_branch .LBB353_172
.LBB353_168:
	s_mov_b64 s[2:3], -1
                                        ; implicit-def: $vgpr4
.LBB353_169:
	s_andn2_b64 vcc, exec, s[2:3]
	s_cbranch_vccnz .LBB353_171
; %bb.170:
	global_load_ushort v4, v[2:3], off
.LBB353_171:
	s_mov_b64 s[2:3], 0
.LBB353_172:
	s_andn2_b64 vcc, exec, s[2:3]
	s_cbranch_vccnz .LBB353_178
; %bb.173:
	global_load_ubyte v1, v[2:3], off
	s_movk_i32 s2, 0x7f
	s_mov_b64 s[6:7], 0
	s_waitcnt vmcnt(0)
	v_cmp_lt_i16_e32 vcc, s2, v1
	s_and_saveexec_b64 s[2:3], vcc
	s_xor_b64 s[2:3], exec, s[2:3]
	s_cbranch_execz .LBB353_189
; %bb.174:
	s_movk_i32 s6, 0x80
	v_cmp_ne_u16_e32 vcc, s6, v1
	s_and_b64 s[6:7], vcc, exec
	s_andn2_saveexec_b64 s[2:3], s[2:3]
	s_cbranch_execnz .LBB353_190
.LBB353_175:
	s_or_b64 exec, exec, s[2:3]
	v_mov_b32_e32 v4, 0
	s_and_saveexec_b64 s[2:3], s[6:7]
	s_cbranch_execz .LBB353_177
.LBB353_176:
	v_lshlrev_b32_e32 v4, 24, v1
	v_and_b32_e32 v1, 0xffff, v1
	v_and_b32_e32 v5, 7, v1
	v_ffbh_u32_e32 v7, v5
	v_min_u32_e32 v7, 32, v7
	v_subrev_u32_e32 v8, 28, v7
	v_bfe_u32 v6, v1, 3, 4
	v_lshlrev_b32_e32 v1, v8, v1
	v_sub_u32_e32 v7, 29, v7
	v_and_b32_e32 v1, 7, v1
	v_cmp_eq_u32_e32 vcc, 0, v6
	v_and_b32_e32 v4, 0x80000000, v4
	s_mov_b32 s6, 0x2f800000
	v_cndmask_b32_e32 v6, v6, v7, vcc
	v_cndmask_b32_e32 v1, v5, v1, vcc
	v_mov_b32_e32 v5, 0x3b800000
	v_lshlrev_b32_e32 v1, 20, v1
	v_lshl_add_u32 v5, v6, 23, v5
	v_or3_b32 v1, v4, v5, v1
	v_trunc_f32_e32 v1, v1
	v_mul_f32_e64 v4, |v1|, s6
	v_floor_f32_e32 v4, v4
	s_mov_b32 s6, 0xcf800000
	v_fma_f32 v4, v4, s6, |v1|
	v_cvt_u32_f32_e32 v4, v4
	v_ashrrev_i32_e32 v1, 31, v1
	v_xor_b32_e32 v4, v4, v1
	v_sub_u32_e32 v4, v4, v1
.LBB353_177:
	s_or_b64 exec, exec, s[2:3]
.LBB353_178:
	s_mov_b64 s[2:3], -1
.LBB353_179:
	s_branch .LBB353_212
.LBB353_180:
	s_cmp_gt_i32 s9, 22
	s_cbranch_scc0 .LBB353_188
; %bb.181:
	s_cmp_lt_i32 s9, 24
	s_cbranch_scc1 .LBB353_191
; %bb.182:
	s_cmp_gt_i32 s9, 24
	s_cbranch_scc0 .LBB353_192
; %bb.183:
	global_load_ubyte v1, v[2:3], off
	s_movk_i32 s2, 0x7f
	s_mov_b64 s[6:7], 0
	s_waitcnt vmcnt(0)
	v_cmp_lt_i16_e32 vcc, s2, v1
	s_and_saveexec_b64 s[2:3], vcc
	s_xor_b64 s[2:3], exec, s[2:3]
	s_cbranch_execz .LBB353_204
; %bb.184:
	s_movk_i32 s6, 0x80
	v_cmp_ne_u16_e32 vcc, s6, v1
	s_and_b64 s[6:7], vcc, exec
	s_andn2_saveexec_b64 s[2:3], s[2:3]
	s_cbranch_execnz .LBB353_205
.LBB353_185:
	s_or_b64 exec, exec, s[2:3]
	v_mov_b32_e32 v4, 0
	s_and_saveexec_b64 s[2:3], s[6:7]
	s_cbranch_execz .LBB353_187
.LBB353_186:
	v_lshlrev_b32_e32 v4, 24, v1
	v_and_b32_e32 v1, 0xffff, v1
	v_and_b32_e32 v5, 3, v1
	v_ffbh_u32_e32 v7, v5
	v_min_u32_e32 v7, 32, v7
	v_subrev_u32_e32 v8, 29, v7
	v_bfe_u32 v6, v1, 2, 5
	v_lshlrev_b32_e32 v1, v8, v1
	v_sub_u32_e32 v7, 30, v7
	v_and_b32_e32 v1, 3, v1
	v_cmp_eq_u32_e32 vcc, 0, v6
	v_and_b32_e32 v4, 0x80000000, v4
	s_mov_b32 s6, 0x2f800000
	v_cndmask_b32_e32 v6, v6, v7, vcc
	v_cndmask_b32_e32 v1, v5, v1, vcc
	v_mov_b32_e32 v5, 0x37800000
	v_lshlrev_b32_e32 v1, 21, v1
	v_lshl_add_u32 v5, v6, 23, v5
	v_or3_b32 v1, v4, v5, v1
	v_trunc_f32_e32 v1, v1
	v_mul_f32_e64 v4, |v1|, s6
	v_floor_f32_e32 v4, v4
	s_mov_b32 s6, 0xcf800000
	v_fma_f32 v4, v4, s6, |v1|
	v_cvt_u32_f32_e32 v4, v4
	v_ashrrev_i32_e32 v1, 31, v1
	v_xor_b32_e32 v4, v4, v1
	v_sub_u32_e32 v4, v4, v1
.LBB353_187:
	s_or_b64 exec, exec, s[2:3]
	s_mov_b64 s[2:3], 0
	s_branch .LBB353_193
.LBB353_188:
	s_mov_b64 s[6:7], -1
                                        ; implicit-def: $vgpr4
	s_branch .LBB353_199
.LBB353_189:
	s_andn2_saveexec_b64 s[2:3], s[2:3]
	s_cbranch_execz .LBB353_175
.LBB353_190:
	v_cmp_ne_u16_e32 vcc, 0, v1
	s_andn2_b64 s[6:7], s[6:7], exec
	s_and_b64 s[10:11], vcc, exec
	s_or_b64 s[6:7], s[6:7], s[10:11]
	s_or_b64 exec, exec, s[2:3]
	v_mov_b32_e32 v4, 0
	s_and_saveexec_b64 s[2:3], s[6:7]
	s_cbranch_execnz .LBB353_176
	s_branch .LBB353_177
.LBB353_191:
	s_mov_b64 s[2:3], -1
                                        ; implicit-def: $vgpr4
	s_branch .LBB353_196
.LBB353_192:
	s_mov_b64 s[2:3], -1
                                        ; implicit-def: $vgpr4
.LBB353_193:
	s_and_b64 vcc, exec, s[2:3]
	s_cbranch_vccz .LBB353_195
; %bb.194:
	global_load_ubyte v1, v[2:3], off
	s_mov_b32 s2, 0x7f800000
	s_brev_b32 s3, 1
	s_mov_b32 s6, 0x2f800000
	s_waitcnt vmcnt(0)
	v_lshlrev_b32_e32 v1, 24, v1
	v_and_b32_e32 v4, 0x7f000000, v1
	v_ffbh_u32_e32 v5, v4
	v_min_u32_e32 v5, 32, v5
	v_sub_u32_e64 v5, v5, 4 clamp
	v_lshlrev_b32_e32 v7, v5, v4
	v_lshlrev_b32_e32 v5, 23, v5
	v_lshrrev_b32_e32 v7, 4, v7
	v_add_u32_e32 v6, 0x1000000, v4
	v_sub_u32_e32 v5, v7, v5
	v_ashrrev_i32_e32 v6, 8, v6
	v_add_u32_e32 v5, 0x3c000000, v5
	v_and_or_b32 v5, v6, s2, v5
	v_cmp_ne_u32_e32 vcc, 0, v4
	s_mov_b32 s2, 0xcf800000
	s_nop 0
	v_cndmask_b32_e32 v4, 0, v5, vcc
	v_and_or_b32 v1, v1, s3, v4
	v_trunc_f32_e32 v1, v1
	v_mul_f32_e64 v4, |v1|, s6
	v_floor_f32_e32 v4, v4
	v_fma_f32 v4, v4, s2, |v1|
	v_cvt_u32_f32_e32 v4, v4
	v_ashrrev_i32_e32 v1, 31, v1
	v_xor_b32_e32 v4, v4, v1
	v_sub_u32_e32 v4, v4, v1
.LBB353_195:
	s_mov_b64 s[2:3], 0
.LBB353_196:
	s_andn2_b64 vcc, exec, s[2:3]
	s_cbranch_vccnz .LBB353_198
; %bb.197:
	global_load_ubyte v1, v[2:3], off
	s_movk_i32 s2, 0x7f00
	s_brev_b32 s3, 16
	s_brev_b32 s6, 1
	s_mov_b32 s7, 0x2f800000
	s_waitcnt vmcnt(0)
	v_lshlrev_b16_e32 v4, 8, v1
	v_lshlrev_b32_e32 v1, 25, v1
	v_lshrrev_b32_e32 v5, 4, v1
	v_and_or_b32 v6, v4, s2, 0.5
	v_or_b32_e32 v5, 0x70000000, v5
	v_add_f32_e32 v6, -0.5, v6
	v_mul_f32_e32 v5, 0x7800000, v5
	v_cmp_gt_u32_e32 vcc, s3, v1
	v_bfe_i32 v4, v4, 0, 16
	s_mov_b32 s2, 0xcf800000
	v_cndmask_b32_e32 v1, v5, v6, vcc
	v_and_or_b32 v1, v4, s6, v1
	v_trunc_f32_e32 v1, v1
	v_mul_f32_e64 v4, |v1|, s7
	v_floor_f32_e32 v4, v4
	v_fma_f32 v4, v4, s2, |v1|
	v_cvt_u32_f32_e32 v4, v4
	v_ashrrev_i32_e32 v1, 31, v1
	v_xor_b32_e32 v4, v4, v1
	v_sub_u32_e32 v4, v4, v1
.LBB353_198:
	s_mov_b64 s[6:7], 0
	s_mov_b64 s[2:3], -1
.LBB353_199:
	s_andn2_b64 vcc, exec, s[6:7]
	s_cbranch_vccnz .LBB353_212
; %bb.200:
	s_cmp_gt_i32 s9, 14
	s_cbranch_scc0 .LBB353_203
; %bb.201:
	s_cmp_eq_u32 s9, 15
	s_cbranch_scc0 .LBB353_206
; %bb.202:
	global_load_ushort v1, v[2:3], off
	s_mov_b32 s2, 0x2f800000
	s_mov_b32 s3, 0xcf800000
	s_mov_b64 s[4:5], 0
	s_waitcnt vmcnt(0)
	v_lshlrev_b32_e32 v1, 16, v1
	v_trunc_f32_e32 v1, v1
	v_mul_f32_e64 v4, |v1|, s2
	v_floor_f32_e32 v4, v4
	v_fma_f32 v4, v4, s3, |v1|
	v_cvt_u32_f32_e32 v4, v4
	v_ashrrev_i32_e32 v1, 31, v1
	s_mov_b64 s[2:3], -1
	v_xor_b32_e32 v4, v4, v1
	v_sub_u32_e32 v4, v4, v1
	s_branch .LBB353_207
.LBB353_203:
	s_mov_b64 s[6:7], -1
                                        ; implicit-def: $vgpr4
	s_branch .LBB353_208
.LBB353_204:
	s_andn2_saveexec_b64 s[2:3], s[2:3]
	s_cbranch_execz .LBB353_185
.LBB353_205:
	v_cmp_ne_u16_e32 vcc, 0, v1
	s_andn2_b64 s[6:7], s[6:7], exec
	s_and_b64 s[10:11], vcc, exec
	s_or_b64 s[6:7], s[6:7], s[10:11]
	s_or_b64 exec, exec, s[2:3]
	v_mov_b32_e32 v4, 0
	s_and_saveexec_b64 s[2:3], s[6:7]
	s_cbranch_execnz .LBB353_186
	s_branch .LBB353_187
.LBB353_206:
	s_mov_b64 s[4:5], -1
                                        ; implicit-def: $vgpr4
.LBB353_207:
	s_mov_b64 s[6:7], 0
.LBB353_208:
	s_and_b64 vcc, exec, s[6:7]
	s_cbranch_vccz .LBB353_212
; %bb.209:
	s_cmp_eq_u32 s9, 11
	s_cbranch_scc0 .LBB353_211
; %bb.210:
	global_load_ubyte v1, v[2:3], off
	s_mov_b64 s[2:3], -1
	s_mov_b64 s[4:5], 0
	s_waitcnt vmcnt(0)
	v_cmp_ne_u16_e32 vcc, 0, v1
	s_nop 1
	v_cndmask_b32_e64 v4, 0, 1, vcc
	s_branch .LBB353_212
.LBB353_211:
	s_mov_b64 s[4:5], -1
                                        ; implicit-def: $vgpr4
.LBB353_212:
	s_branch .LBB353_25
.LBB353_213:
	s_and_b32 s6, 0xffff, s8
	s_cmp_lt_i32 s6, 5
	s_cbranch_scc1 .LBB353_218
; %bb.214:
	s_cmp_lt_i32 s6, 8
	s_cbranch_scc1 .LBB353_219
; %bb.215:
	;; [unrolled: 3-line block ×3, first 2 shown]
	s_cmp_gt_i32 s6, 9
	s_cbranch_scc0 .LBB353_221
; %bb.217:
	global_load_dwordx2 v[4:5], v[2:3], off
	s_movk_i32 s2, 0xffe0
	s_waitcnt vmcnt(0)
	v_trunc_f64_e32 v[4:5], v[4:5]
	v_ldexp_f64 v[6:7], v[4:5], s2
	v_floor_f64_e32 v[6:7], v[6:7]
	v_fmac_f64_e32 v[4:5], 0xc1f00000, v[6:7]
	v_cvt_u32_f64_e32 v4, v[4:5]
	s_mov_b64 s[2:3], 0
	s_branch .LBB353_222
.LBB353_218:
                                        ; implicit-def: $vgpr4
	s_branch .LBB353_240
.LBB353_219:
	s_mov_b64 s[2:3], -1
                                        ; implicit-def: $vgpr4
	s_branch .LBB353_228
.LBB353_220:
	s_mov_b64 s[2:3], -1
                                        ; implicit-def: $vgpr4
	s_branch .LBB353_225
.LBB353_221:
	s_mov_b64 s[2:3], -1
                                        ; implicit-def: $vgpr4
.LBB353_222:
	s_andn2_b64 vcc, exec, s[2:3]
	s_cbranch_vccnz .LBB353_224
; %bb.223:
	global_load_dword v1, v[2:3], off
	s_mov_b32 s2, 0x2f800000
	s_waitcnt vmcnt(0)
	v_trunc_f32_e32 v1, v1
	v_mul_f32_e64 v4, |v1|, s2
	v_floor_f32_e32 v4, v4
	s_mov_b32 s2, 0xcf800000
	v_fma_f32 v4, v4, s2, |v1|
	v_cvt_u32_f32_e32 v4, v4
	v_ashrrev_i32_e32 v1, 31, v1
	v_xor_b32_e32 v4, v4, v1
	v_sub_u32_e32 v4, v4, v1
.LBB353_224:
	s_mov_b64 s[2:3], 0
.LBB353_225:
	s_andn2_b64 vcc, exec, s[2:3]
	s_cbranch_vccnz .LBB353_227
; %bb.226:
	global_load_dword v1, v[2:3], off
	s_waitcnt vmcnt(0)
	v_cvt_f32_f16_e32 v1, v1
	v_cvt_i32_f32_e32 v4, v1
.LBB353_227:
	s_mov_b64 s[2:3], 0
.LBB353_228:
	s_andn2_b64 vcc, exec, s[2:3]
	s_cbranch_vccnz .LBB353_239
; %bb.229:
	s_cmp_lt_i32 s6, 6
	s_cbranch_scc1 .LBB353_232
; %bb.230:
	s_cmp_gt_i32 s6, 6
	s_cbranch_scc0 .LBB353_233
; %bb.231:
	global_load_dwordx2 v[4:5], v[2:3], off
	s_movk_i32 s2, 0xffe0
	s_waitcnt vmcnt(0)
	v_trunc_f64_e32 v[4:5], v[4:5]
	v_ldexp_f64 v[6:7], v[4:5], s2
	v_floor_f64_e32 v[6:7], v[6:7]
	v_fmac_f64_e32 v[4:5], 0xc1f00000, v[6:7]
	v_cvt_u32_f64_e32 v4, v[4:5]
	s_mov_b64 s[2:3], 0
	s_branch .LBB353_234
.LBB353_232:
	s_mov_b64 s[2:3], -1
                                        ; implicit-def: $vgpr4
	s_branch .LBB353_237
.LBB353_233:
	s_mov_b64 s[2:3], -1
                                        ; implicit-def: $vgpr4
.LBB353_234:
	s_andn2_b64 vcc, exec, s[2:3]
	s_cbranch_vccnz .LBB353_236
; %bb.235:
	global_load_dword v1, v[2:3], off
	s_mov_b32 s2, 0x2f800000
	s_waitcnt vmcnt(0)
	v_trunc_f32_e32 v1, v1
	v_mul_f32_e64 v4, |v1|, s2
	v_floor_f32_e32 v4, v4
	s_mov_b32 s2, 0xcf800000
	v_fma_f32 v4, v4, s2, |v1|
	v_cvt_u32_f32_e32 v4, v4
	v_ashrrev_i32_e32 v1, 31, v1
	v_xor_b32_e32 v4, v4, v1
	v_sub_u32_e32 v4, v4, v1
.LBB353_236:
	s_mov_b64 s[2:3], 0
.LBB353_237:
	s_andn2_b64 vcc, exec, s[2:3]
	s_cbranch_vccnz .LBB353_239
; %bb.238:
	global_load_ushort v1, v[2:3], off
	s_waitcnt vmcnt(0)
	v_cvt_f32_f16_e32 v1, v1
	v_cvt_i32_f32_e32 v4, v1
.LBB353_239:
	s_cbranch_execnz .LBB353_259
.LBB353_240:
	s_cmp_lt_i32 s6, 2
	s_cbranch_scc1 .LBB353_244
; %bb.241:
	s_cmp_lt_i32 s6, 3
	s_cbranch_scc1 .LBB353_245
; %bb.242:
	s_cmp_gt_i32 s6, 3
	s_cbranch_scc0 .LBB353_246
; %bb.243:
	global_load_dwordx2 v[4:5], v[2:3], off
	s_mov_b64 s[2:3], 0
	s_branch .LBB353_247
.LBB353_244:
	s_mov_b64 s[2:3], -1
                                        ; implicit-def: $vgpr4
	s_branch .LBB353_253
.LBB353_245:
	s_mov_b64 s[2:3], -1
                                        ; implicit-def: $vgpr4
	s_branch .LBB353_250
.LBB353_246:
	s_mov_b64 s[2:3], -1
                                        ; implicit-def: $vgpr4
.LBB353_247:
	s_andn2_b64 vcc, exec, s[2:3]
	s_cbranch_vccnz .LBB353_249
; %bb.248:
	global_load_dword v4, v[2:3], off
.LBB353_249:
	s_mov_b64 s[2:3], 0
.LBB353_250:
	s_andn2_b64 vcc, exec, s[2:3]
	s_cbranch_vccnz .LBB353_252
; %bb.251:
	global_load_ushort v4, v[2:3], off
.LBB353_252:
	s_mov_b64 s[2:3], 0
.LBB353_253:
	s_andn2_b64 vcc, exec, s[2:3]
	s_cbranch_vccnz .LBB353_259
; %bb.254:
	s_cmp_gt_i32 s6, 0
	s_cbranch_scc0 .LBB353_256
; %bb.255:
	global_load_ubyte v4, v[2:3], off
	s_mov_b64 s[2:3], 0
	s_branch .LBB353_257
.LBB353_256:
	s_mov_b64 s[2:3], -1
                                        ; implicit-def: $vgpr4
.LBB353_257:
	s_andn2_b64 vcc, exec, s[2:3]
	s_cbranch_vccnz .LBB353_259
; %bb.258:
	global_load_ubyte v4, v[2:3], off
.LBB353_259:
	s_branch .LBB353_26
.LBB353_260:
	s_mov_b64 s[2:3], 0
.LBB353_261:
	s_mov_b64 s[6:7], 0
                                        ; implicit-def: $vgpr12
.LBB353_262:
	s_and_b64 s[54:55], s[2:3], exec
	s_and_b64 s[56:57], s[4:5], exec
	s_orn2_b64 s[4:5], s[6:7], exec
.LBB353_263:
	s_or_b64 exec, exec, s[58:59]
	s_mov_b64 s[8:9], 0
	s_mov_b64 s[2:3], 0
                                        ; implicit-def: $sgpr14
                                        ; implicit-def: $vgpr2_vgpr3
                                        ; implicit-def: $vgpr0
                                        ; implicit-def: $vgpr6
	s_and_saveexec_b64 s[58:59], s[4:5]
	s_cbranch_execz .LBB353_271
; %bb.264:
	v_cmp_gt_i32_e32 vcc, s70, v12
	s_mov_b64 s[2:3], -1
	s_mov_b64 s[60:61], s[56:57]
	s_mov_b64 s[62:63], s[54:55]
	s_and_saveexec_b64 s[64:65], vcc
	s_cbranch_execz .LBB353_536
; %bb.265:
	s_andn2_b64 vcc, exec, s[42:43]
	s_cbranch_vccnz .LBB353_274
; %bb.266:
	s_andn2_b64 vcc, exec, s[52:53]
	s_cbranch_vccnz .LBB353_275
; %bb.267:
	s_add_i32 s63, s76, 1
	s_cmp_eq_u32 s72, 2
	s_cbranch_scc1 .LBB353_276
; %bb.268:
	s_and_b32 s62, s63, 28
	s_mov_b32 s66, 0
	v_mov_b32_e32 v0, 0
	v_mov_b32_e32 v2, 0
	s_mov_b64 s[2:3], s[34:35]
	s_mov_b64 s[60:61], s[50:51]
	s_waitcnt vmcnt(0)
	v_mov_b32_e32 v4, v12
.LBB353_269:                            ; =>This Inner Loop Header: Depth=1
	s_load_dwordx8 s[12:19], s[2:3], 0x4
	s_load_dwordx4 s[36:39], s[2:3], 0x24
	s_load_dwordx8 s[4:11], s[60:61], 0x0
	s_add_u32 s2, s2, 48
	s_addc_u32 s3, s3, 0
	s_waitcnt lgkmcnt(0)
	v_mul_hi_u32 v1, s13, v4
	v_add_u32_e32 v1, v4, v1
	v_lshrrev_b32_e32 v1, s14, v1
	v_mul_lo_u32 v3, v1, s12
	v_mul_hi_u32 v5, s16, v1
	v_sub_u32_e32 v3, v4, v3
	v_add_u32_e32 v4, v1, v5
	v_lshrrev_b32_e32 v4, s17, v4
	v_mul_lo_u32 v6, v4, s15
	v_mul_hi_u32 v7, s19, v4
	v_sub_u32_e32 v1, v1, v6
	v_add_u32_e32 v6, v4, v7
	v_mul_lo_u32 v5, v3, s5
	v_mul_lo_u32 v3, v3, s4
	;; [unrolled: 1-line block ×4, first 2 shown]
	v_lshrrev_b32_e32 v6, s36, v6
	v_add3_u32 v0, v3, v0, v1
	v_mul_hi_u32 v3, s38, v6
	v_add3_u32 v1, v5, v2, v7
	v_mul_lo_u32 v2, v6, s18
	v_add_u32_e32 v3, v6, v3
	v_sub_u32_e32 v2, v4, v2
	v_lshrrev_b32_e32 v4, s39, v3
	s_add_i32 s66, s66, 4
	v_mul_lo_u32 v3, v4, s37
	s_add_u32 s60, s60, 32
	v_sub_u32_e32 v3, v6, v3
	s_addc_u32 s61, s61, 0
	v_mul_lo_u32 v5, v2, s8
	v_mul_lo_u32 v2, v2, s9
	;; [unrolled: 1-line block ×4, first 2 shown]
	s_cmp_eq_u32 s62, s66
	v_add3_u32 v2, v2, v1, v3
	v_add3_u32 v0, v5, v0, v6
	s_cbranch_scc0 .LBB353_269
; %bb.270:
	v_mov_b32_e32 v1, v2
	s_branch .LBB353_277
.LBB353_271:
	s_or_b64 exec, exec, s[58:59]
	s_mov_b64 s[4:5], 0
	s_and_saveexec_b64 s[6:7], s[56:57]
	s_cbranch_execnz .LBB353_906
.LBB353_272:
	s_or_b64 exec, exec, s[6:7]
	s_and_saveexec_b64 s[6:7], s[62:63]
	s_xor_b64 s[6:7], exec, s[6:7]
	s_cbranch_execz .LBB353_907
.LBB353_273:
	global_load_ubyte v1, v[2:3], off
	s_or_b64 s[2:3], s[2:3], exec
	s_waitcnt vmcnt(0)
	v_cmp_ne_u16_e32 vcc, 0, v1
	s_nop 1
	v_cndmask_b32_e64 v6, 0, 1, vcc
	s_or_b64 exec, exec, s[6:7]
	s_and_saveexec_b64 s[6:7], s[8:9]
	s_cbranch_execz .LBB353_953
	s_branch .LBB353_908
.LBB353_274:
                                        ; implicit-def: $vgpr2
                                        ; implicit-def: $vgpr0
	s_andn2_b64 vcc, exec, s[2:3]
	s_cbranch_vccz .LBB353_281
	s_branch .LBB353_283
.LBB353_275:
	v_mov_b32_e32 v2, 0
	v_mov_b32_e32 v0, 0
	s_branch .LBB353_280
.LBB353_276:
	v_mov_b32_e32 v0, 0
	s_mov_b32 s62, 0
	v_mov_b32_e32 v1, v0
                                        ; implicit-def: $vgpr2
	s_waitcnt vmcnt(0)
	v_mov_b32_e32 v4, v12
.LBB353_277:
	s_and_b32 s6, s63, 3
	s_cmp_eq_u32 s6, 0
	s_cbranch_scc1 .LBB353_280
; %bb.278:
	s_lshl_b32 s2, s62, 3
	s_add_u32 s2, s34, s2
	s_addc_u32 s3, s35, 0
	s_add_u32 s2, s2, 0xc4
	s_addc_u32 s3, s3, 0
	s_mul_i32 s4, s62, 12
	s_add_u32 s4, s34, s4
	s_addc_u32 s5, s35, 0
.LBB353_279:                            ; =>This Inner Loop Header: Depth=1
	s_load_dwordx2 s[8:9], s[4:5], 0x4
	s_load_dword s7, s[4:5], 0xc
	s_load_dwordx2 s[10:11], s[2:3], 0x0
	v_mov_b32_e32 v2, v1
	s_add_u32 s4, s4, 12
	s_waitcnt lgkmcnt(0)
	v_mul_hi_u32 v1, s9, v4
	v_add_u32_e32 v1, v4, v1
	v_lshrrev_b32_e32 v1, s7, v1
	s_addc_u32 s5, s5, 0
	v_mul_lo_u32 v3, v1, s8
	s_add_u32 s2, s2, 8
	v_sub_u32_e32 v5, v4, v3
	s_addc_u32 s3, s3, 0
	s_add_i32 s6, s6, -1
	v_mov_b32_e32 v4, v1
	v_mad_u64_u32 v[2:3], s[8:9], v5, s11, v[2:3]
	v_mad_u64_u32 v[0:1], s[8:9], v5, s10, v[0:1]
	s_cmp_lg_u32 s6, 0
	v_mov_b32_e32 v1, v2
	s_cbranch_scc1 .LBB353_279
.LBB353_280:
	s_cbranch_execnz .LBB353_283
.LBB353_281:
	v_mul_hi_u32 v0, s25, v12
	v_add_u32_e32 v0, v12, v0
	v_lshrrev_b32_e32 v1, s26, v0
	v_mul_lo_u32 v0, v1, s24
	v_sub_u32_e32 v0, v12, v0
	v_mul_lo_u32 v2, v0, s29
	s_andn2_b64 vcc, exec, s[48:49]
	v_mul_lo_u32 v0, v0, s28
	s_cbranch_vccnz .LBB353_283
; %bb.282:
	v_mul_hi_u32 v3, s46, v1
	v_add_u32_e32 v3, v1, v3
	v_lshrrev_b32_e32 v3, s47, v3
	v_mul_lo_u32 v3, v3, s27
	v_sub_u32_e32 v3, v1, v3
	v_mad_u64_u32 v[0:1], s[2:3], v3, s30, v[0:1]
	v_mad_u64_u32 v[2:3], s[2:3], v3, s31, v[2:3]
.LBB353_283:
	v_mov_b32_e32 v3, 0
	s_and_b32 s8, s75, 0xff
	s_cmp_lt_i32 s8, 11
	v_lshl_add_u64 v[2:3], s[22:23], 0, v[2:3]
	s_cbranch_scc1 .LBB353_290
; %bb.284:
	s_and_b32 s9, 0xffff, s8
	s_cmp_gt_i32 s9, 25
	s_cbranch_scc0 .LBB353_299
; %bb.285:
	s_cmp_gt_i32 s9, 28
	s_cbranch_scc0 .LBB353_301
; %bb.286:
	;; [unrolled: 3-line block ×4, first 2 shown]
	s_cmp_eq_u32 s9, 46
	s_mov_b64 s[6:7], 0
	s_cbranch_scc0 .LBB353_311
; %bb.289:
	global_load_dword v1, v[2:3], off
	s_mov_b32 s2, 0x2f800000
	s_mov_b32 s3, 0xcf800000
	s_mov_b64 s[4:5], 0
	s_waitcnt vmcnt(0)
	v_lshlrev_b32_e32 v1, 16, v1
	v_trunc_f32_e32 v1, v1
	v_mul_f32_e64 v4, |v1|, s2
	v_floor_f32_e32 v4, v4
	v_fma_f32 v4, v4, s3, |v1|
	v_cvt_u32_f32_e32 v4, v4
	v_ashrrev_i32_e32 v1, 31, v1
	s_mov_b64 s[2:3], -1
	v_xor_b32_e32 v4, v4, v1
	v_sub_u32_e32 v4, v4, v1
	s_branch .LBB353_312
.LBB353_290:
	s_mov_b64 s[2:3], 0
                                        ; implicit-def: $vgpr4
	s_mov_b64 s[4:5], s[56:57]
	s_cbranch_execnz .LBB353_485
.LBB353_291:
	s_andn2_b64 vcc, exec, s[2:3]
	s_cbranch_vccnz .LBB353_533
.LBB353_292:
	s_and_b32 s2, s74, 0xff
	v_mov_b32_e32 v1, 0
	s_and_b32 s12, s73, 0xff
	s_waitcnt vmcnt(0)
	v_max_u16_sdwa v2, v4, s2 dst_sel:DWORD dst_unused:UNUSED_PAD src0_sel:BYTE_0 src1_sel:DWORD
	s_cmp_lt_i32 s12, 11
	v_lshl_add_u64 v[0:1], s[20:21], 0, v[0:1]
	s_cbranch_scc1 .LBB353_300
; %bb.293:
	s_and_b32 s13, 0xffff, s12
	s_cmp_gt_i32 s13, 25
	s_cbranch_scc0 .LBB353_302
; %bb.294:
	s_cmp_gt_i32 s13, 28
	s_cbranch_scc0 .LBB353_304
; %bb.295:
	s_cmp_gt_i32 s13, 43
	s_cbranch_scc0 .LBB353_308
; %bb.296:
	s_cmp_gt_i32 s13, 45
	s_cbranch_scc0 .LBB353_315
; %bb.297:
	s_mov_b64 s[8:9], 0
	s_mov_b64 s[2:3], -1
	s_cmp_eq_u32 s13, 46
	s_mov_b64 s[6:7], 0
	s_cbranch_scc0 .LBB353_316
; %bb.298:
	v_cvt_f32_ubyte0_e32 v3, v2
	v_bfe_u32 v4, v3, 16, 1
	s_movk_i32 s2, 0x7fff
	v_add3_u32 v3, v3, v4, s2
	v_lshrrev_b32_e32 v3, 16, v3
	global_store_dword v[0:1], v3, off
	s_mov_b64 s[6:7], -1
	s_mov_b64 s[2:3], 0
	s_branch .LBB353_316
.LBB353_299:
	s_mov_b64 s[6:7], -1
	s_mov_b64 s[2:3], 0
	s_mov_b64 s[4:5], s[56:57]
                                        ; implicit-def: $vgpr4
	s_branch .LBB353_451
.LBB353_300:
	s_mov_b64 s[8:9], -1
	s_mov_b64 s[6:7], 0
	s_mov_b64 s[2:3], s[54:55]
	s_branch .LBB353_385
.LBB353_301:
	s_mov_b64 s[6:7], -1
	s_mov_b64 s[2:3], 0
	s_mov_b64 s[4:5], s[56:57]
                                        ; implicit-def: $vgpr4
	s_branch .LBB353_434
.LBB353_302:
	s_mov_b64 s[8:9], -1
	s_mov_b64 s[6:7], 0
	s_mov_b64 s[2:3], s[54:55]
	s_branch .LBB353_343
.LBB353_303:
	s_mov_b64 s[6:7], -1
	s_mov_b64 s[2:3], 0
	s_mov_b64 s[4:5], s[56:57]
                                        ; implicit-def: $vgpr4
	s_branch .LBB353_429
.LBB353_304:
	s_mov_b64 s[8:9], -1
	s_mov_b64 s[6:7], 0
	s_mov_b64 s[2:3], s[54:55]
	s_branch .LBB353_326
.LBB353_305:
	s_andn2_saveexec_b64 s[10:11], s[10:11]
	s_cbranch_execz .LBB353_69
.LBB353_306:
	v_add_f32_e32 v3, 0x46000000, v4
	v_and_b32_e32 v3, 0xff, v3
	v_cmp_ne_u32_e32 vcc, 0, v3
	s_andn2_b64 s[8:9], s[8:9], exec
	s_and_b64 s[14:15], vcc, exec
	s_or_b64 s[8:9], s[8:9], s[14:15]
	s_or_b64 exec, exec, s[10:11]
	v_mov_b32_e32 v5, 0
	s_and_saveexec_b64 s[10:11], s[8:9]
	s_cbranch_execnz .LBB353_70
	s_branch .LBB353_71
.LBB353_307:
	s_mov_b64 s[6:7], -1
	s_mov_b64 s[2:3], 0
	s_mov_b64 s[4:5], s[56:57]
                                        ; implicit-def: $vgpr4
	s_branch .LBB353_312
.LBB353_308:
	s_mov_b64 s[8:9], -1
	s_mov_b64 s[6:7], 0
	s_mov_b64 s[2:3], s[54:55]
	s_branch .LBB353_322
.LBB353_309:
	s_andn2_saveexec_b64 s[10:11], s[10:11]
	s_cbranch_execz .LBB353_82
.LBB353_310:
	v_add_f32_e32 v3, 0x42800000, v4
	v_and_b32_e32 v3, 0xff, v3
	v_cmp_ne_u32_e32 vcc, 0, v3
	s_andn2_b64 s[8:9], s[8:9], exec
	s_and_b64 s[14:15], vcc, exec
	s_or_b64 s[8:9], s[8:9], s[14:15]
	s_or_b64 exec, exec, s[10:11]
	v_mov_b32_e32 v5, 0
	s_and_saveexec_b64 s[10:11], s[8:9]
	s_cbranch_execnz .LBB353_83
	s_branch .LBB353_84
.LBB353_311:
	s_mov_b64 s[4:5], -1
                                        ; implicit-def: $vgpr4
	s_mov_b64 s[2:3], 0
.LBB353_312:
	s_and_b64 vcc, exec, s[6:7]
	s_cbranch_vccz .LBB353_428
; %bb.313:
	s_cmp_eq_u32 s9, 44
	s_cbranch_scc0 .LBB353_427
; %bb.314:
	global_load_ubyte v1, v[2:3], off
	s_mov_b32 s2, 0x2f800000
	s_mov_b32 s3, 0xcf800000
	s_mov_b64 s[4:5], 0
	s_waitcnt vmcnt(0)
	v_lshlrev_b32_e32 v4, 23, v1
	v_trunc_f32_e32 v4, v4
	v_mul_f32_e64 v5, |v4|, s2
	v_floor_f32_e32 v5, v5
	v_fma_f32 v5, v5, s3, |v4|
	v_cvt_u32_f32_e32 v5, v5
	v_ashrrev_i32_e32 v4, 31, v4
	v_cmp_ne_u32_e32 vcc, 0, v1
	s_mov_b64 s[2:3], -1
	v_xor_b32_e32 v5, v5, v4
	v_sub_u32_e32 v4, v5, v4
	v_cndmask_b32_e32 v4, 0, v4, vcc
	s_branch .LBB353_428
.LBB353_315:
	s_mov_b64 s[8:9], -1
	s_mov_b64 s[6:7], 0
	s_mov_b64 s[2:3], s[54:55]
.LBB353_316:
	s_and_b64 vcc, exec, s[8:9]
	s_cbranch_vccz .LBB353_321
; %bb.317:
	s_cmp_eq_u32 s13, 44
	s_mov_b64 s[2:3], -1
	s_cbranch_scc0 .LBB353_321
; %bb.318:
	v_cvt_f32_ubyte0_e32 v4, v2
	v_lshrrev_b32_e32 v3, 23, v4
	s_movk_i32 s2, 0xff
	v_cmp_ne_u32_e32 vcc, s2, v3
	v_mov_b32_e32 v5, 0xff
	s_and_saveexec_b64 s[6:7], vcc
; %bb.319:
	s_mov_b32 s2, 0x3fffff
	v_and_b32_e32 v5, 0x400000, v4
	v_and_or_b32 v4, v4, s2, v3
	v_cmp_ne_u32_e32 vcc, 0, v5
	v_cmp_ne_u32_e64 s[2:3], 0, v4
	s_and_b64 s[2:3], vcc, s[2:3]
	s_nop 0
	v_cndmask_b32_e64 v4, 0, 1, s[2:3]
	v_add_u32_e32 v5, v3, v4
; %bb.320:
	s_or_b64 exec, exec, s[6:7]
	s_mov_b64 s[6:7], -1
	s_mov_b64 s[2:3], 0
	global_store_byte v[0:1], v5, off
.LBB353_321:
	s_mov_b64 s[8:9], 0
.LBB353_322:
	s_and_b64 vcc, exec, s[8:9]
	s_cbranch_vccz .LBB353_325
; %bb.323:
	s_cmp_eq_u32 s13, 29
	s_mov_b64 s[2:3], -1
	s_cbranch_scc0 .LBB353_325
; %bb.324:
	s_mov_b32 s2, 0
	v_mov_b32_e32 v3, s2
	global_store_dwordx2 v[0:1], v[2:3], off
	s_mov_b64 s[6:7], -1
	s_mov_b64 s[2:3], 0
.LBB353_325:
	s_mov_b64 s[8:9], 0
.LBB353_326:
	s_and_b64 vcc, exec, s[8:9]
	s_cbranch_vccz .LBB353_342
; %bb.327:
	s_cmp_lt_i32 s13, 27
	s_mov_b64 s[6:7], -1
	s_cbranch_scc1 .LBB353_333
; %bb.328:
	s_cmp_gt_i32 s13, 27
	s_cbranch_scc0 .LBB353_330
; %bb.329:
	s_mov_b64 s[6:7], 0
	global_store_dword v[0:1], v2, off
.LBB353_330:
	s_andn2_b64 vcc, exec, s[6:7]
	s_cbranch_vccnz .LBB353_332
; %bb.331:
	global_store_short v[0:1], v2, off
.LBB353_332:
	s_mov_b64 s[6:7], 0
.LBB353_333:
	s_andn2_b64 vcc, exec, s[6:7]
	s_cbranch_vccnz .LBB353_341
; %bb.334:
	v_cvt_f32_ubyte0_e32 v4, v2
	s_mov_b32 s6, 0x43800000
	v_cmp_gt_u32_e32 vcc, s6, v4
	v_mov_b32_e32 v5, 0x80
	s_and_saveexec_b64 s[6:7], vcc
	s_cbranch_execz .LBB353_340
; %bb.335:
	s_mov_b32 s8, 0x3bffffff
	v_cmp_lt_u32_e32 vcc, s8, v4
	s_mov_b64 s[8:9], 0
                                        ; implicit-def: $vgpr3
	s_and_saveexec_b64 s[10:11], vcc
	s_xor_b64 s[10:11], exec, s[10:11]
	s_cbranch_execz .LBB353_565
; %bb.336:
	v_bfe_u32 v3, v4, 20, 1
	s_mov_b32 s14, 0x487ffff
	v_add3_u32 v3, v4, v3, s14
	s_mov_b64 s[8:9], exec
	v_lshrrev_b32_e32 v3, 20, v3
                                        ; implicit-def: $vgpr4
	s_andn2_saveexec_b64 s[10:11], s[10:11]
	s_cbranch_execnz .LBB353_566
.LBB353_337:
	s_or_b64 exec, exec, s[10:11]
	v_mov_b32_e32 v5, 0
	s_and_saveexec_b64 s[10:11], s[8:9]
.LBB353_338:
	v_mov_b32_e32 v5, v3
.LBB353_339:
	s_or_b64 exec, exec, s[10:11]
.LBB353_340:
	s_or_b64 exec, exec, s[6:7]
	global_store_byte v[0:1], v5, off
.LBB353_341:
	s_mov_b64 s[6:7], -1
.LBB353_342:
	s_mov_b64 s[8:9], 0
.LBB353_343:
	s_and_b64 vcc, exec, s[8:9]
	s_cbranch_vccz .LBB353_384
; %bb.344:
	s_cmp_gt_i32 s13, 22
	s_mov_b64 s[8:9], -1
	s_cbranch_scc0 .LBB353_376
; %bb.345:
	s_cmp_lt_i32 s13, 24
	s_mov_b64 s[6:7], -1
	s_cbranch_scc1 .LBB353_365
; %bb.346:
	s_cmp_gt_i32 s13, 24
	s_cbranch_scc0 .LBB353_354
; %bb.347:
	v_cvt_f32_ubyte0_e32 v4, v2
	s_mov_b32 s6, 0x47800000
	v_cmp_gt_u32_e32 vcc, s6, v4
	v_mov_b32_e32 v5, 0x80
	s_and_saveexec_b64 s[6:7], vcc
	s_cbranch_execz .LBB353_353
; %bb.348:
	s_mov_b32 s8, 0x37ffffff
	v_cmp_lt_u32_e32 vcc, s8, v4
	s_mov_b64 s[8:9], 0
                                        ; implicit-def: $vgpr3
	s_and_saveexec_b64 s[10:11], vcc
	s_xor_b64 s[10:11], exec, s[10:11]
	s_cbranch_execz .LBB353_568
; %bb.349:
	v_bfe_u32 v3, v4, 21, 1
	s_mov_b32 s14, 0x88fffff
	v_add3_u32 v3, v4, v3, s14
	s_mov_b64 s[8:9], exec
	v_lshrrev_b32_e32 v3, 21, v3
                                        ; implicit-def: $vgpr4
	s_andn2_saveexec_b64 s[10:11], s[10:11]
	s_cbranch_execnz .LBB353_569
.LBB353_350:
	s_or_b64 exec, exec, s[10:11]
	v_mov_b32_e32 v5, 0
	s_and_saveexec_b64 s[10:11], s[8:9]
.LBB353_351:
	v_mov_b32_e32 v5, v3
.LBB353_352:
	s_or_b64 exec, exec, s[10:11]
.LBB353_353:
	s_or_b64 exec, exec, s[6:7]
	s_mov_b64 s[6:7], 0
	global_store_byte v[0:1], v5, off
.LBB353_354:
	s_and_b64 vcc, exec, s[6:7]
	s_cbranch_vccz .LBB353_364
; %bb.355:
	v_cvt_f32_ubyte0_e32 v3, v2
	s_mov_b32 s6, 0x43f00000
	v_cmp_gt_u32_e32 vcc, s6, v3
                                        ; implicit-def: $vgpr4
	s_and_saveexec_b64 s[6:7], vcc
	s_xor_b64 s[6:7], exec, s[6:7]
	s_cbranch_execz .LBB353_361
; %bb.356:
	s_mov_b32 s8, 0x3c7fffff
	v_cmp_lt_u32_e32 vcc, s8, v3
                                        ; implicit-def: $vgpr4
	s_and_saveexec_b64 s[8:9], vcc
	s_xor_b64 s[8:9], exec, s[8:9]
; %bb.357:
	v_bfe_u32 v4, v3, 20, 1
	s_mov_b32 s10, 0x407ffff
	v_add3_u32 v3, v3, v4, s10
	v_lshrrev_b32_e32 v4, 20, v3
	v_and_b32_e32 v3, 0xff00000, v3
	s_mov_b32 s10, 0x7f00000
	v_mov_b32_e32 v5, 0x7e
	v_cmp_ne_u32_e32 vcc, s10, v3
                                        ; implicit-def: $vgpr3
	s_nop 1
	v_cndmask_b32_e32 v4, v5, v4, vcc
; %bb.358:
	s_andn2_saveexec_b64 s[8:9], s[8:9]
; %bb.359:
	v_add_f32_e32 v4, 0x46800000, v3
; %bb.360:
	s_or_b64 exec, exec, s[8:9]
                                        ; implicit-def: $vgpr3
.LBB353_361:
	s_andn2_saveexec_b64 s[6:7], s[6:7]
; %bb.362:
	s_mov_b32 s8, 0x7f800000
	v_mov_b32_e32 v4, 0x7e
	v_mov_b32_e32 v5, 0x7f
	v_cmp_lt_u32_e32 vcc, s8, v3
	s_nop 1
	v_cndmask_b32_e32 v4, v4, v5, vcc
; %bb.363:
	s_or_b64 exec, exec, s[6:7]
	global_store_byte v[0:1], v4, off
.LBB353_364:
	s_mov_b64 s[6:7], 0
.LBB353_365:
	s_andn2_b64 vcc, exec, s[6:7]
	s_cbranch_vccnz .LBB353_375
; %bb.366:
	v_cvt_f32_ubyte0_e32 v3, v2
	s_mov_b32 s6, 0x47800000
	v_cmp_gt_u32_e32 vcc, s6, v3
                                        ; implicit-def: $vgpr4
	s_and_saveexec_b64 s[6:7], vcc
	s_xor_b64 s[6:7], exec, s[6:7]
	s_cbranch_execz .LBB353_372
; %bb.367:
	s_mov_b32 s8, 0x387fffff
	v_cmp_lt_u32_e32 vcc, s8, v3
                                        ; implicit-def: $vgpr4
	s_and_saveexec_b64 s[8:9], vcc
	s_xor_b64 s[8:9], exec, s[8:9]
; %bb.368:
	v_bfe_u32 v4, v3, 21, 1
	s_mov_b32 s10, 0x80fffff
	v_add3_u32 v3, v3, v4, s10
	v_lshrrev_b32_e32 v4, 21, v3
                                        ; implicit-def: $vgpr3
; %bb.369:
	s_andn2_saveexec_b64 s[8:9], s[8:9]
; %bb.370:
	v_add_f32_e32 v4, 0x43000000, v3
; %bb.371:
	s_or_b64 exec, exec, s[8:9]
                                        ; implicit-def: $vgpr3
.LBB353_372:
	s_andn2_saveexec_b64 s[6:7], s[6:7]
; %bb.373:
	s_mov_b32 s8, 0x7f800000
	v_mov_b32_e32 v4, 0x7c
	v_mov_b32_e32 v5, 0x7f
	v_cmp_lt_u32_e32 vcc, s8, v3
	s_nop 1
	v_cndmask_b32_e32 v4, v4, v5, vcc
; %bb.374:
	s_or_b64 exec, exec, s[6:7]
	global_store_byte v[0:1], v4, off
.LBB353_375:
	s_mov_b64 s[8:9], 0
	s_mov_b64 s[6:7], -1
.LBB353_376:
	s_andn2_b64 vcc, exec, s[8:9]
	s_cbranch_vccnz .LBB353_384
; %bb.377:
	s_cmp_gt_i32 s13, 14
	s_mov_b64 s[8:9], -1
	s_cbranch_scc0 .LBB353_381
; %bb.378:
	s_cmp_eq_u32 s13, 15
	s_mov_b64 s[2:3], -1
	s_cbranch_scc0 .LBB353_380
; %bb.379:
	v_cvt_f32_ubyte0_e32 v3, v2
	v_bfe_u32 v4, v3, 16, 1
	s_movk_i32 s2, 0x7fff
	v_add3_u32 v3, v3, v4, s2
	global_store_short_d16_hi v[0:1], v3, off
	s_mov_b64 s[6:7], -1
	s_mov_b64 s[2:3], 0
.LBB353_380:
	s_mov_b64 s[8:9], 0
.LBB353_381:
	s_and_b64 vcc, exec, s[8:9]
	s_cbranch_vccz .LBB353_384
; %bb.382:
	s_cmp_eq_u32 s13, 11
	s_mov_b64 s[2:3], -1
	s_cbranch_scc0 .LBB353_384
; %bb.383:
	v_cmp_ne_u16_e32 vcc, 0, v2
	s_mov_b64 s[6:7], -1
	s_mov_b64 s[2:3], 0
	v_cndmask_b32_e64 v3, 0, 1, vcc
	global_store_byte v[0:1], v3, off
.LBB353_384:
	s_mov_b64 s[8:9], 0
.LBB353_385:
	s_and_b64 vcc, exec, s[8:9]
	s_cbranch_vccz .LBB353_424
; %bb.386:
	s_and_b32 s8, 0xffff, s12
	s_cmp_lt_i32 s8, 5
	s_mov_b64 s[6:7], -1
	s_cbranch_scc1 .LBB353_407
; %bb.387:
	s_cmp_lt_i32 s8, 8
	s_cbranch_scc1 .LBB353_397
; %bb.388:
	s_cmp_lt_i32 s8, 9
	s_cbranch_scc1 .LBB353_394
; %bb.389:
	s_cmp_gt_i32 s8, 9
	s_cbranch_scc0 .LBB353_391
; %bb.390:
	v_mov_b32_e32 v6, 0
	v_cvt_f64_u32_e32 v[4:5], v2
	v_mov_b32_e32 v7, v6
	s_mov_b64 s[6:7], 0
	global_store_dwordx4 v[0:1], v[4:7], off
.LBB353_391:
	s_andn2_b64 vcc, exec, s[6:7]
	s_cbranch_vccnz .LBB353_393
; %bb.392:
	v_cvt_f32_ubyte0_e32 v4, v2
	v_mov_b32_e32 v5, 0
	global_store_dwordx2 v[0:1], v[4:5], off
.LBB353_393:
	s_mov_b64 s[6:7], 0
.LBB353_394:
	s_andn2_b64 vcc, exec, s[6:7]
	s_cbranch_vccnz .LBB353_396
; %bb.395:
	v_cvt_f16_u16_e32 v3, v2
	global_store_dword v[0:1], v3, off
.LBB353_396:
	s_mov_b64 s[6:7], 0
.LBB353_397:
	s_andn2_b64 vcc, exec, s[6:7]
	s_cbranch_vccnz .LBB353_406
; %bb.398:
	s_cmp_lt_i32 s8, 6
	s_mov_b64 s[6:7], -1
	s_cbranch_scc1 .LBB353_404
; %bb.399:
	s_cmp_gt_i32 s8, 6
	s_cbranch_scc0 .LBB353_401
; %bb.400:
	v_cvt_f64_u32_e32 v[4:5], v2
	s_mov_b64 s[6:7], 0
	global_store_dwordx2 v[0:1], v[4:5], off
.LBB353_401:
	s_andn2_b64 vcc, exec, s[6:7]
	s_cbranch_vccnz .LBB353_403
; %bb.402:
	v_cvt_f32_ubyte0_e32 v3, v2
	global_store_dword v[0:1], v3, off
.LBB353_403:
	s_mov_b64 s[6:7], 0
.LBB353_404:
	s_andn2_b64 vcc, exec, s[6:7]
	s_cbranch_vccnz .LBB353_406
; %bb.405:
	v_cvt_f16_u16_e32 v3, v2
	global_store_short v[0:1], v3, off
.LBB353_406:
	s_mov_b64 s[6:7], 0
.LBB353_407:
	s_andn2_b64 vcc, exec, s[6:7]
	s_cbranch_vccnz .LBB353_423
; %bb.408:
	s_cmp_lt_i32 s8, 2
	s_mov_b64 s[6:7], -1
	s_cbranch_scc1 .LBB353_418
; %bb.409:
	s_cmp_lt_i32 s8, 3
	s_cbranch_scc1 .LBB353_415
; %bb.410:
	s_cmp_gt_i32 s8, 3
	s_cbranch_scc0 .LBB353_412
; %bb.411:
	s_mov_b32 s6, 0
	v_mov_b32_e32 v3, s6
	s_mov_b64 s[6:7], 0
	global_store_dwordx2 v[0:1], v[2:3], off
.LBB353_412:
	s_andn2_b64 vcc, exec, s[6:7]
	s_cbranch_vccnz .LBB353_414
; %bb.413:
	global_store_dword v[0:1], v2, off
.LBB353_414:
	s_mov_b64 s[6:7], 0
.LBB353_415:
	s_andn2_b64 vcc, exec, s[6:7]
	s_cbranch_vccnz .LBB353_417
; %bb.416:
	global_store_short v[0:1], v2, off
.LBB353_417:
	s_mov_b64 s[6:7], 0
.LBB353_418:
	s_andn2_b64 vcc, exec, s[6:7]
	s_cbranch_vccnz .LBB353_423
; %bb.419:
	s_cmp_gt_i32 s8, 0
	s_mov_b64 s[6:7], -1
	s_cbranch_scc0 .LBB353_421
; %bb.420:
	s_mov_b64 s[6:7], 0
	global_store_byte v[0:1], v2, off
.LBB353_421:
	s_andn2_b64 vcc, exec, s[6:7]
	s_cbranch_vccnz .LBB353_423
; %bb.422:
	global_store_byte v[0:1], v2, off
.LBB353_423:
	s_mov_b64 s[6:7], -1
.LBB353_424:
	s_andn2_b64 vcc, exec, s[6:7]
	s_cbranch_vccnz .LBB353_426
; %bb.425:
	v_add_u32_e32 v12, 0x80, v12
	s_mov_b64 s[6:7], -1
	s_branch .LBB353_535
.LBB353_426:
	s_mov_b64 s[6:7], 0
	s_branch .LBB353_534
.LBB353_427:
	s_mov_b64 s[4:5], -1
                                        ; implicit-def: $vgpr4
.LBB353_428:
	s_mov_b64 s[6:7], 0
.LBB353_429:
	s_and_b64 vcc, exec, s[6:7]
	s_cbranch_vccz .LBB353_433
; %bb.430:
	s_cmp_eq_u32 s9, 29
	s_cbranch_scc0 .LBB353_432
; %bb.431:
	global_load_dwordx2 v[4:5], v[2:3], off
	s_mov_b64 s[2:3], -1
	s_mov_b64 s[4:5], 0
	s_branch .LBB353_433
.LBB353_432:
	s_mov_b64 s[4:5], -1
                                        ; implicit-def: $vgpr4
.LBB353_433:
	s_mov_b64 s[6:7], 0
.LBB353_434:
	s_and_b64 vcc, exec, s[6:7]
	s_cbranch_vccz .LBB353_450
; %bb.435:
	s_cmp_lt_i32 s9, 27
	s_cbranch_scc1 .LBB353_438
; %bb.436:
	s_cmp_gt_i32 s9, 27
	s_cbranch_scc0 .LBB353_439
; %bb.437:
	global_load_dword v4, v[2:3], off
	s_mov_b64 s[2:3], 0
	s_branch .LBB353_440
.LBB353_438:
	s_mov_b64 s[2:3], -1
                                        ; implicit-def: $vgpr4
	s_branch .LBB353_443
.LBB353_439:
	s_mov_b64 s[2:3], -1
                                        ; implicit-def: $vgpr4
.LBB353_440:
	s_andn2_b64 vcc, exec, s[2:3]
	s_cbranch_vccnz .LBB353_442
; %bb.441:
	global_load_ushort v4, v[2:3], off
.LBB353_442:
	s_mov_b64 s[2:3], 0
.LBB353_443:
	s_andn2_b64 vcc, exec, s[2:3]
	s_cbranch_vccnz .LBB353_449
; %bb.444:
	global_load_ubyte v1, v[2:3], off
	s_movk_i32 s2, 0x7f
	s_mov_b64 s[6:7], 0
	s_waitcnt vmcnt(0)
	v_cmp_lt_i16_e32 vcc, s2, v1
	s_and_saveexec_b64 s[2:3], vcc
	s_xor_b64 s[2:3], exec, s[2:3]
	s_cbranch_execz .LBB353_461
; %bb.445:
	s_movk_i32 s6, 0x80
	v_cmp_ne_u16_e32 vcc, s6, v1
	s_and_b64 s[6:7], vcc, exec
	s_andn2_saveexec_b64 s[2:3], s[2:3]
	s_cbranch_execnz .LBB353_462
.LBB353_446:
	s_or_b64 exec, exec, s[2:3]
	v_mov_b32_e32 v4, 0
	s_and_saveexec_b64 s[2:3], s[6:7]
	s_cbranch_execz .LBB353_448
.LBB353_447:
	v_lshlrev_b32_e32 v4, 24, v1
	v_and_b32_e32 v1, 0xffff, v1
	v_and_b32_e32 v5, 7, v1
	v_ffbh_u32_e32 v7, v5
	v_min_u32_e32 v7, 32, v7
	v_subrev_u32_e32 v8, 28, v7
	v_bfe_u32 v6, v1, 3, 4
	v_lshlrev_b32_e32 v1, v8, v1
	v_sub_u32_e32 v7, 29, v7
	v_and_b32_e32 v1, 7, v1
	v_cmp_eq_u32_e32 vcc, 0, v6
	v_and_b32_e32 v4, 0x80000000, v4
	s_mov_b32 s6, 0x2f800000
	v_cndmask_b32_e32 v6, v6, v7, vcc
	v_cndmask_b32_e32 v1, v5, v1, vcc
	v_mov_b32_e32 v5, 0x3b800000
	v_lshlrev_b32_e32 v1, 20, v1
	v_lshl_add_u32 v5, v6, 23, v5
	v_or3_b32 v1, v4, v5, v1
	v_trunc_f32_e32 v1, v1
	v_mul_f32_e64 v4, |v1|, s6
	v_floor_f32_e32 v4, v4
	s_mov_b32 s6, 0xcf800000
	v_fma_f32 v4, v4, s6, |v1|
	v_cvt_u32_f32_e32 v4, v4
	v_ashrrev_i32_e32 v1, 31, v1
	v_xor_b32_e32 v4, v4, v1
	v_sub_u32_e32 v4, v4, v1
.LBB353_448:
	s_or_b64 exec, exec, s[2:3]
.LBB353_449:
	s_mov_b64 s[2:3], -1
.LBB353_450:
	s_mov_b64 s[6:7], 0
.LBB353_451:
	s_and_b64 vcc, exec, s[6:7]
	s_cbranch_vccz .LBB353_484
; %bb.452:
	s_cmp_gt_i32 s9, 22
	s_cbranch_scc0 .LBB353_460
; %bb.453:
	s_cmp_lt_i32 s9, 24
	s_cbranch_scc1 .LBB353_463
; %bb.454:
	s_cmp_gt_i32 s9, 24
	s_cbranch_scc0 .LBB353_464
; %bb.455:
	global_load_ubyte v1, v[2:3], off
	s_movk_i32 s2, 0x7f
	s_mov_b64 s[6:7], 0
	s_waitcnt vmcnt(0)
	v_cmp_lt_i16_e32 vcc, s2, v1
	s_and_saveexec_b64 s[2:3], vcc
	s_xor_b64 s[2:3], exec, s[2:3]
	s_cbranch_execz .LBB353_476
; %bb.456:
	s_movk_i32 s6, 0x80
	v_cmp_ne_u16_e32 vcc, s6, v1
	s_and_b64 s[6:7], vcc, exec
	s_andn2_saveexec_b64 s[2:3], s[2:3]
	s_cbranch_execnz .LBB353_477
.LBB353_457:
	s_or_b64 exec, exec, s[2:3]
	v_mov_b32_e32 v4, 0
	s_and_saveexec_b64 s[2:3], s[6:7]
	s_cbranch_execz .LBB353_459
.LBB353_458:
	v_lshlrev_b32_e32 v4, 24, v1
	v_and_b32_e32 v1, 0xffff, v1
	v_and_b32_e32 v5, 3, v1
	v_ffbh_u32_e32 v7, v5
	v_min_u32_e32 v7, 32, v7
	v_subrev_u32_e32 v8, 29, v7
	v_bfe_u32 v6, v1, 2, 5
	v_lshlrev_b32_e32 v1, v8, v1
	v_sub_u32_e32 v7, 30, v7
	v_and_b32_e32 v1, 3, v1
	v_cmp_eq_u32_e32 vcc, 0, v6
	v_and_b32_e32 v4, 0x80000000, v4
	s_mov_b32 s6, 0x2f800000
	v_cndmask_b32_e32 v6, v6, v7, vcc
	v_cndmask_b32_e32 v1, v5, v1, vcc
	v_mov_b32_e32 v5, 0x37800000
	v_lshlrev_b32_e32 v1, 21, v1
	v_lshl_add_u32 v5, v6, 23, v5
	v_or3_b32 v1, v4, v5, v1
	v_trunc_f32_e32 v1, v1
	v_mul_f32_e64 v4, |v1|, s6
	v_floor_f32_e32 v4, v4
	s_mov_b32 s6, 0xcf800000
	v_fma_f32 v4, v4, s6, |v1|
	v_cvt_u32_f32_e32 v4, v4
	v_ashrrev_i32_e32 v1, 31, v1
	v_xor_b32_e32 v4, v4, v1
	v_sub_u32_e32 v4, v4, v1
.LBB353_459:
	s_or_b64 exec, exec, s[2:3]
	s_mov_b64 s[2:3], 0
	s_branch .LBB353_465
.LBB353_460:
	s_mov_b64 s[6:7], -1
                                        ; implicit-def: $vgpr4
	s_branch .LBB353_471
.LBB353_461:
	s_andn2_saveexec_b64 s[2:3], s[2:3]
	s_cbranch_execz .LBB353_446
.LBB353_462:
	v_cmp_ne_u16_e32 vcc, 0, v1
	s_andn2_b64 s[6:7], s[6:7], exec
	s_and_b64 s[10:11], vcc, exec
	s_or_b64 s[6:7], s[6:7], s[10:11]
	s_or_b64 exec, exec, s[2:3]
	v_mov_b32_e32 v4, 0
	s_and_saveexec_b64 s[2:3], s[6:7]
	s_cbranch_execnz .LBB353_447
	s_branch .LBB353_448
.LBB353_463:
	s_mov_b64 s[2:3], -1
                                        ; implicit-def: $vgpr4
	s_branch .LBB353_468
.LBB353_464:
	s_mov_b64 s[2:3], -1
                                        ; implicit-def: $vgpr4
.LBB353_465:
	s_and_b64 vcc, exec, s[2:3]
	s_cbranch_vccz .LBB353_467
; %bb.466:
	global_load_ubyte v1, v[2:3], off
	s_mov_b32 s2, 0x7f800000
	s_brev_b32 s3, 1
	s_mov_b32 s6, 0x2f800000
	s_waitcnt vmcnt(0)
	v_lshlrev_b32_e32 v1, 24, v1
	v_and_b32_e32 v4, 0x7f000000, v1
	v_ffbh_u32_e32 v5, v4
	v_min_u32_e32 v5, 32, v5
	v_sub_u32_e64 v5, v5, 4 clamp
	v_lshlrev_b32_e32 v7, v5, v4
	v_lshlrev_b32_e32 v5, 23, v5
	v_lshrrev_b32_e32 v7, 4, v7
	v_add_u32_e32 v6, 0x1000000, v4
	v_sub_u32_e32 v5, v7, v5
	v_ashrrev_i32_e32 v6, 8, v6
	v_add_u32_e32 v5, 0x3c000000, v5
	v_and_or_b32 v5, v6, s2, v5
	v_cmp_ne_u32_e32 vcc, 0, v4
	s_mov_b32 s2, 0xcf800000
	s_nop 0
	v_cndmask_b32_e32 v4, 0, v5, vcc
	v_and_or_b32 v1, v1, s3, v4
	v_trunc_f32_e32 v1, v1
	v_mul_f32_e64 v4, |v1|, s6
	v_floor_f32_e32 v4, v4
	v_fma_f32 v4, v4, s2, |v1|
	v_cvt_u32_f32_e32 v4, v4
	v_ashrrev_i32_e32 v1, 31, v1
	v_xor_b32_e32 v4, v4, v1
	v_sub_u32_e32 v4, v4, v1
.LBB353_467:
	s_mov_b64 s[2:3], 0
.LBB353_468:
	s_andn2_b64 vcc, exec, s[2:3]
	s_cbranch_vccnz .LBB353_470
; %bb.469:
	global_load_ubyte v1, v[2:3], off
	s_movk_i32 s2, 0x7f00
	s_brev_b32 s3, 16
	s_brev_b32 s6, 1
	s_mov_b32 s7, 0x2f800000
	s_waitcnt vmcnt(0)
	v_lshlrev_b16_e32 v4, 8, v1
	v_lshlrev_b32_e32 v1, 25, v1
	v_lshrrev_b32_e32 v5, 4, v1
	v_and_or_b32 v6, v4, s2, 0.5
	v_or_b32_e32 v5, 0x70000000, v5
	v_add_f32_e32 v6, -0.5, v6
	v_mul_f32_e32 v5, 0x7800000, v5
	v_cmp_gt_u32_e32 vcc, s3, v1
	v_bfe_i32 v4, v4, 0, 16
	s_mov_b32 s2, 0xcf800000
	v_cndmask_b32_e32 v1, v5, v6, vcc
	v_and_or_b32 v1, v4, s6, v1
	v_trunc_f32_e32 v1, v1
	v_mul_f32_e64 v4, |v1|, s7
	v_floor_f32_e32 v4, v4
	v_fma_f32 v4, v4, s2, |v1|
	v_cvt_u32_f32_e32 v4, v4
	v_ashrrev_i32_e32 v1, 31, v1
	v_xor_b32_e32 v4, v4, v1
	v_sub_u32_e32 v4, v4, v1
.LBB353_470:
	s_mov_b64 s[6:7], 0
	s_mov_b64 s[2:3], -1
.LBB353_471:
	s_andn2_b64 vcc, exec, s[6:7]
	s_cbranch_vccnz .LBB353_484
; %bb.472:
	s_cmp_gt_i32 s9, 14
	s_cbranch_scc0 .LBB353_475
; %bb.473:
	s_cmp_eq_u32 s9, 15
	s_cbranch_scc0 .LBB353_478
; %bb.474:
	global_load_ushort v1, v[2:3], off
	s_mov_b32 s2, 0x2f800000
	s_mov_b32 s3, 0xcf800000
	s_mov_b64 s[4:5], 0
	s_waitcnt vmcnt(0)
	v_lshlrev_b32_e32 v1, 16, v1
	v_trunc_f32_e32 v1, v1
	v_mul_f32_e64 v4, |v1|, s2
	v_floor_f32_e32 v4, v4
	v_fma_f32 v4, v4, s3, |v1|
	v_cvt_u32_f32_e32 v4, v4
	v_ashrrev_i32_e32 v1, 31, v1
	s_mov_b64 s[2:3], -1
	v_xor_b32_e32 v4, v4, v1
	v_sub_u32_e32 v4, v4, v1
	s_branch .LBB353_479
.LBB353_475:
	s_mov_b64 s[6:7], -1
                                        ; implicit-def: $vgpr4
	s_branch .LBB353_480
.LBB353_476:
	s_andn2_saveexec_b64 s[2:3], s[2:3]
	s_cbranch_execz .LBB353_457
.LBB353_477:
	v_cmp_ne_u16_e32 vcc, 0, v1
	s_andn2_b64 s[6:7], s[6:7], exec
	s_and_b64 s[10:11], vcc, exec
	s_or_b64 s[6:7], s[6:7], s[10:11]
	s_or_b64 exec, exec, s[2:3]
	v_mov_b32_e32 v4, 0
	s_and_saveexec_b64 s[2:3], s[6:7]
	s_cbranch_execnz .LBB353_458
	s_branch .LBB353_459
.LBB353_478:
	s_mov_b64 s[4:5], -1
                                        ; implicit-def: $vgpr4
.LBB353_479:
	s_mov_b64 s[6:7], 0
.LBB353_480:
	s_and_b64 vcc, exec, s[6:7]
	s_cbranch_vccz .LBB353_484
; %bb.481:
	s_cmp_eq_u32 s9, 11
	s_cbranch_scc0 .LBB353_483
; %bb.482:
	global_load_ubyte v1, v[2:3], off
	s_mov_b64 s[2:3], -1
	s_mov_b64 s[4:5], 0
	s_waitcnt vmcnt(0)
	v_cmp_ne_u16_e32 vcc, 0, v1
	s_nop 1
	v_cndmask_b32_e64 v4, 0, 1, vcc
	s_branch .LBB353_484
.LBB353_483:
	s_mov_b64 s[4:5], -1
                                        ; implicit-def: $vgpr4
.LBB353_484:
	s_branch .LBB353_291
.LBB353_485:
	s_and_b32 s6, 0xffff, s8
	s_cmp_lt_i32 s6, 5
	s_cbranch_scc1 .LBB353_490
; %bb.486:
	s_cmp_lt_i32 s6, 8
	s_cbranch_scc1 .LBB353_491
; %bb.487:
	;; [unrolled: 3-line block ×3, first 2 shown]
	s_cmp_gt_i32 s6, 9
	s_cbranch_scc0 .LBB353_493
; %bb.489:
	global_load_dwordx2 v[4:5], v[2:3], off
	s_movk_i32 s2, 0xffe0
	s_waitcnt vmcnt(0)
	v_trunc_f64_e32 v[4:5], v[4:5]
	v_ldexp_f64 v[6:7], v[4:5], s2
	v_floor_f64_e32 v[6:7], v[6:7]
	v_fmac_f64_e32 v[4:5], 0xc1f00000, v[6:7]
	v_cvt_u32_f64_e32 v4, v[4:5]
	s_mov_b64 s[2:3], 0
	s_branch .LBB353_494
.LBB353_490:
	s_mov_b64 s[2:3], -1
                                        ; implicit-def: $vgpr4
	s_branch .LBB353_512
.LBB353_491:
	s_mov_b64 s[2:3], -1
                                        ; implicit-def: $vgpr4
	s_branch .LBB353_500
.LBB353_492:
	s_mov_b64 s[2:3], -1
                                        ; implicit-def: $vgpr4
	s_branch .LBB353_497
.LBB353_493:
	s_mov_b64 s[2:3], -1
                                        ; implicit-def: $vgpr4
.LBB353_494:
	s_andn2_b64 vcc, exec, s[2:3]
	s_cbranch_vccnz .LBB353_496
; %bb.495:
	global_load_dword v1, v[2:3], off
	s_mov_b32 s2, 0x2f800000
	s_waitcnt vmcnt(0)
	v_trunc_f32_e32 v1, v1
	v_mul_f32_e64 v4, |v1|, s2
	v_floor_f32_e32 v4, v4
	s_mov_b32 s2, 0xcf800000
	v_fma_f32 v4, v4, s2, |v1|
	v_cvt_u32_f32_e32 v4, v4
	v_ashrrev_i32_e32 v1, 31, v1
	v_xor_b32_e32 v4, v4, v1
	v_sub_u32_e32 v4, v4, v1
.LBB353_496:
	s_mov_b64 s[2:3], 0
.LBB353_497:
	s_andn2_b64 vcc, exec, s[2:3]
	s_cbranch_vccnz .LBB353_499
; %bb.498:
	global_load_dword v1, v[2:3], off
	s_waitcnt vmcnt(0)
	v_cvt_f32_f16_e32 v1, v1
	v_cvt_i32_f32_e32 v4, v1
.LBB353_499:
	s_mov_b64 s[2:3], 0
.LBB353_500:
	s_andn2_b64 vcc, exec, s[2:3]
	s_cbranch_vccnz .LBB353_511
; %bb.501:
	s_cmp_lt_i32 s6, 6
	s_cbranch_scc1 .LBB353_504
; %bb.502:
	s_cmp_gt_i32 s6, 6
	s_cbranch_scc0 .LBB353_505
; %bb.503:
	global_load_dwordx2 v[4:5], v[2:3], off
	s_movk_i32 s2, 0xffe0
	s_waitcnt vmcnt(0)
	v_trunc_f64_e32 v[4:5], v[4:5]
	v_ldexp_f64 v[6:7], v[4:5], s2
	v_floor_f64_e32 v[6:7], v[6:7]
	v_fmac_f64_e32 v[4:5], 0xc1f00000, v[6:7]
	v_cvt_u32_f64_e32 v4, v[4:5]
	s_mov_b64 s[2:3], 0
	s_branch .LBB353_506
.LBB353_504:
	s_mov_b64 s[2:3], -1
                                        ; implicit-def: $vgpr4
	s_branch .LBB353_509
.LBB353_505:
	s_mov_b64 s[2:3], -1
                                        ; implicit-def: $vgpr4
.LBB353_506:
	s_andn2_b64 vcc, exec, s[2:3]
	s_cbranch_vccnz .LBB353_508
; %bb.507:
	global_load_dword v1, v[2:3], off
	s_mov_b32 s2, 0x2f800000
	s_waitcnt vmcnt(0)
	v_trunc_f32_e32 v1, v1
	v_mul_f32_e64 v4, |v1|, s2
	v_floor_f32_e32 v4, v4
	s_mov_b32 s2, 0xcf800000
	v_fma_f32 v4, v4, s2, |v1|
	v_cvt_u32_f32_e32 v4, v4
	v_ashrrev_i32_e32 v1, 31, v1
	v_xor_b32_e32 v4, v4, v1
	v_sub_u32_e32 v4, v4, v1
.LBB353_508:
	s_mov_b64 s[2:3], 0
.LBB353_509:
	s_andn2_b64 vcc, exec, s[2:3]
	s_cbranch_vccnz .LBB353_511
; %bb.510:
	global_load_ushort v1, v[2:3], off
	s_waitcnt vmcnt(0)
	v_cvt_f32_f16_e32 v1, v1
	v_cvt_i32_f32_e32 v4, v1
.LBB353_511:
	s_mov_b64 s[2:3], 0
.LBB353_512:
	s_andn2_b64 vcc, exec, s[2:3]
	s_cbranch_vccnz .LBB353_532
; %bb.513:
	s_cmp_lt_i32 s6, 2
	s_cbranch_scc1 .LBB353_517
; %bb.514:
	s_cmp_lt_i32 s6, 3
	s_cbranch_scc1 .LBB353_518
; %bb.515:
	s_cmp_gt_i32 s6, 3
	s_cbranch_scc0 .LBB353_519
; %bb.516:
	global_load_dwordx2 v[4:5], v[2:3], off
	s_mov_b64 s[2:3], 0
	s_branch .LBB353_520
.LBB353_517:
	s_mov_b64 s[2:3], -1
                                        ; implicit-def: $vgpr4
	s_branch .LBB353_526
.LBB353_518:
	s_mov_b64 s[2:3], -1
                                        ; implicit-def: $vgpr4
	s_branch .LBB353_523
.LBB353_519:
	s_mov_b64 s[2:3], -1
                                        ; implicit-def: $vgpr4
.LBB353_520:
	s_andn2_b64 vcc, exec, s[2:3]
	s_cbranch_vccnz .LBB353_522
; %bb.521:
	global_load_dword v4, v[2:3], off
.LBB353_522:
	s_mov_b64 s[2:3], 0
.LBB353_523:
	s_andn2_b64 vcc, exec, s[2:3]
	s_cbranch_vccnz .LBB353_525
; %bb.524:
	global_load_ushort v4, v[2:3], off
.LBB353_525:
	s_mov_b64 s[2:3], 0
.LBB353_526:
	s_andn2_b64 vcc, exec, s[2:3]
	s_cbranch_vccnz .LBB353_532
; %bb.527:
	s_cmp_gt_i32 s6, 0
	s_cbranch_scc0 .LBB353_529
; %bb.528:
	global_load_ubyte v4, v[2:3], off
	s_mov_b64 s[2:3], 0
	s_branch .LBB353_530
.LBB353_529:
	s_mov_b64 s[2:3], -1
                                        ; implicit-def: $vgpr4
.LBB353_530:
	s_andn2_b64 vcc, exec, s[2:3]
	s_cbranch_vccnz .LBB353_532
; %bb.531:
	global_load_ubyte v4, v[2:3], off
.LBB353_532:
	s_branch .LBB353_292
.LBB353_533:
	s_mov_b64 s[6:7], 0
	s_mov_b64 s[2:3], s[54:55]
.LBB353_534:
                                        ; implicit-def: $vgpr12
.LBB353_535:
	s_andn2_b64 s[8:9], s[54:55], exec
	s_and_b64 s[2:3], s[2:3], exec
	s_or_b64 s[62:63], s[8:9], s[2:3]
	s_andn2_b64 s[2:3], s[56:57], exec
	s_and_b64 s[4:5], s[4:5], exec
	s_or_b64 s[60:61], s[2:3], s[4:5]
	s_orn2_b64 s[2:3], s[6:7], exec
.LBB353_536:
	s_or_b64 exec, exec, s[64:65]
	s_mov_b64 s[4:5], 0
	s_mov_b64 s[6:7], 0
	;; [unrolled: 1-line block ×3, first 2 shown]
                                        ; implicit-def: $sgpr14
                                        ; implicit-def: $vgpr2_vgpr3
                                        ; implicit-def: $vgpr0
                                        ; implicit-def: $vgpr6
	s_and_saveexec_b64 s[64:65], s[2:3]
	s_cbranch_execz .LBB353_905
; %bb.537:
	v_cmp_gt_i32_e32 vcc, s70, v12
	s_mov_b64 s[6:7], -1
	s_mov_b64 s[2:3], s[60:61]
	s_mov_b64 s[68:69], s[62:63]
	s_and_saveexec_b64 s[66:67], vcc
	s_cbranch_execz .LBB353_808
; %bb.538:
	s_andn2_b64 vcc, exec, s[42:43]
	s_cbranch_vccnz .LBB353_544
; %bb.539:
	s_andn2_b64 vcc, exec, s[52:53]
	s_cbranch_vccnz .LBB353_545
; %bb.540:
	s_add_i32 s77, s76, 1
	s_cmp_eq_u32 s72, 2
	s_cbranch_scc1 .LBB353_546
; %bb.541:
	s_and_b32 s71, s77, 28
	s_mov_b32 s78, 0
	v_mov_b32_e32 v0, 0
	v_mov_b32_e32 v2, 0
	s_mov_b64 s[2:3], s[34:35]
	s_mov_b64 s[68:69], s[50:51]
	s_waitcnt vmcnt(0)
	v_mov_b32_e32 v4, v12
.LBB353_542:                            ; =>This Inner Loop Header: Depth=1
	s_load_dwordx8 s[12:19], s[2:3], 0x4
	s_load_dwordx4 s[36:39], s[2:3], 0x24
	s_load_dwordx8 s[4:11], s[68:69], 0x0
	s_add_u32 s2, s2, 48
	s_addc_u32 s3, s3, 0
	s_waitcnt lgkmcnt(0)
	v_mul_hi_u32 v1, s13, v4
	v_add_u32_e32 v1, v4, v1
	v_lshrrev_b32_e32 v1, s14, v1
	v_mul_lo_u32 v3, v1, s12
	v_mul_hi_u32 v5, s16, v1
	v_sub_u32_e32 v3, v4, v3
	v_add_u32_e32 v4, v1, v5
	v_lshrrev_b32_e32 v4, s17, v4
	v_mul_lo_u32 v6, v4, s15
	v_mul_hi_u32 v7, s19, v4
	v_sub_u32_e32 v1, v1, v6
	v_add_u32_e32 v6, v4, v7
	v_mul_lo_u32 v5, v3, s5
	v_mul_lo_u32 v3, v3, s4
	;; [unrolled: 1-line block ×4, first 2 shown]
	v_lshrrev_b32_e32 v6, s36, v6
	v_add3_u32 v0, v3, v0, v1
	v_mul_hi_u32 v3, s38, v6
	v_add3_u32 v1, v5, v2, v7
	v_mul_lo_u32 v2, v6, s18
	v_add_u32_e32 v3, v6, v3
	v_sub_u32_e32 v2, v4, v2
	v_lshrrev_b32_e32 v4, s39, v3
	s_add_i32 s78, s78, 4
	v_mul_lo_u32 v3, v4, s37
	s_add_u32 s68, s68, 32
	v_sub_u32_e32 v3, v6, v3
	s_addc_u32 s69, s69, 0
	v_mul_lo_u32 v5, v2, s8
	v_mul_lo_u32 v2, v2, s9
	;; [unrolled: 1-line block ×4, first 2 shown]
	s_cmp_eq_u32 s71, s78
	v_add3_u32 v2, v2, v1, v3
	v_add3_u32 v0, v5, v0, v6
	s_cbranch_scc0 .LBB353_542
; %bb.543:
	v_mov_b32_e32 v1, v2
	s_branch .LBB353_547
.LBB353_544:
	s_mov_b64 s[2:3], -1
                                        ; implicit-def: $vgpr2
                                        ; implicit-def: $vgpr0
	s_branch .LBB353_551
.LBB353_545:
	v_mov_b32_e32 v2, 0
	v_mov_b32_e32 v0, 0
	s_branch .LBB353_550
.LBB353_546:
	v_mov_b32_e32 v0, 0
	s_mov_b32 s71, 0
	v_mov_b32_e32 v1, v0
                                        ; implicit-def: $vgpr2
	s_waitcnt vmcnt(0)
	v_mov_b32_e32 v4, v12
.LBB353_547:
	s_and_b32 s6, s77, 3
	s_cmp_eq_u32 s6, 0
	s_cbranch_scc1 .LBB353_550
; %bb.548:
	s_lshl_b32 s2, s71, 3
	s_add_u32 s2, s34, s2
	s_addc_u32 s3, s35, 0
	s_add_u32 s2, s2, 0xc4
	s_addc_u32 s3, s3, 0
	s_mul_i32 s4, s71, 12
	s_add_u32 s4, s34, s4
	s_addc_u32 s5, s35, 0
.LBB353_549:                            ; =>This Inner Loop Header: Depth=1
	s_load_dwordx2 s[8:9], s[4:5], 0x4
	s_load_dword s7, s[4:5], 0xc
	s_load_dwordx2 s[10:11], s[2:3], 0x0
	v_mov_b32_e32 v2, v1
	s_add_u32 s4, s4, 12
	s_waitcnt lgkmcnt(0)
	v_mul_hi_u32 v1, s9, v4
	v_add_u32_e32 v1, v4, v1
	v_lshrrev_b32_e32 v1, s7, v1
	s_addc_u32 s5, s5, 0
	v_mul_lo_u32 v3, v1, s8
	s_add_u32 s2, s2, 8
	v_sub_u32_e32 v5, v4, v3
	s_addc_u32 s3, s3, 0
	s_add_i32 s6, s6, -1
	v_mov_b32_e32 v4, v1
	v_mad_u64_u32 v[2:3], s[8:9], v5, s11, v[2:3]
	v_mad_u64_u32 v[0:1], s[8:9], v5, s10, v[0:1]
	s_cmp_lg_u32 s6, 0
	v_mov_b32_e32 v1, v2
	s_cbranch_scc1 .LBB353_549
.LBB353_550:
	s_mov_b64 s[2:3], 0
.LBB353_551:
	s_andn2_b64 vcc, exec, s[2:3]
	s_cbranch_vccnz .LBB353_554
; %bb.552:
	v_mul_hi_u32 v0, s25, v12
	v_add_u32_e32 v0, v12, v0
	v_lshrrev_b32_e32 v1, s26, v0
	v_mul_lo_u32 v0, v1, s24
	v_sub_u32_e32 v0, v12, v0
	v_mul_lo_u32 v2, v0, s29
	s_andn2_b64 vcc, exec, s[48:49]
	v_mul_lo_u32 v0, v0, s28
	s_cbranch_vccnz .LBB353_554
; %bb.553:
	v_mul_hi_u32 v3, s46, v1
	v_add_u32_e32 v3, v1, v3
	v_lshrrev_b32_e32 v3, s47, v3
	v_mul_lo_u32 v3, v3, s27
	v_sub_u32_e32 v3, v1, v3
	v_mad_u64_u32 v[0:1], s[2:3], v3, s30, v[0:1]
	v_mad_u64_u32 v[2:3], s[2:3], v3, s31, v[2:3]
.LBB353_554:
	v_mov_b32_e32 v3, 0
	s_and_b32 s8, s75, 0xff
	s_cmp_lt_i32 s8, 11
	v_lshl_add_u64 v[2:3], s[22:23], 0, v[2:3]
	s_cbranch_scc1 .LBB353_561
; %bb.555:
	s_and_b32 s9, 0xffff, s8
	s_cmp_gt_i32 s9, 25
	s_cbranch_scc0 .LBB353_562
; %bb.556:
	s_cmp_gt_i32 s9, 28
	s_cbranch_scc0 .LBB353_563
; %bb.557:
	;; [unrolled: 3-line block ×4, first 2 shown]
	s_cmp_eq_u32 s9, 46
	s_mov_b64 s[6:7], 0
	s_cbranch_scc0 .LBB353_570
; %bb.560:
	global_load_dword v1, v[2:3], off
	s_mov_b32 s2, 0x2f800000
	s_mov_b32 s3, 0xcf800000
	s_mov_b64 s[4:5], 0
	s_waitcnt vmcnt(0)
	v_lshlrev_b32_e32 v1, 16, v1
	v_trunc_f32_e32 v1, v1
	v_mul_f32_e64 v4, |v1|, s2
	v_floor_f32_e32 v4, v4
	v_fma_f32 v4, v4, s3, |v1|
	v_cvt_u32_f32_e32 v4, v4
	v_ashrrev_i32_e32 v1, 31, v1
	s_mov_b64 s[2:3], -1
	v_xor_b32_e32 v4, v4, v1
	v_sub_u32_e32 v4, v4, v1
	s_branch .LBB353_571
.LBB353_561:
	s_mov_b64 s[6:7], -1
	s_mov_b64 s[2:3], 0
                                        ; implicit-def: $vgpr4
	s_mov_b64 s[4:5], s[60:61]
	s_branch .LBB353_632
.LBB353_562:
	s_mov_b64 s[6:7], -1
	s_mov_b64 s[2:3], 0
	s_mov_b64 s[4:5], s[60:61]
                                        ; implicit-def: $vgpr4
	s_branch .LBB353_598
.LBB353_563:
	s_mov_b64 s[6:7], -1
	s_mov_b64 s[2:3], 0
	s_mov_b64 s[4:5], s[60:61]
                                        ; implicit-def: $vgpr4
	s_branch .LBB353_581
.LBB353_564:
	s_mov_b64 s[6:7], -1
	s_mov_b64 s[2:3], 0
	s_mov_b64 s[4:5], s[60:61]
                                        ; implicit-def: $vgpr4
	s_branch .LBB353_576
.LBB353_565:
	s_andn2_saveexec_b64 s[10:11], s[10:11]
	s_cbranch_execz .LBB353_337
.LBB353_566:
	v_add_f32_e32 v3, 0x46000000, v4
	v_and_b32_e32 v3, 0xff, v3
	v_cmp_ne_u32_e32 vcc, 0, v3
	s_andn2_b64 s[8:9], s[8:9], exec
	s_and_b64 s[14:15], vcc, exec
	s_or_b64 s[8:9], s[8:9], s[14:15]
	s_or_b64 exec, exec, s[10:11]
	v_mov_b32_e32 v5, 0
	s_and_saveexec_b64 s[10:11], s[8:9]
	s_cbranch_execnz .LBB353_338
	s_branch .LBB353_339
.LBB353_567:
	s_mov_b64 s[6:7], -1
	s_mov_b64 s[2:3], 0
	s_mov_b64 s[4:5], s[60:61]
                                        ; implicit-def: $vgpr4
	s_branch .LBB353_571
.LBB353_568:
	s_andn2_saveexec_b64 s[10:11], s[10:11]
	s_cbranch_execz .LBB353_350
.LBB353_569:
	v_add_f32_e32 v3, 0x42800000, v4
	v_and_b32_e32 v3, 0xff, v3
	v_cmp_ne_u32_e32 vcc, 0, v3
	s_andn2_b64 s[8:9], s[8:9], exec
	s_and_b64 s[14:15], vcc, exec
	s_or_b64 s[8:9], s[8:9], s[14:15]
	s_or_b64 exec, exec, s[10:11]
	v_mov_b32_e32 v5, 0
	s_and_saveexec_b64 s[10:11], s[8:9]
	s_cbranch_execnz .LBB353_351
	s_branch .LBB353_352
.LBB353_570:
	s_mov_b64 s[4:5], -1
                                        ; implicit-def: $vgpr4
	s_mov_b64 s[2:3], 0
.LBB353_571:
	s_and_b64 vcc, exec, s[6:7]
	s_cbranch_vccz .LBB353_575
; %bb.572:
	s_cmp_eq_u32 s9, 44
	s_cbranch_scc0 .LBB353_574
; %bb.573:
	global_load_ubyte v1, v[2:3], off
	s_mov_b32 s2, 0x2f800000
	s_mov_b32 s3, 0xcf800000
	s_mov_b64 s[4:5], 0
	s_waitcnt vmcnt(0)
	v_lshlrev_b32_e32 v4, 23, v1
	v_trunc_f32_e32 v4, v4
	v_mul_f32_e64 v5, |v4|, s2
	v_floor_f32_e32 v5, v5
	v_fma_f32 v5, v5, s3, |v4|
	v_cvt_u32_f32_e32 v5, v5
	v_ashrrev_i32_e32 v4, 31, v4
	v_cmp_ne_u32_e32 vcc, 0, v1
	s_mov_b64 s[2:3], -1
	v_xor_b32_e32 v5, v5, v4
	v_sub_u32_e32 v4, v5, v4
	v_cndmask_b32_e32 v4, 0, v4, vcc
	s_branch .LBB353_575
.LBB353_574:
	s_mov_b64 s[4:5], -1
                                        ; implicit-def: $vgpr4
.LBB353_575:
	s_mov_b64 s[6:7], 0
.LBB353_576:
	s_and_b64 vcc, exec, s[6:7]
	s_cbranch_vccz .LBB353_580
; %bb.577:
	s_cmp_eq_u32 s9, 29
	s_cbranch_scc0 .LBB353_579
; %bb.578:
	global_load_dwordx2 v[4:5], v[2:3], off
	s_mov_b64 s[2:3], -1
	s_mov_b64 s[4:5], 0
	s_branch .LBB353_580
.LBB353_579:
	s_mov_b64 s[4:5], -1
                                        ; implicit-def: $vgpr4
.LBB353_580:
	s_mov_b64 s[6:7], 0
.LBB353_581:
	s_and_b64 vcc, exec, s[6:7]
	s_cbranch_vccz .LBB353_597
; %bb.582:
	s_cmp_lt_i32 s9, 27
	s_cbranch_scc1 .LBB353_585
; %bb.583:
	s_cmp_gt_i32 s9, 27
	s_cbranch_scc0 .LBB353_586
; %bb.584:
	global_load_dword v4, v[2:3], off
	s_mov_b64 s[2:3], 0
	s_branch .LBB353_587
.LBB353_585:
	s_mov_b64 s[2:3], -1
                                        ; implicit-def: $vgpr4
	s_branch .LBB353_590
.LBB353_586:
	s_mov_b64 s[2:3], -1
                                        ; implicit-def: $vgpr4
.LBB353_587:
	s_andn2_b64 vcc, exec, s[2:3]
	s_cbranch_vccnz .LBB353_589
; %bb.588:
	global_load_ushort v4, v[2:3], off
.LBB353_589:
	s_mov_b64 s[2:3], 0
.LBB353_590:
	s_andn2_b64 vcc, exec, s[2:3]
	s_cbranch_vccnz .LBB353_596
; %bb.591:
	global_load_ubyte v1, v[2:3], off
	s_movk_i32 s2, 0x7f
	s_mov_b64 s[6:7], 0
	s_waitcnt vmcnt(0)
	v_cmp_lt_i16_e32 vcc, s2, v1
	s_and_saveexec_b64 s[2:3], vcc
	s_xor_b64 s[2:3], exec, s[2:3]
	s_cbranch_execz .LBB353_608
; %bb.592:
	s_movk_i32 s6, 0x80
	v_cmp_ne_u16_e32 vcc, s6, v1
	s_and_b64 s[6:7], vcc, exec
	s_andn2_saveexec_b64 s[2:3], s[2:3]
	s_cbranch_execnz .LBB353_609
.LBB353_593:
	s_or_b64 exec, exec, s[2:3]
	v_mov_b32_e32 v4, 0
	s_and_saveexec_b64 s[2:3], s[6:7]
	s_cbranch_execz .LBB353_595
.LBB353_594:
	v_lshlrev_b32_e32 v4, 24, v1
	v_and_b32_e32 v1, 0xffff, v1
	v_and_b32_e32 v5, 7, v1
	v_ffbh_u32_e32 v7, v5
	v_min_u32_e32 v7, 32, v7
	v_subrev_u32_e32 v8, 28, v7
	v_bfe_u32 v6, v1, 3, 4
	v_lshlrev_b32_e32 v1, v8, v1
	v_sub_u32_e32 v7, 29, v7
	v_and_b32_e32 v1, 7, v1
	v_cmp_eq_u32_e32 vcc, 0, v6
	v_and_b32_e32 v4, 0x80000000, v4
	s_mov_b32 s6, 0x2f800000
	v_cndmask_b32_e32 v6, v6, v7, vcc
	v_cndmask_b32_e32 v1, v5, v1, vcc
	v_mov_b32_e32 v5, 0x3b800000
	v_lshlrev_b32_e32 v1, 20, v1
	v_lshl_add_u32 v5, v6, 23, v5
	v_or3_b32 v1, v4, v5, v1
	v_trunc_f32_e32 v1, v1
	v_mul_f32_e64 v4, |v1|, s6
	v_floor_f32_e32 v4, v4
	s_mov_b32 s6, 0xcf800000
	v_fma_f32 v4, v4, s6, |v1|
	v_cvt_u32_f32_e32 v4, v4
	v_ashrrev_i32_e32 v1, 31, v1
	v_xor_b32_e32 v4, v4, v1
	v_sub_u32_e32 v4, v4, v1
.LBB353_595:
	s_or_b64 exec, exec, s[2:3]
.LBB353_596:
	s_mov_b64 s[2:3], -1
.LBB353_597:
	s_mov_b64 s[6:7], 0
.LBB353_598:
	s_and_b64 vcc, exec, s[6:7]
	s_cbranch_vccz .LBB353_631
; %bb.599:
	s_cmp_gt_i32 s9, 22
	s_cbranch_scc0 .LBB353_607
; %bb.600:
	s_cmp_lt_i32 s9, 24
	s_cbranch_scc1 .LBB353_610
; %bb.601:
	s_cmp_gt_i32 s9, 24
	s_cbranch_scc0 .LBB353_611
; %bb.602:
	global_load_ubyte v1, v[2:3], off
	s_movk_i32 s2, 0x7f
	s_mov_b64 s[6:7], 0
	s_waitcnt vmcnt(0)
	v_cmp_lt_i16_e32 vcc, s2, v1
	s_and_saveexec_b64 s[2:3], vcc
	s_xor_b64 s[2:3], exec, s[2:3]
	s_cbranch_execz .LBB353_623
; %bb.603:
	s_movk_i32 s6, 0x80
	v_cmp_ne_u16_e32 vcc, s6, v1
	s_and_b64 s[6:7], vcc, exec
	s_andn2_saveexec_b64 s[2:3], s[2:3]
	s_cbranch_execnz .LBB353_624
.LBB353_604:
	s_or_b64 exec, exec, s[2:3]
	v_mov_b32_e32 v4, 0
	s_and_saveexec_b64 s[2:3], s[6:7]
	s_cbranch_execz .LBB353_606
.LBB353_605:
	v_lshlrev_b32_e32 v4, 24, v1
	v_and_b32_e32 v1, 0xffff, v1
	v_and_b32_e32 v5, 3, v1
	v_ffbh_u32_e32 v7, v5
	v_min_u32_e32 v7, 32, v7
	v_subrev_u32_e32 v8, 29, v7
	v_bfe_u32 v6, v1, 2, 5
	v_lshlrev_b32_e32 v1, v8, v1
	v_sub_u32_e32 v7, 30, v7
	v_and_b32_e32 v1, 3, v1
	v_cmp_eq_u32_e32 vcc, 0, v6
	v_and_b32_e32 v4, 0x80000000, v4
	s_mov_b32 s6, 0x2f800000
	v_cndmask_b32_e32 v6, v6, v7, vcc
	v_cndmask_b32_e32 v1, v5, v1, vcc
	v_mov_b32_e32 v5, 0x37800000
	v_lshlrev_b32_e32 v1, 21, v1
	v_lshl_add_u32 v5, v6, 23, v5
	v_or3_b32 v1, v4, v5, v1
	v_trunc_f32_e32 v1, v1
	v_mul_f32_e64 v4, |v1|, s6
	v_floor_f32_e32 v4, v4
	s_mov_b32 s6, 0xcf800000
	v_fma_f32 v4, v4, s6, |v1|
	v_cvt_u32_f32_e32 v4, v4
	v_ashrrev_i32_e32 v1, 31, v1
	v_xor_b32_e32 v4, v4, v1
	v_sub_u32_e32 v4, v4, v1
.LBB353_606:
	s_or_b64 exec, exec, s[2:3]
	s_mov_b64 s[2:3], 0
	s_branch .LBB353_612
.LBB353_607:
	s_mov_b64 s[6:7], -1
                                        ; implicit-def: $vgpr4
	s_branch .LBB353_618
.LBB353_608:
	s_andn2_saveexec_b64 s[2:3], s[2:3]
	s_cbranch_execz .LBB353_593
.LBB353_609:
	v_cmp_ne_u16_e32 vcc, 0, v1
	s_andn2_b64 s[6:7], s[6:7], exec
	s_and_b64 s[10:11], vcc, exec
	s_or_b64 s[6:7], s[6:7], s[10:11]
	s_or_b64 exec, exec, s[2:3]
	v_mov_b32_e32 v4, 0
	s_and_saveexec_b64 s[2:3], s[6:7]
	s_cbranch_execnz .LBB353_594
	s_branch .LBB353_595
.LBB353_610:
	s_mov_b64 s[2:3], -1
                                        ; implicit-def: $vgpr4
	s_branch .LBB353_615
.LBB353_611:
	s_mov_b64 s[2:3], -1
                                        ; implicit-def: $vgpr4
.LBB353_612:
	s_and_b64 vcc, exec, s[2:3]
	s_cbranch_vccz .LBB353_614
; %bb.613:
	global_load_ubyte v1, v[2:3], off
	s_mov_b32 s2, 0x7f800000
	s_brev_b32 s3, 1
	s_mov_b32 s6, 0x2f800000
	s_waitcnt vmcnt(0)
	v_lshlrev_b32_e32 v1, 24, v1
	v_and_b32_e32 v4, 0x7f000000, v1
	v_ffbh_u32_e32 v5, v4
	v_min_u32_e32 v5, 32, v5
	v_sub_u32_e64 v5, v5, 4 clamp
	v_lshlrev_b32_e32 v7, v5, v4
	v_lshlrev_b32_e32 v5, 23, v5
	v_lshrrev_b32_e32 v7, 4, v7
	v_add_u32_e32 v6, 0x1000000, v4
	v_sub_u32_e32 v5, v7, v5
	v_ashrrev_i32_e32 v6, 8, v6
	v_add_u32_e32 v5, 0x3c000000, v5
	v_and_or_b32 v5, v6, s2, v5
	v_cmp_ne_u32_e32 vcc, 0, v4
	s_mov_b32 s2, 0xcf800000
	s_nop 0
	v_cndmask_b32_e32 v4, 0, v5, vcc
	v_and_or_b32 v1, v1, s3, v4
	v_trunc_f32_e32 v1, v1
	v_mul_f32_e64 v4, |v1|, s6
	v_floor_f32_e32 v4, v4
	v_fma_f32 v4, v4, s2, |v1|
	v_cvt_u32_f32_e32 v4, v4
	v_ashrrev_i32_e32 v1, 31, v1
	v_xor_b32_e32 v4, v4, v1
	v_sub_u32_e32 v4, v4, v1
.LBB353_614:
	s_mov_b64 s[2:3], 0
.LBB353_615:
	s_andn2_b64 vcc, exec, s[2:3]
	s_cbranch_vccnz .LBB353_617
; %bb.616:
	global_load_ubyte v1, v[2:3], off
	s_movk_i32 s2, 0x7f00
	s_brev_b32 s3, 16
	s_brev_b32 s6, 1
	s_mov_b32 s7, 0x2f800000
	s_waitcnt vmcnt(0)
	v_lshlrev_b16_e32 v4, 8, v1
	v_lshlrev_b32_e32 v1, 25, v1
	v_lshrrev_b32_e32 v5, 4, v1
	v_and_or_b32 v6, v4, s2, 0.5
	v_or_b32_e32 v5, 0x70000000, v5
	v_add_f32_e32 v6, -0.5, v6
	v_mul_f32_e32 v5, 0x7800000, v5
	v_cmp_gt_u32_e32 vcc, s3, v1
	v_bfe_i32 v4, v4, 0, 16
	s_mov_b32 s2, 0xcf800000
	v_cndmask_b32_e32 v1, v5, v6, vcc
	v_and_or_b32 v1, v4, s6, v1
	v_trunc_f32_e32 v1, v1
	v_mul_f32_e64 v4, |v1|, s7
	v_floor_f32_e32 v4, v4
	v_fma_f32 v4, v4, s2, |v1|
	v_cvt_u32_f32_e32 v4, v4
	v_ashrrev_i32_e32 v1, 31, v1
	v_xor_b32_e32 v4, v4, v1
	v_sub_u32_e32 v4, v4, v1
.LBB353_617:
	s_mov_b64 s[6:7], 0
	s_mov_b64 s[2:3], -1
.LBB353_618:
	s_andn2_b64 vcc, exec, s[6:7]
	s_cbranch_vccnz .LBB353_631
; %bb.619:
	s_cmp_gt_i32 s9, 14
	s_cbranch_scc0 .LBB353_622
; %bb.620:
	s_cmp_eq_u32 s9, 15
	s_cbranch_scc0 .LBB353_625
; %bb.621:
	global_load_ushort v1, v[2:3], off
	s_mov_b32 s2, 0x2f800000
	s_mov_b32 s3, 0xcf800000
	s_mov_b64 s[4:5], 0
	s_waitcnt vmcnt(0)
	v_lshlrev_b32_e32 v1, 16, v1
	v_trunc_f32_e32 v1, v1
	v_mul_f32_e64 v4, |v1|, s2
	v_floor_f32_e32 v4, v4
	v_fma_f32 v4, v4, s3, |v1|
	v_cvt_u32_f32_e32 v4, v4
	v_ashrrev_i32_e32 v1, 31, v1
	s_mov_b64 s[2:3], -1
	v_xor_b32_e32 v4, v4, v1
	v_sub_u32_e32 v4, v4, v1
	s_branch .LBB353_626
.LBB353_622:
	s_mov_b64 s[6:7], -1
                                        ; implicit-def: $vgpr4
	s_branch .LBB353_627
.LBB353_623:
	s_andn2_saveexec_b64 s[2:3], s[2:3]
	s_cbranch_execz .LBB353_604
.LBB353_624:
	v_cmp_ne_u16_e32 vcc, 0, v1
	s_andn2_b64 s[6:7], s[6:7], exec
	s_and_b64 s[10:11], vcc, exec
	s_or_b64 s[6:7], s[6:7], s[10:11]
	s_or_b64 exec, exec, s[2:3]
	v_mov_b32_e32 v4, 0
	s_and_saveexec_b64 s[2:3], s[6:7]
	s_cbranch_execnz .LBB353_605
	s_branch .LBB353_606
.LBB353_625:
	s_mov_b64 s[4:5], -1
                                        ; implicit-def: $vgpr4
.LBB353_626:
	s_mov_b64 s[6:7], 0
.LBB353_627:
	s_and_b64 vcc, exec, s[6:7]
	s_cbranch_vccz .LBB353_631
; %bb.628:
	s_cmp_eq_u32 s9, 11
	s_cbranch_scc0 .LBB353_630
; %bb.629:
	global_load_ubyte v1, v[2:3], off
	s_mov_b64 s[2:3], -1
	s_mov_b64 s[4:5], 0
	s_waitcnt vmcnt(0)
	v_cmp_ne_u16_e32 vcc, 0, v1
	s_nop 1
	v_cndmask_b32_e64 v4, 0, 1, vcc
	s_branch .LBB353_631
.LBB353_630:
	s_mov_b64 s[4:5], -1
                                        ; implicit-def: $vgpr4
.LBB353_631:
	s_mov_b64 s[6:7], 0
.LBB353_632:
	s_and_b64 vcc, exec, s[6:7]
	s_cbranch_vccz .LBB353_681
; %bb.633:
	s_and_b32 s6, 0xffff, s8
	s_cmp_lt_i32 s6, 5
	s_cbranch_scc1 .LBB353_638
; %bb.634:
	s_cmp_lt_i32 s6, 8
	s_cbranch_scc1 .LBB353_639
; %bb.635:
	;; [unrolled: 3-line block ×3, first 2 shown]
	s_cmp_gt_i32 s6, 9
	s_cbranch_scc0 .LBB353_641
; %bb.637:
	global_load_dwordx2 v[4:5], v[2:3], off
	s_movk_i32 s2, 0xffe0
	s_waitcnt vmcnt(0)
	v_trunc_f64_e32 v[4:5], v[4:5]
	v_ldexp_f64 v[6:7], v[4:5], s2
	v_floor_f64_e32 v[6:7], v[6:7]
	v_fmac_f64_e32 v[4:5], 0xc1f00000, v[6:7]
	v_cvt_u32_f64_e32 v4, v[4:5]
	s_mov_b64 s[2:3], 0
	s_branch .LBB353_642
.LBB353_638:
	s_mov_b64 s[2:3], -1
                                        ; implicit-def: $vgpr4
	s_branch .LBB353_660
.LBB353_639:
	s_mov_b64 s[2:3], -1
                                        ; implicit-def: $vgpr4
	s_branch .LBB353_648
.LBB353_640:
	s_mov_b64 s[2:3], -1
                                        ; implicit-def: $vgpr4
	s_branch .LBB353_645
.LBB353_641:
	s_mov_b64 s[2:3], -1
                                        ; implicit-def: $vgpr4
.LBB353_642:
	s_andn2_b64 vcc, exec, s[2:3]
	s_cbranch_vccnz .LBB353_644
; %bb.643:
	global_load_dword v1, v[2:3], off
	s_mov_b32 s2, 0x2f800000
	s_waitcnt vmcnt(0)
	v_trunc_f32_e32 v1, v1
	v_mul_f32_e64 v4, |v1|, s2
	v_floor_f32_e32 v4, v4
	s_mov_b32 s2, 0xcf800000
	v_fma_f32 v4, v4, s2, |v1|
	v_cvt_u32_f32_e32 v4, v4
	v_ashrrev_i32_e32 v1, 31, v1
	v_xor_b32_e32 v4, v4, v1
	v_sub_u32_e32 v4, v4, v1
.LBB353_644:
	s_mov_b64 s[2:3], 0
.LBB353_645:
	s_andn2_b64 vcc, exec, s[2:3]
	s_cbranch_vccnz .LBB353_647
; %bb.646:
	global_load_dword v1, v[2:3], off
	s_waitcnt vmcnt(0)
	v_cvt_f32_f16_e32 v1, v1
	v_cvt_i32_f32_e32 v4, v1
.LBB353_647:
	s_mov_b64 s[2:3], 0
.LBB353_648:
	s_andn2_b64 vcc, exec, s[2:3]
	s_cbranch_vccnz .LBB353_659
; %bb.649:
	s_cmp_lt_i32 s6, 6
	s_cbranch_scc1 .LBB353_652
; %bb.650:
	s_cmp_gt_i32 s6, 6
	s_cbranch_scc0 .LBB353_653
; %bb.651:
	global_load_dwordx2 v[4:5], v[2:3], off
	s_movk_i32 s2, 0xffe0
	s_waitcnt vmcnt(0)
	v_trunc_f64_e32 v[4:5], v[4:5]
	v_ldexp_f64 v[6:7], v[4:5], s2
	v_floor_f64_e32 v[6:7], v[6:7]
	v_fmac_f64_e32 v[4:5], 0xc1f00000, v[6:7]
	v_cvt_u32_f64_e32 v4, v[4:5]
	s_mov_b64 s[2:3], 0
	s_branch .LBB353_654
.LBB353_652:
	s_mov_b64 s[2:3], -1
                                        ; implicit-def: $vgpr4
	s_branch .LBB353_657
.LBB353_653:
	s_mov_b64 s[2:3], -1
                                        ; implicit-def: $vgpr4
.LBB353_654:
	s_andn2_b64 vcc, exec, s[2:3]
	s_cbranch_vccnz .LBB353_656
; %bb.655:
	global_load_dword v1, v[2:3], off
	s_mov_b32 s2, 0x2f800000
	s_waitcnt vmcnt(0)
	v_trunc_f32_e32 v1, v1
	v_mul_f32_e64 v4, |v1|, s2
	v_floor_f32_e32 v4, v4
	s_mov_b32 s2, 0xcf800000
	v_fma_f32 v4, v4, s2, |v1|
	v_cvt_u32_f32_e32 v4, v4
	v_ashrrev_i32_e32 v1, 31, v1
	v_xor_b32_e32 v4, v4, v1
	v_sub_u32_e32 v4, v4, v1
.LBB353_656:
	s_mov_b64 s[2:3], 0
.LBB353_657:
	s_andn2_b64 vcc, exec, s[2:3]
	s_cbranch_vccnz .LBB353_659
; %bb.658:
	global_load_ushort v1, v[2:3], off
	s_waitcnt vmcnt(0)
	v_cvt_f32_f16_e32 v1, v1
	v_cvt_i32_f32_e32 v4, v1
.LBB353_659:
	s_mov_b64 s[2:3], 0
.LBB353_660:
	s_andn2_b64 vcc, exec, s[2:3]
	s_cbranch_vccnz .LBB353_680
; %bb.661:
	s_cmp_lt_i32 s6, 2
	s_cbranch_scc1 .LBB353_665
; %bb.662:
	s_cmp_lt_i32 s6, 3
	s_cbranch_scc1 .LBB353_666
; %bb.663:
	s_cmp_gt_i32 s6, 3
	s_cbranch_scc0 .LBB353_667
; %bb.664:
	global_load_dwordx2 v[4:5], v[2:3], off
	s_mov_b64 s[2:3], 0
	s_branch .LBB353_668
.LBB353_665:
	s_mov_b64 s[2:3], -1
                                        ; implicit-def: $vgpr4
	s_branch .LBB353_674
.LBB353_666:
	s_mov_b64 s[2:3], -1
                                        ; implicit-def: $vgpr4
	s_branch .LBB353_671
.LBB353_667:
	s_mov_b64 s[2:3], -1
                                        ; implicit-def: $vgpr4
.LBB353_668:
	s_andn2_b64 vcc, exec, s[2:3]
	s_cbranch_vccnz .LBB353_670
; %bb.669:
	global_load_dword v4, v[2:3], off
.LBB353_670:
	s_mov_b64 s[2:3], 0
.LBB353_671:
	s_andn2_b64 vcc, exec, s[2:3]
	s_cbranch_vccnz .LBB353_673
; %bb.672:
	global_load_ushort v4, v[2:3], off
.LBB353_673:
	s_mov_b64 s[2:3], 0
.LBB353_674:
	s_andn2_b64 vcc, exec, s[2:3]
	s_cbranch_vccnz .LBB353_680
; %bb.675:
	s_cmp_gt_i32 s6, 0
	s_cbranch_scc0 .LBB353_677
; %bb.676:
	global_load_ubyte v4, v[2:3], off
	s_mov_b64 s[2:3], 0
	s_branch .LBB353_678
.LBB353_677:
	s_mov_b64 s[2:3], -1
                                        ; implicit-def: $vgpr4
.LBB353_678:
	s_andn2_b64 vcc, exec, s[2:3]
	s_cbranch_vccnz .LBB353_680
; %bb.679:
	global_load_ubyte v4, v[2:3], off
.LBB353_680:
	s_mov_b64 s[2:3], -1
.LBB353_681:
	s_andn2_b64 vcc, exec, s[2:3]
	s_cbranch_vccnz .LBB353_689
; %bb.682:
	s_and_b32 s2, s74, 0xff
	v_mov_b32_e32 v1, 0
	s_and_b32 s12, s73, 0xff
	s_waitcnt vmcnt(0)
	v_max_u16_sdwa v2, v4, s2 dst_sel:DWORD dst_unused:UNUSED_PAD src0_sel:BYTE_0 src1_sel:DWORD
	s_cmp_lt_i32 s12, 11
	v_lshl_add_u64 v[0:1], s[20:21], 0, v[0:1]
	s_cbranch_scc1 .LBB353_690
; %bb.683:
	s_and_b32 s13, 0xffff, s12
	s_cmp_gt_i32 s13, 25
	s_cbranch_scc0 .LBB353_691
; %bb.684:
	s_cmp_gt_i32 s13, 28
	s_cbranch_scc0 .LBB353_692
; %bb.685:
	;; [unrolled: 3-line block ×4, first 2 shown]
	s_mov_b64 s[8:9], 0
	s_mov_b64 s[2:3], -1
	s_cmp_eq_u32 s13, 46
	s_mov_b64 s[6:7], 0
	s_cbranch_scc0 .LBB353_695
; %bb.688:
	v_cvt_f32_ubyte0_e32 v3, v2
	v_bfe_u32 v4, v3, 16, 1
	s_movk_i32 s2, 0x7fff
	v_add3_u32 v3, v3, v4, s2
	v_lshrrev_b32_e32 v3, 16, v3
	global_store_dword v[0:1], v3, off
	s_mov_b64 s[6:7], -1
	s_mov_b64 s[2:3], 0
	s_branch .LBB353_695
.LBB353_689:
	s_mov_b64 s[6:7], 0
	s_mov_b64 s[2:3], s[62:63]
	s_branch .LBB353_806
.LBB353_690:
	s_mov_b64 s[8:9], -1
	s_mov_b64 s[6:7], 0
	s_mov_b64 s[2:3], s[62:63]
	s_branch .LBB353_764
.LBB353_691:
	s_mov_b64 s[8:9], -1
	s_mov_b64 s[6:7], 0
	s_mov_b64 s[2:3], s[62:63]
	s_branch .LBB353_722
.LBB353_692:
	s_mov_b64 s[8:9], -1
	s_mov_b64 s[6:7], 0
	s_mov_b64 s[2:3], s[62:63]
	s_branch .LBB353_705
.LBB353_693:
	s_mov_b64 s[8:9], -1
	s_mov_b64 s[6:7], 0
	s_mov_b64 s[2:3], s[62:63]
	s_branch .LBB353_701
.LBB353_694:
	s_mov_b64 s[8:9], -1
	s_mov_b64 s[6:7], 0
	s_mov_b64 s[2:3], s[62:63]
.LBB353_695:
	s_and_b64 vcc, exec, s[8:9]
	s_cbranch_vccz .LBB353_700
; %bb.696:
	s_cmp_eq_u32 s13, 44
	s_mov_b64 s[2:3], -1
	s_cbranch_scc0 .LBB353_700
; %bb.697:
	v_cvt_f32_ubyte0_e32 v4, v2
	v_lshrrev_b32_e32 v3, 23, v4
	s_movk_i32 s2, 0xff
	v_cmp_ne_u32_e32 vcc, s2, v3
	v_mov_b32_e32 v5, 0xff
	s_and_saveexec_b64 s[6:7], vcc
; %bb.698:
	s_mov_b32 s2, 0x3fffff
	v_and_b32_e32 v5, 0x400000, v4
	v_and_or_b32 v4, v4, s2, v3
	v_cmp_ne_u32_e32 vcc, 0, v5
	v_cmp_ne_u32_e64 s[2:3], 0, v4
	s_and_b64 s[2:3], vcc, s[2:3]
	s_nop 0
	v_cndmask_b32_e64 v4, 0, 1, s[2:3]
	v_add_u32_e32 v5, v3, v4
; %bb.699:
	s_or_b64 exec, exec, s[6:7]
	s_mov_b64 s[6:7], -1
	s_mov_b64 s[2:3], 0
	global_store_byte v[0:1], v5, off
.LBB353_700:
	s_mov_b64 s[8:9], 0
.LBB353_701:
	s_and_b64 vcc, exec, s[8:9]
	s_cbranch_vccz .LBB353_704
; %bb.702:
	s_cmp_eq_u32 s13, 29
	s_mov_b64 s[2:3], -1
	s_cbranch_scc0 .LBB353_704
; %bb.703:
	s_mov_b32 s2, 0
	v_mov_b32_e32 v3, s2
	global_store_dwordx2 v[0:1], v[2:3], off
	s_mov_b64 s[6:7], -1
	s_mov_b64 s[2:3], 0
.LBB353_704:
	s_mov_b64 s[8:9], 0
.LBB353_705:
	s_and_b64 vcc, exec, s[8:9]
	s_cbranch_vccz .LBB353_721
; %bb.706:
	s_cmp_lt_i32 s13, 27
	s_mov_b64 s[6:7], -1
	s_cbranch_scc1 .LBB353_712
; %bb.707:
	s_cmp_gt_i32 s13, 27
	s_cbranch_scc0 .LBB353_709
; %bb.708:
	s_mov_b64 s[6:7], 0
	global_store_dword v[0:1], v2, off
.LBB353_709:
	s_andn2_b64 vcc, exec, s[6:7]
	s_cbranch_vccnz .LBB353_711
; %bb.710:
	global_store_short v[0:1], v2, off
.LBB353_711:
	s_mov_b64 s[6:7], 0
.LBB353_712:
	s_andn2_b64 vcc, exec, s[6:7]
	s_cbranch_vccnz .LBB353_720
; %bb.713:
	v_cvt_f32_ubyte0_e32 v4, v2
	s_mov_b32 s6, 0x43800000
	v_cmp_gt_u32_e32 vcc, s6, v4
	v_mov_b32_e32 v5, 0x80
	s_and_saveexec_b64 s[6:7], vcc
	s_cbranch_execz .LBB353_719
; %bb.714:
	s_mov_b32 s8, 0x3bffffff
	v_cmp_lt_u32_e32 vcc, s8, v4
	s_mov_b64 s[8:9], 0
                                        ; implicit-def: $vgpr3
	s_and_saveexec_b64 s[10:11], vcc
	s_xor_b64 s[10:11], exec, s[10:11]
	s_cbranch_execz .LBB353_837
; %bb.715:
	v_bfe_u32 v3, v4, 20, 1
	s_mov_b32 s14, 0x487ffff
	v_add3_u32 v3, v4, v3, s14
	s_mov_b64 s[8:9], exec
	v_lshrrev_b32_e32 v3, 20, v3
                                        ; implicit-def: $vgpr4
	s_andn2_saveexec_b64 s[10:11], s[10:11]
	s_cbranch_execnz .LBB353_838
.LBB353_716:
	s_or_b64 exec, exec, s[10:11]
	v_mov_b32_e32 v5, 0
	s_and_saveexec_b64 s[10:11], s[8:9]
.LBB353_717:
	v_mov_b32_e32 v5, v3
.LBB353_718:
	s_or_b64 exec, exec, s[10:11]
.LBB353_719:
	s_or_b64 exec, exec, s[6:7]
	global_store_byte v[0:1], v5, off
.LBB353_720:
	s_mov_b64 s[6:7], -1
.LBB353_721:
	s_mov_b64 s[8:9], 0
.LBB353_722:
	s_and_b64 vcc, exec, s[8:9]
	s_cbranch_vccz .LBB353_763
; %bb.723:
	s_cmp_gt_i32 s13, 22
	s_mov_b64 s[8:9], -1
	s_cbranch_scc0 .LBB353_755
; %bb.724:
	s_cmp_lt_i32 s13, 24
	s_mov_b64 s[6:7], -1
	s_cbranch_scc1 .LBB353_744
; %bb.725:
	s_cmp_gt_i32 s13, 24
	s_cbranch_scc0 .LBB353_733
; %bb.726:
	v_cvt_f32_ubyte0_e32 v4, v2
	s_mov_b32 s6, 0x47800000
	v_cmp_gt_u32_e32 vcc, s6, v4
	v_mov_b32_e32 v5, 0x80
	s_and_saveexec_b64 s[6:7], vcc
	s_cbranch_execz .LBB353_732
; %bb.727:
	s_mov_b32 s8, 0x37ffffff
	v_cmp_lt_u32_e32 vcc, s8, v4
	s_mov_b64 s[8:9], 0
                                        ; implicit-def: $vgpr3
	s_and_saveexec_b64 s[10:11], vcc
	s_xor_b64 s[10:11], exec, s[10:11]
	s_cbranch_execz .LBB353_840
; %bb.728:
	v_bfe_u32 v3, v4, 21, 1
	s_mov_b32 s14, 0x88fffff
	v_add3_u32 v3, v4, v3, s14
	s_mov_b64 s[8:9], exec
	v_lshrrev_b32_e32 v3, 21, v3
                                        ; implicit-def: $vgpr4
	s_andn2_saveexec_b64 s[10:11], s[10:11]
	s_cbranch_execnz .LBB353_841
.LBB353_729:
	s_or_b64 exec, exec, s[10:11]
	v_mov_b32_e32 v5, 0
	s_and_saveexec_b64 s[10:11], s[8:9]
.LBB353_730:
	v_mov_b32_e32 v5, v3
.LBB353_731:
	s_or_b64 exec, exec, s[10:11]
.LBB353_732:
	s_or_b64 exec, exec, s[6:7]
	s_mov_b64 s[6:7], 0
	global_store_byte v[0:1], v5, off
.LBB353_733:
	s_and_b64 vcc, exec, s[6:7]
	s_cbranch_vccz .LBB353_743
; %bb.734:
	v_cvt_f32_ubyte0_e32 v3, v2
	s_mov_b32 s6, 0x43f00000
	v_cmp_gt_u32_e32 vcc, s6, v3
                                        ; implicit-def: $vgpr4
	s_and_saveexec_b64 s[6:7], vcc
	s_xor_b64 s[6:7], exec, s[6:7]
	s_cbranch_execz .LBB353_740
; %bb.735:
	s_mov_b32 s8, 0x3c7fffff
	v_cmp_lt_u32_e32 vcc, s8, v3
                                        ; implicit-def: $vgpr4
	s_and_saveexec_b64 s[8:9], vcc
	s_xor_b64 s[8:9], exec, s[8:9]
; %bb.736:
	v_bfe_u32 v4, v3, 20, 1
	s_mov_b32 s10, 0x407ffff
	v_add3_u32 v3, v3, v4, s10
	v_lshrrev_b32_e32 v4, 20, v3
	v_and_b32_e32 v3, 0xff00000, v3
	s_mov_b32 s10, 0x7f00000
	v_mov_b32_e32 v5, 0x7e
	v_cmp_ne_u32_e32 vcc, s10, v3
                                        ; implicit-def: $vgpr3
	s_nop 1
	v_cndmask_b32_e32 v4, v5, v4, vcc
; %bb.737:
	s_andn2_saveexec_b64 s[8:9], s[8:9]
; %bb.738:
	v_add_f32_e32 v4, 0x46800000, v3
; %bb.739:
	s_or_b64 exec, exec, s[8:9]
                                        ; implicit-def: $vgpr3
.LBB353_740:
	s_andn2_saveexec_b64 s[6:7], s[6:7]
; %bb.741:
	s_mov_b32 s8, 0x7f800000
	v_mov_b32_e32 v4, 0x7e
	v_mov_b32_e32 v5, 0x7f
	v_cmp_lt_u32_e32 vcc, s8, v3
	s_nop 1
	v_cndmask_b32_e32 v4, v4, v5, vcc
; %bb.742:
	s_or_b64 exec, exec, s[6:7]
	global_store_byte v[0:1], v4, off
.LBB353_743:
	s_mov_b64 s[6:7], 0
.LBB353_744:
	s_andn2_b64 vcc, exec, s[6:7]
	s_cbranch_vccnz .LBB353_754
; %bb.745:
	v_cvt_f32_ubyte0_e32 v3, v2
	s_mov_b32 s6, 0x47800000
	v_cmp_gt_u32_e32 vcc, s6, v3
                                        ; implicit-def: $vgpr4
	s_and_saveexec_b64 s[6:7], vcc
	s_xor_b64 s[6:7], exec, s[6:7]
	s_cbranch_execz .LBB353_751
; %bb.746:
	s_mov_b32 s8, 0x387fffff
	v_cmp_lt_u32_e32 vcc, s8, v3
                                        ; implicit-def: $vgpr4
	s_and_saveexec_b64 s[8:9], vcc
	s_xor_b64 s[8:9], exec, s[8:9]
; %bb.747:
	v_bfe_u32 v4, v3, 21, 1
	s_mov_b32 s10, 0x80fffff
	v_add3_u32 v3, v3, v4, s10
	v_lshrrev_b32_e32 v4, 21, v3
                                        ; implicit-def: $vgpr3
; %bb.748:
	s_andn2_saveexec_b64 s[8:9], s[8:9]
; %bb.749:
	v_add_f32_e32 v4, 0x43000000, v3
; %bb.750:
	s_or_b64 exec, exec, s[8:9]
                                        ; implicit-def: $vgpr3
.LBB353_751:
	s_andn2_saveexec_b64 s[6:7], s[6:7]
; %bb.752:
	s_mov_b32 s8, 0x7f800000
	v_mov_b32_e32 v4, 0x7c
	v_mov_b32_e32 v5, 0x7f
	v_cmp_lt_u32_e32 vcc, s8, v3
	s_nop 1
	v_cndmask_b32_e32 v4, v4, v5, vcc
; %bb.753:
	s_or_b64 exec, exec, s[6:7]
	global_store_byte v[0:1], v4, off
.LBB353_754:
	s_mov_b64 s[8:9], 0
	s_mov_b64 s[6:7], -1
.LBB353_755:
	s_andn2_b64 vcc, exec, s[8:9]
	s_cbranch_vccnz .LBB353_763
; %bb.756:
	s_cmp_gt_i32 s13, 14
	s_mov_b64 s[8:9], -1
	s_cbranch_scc0 .LBB353_760
; %bb.757:
	s_cmp_eq_u32 s13, 15
	s_mov_b64 s[2:3], -1
	s_cbranch_scc0 .LBB353_759
; %bb.758:
	v_cvt_f32_ubyte0_e32 v3, v2
	v_bfe_u32 v4, v3, 16, 1
	s_movk_i32 s2, 0x7fff
	v_add3_u32 v3, v3, v4, s2
	global_store_short_d16_hi v[0:1], v3, off
	s_mov_b64 s[6:7], -1
	s_mov_b64 s[2:3], 0
.LBB353_759:
	s_mov_b64 s[8:9], 0
.LBB353_760:
	s_and_b64 vcc, exec, s[8:9]
	s_cbranch_vccz .LBB353_763
; %bb.761:
	s_cmp_eq_u32 s13, 11
	s_mov_b64 s[2:3], -1
	s_cbranch_scc0 .LBB353_763
; %bb.762:
	v_cmp_ne_u16_e32 vcc, 0, v2
	s_mov_b64 s[6:7], -1
	s_mov_b64 s[2:3], 0
	v_cndmask_b32_e64 v3, 0, 1, vcc
	global_store_byte v[0:1], v3, off
.LBB353_763:
	s_mov_b64 s[8:9], 0
.LBB353_764:
	s_and_b64 vcc, exec, s[8:9]
	s_cbranch_vccz .LBB353_803
; %bb.765:
	s_and_b32 s8, 0xffff, s12
	s_cmp_lt_i32 s8, 5
	s_mov_b64 s[6:7], -1
	s_cbranch_scc1 .LBB353_786
; %bb.766:
	s_cmp_lt_i32 s8, 8
	s_cbranch_scc1 .LBB353_776
; %bb.767:
	s_cmp_lt_i32 s8, 9
	s_cbranch_scc1 .LBB353_773
; %bb.768:
	s_cmp_gt_i32 s8, 9
	s_cbranch_scc0 .LBB353_770
; %bb.769:
	v_mov_b32_e32 v6, 0
	v_cvt_f64_u32_e32 v[4:5], v2
	v_mov_b32_e32 v7, v6
	s_mov_b64 s[6:7], 0
	global_store_dwordx4 v[0:1], v[4:7], off
.LBB353_770:
	s_andn2_b64 vcc, exec, s[6:7]
	s_cbranch_vccnz .LBB353_772
; %bb.771:
	v_cvt_f32_ubyte0_e32 v4, v2
	v_mov_b32_e32 v5, 0
	global_store_dwordx2 v[0:1], v[4:5], off
.LBB353_772:
	s_mov_b64 s[6:7], 0
.LBB353_773:
	s_andn2_b64 vcc, exec, s[6:7]
	s_cbranch_vccnz .LBB353_775
; %bb.774:
	v_cvt_f16_u16_e32 v3, v2
	global_store_dword v[0:1], v3, off
.LBB353_775:
	s_mov_b64 s[6:7], 0
.LBB353_776:
	s_andn2_b64 vcc, exec, s[6:7]
	s_cbranch_vccnz .LBB353_785
; %bb.777:
	s_cmp_lt_i32 s8, 6
	s_mov_b64 s[6:7], -1
	s_cbranch_scc1 .LBB353_783
; %bb.778:
	s_cmp_gt_i32 s8, 6
	s_cbranch_scc0 .LBB353_780
; %bb.779:
	v_cvt_f64_u32_e32 v[4:5], v2
	s_mov_b64 s[6:7], 0
	global_store_dwordx2 v[0:1], v[4:5], off
.LBB353_780:
	s_andn2_b64 vcc, exec, s[6:7]
	s_cbranch_vccnz .LBB353_782
; %bb.781:
	v_cvt_f32_ubyte0_e32 v3, v2
	global_store_dword v[0:1], v3, off
.LBB353_782:
	s_mov_b64 s[6:7], 0
.LBB353_783:
	s_andn2_b64 vcc, exec, s[6:7]
	s_cbranch_vccnz .LBB353_785
; %bb.784:
	v_cvt_f16_u16_e32 v3, v2
	global_store_short v[0:1], v3, off
.LBB353_785:
	s_mov_b64 s[6:7], 0
.LBB353_786:
	s_andn2_b64 vcc, exec, s[6:7]
	s_cbranch_vccnz .LBB353_802
; %bb.787:
	s_cmp_lt_i32 s8, 2
	s_mov_b64 s[6:7], -1
	s_cbranch_scc1 .LBB353_797
; %bb.788:
	s_cmp_lt_i32 s8, 3
	s_cbranch_scc1 .LBB353_794
; %bb.789:
	s_cmp_gt_i32 s8, 3
	s_cbranch_scc0 .LBB353_791
; %bb.790:
	s_mov_b32 s6, 0
	v_mov_b32_e32 v3, s6
	s_mov_b64 s[6:7], 0
	global_store_dwordx2 v[0:1], v[2:3], off
.LBB353_791:
	s_andn2_b64 vcc, exec, s[6:7]
	s_cbranch_vccnz .LBB353_793
; %bb.792:
	global_store_dword v[0:1], v2, off
.LBB353_793:
	s_mov_b64 s[6:7], 0
.LBB353_794:
	s_andn2_b64 vcc, exec, s[6:7]
	s_cbranch_vccnz .LBB353_796
; %bb.795:
	global_store_short v[0:1], v2, off
.LBB353_796:
	s_mov_b64 s[6:7], 0
.LBB353_797:
	s_andn2_b64 vcc, exec, s[6:7]
	s_cbranch_vccnz .LBB353_802
; %bb.798:
	s_cmp_gt_i32 s8, 0
	s_mov_b64 s[6:7], -1
	s_cbranch_scc0 .LBB353_800
; %bb.799:
	s_mov_b64 s[6:7], 0
	global_store_byte v[0:1], v2, off
.LBB353_800:
	s_andn2_b64 vcc, exec, s[6:7]
	s_cbranch_vccnz .LBB353_802
; %bb.801:
	global_store_byte v[0:1], v2, off
.LBB353_802:
	s_mov_b64 s[6:7], -1
.LBB353_803:
	s_andn2_b64 vcc, exec, s[6:7]
	s_cbranch_vccnz .LBB353_805
; %bb.804:
	v_add_u32_e32 v12, 0x80, v12
	s_mov_b64 s[6:7], -1
	s_branch .LBB353_807
.LBB353_805:
	s_mov_b64 s[6:7], 0
.LBB353_806:
                                        ; implicit-def: $vgpr12
.LBB353_807:
	s_andn2_b64 s[8:9], s[62:63], exec
	s_and_b64 s[2:3], s[2:3], exec
	s_or_b64 s[68:69], s[8:9], s[2:3]
	s_andn2_b64 s[2:3], s[60:61], exec
	s_and_b64 s[4:5], s[4:5], exec
	s_or_b64 s[2:3], s[2:3], s[4:5]
	s_orn2_b64 s[6:7], s[6:7], exec
.LBB353_808:
	s_or_b64 exec, exec, s[66:67]
	s_mov_b64 s[4:5], 0
	s_mov_b64 s[10:11], 0
	;; [unrolled: 1-line block ×3, first 2 shown]
                                        ; implicit-def: $sgpr14
                                        ; implicit-def: $vgpr2_vgpr3
                                        ; implicit-def: $vgpr0
                                        ; implicit-def: $vgpr6
	s_and_saveexec_b64 s[66:67], s[6:7]
	s_cbranch_execz .LBB353_904
; %bb.809:
	v_cmp_gt_i32_e32 vcc, s70, v12
	s_mov_b64 s[6:7], 0
	s_mov_b64 s[12:13], s[2:3]
                                        ; implicit-def: $sgpr14
                                        ; implicit-def: $vgpr2_vgpr3
                                        ; implicit-def: $vgpr0
                                        ; implicit-def: $vgpr6
	s_and_saveexec_b64 s[70:71], vcc
	s_cbranch_execz .LBB353_903
; %bb.810:
	s_andn2_b64 vcc, exec, s[42:43]
	s_cbranch_vccnz .LBB353_816
; %bb.811:
	s_andn2_b64 vcc, exec, s[52:53]
	s_cbranch_vccnz .LBB353_817
; %bb.812:
	s_add_i32 s77, s76, 1
	s_cmp_eq_u32 s72, 2
	s_cbranch_scc1 .LBB353_818
; %bb.813:
	s_and_b32 s76, s77, 28
	s_mov_b32 s78, 0
	v_mov_b32_e32 v0, 0
	v_mov_b32_e32 v2, 0
	s_mov_b64 s[52:53], s[34:35]
	s_waitcnt vmcnt(0)
	v_mov_b32_e32 v4, v12
.LBB353_814:                            ; =>This Inner Loop Header: Depth=1
	s_load_dwordx8 s[12:19], s[52:53], 0x4
	s_load_dwordx4 s[36:39], s[52:53], 0x24
	s_load_dwordx8 s[4:11], s[50:51], 0x0
	s_add_u32 s52, s52, 48
	s_addc_u32 s53, s53, 0
	s_waitcnt lgkmcnt(0)
	v_mul_hi_u32 v1, s13, v4
	v_add_u32_e32 v1, v4, v1
	v_lshrrev_b32_e32 v1, s14, v1
	v_mul_lo_u32 v3, v1, s12
	v_mul_hi_u32 v5, s16, v1
	v_sub_u32_e32 v3, v4, v3
	v_add_u32_e32 v4, v1, v5
	v_lshrrev_b32_e32 v4, s17, v4
	v_mul_lo_u32 v6, v4, s15
	v_mul_hi_u32 v7, s19, v4
	v_sub_u32_e32 v1, v1, v6
	v_add_u32_e32 v6, v4, v7
	v_mul_lo_u32 v5, v3, s5
	v_mul_lo_u32 v3, v3, s4
	;; [unrolled: 1-line block ×4, first 2 shown]
	v_lshrrev_b32_e32 v6, s36, v6
	v_add3_u32 v0, v3, v0, v1
	v_mul_hi_u32 v3, s38, v6
	v_add3_u32 v1, v5, v2, v7
	v_mul_lo_u32 v2, v6, s18
	v_add_u32_e32 v3, v6, v3
	v_sub_u32_e32 v2, v4, v2
	v_lshrrev_b32_e32 v4, s39, v3
	s_add_i32 s78, s78, 4
	v_mul_lo_u32 v3, v4, s37
	s_add_u32 s50, s50, 32
	v_sub_u32_e32 v3, v6, v3
	s_addc_u32 s51, s51, 0
	v_mul_lo_u32 v5, v2, s8
	v_mul_lo_u32 v2, v2, s9
	;; [unrolled: 1-line block ×4, first 2 shown]
	s_cmp_eq_u32 s76, s78
	v_add3_u32 v2, v2, v1, v3
	v_add3_u32 v0, v5, v0, v6
	s_cbranch_scc0 .LBB353_814
; %bb.815:
	v_mov_b32_e32 v1, v2
	s_branch .LBB353_819
.LBB353_816:
	s_mov_b64 s[4:5], -1
                                        ; implicit-def: $vgpr2
                                        ; implicit-def: $vgpr0
	s_branch .LBB353_823
.LBB353_817:
	v_mov_b32_e32 v2, 0
	v_mov_b32_e32 v0, 0
	s_branch .LBB353_822
.LBB353_818:
	v_mov_b32_e32 v0, 0
	s_mov_b32 s76, 0
	v_mov_b32_e32 v1, v0
                                        ; implicit-def: $vgpr2
	s_waitcnt vmcnt(0)
	v_mov_b32_e32 v4, v12
.LBB353_819:
	s_and_b32 s8, s77, 3
	s_cmp_eq_u32 s8, 0
	s_cbranch_scc1 .LBB353_822
; %bb.820:
	s_lshl_b32 s4, s76, 3
	s_add_u32 s4, s34, s4
	s_addc_u32 s5, s35, 0
	s_add_u32 s4, s4, 0xc4
	s_addc_u32 s5, s5, 0
	s_mul_i32 s6, s76, 12
	s_add_u32 s6, s34, s6
	s_addc_u32 s7, s35, 0
.LBB353_821:                            ; =>This Inner Loop Header: Depth=1
	s_load_dwordx2 s[10:11], s[6:7], 0x4
	s_load_dword s9, s[6:7], 0xc
	s_load_dwordx2 s[12:13], s[4:5], 0x0
	v_mov_b32_e32 v2, v1
	s_add_u32 s6, s6, 12
	s_waitcnt lgkmcnt(0)
	v_mul_hi_u32 v1, s11, v4
	v_add_u32_e32 v1, v4, v1
	v_lshrrev_b32_e32 v1, s9, v1
	s_addc_u32 s7, s7, 0
	v_mul_lo_u32 v3, v1, s10
	s_add_u32 s4, s4, 8
	v_sub_u32_e32 v5, v4, v3
	s_addc_u32 s5, s5, 0
	s_add_i32 s8, s8, -1
	v_mov_b32_e32 v4, v1
	v_mad_u64_u32 v[2:3], s[10:11], v5, s13, v[2:3]
	v_mad_u64_u32 v[0:1], s[10:11], v5, s12, v[0:1]
	s_cmp_lg_u32 s8, 0
	v_mov_b32_e32 v1, v2
	s_cbranch_scc1 .LBB353_821
.LBB353_822:
	s_mov_b64 s[4:5], 0
.LBB353_823:
	s_andn2_b64 vcc, exec, s[4:5]
	s_cbranch_vccnz .LBB353_826
; %bb.824:
	v_mul_hi_u32 v0, s25, v12
	v_add_u32_e32 v0, v12, v0
	v_lshrrev_b32_e32 v1, s26, v0
	v_mul_lo_u32 v0, v1, s24
	v_sub_u32_e32 v0, v12, v0
	v_mul_lo_u32 v2, v0, s29
	s_andn2_b64 vcc, exec, s[48:49]
	v_mul_lo_u32 v0, v0, s28
	s_cbranch_vccnz .LBB353_826
; %bb.825:
	v_mul_hi_u32 v3, s46, v1
	v_add_u32_e32 v3, v1, v3
	v_lshrrev_b32_e32 v3, s47, v3
	v_mul_lo_u32 v3, v3, s27
	v_sub_u32_e32 v3, v1, v3
	v_mad_u64_u32 v[0:1], s[4:5], v3, s30, v[0:1]
	v_mad_u64_u32 v[2:3], s[4:5], v3, s31, v[2:3]
.LBB353_826:
	v_mov_b32_e32 v3, 0
	s_and_b32 s14, s75, 0xff
	s_cmp_lt_i32 s14, 11
	v_lshl_add_u64 v[2:3], s[22:23], 0, v[2:3]
	s_cbranch_scc1 .LBB353_833
; %bb.827:
	s_and_b32 s12, 0xffff, s14
	s_cmp_gt_i32 s12, 25
	s_mov_b64 s[6:7], 0
	s_cbranch_scc0 .LBB353_834
; %bb.828:
	s_cmp_gt_i32 s12, 28
	s_cbranch_scc0 .LBB353_835
; %bb.829:
	s_cmp_gt_i32 s12, 43
	;; [unrolled: 3-line block ×3, first 2 shown]
	s_cbranch_scc0 .LBB353_839
; %bb.831:
	s_cmp_eq_u32 s12, 46
	s_mov_b64 s[10:11], 0
	s_cbranch_scc0 .LBB353_842
; %bb.832:
	global_load_dword v1, v[2:3], off
	s_mov_b32 s4, 0x2f800000
	s_mov_b32 s5, 0xcf800000
	s_mov_b64 s[8:9], -1
	s_waitcnt vmcnt(0)
	v_lshlrev_b32_e32 v1, 16, v1
	v_trunc_f32_e32 v1, v1
	v_mul_f32_e64 v4, |v1|, s4
	v_floor_f32_e32 v4, v4
	v_fma_f32 v4, v4, s5, |v1|
	v_cvt_u32_f32_e32 v4, v4
	v_ashrrev_i32_e32 v1, 31, v1
	s_mov_b64 s[4:5], 0
	v_xor_b32_e32 v4, v4, v1
	v_sub_u32_e32 v6, v4, v1
	s_branch .LBB353_843
.LBB353_833:
	s_mov_b64 s[10:11], -1
	s_mov_b64 s[8:9], 0
	s_mov_b64 s[6:7], 0
	;; [unrolled: 1-line block ×3, first 2 shown]
                                        ; implicit-def: $vgpr6
	s_branch .LBB353_902
.LBB353_834:
	s_mov_b64 s[10:11], -1
	s_mov_b64 s[8:9], 0
	s_mov_b64 s[4:5], s[2:3]
                                        ; implicit-def: $vgpr6
	s_branch .LBB353_870
.LBB353_835:
	s_mov_b64 s[10:11], -1
	s_mov_b64 s[8:9], 0
	s_mov_b64 s[4:5], s[2:3]
                                        ; implicit-def: $vgpr6
	s_branch .LBB353_853
.LBB353_836:
	s_mov_b64 s[10:11], -1
	s_mov_b64 s[8:9], 0
	s_mov_b64 s[4:5], s[2:3]
                                        ; implicit-def: $vgpr6
	s_branch .LBB353_848
.LBB353_837:
	s_andn2_saveexec_b64 s[10:11], s[10:11]
	s_cbranch_execz .LBB353_716
.LBB353_838:
	v_add_f32_e32 v3, 0x46000000, v4
	v_and_b32_e32 v3, 0xff, v3
	v_cmp_ne_u32_e32 vcc, 0, v3
	s_andn2_b64 s[8:9], s[8:9], exec
	s_and_b64 s[14:15], vcc, exec
	s_or_b64 s[8:9], s[8:9], s[14:15]
	s_or_b64 exec, exec, s[10:11]
	v_mov_b32_e32 v5, 0
	s_and_saveexec_b64 s[10:11], s[8:9]
	s_cbranch_execnz .LBB353_717
	s_branch .LBB353_718
.LBB353_839:
	s_mov_b64 s[10:11], -1
	s_mov_b64 s[8:9], 0
	s_mov_b64 s[4:5], s[2:3]
                                        ; implicit-def: $vgpr6
	s_branch .LBB353_843
.LBB353_840:
	s_andn2_saveexec_b64 s[10:11], s[10:11]
	s_cbranch_execz .LBB353_729
.LBB353_841:
	v_add_f32_e32 v3, 0x42800000, v4
	v_and_b32_e32 v3, 0xff, v3
	v_cmp_ne_u32_e32 vcc, 0, v3
	s_andn2_b64 s[8:9], s[8:9], exec
	s_and_b64 s[14:15], vcc, exec
	s_or_b64 s[8:9], s[8:9], s[14:15]
	s_or_b64 exec, exec, s[10:11]
	v_mov_b32_e32 v5, 0
	s_and_saveexec_b64 s[10:11], s[8:9]
	s_cbranch_execnz .LBB353_730
	s_branch .LBB353_731
.LBB353_842:
	s_mov_b64 s[4:5], -1
                                        ; implicit-def: $vgpr6
	s_mov_b64 s[8:9], 0
.LBB353_843:
	s_and_b64 vcc, exec, s[10:11]
	s_cbranch_vccz .LBB353_847
; %bb.844:
	s_cmp_eq_u32 s12, 44
	s_cbranch_scc0 .LBB353_846
; %bb.845:
	global_load_ubyte v1, v[2:3], off
	s_mov_b32 s4, 0x2f800000
	s_mov_b32 s5, 0xcf800000
	s_mov_b64 s[8:9], -1
	s_waitcnt vmcnt(0)
	v_lshlrev_b32_e32 v4, 23, v1
	v_trunc_f32_e32 v4, v4
	v_mul_f32_e64 v5, |v4|, s4
	v_floor_f32_e32 v5, v5
	v_fma_f32 v5, v5, s5, |v4|
	v_cvt_u32_f32_e32 v5, v5
	v_ashrrev_i32_e32 v4, 31, v4
	v_cmp_ne_u32_e32 vcc, 0, v1
	s_mov_b64 s[4:5], 0
	v_xor_b32_e32 v5, v5, v4
	v_sub_u32_e32 v4, v5, v4
	v_cndmask_b32_e32 v6, 0, v4, vcc
	s_branch .LBB353_847
.LBB353_846:
	s_mov_b64 s[4:5], -1
                                        ; implicit-def: $vgpr6
.LBB353_847:
	s_mov_b64 s[10:11], 0
.LBB353_848:
	s_and_b64 vcc, exec, s[10:11]
	s_cbranch_vccz .LBB353_852
; %bb.849:
	s_cmp_eq_u32 s12, 29
	s_cbranch_scc0 .LBB353_851
; %bb.850:
	global_load_dwordx2 v[6:7], v[2:3], off
	s_mov_b64 s[4:5], 0
	s_mov_b64 s[8:9], -1
	s_branch .LBB353_852
.LBB353_851:
	s_mov_b64 s[4:5], -1
                                        ; implicit-def: $vgpr6
.LBB353_852:
	s_mov_b64 s[10:11], 0
.LBB353_853:
	s_and_b64 vcc, exec, s[10:11]
	s_cbranch_vccz .LBB353_869
; %bb.854:
	s_cmp_lt_i32 s12, 27
	s_cbranch_scc1 .LBB353_857
; %bb.855:
	s_cmp_gt_i32 s12, 27
	s_cbranch_scc0 .LBB353_858
; %bb.856:
	global_load_dword v6, v[2:3], off
	s_mov_b64 s[8:9], 0
	s_branch .LBB353_859
.LBB353_857:
	s_mov_b64 s[8:9], -1
                                        ; implicit-def: $vgpr6
	s_branch .LBB353_862
.LBB353_858:
	s_mov_b64 s[8:9], -1
                                        ; implicit-def: $vgpr6
.LBB353_859:
	s_andn2_b64 vcc, exec, s[8:9]
	s_cbranch_vccnz .LBB353_861
; %bb.860:
	global_load_ushort v6, v[2:3], off
.LBB353_861:
	s_mov_b64 s[8:9], 0
.LBB353_862:
	s_andn2_b64 vcc, exec, s[8:9]
	s_cbranch_vccnz .LBB353_868
; %bb.863:
	global_load_ubyte v1, v[2:3], off
	s_movk_i32 s8, 0x7f
	s_mov_b64 s[10:11], 0
	s_waitcnt vmcnt(0)
	v_cmp_lt_i16_e32 vcc, s8, v1
	s_and_saveexec_b64 s[8:9], vcc
	s_xor_b64 s[8:9], exec, s[8:9]
	s_cbranch_execz .LBB353_880
; %bb.864:
	s_movk_i32 s10, 0x80
	v_cmp_ne_u16_e32 vcc, s10, v1
	s_and_b64 s[10:11], vcc, exec
	s_andn2_saveexec_b64 s[8:9], s[8:9]
	s_cbranch_execnz .LBB353_881
.LBB353_865:
	s_or_b64 exec, exec, s[8:9]
	v_mov_b32_e32 v6, 0
	s_and_saveexec_b64 s[8:9], s[10:11]
	s_cbranch_execz .LBB353_867
.LBB353_866:
	v_lshlrev_b32_e32 v4, 24, v1
	v_and_b32_e32 v1, 0xffff, v1
	v_and_b32_e32 v5, 7, v1
	v_ffbh_u32_e32 v7, v5
	v_min_u32_e32 v7, 32, v7
	v_subrev_u32_e32 v8, 28, v7
	v_bfe_u32 v6, v1, 3, 4
	v_lshlrev_b32_e32 v1, v8, v1
	v_sub_u32_e32 v7, 29, v7
	v_and_b32_e32 v1, 7, v1
	v_cmp_eq_u32_e32 vcc, 0, v6
	v_and_b32_e32 v4, 0x80000000, v4
	s_mov_b32 s10, 0x2f800000
	v_cndmask_b32_e32 v6, v6, v7, vcc
	v_cndmask_b32_e32 v1, v5, v1, vcc
	v_mov_b32_e32 v5, 0x3b800000
	v_lshlrev_b32_e32 v1, 20, v1
	v_lshl_add_u32 v5, v6, 23, v5
	v_or3_b32 v1, v4, v5, v1
	v_trunc_f32_e32 v1, v1
	v_mul_f32_e64 v4, |v1|, s10
	v_floor_f32_e32 v4, v4
	s_mov_b32 s10, 0xcf800000
	v_fma_f32 v4, v4, s10, |v1|
	v_cvt_u32_f32_e32 v4, v4
	v_ashrrev_i32_e32 v1, 31, v1
	v_xor_b32_e32 v4, v4, v1
	v_sub_u32_e32 v6, v4, v1
.LBB353_867:
	s_or_b64 exec, exec, s[8:9]
.LBB353_868:
	s_mov_b64 s[8:9], -1
.LBB353_869:
	s_mov_b64 s[10:11], 0
.LBB353_870:
	s_and_b64 vcc, exec, s[10:11]
	s_cbranch_vccz .LBB353_901
; %bb.871:
	s_cmp_gt_i32 s12, 22
	s_cbranch_scc0 .LBB353_879
; %bb.872:
	s_cmp_lt_i32 s12, 24
	s_cbranch_scc1 .LBB353_882
; %bb.873:
	s_cmp_gt_i32 s12, 24
	s_cbranch_scc0 .LBB353_883
; %bb.874:
	global_load_ubyte v1, v[2:3], off
	s_movk_i32 s6, 0x7f
	s_mov_b64 s[8:9], 0
	s_waitcnt vmcnt(0)
	v_cmp_lt_i16_e32 vcc, s6, v1
	s_and_saveexec_b64 s[6:7], vcc
	s_xor_b64 s[6:7], exec, s[6:7]
	s_cbranch_execz .LBB353_895
; %bb.875:
	s_movk_i32 s8, 0x80
	v_cmp_ne_u16_e32 vcc, s8, v1
	s_and_b64 s[8:9], vcc, exec
	s_andn2_saveexec_b64 s[6:7], s[6:7]
	s_cbranch_execnz .LBB353_896
.LBB353_876:
	s_or_b64 exec, exec, s[6:7]
	v_mov_b32_e32 v6, 0
	s_and_saveexec_b64 s[6:7], s[8:9]
	s_cbranch_execz .LBB353_878
.LBB353_877:
	v_lshlrev_b32_e32 v4, 24, v1
	v_and_b32_e32 v1, 0xffff, v1
	v_and_b32_e32 v5, 3, v1
	v_ffbh_u32_e32 v7, v5
	v_min_u32_e32 v7, 32, v7
	v_subrev_u32_e32 v8, 29, v7
	v_bfe_u32 v6, v1, 2, 5
	v_lshlrev_b32_e32 v1, v8, v1
	v_sub_u32_e32 v7, 30, v7
	v_and_b32_e32 v1, 3, v1
	v_cmp_eq_u32_e32 vcc, 0, v6
	v_and_b32_e32 v4, 0x80000000, v4
	s_mov_b32 s8, 0x2f800000
	v_cndmask_b32_e32 v6, v6, v7, vcc
	v_cndmask_b32_e32 v1, v5, v1, vcc
	v_mov_b32_e32 v5, 0x37800000
	v_lshlrev_b32_e32 v1, 21, v1
	v_lshl_add_u32 v5, v6, 23, v5
	v_or3_b32 v1, v4, v5, v1
	v_trunc_f32_e32 v1, v1
	v_mul_f32_e64 v4, |v1|, s8
	v_floor_f32_e32 v4, v4
	s_mov_b32 s8, 0xcf800000
	v_fma_f32 v4, v4, s8, |v1|
	v_cvt_u32_f32_e32 v4, v4
	v_ashrrev_i32_e32 v1, 31, v1
	v_xor_b32_e32 v4, v4, v1
	v_sub_u32_e32 v6, v4, v1
.LBB353_878:
	s_or_b64 exec, exec, s[6:7]
	s_mov_b64 s[6:7], 0
	s_branch .LBB353_884
.LBB353_879:
	s_mov_b64 s[6:7], -1
                                        ; implicit-def: $vgpr6
	s_branch .LBB353_890
.LBB353_880:
	s_andn2_saveexec_b64 s[8:9], s[8:9]
	s_cbranch_execz .LBB353_865
.LBB353_881:
	v_cmp_ne_u16_e32 vcc, 0, v1
	s_andn2_b64 s[10:11], s[10:11], exec
	s_and_b64 s[16:17], vcc, exec
	s_or_b64 s[10:11], s[10:11], s[16:17]
	s_or_b64 exec, exec, s[8:9]
	v_mov_b32_e32 v6, 0
	s_and_saveexec_b64 s[8:9], s[10:11]
	s_cbranch_execnz .LBB353_866
	s_branch .LBB353_867
.LBB353_882:
	s_mov_b64 s[6:7], -1
                                        ; implicit-def: $vgpr6
	s_branch .LBB353_887
.LBB353_883:
	s_mov_b64 s[6:7], -1
                                        ; implicit-def: $vgpr6
.LBB353_884:
	s_and_b64 vcc, exec, s[6:7]
	s_cbranch_vccz .LBB353_886
; %bb.885:
	global_load_ubyte v1, v[2:3], off
	s_mov_b32 s6, 0x7f800000
	s_brev_b32 s7, 1
	s_mov_b32 s8, 0x2f800000
	s_waitcnt vmcnt(0)
	v_lshlrev_b32_e32 v1, 24, v1
	v_and_b32_e32 v4, 0x7f000000, v1
	v_ffbh_u32_e32 v5, v4
	v_min_u32_e32 v5, 32, v5
	v_sub_u32_e64 v5, v5, 4 clamp
	v_lshlrev_b32_e32 v7, v5, v4
	v_lshlrev_b32_e32 v5, 23, v5
	v_lshrrev_b32_e32 v7, 4, v7
	v_add_u32_e32 v6, 0x1000000, v4
	v_sub_u32_e32 v5, v7, v5
	v_ashrrev_i32_e32 v6, 8, v6
	v_add_u32_e32 v5, 0x3c000000, v5
	v_and_or_b32 v5, v6, s6, v5
	v_cmp_ne_u32_e32 vcc, 0, v4
	s_mov_b32 s6, 0xcf800000
	s_nop 0
	v_cndmask_b32_e32 v4, 0, v5, vcc
	v_and_or_b32 v1, v1, s7, v4
	v_trunc_f32_e32 v1, v1
	v_mul_f32_e64 v4, |v1|, s8
	v_floor_f32_e32 v4, v4
	v_fma_f32 v4, v4, s6, |v1|
	v_cvt_u32_f32_e32 v4, v4
	v_ashrrev_i32_e32 v1, 31, v1
	v_xor_b32_e32 v4, v4, v1
	v_sub_u32_e32 v6, v4, v1
.LBB353_886:
	s_mov_b64 s[6:7], 0
.LBB353_887:
	s_andn2_b64 vcc, exec, s[6:7]
	s_cbranch_vccnz .LBB353_889
; %bb.888:
	global_load_ubyte v1, v[2:3], off
	s_movk_i32 s6, 0x7f00
	s_brev_b32 s7, 16
	s_brev_b32 s8, 1
	s_mov_b32 s9, 0x2f800000
	s_waitcnt vmcnt(0)
	v_lshlrev_b16_e32 v4, 8, v1
	v_lshlrev_b32_e32 v1, 25, v1
	v_lshrrev_b32_e32 v5, 4, v1
	v_and_or_b32 v6, v4, s6, 0.5
	v_or_b32_e32 v5, 0x70000000, v5
	v_add_f32_e32 v6, -0.5, v6
	v_mul_f32_e32 v5, 0x7800000, v5
	v_cmp_gt_u32_e32 vcc, s7, v1
	v_bfe_i32 v4, v4, 0, 16
	s_mov_b32 s6, 0xcf800000
	v_cndmask_b32_e32 v1, v5, v6, vcc
	v_and_or_b32 v1, v4, s8, v1
	v_trunc_f32_e32 v1, v1
	v_mul_f32_e64 v4, |v1|, s9
	v_floor_f32_e32 v4, v4
	v_fma_f32 v4, v4, s6, |v1|
	v_cvt_u32_f32_e32 v4, v4
	v_ashrrev_i32_e32 v1, 31, v1
	v_xor_b32_e32 v4, v4, v1
	v_sub_u32_e32 v6, v4, v1
.LBB353_889:
	s_mov_b64 s[6:7], 0
	s_mov_b64 s[8:9], -1
.LBB353_890:
	s_andn2_b64 vcc, exec, s[6:7]
	s_mov_b64 s[6:7], 0
	s_cbranch_vccnz .LBB353_901
; %bb.891:
	s_cmp_gt_i32 s12, 14
	s_cbranch_scc0 .LBB353_894
; %bb.892:
	s_cmp_eq_u32 s12, 15
	s_cbranch_scc0 .LBB353_897
; %bb.893:
	global_load_ushort v1, v[2:3], off
	s_mov_b32 s4, 0x2f800000
	s_mov_b32 s5, 0xcf800000
	s_mov_b64 s[8:9], -1
	s_waitcnt vmcnt(0)
	v_lshlrev_b32_e32 v1, 16, v1
	v_trunc_f32_e32 v1, v1
	v_mul_f32_e64 v4, |v1|, s4
	v_floor_f32_e32 v4, v4
	v_fma_f32 v4, v4, s5, |v1|
	v_cvt_u32_f32_e32 v4, v4
	v_ashrrev_i32_e32 v1, 31, v1
	s_mov_b64 s[4:5], 0
	v_xor_b32_e32 v4, v4, v1
	v_sub_u32_e32 v6, v4, v1
	s_branch .LBB353_898
.LBB353_894:
	s_mov_b64 s[10:11], -1
                                        ; implicit-def: $vgpr6
	s_branch .LBB353_899
.LBB353_895:
	s_andn2_saveexec_b64 s[6:7], s[6:7]
	s_cbranch_execz .LBB353_876
.LBB353_896:
	v_cmp_ne_u16_e32 vcc, 0, v1
	s_andn2_b64 s[8:9], s[8:9], exec
	s_and_b64 s[10:11], vcc, exec
	s_or_b64 s[8:9], s[8:9], s[10:11]
	s_or_b64 exec, exec, s[6:7]
	v_mov_b32_e32 v6, 0
	s_and_saveexec_b64 s[6:7], s[8:9]
	s_cbranch_execnz .LBB353_877
	s_branch .LBB353_878
.LBB353_897:
	s_mov_b64 s[4:5], -1
                                        ; implicit-def: $vgpr6
.LBB353_898:
	s_mov_b64 s[10:11], 0
.LBB353_899:
	s_and_b64 vcc, exec, s[10:11]
	s_cbranch_vccz .LBB353_901
; %bb.900:
	s_cmp_lg_u32 s12, 11
	s_cselect_b64 s[10:11], -1, 0
	s_andn2_b64 s[4:5], s[4:5], exec
	s_and_b64 s[10:11], s[10:11], exec
	s_mov_b64 s[6:7], -1
	s_or_b64 s[4:5], s[4:5], s[10:11]
.LBB353_901:
	s_mov_b64 s[10:11], 0
.LBB353_902:
	s_andn2_b64 s[12:13], s[2:3], exec
	s_and_b64 s[4:5], s[4:5], exec
	s_and_b64 s[8:9], s[8:9], exec
	;; [unrolled: 1-line block ×4, first 2 shown]
	s_or_b64 s[12:13], s[12:13], s[4:5]
.LBB353_903:
	s_or_b64 exec, exec, s[70:71]
	s_and_b64 s[4:5], s[6:7], exec
	s_andn2_b64 s[2:3], s[2:3], exec
	s_and_b64 s[6:7], s[12:13], exec
	s_and_b64 s[8:9], s[8:9], exec
	;; [unrolled: 1-line block ×3, first 2 shown]
	s_or_b64 s[2:3], s[2:3], s[6:7]
.LBB353_904:
	s_or_b64 exec, exec, s[66:67]
	s_andn2_b64 s[6:7], s[62:63], exec
	s_and_b64 s[12:13], s[68:69], exec
	s_or_b64 s[62:63], s[6:7], s[12:13]
	s_and_b64 s[6:7], s[10:11], exec
	s_andn2_b64 s[10:11], s[60:61], exec
	s_and_b64 s[2:3], s[2:3], exec
	s_and_b64 s[8:9], s[8:9], exec
	;; [unrolled: 1-line block ×3, first 2 shown]
	s_or_b64 s[60:61], s[10:11], s[2:3]
.LBB353_905:
	s_or_b64 exec, exec, s[64:65]
	s_andn2_b64 s[2:3], s[54:55], exec
	s_and_b64 s[10:11], s[62:63], exec
	s_or_b64 s[54:55], s[2:3], s[10:11]
	s_and_b64 s[2:3], s[8:9], exec
	s_and_b64 s[8:9], s[6:7], exec
	;; [unrolled: 1-line block ×3, first 2 shown]
	s_andn2_b64 s[4:5], s[56:57], exec
	s_and_b64 s[6:7], s[60:61], exec
	s_or_b64 s[56:57], s[4:5], s[6:7]
	s_or_b64 exec, exec, s[58:59]
	s_mov_b64 s[4:5], 0
	s_and_saveexec_b64 s[6:7], s[56:57]
	s_cbranch_execz .LBB353_272
.LBB353_906:
	s_mov_b64 s[4:5], exec
	s_andn2_b64 s[62:63], s[62:63], exec
	s_trap 2
	s_or_b64 exec, exec, s[6:7]
	s_and_saveexec_b64 s[6:7], s[62:63]
	s_xor_b64 s[6:7], exec, s[6:7]
	s_cbranch_execnz .LBB353_273
.LBB353_907:
	s_or_b64 exec, exec, s[6:7]
	s_and_saveexec_b64 s[6:7], s[8:9]
	s_cbranch_execz .LBB353_953
.LBB353_908:
	s_sext_i32_i16 s8, s14
	s_cmp_lt_i32 s8, 5
	s_cbranch_scc1 .LBB353_913
; %bb.909:
	s_cmp_lt_i32 s8, 8
	s_cbranch_scc1 .LBB353_914
; %bb.910:
	s_cmp_lt_i32 s8, 9
	s_cbranch_scc1 .LBB353_915
; %bb.911:
	s_cmp_gt_i32 s8, 9
	s_cbranch_scc0 .LBB353_916
; %bb.912:
	global_load_dwordx2 v[4:5], v[2:3], off
	s_movk_i32 s8, 0xffe0
	s_waitcnt vmcnt(0)
	v_trunc_f64_e32 v[4:5], v[4:5]
	v_ldexp_f64 v[6:7], v[4:5], s8
	v_floor_f64_e32 v[6:7], v[6:7]
	v_fmac_f64_e32 v[4:5], 0xc1f00000, v[6:7]
	v_cvt_u32_f64_e32 v6, v[4:5]
	s_mov_b64 s[8:9], 0
	s_branch .LBB353_917
.LBB353_913:
                                        ; implicit-def: $vgpr6
	s_branch .LBB353_934
.LBB353_914:
                                        ; implicit-def: $vgpr6
	s_branch .LBB353_923
.LBB353_915:
	s_mov_b64 s[8:9], -1
                                        ; implicit-def: $vgpr6
	s_branch .LBB353_920
.LBB353_916:
	s_mov_b64 s[8:9], -1
                                        ; implicit-def: $vgpr6
.LBB353_917:
	s_andn2_b64 vcc, exec, s[8:9]
	s_cbranch_vccnz .LBB353_919
; %bb.918:
	global_load_dword v1, v[2:3], off
	s_mov_b32 s8, 0x2f800000
	s_waitcnt vmcnt(0)
	v_trunc_f32_e32 v1, v1
	v_mul_f32_e64 v4, |v1|, s8
	v_floor_f32_e32 v4, v4
	s_mov_b32 s8, 0xcf800000
	v_fma_f32 v4, v4, s8, |v1|
	v_cvt_u32_f32_e32 v4, v4
	v_ashrrev_i32_e32 v1, 31, v1
	v_xor_b32_e32 v4, v4, v1
	v_sub_u32_e32 v6, v4, v1
.LBB353_919:
	s_mov_b64 s[8:9], 0
.LBB353_920:
	s_andn2_b64 vcc, exec, s[8:9]
	s_cbranch_vccnz .LBB353_922
; %bb.921:
	global_load_dword v1, v[2:3], off
	s_waitcnt vmcnt(0)
	v_cvt_f32_f16_e32 v1, v1
	v_cvt_i32_f32_e32 v6, v1
.LBB353_922:
	s_cbranch_execnz .LBB353_933
.LBB353_923:
	s_sext_i32_i16 s8, s14
	s_cmp_lt_i32 s8, 6
	s_cbranch_scc1 .LBB353_926
; %bb.924:
	s_cmp_gt_i32 s8, 6
	s_cbranch_scc0 .LBB353_927
; %bb.925:
	global_load_dwordx2 v[4:5], v[2:3], off
	s_movk_i32 s8, 0xffe0
	s_waitcnt vmcnt(0)
	v_trunc_f64_e32 v[4:5], v[4:5]
	v_ldexp_f64 v[6:7], v[4:5], s8
	v_floor_f64_e32 v[6:7], v[6:7]
	v_fmac_f64_e32 v[4:5], 0xc1f00000, v[6:7]
	v_cvt_u32_f64_e32 v6, v[4:5]
	s_mov_b64 s[8:9], 0
	s_branch .LBB353_928
.LBB353_926:
	s_mov_b64 s[8:9], -1
                                        ; implicit-def: $vgpr6
	s_branch .LBB353_931
.LBB353_927:
	s_mov_b64 s[8:9], -1
                                        ; implicit-def: $vgpr6
.LBB353_928:
	s_andn2_b64 vcc, exec, s[8:9]
	s_cbranch_vccnz .LBB353_930
; %bb.929:
	global_load_dword v1, v[2:3], off
	s_mov_b32 s8, 0x2f800000
	s_waitcnt vmcnt(0)
	v_trunc_f32_e32 v1, v1
	v_mul_f32_e64 v4, |v1|, s8
	v_floor_f32_e32 v4, v4
	s_mov_b32 s8, 0xcf800000
	v_fma_f32 v4, v4, s8, |v1|
	v_cvt_u32_f32_e32 v4, v4
	v_ashrrev_i32_e32 v1, 31, v1
	v_xor_b32_e32 v4, v4, v1
	v_sub_u32_e32 v6, v4, v1
.LBB353_930:
	s_mov_b64 s[8:9], 0
.LBB353_931:
	s_andn2_b64 vcc, exec, s[8:9]
	s_cbranch_vccnz .LBB353_933
; %bb.932:
	global_load_ushort v1, v[2:3], off
	s_waitcnt vmcnt(0)
	v_cvt_f32_f16_e32 v1, v1
	v_cvt_i32_f32_e32 v6, v1
.LBB353_933:
	s_cbranch_execnz .LBB353_952
.LBB353_934:
	s_sext_i32_i16 s8, s14
	s_cmp_lt_i32 s8, 2
	s_cbranch_scc1 .LBB353_938
; %bb.935:
	s_cmp_lt_i32 s8, 3
	s_cbranch_scc1 .LBB353_939
; %bb.936:
	s_cmp_gt_i32 s8, 3
	s_cbranch_scc0 .LBB353_940
; %bb.937:
	global_load_dwordx2 v[6:7], v[2:3], off
	s_mov_b64 s[8:9], 0
	s_branch .LBB353_941
.LBB353_938:
                                        ; implicit-def: $vgpr6
	s_branch .LBB353_947
.LBB353_939:
	s_mov_b64 s[8:9], -1
                                        ; implicit-def: $vgpr6
	s_branch .LBB353_944
.LBB353_940:
	s_mov_b64 s[8:9], -1
                                        ; implicit-def: $vgpr6
.LBB353_941:
	s_andn2_b64 vcc, exec, s[8:9]
	s_cbranch_vccnz .LBB353_943
; %bb.942:
	global_load_dword v6, v[2:3], off
.LBB353_943:
	s_mov_b64 s[8:9], 0
.LBB353_944:
	s_andn2_b64 vcc, exec, s[8:9]
	s_cbranch_vccnz .LBB353_946
; %bb.945:
	global_load_ushort v6, v[2:3], off
.LBB353_946:
	s_cbranch_execnz .LBB353_952
.LBB353_947:
	s_sext_i32_i16 s8, s14
	s_cmp_gt_i32 s8, 0
	s_cbranch_scc0 .LBB353_949
; %bb.948:
	global_load_ubyte v6, v[2:3], off
	s_mov_b64 s[8:9], 0
	s_branch .LBB353_950
.LBB353_949:
	s_mov_b64 s[8:9], -1
                                        ; implicit-def: $vgpr6
.LBB353_950:
	s_andn2_b64 vcc, exec, s[8:9]
	s_cbranch_vccnz .LBB353_952
; %bb.951:
	global_load_ubyte v6, v[2:3], off
.LBB353_952:
	s_or_b64 s[2:3], s[2:3], exec
.LBB353_953:
	s_or_b64 exec, exec, s[6:7]
	s_mov_b64 s[10:11], 0
	s_mov_b64 s[8:9], 0
                                        ; implicit-def: $sgpr16
                                        ; implicit-def: $vgpr4_vgpr5
                                        ; implicit-def: $vgpr2
	s_and_saveexec_b64 s[6:7], s[2:3]
	s_cbranch_execz .LBB353_1028
; %bb.954:
	s_and_b32 s2, s74, 0xff
	v_mov_b32_e32 v1, 0
	s_and_b32 s16, s73, 0xff
	s_waitcnt vmcnt(0)
	v_max_u16_sdwa v2, v6, s2 dst_sel:DWORD dst_unused:UNUSED_PAD src0_sel:BYTE_0 src1_sel:DWORD
	s_cmp_lt_i32 s16, 11
	v_lshl_add_u64 v[4:5], s[20:21], 0, v[0:1]
	s_cbranch_scc1 .LBB353_1031
; %bb.955:
	s_and_b32 s17, 0xffff, s16
	s_mov_b64 s[10:11], -1
	s_cmp_gt_i32 s17, 25
	s_mov_b64 s[2:3], s[54:55]
	s_cbranch_scc0 .LBB353_988
; %bb.956:
	s_mov_b64 s[8:9], -1
	s_cmp_gt_i32 s17, 28
	s_mov_b64 s[2:3], s[54:55]
	s_cbranch_scc0 .LBB353_972
; %bb.957:
	s_cmp_gt_i32 s17, 43
	s_mov_b64 s[2:3], s[54:55]
	s_cbranch_scc0 .LBB353_968
; %bb.958:
	;; [unrolled: 4-line block ×3, first 2 shown]
	s_cmp_eq_u32 s17, 46
	s_mov_b64 s[2:3], -1
	s_cbranch_scc0 .LBB353_961
; %bb.960:
	v_cvt_f32_ubyte0_e32 v0, v2
	v_bfe_u32 v1, v0, 16, 1
	s_movk_i32 s2, 0x7fff
	v_add3_u32 v0, v0, v1, s2
	v_lshrrev_b32_e32 v0, 16, v0
	global_store_dword v[4:5], v0, off
	s_mov_b64 s[2:3], 0
.LBB353_961:
	s_mov_b64 s[8:9], 0
.LBB353_962:
	s_and_b64 vcc, exec, s[8:9]
	s_cbranch_vccz .LBB353_967
; %bb.963:
	s_cmp_eq_u32 s17, 44
	s_mov_b64 s[2:3], -1
	s_cbranch_scc0 .LBB353_967
; %bb.964:
	v_cvt_f32_ubyte0_e32 v1, v2
	v_lshrrev_b32_e32 v0, 23, v1
	s_movk_i32 s2, 0xff
	v_cmp_ne_u32_e32 vcc, s2, v0
	v_mov_b32_e32 v3, 0xff
	s_and_saveexec_b64 s[8:9], vcc
; %bb.965:
	s_mov_b32 s2, 0x3fffff
	v_and_b32_e32 v3, 0x400000, v1
	v_and_or_b32 v1, v1, s2, v0
	v_cmp_ne_u32_e32 vcc, 0, v3
	v_cmp_ne_u32_e64 s[2:3], 0, v1
	s_and_b64 s[2:3], vcc, s[2:3]
	s_nop 0
	v_cndmask_b32_e64 v1, 0, 1, s[2:3]
	v_add_u32_e32 v3, v0, v1
; %bb.966:
	s_or_b64 exec, exec, s[8:9]
	s_mov_b64 s[2:3], 0
	global_store_byte v[4:5], v3, off
.LBB353_967:
	s_mov_b64 s[8:9], 0
.LBB353_968:
	s_and_b64 vcc, exec, s[8:9]
	s_cbranch_vccz .LBB353_971
; %bb.969:
	s_cmp_eq_u32 s17, 29
	s_mov_b64 s[2:3], -1
	s_cbranch_scc0 .LBB353_971
; %bb.970:
	s_mov_b32 s2, 0
	v_mov_b32_e32 v3, s2
	global_store_dwordx2 v[4:5], v[2:3], off
	s_mov_b64 s[2:3], 0
.LBB353_971:
	s_mov_b64 s[8:9], 0
.LBB353_972:
	s_and_b64 vcc, exec, s[8:9]
	s_cbranch_vccz .LBB353_987
; %bb.973:
	s_cmp_lt_i32 s17, 27
	s_mov_b64 s[8:9], -1
	s_cbranch_scc1 .LBB353_979
; %bb.974:
	s_cmp_gt_i32 s17, 27
	s_cbranch_scc0 .LBB353_976
; %bb.975:
	s_mov_b64 s[8:9], 0
	global_store_dword v[4:5], v2, off
.LBB353_976:
	s_andn2_b64 vcc, exec, s[8:9]
	s_cbranch_vccnz .LBB353_978
; %bb.977:
	global_store_short v[4:5], v2, off
.LBB353_978:
	s_mov_b64 s[8:9], 0
.LBB353_979:
	s_andn2_b64 vcc, exec, s[8:9]
	s_cbranch_vccnz .LBB353_987
; %bb.980:
	v_cvt_f32_ubyte0_e32 v1, v2
	s_mov_b32 s8, 0x43800000
	v_cmp_gt_u32_e32 vcc, s8, v1
	v_mov_b32_e32 v3, 0x80
	s_and_saveexec_b64 s[8:9], vcc
	s_cbranch_execz .LBB353_986
; %bb.981:
	s_mov_b32 s10, 0x3bffffff
	v_cmp_lt_u32_e32 vcc, s10, v1
	s_mov_b64 s[10:11], 0
                                        ; implicit-def: $vgpr0
	s_and_saveexec_b64 s[12:13], vcc
	s_xor_b64 s[12:13], exec, s[12:13]
	s_cbranch_execz .LBB353_1144
; %bb.982:
	v_bfe_u32 v0, v1, 20, 1
	s_mov_b32 s14, 0x487ffff
	v_add3_u32 v0, v1, v0, s14
	s_mov_b64 s[10:11], exec
	v_lshrrev_b32_e32 v0, 20, v0
                                        ; implicit-def: $vgpr1
	s_andn2_saveexec_b64 s[12:13], s[12:13]
	s_cbranch_execnz .LBB353_1145
.LBB353_983:
	s_or_b64 exec, exec, s[12:13]
	v_mov_b32_e32 v3, 0
	s_and_saveexec_b64 s[12:13], s[10:11]
.LBB353_984:
	v_mov_b32_e32 v3, v0
.LBB353_985:
	s_or_b64 exec, exec, s[12:13]
.LBB353_986:
	s_or_b64 exec, exec, s[8:9]
	global_store_byte v[4:5], v3, off
.LBB353_987:
	s_mov_b64 s[10:11], 0
.LBB353_988:
	s_mov_b64 s[8:9], 0
	s_and_b64 vcc, exec, s[10:11]
	s_cbranch_vccz .LBB353_1032
; %bb.989:
	s_cmp_gt_i32 s17, 22
	s_mov_b64 s[10:11], -1
	s_cbranch_scc0 .LBB353_1021
; %bb.990:
	s_cmp_lt_i32 s17, 24
	s_cbranch_scc1 .LBB353_1010
; %bb.991:
	s_cmp_gt_i32 s17, 24
	s_cbranch_scc0 .LBB353_999
; %bb.992:
	v_cvt_f32_ubyte0_e32 v1, v2
	s_mov_b32 s10, 0x47800000
	v_cmp_gt_u32_e32 vcc, s10, v1
	v_mov_b32_e32 v3, 0x80
	s_and_saveexec_b64 s[10:11], vcc
	s_cbranch_execz .LBB353_998
; %bb.993:
	s_mov_b32 s12, 0x37ffffff
	v_cmp_lt_u32_e32 vcc, s12, v1
	s_mov_b64 s[12:13], 0
                                        ; implicit-def: $vgpr0
	s_and_saveexec_b64 s[14:15], vcc
	s_xor_b64 s[14:15], exec, s[14:15]
	s_cbranch_execz .LBB353_1264
; %bb.994:
	v_bfe_u32 v0, v1, 21, 1
	s_mov_b32 s18, 0x88fffff
	v_add3_u32 v0, v1, v0, s18
	s_mov_b64 s[12:13], exec
	v_lshrrev_b32_e32 v0, 21, v0
                                        ; implicit-def: $vgpr1
	s_andn2_saveexec_b64 s[14:15], s[14:15]
	s_cbranch_execnz .LBB353_1265
.LBB353_995:
	s_or_b64 exec, exec, s[14:15]
	v_mov_b32_e32 v3, 0
	s_and_saveexec_b64 s[14:15], s[12:13]
.LBB353_996:
	v_mov_b32_e32 v3, v0
.LBB353_997:
	s_or_b64 exec, exec, s[14:15]
.LBB353_998:
	s_or_b64 exec, exec, s[10:11]
	s_mov_b64 s[10:11], 0
	global_store_byte v[4:5], v3, off
.LBB353_999:
	s_and_b64 vcc, exec, s[10:11]
	s_cbranch_vccz .LBB353_1009
; %bb.1000:
	v_cvt_f32_ubyte0_e32 v0, v2
	s_mov_b32 s10, 0x43f00000
	v_cmp_gt_u32_e32 vcc, s10, v0
                                        ; implicit-def: $vgpr1
	s_and_saveexec_b64 s[10:11], vcc
	s_xor_b64 s[10:11], exec, s[10:11]
	s_cbranch_execz .LBB353_1006
; %bb.1001:
	s_mov_b32 s12, 0x3c7fffff
	v_cmp_lt_u32_e32 vcc, s12, v0
                                        ; implicit-def: $vgpr1
	s_and_saveexec_b64 s[12:13], vcc
	s_xor_b64 s[12:13], exec, s[12:13]
; %bb.1002:
	v_bfe_u32 v1, v0, 20, 1
	s_mov_b32 s14, 0x407ffff
	v_add3_u32 v0, v0, v1, s14
	v_lshrrev_b32_e32 v1, 20, v0
	v_and_b32_e32 v0, 0xff00000, v0
	s_mov_b32 s14, 0x7f00000
	v_mov_b32_e32 v3, 0x7e
	v_cmp_ne_u32_e32 vcc, s14, v0
                                        ; implicit-def: $vgpr0
	s_nop 1
	v_cndmask_b32_e32 v1, v3, v1, vcc
; %bb.1003:
	s_andn2_saveexec_b64 s[12:13], s[12:13]
; %bb.1004:
	v_add_f32_e32 v1, 0x46800000, v0
; %bb.1005:
	s_or_b64 exec, exec, s[12:13]
                                        ; implicit-def: $vgpr0
.LBB353_1006:
	s_andn2_saveexec_b64 s[10:11], s[10:11]
; %bb.1007:
	s_mov_b32 s12, 0x7f800000
	v_mov_b32_e32 v1, 0x7e
	v_mov_b32_e32 v3, 0x7f
	v_cmp_lt_u32_e32 vcc, s12, v0
	s_nop 1
	v_cndmask_b32_e32 v1, v1, v3, vcc
; %bb.1008:
	s_or_b64 exec, exec, s[10:11]
	global_store_byte v[4:5], v1, off
.LBB353_1009:
	s_mov_b64 s[10:11], 0
.LBB353_1010:
	s_andn2_b64 vcc, exec, s[10:11]
	s_cbranch_vccnz .LBB353_1020
; %bb.1011:
	v_cvt_f32_ubyte0_e32 v0, v2
	s_mov_b32 s10, 0x47800000
	v_cmp_gt_u32_e32 vcc, s10, v0
                                        ; implicit-def: $vgpr1
	s_and_saveexec_b64 s[10:11], vcc
	s_xor_b64 s[10:11], exec, s[10:11]
	s_cbranch_execz .LBB353_1017
; %bb.1012:
	s_mov_b32 s12, 0x387fffff
	v_cmp_lt_u32_e32 vcc, s12, v0
                                        ; implicit-def: $vgpr1
	s_and_saveexec_b64 s[12:13], vcc
	s_xor_b64 s[12:13], exec, s[12:13]
; %bb.1013:
	v_bfe_u32 v1, v0, 21, 1
	s_mov_b32 s14, 0x80fffff
	v_add3_u32 v0, v0, v1, s14
	v_lshrrev_b32_e32 v1, 21, v0
                                        ; implicit-def: $vgpr0
; %bb.1014:
	s_andn2_saveexec_b64 s[12:13], s[12:13]
; %bb.1015:
	v_add_f32_e32 v1, 0x43000000, v0
; %bb.1016:
	s_or_b64 exec, exec, s[12:13]
                                        ; implicit-def: $vgpr0
.LBB353_1017:
	s_andn2_saveexec_b64 s[10:11], s[10:11]
; %bb.1018:
	s_mov_b32 s12, 0x7f800000
	v_mov_b32_e32 v1, 0x7c
	v_mov_b32_e32 v3, 0x7f
	v_cmp_lt_u32_e32 vcc, s12, v0
	s_nop 1
	v_cndmask_b32_e32 v1, v1, v3, vcc
; %bb.1019:
	s_or_b64 exec, exec, s[10:11]
	global_store_byte v[4:5], v1, off
.LBB353_1020:
	s_mov_b64 s[10:11], 0
.LBB353_1021:
	s_andn2_b64 vcc, exec, s[10:11]
	s_mov_b64 s[10:11], 0
	s_cbranch_vccnz .LBB353_1033
; %bb.1022:
	s_cmp_gt_i32 s17, 14
	s_mov_b64 s[12:13], -1
	s_cbranch_scc0 .LBB353_1026
; %bb.1023:
	s_cmp_eq_u32 s17, 15
	s_mov_b64 s[2:3], -1
	s_cbranch_scc0 .LBB353_1025
; %bb.1024:
	v_cvt_f32_ubyte0_e32 v0, v2
	v_bfe_u32 v1, v0, 16, 1
	s_movk_i32 s2, 0x7fff
	v_add3_u32 v0, v0, v1, s2
	global_store_short_d16_hi v[4:5], v0, off
	s_mov_b64 s[2:3], 0
.LBB353_1025:
	s_mov_b64 s[12:13], 0
.LBB353_1026:
	s_and_b64 vcc, exec, s[12:13]
	s_cbranch_vccz .LBB353_1033
; %bb.1027:
	s_cmp_lg_u32 s17, 11
	s_cselect_b64 s[12:13], -1, 0
	s_andn2_b64 s[2:3], s[2:3], exec
	s_and_b64 s[12:13], s[12:13], exec
	s_mov_b64 s[10:11], -1
	s_or_b64 s[2:3], s[2:3], s[12:13]
	s_branch .LBB353_1033
.LBB353_1028:
	s_or_b64 exec, exec, s[6:7]
	s_and_saveexec_b64 s[2:3], s[54:55]
	s_cbranch_execnz .LBB353_1034
.LBB353_1029:
	s_or_b64 exec, exec, s[2:3]
	s_and_saveexec_b64 s[2:3], s[10:11]
	s_xor_b64 s[2:3], exec, s[2:3]
	s_cbranch_execz .LBB353_1035
.LBB353_1030:
	v_mov_b32_e32 v0, 0
	v_cmp_ne_u16_sdwa s[6:7], v2, v0 src0_sel:BYTE_0 src1_sel:DWORD
	s_nop 1
	v_cndmask_b32_e64 v0, 0, 1, s[6:7]
	s_waitcnt vmcnt(0)
	global_store_byte v[4:5], v0, off
	s_or_b64 exec, exec, s[2:3]
	s_and_saveexec_b64 s[2:3], s[8:9]
	s_xor_b64 s[2:3], exec, s[2:3]
	s_cbranch_execz .LBB353_1073
	s_branch .LBB353_1036
.LBB353_1031:
	s_mov_b64 s[8:9], -1
	s_mov_b64 s[2:3], s[54:55]
	s_branch .LBB353_1033
.LBB353_1032:
	s_mov_b64 s[10:11], 0
.LBB353_1033:
	s_andn2_b64 s[12:13], s[54:55], exec
	s_and_b64 s[2:3], s[2:3], exec
	s_and_b64 s[8:9], s[8:9], exec
	;; [unrolled: 1-line block ×3, first 2 shown]
	s_or_b64 s[54:55], s[12:13], s[2:3]
	s_or_b64 exec, exec, s[6:7]
	s_and_saveexec_b64 s[2:3], s[54:55]
	s_cbranch_execz .LBB353_1029
.LBB353_1034:
	s_or_b64 s[4:5], s[4:5], exec
	s_andn2_b64 s[10:11], s[10:11], exec
	s_trap 2
	s_or_b64 exec, exec, s[2:3]
	s_and_saveexec_b64 s[2:3], s[10:11]
	s_xor_b64 s[2:3], exec, s[2:3]
	s_cbranch_execnz .LBB353_1030
.LBB353_1035:
	s_or_b64 exec, exec, s[2:3]
	s_and_saveexec_b64 s[2:3], s[8:9]
	s_xor_b64 s[2:3], exec, s[2:3]
	s_cbranch_execz .LBB353_1073
.LBB353_1036:
	s_sext_i32_i16 s8, s16
	s_cmp_lt_i32 s8, 5
	s_mov_b64 s[6:7], -1
	s_cbranch_scc1 .LBB353_1057
; %bb.1037:
	s_cmp_lt_i32 s8, 8
	s_cbranch_scc1 .LBB353_1047
; %bb.1038:
	s_cmp_lt_i32 s8, 9
	s_cbranch_scc1 .LBB353_1044
; %bb.1039:
	s_cmp_gt_i32 s8, 9
	s_cbranch_scc0 .LBB353_1041
; %bb.1040:
	s_mov_b32 s6, 0xffff
	v_and_b32_sdwa v0, s6, v2 dst_sel:DWORD dst_unused:UNUSED_PAD src0_sel:DWORD src1_sel:BYTE_0
	v_mov_b32_e32 v8, 0
	s_waitcnt vmcnt(0)
	v_cvt_f64_u32_e32 v[6:7], v0
	v_mov_b32_e32 v9, v8
	s_mov_b64 s[6:7], 0
	global_store_dwordx4 v[4:5], v[6:9], off
.LBB353_1041:
	s_andn2_b64 vcc, exec, s[6:7]
	s_cbranch_vccnz .LBB353_1043
; %bb.1042:
	v_cvt_f32_ubyte0_e32 v0, v2
	v_mov_b32_e32 v1, 0
	s_waitcnt vmcnt(0)
	global_store_dwordx2 v[4:5], v[0:1], off
.LBB353_1043:
	s_mov_b64 s[6:7], 0
.LBB353_1044:
	s_andn2_b64 vcc, exec, s[6:7]
	s_cbranch_vccnz .LBB353_1046
; %bb.1045:
	v_cvt_f16_u16_sdwa v0, v2 dst_sel:DWORD dst_unused:UNUSED_PAD src0_sel:BYTE_0
	s_waitcnt vmcnt(0)
	global_store_dword v[4:5], v0, off
.LBB353_1046:
	s_mov_b64 s[6:7], 0
.LBB353_1047:
	s_andn2_b64 vcc, exec, s[6:7]
	s_cbranch_vccnz .LBB353_1056
; %bb.1048:
	s_sext_i32_i16 s8, s16
	s_cmp_lt_i32 s8, 6
	s_mov_b64 s[6:7], -1
	s_cbranch_scc1 .LBB353_1054
; %bb.1049:
	s_cmp_gt_i32 s8, 6
	s_cbranch_scc0 .LBB353_1051
; %bb.1050:
	s_mov_b32 s6, 0xffff
	v_and_b32_sdwa v0, s6, v2 dst_sel:DWORD dst_unused:UNUSED_PAD src0_sel:DWORD src1_sel:BYTE_0
	v_cvt_f64_u32_e32 v[0:1], v0
	s_mov_b64 s[6:7], 0
	s_waitcnt vmcnt(0)
	global_store_dwordx2 v[4:5], v[0:1], off
.LBB353_1051:
	s_andn2_b64 vcc, exec, s[6:7]
	s_cbranch_vccnz .LBB353_1053
; %bb.1052:
	v_cvt_f32_ubyte0_e32 v0, v2
	s_waitcnt vmcnt(0)
	global_store_dword v[4:5], v0, off
.LBB353_1053:
	s_mov_b64 s[6:7], 0
.LBB353_1054:
	s_andn2_b64 vcc, exec, s[6:7]
	s_cbranch_vccnz .LBB353_1056
; %bb.1055:
	v_cvt_f16_u16_sdwa v0, v2 dst_sel:DWORD dst_unused:UNUSED_PAD src0_sel:BYTE_0
	s_waitcnt vmcnt(0)
	global_store_short v[4:5], v0, off
.LBB353_1056:
	s_mov_b64 s[6:7], 0
.LBB353_1057:
	s_andn2_b64 vcc, exec, s[6:7]
	s_cbranch_vccnz .LBB353_1073
; %bb.1058:
	s_sext_i32_i16 s8, s16
	s_cmp_lt_i32 s8, 2
	s_mov_b64 s[6:7], -1
	s_cbranch_scc1 .LBB353_1068
; %bb.1059:
	s_cmp_lt_i32 s8, 3
	s_cbranch_scc1 .LBB353_1065
; %bb.1060:
	s_cmp_gt_i32 s8, 3
	s_cbranch_scc0 .LBB353_1062
; %bb.1061:
	v_and_b32_e32 v0, 0xff, v2
	v_mov_b32_e32 v1, 0
	s_mov_b64 s[6:7], 0
	s_waitcnt vmcnt(0)
	global_store_dwordx2 v[4:5], v[0:1], off
.LBB353_1062:
	s_andn2_b64 vcc, exec, s[6:7]
	s_cbranch_vccnz .LBB353_1064
; %bb.1063:
	v_and_b32_e32 v0, 0xff, v2
	s_waitcnt vmcnt(0)
	global_store_dword v[4:5], v0, off
.LBB353_1064:
	s_mov_b64 s[6:7], 0
.LBB353_1065:
	s_andn2_b64 vcc, exec, s[6:7]
	s_cbranch_vccnz .LBB353_1067
; %bb.1066:
	v_and_b32_e32 v0, 0xff, v2
	s_waitcnt vmcnt(0)
	global_store_short v[4:5], v0, off
.LBB353_1067:
	s_mov_b64 s[6:7], 0
.LBB353_1068:
	s_andn2_b64 vcc, exec, s[6:7]
	s_cbranch_vccnz .LBB353_1073
; %bb.1069:
	s_sext_i32_i16 s6, s16
	s_cmp_gt_i32 s6, 0
	s_mov_b64 s[6:7], -1
	s_cbranch_scc0 .LBB353_1071
; %bb.1070:
	s_mov_b64 s[6:7], 0
	s_waitcnt vmcnt(0)
	global_store_byte v[4:5], v2, off
.LBB353_1071:
	s_andn2_b64 vcc, exec, s[6:7]
	s_cbranch_vccnz .LBB353_1073
; %bb.1072:
	s_waitcnt vmcnt(0)
	global_store_byte v[4:5], v2, off
.LBB353_1073:
	s_or_b64 exec, exec, s[2:3]
	s_and_b64 s[24:25], s[4:5], exec
                                        ; implicit-def: $vgpr16
                                        ; implicit-def: $vgpr12
.LBB353_1074:
	s_or_saveexec_b64 s[26:27], s[44:45]
	s_mov_b64 s[6:7], 0
                                        ; implicit-def: $vgpr0_vgpr1
                                        ; implicit-def: $sgpr14
                                        ; implicit-def: $vgpr2
	s_xor_b64 exec, exec, s[26:27]
	s_cbranch_execz .LBB353_2061
; %bb.1075:
	v_cndmask_b32_e64 v0, 0, 1, s[42:43]
	v_cmp_ne_u32_e64 s[2:3], 1, v0
	s_andn2_b64 vcc, exec, s[42:43]
	s_cbranch_vccnz .LBB353_1081
; %bb.1076:
	s_cmp_lg_u32 s33, 0
	s_mov_b32 s36, 0
	s_cbranch_scc0 .LBB353_1082
; %bb.1077:
	s_min_u32 s37, s72, 15
	s_add_i32 s37, s37, 1
	s_cmp_eq_u32 s72, 2
	s_cbranch_scc1 .LBB353_1083
; %bb.1078:
	s_and_b32 s36, s37, 28
	s_add_u32 s28, s34, 0xc4
	s_addc_u32 s29, s35, 0
	s_mov_b32 s38, 0
	s_waitcnt vmcnt(0)
	v_mov_b32_e32 v6, 0
	v_mov_b32_e32 v8, 0
	s_mov_b64 s[30:31], s[34:35]
	v_mov_b32_e32 v0, v12
.LBB353_1079:                           ; =>This Inner Loop Header: Depth=1
	s_load_dwordx8 s[12:19], s[30:31], 0x4
	s_load_dwordx4 s[20:23], s[30:31], 0x24
	s_load_dwordx8 s[4:11], s[28:29], 0x0
	s_add_u32 s30, s30, 48
	s_addc_u32 s31, s31, 0
	s_waitcnt lgkmcnt(0)
	v_mul_hi_u32 v1, s13, v0
	v_add_u32_e32 v1, v0, v1
	v_lshrrev_b32_e32 v1, s14, v1
	v_mul_lo_u32 v2, v1, s12
	v_mul_hi_u32 v3, s16, v1
	v_sub_u32_e32 v0, v0, v2
	v_add_u32_e32 v2, v1, v3
	v_lshrrev_b32_e32 v2, s17, v2
	v_mul_lo_u32 v4, v2, s15
	v_mul_hi_u32 v5, s19, v2
	v_sub_u32_e32 v1, v1, v4
	v_add_u32_e32 v4, v2, v5
	v_mul_lo_u32 v3, v0, s5
	v_mul_lo_u32 v0, v0, s4
	;; [unrolled: 1-line block ×4, first 2 shown]
	v_lshrrev_b32_e32 v4, s20, v4
	v_add3_u32 v1, v0, v6, v1
	v_add3_u32 v3, v3, v8, v5
	v_mul_lo_u32 v0, v4, s18
	v_mul_hi_u32 v5, s22, v4
	v_sub_u32_e32 v0, v2, v0
	v_add_u32_e32 v2, v4, v5
	v_mul_lo_u32 v5, v0, s8
	v_mul_lo_u32 v6, v0, s9
	v_lshrrev_b32_e32 v0, s23, v2
	s_add_i32 s38, s38, 4
	v_mul_lo_u32 v2, v0, s21
	s_add_u32 s28, s28, 32
	v_sub_u32_e32 v2, v4, v2
	s_addc_u32 s29, s29, 0
	v_mul_lo_u32 v4, v2, s10
	v_mul_lo_u32 v2, v2, s11
	s_cmp_lg_u32 s36, s38
	v_add3_u32 v8, v6, v3, v2
	v_add3_u32 v6, v5, v1, v4
	s_cbranch_scc1 .LBB353_1079
; %bb.1080:
	v_mov_b32_e32 v1, v8
	s_and_b32 s8, s37, 3
	s_cmp_eq_u32 s8, 0
	s_cbranch_scc0 .LBB353_1084
	s_branch .LBB353_1086
.LBB353_1081:
                                        ; implicit-def: $vgpr8
                                        ; implicit-def: $vgpr6
	s_branch .LBB353_1087
.LBB353_1082:
	v_mov_b32_e32 v8, 0
	s_waitcnt vmcnt(0)
	v_mov_b32_e32 v6, 0
	s_branch .LBB353_1086
.LBB353_1083:
	s_waitcnt vmcnt(0)
	v_mov_b32_e32 v6, 0
                                        ; implicit-def: $vgpr8
	v_mov_b32_e32 v1, v6
	v_mov_b32_e32 v0, v12
	s_and_b32 s8, s37, 3
	s_cmp_eq_u32 s8, 0
	s_cbranch_scc1 .LBB353_1086
.LBB353_1084:
	s_lshl_b32 s4, s36, 3
	s_add_u32 s4, s34, s4
	s_addc_u32 s5, s35, 0
	s_add_u32 s4, s4, 0xc4
	s_addc_u32 s5, s5, 0
	s_mul_i32 s6, s36, 12
	s_add_u32 s6, s34, s6
	s_addc_u32 s7, s35, 0
.LBB353_1085:                           ; =>This Inner Loop Header: Depth=1
	s_load_dwordx2 s[10:11], s[6:7], 0x4
	s_load_dword s9, s[6:7], 0xc
	s_load_dwordx2 s[12:13], s[4:5], 0x0
	v_mov_b32_e32 v2, v1
	s_add_u32 s6, s6, 12
	s_waitcnt lgkmcnt(0)
	v_mul_hi_u32 v1, s11, v0
	v_add_u32_e32 v1, v0, v1
	v_lshrrev_b32_e32 v1, s9, v1
	s_addc_u32 s7, s7, 0
	v_mul_lo_u32 v3, v1, s10
	s_add_u32 s4, s4, 8
	v_sub_u32_e32 v3, v0, v3
	s_addc_u32 s5, s5, 0
	s_add_i32 s8, s8, -1
	v_mad_u64_u32 v[8:9], s[10:11], v3, s13, v[2:3]
	s_cmp_lg_u32 s8, 0
	v_mov_b32_e32 v0, v1
	v_mad_u64_u32 v[6:7], s[10:11], v3, s12, v[6:7]
	v_mov_b32_e32 v1, v8
	s_cbranch_scc1 .LBB353_1085
.LBB353_1086:
	s_cbranch_execnz .LBB353_1089
.LBB353_1087:
	s_load_dwordx4 s[4:7], s[34:35], 0x4
	s_load_dwordx2 s[8:9], s[34:35], 0xc4
	s_cmp_lt_u32 s33, 2
	s_waitcnt lgkmcnt(0)
	v_mul_hi_u32 v0, s5, v12
	v_add_u32_e32 v0, v12, v0
	v_lshrrev_b32_e32 v0, s6, v0
	v_mul_lo_u32 v1, v0, s4
	v_sub_u32_e32 v1, v12, v1
	v_mul_lo_u32 v8, v1, s9
	s_waitcnt vmcnt(0)
	v_mul_lo_u32 v6, v1, s8
	s_cbranch_scc1 .LBB353_1089
; %bb.1088:
	s_load_dwordx4 s[4:7], s[34:35], 0x10
	s_load_dwordx2 s[8:9], s[34:35], 0xcc
	s_waitcnt lgkmcnt(0)
	v_mul_hi_u32 v1, s5, v0
	v_add_u32_e32 v1, v0, v1
	v_lshrrev_b32_e32 v1, s6, v1
	v_mul_lo_u32 v1, v1, s4
	v_sub_u32_e32 v0, v0, v1
	v_mad_u64_u32 v[6:7], s[4:5], v0, s8, v[6:7]
	v_mad_u64_u32 v[8:9], s[4:5], v0, s9, v[8:9]
.LBB353_1089:
	s_and_b64 vcc, exec, s[2:3]
	v_add_u32_e32 v0, 0x80, v12
	s_cbranch_vccnz .LBB353_1095
; %bb.1090:
	s_cmp_lg_u32 s33, 0
	s_mov_b32 s36, 0
	s_cbranch_scc0 .LBB353_1096
; %bb.1091:
	s_min_u32 s37, s72, 15
	s_add_i32 s37, s37, 1
	s_cmp_eq_u32 s72, 2
	s_cbranch_scc1 .LBB353_1097
; %bb.1092:
	s_and_b32 s36, s37, 28
	s_add_u32 s28, s34, 0xc4
	s_addc_u32 s29, s35, 0
	s_mov_b32 s38, 0
	s_waitcnt vmcnt(0)
	v_mov_b32_e32 v4, 0
	v_mov_b32_e32 v10, 0
	s_mov_b64 s[30:31], s[34:35]
	v_mov_b32_e32 v2, v0
.LBB353_1093:                           ; =>This Inner Loop Header: Depth=1
	s_load_dwordx8 s[12:19], s[30:31], 0x4
	s_load_dwordx4 s[20:23], s[30:31], 0x24
	s_load_dwordx8 s[4:11], s[28:29], 0x0
	s_add_u32 s30, s30, 48
	s_addc_u32 s31, s31, 0
	s_waitcnt lgkmcnt(0)
	v_mul_hi_u32 v1, s13, v2
	v_add_u32_e32 v1, v2, v1
	v_lshrrev_b32_e32 v1, s14, v1
	v_mul_lo_u32 v3, v1, s12
	v_mul_hi_u32 v5, s16, v1
	v_sub_u32_e32 v2, v2, v3
	v_add_u32_e32 v3, v1, v5
	v_lshrrev_b32_e32 v3, s17, v3
	v_mul_lo_u32 v7, v3, s15
	v_mul_hi_u32 v9, s19, v3
	v_sub_u32_e32 v1, v1, v7
	v_add_u32_e32 v7, v3, v9
	v_mul_lo_u32 v5, v2, s5
	v_mul_lo_u32 v2, v2, s4
	;; [unrolled: 1-line block ×4, first 2 shown]
	v_lshrrev_b32_e32 v7, s20, v7
	v_add3_u32 v1, v2, v4, v1
	v_add3_u32 v4, v5, v10, v9
	v_mul_lo_u32 v2, v7, s18
	v_mul_hi_u32 v5, s22, v7
	v_sub_u32_e32 v2, v3, v2
	v_add_u32_e32 v3, v7, v5
	v_mul_lo_u32 v5, v2, s8
	v_mul_lo_u32 v9, v2, s9
	v_lshrrev_b32_e32 v2, s23, v3
	s_add_i32 s38, s38, 4
	v_mul_lo_u32 v3, v2, s21
	s_add_u32 s28, s28, 32
	v_sub_u32_e32 v3, v7, v3
	s_addc_u32 s29, s29, 0
	v_mul_lo_u32 v7, v3, s10
	v_mul_lo_u32 v3, v3, s11
	s_cmp_lg_u32 s36, s38
	v_add3_u32 v10, v9, v4, v3
	v_add3_u32 v4, v5, v1, v7
	s_cbranch_scc1 .LBB353_1093
; %bb.1094:
	v_mov_b32_e32 v1, v10
	s_and_b32 s8, s37, 3
	s_cmp_eq_u32 s8, 0
	s_cbranch_scc0 .LBB353_1098
	s_branch .LBB353_1100
.LBB353_1095:
                                        ; implicit-def: $vgpr10
                                        ; implicit-def: $vgpr4
	s_branch .LBB353_1101
.LBB353_1096:
	v_mov_b32_e32 v10, 0
	s_waitcnt vmcnt(0)
	v_mov_b32_e32 v4, 0
	s_branch .LBB353_1100
.LBB353_1097:
	s_waitcnt vmcnt(0)
	v_mov_b32_e32 v4, 0
                                        ; implicit-def: $vgpr10
	v_mov_b32_e32 v1, v4
	v_mov_b32_e32 v2, v0
	s_and_b32 s8, s37, 3
	s_cmp_eq_u32 s8, 0
	s_cbranch_scc1 .LBB353_1100
.LBB353_1098:
	s_lshl_b32 s4, s36, 3
	s_add_u32 s4, s34, s4
	s_addc_u32 s5, s35, 0
	s_add_u32 s4, s4, 0xc4
	s_addc_u32 s5, s5, 0
	s_mul_i32 s6, s36, 12
	s_add_u32 s6, s34, s6
	s_addc_u32 s7, s35, 0
.LBB353_1099:                           ; =>This Inner Loop Header: Depth=1
	s_load_dwordx2 s[10:11], s[6:7], 0x4
	s_load_dword s9, s[6:7], 0xc
	s_load_dwordx2 s[12:13], s[4:5], 0x0
	v_mov_b32_e32 v10, v1
	s_add_u32 s6, s6, 12
	s_waitcnt lgkmcnt(0)
	v_mul_hi_u32 v1, s11, v2
	v_add_u32_e32 v1, v2, v1
	v_lshrrev_b32_e32 v1, s9, v1
	s_addc_u32 s7, s7, 0
	v_mul_lo_u32 v3, v1, s10
	s_add_u32 s4, s4, 8
	v_sub_u32_e32 v3, v2, v3
	s_addc_u32 s5, s5, 0
	s_add_i32 s8, s8, -1
	v_mad_u64_u32 v[10:11], s[10:11], v3, s13, v[10:11]
	s_cmp_lg_u32 s8, 0
	v_mov_b32_e32 v2, v1
	v_mad_u64_u32 v[4:5], s[10:11], v3, s12, v[4:5]
	v_mov_b32_e32 v1, v10
	s_cbranch_scc1 .LBB353_1099
.LBB353_1100:
	s_cbranch_execnz .LBB353_1103
.LBB353_1101:
	s_load_dwordx4 s[4:7], s[34:35], 0x4
	s_load_dwordx2 s[8:9], s[34:35], 0xc4
	s_cmp_lt_u32 s33, 2
	s_waitcnt lgkmcnt(0)
	v_mul_hi_u32 v1, s5, v0
	v_add_u32_e32 v1, v0, v1
	v_lshrrev_b32_e32 v1, s6, v1
	v_mul_lo_u32 v2, v1, s4
	v_sub_u32_e32 v0, v0, v2
	v_mul_lo_u32 v10, v0, s9
	s_waitcnt vmcnt(0)
	v_mul_lo_u32 v4, v0, s8
	s_cbranch_scc1 .LBB353_1103
; %bb.1102:
	s_load_dwordx4 s[4:7], s[34:35], 0x10
	s_load_dwordx2 s[8:9], s[34:35], 0xcc
	s_waitcnt lgkmcnt(0)
	v_mul_hi_u32 v0, s5, v1
	v_add_u32_e32 v0, v1, v0
	v_lshrrev_b32_e32 v0, s6, v0
	v_mul_lo_u32 v0, v0, s4
	v_sub_u32_e32 v0, v1, v0
	v_mad_u64_u32 v[4:5], s[4:5], v0, s8, v[4:5]
	v_mad_u64_u32 v[10:11], s[4:5], v0, s9, v[10:11]
.LBB353_1103:
	s_and_b64 vcc, exec, s[2:3]
	v_add_u32_e32 v0, 0x100, v12
	s_cbranch_vccnz .LBB353_1109
; %bb.1104:
	s_cmp_lg_u32 s33, 0
	s_mov_b32 s36, 0
	s_cbranch_scc0 .LBB353_1110
; %bb.1105:
	s_min_u32 s37, s72, 15
	s_add_i32 s37, s37, 1
	s_cmp_eq_u32 s72, 2
	s_cbranch_scc1 .LBB353_1111
; %bb.1106:
	s_and_b32 s36, s37, 28
	s_add_u32 s28, s34, 0xc4
	s_addc_u32 s29, s35, 0
	s_mov_b32 s38, 0
	v_mov_b32_e32 v2, 0
	v_mov_b32_e32 v12, 0
	s_mov_b64 s[30:31], s[34:35]
	s_waitcnt vmcnt(0)
	v_mov_b32_e32 v5, v0
.LBB353_1107:                           ; =>This Inner Loop Header: Depth=1
	s_load_dwordx8 s[12:19], s[30:31], 0x4
	s_load_dwordx4 s[20:23], s[30:31], 0x24
	s_load_dwordx8 s[4:11], s[28:29], 0x0
	s_add_u32 s30, s30, 48
	s_addc_u32 s31, s31, 0
	s_waitcnt lgkmcnt(0)
	v_mul_hi_u32 v1, s13, v5
	v_add_u32_e32 v1, v5, v1
	v_lshrrev_b32_e32 v1, s14, v1
	v_mul_lo_u32 v3, v1, s12
	v_mul_hi_u32 v7, s16, v1
	v_sub_u32_e32 v3, v5, v3
	v_add_u32_e32 v5, v1, v7
	v_lshrrev_b32_e32 v5, s17, v5
	v_mul_lo_u32 v9, v5, s15
	v_mul_hi_u32 v11, s19, v5
	v_sub_u32_e32 v1, v1, v9
	v_add_u32_e32 v9, v5, v11
	v_mul_lo_u32 v7, v3, s5
	v_mul_lo_u32 v3, v3, s4
	;; [unrolled: 1-line block ×4, first 2 shown]
	v_lshrrev_b32_e32 v9, s20, v9
	v_add3_u32 v1, v3, v2, v1
	v_add3_u32 v2, v7, v12, v11
	v_mul_lo_u32 v3, v9, s18
	v_mul_hi_u32 v7, s22, v9
	v_sub_u32_e32 v3, v5, v3
	v_add_u32_e32 v5, v9, v7
	v_lshrrev_b32_e32 v5, s23, v5
	s_add_i32 s38, s38, 4
	v_mul_lo_u32 v11, v5, s21
	s_add_u32 s28, s28, 32
	v_sub_u32_e32 v9, v9, v11
	s_addc_u32 s29, s29, 0
	v_mul_lo_u32 v7, v3, s8
	v_mul_lo_u32 v3, v3, s9
	;; [unrolled: 1-line block ×4, first 2 shown]
	s_cmp_lg_u32 s36, s38
	v_add3_u32 v12, v3, v2, v9
	v_add3_u32 v2, v7, v1, v11
	s_cbranch_scc1 .LBB353_1107
; %bb.1108:
	v_mov_b32_e32 v1, v12
	s_and_b32 s8, s37, 3
	s_cmp_eq_u32 s8, 0
	s_cbranch_scc0 .LBB353_1112
	s_branch .LBB353_1114
.LBB353_1109:
                                        ; implicit-def: $vgpr12
                                        ; implicit-def: $vgpr2
	s_branch .LBB353_1115
.LBB353_1110:
	v_mov_b32_e32 v12, 0
	v_mov_b32_e32 v2, 0
	s_branch .LBB353_1114
.LBB353_1111:
	v_mov_b32_e32 v2, 0
                                        ; implicit-def: $vgpr12
	v_mov_b32_e32 v1, v2
	s_waitcnt vmcnt(0)
	v_mov_b32_e32 v5, v0
	s_and_b32 s8, s37, 3
	s_cmp_eq_u32 s8, 0
	s_cbranch_scc1 .LBB353_1114
.LBB353_1112:
	s_lshl_b32 s4, s36, 3
	s_add_u32 s4, s34, s4
	s_addc_u32 s5, s35, 0
	s_add_u32 s4, s4, 0xc4
	s_addc_u32 s5, s5, 0
	s_mul_i32 s6, s36, 12
	s_add_u32 s6, s34, s6
	s_addc_u32 s7, s35, 0
.LBB353_1113:                           ; =>This Inner Loop Header: Depth=1
	s_load_dwordx2 s[10:11], s[6:7], 0x4
	s_load_dword s9, s[6:7], 0xc
	s_load_dwordx2 s[12:13], s[4:5], 0x0
	v_mov_b32_e32 v12, v1
	s_add_u32 s6, s6, 12
	s_waitcnt lgkmcnt(0)
	v_mul_hi_u32 v1, s11, v5
	v_add_u32_e32 v1, v5, v1
	v_lshrrev_b32_e32 v1, s9, v1
	s_addc_u32 s7, s7, 0
	v_mul_lo_u32 v3, v1, s10
	s_add_u32 s4, s4, 8
	v_sub_u32_e32 v3, v5, v3
	s_addc_u32 s5, s5, 0
	s_add_i32 s8, s8, -1
	v_mad_u64_u32 v[12:13], s[10:11], v3, s13, v[12:13]
	s_cmp_lg_u32 s8, 0
	v_mov_b32_e32 v5, v1
	v_mad_u64_u32 v[2:3], s[10:11], v3, s12, v[2:3]
	v_mov_b32_e32 v1, v12
	s_cbranch_scc1 .LBB353_1113
.LBB353_1114:
	s_cbranch_execnz .LBB353_1117
.LBB353_1115:
	s_load_dwordx4 s[4:7], s[34:35], 0x4
	s_load_dwordx2 s[8:9], s[34:35], 0xc4
	s_cmp_lt_u32 s33, 2
	s_waitcnt lgkmcnt(0)
	v_mul_hi_u32 v1, s5, v0
	v_add_u32_e32 v1, v0, v1
	v_lshrrev_b32_e32 v1, s6, v1
	v_mul_lo_u32 v2, v1, s4
	v_sub_u32_e32 v0, v0, v2
	v_mul_lo_u32 v12, v0, s9
	v_mul_lo_u32 v2, v0, s8
	s_cbranch_scc1 .LBB353_1117
; %bb.1116:
	s_load_dwordx4 s[4:7], s[34:35], 0x10
	s_load_dwordx2 s[8:9], s[34:35], 0xcc
	s_waitcnt lgkmcnt(0)
	v_mul_hi_u32 v0, s5, v1
	v_add_u32_e32 v0, v1, v0
	v_lshrrev_b32_e32 v0, s6, v0
	v_mul_lo_u32 v0, v0, s4
	v_sub_u32_e32 v0, v1, v0
	v_mad_u64_u32 v[2:3], s[4:5], v0, s8, v[2:3]
	v_mad_u64_u32 v[12:13], s[4:5], v0, s9, v[12:13]
.LBB353_1117:
	s_and_b64 vcc, exec, s[2:3]
	s_cbranch_vccnz .LBB353_1123
; %bb.1118:
	s_cmp_lg_u32 s33, 0
	s_mov_b32 s30, 0
	s_cbranch_scc0 .LBB353_1124
; %bb.1119:
	s_min_u32 s31, s72, 15
	s_add_i32 s31, s31, 1
	s_cmp_eq_u32 s72, 2
	s_cbranch_scc1 .LBB353_1125
; %bb.1120:
	s_and_b32 s30, s31, 28
	s_add_u32 s2, s34, 0xc4
	s_addc_u32 s3, s35, 0
	s_mov_b32 s36, 0
	v_mov_b32_e32 v0, 0
	v_mov_b32_e32 v14, 0
	s_mov_b64 s[28:29], s[34:35]
	v_mov_b32_e32 v3, v16
.LBB353_1121:                           ; =>This Inner Loop Header: Depth=1
	s_load_dwordx8 s[12:19], s[28:29], 0x4
	s_load_dwordx4 s[20:23], s[28:29], 0x24
	s_load_dwordx8 s[4:11], s[2:3], 0x0
	s_add_u32 s28, s28, 48
	s_addc_u32 s29, s29, 0
	s_waitcnt lgkmcnt(0)
	v_mul_hi_u32 v1, s13, v3
	v_add_u32_e32 v1, v3, v1
	v_lshrrev_b32_e32 v1, s14, v1
	s_waitcnt vmcnt(0)
	v_mul_lo_u32 v5, v1, s12
	v_mul_hi_u32 v7, s16, v1
	v_sub_u32_e32 v3, v3, v5
	v_add_u32_e32 v5, v1, v7
	v_lshrrev_b32_e32 v5, s17, v5
	v_mul_lo_u32 v9, v5, s15
	v_mul_hi_u32 v11, s19, v5
	v_sub_u32_e32 v1, v1, v9
	v_add_u32_e32 v9, v5, v11
	v_mul_lo_u32 v7, v3, s5
	v_mul_lo_u32 v3, v3, s4
	;; [unrolled: 1-line block ×4, first 2 shown]
	v_lshrrev_b32_e32 v9, s20, v9
	v_add3_u32 v0, v3, v0, v1
	v_add3_u32 v1, v7, v14, v11
	v_mul_lo_u32 v3, v9, s18
	v_mul_hi_u32 v7, s22, v9
	v_sub_u32_e32 v3, v5, v3
	v_add_u32_e32 v5, v9, v7
	v_mul_lo_u32 v7, v3, s8
	v_mul_lo_u32 v11, v3, s9
	v_lshrrev_b32_e32 v3, s23, v5
	s_add_i32 s36, s36, 4
	v_mul_lo_u32 v5, v3, s21
	s_add_u32 s2, s2, 32
	v_sub_u32_e32 v5, v9, v5
	s_addc_u32 s3, s3, 0
	v_mul_lo_u32 v9, v5, s10
	v_mul_lo_u32 v5, v5, s11
	s_cmp_lg_u32 s30, s36
	v_add3_u32 v14, v11, v1, v5
	v_add3_u32 v0, v7, v0, v9
	s_cbranch_scc1 .LBB353_1121
; %bb.1122:
	v_mov_b32_e32 v1, v14
	s_and_b32 s6, s31, 3
	s_cmp_eq_u32 s6, 0
	s_cbranch_scc0 .LBB353_1126
	s_branch .LBB353_1128
.LBB353_1123:
                                        ; implicit-def: $vgpr14
                                        ; implicit-def: $vgpr0
	s_branch .LBB353_1129
.LBB353_1124:
	v_mov_b32_e32 v14, 0
	v_mov_b32_e32 v0, 0
	s_branch .LBB353_1128
.LBB353_1125:
	v_mov_b32_e32 v0, 0
                                        ; implicit-def: $vgpr14
	v_mov_b32_e32 v1, v0
	v_mov_b32_e32 v3, v16
	s_and_b32 s6, s31, 3
	s_cmp_eq_u32 s6, 0
	s_cbranch_scc1 .LBB353_1128
.LBB353_1126:
	s_lshl_b32 s2, s30, 3
	s_add_u32 s2, s34, s2
	s_addc_u32 s3, s35, 0
	s_add_u32 s2, s2, 0xc4
	s_addc_u32 s3, s3, 0
	s_mul_i32 s4, s30, 12
	s_add_u32 s4, s34, s4
	s_addc_u32 s5, s35, 0
.LBB353_1127:                           ; =>This Inner Loop Header: Depth=1
	s_load_dwordx2 s[8:9], s[4:5], 0x4
	s_load_dword s7, s[4:5], 0xc
	s_load_dwordx2 s[10:11], s[2:3], 0x0
	v_mov_b32_e32 v14, v1
	s_add_u32 s4, s4, 12
	s_waitcnt lgkmcnt(0)
	v_mul_hi_u32 v1, s9, v3
	v_add_u32_e32 v1, v3, v1
	v_lshrrev_b32_e32 v1, s7, v1
	s_addc_u32 s5, s5, 0
	s_waitcnt vmcnt(0)
	v_mul_lo_u32 v5, v1, s8
	s_add_u32 s2, s2, 8
	v_sub_u32_e32 v5, v3, v5
	s_addc_u32 s3, s3, 0
	s_add_i32 s6, s6, -1
	v_mov_b32_e32 v3, v1
	v_mad_u64_u32 v[14:15], s[8:9], v5, s11, v[14:15]
	v_mad_u64_u32 v[0:1], s[8:9], v5, s10, v[0:1]
	s_cmp_lg_u32 s6, 0
	v_mov_b32_e32 v1, v14
	s_cbranch_scc1 .LBB353_1127
.LBB353_1128:
	s_cbranch_execnz .LBB353_1131
.LBB353_1129:
	s_load_dwordx4 s[4:7], s[34:35], 0x4
	s_load_dwordx2 s[2:3], s[34:35], 0xc4
	s_cmp_lt_u32 s33, 2
	s_waitcnt lgkmcnt(0)
	v_mul_hi_u32 v0, s5, v16
	v_add_u32_e32 v0, v16, v0
	v_lshrrev_b32_e32 v1, s6, v0
	v_mul_lo_u32 v0, v1, s4
	v_sub_u32_e32 v0, v16, v0
	v_mul_lo_u32 v14, v0, s3
	v_mul_lo_u32 v0, v0, s2
	s_cbranch_scc1 .LBB353_1131
; %bb.1130:
	s_load_dwordx4 s[4:7], s[34:35], 0x10
	s_load_dwordx2 s[2:3], s[34:35], 0xcc
	s_waitcnt lgkmcnt(0)
	v_mul_hi_u32 v3, s5, v1
	v_add_u32_e32 v3, v1, v3
	v_lshrrev_b32_e32 v3, s6, v3
	v_mul_lo_u32 v3, v3, s4
	v_sub_u32_e32 v3, v1, v3
	v_mad_u64_u32 v[0:1], s[4:5], v3, s2, v[0:1]
	v_mad_u64_u32 v[14:15], s[2:3], v3, s3, v[14:15]
.LBB353_1131:
	s_load_dword s14, s[0:1], 0x160
	s_load_dwordx4 s[4:7], s[34:35], 0x148
	v_mov_b32_e32 v9, 0
	s_waitcnt lgkmcnt(0)
	s_bfe_u32 s12, s14, 0x80010
	s_cmp_lt_i32 s12, 11
	v_lshl_add_u64 v[16:17], s[6:7], 0, v[8:9]
	s_cbranch_scc1 .LBB353_1138
; %bb.1132:
	s_and_b32 s13, 0xffff, s12
	s_cmp_gt_i32 s13, 25
	s_mov_b64 s[8:9], 0
	s_cbranch_scc0 .LBB353_1140
; %bb.1133:
	s_cmp_gt_i32 s13, 28
	s_cbranch_scc0 .LBB353_1141
; %bb.1134:
	s_cmp_gt_i32 s13, 43
	;; [unrolled: 3-line block ×3, first 2 shown]
	s_cbranch_scc0 .LBB353_1143
; %bb.1136:
	s_cmp_eq_u32 s13, 46
	s_mov_b64 s[2:3], 0
	s_cbranch_scc0 .LBB353_1146
; %bb.1137:
	global_load_dword v1, v[16:17], off
	s_mov_b32 s0, 0x2f800000
	s_mov_b32 s1, 0xcf800000
	s_mov_b64 s[10:11], -1
	s_waitcnt vmcnt(0)
	v_lshlrev_b32_e32 v1, 16, v1
	v_trunc_f32_e32 v1, v1
	v_mul_f32_e64 v3, |v1|, s0
	v_floor_f32_e32 v3, v3
	v_fma_f32 v3, v3, s1, |v1|
	v_cvt_u32_f32_e32 v3, v3
	v_ashrrev_i32_e32 v1, 31, v1
	s_mov_b64 s[0:1], 0
	v_xor_b32_e32 v3, v3, v1
	v_sub_u32_e32 v8, v3, v1
	s_branch .LBB353_1147
.LBB353_1138:
	s_mov_b64 s[10:11], 0
                                        ; implicit-def: $vgpr8
	s_mov_b64 s[2:3], s[24:25]
	s_cbranch_execnz .LBB353_1205
.LBB353_1139:
	s_andn2_b64 vcc, exec, s[10:11]
	s_cbranch_vccz .LBB353_1250
	s_branch .LBB353_2059
.LBB353_1140:
	s_mov_b64 s[10:11], 0
	s_mov_b64 s[0:1], 0
                                        ; implicit-def: $vgpr8
	s_cbranch_execnz .LBB353_1172
	s_branch .LBB353_1201
.LBB353_1141:
	s_mov_b64 s[10:11], 0
	s_mov_b64 s[0:1], 0
                                        ; implicit-def: $vgpr8
	s_cbranch_execz .LBB353_1171
	s_branch .LBB353_1156
.LBB353_1142:
	s_mov_b64 s[10:11], 0
	s_mov_b64 s[0:1], 0
                                        ; implicit-def: $vgpr8
	s_cbranch_execnz .LBB353_1152
	s_branch .LBB353_1155
.LBB353_1143:
	s_mov_b64 s[2:3], -1
	s_mov_b64 s[10:11], 0
	s_mov_b64 s[0:1], 0
                                        ; implicit-def: $vgpr8
	s_branch .LBB353_1147
.LBB353_1144:
	s_andn2_saveexec_b64 s[12:13], s[12:13]
	s_cbranch_execz .LBB353_983
.LBB353_1145:
	v_add_f32_e32 v0, 0x46000000, v1
	v_and_b32_e32 v0, 0xff, v0
	v_cmp_ne_u32_e32 vcc, 0, v0
	s_andn2_b64 s[10:11], s[10:11], exec
	s_and_b64 s[14:15], vcc, exec
	s_or_b64 s[10:11], s[10:11], s[14:15]
	s_or_b64 exec, exec, s[12:13]
	v_mov_b32_e32 v3, 0
	s_and_saveexec_b64 s[12:13], s[10:11]
	s_cbranch_execnz .LBB353_984
	s_branch .LBB353_985
.LBB353_1146:
	s_mov_b64 s[0:1], -1
                                        ; implicit-def: $vgpr8
	s_mov_b64 s[10:11], 0
.LBB353_1147:
	s_and_b64 vcc, exec, s[2:3]
	s_cbranch_vccz .LBB353_1150
; %bb.1148:
	s_cmp_eq_u32 s13, 44
	s_cbranch_scc0 .LBB353_1151
; %bb.1149:
	global_load_ubyte v1, v[16:17], off
	s_mov_b32 s0, 0x2f800000
	s_mov_b32 s1, 0xcf800000
	s_mov_b64 s[10:11], -1
	s_waitcnt vmcnt(0)
	v_lshlrev_b32_e32 v3, 23, v1
	v_trunc_f32_e32 v3, v3
	v_mul_f32_e64 v5, |v3|, s0
	v_floor_f32_e32 v5, v5
	v_fma_f32 v5, v5, s1, |v3|
	v_cvt_u32_f32_e32 v5, v5
	v_ashrrev_i32_e32 v3, 31, v3
	v_cmp_ne_u32_e32 vcc, 0, v1
	s_mov_b64 s[0:1], 0
	v_xor_b32_e32 v5, v5, v3
	v_sub_u32_e32 v3, v5, v3
	v_cndmask_b32_e32 v8, 0, v3, vcc
.LBB353_1150:
	s_branch .LBB353_1155
.LBB353_1151:
	s_mov_b64 s[0:1], -1
                                        ; implicit-def: $vgpr8
	s_branch .LBB353_1155
.LBB353_1152:
	s_cmp_eq_u32 s13, 29
	s_cbranch_scc0 .LBB353_1154
; %bb.1153:
	global_load_dwordx2 v[8:9], v[16:17], off
	s_mov_b64 s[0:1], 0
	s_mov_b64 s[10:11], -1
	s_branch .LBB353_1155
.LBB353_1154:
	s_mov_b64 s[0:1], -1
                                        ; implicit-def: $vgpr8
.LBB353_1155:
	s_branch .LBB353_1171
.LBB353_1156:
	s_cmp_lt_i32 s13, 27
	s_cbranch_scc1 .LBB353_1159
; %bb.1157:
	s_cmp_gt_i32 s13, 27
	s_cbranch_scc0 .LBB353_1160
; %bb.1158:
	global_load_dword v8, v[16:17], off
	s_mov_b64 s[2:3], 0
	s_branch .LBB353_1161
.LBB353_1159:
	s_mov_b64 s[2:3], -1
                                        ; implicit-def: $vgpr8
	s_branch .LBB353_1164
.LBB353_1160:
	s_mov_b64 s[2:3], -1
                                        ; implicit-def: $vgpr8
.LBB353_1161:
	s_andn2_b64 vcc, exec, s[2:3]
	s_cbranch_vccnz .LBB353_1163
; %bb.1162:
	global_load_ushort v8, v[16:17], off
.LBB353_1163:
	s_mov_b64 s[2:3], 0
.LBB353_1164:
	s_andn2_b64 vcc, exec, s[2:3]
	s_cbranch_vccnz .LBB353_1170
; %bb.1165:
	global_load_ubyte v1, v[16:17], off
	s_movk_i32 s2, 0x7f
	s_mov_b64 s[10:11], 0
	s_waitcnt vmcnt(0)
	v_cmp_lt_i16_e32 vcc, s2, v1
	s_and_saveexec_b64 s[2:3], vcc
	s_xor_b64 s[2:3], exec, s[2:3]
	s_cbranch_execz .LBB353_1181
; %bb.1166:
	s_movk_i32 s10, 0x80
	v_cmp_ne_u16_e32 vcc, s10, v1
	s_and_b64 s[10:11], vcc, exec
	s_andn2_saveexec_b64 s[2:3], s[2:3]
	s_cbranch_execnz .LBB353_1182
.LBB353_1167:
	s_or_b64 exec, exec, s[2:3]
	v_mov_b32_e32 v8, 0
	s_and_saveexec_b64 s[2:3], s[10:11]
	s_cbranch_execz .LBB353_1169
.LBB353_1168:
	v_lshlrev_b32_e32 v3, 24, v1
	v_and_b32_e32 v1, 0xffff, v1
	v_and_b32_e32 v5, 7, v1
	v_ffbh_u32_e32 v8, v5
	v_min_u32_e32 v8, 32, v8
	v_subrev_u32_e32 v9, 28, v8
	v_bfe_u32 v7, v1, 3, 4
	v_lshlrev_b32_e32 v1, v9, v1
	v_sub_u32_e32 v8, 29, v8
	v_and_b32_e32 v1, 7, v1
	v_cmp_eq_u32_e32 vcc, 0, v7
	v_and_b32_e32 v3, 0x80000000, v3
	s_mov_b32 s10, 0x2f800000
	v_cndmask_b32_e32 v7, v7, v8, vcc
	v_cndmask_b32_e32 v1, v5, v1, vcc
	v_mov_b32_e32 v5, 0x3b800000
	v_lshlrev_b32_e32 v1, 20, v1
	v_lshl_add_u32 v5, v7, 23, v5
	v_or3_b32 v1, v3, v5, v1
	v_trunc_f32_e32 v1, v1
	v_mul_f32_e64 v3, |v1|, s10
	v_floor_f32_e32 v3, v3
	s_mov_b32 s10, 0xcf800000
	v_fma_f32 v3, v3, s10, |v1|
	v_cvt_u32_f32_e32 v3, v3
	v_ashrrev_i32_e32 v1, 31, v1
	v_xor_b32_e32 v3, v3, v1
	v_sub_u32_e32 v8, v3, v1
.LBB353_1169:
	s_or_b64 exec, exec, s[2:3]
.LBB353_1170:
	s_mov_b64 s[10:11], -1
.LBB353_1171:
	s_branch .LBB353_1201
.LBB353_1172:
	s_cmp_gt_i32 s13, 22
	s_cbranch_scc0 .LBB353_1180
; %bb.1173:
	s_cmp_lt_i32 s13, 24
	s_cbranch_scc1 .LBB353_1183
; %bb.1174:
	s_cmp_gt_i32 s13, 24
	s_cbranch_scc0 .LBB353_1184
; %bb.1175:
	global_load_ubyte v1, v[16:17], off
	s_movk_i32 s2, 0x7f
	s_waitcnt vmcnt(0)
	v_cmp_lt_i16_e32 vcc, s2, v1
	s_and_saveexec_b64 s[2:3], vcc
	s_xor_b64 s[2:3], exec, s[2:3]
	s_cbranch_execz .LBB353_1195
; %bb.1176:
	s_movk_i32 s8, 0x80
	v_cmp_ne_u16_e32 vcc, s8, v1
	s_and_b64 s[8:9], vcc, exec
	s_andn2_saveexec_b64 s[2:3], s[2:3]
	s_cbranch_execnz .LBB353_1196
.LBB353_1177:
	s_or_b64 exec, exec, s[2:3]
	v_mov_b32_e32 v8, 0
	s_and_saveexec_b64 s[2:3], s[8:9]
	s_cbranch_execz .LBB353_1179
.LBB353_1178:
	v_lshlrev_b32_e32 v3, 24, v1
	v_and_b32_e32 v1, 0xffff, v1
	v_and_b32_e32 v5, 3, v1
	v_ffbh_u32_e32 v8, v5
	v_min_u32_e32 v8, 32, v8
	v_subrev_u32_e32 v9, 29, v8
	v_bfe_u32 v7, v1, 2, 5
	v_lshlrev_b32_e32 v1, v9, v1
	v_sub_u32_e32 v8, 30, v8
	v_and_b32_e32 v1, 3, v1
	v_cmp_eq_u32_e32 vcc, 0, v7
	v_and_b32_e32 v3, 0x80000000, v3
	s_mov_b32 s8, 0x2f800000
	v_cndmask_b32_e32 v7, v7, v8, vcc
	v_cndmask_b32_e32 v1, v5, v1, vcc
	v_mov_b32_e32 v5, 0x37800000
	v_lshlrev_b32_e32 v1, 21, v1
	v_lshl_add_u32 v5, v7, 23, v5
	v_or3_b32 v1, v3, v5, v1
	v_trunc_f32_e32 v1, v1
	v_mul_f32_e64 v3, |v1|, s8
	v_floor_f32_e32 v3, v3
	s_mov_b32 s8, 0xcf800000
	v_fma_f32 v3, v3, s8, |v1|
	v_cvt_u32_f32_e32 v3, v3
	v_ashrrev_i32_e32 v1, 31, v1
	v_xor_b32_e32 v3, v3, v1
	v_sub_u32_e32 v8, v3, v1
.LBB353_1179:
	s_or_b64 exec, exec, s[2:3]
	s_mov_b64 s[2:3], 0
	s_branch .LBB353_1185
.LBB353_1180:
                                        ; implicit-def: $vgpr8
	s_mov_b64 s[8:9], 0
	s_branch .LBB353_1191
.LBB353_1181:
	s_andn2_saveexec_b64 s[2:3], s[2:3]
	s_cbranch_execz .LBB353_1167
.LBB353_1182:
	v_cmp_ne_u16_e32 vcc, 0, v1
	s_andn2_b64 s[10:11], s[10:11], exec
	s_and_b64 s[16:17], vcc, exec
	s_or_b64 s[10:11], s[10:11], s[16:17]
	s_or_b64 exec, exec, s[2:3]
	v_mov_b32_e32 v8, 0
	s_and_saveexec_b64 s[2:3], s[10:11]
	s_cbranch_execnz .LBB353_1168
	s_branch .LBB353_1169
.LBB353_1183:
	s_mov_b64 s[2:3], -1
                                        ; implicit-def: $vgpr8
	s_branch .LBB353_1188
.LBB353_1184:
	s_mov_b64 s[2:3], -1
                                        ; implicit-def: $vgpr8
.LBB353_1185:
	s_and_b64 vcc, exec, s[2:3]
	s_cbranch_vccz .LBB353_1187
; %bb.1186:
	global_load_ubyte v1, v[16:17], off
	s_mov_b32 s2, 0x7f800000
	s_brev_b32 s3, 1
	s_mov_b32 s8, 0x2f800000
	s_waitcnt vmcnt(0)
	v_lshlrev_b32_e32 v1, 24, v1
	v_and_b32_e32 v3, 0x7f000000, v1
	v_ffbh_u32_e32 v5, v3
	v_min_u32_e32 v5, 32, v5
	v_sub_u32_e64 v5, v5, 4 clamp
	v_lshlrev_b32_e32 v8, v5, v3
	v_lshlrev_b32_e32 v5, 23, v5
	v_lshrrev_b32_e32 v8, 4, v8
	v_add_u32_e32 v7, 0x1000000, v3
	v_sub_u32_e32 v5, v8, v5
	v_ashrrev_i32_e32 v7, 8, v7
	v_add_u32_e32 v5, 0x3c000000, v5
	v_and_or_b32 v5, v7, s2, v5
	v_cmp_ne_u32_e32 vcc, 0, v3
	s_mov_b32 s2, 0xcf800000
	s_nop 0
	v_cndmask_b32_e32 v3, 0, v5, vcc
	v_and_or_b32 v1, v1, s3, v3
	v_trunc_f32_e32 v1, v1
	v_mul_f32_e64 v3, |v1|, s8
	v_floor_f32_e32 v3, v3
	v_fma_f32 v3, v3, s2, |v1|
	v_cvt_u32_f32_e32 v3, v3
	v_ashrrev_i32_e32 v1, 31, v1
	v_xor_b32_e32 v3, v3, v1
	v_sub_u32_e32 v8, v3, v1
.LBB353_1187:
	s_mov_b64 s[2:3], 0
.LBB353_1188:
	s_andn2_b64 vcc, exec, s[2:3]
	s_cbranch_vccnz .LBB353_1190
; %bb.1189:
	global_load_ubyte v1, v[16:17], off
	s_movk_i32 s2, 0x7f00
	s_brev_b32 s3, 16
	s_brev_b32 s8, 1
	s_mov_b32 s9, 0x2f800000
	s_waitcnt vmcnt(0)
	v_lshlrev_b16_e32 v3, 8, v1
	v_lshlrev_b32_e32 v1, 25, v1
	v_lshrrev_b32_e32 v5, 4, v1
	v_and_or_b32 v7, v3, s2, 0.5
	v_or_b32_e32 v5, 0x70000000, v5
	v_add_f32_e32 v7, -0.5, v7
	v_mul_f32_e32 v5, 0x7800000, v5
	v_cmp_gt_u32_e32 vcc, s3, v1
	v_bfe_i32 v3, v3, 0, 16
	s_mov_b32 s2, 0xcf800000
	v_cndmask_b32_e32 v1, v5, v7, vcc
	v_and_or_b32 v1, v3, s8, v1
	v_trunc_f32_e32 v1, v1
	v_mul_f32_e64 v3, |v1|, s9
	v_floor_f32_e32 v3, v3
	v_fma_f32 v3, v3, s2, |v1|
	v_cvt_u32_f32_e32 v3, v3
	v_ashrrev_i32_e32 v1, 31, v1
	v_xor_b32_e32 v3, v3, v1
	v_sub_u32_e32 v8, v3, v1
.LBB353_1190:
	s_mov_b64 s[10:11], -1
	s_mov_b64 s[8:9], 0
	s_cbranch_execnz .LBB353_1201
.LBB353_1191:
	s_cmp_gt_i32 s13, 14
	s_cbranch_scc0 .LBB353_1194
; %bb.1192:
	s_cmp_eq_u32 s13, 15
	s_cbranch_scc0 .LBB353_1197
; %bb.1193:
	global_load_ushort v1, v[16:17], off
	s_mov_b32 s0, 0x2f800000
	s_mov_b32 s1, 0xcf800000
	s_mov_b64 s[10:11], -1
	s_waitcnt vmcnt(0)
	v_lshlrev_b32_e32 v1, 16, v1
	v_trunc_f32_e32 v1, v1
	v_mul_f32_e64 v3, |v1|, s0
	v_floor_f32_e32 v3, v3
	v_fma_f32 v3, v3, s1, |v1|
	v_cvt_u32_f32_e32 v3, v3
	v_ashrrev_i32_e32 v1, 31, v1
	s_mov_b64 s[0:1], 0
	v_xor_b32_e32 v3, v3, v1
	v_sub_u32_e32 v8, v3, v1
	s_branch .LBB353_1198
.LBB353_1194:
	s_mov_b64 s[2:3], -1
                                        ; implicit-def: $vgpr8
	s_branch .LBB353_1199
.LBB353_1195:
	s_andn2_saveexec_b64 s[2:3], s[2:3]
	s_cbranch_execz .LBB353_1177
.LBB353_1196:
	v_cmp_ne_u16_e32 vcc, 0, v1
	s_andn2_b64 s[8:9], s[8:9], exec
	s_and_b64 s[10:11], vcc, exec
	s_or_b64 s[8:9], s[8:9], s[10:11]
	s_or_b64 exec, exec, s[2:3]
	v_mov_b32_e32 v8, 0
	s_and_saveexec_b64 s[2:3], s[8:9]
	s_cbranch_execnz .LBB353_1178
	s_branch .LBB353_1179
.LBB353_1197:
	s_mov_b64 s[0:1], -1
                                        ; implicit-def: $vgpr8
.LBB353_1198:
	s_mov_b64 s[2:3], 0
.LBB353_1199:
	s_and_b64 vcc, exec, s[2:3]
	s_cbranch_vccz .LBB353_1201
; %bb.1200:
	s_cmp_lg_u32 s13, 11
	s_mov_b64 s[8:9], -1
	s_cselect_b64 s[0:1], -1, 0
.LBB353_1201:
	s_and_b64 vcc, exec, s[0:1]
	s_mov_b64 s[2:3], s[24:25]
	s_cbranch_vccnz .LBB353_1262
; %bb.1202:
	s_andn2_b64 vcc, exec, s[8:9]
	s_cbranch_vccnz .LBB353_1204
.LBB353_1203:
	global_load_ubyte v1, v[16:17], off
	s_mov_b64 s[10:11], -1
	s_waitcnt vmcnt(0)
	v_cmp_ne_u16_e32 vcc, 0, v1
	s_nop 1
	v_cndmask_b32_e64 v8, 0, 1, vcc
.LBB353_1204:
	s_branch .LBB353_1139
.LBB353_1205:
	s_and_b32 s8, 0xffff, s12
	s_cmp_lt_i32 s8, 5
	s_cbranch_scc1 .LBB353_1210
; %bb.1206:
	s_cmp_lt_i32 s8, 8
	s_cbranch_scc1 .LBB353_1211
; %bb.1207:
	;; [unrolled: 3-line block ×3, first 2 shown]
	s_cmp_gt_i32 s8, 9
	s_cbranch_scc0 .LBB353_1213
; %bb.1209:
	global_load_dwordx2 v[8:9], v[16:17], off
	s_movk_i32 s0, 0xffe0
	s_waitcnt vmcnt(0)
	v_trunc_f64_e32 v[8:9], v[8:9]
	v_ldexp_f64 v[18:19], v[8:9], s0
	v_floor_f64_e32 v[18:19], v[18:19]
	v_fmac_f64_e32 v[8:9], 0xc1f00000, v[18:19]
	v_cvt_u32_f64_e32 v8, v[8:9]
	s_mov_b64 s[0:1], 0
	s_branch .LBB353_1214
.LBB353_1210:
                                        ; implicit-def: $vgpr8
	s_branch .LBB353_1231
.LBB353_1211:
                                        ; implicit-def: $vgpr8
	s_branch .LBB353_1220
.LBB353_1212:
	s_mov_b64 s[0:1], -1
                                        ; implicit-def: $vgpr8
	s_branch .LBB353_1217
.LBB353_1213:
	s_mov_b64 s[0:1], -1
                                        ; implicit-def: $vgpr8
.LBB353_1214:
	s_andn2_b64 vcc, exec, s[0:1]
	s_cbranch_vccnz .LBB353_1216
; %bb.1215:
	global_load_dword v1, v[16:17], off
	s_mov_b32 s0, 0x2f800000
	s_waitcnt vmcnt(0)
	v_trunc_f32_e32 v1, v1
	v_mul_f32_e64 v3, |v1|, s0
	v_floor_f32_e32 v3, v3
	s_mov_b32 s0, 0xcf800000
	v_fma_f32 v3, v3, s0, |v1|
	v_cvt_u32_f32_e32 v3, v3
	v_ashrrev_i32_e32 v1, 31, v1
	v_xor_b32_e32 v3, v3, v1
	v_sub_u32_e32 v8, v3, v1
.LBB353_1216:
	s_mov_b64 s[0:1], 0
.LBB353_1217:
	s_andn2_b64 vcc, exec, s[0:1]
	s_cbranch_vccnz .LBB353_1219
; %bb.1218:
	global_load_dword v1, v[16:17], off
	s_waitcnt vmcnt(0)
	v_cvt_f32_f16_e32 v1, v1
	v_cvt_i32_f32_e32 v8, v1
.LBB353_1219:
	s_cbranch_execnz .LBB353_1230
.LBB353_1220:
	s_cmp_lt_i32 s8, 6
	s_cbranch_scc1 .LBB353_1223
; %bb.1221:
	s_cmp_gt_i32 s8, 6
	s_cbranch_scc0 .LBB353_1224
; %bb.1222:
	global_load_dwordx2 v[8:9], v[16:17], off
	s_movk_i32 s0, 0xffe0
	s_waitcnt vmcnt(0)
	v_trunc_f64_e32 v[8:9], v[8:9]
	v_ldexp_f64 v[18:19], v[8:9], s0
	v_floor_f64_e32 v[18:19], v[18:19]
	v_fmac_f64_e32 v[8:9], 0xc1f00000, v[18:19]
	v_cvt_u32_f64_e32 v8, v[8:9]
	s_mov_b64 s[0:1], 0
	s_branch .LBB353_1225
.LBB353_1223:
	s_mov_b64 s[0:1], -1
                                        ; implicit-def: $vgpr8
	s_branch .LBB353_1228
.LBB353_1224:
	s_mov_b64 s[0:1], -1
                                        ; implicit-def: $vgpr8
.LBB353_1225:
	s_andn2_b64 vcc, exec, s[0:1]
	s_cbranch_vccnz .LBB353_1227
; %bb.1226:
	global_load_dword v1, v[16:17], off
	s_mov_b32 s0, 0x2f800000
	s_waitcnt vmcnt(0)
	v_trunc_f32_e32 v1, v1
	v_mul_f32_e64 v3, |v1|, s0
	v_floor_f32_e32 v3, v3
	s_mov_b32 s0, 0xcf800000
	v_fma_f32 v3, v3, s0, |v1|
	v_cvt_u32_f32_e32 v3, v3
	v_ashrrev_i32_e32 v1, 31, v1
	v_xor_b32_e32 v3, v3, v1
	v_sub_u32_e32 v8, v3, v1
.LBB353_1227:
	s_mov_b64 s[0:1], 0
.LBB353_1228:
	s_andn2_b64 vcc, exec, s[0:1]
	s_cbranch_vccnz .LBB353_1230
; %bb.1229:
	global_load_ushort v1, v[16:17], off
	s_waitcnt vmcnt(0)
	v_cvt_f32_f16_e32 v1, v1
	v_cvt_i32_f32_e32 v8, v1
.LBB353_1230:
	s_cbranch_execnz .LBB353_1249
.LBB353_1231:
	s_cmp_lt_i32 s8, 2
	s_cbranch_scc1 .LBB353_1235
; %bb.1232:
	s_cmp_lt_i32 s8, 3
	s_cbranch_scc1 .LBB353_1236
; %bb.1233:
	s_cmp_gt_i32 s8, 3
	s_cbranch_scc0 .LBB353_1237
; %bb.1234:
	global_load_dwordx2 v[8:9], v[16:17], off
	s_mov_b64 s[0:1], 0
	s_branch .LBB353_1238
.LBB353_1235:
                                        ; implicit-def: $vgpr8
	s_branch .LBB353_1244
.LBB353_1236:
	s_mov_b64 s[0:1], -1
                                        ; implicit-def: $vgpr8
	s_branch .LBB353_1241
.LBB353_1237:
	s_mov_b64 s[0:1], -1
                                        ; implicit-def: $vgpr8
.LBB353_1238:
	s_andn2_b64 vcc, exec, s[0:1]
	s_cbranch_vccnz .LBB353_1240
; %bb.1239:
	global_load_dword v8, v[16:17], off
.LBB353_1240:
	s_mov_b64 s[0:1], 0
.LBB353_1241:
	s_andn2_b64 vcc, exec, s[0:1]
	s_cbranch_vccnz .LBB353_1243
; %bb.1242:
	global_load_ushort v8, v[16:17], off
.LBB353_1243:
	s_cbranch_execnz .LBB353_1249
.LBB353_1244:
	s_cmp_gt_i32 s8, 0
	s_cbranch_scc0 .LBB353_1246
; %bb.1245:
	global_load_ubyte v8, v[16:17], off
	s_mov_b64 s[0:1], 0
	s_branch .LBB353_1247
.LBB353_1246:
	s_mov_b64 s[0:1], -1
                                        ; implicit-def: $vgpr8
.LBB353_1247:
	s_andn2_b64 vcc, exec, s[0:1]
	s_cbranch_vccnz .LBB353_1249
; %bb.1248:
	global_load_ubyte v8, v[16:17], off
.LBB353_1249:
.LBB353_1250:
	s_lshr_b32 s0, s14, 16
	v_mov_b32_e32 v11, 0
	s_and_b32 s15, s0, 0xff
	s_cmp_lt_i32 s15, 11
	v_lshl_add_u64 v[16:17], s[6:7], 0, v[10:11]
	s_cbranch_scc1 .LBB353_1257
; %bb.1251:
	s_and_b32 s16, 0xffff, s15
	s_cmp_gt_i32 s16, 25
	s_mov_b64 s[8:9], 0
	s_cbranch_scc0 .LBB353_1259
; %bb.1252:
	s_cmp_gt_i32 s16, 28
	s_cbranch_scc0 .LBB353_1260
; %bb.1253:
	s_cmp_gt_i32 s16, 43
	;; [unrolled: 3-line block ×3, first 2 shown]
	s_cbranch_scc0 .LBB353_1263
; %bb.1255:
	s_cmp_eq_u32 s16, 46
	s_mov_b64 s[12:13], 0
	s_cbranch_scc0 .LBB353_1266
; %bb.1256:
	global_load_dword v1, v[16:17], off
	s_mov_b32 s0, 0x2f800000
	s_mov_b32 s1, 0xcf800000
	s_mov_b64 s[10:11], -1
	s_waitcnt vmcnt(0)
	v_lshlrev_b32_e32 v1, 16, v1
	v_trunc_f32_e32 v1, v1
	v_mul_f32_e64 v3, |v1|, s0
	v_floor_f32_e32 v3, v3
	v_fma_f32 v3, v3, s1, |v1|
	v_cvt_u32_f32_e32 v3, v3
	v_ashrrev_i32_e32 v1, 31, v1
	s_mov_b64 s[0:1], 0
	v_xor_b32_e32 v3, v3, v1
	v_sub_u32_e32 v10, v3, v1
	s_branch .LBB353_1267
.LBB353_1257:
	s_mov_b64 s[10:11], 0
                                        ; implicit-def: $vgpr10
	s_cbranch_execnz .LBB353_1328
.LBB353_1258:
	s_andn2_b64 vcc, exec, s[10:11]
	s_cbranch_vccnz .LBB353_2059
	s_branch .LBB353_1375
.LBB353_1259:
	s_mov_b64 s[10:11], 0
	s_mov_b64 s[0:1], 0
                                        ; implicit-def: $vgpr10
	s_cbranch_execnz .LBB353_1294
	s_branch .LBB353_1324
.LBB353_1260:
	s_mov_b64 s[12:13], -1
	s_mov_b64 s[10:11], 0
	s_mov_b64 s[0:1], 0
                                        ; implicit-def: $vgpr10
	s_branch .LBB353_1277
.LBB353_1261:
	s_mov_b64 s[12:13], -1
	s_mov_b64 s[10:11], 0
	s_mov_b64 s[0:1], 0
                                        ; implicit-def: $vgpr10
	s_branch .LBB353_1272
.LBB353_1262:
	s_or_b64 s[2:3], s[24:25], exec
	s_trap 2
	s_cbranch_execz .LBB353_1203
	s_branch .LBB353_1204
.LBB353_1263:
	s_mov_b64 s[12:13], -1
	s_mov_b64 s[10:11], 0
	s_mov_b64 s[0:1], 0
                                        ; implicit-def: $vgpr10
	s_branch .LBB353_1267
.LBB353_1264:
	s_andn2_saveexec_b64 s[14:15], s[14:15]
	s_cbranch_execz .LBB353_995
.LBB353_1265:
	v_add_f32_e32 v0, 0x42800000, v1
	v_and_b32_e32 v0, 0xff, v0
	v_cmp_ne_u32_e32 vcc, 0, v0
	s_andn2_b64 s[12:13], s[12:13], exec
	s_and_b64 s[18:19], vcc, exec
	s_or_b64 s[12:13], s[12:13], s[18:19]
	s_or_b64 exec, exec, s[14:15]
	v_mov_b32_e32 v3, 0
	s_and_saveexec_b64 s[14:15], s[12:13]
	s_cbranch_execnz .LBB353_996
	s_branch .LBB353_997
.LBB353_1266:
	s_mov_b64 s[0:1], -1
                                        ; implicit-def: $vgpr10
	s_mov_b64 s[10:11], 0
.LBB353_1267:
	s_and_b64 vcc, exec, s[12:13]
	s_cbranch_vccz .LBB353_1271
; %bb.1268:
	s_cmp_eq_u32 s16, 44
	s_cbranch_scc0 .LBB353_1270
; %bb.1269:
	global_load_ubyte v1, v[16:17], off
	s_mov_b32 s0, 0x2f800000
	s_mov_b32 s1, 0xcf800000
	s_mov_b64 s[10:11], -1
	s_waitcnt vmcnt(0)
	v_lshlrev_b32_e32 v3, 23, v1
	v_trunc_f32_e32 v3, v3
	v_mul_f32_e64 v5, |v3|, s0
	v_floor_f32_e32 v5, v5
	v_fma_f32 v5, v5, s1, |v3|
	v_cvt_u32_f32_e32 v5, v5
	v_ashrrev_i32_e32 v3, 31, v3
	v_cmp_ne_u32_e32 vcc, 0, v1
	s_mov_b64 s[0:1], 0
	v_xor_b32_e32 v5, v5, v3
	v_sub_u32_e32 v3, v5, v3
	v_cndmask_b32_e32 v10, 0, v3, vcc
	s_branch .LBB353_1271
.LBB353_1270:
	s_mov_b64 s[0:1], -1
                                        ; implicit-def: $vgpr10
.LBB353_1271:
	s_mov_b64 s[12:13], 0
.LBB353_1272:
	s_and_b64 vcc, exec, s[12:13]
	s_cbranch_vccz .LBB353_1276
; %bb.1273:
	s_cmp_eq_u32 s16, 29
	s_cbranch_scc0 .LBB353_1275
; %bb.1274:
	global_load_dwordx2 v[10:11], v[16:17], off
	s_mov_b64 s[0:1], 0
	s_mov_b64 s[10:11], -1
	s_branch .LBB353_1276
.LBB353_1275:
	s_mov_b64 s[0:1], -1
                                        ; implicit-def: $vgpr10
.LBB353_1276:
	s_mov_b64 s[12:13], 0
.LBB353_1277:
	s_and_b64 vcc, exec, s[12:13]
	s_cbranch_vccz .LBB353_1293
; %bb.1278:
	s_cmp_lt_i32 s16, 27
	s_cbranch_scc1 .LBB353_1281
; %bb.1279:
	s_cmp_gt_i32 s16, 27
	s_cbranch_scc0 .LBB353_1282
; %bb.1280:
	global_load_dword v10, v[16:17], off
	s_mov_b64 s[10:11], 0
	s_branch .LBB353_1283
.LBB353_1281:
	s_mov_b64 s[10:11], -1
                                        ; implicit-def: $vgpr10
	s_branch .LBB353_1286
.LBB353_1282:
	s_mov_b64 s[10:11], -1
                                        ; implicit-def: $vgpr10
.LBB353_1283:
	s_andn2_b64 vcc, exec, s[10:11]
	s_cbranch_vccnz .LBB353_1285
; %bb.1284:
	global_load_ushort v10, v[16:17], off
.LBB353_1285:
	s_mov_b64 s[10:11], 0
.LBB353_1286:
	s_andn2_b64 vcc, exec, s[10:11]
	s_cbranch_vccnz .LBB353_1292
; %bb.1287:
	global_load_ubyte v1, v[16:17], off
	s_movk_i32 s10, 0x7f
	s_mov_b64 s[12:13], 0
	s_waitcnt vmcnt(0)
	v_cmp_lt_i16_e32 vcc, s10, v1
	s_and_saveexec_b64 s[10:11], vcc
	s_xor_b64 s[10:11], exec, s[10:11]
	s_cbranch_execz .LBB353_1303
; %bb.1288:
	s_movk_i32 s12, 0x80
	v_cmp_ne_u16_e32 vcc, s12, v1
	s_and_b64 s[12:13], vcc, exec
	s_andn2_saveexec_b64 s[10:11], s[10:11]
	s_cbranch_execnz .LBB353_1304
.LBB353_1289:
	s_or_b64 exec, exec, s[10:11]
	v_mov_b32_e32 v10, 0
	s_and_saveexec_b64 s[10:11], s[12:13]
	s_cbranch_execz .LBB353_1291
.LBB353_1290:
	v_lshlrev_b32_e32 v3, 24, v1
	v_and_b32_e32 v1, 0xffff, v1
	v_and_b32_e32 v5, 7, v1
	v_ffbh_u32_e32 v9, v5
	v_min_u32_e32 v9, 32, v9
	v_subrev_u32_e32 v10, 28, v9
	v_bfe_u32 v7, v1, 3, 4
	v_lshlrev_b32_e32 v1, v10, v1
	v_sub_u32_e32 v9, 29, v9
	v_and_b32_e32 v1, 7, v1
	v_cmp_eq_u32_e32 vcc, 0, v7
	v_and_b32_e32 v3, 0x80000000, v3
	s_mov_b32 s12, 0x2f800000
	v_cndmask_b32_e32 v7, v7, v9, vcc
	v_cndmask_b32_e32 v1, v5, v1, vcc
	v_mov_b32_e32 v5, 0x3b800000
	v_lshlrev_b32_e32 v1, 20, v1
	v_lshl_add_u32 v5, v7, 23, v5
	v_or3_b32 v1, v3, v5, v1
	v_trunc_f32_e32 v1, v1
	v_mul_f32_e64 v3, |v1|, s12
	v_floor_f32_e32 v3, v3
	s_mov_b32 s12, 0xcf800000
	v_fma_f32 v3, v3, s12, |v1|
	v_cvt_u32_f32_e32 v3, v3
	v_ashrrev_i32_e32 v1, 31, v1
	v_xor_b32_e32 v3, v3, v1
	v_sub_u32_e32 v10, v3, v1
.LBB353_1291:
	s_or_b64 exec, exec, s[10:11]
.LBB353_1292:
	s_mov_b64 s[10:11], -1
.LBB353_1293:
	s_branch .LBB353_1324
.LBB353_1294:
	s_cmp_gt_i32 s16, 22
	s_cbranch_scc0 .LBB353_1302
; %bb.1295:
	s_cmp_lt_i32 s16, 24
	s_cbranch_scc1 .LBB353_1305
; %bb.1296:
	s_cmp_gt_i32 s16, 24
	s_cbranch_scc0 .LBB353_1306
; %bb.1297:
	global_load_ubyte v1, v[16:17], off
	s_movk_i32 s8, 0x7f
	s_mov_b64 s[10:11], 0
	s_waitcnt vmcnt(0)
	v_cmp_lt_i16_e32 vcc, s8, v1
	s_and_saveexec_b64 s[8:9], vcc
	s_xor_b64 s[8:9], exec, s[8:9]
	s_cbranch_execz .LBB353_1318
; %bb.1298:
	s_movk_i32 s10, 0x80
	v_cmp_ne_u16_e32 vcc, s10, v1
	s_and_b64 s[10:11], vcc, exec
	s_andn2_saveexec_b64 s[8:9], s[8:9]
	s_cbranch_execnz .LBB353_1319
.LBB353_1299:
	s_or_b64 exec, exec, s[8:9]
	v_mov_b32_e32 v10, 0
	s_and_saveexec_b64 s[8:9], s[10:11]
	s_cbranch_execz .LBB353_1301
.LBB353_1300:
	v_lshlrev_b32_e32 v3, 24, v1
	v_and_b32_e32 v1, 0xffff, v1
	v_and_b32_e32 v5, 3, v1
	v_ffbh_u32_e32 v9, v5
	v_min_u32_e32 v9, 32, v9
	v_subrev_u32_e32 v10, 29, v9
	v_bfe_u32 v7, v1, 2, 5
	v_lshlrev_b32_e32 v1, v10, v1
	v_sub_u32_e32 v9, 30, v9
	v_and_b32_e32 v1, 3, v1
	v_cmp_eq_u32_e32 vcc, 0, v7
	v_and_b32_e32 v3, 0x80000000, v3
	s_mov_b32 s10, 0x2f800000
	v_cndmask_b32_e32 v7, v7, v9, vcc
	v_cndmask_b32_e32 v1, v5, v1, vcc
	v_mov_b32_e32 v5, 0x37800000
	v_lshlrev_b32_e32 v1, 21, v1
	v_lshl_add_u32 v5, v7, 23, v5
	v_or3_b32 v1, v3, v5, v1
	v_trunc_f32_e32 v1, v1
	v_mul_f32_e64 v3, |v1|, s10
	v_floor_f32_e32 v3, v3
	s_mov_b32 s10, 0xcf800000
	v_fma_f32 v3, v3, s10, |v1|
	v_cvt_u32_f32_e32 v3, v3
	v_ashrrev_i32_e32 v1, 31, v1
	v_xor_b32_e32 v3, v3, v1
	v_sub_u32_e32 v10, v3, v1
.LBB353_1301:
	s_or_b64 exec, exec, s[8:9]
	s_mov_b64 s[8:9], 0
	s_branch .LBB353_1307
.LBB353_1302:
	s_mov_b64 s[8:9], -1
                                        ; implicit-def: $vgpr10
	s_branch .LBB353_1313
.LBB353_1303:
	s_andn2_saveexec_b64 s[10:11], s[10:11]
	s_cbranch_execz .LBB353_1289
.LBB353_1304:
	v_cmp_ne_u16_e32 vcc, 0, v1
	s_andn2_b64 s[12:13], s[12:13], exec
	s_and_b64 s[18:19], vcc, exec
	s_or_b64 s[12:13], s[12:13], s[18:19]
	s_or_b64 exec, exec, s[10:11]
	v_mov_b32_e32 v10, 0
	s_and_saveexec_b64 s[10:11], s[12:13]
	s_cbranch_execnz .LBB353_1290
	s_branch .LBB353_1291
.LBB353_1305:
	s_mov_b64 s[8:9], -1
                                        ; implicit-def: $vgpr10
	s_branch .LBB353_1310
.LBB353_1306:
	s_mov_b64 s[8:9], -1
                                        ; implicit-def: $vgpr10
.LBB353_1307:
	s_and_b64 vcc, exec, s[8:9]
	s_cbranch_vccz .LBB353_1309
; %bb.1308:
	global_load_ubyte v1, v[16:17], off
	s_mov_b32 s8, 0x7f800000
	s_brev_b32 s9, 1
	s_mov_b32 s10, 0x2f800000
	s_waitcnt vmcnt(0)
	v_lshlrev_b32_e32 v1, 24, v1
	v_and_b32_e32 v3, 0x7f000000, v1
	v_ffbh_u32_e32 v5, v3
	v_min_u32_e32 v5, 32, v5
	v_sub_u32_e64 v5, v5, 4 clamp
	v_lshlrev_b32_e32 v9, v5, v3
	v_lshlrev_b32_e32 v5, 23, v5
	v_lshrrev_b32_e32 v9, 4, v9
	v_add_u32_e32 v7, 0x1000000, v3
	v_sub_u32_e32 v5, v9, v5
	v_ashrrev_i32_e32 v7, 8, v7
	v_add_u32_e32 v5, 0x3c000000, v5
	v_and_or_b32 v5, v7, s8, v5
	v_cmp_ne_u32_e32 vcc, 0, v3
	s_mov_b32 s8, 0xcf800000
	s_nop 0
	v_cndmask_b32_e32 v3, 0, v5, vcc
	v_and_or_b32 v1, v1, s9, v3
	v_trunc_f32_e32 v1, v1
	v_mul_f32_e64 v3, |v1|, s10
	v_floor_f32_e32 v3, v3
	v_fma_f32 v3, v3, s8, |v1|
	v_cvt_u32_f32_e32 v3, v3
	v_ashrrev_i32_e32 v1, 31, v1
	v_xor_b32_e32 v3, v3, v1
	v_sub_u32_e32 v10, v3, v1
.LBB353_1309:
	s_mov_b64 s[8:9], 0
.LBB353_1310:
	s_andn2_b64 vcc, exec, s[8:9]
	s_cbranch_vccnz .LBB353_1312
; %bb.1311:
	global_load_ubyte v1, v[16:17], off
	s_movk_i32 s8, 0x7f00
	s_brev_b32 s9, 16
	s_brev_b32 s10, 1
	s_mov_b32 s11, 0x2f800000
	s_waitcnt vmcnt(0)
	v_lshlrev_b16_e32 v3, 8, v1
	v_lshlrev_b32_e32 v1, 25, v1
	v_lshrrev_b32_e32 v5, 4, v1
	v_and_or_b32 v7, v3, s8, 0.5
	v_or_b32_e32 v5, 0x70000000, v5
	v_add_f32_e32 v7, -0.5, v7
	v_mul_f32_e32 v5, 0x7800000, v5
	v_cmp_gt_u32_e32 vcc, s9, v1
	v_bfe_i32 v3, v3, 0, 16
	s_mov_b32 s8, 0xcf800000
	v_cndmask_b32_e32 v1, v5, v7, vcc
	v_and_or_b32 v1, v3, s10, v1
	v_trunc_f32_e32 v1, v1
	v_mul_f32_e64 v3, |v1|, s11
	v_floor_f32_e32 v3, v3
	v_fma_f32 v3, v3, s8, |v1|
	v_cvt_u32_f32_e32 v3, v3
	v_ashrrev_i32_e32 v1, 31, v1
	v_xor_b32_e32 v3, v3, v1
	v_sub_u32_e32 v10, v3, v1
.LBB353_1312:
	s_mov_b64 s[8:9], 0
	s_mov_b64 s[10:11], -1
.LBB353_1313:
	s_andn2_b64 vcc, exec, s[8:9]
	s_mov_b64 s[8:9], 0
	s_cbranch_vccnz .LBB353_1324
; %bb.1314:
	s_cmp_gt_i32 s16, 14
	s_cbranch_scc0 .LBB353_1317
; %bb.1315:
	s_cmp_eq_u32 s16, 15
	s_cbranch_scc0 .LBB353_1320
; %bb.1316:
	global_load_ushort v1, v[16:17], off
	s_mov_b32 s0, 0x2f800000
	s_mov_b32 s1, 0xcf800000
	s_mov_b64 s[10:11], -1
	s_waitcnt vmcnt(0)
	v_lshlrev_b32_e32 v1, 16, v1
	v_trunc_f32_e32 v1, v1
	v_mul_f32_e64 v3, |v1|, s0
	v_floor_f32_e32 v3, v3
	v_fma_f32 v3, v3, s1, |v1|
	v_cvt_u32_f32_e32 v3, v3
	v_ashrrev_i32_e32 v1, 31, v1
	s_mov_b64 s[0:1], 0
	v_xor_b32_e32 v3, v3, v1
	v_sub_u32_e32 v10, v3, v1
	s_branch .LBB353_1321
.LBB353_1317:
	s_mov_b64 s[12:13], -1
                                        ; implicit-def: $vgpr10
	s_branch .LBB353_1322
.LBB353_1318:
	s_andn2_saveexec_b64 s[8:9], s[8:9]
	s_cbranch_execz .LBB353_1299
.LBB353_1319:
	v_cmp_ne_u16_e32 vcc, 0, v1
	s_andn2_b64 s[10:11], s[10:11], exec
	s_and_b64 s[12:13], vcc, exec
	s_or_b64 s[10:11], s[10:11], s[12:13]
	s_or_b64 exec, exec, s[8:9]
	v_mov_b32_e32 v10, 0
	s_and_saveexec_b64 s[8:9], s[10:11]
	s_cbranch_execnz .LBB353_1300
	s_branch .LBB353_1301
.LBB353_1320:
	s_mov_b64 s[0:1], -1
                                        ; implicit-def: $vgpr10
.LBB353_1321:
	s_mov_b64 s[12:13], 0
.LBB353_1322:
	s_and_b64 vcc, exec, s[12:13]
	s_cbranch_vccz .LBB353_1324
; %bb.1323:
	s_cmp_lg_u32 s16, 11
	s_mov_b64 s[8:9], -1
	s_cselect_b64 s[0:1], -1, 0
.LBB353_1324:
	s_and_b64 vcc, exec, s[0:1]
	s_cbranch_vccnz .LBB353_1387
; %bb.1325:
	s_andn2_b64 vcc, exec, s[8:9]
	s_cbranch_vccnz .LBB353_1327
.LBB353_1326:
	global_load_ubyte v1, v[16:17], off
	s_mov_b64 s[10:11], -1
	s_waitcnt vmcnt(0)
	v_cmp_ne_u16_e32 vcc, 0, v1
	s_nop 1
	v_cndmask_b32_e64 v10, 0, 1, vcc
.LBB353_1327:
	s_branch .LBB353_1258
.LBB353_1328:
	s_and_b32 s8, 0xffff, s15
	s_cmp_lt_i32 s8, 5
	s_cbranch_scc1 .LBB353_1333
; %bb.1329:
	s_cmp_lt_i32 s8, 8
	s_cbranch_scc1 .LBB353_1334
; %bb.1330:
	;; [unrolled: 3-line block ×3, first 2 shown]
	s_cmp_gt_i32 s8, 9
	s_cbranch_scc0 .LBB353_1336
; %bb.1332:
	global_load_dwordx2 v[10:11], v[16:17], off
	s_movk_i32 s0, 0xffe0
	s_waitcnt vmcnt(0)
	v_trunc_f64_e32 v[10:11], v[10:11]
	v_ldexp_f64 v[18:19], v[10:11], s0
	v_floor_f64_e32 v[18:19], v[18:19]
	v_fmac_f64_e32 v[10:11], 0xc1f00000, v[18:19]
	v_cvt_u32_f64_e32 v10, v[10:11]
	s_mov_b64 s[0:1], 0
	s_branch .LBB353_1337
.LBB353_1333:
                                        ; implicit-def: $vgpr10
	s_branch .LBB353_1355
.LBB353_1334:
	s_mov_b64 s[0:1], -1
                                        ; implicit-def: $vgpr10
	s_branch .LBB353_1343
.LBB353_1335:
	s_mov_b64 s[0:1], -1
                                        ; implicit-def: $vgpr10
	s_branch .LBB353_1340
.LBB353_1336:
	s_mov_b64 s[0:1], -1
                                        ; implicit-def: $vgpr10
.LBB353_1337:
	s_andn2_b64 vcc, exec, s[0:1]
	s_cbranch_vccnz .LBB353_1339
; %bb.1338:
	global_load_dword v1, v[16:17], off
	s_mov_b32 s0, 0x2f800000
	s_waitcnt vmcnt(0)
	v_trunc_f32_e32 v1, v1
	v_mul_f32_e64 v3, |v1|, s0
	v_floor_f32_e32 v3, v3
	s_mov_b32 s0, 0xcf800000
	v_fma_f32 v3, v3, s0, |v1|
	v_cvt_u32_f32_e32 v3, v3
	v_ashrrev_i32_e32 v1, 31, v1
	v_xor_b32_e32 v3, v3, v1
	v_sub_u32_e32 v10, v3, v1
.LBB353_1339:
	s_mov_b64 s[0:1], 0
.LBB353_1340:
	s_andn2_b64 vcc, exec, s[0:1]
	s_cbranch_vccnz .LBB353_1342
; %bb.1341:
	global_load_dword v1, v[16:17], off
	s_waitcnt vmcnt(0)
	v_cvt_f32_f16_e32 v1, v1
	v_cvt_i32_f32_e32 v10, v1
.LBB353_1342:
	s_mov_b64 s[0:1], 0
.LBB353_1343:
	s_andn2_b64 vcc, exec, s[0:1]
	s_cbranch_vccnz .LBB353_1354
; %bb.1344:
	s_cmp_lt_i32 s8, 6
	s_cbranch_scc1 .LBB353_1347
; %bb.1345:
	s_cmp_gt_i32 s8, 6
	s_cbranch_scc0 .LBB353_1348
; %bb.1346:
	global_load_dwordx2 v[10:11], v[16:17], off
	s_movk_i32 s0, 0xffe0
	s_waitcnt vmcnt(0)
	v_trunc_f64_e32 v[10:11], v[10:11]
	v_ldexp_f64 v[18:19], v[10:11], s0
	v_floor_f64_e32 v[18:19], v[18:19]
	v_fmac_f64_e32 v[10:11], 0xc1f00000, v[18:19]
	v_cvt_u32_f64_e32 v10, v[10:11]
	s_mov_b64 s[0:1], 0
	s_branch .LBB353_1349
.LBB353_1347:
	s_mov_b64 s[0:1], -1
                                        ; implicit-def: $vgpr10
	s_branch .LBB353_1352
.LBB353_1348:
	s_mov_b64 s[0:1], -1
                                        ; implicit-def: $vgpr10
.LBB353_1349:
	s_andn2_b64 vcc, exec, s[0:1]
	s_cbranch_vccnz .LBB353_1351
; %bb.1350:
	global_load_dword v1, v[16:17], off
	s_mov_b32 s0, 0x2f800000
	s_waitcnt vmcnt(0)
	v_trunc_f32_e32 v1, v1
	v_mul_f32_e64 v3, |v1|, s0
	v_floor_f32_e32 v3, v3
	s_mov_b32 s0, 0xcf800000
	v_fma_f32 v3, v3, s0, |v1|
	v_cvt_u32_f32_e32 v3, v3
	v_ashrrev_i32_e32 v1, 31, v1
	v_xor_b32_e32 v3, v3, v1
	v_sub_u32_e32 v10, v3, v1
.LBB353_1351:
	s_mov_b64 s[0:1], 0
.LBB353_1352:
	s_andn2_b64 vcc, exec, s[0:1]
	s_cbranch_vccnz .LBB353_1354
; %bb.1353:
	global_load_ushort v1, v[16:17], off
	s_waitcnt vmcnt(0)
	v_cvt_f32_f16_e32 v1, v1
	v_cvt_i32_f32_e32 v10, v1
.LBB353_1354:
	s_cbranch_execnz .LBB353_1374
.LBB353_1355:
	s_cmp_lt_i32 s8, 2
	s_cbranch_scc1 .LBB353_1359
; %bb.1356:
	s_cmp_lt_i32 s8, 3
	s_cbranch_scc1 .LBB353_1360
; %bb.1357:
	s_cmp_gt_i32 s8, 3
	s_cbranch_scc0 .LBB353_1361
; %bb.1358:
	global_load_dwordx2 v[10:11], v[16:17], off
	s_mov_b64 s[0:1], 0
	s_branch .LBB353_1362
.LBB353_1359:
	s_mov_b64 s[0:1], -1
                                        ; implicit-def: $vgpr10
	s_branch .LBB353_1368
.LBB353_1360:
	s_mov_b64 s[0:1], -1
                                        ; implicit-def: $vgpr10
	s_branch .LBB353_1365
.LBB353_1361:
	s_mov_b64 s[0:1], -1
                                        ; implicit-def: $vgpr10
.LBB353_1362:
	s_andn2_b64 vcc, exec, s[0:1]
	s_cbranch_vccnz .LBB353_1364
; %bb.1363:
	global_load_dword v10, v[16:17], off
.LBB353_1364:
	s_mov_b64 s[0:1], 0
.LBB353_1365:
	s_andn2_b64 vcc, exec, s[0:1]
	s_cbranch_vccnz .LBB353_1367
; %bb.1366:
	global_load_ushort v10, v[16:17], off
.LBB353_1367:
	s_mov_b64 s[0:1], 0
.LBB353_1368:
	s_andn2_b64 vcc, exec, s[0:1]
	s_cbranch_vccnz .LBB353_1374
; %bb.1369:
	s_cmp_gt_i32 s8, 0
	s_cbranch_scc0 .LBB353_1371
; %bb.1370:
	global_load_ubyte v10, v[16:17], off
	s_mov_b64 s[0:1], 0
	s_branch .LBB353_1372
.LBB353_1371:
	s_mov_b64 s[0:1], -1
                                        ; implicit-def: $vgpr10
.LBB353_1372:
	s_andn2_b64 vcc, exec, s[0:1]
	s_cbranch_vccnz .LBB353_1374
; %bb.1373:
	global_load_ubyte v10, v[16:17], off
.LBB353_1374:
.LBB353_1375:
	v_mov_b32_e32 v13, 0
	s_cmp_lt_i32 s15, 11
	v_lshl_add_u64 v[16:17], s[6:7], 0, v[12:13]
	s_cbranch_scc1 .LBB353_1382
; %bb.1376:
	s_and_b32 s16, 0xffff, s15
	s_cmp_gt_i32 s16, 25
	s_mov_b64 s[8:9], 0
	s_cbranch_scc0 .LBB353_1384
; %bb.1377:
	s_cmp_gt_i32 s16, 28
	s_cbranch_scc0 .LBB353_1385
; %bb.1378:
	s_cmp_gt_i32 s16, 43
	;; [unrolled: 3-line block ×3, first 2 shown]
	s_cbranch_scc0 .LBB353_1388
; %bb.1380:
	s_cmp_eq_u32 s16, 46
	s_mov_b64 s[12:13], 0
	s_cbranch_scc0 .LBB353_1389
; %bb.1381:
	global_load_dword v1, v[16:17], off
	s_mov_b32 s0, 0x2f800000
	s_mov_b32 s1, 0xcf800000
	s_mov_b64 s[10:11], -1
	s_waitcnt vmcnt(0)
	v_lshlrev_b32_e32 v1, 16, v1
	v_trunc_f32_e32 v1, v1
	v_mul_f32_e64 v3, |v1|, s0
	v_floor_f32_e32 v3, v3
	v_fma_f32 v3, v3, s1, |v1|
	v_cvt_u32_f32_e32 v3, v3
	v_ashrrev_i32_e32 v1, 31, v1
	s_mov_b64 s[0:1], 0
	v_xor_b32_e32 v3, v3, v1
	v_sub_u32_e32 v12, v3, v1
	s_branch .LBB353_1390
.LBB353_1382:
	s_mov_b64 s[10:11], 0
                                        ; implicit-def: $vgpr12
	s_cbranch_execnz .LBB353_1452
.LBB353_1383:
	s_andn2_b64 vcc, exec, s[10:11]
	s_cbranch_vccnz .LBB353_2059
	s_branch .LBB353_1500
.LBB353_1384:
	s_mov_b64 s[12:13], -1
	s_mov_b64 s[10:11], 0
	s_mov_b64 s[0:1], 0
                                        ; implicit-def: $vgpr12
	s_branch .LBB353_1417
.LBB353_1385:
	s_mov_b64 s[12:13], -1
	s_mov_b64 s[10:11], 0
	s_mov_b64 s[0:1], 0
                                        ; implicit-def: $vgpr12
	s_branch .LBB353_1400
.LBB353_1386:
	s_mov_b64 s[12:13], -1
	s_mov_b64 s[10:11], 0
	s_mov_b64 s[0:1], 0
                                        ; implicit-def: $vgpr12
	s_branch .LBB353_1395
.LBB353_1387:
	s_trap 2
	s_or_b64 s[2:3], s[2:3], exec
	s_cbranch_execz .LBB353_1326
	s_branch .LBB353_1327
.LBB353_1388:
	s_mov_b64 s[12:13], -1
	s_mov_b64 s[10:11], 0
	s_mov_b64 s[0:1], 0
                                        ; implicit-def: $vgpr12
	s_branch .LBB353_1390
.LBB353_1389:
	s_mov_b64 s[0:1], -1
                                        ; implicit-def: $vgpr12
	s_mov_b64 s[10:11], 0
.LBB353_1390:
	s_and_b64 vcc, exec, s[12:13]
	s_cbranch_vccz .LBB353_1394
; %bb.1391:
	s_cmp_eq_u32 s16, 44
	s_cbranch_scc0 .LBB353_1393
; %bb.1392:
	global_load_ubyte v1, v[16:17], off
	s_mov_b32 s0, 0x2f800000
	s_mov_b32 s1, 0xcf800000
	s_mov_b64 s[10:11], -1
	s_waitcnt vmcnt(0)
	v_lshlrev_b32_e32 v3, 23, v1
	v_trunc_f32_e32 v3, v3
	v_mul_f32_e64 v5, |v3|, s0
	v_floor_f32_e32 v5, v5
	v_fma_f32 v5, v5, s1, |v3|
	v_cvt_u32_f32_e32 v5, v5
	v_ashrrev_i32_e32 v3, 31, v3
	v_cmp_ne_u32_e32 vcc, 0, v1
	s_mov_b64 s[0:1], 0
	v_xor_b32_e32 v5, v5, v3
	v_sub_u32_e32 v3, v5, v3
	v_cndmask_b32_e32 v12, 0, v3, vcc
	s_branch .LBB353_1394
.LBB353_1393:
	s_mov_b64 s[0:1], -1
                                        ; implicit-def: $vgpr12
.LBB353_1394:
	s_mov_b64 s[12:13], 0
.LBB353_1395:
	s_and_b64 vcc, exec, s[12:13]
	s_cbranch_vccz .LBB353_1399
; %bb.1396:
	s_cmp_eq_u32 s16, 29
	s_cbranch_scc0 .LBB353_1398
; %bb.1397:
	global_load_dwordx2 v[12:13], v[16:17], off
	s_mov_b64 s[0:1], 0
	s_mov_b64 s[10:11], -1
	s_branch .LBB353_1399
.LBB353_1398:
	s_mov_b64 s[0:1], -1
                                        ; implicit-def: $vgpr12
.LBB353_1399:
	s_mov_b64 s[12:13], 0
.LBB353_1400:
	s_and_b64 vcc, exec, s[12:13]
	s_cbranch_vccz .LBB353_1416
; %bb.1401:
	s_cmp_lt_i32 s16, 27
	s_cbranch_scc1 .LBB353_1404
; %bb.1402:
	s_cmp_gt_i32 s16, 27
	s_cbranch_scc0 .LBB353_1405
; %bb.1403:
	global_load_dword v12, v[16:17], off
	s_mov_b64 s[10:11], 0
	s_branch .LBB353_1406
.LBB353_1404:
	s_mov_b64 s[10:11], -1
                                        ; implicit-def: $vgpr12
	s_branch .LBB353_1409
.LBB353_1405:
	s_mov_b64 s[10:11], -1
                                        ; implicit-def: $vgpr12
.LBB353_1406:
	s_andn2_b64 vcc, exec, s[10:11]
	s_cbranch_vccnz .LBB353_1408
; %bb.1407:
	global_load_ushort v12, v[16:17], off
.LBB353_1408:
	s_mov_b64 s[10:11], 0
.LBB353_1409:
	s_andn2_b64 vcc, exec, s[10:11]
	s_cbranch_vccnz .LBB353_1415
; %bb.1410:
	global_load_ubyte v1, v[16:17], off
	s_movk_i32 s10, 0x7f
	s_mov_b64 s[12:13], 0
	s_waitcnt vmcnt(0)
	v_cmp_lt_i16_e32 vcc, s10, v1
	s_and_saveexec_b64 s[10:11], vcc
	s_xor_b64 s[10:11], exec, s[10:11]
	s_cbranch_execz .LBB353_1427
; %bb.1411:
	s_movk_i32 s12, 0x80
	v_cmp_ne_u16_e32 vcc, s12, v1
	s_and_b64 s[12:13], vcc, exec
	s_andn2_saveexec_b64 s[10:11], s[10:11]
	s_cbranch_execnz .LBB353_1428
.LBB353_1412:
	s_or_b64 exec, exec, s[10:11]
	v_mov_b32_e32 v12, 0
	s_and_saveexec_b64 s[10:11], s[12:13]
	s_cbranch_execz .LBB353_1414
.LBB353_1413:
	v_lshlrev_b32_e32 v3, 24, v1
	v_and_b32_e32 v1, 0xffff, v1
	v_and_b32_e32 v5, 7, v1
	v_ffbh_u32_e32 v9, v5
	v_min_u32_e32 v9, 32, v9
	v_subrev_u32_e32 v11, 28, v9
	v_bfe_u32 v7, v1, 3, 4
	v_lshlrev_b32_e32 v1, v11, v1
	v_sub_u32_e32 v9, 29, v9
	v_and_b32_e32 v1, 7, v1
	v_cmp_eq_u32_e32 vcc, 0, v7
	v_and_b32_e32 v3, 0x80000000, v3
	s_mov_b32 s12, 0x2f800000
	v_cndmask_b32_e32 v7, v7, v9, vcc
	v_cndmask_b32_e32 v1, v5, v1, vcc
	v_mov_b32_e32 v5, 0x3b800000
	v_lshlrev_b32_e32 v1, 20, v1
	v_lshl_add_u32 v5, v7, 23, v5
	v_or3_b32 v1, v3, v5, v1
	v_trunc_f32_e32 v1, v1
	v_mul_f32_e64 v3, |v1|, s12
	v_floor_f32_e32 v3, v3
	s_mov_b32 s12, 0xcf800000
	v_fma_f32 v3, v3, s12, |v1|
	v_cvt_u32_f32_e32 v3, v3
	v_ashrrev_i32_e32 v1, 31, v1
	v_xor_b32_e32 v3, v3, v1
	v_sub_u32_e32 v12, v3, v1
.LBB353_1414:
	s_or_b64 exec, exec, s[10:11]
.LBB353_1415:
	s_mov_b64 s[10:11], -1
.LBB353_1416:
	s_mov_b64 s[12:13], 0
.LBB353_1417:
	s_and_b64 vcc, exec, s[12:13]
	s_cbranch_vccz .LBB353_1448
; %bb.1418:
	s_cmp_gt_i32 s16, 22
	s_cbranch_scc0 .LBB353_1426
; %bb.1419:
	s_cmp_lt_i32 s16, 24
	s_cbranch_scc1 .LBB353_1429
; %bb.1420:
	s_cmp_gt_i32 s16, 24
	s_cbranch_scc0 .LBB353_1430
; %bb.1421:
	global_load_ubyte v1, v[16:17], off
	s_movk_i32 s8, 0x7f
	s_mov_b64 s[10:11], 0
	s_waitcnt vmcnt(0)
	v_cmp_lt_i16_e32 vcc, s8, v1
	s_and_saveexec_b64 s[8:9], vcc
	s_xor_b64 s[8:9], exec, s[8:9]
	s_cbranch_execz .LBB353_1442
; %bb.1422:
	s_movk_i32 s10, 0x80
	v_cmp_ne_u16_e32 vcc, s10, v1
	s_and_b64 s[10:11], vcc, exec
	s_andn2_saveexec_b64 s[8:9], s[8:9]
	s_cbranch_execnz .LBB353_1443
.LBB353_1423:
	s_or_b64 exec, exec, s[8:9]
	v_mov_b32_e32 v12, 0
	s_and_saveexec_b64 s[8:9], s[10:11]
	s_cbranch_execz .LBB353_1425
.LBB353_1424:
	v_lshlrev_b32_e32 v3, 24, v1
	v_and_b32_e32 v1, 0xffff, v1
	v_and_b32_e32 v5, 3, v1
	v_ffbh_u32_e32 v9, v5
	v_min_u32_e32 v9, 32, v9
	v_subrev_u32_e32 v11, 29, v9
	v_bfe_u32 v7, v1, 2, 5
	v_lshlrev_b32_e32 v1, v11, v1
	v_sub_u32_e32 v9, 30, v9
	v_and_b32_e32 v1, 3, v1
	v_cmp_eq_u32_e32 vcc, 0, v7
	v_and_b32_e32 v3, 0x80000000, v3
	s_mov_b32 s10, 0x2f800000
	v_cndmask_b32_e32 v7, v7, v9, vcc
	v_cndmask_b32_e32 v1, v5, v1, vcc
	v_mov_b32_e32 v5, 0x37800000
	v_lshlrev_b32_e32 v1, 21, v1
	v_lshl_add_u32 v5, v7, 23, v5
	v_or3_b32 v1, v3, v5, v1
	v_trunc_f32_e32 v1, v1
	v_mul_f32_e64 v3, |v1|, s10
	v_floor_f32_e32 v3, v3
	s_mov_b32 s10, 0xcf800000
	v_fma_f32 v3, v3, s10, |v1|
	v_cvt_u32_f32_e32 v3, v3
	v_ashrrev_i32_e32 v1, 31, v1
	v_xor_b32_e32 v3, v3, v1
	v_sub_u32_e32 v12, v3, v1
.LBB353_1425:
	s_or_b64 exec, exec, s[8:9]
	s_mov_b64 s[8:9], 0
	s_branch .LBB353_1431
.LBB353_1426:
	s_mov_b64 s[8:9], -1
                                        ; implicit-def: $vgpr12
	s_branch .LBB353_1437
.LBB353_1427:
	s_andn2_saveexec_b64 s[10:11], s[10:11]
	s_cbranch_execz .LBB353_1412
.LBB353_1428:
	v_cmp_ne_u16_e32 vcc, 0, v1
	s_andn2_b64 s[12:13], s[12:13], exec
	s_and_b64 s[18:19], vcc, exec
	s_or_b64 s[12:13], s[12:13], s[18:19]
	s_or_b64 exec, exec, s[10:11]
	v_mov_b32_e32 v12, 0
	s_and_saveexec_b64 s[10:11], s[12:13]
	s_cbranch_execnz .LBB353_1413
	s_branch .LBB353_1414
.LBB353_1429:
	s_mov_b64 s[8:9], -1
                                        ; implicit-def: $vgpr12
	s_branch .LBB353_1434
.LBB353_1430:
	s_mov_b64 s[8:9], -1
                                        ; implicit-def: $vgpr12
.LBB353_1431:
	s_and_b64 vcc, exec, s[8:9]
	s_cbranch_vccz .LBB353_1433
; %bb.1432:
	global_load_ubyte v1, v[16:17], off
	s_mov_b32 s8, 0x7f800000
	s_brev_b32 s9, 1
	s_mov_b32 s10, 0x2f800000
	s_waitcnt vmcnt(0)
	v_lshlrev_b32_e32 v1, 24, v1
	v_and_b32_e32 v3, 0x7f000000, v1
	v_ffbh_u32_e32 v5, v3
	v_min_u32_e32 v5, 32, v5
	v_sub_u32_e64 v5, v5, 4 clamp
	v_lshlrev_b32_e32 v9, v5, v3
	v_lshlrev_b32_e32 v5, 23, v5
	v_lshrrev_b32_e32 v9, 4, v9
	v_add_u32_e32 v7, 0x1000000, v3
	v_sub_u32_e32 v5, v9, v5
	v_ashrrev_i32_e32 v7, 8, v7
	v_add_u32_e32 v5, 0x3c000000, v5
	v_and_or_b32 v5, v7, s8, v5
	v_cmp_ne_u32_e32 vcc, 0, v3
	s_mov_b32 s8, 0xcf800000
	s_nop 0
	v_cndmask_b32_e32 v3, 0, v5, vcc
	v_and_or_b32 v1, v1, s9, v3
	v_trunc_f32_e32 v1, v1
	v_mul_f32_e64 v3, |v1|, s10
	v_floor_f32_e32 v3, v3
	v_fma_f32 v3, v3, s8, |v1|
	v_cvt_u32_f32_e32 v3, v3
	v_ashrrev_i32_e32 v1, 31, v1
	v_xor_b32_e32 v3, v3, v1
	v_sub_u32_e32 v12, v3, v1
.LBB353_1433:
	s_mov_b64 s[8:9], 0
.LBB353_1434:
	s_andn2_b64 vcc, exec, s[8:9]
	s_cbranch_vccnz .LBB353_1436
; %bb.1435:
	global_load_ubyte v1, v[16:17], off
	s_movk_i32 s8, 0x7f00
	s_brev_b32 s9, 16
	s_brev_b32 s10, 1
	s_mov_b32 s11, 0x2f800000
	s_waitcnt vmcnt(0)
	v_lshlrev_b16_e32 v3, 8, v1
	v_lshlrev_b32_e32 v1, 25, v1
	v_lshrrev_b32_e32 v5, 4, v1
	v_and_or_b32 v7, v3, s8, 0.5
	v_or_b32_e32 v5, 0x70000000, v5
	v_add_f32_e32 v7, -0.5, v7
	v_mul_f32_e32 v5, 0x7800000, v5
	v_cmp_gt_u32_e32 vcc, s9, v1
	v_bfe_i32 v3, v3, 0, 16
	s_mov_b32 s8, 0xcf800000
	v_cndmask_b32_e32 v1, v5, v7, vcc
	v_and_or_b32 v1, v3, s10, v1
	v_trunc_f32_e32 v1, v1
	v_mul_f32_e64 v3, |v1|, s11
	v_floor_f32_e32 v3, v3
	v_fma_f32 v3, v3, s8, |v1|
	v_cvt_u32_f32_e32 v3, v3
	v_ashrrev_i32_e32 v1, 31, v1
	v_xor_b32_e32 v3, v3, v1
	v_sub_u32_e32 v12, v3, v1
.LBB353_1436:
	s_mov_b64 s[8:9], 0
	s_mov_b64 s[10:11], -1
.LBB353_1437:
	s_andn2_b64 vcc, exec, s[8:9]
	s_mov_b64 s[8:9], 0
	s_cbranch_vccnz .LBB353_1448
; %bb.1438:
	s_cmp_gt_i32 s16, 14
	s_cbranch_scc0 .LBB353_1441
; %bb.1439:
	s_cmp_eq_u32 s16, 15
	s_cbranch_scc0 .LBB353_1444
; %bb.1440:
	global_load_ushort v1, v[16:17], off
	s_mov_b32 s0, 0x2f800000
	s_mov_b32 s1, 0xcf800000
	s_mov_b64 s[10:11], -1
	s_waitcnt vmcnt(0)
	v_lshlrev_b32_e32 v1, 16, v1
	v_trunc_f32_e32 v1, v1
	v_mul_f32_e64 v3, |v1|, s0
	v_floor_f32_e32 v3, v3
	v_fma_f32 v3, v3, s1, |v1|
	v_cvt_u32_f32_e32 v3, v3
	v_ashrrev_i32_e32 v1, 31, v1
	s_mov_b64 s[0:1], 0
	v_xor_b32_e32 v3, v3, v1
	v_sub_u32_e32 v12, v3, v1
	s_branch .LBB353_1445
.LBB353_1441:
	s_mov_b64 s[12:13], -1
                                        ; implicit-def: $vgpr12
	s_branch .LBB353_1446
.LBB353_1442:
	s_andn2_saveexec_b64 s[8:9], s[8:9]
	s_cbranch_execz .LBB353_1423
.LBB353_1443:
	v_cmp_ne_u16_e32 vcc, 0, v1
	s_andn2_b64 s[10:11], s[10:11], exec
	s_and_b64 s[12:13], vcc, exec
	s_or_b64 s[10:11], s[10:11], s[12:13]
	s_or_b64 exec, exec, s[8:9]
	v_mov_b32_e32 v12, 0
	s_and_saveexec_b64 s[8:9], s[10:11]
	s_cbranch_execnz .LBB353_1424
	s_branch .LBB353_1425
.LBB353_1444:
	s_mov_b64 s[0:1], -1
                                        ; implicit-def: $vgpr12
.LBB353_1445:
	s_mov_b64 s[12:13], 0
.LBB353_1446:
	s_and_b64 vcc, exec, s[12:13]
	s_cbranch_vccz .LBB353_1448
; %bb.1447:
	s_cmp_lg_u32 s16, 11
	s_mov_b64 s[8:9], -1
	s_cselect_b64 s[0:1], -1, 0
.LBB353_1448:
	s_and_b64 vcc, exec, s[0:1]
	s_cbranch_vccnz .LBB353_1511
; %bb.1449:
	s_andn2_b64 vcc, exec, s[8:9]
	s_cbranch_vccnz .LBB353_1451
.LBB353_1450:
	global_load_ubyte v1, v[16:17], off
	s_mov_b64 s[10:11], -1
	s_waitcnt vmcnt(0)
	v_cmp_ne_u16_e32 vcc, 0, v1
	s_nop 1
	v_cndmask_b32_e64 v12, 0, 1, vcc
.LBB353_1451:
	s_branch .LBB353_1383
.LBB353_1452:
	s_and_b32 s8, 0xffff, s15
	s_cmp_lt_i32 s8, 5
	s_cbranch_scc1 .LBB353_1457
; %bb.1453:
	s_cmp_lt_i32 s8, 8
	s_cbranch_scc1 .LBB353_1458
; %bb.1454:
	;; [unrolled: 3-line block ×3, first 2 shown]
	s_cmp_gt_i32 s8, 9
	s_cbranch_scc0 .LBB353_1460
; %bb.1456:
	global_load_dwordx2 v[12:13], v[16:17], off
	s_movk_i32 s0, 0xffe0
	s_waitcnt vmcnt(0)
	v_trunc_f64_e32 v[12:13], v[12:13]
	v_ldexp_f64 v[18:19], v[12:13], s0
	v_floor_f64_e32 v[18:19], v[18:19]
	v_fmac_f64_e32 v[12:13], 0xc1f00000, v[18:19]
	v_cvt_u32_f64_e32 v12, v[12:13]
	s_mov_b64 s[0:1], 0
	s_branch .LBB353_1461
.LBB353_1457:
	s_mov_b64 s[0:1], -1
                                        ; implicit-def: $vgpr12
	s_branch .LBB353_1479
.LBB353_1458:
	s_mov_b64 s[0:1], -1
                                        ; implicit-def: $vgpr12
	s_branch .LBB353_1467
.LBB353_1459:
	s_mov_b64 s[0:1], -1
                                        ; implicit-def: $vgpr12
	s_branch .LBB353_1464
.LBB353_1460:
	s_mov_b64 s[0:1], -1
                                        ; implicit-def: $vgpr12
.LBB353_1461:
	s_andn2_b64 vcc, exec, s[0:1]
	s_cbranch_vccnz .LBB353_1463
; %bb.1462:
	global_load_dword v1, v[16:17], off
	s_mov_b32 s0, 0x2f800000
	s_waitcnt vmcnt(0)
	v_trunc_f32_e32 v1, v1
	v_mul_f32_e64 v3, |v1|, s0
	v_floor_f32_e32 v3, v3
	s_mov_b32 s0, 0xcf800000
	v_fma_f32 v3, v3, s0, |v1|
	v_cvt_u32_f32_e32 v3, v3
	v_ashrrev_i32_e32 v1, 31, v1
	v_xor_b32_e32 v3, v3, v1
	v_sub_u32_e32 v12, v3, v1
.LBB353_1463:
	s_mov_b64 s[0:1], 0
.LBB353_1464:
	s_andn2_b64 vcc, exec, s[0:1]
	s_cbranch_vccnz .LBB353_1466
; %bb.1465:
	global_load_dword v1, v[16:17], off
	s_waitcnt vmcnt(0)
	v_cvt_f32_f16_e32 v1, v1
	v_cvt_i32_f32_e32 v12, v1
.LBB353_1466:
	s_mov_b64 s[0:1], 0
.LBB353_1467:
	s_andn2_b64 vcc, exec, s[0:1]
	s_cbranch_vccnz .LBB353_1478
; %bb.1468:
	s_cmp_lt_i32 s8, 6
	s_cbranch_scc1 .LBB353_1471
; %bb.1469:
	s_cmp_gt_i32 s8, 6
	s_cbranch_scc0 .LBB353_1472
; %bb.1470:
	global_load_dwordx2 v[12:13], v[16:17], off
	s_movk_i32 s0, 0xffe0
	s_waitcnt vmcnt(0)
	v_trunc_f64_e32 v[12:13], v[12:13]
	v_ldexp_f64 v[18:19], v[12:13], s0
	v_floor_f64_e32 v[18:19], v[18:19]
	v_fmac_f64_e32 v[12:13], 0xc1f00000, v[18:19]
	v_cvt_u32_f64_e32 v12, v[12:13]
	s_mov_b64 s[0:1], 0
	s_branch .LBB353_1473
.LBB353_1471:
	s_mov_b64 s[0:1], -1
                                        ; implicit-def: $vgpr12
	s_branch .LBB353_1476
.LBB353_1472:
	s_mov_b64 s[0:1], -1
                                        ; implicit-def: $vgpr12
.LBB353_1473:
	s_andn2_b64 vcc, exec, s[0:1]
	s_cbranch_vccnz .LBB353_1475
; %bb.1474:
	global_load_dword v1, v[16:17], off
	s_mov_b32 s0, 0x2f800000
	s_waitcnt vmcnt(0)
	v_trunc_f32_e32 v1, v1
	v_mul_f32_e64 v3, |v1|, s0
	v_floor_f32_e32 v3, v3
	s_mov_b32 s0, 0xcf800000
	v_fma_f32 v3, v3, s0, |v1|
	v_cvt_u32_f32_e32 v3, v3
	v_ashrrev_i32_e32 v1, 31, v1
	v_xor_b32_e32 v3, v3, v1
	v_sub_u32_e32 v12, v3, v1
.LBB353_1475:
	s_mov_b64 s[0:1], 0
.LBB353_1476:
	s_andn2_b64 vcc, exec, s[0:1]
	s_cbranch_vccnz .LBB353_1478
; %bb.1477:
	global_load_ushort v1, v[16:17], off
	s_waitcnt vmcnt(0)
	v_cvt_f32_f16_e32 v1, v1
	v_cvt_i32_f32_e32 v12, v1
.LBB353_1478:
	s_mov_b64 s[0:1], 0
.LBB353_1479:
	s_andn2_b64 vcc, exec, s[0:1]
	s_cbranch_vccnz .LBB353_1499
; %bb.1480:
	s_cmp_lt_i32 s8, 2
	s_cbranch_scc1 .LBB353_1484
; %bb.1481:
	s_cmp_lt_i32 s8, 3
	s_cbranch_scc1 .LBB353_1485
; %bb.1482:
	s_cmp_gt_i32 s8, 3
	s_cbranch_scc0 .LBB353_1486
; %bb.1483:
	global_load_dwordx2 v[12:13], v[16:17], off
	s_mov_b64 s[0:1], 0
	s_branch .LBB353_1487
.LBB353_1484:
	s_mov_b64 s[0:1], -1
                                        ; implicit-def: $vgpr12
	s_branch .LBB353_1493
.LBB353_1485:
	s_mov_b64 s[0:1], -1
                                        ; implicit-def: $vgpr12
	s_branch .LBB353_1490
.LBB353_1486:
	s_mov_b64 s[0:1], -1
                                        ; implicit-def: $vgpr12
.LBB353_1487:
	s_andn2_b64 vcc, exec, s[0:1]
	s_cbranch_vccnz .LBB353_1489
; %bb.1488:
	global_load_dword v12, v[16:17], off
.LBB353_1489:
	s_mov_b64 s[0:1], 0
.LBB353_1490:
	s_andn2_b64 vcc, exec, s[0:1]
	s_cbranch_vccnz .LBB353_1492
; %bb.1491:
	global_load_ushort v12, v[16:17], off
.LBB353_1492:
	s_mov_b64 s[0:1], 0
.LBB353_1493:
	s_andn2_b64 vcc, exec, s[0:1]
	s_cbranch_vccnz .LBB353_1499
; %bb.1494:
	s_cmp_gt_i32 s8, 0
	s_cbranch_scc0 .LBB353_1496
; %bb.1495:
	global_load_ubyte v12, v[16:17], off
	s_mov_b64 s[0:1], 0
	s_branch .LBB353_1497
.LBB353_1496:
	s_mov_b64 s[0:1], -1
                                        ; implicit-def: $vgpr12
.LBB353_1497:
	s_andn2_b64 vcc, exec, s[0:1]
	s_cbranch_vccnz .LBB353_1499
; %bb.1498:
	global_load_ubyte v12, v[16:17], off
.LBB353_1499:
.LBB353_1500:
	v_mov_b32_e32 v15, 0
	s_cmp_lt_i32 s15, 11
	v_lshl_add_u64 v[16:17], s[6:7], 0, v[14:15]
	s_cbranch_scc1 .LBB353_1507
; %bb.1501:
	s_and_b32 s12, 0xffff, s15
	s_cmp_gt_i32 s12, 25
	s_mov_b64 s[6:7], 0
	s_cbranch_scc0 .LBB353_1508
; %bb.1502:
	s_cmp_gt_i32 s12, 28
	s_cbranch_scc0 .LBB353_1509
; %bb.1503:
	s_cmp_gt_i32 s12, 43
	;; [unrolled: 3-line block ×3, first 2 shown]
	s_cbranch_scc0 .LBB353_1512
; %bb.1505:
	s_cmp_eq_u32 s12, 46
	s_mov_b64 s[10:11], 0
	s_cbranch_scc0 .LBB353_1513
; %bb.1506:
	global_load_dword v1, v[16:17], off
	s_mov_b32 s0, 0x2f800000
	s_mov_b32 s1, 0xcf800000
	s_mov_b64 s[8:9], -1
	s_waitcnt vmcnt(0)
	v_lshlrev_b32_e32 v1, 16, v1
	v_trunc_f32_e32 v1, v1
	v_mul_f32_e64 v3, |v1|, s0
	v_floor_f32_e32 v3, v3
	v_fma_f32 v3, v3, s1, |v1|
	v_cvt_u32_f32_e32 v3, v3
	v_ashrrev_i32_e32 v1, 31, v1
	s_mov_b64 s[0:1], 0
	v_xor_b32_e32 v3, v3, v1
	v_sub_u32_e32 v14, v3, v1
	s_branch .LBB353_1514
.LBB353_1507:
	s_mov_b64 s[0:1], -1
	s_mov_b64 s[8:9], 0
                                        ; implicit-def: $vgpr14
	s_branch .LBB353_1576
.LBB353_1508:
	s_mov_b64 s[10:11], -1
	s_mov_b64 s[8:9], 0
	s_mov_b64 s[0:1], 0
                                        ; implicit-def: $vgpr14
	s_branch .LBB353_1541
.LBB353_1509:
	s_mov_b64 s[10:11], -1
	s_mov_b64 s[8:9], 0
	s_mov_b64 s[0:1], 0
                                        ; implicit-def: $vgpr14
	s_branch .LBB353_1524
.LBB353_1510:
	s_mov_b64 s[10:11], -1
	s_mov_b64 s[8:9], 0
	s_mov_b64 s[0:1], 0
                                        ; implicit-def: $vgpr14
	s_branch .LBB353_1519
.LBB353_1511:
	s_trap 2
	s_or_b64 s[2:3], s[2:3], exec
	s_cbranch_execz .LBB353_1450
	s_branch .LBB353_1451
.LBB353_1512:
	s_mov_b64 s[10:11], -1
	s_mov_b64 s[8:9], 0
	s_mov_b64 s[0:1], 0
                                        ; implicit-def: $vgpr14
	s_branch .LBB353_1514
.LBB353_1513:
	s_mov_b64 s[0:1], -1
                                        ; implicit-def: $vgpr14
	s_mov_b64 s[8:9], 0
.LBB353_1514:
	s_and_b64 vcc, exec, s[10:11]
	s_cbranch_vccz .LBB353_1518
; %bb.1515:
	s_cmp_eq_u32 s12, 44
	s_cbranch_scc0 .LBB353_1517
; %bb.1516:
	global_load_ubyte v1, v[16:17], off
	s_mov_b32 s0, 0x2f800000
	s_mov_b32 s1, 0xcf800000
	s_mov_b64 s[8:9], -1
	s_waitcnt vmcnt(0)
	v_lshlrev_b32_e32 v3, 23, v1
	v_trunc_f32_e32 v3, v3
	v_mul_f32_e64 v5, |v3|, s0
	v_floor_f32_e32 v5, v5
	v_fma_f32 v5, v5, s1, |v3|
	v_cvt_u32_f32_e32 v5, v5
	v_ashrrev_i32_e32 v3, 31, v3
	v_cmp_ne_u32_e32 vcc, 0, v1
	s_mov_b64 s[0:1], 0
	v_xor_b32_e32 v5, v5, v3
	v_sub_u32_e32 v3, v5, v3
	v_cndmask_b32_e32 v14, 0, v3, vcc
	s_branch .LBB353_1518
.LBB353_1517:
	s_mov_b64 s[0:1], -1
                                        ; implicit-def: $vgpr14
.LBB353_1518:
	s_mov_b64 s[10:11], 0
.LBB353_1519:
	s_and_b64 vcc, exec, s[10:11]
	s_cbranch_vccz .LBB353_1523
; %bb.1520:
	s_cmp_eq_u32 s12, 29
	s_cbranch_scc0 .LBB353_1522
; %bb.1521:
	global_load_dwordx2 v[14:15], v[16:17], off
	s_mov_b64 s[0:1], 0
	s_mov_b64 s[8:9], -1
	s_branch .LBB353_1523
.LBB353_1522:
	s_mov_b64 s[0:1], -1
                                        ; implicit-def: $vgpr14
.LBB353_1523:
	s_mov_b64 s[10:11], 0
.LBB353_1524:
	s_and_b64 vcc, exec, s[10:11]
	s_cbranch_vccz .LBB353_1540
; %bb.1525:
	s_cmp_lt_i32 s12, 27
	s_cbranch_scc1 .LBB353_1528
; %bb.1526:
	s_cmp_gt_i32 s12, 27
	s_cbranch_scc0 .LBB353_1529
; %bb.1527:
	global_load_dword v14, v[16:17], off
	s_mov_b64 s[8:9], 0
	s_branch .LBB353_1530
.LBB353_1528:
	s_mov_b64 s[8:9], -1
                                        ; implicit-def: $vgpr14
	s_branch .LBB353_1533
.LBB353_1529:
	s_mov_b64 s[8:9], -1
                                        ; implicit-def: $vgpr14
.LBB353_1530:
	s_andn2_b64 vcc, exec, s[8:9]
	s_cbranch_vccnz .LBB353_1532
; %bb.1531:
	global_load_ushort v14, v[16:17], off
.LBB353_1532:
	s_mov_b64 s[8:9], 0
.LBB353_1533:
	s_andn2_b64 vcc, exec, s[8:9]
	s_cbranch_vccnz .LBB353_1539
; %bb.1534:
	global_load_ubyte v1, v[16:17], off
	s_movk_i32 s8, 0x7f
	s_mov_b64 s[10:11], 0
	s_waitcnt vmcnt(0)
	v_cmp_lt_i16_e32 vcc, s8, v1
	s_and_saveexec_b64 s[8:9], vcc
	s_xor_b64 s[8:9], exec, s[8:9]
	s_cbranch_execz .LBB353_1551
; %bb.1535:
	s_movk_i32 s10, 0x80
	v_cmp_ne_u16_e32 vcc, s10, v1
	s_and_b64 s[10:11], vcc, exec
	s_andn2_saveexec_b64 s[8:9], s[8:9]
	s_cbranch_execnz .LBB353_1552
.LBB353_1536:
	s_or_b64 exec, exec, s[8:9]
	v_mov_b32_e32 v14, 0
	s_and_saveexec_b64 s[8:9], s[10:11]
	s_cbranch_execz .LBB353_1538
.LBB353_1537:
	v_lshlrev_b32_e32 v3, 24, v1
	v_and_b32_e32 v1, 0xffff, v1
	v_and_b32_e32 v5, 7, v1
	v_ffbh_u32_e32 v9, v5
	v_min_u32_e32 v9, 32, v9
	v_subrev_u32_e32 v11, 28, v9
	v_bfe_u32 v7, v1, 3, 4
	v_lshlrev_b32_e32 v1, v11, v1
	v_sub_u32_e32 v9, 29, v9
	v_and_b32_e32 v1, 7, v1
	v_cmp_eq_u32_e32 vcc, 0, v7
	v_and_b32_e32 v3, 0x80000000, v3
	s_mov_b32 s10, 0x2f800000
	v_cndmask_b32_e32 v7, v7, v9, vcc
	v_cndmask_b32_e32 v1, v5, v1, vcc
	v_mov_b32_e32 v5, 0x3b800000
	v_lshlrev_b32_e32 v1, 20, v1
	v_lshl_add_u32 v5, v7, 23, v5
	v_or3_b32 v1, v3, v5, v1
	v_trunc_f32_e32 v1, v1
	v_mul_f32_e64 v3, |v1|, s10
	v_floor_f32_e32 v3, v3
	s_mov_b32 s10, 0xcf800000
	v_fma_f32 v3, v3, s10, |v1|
	v_cvt_u32_f32_e32 v3, v3
	v_ashrrev_i32_e32 v1, 31, v1
	v_xor_b32_e32 v3, v3, v1
	v_sub_u32_e32 v14, v3, v1
.LBB353_1538:
	s_or_b64 exec, exec, s[8:9]
.LBB353_1539:
	s_mov_b64 s[8:9], -1
.LBB353_1540:
	s_mov_b64 s[10:11], 0
.LBB353_1541:
	s_and_b64 vcc, exec, s[10:11]
	s_cbranch_vccz .LBB353_1572
; %bb.1542:
	s_cmp_gt_i32 s12, 22
	s_cbranch_scc0 .LBB353_1550
; %bb.1543:
	s_cmp_lt_i32 s12, 24
	s_cbranch_scc1 .LBB353_1553
; %bb.1544:
	s_cmp_gt_i32 s12, 24
	s_cbranch_scc0 .LBB353_1554
; %bb.1545:
	global_load_ubyte v1, v[16:17], off
	s_movk_i32 s6, 0x7f
	s_mov_b64 s[8:9], 0
	s_waitcnt vmcnt(0)
	v_cmp_lt_i16_e32 vcc, s6, v1
	s_and_saveexec_b64 s[6:7], vcc
	s_xor_b64 s[6:7], exec, s[6:7]
	s_cbranch_execz .LBB353_1566
; %bb.1546:
	s_movk_i32 s8, 0x80
	v_cmp_ne_u16_e32 vcc, s8, v1
	s_and_b64 s[8:9], vcc, exec
	s_andn2_saveexec_b64 s[6:7], s[6:7]
	s_cbranch_execnz .LBB353_1567
.LBB353_1547:
	s_or_b64 exec, exec, s[6:7]
	v_mov_b32_e32 v14, 0
	s_and_saveexec_b64 s[6:7], s[8:9]
	s_cbranch_execz .LBB353_1549
.LBB353_1548:
	v_lshlrev_b32_e32 v3, 24, v1
	v_and_b32_e32 v1, 0xffff, v1
	v_and_b32_e32 v5, 3, v1
	v_ffbh_u32_e32 v9, v5
	v_min_u32_e32 v9, 32, v9
	v_subrev_u32_e32 v11, 29, v9
	v_bfe_u32 v7, v1, 2, 5
	v_lshlrev_b32_e32 v1, v11, v1
	v_sub_u32_e32 v9, 30, v9
	v_and_b32_e32 v1, 3, v1
	v_cmp_eq_u32_e32 vcc, 0, v7
	v_and_b32_e32 v3, 0x80000000, v3
	s_mov_b32 s8, 0x2f800000
	v_cndmask_b32_e32 v7, v7, v9, vcc
	v_cndmask_b32_e32 v1, v5, v1, vcc
	v_mov_b32_e32 v5, 0x37800000
	v_lshlrev_b32_e32 v1, 21, v1
	v_lshl_add_u32 v5, v7, 23, v5
	v_or3_b32 v1, v3, v5, v1
	v_trunc_f32_e32 v1, v1
	v_mul_f32_e64 v3, |v1|, s8
	v_floor_f32_e32 v3, v3
	s_mov_b32 s8, 0xcf800000
	v_fma_f32 v3, v3, s8, |v1|
	v_cvt_u32_f32_e32 v3, v3
	v_ashrrev_i32_e32 v1, 31, v1
	v_xor_b32_e32 v3, v3, v1
	v_sub_u32_e32 v14, v3, v1
.LBB353_1549:
	s_or_b64 exec, exec, s[6:7]
	s_mov_b64 s[6:7], 0
	s_branch .LBB353_1555
.LBB353_1550:
	s_mov_b64 s[6:7], -1
                                        ; implicit-def: $vgpr14
	s_branch .LBB353_1561
.LBB353_1551:
	s_andn2_saveexec_b64 s[8:9], s[8:9]
	s_cbranch_execz .LBB353_1536
.LBB353_1552:
	v_cmp_ne_u16_e32 vcc, 0, v1
	s_andn2_b64 s[10:11], s[10:11], exec
	s_and_b64 s[16:17], vcc, exec
	s_or_b64 s[10:11], s[10:11], s[16:17]
	s_or_b64 exec, exec, s[8:9]
	v_mov_b32_e32 v14, 0
	s_and_saveexec_b64 s[8:9], s[10:11]
	s_cbranch_execnz .LBB353_1537
	s_branch .LBB353_1538
.LBB353_1553:
	s_mov_b64 s[6:7], -1
                                        ; implicit-def: $vgpr14
	s_branch .LBB353_1558
.LBB353_1554:
	s_mov_b64 s[6:7], -1
                                        ; implicit-def: $vgpr14
.LBB353_1555:
	s_and_b64 vcc, exec, s[6:7]
	s_cbranch_vccz .LBB353_1557
; %bb.1556:
	global_load_ubyte v1, v[16:17], off
	s_mov_b32 s6, 0x7f800000
	s_brev_b32 s7, 1
	s_mov_b32 s8, 0x2f800000
	s_waitcnt vmcnt(0)
	v_lshlrev_b32_e32 v1, 24, v1
	v_and_b32_e32 v3, 0x7f000000, v1
	v_ffbh_u32_e32 v5, v3
	v_min_u32_e32 v5, 32, v5
	v_sub_u32_e64 v5, v5, 4 clamp
	v_lshlrev_b32_e32 v9, v5, v3
	v_lshlrev_b32_e32 v5, 23, v5
	v_lshrrev_b32_e32 v9, 4, v9
	v_add_u32_e32 v7, 0x1000000, v3
	v_sub_u32_e32 v5, v9, v5
	v_ashrrev_i32_e32 v7, 8, v7
	v_add_u32_e32 v5, 0x3c000000, v5
	v_and_or_b32 v5, v7, s6, v5
	v_cmp_ne_u32_e32 vcc, 0, v3
	s_mov_b32 s6, 0xcf800000
	s_nop 0
	v_cndmask_b32_e32 v3, 0, v5, vcc
	v_and_or_b32 v1, v1, s7, v3
	v_trunc_f32_e32 v1, v1
	v_mul_f32_e64 v3, |v1|, s8
	v_floor_f32_e32 v3, v3
	v_fma_f32 v3, v3, s6, |v1|
	v_cvt_u32_f32_e32 v3, v3
	v_ashrrev_i32_e32 v1, 31, v1
	v_xor_b32_e32 v3, v3, v1
	v_sub_u32_e32 v14, v3, v1
.LBB353_1557:
	s_mov_b64 s[6:7], 0
.LBB353_1558:
	s_andn2_b64 vcc, exec, s[6:7]
	s_cbranch_vccnz .LBB353_1560
; %bb.1559:
	global_load_ubyte v1, v[16:17], off
	s_movk_i32 s6, 0x7f00
	s_brev_b32 s7, 16
	s_brev_b32 s8, 1
	s_mov_b32 s9, 0x2f800000
	s_waitcnt vmcnt(0)
	v_lshlrev_b16_e32 v3, 8, v1
	v_lshlrev_b32_e32 v1, 25, v1
	v_lshrrev_b32_e32 v5, 4, v1
	v_and_or_b32 v7, v3, s6, 0.5
	v_or_b32_e32 v5, 0x70000000, v5
	v_add_f32_e32 v7, -0.5, v7
	v_mul_f32_e32 v5, 0x7800000, v5
	v_cmp_gt_u32_e32 vcc, s7, v1
	v_bfe_i32 v3, v3, 0, 16
	s_mov_b32 s6, 0xcf800000
	v_cndmask_b32_e32 v1, v5, v7, vcc
	v_and_or_b32 v1, v3, s8, v1
	v_trunc_f32_e32 v1, v1
	v_mul_f32_e64 v3, |v1|, s9
	v_floor_f32_e32 v3, v3
	v_fma_f32 v3, v3, s6, |v1|
	v_cvt_u32_f32_e32 v3, v3
	v_ashrrev_i32_e32 v1, 31, v1
	v_xor_b32_e32 v3, v3, v1
	v_sub_u32_e32 v14, v3, v1
.LBB353_1560:
	s_mov_b64 s[6:7], 0
	s_mov_b64 s[8:9], -1
.LBB353_1561:
	s_andn2_b64 vcc, exec, s[6:7]
	s_mov_b64 s[6:7], 0
	s_cbranch_vccnz .LBB353_1572
; %bb.1562:
	s_cmp_gt_i32 s12, 14
	s_cbranch_scc0 .LBB353_1565
; %bb.1563:
	s_cmp_eq_u32 s12, 15
	s_cbranch_scc0 .LBB353_1568
; %bb.1564:
	global_load_ushort v1, v[16:17], off
	s_mov_b32 s0, 0x2f800000
	s_mov_b32 s1, 0xcf800000
	s_mov_b64 s[8:9], -1
	s_waitcnt vmcnt(0)
	v_lshlrev_b32_e32 v1, 16, v1
	v_trunc_f32_e32 v1, v1
	v_mul_f32_e64 v3, |v1|, s0
	v_floor_f32_e32 v3, v3
	v_fma_f32 v3, v3, s1, |v1|
	v_cvt_u32_f32_e32 v3, v3
	v_ashrrev_i32_e32 v1, 31, v1
	s_mov_b64 s[0:1], 0
	v_xor_b32_e32 v3, v3, v1
	v_sub_u32_e32 v14, v3, v1
	s_branch .LBB353_1569
.LBB353_1565:
	s_mov_b64 s[10:11], -1
                                        ; implicit-def: $vgpr14
	s_branch .LBB353_1570
.LBB353_1566:
	s_andn2_saveexec_b64 s[6:7], s[6:7]
	s_cbranch_execz .LBB353_1547
.LBB353_1567:
	v_cmp_ne_u16_e32 vcc, 0, v1
	s_andn2_b64 s[8:9], s[8:9], exec
	s_and_b64 s[10:11], vcc, exec
	s_or_b64 s[8:9], s[8:9], s[10:11]
	s_or_b64 exec, exec, s[6:7]
	v_mov_b32_e32 v14, 0
	s_and_saveexec_b64 s[6:7], s[8:9]
	s_cbranch_execnz .LBB353_1548
	s_branch .LBB353_1549
.LBB353_1568:
	s_mov_b64 s[0:1], -1
                                        ; implicit-def: $vgpr14
.LBB353_1569:
	s_mov_b64 s[10:11], 0
.LBB353_1570:
	s_and_b64 vcc, exec, s[10:11]
	s_cbranch_vccz .LBB353_1572
; %bb.1571:
	s_cmp_lg_u32 s12, 11
	s_mov_b64 s[6:7], -1
	s_cselect_b64 s[0:1], -1, 0
.LBB353_1572:
	s_and_b64 vcc, exec, s[0:1]
	s_cbranch_vccnz .LBB353_2105
; %bb.1573:
	s_andn2_b64 vcc, exec, s[6:7]
	s_cbranch_vccnz .LBB353_1575
.LBB353_1574:
	global_load_ubyte v1, v[16:17], off
	s_mov_b64 s[8:9], -1
	s_waitcnt vmcnt(0)
	v_cmp_ne_u16_e32 vcc, 0, v1
	s_nop 1
	v_cndmask_b32_e64 v14, 0, 1, vcc
.LBB353_1575:
	s_mov_b64 s[0:1], 0
.LBB353_1576:
	s_and_b64 vcc, exec, s[0:1]
	s_cbranch_vccz .LBB353_1625
; %bb.1577:
	s_and_b32 s6, 0xffff, s15
	s_cmp_lt_i32 s6, 5
	s_cbranch_scc1 .LBB353_1582
; %bb.1578:
	s_cmp_lt_i32 s6, 8
	s_cbranch_scc1 .LBB353_1583
; %bb.1579:
	;; [unrolled: 3-line block ×3, first 2 shown]
	s_cmp_gt_i32 s6, 9
	s_cbranch_scc0 .LBB353_1585
; %bb.1581:
	global_load_dwordx2 v[14:15], v[16:17], off
	s_movk_i32 s0, 0xffe0
	s_waitcnt vmcnt(0)
	v_trunc_f64_e32 v[14:15], v[14:15]
	v_ldexp_f64 v[18:19], v[14:15], s0
	v_floor_f64_e32 v[18:19], v[18:19]
	v_fmac_f64_e32 v[14:15], 0xc1f00000, v[18:19]
	v_cvt_u32_f64_e32 v14, v[14:15]
	s_mov_b64 s[0:1], 0
	s_branch .LBB353_1586
.LBB353_1582:
	s_mov_b64 s[0:1], -1
                                        ; implicit-def: $vgpr14
	s_branch .LBB353_1604
.LBB353_1583:
	s_mov_b64 s[0:1], -1
                                        ; implicit-def: $vgpr14
	s_branch .LBB353_1592
.LBB353_1584:
	s_mov_b64 s[0:1], -1
                                        ; implicit-def: $vgpr14
	s_branch .LBB353_1589
.LBB353_1585:
	s_mov_b64 s[0:1], -1
                                        ; implicit-def: $vgpr14
.LBB353_1586:
	s_andn2_b64 vcc, exec, s[0:1]
	s_cbranch_vccnz .LBB353_1588
; %bb.1587:
	global_load_dword v1, v[16:17], off
	s_mov_b32 s0, 0x2f800000
	s_waitcnt vmcnt(0)
	v_trunc_f32_e32 v1, v1
	v_mul_f32_e64 v3, |v1|, s0
	v_floor_f32_e32 v3, v3
	s_mov_b32 s0, 0xcf800000
	v_fma_f32 v3, v3, s0, |v1|
	v_cvt_u32_f32_e32 v3, v3
	v_ashrrev_i32_e32 v1, 31, v1
	v_xor_b32_e32 v3, v3, v1
	v_sub_u32_e32 v14, v3, v1
.LBB353_1588:
	s_mov_b64 s[0:1], 0
.LBB353_1589:
	s_andn2_b64 vcc, exec, s[0:1]
	s_cbranch_vccnz .LBB353_1591
; %bb.1590:
	global_load_dword v1, v[16:17], off
	s_waitcnt vmcnt(0)
	v_cvt_f32_f16_e32 v1, v1
	v_cvt_i32_f32_e32 v14, v1
.LBB353_1591:
	s_mov_b64 s[0:1], 0
.LBB353_1592:
	s_andn2_b64 vcc, exec, s[0:1]
	s_cbranch_vccnz .LBB353_1603
; %bb.1593:
	s_cmp_lt_i32 s6, 6
	s_cbranch_scc1 .LBB353_1596
; %bb.1594:
	s_cmp_gt_i32 s6, 6
	s_cbranch_scc0 .LBB353_1597
; %bb.1595:
	global_load_dwordx2 v[14:15], v[16:17], off
	s_movk_i32 s0, 0xffe0
	s_waitcnt vmcnt(0)
	v_trunc_f64_e32 v[14:15], v[14:15]
	v_ldexp_f64 v[18:19], v[14:15], s0
	v_floor_f64_e32 v[18:19], v[18:19]
	v_fmac_f64_e32 v[14:15], 0xc1f00000, v[18:19]
	v_cvt_u32_f64_e32 v14, v[14:15]
	s_mov_b64 s[0:1], 0
	s_branch .LBB353_1598
.LBB353_1596:
	s_mov_b64 s[0:1], -1
                                        ; implicit-def: $vgpr14
	s_branch .LBB353_1601
.LBB353_1597:
	s_mov_b64 s[0:1], -1
                                        ; implicit-def: $vgpr14
.LBB353_1598:
	s_andn2_b64 vcc, exec, s[0:1]
	s_cbranch_vccnz .LBB353_1600
; %bb.1599:
	global_load_dword v1, v[16:17], off
	s_mov_b32 s0, 0x2f800000
	s_waitcnt vmcnt(0)
	v_trunc_f32_e32 v1, v1
	v_mul_f32_e64 v3, |v1|, s0
	v_floor_f32_e32 v3, v3
	s_mov_b32 s0, 0xcf800000
	v_fma_f32 v3, v3, s0, |v1|
	v_cvt_u32_f32_e32 v3, v3
	v_ashrrev_i32_e32 v1, 31, v1
	v_xor_b32_e32 v3, v3, v1
	v_sub_u32_e32 v14, v3, v1
.LBB353_1600:
	s_mov_b64 s[0:1], 0
.LBB353_1601:
	s_andn2_b64 vcc, exec, s[0:1]
	s_cbranch_vccnz .LBB353_1603
; %bb.1602:
	global_load_ushort v1, v[16:17], off
	s_waitcnt vmcnt(0)
	v_cvt_f32_f16_e32 v1, v1
	v_cvt_i32_f32_e32 v14, v1
.LBB353_1603:
	s_mov_b64 s[0:1], 0
.LBB353_1604:
	s_andn2_b64 vcc, exec, s[0:1]
	s_cbranch_vccnz .LBB353_1624
; %bb.1605:
	s_cmp_lt_i32 s6, 2
	s_cbranch_scc1 .LBB353_1609
; %bb.1606:
	s_cmp_lt_i32 s6, 3
	s_cbranch_scc1 .LBB353_1610
; %bb.1607:
	s_cmp_gt_i32 s6, 3
	s_cbranch_scc0 .LBB353_1611
; %bb.1608:
	global_load_dwordx2 v[14:15], v[16:17], off
	s_mov_b64 s[0:1], 0
	s_branch .LBB353_1612
.LBB353_1609:
	s_mov_b64 s[0:1], -1
                                        ; implicit-def: $vgpr14
	s_branch .LBB353_1618
.LBB353_1610:
	s_mov_b64 s[0:1], -1
                                        ; implicit-def: $vgpr14
	s_branch .LBB353_1615
.LBB353_1611:
	s_mov_b64 s[0:1], -1
                                        ; implicit-def: $vgpr14
.LBB353_1612:
	s_andn2_b64 vcc, exec, s[0:1]
	s_cbranch_vccnz .LBB353_1614
; %bb.1613:
	global_load_dword v14, v[16:17], off
.LBB353_1614:
	s_mov_b64 s[0:1], 0
.LBB353_1615:
	s_andn2_b64 vcc, exec, s[0:1]
	s_cbranch_vccnz .LBB353_1617
; %bb.1616:
	global_load_ushort v14, v[16:17], off
.LBB353_1617:
	s_mov_b64 s[0:1], 0
.LBB353_1618:
	s_andn2_b64 vcc, exec, s[0:1]
	s_cbranch_vccnz .LBB353_1624
; %bb.1619:
	s_cmp_gt_i32 s6, 0
	s_cbranch_scc0 .LBB353_1621
; %bb.1620:
	global_load_ubyte v14, v[16:17], off
	s_mov_b64 s[0:1], 0
	s_branch .LBB353_1622
.LBB353_1621:
	s_mov_b64 s[0:1], -1
                                        ; implicit-def: $vgpr14
.LBB353_1622:
	s_andn2_b64 vcc, exec, s[0:1]
	s_cbranch_vccnz .LBB353_1624
; %bb.1623:
	global_load_ubyte v14, v[16:17], off
.LBB353_1624:
	s_mov_b64 s[8:9], -1
.LBB353_1625:
	s_andn2_b64 vcc, exec, s[8:9]
	s_cbranch_vccnz .LBB353_2059
; %bb.1626:
	s_load_dword s0, s[34:35], 0x158
	s_bfe_u32 s16, s14, 0x80008
	s_waitcnt vmcnt(0)
	v_mov_b32_e32 v7, 0
	v_lshl_add_u64 v[6:7], s[4:5], 0, v[6:7]
	s_waitcnt lgkmcnt(0)
	s_and_b32 s15, s0, 0xff
	v_max_u16_sdwa v8, v8, s15 dst_sel:DWORD dst_unused:UNUSED_PAD src0_sel:BYTE_0 src1_sel:DWORD
	s_cmp_lt_i32 s16, 11
	s_cbranch_scc1 .LBB353_1704
; %bb.1627:
	s_and_b32 s17, 0xffff, s16
	s_mov_b64 s[10:11], -1
	s_mov_b64 s[6:7], 0
	s_cmp_gt_i32 s17, 25
	s_mov_b64 s[8:9], 0
	s_mov_b64 s[0:1], 0
	s_cbranch_scc0 .LBB353_1660
; %bb.1628:
	s_cmp_gt_i32 s17, 28
	s_cbranch_scc0 .LBB353_1643
; %bb.1629:
	s_cmp_gt_i32 s17, 43
	;; [unrolled: 3-line block ×3, first 2 shown]
	s_cbranch_scc0 .LBB353_1633
; %bb.1631:
	s_mov_b64 s[0:1], -1
	s_mov_b64 s[10:11], 0
	s_cmp_eq_u32 s17, 46
	s_cbranch_scc0 .LBB353_1633
; %bb.1632:
	v_cvt_f32_ubyte0_e32 v1, v8
	v_bfe_u32 v3, v1, 16, 1
	s_movk_i32 s0, 0x7fff
	v_add3_u32 v1, v1, v3, s0
	v_lshrrev_b32_e32 v1, 16, v1
	global_store_dword v[6:7], v1, off
	s_mov_b64 s[0:1], 0
	s_mov_b64 s[8:9], -1
.LBB353_1633:
	s_and_b64 vcc, exec, s[10:11]
	s_cbranch_vccz .LBB353_1638
; %bb.1634:
	s_cmp_eq_u32 s17, 44
	s_mov_b64 s[0:1], -1
	s_cbranch_scc0 .LBB353_1638
; %bb.1635:
	v_cvt_f32_ubyte0_e32 v3, v8
	v_lshrrev_b32_e32 v1, 23, v3
	s_movk_i32 s0, 0xff
	v_cmp_ne_u32_e32 vcc, s0, v1
	v_mov_b32_e32 v5, 0xff
	s_and_saveexec_b64 s[8:9], vcc
; %bb.1636:
	s_mov_b32 s0, 0x3fffff
	v_and_b32_e32 v5, 0x400000, v3
	v_and_or_b32 v3, v3, s0, v1
	v_cmp_ne_u32_e32 vcc, 0, v5
	v_cmp_ne_u32_e64 s[0:1], 0, v3
	s_and_b64 s[0:1], vcc, s[0:1]
	s_nop 0
	v_cndmask_b32_e64 v3, 0, 1, s[0:1]
	v_add_u32_e32 v5, v1, v3
; %bb.1637:
	s_or_b64 exec, exec, s[8:9]
	s_mov_b64 s[0:1], 0
	s_mov_b64 s[8:9], -1
	global_store_byte v[6:7], v5, off
.LBB353_1638:
	s_mov_b64 s[10:11], 0
.LBB353_1639:
	s_and_b64 vcc, exec, s[10:11]
	s_cbranch_vccz .LBB353_1642
; %bb.1640:
	s_cmp_eq_u32 s17, 29
	s_mov_b64 s[0:1], -1
	s_cbranch_scc0 .LBB353_1642
; %bb.1641:
	s_mov_b32 s0, 0
	v_mov_b32_e32 v9, s0
	global_store_dwordx2 v[6:7], v[8:9], off
	s_mov_b64 s[0:1], 0
	s_mov_b64 s[8:9], -1
.LBB353_1642:
	s_mov_b64 s[10:11], 0
.LBB353_1643:
	s_and_b64 vcc, exec, s[10:11]
	s_cbranch_vccz .LBB353_1659
; %bb.1644:
	s_cmp_lt_i32 s17, 27
	s_mov_b64 s[8:9], -1
	s_cbranch_scc1 .LBB353_1650
; %bb.1645:
	s_cmp_gt_i32 s17, 27
	s_cbranch_scc0 .LBB353_1647
; %bb.1646:
	s_mov_b64 s[8:9], 0
	global_store_dword v[6:7], v8, off
.LBB353_1647:
	s_andn2_b64 vcc, exec, s[8:9]
	s_cbranch_vccnz .LBB353_1649
; %bb.1648:
	global_store_short v[6:7], v8, off
.LBB353_1649:
	s_mov_b64 s[8:9], 0
.LBB353_1650:
	s_andn2_b64 vcc, exec, s[8:9]
	s_cbranch_vccnz .LBB353_1658
; %bb.1651:
	v_cvt_f32_ubyte0_e32 v3, v8
	s_mov_b32 s8, 0x43800000
	v_cmp_gt_u32_e32 vcc, s8, v3
	v_mov_b32_e32 v5, 0x80
	s_and_saveexec_b64 s[8:9], vcc
	s_cbranch_execz .LBB353_1657
; %bb.1652:
	s_mov_b32 s10, 0x3bffffff
	v_cmp_lt_u32_e32 vcc, s10, v3
	s_mov_b64 s[10:11], 0
                                        ; implicit-def: $vgpr1
	s_and_saveexec_b64 s[12:13], vcc
	s_xor_b64 s[12:13], exec, s[12:13]
	s_cbranch_execz .LBB353_2106
; %bb.1653:
	v_bfe_u32 v1, v3, 20, 1
	s_mov_b32 s18, 0x487ffff
	v_add3_u32 v1, v3, v1, s18
	s_mov_b64 s[10:11], exec
	v_lshrrev_b32_e32 v1, 20, v1
                                        ; implicit-def: $vgpr3
	s_andn2_saveexec_b64 s[12:13], s[12:13]
	s_cbranch_execnz .LBB353_2107
.LBB353_1654:
	s_or_b64 exec, exec, s[12:13]
	v_mov_b32_e32 v5, 0
	s_and_saveexec_b64 s[12:13], s[10:11]
.LBB353_1655:
	v_mov_b32_e32 v5, v1
.LBB353_1656:
	s_or_b64 exec, exec, s[12:13]
.LBB353_1657:
	s_or_b64 exec, exec, s[8:9]
	global_store_byte v[6:7], v5, off
.LBB353_1658:
	s_mov_b64 s[8:9], -1
.LBB353_1659:
	s_mov_b64 s[10:11], 0
.LBB353_1660:
	s_and_b64 vcc, exec, s[10:11]
	s_cbranch_vccz .LBB353_1700
; %bb.1661:
	s_cmp_gt_i32 s17, 22
	s_mov_b64 s[6:7], -1
	s_cbranch_scc0 .LBB353_1693
; %bb.1662:
	s_cmp_lt_i32 s17, 24
	s_cbranch_scc1 .LBB353_1682
; %bb.1663:
	s_cmp_gt_i32 s17, 24
	s_cbranch_scc0 .LBB353_1671
; %bb.1664:
	v_cvt_f32_ubyte0_e32 v3, v8
	s_mov_b32 s6, 0x47800000
	v_cmp_gt_u32_e32 vcc, s6, v3
	v_mov_b32_e32 v5, 0x80
	s_and_saveexec_b64 s[6:7], vcc
	s_cbranch_execz .LBB353_1670
; %bb.1665:
	s_mov_b32 s8, 0x37ffffff
	v_cmp_lt_u32_e32 vcc, s8, v3
	s_mov_b64 s[8:9], 0
                                        ; implicit-def: $vgpr1
	s_and_saveexec_b64 s[10:11], vcc
	s_xor_b64 s[10:11], exec, s[10:11]
	s_cbranch_execz .LBB353_2109
; %bb.1666:
	v_bfe_u32 v1, v3, 21, 1
	s_mov_b32 s12, 0x88fffff
	v_add3_u32 v1, v3, v1, s12
	s_mov_b64 s[8:9], exec
	v_lshrrev_b32_e32 v1, 21, v1
                                        ; implicit-def: $vgpr3
	s_andn2_saveexec_b64 s[10:11], s[10:11]
	s_cbranch_execnz .LBB353_2110
.LBB353_1667:
	s_or_b64 exec, exec, s[10:11]
	v_mov_b32_e32 v5, 0
	s_and_saveexec_b64 s[10:11], s[8:9]
.LBB353_1668:
	v_mov_b32_e32 v5, v1
.LBB353_1669:
	s_or_b64 exec, exec, s[10:11]
.LBB353_1670:
	s_or_b64 exec, exec, s[6:7]
	s_mov_b64 s[6:7], 0
	global_store_byte v[6:7], v5, off
.LBB353_1671:
	s_and_b64 vcc, exec, s[6:7]
	s_cbranch_vccz .LBB353_1681
; %bb.1672:
	v_cvt_f32_ubyte0_e32 v1, v8
	s_mov_b32 s6, 0x43f00000
	v_cmp_gt_u32_e32 vcc, s6, v1
                                        ; implicit-def: $vgpr3
	s_and_saveexec_b64 s[6:7], vcc
	s_xor_b64 s[6:7], exec, s[6:7]
	s_cbranch_execz .LBB353_1678
; %bb.1673:
	s_mov_b32 s8, 0x3c7fffff
	v_cmp_lt_u32_e32 vcc, s8, v1
                                        ; implicit-def: $vgpr3
	s_and_saveexec_b64 s[8:9], vcc
	s_xor_b64 s[8:9], exec, s[8:9]
; %bb.1674:
	v_bfe_u32 v3, v1, 20, 1
	s_mov_b32 s10, 0x407ffff
	v_add3_u32 v1, v1, v3, s10
	v_lshrrev_b32_e32 v3, 20, v1
	v_and_b32_e32 v1, 0xff00000, v1
	s_mov_b32 s10, 0x7f00000
	v_mov_b32_e32 v5, 0x7e
	v_cmp_ne_u32_e32 vcc, s10, v1
                                        ; implicit-def: $vgpr1
	s_nop 1
	v_cndmask_b32_e32 v3, v5, v3, vcc
; %bb.1675:
	s_andn2_saveexec_b64 s[8:9], s[8:9]
; %bb.1676:
	v_add_f32_e32 v3, 0x46800000, v1
; %bb.1677:
	s_or_b64 exec, exec, s[8:9]
                                        ; implicit-def: $vgpr1
.LBB353_1678:
	s_andn2_saveexec_b64 s[6:7], s[6:7]
; %bb.1679:
	s_mov_b32 s8, 0x7f800000
	v_mov_b32_e32 v3, 0x7e
	v_mov_b32_e32 v5, 0x7f
	v_cmp_lt_u32_e32 vcc, s8, v1
	s_nop 1
	v_cndmask_b32_e32 v3, v3, v5, vcc
; %bb.1680:
	s_or_b64 exec, exec, s[6:7]
	global_store_byte v[6:7], v3, off
.LBB353_1681:
	s_mov_b64 s[6:7], 0
.LBB353_1682:
	s_andn2_b64 vcc, exec, s[6:7]
	s_cbranch_vccnz .LBB353_1692
; %bb.1683:
	v_cvt_f32_ubyte0_e32 v1, v8
	s_mov_b32 s6, 0x47800000
	v_cmp_gt_u32_e32 vcc, s6, v1
                                        ; implicit-def: $vgpr3
	s_and_saveexec_b64 s[6:7], vcc
	s_xor_b64 s[6:7], exec, s[6:7]
	s_cbranch_execz .LBB353_1689
; %bb.1684:
	s_mov_b32 s8, 0x387fffff
	v_cmp_lt_u32_e32 vcc, s8, v1
                                        ; implicit-def: $vgpr3
	s_and_saveexec_b64 s[8:9], vcc
	s_xor_b64 s[8:9], exec, s[8:9]
; %bb.1685:
	v_bfe_u32 v3, v1, 21, 1
	s_mov_b32 s10, 0x80fffff
	v_add3_u32 v1, v1, v3, s10
	v_lshrrev_b32_e32 v3, 21, v1
                                        ; implicit-def: $vgpr1
; %bb.1686:
	s_andn2_saveexec_b64 s[8:9], s[8:9]
; %bb.1687:
	v_add_f32_e32 v3, 0x43000000, v1
; %bb.1688:
	s_or_b64 exec, exec, s[8:9]
                                        ; implicit-def: $vgpr1
.LBB353_1689:
	s_andn2_saveexec_b64 s[6:7], s[6:7]
; %bb.1690:
	s_mov_b32 s8, 0x7f800000
	v_mov_b32_e32 v3, 0x7c
	v_mov_b32_e32 v5, 0x7f
	v_cmp_lt_u32_e32 vcc, s8, v1
	s_nop 1
	v_cndmask_b32_e32 v3, v3, v5, vcc
; %bb.1691:
	s_or_b64 exec, exec, s[6:7]
	global_store_byte v[6:7], v3, off
.LBB353_1692:
	s_mov_b64 s[6:7], 0
	s_mov_b64 s[8:9], -1
.LBB353_1693:
	s_andn2_b64 vcc, exec, s[6:7]
	s_mov_b64 s[6:7], 0
	s_cbranch_vccnz .LBB353_1700
; %bb.1694:
	s_cmp_gt_i32 s17, 14
	s_mov_b64 s[10:11], -1
	s_cbranch_scc0 .LBB353_1698
; %bb.1695:
	s_cmp_eq_u32 s17, 15
	s_mov_b64 s[0:1], -1
	s_cbranch_scc0 .LBB353_1697
; %bb.1696:
	v_cvt_f32_ubyte0_e32 v1, v8
	v_bfe_u32 v3, v1, 16, 1
	s_movk_i32 s0, 0x7fff
	v_add3_u32 v1, v1, v3, s0
	global_store_short_d16_hi v[6:7], v1, off
	s_mov_b64 s[0:1], 0
	s_mov_b64 s[8:9], -1
.LBB353_1697:
	s_mov_b64 s[10:11], 0
.LBB353_1698:
	s_and_b64 vcc, exec, s[10:11]
	s_cbranch_vccz .LBB353_1700
; %bb.1699:
	s_cmp_lg_u32 s17, 11
	s_mov_b64 s[6:7], -1
	s_cselect_b64 s[0:1], -1, 0
.LBB353_1700:
	s_and_b64 vcc, exec, s[0:1]
	s_cbranch_vccnz .LBB353_2108
; %bb.1701:
	s_andn2_b64 vcc, exec, s[6:7]
	s_cbranch_vccnz .LBB353_1703
.LBB353_1702:
	v_cmp_ne_u16_e32 vcc, 0, v8
	s_mov_b64 s[8:9], -1
	s_nop 0
	v_cndmask_b32_e64 v1, 0, 1, vcc
	global_store_byte v[6:7], v1, off
.LBB353_1703:
	s_mov_b64 s[0:1], 0
	s_branch .LBB353_1705
.LBB353_1704:
	s_mov_b64 s[0:1], -1
	s_mov_b64 s[8:9], 0
.LBB353_1705:
	s_and_b64 vcc, exec, s[0:1]
	s_cbranch_vccz .LBB353_1744
; %bb.1706:
	s_and_b32 s6, 0xffff, s16
	s_cmp_lt_i32 s6, 5
	s_mov_b64 s[0:1], -1
	s_cbranch_scc1 .LBB353_1727
; %bb.1707:
	s_cmp_lt_i32 s6, 8
	s_cbranch_scc1 .LBB353_1717
; %bb.1708:
	s_cmp_lt_i32 s6, 9
	s_cbranch_scc1 .LBB353_1714
; %bb.1709:
	s_cmp_gt_i32 s6, 9
	s_cbranch_scc0 .LBB353_1711
; %bb.1710:
	v_mov_b32_e32 v18, 0
	v_cvt_f64_u32_e32 v[16:17], v8
	v_mov_b32_e32 v19, v18
	global_store_dwordx4 v[6:7], v[16:19], off
	s_mov_b64 s[0:1], 0
.LBB353_1711:
	s_andn2_b64 vcc, exec, s[0:1]
	s_cbranch_vccnz .LBB353_1713
; %bb.1712:
	v_cvt_f32_ubyte0_e32 v16, v8
	v_mov_b32_e32 v17, 0
	global_store_dwordx2 v[6:7], v[16:17], off
.LBB353_1713:
	s_mov_b64 s[0:1], 0
.LBB353_1714:
	s_andn2_b64 vcc, exec, s[0:1]
	s_cbranch_vccnz .LBB353_1716
; %bb.1715:
	v_cvt_f16_u16_e32 v1, v8
	global_store_dword v[6:7], v1, off
.LBB353_1716:
	s_mov_b64 s[0:1], 0
.LBB353_1717:
	s_andn2_b64 vcc, exec, s[0:1]
	s_cbranch_vccnz .LBB353_1726
; %bb.1718:
	s_cmp_lt_i32 s6, 6
	s_mov_b64 s[0:1], -1
	s_cbranch_scc1 .LBB353_1724
; %bb.1719:
	s_cmp_gt_i32 s6, 6
	s_cbranch_scc0 .LBB353_1721
; %bb.1720:
	v_cvt_f64_u32_e32 v[16:17], v8
	global_store_dwordx2 v[6:7], v[16:17], off
	s_mov_b64 s[0:1], 0
.LBB353_1721:
	s_andn2_b64 vcc, exec, s[0:1]
	s_cbranch_vccnz .LBB353_1723
; %bb.1722:
	v_cvt_f32_ubyte0_e32 v1, v8
	global_store_dword v[6:7], v1, off
.LBB353_1723:
	s_mov_b64 s[0:1], 0
.LBB353_1724:
	s_andn2_b64 vcc, exec, s[0:1]
	s_cbranch_vccnz .LBB353_1726
; %bb.1725:
	v_cvt_f16_u16_e32 v1, v8
	global_store_short v[6:7], v1, off
.LBB353_1726:
	s_mov_b64 s[0:1], 0
.LBB353_1727:
	s_andn2_b64 vcc, exec, s[0:1]
	s_cbranch_vccnz .LBB353_1743
; %bb.1728:
	s_cmp_lt_i32 s6, 2
	s_mov_b64 s[0:1], -1
	s_cbranch_scc1 .LBB353_1738
; %bb.1729:
	s_cmp_lt_i32 s6, 3
	s_cbranch_scc1 .LBB353_1735
; %bb.1730:
	s_cmp_gt_i32 s6, 3
	s_cbranch_scc0 .LBB353_1732
; %bb.1731:
	s_mov_b32 s0, 0
	v_mov_b32_e32 v9, s0
	global_store_dwordx2 v[6:7], v[8:9], off
	s_mov_b64 s[0:1], 0
.LBB353_1732:
	s_andn2_b64 vcc, exec, s[0:1]
	s_cbranch_vccnz .LBB353_1734
; %bb.1733:
	global_store_dword v[6:7], v8, off
.LBB353_1734:
	s_mov_b64 s[0:1], 0
.LBB353_1735:
	s_andn2_b64 vcc, exec, s[0:1]
	s_cbranch_vccnz .LBB353_1737
; %bb.1736:
	global_store_short v[6:7], v8, off
.LBB353_1737:
	s_mov_b64 s[0:1], 0
.LBB353_1738:
	s_andn2_b64 vcc, exec, s[0:1]
	s_cbranch_vccnz .LBB353_1743
; %bb.1739:
	s_cmp_gt_i32 s6, 0
	s_mov_b64 s[0:1], -1
	s_cbranch_scc0 .LBB353_1741
; %bb.1740:
	global_store_byte v[6:7], v8, off
	s_mov_b64 s[0:1], 0
.LBB353_1741:
	s_andn2_b64 vcc, exec, s[0:1]
	s_cbranch_vccnz .LBB353_1743
; %bb.1742:
	global_store_byte v[6:7], v8, off
.LBB353_1743:
	s_mov_b64 s[8:9], -1
.LBB353_1744:
	s_andn2_b64 vcc, exec, s[8:9]
	s_cbranch_vccnz .LBB353_2059
; %bb.1745:
	s_lshr_b32 s0, s14, 8
	s_and_b32 s14, s0, 0xff
	v_mov_b32_e32 v5, 0
	v_max_u16_sdwa v6, v10, s15 dst_sel:DWORD dst_unused:UNUSED_PAD src0_sel:BYTE_0 src1_sel:DWORD
	s_cmp_lt_i32 s14, 11
	v_lshl_add_u64 v[4:5], s[4:5], 0, v[4:5]
	s_cbranch_scc1 .LBB353_1823
; %bb.1746:
	s_and_b32 s16, 0xffff, s14
	s_mov_b64 s[10:11], -1
	s_mov_b64 s[6:7], 0
	s_cmp_gt_i32 s16, 25
	s_mov_b64 s[8:9], 0
	s_mov_b64 s[0:1], 0
	s_cbranch_scc0 .LBB353_1779
; %bb.1747:
	s_cmp_gt_i32 s16, 28
	s_cbranch_scc0 .LBB353_1762
; %bb.1748:
	s_cmp_gt_i32 s16, 43
	;; [unrolled: 3-line block ×3, first 2 shown]
	s_cbranch_scc0 .LBB353_1752
; %bb.1750:
	s_mov_b64 s[0:1], -1
	s_mov_b64 s[10:11], 0
	s_cmp_eq_u32 s16, 46
	s_cbranch_scc0 .LBB353_1752
; %bb.1751:
	v_cvt_f32_ubyte0_e32 v1, v6
	v_bfe_u32 v3, v1, 16, 1
	s_movk_i32 s0, 0x7fff
	v_add3_u32 v1, v1, v3, s0
	v_lshrrev_b32_e32 v1, 16, v1
	global_store_dword v[4:5], v1, off
	s_mov_b64 s[0:1], 0
	s_mov_b64 s[8:9], -1
.LBB353_1752:
	s_and_b64 vcc, exec, s[10:11]
	s_cbranch_vccz .LBB353_1757
; %bb.1753:
	s_cmp_eq_u32 s16, 44
	s_mov_b64 s[0:1], -1
	s_cbranch_scc0 .LBB353_1757
; %bb.1754:
	v_cvt_f32_ubyte0_e32 v3, v6
	v_lshrrev_b32_e32 v1, 23, v3
	s_movk_i32 s0, 0xff
	v_cmp_ne_u32_e32 vcc, s0, v1
	v_mov_b32_e32 v7, 0xff
	s_and_saveexec_b64 s[8:9], vcc
; %bb.1755:
	s_mov_b32 s0, 0x3fffff
	v_and_b32_e32 v7, 0x400000, v3
	v_and_or_b32 v3, v3, s0, v1
	v_cmp_ne_u32_e32 vcc, 0, v7
	v_cmp_ne_u32_e64 s[0:1], 0, v3
	s_and_b64 s[0:1], vcc, s[0:1]
	s_nop 0
	v_cndmask_b32_e64 v3, 0, 1, s[0:1]
	v_add_u32_e32 v7, v1, v3
; %bb.1756:
	s_or_b64 exec, exec, s[8:9]
	s_mov_b64 s[0:1], 0
	s_mov_b64 s[8:9], -1
	global_store_byte v[4:5], v7, off
.LBB353_1757:
	s_mov_b64 s[10:11], 0
.LBB353_1758:
	s_and_b64 vcc, exec, s[10:11]
	s_cbranch_vccz .LBB353_1761
; %bb.1759:
	s_cmp_eq_u32 s16, 29
	s_mov_b64 s[0:1], -1
	s_cbranch_scc0 .LBB353_1761
; %bb.1760:
	s_mov_b32 s0, 0
	v_mov_b32_e32 v7, s0
	global_store_dwordx2 v[4:5], v[6:7], off
	s_mov_b64 s[0:1], 0
	s_mov_b64 s[8:9], -1
.LBB353_1761:
	s_mov_b64 s[10:11], 0
.LBB353_1762:
	s_and_b64 vcc, exec, s[10:11]
	s_cbranch_vccz .LBB353_1778
; %bb.1763:
	s_cmp_lt_i32 s16, 27
	s_mov_b64 s[8:9], -1
	s_cbranch_scc1 .LBB353_1769
; %bb.1764:
	s_cmp_gt_i32 s16, 27
	s_cbranch_scc0 .LBB353_1766
; %bb.1765:
	s_mov_b64 s[8:9], 0
	global_store_dword v[4:5], v6, off
.LBB353_1766:
	s_andn2_b64 vcc, exec, s[8:9]
	s_cbranch_vccnz .LBB353_1768
; %bb.1767:
	global_store_short v[4:5], v6, off
.LBB353_1768:
	s_mov_b64 s[8:9], 0
.LBB353_1769:
	s_andn2_b64 vcc, exec, s[8:9]
	s_cbranch_vccnz .LBB353_1777
; %bb.1770:
	v_cvt_f32_ubyte0_e32 v3, v6
	s_mov_b32 s8, 0x43800000
	v_cmp_gt_u32_e32 vcc, s8, v3
	v_mov_b32_e32 v7, 0x80
	s_and_saveexec_b64 s[8:9], vcc
	s_cbranch_execz .LBB353_1776
; %bb.1771:
	s_mov_b32 s10, 0x3bffffff
	v_cmp_lt_u32_e32 vcc, s10, v3
	s_mov_b64 s[10:11], 0
                                        ; implicit-def: $vgpr1
	s_and_saveexec_b64 s[12:13], vcc
	s_xor_b64 s[12:13], exec, s[12:13]
	s_cbranch_execz .LBB353_2111
; %bb.1772:
	v_bfe_u32 v1, v3, 20, 1
	s_mov_b32 s17, 0x487ffff
	v_add3_u32 v1, v3, v1, s17
	s_mov_b64 s[10:11], exec
	v_lshrrev_b32_e32 v1, 20, v1
                                        ; implicit-def: $vgpr3
	s_andn2_saveexec_b64 s[12:13], s[12:13]
	s_cbranch_execnz .LBB353_2112
.LBB353_1773:
	s_or_b64 exec, exec, s[12:13]
	v_mov_b32_e32 v7, 0
	s_and_saveexec_b64 s[12:13], s[10:11]
.LBB353_1774:
	v_mov_b32_e32 v7, v1
.LBB353_1775:
	s_or_b64 exec, exec, s[12:13]
.LBB353_1776:
	s_or_b64 exec, exec, s[8:9]
	global_store_byte v[4:5], v7, off
.LBB353_1777:
	s_mov_b64 s[8:9], -1
.LBB353_1778:
	s_mov_b64 s[10:11], 0
.LBB353_1779:
	s_and_b64 vcc, exec, s[10:11]
	s_cbranch_vccz .LBB353_1819
; %bb.1780:
	s_cmp_gt_i32 s16, 22
	s_mov_b64 s[6:7], -1
	s_cbranch_scc0 .LBB353_1812
; %bb.1781:
	s_cmp_lt_i32 s16, 24
	s_cbranch_scc1 .LBB353_1801
; %bb.1782:
	s_cmp_gt_i32 s16, 24
	s_cbranch_scc0 .LBB353_1790
; %bb.1783:
	v_cvt_f32_ubyte0_e32 v3, v6
	s_mov_b32 s6, 0x47800000
	v_cmp_gt_u32_e32 vcc, s6, v3
	v_mov_b32_e32 v7, 0x80
	s_and_saveexec_b64 s[6:7], vcc
	s_cbranch_execz .LBB353_1789
; %bb.1784:
	s_mov_b32 s8, 0x37ffffff
	v_cmp_lt_u32_e32 vcc, s8, v3
	s_mov_b64 s[8:9], 0
                                        ; implicit-def: $vgpr1
	s_and_saveexec_b64 s[10:11], vcc
	s_xor_b64 s[10:11], exec, s[10:11]
	s_cbranch_execz .LBB353_2114
; %bb.1785:
	v_bfe_u32 v1, v3, 21, 1
	s_mov_b32 s12, 0x88fffff
	v_add3_u32 v1, v3, v1, s12
	s_mov_b64 s[8:9], exec
	v_lshrrev_b32_e32 v1, 21, v1
                                        ; implicit-def: $vgpr3
	s_andn2_saveexec_b64 s[10:11], s[10:11]
	s_cbranch_execnz .LBB353_2115
.LBB353_1786:
	s_or_b64 exec, exec, s[10:11]
	v_mov_b32_e32 v7, 0
	s_and_saveexec_b64 s[10:11], s[8:9]
.LBB353_1787:
	v_mov_b32_e32 v7, v1
.LBB353_1788:
	s_or_b64 exec, exec, s[10:11]
.LBB353_1789:
	s_or_b64 exec, exec, s[6:7]
	s_mov_b64 s[6:7], 0
	global_store_byte v[4:5], v7, off
.LBB353_1790:
	s_and_b64 vcc, exec, s[6:7]
	s_cbranch_vccz .LBB353_1800
; %bb.1791:
	v_cvt_f32_ubyte0_e32 v1, v6
	s_mov_b32 s6, 0x43f00000
	v_cmp_gt_u32_e32 vcc, s6, v1
                                        ; implicit-def: $vgpr3
	s_and_saveexec_b64 s[6:7], vcc
	s_xor_b64 s[6:7], exec, s[6:7]
	s_cbranch_execz .LBB353_1797
; %bb.1792:
	s_mov_b32 s8, 0x3c7fffff
	v_cmp_lt_u32_e32 vcc, s8, v1
                                        ; implicit-def: $vgpr3
	s_and_saveexec_b64 s[8:9], vcc
	s_xor_b64 s[8:9], exec, s[8:9]
; %bb.1793:
	v_bfe_u32 v3, v1, 20, 1
	s_mov_b32 s10, 0x407ffff
	v_add3_u32 v1, v1, v3, s10
	v_lshrrev_b32_e32 v3, 20, v1
	v_and_b32_e32 v1, 0xff00000, v1
	s_mov_b32 s10, 0x7f00000
	v_mov_b32_e32 v7, 0x7e
	v_cmp_ne_u32_e32 vcc, s10, v1
                                        ; implicit-def: $vgpr1
	s_nop 1
	v_cndmask_b32_e32 v3, v7, v3, vcc
; %bb.1794:
	s_andn2_saveexec_b64 s[8:9], s[8:9]
; %bb.1795:
	v_add_f32_e32 v3, 0x46800000, v1
; %bb.1796:
	s_or_b64 exec, exec, s[8:9]
                                        ; implicit-def: $vgpr1
.LBB353_1797:
	s_andn2_saveexec_b64 s[6:7], s[6:7]
; %bb.1798:
	s_mov_b32 s8, 0x7f800000
	v_mov_b32_e32 v3, 0x7e
	v_mov_b32_e32 v7, 0x7f
	v_cmp_lt_u32_e32 vcc, s8, v1
	s_nop 1
	v_cndmask_b32_e32 v3, v3, v7, vcc
; %bb.1799:
	s_or_b64 exec, exec, s[6:7]
	global_store_byte v[4:5], v3, off
.LBB353_1800:
	s_mov_b64 s[6:7], 0
.LBB353_1801:
	s_andn2_b64 vcc, exec, s[6:7]
	s_cbranch_vccnz .LBB353_1811
; %bb.1802:
	v_cvt_f32_ubyte0_e32 v1, v6
	s_mov_b32 s6, 0x47800000
	v_cmp_gt_u32_e32 vcc, s6, v1
                                        ; implicit-def: $vgpr3
	s_and_saveexec_b64 s[6:7], vcc
	s_xor_b64 s[6:7], exec, s[6:7]
	s_cbranch_execz .LBB353_1808
; %bb.1803:
	s_mov_b32 s8, 0x387fffff
	v_cmp_lt_u32_e32 vcc, s8, v1
                                        ; implicit-def: $vgpr3
	s_and_saveexec_b64 s[8:9], vcc
	s_xor_b64 s[8:9], exec, s[8:9]
; %bb.1804:
	v_bfe_u32 v3, v1, 21, 1
	s_mov_b32 s10, 0x80fffff
	v_add3_u32 v1, v1, v3, s10
	v_lshrrev_b32_e32 v3, 21, v1
                                        ; implicit-def: $vgpr1
; %bb.1805:
	s_andn2_saveexec_b64 s[8:9], s[8:9]
; %bb.1806:
	v_add_f32_e32 v3, 0x43000000, v1
; %bb.1807:
	s_or_b64 exec, exec, s[8:9]
                                        ; implicit-def: $vgpr1
.LBB353_1808:
	s_andn2_saveexec_b64 s[6:7], s[6:7]
; %bb.1809:
	s_mov_b32 s8, 0x7f800000
	v_mov_b32_e32 v3, 0x7c
	v_mov_b32_e32 v7, 0x7f
	v_cmp_lt_u32_e32 vcc, s8, v1
	s_nop 1
	v_cndmask_b32_e32 v3, v3, v7, vcc
; %bb.1810:
	s_or_b64 exec, exec, s[6:7]
	global_store_byte v[4:5], v3, off
.LBB353_1811:
	s_mov_b64 s[6:7], 0
	s_mov_b64 s[8:9], -1
.LBB353_1812:
	s_andn2_b64 vcc, exec, s[6:7]
	s_mov_b64 s[6:7], 0
	s_cbranch_vccnz .LBB353_1819
; %bb.1813:
	s_cmp_gt_i32 s16, 14
	s_mov_b64 s[10:11], -1
	s_cbranch_scc0 .LBB353_1817
; %bb.1814:
	s_cmp_eq_u32 s16, 15
	s_mov_b64 s[0:1], -1
	s_cbranch_scc0 .LBB353_1816
; %bb.1815:
	v_cvt_f32_ubyte0_e32 v1, v6
	v_bfe_u32 v3, v1, 16, 1
	s_movk_i32 s0, 0x7fff
	v_add3_u32 v1, v1, v3, s0
	global_store_short_d16_hi v[4:5], v1, off
	s_mov_b64 s[0:1], 0
	s_mov_b64 s[8:9], -1
.LBB353_1816:
	s_mov_b64 s[10:11], 0
.LBB353_1817:
	s_and_b64 vcc, exec, s[10:11]
	s_cbranch_vccz .LBB353_1819
; %bb.1818:
	s_cmp_lg_u32 s16, 11
	s_mov_b64 s[6:7], -1
	s_cselect_b64 s[0:1], -1, 0
.LBB353_1819:
	s_and_b64 vcc, exec, s[0:1]
	s_cbranch_vccnz .LBB353_2113
; %bb.1820:
	s_andn2_b64 vcc, exec, s[6:7]
	s_cbranch_vccnz .LBB353_1822
.LBB353_1821:
	v_cmp_ne_u16_e32 vcc, 0, v6
	s_mov_b64 s[8:9], -1
	s_nop 0
	v_cndmask_b32_e64 v1, 0, 1, vcc
	global_store_byte v[4:5], v1, off
.LBB353_1822:
	s_mov_b64 s[0:1], 0
	s_branch .LBB353_1824
.LBB353_1823:
	s_mov_b64 s[0:1], -1
	s_mov_b64 s[8:9], 0
.LBB353_1824:
	s_and_b64 vcc, exec, s[0:1]
	s_cbranch_vccz .LBB353_1863
; %bb.1825:
	s_and_b32 s6, 0xffff, s14
	s_cmp_lt_i32 s6, 5
	s_mov_b64 s[0:1], -1
	s_cbranch_scc1 .LBB353_1846
; %bb.1826:
	s_cmp_lt_i32 s6, 8
	s_cbranch_scc1 .LBB353_1836
; %bb.1827:
	s_cmp_lt_i32 s6, 9
	s_cbranch_scc1 .LBB353_1833
; %bb.1828:
	s_cmp_gt_i32 s6, 9
	s_cbranch_scc0 .LBB353_1830
; %bb.1829:
	v_mov_b32_e32 v10, 0
	v_cvt_f64_u32_e32 v[8:9], v6
	v_mov_b32_e32 v11, v10
	global_store_dwordx4 v[4:5], v[8:11], off
	s_mov_b64 s[0:1], 0
.LBB353_1830:
	s_andn2_b64 vcc, exec, s[0:1]
	s_cbranch_vccnz .LBB353_1832
; %bb.1831:
	v_cvt_f32_ubyte0_e32 v8, v6
	v_mov_b32_e32 v9, 0
	global_store_dwordx2 v[4:5], v[8:9], off
.LBB353_1832:
	s_mov_b64 s[0:1], 0
.LBB353_1833:
	s_andn2_b64 vcc, exec, s[0:1]
	s_cbranch_vccnz .LBB353_1835
; %bb.1834:
	v_cvt_f16_u16_e32 v1, v6
	global_store_dword v[4:5], v1, off
.LBB353_1835:
	s_mov_b64 s[0:1], 0
.LBB353_1836:
	s_andn2_b64 vcc, exec, s[0:1]
	s_cbranch_vccnz .LBB353_1845
; %bb.1837:
	s_cmp_lt_i32 s6, 6
	s_mov_b64 s[0:1], -1
	s_cbranch_scc1 .LBB353_1843
; %bb.1838:
	s_cmp_gt_i32 s6, 6
	s_cbranch_scc0 .LBB353_1840
; %bb.1839:
	v_cvt_f64_u32_e32 v[8:9], v6
	global_store_dwordx2 v[4:5], v[8:9], off
	s_mov_b64 s[0:1], 0
.LBB353_1840:
	s_andn2_b64 vcc, exec, s[0:1]
	s_cbranch_vccnz .LBB353_1842
; %bb.1841:
	v_cvt_f32_ubyte0_e32 v1, v6
	global_store_dword v[4:5], v1, off
.LBB353_1842:
	s_mov_b64 s[0:1], 0
.LBB353_1843:
	s_andn2_b64 vcc, exec, s[0:1]
	s_cbranch_vccnz .LBB353_1845
; %bb.1844:
	v_cvt_f16_u16_e32 v1, v6
	global_store_short v[4:5], v1, off
.LBB353_1845:
	s_mov_b64 s[0:1], 0
.LBB353_1846:
	s_andn2_b64 vcc, exec, s[0:1]
	s_cbranch_vccnz .LBB353_1862
; %bb.1847:
	s_cmp_lt_i32 s6, 2
	s_mov_b64 s[0:1], -1
	s_cbranch_scc1 .LBB353_1857
; %bb.1848:
	s_cmp_lt_i32 s6, 3
	s_cbranch_scc1 .LBB353_1854
; %bb.1849:
	s_cmp_gt_i32 s6, 3
	s_cbranch_scc0 .LBB353_1851
; %bb.1850:
	s_mov_b32 s0, 0
	v_mov_b32_e32 v7, s0
	global_store_dwordx2 v[4:5], v[6:7], off
	s_mov_b64 s[0:1], 0
.LBB353_1851:
	s_andn2_b64 vcc, exec, s[0:1]
	s_cbranch_vccnz .LBB353_1853
; %bb.1852:
	global_store_dword v[4:5], v6, off
.LBB353_1853:
	s_mov_b64 s[0:1], 0
.LBB353_1854:
	s_andn2_b64 vcc, exec, s[0:1]
	s_cbranch_vccnz .LBB353_1856
; %bb.1855:
	global_store_short v[4:5], v6, off
.LBB353_1856:
	s_mov_b64 s[0:1], 0
.LBB353_1857:
	s_andn2_b64 vcc, exec, s[0:1]
	s_cbranch_vccnz .LBB353_1862
; %bb.1858:
	s_cmp_gt_i32 s6, 0
	s_mov_b64 s[0:1], -1
	s_cbranch_scc0 .LBB353_1860
; %bb.1859:
	global_store_byte v[4:5], v6, off
	s_mov_b64 s[0:1], 0
.LBB353_1860:
	s_andn2_b64 vcc, exec, s[0:1]
	s_cbranch_vccnz .LBB353_1862
; %bb.1861:
	global_store_byte v[4:5], v6, off
.LBB353_1862:
	s_mov_b64 s[8:9], -1
.LBB353_1863:
	s_andn2_b64 vcc, exec, s[8:9]
	s_cbranch_vccnz .LBB353_2059
; %bb.1864:
	v_mov_b32_e32 v3, 0
	v_max_u16_sdwa v4, v12, s15 dst_sel:DWORD dst_unused:UNUSED_PAD src0_sel:BYTE_0 src1_sel:DWORD
	s_cmp_lt_i32 s14, 11
	v_lshl_add_u64 v[2:3], s[4:5], 0, v[2:3]
	s_cbranch_scc1 .LBB353_1942
; %bb.1865:
	s_and_b32 s16, 0xffff, s14
	s_mov_b64 s[10:11], -1
	s_mov_b64 s[6:7], 0
	s_cmp_gt_i32 s16, 25
	s_mov_b64 s[8:9], 0
	s_mov_b64 s[0:1], 0
	s_cbranch_scc0 .LBB353_1898
; %bb.1866:
	s_cmp_gt_i32 s16, 28
	s_cbranch_scc0 .LBB353_1881
; %bb.1867:
	s_cmp_gt_i32 s16, 43
	;; [unrolled: 3-line block ×3, first 2 shown]
	s_cbranch_scc0 .LBB353_1871
; %bb.1869:
	s_mov_b64 s[0:1], -1
	s_mov_b64 s[10:11], 0
	s_cmp_eq_u32 s16, 46
	s_cbranch_scc0 .LBB353_1871
; %bb.1870:
	v_cvt_f32_ubyte0_e32 v1, v4
	v_bfe_u32 v5, v1, 16, 1
	s_movk_i32 s0, 0x7fff
	v_add3_u32 v1, v1, v5, s0
	v_lshrrev_b32_e32 v1, 16, v1
	global_store_dword v[2:3], v1, off
	s_mov_b64 s[0:1], 0
	s_mov_b64 s[8:9], -1
.LBB353_1871:
	s_and_b64 vcc, exec, s[10:11]
	s_cbranch_vccz .LBB353_1876
; %bb.1872:
	s_cmp_eq_u32 s16, 44
	s_mov_b64 s[0:1], -1
	s_cbranch_scc0 .LBB353_1876
; %bb.1873:
	v_cvt_f32_ubyte0_e32 v5, v4
	v_lshrrev_b32_e32 v1, 23, v5
	s_movk_i32 s0, 0xff
	v_cmp_ne_u32_e32 vcc, s0, v1
	v_mov_b32_e32 v6, 0xff
	s_and_saveexec_b64 s[8:9], vcc
; %bb.1874:
	s_mov_b32 s0, 0x3fffff
	v_and_b32_e32 v6, 0x400000, v5
	v_and_or_b32 v5, v5, s0, v1
	v_cmp_ne_u32_e32 vcc, 0, v6
	v_cmp_ne_u32_e64 s[0:1], 0, v5
	s_and_b64 s[0:1], vcc, s[0:1]
	s_nop 0
	v_cndmask_b32_e64 v5, 0, 1, s[0:1]
	v_add_u32_e32 v6, v1, v5
; %bb.1875:
	s_or_b64 exec, exec, s[8:9]
	s_mov_b64 s[0:1], 0
	s_mov_b64 s[8:9], -1
	global_store_byte v[2:3], v6, off
.LBB353_1876:
	s_mov_b64 s[10:11], 0
.LBB353_1877:
	s_and_b64 vcc, exec, s[10:11]
	s_cbranch_vccz .LBB353_1880
; %bb.1878:
	s_cmp_eq_u32 s16, 29
	s_mov_b64 s[0:1], -1
	s_cbranch_scc0 .LBB353_1880
; %bb.1879:
	s_mov_b32 s0, 0
	v_mov_b32_e32 v5, s0
	global_store_dwordx2 v[2:3], v[4:5], off
	s_mov_b64 s[0:1], 0
	s_mov_b64 s[8:9], -1
.LBB353_1880:
	s_mov_b64 s[10:11], 0
.LBB353_1881:
	s_and_b64 vcc, exec, s[10:11]
	s_cbranch_vccz .LBB353_1897
; %bb.1882:
	s_cmp_lt_i32 s16, 27
	s_mov_b64 s[8:9], -1
	s_cbranch_scc1 .LBB353_1888
; %bb.1883:
	s_cmp_gt_i32 s16, 27
	s_cbranch_scc0 .LBB353_1885
; %bb.1884:
	s_mov_b64 s[8:9], 0
	global_store_dword v[2:3], v4, off
.LBB353_1885:
	s_andn2_b64 vcc, exec, s[8:9]
	s_cbranch_vccnz .LBB353_1887
; %bb.1886:
	global_store_short v[2:3], v4, off
.LBB353_1887:
	s_mov_b64 s[8:9], 0
.LBB353_1888:
	s_andn2_b64 vcc, exec, s[8:9]
	s_cbranch_vccnz .LBB353_1896
; %bb.1889:
	v_cvt_f32_ubyte0_e32 v5, v4
	s_mov_b32 s8, 0x43800000
	v_cmp_gt_u32_e32 vcc, s8, v5
	v_mov_b32_e32 v6, 0x80
	s_and_saveexec_b64 s[8:9], vcc
	s_cbranch_execz .LBB353_1895
; %bb.1890:
	s_mov_b32 s10, 0x3bffffff
	v_cmp_lt_u32_e32 vcc, s10, v5
	s_mov_b64 s[10:11], 0
                                        ; implicit-def: $vgpr1
	s_and_saveexec_b64 s[12:13], vcc
	s_xor_b64 s[12:13], exec, s[12:13]
	s_cbranch_execz .LBB353_2116
; %bb.1891:
	v_bfe_u32 v1, v5, 20, 1
	s_mov_b32 s17, 0x487ffff
	v_add3_u32 v1, v5, v1, s17
	s_mov_b64 s[10:11], exec
	v_lshrrev_b32_e32 v1, 20, v1
                                        ; implicit-def: $vgpr5
	s_andn2_saveexec_b64 s[12:13], s[12:13]
	s_cbranch_execnz .LBB353_2117
.LBB353_1892:
	s_or_b64 exec, exec, s[12:13]
	v_mov_b32_e32 v6, 0
	s_and_saveexec_b64 s[12:13], s[10:11]
.LBB353_1893:
	v_mov_b32_e32 v6, v1
.LBB353_1894:
	s_or_b64 exec, exec, s[12:13]
.LBB353_1895:
	s_or_b64 exec, exec, s[8:9]
	global_store_byte v[2:3], v6, off
.LBB353_1896:
	s_mov_b64 s[8:9], -1
.LBB353_1897:
	s_mov_b64 s[10:11], 0
.LBB353_1898:
	s_and_b64 vcc, exec, s[10:11]
	s_cbranch_vccz .LBB353_1938
; %bb.1899:
	s_cmp_gt_i32 s16, 22
	s_mov_b64 s[6:7], -1
	s_cbranch_scc0 .LBB353_1931
; %bb.1900:
	s_cmp_lt_i32 s16, 24
	s_cbranch_scc1 .LBB353_1920
; %bb.1901:
	s_cmp_gt_i32 s16, 24
	s_cbranch_scc0 .LBB353_1909
; %bb.1902:
	v_cvt_f32_ubyte0_e32 v5, v4
	s_mov_b32 s6, 0x47800000
	v_cmp_gt_u32_e32 vcc, s6, v5
	v_mov_b32_e32 v6, 0x80
	s_and_saveexec_b64 s[6:7], vcc
	s_cbranch_execz .LBB353_1908
; %bb.1903:
	s_mov_b32 s8, 0x37ffffff
	v_cmp_lt_u32_e32 vcc, s8, v5
	s_mov_b64 s[8:9], 0
                                        ; implicit-def: $vgpr1
	s_and_saveexec_b64 s[10:11], vcc
	s_xor_b64 s[10:11], exec, s[10:11]
	s_cbranch_execz .LBB353_2119
; %bb.1904:
	v_bfe_u32 v1, v5, 21, 1
	s_mov_b32 s12, 0x88fffff
	v_add3_u32 v1, v5, v1, s12
	s_mov_b64 s[8:9], exec
	v_lshrrev_b32_e32 v1, 21, v1
                                        ; implicit-def: $vgpr5
	s_andn2_saveexec_b64 s[10:11], s[10:11]
	s_cbranch_execnz .LBB353_2120
.LBB353_1905:
	s_or_b64 exec, exec, s[10:11]
	v_mov_b32_e32 v6, 0
	s_and_saveexec_b64 s[10:11], s[8:9]
.LBB353_1906:
	v_mov_b32_e32 v6, v1
.LBB353_1907:
	s_or_b64 exec, exec, s[10:11]
.LBB353_1908:
	s_or_b64 exec, exec, s[6:7]
	s_mov_b64 s[6:7], 0
	global_store_byte v[2:3], v6, off
.LBB353_1909:
	s_and_b64 vcc, exec, s[6:7]
	s_cbranch_vccz .LBB353_1919
; %bb.1910:
	v_cvt_f32_ubyte0_e32 v1, v4
	s_mov_b32 s6, 0x43f00000
	v_cmp_gt_u32_e32 vcc, s6, v1
                                        ; implicit-def: $vgpr5
	s_and_saveexec_b64 s[6:7], vcc
	s_xor_b64 s[6:7], exec, s[6:7]
	s_cbranch_execz .LBB353_1916
; %bb.1911:
	s_mov_b32 s8, 0x3c7fffff
	v_cmp_lt_u32_e32 vcc, s8, v1
                                        ; implicit-def: $vgpr5
	s_and_saveexec_b64 s[8:9], vcc
	s_xor_b64 s[8:9], exec, s[8:9]
; %bb.1912:
	v_bfe_u32 v5, v1, 20, 1
	s_mov_b32 s10, 0x407ffff
	v_add3_u32 v1, v1, v5, s10
	v_lshrrev_b32_e32 v5, 20, v1
	v_and_b32_e32 v1, 0xff00000, v1
	s_mov_b32 s10, 0x7f00000
	v_mov_b32_e32 v6, 0x7e
	v_cmp_ne_u32_e32 vcc, s10, v1
                                        ; implicit-def: $vgpr1
	s_nop 1
	v_cndmask_b32_e32 v5, v6, v5, vcc
; %bb.1913:
	s_andn2_saveexec_b64 s[8:9], s[8:9]
; %bb.1914:
	v_add_f32_e32 v5, 0x46800000, v1
; %bb.1915:
	s_or_b64 exec, exec, s[8:9]
                                        ; implicit-def: $vgpr1
.LBB353_1916:
	s_andn2_saveexec_b64 s[6:7], s[6:7]
; %bb.1917:
	s_mov_b32 s8, 0x7f800000
	v_mov_b32_e32 v5, 0x7e
	v_mov_b32_e32 v6, 0x7f
	v_cmp_lt_u32_e32 vcc, s8, v1
	s_nop 1
	v_cndmask_b32_e32 v5, v5, v6, vcc
; %bb.1918:
	s_or_b64 exec, exec, s[6:7]
	global_store_byte v[2:3], v5, off
.LBB353_1919:
	s_mov_b64 s[6:7], 0
.LBB353_1920:
	s_andn2_b64 vcc, exec, s[6:7]
	s_cbranch_vccnz .LBB353_1930
; %bb.1921:
	v_cvt_f32_ubyte0_e32 v1, v4
	s_mov_b32 s6, 0x47800000
	v_cmp_gt_u32_e32 vcc, s6, v1
                                        ; implicit-def: $vgpr5
	s_and_saveexec_b64 s[6:7], vcc
	s_xor_b64 s[6:7], exec, s[6:7]
	s_cbranch_execz .LBB353_1927
; %bb.1922:
	s_mov_b32 s8, 0x387fffff
	v_cmp_lt_u32_e32 vcc, s8, v1
                                        ; implicit-def: $vgpr5
	s_and_saveexec_b64 s[8:9], vcc
	s_xor_b64 s[8:9], exec, s[8:9]
; %bb.1923:
	v_bfe_u32 v5, v1, 21, 1
	s_mov_b32 s10, 0x80fffff
	v_add3_u32 v1, v1, v5, s10
	v_lshrrev_b32_e32 v5, 21, v1
                                        ; implicit-def: $vgpr1
; %bb.1924:
	s_andn2_saveexec_b64 s[8:9], s[8:9]
; %bb.1925:
	v_add_f32_e32 v5, 0x43000000, v1
; %bb.1926:
	s_or_b64 exec, exec, s[8:9]
                                        ; implicit-def: $vgpr1
.LBB353_1927:
	s_andn2_saveexec_b64 s[6:7], s[6:7]
; %bb.1928:
	s_mov_b32 s8, 0x7f800000
	v_mov_b32_e32 v5, 0x7c
	v_mov_b32_e32 v6, 0x7f
	v_cmp_lt_u32_e32 vcc, s8, v1
	s_nop 1
	v_cndmask_b32_e32 v5, v5, v6, vcc
; %bb.1929:
	s_or_b64 exec, exec, s[6:7]
	global_store_byte v[2:3], v5, off
.LBB353_1930:
	s_mov_b64 s[6:7], 0
	s_mov_b64 s[8:9], -1
.LBB353_1931:
	s_andn2_b64 vcc, exec, s[6:7]
	s_mov_b64 s[6:7], 0
	s_cbranch_vccnz .LBB353_1938
; %bb.1932:
	s_cmp_gt_i32 s16, 14
	s_mov_b64 s[10:11], -1
	s_cbranch_scc0 .LBB353_1936
; %bb.1933:
	s_cmp_eq_u32 s16, 15
	s_mov_b64 s[0:1], -1
	s_cbranch_scc0 .LBB353_1935
; %bb.1934:
	v_cvt_f32_ubyte0_e32 v1, v4
	v_bfe_u32 v5, v1, 16, 1
	s_movk_i32 s0, 0x7fff
	v_add3_u32 v1, v1, v5, s0
	global_store_short_d16_hi v[2:3], v1, off
	s_mov_b64 s[0:1], 0
	s_mov_b64 s[8:9], -1
.LBB353_1935:
	s_mov_b64 s[10:11], 0
.LBB353_1936:
	s_and_b64 vcc, exec, s[10:11]
	s_cbranch_vccz .LBB353_1938
; %bb.1937:
	s_cmp_lg_u32 s16, 11
	s_mov_b64 s[6:7], -1
	s_cselect_b64 s[0:1], -1, 0
.LBB353_1938:
	s_and_b64 vcc, exec, s[0:1]
	s_cbranch_vccnz .LBB353_2118
; %bb.1939:
	s_andn2_b64 vcc, exec, s[6:7]
	s_cbranch_vccnz .LBB353_1941
.LBB353_1940:
	v_cmp_ne_u16_e32 vcc, 0, v4
	s_mov_b64 s[8:9], -1
	s_nop 0
	v_cndmask_b32_e64 v1, 0, 1, vcc
	global_store_byte v[2:3], v1, off
.LBB353_1941:
	s_mov_b64 s[0:1], 0
	s_branch .LBB353_1943
.LBB353_1942:
	s_mov_b64 s[0:1], -1
	s_mov_b64 s[8:9], 0
.LBB353_1943:
	s_and_b64 vcc, exec, s[0:1]
	s_cbranch_vccz .LBB353_1982
; %bb.1944:
	s_and_b32 s6, 0xffff, s14
	s_cmp_lt_i32 s6, 5
	s_mov_b64 s[0:1], -1
	s_cbranch_scc1 .LBB353_1965
; %bb.1945:
	s_cmp_lt_i32 s6, 8
	s_cbranch_scc1 .LBB353_1955
; %bb.1946:
	s_cmp_lt_i32 s6, 9
	s_cbranch_scc1 .LBB353_1952
; %bb.1947:
	s_cmp_gt_i32 s6, 9
	s_cbranch_scc0 .LBB353_1949
; %bb.1948:
	v_mov_b32_e32 v8, 0
	v_cvt_f64_u32_e32 v[6:7], v4
	v_mov_b32_e32 v9, v8
	global_store_dwordx4 v[2:3], v[6:9], off
	s_mov_b64 s[0:1], 0
.LBB353_1949:
	s_andn2_b64 vcc, exec, s[0:1]
	s_cbranch_vccnz .LBB353_1951
; %bb.1950:
	v_cvt_f32_ubyte0_e32 v6, v4
	v_mov_b32_e32 v7, 0
	global_store_dwordx2 v[2:3], v[6:7], off
.LBB353_1951:
	s_mov_b64 s[0:1], 0
.LBB353_1952:
	s_andn2_b64 vcc, exec, s[0:1]
	s_cbranch_vccnz .LBB353_1954
; %bb.1953:
	v_cvt_f16_u16_e32 v1, v4
	global_store_dword v[2:3], v1, off
.LBB353_1954:
	s_mov_b64 s[0:1], 0
.LBB353_1955:
	s_andn2_b64 vcc, exec, s[0:1]
	s_cbranch_vccnz .LBB353_1964
; %bb.1956:
	s_cmp_lt_i32 s6, 6
	s_mov_b64 s[0:1], -1
	s_cbranch_scc1 .LBB353_1962
; %bb.1957:
	s_cmp_gt_i32 s6, 6
	s_cbranch_scc0 .LBB353_1959
; %bb.1958:
	v_cvt_f64_u32_e32 v[6:7], v4
	global_store_dwordx2 v[2:3], v[6:7], off
	s_mov_b64 s[0:1], 0
.LBB353_1959:
	s_andn2_b64 vcc, exec, s[0:1]
	s_cbranch_vccnz .LBB353_1961
; %bb.1960:
	v_cvt_f32_ubyte0_e32 v1, v4
	global_store_dword v[2:3], v1, off
.LBB353_1961:
	s_mov_b64 s[0:1], 0
.LBB353_1962:
	s_andn2_b64 vcc, exec, s[0:1]
	s_cbranch_vccnz .LBB353_1964
; %bb.1963:
	v_cvt_f16_u16_e32 v1, v4
	global_store_short v[2:3], v1, off
.LBB353_1964:
	s_mov_b64 s[0:1], 0
.LBB353_1965:
	s_andn2_b64 vcc, exec, s[0:1]
	s_cbranch_vccnz .LBB353_1981
; %bb.1966:
	s_cmp_lt_i32 s6, 2
	s_mov_b64 s[0:1], -1
	s_cbranch_scc1 .LBB353_1976
; %bb.1967:
	s_cmp_lt_i32 s6, 3
	s_cbranch_scc1 .LBB353_1973
; %bb.1968:
	s_cmp_gt_i32 s6, 3
	s_cbranch_scc0 .LBB353_1970
; %bb.1969:
	s_mov_b32 s0, 0
	v_mov_b32_e32 v5, s0
	global_store_dwordx2 v[2:3], v[4:5], off
	s_mov_b64 s[0:1], 0
.LBB353_1970:
	s_andn2_b64 vcc, exec, s[0:1]
	s_cbranch_vccnz .LBB353_1972
; %bb.1971:
	global_store_dword v[2:3], v4, off
.LBB353_1972:
	s_mov_b64 s[0:1], 0
.LBB353_1973:
	s_andn2_b64 vcc, exec, s[0:1]
	s_cbranch_vccnz .LBB353_1975
; %bb.1974:
	global_store_short v[2:3], v4, off
.LBB353_1975:
	s_mov_b64 s[0:1], 0
.LBB353_1976:
	s_andn2_b64 vcc, exec, s[0:1]
	s_cbranch_vccnz .LBB353_1981
; %bb.1977:
	s_cmp_gt_i32 s6, 0
	s_mov_b64 s[0:1], -1
	s_cbranch_scc0 .LBB353_1979
; %bb.1978:
	global_store_byte v[2:3], v4, off
	s_mov_b64 s[0:1], 0
.LBB353_1979:
	s_andn2_b64 vcc, exec, s[0:1]
	s_cbranch_vccnz .LBB353_1981
; %bb.1980:
	global_store_byte v[2:3], v4, off
.LBB353_1981:
	s_mov_b64 s[8:9], -1
.LBB353_1982:
	s_andn2_b64 vcc, exec, s[8:9]
	s_cbranch_vccnz .LBB353_2059
; %bb.1983:
	v_mov_b32_e32 v1, 0
	v_max_u16_sdwa v2, v14, s15 dst_sel:DWORD dst_unused:UNUSED_PAD src0_sel:BYTE_0 src1_sel:DWORD
	s_cmp_lt_i32 s14, 11
	v_lshl_add_u64 v[0:1], s[4:5], 0, v[0:1]
	s_cbranch_scc1 .LBB353_2104
; %bb.1984:
	s_and_b32 s12, 0xffff, s14
	s_mov_b64 s[6:7], -1
	s_mov_b64 s[4:5], 0
	s_cmp_gt_i32 s12, 25
	s_mov_b64 s[0:1], 0
	s_cbranch_scc0 .LBB353_2017
; %bb.1985:
	s_cmp_gt_i32 s12, 28
	s_cbranch_scc0 .LBB353_2001
; %bb.1986:
	s_cmp_gt_i32 s12, 43
	;; [unrolled: 3-line block ×3, first 2 shown]
	s_cbranch_scc0 .LBB353_1991
; %bb.1988:
	s_cmp_eq_u32 s12, 46
	s_mov_b64 s[0:1], -1
	s_cbranch_scc0 .LBB353_1990
; %bb.1989:
	v_cvt_f32_ubyte0_e32 v3, v2
	v_bfe_u32 v4, v3, 16, 1
	s_movk_i32 s0, 0x7fff
	v_add3_u32 v3, v3, v4, s0
	v_lshrrev_b32_e32 v3, 16, v3
	global_store_dword v[0:1], v3, off
	s_mov_b64 s[0:1], 0
.LBB353_1990:
	s_mov_b64 s[6:7], 0
.LBB353_1991:
	s_and_b64 vcc, exec, s[6:7]
	s_cbranch_vccz .LBB353_1996
; %bb.1992:
	s_cmp_eq_u32 s12, 44
	s_mov_b64 s[0:1], -1
	s_cbranch_scc0 .LBB353_1996
; %bb.1993:
	v_cvt_f32_ubyte0_e32 v4, v2
	v_lshrrev_b32_e32 v3, 23, v4
	s_movk_i32 s0, 0xff
	v_cmp_ne_u32_e32 vcc, s0, v3
	v_mov_b32_e32 v5, 0xff
	s_and_saveexec_b64 s[6:7], vcc
; %bb.1994:
	s_mov_b32 s0, 0x3fffff
	v_and_b32_e32 v5, 0x400000, v4
	v_and_or_b32 v4, v4, s0, v3
	v_cmp_ne_u32_e32 vcc, 0, v5
	v_cmp_ne_u32_e64 s[0:1], 0, v4
	s_and_b64 s[0:1], vcc, s[0:1]
	s_nop 0
	v_cndmask_b32_e64 v4, 0, 1, s[0:1]
	v_add_u32_e32 v5, v3, v4
; %bb.1995:
	s_or_b64 exec, exec, s[6:7]
	s_mov_b64 s[0:1], 0
	global_store_byte v[0:1], v5, off
.LBB353_1996:
	s_mov_b64 s[6:7], 0
.LBB353_1997:
	s_and_b64 vcc, exec, s[6:7]
	s_cbranch_vccz .LBB353_2000
; %bb.1998:
	s_cmp_eq_u32 s12, 29
	s_mov_b64 s[0:1], -1
	s_cbranch_scc0 .LBB353_2000
; %bb.1999:
	s_mov_b32 s0, 0
	v_mov_b32_e32 v3, s0
	global_store_dwordx2 v[0:1], v[2:3], off
	s_mov_b64 s[0:1], 0
.LBB353_2000:
	s_mov_b64 s[6:7], 0
.LBB353_2001:
	s_and_b64 vcc, exec, s[6:7]
	s_cbranch_vccz .LBB353_2016
; %bb.2002:
	s_cmp_lt_i32 s12, 27
	s_mov_b64 s[6:7], -1
	s_cbranch_scc1 .LBB353_2008
; %bb.2003:
	s_cmp_gt_i32 s12, 27
	s_cbranch_scc0 .LBB353_2005
; %bb.2004:
	global_store_dword v[0:1], v2, off
	s_mov_b64 s[6:7], 0
.LBB353_2005:
	s_andn2_b64 vcc, exec, s[6:7]
	s_cbranch_vccnz .LBB353_2007
; %bb.2006:
	global_store_short v[0:1], v2, off
.LBB353_2007:
	s_mov_b64 s[6:7], 0
.LBB353_2008:
	s_andn2_b64 vcc, exec, s[6:7]
	s_cbranch_vccnz .LBB353_2016
; %bb.2009:
	v_cvt_f32_ubyte0_e32 v4, v2
	s_mov_b32 s6, 0x43800000
	v_cmp_gt_u32_e32 vcc, s6, v4
	v_mov_b32_e32 v5, 0x80
	s_and_saveexec_b64 s[6:7], vcc
	s_cbranch_execz .LBB353_2015
; %bb.2010:
	s_mov_b32 s8, 0x3bffffff
	v_cmp_lt_u32_e32 vcc, s8, v4
	s_mov_b64 s[8:9], 0
                                        ; implicit-def: $vgpr3
	s_and_saveexec_b64 s[10:11], vcc
	s_xor_b64 s[10:11], exec, s[10:11]
	s_cbranch_execz .LBB353_2121
; %bb.2011:
	v_bfe_u32 v3, v4, 20, 1
	s_mov_b32 s13, 0x487ffff
	v_add3_u32 v3, v4, v3, s13
	s_mov_b64 s[8:9], exec
	v_lshrrev_b32_e32 v3, 20, v3
                                        ; implicit-def: $vgpr4
	s_andn2_saveexec_b64 s[10:11], s[10:11]
	s_cbranch_execnz .LBB353_2122
.LBB353_2012:
	s_or_b64 exec, exec, s[10:11]
	v_mov_b32_e32 v5, 0
	s_and_saveexec_b64 s[10:11], s[8:9]
.LBB353_2013:
	v_mov_b32_e32 v5, v3
.LBB353_2014:
	s_or_b64 exec, exec, s[10:11]
.LBB353_2015:
	s_or_b64 exec, exec, s[6:7]
	global_store_byte v[0:1], v5, off
.LBB353_2016:
	s_mov_b64 s[6:7], 0
.LBB353_2017:
	s_and_b64 vcc, exec, s[6:7]
	s_cbranch_vccz .LBB353_2057
; %bb.2018:
	s_cmp_gt_i32 s12, 22
	s_mov_b64 s[4:5], -1
	s_cbranch_scc0 .LBB353_2050
; %bb.2019:
	s_cmp_lt_i32 s12, 24
	s_cbranch_scc1 .LBB353_2039
; %bb.2020:
	s_cmp_gt_i32 s12, 24
	s_cbranch_scc0 .LBB353_2028
; %bb.2021:
	v_cvt_f32_ubyte0_e32 v4, v2
	s_mov_b32 s4, 0x47800000
	v_cmp_gt_u32_e32 vcc, s4, v4
	v_mov_b32_e32 v5, 0x80
	s_and_saveexec_b64 s[4:5], vcc
	s_cbranch_execz .LBB353_2027
; %bb.2022:
	s_mov_b32 s6, 0x37ffffff
	v_cmp_lt_u32_e32 vcc, s6, v4
	s_mov_b64 s[6:7], 0
                                        ; implicit-def: $vgpr3
	s_and_saveexec_b64 s[8:9], vcc
	s_xor_b64 s[8:9], exec, s[8:9]
	s_cbranch_execz .LBB353_2124
; %bb.2023:
	v_bfe_u32 v3, v4, 21, 1
	s_mov_b32 s10, 0x88fffff
	v_add3_u32 v3, v4, v3, s10
	s_mov_b64 s[6:7], exec
	v_lshrrev_b32_e32 v3, 21, v3
                                        ; implicit-def: $vgpr4
	s_andn2_saveexec_b64 s[8:9], s[8:9]
	s_cbranch_execnz .LBB353_2125
.LBB353_2024:
	s_or_b64 exec, exec, s[8:9]
	v_mov_b32_e32 v5, 0
	s_and_saveexec_b64 s[8:9], s[6:7]
.LBB353_2025:
	v_mov_b32_e32 v5, v3
.LBB353_2026:
	s_or_b64 exec, exec, s[8:9]
.LBB353_2027:
	s_or_b64 exec, exec, s[4:5]
	s_mov_b64 s[4:5], 0
	global_store_byte v[0:1], v5, off
.LBB353_2028:
	s_and_b64 vcc, exec, s[4:5]
	s_cbranch_vccz .LBB353_2038
; %bb.2029:
	v_cvt_f32_ubyte0_e32 v3, v2
	s_mov_b32 s4, 0x43f00000
	v_cmp_gt_u32_e32 vcc, s4, v3
                                        ; implicit-def: $vgpr4
	s_and_saveexec_b64 s[4:5], vcc
	s_xor_b64 s[4:5], exec, s[4:5]
	s_cbranch_execz .LBB353_2035
; %bb.2030:
	s_mov_b32 s6, 0x3c7fffff
	v_cmp_lt_u32_e32 vcc, s6, v3
                                        ; implicit-def: $vgpr4
	s_and_saveexec_b64 s[6:7], vcc
	s_xor_b64 s[6:7], exec, s[6:7]
; %bb.2031:
	v_bfe_u32 v4, v3, 20, 1
	s_mov_b32 s8, 0x407ffff
	v_add3_u32 v3, v3, v4, s8
	v_lshrrev_b32_e32 v4, 20, v3
	v_and_b32_e32 v3, 0xff00000, v3
	s_mov_b32 s8, 0x7f00000
	v_mov_b32_e32 v5, 0x7e
	v_cmp_ne_u32_e32 vcc, s8, v3
                                        ; implicit-def: $vgpr3
	s_nop 1
	v_cndmask_b32_e32 v4, v5, v4, vcc
; %bb.2032:
	s_andn2_saveexec_b64 s[6:7], s[6:7]
; %bb.2033:
	v_add_f32_e32 v4, 0x46800000, v3
; %bb.2034:
	s_or_b64 exec, exec, s[6:7]
                                        ; implicit-def: $vgpr3
.LBB353_2035:
	s_andn2_saveexec_b64 s[4:5], s[4:5]
; %bb.2036:
	s_mov_b32 s6, 0x7f800000
	v_mov_b32_e32 v4, 0x7e
	v_mov_b32_e32 v5, 0x7f
	v_cmp_lt_u32_e32 vcc, s6, v3
	s_nop 1
	v_cndmask_b32_e32 v4, v4, v5, vcc
; %bb.2037:
	s_or_b64 exec, exec, s[4:5]
	global_store_byte v[0:1], v4, off
.LBB353_2038:
	s_mov_b64 s[4:5], 0
.LBB353_2039:
	s_andn2_b64 vcc, exec, s[4:5]
	s_cbranch_vccnz .LBB353_2049
; %bb.2040:
	v_cvt_f32_ubyte0_e32 v3, v2
	s_mov_b32 s4, 0x47800000
	v_cmp_gt_u32_e32 vcc, s4, v3
                                        ; implicit-def: $vgpr4
	s_and_saveexec_b64 s[4:5], vcc
	s_xor_b64 s[4:5], exec, s[4:5]
	s_cbranch_execz .LBB353_2046
; %bb.2041:
	s_mov_b32 s6, 0x387fffff
	v_cmp_lt_u32_e32 vcc, s6, v3
                                        ; implicit-def: $vgpr4
	s_and_saveexec_b64 s[6:7], vcc
	s_xor_b64 s[6:7], exec, s[6:7]
; %bb.2042:
	v_bfe_u32 v4, v3, 21, 1
	s_mov_b32 s8, 0x80fffff
	v_add3_u32 v3, v3, v4, s8
	v_lshrrev_b32_e32 v4, 21, v3
                                        ; implicit-def: $vgpr3
; %bb.2043:
	s_andn2_saveexec_b64 s[6:7], s[6:7]
; %bb.2044:
	v_add_f32_e32 v4, 0x43000000, v3
; %bb.2045:
	s_or_b64 exec, exec, s[6:7]
                                        ; implicit-def: $vgpr3
.LBB353_2046:
	s_andn2_saveexec_b64 s[4:5], s[4:5]
; %bb.2047:
	s_mov_b32 s6, 0x7f800000
	v_mov_b32_e32 v4, 0x7c
	v_mov_b32_e32 v5, 0x7f
	v_cmp_lt_u32_e32 vcc, s6, v3
	s_nop 1
	v_cndmask_b32_e32 v4, v4, v5, vcc
; %bb.2048:
	s_or_b64 exec, exec, s[4:5]
	global_store_byte v[0:1], v4, off
.LBB353_2049:
	s_mov_b64 s[4:5], 0
.LBB353_2050:
	s_andn2_b64 vcc, exec, s[4:5]
	s_mov_b64 s[4:5], 0
	s_cbranch_vccnz .LBB353_2057
; %bb.2051:
	s_cmp_gt_i32 s12, 14
	s_mov_b64 s[6:7], -1
	s_cbranch_scc0 .LBB353_2055
; %bb.2052:
	s_cmp_eq_u32 s12, 15
	s_mov_b64 s[0:1], -1
	s_cbranch_scc0 .LBB353_2054
; %bb.2053:
	v_cvt_f32_ubyte0_e32 v3, v2
	v_bfe_u32 v4, v3, 16, 1
	s_movk_i32 s0, 0x7fff
	v_add3_u32 v3, v3, v4, s0
	global_store_short_d16_hi v[0:1], v3, off
	s_mov_b64 s[0:1], 0
.LBB353_2054:
	s_mov_b64 s[6:7], 0
.LBB353_2055:
	s_and_b64 vcc, exec, s[6:7]
	s_cbranch_vccz .LBB353_2057
; %bb.2056:
	s_cmp_lg_u32 s12, 11
	s_mov_b64 s[4:5], -1
	s_cselect_b64 s[0:1], -1, 0
.LBB353_2057:
	s_and_b64 vcc, exec, s[0:1]
	s_cbranch_vccnz .LBB353_2123
.LBB353_2058:
	s_mov_b64 s[0:1], 0
	s_branch .LBB353_2060
.LBB353_2059:
	s_mov_b64 s[0:1], 0
	s_mov_b64 s[4:5], 0
                                        ; implicit-def: $vgpr0_vgpr1
                                        ; implicit-def: $sgpr14
                                        ; implicit-def: $vgpr2
.LBB353_2060:
	s_and_b64 s[6:7], s[0:1], exec
	s_andn2_b64 s[0:1], s[24:25], exec
	s_and_b64 s[2:3], s[2:3], exec
	s_and_b64 s[40:41], s[4:5], exec
	s_or_b64 s[24:25], s[0:1], s[2:3]
.LBB353_2061:
	s_or_b64 exec, exec, s[26:27]
	s_and_saveexec_b64 s[0:1], s[24:25]
	s_cbranch_execz .LBB353_2064
; %bb.2062:
	; divergent unreachable
	s_or_b64 exec, exec, s[0:1]
	s_and_saveexec_b64 s[0:1], s[40:41]
	s_xor_b64 s[0:1], exec, s[0:1]
	s_cbranch_execnz .LBB353_2065
.LBB353_2063:
	s_or_b64 exec, exec, s[0:1]
	s_and_saveexec_b64 s[0:1], s[6:7]
	s_cbranch_execnz .LBB353_2066
	s_branch .LBB353_2103
.LBB353_2064:
	s_or_b64 exec, exec, s[0:1]
	s_and_saveexec_b64 s[0:1], s[40:41]
	s_xor_b64 s[0:1], exec, s[0:1]
	s_cbranch_execz .LBB353_2063
.LBB353_2065:
	v_mov_b32_e32 v3, 0
	v_cmp_ne_u16_sdwa s[2:3], v2, v3 src0_sel:BYTE_0 src1_sel:DWORD
	s_nop 1
	v_cndmask_b32_e64 v3, 0, 1, s[2:3]
	global_store_byte v[0:1], v3, off
	s_or_b64 exec, exec, s[0:1]
	s_and_saveexec_b64 s[0:1], s[6:7]
	s_cbranch_execz .LBB353_2103
.LBB353_2066:
	s_sext_i32_i16 s2, s14
	s_cmp_lt_i32 s2, 5
	s_mov_b64 s[0:1], -1
	s_cbranch_scc1 .LBB353_2087
; %bb.2067:
	s_cmp_lt_i32 s2, 8
	s_cbranch_scc1 .LBB353_2077
; %bb.2068:
	s_cmp_lt_i32 s2, 9
	s_cbranch_scc1 .LBB353_2074
; %bb.2069:
	s_cmp_gt_i32 s2, 9
	s_cbranch_scc0 .LBB353_2071
; %bb.2070:
	s_mov_b32 s0, 0xffff
	v_and_b32_sdwa v3, s0, v2 dst_sel:DWORD dst_unused:UNUSED_PAD src0_sel:DWORD src1_sel:BYTE_0
	s_waitcnt vmcnt(0)
	v_mov_b32_e32 v6, 0
	v_cvt_f64_u32_e32 v[4:5], v3
	v_mov_b32_e32 v7, v6
	global_store_dwordx4 v[0:1], v[4:7], off
	s_mov_b64 s[0:1], 0
.LBB353_2071:
	s_andn2_b64 vcc, exec, s[0:1]
	s_cbranch_vccnz .LBB353_2073
; %bb.2072:
	s_waitcnt vmcnt(0)
	v_cvt_f32_ubyte0_e32 v4, v2
	v_mov_b32_e32 v5, 0
	global_store_dwordx2 v[0:1], v[4:5], off
.LBB353_2073:
	s_mov_b64 s[0:1], 0
.LBB353_2074:
	s_andn2_b64 vcc, exec, s[0:1]
	s_cbranch_vccnz .LBB353_2076
; %bb.2075:
	v_cvt_f16_u16_sdwa v3, v2 dst_sel:DWORD dst_unused:UNUSED_PAD src0_sel:BYTE_0
	global_store_dword v[0:1], v3, off
.LBB353_2076:
	s_mov_b64 s[0:1], 0
.LBB353_2077:
	s_andn2_b64 vcc, exec, s[0:1]
	s_cbranch_vccnz .LBB353_2086
; %bb.2078:
	s_sext_i32_i16 s2, s14
	s_cmp_lt_i32 s2, 6
	s_mov_b64 s[0:1], -1
	s_cbranch_scc1 .LBB353_2084
; %bb.2079:
	s_cmp_gt_i32 s2, 6
	s_cbranch_scc0 .LBB353_2081
; %bb.2080:
	s_mov_b32 s0, 0xffff
	v_and_b32_sdwa v3, s0, v2 dst_sel:DWORD dst_unused:UNUSED_PAD src0_sel:DWORD src1_sel:BYTE_0
	s_waitcnt vmcnt(0)
	v_cvt_f64_u32_e32 v[4:5], v3
	global_store_dwordx2 v[0:1], v[4:5], off
	s_mov_b64 s[0:1], 0
.LBB353_2081:
	s_andn2_b64 vcc, exec, s[0:1]
	s_cbranch_vccnz .LBB353_2083
; %bb.2082:
	v_cvt_f32_ubyte0_e32 v3, v2
	global_store_dword v[0:1], v3, off
.LBB353_2083:
	s_mov_b64 s[0:1], 0
.LBB353_2084:
	s_andn2_b64 vcc, exec, s[0:1]
	s_cbranch_vccnz .LBB353_2086
; %bb.2085:
	v_cvt_f16_u16_sdwa v3, v2 dst_sel:DWORD dst_unused:UNUSED_PAD src0_sel:BYTE_0
	global_store_short v[0:1], v3, off
.LBB353_2086:
	s_mov_b64 s[0:1], 0
.LBB353_2087:
	s_andn2_b64 vcc, exec, s[0:1]
	s_cbranch_vccnz .LBB353_2103
; %bb.2088:
	s_sext_i32_i16 s2, s14
	s_cmp_lt_i32 s2, 2
	s_mov_b64 s[0:1], -1
	s_cbranch_scc1 .LBB353_2098
; %bb.2089:
	s_cmp_lt_i32 s2, 3
	s_cbranch_scc1 .LBB353_2095
; %bb.2090:
	s_cmp_gt_i32 s2, 3
	s_cbranch_scc0 .LBB353_2092
; %bb.2091:
	s_waitcnt vmcnt(0)
	v_and_b32_e32 v4, 0xff, v2
	v_mov_b32_e32 v5, 0
	global_store_dwordx2 v[0:1], v[4:5], off
	s_mov_b64 s[0:1], 0
.LBB353_2092:
	s_andn2_b64 vcc, exec, s[0:1]
	s_cbranch_vccnz .LBB353_2094
; %bb.2093:
	v_and_b32_e32 v3, 0xff, v2
	global_store_dword v[0:1], v3, off
.LBB353_2094:
	s_mov_b64 s[0:1], 0
.LBB353_2095:
	s_andn2_b64 vcc, exec, s[0:1]
	s_cbranch_vccnz .LBB353_2097
; %bb.2096:
	v_and_b32_e32 v3, 0xff, v2
	global_store_short v[0:1], v3, off
.LBB353_2097:
	s_mov_b64 s[0:1], 0
.LBB353_2098:
	s_andn2_b64 vcc, exec, s[0:1]
	s_cbranch_vccnz .LBB353_2103
; %bb.2099:
	s_sext_i32_i16 s0, s14
	s_cmp_gt_i32 s0, 0
	s_mov_b64 s[0:1], -1
	s_cbranch_scc0 .LBB353_2101
; %bb.2100:
	global_store_byte v[0:1], v2, off
	s_mov_b64 s[0:1], 0
.LBB353_2101:
	s_andn2_b64 vcc, exec, s[0:1]
	s_cbranch_vccnz .LBB353_2103
; %bb.2102:
	global_store_byte v[0:1], v2, off
	s_endpgm
.LBB353_2103:
	s_endpgm
.LBB353_2104:
	s_mov_b64 s[4:5], 0
	s_mov_b64 s[0:1], -1
	s_branch .LBB353_2060
.LBB353_2105:
	s_trap 2
	s_or_b64 s[2:3], s[2:3], exec
	s_cbranch_execz .LBB353_1574
	s_branch .LBB353_1575
.LBB353_2106:
	s_andn2_saveexec_b64 s[12:13], s[12:13]
	s_cbranch_execz .LBB353_1654
.LBB353_2107:
	v_add_f32_e32 v1, 0x46000000, v3
	v_and_b32_e32 v1, 0xff, v1
	v_cmp_ne_u32_e32 vcc, 0, v1
	s_andn2_b64 s[10:11], s[10:11], exec
	s_and_b64 s[18:19], vcc, exec
	s_or_b64 s[10:11], s[10:11], s[18:19]
	s_or_b64 exec, exec, s[12:13]
	v_mov_b32_e32 v5, 0
	s_and_saveexec_b64 s[12:13], s[10:11]
	s_cbranch_execnz .LBB353_1655
	s_branch .LBB353_1656
.LBB353_2108:
	s_trap 2
	s_or_b64 s[2:3], s[2:3], exec
	s_cbranch_execz .LBB353_1702
	s_branch .LBB353_1703
.LBB353_2109:
	s_andn2_saveexec_b64 s[10:11], s[10:11]
	s_cbranch_execz .LBB353_1667
.LBB353_2110:
	v_add_f32_e32 v1, 0x42800000, v3
	v_and_b32_e32 v1, 0xff, v1
	v_cmp_ne_u32_e32 vcc, 0, v1
	s_andn2_b64 s[8:9], s[8:9], exec
	s_and_b64 s[12:13], vcc, exec
	s_or_b64 s[8:9], s[8:9], s[12:13]
	s_or_b64 exec, exec, s[10:11]
	v_mov_b32_e32 v5, 0
	s_and_saveexec_b64 s[10:11], s[8:9]
	s_cbranch_execnz .LBB353_1668
	s_branch .LBB353_1669
.LBB353_2111:
	s_andn2_saveexec_b64 s[12:13], s[12:13]
	s_cbranch_execz .LBB353_1773
.LBB353_2112:
	v_add_f32_e32 v1, 0x46000000, v3
	v_and_b32_e32 v1, 0xff, v1
	v_cmp_ne_u32_e32 vcc, 0, v1
	s_andn2_b64 s[10:11], s[10:11], exec
	s_and_b64 s[18:19], vcc, exec
	s_or_b64 s[10:11], s[10:11], s[18:19]
	s_or_b64 exec, exec, s[12:13]
	v_mov_b32_e32 v7, 0
	s_and_saveexec_b64 s[12:13], s[10:11]
	s_cbranch_execnz .LBB353_1774
	s_branch .LBB353_1775
.LBB353_2113:
	s_trap 2
	s_or_b64 s[2:3], s[2:3], exec
	s_cbranch_execz .LBB353_1821
	s_branch .LBB353_1822
.LBB353_2114:
	s_andn2_saveexec_b64 s[10:11], s[10:11]
	s_cbranch_execz .LBB353_1786
.LBB353_2115:
	v_add_f32_e32 v1, 0x42800000, v3
	v_and_b32_e32 v1, 0xff, v1
	v_cmp_ne_u32_e32 vcc, 0, v1
	s_andn2_b64 s[8:9], s[8:9], exec
	s_and_b64 s[12:13], vcc, exec
	s_or_b64 s[8:9], s[8:9], s[12:13]
	s_or_b64 exec, exec, s[10:11]
	v_mov_b32_e32 v7, 0
	s_and_saveexec_b64 s[10:11], s[8:9]
	s_cbranch_execnz .LBB353_1787
	s_branch .LBB353_1788
.LBB353_2116:
	s_andn2_saveexec_b64 s[12:13], s[12:13]
	s_cbranch_execz .LBB353_1892
.LBB353_2117:
	v_add_f32_e32 v1, 0x46000000, v5
	v_and_b32_e32 v1, 0xff, v1
	v_cmp_ne_u32_e32 vcc, 0, v1
	s_andn2_b64 s[10:11], s[10:11], exec
	s_and_b64 s[18:19], vcc, exec
	s_or_b64 s[10:11], s[10:11], s[18:19]
	s_or_b64 exec, exec, s[12:13]
	v_mov_b32_e32 v6, 0
	s_and_saveexec_b64 s[12:13], s[10:11]
	s_cbranch_execnz .LBB353_1893
	s_branch .LBB353_1894
.LBB353_2118:
	s_trap 2
	s_or_b64 s[2:3], s[2:3], exec
	s_cbranch_execz .LBB353_1940
	s_branch .LBB353_1941
.LBB353_2119:
	s_andn2_saveexec_b64 s[10:11], s[10:11]
	s_cbranch_execz .LBB353_1905
.LBB353_2120:
	v_add_f32_e32 v1, 0x42800000, v5
	v_and_b32_e32 v1, 0xff, v1
	v_cmp_ne_u32_e32 vcc, 0, v1
	s_andn2_b64 s[8:9], s[8:9], exec
	s_and_b64 s[12:13], vcc, exec
	s_or_b64 s[8:9], s[8:9], s[12:13]
	s_or_b64 exec, exec, s[10:11]
	v_mov_b32_e32 v6, 0
	s_and_saveexec_b64 s[10:11], s[8:9]
	s_cbranch_execnz .LBB353_1906
	s_branch .LBB353_1907
.LBB353_2121:
	s_andn2_saveexec_b64 s[10:11], s[10:11]
	s_cbranch_execz .LBB353_2012
.LBB353_2122:
	v_add_f32_e32 v3, 0x46000000, v4
	v_and_b32_e32 v3, 0xff, v3
	v_cmp_ne_u32_e32 vcc, 0, v3
	s_andn2_b64 s[8:9], s[8:9], exec
	s_and_b64 s[16:17], vcc, exec
	s_or_b64 s[8:9], s[8:9], s[16:17]
	s_or_b64 exec, exec, s[10:11]
	v_mov_b32_e32 v5, 0
	s_and_saveexec_b64 s[10:11], s[8:9]
	s_cbranch_execnz .LBB353_2013
	s_branch .LBB353_2014
.LBB353_2123:
	s_mov_b64 s[4:5], 0
	s_or_b64 s[2:3], s[2:3], exec
	s_trap 2
	s_branch .LBB353_2058
.LBB353_2124:
	s_andn2_saveexec_b64 s[8:9], s[8:9]
	s_cbranch_execz .LBB353_2024
.LBB353_2125:
	v_add_f32_e32 v3, 0x42800000, v4
	v_and_b32_e32 v3, 0xff, v3
	v_cmp_ne_u32_e32 vcc, 0, v3
	s_andn2_b64 s[6:7], s[6:7], exec
	s_and_b64 s[10:11], vcc, exec
	s_or_b64 s[6:7], s[6:7], s[10:11]
	s_or_b64 exec, exec, s[8:9]
	v_mov_b32_e32 v5, 0
	s_and_saveexec_b64 s[8:9], s[6:7]
	s_cbranch_execnz .LBB353_2025
	s_branch .LBB353_2026
	.section	.rodata,"a",@progbits
	.p2align	6, 0x0
	.amdhsa_kernel _ZN2at6native32elementwise_kernel_manual_unrollILi128ELi4EZNS0_15gpu_kernel_implIZZZNS0_21clamp_min_kernel_cudaERNS_18TensorIteratorBaseERKN3c106ScalarEENKUlvE_clEvENKUlvE_clEvEUlhE_EEvS4_RKT_EUlibE0_EEviT1_
		.amdhsa_group_segment_fixed_size 0
		.amdhsa_private_segment_fixed_size 0
		.amdhsa_kernarg_size 360
		.amdhsa_user_sgpr_count 2
		.amdhsa_user_sgpr_dispatch_ptr 0
		.amdhsa_user_sgpr_queue_ptr 0
		.amdhsa_user_sgpr_kernarg_segment_ptr 1
		.amdhsa_user_sgpr_dispatch_id 0
		.amdhsa_user_sgpr_kernarg_preload_length 0
		.amdhsa_user_sgpr_kernarg_preload_offset 0
		.amdhsa_user_sgpr_private_segment_size 0
		.amdhsa_uses_dynamic_stack 0
		.amdhsa_enable_private_segment 0
		.amdhsa_system_sgpr_workgroup_id_x 1
		.amdhsa_system_sgpr_workgroup_id_y 0
		.amdhsa_system_sgpr_workgroup_id_z 0
		.amdhsa_system_sgpr_workgroup_info 0
		.amdhsa_system_vgpr_workitem_id 0
		.amdhsa_next_free_vgpr 20
		.amdhsa_next_free_sgpr 79
		.amdhsa_accum_offset 20
		.amdhsa_reserve_vcc 1
		.amdhsa_float_round_mode_32 0
		.amdhsa_float_round_mode_16_64 0
		.amdhsa_float_denorm_mode_32 3
		.amdhsa_float_denorm_mode_16_64 3
		.amdhsa_dx10_clamp 1
		.amdhsa_ieee_mode 1
		.amdhsa_fp16_overflow 0
		.amdhsa_tg_split 0
		.amdhsa_exception_fp_ieee_invalid_op 0
		.amdhsa_exception_fp_denorm_src 0
		.amdhsa_exception_fp_ieee_div_zero 0
		.amdhsa_exception_fp_ieee_overflow 0
		.amdhsa_exception_fp_ieee_underflow 0
		.amdhsa_exception_fp_ieee_inexact 0
		.amdhsa_exception_int_div_zero 0
	.end_amdhsa_kernel
	.section	.text._ZN2at6native32elementwise_kernel_manual_unrollILi128ELi4EZNS0_15gpu_kernel_implIZZZNS0_21clamp_min_kernel_cudaERNS_18TensorIteratorBaseERKN3c106ScalarEENKUlvE_clEvENKUlvE_clEvEUlhE_EEvS4_RKT_EUlibE0_EEviT1_,"axG",@progbits,_ZN2at6native32elementwise_kernel_manual_unrollILi128ELi4EZNS0_15gpu_kernel_implIZZZNS0_21clamp_min_kernel_cudaERNS_18TensorIteratorBaseERKN3c106ScalarEENKUlvE_clEvENKUlvE_clEvEUlhE_EEvS4_RKT_EUlibE0_EEviT1_,comdat
.Lfunc_end353:
	.size	_ZN2at6native32elementwise_kernel_manual_unrollILi128ELi4EZNS0_15gpu_kernel_implIZZZNS0_21clamp_min_kernel_cudaERNS_18TensorIteratorBaseERKN3c106ScalarEENKUlvE_clEvENKUlvE_clEvEUlhE_EEvS4_RKT_EUlibE0_EEviT1_, .Lfunc_end353-_ZN2at6native32elementwise_kernel_manual_unrollILi128ELi4EZNS0_15gpu_kernel_implIZZZNS0_21clamp_min_kernel_cudaERNS_18TensorIteratorBaseERKN3c106ScalarEENKUlvE_clEvENKUlvE_clEvEUlhE_EEvS4_RKT_EUlibE0_EEviT1_
                                        ; -- End function
	.set _ZN2at6native32elementwise_kernel_manual_unrollILi128ELi4EZNS0_15gpu_kernel_implIZZZNS0_21clamp_min_kernel_cudaERNS_18TensorIteratorBaseERKN3c106ScalarEENKUlvE_clEvENKUlvE_clEvEUlhE_EEvS4_RKT_EUlibE0_EEviT1_.num_vgpr, 20
	.set _ZN2at6native32elementwise_kernel_manual_unrollILi128ELi4EZNS0_15gpu_kernel_implIZZZNS0_21clamp_min_kernel_cudaERNS_18TensorIteratorBaseERKN3c106ScalarEENKUlvE_clEvENKUlvE_clEvEUlhE_EEvS4_RKT_EUlibE0_EEviT1_.num_agpr, 0
	.set _ZN2at6native32elementwise_kernel_manual_unrollILi128ELi4EZNS0_15gpu_kernel_implIZZZNS0_21clamp_min_kernel_cudaERNS_18TensorIteratorBaseERKN3c106ScalarEENKUlvE_clEvENKUlvE_clEvEUlhE_EEvS4_RKT_EUlibE0_EEviT1_.numbered_sgpr, 79
	.set _ZN2at6native32elementwise_kernel_manual_unrollILi128ELi4EZNS0_15gpu_kernel_implIZZZNS0_21clamp_min_kernel_cudaERNS_18TensorIteratorBaseERKN3c106ScalarEENKUlvE_clEvENKUlvE_clEvEUlhE_EEvS4_RKT_EUlibE0_EEviT1_.num_named_barrier, 0
	.set _ZN2at6native32elementwise_kernel_manual_unrollILi128ELi4EZNS0_15gpu_kernel_implIZZZNS0_21clamp_min_kernel_cudaERNS_18TensorIteratorBaseERKN3c106ScalarEENKUlvE_clEvENKUlvE_clEvEUlhE_EEvS4_RKT_EUlibE0_EEviT1_.private_seg_size, 0
	.set _ZN2at6native32elementwise_kernel_manual_unrollILi128ELi4EZNS0_15gpu_kernel_implIZZZNS0_21clamp_min_kernel_cudaERNS_18TensorIteratorBaseERKN3c106ScalarEENKUlvE_clEvENKUlvE_clEvEUlhE_EEvS4_RKT_EUlibE0_EEviT1_.uses_vcc, 1
	.set _ZN2at6native32elementwise_kernel_manual_unrollILi128ELi4EZNS0_15gpu_kernel_implIZZZNS0_21clamp_min_kernel_cudaERNS_18TensorIteratorBaseERKN3c106ScalarEENKUlvE_clEvENKUlvE_clEvEUlhE_EEvS4_RKT_EUlibE0_EEviT1_.uses_flat_scratch, 0
	.set _ZN2at6native32elementwise_kernel_manual_unrollILi128ELi4EZNS0_15gpu_kernel_implIZZZNS0_21clamp_min_kernel_cudaERNS_18TensorIteratorBaseERKN3c106ScalarEENKUlvE_clEvENKUlvE_clEvEUlhE_EEvS4_RKT_EUlibE0_EEviT1_.has_dyn_sized_stack, 0
	.set _ZN2at6native32elementwise_kernel_manual_unrollILi128ELi4EZNS0_15gpu_kernel_implIZZZNS0_21clamp_min_kernel_cudaERNS_18TensorIteratorBaseERKN3c106ScalarEENKUlvE_clEvENKUlvE_clEvEUlhE_EEvS4_RKT_EUlibE0_EEviT1_.has_recursion, 0
	.set _ZN2at6native32elementwise_kernel_manual_unrollILi128ELi4EZNS0_15gpu_kernel_implIZZZNS0_21clamp_min_kernel_cudaERNS_18TensorIteratorBaseERKN3c106ScalarEENKUlvE_clEvENKUlvE_clEvEUlhE_EEvS4_RKT_EUlibE0_EEviT1_.has_indirect_call, 0
	.section	.AMDGPU.csdata,"",@progbits
; Kernel info:
; codeLenInByte = 38336
; TotalNumSgprs: 85
; NumVgprs: 20
; NumAgprs: 0
; TotalNumVgprs: 20
; ScratchSize: 0
; MemoryBound: 1
; FloatMode: 240
; IeeeMode: 1
; LDSByteSize: 0 bytes/workgroup (compile time only)
; SGPRBlocks: 10
; VGPRBlocks: 2
; NumSGPRsForWavesPerEU: 85
; NumVGPRsForWavesPerEU: 20
; AccumOffset: 20
; Occupancy: 8
; WaveLimiterHint : 1
; COMPUTE_PGM_RSRC2:SCRATCH_EN: 0
; COMPUTE_PGM_RSRC2:USER_SGPR: 2
; COMPUTE_PGM_RSRC2:TRAP_HANDLER: 0
; COMPUTE_PGM_RSRC2:TGID_X_EN: 1
; COMPUTE_PGM_RSRC2:TGID_Y_EN: 0
; COMPUTE_PGM_RSRC2:TGID_Z_EN: 0
; COMPUTE_PGM_RSRC2:TIDIG_COMP_CNT: 0
; COMPUTE_PGM_RSRC3_GFX90A:ACCUM_OFFSET: 4
; COMPUTE_PGM_RSRC3_GFX90A:TG_SPLIT: 0
	.section	.text._ZN2at6native29vectorized_elementwise_kernelILi16EZZZNS0_21clamp_min_kernel_cudaERNS_18TensorIteratorBaseERKN3c106ScalarEENKUlvE_clEvENKUlvE0_clEvEUlaE_St5arrayIPcLm2EEEEviT0_T1_,"axG",@progbits,_ZN2at6native29vectorized_elementwise_kernelILi16EZZZNS0_21clamp_min_kernel_cudaERNS_18TensorIteratorBaseERKN3c106ScalarEENKUlvE_clEvENKUlvE0_clEvEUlaE_St5arrayIPcLm2EEEEviT0_T1_,comdat
	.globl	_ZN2at6native29vectorized_elementwise_kernelILi16EZZZNS0_21clamp_min_kernel_cudaERNS_18TensorIteratorBaseERKN3c106ScalarEENKUlvE_clEvENKUlvE0_clEvEUlaE_St5arrayIPcLm2EEEEviT0_T1_ ; -- Begin function _ZN2at6native29vectorized_elementwise_kernelILi16EZZZNS0_21clamp_min_kernel_cudaERNS_18TensorIteratorBaseERKN3c106ScalarEENKUlvE_clEvENKUlvE0_clEvEUlaE_St5arrayIPcLm2EEEEviT0_T1_
	.p2align	8
	.type	_ZN2at6native29vectorized_elementwise_kernelILi16EZZZNS0_21clamp_min_kernel_cudaERNS_18TensorIteratorBaseERKN3c106ScalarEENKUlvE_clEvENKUlvE0_clEvEUlaE_St5arrayIPcLm2EEEEviT0_T1_,@function
_ZN2at6native29vectorized_elementwise_kernelILi16EZZZNS0_21clamp_min_kernel_cudaERNS_18TensorIteratorBaseERKN3c106ScalarEENKUlvE_clEvENKUlvE0_clEvEUlaE_St5arrayIPcLm2EEEEviT0_T1_: ; @_ZN2at6native29vectorized_elementwise_kernelILi16EZZZNS0_21clamp_min_kernel_cudaERNS_18TensorIteratorBaseERKN3c106ScalarEENKUlvE_clEvENKUlvE0_clEvEUlaE_St5arrayIPcLm2EEEEviT0_T1_
; %bb.0:
	s_load_dwordx2 s[8:9], s[0:1], 0x0
	s_load_dwordx4 s[4:7], s[0:1], 0x8
	s_lshl_b32 s33, s2, 12
	s_mov_b64 s[0:1], -1
	s_waitcnt lgkmcnt(0)
	s_sub_i32 s8, s8, s33
	s_cmpk_gt_i32 s8, 0xfff
	s_cbranch_scc0 .LBB354_2
; %bb.1:
	s_ashr_i32 s2, s33, 31
	s_add_u32 s0, s6, s33
	s_addc_u32 s1, s7, s2
	v_lshlrev_b32_e32 v1, 4, v0
	global_load_dwordx4 v[2:5], v1, s[0:1]
	s_add_u32 s0, s4, s33
	s_addc_u32 s1, s5, s2
	s_bfe_i32 s2, s9, 0x80000
	s_movk_i32 s3, 0xff
	s_waitcnt vmcnt(0)
	v_lshrrev_b32_e32 v6, 16, v2
	v_lshrrev_b32_e32 v7, 16, v3
	;; [unrolled: 1-line block ×4, first 2 shown]
	v_max_i16_sdwa v10, sext(v3), s2 dst_sel:DWORD dst_unused:UNUSED_PAD src0_sel:BYTE_0 src1_sel:DWORD
	v_max_i16_sdwa v11, sext(v3), s2 dst_sel:BYTE_1 dst_unused:UNUSED_PAD src0_sel:BYTE_1 src1_sel:DWORD
	v_max_i16_sdwa v12, sext(v2), s2 dst_sel:DWORD dst_unused:UNUSED_PAD src0_sel:BYTE_0 src1_sel:DWORD
	v_max_i16_sdwa v2, sext(v2), s2 dst_sel:BYTE_1 dst_unused:UNUSED_PAD src0_sel:BYTE_1 src1_sel:DWORD
	v_max_i16_sdwa v13, sext(v5), s2 dst_sel:DWORD dst_unused:UNUSED_PAD src0_sel:BYTE_0 src1_sel:DWORD
	v_max_i16_sdwa v5, sext(v5), s2 dst_sel:BYTE_1 dst_unused:UNUSED_PAD src0_sel:BYTE_1 src1_sel:DWORD
	v_max_i16_sdwa v3, sext(v3), s2 dst_sel:BYTE_1 dst_unused:UNUSED_PAD src0_sel:BYTE_3 src1_sel:DWORD
	v_bitop3_b16 v10, v10, v11, s3 bitop3:0xec
	v_max_i16_sdwa v7, sext(v7), s2 dst_sel:DWORD dst_unused:UNUSED_PAD src0_sel:BYTE_0 src1_sel:DWORD
	v_bitop3_b16 v2, v12, v2, s3 bitop3:0xec
	v_max_i16_sdwa v11, sext(v6), s2 dst_sel:DWORD dst_unused:UNUSED_PAD src0_sel:BYTE_0 src1_sel:DWORD
	v_max_i16_sdwa v6, sext(v6), s2 dst_sel:BYTE_1 dst_unused:UNUSED_PAD src0_sel:BYTE_1 src1_sel:DWORD
	v_bitop3_b16 v5, v13, v5, s3 bitop3:0xec
	v_max_i16_sdwa v12, sext(v9), s2 dst_sel:DWORD dst_unused:UNUSED_PAD src0_sel:BYTE_0 src1_sel:DWORD
	v_max_i16_sdwa v9, sext(v9), s2 dst_sel:BYTE_1 dst_unused:UNUSED_PAD src0_sel:BYTE_1 src1_sel:DWORD
	v_max_i16_sdwa v13, sext(v8), s2 dst_sel:DWORD dst_unused:UNUSED_PAD src0_sel:BYTE_0 src1_sel:DWORD
	v_max_i16_sdwa v8, sext(v8), s2 dst_sel:BYTE_1 dst_unused:UNUSED_PAD src0_sel:BYTE_1 src1_sel:DWORD
	v_max_i16_sdwa v14, sext(v4), s2 dst_sel:DWORD dst_unused:UNUSED_PAD src0_sel:BYTE_0 src1_sel:DWORD
	v_max_i16_sdwa v4, sext(v4), s2 dst_sel:BYTE_1 dst_unused:UNUSED_PAD src0_sel:BYTE_1 src1_sel:DWORD
	v_bitop3_b16 v3, v7, v3, s3 bitop3:0xec
	v_bitop3_b16 v6, v11, v6, s3 bitop3:0xec
	;; [unrolled: 1-line block ×5, first 2 shown]
	v_lshlrev_b32_e32 v3, 16, v3
	v_lshlrev_b32_e32 v6, 16, v6
	;; [unrolled: 1-line block ×4, first 2 shown]
	v_or_b32_sdwa v3, v10, v3 dst_sel:DWORD dst_unused:UNUSED_PAD src0_sel:WORD_0 src1_sel:DWORD
	v_or_b32_sdwa v2, v2, v6 dst_sel:DWORD dst_unused:UNUSED_PAD src0_sel:WORD_0 src1_sel:DWORD
	;; [unrolled: 1-line block ×4, first 2 shown]
	global_store_dwordx4 v1, v[2:5], s[0:1]
	s_mov_b64 s[0:1], 0
.LBB354_2:
	s_andn2_b64 vcc, exec, s[0:1]
	s_cbranch_vccnz .LBB354_52
; %bb.3:
	v_cmp_gt_i32_e32 vcc, s8, v0
	v_or_b32_e32 v1, 0x100, v0
	v_mov_b32_e32 v20, 0
	v_or_b32_e32 v6, s33, v0
	v_mov_b32_e32 v19, 0
	v_mov_b32_e32 v18, 0
	;; [unrolled: 1-line block ×15, first 2 shown]
	s_and_saveexec_b64 s[2:3], vcc
	s_cbranch_execz .LBB354_35
; %bb.4:
	global_load_ubyte v8, v6, s[6:7]
	v_cmp_gt_u32_e64 s[0:1], s8, v1
	v_mov_b32_e32 v7, 0
	v_mov_b32_e32 v3, 0
	;; [unrolled: 1-line block ×15, first 2 shown]
	s_and_saveexec_b64 s[10:11], s[0:1]
	s_cbranch_execz .LBB354_34
; %bb.5:
	v_add_u32_e32 v2, s33, v0
	global_load_ubyte v7, v2, s[6:7] offset:256
	v_or_b32_e32 v4, 0x200, v0
	v_mov_b32_e32 v3, 0
	v_cmp_gt_u32_e64 s[0:1], s8, v4
	v_mov_b32_e32 v4, 0
	v_mov_b32_e32 v9, 0
	;; [unrolled: 1-line block ×13, first 2 shown]
	s_and_saveexec_b64 s[12:13], s[0:1]
	s_cbranch_execz .LBB354_33
; %bb.6:
	v_lshl_add_u64 v[4:5], s[6:7], 0, v[2:3]
	global_load_ubyte v2, v[4:5], off offset:512
	v_or_b32_e32 v9, 0x300, v0
	v_cmp_gt_u32_e64 s[0:1], s8, v9
	v_mov_b32_e32 v9, 0
	v_mov_b32_e32 v10, 0
	;; [unrolled: 1-line block ×12, first 2 shown]
	s_and_saveexec_b64 s[6:7], s[0:1]
	s_cbranch_execz .LBB354_32
; %bb.7:
	global_load_ubyte v3, v[4:5], off offset:768
	v_or_b32_e32 v9, 0x400, v0
	v_cmp_gt_u32_e64 s[0:1], s8, v9
	v_mov_b32_e32 v9, 0
	v_mov_b32_e32 v10, 0
	;; [unrolled: 1-line block ×12, first 2 shown]
	s_and_saveexec_b64 s[14:15], s[0:1]
	s_cbranch_execz .LBB354_31
; %bb.8:
	global_load_ubyte v9, v[4:5], off offset:1024
	v_or_b32_e32 v10, 0x500, v0
	v_cmp_gt_u32_e64 s[0:1], s8, v10
	v_mov_b32_e32 v10, 0
	v_mov_b32_e32 v11, 0
	v_mov_b32_e32 v12, 0
	v_mov_b32_e32 v13, 0
	v_mov_b32_e32 v14, 0
	v_mov_b32_e32 v15, 0
	v_mov_b32_e32 v16, 0
	v_mov_b32_e32 v17, 0
	v_mov_b32_e32 v18, 0
	v_mov_b32_e32 v19, 0
	v_mov_b32_e32 v20, 0
	s_and_saveexec_b64 s[16:17], s[0:1]
	s_cbranch_execz .LBB354_30
; %bb.9:
	global_load_ubyte v10, v[4:5], off offset:1280
	v_or_b32_e32 v11, 0x600, v0
	v_cmp_gt_u32_e64 s[0:1], s8, v11
	v_mov_b32_e32 v11, 0
	v_mov_b32_e32 v12, 0
	;; [unrolled: 1-line block ×10, first 2 shown]
	s_and_saveexec_b64 s[18:19], s[0:1]
	s_cbranch_execz .LBB354_29
; %bb.10:
	global_load_ubyte v11, v[4:5], off offset:1536
	v_or_b32_e32 v12, 0x700, v0
	v_cmp_gt_u32_e64 s[0:1], s8, v12
	v_mov_b32_e32 v12, 0
	v_mov_b32_e32 v13, 0
	;; [unrolled: 1-line block ×9, first 2 shown]
	s_and_saveexec_b64 s[20:21], s[0:1]
	s_cbranch_execz .LBB354_28
; %bb.11:
	global_load_ubyte v12, v[4:5], off offset:1792
	v_or_b32_e32 v13, 0x800, v0
	v_cmp_gt_u32_e64 s[0:1], s8, v13
	v_mov_b32_e32 v13, 0
	v_mov_b32_e32 v14, 0
	v_mov_b32_e32 v15, 0
	v_mov_b32_e32 v16, 0
	v_mov_b32_e32 v17, 0
	v_mov_b32_e32 v18, 0
	v_mov_b32_e32 v19, 0
	v_mov_b32_e32 v20, 0
	s_and_saveexec_b64 s[22:23], s[0:1]
	s_cbranch_execz .LBB354_27
; %bb.12:
	global_load_ubyte v13, v[4:5], off offset:2048
	v_or_b32_e32 v14, 0x900, v0
	v_cmp_gt_u32_e64 s[0:1], s8, v14
	v_mov_b32_e32 v14, 0
	v_mov_b32_e32 v15, 0
	;; [unrolled: 1-line block ×7, first 2 shown]
	s_and_saveexec_b64 s[24:25], s[0:1]
	s_cbranch_execz .LBB354_26
; %bb.13:
	global_load_ubyte v14, v[4:5], off offset:2304
	v_or_b32_e32 v15, 0xa00, v0
	v_cmp_gt_u32_e64 s[0:1], s8, v15
	v_mov_b32_e32 v15, 0
	v_mov_b32_e32 v16, 0
	;; [unrolled: 1-line block ×6, first 2 shown]
	s_and_saveexec_b64 s[26:27], s[0:1]
	s_cbranch_execz .LBB354_25
; %bb.14:
	global_load_ubyte v15, v[4:5], off offset:2560
	v_or_b32_e32 v16, 0xb00, v0
	v_cmp_gt_u32_e64 s[0:1], s8, v16
	v_mov_b32_e32 v16, 0
	v_mov_b32_e32 v17, 0
	;; [unrolled: 1-line block ×5, first 2 shown]
	s_and_saveexec_b64 s[28:29], s[0:1]
	s_cbranch_execz .LBB354_24
; %bb.15:
	global_load_ubyte v16, v[4:5], off offset:2816
	v_or_b32_e32 v17, 0xc00, v0
	v_cmp_gt_u32_e64 s[0:1], s8, v17
	v_mov_b32_e32 v17, 0
	v_mov_b32_e32 v18, 0
	;; [unrolled: 1-line block ×4, first 2 shown]
	s_and_saveexec_b64 s[30:31], s[0:1]
	s_cbranch_execz .LBB354_23
; %bb.16:
	global_load_ubyte v17, v[4:5], off offset:3072
	v_or_b32_e32 v18, 0xd00, v0
	v_cmp_gt_u32_e64 s[0:1], s8, v18
	v_mov_b32_e32 v18, 0
	v_mov_b32_e32 v19, 0
	;; [unrolled: 1-line block ×3, first 2 shown]
	s_and_saveexec_b64 s[34:35], s[0:1]
	s_cbranch_execz .LBB354_22
; %bb.17:
	global_load_ubyte v18, v[4:5], off offset:3328
	v_or_b32_e32 v19, 0xe00, v0
	v_cmp_gt_u32_e64 s[0:1], s8, v19
	v_mov_b32_e32 v19, 0
	v_mov_b32_e32 v20, 0
	s_and_saveexec_b64 s[36:37], s[0:1]
	s_cbranch_execz .LBB354_21
; %bb.18:
	global_load_ubyte v19, v[4:5], off offset:3584
	v_or_b32_e32 v20, 0xf00, v0
	v_cmp_gt_u32_e64 s[0:1], s8, v20
	v_mov_b32_e32 v20, 0
	s_and_saveexec_b64 s[38:39], s[0:1]
	s_cbranch_execz .LBB354_20
; %bb.19:
	global_load_ubyte v20, v[4:5], off offset:3840
.LBB354_20:
	s_or_b64 exec, exec, s[38:39]
.LBB354_21:
	s_or_b64 exec, exec, s[36:37]
.LBB354_22:
	s_or_b64 exec, exec, s[34:35]
.LBB354_23:
	s_or_b64 exec, exec, s[30:31]
.LBB354_24:
	s_or_b64 exec, exec, s[28:29]
.LBB354_25:
	s_or_b64 exec, exec, s[26:27]
.LBB354_26:
	s_or_b64 exec, exec, s[24:25]
.LBB354_27:
	s_or_b64 exec, exec, s[22:23]
.LBB354_28:
	s_or_b64 exec, exec, s[20:21]
.LBB354_29:
	s_or_b64 exec, exec, s[18:19]
.LBB354_30:
	s_or_b64 exec, exec, s[16:17]
.LBB354_31:
	s_or_b64 exec, exec, s[14:15]
.LBB354_32:
	s_or_b64 exec, exec, s[6:7]
	s_waitcnt vmcnt(0)
	v_mov_b32_e32 v4, v3
	v_mov_b32_e32 v3, v2
.LBB354_33:
	s_or_b64 exec, exec, s[12:13]
.LBB354_34:
	s_or_b64 exec, exec, s[10:11]
.LBB354_35:
	s_or_b64 exec, exec, s[2:3]
	s_bfe_i32 s2, s9, 0x80000
	s_waitcnt vmcnt(0)
	v_max_i16_sdwa v2, sext(v8), s2 dst_sel:DWORD dst_unused:UNUSED_PAD src0_sel:BYTE_0 src1_sel:DWORD
	s_mov_b32 s6, 0xffff
	v_and_b32_sdwa v2, s6, v2 dst_sel:DWORD dst_unused:UNUSED_PAD src0_sel:DWORD src1_sel:BYTE_0
	v_cndmask_b32_e32 v2, 0, v2, vcc
	v_max_i16_sdwa v5, sext(v7), s2 dst_sel:BYTE_1 dst_unused:UNUSED_PAD src0_sel:BYTE_0 src1_sel:DWORD
	v_cmp_gt_i32_e64 s[0:1], s8, v1
	v_or_b32_e32 v5, v2, v5
	v_and_b32_e32 v5, 0xffff, v5
	v_cndmask_b32_e64 v2, v2, v5, s[0:1]
	v_max_i16_sdwa v3, sext(v3), s2 dst_sel:DWORD dst_unused:UNUSED_PAD src0_sel:BYTE_0 src1_sel:DWORD
	s_mov_b32 s7, 0xc0c0304
	v_or_b32_e32 v5, 0x200, v0
	v_perm_b32 v3, v3, v2, s7
	v_lshl_or_b32 v3, v3, 16, v2
	v_cmp_gt_i32_e64 s[0:1], s8, v5
	s_movk_i32 s3, 0xff
	v_max_i16_sdwa v4, sext(v4), s2 dst_sel:BYTE_1 dst_unused:UNUSED_PAD src0_sel:BYTE_0 src1_sel:DWORD
	v_cndmask_b32_e64 v2, v2, v3, s[0:1]
	v_lshrrev_b32_e32 v3, 16, v2
	v_bitop3_b16 v3, v3, v4, s3 bitop3:0xec
	v_or_b32_e32 v5, 0x300, v0
	v_lshlrev_b32_e32 v3, 16, v3
	v_and_or_b32 v3, v2, s6, v3
	v_cmp_gt_i32_e64 s[0:1], s8, v5
	s_mov_b32 s9, 0x3020104
	s_mov_b32 s10, 0xffff0000
	v_cndmask_b32_e64 v5, v2, v3, s[0:1]
	v_max_i16_sdwa v2, sext(v9), s2 dst_sel:DWORD dst_unused:UNUSED_PAD src0_sel:BYTE_0 src1_sel:DWORD
	v_or_b32_e32 v3, 0x400, v0
	v_perm_b32 v2, v2, 0, s9
	v_cmp_gt_i32_e64 s[0:1], s8, v3
	v_max_i16_sdwa v3, sext(v10), s2 dst_sel:BYTE_1 dst_unused:UNUSED_PAD src0_sel:BYTE_0 src1_sel:DWORD
	v_or_b32_e32 v4, 0x500, v0
	v_cndmask_b32_e64 v2, 0, v2, s[0:1]
	v_bitop3_b16 v3, v2, v3, s3 bitop3:0xec
	v_and_b32_e32 v3, 0xffff, v3
	v_and_or_b32 v3, v2, s10, v3
	v_cmp_gt_i32_e64 s[0:1], s8, v4
	v_max_i16_sdwa v4, sext(v11), s2 dst_sel:DWORD dst_unused:UNUSED_PAD src0_sel:BYTE_0 src1_sel:DWORD
	s_mov_b32 s11, 0x7000504
	v_cndmask_b32_e64 v2, v2, v3, s[0:1]
	v_or_b32_e32 v3, 0x600, v0
	v_perm_b32 v4, v2, v4, s11
	v_cmp_gt_i32_e64 s[0:1], s8, v3
	v_max_i16_sdwa v7, sext(v12), s2 dst_sel:BYTE_1 dst_unused:UNUSED_PAD src0_sel:BYTE_0 src1_sel:DWORD
	v_max_i16_sdwa v8, sext(v16), s2 dst_sel:BYTE_1 dst_unused:UNUSED_PAD src0_sel:BYTE_0 src1_sel:DWORD
	v_cndmask_b32_e64 v2, v2, v4, s[0:1]
	v_lshrrev_b32_e32 v3, 16, v2
	v_bitop3_b16 v3, v3, v7, s3 bitop3:0xec
	v_or_b32_e32 v4, 0x700, v0
	v_lshlrev_b32_e32 v3, 16, v3
	v_and_or_b32 v3, v2, s6, v3
	v_cmp_gt_i32_e64 s[0:1], s8, v4
	v_max_i16_sdwa v7, sext(v14), s2 dst_sel:BYTE_1 dst_unused:UNUSED_PAD src0_sel:BYTE_0 src1_sel:DWORD
	v_max_i16_sdwa v9, sext(v20), s2 dst_sel:BYTE_1 dst_unused:UNUSED_PAD src0_sel:BYTE_0 src1_sel:DWORD
	v_cndmask_b32_e64 v4, v2, v3, s[0:1]
	v_or_b32_e32 v2, 0x800, v0
	v_max_i16_sdwa v3, sext(v13), s2 dst_sel:DWORD dst_unused:UNUSED_PAD src0_sel:BYTE_0 src1_sel:DWORD
	v_and_b32_sdwa v3, s6, v3 dst_sel:DWORD dst_unused:UNUSED_PAD src0_sel:DWORD src1_sel:BYTE_0
	v_cmp_gt_i32_e64 s[0:1], s8, v2
	s_nop 1
	v_cndmask_b32_e64 v2, 0, v3, s[0:1]
	v_or_b32_e32 v3, 0x900, v0
	v_or_b32_e32 v7, v2, v7
	v_and_b32_e32 v7, 0xffff, v7
	v_cmp_gt_i32_e64 s[0:1], s8, v3
	v_or_b32_e32 v3, 0xa00, v0
	s_nop 0
	v_cndmask_b32_e64 v2, v2, v7, s[0:1]
	v_max_i16_sdwa v7, sext(v15), s2 dst_sel:DWORD dst_unused:UNUSED_PAD src0_sel:BYTE_0 src1_sel:DWORD
	v_perm_b32 v7, v7, v2, s7
	v_lshl_or_b32 v7, v7, 16, v2
	v_cmp_gt_i32_e64 s[0:1], s8, v3
	s_nop 1
	v_cndmask_b32_e64 v2, v2, v7, s[0:1]
	v_lshrrev_b32_e32 v3, 16, v2
	v_bitop3_b16 v3, v3, v8, s3 bitop3:0xec
	v_or_b32_e32 v7, 0xb00, v0
	v_lshlrev_b32_e32 v3, 16, v3
	v_and_or_b32 v3, v2, s6, v3
	v_cmp_gt_i32_e64 s[0:1], s8, v7
	v_or_b32_e32 v7, 0xc00, v0
	v_or_b32_e32 v8, 0xd00, v0
	v_cndmask_b32_e64 v3, v2, v3, s[0:1]
	v_max_i16_sdwa v2, sext(v17), s2 dst_sel:DWORD dst_unused:UNUSED_PAD src0_sel:BYTE_0 src1_sel:DWORD
	v_perm_b32 v2, v2, 0, s9
	v_cmp_gt_i32_e64 s[0:1], s8, v7
	v_max_i16_sdwa v7, sext(v18), s2 dst_sel:BYTE_1 dst_unused:UNUSED_PAD src0_sel:BYTE_0 src1_sel:DWORD
	s_nop 0
	v_cndmask_b32_e64 v2, 0, v2, s[0:1]
	v_bitop3_b16 v7, v2, v7, s3 bitop3:0xec
	v_and_b32_e32 v7, 0xffff, v7
	v_and_or_b32 v7, v2, s10, v7
	v_cmp_gt_i32_e64 s[0:1], s8, v8
	v_max_i16_sdwa v8, sext(v19), s2 dst_sel:DWORD dst_unused:UNUSED_PAD src0_sel:BYTE_0 src1_sel:DWORD
	s_nop 0
	v_cndmask_b32_e64 v2, v2, v7, s[0:1]
	v_or_b32_e32 v7, 0xe00, v0
	v_perm_b32 v8, v2, v8, s11
	v_cmp_gt_i32_e64 s[0:1], s8, v7
	s_nop 1
	v_cndmask_b32_e64 v2, v2, v8, s[0:1]
	v_lshrrev_b32_e32 v7, 16, v2
	v_bitop3_b16 v7, v7, v9, s3 bitop3:0xec
	v_or_b32_e32 v8, 0xf00, v0
	v_lshlrev_b32_e32 v7, 16, v7
	v_and_or_b32 v7, v2, s6, v7
	v_cmp_gt_i32_e64 s[0:1], s8, v8
	s_nop 1
	v_cndmask_b32_e64 v2, v2, v7, s[0:1]
	s_and_saveexec_b64 s[0:1], vcc
	s_cbranch_execnz .LBB354_53
; %bb.36:
	s_or_b64 exec, exec, s[0:1]
	v_cmp_gt_i32_e32 vcc, s8, v0
	s_and_saveexec_b64 s[0:1], vcc
	s_cbranch_execnz .LBB354_54
.LBB354_37:
	s_or_b64 exec, exec, s[0:1]
	v_cmp_gt_i32_e32 vcc, s8, v0
	s_and_saveexec_b64 s[0:1], vcc
	s_cbranch_execnz .LBB354_55
.LBB354_38:
	s_or_b64 exec, exec, s[0:1]
	v_cmp_gt_i32_e32 vcc, s8, v0
	s_and_saveexec_b64 s[0:1], vcc
	s_cbranch_execnz .LBB354_56
.LBB354_39:
	s_or_b64 exec, exec, s[0:1]
	v_cmp_gt_i32_e32 vcc, s8, v0
	s_and_saveexec_b64 s[0:1], vcc
	s_cbranch_execnz .LBB354_57
.LBB354_40:
	s_or_b64 exec, exec, s[0:1]
	v_cmp_gt_i32_e32 vcc, s8, v0
	s_and_saveexec_b64 s[0:1], vcc
	s_cbranch_execnz .LBB354_58
.LBB354_41:
	s_or_b64 exec, exec, s[0:1]
	v_cmp_gt_i32_e32 vcc, s8, v0
	s_and_saveexec_b64 s[0:1], vcc
	s_cbranch_execnz .LBB354_59
.LBB354_42:
	s_or_b64 exec, exec, s[0:1]
	v_cmp_gt_i32_e32 vcc, s8, v0
	s_and_saveexec_b64 s[0:1], vcc
	s_cbranch_execnz .LBB354_60
.LBB354_43:
	s_or_b64 exec, exec, s[0:1]
	v_cmp_gt_i32_e32 vcc, s8, v0
	s_and_saveexec_b64 s[0:1], vcc
	s_cbranch_execnz .LBB354_61
.LBB354_44:
	s_or_b64 exec, exec, s[0:1]
	v_cmp_gt_i32_e32 vcc, s8, v0
	s_and_saveexec_b64 s[0:1], vcc
	s_cbranch_execnz .LBB354_62
.LBB354_45:
	s_or_b64 exec, exec, s[0:1]
	v_cmp_gt_i32_e32 vcc, s8, v0
	s_and_saveexec_b64 s[0:1], vcc
	s_cbranch_execnz .LBB354_63
.LBB354_46:
	s_or_b64 exec, exec, s[0:1]
	v_cmp_gt_i32_e32 vcc, s8, v0
	s_and_saveexec_b64 s[0:1], vcc
	s_cbranch_execnz .LBB354_64
.LBB354_47:
	s_or_b64 exec, exec, s[0:1]
	v_cmp_gt_i32_e32 vcc, s8, v0
	s_and_saveexec_b64 s[0:1], vcc
	s_cbranch_execnz .LBB354_65
.LBB354_48:
	s_or_b64 exec, exec, s[0:1]
	v_cmp_gt_i32_e32 vcc, s8, v0
	s_and_saveexec_b64 s[0:1], vcc
	s_cbranch_execnz .LBB354_66
.LBB354_49:
	s_or_b64 exec, exec, s[0:1]
	v_cmp_gt_i32_e32 vcc, s8, v0
	s_and_saveexec_b64 s[0:1], vcc
	s_cbranch_execnz .LBB354_67
.LBB354_50:
	s_or_b64 exec, exec, s[0:1]
	v_cmp_gt_i32_e32 vcc, s8, v0
	s_and_saveexec_b64 s[0:1], vcc
	s_cbranch_execz .LBB354_52
.LBB354_51:
	v_lshrrev_b32_e32 v1, 24, v2
	v_add_u32_e32 v0, s33, v0
	global_store_byte v0, v1, s[4:5]
.LBB354_52:
	s_endpgm
.LBB354_53:
	v_mov_b32_e32 v0, v1
	global_store_byte v6, v5, s[4:5]
	s_or_b64 exec, exec, s[0:1]
	v_cmp_gt_i32_e32 vcc, s8, v0
	s_and_saveexec_b64 s[0:1], vcc
	s_cbranch_execz .LBB354_37
.LBB354_54:
	v_lshrrev_b32_e32 v1, 8, v5
	v_add_u32_e32 v6, s33, v0
	v_add_u32_e32 v0, 0x100, v0
	global_store_byte v6, v1, s[4:5]
	s_or_b64 exec, exec, s[0:1]
	v_cmp_gt_i32_e32 vcc, s8, v0
	s_and_saveexec_b64 s[0:1], vcc
	s_cbranch_execz .LBB354_38
.LBB354_55:
	v_add_u32_e32 v1, s33, v0
	v_add_u32_e32 v0, 0x100, v0
	global_store_byte_d16_hi v1, v5, s[4:5]
	s_or_b64 exec, exec, s[0:1]
	v_cmp_gt_i32_e32 vcc, s8, v0
	s_and_saveexec_b64 s[0:1], vcc
	s_cbranch_execz .LBB354_39
.LBB354_56:
	v_lshrrev_b32_e32 v1, 24, v5
	v_add_u32_e32 v5, s33, v0
	v_add_u32_e32 v0, 0x100, v0
	global_store_byte v5, v1, s[4:5]
	s_or_b64 exec, exec, s[0:1]
	v_cmp_gt_i32_e32 vcc, s8, v0
	s_and_saveexec_b64 s[0:1], vcc
	s_cbranch_execz .LBB354_40
.LBB354_57:
	v_add_u32_e32 v1, s33, v0
	v_add_u32_e32 v0, 0x100, v0
	global_store_byte v1, v4, s[4:5]
	s_or_b64 exec, exec, s[0:1]
	v_cmp_gt_i32_e32 vcc, s8, v0
	s_and_saveexec_b64 s[0:1], vcc
	s_cbranch_execz .LBB354_41
.LBB354_58:
	v_lshrrev_b32_e32 v1, 8, v4
	v_add_u32_e32 v5, s33, v0
	v_add_u32_e32 v0, 0x100, v0
	global_store_byte v5, v1, s[4:5]
	s_or_b64 exec, exec, s[0:1]
	v_cmp_gt_i32_e32 vcc, s8, v0
	s_and_saveexec_b64 s[0:1], vcc
	s_cbranch_execz .LBB354_42
.LBB354_59:
	v_add_u32_e32 v1, s33, v0
	v_add_u32_e32 v0, 0x100, v0
	global_store_byte_d16_hi v1, v4, s[4:5]
	s_or_b64 exec, exec, s[0:1]
	v_cmp_gt_i32_e32 vcc, s8, v0
	s_and_saveexec_b64 s[0:1], vcc
	s_cbranch_execz .LBB354_43
.LBB354_60:
	v_lshrrev_b32_e32 v1, 24, v4
	v_add_u32_e32 v4, s33, v0
	v_add_u32_e32 v0, 0x100, v0
	global_store_byte v4, v1, s[4:5]
	s_or_b64 exec, exec, s[0:1]
	v_cmp_gt_i32_e32 vcc, s8, v0
	s_and_saveexec_b64 s[0:1], vcc
	s_cbranch_execz .LBB354_44
.LBB354_61:
	v_add_u32_e32 v1, s33, v0
	v_add_u32_e32 v0, 0x100, v0
	global_store_byte v1, v3, s[4:5]
	s_or_b64 exec, exec, s[0:1]
	v_cmp_gt_i32_e32 vcc, s8, v0
	s_and_saveexec_b64 s[0:1], vcc
	s_cbranch_execz .LBB354_45
.LBB354_62:
	v_lshrrev_b32_e32 v1, 8, v3
	v_add_u32_e32 v4, s33, v0
	v_add_u32_e32 v0, 0x100, v0
	global_store_byte v4, v1, s[4:5]
	s_or_b64 exec, exec, s[0:1]
	v_cmp_gt_i32_e32 vcc, s8, v0
	s_and_saveexec_b64 s[0:1], vcc
	s_cbranch_execz .LBB354_46
.LBB354_63:
	v_add_u32_e32 v1, s33, v0
	v_add_u32_e32 v0, 0x100, v0
	global_store_byte_d16_hi v1, v3, s[4:5]
	s_or_b64 exec, exec, s[0:1]
	v_cmp_gt_i32_e32 vcc, s8, v0
	s_and_saveexec_b64 s[0:1], vcc
	s_cbranch_execz .LBB354_47
.LBB354_64:
	v_lshrrev_b32_e32 v1, 24, v3
	v_add_u32_e32 v3, s33, v0
	v_add_u32_e32 v0, 0x100, v0
	global_store_byte v3, v1, s[4:5]
	s_or_b64 exec, exec, s[0:1]
	v_cmp_gt_i32_e32 vcc, s8, v0
	s_and_saveexec_b64 s[0:1], vcc
	s_cbranch_execz .LBB354_48
.LBB354_65:
	v_add_u32_e32 v1, s33, v0
	v_add_u32_e32 v0, 0x100, v0
	global_store_byte v1, v2, s[4:5]
	s_or_b64 exec, exec, s[0:1]
	v_cmp_gt_i32_e32 vcc, s8, v0
	s_and_saveexec_b64 s[0:1], vcc
	s_cbranch_execz .LBB354_49
.LBB354_66:
	v_lshrrev_b32_e32 v1, 8, v2
	v_add_u32_e32 v3, s33, v0
	v_add_u32_e32 v0, 0x100, v0
	global_store_byte v3, v1, s[4:5]
	s_or_b64 exec, exec, s[0:1]
	v_cmp_gt_i32_e32 vcc, s8, v0
	s_and_saveexec_b64 s[0:1], vcc
	s_cbranch_execz .LBB354_50
.LBB354_67:
	v_add_u32_e32 v1, s33, v0
	v_add_u32_e32 v0, 0x100, v0
	global_store_byte_d16_hi v1, v2, s[4:5]
	s_or_b64 exec, exec, s[0:1]
	v_cmp_gt_i32_e32 vcc, s8, v0
	s_and_saveexec_b64 s[0:1], vcc
	s_cbranch_execnz .LBB354_51
	s_branch .LBB354_52
	.section	.rodata,"a",@progbits
	.p2align	6, 0x0
	.amdhsa_kernel _ZN2at6native29vectorized_elementwise_kernelILi16EZZZNS0_21clamp_min_kernel_cudaERNS_18TensorIteratorBaseERKN3c106ScalarEENKUlvE_clEvENKUlvE0_clEvEUlaE_St5arrayIPcLm2EEEEviT0_T1_
		.amdhsa_group_segment_fixed_size 0
		.amdhsa_private_segment_fixed_size 0
		.amdhsa_kernarg_size 24
		.amdhsa_user_sgpr_count 2
		.amdhsa_user_sgpr_dispatch_ptr 0
		.amdhsa_user_sgpr_queue_ptr 0
		.amdhsa_user_sgpr_kernarg_segment_ptr 1
		.amdhsa_user_sgpr_dispatch_id 0
		.amdhsa_user_sgpr_kernarg_preload_length 0
		.amdhsa_user_sgpr_kernarg_preload_offset 0
		.amdhsa_user_sgpr_private_segment_size 0
		.amdhsa_uses_dynamic_stack 0
		.amdhsa_enable_private_segment 0
		.amdhsa_system_sgpr_workgroup_id_x 1
		.amdhsa_system_sgpr_workgroup_id_y 0
		.amdhsa_system_sgpr_workgroup_id_z 0
		.amdhsa_system_sgpr_workgroup_info 0
		.amdhsa_system_vgpr_workitem_id 0
		.amdhsa_next_free_vgpr 21
		.amdhsa_next_free_sgpr 40
		.amdhsa_accum_offset 24
		.amdhsa_reserve_vcc 1
		.amdhsa_float_round_mode_32 0
		.amdhsa_float_round_mode_16_64 0
		.amdhsa_float_denorm_mode_32 3
		.amdhsa_float_denorm_mode_16_64 3
		.amdhsa_dx10_clamp 1
		.amdhsa_ieee_mode 1
		.amdhsa_fp16_overflow 0
		.amdhsa_tg_split 0
		.amdhsa_exception_fp_ieee_invalid_op 0
		.amdhsa_exception_fp_denorm_src 0
		.amdhsa_exception_fp_ieee_div_zero 0
		.amdhsa_exception_fp_ieee_overflow 0
		.amdhsa_exception_fp_ieee_underflow 0
		.amdhsa_exception_fp_ieee_inexact 0
		.amdhsa_exception_int_div_zero 0
	.end_amdhsa_kernel
	.section	.text._ZN2at6native29vectorized_elementwise_kernelILi16EZZZNS0_21clamp_min_kernel_cudaERNS_18TensorIteratorBaseERKN3c106ScalarEENKUlvE_clEvENKUlvE0_clEvEUlaE_St5arrayIPcLm2EEEEviT0_T1_,"axG",@progbits,_ZN2at6native29vectorized_elementwise_kernelILi16EZZZNS0_21clamp_min_kernel_cudaERNS_18TensorIteratorBaseERKN3c106ScalarEENKUlvE_clEvENKUlvE0_clEvEUlaE_St5arrayIPcLm2EEEEviT0_T1_,comdat
.Lfunc_end354:
	.size	_ZN2at6native29vectorized_elementwise_kernelILi16EZZZNS0_21clamp_min_kernel_cudaERNS_18TensorIteratorBaseERKN3c106ScalarEENKUlvE_clEvENKUlvE0_clEvEUlaE_St5arrayIPcLm2EEEEviT0_T1_, .Lfunc_end354-_ZN2at6native29vectorized_elementwise_kernelILi16EZZZNS0_21clamp_min_kernel_cudaERNS_18TensorIteratorBaseERKN3c106ScalarEENKUlvE_clEvENKUlvE0_clEvEUlaE_St5arrayIPcLm2EEEEviT0_T1_
                                        ; -- End function
	.set _ZN2at6native29vectorized_elementwise_kernelILi16EZZZNS0_21clamp_min_kernel_cudaERNS_18TensorIteratorBaseERKN3c106ScalarEENKUlvE_clEvENKUlvE0_clEvEUlaE_St5arrayIPcLm2EEEEviT0_T1_.num_vgpr, 21
	.set _ZN2at6native29vectorized_elementwise_kernelILi16EZZZNS0_21clamp_min_kernel_cudaERNS_18TensorIteratorBaseERKN3c106ScalarEENKUlvE_clEvENKUlvE0_clEvEUlaE_St5arrayIPcLm2EEEEviT0_T1_.num_agpr, 0
	.set _ZN2at6native29vectorized_elementwise_kernelILi16EZZZNS0_21clamp_min_kernel_cudaERNS_18TensorIteratorBaseERKN3c106ScalarEENKUlvE_clEvENKUlvE0_clEvEUlaE_St5arrayIPcLm2EEEEviT0_T1_.numbered_sgpr, 40
	.set _ZN2at6native29vectorized_elementwise_kernelILi16EZZZNS0_21clamp_min_kernel_cudaERNS_18TensorIteratorBaseERKN3c106ScalarEENKUlvE_clEvENKUlvE0_clEvEUlaE_St5arrayIPcLm2EEEEviT0_T1_.num_named_barrier, 0
	.set _ZN2at6native29vectorized_elementwise_kernelILi16EZZZNS0_21clamp_min_kernel_cudaERNS_18TensorIteratorBaseERKN3c106ScalarEENKUlvE_clEvENKUlvE0_clEvEUlaE_St5arrayIPcLm2EEEEviT0_T1_.private_seg_size, 0
	.set _ZN2at6native29vectorized_elementwise_kernelILi16EZZZNS0_21clamp_min_kernel_cudaERNS_18TensorIteratorBaseERKN3c106ScalarEENKUlvE_clEvENKUlvE0_clEvEUlaE_St5arrayIPcLm2EEEEviT0_T1_.uses_vcc, 1
	.set _ZN2at6native29vectorized_elementwise_kernelILi16EZZZNS0_21clamp_min_kernel_cudaERNS_18TensorIteratorBaseERKN3c106ScalarEENKUlvE_clEvENKUlvE0_clEvEUlaE_St5arrayIPcLm2EEEEviT0_T1_.uses_flat_scratch, 0
	.set _ZN2at6native29vectorized_elementwise_kernelILi16EZZZNS0_21clamp_min_kernel_cudaERNS_18TensorIteratorBaseERKN3c106ScalarEENKUlvE_clEvENKUlvE0_clEvEUlaE_St5arrayIPcLm2EEEEviT0_T1_.has_dyn_sized_stack, 0
	.set _ZN2at6native29vectorized_elementwise_kernelILi16EZZZNS0_21clamp_min_kernel_cudaERNS_18TensorIteratorBaseERKN3c106ScalarEENKUlvE_clEvENKUlvE0_clEvEUlaE_St5arrayIPcLm2EEEEviT0_T1_.has_recursion, 0
	.set _ZN2at6native29vectorized_elementwise_kernelILi16EZZZNS0_21clamp_min_kernel_cudaERNS_18TensorIteratorBaseERKN3c106ScalarEENKUlvE_clEvENKUlvE0_clEvEUlaE_St5arrayIPcLm2EEEEviT0_T1_.has_indirect_call, 0
	.section	.AMDGPU.csdata,"",@progbits
; Kernel info:
; codeLenInByte = 3144
; TotalNumSgprs: 46
; NumVgprs: 21
; NumAgprs: 0
; TotalNumVgprs: 21
; ScratchSize: 0
; MemoryBound: 0
; FloatMode: 240
; IeeeMode: 1
; LDSByteSize: 0 bytes/workgroup (compile time only)
; SGPRBlocks: 5
; VGPRBlocks: 2
; NumSGPRsForWavesPerEU: 46
; NumVGPRsForWavesPerEU: 21
; AccumOffset: 24
; Occupancy: 8
; WaveLimiterHint : 0
; COMPUTE_PGM_RSRC2:SCRATCH_EN: 0
; COMPUTE_PGM_RSRC2:USER_SGPR: 2
; COMPUTE_PGM_RSRC2:TRAP_HANDLER: 0
; COMPUTE_PGM_RSRC2:TGID_X_EN: 1
; COMPUTE_PGM_RSRC2:TGID_Y_EN: 0
; COMPUTE_PGM_RSRC2:TGID_Z_EN: 0
; COMPUTE_PGM_RSRC2:TIDIG_COMP_CNT: 0
; COMPUTE_PGM_RSRC3_GFX90A:ACCUM_OFFSET: 5
; COMPUTE_PGM_RSRC3_GFX90A:TG_SPLIT: 0
	.section	.text._ZN2at6native29vectorized_elementwise_kernelILi8EZZZNS0_21clamp_min_kernel_cudaERNS_18TensorIteratorBaseERKN3c106ScalarEENKUlvE_clEvENKUlvE0_clEvEUlaE_St5arrayIPcLm2EEEEviT0_T1_,"axG",@progbits,_ZN2at6native29vectorized_elementwise_kernelILi8EZZZNS0_21clamp_min_kernel_cudaERNS_18TensorIteratorBaseERKN3c106ScalarEENKUlvE_clEvENKUlvE0_clEvEUlaE_St5arrayIPcLm2EEEEviT0_T1_,comdat
	.globl	_ZN2at6native29vectorized_elementwise_kernelILi8EZZZNS0_21clamp_min_kernel_cudaERNS_18TensorIteratorBaseERKN3c106ScalarEENKUlvE_clEvENKUlvE0_clEvEUlaE_St5arrayIPcLm2EEEEviT0_T1_ ; -- Begin function _ZN2at6native29vectorized_elementwise_kernelILi8EZZZNS0_21clamp_min_kernel_cudaERNS_18TensorIteratorBaseERKN3c106ScalarEENKUlvE_clEvENKUlvE0_clEvEUlaE_St5arrayIPcLm2EEEEviT0_T1_
	.p2align	8
	.type	_ZN2at6native29vectorized_elementwise_kernelILi8EZZZNS0_21clamp_min_kernel_cudaERNS_18TensorIteratorBaseERKN3c106ScalarEENKUlvE_clEvENKUlvE0_clEvEUlaE_St5arrayIPcLm2EEEEviT0_T1_,@function
_ZN2at6native29vectorized_elementwise_kernelILi8EZZZNS0_21clamp_min_kernel_cudaERNS_18TensorIteratorBaseERKN3c106ScalarEENKUlvE_clEvENKUlvE0_clEvEUlaE_St5arrayIPcLm2EEEEviT0_T1_: ; @_ZN2at6native29vectorized_elementwise_kernelILi8EZZZNS0_21clamp_min_kernel_cudaERNS_18TensorIteratorBaseERKN3c106ScalarEENKUlvE_clEvENKUlvE0_clEvEUlaE_St5arrayIPcLm2EEEEviT0_T1_
; %bb.0:
	s_load_dwordx2 s[8:9], s[0:1], 0x0
	s_load_dwordx4 s[4:7], s[0:1], 0x8
	s_lshl_b32 s33, s2, 12
	s_mov_b64 s[0:1], -1
	s_waitcnt lgkmcnt(0)
	s_sub_i32 s8, s8, s33
	s_cmpk_gt_i32 s8, 0xfff
	s_cbranch_scc0 .LBB355_2
; %bb.1:
	s_ashr_i32 s2, s33, 31
	s_add_u32 s0, s6, s33
	s_addc_u32 s1, s7, s2
	v_lshlrev_b32_e32 v1, 3, v0
	global_load_dwordx2 v[2:3], v1, s[0:1]
	global_load_dwordx2 v[4:5], v1, s[0:1] offset:2048
	s_bfe_i32 s10, s9, 0x80000
	s_movk_i32 s3, 0xff
	s_add_u32 s0, s4, s33
	s_addc_u32 s1, s5, s2
	s_waitcnt vmcnt(1)
	v_lshrrev_b32_e32 v7, 16, v2
	v_lshrrev_b32_e32 v8, 24, v2
	v_max_i16_sdwa v9, sext(v3), s10 dst_sel:DWORD dst_unused:UNUSED_PAD src0_sel:BYTE_0 src1_sel:DWORD
	v_lshrrev_b32_e32 v10, 8, v3
	v_lshrrev_b32_e32 v11, 16, v3
	;; [unrolled: 1-line block ×3, first 2 shown]
	v_max_i16_sdwa v6, sext(v2), s10 dst_sel:DWORD dst_unused:UNUSED_PAD src0_sel:BYTE_0 src1_sel:DWORD
	v_lshrrev_b32_e32 v2, 8, v2
	s_waitcnt vmcnt(0)
	v_max_i16_sdwa v12, sext(v4), s10 dst_sel:DWORD dst_unused:UNUSED_PAD src0_sel:BYTE_0 src1_sel:DWORD
	v_lshrrev_b32_e32 v13, 8, v4
	v_lshrrev_b32_e32 v14, 16, v4
	;; [unrolled: 1-line block ×3, first 2 shown]
	v_max_i16_sdwa v15, sext(v5), s10 dst_sel:DWORD dst_unused:UNUSED_PAD src0_sel:BYTE_0 src1_sel:DWORD
	v_lshrrev_b32_e32 v16, 8, v5
	v_lshrrev_b32_e32 v17, 16, v5
	;; [unrolled: 1-line block ×3, first 2 shown]
	v_max_i16_sdwa v7, sext(v7), s10 dst_sel:DWORD dst_unused:UNUSED_PAD src0_sel:BYTE_0 src1_sel:DWORD
	v_max_i16_sdwa v8, sext(v8), s10 dst_sel:BYTE_1 dst_unused:UNUSED_PAD src0_sel:BYTE_0 src1_sel:DWORD
	v_max_i16_sdwa v11, sext(v11), s10 dst_sel:DWORD dst_unused:UNUSED_PAD src0_sel:BYTE_0 src1_sel:DWORD
	v_max_i16_sdwa v3, sext(v3), s10 dst_sel:BYTE_1 dst_unused:UNUSED_PAD src0_sel:BYTE_0 src1_sel:DWORD
	v_max_i16_sdwa v2, sext(v2), s10 dst_sel:BYTE_1 dst_unused:UNUSED_PAD src0_sel:BYTE_0 src1_sel:DWORD
	;; [unrolled: 1-line block ×3, first 2 shown]
	v_max_i16_sdwa v14, sext(v14), s10 dst_sel:DWORD dst_unused:UNUSED_PAD src0_sel:BYTE_0 src1_sel:DWORD
	v_max_i16_sdwa v4, sext(v4), s10 dst_sel:BYTE_1 dst_unused:UNUSED_PAD src0_sel:BYTE_0 src1_sel:DWORD
	v_max_i16_sdwa v17, sext(v17), s10 dst_sel:DWORD dst_unused:UNUSED_PAD src0_sel:BYTE_0 src1_sel:DWORD
	v_max_i16_sdwa v5, sext(v5), s10 dst_sel:BYTE_1 dst_unused:UNUSED_PAD src0_sel:BYTE_0 src1_sel:DWORD
	v_bitop3_b16 v7, v7, v8, s3 bitop3:0xec
	v_bitop3_b16 v3, v11, v3, s3 bitop3:0xec
	v_max_i16_sdwa v13, sext(v13), s10 dst_sel:BYTE_1 dst_unused:UNUSED_PAD src0_sel:BYTE_0 src1_sel:DWORD
	v_max_i16_sdwa v16, sext(v16), s10 dst_sel:BYTE_1 dst_unused:UNUSED_PAD src0_sel:BYTE_0 src1_sel:DWORD
	v_bitop3_b16 v2, v6, v2, s3 bitop3:0xec
	v_bitop3_b16 v6, v9, v10, s3 bitop3:0xec
	v_bitop3_b16 v4, v14, v4, s3 bitop3:0xec
	v_bitop3_b16 v5, v17, v5, s3 bitop3:0xec
	v_lshlrev_b32_e32 v7, 16, v7
	v_lshlrev_b32_e32 v3, 16, v3
	v_bitop3_b16 v8, v12, v13, s3 bitop3:0xec
	v_bitop3_b16 v9, v15, v16, s3 bitop3:0xec
	v_lshlrev_b32_e32 v4, 16, v4
	v_lshlrev_b32_e32 v5, 16, v5
	v_or_b32_sdwa v2, v2, v7 dst_sel:DWORD dst_unused:UNUSED_PAD src0_sel:WORD_0 src1_sel:DWORD
	v_or_b32_sdwa v3, v6, v3 dst_sel:DWORD dst_unused:UNUSED_PAD src0_sel:WORD_0 src1_sel:DWORD
	v_or_b32_sdwa v4, v8, v4 dst_sel:DWORD dst_unused:UNUSED_PAD src0_sel:WORD_0 src1_sel:DWORD
	v_or_b32_sdwa v5, v9, v5 dst_sel:DWORD dst_unused:UNUSED_PAD src0_sel:WORD_0 src1_sel:DWORD
	global_store_dwordx2 v1, v[2:3], s[0:1]
	global_store_dwordx2 v1, v[4:5], s[0:1] offset:2048
	s_mov_b64 s[0:1], 0
.LBB355_2:
	s_andn2_b64 vcc, exec, s[0:1]
	s_cbranch_vccnz .LBB355_52
; %bb.3:
	v_cmp_gt_i32_e32 vcc, s8, v0
	v_or_b32_e32 v1, 0x100, v0
	v_mov_b32_e32 v20, 0
	v_or_b32_e32 v6, s33, v0
	v_mov_b32_e32 v19, 0
	v_mov_b32_e32 v18, 0
	v_mov_b32_e32 v17, 0
	v_mov_b32_e32 v16, 0
	v_mov_b32_e32 v15, 0
	v_mov_b32_e32 v14, 0
	v_mov_b32_e32 v13, 0
	v_mov_b32_e32 v12, 0
	v_mov_b32_e32 v11, 0
	v_mov_b32_e32 v10, 0
	v_mov_b32_e32 v9, 0
	v_mov_b32_e32 v4, 0
	v_mov_b32_e32 v3, 0
	v_mov_b32_e32 v7, 0
	v_mov_b32_e32 v8, 0
	s_and_saveexec_b64 s[2:3], vcc
	s_cbranch_execz .LBB355_35
; %bb.4:
	global_load_ubyte v8, v6, s[6:7]
	v_cmp_gt_u32_e64 s[0:1], s8, v1
	v_mov_b32_e32 v7, 0
	v_mov_b32_e32 v3, 0
	;; [unrolled: 1-line block ×15, first 2 shown]
	s_and_saveexec_b64 s[10:11], s[0:1]
	s_cbranch_execz .LBB355_34
; %bb.5:
	v_add_u32_e32 v2, s33, v0
	global_load_ubyte v7, v2, s[6:7] offset:256
	v_or_b32_e32 v4, 0x200, v0
	v_mov_b32_e32 v3, 0
	v_cmp_gt_u32_e64 s[0:1], s8, v4
	v_mov_b32_e32 v4, 0
	v_mov_b32_e32 v9, 0
	;; [unrolled: 1-line block ×13, first 2 shown]
	s_and_saveexec_b64 s[12:13], s[0:1]
	s_cbranch_execz .LBB355_33
; %bb.6:
	v_lshl_add_u64 v[4:5], s[6:7], 0, v[2:3]
	global_load_ubyte v2, v[4:5], off offset:512
	v_or_b32_e32 v9, 0x300, v0
	v_cmp_gt_u32_e64 s[0:1], s8, v9
	v_mov_b32_e32 v9, 0
	v_mov_b32_e32 v10, 0
	;; [unrolled: 1-line block ×12, first 2 shown]
	s_and_saveexec_b64 s[6:7], s[0:1]
	s_cbranch_execz .LBB355_32
; %bb.7:
	global_load_ubyte v3, v[4:5], off offset:768
	v_or_b32_e32 v9, 0x400, v0
	v_cmp_gt_u32_e64 s[0:1], s8, v9
	v_mov_b32_e32 v9, 0
	v_mov_b32_e32 v10, 0
	;; [unrolled: 1-line block ×12, first 2 shown]
	s_and_saveexec_b64 s[14:15], s[0:1]
	s_cbranch_execz .LBB355_31
; %bb.8:
	global_load_ubyte v9, v[4:5], off offset:1024
	v_or_b32_e32 v10, 0x500, v0
	v_cmp_gt_u32_e64 s[0:1], s8, v10
	v_mov_b32_e32 v10, 0
	v_mov_b32_e32 v11, 0
	;; [unrolled: 1-line block ×11, first 2 shown]
	s_and_saveexec_b64 s[16:17], s[0:1]
	s_cbranch_execz .LBB355_30
; %bb.9:
	global_load_ubyte v10, v[4:5], off offset:1280
	v_or_b32_e32 v11, 0x600, v0
	v_cmp_gt_u32_e64 s[0:1], s8, v11
	v_mov_b32_e32 v11, 0
	v_mov_b32_e32 v12, 0
	;; [unrolled: 1-line block ×10, first 2 shown]
	s_and_saveexec_b64 s[18:19], s[0:1]
	s_cbranch_execz .LBB355_29
; %bb.10:
	global_load_ubyte v11, v[4:5], off offset:1536
	v_or_b32_e32 v12, 0x700, v0
	v_cmp_gt_u32_e64 s[0:1], s8, v12
	v_mov_b32_e32 v12, 0
	v_mov_b32_e32 v13, 0
	;; [unrolled: 1-line block ×9, first 2 shown]
	s_and_saveexec_b64 s[20:21], s[0:1]
	s_cbranch_execz .LBB355_28
; %bb.11:
	global_load_ubyte v12, v[4:5], off offset:1792
	v_or_b32_e32 v13, 0x800, v0
	v_cmp_gt_u32_e64 s[0:1], s8, v13
	v_mov_b32_e32 v13, 0
	v_mov_b32_e32 v14, 0
	;; [unrolled: 1-line block ×8, first 2 shown]
	s_and_saveexec_b64 s[22:23], s[0:1]
	s_cbranch_execz .LBB355_27
; %bb.12:
	global_load_ubyte v13, v[4:5], off offset:2048
	v_or_b32_e32 v14, 0x900, v0
	v_cmp_gt_u32_e64 s[0:1], s8, v14
	v_mov_b32_e32 v14, 0
	v_mov_b32_e32 v15, 0
	v_mov_b32_e32 v16, 0
	v_mov_b32_e32 v17, 0
	v_mov_b32_e32 v18, 0
	v_mov_b32_e32 v19, 0
	v_mov_b32_e32 v20, 0
	s_and_saveexec_b64 s[24:25], s[0:1]
	s_cbranch_execz .LBB355_26
; %bb.13:
	global_load_ubyte v14, v[4:5], off offset:2304
	v_or_b32_e32 v15, 0xa00, v0
	v_cmp_gt_u32_e64 s[0:1], s8, v15
	v_mov_b32_e32 v15, 0
	v_mov_b32_e32 v16, 0
	;; [unrolled: 1-line block ×6, first 2 shown]
	s_and_saveexec_b64 s[26:27], s[0:1]
	s_cbranch_execz .LBB355_25
; %bb.14:
	global_load_ubyte v15, v[4:5], off offset:2560
	v_or_b32_e32 v16, 0xb00, v0
	v_cmp_gt_u32_e64 s[0:1], s8, v16
	v_mov_b32_e32 v16, 0
	v_mov_b32_e32 v17, 0
	;; [unrolled: 1-line block ×5, first 2 shown]
	s_and_saveexec_b64 s[28:29], s[0:1]
	s_cbranch_execz .LBB355_24
; %bb.15:
	global_load_ubyte v16, v[4:5], off offset:2816
	v_or_b32_e32 v17, 0xc00, v0
	v_cmp_gt_u32_e64 s[0:1], s8, v17
	v_mov_b32_e32 v17, 0
	v_mov_b32_e32 v18, 0
	;; [unrolled: 1-line block ×4, first 2 shown]
	s_and_saveexec_b64 s[30:31], s[0:1]
	s_cbranch_execz .LBB355_23
; %bb.16:
	global_load_ubyte v17, v[4:5], off offset:3072
	v_or_b32_e32 v18, 0xd00, v0
	v_cmp_gt_u32_e64 s[0:1], s8, v18
	v_mov_b32_e32 v18, 0
	v_mov_b32_e32 v19, 0
	;; [unrolled: 1-line block ×3, first 2 shown]
	s_and_saveexec_b64 s[34:35], s[0:1]
	s_cbranch_execz .LBB355_22
; %bb.17:
	global_load_ubyte v18, v[4:5], off offset:3328
	v_or_b32_e32 v19, 0xe00, v0
	v_cmp_gt_u32_e64 s[0:1], s8, v19
	v_mov_b32_e32 v19, 0
	v_mov_b32_e32 v20, 0
	s_and_saveexec_b64 s[36:37], s[0:1]
	s_cbranch_execz .LBB355_21
; %bb.18:
	global_load_ubyte v19, v[4:5], off offset:3584
	v_or_b32_e32 v20, 0xf00, v0
	v_cmp_gt_u32_e64 s[0:1], s8, v20
	v_mov_b32_e32 v20, 0
	s_and_saveexec_b64 s[38:39], s[0:1]
	s_cbranch_execz .LBB355_20
; %bb.19:
	global_load_ubyte v20, v[4:5], off offset:3840
.LBB355_20:
	s_or_b64 exec, exec, s[38:39]
.LBB355_21:
	s_or_b64 exec, exec, s[36:37]
.LBB355_22:
	s_or_b64 exec, exec, s[34:35]
.LBB355_23:
	s_or_b64 exec, exec, s[30:31]
.LBB355_24:
	s_or_b64 exec, exec, s[28:29]
.LBB355_25:
	s_or_b64 exec, exec, s[26:27]
.LBB355_26:
	s_or_b64 exec, exec, s[24:25]
.LBB355_27:
	s_or_b64 exec, exec, s[22:23]
.LBB355_28:
	s_or_b64 exec, exec, s[20:21]
.LBB355_29:
	s_or_b64 exec, exec, s[18:19]
.LBB355_30:
	s_or_b64 exec, exec, s[16:17]
.LBB355_31:
	s_or_b64 exec, exec, s[14:15]
.LBB355_32:
	s_or_b64 exec, exec, s[6:7]
	s_waitcnt vmcnt(0)
	v_mov_b32_e32 v4, v3
	v_mov_b32_e32 v3, v2
.LBB355_33:
	s_or_b64 exec, exec, s[12:13]
.LBB355_34:
	s_or_b64 exec, exec, s[10:11]
.LBB355_35:
	s_or_b64 exec, exec, s[2:3]
	s_bfe_i32 s2, s9, 0x80000
	s_waitcnt vmcnt(0)
	v_max_i16_sdwa v2, sext(v8), s2 dst_sel:DWORD dst_unused:UNUSED_PAD src0_sel:BYTE_0 src1_sel:DWORD
	s_mov_b32 s6, 0xffff
	v_and_b32_sdwa v2, s6, v2 dst_sel:DWORD dst_unused:UNUSED_PAD src0_sel:DWORD src1_sel:BYTE_0
	v_cndmask_b32_e32 v2, 0, v2, vcc
	v_max_i16_sdwa v5, sext(v7), s2 dst_sel:BYTE_1 dst_unused:UNUSED_PAD src0_sel:BYTE_0 src1_sel:DWORD
	v_cmp_gt_i32_e64 s[0:1], s8, v1
	v_or_b32_e32 v5, v2, v5
	v_and_b32_e32 v5, 0xffff, v5
	v_cndmask_b32_e64 v2, v2, v5, s[0:1]
	v_max_i16_sdwa v3, sext(v3), s2 dst_sel:DWORD dst_unused:UNUSED_PAD src0_sel:BYTE_0 src1_sel:DWORD
	s_mov_b32 s7, 0xc0c0304
	v_or_b32_e32 v5, 0x200, v0
	v_perm_b32 v3, v3, v2, s7
	v_lshl_or_b32 v3, v3, 16, v2
	v_cmp_gt_i32_e64 s[0:1], s8, v5
	s_movk_i32 s3, 0xff
	v_max_i16_sdwa v4, sext(v4), s2 dst_sel:BYTE_1 dst_unused:UNUSED_PAD src0_sel:BYTE_0 src1_sel:DWORD
	v_cndmask_b32_e64 v2, v2, v3, s[0:1]
	v_lshrrev_b32_e32 v3, 16, v2
	v_bitop3_b16 v3, v3, v4, s3 bitop3:0xec
	v_or_b32_e32 v5, 0x300, v0
	v_lshlrev_b32_e32 v3, 16, v3
	v_and_or_b32 v3, v2, s6, v3
	v_cmp_gt_i32_e64 s[0:1], s8, v5
	s_mov_b32 s9, 0x3020104
	s_mov_b32 s10, 0xffff0000
	v_cndmask_b32_e64 v5, v2, v3, s[0:1]
	v_max_i16_sdwa v2, sext(v9), s2 dst_sel:DWORD dst_unused:UNUSED_PAD src0_sel:BYTE_0 src1_sel:DWORD
	v_or_b32_e32 v3, 0x400, v0
	v_perm_b32 v2, v2, 0, s9
	v_cmp_gt_i32_e64 s[0:1], s8, v3
	v_max_i16_sdwa v3, sext(v10), s2 dst_sel:BYTE_1 dst_unused:UNUSED_PAD src0_sel:BYTE_0 src1_sel:DWORD
	v_or_b32_e32 v4, 0x500, v0
	v_cndmask_b32_e64 v2, 0, v2, s[0:1]
	v_bitop3_b16 v3, v2, v3, s3 bitop3:0xec
	v_and_b32_e32 v3, 0xffff, v3
	v_and_or_b32 v3, v2, s10, v3
	v_cmp_gt_i32_e64 s[0:1], s8, v4
	v_max_i16_sdwa v4, sext(v11), s2 dst_sel:DWORD dst_unused:UNUSED_PAD src0_sel:BYTE_0 src1_sel:DWORD
	s_mov_b32 s11, 0x7000504
	v_cndmask_b32_e64 v2, v2, v3, s[0:1]
	v_or_b32_e32 v3, 0x600, v0
	v_perm_b32 v4, v2, v4, s11
	v_cmp_gt_i32_e64 s[0:1], s8, v3
	v_max_i16_sdwa v7, sext(v12), s2 dst_sel:BYTE_1 dst_unused:UNUSED_PAD src0_sel:BYTE_0 src1_sel:DWORD
	v_max_i16_sdwa v8, sext(v16), s2 dst_sel:BYTE_1 dst_unused:UNUSED_PAD src0_sel:BYTE_0 src1_sel:DWORD
	v_cndmask_b32_e64 v2, v2, v4, s[0:1]
	v_lshrrev_b32_e32 v3, 16, v2
	v_bitop3_b16 v3, v3, v7, s3 bitop3:0xec
	v_or_b32_e32 v4, 0x700, v0
	v_lshlrev_b32_e32 v3, 16, v3
	v_and_or_b32 v3, v2, s6, v3
	v_cmp_gt_i32_e64 s[0:1], s8, v4
	v_max_i16_sdwa v7, sext(v14), s2 dst_sel:BYTE_1 dst_unused:UNUSED_PAD src0_sel:BYTE_0 src1_sel:DWORD
	v_max_i16_sdwa v9, sext(v20), s2 dst_sel:BYTE_1 dst_unused:UNUSED_PAD src0_sel:BYTE_0 src1_sel:DWORD
	v_cndmask_b32_e64 v4, v2, v3, s[0:1]
	v_or_b32_e32 v2, 0x800, v0
	v_max_i16_sdwa v3, sext(v13), s2 dst_sel:DWORD dst_unused:UNUSED_PAD src0_sel:BYTE_0 src1_sel:DWORD
	v_and_b32_sdwa v3, s6, v3 dst_sel:DWORD dst_unused:UNUSED_PAD src0_sel:DWORD src1_sel:BYTE_0
	v_cmp_gt_i32_e64 s[0:1], s8, v2
	s_nop 1
	v_cndmask_b32_e64 v2, 0, v3, s[0:1]
	v_or_b32_e32 v3, 0x900, v0
	v_or_b32_e32 v7, v2, v7
	v_and_b32_e32 v7, 0xffff, v7
	v_cmp_gt_i32_e64 s[0:1], s8, v3
	v_or_b32_e32 v3, 0xa00, v0
	s_nop 0
	v_cndmask_b32_e64 v2, v2, v7, s[0:1]
	v_max_i16_sdwa v7, sext(v15), s2 dst_sel:DWORD dst_unused:UNUSED_PAD src0_sel:BYTE_0 src1_sel:DWORD
	v_perm_b32 v7, v7, v2, s7
	v_lshl_or_b32 v7, v7, 16, v2
	v_cmp_gt_i32_e64 s[0:1], s8, v3
	s_nop 1
	v_cndmask_b32_e64 v2, v2, v7, s[0:1]
	v_lshrrev_b32_e32 v3, 16, v2
	v_bitop3_b16 v3, v3, v8, s3 bitop3:0xec
	v_or_b32_e32 v7, 0xb00, v0
	v_lshlrev_b32_e32 v3, 16, v3
	v_and_or_b32 v3, v2, s6, v3
	v_cmp_gt_i32_e64 s[0:1], s8, v7
	v_or_b32_e32 v7, 0xc00, v0
	v_or_b32_e32 v8, 0xd00, v0
	v_cndmask_b32_e64 v3, v2, v3, s[0:1]
	v_max_i16_sdwa v2, sext(v17), s2 dst_sel:DWORD dst_unused:UNUSED_PAD src0_sel:BYTE_0 src1_sel:DWORD
	v_perm_b32 v2, v2, 0, s9
	v_cmp_gt_i32_e64 s[0:1], s8, v7
	v_max_i16_sdwa v7, sext(v18), s2 dst_sel:BYTE_1 dst_unused:UNUSED_PAD src0_sel:BYTE_0 src1_sel:DWORD
	s_nop 0
	v_cndmask_b32_e64 v2, 0, v2, s[0:1]
	v_bitop3_b16 v7, v2, v7, s3 bitop3:0xec
	v_and_b32_e32 v7, 0xffff, v7
	v_and_or_b32 v7, v2, s10, v7
	v_cmp_gt_i32_e64 s[0:1], s8, v8
	v_max_i16_sdwa v8, sext(v19), s2 dst_sel:DWORD dst_unused:UNUSED_PAD src0_sel:BYTE_0 src1_sel:DWORD
	s_nop 0
	v_cndmask_b32_e64 v2, v2, v7, s[0:1]
	v_or_b32_e32 v7, 0xe00, v0
	v_perm_b32 v8, v2, v8, s11
	v_cmp_gt_i32_e64 s[0:1], s8, v7
	s_nop 1
	v_cndmask_b32_e64 v2, v2, v8, s[0:1]
	v_lshrrev_b32_e32 v7, 16, v2
	v_bitop3_b16 v7, v7, v9, s3 bitop3:0xec
	v_or_b32_e32 v8, 0xf00, v0
	v_lshlrev_b32_e32 v7, 16, v7
	v_and_or_b32 v7, v2, s6, v7
	v_cmp_gt_i32_e64 s[0:1], s8, v8
	s_nop 1
	v_cndmask_b32_e64 v2, v2, v7, s[0:1]
	s_and_saveexec_b64 s[0:1], vcc
	s_cbranch_execnz .LBB355_53
; %bb.36:
	s_or_b64 exec, exec, s[0:1]
	v_cmp_gt_i32_e32 vcc, s8, v0
	s_and_saveexec_b64 s[0:1], vcc
	s_cbranch_execnz .LBB355_54
.LBB355_37:
	s_or_b64 exec, exec, s[0:1]
	v_cmp_gt_i32_e32 vcc, s8, v0
	s_and_saveexec_b64 s[0:1], vcc
	s_cbranch_execnz .LBB355_55
.LBB355_38:
	s_or_b64 exec, exec, s[0:1]
	v_cmp_gt_i32_e32 vcc, s8, v0
	s_and_saveexec_b64 s[0:1], vcc
	s_cbranch_execnz .LBB355_56
.LBB355_39:
	s_or_b64 exec, exec, s[0:1]
	v_cmp_gt_i32_e32 vcc, s8, v0
	s_and_saveexec_b64 s[0:1], vcc
	s_cbranch_execnz .LBB355_57
.LBB355_40:
	s_or_b64 exec, exec, s[0:1]
	v_cmp_gt_i32_e32 vcc, s8, v0
	s_and_saveexec_b64 s[0:1], vcc
	s_cbranch_execnz .LBB355_58
.LBB355_41:
	s_or_b64 exec, exec, s[0:1]
	v_cmp_gt_i32_e32 vcc, s8, v0
	s_and_saveexec_b64 s[0:1], vcc
	s_cbranch_execnz .LBB355_59
.LBB355_42:
	s_or_b64 exec, exec, s[0:1]
	v_cmp_gt_i32_e32 vcc, s8, v0
	s_and_saveexec_b64 s[0:1], vcc
	s_cbranch_execnz .LBB355_60
.LBB355_43:
	s_or_b64 exec, exec, s[0:1]
	v_cmp_gt_i32_e32 vcc, s8, v0
	s_and_saveexec_b64 s[0:1], vcc
	s_cbranch_execnz .LBB355_61
.LBB355_44:
	s_or_b64 exec, exec, s[0:1]
	v_cmp_gt_i32_e32 vcc, s8, v0
	s_and_saveexec_b64 s[0:1], vcc
	s_cbranch_execnz .LBB355_62
.LBB355_45:
	s_or_b64 exec, exec, s[0:1]
	v_cmp_gt_i32_e32 vcc, s8, v0
	s_and_saveexec_b64 s[0:1], vcc
	s_cbranch_execnz .LBB355_63
.LBB355_46:
	s_or_b64 exec, exec, s[0:1]
	v_cmp_gt_i32_e32 vcc, s8, v0
	s_and_saveexec_b64 s[0:1], vcc
	s_cbranch_execnz .LBB355_64
.LBB355_47:
	s_or_b64 exec, exec, s[0:1]
	v_cmp_gt_i32_e32 vcc, s8, v0
	s_and_saveexec_b64 s[0:1], vcc
	s_cbranch_execnz .LBB355_65
.LBB355_48:
	s_or_b64 exec, exec, s[0:1]
	v_cmp_gt_i32_e32 vcc, s8, v0
	s_and_saveexec_b64 s[0:1], vcc
	s_cbranch_execnz .LBB355_66
.LBB355_49:
	s_or_b64 exec, exec, s[0:1]
	v_cmp_gt_i32_e32 vcc, s8, v0
	s_and_saveexec_b64 s[0:1], vcc
	s_cbranch_execnz .LBB355_67
.LBB355_50:
	s_or_b64 exec, exec, s[0:1]
	v_cmp_gt_i32_e32 vcc, s8, v0
	s_and_saveexec_b64 s[0:1], vcc
	s_cbranch_execz .LBB355_52
.LBB355_51:
	v_lshrrev_b32_e32 v1, 24, v2
	v_add_u32_e32 v0, s33, v0
	global_store_byte v0, v1, s[4:5]
.LBB355_52:
	s_endpgm
.LBB355_53:
	v_mov_b32_e32 v0, v1
	global_store_byte v6, v5, s[4:5]
	s_or_b64 exec, exec, s[0:1]
	v_cmp_gt_i32_e32 vcc, s8, v0
	s_and_saveexec_b64 s[0:1], vcc
	s_cbranch_execz .LBB355_37
.LBB355_54:
	v_lshrrev_b32_e32 v1, 8, v5
	v_add_u32_e32 v6, s33, v0
	v_add_u32_e32 v0, 0x100, v0
	global_store_byte v6, v1, s[4:5]
	s_or_b64 exec, exec, s[0:1]
	v_cmp_gt_i32_e32 vcc, s8, v0
	s_and_saveexec_b64 s[0:1], vcc
	s_cbranch_execz .LBB355_38
.LBB355_55:
	v_add_u32_e32 v1, s33, v0
	v_add_u32_e32 v0, 0x100, v0
	global_store_byte_d16_hi v1, v5, s[4:5]
	s_or_b64 exec, exec, s[0:1]
	v_cmp_gt_i32_e32 vcc, s8, v0
	s_and_saveexec_b64 s[0:1], vcc
	s_cbranch_execz .LBB355_39
.LBB355_56:
	v_lshrrev_b32_e32 v1, 24, v5
	v_add_u32_e32 v5, s33, v0
	v_add_u32_e32 v0, 0x100, v0
	global_store_byte v5, v1, s[4:5]
	s_or_b64 exec, exec, s[0:1]
	v_cmp_gt_i32_e32 vcc, s8, v0
	s_and_saveexec_b64 s[0:1], vcc
	s_cbranch_execz .LBB355_40
.LBB355_57:
	v_add_u32_e32 v1, s33, v0
	v_add_u32_e32 v0, 0x100, v0
	global_store_byte v1, v4, s[4:5]
	s_or_b64 exec, exec, s[0:1]
	v_cmp_gt_i32_e32 vcc, s8, v0
	s_and_saveexec_b64 s[0:1], vcc
	s_cbranch_execz .LBB355_41
.LBB355_58:
	v_lshrrev_b32_e32 v1, 8, v4
	v_add_u32_e32 v5, s33, v0
	v_add_u32_e32 v0, 0x100, v0
	global_store_byte v5, v1, s[4:5]
	s_or_b64 exec, exec, s[0:1]
	v_cmp_gt_i32_e32 vcc, s8, v0
	s_and_saveexec_b64 s[0:1], vcc
	s_cbranch_execz .LBB355_42
.LBB355_59:
	v_add_u32_e32 v1, s33, v0
	v_add_u32_e32 v0, 0x100, v0
	global_store_byte_d16_hi v1, v4, s[4:5]
	s_or_b64 exec, exec, s[0:1]
	v_cmp_gt_i32_e32 vcc, s8, v0
	s_and_saveexec_b64 s[0:1], vcc
	s_cbranch_execz .LBB355_43
.LBB355_60:
	v_lshrrev_b32_e32 v1, 24, v4
	v_add_u32_e32 v4, s33, v0
	v_add_u32_e32 v0, 0x100, v0
	global_store_byte v4, v1, s[4:5]
	s_or_b64 exec, exec, s[0:1]
	v_cmp_gt_i32_e32 vcc, s8, v0
	s_and_saveexec_b64 s[0:1], vcc
	s_cbranch_execz .LBB355_44
.LBB355_61:
	v_add_u32_e32 v1, s33, v0
	v_add_u32_e32 v0, 0x100, v0
	global_store_byte v1, v3, s[4:5]
	s_or_b64 exec, exec, s[0:1]
	v_cmp_gt_i32_e32 vcc, s8, v0
	s_and_saveexec_b64 s[0:1], vcc
	s_cbranch_execz .LBB355_45
.LBB355_62:
	v_lshrrev_b32_e32 v1, 8, v3
	v_add_u32_e32 v4, s33, v0
	v_add_u32_e32 v0, 0x100, v0
	global_store_byte v4, v1, s[4:5]
	s_or_b64 exec, exec, s[0:1]
	v_cmp_gt_i32_e32 vcc, s8, v0
	s_and_saveexec_b64 s[0:1], vcc
	s_cbranch_execz .LBB355_46
.LBB355_63:
	v_add_u32_e32 v1, s33, v0
	v_add_u32_e32 v0, 0x100, v0
	global_store_byte_d16_hi v1, v3, s[4:5]
	s_or_b64 exec, exec, s[0:1]
	v_cmp_gt_i32_e32 vcc, s8, v0
	s_and_saveexec_b64 s[0:1], vcc
	s_cbranch_execz .LBB355_47
.LBB355_64:
	v_lshrrev_b32_e32 v1, 24, v3
	v_add_u32_e32 v3, s33, v0
	v_add_u32_e32 v0, 0x100, v0
	global_store_byte v3, v1, s[4:5]
	s_or_b64 exec, exec, s[0:1]
	v_cmp_gt_i32_e32 vcc, s8, v0
	s_and_saveexec_b64 s[0:1], vcc
	s_cbranch_execz .LBB355_48
.LBB355_65:
	v_add_u32_e32 v1, s33, v0
	v_add_u32_e32 v0, 0x100, v0
	global_store_byte v1, v2, s[4:5]
	s_or_b64 exec, exec, s[0:1]
	v_cmp_gt_i32_e32 vcc, s8, v0
	s_and_saveexec_b64 s[0:1], vcc
	s_cbranch_execz .LBB355_49
.LBB355_66:
	v_lshrrev_b32_e32 v1, 8, v2
	v_add_u32_e32 v3, s33, v0
	v_add_u32_e32 v0, 0x100, v0
	global_store_byte v3, v1, s[4:5]
	s_or_b64 exec, exec, s[0:1]
	v_cmp_gt_i32_e32 vcc, s8, v0
	s_and_saveexec_b64 s[0:1], vcc
	s_cbranch_execz .LBB355_50
.LBB355_67:
	v_add_u32_e32 v1, s33, v0
	v_add_u32_e32 v0, 0x100, v0
	global_store_byte_d16_hi v1, v2, s[4:5]
	s_or_b64 exec, exec, s[0:1]
	v_cmp_gt_i32_e32 vcc, s8, v0
	s_and_saveexec_b64 s[0:1], vcc
	s_cbranch_execnz .LBB355_51
	s_branch .LBB355_52
	.section	.rodata,"a",@progbits
	.p2align	6, 0x0
	.amdhsa_kernel _ZN2at6native29vectorized_elementwise_kernelILi8EZZZNS0_21clamp_min_kernel_cudaERNS_18TensorIteratorBaseERKN3c106ScalarEENKUlvE_clEvENKUlvE0_clEvEUlaE_St5arrayIPcLm2EEEEviT0_T1_
		.amdhsa_group_segment_fixed_size 0
		.amdhsa_private_segment_fixed_size 0
		.amdhsa_kernarg_size 24
		.amdhsa_user_sgpr_count 2
		.amdhsa_user_sgpr_dispatch_ptr 0
		.amdhsa_user_sgpr_queue_ptr 0
		.amdhsa_user_sgpr_kernarg_segment_ptr 1
		.amdhsa_user_sgpr_dispatch_id 0
		.amdhsa_user_sgpr_kernarg_preload_length 0
		.amdhsa_user_sgpr_kernarg_preload_offset 0
		.amdhsa_user_sgpr_private_segment_size 0
		.amdhsa_uses_dynamic_stack 0
		.amdhsa_enable_private_segment 0
		.amdhsa_system_sgpr_workgroup_id_x 1
		.amdhsa_system_sgpr_workgroup_id_y 0
		.amdhsa_system_sgpr_workgroup_id_z 0
		.amdhsa_system_sgpr_workgroup_info 0
		.amdhsa_system_vgpr_workitem_id 0
		.amdhsa_next_free_vgpr 21
		.amdhsa_next_free_sgpr 40
		.amdhsa_accum_offset 24
		.amdhsa_reserve_vcc 1
		.amdhsa_float_round_mode_32 0
		.amdhsa_float_round_mode_16_64 0
		.amdhsa_float_denorm_mode_32 3
		.amdhsa_float_denorm_mode_16_64 3
		.amdhsa_dx10_clamp 1
		.amdhsa_ieee_mode 1
		.amdhsa_fp16_overflow 0
		.amdhsa_tg_split 0
		.amdhsa_exception_fp_ieee_invalid_op 0
		.amdhsa_exception_fp_denorm_src 0
		.amdhsa_exception_fp_ieee_div_zero 0
		.amdhsa_exception_fp_ieee_overflow 0
		.amdhsa_exception_fp_ieee_underflow 0
		.amdhsa_exception_fp_ieee_inexact 0
		.amdhsa_exception_int_div_zero 0
	.end_amdhsa_kernel
	.section	.text._ZN2at6native29vectorized_elementwise_kernelILi8EZZZNS0_21clamp_min_kernel_cudaERNS_18TensorIteratorBaseERKN3c106ScalarEENKUlvE_clEvENKUlvE0_clEvEUlaE_St5arrayIPcLm2EEEEviT0_T1_,"axG",@progbits,_ZN2at6native29vectorized_elementwise_kernelILi8EZZZNS0_21clamp_min_kernel_cudaERNS_18TensorIteratorBaseERKN3c106ScalarEENKUlvE_clEvENKUlvE0_clEvEUlaE_St5arrayIPcLm2EEEEviT0_T1_,comdat
.Lfunc_end355:
	.size	_ZN2at6native29vectorized_elementwise_kernelILi8EZZZNS0_21clamp_min_kernel_cudaERNS_18TensorIteratorBaseERKN3c106ScalarEENKUlvE_clEvENKUlvE0_clEvEUlaE_St5arrayIPcLm2EEEEviT0_T1_, .Lfunc_end355-_ZN2at6native29vectorized_elementwise_kernelILi8EZZZNS0_21clamp_min_kernel_cudaERNS_18TensorIteratorBaseERKN3c106ScalarEENKUlvE_clEvENKUlvE0_clEvEUlaE_St5arrayIPcLm2EEEEviT0_T1_
                                        ; -- End function
	.set _ZN2at6native29vectorized_elementwise_kernelILi8EZZZNS0_21clamp_min_kernel_cudaERNS_18TensorIteratorBaseERKN3c106ScalarEENKUlvE_clEvENKUlvE0_clEvEUlaE_St5arrayIPcLm2EEEEviT0_T1_.num_vgpr, 21
	.set _ZN2at6native29vectorized_elementwise_kernelILi8EZZZNS0_21clamp_min_kernel_cudaERNS_18TensorIteratorBaseERKN3c106ScalarEENKUlvE_clEvENKUlvE0_clEvEUlaE_St5arrayIPcLm2EEEEviT0_T1_.num_agpr, 0
	.set _ZN2at6native29vectorized_elementwise_kernelILi8EZZZNS0_21clamp_min_kernel_cudaERNS_18TensorIteratorBaseERKN3c106ScalarEENKUlvE_clEvENKUlvE0_clEvEUlaE_St5arrayIPcLm2EEEEviT0_T1_.numbered_sgpr, 40
	.set _ZN2at6native29vectorized_elementwise_kernelILi8EZZZNS0_21clamp_min_kernel_cudaERNS_18TensorIteratorBaseERKN3c106ScalarEENKUlvE_clEvENKUlvE0_clEvEUlaE_St5arrayIPcLm2EEEEviT0_T1_.num_named_barrier, 0
	.set _ZN2at6native29vectorized_elementwise_kernelILi8EZZZNS0_21clamp_min_kernel_cudaERNS_18TensorIteratorBaseERKN3c106ScalarEENKUlvE_clEvENKUlvE0_clEvEUlaE_St5arrayIPcLm2EEEEviT0_T1_.private_seg_size, 0
	.set _ZN2at6native29vectorized_elementwise_kernelILi8EZZZNS0_21clamp_min_kernel_cudaERNS_18TensorIteratorBaseERKN3c106ScalarEENKUlvE_clEvENKUlvE0_clEvEUlaE_St5arrayIPcLm2EEEEviT0_T1_.uses_vcc, 1
	.set _ZN2at6native29vectorized_elementwise_kernelILi8EZZZNS0_21clamp_min_kernel_cudaERNS_18TensorIteratorBaseERKN3c106ScalarEENKUlvE_clEvENKUlvE0_clEvEUlaE_St5arrayIPcLm2EEEEviT0_T1_.uses_flat_scratch, 0
	.set _ZN2at6native29vectorized_elementwise_kernelILi8EZZZNS0_21clamp_min_kernel_cudaERNS_18TensorIteratorBaseERKN3c106ScalarEENKUlvE_clEvENKUlvE0_clEvEUlaE_St5arrayIPcLm2EEEEviT0_T1_.has_dyn_sized_stack, 0
	.set _ZN2at6native29vectorized_elementwise_kernelILi8EZZZNS0_21clamp_min_kernel_cudaERNS_18TensorIteratorBaseERKN3c106ScalarEENKUlvE_clEvENKUlvE0_clEvEUlaE_St5arrayIPcLm2EEEEviT0_T1_.has_recursion, 0
	.set _ZN2at6native29vectorized_elementwise_kernelILi8EZZZNS0_21clamp_min_kernel_cudaERNS_18TensorIteratorBaseERKN3c106ScalarEENKUlvE_clEvENKUlvE0_clEvEUlaE_St5arrayIPcLm2EEEEviT0_T1_.has_indirect_call, 0
	.section	.AMDGPU.csdata,"",@progbits
; Kernel info:
; codeLenInByte = 3196
; TotalNumSgprs: 46
; NumVgprs: 21
; NumAgprs: 0
; TotalNumVgprs: 21
; ScratchSize: 0
; MemoryBound: 0
; FloatMode: 240
; IeeeMode: 1
; LDSByteSize: 0 bytes/workgroup (compile time only)
; SGPRBlocks: 5
; VGPRBlocks: 2
; NumSGPRsForWavesPerEU: 46
; NumVGPRsForWavesPerEU: 21
; AccumOffset: 24
; Occupancy: 8
; WaveLimiterHint : 1
; COMPUTE_PGM_RSRC2:SCRATCH_EN: 0
; COMPUTE_PGM_RSRC2:USER_SGPR: 2
; COMPUTE_PGM_RSRC2:TRAP_HANDLER: 0
; COMPUTE_PGM_RSRC2:TGID_X_EN: 1
; COMPUTE_PGM_RSRC2:TGID_Y_EN: 0
; COMPUTE_PGM_RSRC2:TGID_Z_EN: 0
; COMPUTE_PGM_RSRC2:TIDIG_COMP_CNT: 0
; COMPUTE_PGM_RSRC3_GFX90A:ACCUM_OFFSET: 5
; COMPUTE_PGM_RSRC3_GFX90A:TG_SPLIT: 0
	.section	.text._ZN2at6native29vectorized_elementwise_kernelILi4EZZZNS0_21clamp_min_kernel_cudaERNS_18TensorIteratorBaseERKN3c106ScalarEENKUlvE_clEvENKUlvE0_clEvEUlaE_St5arrayIPcLm2EEEEviT0_T1_,"axG",@progbits,_ZN2at6native29vectorized_elementwise_kernelILi4EZZZNS0_21clamp_min_kernel_cudaERNS_18TensorIteratorBaseERKN3c106ScalarEENKUlvE_clEvENKUlvE0_clEvEUlaE_St5arrayIPcLm2EEEEviT0_T1_,comdat
	.globl	_ZN2at6native29vectorized_elementwise_kernelILi4EZZZNS0_21clamp_min_kernel_cudaERNS_18TensorIteratorBaseERKN3c106ScalarEENKUlvE_clEvENKUlvE0_clEvEUlaE_St5arrayIPcLm2EEEEviT0_T1_ ; -- Begin function _ZN2at6native29vectorized_elementwise_kernelILi4EZZZNS0_21clamp_min_kernel_cudaERNS_18TensorIteratorBaseERKN3c106ScalarEENKUlvE_clEvENKUlvE0_clEvEUlaE_St5arrayIPcLm2EEEEviT0_T1_
	.p2align	8
	.type	_ZN2at6native29vectorized_elementwise_kernelILi4EZZZNS0_21clamp_min_kernel_cudaERNS_18TensorIteratorBaseERKN3c106ScalarEENKUlvE_clEvENKUlvE0_clEvEUlaE_St5arrayIPcLm2EEEEviT0_T1_,@function
_ZN2at6native29vectorized_elementwise_kernelILi4EZZZNS0_21clamp_min_kernel_cudaERNS_18TensorIteratorBaseERKN3c106ScalarEENKUlvE_clEvENKUlvE0_clEvEUlaE_St5arrayIPcLm2EEEEviT0_T1_: ; @_ZN2at6native29vectorized_elementwise_kernelILi4EZZZNS0_21clamp_min_kernel_cudaERNS_18TensorIteratorBaseERKN3c106ScalarEENKUlvE_clEvENKUlvE0_clEvEUlaE_St5arrayIPcLm2EEEEviT0_T1_
; %bb.0:
	s_load_dwordx2 s[8:9], s[0:1], 0x0
	s_load_dwordx4 s[4:7], s[0:1], 0x8
	s_lshl_b32 s33, s2, 12
	s_mov_b64 s[0:1], -1
	s_waitcnt lgkmcnt(0)
	s_sub_i32 s8, s8, s33
	s_cmpk_gt_i32 s8, 0xfff
	s_cbranch_scc0 .LBB356_2
; %bb.1:
	s_ashr_i32 s2, s33, 31
	s_add_u32 s0, s6, s33
	s_addc_u32 s1, s7, s2
	v_lshlrev_b32_e32 v1, 2, v0
	global_load_dword v2, v1, s[0:1]
	global_load_dword v3, v1, s[0:1] offset:1024
	global_load_dword v4, v1, s[0:1] offset:2048
	global_load_dword v5, v1, s[0:1] offset:3072
	s_bfe_i32 s10, s9, 0x80000
	s_movk_i32 s3, 0xff
	s_add_u32 s0, s4, s33
	s_addc_u32 s1, s5, s2
	s_waitcnt vmcnt(3)
	v_max_i16_sdwa v6, sext(v2), s10 dst_sel:DWORD dst_unused:UNUSED_PAD src0_sel:BYTE_0 src1_sel:DWORD
	v_lshrrev_b32_e32 v7, 8, v2
	v_lshrrev_b32_e32 v8, 16, v2
	v_lshrrev_b32_e32 v2, 24, v2
	s_waitcnt vmcnt(2)
	v_max_i16_sdwa v9, sext(v3), s10 dst_sel:DWORD dst_unused:UNUSED_PAD src0_sel:BYTE_0 src1_sel:DWORD
	v_lshrrev_b32_e32 v10, 8, v3
	v_lshrrev_b32_e32 v11, 16, v3
	v_lshrrev_b32_e32 v3, 24, v3
	;; [unrolled: 5-line block ×4, first 2 shown]
	v_max_i16_sdwa v8, sext(v8), s10 dst_sel:DWORD dst_unused:UNUSED_PAD src0_sel:BYTE_0 src1_sel:DWORD
	v_max_i16_sdwa v2, sext(v2), s10 dst_sel:BYTE_1 dst_unused:UNUSED_PAD src0_sel:BYTE_0 src1_sel:DWORD
	v_max_i16_sdwa v7, sext(v7), s10 dst_sel:BYTE_1 dst_unused:UNUSED_PAD src0_sel:BYTE_0 src1_sel:DWORD
	v_max_i16_sdwa v11, sext(v11), s10 dst_sel:DWORD dst_unused:UNUSED_PAD src0_sel:BYTE_0 src1_sel:DWORD
	v_max_i16_sdwa v3, sext(v3), s10 dst_sel:BYTE_1 dst_unused:UNUSED_PAD src0_sel:BYTE_0 src1_sel:DWORD
	v_max_i16_sdwa v14, sext(v14), s10 dst_sel:DWORD dst_unused:UNUSED_PAD src0_sel:BYTE_0 src1_sel:DWORD
	;; [unrolled: 2-line block ×3, first 2 shown]
	v_max_i16_sdwa v5, sext(v5), s10 dst_sel:BYTE_1 dst_unused:UNUSED_PAD src0_sel:BYTE_0 src1_sel:DWORD
	v_bitop3_b16 v2, v8, v2, s3 bitop3:0xec
	v_max_i16_sdwa v10, sext(v10), s10 dst_sel:BYTE_1 dst_unused:UNUSED_PAD src0_sel:BYTE_0 src1_sel:DWORD
	v_max_i16_sdwa v13, sext(v13), s10 dst_sel:BYTE_1 dst_unused:UNUSED_PAD src0_sel:BYTE_0 src1_sel:DWORD
	;; [unrolled: 1-line block ×3, first 2 shown]
	v_bitop3_b16 v5, v17, v5, s3 bitop3:0xec
	v_bitop3_b16 v4, v14, v4, s3 bitop3:0xec
	;; [unrolled: 1-line block ×4, first 2 shown]
	v_lshlrev_b32_e32 v2, 16, v2
	v_bitop3_b16 v15, v15, v16, s3 bitop3:0xec
	v_bitop3_b16 v12, v12, v13, s3 bitop3:0xec
	;; [unrolled: 1-line block ×3, first 2 shown]
	v_lshlrev_b32_e32 v5, 16, v5
	v_lshlrev_b32_e32 v4, 16, v4
	;; [unrolled: 1-line block ×3, first 2 shown]
	v_or_b32_sdwa v2, v6, v2 dst_sel:DWORD dst_unused:UNUSED_PAD src0_sel:WORD_0 src1_sel:DWORD
	v_or_b32_sdwa v5, v15, v5 dst_sel:DWORD dst_unused:UNUSED_PAD src0_sel:WORD_0 src1_sel:DWORD
	;; [unrolled: 1-line block ×4, first 2 shown]
	global_store_dword v1, v2, s[0:1]
	global_store_dword v1, v3, s[0:1] offset:1024
	global_store_dword v1, v4, s[0:1] offset:2048
	;; [unrolled: 1-line block ×3, first 2 shown]
	s_mov_b64 s[0:1], 0
.LBB356_2:
	s_andn2_b64 vcc, exec, s[0:1]
	s_cbranch_vccnz .LBB356_52
; %bb.3:
	v_cmp_gt_i32_e32 vcc, s8, v0
	v_or_b32_e32 v1, 0x100, v0
	v_mov_b32_e32 v20, 0
	v_or_b32_e32 v6, s33, v0
	v_mov_b32_e32 v19, 0
	v_mov_b32_e32 v18, 0
	;; [unrolled: 1-line block ×15, first 2 shown]
	s_and_saveexec_b64 s[2:3], vcc
	s_cbranch_execz .LBB356_35
; %bb.4:
	global_load_ubyte v8, v6, s[6:7]
	v_cmp_gt_u32_e64 s[0:1], s8, v1
	v_mov_b32_e32 v7, 0
	v_mov_b32_e32 v3, 0
	;; [unrolled: 1-line block ×15, first 2 shown]
	s_and_saveexec_b64 s[10:11], s[0:1]
	s_cbranch_execz .LBB356_34
; %bb.5:
	v_add_u32_e32 v2, s33, v0
	global_load_ubyte v7, v2, s[6:7] offset:256
	v_or_b32_e32 v4, 0x200, v0
	v_mov_b32_e32 v3, 0
	v_cmp_gt_u32_e64 s[0:1], s8, v4
	v_mov_b32_e32 v4, 0
	v_mov_b32_e32 v9, 0
	;; [unrolled: 1-line block ×13, first 2 shown]
	s_and_saveexec_b64 s[12:13], s[0:1]
	s_cbranch_execz .LBB356_33
; %bb.6:
	v_lshl_add_u64 v[4:5], s[6:7], 0, v[2:3]
	global_load_ubyte v2, v[4:5], off offset:512
	v_or_b32_e32 v9, 0x300, v0
	v_cmp_gt_u32_e64 s[0:1], s8, v9
	v_mov_b32_e32 v9, 0
	v_mov_b32_e32 v10, 0
	;; [unrolled: 1-line block ×12, first 2 shown]
	s_and_saveexec_b64 s[6:7], s[0:1]
	s_cbranch_execz .LBB356_32
; %bb.7:
	global_load_ubyte v3, v[4:5], off offset:768
	v_or_b32_e32 v9, 0x400, v0
	v_cmp_gt_u32_e64 s[0:1], s8, v9
	v_mov_b32_e32 v9, 0
	v_mov_b32_e32 v10, 0
	;; [unrolled: 1-line block ×12, first 2 shown]
	s_and_saveexec_b64 s[14:15], s[0:1]
	s_cbranch_execz .LBB356_31
; %bb.8:
	global_load_ubyte v9, v[4:5], off offset:1024
	v_or_b32_e32 v10, 0x500, v0
	v_cmp_gt_u32_e64 s[0:1], s8, v10
	v_mov_b32_e32 v10, 0
	v_mov_b32_e32 v11, 0
	;; [unrolled: 1-line block ×11, first 2 shown]
	s_and_saveexec_b64 s[16:17], s[0:1]
	s_cbranch_execz .LBB356_30
; %bb.9:
	global_load_ubyte v10, v[4:5], off offset:1280
	v_or_b32_e32 v11, 0x600, v0
	v_cmp_gt_u32_e64 s[0:1], s8, v11
	v_mov_b32_e32 v11, 0
	v_mov_b32_e32 v12, 0
	v_mov_b32_e32 v13, 0
	v_mov_b32_e32 v14, 0
	v_mov_b32_e32 v15, 0
	v_mov_b32_e32 v16, 0
	v_mov_b32_e32 v17, 0
	v_mov_b32_e32 v18, 0
	v_mov_b32_e32 v19, 0
	v_mov_b32_e32 v20, 0
	s_and_saveexec_b64 s[18:19], s[0:1]
	s_cbranch_execz .LBB356_29
; %bb.10:
	global_load_ubyte v11, v[4:5], off offset:1536
	v_or_b32_e32 v12, 0x700, v0
	v_cmp_gt_u32_e64 s[0:1], s8, v12
	v_mov_b32_e32 v12, 0
	v_mov_b32_e32 v13, 0
	;; [unrolled: 1-line block ×9, first 2 shown]
	s_and_saveexec_b64 s[20:21], s[0:1]
	s_cbranch_execz .LBB356_28
; %bb.11:
	global_load_ubyte v12, v[4:5], off offset:1792
	v_or_b32_e32 v13, 0x800, v0
	v_cmp_gt_u32_e64 s[0:1], s8, v13
	v_mov_b32_e32 v13, 0
	v_mov_b32_e32 v14, 0
	;; [unrolled: 1-line block ×8, first 2 shown]
	s_and_saveexec_b64 s[22:23], s[0:1]
	s_cbranch_execz .LBB356_27
; %bb.12:
	global_load_ubyte v13, v[4:5], off offset:2048
	v_or_b32_e32 v14, 0x900, v0
	v_cmp_gt_u32_e64 s[0:1], s8, v14
	v_mov_b32_e32 v14, 0
	v_mov_b32_e32 v15, 0
	;; [unrolled: 1-line block ×7, first 2 shown]
	s_and_saveexec_b64 s[24:25], s[0:1]
	s_cbranch_execz .LBB356_26
; %bb.13:
	global_load_ubyte v14, v[4:5], off offset:2304
	v_or_b32_e32 v15, 0xa00, v0
	v_cmp_gt_u32_e64 s[0:1], s8, v15
	v_mov_b32_e32 v15, 0
	v_mov_b32_e32 v16, 0
	;; [unrolled: 1-line block ×6, first 2 shown]
	s_and_saveexec_b64 s[26:27], s[0:1]
	s_cbranch_execz .LBB356_25
; %bb.14:
	global_load_ubyte v15, v[4:5], off offset:2560
	v_or_b32_e32 v16, 0xb00, v0
	v_cmp_gt_u32_e64 s[0:1], s8, v16
	v_mov_b32_e32 v16, 0
	v_mov_b32_e32 v17, 0
	;; [unrolled: 1-line block ×5, first 2 shown]
	s_and_saveexec_b64 s[28:29], s[0:1]
	s_cbranch_execz .LBB356_24
; %bb.15:
	global_load_ubyte v16, v[4:5], off offset:2816
	v_or_b32_e32 v17, 0xc00, v0
	v_cmp_gt_u32_e64 s[0:1], s8, v17
	v_mov_b32_e32 v17, 0
	v_mov_b32_e32 v18, 0
	;; [unrolled: 1-line block ×4, first 2 shown]
	s_and_saveexec_b64 s[30:31], s[0:1]
	s_cbranch_execz .LBB356_23
; %bb.16:
	global_load_ubyte v17, v[4:5], off offset:3072
	v_or_b32_e32 v18, 0xd00, v0
	v_cmp_gt_u32_e64 s[0:1], s8, v18
	v_mov_b32_e32 v18, 0
	v_mov_b32_e32 v19, 0
	;; [unrolled: 1-line block ×3, first 2 shown]
	s_and_saveexec_b64 s[34:35], s[0:1]
	s_cbranch_execz .LBB356_22
; %bb.17:
	global_load_ubyte v18, v[4:5], off offset:3328
	v_or_b32_e32 v19, 0xe00, v0
	v_cmp_gt_u32_e64 s[0:1], s8, v19
	v_mov_b32_e32 v19, 0
	v_mov_b32_e32 v20, 0
	s_and_saveexec_b64 s[36:37], s[0:1]
	s_cbranch_execz .LBB356_21
; %bb.18:
	global_load_ubyte v19, v[4:5], off offset:3584
	v_or_b32_e32 v20, 0xf00, v0
	v_cmp_gt_u32_e64 s[0:1], s8, v20
	v_mov_b32_e32 v20, 0
	s_and_saveexec_b64 s[38:39], s[0:1]
	s_cbranch_execz .LBB356_20
; %bb.19:
	global_load_ubyte v20, v[4:5], off offset:3840
.LBB356_20:
	s_or_b64 exec, exec, s[38:39]
.LBB356_21:
	s_or_b64 exec, exec, s[36:37]
.LBB356_22:
	s_or_b64 exec, exec, s[34:35]
.LBB356_23:
	s_or_b64 exec, exec, s[30:31]
.LBB356_24:
	s_or_b64 exec, exec, s[28:29]
.LBB356_25:
	s_or_b64 exec, exec, s[26:27]
.LBB356_26:
	s_or_b64 exec, exec, s[24:25]
.LBB356_27:
	s_or_b64 exec, exec, s[22:23]
.LBB356_28:
	s_or_b64 exec, exec, s[20:21]
.LBB356_29:
	s_or_b64 exec, exec, s[18:19]
.LBB356_30:
	s_or_b64 exec, exec, s[16:17]
.LBB356_31:
	s_or_b64 exec, exec, s[14:15]
.LBB356_32:
	s_or_b64 exec, exec, s[6:7]
	s_waitcnt vmcnt(0)
	v_mov_b32_e32 v4, v3
	v_mov_b32_e32 v3, v2
.LBB356_33:
	s_or_b64 exec, exec, s[12:13]
.LBB356_34:
	s_or_b64 exec, exec, s[10:11]
.LBB356_35:
	s_or_b64 exec, exec, s[2:3]
	s_bfe_i32 s2, s9, 0x80000
	s_waitcnt vmcnt(0)
	v_max_i16_sdwa v2, sext(v8), s2 dst_sel:DWORD dst_unused:UNUSED_PAD src0_sel:BYTE_0 src1_sel:DWORD
	s_mov_b32 s6, 0xffff
	v_and_b32_sdwa v2, s6, v2 dst_sel:DWORD dst_unused:UNUSED_PAD src0_sel:DWORD src1_sel:BYTE_0
	v_cndmask_b32_e32 v2, 0, v2, vcc
	v_max_i16_sdwa v5, sext(v7), s2 dst_sel:BYTE_1 dst_unused:UNUSED_PAD src0_sel:BYTE_0 src1_sel:DWORD
	v_cmp_gt_i32_e64 s[0:1], s8, v1
	v_or_b32_e32 v5, v2, v5
	v_and_b32_e32 v5, 0xffff, v5
	v_cndmask_b32_e64 v2, v2, v5, s[0:1]
	v_max_i16_sdwa v3, sext(v3), s2 dst_sel:DWORD dst_unused:UNUSED_PAD src0_sel:BYTE_0 src1_sel:DWORD
	s_mov_b32 s7, 0xc0c0304
	v_or_b32_e32 v5, 0x200, v0
	v_perm_b32 v3, v3, v2, s7
	v_lshl_or_b32 v3, v3, 16, v2
	v_cmp_gt_i32_e64 s[0:1], s8, v5
	s_movk_i32 s3, 0xff
	v_max_i16_sdwa v4, sext(v4), s2 dst_sel:BYTE_1 dst_unused:UNUSED_PAD src0_sel:BYTE_0 src1_sel:DWORD
	v_cndmask_b32_e64 v2, v2, v3, s[0:1]
	v_lshrrev_b32_e32 v3, 16, v2
	v_bitop3_b16 v3, v3, v4, s3 bitop3:0xec
	v_or_b32_e32 v5, 0x300, v0
	v_lshlrev_b32_e32 v3, 16, v3
	v_and_or_b32 v3, v2, s6, v3
	v_cmp_gt_i32_e64 s[0:1], s8, v5
	s_mov_b32 s9, 0x3020104
	s_mov_b32 s10, 0xffff0000
	v_cndmask_b32_e64 v5, v2, v3, s[0:1]
	v_max_i16_sdwa v2, sext(v9), s2 dst_sel:DWORD dst_unused:UNUSED_PAD src0_sel:BYTE_0 src1_sel:DWORD
	v_or_b32_e32 v3, 0x400, v0
	v_perm_b32 v2, v2, 0, s9
	v_cmp_gt_i32_e64 s[0:1], s8, v3
	v_max_i16_sdwa v3, sext(v10), s2 dst_sel:BYTE_1 dst_unused:UNUSED_PAD src0_sel:BYTE_0 src1_sel:DWORD
	v_or_b32_e32 v4, 0x500, v0
	v_cndmask_b32_e64 v2, 0, v2, s[0:1]
	v_bitop3_b16 v3, v2, v3, s3 bitop3:0xec
	v_and_b32_e32 v3, 0xffff, v3
	v_and_or_b32 v3, v2, s10, v3
	v_cmp_gt_i32_e64 s[0:1], s8, v4
	v_max_i16_sdwa v4, sext(v11), s2 dst_sel:DWORD dst_unused:UNUSED_PAD src0_sel:BYTE_0 src1_sel:DWORD
	s_mov_b32 s11, 0x7000504
	v_cndmask_b32_e64 v2, v2, v3, s[0:1]
	v_or_b32_e32 v3, 0x600, v0
	v_perm_b32 v4, v2, v4, s11
	v_cmp_gt_i32_e64 s[0:1], s8, v3
	v_max_i16_sdwa v7, sext(v12), s2 dst_sel:BYTE_1 dst_unused:UNUSED_PAD src0_sel:BYTE_0 src1_sel:DWORD
	v_max_i16_sdwa v8, sext(v16), s2 dst_sel:BYTE_1 dst_unused:UNUSED_PAD src0_sel:BYTE_0 src1_sel:DWORD
	v_cndmask_b32_e64 v2, v2, v4, s[0:1]
	v_lshrrev_b32_e32 v3, 16, v2
	v_bitop3_b16 v3, v3, v7, s3 bitop3:0xec
	v_or_b32_e32 v4, 0x700, v0
	v_lshlrev_b32_e32 v3, 16, v3
	v_and_or_b32 v3, v2, s6, v3
	v_cmp_gt_i32_e64 s[0:1], s8, v4
	v_max_i16_sdwa v7, sext(v14), s2 dst_sel:BYTE_1 dst_unused:UNUSED_PAD src0_sel:BYTE_0 src1_sel:DWORD
	v_max_i16_sdwa v9, sext(v20), s2 dst_sel:BYTE_1 dst_unused:UNUSED_PAD src0_sel:BYTE_0 src1_sel:DWORD
	v_cndmask_b32_e64 v4, v2, v3, s[0:1]
	v_or_b32_e32 v2, 0x800, v0
	v_max_i16_sdwa v3, sext(v13), s2 dst_sel:DWORD dst_unused:UNUSED_PAD src0_sel:BYTE_0 src1_sel:DWORD
	v_and_b32_sdwa v3, s6, v3 dst_sel:DWORD dst_unused:UNUSED_PAD src0_sel:DWORD src1_sel:BYTE_0
	v_cmp_gt_i32_e64 s[0:1], s8, v2
	s_nop 1
	v_cndmask_b32_e64 v2, 0, v3, s[0:1]
	v_or_b32_e32 v3, 0x900, v0
	v_or_b32_e32 v7, v2, v7
	v_and_b32_e32 v7, 0xffff, v7
	v_cmp_gt_i32_e64 s[0:1], s8, v3
	v_or_b32_e32 v3, 0xa00, v0
	s_nop 0
	v_cndmask_b32_e64 v2, v2, v7, s[0:1]
	v_max_i16_sdwa v7, sext(v15), s2 dst_sel:DWORD dst_unused:UNUSED_PAD src0_sel:BYTE_0 src1_sel:DWORD
	v_perm_b32 v7, v7, v2, s7
	v_lshl_or_b32 v7, v7, 16, v2
	v_cmp_gt_i32_e64 s[0:1], s8, v3
	s_nop 1
	v_cndmask_b32_e64 v2, v2, v7, s[0:1]
	v_lshrrev_b32_e32 v3, 16, v2
	v_bitop3_b16 v3, v3, v8, s3 bitop3:0xec
	v_or_b32_e32 v7, 0xb00, v0
	v_lshlrev_b32_e32 v3, 16, v3
	v_and_or_b32 v3, v2, s6, v3
	v_cmp_gt_i32_e64 s[0:1], s8, v7
	v_or_b32_e32 v7, 0xc00, v0
	v_or_b32_e32 v8, 0xd00, v0
	v_cndmask_b32_e64 v3, v2, v3, s[0:1]
	v_max_i16_sdwa v2, sext(v17), s2 dst_sel:DWORD dst_unused:UNUSED_PAD src0_sel:BYTE_0 src1_sel:DWORD
	v_perm_b32 v2, v2, 0, s9
	v_cmp_gt_i32_e64 s[0:1], s8, v7
	v_max_i16_sdwa v7, sext(v18), s2 dst_sel:BYTE_1 dst_unused:UNUSED_PAD src0_sel:BYTE_0 src1_sel:DWORD
	s_nop 0
	v_cndmask_b32_e64 v2, 0, v2, s[0:1]
	v_bitop3_b16 v7, v2, v7, s3 bitop3:0xec
	v_and_b32_e32 v7, 0xffff, v7
	v_and_or_b32 v7, v2, s10, v7
	v_cmp_gt_i32_e64 s[0:1], s8, v8
	v_max_i16_sdwa v8, sext(v19), s2 dst_sel:DWORD dst_unused:UNUSED_PAD src0_sel:BYTE_0 src1_sel:DWORD
	s_nop 0
	v_cndmask_b32_e64 v2, v2, v7, s[0:1]
	v_or_b32_e32 v7, 0xe00, v0
	v_perm_b32 v8, v2, v8, s11
	v_cmp_gt_i32_e64 s[0:1], s8, v7
	s_nop 1
	v_cndmask_b32_e64 v2, v2, v8, s[0:1]
	v_lshrrev_b32_e32 v7, 16, v2
	v_bitop3_b16 v7, v7, v9, s3 bitop3:0xec
	v_or_b32_e32 v8, 0xf00, v0
	v_lshlrev_b32_e32 v7, 16, v7
	v_and_or_b32 v7, v2, s6, v7
	v_cmp_gt_i32_e64 s[0:1], s8, v8
	s_nop 1
	v_cndmask_b32_e64 v2, v2, v7, s[0:1]
	s_and_saveexec_b64 s[0:1], vcc
	s_cbranch_execnz .LBB356_53
; %bb.36:
	s_or_b64 exec, exec, s[0:1]
	v_cmp_gt_i32_e32 vcc, s8, v0
	s_and_saveexec_b64 s[0:1], vcc
	s_cbranch_execnz .LBB356_54
.LBB356_37:
	s_or_b64 exec, exec, s[0:1]
	v_cmp_gt_i32_e32 vcc, s8, v0
	s_and_saveexec_b64 s[0:1], vcc
	s_cbranch_execnz .LBB356_55
.LBB356_38:
	s_or_b64 exec, exec, s[0:1]
	v_cmp_gt_i32_e32 vcc, s8, v0
	s_and_saveexec_b64 s[0:1], vcc
	s_cbranch_execnz .LBB356_56
.LBB356_39:
	s_or_b64 exec, exec, s[0:1]
	v_cmp_gt_i32_e32 vcc, s8, v0
	s_and_saveexec_b64 s[0:1], vcc
	s_cbranch_execnz .LBB356_57
.LBB356_40:
	s_or_b64 exec, exec, s[0:1]
	v_cmp_gt_i32_e32 vcc, s8, v0
	s_and_saveexec_b64 s[0:1], vcc
	s_cbranch_execnz .LBB356_58
.LBB356_41:
	s_or_b64 exec, exec, s[0:1]
	v_cmp_gt_i32_e32 vcc, s8, v0
	s_and_saveexec_b64 s[0:1], vcc
	s_cbranch_execnz .LBB356_59
.LBB356_42:
	s_or_b64 exec, exec, s[0:1]
	v_cmp_gt_i32_e32 vcc, s8, v0
	s_and_saveexec_b64 s[0:1], vcc
	s_cbranch_execnz .LBB356_60
.LBB356_43:
	s_or_b64 exec, exec, s[0:1]
	v_cmp_gt_i32_e32 vcc, s8, v0
	s_and_saveexec_b64 s[0:1], vcc
	s_cbranch_execnz .LBB356_61
.LBB356_44:
	s_or_b64 exec, exec, s[0:1]
	v_cmp_gt_i32_e32 vcc, s8, v0
	s_and_saveexec_b64 s[0:1], vcc
	s_cbranch_execnz .LBB356_62
.LBB356_45:
	s_or_b64 exec, exec, s[0:1]
	v_cmp_gt_i32_e32 vcc, s8, v0
	s_and_saveexec_b64 s[0:1], vcc
	s_cbranch_execnz .LBB356_63
.LBB356_46:
	s_or_b64 exec, exec, s[0:1]
	v_cmp_gt_i32_e32 vcc, s8, v0
	s_and_saveexec_b64 s[0:1], vcc
	s_cbranch_execnz .LBB356_64
.LBB356_47:
	s_or_b64 exec, exec, s[0:1]
	v_cmp_gt_i32_e32 vcc, s8, v0
	s_and_saveexec_b64 s[0:1], vcc
	s_cbranch_execnz .LBB356_65
.LBB356_48:
	s_or_b64 exec, exec, s[0:1]
	v_cmp_gt_i32_e32 vcc, s8, v0
	s_and_saveexec_b64 s[0:1], vcc
	s_cbranch_execnz .LBB356_66
.LBB356_49:
	s_or_b64 exec, exec, s[0:1]
	v_cmp_gt_i32_e32 vcc, s8, v0
	s_and_saveexec_b64 s[0:1], vcc
	s_cbranch_execnz .LBB356_67
.LBB356_50:
	s_or_b64 exec, exec, s[0:1]
	v_cmp_gt_i32_e32 vcc, s8, v0
	s_and_saveexec_b64 s[0:1], vcc
	s_cbranch_execz .LBB356_52
.LBB356_51:
	v_lshrrev_b32_e32 v1, 24, v2
	v_add_u32_e32 v0, s33, v0
	global_store_byte v0, v1, s[4:5]
.LBB356_52:
	s_endpgm
.LBB356_53:
	v_mov_b32_e32 v0, v1
	global_store_byte v6, v5, s[4:5]
	s_or_b64 exec, exec, s[0:1]
	v_cmp_gt_i32_e32 vcc, s8, v0
	s_and_saveexec_b64 s[0:1], vcc
	s_cbranch_execz .LBB356_37
.LBB356_54:
	v_lshrrev_b32_e32 v1, 8, v5
	v_add_u32_e32 v6, s33, v0
	v_add_u32_e32 v0, 0x100, v0
	global_store_byte v6, v1, s[4:5]
	s_or_b64 exec, exec, s[0:1]
	v_cmp_gt_i32_e32 vcc, s8, v0
	s_and_saveexec_b64 s[0:1], vcc
	s_cbranch_execz .LBB356_38
.LBB356_55:
	v_add_u32_e32 v1, s33, v0
	v_add_u32_e32 v0, 0x100, v0
	global_store_byte_d16_hi v1, v5, s[4:5]
	s_or_b64 exec, exec, s[0:1]
	v_cmp_gt_i32_e32 vcc, s8, v0
	s_and_saveexec_b64 s[0:1], vcc
	s_cbranch_execz .LBB356_39
.LBB356_56:
	v_lshrrev_b32_e32 v1, 24, v5
	v_add_u32_e32 v5, s33, v0
	v_add_u32_e32 v0, 0x100, v0
	global_store_byte v5, v1, s[4:5]
	s_or_b64 exec, exec, s[0:1]
	v_cmp_gt_i32_e32 vcc, s8, v0
	s_and_saveexec_b64 s[0:1], vcc
	s_cbranch_execz .LBB356_40
.LBB356_57:
	v_add_u32_e32 v1, s33, v0
	v_add_u32_e32 v0, 0x100, v0
	global_store_byte v1, v4, s[4:5]
	s_or_b64 exec, exec, s[0:1]
	v_cmp_gt_i32_e32 vcc, s8, v0
	s_and_saveexec_b64 s[0:1], vcc
	s_cbranch_execz .LBB356_41
.LBB356_58:
	v_lshrrev_b32_e32 v1, 8, v4
	v_add_u32_e32 v5, s33, v0
	v_add_u32_e32 v0, 0x100, v0
	global_store_byte v5, v1, s[4:5]
	s_or_b64 exec, exec, s[0:1]
	v_cmp_gt_i32_e32 vcc, s8, v0
	s_and_saveexec_b64 s[0:1], vcc
	s_cbranch_execz .LBB356_42
.LBB356_59:
	v_add_u32_e32 v1, s33, v0
	v_add_u32_e32 v0, 0x100, v0
	global_store_byte_d16_hi v1, v4, s[4:5]
	s_or_b64 exec, exec, s[0:1]
	v_cmp_gt_i32_e32 vcc, s8, v0
	s_and_saveexec_b64 s[0:1], vcc
	s_cbranch_execz .LBB356_43
.LBB356_60:
	v_lshrrev_b32_e32 v1, 24, v4
	v_add_u32_e32 v4, s33, v0
	v_add_u32_e32 v0, 0x100, v0
	global_store_byte v4, v1, s[4:5]
	s_or_b64 exec, exec, s[0:1]
	v_cmp_gt_i32_e32 vcc, s8, v0
	s_and_saveexec_b64 s[0:1], vcc
	s_cbranch_execz .LBB356_44
.LBB356_61:
	v_add_u32_e32 v1, s33, v0
	v_add_u32_e32 v0, 0x100, v0
	global_store_byte v1, v3, s[4:5]
	s_or_b64 exec, exec, s[0:1]
	v_cmp_gt_i32_e32 vcc, s8, v0
	s_and_saveexec_b64 s[0:1], vcc
	s_cbranch_execz .LBB356_45
.LBB356_62:
	v_lshrrev_b32_e32 v1, 8, v3
	v_add_u32_e32 v4, s33, v0
	v_add_u32_e32 v0, 0x100, v0
	global_store_byte v4, v1, s[4:5]
	s_or_b64 exec, exec, s[0:1]
	v_cmp_gt_i32_e32 vcc, s8, v0
	s_and_saveexec_b64 s[0:1], vcc
	s_cbranch_execz .LBB356_46
.LBB356_63:
	v_add_u32_e32 v1, s33, v0
	v_add_u32_e32 v0, 0x100, v0
	global_store_byte_d16_hi v1, v3, s[4:5]
	s_or_b64 exec, exec, s[0:1]
	v_cmp_gt_i32_e32 vcc, s8, v0
	s_and_saveexec_b64 s[0:1], vcc
	s_cbranch_execz .LBB356_47
.LBB356_64:
	v_lshrrev_b32_e32 v1, 24, v3
	v_add_u32_e32 v3, s33, v0
	v_add_u32_e32 v0, 0x100, v0
	global_store_byte v3, v1, s[4:5]
	s_or_b64 exec, exec, s[0:1]
	v_cmp_gt_i32_e32 vcc, s8, v0
	s_and_saveexec_b64 s[0:1], vcc
	s_cbranch_execz .LBB356_48
.LBB356_65:
	v_add_u32_e32 v1, s33, v0
	v_add_u32_e32 v0, 0x100, v0
	global_store_byte v1, v2, s[4:5]
	s_or_b64 exec, exec, s[0:1]
	v_cmp_gt_i32_e32 vcc, s8, v0
	s_and_saveexec_b64 s[0:1], vcc
	s_cbranch_execz .LBB356_49
.LBB356_66:
	v_lshrrev_b32_e32 v1, 8, v2
	v_add_u32_e32 v3, s33, v0
	v_add_u32_e32 v0, 0x100, v0
	global_store_byte v3, v1, s[4:5]
	s_or_b64 exec, exec, s[0:1]
	v_cmp_gt_i32_e32 vcc, s8, v0
	s_and_saveexec_b64 s[0:1], vcc
	s_cbranch_execz .LBB356_50
.LBB356_67:
	v_add_u32_e32 v1, s33, v0
	v_add_u32_e32 v0, 0x100, v0
	global_store_byte_d16_hi v1, v2, s[4:5]
	s_or_b64 exec, exec, s[0:1]
	v_cmp_gt_i32_e32 vcc, s8, v0
	s_and_saveexec_b64 s[0:1], vcc
	s_cbranch_execnz .LBB356_51
	s_branch .LBB356_52
	.section	.rodata,"a",@progbits
	.p2align	6, 0x0
	.amdhsa_kernel _ZN2at6native29vectorized_elementwise_kernelILi4EZZZNS0_21clamp_min_kernel_cudaERNS_18TensorIteratorBaseERKN3c106ScalarEENKUlvE_clEvENKUlvE0_clEvEUlaE_St5arrayIPcLm2EEEEviT0_T1_
		.amdhsa_group_segment_fixed_size 0
		.amdhsa_private_segment_fixed_size 0
		.amdhsa_kernarg_size 24
		.amdhsa_user_sgpr_count 2
		.amdhsa_user_sgpr_dispatch_ptr 0
		.amdhsa_user_sgpr_queue_ptr 0
		.amdhsa_user_sgpr_kernarg_segment_ptr 1
		.amdhsa_user_sgpr_dispatch_id 0
		.amdhsa_user_sgpr_kernarg_preload_length 0
		.amdhsa_user_sgpr_kernarg_preload_offset 0
		.amdhsa_user_sgpr_private_segment_size 0
		.amdhsa_uses_dynamic_stack 0
		.amdhsa_enable_private_segment 0
		.amdhsa_system_sgpr_workgroup_id_x 1
		.amdhsa_system_sgpr_workgroup_id_y 0
		.amdhsa_system_sgpr_workgroup_id_z 0
		.amdhsa_system_sgpr_workgroup_info 0
		.amdhsa_system_vgpr_workitem_id 0
		.amdhsa_next_free_vgpr 21
		.amdhsa_next_free_sgpr 40
		.amdhsa_accum_offset 24
		.amdhsa_reserve_vcc 1
		.amdhsa_float_round_mode_32 0
		.amdhsa_float_round_mode_16_64 0
		.amdhsa_float_denorm_mode_32 3
		.amdhsa_float_denorm_mode_16_64 3
		.amdhsa_dx10_clamp 1
		.amdhsa_ieee_mode 1
		.amdhsa_fp16_overflow 0
		.amdhsa_tg_split 0
		.amdhsa_exception_fp_ieee_invalid_op 0
		.amdhsa_exception_fp_denorm_src 0
		.amdhsa_exception_fp_ieee_div_zero 0
		.amdhsa_exception_fp_ieee_overflow 0
		.amdhsa_exception_fp_ieee_underflow 0
		.amdhsa_exception_fp_ieee_inexact 0
		.amdhsa_exception_int_div_zero 0
	.end_amdhsa_kernel
	.section	.text._ZN2at6native29vectorized_elementwise_kernelILi4EZZZNS0_21clamp_min_kernel_cudaERNS_18TensorIteratorBaseERKN3c106ScalarEENKUlvE_clEvENKUlvE0_clEvEUlaE_St5arrayIPcLm2EEEEviT0_T1_,"axG",@progbits,_ZN2at6native29vectorized_elementwise_kernelILi4EZZZNS0_21clamp_min_kernel_cudaERNS_18TensorIteratorBaseERKN3c106ScalarEENKUlvE_clEvENKUlvE0_clEvEUlaE_St5arrayIPcLm2EEEEviT0_T1_,comdat
.Lfunc_end356:
	.size	_ZN2at6native29vectorized_elementwise_kernelILi4EZZZNS0_21clamp_min_kernel_cudaERNS_18TensorIteratorBaseERKN3c106ScalarEENKUlvE_clEvENKUlvE0_clEvEUlaE_St5arrayIPcLm2EEEEviT0_T1_, .Lfunc_end356-_ZN2at6native29vectorized_elementwise_kernelILi4EZZZNS0_21clamp_min_kernel_cudaERNS_18TensorIteratorBaseERKN3c106ScalarEENKUlvE_clEvENKUlvE0_clEvEUlaE_St5arrayIPcLm2EEEEviT0_T1_
                                        ; -- End function
	.set _ZN2at6native29vectorized_elementwise_kernelILi4EZZZNS0_21clamp_min_kernel_cudaERNS_18TensorIteratorBaseERKN3c106ScalarEENKUlvE_clEvENKUlvE0_clEvEUlaE_St5arrayIPcLm2EEEEviT0_T1_.num_vgpr, 21
	.set _ZN2at6native29vectorized_elementwise_kernelILi4EZZZNS0_21clamp_min_kernel_cudaERNS_18TensorIteratorBaseERKN3c106ScalarEENKUlvE_clEvENKUlvE0_clEvEUlaE_St5arrayIPcLm2EEEEviT0_T1_.num_agpr, 0
	.set _ZN2at6native29vectorized_elementwise_kernelILi4EZZZNS0_21clamp_min_kernel_cudaERNS_18TensorIteratorBaseERKN3c106ScalarEENKUlvE_clEvENKUlvE0_clEvEUlaE_St5arrayIPcLm2EEEEviT0_T1_.numbered_sgpr, 40
	.set _ZN2at6native29vectorized_elementwise_kernelILi4EZZZNS0_21clamp_min_kernel_cudaERNS_18TensorIteratorBaseERKN3c106ScalarEENKUlvE_clEvENKUlvE0_clEvEUlaE_St5arrayIPcLm2EEEEviT0_T1_.num_named_barrier, 0
	.set _ZN2at6native29vectorized_elementwise_kernelILi4EZZZNS0_21clamp_min_kernel_cudaERNS_18TensorIteratorBaseERKN3c106ScalarEENKUlvE_clEvENKUlvE0_clEvEUlaE_St5arrayIPcLm2EEEEviT0_T1_.private_seg_size, 0
	.set _ZN2at6native29vectorized_elementwise_kernelILi4EZZZNS0_21clamp_min_kernel_cudaERNS_18TensorIteratorBaseERKN3c106ScalarEENKUlvE_clEvENKUlvE0_clEvEUlaE_St5arrayIPcLm2EEEEviT0_T1_.uses_vcc, 1
	.set _ZN2at6native29vectorized_elementwise_kernelILi4EZZZNS0_21clamp_min_kernel_cudaERNS_18TensorIteratorBaseERKN3c106ScalarEENKUlvE_clEvENKUlvE0_clEvEUlaE_St5arrayIPcLm2EEEEviT0_T1_.uses_flat_scratch, 0
	.set _ZN2at6native29vectorized_elementwise_kernelILi4EZZZNS0_21clamp_min_kernel_cudaERNS_18TensorIteratorBaseERKN3c106ScalarEENKUlvE_clEvENKUlvE0_clEvEUlaE_St5arrayIPcLm2EEEEviT0_T1_.has_dyn_sized_stack, 0
	.set _ZN2at6native29vectorized_elementwise_kernelILi4EZZZNS0_21clamp_min_kernel_cudaERNS_18TensorIteratorBaseERKN3c106ScalarEENKUlvE_clEvENKUlvE0_clEvEUlaE_St5arrayIPcLm2EEEEviT0_T1_.has_recursion, 0
	.set _ZN2at6native29vectorized_elementwise_kernelILi4EZZZNS0_21clamp_min_kernel_cudaERNS_18TensorIteratorBaseERKN3c106ScalarEENKUlvE_clEvENKUlvE0_clEvEUlaE_St5arrayIPcLm2EEEEviT0_T1_.has_indirect_call, 0
	.section	.AMDGPU.csdata,"",@progbits
; Kernel info:
; codeLenInByte = 3236
; TotalNumSgprs: 46
; NumVgprs: 21
; NumAgprs: 0
; TotalNumVgprs: 21
; ScratchSize: 0
; MemoryBound: 0
; FloatMode: 240
; IeeeMode: 1
; LDSByteSize: 0 bytes/workgroup (compile time only)
; SGPRBlocks: 5
; VGPRBlocks: 2
; NumSGPRsForWavesPerEU: 46
; NumVGPRsForWavesPerEU: 21
; AccumOffset: 24
; Occupancy: 8
; WaveLimiterHint : 1
; COMPUTE_PGM_RSRC2:SCRATCH_EN: 0
; COMPUTE_PGM_RSRC2:USER_SGPR: 2
; COMPUTE_PGM_RSRC2:TRAP_HANDLER: 0
; COMPUTE_PGM_RSRC2:TGID_X_EN: 1
; COMPUTE_PGM_RSRC2:TGID_Y_EN: 0
; COMPUTE_PGM_RSRC2:TGID_Z_EN: 0
; COMPUTE_PGM_RSRC2:TIDIG_COMP_CNT: 0
; COMPUTE_PGM_RSRC3_GFX90A:ACCUM_OFFSET: 5
; COMPUTE_PGM_RSRC3_GFX90A:TG_SPLIT: 0
	.section	.text._ZN2at6native29vectorized_elementwise_kernelILi2EZZZNS0_21clamp_min_kernel_cudaERNS_18TensorIteratorBaseERKN3c106ScalarEENKUlvE_clEvENKUlvE0_clEvEUlaE_St5arrayIPcLm2EEEEviT0_T1_,"axG",@progbits,_ZN2at6native29vectorized_elementwise_kernelILi2EZZZNS0_21clamp_min_kernel_cudaERNS_18TensorIteratorBaseERKN3c106ScalarEENKUlvE_clEvENKUlvE0_clEvEUlaE_St5arrayIPcLm2EEEEviT0_T1_,comdat
	.globl	_ZN2at6native29vectorized_elementwise_kernelILi2EZZZNS0_21clamp_min_kernel_cudaERNS_18TensorIteratorBaseERKN3c106ScalarEENKUlvE_clEvENKUlvE0_clEvEUlaE_St5arrayIPcLm2EEEEviT0_T1_ ; -- Begin function _ZN2at6native29vectorized_elementwise_kernelILi2EZZZNS0_21clamp_min_kernel_cudaERNS_18TensorIteratorBaseERKN3c106ScalarEENKUlvE_clEvENKUlvE0_clEvEUlaE_St5arrayIPcLm2EEEEviT0_T1_
	.p2align	8
	.type	_ZN2at6native29vectorized_elementwise_kernelILi2EZZZNS0_21clamp_min_kernel_cudaERNS_18TensorIteratorBaseERKN3c106ScalarEENKUlvE_clEvENKUlvE0_clEvEUlaE_St5arrayIPcLm2EEEEviT0_T1_,@function
_ZN2at6native29vectorized_elementwise_kernelILi2EZZZNS0_21clamp_min_kernel_cudaERNS_18TensorIteratorBaseERKN3c106ScalarEENKUlvE_clEvENKUlvE0_clEvEUlaE_St5arrayIPcLm2EEEEviT0_T1_: ; @_ZN2at6native29vectorized_elementwise_kernelILi2EZZZNS0_21clamp_min_kernel_cudaERNS_18TensorIteratorBaseERKN3c106ScalarEENKUlvE_clEvENKUlvE0_clEvEUlaE_St5arrayIPcLm2EEEEviT0_T1_
; %bb.0:
	s_load_dwordx2 s[8:9], s[0:1], 0x0
	s_load_dwordx4 s[4:7], s[0:1], 0x8
	s_lshl_b32 s33, s2, 12
	s_mov_b64 s[0:1], -1
	s_waitcnt lgkmcnt(0)
	s_sub_i32 s8, s8, s33
	s_cmpk_gt_i32 s8, 0xfff
	s_cbranch_scc0 .LBB357_2
; %bb.1:
	s_ashr_i32 s2, s33, 31
	s_add_u32 s0, s6, s33
	s_addc_u32 s1, s7, s2
	v_lshlrev_b32_e32 v1, 1, v0
	global_load_ushort v2, v1, s[0:1]
	global_load_ushort v3, v1, s[0:1] offset:512
	global_load_ushort v4, v1, s[0:1] offset:1024
	;; [unrolled: 1-line block ×7, first 2 shown]
	s_bfe_i32 s10, s9, 0x80000
	s_movk_i32 s3, 0xff
	s_add_u32 s0, s4, s33
	s_addc_u32 s1, s5, s2
	s_waitcnt vmcnt(7)
	v_max_i16_sdwa v10, sext(v2), s10 dst_sel:DWORD dst_unused:UNUSED_PAD src0_sel:BYTE_0 src1_sel:DWORD
	v_max_i16_sdwa v2, sext(v2), s10 dst_sel:BYTE_1 dst_unused:UNUSED_PAD src0_sel:BYTE_1 src1_sel:DWORD
	s_waitcnt vmcnt(6)
	v_max_i16_sdwa v11, sext(v3), s10 dst_sel:DWORD dst_unused:UNUSED_PAD src0_sel:BYTE_0 src1_sel:DWORD
	v_max_i16_sdwa v3, sext(v3), s10 dst_sel:BYTE_1 dst_unused:UNUSED_PAD src0_sel:BYTE_1 src1_sel:DWORD
	;; [unrolled: 3-line block ×8, first 2 shown]
	v_bitop3_b16 v2, v10, v2, s3 bitop3:0xec
	v_bitop3_b16 v9, v17, v9, s3 bitop3:0xec
	;; [unrolled: 1-line block ×8, first 2 shown]
	global_store_short v1, v2, s[0:1]
	global_store_short v1, v3, s[0:1] offset:512
	global_store_short v1, v4, s[0:1] offset:1024
	;; [unrolled: 1-line block ×7, first 2 shown]
	s_mov_b64 s[0:1], 0
.LBB357_2:
	s_andn2_b64 vcc, exec, s[0:1]
	s_cbranch_vccnz .LBB357_52
; %bb.3:
	v_cmp_gt_i32_e32 vcc, s8, v0
	v_or_b32_e32 v1, 0x100, v0
	v_mov_b32_e32 v20, 0
	v_or_b32_e32 v6, s33, v0
	v_mov_b32_e32 v19, 0
	v_mov_b32_e32 v18, 0
	;; [unrolled: 1-line block ×15, first 2 shown]
	s_and_saveexec_b64 s[2:3], vcc
	s_cbranch_execz .LBB357_35
; %bb.4:
	global_load_ubyte v8, v6, s[6:7]
	v_cmp_gt_u32_e64 s[0:1], s8, v1
	v_mov_b32_e32 v7, 0
	v_mov_b32_e32 v3, 0
	;; [unrolled: 1-line block ×15, first 2 shown]
	s_and_saveexec_b64 s[10:11], s[0:1]
	s_cbranch_execz .LBB357_34
; %bb.5:
	v_add_u32_e32 v2, s33, v0
	global_load_ubyte v7, v2, s[6:7] offset:256
	v_or_b32_e32 v4, 0x200, v0
	v_mov_b32_e32 v3, 0
	v_cmp_gt_u32_e64 s[0:1], s8, v4
	v_mov_b32_e32 v4, 0
	v_mov_b32_e32 v9, 0
	;; [unrolled: 1-line block ×13, first 2 shown]
	s_and_saveexec_b64 s[12:13], s[0:1]
	s_cbranch_execz .LBB357_33
; %bb.6:
	v_lshl_add_u64 v[4:5], s[6:7], 0, v[2:3]
	global_load_ubyte v2, v[4:5], off offset:512
	v_or_b32_e32 v9, 0x300, v0
	v_cmp_gt_u32_e64 s[0:1], s8, v9
	v_mov_b32_e32 v9, 0
	v_mov_b32_e32 v10, 0
	;; [unrolled: 1-line block ×12, first 2 shown]
	s_and_saveexec_b64 s[6:7], s[0:1]
	s_cbranch_execz .LBB357_32
; %bb.7:
	global_load_ubyte v3, v[4:5], off offset:768
	v_or_b32_e32 v9, 0x400, v0
	v_cmp_gt_u32_e64 s[0:1], s8, v9
	v_mov_b32_e32 v9, 0
	v_mov_b32_e32 v10, 0
	;; [unrolled: 1-line block ×12, first 2 shown]
	s_and_saveexec_b64 s[14:15], s[0:1]
	s_cbranch_execz .LBB357_31
; %bb.8:
	global_load_ubyte v9, v[4:5], off offset:1024
	v_or_b32_e32 v10, 0x500, v0
	v_cmp_gt_u32_e64 s[0:1], s8, v10
	v_mov_b32_e32 v10, 0
	v_mov_b32_e32 v11, 0
	;; [unrolled: 1-line block ×11, first 2 shown]
	s_and_saveexec_b64 s[16:17], s[0:1]
	s_cbranch_execz .LBB357_30
; %bb.9:
	global_load_ubyte v10, v[4:5], off offset:1280
	v_or_b32_e32 v11, 0x600, v0
	v_cmp_gt_u32_e64 s[0:1], s8, v11
	v_mov_b32_e32 v11, 0
	v_mov_b32_e32 v12, 0
	;; [unrolled: 1-line block ×10, first 2 shown]
	s_and_saveexec_b64 s[18:19], s[0:1]
	s_cbranch_execz .LBB357_29
; %bb.10:
	global_load_ubyte v11, v[4:5], off offset:1536
	v_or_b32_e32 v12, 0x700, v0
	v_cmp_gt_u32_e64 s[0:1], s8, v12
	v_mov_b32_e32 v12, 0
	v_mov_b32_e32 v13, 0
	;; [unrolled: 1-line block ×9, first 2 shown]
	s_and_saveexec_b64 s[20:21], s[0:1]
	s_cbranch_execz .LBB357_28
; %bb.11:
	global_load_ubyte v12, v[4:5], off offset:1792
	v_or_b32_e32 v13, 0x800, v0
	v_cmp_gt_u32_e64 s[0:1], s8, v13
	v_mov_b32_e32 v13, 0
	v_mov_b32_e32 v14, 0
	;; [unrolled: 1-line block ×8, first 2 shown]
	s_and_saveexec_b64 s[22:23], s[0:1]
	s_cbranch_execz .LBB357_27
; %bb.12:
	global_load_ubyte v13, v[4:5], off offset:2048
	v_or_b32_e32 v14, 0x900, v0
	v_cmp_gt_u32_e64 s[0:1], s8, v14
	v_mov_b32_e32 v14, 0
	v_mov_b32_e32 v15, 0
	v_mov_b32_e32 v16, 0
	v_mov_b32_e32 v17, 0
	v_mov_b32_e32 v18, 0
	v_mov_b32_e32 v19, 0
	v_mov_b32_e32 v20, 0
	s_and_saveexec_b64 s[24:25], s[0:1]
	s_cbranch_execz .LBB357_26
; %bb.13:
	global_load_ubyte v14, v[4:5], off offset:2304
	v_or_b32_e32 v15, 0xa00, v0
	v_cmp_gt_u32_e64 s[0:1], s8, v15
	v_mov_b32_e32 v15, 0
	v_mov_b32_e32 v16, 0
	;; [unrolled: 1-line block ×6, first 2 shown]
	s_and_saveexec_b64 s[26:27], s[0:1]
	s_cbranch_execz .LBB357_25
; %bb.14:
	global_load_ubyte v15, v[4:5], off offset:2560
	v_or_b32_e32 v16, 0xb00, v0
	v_cmp_gt_u32_e64 s[0:1], s8, v16
	v_mov_b32_e32 v16, 0
	v_mov_b32_e32 v17, 0
	;; [unrolled: 1-line block ×5, first 2 shown]
	s_and_saveexec_b64 s[28:29], s[0:1]
	s_cbranch_execz .LBB357_24
; %bb.15:
	global_load_ubyte v16, v[4:5], off offset:2816
	v_or_b32_e32 v17, 0xc00, v0
	v_cmp_gt_u32_e64 s[0:1], s8, v17
	v_mov_b32_e32 v17, 0
	v_mov_b32_e32 v18, 0
	;; [unrolled: 1-line block ×4, first 2 shown]
	s_and_saveexec_b64 s[30:31], s[0:1]
	s_cbranch_execz .LBB357_23
; %bb.16:
	global_load_ubyte v17, v[4:5], off offset:3072
	v_or_b32_e32 v18, 0xd00, v0
	v_cmp_gt_u32_e64 s[0:1], s8, v18
	v_mov_b32_e32 v18, 0
	v_mov_b32_e32 v19, 0
	;; [unrolled: 1-line block ×3, first 2 shown]
	s_and_saveexec_b64 s[34:35], s[0:1]
	s_cbranch_execz .LBB357_22
; %bb.17:
	global_load_ubyte v18, v[4:5], off offset:3328
	v_or_b32_e32 v19, 0xe00, v0
	v_cmp_gt_u32_e64 s[0:1], s8, v19
	v_mov_b32_e32 v19, 0
	v_mov_b32_e32 v20, 0
	s_and_saveexec_b64 s[36:37], s[0:1]
	s_cbranch_execz .LBB357_21
; %bb.18:
	global_load_ubyte v19, v[4:5], off offset:3584
	v_or_b32_e32 v20, 0xf00, v0
	v_cmp_gt_u32_e64 s[0:1], s8, v20
	v_mov_b32_e32 v20, 0
	s_and_saveexec_b64 s[38:39], s[0:1]
	s_cbranch_execz .LBB357_20
; %bb.19:
	global_load_ubyte v20, v[4:5], off offset:3840
.LBB357_20:
	s_or_b64 exec, exec, s[38:39]
.LBB357_21:
	s_or_b64 exec, exec, s[36:37]
.LBB357_22:
	s_or_b64 exec, exec, s[34:35]
.LBB357_23:
	s_or_b64 exec, exec, s[30:31]
.LBB357_24:
	s_or_b64 exec, exec, s[28:29]
.LBB357_25:
	s_or_b64 exec, exec, s[26:27]
.LBB357_26:
	s_or_b64 exec, exec, s[24:25]
.LBB357_27:
	s_or_b64 exec, exec, s[22:23]
.LBB357_28:
	s_or_b64 exec, exec, s[20:21]
.LBB357_29:
	s_or_b64 exec, exec, s[18:19]
.LBB357_30:
	s_or_b64 exec, exec, s[16:17]
.LBB357_31:
	s_or_b64 exec, exec, s[14:15]
.LBB357_32:
	s_or_b64 exec, exec, s[6:7]
	s_waitcnt vmcnt(0)
	v_mov_b32_e32 v4, v3
	v_mov_b32_e32 v3, v2
.LBB357_33:
	s_or_b64 exec, exec, s[12:13]
.LBB357_34:
	s_or_b64 exec, exec, s[10:11]
.LBB357_35:
	s_or_b64 exec, exec, s[2:3]
	s_bfe_i32 s2, s9, 0x80000
	s_waitcnt vmcnt(0)
	v_max_i16_sdwa v2, sext(v8), s2 dst_sel:DWORD dst_unused:UNUSED_PAD src0_sel:BYTE_0 src1_sel:DWORD
	s_mov_b32 s6, 0xffff
	v_and_b32_sdwa v2, s6, v2 dst_sel:DWORD dst_unused:UNUSED_PAD src0_sel:DWORD src1_sel:BYTE_0
	v_cndmask_b32_e32 v2, 0, v2, vcc
	v_max_i16_sdwa v5, sext(v7), s2 dst_sel:BYTE_1 dst_unused:UNUSED_PAD src0_sel:BYTE_0 src1_sel:DWORD
	v_cmp_gt_i32_e64 s[0:1], s8, v1
	v_or_b32_e32 v5, v2, v5
	v_and_b32_e32 v5, 0xffff, v5
	v_cndmask_b32_e64 v2, v2, v5, s[0:1]
	v_max_i16_sdwa v3, sext(v3), s2 dst_sel:DWORD dst_unused:UNUSED_PAD src0_sel:BYTE_0 src1_sel:DWORD
	s_mov_b32 s7, 0xc0c0304
	v_or_b32_e32 v5, 0x200, v0
	v_perm_b32 v3, v3, v2, s7
	v_lshl_or_b32 v3, v3, 16, v2
	v_cmp_gt_i32_e64 s[0:1], s8, v5
	s_movk_i32 s3, 0xff
	v_max_i16_sdwa v4, sext(v4), s2 dst_sel:BYTE_1 dst_unused:UNUSED_PAD src0_sel:BYTE_0 src1_sel:DWORD
	v_cndmask_b32_e64 v2, v2, v3, s[0:1]
	v_lshrrev_b32_e32 v3, 16, v2
	v_bitop3_b16 v3, v3, v4, s3 bitop3:0xec
	v_or_b32_e32 v5, 0x300, v0
	v_lshlrev_b32_e32 v3, 16, v3
	v_and_or_b32 v3, v2, s6, v3
	v_cmp_gt_i32_e64 s[0:1], s8, v5
	s_mov_b32 s9, 0x3020104
	s_mov_b32 s10, 0xffff0000
	v_cndmask_b32_e64 v5, v2, v3, s[0:1]
	v_max_i16_sdwa v2, sext(v9), s2 dst_sel:DWORD dst_unused:UNUSED_PAD src0_sel:BYTE_0 src1_sel:DWORD
	v_or_b32_e32 v3, 0x400, v0
	v_perm_b32 v2, v2, 0, s9
	v_cmp_gt_i32_e64 s[0:1], s8, v3
	v_max_i16_sdwa v3, sext(v10), s2 dst_sel:BYTE_1 dst_unused:UNUSED_PAD src0_sel:BYTE_0 src1_sel:DWORD
	v_or_b32_e32 v4, 0x500, v0
	v_cndmask_b32_e64 v2, 0, v2, s[0:1]
	v_bitop3_b16 v3, v2, v3, s3 bitop3:0xec
	v_and_b32_e32 v3, 0xffff, v3
	v_and_or_b32 v3, v2, s10, v3
	v_cmp_gt_i32_e64 s[0:1], s8, v4
	v_max_i16_sdwa v4, sext(v11), s2 dst_sel:DWORD dst_unused:UNUSED_PAD src0_sel:BYTE_0 src1_sel:DWORD
	s_mov_b32 s11, 0x7000504
	v_cndmask_b32_e64 v2, v2, v3, s[0:1]
	v_or_b32_e32 v3, 0x600, v0
	v_perm_b32 v4, v2, v4, s11
	v_cmp_gt_i32_e64 s[0:1], s8, v3
	v_max_i16_sdwa v7, sext(v12), s2 dst_sel:BYTE_1 dst_unused:UNUSED_PAD src0_sel:BYTE_0 src1_sel:DWORD
	v_max_i16_sdwa v8, sext(v16), s2 dst_sel:BYTE_1 dst_unused:UNUSED_PAD src0_sel:BYTE_0 src1_sel:DWORD
	v_cndmask_b32_e64 v2, v2, v4, s[0:1]
	v_lshrrev_b32_e32 v3, 16, v2
	v_bitop3_b16 v3, v3, v7, s3 bitop3:0xec
	v_or_b32_e32 v4, 0x700, v0
	v_lshlrev_b32_e32 v3, 16, v3
	v_and_or_b32 v3, v2, s6, v3
	v_cmp_gt_i32_e64 s[0:1], s8, v4
	v_max_i16_sdwa v7, sext(v14), s2 dst_sel:BYTE_1 dst_unused:UNUSED_PAD src0_sel:BYTE_0 src1_sel:DWORD
	v_max_i16_sdwa v9, sext(v20), s2 dst_sel:BYTE_1 dst_unused:UNUSED_PAD src0_sel:BYTE_0 src1_sel:DWORD
	v_cndmask_b32_e64 v4, v2, v3, s[0:1]
	v_or_b32_e32 v2, 0x800, v0
	v_max_i16_sdwa v3, sext(v13), s2 dst_sel:DWORD dst_unused:UNUSED_PAD src0_sel:BYTE_0 src1_sel:DWORD
	v_and_b32_sdwa v3, s6, v3 dst_sel:DWORD dst_unused:UNUSED_PAD src0_sel:DWORD src1_sel:BYTE_0
	v_cmp_gt_i32_e64 s[0:1], s8, v2
	s_nop 1
	v_cndmask_b32_e64 v2, 0, v3, s[0:1]
	v_or_b32_e32 v3, 0x900, v0
	v_or_b32_e32 v7, v2, v7
	v_and_b32_e32 v7, 0xffff, v7
	v_cmp_gt_i32_e64 s[0:1], s8, v3
	v_or_b32_e32 v3, 0xa00, v0
	s_nop 0
	v_cndmask_b32_e64 v2, v2, v7, s[0:1]
	v_max_i16_sdwa v7, sext(v15), s2 dst_sel:DWORD dst_unused:UNUSED_PAD src0_sel:BYTE_0 src1_sel:DWORD
	v_perm_b32 v7, v7, v2, s7
	v_lshl_or_b32 v7, v7, 16, v2
	v_cmp_gt_i32_e64 s[0:1], s8, v3
	s_nop 1
	v_cndmask_b32_e64 v2, v2, v7, s[0:1]
	v_lshrrev_b32_e32 v3, 16, v2
	v_bitop3_b16 v3, v3, v8, s3 bitop3:0xec
	v_or_b32_e32 v7, 0xb00, v0
	v_lshlrev_b32_e32 v3, 16, v3
	v_and_or_b32 v3, v2, s6, v3
	v_cmp_gt_i32_e64 s[0:1], s8, v7
	v_or_b32_e32 v7, 0xc00, v0
	v_or_b32_e32 v8, 0xd00, v0
	v_cndmask_b32_e64 v3, v2, v3, s[0:1]
	v_max_i16_sdwa v2, sext(v17), s2 dst_sel:DWORD dst_unused:UNUSED_PAD src0_sel:BYTE_0 src1_sel:DWORD
	v_perm_b32 v2, v2, 0, s9
	v_cmp_gt_i32_e64 s[0:1], s8, v7
	v_max_i16_sdwa v7, sext(v18), s2 dst_sel:BYTE_1 dst_unused:UNUSED_PAD src0_sel:BYTE_0 src1_sel:DWORD
	s_nop 0
	v_cndmask_b32_e64 v2, 0, v2, s[0:1]
	v_bitop3_b16 v7, v2, v7, s3 bitop3:0xec
	v_and_b32_e32 v7, 0xffff, v7
	v_and_or_b32 v7, v2, s10, v7
	v_cmp_gt_i32_e64 s[0:1], s8, v8
	v_max_i16_sdwa v8, sext(v19), s2 dst_sel:DWORD dst_unused:UNUSED_PAD src0_sel:BYTE_0 src1_sel:DWORD
	s_nop 0
	v_cndmask_b32_e64 v2, v2, v7, s[0:1]
	v_or_b32_e32 v7, 0xe00, v0
	v_perm_b32 v8, v2, v8, s11
	v_cmp_gt_i32_e64 s[0:1], s8, v7
	s_nop 1
	v_cndmask_b32_e64 v2, v2, v8, s[0:1]
	v_lshrrev_b32_e32 v7, 16, v2
	v_bitop3_b16 v7, v7, v9, s3 bitop3:0xec
	v_or_b32_e32 v8, 0xf00, v0
	v_lshlrev_b32_e32 v7, 16, v7
	v_and_or_b32 v7, v2, s6, v7
	v_cmp_gt_i32_e64 s[0:1], s8, v8
	s_nop 1
	v_cndmask_b32_e64 v2, v2, v7, s[0:1]
	s_and_saveexec_b64 s[0:1], vcc
	s_cbranch_execnz .LBB357_53
; %bb.36:
	s_or_b64 exec, exec, s[0:1]
	v_cmp_gt_i32_e32 vcc, s8, v0
	s_and_saveexec_b64 s[0:1], vcc
	s_cbranch_execnz .LBB357_54
.LBB357_37:
	s_or_b64 exec, exec, s[0:1]
	v_cmp_gt_i32_e32 vcc, s8, v0
	s_and_saveexec_b64 s[0:1], vcc
	s_cbranch_execnz .LBB357_55
.LBB357_38:
	s_or_b64 exec, exec, s[0:1]
	v_cmp_gt_i32_e32 vcc, s8, v0
	s_and_saveexec_b64 s[0:1], vcc
	s_cbranch_execnz .LBB357_56
.LBB357_39:
	s_or_b64 exec, exec, s[0:1]
	v_cmp_gt_i32_e32 vcc, s8, v0
	s_and_saveexec_b64 s[0:1], vcc
	s_cbranch_execnz .LBB357_57
.LBB357_40:
	s_or_b64 exec, exec, s[0:1]
	v_cmp_gt_i32_e32 vcc, s8, v0
	s_and_saveexec_b64 s[0:1], vcc
	s_cbranch_execnz .LBB357_58
.LBB357_41:
	s_or_b64 exec, exec, s[0:1]
	v_cmp_gt_i32_e32 vcc, s8, v0
	s_and_saveexec_b64 s[0:1], vcc
	s_cbranch_execnz .LBB357_59
.LBB357_42:
	s_or_b64 exec, exec, s[0:1]
	v_cmp_gt_i32_e32 vcc, s8, v0
	s_and_saveexec_b64 s[0:1], vcc
	s_cbranch_execnz .LBB357_60
.LBB357_43:
	s_or_b64 exec, exec, s[0:1]
	v_cmp_gt_i32_e32 vcc, s8, v0
	s_and_saveexec_b64 s[0:1], vcc
	s_cbranch_execnz .LBB357_61
.LBB357_44:
	s_or_b64 exec, exec, s[0:1]
	v_cmp_gt_i32_e32 vcc, s8, v0
	s_and_saveexec_b64 s[0:1], vcc
	s_cbranch_execnz .LBB357_62
.LBB357_45:
	s_or_b64 exec, exec, s[0:1]
	v_cmp_gt_i32_e32 vcc, s8, v0
	s_and_saveexec_b64 s[0:1], vcc
	s_cbranch_execnz .LBB357_63
.LBB357_46:
	s_or_b64 exec, exec, s[0:1]
	v_cmp_gt_i32_e32 vcc, s8, v0
	s_and_saveexec_b64 s[0:1], vcc
	s_cbranch_execnz .LBB357_64
.LBB357_47:
	s_or_b64 exec, exec, s[0:1]
	v_cmp_gt_i32_e32 vcc, s8, v0
	s_and_saveexec_b64 s[0:1], vcc
	s_cbranch_execnz .LBB357_65
.LBB357_48:
	s_or_b64 exec, exec, s[0:1]
	v_cmp_gt_i32_e32 vcc, s8, v0
	s_and_saveexec_b64 s[0:1], vcc
	s_cbranch_execnz .LBB357_66
.LBB357_49:
	s_or_b64 exec, exec, s[0:1]
	v_cmp_gt_i32_e32 vcc, s8, v0
	s_and_saveexec_b64 s[0:1], vcc
	s_cbranch_execnz .LBB357_67
.LBB357_50:
	s_or_b64 exec, exec, s[0:1]
	v_cmp_gt_i32_e32 vcc, s8, v0
	s_and_saveexec_b64 s[0:1], vcc
	s_cbranch_execz .LBB357_52
.LBB357_51:
	v_lshrrev_b32_e32 v1, 24, v2
	v_add_u32_e32 v0, s33, v0
	global_store_byte v0, v1, s[4:5]
.LBB357_52:
	s_endpgm
.LBB357_53:
	v_mov_b32_e32 v0, v1
	global_store_byte v6, v5, s[4:5]
	s_or_b64 exec, exec, s[0:1]
	v_cmp_gt_i32_e32 vcc, s8, v0
	s_and_saveexec_b64 s[0:1], vcc
	s_cbranch_execz .LBB357_37
.LBB357_54:
	v_lshrrev_b32_e32 v1, 8, v5
	v_add_u32_e32 v6, s33, v0
	v_add_u32_e32 v0, 0x100, v0
	global_store_byte v6, v1, s[4:5]
	s_or_b64 exec, exec, s[0:1]
	v_cmp_gt_i32_e32 vcc, s8, v0
	s_and_saveexec_b64 s[0:1], vcc
	s_cbranch_execz .LBB357_38
.LBB357_55:
	v_add_u32_e32 v1, s33, v0
	v_add_u32_e32 v0, 0x100, v0
	global_store_byte_d16_hi v1, v5, s[4:5]
	s_or_b64 exec, exec, s[0:1]
	v_cmp_gt_i32_e32 vcc, s8, v0
	s_and_saveexec_b64 s[0:1], vcc
	s_cbranch_execz .LBB357_39
.LBB357_56:
	v_lshrrev_b32_e32 v1, 24, v5
	v_add_u32_e32 v5, s33, v0
	v_add_u32_e32 v0, 0x100, v0
	global_store_byte v5, v1, s[4:5]
	s_or_b64 exec, exec, s[0:1]
	v_cmp_gt_i32_e32 vcc, s8, v0
	s_and_saveexec_b64 s[0:1], vcc
	s_cbranch_execz .LBB357_40
.LBB357_57:
	v_add_u32_e32 v1, s33, v0
	v_add_u32_e32 v0, 0x100, v0
	global_store_byte v1, v4, s[4:5]
	s_or_b64 exec, exec, s[0:1]
	v_cmp_gt_i32_e32 vcc, s8, v0
	s_and_saveexec_b64 s[0:1], vcc
	s_cbranch_execz .LBB357_41
.LBB357_58:
	v_lshrrev_b32_e32 v1, 8, v4
	v_add_u32_e32 v5, s33, v0
	v_add_u32_e32 v0, 0x100, v0
	global_store_byte v5, v1, s[4:5]
	s_or_b64 exec, exec, s[0:1]
	v_cmp_gt_i32_e32 vcc, s8, v0
	s_and_saveexec_b64 s[0:1], vcc
	s_cbranch_execz .LBB357_42
.LBB357_59:
	v_add_u32_e32 v1, s33, v0
	v_add_u32_e32 v0, 0x100, v0
	global_store_byte_d16_hi v1, v4, s[4:5]
	s_or_b64 exec, exec, s[0:1]
	v_cmp_gt_i32_e32 vcc, s8, v0
	s_and_saveexec_b64 s[0:1], vcc
	s_cbranch_execz .LBB357_43
.LBB357_60:
	v_lshrrev_b32_e32 v1, 24, v4
	v_add_u32_e32 v4, s33, v0
	v_add_u32_e32 v0, 0x100, v0
	global_store_byte v4, v1, s[4:5]
	s_or_b64 exec, exec, s[0:1]
	v_cmp_gt_i32_e32 vcc, s8, v0
	s_and_saveexec_b64 s[0:1], vcc
	s_cbranch_execz .LBB357_44
.LBB357_61:
	v_add_u32_e32 v1, s33, v0
	v_add_u32_e32 v0, 0x100, v0
	global_store_byte v1, v3, s[4:5]
	s_or_b64 exec, exec, s[0:1]
	v_cmp_gt_i32_e32 vcc, s8, v0
	s_and_saveexec_b64 s[0:1], vcc
	s_cbranch_execz .LBB357_45
.LBB357_62:
	v_lshrrev_b32_e32 v1, 8, v3
	v_add_u32_e32 v4, s33, v0
	v_add_u32_e32 v0, 0x100, v0
	global_store_byte v4, v1, s[4:5]
	s_or_b64 exec, exec, s[0:1]
	v_cmp_gt_i32_e32 vcc, s8, v0
	s_and_saveexec_b64 s[0:1], vcc
	s_cbranch_execz .LBB357_46
.LBB357_63:
	v_add_u32_e32 v1, s33, v0
	v_add_u32_e32 v0, 0x100, v0
	global_store_byte_d16_hi v1, v3, s[4:5]
	s_or_b64 exec, exec, s[0:1]
	v_cmp_gt_i32_e32 vcc, s8, v0
	s_and_saveexec_b64 s[0:1], vcc
	s_cbranch_execz .LBB357_47
.LBB357_64:
	v_lshrrev_b32_e32 v1, 24, v3
	v_add_u32_e32 v3, s33, v0
	v_add_u32_e32 v0, 0x100, v0
	global_store_byte v3, v1, s[4:5]
	s_or_b64 exec, exec, s[0:1]
	v_cmp_gt_i32_e32 vcc, s8, v0
	s_and_saveexec_b64 s[0:1], vcc
	s_cbranch_execz .LBB357_48
.LBB357_65:
	v_add_u32_e32 v1, s33, v0
	v_add_u32_e32 v0, 0x100, v0
	global_store_byte v1, v2, s[4:5]
	s_or_b64 exec, exec, s[0:1]
	v_cmp_gt_i32_e32 vcc, s8, v0
	s_and_saveexec_b64 s[0:1], vcc
	s_cbranch_execz .LBB357_49
.LBB357_66:
	v_lshrrev_b32_e32 v1, 8, v2
	v_add_u32_e32 v3, s33, v0
	v_add_u32_e32 v0, 0x100, v0
	global_store_byte v3, v1, s[4:5]
	s_or_b64 exec, exec, s[0:1]
	v_cmp_gt_i32_e32 vcc, s8, v0
	s_and_saveexec_b64 s[0:1], vcc
	s_cbranch_execz .LBB357_50
.LBB357_67:
	v_add_u32_e32 v1, s33, v0
	v_add_u32_e32 v0, 0x100, v0
	global_store_byte_d16_hi v1, v2, s[4:5]
	s_or_b64 exec, exec, s[0:1]
	v_cmp_gt_i32_e32 vcc, s8, v0
	s_and_saveexec_b64 s[0:1], vcc
	s_cbranch_execnz .LBB357_51
	s_branch .LBB357_52
	.section	.rodata,"a",@progbits
	.p2align	6, 0x0
	.amdhsa_kernel _ZN2at6native29vectorized_elementwise_kernelILi2EZZZNS0_21clamp_min_kernel_cudaERNS_18TensorIteratorBaseERKN3c106ScalarEENKUlvE_clEvENKUlvE0_clEvEUlaE_St5arrayIPcLm2EEEEviT0_T1_
		.amdhsa_group_segment_fixed_size 0
		.amdhsa_private_segment_fixed_size 0
		.amdhsa_kernarg_size 24
		.amdhsa_user_sgpr_count 2
		.amdhsa_user_sgpr_dispatch_ptr 0
		.amdhsa_user_sgpr_queue_ptr 0
		.amdhsa_user_sgpr_kernarg_segment_ptr 1
		.amdhsa_user_sgpr_dispatch_id 0
		.amdhsa_user_sgpr_kernarg_preload_length 0
		.amdhsa_user_sgpr_kernarg_preload_offset 0
		.amdhsa_user_sgpr_private_segment_size 0
		.amdhsa_uses_dynamic_stack 0
		.amdhsa_enable_private_segment 0
		.amdhsa_system_sgpr_workgroup_id_x 1
		.amdhsa_system_sgpr_workgroup_id_y 0
		.amdhsa_system_sgpr_workgroup_id_z 0
		.amdhsa_system_sgpr_workgroup_info 0
		.amdhsa_system_vgpr_workitem_id 0
		.amdhsa_next_free_vgpr 21
		.amdhsa_next_free_sgpr 40
		.amdhsa_accum_offset 24
		.amdhsa_reserve_vcc 1
		.amdhsa_float_round_mode_32 0
		.amdhsa_float_round_mode_16_64 0
		.amdhsa_float_denorm_mode_32 3
		.amdhsa_float_denorm_mode_16_64 3
		.amdhsa_dx10_clamp 1
		.amdhsa_ieee_mode 1
		.amdhsa_fp16_overflow 0
		.amdhsa_tg_split 0
		.amdhsa_exception_fp_ieee_invalid_op 0
		.amdhsa_exception_fp_denorm_src 0
		.amdhsa_exception_fp_ieee_div_zero 0
		.amdhsa_exception_fp_ieee_overflow 0
		.amdhsa_exception_fp_ieee_underflow 0
		.amdhsa_exception_fp_ieee_inexact 0
		.amdhsa_exception_int_div_zero 0
	.end_amdhsa_kernel
	.section	.text._ZN2at6native29vectorized_elementwise_kernelILi2EZZZNS0_21clamp_min_kernel_cudaERNS_18TensorIteratorBaseERKN3c106ScalarEENKUlvE_clEvENKUlvE0_clEvEUlaE_St5arrayIPcLm2EEEEviT0_T1_,"axG",@progbits,_ZN2at6native29vectorized_elementwise_kernelILi2EZZZNS0_21clamp_min_kernel_cudaERNS_18TensorIteratorBaseERKN3c106ScalarEENKUlvE_clEvENKUlvE0_clEvEUlaE_St5arrayIPcLm2EEEEviT0_T1_,comdat
.Lfunc_end357:
	.size	_ZN2at6native29vectorized_elementwise_kernelILi2EZZZNS0_21clamp_min_kernel_cudaERNS_18TensorIteratorBaseERKN3c106ScalarEENKUlvE_clEvENKUlvE0_clEvEUlaE_St5arrayIPcLm2EEEEviT0_T1_, .Lfunc_end357-_ZN2at6native29vectorized_elementwise_kernelILi2EZZZNS0_21clamp_min_kernel_cudaERNS_18TensorIteratorBaseERKN3c106ScalarEENKUlvE_clEvENKUlvE0_clEvEUlaE_St5arrayIPcLm2EEEEviT0_T1_
                                        ; -- End function
	.set _ZN2at6native29vectorized_elementwise_kernelILi2EZZZNS0_21clamp_min_kernel_cudaERNS_18TensorIteratorBaseERKN3c106ScalarEENKUlvE_clEvENKUlvE0_clEvEUlaE_St5arrayIPcLm2EEEEviT0_T1_.num_vgpr, 21
	.set _ZN2at6native29vectorized_elementwise_kernelILi2EZZZNS0_21clamp_min_kernel_cudaERNS_18TensorIteratorBaseERKN3c106ScalarEENKUlvE_clEvENKUlvE0_clEvEUlaE_St5arrayIPcLm2EEEEviT0_T1_.num_agpr, 0
	.set _ZN2at6native29vectorized_elementwise_kernelILi2EZZZNS0_21clamp_min_kernel_cudaERNS_18TensorIteratorBaseERKN3c106ScalarEENKUlvE_clEvENKUlvE0_clEvEUlaE_St5arrayIPcLm2EEEEviT0_T1_.numbered_sgpr, 40
	.set _ZN2at6native29vectorized_elementwise_kernelILi2EZZZNS0_21clamp_min_kernel_cudaERNS_18TensorIteratorBaseERKN3c106ScalarEENKUlvE_clEvENKUlvE0_clEvEUlaE_St5arrayIPcLm2EEEEviT0_T1_.num_named_barrier, 0
	.set _ZN2at6native29vectorized_elementwise_kernelILi2EZZZNS0_21clamp_min_kernel_cudaERNS_18TensorIteratorBaseERKN3c106ScalarEENKUlvE_clEvENKUlvE0_clEvEUlaE_St5arrayIPcLm2EEEEviT0_T1_.private_seg_size, 0
	.set _ZN2at6native29vectorized_elementwise_kernelILi2EZZZNS0_21clamp_min_kernel_cudaERNS_18TensorIteratorBaseERKN3c106ScalarEENKUlvE_clEvENKUlvE0_clEvEUlaE_St5arrayIPcLm2EEEEviT0_T1_.uses_vcc, 1
	.set _ZN2at6native29vectorized_elementwise_kernelILi2EZZZNS0_21clamp_min_kernel_cudaERNS_18TensorIteratorBaseERKN3c106ScalarEENKUlvE_clEvENKUlvE0_clEvEUlaE_St5arrayIPcLm2EEEEviT0_T1_.uses_flat_scratch, 0
	.set _ZN2at6native29vectorized_elementwise_kernelILi2EZZZNS0_21clamp_min_kernel_cudaERNS_18TensorIteratorBaseERKN3c106ScalarEENKUlvE_clEvENKUlvE0_clEvEUlaE_St5arrayIPcLm2EEEEviT0_T1_.has_dyn_sized_stack, 0
	.set _ZN2at6native29vectorized_elementwise_kernelILi2EZZZNS0_21clamp_min_kernel_cudaERNS_18TensorIteratorBaseERKN3c106ScalarEENKUlvE_clEvENKUlvE0_clEvEUlaE_St5arrayIPcLm2EEEEviT0_T1_.has_recursion, 0
	.set _ZN2at6native29vectorized_elementwise_kernelILi2EZZZNS0_21clamp_min_kernel_cudaERNS_18TensorIteratorBaseERKN3c106ScalarEENKUlvE_clEvENKUlvE0_clEvEUlaE_St5arrayIPcLm2EEEEviT0_T1_.has_indirect_call, 0
	.section	.AMDGPU.csdata,"",@progbits
; Kernel info:
; codeLenInByte = 3220
; TotalNumSgprs: 46
; NumVgprs: 21
; NumAgprs: 0
; TotalNumVgprs: 21
; ScratchSize: 0
; MemoryBound: 0
; FloatMode: 240
; IeeeMode: 1
; LDSByteSize: 0 bytes/workgroup (compile time only)
; SGPRBlocks: 5
; VGPRBlocks: 2
; NumSGPRsForWavesPerEU: 46
; NumVGPRsForWavesPerEU: 21
; AccumOffset: 24
; Occupancy: 8
; WaveLimiterHint : 1
; COMPUTE_PGM_RSRC2:SCRATCH_EN: 0
; COMPUTE_PGM_RSRC2:USER_SGPR: 2
; COMPUTE_PGM_RSRC2:TRAP_HANDLER: 0
; COMPUTE_PGM_RSRC2:TGID_X_EN: 1
; COMPUTE_PGM_RSRC2:TGID_Y_EN: 0
; COMPUTE_PGM_RSRC2:TGID_Z_EN: 0
; COMPUTE_PGM_RSRC2:TIDIG_COMP_CNT: 0
; COMPUTE_PGM_RSRC3_GFX90A:ACCUM_OFFSET: 5
; COMPUTE_PGM_RSRC3_GFX90A:TG_SPLIT: 0
	.section	.text._ZN2at6native27unrolled_elementwise_kernelIZZZNS0_21clamp_min_kernel_cudaERNS_18TensorIteratorBaseERKN3c106ScalarEENKUlvE_clEvENKUlvE0_clEvEUlaE_St5arrayIPcLm2EELi4E23TrivialOffsetCalculatorILi1EjESF_NS0_6memory15LoadWithoutCastENSG_16StoreWithoutCastEEEviT_T0_T2_T3_T4_T5_,"axG",@progbits,_ZN2at6native27unrolled_elementwise_kernelIZZZNS0_21clamp_min_kernel_cudaERNS_18TensorIteratorBaseERKN3c106ScalarEENKUlvE_clEvENKUlvE0_clEvEUlaE_St5arrayIPcLm2EELi4E23TrivialOffsetCalculatorILi1EjESF_NS0_6memory15LoadWithoutCastENSG_16StoreWithoutCastEEEviT_T0_T2_T3_T4_T5_,comdat
	.globl	_ZN2at6native27unrolled_elementwise_kernelIZZZNS0_21clamp_min_kernel_cudaERNS_18TensorIteratorBaseERKN3c106ScalarEENKUlvE_clEvENKUlvE0_clEvEUlaE_St5arrayIPcLm2EELi4E23TrivialOffsetCalculatorILi1EjESF_NS0_6memory15LoadWithoutCastENSG_16StoreWithoutCastEEEviT_T0_T2_T3_T4_T5_ ; -- Begin function _ZN2at6native27unrolled_elementwise_kernelIZZZNS0_21clamp_min_kernel_cudaERNS_18TensorIteratorBaseERKN3c106ScalarEENKUlvE_clEvENKUlvE0_clEvEUlaE_St5arrayIPcLm2EELi4E23TrivialOffsetCalculatorILi1EjESF_NS0_6memory15LoadWithoutCastENSG_16StoreWithoutCastEEEviT_T0_T2_T3_T4_T5_
	.p2align	8
	.type	_ZN2at6native27unrolled_elementwise_kernelIZZZNS0_21clamp_min_kernel_cudaERNS_18TensorIteratorBaseERKN3c106ScalarEENKUlvE_clEvENKUlvE0_clEvEUlaE_St5arrayIPcLm2EELi4E23TrivialOffsetCalculatorILi1EjESF_NS0_6memory15LoadWithoutCastENSG_16StoreWithoutCastEEEviT_T0_T2_T3_T4_T5_,@function
_ZN2at6native27unrolled_elementwise_kernelIZZZNS0_21clamp_min_kernel_cudaERNS_18TensorIteratorBaseERKN3c106ScalarEENKUlvE_clEvENKUlvE0_clEvEUlaE_St5arrayIPcLm2EELi4E23TrivialOffsetCalculatorILi1EjESF_NS0_6memory15LoadWithoutCastENSG_16StoreWithoutCastEEEviT_T0_T2_T3_T4_T5_: ; @_ZN2at6native27unrolled_elementwise_kernelIZZZNS0_21clamp_min_kernel_cudaERNS_18TensorIteratorBaseERKN3c106ScalarEENKUlvE_clEvENKUlvE0_clEvEUlaE_St5arrayIPcLm2EELi4E23TrivialOffsetCalculatorILi1EjESF_NS0_6memory15LoadWithoutCastENSG_16StoreWithoutCastEEEviT_T0_T2_T3_T4_T5_
; %bb.0:
	s_load_dwordx2 s[8:9], s[0:1], 0x0
	s_load_dwordx4 s[4:7], s[0:1], 0x8
	s_lshl_b32 s16, s2, 10
	v_or_b32_e32 v1, 0x100, v0
	v_mov_b32_e32 v3, 0
	s_waitcnt lgkmcnt(0)
	s_sub_i32 s8, s8, s16
	v_cmp_gt_i32_e32 vcc, s8, v0
	v_or_b32_e32 v2, s16, v0
	v_mov_b32_e32 v5, 0
	v_mov_b32_e32 v4, 0
	;; [unrolled: 1-line block ×3, first 2 shown]
	s_and_saveexec_b64 s[2:3], vcc
	s_cbranch_execz .LBB358_8
; %bb.1:
	global_load_ubyte v6, v2, s[6:7]
	v_cmp_gt_u32_e64 s[0:1], s8, v1
	v_mov_b32_e32 v4, 0
	v_mov_b32_e32 v5, 0
	v_mov_b32_e32 v3, 0
	s_and_saveexec_b64 s[10:11], s[0:1]
	s_cbranch_execz .LBB358_7
; %bb.2:
	v_add_u32_e32 v3, s16, v1
	global_load_ubyte v4, v3, s[6:7]
	v_or_b32_e32 v7, 0x200, v0
	v_cmp_gt_u32_e64 s[0:1], s8, v7
	v_mov_b32_e32 v5, 0
	v_mov_b32_e32 v3, 0
	s_and_saveexec_b64 s[12:13], s[0:1]
	s_cbranch_execz .LBB358_6
; %bb.3:
	v_add_u32_e32 v3, s16, v7
	global_load_ubyte v5, v3, s[6:7]
	v_or_b32_e32 v7, 0x300, v0
	v_cmp_gt_u32_e64 s[0:1], s8, v7
	v_mov_b32_e32 v3, 0
	s_and_saveexec_b64 s[14:15], s[0:1]
	s_cbranch_execz .LBB358_5
; %bb.4:
	v_add_u32_e32 v3, s16, v7
	global_load_ubyte v3, v3, s[6:7]
.LBB358_5:
	s_or_b64 exec, exec, s[14:15]
.LBB358_6:
	s_or_b64 exec, exec, s[12:13]
.LBB358_7:
	s_or_b64 exec, exec, s[10:11]
.LBB358_8:
	s_or_b64 exec, exec, s[2:3]
	s_bfe_i32 s2, s9, 0x80000
	s_waitcnt vmcnt(0)
	v_max_i16_sdwa v6, sext(v6), s2 dst_sel:DWORD dst_unused:UNUSED_PAD src0_sel:BYTE_0 src1_sel:DWORD
	s_mov_b32 s6, 0xffff
	v_and_b32_sdwa v6, s6, v6 dst_sel:DWORD dst_unused:UNUSED_PAD src0_sel:DWORD src1_sel:BYTE_0
	v_cndmask_b32_e32 v6, 0, v6, vcc
	v_max_i16_sdwa v4, sext(v4), s2 dst_sel:BYTE_1 dst_unused:UNUSED_PAD src0_sel:BYTE_0 src1_sel:DWORD
	v_cmp_gt_i32_e64 s[0:1], s8, v1
	v_or_b32_e32 v4, v6, v4
	v_and_b32_e32 v4, 0xffff, v4
	v_cndmask_b32_e64 v4, v6, v4, s[0:1]
	v_max_i16_sdwa v5, sext(v5), s2 dst_sel:DWORD dst_unused:UNUSED_PAD src0_sel:BYTE_0 src1_sel:DWORD
	s_mov_b32 s0, 0xc0c0304
	v_or_b32_e32 v6, 0x200, v0
	v_perm_b32 v5, v5, v4, s0
	v_lshl_or_b32 v5, v5, 16, v4
	v_cmp_gt_i32_e64 s[0:1], s8, v6
	s_movk_i32 s3, 0xff
	v_max_i16_sdwa v3, sext(v3), s2 dst_sel:BYTE_1 dst_unused:UNUSED_PAD src0_sel:BYTE_0 src1_sel:DWORD
	v_cndmask_b32_e64 v4, v4, v5, s[0:1]
	v_lshrrev_b32_e32 v5, 16, v4
	v_bitop3_b16 v3, v5, v3, s3 bitop3:0xec
	v_or_b32_e32 v6, 0x300, v0
	v_lshlrev_b32_e32 v3, 16, v3
	v_and_or_b32 v3, v4, s6, v3
	v_cmp_gt_i32_e64 s[0:1], s8, v6
	s_nop 1
	v_cndmask_b32_e64 v3, v4, v3, s[0:1]
	s_and_saveexec_b64 s[0:1], vcc
	s_cbranch_execnz .LBB358_13
; %bb.9:
	s_or_b64 exec, exec, s[0:1]
	v_cmp_gt_i32_e32 vcc, s8, v0
	s_and_saveexec_b64 s[0:1], vcc
	s_cbranch_execnz .LBB358_14
.LBB358_10:
	s_or_b64 exec, exec, s[0:1]
	v_cmp_gt_i32_e32 vcc, s8, v0
	s_and_saveexec_b64 s[0:1], vcc
	s_cbranch_execnz .LBB358_15
.LBB358_11:
	s_or_b64 exec, exec, s[0:1]
	v_cmp_gt_i32_e32 vcc, s8, v0
	s_and_saveexec_b64 s[0:1], vcc
	s_cbranch_execnz .LBB358_16
.LBB358_12:
	s_endpgm
.LBB358_13:
	v_mov_b32_e32 v0, v1
	global_store_byte v2, v3, s[4:5]
	s_or_b64 exec, exec, s[0:1]
	v_cmp_gt_i32_e32 vcc, s8, v0
	s_and_saveexec_b64 s[0:1], vcc
	s_cbranch_execz .LBB358_10
.LBB358_14:
	v_add_u32_e32 v1, 0x100, v0
	v_add_u32_e32 v0, s16, v0
	v_lshrrev_b32_e32 v2, 8, v3
	global_store_byte v0, v2, s[4:5]
	v_mov_b32_e32 v0, v1
	s_or_b64 exec, exec, s[0:1]
	v_cmp_gt_i32_e32 vcc, s8, v0
	s_and_saveexec_b64 s[0:1], vcc
	s_cbranch_execz .LBB358_11
.LBB358_15:
	v_add_u32_e32 v1, 0x100, v0
	v_add_u32_e32 v0, s16, v0
	global_store_byte_d16_hi v0, v3, s[4:5]
	v_mov_b32_e32 v0, v1
	s_or_b64 exec, exec, s[0:1]
	v_cmp_gt_i32_e32 vcc, s8, v0
	s_and_saveexec_b64 s[0:1], vcc
	s_cbranch_execz .LBB358_12
.LBB358_16:
	v_add_u32_e32 v0, s16, v0
	v_lshrrev_b32_e32 v1, 24, v3
	global_store_byte v0, v1, s[4:5]
	s_endpgm
	.section	.rodata,"a",@progbits
	.p2align	6, 0x0
	.amdhsa_kernel _ZN2at6native27unrolled_elementwise_kernelIZZZNS0_21clamp_min_kernel_cudaERNS_18TensorIteratorBaseERKN3c106ScalarEENKUlvE_clEvENKUlvE0_clEvEUlaE_St5arrayIPcLm2EELi4E23TrivialOffsetCalculatorILi1EjESF_NS0_6memory15LoadWithoutCastENSG_16StoreWithoutCastEEEviT_T0_T2_T3_T4_T5_
		.amdhsa_group_segment_fixed_size 0
		.amdhsa_private_segment_fixed_size 0
		.amdhsa_kernarg_size 28
		.amdhsa_user_sgpr_count 2
		.amdhsa_user_sgpr_dispatch_ptr 0
		.amdhsa_user_sgpr_queue_ptr 0
		.amdhsa_user_sgpr_kernarg_segment_ptr 1
		.amdhsa_user_sgpr_dispatch_id 0
		.amdhsa_user_sgpr_kernarg_preload_length 0
		.amdhsa_user_sgpr_kernarg_preload_offset 0
		.amdhsa_user_sgpr_private_segment_size 0
		.amdhsa_uses_dynamic_stack 0
		.amdhsa_enable_private_segment 0
		.amdhsa_system_sgpr_workgroup_id_x 1
		.amdhsa_system_sgpr_workgroup_id_y 0
		.amdhsa_system_sgpr_workgroup_id_z 0
		.amdhsa_system_sgpr_workgroup_info 0
		.amdhsa_system_vgpr_workitem_id 0
		.amdhsa_next_free_vgpr 8
		.amdhsa_next_free_sgpr 17
		.amdhsa_accum_offset 8
		.amdhsa_reserve_vcc 1
		.amdhsa_float_round_mode_32 0
		.amdhsa_float_round_mode_16_64 0
		.amdhsa_float_denorm_mode_32 3
		.amdhsa_float_denorm_mode_16_64 3
		.amdhsa_dx10_clamp 1
		.amdhsa_ieee_mode 1
		.amdhsa_fp16_overflow 0
		.amdhsa_tg_split 0
		.amdhsa_exception_fp_ieee_invalid_op 0
		.amdhsa_exception_fp_denorm_src 0
		.amdhsa_exception_fp_ieee_div_zero 0
		.amdhsa_exception_fp_ieee_overflow 0
		.amdhsa_exception_fp_ieee_underflow 0
		.amdhsa_exception_fp_ieee_inexact 0
		.amdhsa_exception_int_div_zero 0
	.end_amdhsa_kernel
	.section	.text._ZN2at6native27unrolled_elementwise_kernelIZZZNS0_21clamp_min_kernel_cudaERNS_18TensorIteratorBaseERKN3c106ScalarEENKUlvE_clEvENKUlvE0_clEvEUlaE_St5arrayIPcLm2EELi4E23TrivialOffsetCalculatorILi1EjESF_NS0_6memory15LoadWithoutCastENSG_16StoreWithoutCastEEEviT_T0_T2_T3_T4_T5_,"axG",@progbits,_ZN2at6native27unrolled_elementwise_kernelIZZZNS0_21clamp_min_kernel_cudaERNS_18TensorIteratorBaseERKN3c106ScalarEENKUlvE_clEvENKUlvE0_clEvEUlaE_St5arrayIPcLm2EELi4E23TrivialOffsetCalculatorILi1EjESF_NS0_6memory15LoadWithoutCastENSG_16StoreWithoutCastEEEviT_T0_T2_T3_T4_T5_,comdat
.Lfunc_end358:
	.size	_ZN2at6native27unrolled_elementwise_kernelIZZZNS0_21clamp_min_kernel_cudaERNS_18TensorIteratorBaseERKN3c106ScalarEENKUlvE_clEvENKUlvE0_clEvEUlaE_St5arrayIPcLm2EELi4E23TrivialOffsetCalculatorILi1EjESF_NS0_6memory15LoadWithoutCastENSG_16StoreWithoutCastEEEviT_T0_T2_T3_T4_T5_, .Lfunc_end358-_ZN2at6native27unrolled_elementwise_kernelIZZZNS0_21clamp_min_kernel_cudaERNS_18TensorIteratorBaseERKN3c106ScalarEENKUlvE_clEvENKUlvE0_clEvEUlaE_St5arrayIPcLm2EELi4E23TrivialOffsetCalculatorILi1EjESF_NS0_6memory15LoadWithoutCastENSG_16StoreWithoutCastEEEviT_T0_T2_T3_T4_T5_
                                        ; -- End function
	.set _ZN2at6native27unrolled_elementwise_kernelIZZZNS0_21clamp_min_kernel_cudaERNS_18TensorIteratorBaseERKN3c106ScalarEENKUlvE_clEvENKUlvE0_clEvEUlaE_St5arrayIPcLm2EELi4E23TrivialOffsetCalculatorILi1EjESF_NS0_6memory15LoadWithoutCastENSG_16StoreWithoutCastEEEviT_T0_T2_T3_T4_T5_.num_vgpr, 8
	.set _ZN2at6native27unrolled_elementwise_kernelIZZZNS0_21clamp_min_kernel_cudaERNS_18TensorIteratorBaseERKN3c106ScalarEENKUlvE_clEvENKUlvE0_clEvEUlaE_St5arrayIPcLm2EELi4E23TrivialOffsetCalculatorILi1EjESF_NS0_6memory15LoadWithoutCastENSG_16StoreWithoutCastEEEviT_T0_T2_T3_T4_T5_.num_agpr, 0
	.set _ZN2at6native27unrolled_elementwise_kernelIZZZNS0_21clamp_min_kernel_cudaERNS_18TensorIteratorBaseERKN3c106ScalarEENKUlvE_clEvENKUlvE0_clEvEUlaE_St5arrayIPcLm2EELi4E23TrivialOffsetCalculatorILi1EjESF_NS0_6memory15LoadWithoutCastENSG_16StoreWithoutCastEEEviT_T0_T2_T3_T4_T5_.numbered_sgpr, 17
	.set _ZN2at6native27unrolled_elementwise_kernelIZZZNS0_21clamp_min_kernel_cudaERNS_18TensorIteratorBaseERKN3c106ScalarEENKUlvE_clEvENKUlvE0_clEvEUlaE_St5arrayIPcLm2EELi4E23TrivialOffsetCalculatorILi1EjESF_NS0_6memory15LoadWithoutCastENSG_16StoreWithoutCastEEEviT_T0_T2_T3_T4_T5_.num_named_barrier, 0
	.set _ZN2at6native27unrolled_elementwise_kernelIZZZNS0_21clamp_min_kernel_cudaERNS_18TensorIteratorBaseERKN3c106ScalarEENKUlvE_clEvENKUlvE0_clEvEUlaE_St5arrayIPcLm2EELi4E23TrivialOffsetCalculatorILi1EjESF_NS0_6memory15LoadWithoutCastENSG_16StoreWithoutCastEEEviT_T0_T2_T3_T4_T5_.private_seg_size, 0
	.set _ZN2at6native27unrolled_elementwise_kernelIZZZNS0_21clamp_min_kernel_cudaERNS_18TensorIteratorBaseERKN3c106ScalarEENKUlvE_clEvENKUlvE0_clEvEUlaE_St5arrayIPcLm2EELi4E23TrivialOffsetCalculatorILi1EjESF_NS0_6memory15LoadWithoutCastENSG_16StoreWithoutCastEEEviT_T0_T2_T3_T4_T5_.uses_vcc, 1
	.set _ZN2at6native27unrolled_elementwise_kernelIZZZNS0_21clamp_min_kernel_cudaERNS_18TensorIteratorBaseERKN3c106ScalarEENKUlvE_clEvENKUlvE0_clEvEUlaE_St5arrayIPcLm2EELi4E23TrivialOffsetCalculatorILi1EjESF_NS0_6memory15LoadWithoutCastENSG_16StoreWithoutCastEEEviT_T0_T2_T3_T4_T5_.uses_flat_scratch, 0
	.set _ZN2at6native27unrolled_elementwise_kernelIZZZNS0_21clamp_min_kernel_cudaERNS_18TensorIteratorBaseERKN3c106ScalarEENKUlvE_clEvENKUlvE0_clEvEUlaE_St5arrayIPcLm2EELi4E23TrivialOffsetCalculatorILi1EjESF_NS0_6memory15LoadWithoutCastENSG_16StoreWithoutCastEEEviT_T0_T2_T3_T4_T5_.has_dyn_sized_stack, 0
	.set _ZN2at6native27unrolled_elementwise_kernelIZZZNS0_21clamp_min_kernel_cudaERNS_18TensorIteratorBaseERKN3c106ScalarEENKUlvE_clEvENKUlvE0_clEvEUlaE_St5arrayIPcLm2EELi4E23TrivialOffsetCalculatorILi1EjESF_NS0_6memory15LoadWithoutCastENSG_16StoreWithoutCastEEEviT_T0_T2_T3_T4_T5_.has_recursion, 0
	.set _ZN2at6native27unrolled_elementwise_kernelIZZZNS0_21clamp_min_kernel_cudaERNS_18TensorIteratorBaseERKN3c106ScalarEENKUlvE_clEvENKUlvE0_clEvEUlaE_St5arrayIPcLm2EELi4E23TrivialOffsetCalculatorILi1EjESF_NS0_6memory15LoadWithoutCastENSG_16StoreWithoutCastEEEviT_T0_T2_T3_T4_T5_.has_indirect_call, 0
	.section	.AMDGPU.csdata,"",@progbits
; Kernel info:
; codeLenInByte = 604
; TotalNumSgprs: 23
; NumVgprs: 8
; NumAgprs: 0
; TotalNumVgprs: 8
; ScratchSize: 0
; MemoryBound: 0
; FloatMode: 240
; IeeeMode: 1
; LDSByteSize: 0 bytes/workgroup (compile time only)
; SGPRBlocks: 2
; VGPRBlocks: 0
; NumSGPRsForWavesPerEU: 23
; NumVGPRsForWavesPerEU: 8
; AccumOffset: 8
; Occupancy: 8
; WaveLimiterHint : 0
; COMPUTE_PGM_RSRC2:SCRATCH_EN: 0
; COMPUTE_PGM_RSRC2:USER_SGPR: 2
; COMPUTE_PGM_RSRC2:TRAP_HANDLER: 0
; COMPUTE_PGM_RSRC2:TGID_X_EN: 1
; COMPUTE_PGM_RSRC2:TGID_Y_EN: 0
; COMPUTE_PGM_RSRC2:TGID_Z_EN: 0
; COMPUTE_PGM_RSRC2:TIDIG_COMP_CNT: 0
; COMPUTE_PGM_RSRC3_GFX90A:ACCUM_OFFSET: 1
; COMPUTE_PGM_RSRC3_GFX90A:TG_SPLIT: 0
	.section	.text._ZN2at6native32elementwise_kernel_manual_unrollILi128ELi8EZNS0_22gpu_kernel_impl_nocastIZZZNS0_21clamp_min_kernel_cudaERNS_18TensorIteratorBaseERKN3c106ScalarEENKUlvE_clEvENKUlvE0_clEvEUlaE_EEvS4_RKT_EUlibE_EEviT1_,"axG",@progbits,_ZN2at6native32elementwise_kernel_manual_unrollILi128ELi8EZNS0_22gpu_kernel_impl_nocastIZZZNS0_21clamp_min_kernel_cudaERNS_18TensorIteratorBaseERKN3c106ScalarEENKUlvE_clEvENKUlvE0_clEvEUlaE_EEvS4_RKT_EUlibE_EEviT1_,comdat
	.globl	_ZN2at6native32elementwise_kernel_manual_unrollILi128ELi8EZNS0_22gpu_kernel_impl_nocastIZZZNS0_21clamp_min_kernel_cudaERNS_18TensorIteratorBaseERKN3c106ScalarEENKUlvE_clEvENKUlvE0_clEvEUlaE_EEvS4_RKT_EUlibE_EEviT1_ ; -- Begin function _ZN2at6native32elementwise_kernel_manual_unrollILi128ELi8EZNS0_22gpu_kernel_impl_nocastIZZZNS0_21clamp_min_kernel_cudaERNS_18TensorIteratorBaseERKN3c106ScalarEENKUlvE_clEvENKUlvE0_clEvEUlaE_EEvS4_RKT_EUlibE_EEviT1_
	.p2align	8
	.type	_ZN2at6native32elementwise_kernel_manual_unrollILi128ELi8EZNS0_22gpu_kernel_impl_nocastIZZZNS0_21clamp_min_kernel_cudaERNS_18TensorIteratorBaseERKN3c106ScalarEENKUlvE_clEvENKUlvE0_clEvEUlaE_EEvS4_RKT_EUlibE_EEviT1_,@function
_ZN2at6native32elementwise_kernel_manual_unrollILi128ELi8EZNS0_22gpu_kernel_impl_nocastIZZZNS0_21clamp_min_kernel_cudaERNS_18TensorIteratorBaseERKN3c106ScalarEENKUlvE_clEvENKUlvE0_clEvEUlaE_EEvS4_RKT_EUlibE_EEviT1_: ; @_ZN2at6native32elementwise_kernel_manual_unrollILi128ELi8EZNS0_22gpu_kernel_impl_nocastIZZZNS0_21clamp_min_kernel_cudaERNS_18TensorIteratorBaseERKN3c106ScalarEENKUlvE_clEvENKUlvE0_clEvEUlaE_EEvS4_RKT_EUlibE_EEviT1_
; %bb.0:
	s_load_dword s56, s[0:1], 0x0
	s_load_dword s33, s[0:1], 0x8
	s_add_u32 s34, s0, 8
	s_addc_u32 s35, s1, 0
	v_lshl_or_b32 v24, s2, 10, v0
	v_or_b32_e32 v32, 0x380, v24
	s_waitcnt lgkmcnt(0)
	s_add_i32 s54, s33, -1
	s_cmp_gt_u32 s54, 1
	v_cmp_le_i32_e32 vcc, s56, v32
	s_cselect_b64 s[36:37], -1, 0
	s_and_saveexec_b64 s[0:1], vcc
	s_xor_b64 s[38:39], exec, s[0:1]
	s_cbranch_execz .LBB359_8
; %bb.1:
	s_load_dwordx4 s[24:27], s[34:35], 0x4
	s_load_dwordx2 s[40:41], s[34:35], 0x14
	s_load_dwordx4 s[20:23], s[34:35], 0xc4
	s_load_dwordx4 s[16:19], s[34:35], 0x148
	s_load_dword s55, s[34:35], 0x158
	s_cmp_lg_u32 s33, 0
	s_cselect_b64 s[46:47], -1, 0
	s_add_u32 s44, s34, 0xc4
	s_addc_u32 s45, s35, 0
	s_min_u32 s57, s54, 15
	s_cmp_gt_u32 s33, 1
	s_cselect_b64 s[42:43], -1, 0
	v_cmp_gt_i32_e32 vcc, s56, v24
	s_and_saveexec_b64 s[48:49], vcc
	s_cbranch_execz .LBB359_15
; %bb.2:
	s_andn2_b64 vcc, exec, s[36:37]
	s_cbranch_vccnz .LBB359_23
; %bb.3:
	s_andn2_b64 vcc, exec, s[46:47]
	s_cbranch_vccnz .LBB359_131
; %bb.4:
	s_add_i32 s59, s57, 1
	s_cmp_eq_u32 s54, 2
	s_cbranch_scc1 .LBB359_133
; %bb.5:
	s_and_b32 s58, s59, 28
	s_mov_b32 s60, 0
	v_mov_b32_e32 v0, 0
	v_mov_b32_e32 v2, 0
	s_mov_b64 s[50:51], s[34:35]
	s_mov_b64 s[52:53], s[44:45]
	v_mov_b32_e32 v4, v24
.LBB359_6:                              ; =>This Inner Loop Header: Depth=1
	s_load_dwordx8 s[8:15], s[50:51], 0x4
	s_load_dwordx4 s[28:31], s[50:51], 0x24
	s_load_dwordx8 s[0:7], s[52:53], 0x0
	s_add_u32 s50, s50, 48
	s_addc_u32 s51, s51, 0
	s_waitcnt lgkmcnt(0)
	v_mul_hi_u32 v1, s9, v4
	v_add_u32_e32 v1, v4, v1
	v_lshrrev_b32_e32 v1, s10, v1
	v_mul_lo_u32 v3, v1, s8
	v_mul_hi_u32 v5, s12, v1
	v_sub_u32_e32 v3, v4, v3
	v_add_u32_e32 v4, v1, v5
	v_lshrrev_b32_e32 v4, s13, v4
	v_mul_lo_u32 v6, v4, s11
	v_mul_hi_u32 v7, s15, v4
	v_sub_u32_e32 v1, v1, v6
	v_add_u32_e32 v6, v4, v7
	v_mul_lo_u32 v5, v3, s1
	v_mul_lo_u32 v3, v3, s0
	;; [unrolled: 1-line block ×4, first 2 shown]
	v_lshrrev_b32_e32 v6, s28, v6
	v_add3_u32 v0, v3, v0, v1
	v_mul_hi_u32 v3, s30, v6
	v_add3_u32 v1, v5, v2, v7
	v_mul_lo_u32 v2, v6, s14
	v_add_u32_e32 v3, v6, v3
	v_sub_u32_e32 v2, v4, v2
	v_lshrrev_b32_e32 v4, s31, v3
	s_add_i32 s60, s60, 4
	v_mul_lo_u32 v3, v4, s29
	s_add_u32 s52, s52, 32
	v_sub_u32_e32 v3, v6, v3
	s_addc_u32 s53, s53, 0
	v_mul_lo_u32 v5, v2, s4
	v_mul_lo_u32 v2, v2, s5
	;; [unrolled: 1-line block ×4, first 2 shown]
	s_cmp_lg_u32 s58, s60
	v_add3_u32 v2, v2, v1, v3
	v_add3_u32 v0, v5, v0, v6
	s_cbranch_scc1 .LBB359_6
; %bb.7:
	v_mov_b32_e32 v1, v2
	s_branch .LBB359_134
.LBB359_8:
	s_andn2_saveexec_b64 s[0:1], s[38:39]
	s_cbranch_execz .LBB359_228
.LBB359_9:
	v_cndmask_b32_e64 v0, 0, 1, s[36:37]
	v_cmp_ne_u32_e64 s[0:1], 1, v0
	s_andn2_b64 vcc, exec, s[36:37]
	s_cbranch_vccnz .LBB359_22
; %bb.10:
	s_cmp_lg_u32 s33, 0
	s_waitcnt lgkmcnt(0)
	s_mov_b32 s26, 0
	s_cbranch_scc0 .LBB359_25
; %bb.11:
	s_min_u32 s27, s54, 15
	s_add_i32 s27, s27, 1
	s_cmp_eq_u32 s54, 2
	s_cbranch_scc1 .LBB359_26
; %bb.12:
	s_and_b32 s26, s27, 28
	s_add_u32 s2, s34, 0xc4
	s_addc_u32 s3, s35, 0
	s_mov_b32 s28, 0
	v_mov_b32_e32 v0, 0
	v_mov_b32_e32 v2, 0
	s_mov_b64 s[24:25], s[34:35]
	v_mov_b32_e32 v4, v24
.LBB359_13:                             ; =>This Inner Loop Header: Depth=1
	s_load_dwordx8 s[12:19], s[24:25], 0x4
	s_load_dwordx4 s[20:23], s[24:25], 0x24
	s_load_dwordx8 s[4:11], s[2:3], 0x0
	s_add_u32 s24, s24, 48
	s_addc_u32 s25, s25, 0
	s_waitcnt lgkmcnt(0)
	v_mul_hi_u32 v1, s13, v4
	v_add_u32_e32 v1, v4, v1
	v_lshrrev_b32_e32 v1, s14, v1
	v_mul_lo_u32 v3, v1, s12
	v_mul_hi_u32 v5, s16, v1
	v_sub_u32_e32 v3, v4, v3
	v_add_u32_e32 v4, v1, v5
	v_lshrrev_b32_e32 v4, s17, v4
	v_mul_lo_u32 v6, v4, s15
	v_mul_hi_u32 v7, s19, v4
	v_sub_u32_e32 v1, v1, v6
	v_add_u32_e32 v6, v4, v7
	v_mul_lo_u32 v5, v3, s5
	v_mul_lo_u32 v3, v3, s4
	;; [unrolled: 1-line block ×4, first 2 shown]
	v_lshrrev_b32_e32 v6, s20, v6
	v_add3_u32 v0, v3, v0, v1
	v_mul_hi_u32 v3, s22, v6
	v_add3_u32 v1, v5, v2, v7
	v_mul_lo_u32 v2, v6, s18
	v_add_u32_e32 v3, v6, v3
	v_sub_u32_e32 v2, v4, v2
	v_lshrrev_b32_e32 v4, s23, v3
	s_add_i32 s28, s28, 4
	v_mul_lo_u32 v3, v4, s21
	s_add_u32 s2, s2, 32
	v_sub_u32_e32 v3, v6, v3
	s_addc_u32 s3, s3, 0
	v_mul_lo_u32 v5, v2, s8
	v_mul_lo_u32 v2, v2, s9
	v_mul_lo_u32 v6, v3, s10
	v_mul_lo_u32 v3, v3, s11
	s_cmp_lg_u32 s26, s28
	v_add3_u32 v2, v2, v1, v3
	v_add3_u32 v0, v5, v0, v6
	s_cbranch_scc1 .LBB359_13
; %bb.14:
	v_mov_b32_e32 v1, v2
	s_and_b32 s6, s27, 3
	s_cmp_eq_u32 s6, 0
	s_cbranch_scc0 .LBB359_27
	s_branch .LBB359_29
.LBB359_15:
	s_or_b64 exec, exec, s[48:49]
	v_cmp_gt_i32_e32 vcc, s56, v24
	s_and_saveexec_b64 s[48:49], vcc
	s_cbranch_execz .LBB359_141
.LBB359_16:
	s_andn2_b64 vcc, exec, s[36:37]
	s_cbranch_vccnz .LBB359_24
; %bb.17:
	s_andn2_b64 vcc, exec, s[46:47]
	s_cbranch_vccnz .LBB359_132
; %bb.18:
	s_add_i32 s59, s57, 1
	s_cmp_eq_u32 s54, 2
	s_cbranch_scc1 .LBB359_150
; %bb.19:
	s_and_b32 s58, s59, 28
	s_mov_b32 s60, 0
	v_mov_b32_e32 v0, 0
	v_mov_b32_e32 v2, 0
	s_mov_b64 s[50:51], s[34:35]
	s_mov_b64 s[52:53], s[44:45]
	v_mov_b32_e32 v4, v24
.LBB359_20:                             ; =>This Inner Loop Header: Depth=1
	s_load_dwordx8 s[8:15], s[50:51], 0x4
	s_load_dwordx4 s[28:31], s[50:51], 0x24
	s_load_dwordx8 s[0:7], s[52:53], 0x0
	s_add_u32 s50, s50, 48
	s_addc_u32 s51, s51, 0
	s_waitcnt lgkmcnt(0)
	v_mul_hi_u32 v1, s9, v4
	v_add_u32_e32 v1, v4, v1
	v_lshrrev_b32_e32 v1, s10, v1
	v_mul_lo_u32 v3, v1, s8
	v_mul_hi_u32 v5, s12, v1
	v_sub_u32_e32 v3, v4, v3
	v_add_u32_e32 v4, v1, v5
	v_lshrrev_b32_e32 v4, s13, v4
	v_mul_lo_u32 v6, v4, s11
	v_mul_hi_u32 v7, s15, v4
	v_sub_u32_e32 v1, v1, v6
	v_add_u32_e32 v6, v4, v7
	v_mul_lo_u32 v5, v3, s1
	v_mul_lo_u32 v3, v3, s0
	;; [unrolled: 1-line block ×4, first 2 shown]
	v_lshrrev_b32_e32 v6, s28, v6
	v_add3_u32 v0, v3, v0, v1
	v_mul_hi_u32 v3, s30, v6
	v_add3_u32 v1, v5, v2, v7
	v_mul_lo_u32 v2, v6, s14
	v_add_u32_e32 v3, v6, v3
	v_sub_u32_e32 v2, v4, v2
	v_lshrrev_b32_e32 v4, s31, v3
	s_add_i32 s60, s60, 4
	v_mul_lo_u32 v3, v4, s29
	s_add_u32 s52, s52, 32
	v_sub_u32_e32 v3, v6, v3
	s_addc_u32 s53, s53, 0
	v_mul_lo_u32 v5, v2, s4
	v_mul_lo_u32 v2, v2, s5
	;; [unrolled: 1-line block ×4, first 2 shown]
	s_cmp_eq_u32 s58, s60
	v_add3_u32 v2, v2, v1, v3
	v_add3_u32 v0, v5, v0, v6
	s_cbranch_scc0 .LBB359_20
; %bb.21:
	v_mov_b32_e32 v1, v2
	s_branch .LBB359_151
.LBB359_22:
                                        ; implicit-def: $vgpr2
                                        ; implicit-def: $vgpr0
	s_branch .LBB359_30
.LBB359_23:
                                        ; implicit-def: $vgpr2
                                        ; implicit-def: $vgpr0
	s_branch .LBB359_138
.LBB359_24:
                                        ; implicit-def: $vgpr2
                                        ; implicit-def: $vgpr0
	s_branch .LBB359_155
.LBB359_25:
	v_mov_b32_e32 v2, 0
	v_mov_b32_e32 v0, 0
	s_branch .LBB359_29
.LBB359_26:
	v_mov_b32_e32 v0, 0
                                        ; implicit-def: $vgpr2
	v_mov_b32_e32 v1, v0
	v_mov_b32_e32 v4, v24
	s_and_b32 s6, s27, 3
	s_cmp_eq_u32 s6, 0
	s_cbranch_scc1 .LBB359_29
.LBB359_27:
	s_lshl_b32 s2, s26, 3
	s_add_u32 s2, s34, s2
	s_addc_u32 s3, s35, 0
	s_add_u32 s2, s2, 0xc4
	s_addc_u32 s3, s3, 0
	s_mul_i32 s4, s26, 12
	s_add_u32 s4, s34, s4
	s_addc_u32 s5, s35, 0
.LBB359_28:                             ; =>This Inner Loop Header: Depth=1
	s_load_dwordx2 s[8:9], s[4:5], 0x4
	s_load_dword s7, s[4:5], 0xc
	s_load_dwordx2 s[10:11], s[2:3], 0x0
	v_mov_b32_e32 v2, v1
	s_add_u32 s4, s4, 12
	s_waitcnt lgkmcnt(0)
	v_mul_hi_u32 v1, s9, v4
	v_add_u32_e32 v1, v4, v1
	v_lshrrev_b32_e32 v1, s7, v1
	s_addc_u32 s5, s5, 0
	v_mul_lo_u32 v3, v1, s8
	s_add_u32 s2, s2, 8
	v_sub_u32_e32 v5, v4, v3
	s_addc_u32 s3, s3, 0
	s_add_i32 s6, s6, -1
	v_mov_b32_e32 v4, v1
	v_mad_u64_u32 v[2:3], s[8:9], v5, s11, v[2:3]
	v_mad_u64_u32 v[0:1], s[8:9], v5, s10, v[0:1]
	s_cmp_lg_u32 s6, 0
	v_mov_b32_e32 v1, v2
	s_cbranch_scc1 .LBB359_28
.LBB359_29:
	s_cbranch_execnz .LBB359_32
.LBB359_30:
	s_load_dwordx4 s[4:7], s[34:35], 0x4
	s_load_dwordx2 s[2:3], s[34:35], 0xc4
	s_cmp_lt_u32 s33, 2
	s_waitcnt lgkmcnt(0)
	v_mul_hi_u32 v0, s5, v24
	v_add_u32_e32 v0, v24, v0
	v_lshrrev_b32_e32 v1, s6, v0
	v_mul_lo_u32 v0, v1, s4
	v_sub_u32_e32 v0, v24, v0
	v_mul_lo_u32 v2, v0, s3
	v_mul_lo_u32 v0, v0, s2
	s_cbranch_scc1 .LBB359_32
; %bb.31:
	s_load_dwordx4 s[4:7], s[34:35], 0x10
	s_load_dwordx2 s[2:3], s[34:35], 0xcc
	s_waitcnt lgkmcnt(0)
	v_mul_hi_u32 v3, s5, v1
	v_add_u32_e32 v3, v1, v3
	v_lshrrev_b32_e32 v3, s6, v3
	v_mul_lo_u32 v3, v3, s4
	v_sub_u32_e32 v3, v1, v3
	v_mad_u64_u32 v[0:1], s[4:5], v3, s2, v[0:1]
	v_mad_u64_u32 v[2:3], s[2:3], v3, s3, v[2:3]
.LBB359_32:
	s_and_b64 vcc, exec, s[0:1]
	v_add_u32_e32 v3, 0x80, v24
	s_cbranch_vccnz .LBB359_38
; %bb.33:
	s_cmp_lg_u32 s33, 0
	s_waitcnt lgkmcnt(0)
	s_mov_b32 s26, 0
	s_cbranch_scc0 .LBB359_39
; %bb.34:
	s_min_u32 s27, s54, 15
	s_add_i32 s27, s27, 1
	s_cmp_eq_u32 s54, 2
	s_cbranch_scc1 .LBB359_40
; %bb.35:
	s_and_b32 s26, s27, 28
	s_add_u32 s2, s34, 0xc4
	s_addc_u32 s3, s35, 0
	s_mov_b32 s28, 0
	v_mov_b32_e32 v4, 0
	v_mov_b32_e32 v6, 0
	s_mov_b64 s[24:25], s[34:35]
	v_mov_b32_e32 v8, v3
.LBB359_36:                             ; =>This Inner Loop Header: Depth=1
	s_load_dwordx8 s[12:19], s[24:25], 0x4
	s_load_dwordx4 s[20:23], s[24:25], 0x24
	s_load_dwordx8 s[4:11], s[2:3], 0x0
	s_add_u32 s24, s24, 48
	s_addc_u32 s25, s25, 0
	s_waitcnt lgkmcnt(0)
	v_mul_hi_u32 v1, s13, v8
	v_add_u32_e32 v1, v8, v1
	v_lshrrev_b32_e32 v1, s14, v1
	v_mul_hi_u32 v7, s16, v1
	v_add_u32_e32 v7, v1, v7
	v_lshrrev_b32_e32 v7, s17, v7
	v_mul_lo_u32 v5, v1, s12
	v_mul_lo_u32 v9, v7, s15
	v_mul_hi_u32 v10, s19, v7
	v_sub_u32_e32 v5, v8, v5
	v_sub_u32_e32 v1, v1, v9
	v_add_u32_e32 v9, v7, v10
	v_mul_lo_u32 v8, v5, s5
	v_mul_lo_u32 v5, v5, s4
	;; [unrolled: 1-line block ×4, first 2 shown]
	v_lshrrev_b32_e32 v9, s20, v9
	v_add3_u32 v1, v5, v4, v1
	v_add3_u32 v4, v8, v6, v10
	v_mul_hi_u32 v6, s22, v9
	v_add_u32_e32 v6, v9, v6
	v_lshrrev_b32_e32 v8, s23, v6
	s_add_i32 s28, s28, 4
	v_mul_lo_u32 v5, v9, s18
	v_mul_lo_u32 v6, v8, s21
	s_add_u32 s2, s2, 32
	v_sub_u32_e32 v5, v7, v5
	v_sub_u32_e32 v6, v9, v6
	s_addc_u32 s3, s3, 0
	v_mul_lo_u32 v7, v5, s8
	v_mul_lo_u32 v5, v5, s9
	;; [unrolled: 1-line block ×4, first 2 shown]
	s_cmp_lg_u32 s26, s28
	v_add3_u32 v6, v5, v4, v6
	v_add3_u32 v4, v7, v1, v9
	s_cbranch_scc1 .LBB359_36
; %bb.37:
	v_mov_b32_e32 v1, v6
	s_and_b32 s6, s27, 3
	s_cmp_eq_u32 s6, 0
	s_cbranch_scc0 .LBB359_41
	s_branch .LBB359_43
.LBB359_38:
                                        ; implicit-def: $vgpr6
                                        ; implicit-def: $vgpr4
	s_branch .LBB359_44
.LBB359_39:
	v_mov_b32_e32 v6, 0
	v_mov_b32_e32 v4, 0
	s_branch .LBB359_43
.LBB359_40:
	v_mov_b32_e32 v4, 0
                                        ; implicit-def: $vgpr6
	v_mov_b32_e32 v1, v4
	v_mov_b32_e32 v8, v3
	s_and_b32 s6, s27, 3
	s_cmp_eq_u32 s6, 0
	s_cbranch_scc1 .LBB359_43
.LBB359_41:
	s_lshl_b32 s2, s26, 3
	s_add_u32 s2, s34, s2
	s_addc_u32 s3, s35, 0
	s_add_u32 s2, s2, 0xc4
	s_addc_u32 s3, s3, 0
	s_mul_i32 s4, s26, 12
	s_add_u32 s4, s34, s4
	s_addc_u32 s5, s35, 0
.LBB359_42:                             ; =>This Inner Loop Header: Depth=1
	s_load_dwordx2 s[8:9], s[4:5], 0x4
	s_load_dword s7, s[4:5], 0xc
	s_load_dwordx2 s[10:11], s[2:3], 0x0
	v_mov_b32_e32 v6, v1
	s_add_u32 s4, s4, 12
	s_waitcnt lgkmcnt(0)
	v_mul_hi_u32 v1, s9, v8
	v_add_u32_e32 v1, v8, v1
	v_lshrrev_b32_e32 v1, s7, v1
	s_addc_u32 s5, s5, 0
	v_mul_lo_u32 v5, v1, s8
	s_add_u32 s2, s2, 8
	v_sub_u32_e32 v5, v8, v5
	s_addc_u32 s3, s3, 0
	s_add_i32 s6, s6, -1
	v_mad_u64_u32 v[6:7], s[8:9], v5, s11, v[6:7]
	s_cmp_lg_u32 s6, 0
	v_mov_b32_e32 v8, v1
	v_mad_u64_u32 v[4:5], s[8:9], v5, s10, v[4:5]
	v_mov_b32_e32 v1, v6
	s_cbranch_scc1 .LBB359_42
.LBB359_43:
	s_cbranch_execnz .LBB359_46
.LBB359_44:
	s_load_dwordx4 s[4:7], s[34:35], 0x4
	s_load_dwordx2 s[2:3], s[34:35], 0xc4
	s_cmp_lt_u32 s33, 2
	s_waitcnt lgkmcnt(0)
	v_mul_hi_u32 v1, s5, v3
	v_add_u32_e32 v1, v3, v1
	v_lshrrev_b32_e32 v1, s6, v1
	v_mul_lo_u32 v4, v1, s4
	v_sub_u32_e32 v3, v3, v4
	v_mul_lo_u32 v6, v3, s3
	v_mul_lo_u32 v4, v3, s2
	s_cbranch_scc1 .LBB359_46
; %bb.45:
	s_load_dwordx4 s[4:7], s[34:35], 0x10
	s_load_dwordx2 s[2:3], s[34:35], 0xcc
	s_waitcnt lgkmcnt(0)
	v_mul_hi_u32 v3, s5, v1
	v_add_u32_e32 v3, v1, v3
	v_lshrrev_b32_e32 v3, s6, v3
	v_mul_lo_u32 v3, v3, s4
	v_sub_u32_e32 v1, v1, v3
	v_mad_u64_u32 v[4:5], s[4:5], v1, s2, v[4:5]
	v_mad_u64_u32 v[6:7], s[2:3], v1, s3, v[6:7]
.LBB359_46:
	s_and_b64 vcc, exec, s[0:1]
	v_add_u32_e32 v3, 0x100, v24
	s_cbranch_vccnz .LBB359_52
; %bb.47:
	s_cmp_lg_u32 s33, 0
	s_waitcnt lgkmcnt(0)
	s_mov_b32 s26, 0
	s_cbranch_scc0 .LBB359_53
; %bb.48:
	s_min_u32 s27, s54, 15
	s_add_i32 s27, s27, 1
	s_cmp_eq_u32 s54, 2
	s_cbranch_scc1 .LBB359_54
; %bb.49:
	s_and_b32 s26, s27, 28
	s_add_u32 s2, s34, 0xc4
	s_addc_u32 s3, s35, 0
	s_mov_b32 s28, 0
	v_mov_b32_e32 v8, 0
	v_mov_b32_e32 v10, 0
	s_mov_b64 s[24:25], s[34:35]
	v_mov_b32_e32 v5, v3
.LBB359_50:                             ; =>This Inner Loop Header: Depth=1
	s_load_dwordx8 s[12:19], s[24:25], 0x4
	s_load_dwordx4 s[20:23], s[24:25], 0x24
	s_load_dwordx8 s[4:11], s[2:3], 0x0
	s_add_u32 s24, s24, 48
	s_addc_u32 s25, s25, 0
	s_waitcnt lgkmcnt(0)
	v_mul_hi_u32 v1, s13, v5
	v_add_u32_e32 v1, v5, v1
	v_lshrrev_b32_e32 v1, s14, v1
	v_mul_lo_u32 v7, v1, s12
	v_mul_hi_u32 v9, s16, v1
	v_sub_u32_e32 v5, v5, v7
	v_add_u32_e32 v7, v1, v9
	v_lshrrev_b32_e32 v7, s17, v7
	v_mul_lo_u32 v11, v7, s15
	v_mul_hi_u32 v12, s19, v7
	v_sub_u32_e32 v1, v1, v11
	v_add_u32_e32 v11, v7, v12
	v_mul_lo_u32 v9, v5, s5
	v_mul_lo_u32 v5, v5, s4
	;; [unrolled: 1-line block ×4, first 2 shown]
	v_lshrrev_b32_e32 v11, s20, v11
	v_add3_u32 v1, v5, v8, v1
	v_add3_u32 v8, v9, v10, v12
	v_mul_lo_u32 v5, v11, s18
	v_mul_hi_u32 v9, s22, v11
	v_sub_u32_e32 v5, v7, v5
	v_add_u32_e32 v7, v11, v9
	v_mul_lo_u32 v9, v5, s8
	v_mul_lo_u32 v10, v5, s9
	v_lshrrev_b32_e32 v5, s23, v7
	s_add_i32 s28, s28, 4
	v_mul_lo_u32 v7, v5, s21
	s_add_u32 s2, s2, 32
	v_sub_u32_e32 v7, v11, v7
	s_addc_u32 s3, s3, 0
	v_mul_lo_u32 v11, v7, s10
	v_mul_lo_u32 v7, v7, s11
	s_cmp_lg_u32 s26, s28
	v_add3_u32 v10, v10, v8, v7
	v_add3_u32 v8, v9, v1, v11
	s_cbranch_scc1 .LBB359_50
; %bb.51:
	v_mov_b32_e32 v1, v10
	s_and_b32 s6, s27, 3
	s_cmp_eq_u32 s6, 0
	s_cbranch_scc0 .LBB359_55
	s_branch .LBB359_57
.LBB359_52:
                                        ; implicit-def: $vgpr10
                                        ; implicit-def: $vgpr8
	s_branch .LBB359_58
.LBB359_53:
	v_mov_b32_e32 v10, 0
	v_mov_b32_e32 v8, 0
	s_branch .LBB359_57
.LBB359_54:
	v_mov_b32_e32 v8, 0
                                        ; implicit-def: $vgpr10
	v_mov_b32_e32 v1, v8
	v_mov_b32_e32 v5, v3
	s_and_b32 s6, s27, 3
	s_cmp_eq_u32 s6, 0
	s_cbranch_scc1 .LBB359_57
.LBB359_55:
	s_lshl_b32 s2, s26, 3
	s_add_u32 s2, s34, s2
	s_addc_u32 s3, s35, 0
	s_add_u32 s2, s2, 0xc4
	s_addc_u32 s3, s3, 0
	s_mul_i32 s4, s26, 12
	s_add_u32 s4, s34, s4
	s_addc_u32 s5, s35, 0
.LBB359_56:                             ; =>This Inner Loop Header: Depth=1
	s_load_dwordx2 s[8:9], s[4:5], 0x4
	s_load_dword s7, s[4:5], 0xc
	s_load_dwordx2 s[10:11], s[2:3], 0x0
	v_mov_b32_e32 v10, v1
	s_add_u32 s4, s4, 12
	s_waitcnt lgkmcnt(0)
	v_mul_hi_u32 v1, s9, v5
	v_add_u32_e32 v1, v5, v1
	v_lshrrev_b32_e32 v1, s7, v1
	s_addc_u32 s5, s5, 0
	v_mul_lo_u32 v7, v1, s8
	s_add_u32 s2, s2, 8
	v_sub_u32_e32 v7, v5, v7
	s_addc_u32 s3, s3, 0
	s_add_i32 s6, s6, -1
	v_mad_u64_u32 v[10:11], s[8:9], v7, s11, v[10:11]
	s_cmp_lg_u32 s6, 0
	v_mov_b32_e32 v5, v1
	v_mad_u64_u32 v[8:9], s[8:9], v7, s10, v[8:9]
	v_mov_b32_e32 v1, v10
	s_cbranch_scc1 .LBB359_56
.LBB359_57:
	s_cbranch_execnz .LBB359_60
.LBB359_58:
	s_load_dwordx4 s[4:7], s[34:35], 0x4
	s_load_dwordx2 s[2:3], s[34:35], 0xc4
	s_cmp_lt_u32 s33, 2
	s_waitcnt lgkmcnt(0)
	v_mul_hi_u32 v1, s5, v3
	v_add_u32_e32 v1, v3, v1
	v_lshrrev_b32_e32 v1, s6, v1
	v_mul_lo_u32 v5, v1, s4
	v_sub_u32_e32 v3, v3, v5
	v_mul_lo_u32 v10, v3, s3
	v_mul_lo_u32 v8, v3, s2
	s_cbranch_scc1 .LBB359_60
; %bb.59:
	s_load_dwordx4 s[4:7], s[34:35], 0x10
	s_load_dwordx2 s[2:3], s[34:35], 0xcc
	s_waitcnt lgkmcnt(0)
	v_mul_hi_u32 v3, s5, v1
	v_add_u32_e32 v3, v1, v3
	v_lshrrev_b32_e32 v3, s6, v3
	v_mul_lo_u32 v3, v3, s4
	v_sub_u32_e32 v1, v1, v3
	v_mad_u64_u32 v[8:9], s[4:5], v1, s2, v[8:9]
	v_mad_u64_u32 v[10:11], s[2:3], v1, s3, v[10:11]
.LBB359_60:
	s_and_b64 vcc, exec, s[0:1]
	v_add_u32_e32 v3, 0x180, v24
	s_cbranch_vccnz .LBB359_66
; %bb.61:
	s_cmp_lg_u32 s33, 0
	s_waitcnt lgkmcnt(0)
	s_mov_b32 s26, 0
	s_cbranch_scc0 .LBB359_67
; %bb.62:
	s_min_u32 s27, s54, 15
	s_add_i32 s27, s27, 1
	s_cmp_eq_u32 s54, 2
	s_cbranch_scc1 .LBB359_68
; %bb.63:
	s_and_b32 s26, s27, 28
	s_add_u32 s2, s34, 0xc4
	s_addc_u32 s3, s35, 0
	s_mov_b32 s28, 0
	v_mov_b32_e32 v12, 0
	v_mov_b32_e32 v14, 0
	s_mov_b64 s[24:25], s[34:35]
	v_mov_b32_e32 v5, v3
.LBB359_64:                             ; =>This Inner Loop Header: Depth=1
	s_load_dwordx8 s[12:19], s[24:25], 0x4
	s_load_dwordx4 s[20:23], s[24:25], 0x24
	s_load_dwordx8 s[4:11], s[2:3], 0x0
	s_add_u32 s24, s24, 48
	s_addc_u32 s25, s25, 0
	s_waitcnt lgkmcnt(0)
	v_mul_hi_u32 v1, s13, v5
	v_add_u32_e32 v1, v5, v1
	v_lshrrev_b32_e32 v1, s14, v1
	v_mul_lo_u32 v7, v1, s12
	v_mul_hi_u32 v9, s16, v1
	v_sub_u32_e32 v5, v5, v7
	v_add_u32_e32 v7, v1, v9
	v_lshrrev_b32_e32 v7, s17, v7
	v_mul_lo_u32 v11, v7, s15
	v_mul_hi_u32 v13, s19, v7
	v_sub_u32_e32 v1, v1, v11
	v_add_u32_e32 v11, v7, v13
	v_mul_lo_u32 v9, v5, s5
	v_mul_lo_u32 v5, v5, s4
	;; [unrolled: 1-line block ×4, first 2 shown]
	v_lshrrev_b32_e32 v11, s20, v11
	v_add3_u32 v1, v5, v12, v1
	v_mul_lo_u32 v5, v11, s18
	v_mul_hi_u32 v12, s22, v11
	v_sub_u32_e32 v5, v7, v5
	v_add_u32_e32 v7, v11, v12
	v_add3_u32 v9, v9, v14, v13
	v_mul_lo_u32 v12, v5, s8
	v_mul_lo_u32 v13, v5, s9
	v_lshrrev_b32_e32 v5, s23, v7
	s_add_i32 s28, s28, 4
	v_mul_lo_u32 v7, v5, s21
	s_add_u32 s2, s2, 32
	v_sub_u32_e32 v7, v11, v7
	s_addc_u32 s3, s3, 0
	v_mul_lo_u32 v11, v7, s10
	v_mul_lo_u32 v7, v7, s11
	s_cmp_lg_u32 s26, s28
	v_add3_u32 v14, v13, v9, v7
	v_add3_u32 v12, v12, v1, v11
	s_cbranch_scc1 .LBB359_64
; %bb.65:
	v_mov_b32_e32 v1, v14
	s_and_b32 s6, s27, 3
	s_cmp_eq_u32 s6, 0
	s_cbranch_scc0 .LBB359_69
	s_branch .LBB359_71
.LBB359_66:
                                        ; implicit-def: $vgpr14
                                        ; implicit-def: $vgpr12
	s_branch .LBB359_72
.LBB359_67:
	v_mov_b32_e32 v14, 0
	v_mov_b32_e32 v12, 0
	s_branch .LBB359_71
.LBB359_68:
	v_mov_b32_e32 v12, 0
                                        ; implicit-def: $vgpr14
	v_mov_b32_e32 v1, v12
	v_mov_b32_e32 v5, v3
	s_and_b32 s6, s27, 3
	s_cmp_eq_u32 s6, 0
	s_cbranch_scc1 .LBB359_71
.LBB359_69:
	s_lshl_b32 s2, s26, 3
	s_add_u32 s2, s34, s2
	s_addc_u32 s3, s35, 0
	s_add_u32 s2, s2, 0xc4
	s_addc_u32 s3, s3, 0
	s_mul_i32 s4, s26, 12
	s_add_u32 s4, s34, s4
	s_addc_u32 s5, s35, 0
.LBB359_70:                             ; =>This Inner Loop Header: Depth=1
	s_load_dwordx2 s[8:9], s[4:5], 0x4
	s_load_dword s7, s[4:5], 0xc
	s_load_dwordx2 s[10:11], s[2:3], 0x0
	v_mov_b32_e32 v14, v1
	s_add_u32 s4, s4, 12
	s_waitcnt lgkmcnt(0)
	v_mul_hi_u32 v1, s9, v5
	v_add_u32_e32 v1, v5, v1
	v_lshrrev_b32_e32 v1, s7, v1
	s_addc_u32 s5, s5, 0
	v_mul_lo_u32 v7, v1, s8
	s_add_u32 s2, s2, 8
	v_sub_u32_e32 v7, v5, v7
	s_addc_u32 s3, s3, 0
	s_add_i32 s6, s6, -1
	v_mad_u64_u32 v[14:15], s[8:9], v7, s11, v[14:15]
	s_cmp_lg_u32 s6, 0
	v_mov_b32_e32 v5, v1
	v_mad_u64_u32 v[12:13], s[8:9], v7, s10, v[12:13]
	v_mov_b32_e32 v1, v14
	s_cbranch_scc1 .LBB359_70
.LBB359_71:
	s_cbranch_execnz .LBB359_74
.LBB359_72:
	s_load_dwordx4 s[4:7], s[34:35], 0x4
	s_load_dwordx2 s[2:3], s[34:35], 0xc4
	s_cmp_lt_u32 s33, 2
	s_waitcnt lgkmcnt(0)
	v_mul_hi_u32 v1, s5, v3
	v_add_u32_e32 v1, v3, v1
	v_lshrrev_b32_e32 v1, s6, v1
	v_mul_lo_u32 v5, v1, s4
	v_sub_u32_e32 v3, v3, v5
	v_mul_lo_u32 v14, v3, s3
	v_mul_lo_u32 v12, v3, s2
	s_cbranch_scc1 .LBB359_74
; %bb.73:
	s_load_dwordx4 s[4:7], s[34:35], 0x10
	s_load_dwordx2 s[2:3], s[34:35], 0xcc
	s_waitcnt lgkmcnt(0)
	v_mul_hi_u32 v3, s5, v1
	v_add_u32_e32 v3, v1, v3
	v_lshrrev_b32_e32 v3, s6, v3
	v_mul_lo_u32 v3, v3, s4
	v_sub_u32_e32 v1, v1, v3
	v_mad_u64_u32 v[12:13], s[4:5], v1, s2, v[12:13]
	v_mad_u64_u32 v[14:15], s[2:3], v1, s3, v[14:15]
.LBB359_74:
	s_and_b64 vcc, exec, s[0:1]
	v_add_u32_e32 v3, 0x200, v24
	s_cbranch_vccnz .LBB359_80
; %bb.75:
	s_cmp_lg_u32 s33, 0
	s_waitcnt lgkmcnt(0)
	s_mov_b32 s26, 0
	s_cbranch_scc0 .LBB359_81
; %bb.76:
	s_min_u32 s27, s54, 15
	s_add_i32 s27, s27, 1
	s_cmp_eq_u32 s54, 2
	s_cbranch_scc1 .LBB359_82
; %bb.77:
	s_and_b32 s26, s27, 28
	s_add_u32 s2, s34, 0xc4
	s_addc_u32 s3, s35, 0
	s_mov_b32 s28, 0
	v_mov_b32_e32 v16, 0
	v_mov_b32_e32 v18, 0
	s_mov_b64 s[24:25], s[34:35]
	v_mov_b32_e32 v5, v3
.LBB359_78:                             ; =>This Inner Loop Header: Depth=1
	s_load_dwordx8 s[12:19], s[24:25], 0x4
	s_load_dwordx4 s[20:23], s[24:25], 0x24
	s_load_dwordx8 s[4:11], s[2:3], 0x0
	s_add_u32 s24, s24, 48
	s_addc_u32 s25, s25, 0
	s_waitcnt lgkmcnt(0)
	v_mul_hi_u32 v1, s13, v5
	v_add_u32_e32 v1, v5, v1
	v_lshrrev_b32_e32 v1, s14, v1
	v_mul_lo_u32 v7, v1, s12
	v_mul_hi_u32 v9, s16, v1
	v_sub_u32_e32 v5, v5, v7
	v_add_u32_e32 v7, v1, v9
	v_lshrrev_b32_e32 v7, s17, v7
	v_mul_lo_u32 v11, v7, s15
	v_mul_hi_u32 v13, s19, v7
	v_sub_u32_e32 v1, v1, v11
	v_add_u32_e32 v11, v7, v13
	v_mul_lo_u32 v9, v5, s5
	v_mul_lo_u32 v5, v5, s4
	;; [unrolled: 1-line block ×4, first 2 shown]
	v_lshrrev_b32_e32 v11, s20, v11
	v_add3_u32 v1, v5, v16, v1
	v_add3_u32 v9, v9, v18, v13
	v_mul_lo_u32 v5, v11, s18
	v_mul_hi_u32 v13, s22, v11
	v_sub_u32_e32 v5, v7, v5
	v_add_u32_e32 v7, v11, v13
	v_mul_lo_u32 v13, v5, s8
	v_mul_lo_u32 v15, v5, s9
	v_lshrrev_b32_e32 v5, s23, v7
	s_add_i32 s28, s28, 4
	v_mul_lo_u32 v7, v5, s21
	s_add_u32 s2, s2, 32
	v_sub_u32_e32 v7, v11, v7
	s_addc_u32 s3, s3, 0
	v_mul_lo_u32 v11, v7, s10
	v_mul_lo_u32 v7, v7, s11
	s_cmp_lg_u32 s26, s28
	v_add3_u32 v18, v15, v9, v7
	v_add3_u32 v16, v13, v1, v11
	s_cbranch_scc1 .LBB359_78
; %bb.79:
	v_mov_b32_e32 v1, v18
	s_and_b32 s6, s27, 3
	s_cmp_eq_u32 s6, 0
	s_cbranch_scc0 .LBB359_83
	s_branch .LBB359_85
.LBB359_80:
                                        ; implicit-def: $vgpr18
                                        ; implicit-def: $vgpr16
	s_branch .LBB359_86
.LBB359_81:
	v_mov_b32_e32 v18, 0
	v_mov_b32_e32 v16, 0
	s_branch .LBB359_85
.LBB359_82:
	v_mov_b32_e32 v16, 0
                                        ; implicit-def: $vgpr18
	v_mov_b32_e32 v1, v16
	v_mov_b32_e32 v5, v3
	s_and_b32 s6, s27, 3
	s_cmp_eq_u32 s6, 0
	s_cbranch_scc1 .LBB359_85
.LBB359_83:
	s_lshl_b32 s2, s26, 3
	s_add_u32 s2, s34, s2
	s_addc_u32 s3, s35, 0
	s_add_u32 s2, s2, 0xc4
	s_addc_u32 s3, s3, 0
	s_mul_i32 s4, s26, 12
	s_add_u32 s4, s34, s4
	s_addc_u32 s5, s35, 0
.LBB359_84:                             ; =>This Inner Loop Header: Depth=1
	s_load_dwordx2 s[8:9], s[4:5], 0x4
	s_load_dword s7, s[4:5], 0xc
	s_load_dwordx2 s[10:11], s[2:3], 0x0
	v_mov_b32_e32 v18, v1
	s_add_u32 s4, s4, 12
	s_waitcnt lgkmcnt(0)
	v_mul_hi_u32 v1, s9, v5
	v_add_u32_e32 v1, v5, v1
	v_lshrrev_b32_e32 v1, s7, v1
	s_addc_u32 s5, s5, 0
	v_mul_lo_u32 v7, v1, s8
	s_add_u32 s2, s2, 8
	v_sub_u32_e32 v7, v5, v7
	s_addc_u32 s3, s3, 0
	s_add_i32 s6, s6, -1
	v_mad_u64_u32 v[18:19], s[8:9], v7, s11, v[18:19]
	s_cmp_lg_u32 s6, 0
	v_mov_b32_e32 v5, v1
	v_mad_u64_u32 v[16:17], s[8:9], v7, s10, v[16:17]
	v_mov_b32_e32 v1, v18
	s_cbranch_scc1 .LBB359_84
.LBB359_85:
	s_cbranch_execnz .LBB359_88
.LBB359_86:
	s_load_dwordx4 s[4:7], s[34:35], 0x4
	s_load_dwordx2 s[2:3], s[34:35], 0xc4
	s_cmp_lt_u32 s33, 2
	s_waitcnt lgkmcnt(0)
	v_mul_hi_u32 v1, s5, v3
	v_add_u32_e32 v1, v3, v1
	v_lshrrev_b32_e32 v1, s6, v1
	v_mul_lo_u32 v5, v1, s4
	v_sub_u32_e32 v3, v3, v5
	v_mul_lo_u32 v18, v3, s3
	v_mul_lo_u32 v16, v3, s2
	s_cbranch_scc1 .LBB359_88
; %bb.87:
	s_load_dwordx4 s[4:7], s[34:35], 0x10
	s_load_dwordx2 s[2:3], s[34:35], 0xcc
	s_waitcnt lgkmcnt(0)
	v_mul_hi_u32 v3, s5, v1
	v_add_u32_e32 v3, v1, v3
	v_lshrrev_b32_e32 v3, s6, v3
	v_mul_lo_u32 v3, v3, s4
	v_sub_u32_e32 v1, v1, v3
	v_mad_u64_u32 v[16:17], s[4:5], v1, s2, v[16:17]
	v_mad_u64_u32 v[18:19], s[2:3], v1, s3, v[18:19]
.LBB359_88:
	s_and_b64 vcc, exec, s[0:1]
	v_add_u32_e32 v3, 0x280, v24
	s_cbranch_vccnz .LBB359_94
; %bb.89:
	s_cmp_lg_u32 s33, 0
	s_waitcnt lgkmcnt(0)
	s_mov_b32 s26, 0
	s_cbranch_scc0 .LBB359_95
; %bb.90:
	s_min_u32 s27, s54, 15
	s_add_i32 s27, s27, 1
	s_cmp_eq_u32 s54, 2
	s_cbranch_scc1 .LBB359_96
; %bb.91:
	s_and_b32 s26, s27, 28
	s_add_u32 s2, s34, 0xc4
	s_addc_u32 s3, s35, 0
	s_mov_b32 s28, 0
	v_mov_b32_e32 v20, 0
	v_mov_b32_e32 v22, 0
	s_mov_b64 s[24:25], s[34:35]
	v_mov_b32_e32 v5, v3
.LBB359_92:                             ; =>This Inner Loop Header: Depth=1
	s_load_dwordx8 s[12:19], s[24:25], 0x4
	s_load_dwordx4 s[20:23], s[24:25], 0x24
	s_load_dwordx8 s[4:11], s[2:3], 0x0
	s_add_u32 s24, s24, 48
	s_addc_u32 s25, s25, 0
	s_waitcnt lgkmcnt(0)
	v_mul_hi_u32 v1, s13, v5
	v_add_u32_e32 v1, v5, v1
	v_lshrrev_b32_e32 v1, s14, v1
	v_mul_lo_u32 v7, v1, s12
	v_mul_hi_u32 v9, s16, v1
	v_sub_u32_e32 v5, v5, v7
	v_add_u32_e32 v7, v1, v9
	v_lshrrev_b32_e32 v7, s17, v7
	v_mul_lo_u32 v11, v7, s15
	v_mul_hi_u32 v13, s19, v7
	v_sub_u32_e32 v1, v1, v11
	v_add_u32_e32 v11, v7, v13
	v_mul_lo_u32 v9, v5, s5
	v_mul_lo_u32 v5, v5, s4
	v_mul_lo_u32 v13, v1, s7
	v_mul_lo_u32 v1, v1, s6
	v_lshrrev_b32_e32 v11, s20, v11
	v_add3_u32 v1, v5, v20, v1
	v_add3_u32 v9, v9, v22, v13
	v_mul_lo_u32 v5, v11, s18
	v_mul_hi_u32 v13, s22, v11
	v_sub_u32_e32 v5, v7, v5
	v_add_u32_e32 v7, v11, v13
	v_mul_lo_u32 v13, v5, s8
	v_mul_lo_u32 v15, v5, s9
	v_lshrrev_b32_e32 v5, s23, v7
	s_add_i32 s28, s28, 4
	v_mul_lo_u32 v7, v5, s21
	s_add_u32 s2, s2, 32
	v_sub_u32_e32 v7, v11, v7
	s_addc_u32 s3, s3, 0
	v_mul_lo_u32 v11, v7, s10
	v_mul_lo_u32 v7, v7, s11
	s_cmp_lg_u32 s26, s28
	v_add3_u32 v22, v15, v9, v7
	v_add3_u32 v20, v13, v1, v11
	s_cbranch_scc1 .LBB359_92
; %bb.93:
	v_mov_b32_e32 v1, v22
	s_and_b32 s6, s27, 3
	s_cmp_eq_u32 s6, 0
	s_cbranch_scc0 .LBB359_97
	s_branch .LBB359_99
.LBB359_94:
                                        ; implicit-def: $vgpr22
                                        ; implicit-def: $vgpr20
	s_branch .LBB359_100
.LBB359_95:
	v_mov_b32_e32 v22, 0
	v_mov_b32_e32 v20, 0
	s_branch .LBB359_99
.LBB359_96:
	v_mov_b32_e32 v20, 0
                                        ; implicit-def: $vgpr22
	v_mov_b32_e32 v1, v20
	v_mov_b32_e32 v5, v3
	s_and_b32 s6, s27, 3
	s_cmp_eq_u32 s6, 0
	s_cbranch_scc1 .LBB359_99
.LBB359_97:
	s_lshl_b32 s2, s26, 3
	s_add_u32 s2, s34, s2
	s_addc_u32 s3, s35, 0
	s_add_u32 s2, s2, 0xc4
	s_addc_u32 s3, s3, 0
	s_mul_i32 s4, s26, 12
	s_add_u32 s4, s34, s4
	s_addc_u32 s5, s35, 0
.LBB359_98:                             ; =>This Inner Loop Header: Depth=1
	s_load_dwordx2 s[8:9], s[4:5], 0x4
	s_load_dword s7, s[4:5], 0xc
	s_load_dwordx2 s[10:11], s[2:3], 0x0
	v_mov_b32_e32 v22, v1
	s_add_u32 s4, s4, 12
	s_waitcnt lgkmcnt(0)
	v_mul_hi_u32 v1, s9, v5
	v_add_u32_e32 v1, v5, v1
	v_lshrrev_b32_e32 v1, s7, v1
	s_addc_u32 s5, s5, 0
	v_mul_lo_u32 v7, v1, s8
	s_add_u32 s2, s2, 8
	v_sub_u32_e32 v7, v5, v7
	s_addc_u32 s3, s3, 0
	s_add_i32 s6, s6, -1
	v_mad_u64_u32 v[22:23], s[8:9], v7, s11, v[22:23]
	s_cmp_lg_u32 s6, 0
	v_mov_b32_e32 v5, v1
	v_mad_u64_u32 v[20:21], s[8:9], v7, s10, v[20:21]
	v_mov_b32_e32 v1, v22
	s_cbranch_scc1 .LBB359_98
.LBB359_99:
	s_cbranch_execnz .LBB359_102
.LBB359_100:
	s_load_dwordx4 s[4:7], s[34:35], 0x4
	s_load_dwordx2 s[2:3], s[34:35], 0xc4
	s_cmp_lt_u32 s33, 2
	s_waitcnt lgkmcnt(0)
	v_mul_hi_u32 v1, s5, v3
	v_add_u32_e32 v1, v3, v1
	v_lshrrev_b32_e32 v1, s6, v1
	v_mul_lo_u32 v5, v1, s4
	v_sub_u32_e32 v3, v3, v5
	v_mul_lo_u32 v22, v3, s3
	v_mul_lo_u32 v20, v3, s2
	s_cbranch_scc1 .LBB359_102
; %bb.101:
	s_load_dwordx4 s[4:7], s[34:35], 0x10
	s_load_dwordx2 s[2:3], s[34:35], 0xcc
	s_waitcnt lgkmcnt(0)
	v_mul_hi_u32 v3, s5, v1
	v_add_u32_e32 v3, v1, v3
	v_lshrrev_b32_e32 v3, s6, v3
	v_mul_lo_u32 v3, v3, s4
	v_sub_u32_e32 v1, v1, v3
	v_mad_u64_u32 v[20:21], s[4:5], v1, s2, v[20:21]
	v_mad_u64_u32 v[22:23], s[2:3], v1, s3, v[22:23]
.LBB359_102:
	s_and_b64 vcc, exec, s[0:1]
	v_add_u32_e32 v3, 0x300, v24
	s_cbranch_vccnz .LBB359_108
; %bb.103:
	s_cmp_lg_u32 s33, 0
	s_waitcnt lgkmcnt(0)
	s_mov_b32 s26, 0
	s_cbranch_scc0 .LBB359_109
; %bb.104:
	s_min_u32 s27, s54, 15
	s_add_i32 s27, s27, 1
	s_cmp_eq_u32 s54, 2
	s_cbranch_scc1 .LBB359_110
; %bb.105:
	s_and_b32 s26, s27, 28
	s_add_u32 s2, s34, 0xc4
	s_addc_u32 s3, s35, 0
	s_mov_b32 s28, 0
	v_mov_b32_e32 v24, 0
	v_mov_b32_e32 v26, 0
	s_mov_b64 s[24:25], s[34:35]
	v_mov_b32_e32 v5, v3
.LBB359_106:                            ; =>This Inner Loop Header: Depth=1
	s_load_dwordx8 s[12:19], s[24:25], 0x4
	s_load_dwordx4 s[20:23], s[24:25], 0x24
	s_load_dwordx8 s[4:11], s[2:3], 0x0
	s_add_u32 s24, s24, 48
	s_addc_u32 s25, s25, 0
	s_waitcnt lgkmcnt(0)
	v_mul_hi_u32 v1, s13, v5
	v_add_u32_e32 v1, v5, v1
	v_lshrrev_b32_e32 v1, s14, v1
	v_mul_lo_u32 v7, v1, s12
	v_mul_hi_u32 v9, s16, v1
	v_sub_u32_e32 v5, v5, v7
	v_add_u32_e32 v7, v1, v9
	v_lshrrev_b32_e32 v7, s17, v7
	v_mul_lo_u32 v11, v7, s15
	v_mul_hi_u32 v13, s19, v7
	v_sub_u32_e32 v1, v1, v11
	v_add_u32_e32 v11, v7, v13
	v_mul_lo_u32 v9, v5, s5
	v_mul_lo_u32 v5, v5, s4
	;; [unrolled: 1-line block ×4, first 2 shown]
	v_lshrrev_b32_e32 v11, s20, v11
	v_add3_u32 v1, v5, v24, v1
	v_add3_u32 v9, v9, v26, v13
	v_mul_lo_u32 v5, v11, s18
	v_mul_hi_u32 v13, s22, v11
	v_sub_u32_e32 v5, v7, v5
	v_add_u32_e32 v7, v11, v13
	v_mul_lo_u32 v13, v5, s8
	v_mul_lo_u32 v15, v5, s9
	v_lshrrev_b32_e32 v5, s23, v7
	s_add_i32 s28, s28, 4
	v_mul_lo_u32 v7, v5, s21
	s_add_u32 s2, s2, 32
	v_sub_u32_e32 v7, v11, v7
	s_addc_u32 s3, s3, 0
	v_mul_lo_u32 v11, v7, s10
	v_mul_lo_u32 v7, v7, s11
	s_cmp_lg_u32 s26, s28
	v_add3_u32 v26, v15, v9, v7
	v_add3_u32 v24, v13, v1, v11
	s_cbranch_scc1 .LBB359_106
; %bb.107:
	v_mov_b32_e32 v1, v26
	s_and_b32 s6, s27, 3
	s_cmp_eq_u32 s6, 0
	s_cbranch_scc0 .LBB359_111
	s_branch .LBB359_113
.LBB359_108:
                                        ; implicit-def: $vgpr26
                                        ; implicit-def: $vgpr24
	s_branch .LBB359_114
.LBB359_109:
	v_mov_b32_e32 v26, 0
	v_mov_b32_e32 v24, 0
	s_branch .LBB359_113
.LBB359_110:
	v_mov_b32_e32 v24, 0
                                        ; implicit-def: $vgpr26
	v_mov_b32_e32 v1, v24
	v_mov_b32_e32 v5, v3
	s_and_b32 s6, s27, 3
	s_cmp_eq_u32 s6, 0
	s_cbranch_scc1 .LBB359_113
.LBB359_111:
	s_lshl_b32 s2, s26, 3
	s_add_u32 s2, s34, s2
	s_addc_u32 s3, s35, 0
	s_add_u32 s2, s2, 0xc4
	s_addc_u32 s3, s3, 0
	s_mul_i32 s4, s26, 12
	s_add_u32 s4, s34, s4
	s_addc_u32 s5, s35, 0
.LBB359_112:                            ; =>This Inner Loop Header: Depth=1
	s_load_dwordx2 s[8:9], s[4:5], 0x4
	s_load_dword s7, s[4:5], 0xc
	s_load_dwordx2 s[10:11], s[2:3], 0x0
	v_mov_b32_e32 v26, v1
	s_add_u32 s4, s4, 12
	s_waitcnt lgkmcnt(0)
	v_mul_hi_u32 v1, s9, v5
	v_add_u32_e32 v1, v5, v1
	v_lshrrev_b32_e32 v1, s7, v1
	s_addc_u32 s5, s5, 0
	v_mul_lo_u32 v7, v1, s8
	s_add_u32 s2, s2, 8
	v_sub_u32_e32 v7, v5, v7
	s_addc_u32 s3, s3, 0
	s_add_i32 s6, s6, -1
	v_mad_u64_u32 v[26:27], s[8:9], v7, s11, v[26:27]
	s_cmp_lg_u32 s6, 0
	v_mov_b32_e32 v5, v1
	v_mad_u64_u32 v[24:25], s[8:9], v7, s10, v[24:25]
	v_mov_b32_e32 v1, v26
	s_cbranch_scc1 .LBB359_112
.LBB359_113:
	s_cbranch_execnz .LBB359_116
.LBB359_114:
	s_load_dwordx4 s[4:7], s[34:35], 0x4
	s_load_dwordx2 s[2:3], s[34:35], 0xc4
	s_cmp_lt_u32 s33, 2
	s_waitcnt lgkmcnt(0)
	v_mul_hi_u32 v1, s5, v3
	v_add_u32_e32 v1, v3, v1
	v_lshrrev_b32_e32 v1, s6, v1
	v_mul_lo_u32 v5, v1, s4
	v_sub_u32_e32 v3, v3, v5
	v_mul_lo_u32 v26, v3, s3
	v_mul_lo_u32 v24, v3, s2
	s_cbranch_scc1 .LBB359_116
; %bb.115:
	s_load_dwordx4 s[4:7], s[34:35], 0x10
	s_load_dwordx2 s[2:3], s[34:35], 0xcc
	s_waitcnt lgkmcnt(0)
	v_mul_hi_u32 v3, s5, v1
	v_add_u32_e32 v3, v1, v3
	v_lshrrev_b32_e32 v3, s6, v3
	v_mul_lo_u32 v3, v3, s4
	v_sub_u32_e32 v1, v1, v3
	v_mad_u64_u32 v[24:25], s[4:5], v1, s2, v[24:25]
	v_mad_u64_u32 v[26:27], s[2:3], v1, s3, v[26:27]
.LBB359_116:
	s_and_b64 vcc, exec, s[0:1]
	s_cbranch_vccnz .LBB359_122
; %bb.117:
	s_cmp_lg_u32 s33, 0
	s_waitcnt lgkmcnt(0)
	s_mov_b32 s24, 0
	s_cbranch_scc0 .LBB359_123
; %bb.118:
	s_min_u32 s25, s54, 15
	s_add_i32 s25, s25, 1
	s_cmp_eq_u32 s54, 2
	s_cbranch_scc1 .LBB359_124
; %bb.119:
	s_and_b32 s24, s25, 28
	s_add_u32 s20, s34, 0xc4
	s_addc_u32 s21, s35, 0
	s_mov_b32 s26, 0
	v_mov_b32_e32 v28, 0
	v_mov_b32_e32 v30, 0
	s_mov_b64 s[22:23], s[34:35]
	v_mov_b32_e32 v3, v32
.LBB359_120:                            ; =>This Inner Loop Header: Depth=1
	s_load_dwordx8 s[8:15], s[22:23], 0x4
	s_load_dwordx4 s[16:19], s[22:23], 0x24
	s_load_dwordx8 s[0:7], s[20:21], 0x0
	s_add_u32 s22, s22, 48
	s_addc_u32 s23, s23, 0
	s_waitcnt lgkmcnt(0)
	v_mul_hi_u32 v1, s9, v3
	v_add_u32_e32 v1, v3, v1
	v_lshrrev_b32_e32 v1, s10, v1
	v_mul_lo_u32 v5, v1, s8
	v_mul_hi_u32 v7, s12, v1
	v_sub_u32_e32 v3, v3, v5
	v_add_u32_e32 v5, v1, v7
	v_lshrrev_b32_e32 v5, s13, v5
	v_mul_lo_u32 v9, v5, s11
	v_mul_hi_u32 v11, s15, v5
	v_sub_u32_e32 v1, v1, v9
	v_add_u32_e32 v9, v5, v11
	v_mul_lo_u32 v7, v3, s1
	v_mul_lo_u32 v3, v3, s0
	;; [unrolled: 1-line block ×4, first 2 shown]
	v_lshrrev_b32_e32 v9, s16, v9
	v_add3_u32 v1, v3, v28, v1
	v_add3_u32 v7, v7, v30, v11
	v_mul_lo_u32 v3, v9, s14
	v_mul_hi_u32 v11, s18, v9
	v_sub_u32_e32 v3, v5, v3
	v_add_u32_e32 v5, v9, v11
	v_mul_lo_u32 v11, v3, s4
	v_mul_lo_u32 v13, v3, s5
	v_lshrrev_b32_e32 v3, s19, v5
	s_add_i32 s26, s26, 4
	v_mul_lo_u32 v5, v3, s17
	s_add_u32 s20, s20, 32
	v_sub_u32_e32 v5, v9, v5
	s_addc_u32 s21, s21, 0
	v_mul_lo_u32 v9, v5, s6
	v_mul_lo_u32 v5, v5, s7
	s_cmp_lg_u32 s24, s26
	v_add3_u32 v30, v13, v7, v5
	v_add3_u32 v28, v11, v1, v9
	s_cbranch_scc1 .LBB359_120
; %bb.121:
	v_mov_b32_e32 v1, v30
	s_and_b32 s4, s25, 3
	s_cmp_eq_u32 s4, 0
	s_cbranch_scc0 .LBB359_125
	s_branch .LBB359_127
.LBB359_122:
                                        ; implicit-def: $vgpr30
                                        ; implicit-def: $vgpr28
	s_branch .LBB359_128
.LBB359_123:
	v_mov_b32_e32 v30, 0
	v_mov_b32_e32 v28, 0
	s_branch .LBB359_127
.LBB359_124:
	v_mov_b32_e32 v28, 0
                                        ; implicit-def: $vgpr30
	v_mov_b32_e32 v1, v28
	v_mov_b32_e32 v3, v32
	s_and_b32 s4, s25, 3
	s_cmp_eq_u32 s4, 0
	s_cbranch_scc1 .LBB359_127
.LBB359_125:
	s_lshl_b32 s0, s24, 3
	s_add_u32 s0, s34, s0
	s_addc_u32 s1, s35, 0
	s_add_u32 s0, s0, 0xc4
	s_addc_u32 s1, s1, 0
	s_mul_i32 s2, s24, 12
	s_add_u32 s2, s34, s2
	s_addc_u32 s3, s35, 0
.LBB359_126:                            ; =>This Inner Loop Header: Depth=1
	s_load_dwordx2 s[6:7], s[2:3], 0x4
	s_load_dword s5, s[2:3], 0xc
	s_load_dwordx2 s[8:9], s[0:1], 0x0
	v_mov_b32_e32 v30, v1
	s_add_u32 s2, s2, 12
	s_waitcnt lgkmcnt(0)
	v_mul_hi_u32 v1, s7, v3
	v_add_u32_e32 v1, v3, v1
	v_lshrrev_b32_e32 v1, s5, v1
	s_addc_u32 s3, s3, 0
	v_mul_lo_u32 v5, v1, s6
	s_add_u32 s0, s0, 8
	v_sub_u32_e32 v5, v3, v5
	s_addc_u32 s1, s1, 0
	s_add_i32 s4, s4, -1
	v_mad_u64_u32 v[30:31], s[6:7], v5, s9, v[30:31]
	s_cmp_lg_u32 s4, 0
	v_mov_b32_e32 v3, v1
	v_mad_u64_u32 v[28:29], s[6:7], v5, s8, v[28:29]
	v_mov_b32_e32 v1, v30
	s_cbranch_scc1 .LBB359_126
.LBB359_127:
	s_cbranch_execnz .LBB359_130
.LBB359_128:
	s_load_dwordx4 s[0:3], s[34:35], 0x4
	s_load_dwordx2 s[4:5], s[34:35], 0xc4
	s_cmp_lt_u32 s33, 2
	s_waitcnt lgkmcnt(0)
	v_mul_hi_u32 v1, s1, v32
	v_add_u32_e32 v1, v32, v1
	v_lshrrev_b32_e32 v1, s2, v1
	v_mul_lo_u32 v3, v1, s0
	v_sub_u32_e32 v3, v32, v3
	v_mul_lo_u32 v30, v3, s5
	v_mul_lo_u32 v28, v3, s4
	s_cbranch_scc1 .LBB359_130
; %bb.129:
	s_load_dwordx4 s[0:3], s[34:35], 0x10
	s_load_dwordx2 s[4:5], s[34:35], 0xcc
	s_waitcnt lgkmcnt(0)
	v_mul_hi_u32 v3, s1, v1
	v_add_u32_e32 v3, v1, v3
	v_lshrrev_b32_e32 v3, s2, v3
	v_mul_lo_u32 v3, v3, s0
	v_sub_u32_e32 v1, v1, v3
	v_mad_u64_u32 v[28:29], s[0:1], v1, s4, v[28:29]
	v_mad_u64_u32 v[30:31], s[0:1], v1, s5, v[30:31]
.LBB359_130:
	s_load_dwordx4 s[0:3], s[34:35], 0x148
	s_load_dword s4, s[34:35], 0x158
	s_waitcnt lgkmcnt(0)
	global_load_sbyte v1, v2, s[2:3]
	global_load_sbyte v3, v6, s[2:3]
	;; [unrolled: 1-line block ×8, first 2 shown]
	s_sext_i32_i8 s2, s4
	s_waitcnt vmcnt(7)
	v_max_i16_e32 v1, s2, v1
	s_waitcnt vmcnt(6)
	v_max_i16_e32 v2, s2, v3
	;; [unrolled: 2-line block ×8, first 2 shown]
	global_store_byte v0, v1, s[0:1]
	global_store_byte v4, v2, s[0:1]
	;; [unrolled: 1-line block ×8, first 2 shown]
	s_endpgm
.LBB359_131:
	v_mov_b32_e32 v2, 0
	v_mov_b32_e32 v0, 0
	s_branch .LBB359_137
.LBB359_132:
	v_mov_b32_e32 v2, 0
	v_mov_b32_e32 v0, 0
	s_branch .LBB359_154
.LBB359_133:
	v_mov_b32_e32 v0, 0
	s_mov_b32 s58, 0
	v_mov_b32_e32 v1, v0
                                        ; implicit-def: $vgpr2
	v_mov_b32_e32 v4, v24
.LBB359_134:
	s_and_b32 s4, s59, 3
	s_cmp_eq_u32 s4, 0
	s_cbranch_scc1 .LBB359_137
; %bb.135:
	s_lshl_b32 s0, s58, 3
	s_add_u32 s0, s34, s0
	s_addc_u32 s1, s35, 0
	s_add_u32 s0, s0, 0xc4
	s_addc_u32 s1, s1, 0
	s_mul_i32 s2, s58, 12
	s_add_u32 s2, s34, s2
	s_addc_u32 s3, s35, 0
.LBB359_136:                            ; =>This Inner Loop Header: Depth=1
	s_load_dwordx2 s[6:7], s[2:3], 0x4
	s_load_dword s5, s[2:3], 0xc
	s_load_dwordx2 s[8:9], s[0:1], 0x0
	v_mov_b32_e32 v2, v1
	s_add_u32 s2, s2, 12
	s_waitcnt lgkmcnt(0)
	v_mul_hi_u32 v1, s7, v4
	v_add_u32_e32 v1, v4, v1
	v_lshrrev_b32_e32 v1, s5, v1
	s_addc_u32 s3, s3, 0
	v_mul_lo_u32 v3, v1, s6
	s_add_u32 s0, s0, 8
	v_sub_u32_e32 v5, v4, v3
	s_addc_u32 s1, s1, 0
	s_add_i32 s4, s4, -1
	v_mov_b32_e32 v4, v1
	v_mad_u64_u32 v[2:3], s[6:7], v5, s9, v[2:3]
	v_mad_u64_u32 v[0:1], s[6:7], v5, s8, v[0:1]
	s_cmp_lg_u32 s4, 0
	v_mov_b32_e32 v1, v2
	s_cbranch_scc1 .LBB359_136
.LBB359_137:
	s_cbranch_execnz .LBB359_140
.LBB359_138:
	s_waitcnt lgkmcnt(0)
	v_mul_hi_u32 v0, s25, v24
	v_add_u32_e32 v0, v24, v0
	v_lshrrev_b32_e32 v1, s26, v0
	v_mul_lo_u32 v0, v1, s24
	v_sub_u32_e32 v0, v24, v0
	v_mul_lo_u32 v2, v0, s21
	s_andn2_b64 vcc, exec, s[42:43]
	v_mul_lo_u32 v0, v0, s20
	s_cbranch_vccnz .LBB359_140
; %bb.139:
	v_mul_hi_u32 v3, s40, v1
	v_add_u32_e32 v3, v1, v3
	v_lshrrev_b32_e32 v3, s41, v3
	v_mul_lo_u32 v3, v3, s27
	v_sub_u32_e32 v3, v1, v3
	v_mad_u64_u32 v[0:1], s[0:1], v3, s22, v[0:1]
	v_mad_u64_u32 v[2:3], s[0:1], v3, s23, v[2:3]
.LBB359_140:
	s_waitcnt lgkmcnt(0)
	global_load_sbyte v1, v2, s[18:19]
	s_bfe_i32 s0, s55, 0x80000
	v_add_u32_e32 v24, 0x80, v24
	s_waitcnt vmcnt(0)
	v_max_i16_e32 v1, s0, v1
	global_store_byte v0, v1, s[16:17]
	s_or_b64 exec, exec, s[48:49]
	v_cmp_gt_i32_e32 vcc, s56, v24
	s_and_saveexec_b64 s[48:49], vcc
	s_cbranch_execnz .LBB359_16
.LBB359_141:
	s_or_b64 exec, exec, s[48:49]
	v_cmp_gt_i32_e32 vcc, s56, v24
	s_and_saveexec_b64 s[48:49], vcc
	s_cbranch_execz .LBB359_158
.LBB359_142:
	s_andn2_b64 vcc, exec, s[36:37]
	s_cbranch_vccnz .LBB359_148
; %bb.143:
	s_andn2_b64 vcc, exec, s[46:47]
	s_cbranch_vccnz .LBB359_149
; %bb.144:
	s_add_i32 s59, s57, 1
	s_cmp_eq_u32 s54, 2
	s_cbranch_scc1 .LBB359_167
; %bb.145:
	s_and_b32 s58, s59, 28
	s_mov_b32 s60, 0
	v_mov_b32_e32 v0, 0
	v_mov_b32_e32 v2, 0
	s_mov_b64 s[50:51], s[34:35]
	s_mov_b64 s[52:53], s[44:45]
	v_mov_b32_e32 v4, v24
.LBB359_146:                            ; =>This Inner Loop Header: Depth=1
	s_load_dwordx8 s[8:15], s[50:51], 0x4
	s_load_dwordx4 s[28:31], s[50:51], 0x24
	s_load_dwordx8 s[0:7], s[52:53], 0x0
	s_add_u32 s50, s50, 48
	s_addc_u32 s51, s51, 0
	s_waitcnt lgkmcnt(0)
	v_mul_hi_u32 v1, s9, v4
	v_add_u32_e32 v1, v4, v1
	v_lshrrev_b32_e32 v1, s10, v1
	v_mul_lo_u32 v3, v1, s8
	v_mul_hi_u32 v5, s12, v1
	v_sub_u32_e32 v3, v4, v3
	v_add_u32_e32 v4, v1, v5
	v_lshrrev_b32_e32 v4, s13, v4
	v_mul_lo_u32 v6, v4, s11
	v_mul_hi_u32 v7, s15, v4
	v_sub_u32_e32 v1, v1, v6
	v_add_u32_e32 v6, v4, v7
	v_mul_lo_u32 v5, v3, s1
	v_mul_lo_u32 v3, v3, s0
	;; [unrolled: 1-line block ×4, first 2 shown]
	v_lshrrev_b32_e32 v6, s28, v6
	v_add3_u32 v0, v3, v0, v1
	v_mul_hi_u32 v3, s30, v6
	v_add3_u32 v1, v5, v2, v7
	v_mul_lo_u32 v2, v6, s14
	v_add_u32_e32 v3, v6, v3
	v_sub_u32_e32 v2, v4, v2
	v_lshrrev_b32_e32 v4, s31, v3
	s_add_i32 s60, s60, 4
	v_mul_lo_u32 v3, v4, s29
	s_add_u32 s52, s52, 32
	v_sub_u32_e32 v3, v6, v3
	s_addc_u32 s53, s53, 0
	v_mul_lo_u32 v5, v2, s4
	v_mul_lo_u32 v2, v2, s5
	;; [unrolled: 1-line block ×4, first 2 shown]
	s_cmp_eq_u32 s58, s60
	v_add3_u32 v2, v2, v1, v3
	v_add3_u32 v0, v5, v0, v6
	s_cbranch_scc0 .LBB359_146
; %bb.147:
	v_mov_b32_e32 v1, v2
	s_branch .LBB359_168
.LBB359_148:
                                        ; implicit-def: $vgpr2
                                        ; implicit-def: $vgpr0
	s_branch .LBB359_172
.LBB359_149:
	v_mov_b32_e32 v2, 0
	v_mov_b32_e32 v0, 0
	s_branch .LBB359_171
.LBB359_150:
	v_mov_b32_e32 v0, 0
	s_mov_b32 s58, 0
	v_mov_b32_e32 v1, v0
                                        ; implicit-def: $vgpr2
	v_mov_b32_e32 v4, v24
.LBB359_151:
	s_and_b32 s4, s59, 3
	s_cmp_eq_u32 s4, 0
	s_cbranch_scc1 .LBB359_154
; %bb.152:
	s_lshl_b32 s0, s58, 3
	s_add_u32 s0, s34, s0
	s_addc_u32 s1, s35, 0
	s_add_u32 s0, s0, 0xc4
	s_addc_u32 s1, s1, 0
	s_mul_i32 s2, s58, 12
	s_add_u32 s2, s34, s2
	s_addc_u32 s3, s35, 0
.LBB359_153:                            ; =>This Inner Loop Header: Depth=1
	s_load_dwordx2 s[6:7], s[2:3], 0x4
	s_load_dword s5, s[2:3], 0xc
	s_load_dwordx2 s[8:9], s[0:1], 0x0
	v_mov_b32_e32 v2, v1
	s_add_u32 s2, s2, 12
	s_waitcnt lgkmcnt(0)
	v_mul_hi_u32 v1, s7, v4
	v_add_u32_e32 v1, v4, v1
	v_lshrrev_b32_e32 v1, s5, v1
	s_addc_u32 s3, s3, 0
	v_mul_lo_u32 v3, v1, s6
	s_add_u32 s0, s0, 8
	v_sub_u32_e32 v5, v4, v3
	s_addc_u32 s1, s1, 0
	s_add_i32 s4, s4, -1
	v_mov_b32_e32 v4, v1
	v_mad_u64_u32 v[2:3], s[6:7], v5, s9, v[2:3]
	v_mad_u64_u32 v[0:1], s[6:7], v5, s8, v[0:1]
	s_cmp_lg_u32 s4, 0
	v_mov_b32_e32 v1, v2
	s_cbranch_scc1 .LBB359_153
.LBB359_154:
	s_cbranch_execnz .LBB359_157
.LBB359_155:
	s_waitcnt lgkmcnt(0)
	v_mul_hi_u32 v0, s25, v24
	v_add_u32_e32 v0, v24, v0
	v_lshrrev_b32_e32 v1, s26, v0
	v_mul_lo_u32 v0, v1, s24
	v_sub_u32_e32 v0, v24, v0
	v_mul_lo_u32 v2, v0, s21
	s_andn2_b64 vcc, exec, s[42:43]
	v_mul_lo_u32 v0, v0, s20
	s_cbranch_vccnz .LBB359_157
; %bb.156:
	v_mul_hi_u32 v3, s40, v1
	v_add_u32_e32 v3, v1, v3
	v_lshrrev_b32_e32 v3, s41, v3
	v_mul_lo_u32 v3, v3, s27
	v_sub_u32_e32 v3, v1, v3
	v_mad_u64_u32 v[0:1], s[0:1], v3, s22, v[0:1]
	v_mad_u64_u32 v[2:3], s[0:1], v3, s23, v[2:3]
.LBB359_157:
	s_waitcnt lgkmcnt(0)
	global_load_sbyte v1, v2, s[18:19]
	s_bfe_i32 s0, s55, 0x80000
	v_add_u32_e32 v24, 0x80, v24
	s_waitcnt vmcnt(0)
	v_max_i16_e32 v1, s0, v1
	global_store_byte v0, v1, s[16:17]
	s_or_b64 exec, exec, s[48:49]
	v_cmp_gt_i32_e32 vcc, s56, v24
	s_and_saveexec_b64 s[48:49], vcc
	s_cbranch_execnz .LBB359_142
.LBB359_158:
	s_or_b64 exec, exec, s[48:49]
	v_cmp_gt_i32_e32 vcc, s56, v24
	s_and_saveexec_b64 s[48:49], vcc
	s_cbranch_execz .LBB359_175
.LBB359_159:
	s_andn2_b64 vcc, exec, s[36:37]
	s_cbranch_vccnz .LBB359_165
; %bb.160:
	s_andn2_b64 vcc, exec, s[46:47]
	s_cbranch_vccnz .LBB359_166
; %bb.161:
	s_add_i32 s59, s57, 1
	s_cmp_eq_u32 s54, 2
	s_cbranch_scc1 .LBB359_184
; %bb.162:
	s_and_b32 s58, s59, 28
	s_mov_b32 s60, 0
	v_mov_b32_e32 v0, 0
	v_mov_b32_e32 v2, 0
	s_mov_b64 s[50:51], s[34:35]
	s_mov_b64 s[52:53], s[44:45]
	v_mov_b32_e32 v4, v24
.LBB359_163:                            ; =>This Inner Loop Header: Depth=1
	s_load_dwordx8 s[8:15], s[50:51], 0x4
	s_load_dwordx4 s[28:31], s[50:51], 0x24
	s_load_dwordx8 s[0:7], s[52:53], 0x0
	s_add_u32 s50, s50, 48
	s_addc_u32 s51, s51, 0
	s_waitcnt lgkmcnt(0)
	v_mul_hi_u32 v1, s9, v4
	v_add_u32_e32 v1, v4, v1
	v_lshrrev_b32_e32 v1, s10, v1
	v_mul_lo_u32 v3, v1, s8
	v_mul_hi_u32 v5, s12, v1
	v_sub_u32_e32 v3, v4, v3
	v_add_u32_e32 v4, v1, v5
	v_lshrrev_b32_e32 v4, s13, v4
	v_mul_lo_u32 v6, v4, s11
	v_mul_hi_u32 v7, s15, v4
	v_sub_u32_e32 v1, v1, v6
	v_add_u32_e32 v6, v4, v7
	v_mul_lo_u32 v5, v3, s1
	v_mul_lo_u32 v3, v3, s0
	;; [unrolled: 1-line block ×4, first 2 shown]
	v_lshrrev_b32_e32 v6, s28, v6
	v_add3_u32 v0, v3, v0, v1
	v_mul_hi_u32 v3, s30, v6
	v_add3_u32 v1, v5, v2, v7
	v_mul_lo_u32 v2, v6, s14
	v_add_u32_e32 v3, v6, v3
	v_sub_u32_e32 v2, v4, v2
	v_lshrrev_b32_e32 v4, s31, v3
	s_add_i32 s60, s60, 4
	v_mul_lo_u32 v3, v4, s29
	s_add_u32 s52, s52, 32
	v_sub_u32_e32 v3, v6, v3
	s_addc_u32 s53, s53, 0
	v_mul_lo_u32 v5, v2, s4
	v_mul_lo_u32 v2, v2, s5
	;; [unrolled: 1-line block ×4, first 2 shown]
	s_cmp_eq_u32 s58, s60
	v_add3_u32 v2, v2, v1, v3
	v_add3_u32 v0, v5, v0, v6
	s_cbranch_scc0 .LBB359_163
; %bb.164:
	v_mov_b32_e32 v1, v2
	s_branch .LBB359_185
.LBB359_165:
                                        ; implicit-def: $vgpr2
                                        ; implicit-def: $vgpr0
	s_branch .LBB359_189
.LBB359_166:
	v_mov_b32_e32 v2, 0
	v_mov_b32_e32 v0, 0
	s_branch .LBB359_188
.LBB359_167:
	v_mov_b32_e32 v0, 0
	s_mov_b32 s58, 0
	v_mov_b32_e32 v1, v0
                                        ; implicit-def: $vgpr2
	v_mov_b32_e32 v4, v24
.LBB359_168:
	s_and_b32 s4, s59, 3
	s_cmp_eq_u32 s4, 0
	s_cbranch_scc1 .LBB359_171
; %bb.169:
	s_lshl_b32 s0, s58, 3
	s_add_u32 s0, s34, s0
	s_addc_u32 s1, s35, 0
	s_add_u32 s0, s0, 0xc4
	s_addc_u32 s1, s1, 0
	s_mul_i32 s2, s58, 12
	s_add_u32 s2, s34, s2
	s_addc_u32 s3, s35, 0
.LBB359_170:                            ; =>This Inner Loop Header: Depth=1
	s_load_dwordx2 s[6:7], s[2:3], 0x4
	s_load_dword s5, s[2:3], 0xc
	s_load_dwordx2 s[8:9], s[0:1], 0x0
	v_mov_b32_e32 v2, v1
	s_add_u32 s2, s2, 12
	s_waitcnt lgkmcnt(0)
	v_mul_hi_u32 v1, s7, v4
	v_add_u32_e32 v1, v4, v1
	v_lshrrev_b32_e32 v1, s5, v1
	s_addc_u32 s3, s3, 0
	v_mul_lo_u32 v3, v1, s6
	s_add_u32 s0, s0, 8
	v_sub_u32_e32 v5, v4, v3
	s_addc_u32 s1, s1, 0
	s_add_i32 s4, s4, -1
	v_mov_b32_e32 v4, v1
	v_mad_u64_u32 v[2:3], s[6:7], v5, s9, v[2:3]
	v_mad_u64_u32 v[0:1], s[6:7], v5, s8, v[0:1]
	s_cmp_lg_u32 s4, 0
	v_mov_b32_e32 v1, v2
	s_cbranch_scc1 .LBB359_170
.LBB359_171:
	s_cbranch_execnz .LBB359_174
.LBB359_172:
	s_waitcnt lgkmcnt(0)
	v_mul_hi_u32 v0, s25, v24
	v_add_u32_e32 v0, v24, v0
	v_lshrrev_b32_e32 v1, s26, v0
	v_mul_lo_u32 v0, v1, s24
	v_sub_u32_e32 v0, v24, v0
	v_mul_lo_u32 v2, v0, s21
	s_andn2_b64 vcc, exec, s[42:43]
	v_mul_lo_u32 v0, v0, s20
	s_cbranch_vccnz .LBB359_174
; %bb.173:
	v_mul_hi_u32 v3, s40, v1
	v_add_u32_e32 v3, v1, v3
	v_lshrrev_b32_e32 v3, s41, v3
	v_mul_lo_u32 v3, v3, s27
	v_sub_u32_e32 v3, v1, v3
	v_mad_u64_u32 v[0:1], s[0:1], v3, s22, v[0:1]
	v_mad_u64_u32 v[2:3], s[0:1], v3, s23, v[2:3]
.LBB359_174:
	s_waitcnt lgkmcnt(0)
	global_load_sbyte v1, v2, s[18:19]
	s_bfe_i32 s0, s55, 0x80000
	v_add_u32_e32 v24, 0x80, v24
	s_waitcnt vmcnt(0)
	v_max_i16_e32 v1, s0, v1
	global_store_byte v0, v1, s[16:17]
	s_or_b64 exec, exec, s[48:49]
	v_cmp_gt_i32_e32 vcc, s56, v24
	s_and_saveexec_b64 s[48:49], vcc
	s_cbranch_execnz .LBB359_159
.LBB359_175:
	s_or_b64 exec, exec, s[48:49]
	v_cmp_gt_i32_e32 vcc, s56, v24
	s_and_saveexec_b64 s[48:49], vcc
	s_cbranch_execz .LBB359_192
.LBB359_176:
	s_andn2_b64 vcc, exec, s[36:37]
	s_cbranch_vccnz .LBB359_182
; %bb.177:
	s_andn2_b64 vcc, exec, s[46:47]
	s_cbranch_vccnz .LBB359_183
; %bb.178:
	s_add_i32 s59, s57, 1
	s_cmp_eq_u32 s54, 2
	s_cbranch_scc1 .LBB359_201
; %bb.179:
	s_and_b32 s58, s59, 28
	s_mov_b32 s60, 0
	v_mov_b32_e32 v0, 0
	v_mov_b32_e32 v2, 0
	s_mov_b64 s[50:51], s[34:35]
	s_mov_b64 s[52:53], s[44:45]
	v_mov_b32_e32 v4, v24
.LBB359_180:                            ; =>This Inner Loop Header: Depth=1
	s_load_dwordx8 s[8:15], s[50:51], 0x4
	s_load_dwordx4 s[28:31], s[50:51], 0x24
	s_load_dwordx8 s[0:7], s[52:53], 0x0
	s_add_u32 s50, s50, 48
	s_addc_u32 s51, s51, 0
	s_waitcnt lgkmcnt(0)
	v_mul_hi_u32 v1, s9, v4
	v_add_u32_e32 v1, v4, v1
	v_lshrrev_b32_e32 v1, s10, v1
	v_mul_lo_u32 v3, v1, s8
	v_mul_hi_u32 v5, s12, v1
	v_sub_u32_e32 v3, v4, v3
	v_add_u32_e32 v4, v1, v5
	v_lshrrev_b32_e32 v4, s13, v4
	v_mul_lo_u32 v6, v4, s11
	v_mul_hi_u32 v7, s15, v4
	v_sub_u32_e32 v1, v1, v6
	v_add_u32_e32 v6, v4, v7
	v_mul_lo_u32 v5, v3, s1
	v_mul_lo_u32 v3, v3, s0
	v_mul_lo_u32 v7, v1, s3
	v_mul_lo_u32 v1, v1, s2
	v_lshrrev_b32_e32 v6, s28, v6
	v_add3_u32 v0, v3, v0, v1
	v_mul_hi_u32 v3, s30, v6
	v_add3_u32 v1, v5, v2, v7
	v_mul_lo_u32 v2, v6, s14
	v_add_u32_e32 v3, v6, v3
	v_sub_u32_e32 v2, v4, v2
	v_lshrrev_b32_e32 v4, s31, v3
	s_add_i32 s60, s60, 4
	v_mul_lo_u32 v3, v4, s29
	s_add_u32 s52, s52, 32
	v_sub_u32_e32 v3, v6, v3
	s_addc_u32 s53, s53, 0
	v_mul_lo_u32 v5, v2, s4
	v_mul_lo_u32 v2, v2, s5
	;; [unrolled: 1-line block ×4, first 2 shown]
	s_cmp_eq_u32 s58, s60
	v_add3_u32 v2, v2, v1, v3
	v_add3_u32 v0, v5, v0, v6
	s_cbranch_scc0 .LBB359_180
; %bb.181:
	v_mov_b32_e32 v1, v2
	s_branch .LBB359_202
.LBB359_182:
                                        ; implicit-def: $vgpr2
                                        ; implicit-def: $vgpr0
	s_branch .LBB359_206
.LBB359_183:
	v_mov_b32_e32 v2, 0
	v_mov_b32_e32 v0, 0
	s_branch .LBB359_205
.LBB359_184:
	v_mov_b32_e32 v0, 0
	s_mov_b32 s58, 0
	v_mov_b32_e32 v1, v0
                                        ; implicit-def: $vgpr2
	v_mov_b32_e32 v4, v24
.LBB359_185:
	s_and_b32 s4, s59, 3
	s_cmp_eq_u32 s4, 0
	s_cbranch_scc1 .LBB359_188
; %bb.186:
	s_lshl_b32 s0, s58, 3
	s_add_u32 s0, s34, s0
	s_addc_u32 s1, s35, 0
	s_add_u32 s0, s0, 0xc4
	s_addc_u32 s1, s1, 0
	s_mul_i32 s2, s58, 12
	s_add_u32 s2, s34, s2
	s_addc_u32 s3, s35, 0
.LBB359_187:                            ; =>This Inner Loop Header: Depth=1
	s_load_dwordx2 s[6:7], s[2:3], 0x4
	s_load_dword s5, s[2:3], 0xc
	s_load_dwordx2 s[8:9], s[0:1], 0x0
	v_mov_b32_e32 v2, v1
	s_add_u32 s2, s2, 12
	s_waitcnt lgkmcnt(0)
	v_mul_hi_u32 v1, s7, v4
	v_add_u32_e32 v1, v4, v1
	v_lshrrev_b32_e32 v1, s5, v1
	s_addc_u32 s3, s3, 0
	v_mul_lo_u32 v3, v1, s6
	s_add_u32 s0, s0, 8
	v_sub_u32_e32 v5, v4, v3
	s_addc_u32 s1, s1, 0
	s_add_i32 s4, s4, -1
	v_mov_b32_e32 v4, v1
	v_mad_u64_u32 v[2:3], s[6:7], v5, s9, v[2:3]
	v_mad_u64_u32 v[0:1], s[6:7], v5, s8, v[0:1]
	s_cmp_lg_u32 s4, 0
	v_mov_b32_e32 v1, v2
	s_cbranch_scc1 .LBB359_187
.LBB359_188:
	s_cbranch_execnz .LBB359_191
.LBB359_189:
	s_waitcnt lgkmcnt(0)
	v_mul_hi_u32 v0, s25, v24
	v_add_u32_e32 v0, v24, v0
	v_lshrrev_b32_e32 v1, s26, v0
	v_mul_lo_u32 v0, v1, s24
	v_sub_u32_e32 v0, v24, v0
	v_mul_lo_u32 v2, v0, s21
	s_andn2_b64 vcc, exec, s[42:43]
	v_mul_lo_u32 v0, v0, s20
	s_cbranch_vccnz .LBB359_191
; %bb.190:
	v_mul_hi_u32 v3, s40, v1
	v_add_u32_e32 v3, v1, v3
	v_lshrrev_b32_e32 v3, s41, v3
	v_mul_lo_u32 v3, v3, s27
	v_sub_u32_e32 v3, v1, v3
	v_mad_u64_u32 v[0:1], s[0:1], v3, s22, v[0:1]
	v_mad_u64_u32 v[2:3], s[0:1], v3, s23, v[2:3]
.LBB359_191:
	s_waitcnt lgkmcnt(0)
	global_load_sbyte v1, v2, s[18:19]
	s_bfe_i32 s0, s55, 0x80000
	v_add_u32_e32 v24, 0x80, v24
	s_waitcnt vmcnt(0)
	v_max_i16_e32 v1, s0, v1
	global_store_byte v0, v1, s[16:17]
	s_or_b64 exec, exec, s[48:49]
	v_cmp_gt_i32_e32 vcc, s56, v24
	s_and_saveexec_b64 s[48:49], vcc
	s_cbranch_execnz .LBB359_176
.LBB359_192:
	s_or_b64 exec, exec, s[48:49]
	v_cmp_gt_i32_e32 vcc, s56, v24
	s_and_saveexec_b64 s[48:49], vcc
	s_cbranch_execz .LBB359_209
.LBB359_193:
	s_andn2_b64 vcc, exec, s[36:37]
	s_cbranch_vccnz .LBB359_199
; %bb.194:
	s_andn2_b64 vcc, exec, s[46:47]
	s_cbranch_vccnz .LBB359_200
; %bb.195:
	s_add_i32 s59, s57, 1
	s_cmp_eq_u32 s54, 2
	s_cbranch_scc1 .LBB359_218
; %bb.196:
	s_and_b32 s58, s59, 28
	s_mov_b32 s60, 0
	v_mov_b32_e32 v0, 0
	v_mov_b32_e32 v2, 0
	s_mov_b64 s[50:51], s[34:35]
	s_mov_b64 s[52:53], s[44:45]
	v_mov_b32_e32 v4, v24
.LBB359_197:                            ; =>This Inner Loop Header: Depth=1
	s_load_dwordx8 s[8:15], s[50:51], 0x4
	s_load_dwordx4 s[28:31], s[50:51], 0x24
	s_load_dwordx8 s[0:7], s[52:53], 0x0
	s_add_u32 s50, s50, 48
	s_addc_u32 s51, s51, 0
	s_waitcnt lgkmcnt(0)
	v_mul_hi_u32 v1, s9, v4
	v_add_u32_e32 v1, v4, v1
	v_lshrrev_b32_e32 v1, s10, v1
	v_mul_lo_u32 v3, v1, s8
	v_mul_hi_u32 v5, s12, v1
	v_sub_u32_e32 v3, v4, v3
	v_add_u32_e32 v4, v1, v5
	v_lshrrev_b32_e32 v4, s13, v4
	v_mul_lo_u32 v6, v4, s11
	v_mul_hi_u32 v7, s15, v4
	v_sub_u32_e32 v1, v1, v6
	v_add_u32_e32 v6, v4, v7
	v_mul_lo_u32 v5, v3, s1
	v_mul_lo_u32 v3, v3, s0
	;; [unrolled: 1-line block ×4, first 2 shown]
	v_lshrrev_b32_e32 v6, s28, v6
	v_add3_u32 v0, v3, v0, v1
	v_mul_hi_u32 v3, s30, v6
	v_add3_u32 v1, v5, v2, v7
	v_mul_lo_u32 v2, v6, s14
	v_add_u32_e32 v3, v6, v3
	v_sub_u32_e32 v2, v4, v2
	v_lshrrev_b32_e32 v4, s31, v3
	s_add_i32 s60, s60, 4
	v_mul_lo_u32 v3, v4, s29
	s_add_u32 s52, s52, 32
	v_sub_u32_e32 v3, v6, v3
	s_addc_u32 s53, s53, 0
	v_mul_lo_u32 v5, v2, s4
	v_mul_lo_u32 v2, v2, s5
	;; [unrolled: 1-line block ×4, first 2 shown]
	s_cmp_eq_u32 s58, s60
	v_add3_u32 v2, v2, v1, v3
	v_add3_u32 v0, v5, v0, v6
	s_cbranch_scc0 .LBB359_197
; %bb.198:
	v_mov_b32_e32 v1, v2
	s_branch .LBB359_219
.LBB359_199:
                                        ; implicit-def: $vgpr2
                                        ; implicit-def: $vgpr0
	s_branch .LBB359_223
.LBB359_200:
	v_mov_b32_e32 v2, 0
	v_mov_b32_e32 v0, 0
	s_branch .LBB359_222
.LBB359_201:
	v_mov_b32_e32 v0, 0
	s_mov_b32 s58, 0
	v_mov_b32_e32 v1, v0
                                        ; implicit-def: $vgpr2
	v_mov_b32_e32 v4, v24
.LBB359_202:
	s_and_b32 s4, s59, 3
	s_cmp_eq_u32 s4, 0
	s_cbranch_scc1 .LBB359_205
; %bb.203:
	s_lshl_b32 s0, s58, 3
	s_add_u32 s0, s34, s0
	s_addc_u32 s1, s35, 0
	s_add_u32 s0, s0, 0xc4
	s_addc_u32 s1, s1, 0
	s_mul_i32 s2, s58, 12
	s_add_u32 s2, s34, s2
	s_addc_u32 s3, s35, 0
.LBB359_204:                            ; =>This Inner Loop Header: Depth=1
	s_load_dwordx2 s[6:7], s[2:3], 0x4
	s_load_dword s5, s[2:3], 0xc
	s_load_dwordx2 s[8:9], s[0:1], 0x0
	v_mov_b32_e32 v2, v1
	s_add_u32 s2, s2, 12
	s_waitcnt lgkmcnt(0)
	v_mul_hi_u32 v1, s7, v4
	v_add_u32_e32 v1, v4, v1
	v_lshrrev_b32_e32 v1, s5, v1
	s_addc_u32 s3, s3, 0
	v_mul_lo_u32 v3, v1, s6
	s_add_u32 s0, s0, 8
	v_sub_u32_e32 v5, v4, v3
	s_addc_u32 s1, s1, 0
	s_add_i32 s4, s4, -1
	v_mov_b32_e32 v4, v1
	v_mad_u64_u32 v[2:3], s[6:7], v5, s9, v[2:3]
	v_mad_u64_u32 v[0:1], s[6:7], v5, s8, v[0:1]
	s_cmp_lg_u32 s4, 0
	v_mov_b32_e32 v1, v2
	s_cbranch_scc1 .LBB359_204
.LBB359_205:
	s_cbranch_execnz .LBB359_208
.LBB359_206:
	s_waitcnt lgkmcnt(0)
	v_mul_hi_u32 v0, s25, v24
	v_add_u32_e32 v0, v24, v0
	v_lshrrev_b32_e32 v1, s26, v0
	v_mul_lo_u32 v0, v1, s24
	v_sub_u32_e32 v0, v24, v0
	v_mul_lo_u32 v2, v0, s21
	s_andn2_b64 vcc, exec, s[42:43]
	v_mul_lo_u32 v0, v0, s20
	s_cbranch_vccnz .LBB359_208
; %bb.207:
	v_mul_hi_u32 v3, s40, v1
	v_add_u32_e32 v3, v1, v3
	v_lshrrev_b32_e32 v3, s41, v3
	v_mul_lo_u32 v3, v3, s27
	v_sub_u32_e32 v3, v1, v3
	v_mad_u64_u32 v[0:1], s[0:1], v3, s22, v[0:1]
	v_mad_u64_u32 v[2:3], s[0:1], v3, s23, v[2:3]
.LBB359_208:
	s_waitcnt lgkmcnt(0)
	global_load_sbyte v1, v2, s[18:19]
	s_bfe_i32 s0, s55, 0x80000
	v_add_u32_e32 v24, 0x80, v24
	s_waitcnt vmcnt(0)
	v_max_i16_e32 v1, s0, v1
	global_store_byte v0, v1, s[16:17]
	s_or_b64 exec, exec, s[48:49]
	v_cmp_gt_i32_e32 vcc, s56, v24
	s_and_saveexec_b64 s[48:49], vcc
	s_cbranch_execnz .LBB359_193
.LBB359_209:
	s_or_b64 exec, exec, s[48:49]
	v_cmp_gt_i32_e32 vcc, s56, v24
	s_and_saveexec_b64 s[48:49], vcc
	s_cbranch_execz .LBB359_226
.LBB359_210:
	s_andn2_b64 vcc, exec, s[36:37]
	s_cbranch_vccnz .LBB359_216
; %bb.211:
	s_andn2_b64 vcc, exec, s[46:47]
	s_cbranch_vccnz .LBB359_217
; %bb.212:
	s_add_i32 s59, s57, 1
	s_cmp_eq_u32 s54, 2
	s_cbranch_scc1 .LBB359_229
; %bb.213:
	s_and_b32 s58, s59, 28
	s_mov_b32 s60, 0
	v_mov_b32_e32 v0, 0
	v_mov_b32_e32 v2, 0
	s_mov_b64 s[50:51], s[34:35]
	s_mov_b64 s[52:53], s[44:45]
	v_mov_b32_e32 v4, v24
.LBB359_214:                            ; =>This Inner Loop Header: Depth=1
	s_load_dwordx8 s[8:15], s[50:51], 0x4
	s_load_dwordx4 s[28:31], s[50:51], 0x24
	s_load_dwordx8 s[0:7], s[52:53], 0x0
	s_add_u32 s50, s50, 48
	s_addc_u32 s51, s51, 0
	s_waitcnt lgkmcnt(0)
	v_mul_hi_u32 v1, s9, v4
	v_add_u32_e32 v1, v4, v1
	v_lshrrev_b32_e32 v1, s10, v1
	v_mul_lo_u32 v3, v1, s8
	v_mul_hi_u32 v5, s12, v1
	v_sub_u32_e32 v3, v4, v3
	v_add_u32_e32 v4, v1, v5
	v_lshrrev_b32_e32 v4, s13, v4
	v_mul_lo_u32 v6, v4, s11
	v_mul_hi_u32 v7, s15, v4
	v_sub_u32_e32 v1, v1, v6
	v_add_u32_e32 v6, v4, v7
	v_mul_lo_u32 v5, v3, s1
	v_mul_lo_u32 v3, v3, s0
	;; [unrolled: 1-line block ×4, first 2 shown]
	v_lshrrev_b32_e32 v6, s28, v6
	v_add3_u32 v0, v3, v0, v1
	v_mul_hi_u32 v3, s30, v6
	v_add3_u32 v1, v5, v2, v7
	v_mul_lo_u32 v2, v6, s14
	v_add_u32_e32 v3, v6, v3
	v_sub_u32_e32 v2, v4, v2
	v_lshrrev_b32_e32 v4, s31, v3
	s_add_i32 s60, s60, 4
	v_mul_lo_u32 v3, v4, s29
	s_add_u32 s52, s52, 32
	v_sub_u32_e32 v3, v6, v3
	s_addc_u32 s53, s53, 0
	v_mul_lo_u32 v5, v2, s4
	v_mul_lo_u32 v2, v2, s5
	;; [unrolled: 1-line block ×4, first 2 shown]
	s_cmp_eq_u32 s58, s60
	v_add3_u32 v2, v2, v1, v3
	v_add3_u32 v0, v5, v0, v6
	s_cbranch_scc0 .LBB359_214
; %bb.215:
	v_mov_b32_e32 v1, v2
	s_branch .LBB359_230
.LBB359_216:
                                        ; implicit-def: $vgpr2
                                        ; implicit-def: $vgpr0
	s_branch .LBB359_234
.LBB359_217:
	v_mov_b32_e32 v2, 0
	v_mov_b32_e32 v0, 0
	s_branch .LBB359_233
.LBB359_218:
	v_mov_b32_e32 v0, 0
	s_mov_b32 s58, 0
	v_mov_b32_e32 v1, v0
                                        ; implicit-def: $vgpr2
	v_mov_b32_e32 v4, v24
.LBB359_219:
	s_and_b32 s4, s59, 3
	s_cmp_eq_u32 s4, 0
	s_cbranch_scc1 .LBB359_222
; %bb.220:
	s_lshl_b32 s0, s58, 3
	s_add_u32 s0, s34, s0
	s_addc_u32 s1, s35, 0
	s_add_u32 s0, s0, 0xc4
	s_addc_u32 s1, s1, 0
	s_mul_i32 s2, s58, 12
	s_add_u32 s2, s34, s2
	s_addc_u32 s3, s35, 0
.LBB359_221:                            ; =>This Inner Loop Header: Depth=1
	s_load_dwordx2 s[6:7], s[2:3], 0x4
	s_load_dword s5, s[2:3], 0xc
	s_load_dwordx2 s[8:9], s[0:1], 0x0
	v_mov_b32_e32 v2, v1
	s_add_u32 s2, s2, 12
	s_waitcnt lgkmcnt(0)
	v_mul_hi_u32 v1, s7, v4
	v_add_u32_e32 v1, v4, v1
	v_lshrrev_b32_e32 v1, s5, v1
	s_addc_u32 s3, s3, 0
	v_mul_lo_u32 v3, v1, s6
	s_add_u32 s0, s0, 8
	v_sub_u32_e32 v5, v4, v3
	s_addc_u32 s1, s1, 0
	s_add_i32 s4, s4, -1
	v_mov_b32_e32 v4, v1
	v_mad_u64_u32 v[2:3], s[6:7], v5, s9, v[2:3]
	v_mad_u64_u32 v[0:1], s[6:7], v5, s8, v[0:1]
	s_cmp_lg_u32 s4, 0
	v_mov_b32_e32 v1, v2
	s_cbranch_scc1 .LBB359_221
.LBB359_222:
	s_cbranch_execnz .LBB359_225
.LBB359_223:
	s_waitcnt lgkmcnt(0)
	v_mul_hi_u32 v0, s25, v24
	v_add_u32_e32 v0, v24, v0
	v_lshrrev_b32_e32 v1, s26, v0
	v_mul_lo_u32 v0, v1, s24
	v_sub_u32_e32 v0, v24, v0
	v_mul_lo_u32 v2, v0, s21
	s_andn2_b64 vcc, exec, s[42:43]
	v_mul_lo_u32 v0, v0, s20
	s_cbranch_vccnz .LBB359_225
; %bb.224:
	v_mul_hi_u32 v3, s40, v1
	v_add_u32_e32 v3, v1, v3
	v_lshrrev_b32_e32 v3, s41, v3
	v_mul_lo_u32 v3, v3, s27
	v_sub_u32_e32 v3, v1, v3
	v_mad_u64_u32 v[0:1], s[0:1], v3, s22, v[0:1]
	v_mad_u64_u32 v[2:3], s[0:1], v3, s23, v[2:3]
.LBB359_225:
	s_waitcnt lgkmcnt(0)
	global_load_sbyte v1, v2, s[18:19]
	s_bfe_i32 s0, s55, 0x80000
	v_add_u32_e32 v24, 0x80, v24
	s_waitcnt vmcnt(0)
	v_max_i16_e32 v1, s0, v1
	global_store_byte v0, v1, s[16:17]
	s_or_b64 exec, exec, s[48:49]
	v_cmp_gt_i32_e32 vcc, s56, v24
	s_and_saveexec_b64 s[48:49], vcc
	s_cbranch_execnz .LBB359_210
.LBB359_226:
	s_or_b64 exec, exec, s[48:49]
	v_cmp_gt_i32_e32 vcc, s56, v24
	s_and_saveexec_b64 s[48:49], vcc
	s_cbranch_execnz .LBB359_237
.LBB359_227:
	s_or_b64 exec, exec, s[48:49]
                                        ; implicit-def: $vgpr32
                                        ; implicit-def: $vgpr24
	s_andn2_saveexec_b64 s[0:1], s[38:39]
	s_cbranch_execnz .LBB359_9
.LBB359_228:
	s_endpgm
.LBB359_229:
	v_mov_b32_e32 v0, 0
	s_mov_b32 s58, 0
	v_mov_b32_e32 v1, v0
                                        ; implicit-def: $vgpr2
	v_mov_b32_e32 v4, v24
.LBB359_230:
	s_and_b32 s4, s59, 3
	s_cmp_eq_u32 s4, 0
	s_cbranch_scc1 .LBB359_233
; %bb.231:
	s_lshl_b32 s0, s58, 3
	s_add_u32 s0, s34, s0
	s_addc_u32 s1, s35, 0
	s_add_u32 s0, s0, 0xc4
	s_addc_u32 s1, s1, 0
	s_mul_i32 s2, s58, 12
	s_add_u32 s2, s34, s2
	s_addc_u32 s3, s35, 0
.LBB359_232:                            ; =>This Inner Loop Header: Depth=1
	s_load_dwordx2 s[6:7], s[2:3], 0x4
	s_load_dword s5, s[2:3], 0xc
	s_load_dwordx2 s[8:9], s[0:1], 0x0
	v_mov_b32_e32 v2, v1
	s_add_u32 s2, s2, 12
	s_waitcnt lgkmcnt(0)
	v_mul_hi_u32 v1, s7, v4
	v_add_u32_e32 v1, v4, v1
	v_lshrrev_b32_e32 v1, s5, v1
	s_addc_u32 s3, s3, 0
	v_mul_lo_u32 v3, v1, s6
	s_add_u32 s0, s0, 8
	v_sub_u32_e32 v5, v4, v3
	s_addc_u32 s1, s1, 0
	s_add_i32 s4, s4, -1
	v_mov_b32_e32 v4, v1
	v_mad_u64_u32 v[2:3], s[6:7], v5, s9, v[2:3]
	v_mad_u64_u32 v[0:1], s[6:7], v5, s8, v[0:1]
	s_cmp_lg_u32 s4, 0
	v_mov_b32_e32 v1, v2
	s_cbranch_scc1 .LBB359_232
.LBB359_233:
	s_cbranch_execnz .LBB359_236
.LBB359_234:
	s_waitcnt lgkmcnt(0)
	v_mul_hi_u32 v0, s25, v24
	v_add_u32_e32 v0, v24, v0
	v_lshrrev_b32_e32 v1, s26, v0
	v_mul_lo_u32 v0, v1, s24
	v_sub_u32_e32 v0, v24, v0
	v_mul_lo_u32 v2, v0, s21
	s_andn2_b64 vcc, exec, s[42:43]
	v_mul_lo_u32 v0, v0, s20
	s_cbranch_vccnz .LBB359_236
; %bb.235:
	v_mul_hi_u32 v3, s40, v1
	v_add_u32_e32 v3, v1, v3
	v_lshrrev_b32_e32 v3, s41, v3
	v_mul_lo_u32 v3, v3, s27
	v_sub_u32_e32 v3, v1, v3
	v_mad_u64_u32 v[0:1], s[0:1], v3, s22, v[0:1]
	v_mad_u64_u32 v[2:3], s[0:1], v3, s23, v[2:3]
.LBB359_236:
	s_waitcnt lgkmcnt(0)
	global_load_sbyte v1, v2, s[18:19]
	s_bfe_i32 s0, s55, 0x80000
	v_add_u32_e32 v24, 0x80, v24
	s_waitcnt vmcnt(0)
	v_max_i16_e32 v1, s0, v1
	global_store_byte v0, v1, s[16:17]
	s_or_b64 exec, exec, s[48:49]
	v_cmp_gt_i32_e32 vcc, s56, v24
	s_and_saveexec_b64 s[48:49], vcc
	s_cbranch_execz .LBB359_227
.LBB359_237:
	s_andn2_b64 vcc, exec, s[36:37]
	s_cbranch_vccnz .LBB359_243
; %bb.238:
	s_andn2_b64 vcc, exec, s[46:47]
	s_cbranch_vccnz .LBB359_244
; %bb.239:
	s_add_i32 s57, s57, 1
	s_cmp_eq_u32 s54, 2
	s_cbranch_scc1 .LBB359_245
; %bb.240:
	s_and_b32 s50, s57, 28
	s_mov_b32 s51, 0
	v_mov_b32_e32 v0, 0
	v_mov_b32_e32 v2, 0
	s_mov_b64 s[46:47], s[34:35]
	v_mov_b32_e32 v4, v24
.LBB359_241:                            ; =>This Inner Loop Header: Depth=1
	s_load_dwordx8 s[8:15], s[46:47], 0x4
	s_load_dwordx4 s[28:31], s[46:47], 0x24
	s_load_dwordx8 s[0:7], s[44:45], 0x0
	s_add_u32 s46, s46, 48
	s_addc_u32 s47, s47, 0
	s_waitcnt lgkmcnt(0)
	v_mul_hi_u32 v1, s9, v4
	v_add_u32_e32 v1, v4, v1
	v_lshrrev_b32_e32 v1, s10, v1
	v_mul_lo_u32 v3, v1, s8
	v_mul_hi_u32 v5, s12, v1
	v_sub_u32_e32 v3, v4, v3
	v_add_u32_e32 v4, v1, v5
	v_lshrrev_b32_e32 v4, s13, v4
	v_mul_lo_u32 v6, v4, s11
	v_mul_hi_u32 v7, s15, v4
	v_sub_u32_e32 v1, v1, v6
	v_add_u32_e32 v6, v4, v7
	v_mul_lo_u32 v5, v3, s1
	v_mul_lo_u32 v3, v3, s0
	;; [unrolled: 1-line block ×4, first 2 shown]
	v_lshrrev_b32_e32 v6, s28, v6
	v_add3_u32 v0, v3, v0, v1
	v_mul_hi_u32 v3, s30, v6
	v_add3_u32 v1, v5, v2, v7
	v_mul_lo_u32 v2, v6, s14
	v_add_u32_e32 v3, v6, v3
	v_sub_u32_e32 v2, v4, v2
	v_lshrrev_b32_e32 v4, s31, v3
	s_add_i32 s51, s51, 4
	v_mul_lo_u32 v3, v4, s29
	s_add_u32 s44, s44, 32
	v_sub_u32_e32 v3, v6, v3
	s_addc_u32 s45, s45, 0
	v_mul_lo_u32 v5, v2, s4
	v_mul_lo_u32 v2, v2, s5
	;; [unrolled: 1-line block ×4, first 2 shown]
	s_cmp_eq_u32 s50, s51
	v_add3_u32 v2, v2, v1, v3
	v_add3_u32 v0, v5, v0, v6
	s_cbranch_scc0 .LBB359_241
; %bb.242:
	v_mov_b32_e32 v1, v2
	s_branch .LBB359_246
.LBB359_243:
                                        ; implicit-def: $vgpr2
                                        ; implicit-def: $vgpr0
	s_branch .LBB359_250
.LBB359_244:
	v_mov_b32_e32 v2, 0
	v_mov_b32_e32 v0, 0
	s_branch .LBB359_249
.LBB359_245:
	v_mov_b32_e32 v0, 0
	s_mov_b32 s50, 0
	v_mov_b32_e32 v1, v0
                                        ; implicit-def: $vgpr2
	v_mov_b32_e32 v4, v24
.LBB359_246:
	s_and_b32 s4, s57, 3
	s_cmp_eq_u32 s4, 0
	s_cbranch_scc1 .LBB359_249
; %bb.247:
	s_lshl_b32 s0, s50, 3
	s_add_u32 s0, s34, s0
	s_addc_u32 s1, s35, 0
	s_add_u32 s0, s0, 0xc4
	s_addc_u32 s1, s1, 0
	s_mul_i32 s2, s50, 12
	s_add_u32 s2, s34, s2
	s_addc_u32 s3, s35, 0
.LBB359_248:                            ; =>This Inner Loop Header: Depth=1
	s_load_dwordx2 s[6:7], s[2:3], 0x4
	s_load_dword s5, s[2:3], 0xc
	s_load_dwordx2 s[8:9], s[0:1], 0x0
	v_mov_b32_e32 v2, v1
	s_add_u32 s2, s2, 12
	s_waitcnt lgkmcnt(0)
	v_mul_hi_u32 v1, s7, v4
	v_add_u32_e32 v1, v4, v1
	v_lshrrev_b32_e32 v1, s5, v1
	s_addc_u32 s3, s3, 0
	v_mul_lo_u32 v3, v1, s6
	s_add_u32 s0, s0, 8
	v_sub_u32_e32 v5, v4, v3
	s_addc_u32 s1, s1, 0
	s_add_i32 s4, s4, -1
	v_mov_b32_e32 v4, v1
	v_mad_u64_u32 v[2:3], s[6:7], v5, s9, v[2:3]
	v_mad_u64_u32 v[0:1], s[6:7], v5, s8, v[0:1]
	s_cmp_lg_u32 s4, 0
	v_mov_b32_e32 v1, v2
	s_cbranch_scc1 .LBB359_248
.LBB359_249:
	s_cbranch_execnz .LBB359_252
.LBB359_250:
	s_waitcnt lgkmcnt(0)
	v_mul_hi_u32 v0, s25, v24
	v_add_u32_e32 v0, v24, v0
	v_lshrrev_b32_e32 v1, s26, v0
	v_mul_lo_u32 v0, v1, s24
	v_sub_u32_e32 v0, v24, v0
	v_mul_lo_u32 v2, v0, s21
	s_andn2_b64 vcc, exec, s[42:43]
	v_mul_lo_u32 v0, v0, s20
	s_cbranch_vccnz .LBB359_252
; %bb.251:
	v_mul_hi_u32 v3, s40, v1
	v_add_u32_e32 v3, v1, v3
	v_lshrrev_b32_e32 v3, s41, v3
	v_mul_lo_u32 v3, v3, s27
	v_sub_u32_e32 v3, v1, v3
	v_mad_u64_u32 v[0:1], s[0:1], v3, s22, v[0:1]
	v_mad_u64_u32 v[2:3], s[0:1], v3, s23, v[2:3]
.LBB359_252:
	s_waitcnt lgkmcnt(0)
	global_load_sbyte v1, v2, s[18:19]
	s_bfe_i32 s0, s55, 0x80000
	s_waitcnt vmcnt(0)
	v_max_i16_e32 v1, s0, v1
	global_store_byte v0, v1, s[16:17]
	s_or_b64 exec, exec, s[48:49]
                                        ; implicit-def: $vgpr32
                                        ; implicit-def: $vgpr24
	s_andn2_saveexec_b64 s[0:1], s[38:39]
	s_cbranch_execz .LBB359_228
	s_branch .LBB359_9
	.section	.rodata,"a",@progbits
	.p2align	6, 0x0
	.amdhsa_kernel _ZN2at6native32elementwise_kernel_manual_unrollILi128ELi8EZNS0_22gpu_kernel_impl_nocastIZZZNS0_21clamp_min_kernel_cudaERNS_18TensorIteratorBaseERKN3c106ScalarEENKUlvE_clEvENKUlvE0_clEvEUlaE_EEvS4_RKT_EUlibE_EEviT1_
		.amdhsa_group_segment_fixed_size 0
		.amdhsa_private_segment_fixed_size 0
		.amdhsa_kernarg_size 360
		.amdhsa_user_sgpr_count 2
		.amdhsa_user_sgpr_dispatch_ptr 0
		.amdhsa_user_sgpr_queue_ptr 0
		.amdhsa_user_sgpr_kernarg_segment_ptr 1
		.amdhsa_user_sgpr_dispatch_id 0
		.amdhsa_user_sgpr_kernarg_preload_length 0
		.amdhsa_user_sgpr_kernarg_preload_offset 0
		.amdhsa_user_sgpr_private_segment_size 0
		.amdhsa_uses_dynamic_stack 0
		.amdhsa_enable_private_segment 0
		.amdhsa_system_sgpr_workgroup_id_x 1
		.amdhsa_system_sgpr_workgroup_id_y 0
		.amdhsa_system_sgpr_workgroup_id_z 0
		.amdhsa_system_sgpr_workgroup_info 0
		.amdhsa_system_vgpr_workitem_id 0
		.amdhsa_next_free_vgpr 33
		.amdhsa_next_free_sgpr 61
		.amdhsa_accum_offset 36
		.amdhsa_reserve_vcc 1
		.amdhsa_float_round_mode_32 0
		.amdhsa_float_round_mode_16_64 0
		.amdhsa_float_denorm_mode_32 3
		.amdhsa_float_denorm_mode_16_64 3
		.amdhsa_dx10_clamp 1
		.amdhsa_ieee_mode 1
		.amdhsa_fp16_overflow 0
		.amdhsa_tg_split 0
		.amdhsa_exception_fp_ieee_invalid_op 0
		.amdhsa_exception_fp_denorm_src 0
		.amdhsa_exception_fp_ieee_div_zero 0
		.amdhsa_exception_fp_ieee_overflow 0
		.amdhsa_exception_fp_ieee_underflow 0
		.amdhsa_exception_fp_ieee_inexact 0
		.amdhsa_exception_int_div_zero 0
	.end_amdhsa_kernel
	.section	.text._ZN2at6native32elementwise_kernel_manual_unrollILi128ELi8EZNS0_22gpu_kernel_impl_nocastIZZZNS0_21clamp_min_kernel_cudaERNS_18TensorIteratorBaseERKN3c106ScalarEENKUlvE_clEvENKUlvE0_clEvEUlaE_EEvS4_RKT_EUlibE_EEviT1_,"axG",@progbits,_ZN2at6native32elementwise_kernel_manual_unrollILi128ELi8EZNS0_22gpu_kernel_impl_nocastIZZZNS0_21clamp_min_kernel_cudaERNS_18TensorIteratorBaseERKN3c106ScalarEENKUlvE_clEvENKUlvE0_clEvEUlaE_EEvS4_RKT_EUlibE_EEviT1_,comdat
.Lfunc_end359:
	.size	_ZN2at6native32elementwise_kernel_manual_unrollILi128ELi8EZNS0_22gpu_kernel_impl_nocastIZZZNS0_21clamp_min_kernel_cudaERNS_18TensorIteratorBaseERKN3c106ScalarEENKUlvE_clEvENKUlvE0_clEvEUlaE_EEvS4_RKT_EUlibE_EEviT1_, .Lfunc_end359-_ZN2at6native32elementwise_kernel_manual_unrollILi128ELi8EZNS0_22gpu_kernel_impl_nocastIZZZNS0_21clamp_min_kernel_cudaERNS_18TensorIteratorBaseERKN3c106ScalarEENKUlvE_clEvENKUlvE0_clEvEUlaE_EEvS4_RKT_EUlibE_EEviT1_
                                        ; -- End function
	.set _ZN2at6native32elementwise_kernel_manual_unrollILi128ELi8EZNS0_22gpu_kernel_impl_nocastIZZZNS0_21clamp_min_kernel_cudaERNS_18TensorIteratorBaseERKN3c106ScalarEENKUlvE_clEvENKUlvE0_clEvEUlaE_EEvS4_RKT_EUlibE_EEviT1_.num_vgpr, 33
	.set _ZN2at6native32elementwise_kernel_manual_unrollILi128ELi8EZNS0_22gpu_kernel_impl_nocastIZZZNS0_21clamp_min_kernel_cudaERNS_18TensorIteratorBaseERKN3c106ScalarEENKUlvE_clEvENKUlvE0_clEvEUlaE_EEvS4_RKT_EUlibE_EEviT1_.num_agpr, 0
	.set _ZN2at6native32elementwise_kernel_manual_unrollILi128ELi8EZNS0_22gpu_kernel_impl_nocastIZZZNS0_21clamp_min_kernel_cudaERNS_18TensorIteratorBaseERKN3c106ScalarEENKUlvE_clEvENKUlvE0_clEvEUlaE_EEvS4_RKT_EUlibE_EEviT1_.numbered_sgpr, 61
	.set _ZN2at6native32elementwise_kernel_manual_unrollILi128ELi8EZNS0_22gpu_kernel_impl_nocastIZZZNS0_21clamp_min_kernel_cudaERNS_18TensorIteratorBaseERKN3c106ScalarEENKUlvE_clEvENKUlvE0_clEvEUlaE_EEvS4_RKT_EUlibE_EEviT1_.num_named_barrier, 0
	.set _ZN2at6native32elementwise_kernel_manual_unrollILi128ELi8EZNS0_22gpu_kernel_impl_nocastIZZZNS0_21clamp_min_kernel_cudaERNS_18TensorIteratorBaseERKN3c106ScalarEENKUlvE_clEvENKUlvE0_clEvEUlaE_EEvS4_RKT_EUlibE_EEviT1_.private_seg_size, 0
	.set _ZN2at6native32elementwise_kernel_manual_unrollILi128ELi8EZNS0_22gpu_kernel_impl_nocastIZZZNS0_21clamp_min_kernel_cudaERNS_18TensorIteratorBaseERKN3c106ScalarEENKUlvE_clEvENKUlvE0_clEvEUlaE_EEvS4_RKT_EUlibE_EEviT1_.uses_vcc, 1
	.set _ZN2at6native32elementwise_kernel_manual_unrollILi128ELi8EZNS0_22gpu_kernel_impl_nocastIZZZNS0_21clamp_min_kernel_cudaERNS_18TensorIteratorBaseERKN3c106ScalarEENKUlvE_clEvENKUlvE0_clEvEUlaE_EEvS4_RKT_EUlibE_EEviT1_.uses_flat_scratch, 0
	.set _ZN2at6native32elementwise_kernel_manual_unrollILi128ELi8EZNS0_22gpu_kernel_impl_nocastIZZZNS0_21clamp_min_kernel_cudaERNS_18TensorIteratorBaseERKN3c106ScalarEENKUlvE_clEvENKUlvE0_clEvEUlaE_EEvS4_RKT_EUlibE_EEviT1_.has_dyn_sized_stack, 0
	.set _ZN2at6native32elementwise_kernel_manual_unrollILi128ELi8EZNS0_22gpu_kernel_impl_nocastIZZZNS0_21clamp_min_kernel_cudaERNS_18TensorIteratorBaseERKN3c106ScalarEENKUlvE_clEvENKUlvE0_clEvEUlaE_EEvS4_RKT_EUlibE_EEviT1_.has_recursion, 0
	.set _ZN2at6native32elementwise_kernel_manual_unrollILi128ELi8EZNS0_22gpu_kernel_impl_nocastIZZZNS0_21clamp_min_kernel_cudaERNS_18TensorIteratorBaseERKN3c106ScalarEENKUlvE_clEvENKUlvE0_clEvEUlaE_EEvS4_RKT_EUlibE_EEviT1_.has_indirect_call, 0
	.section	.AMDGPU.csdata,"",@progbits
; Kernel info:
; codeLenInByte = 11540
; TotalNumSgprs: 67
; NumVgprs: 33
; NumAgprs: 0
; TotalNumVgprs: 33
; ScratchSize: 0
; MemoryBound: 0
; FloatMode: 240
; IeeeMode: 1
; LDSByteSize: 0 bytes/workgroup (compile time only)
; SGPRBlocks: 8
; VGPRBlocks: 4
; NumSGPRsForWavesPerEU: 67
; NumVGPRsForWavesPerEU: 33
; AccumOffset: 36
; Occupancy: 8
; WaveLimiterHint : 1
; COMPUTE_PGM_RSRC2:SCRATCH_EN: 0
; COMPUTE_PGM_RSRC2:USER_SGPR: 2
; COMPUTE_PGM_RSRC2:TRAP_HANDLER: 0
; COMPUTE_PGM_RSRC2:TGID_X_EN: 1
; COMPUTE_PGM_RSRC2:TGID_Y_EN: 0
; COMPUTE_PGM_RSRC2:TGID_Z_EN: 0
; COMPUTE_PGM_RSRC2:TIDIG_COMP_CNT: 0
; COMPUTE_PGM_RSRC3_GFX90A:ACCUM_OFFSET: 8
; COMPUTE_PGM_RSRC3_GFX90A:TG_SPLIT: 0
	.section	.text._ZN2at6native32elementwise_kernel_manual_unrollILi128ELi4EZNS0_15gpu_kernel_implIZZZNS0_21clamp_min_kernel_cudaERNS_18TensorIteratorBaseERKN3c106ScalarEENKUlvE_clEvENKUlvE0_clEvEUlaE_EEvS4_RKT_EUlibE_EEviT1_,"axG",@progbits,_ZN2at6native32elementwise_kernel_manual_unrollILi128ELi4EZNS0_15gpu_kernel_implIZZZNS0_21clamp_min_kernel_cudaERNS_18TensorIteratorBaseERKN3c106ScalarEENKUlvE_clEvENKUlvE0_clEvEUlaE_EEvS4_RKT_EUlibE_EEviT1_,comdat
	.globl	_ZN2at6native32elementwise_kernel_manual_unrollILi128ELi4EZNS0_15gpu_kernel_implIZZZNS0_21clamp_min_kernel_cudaERNS_18TensorIteratorBaseERKN3c106ScalarEENKUlvE_clEvENKUlvE0_clEvEUlaE_EEvS4_RKT_EUlibE_EEviT1_ ; -- Begin function _ZN2at6native32elementwise_kernel_manual_unrollILi128ELi4EZNS0_15gpu_kernel_implIZZZNS0_21clamp_min_kernel_cudaERNS_18TensorIteratorBaseERKN3c106ScalarEENKUlvE_clEvENKUlvE0_clEvEUlaE_EEvS4_RKT_EUlibE_EEviT1_
	.p2align	8
	.type	_ZN2at6native32elementwise_kernel_manual_unrollILi128ELi4EZNS0_15gpu_kernel_implIZZZNS0_21clamp_min_kernel_cudaERNS_18TensorIteratorBaseERKN3c106ScalarEENKUlvE_clEvENKUlvE0_clEvEUlaE_EEvS4_RKT_EUlibE_EEviT1_,@function
_ZN2at6native32elementwise_kernel_manual_unrollILi128ELi4EZNS0_15gpu_kernel_implIZZZNS0_21clamp_min_kernel_cudaERNS_18TensorIteratorBaseERKN3c106ScalarEENKUlvE_clEvENKUlvE0_clEvEUlaE_EEvS4_RKT_EUlibE_EEviT1_: ; @_ZN2at6native32elementwise_kernel_manual_unrollILi128ELi4EZNS0_15gpu_kernel_implIZZZNS0_21clamp_min_kernel_cudaERNS_18TensorIteratorBaseERKN3c106ScalarEENKUlvE_clEvENKUlvE0_clEvEUlaE_EEvS4_RKT_EUlibE_EEviT1_
; %bb.0:
	s_load_dword s33, s[0:1], 0x20
	s_load_dwordx2 s[8:9], s[0:1], 0x18
	s_load_dword s38, s[0:1], 0x0
	s_load_dwordx4 s[4:7], s[0:1], 0x8
	v_lshl_or_b32 v10, s2, 9, v0
	v_or_b32_e32 v0, 0x180, v10
	s_waitcnt lgkmcnt(0)
	s_lshr_b32 s42, s33, 8
	s_lshr_b32 s43, s33, 16
	v_cmp_le_i32_e32 vcc, s38, v0
	s_mov_b64 s[2:3], 0
	s_mov_b64 s[12:13], 0
	s_and_saveexec_b64 s[0:1], vcc
	s_xor_b64 s[10:11], exec, s[0:1]
	s_cbranch_execz .LBB360_1011
; %bb.1:
	v_cmp_gt_i32_e32 vcc, s38, v10
	s_mov_b64 s[18:19], -1
	s_mov_b64 s[20:21], 0
	s_mov_b64 s[14:15], 0
	s_and_saveexec_b64 s[16:17], vcc
	s_cbranch_execz .LBB360_248
; %bb.2:
	v_mul_lo_u32 v0, v10, s9
	v_ashrrev_i32_e32 v1, 31, v0
	s_and_b32 s18, s43, 0xff
	s_cmp_lt_i32 s18, 11
	v_lshl_add_u64 v[0:1], s[6:7], 0, v[0:1]
	s_cbranch_scc1 .LBB360_9
; %bb.3:
	s_and_b32 s19, 0xffff, s18
	s_cmp_gt_i32 s19, 25
	s_cbranch_scc0 .LBB360_18
; %bb.4:
	s_cmp_gt_i32 s19, 28
	s_cbranch_scc0 .LBB360_22
; %bb.5:
	;; [unrolled: 3-line block ×4, first 2 shown]
	s_cmp_eq_u32 s19, 46
	s_cbranch_scc0 .LBB360_28
; %bb.8:
	global_load_dword v2, v[0:1], off
	s_mov_b64 s[0:1], -1
	s_waitcnt vmcnt(0)
	v_lshlrev_b32_e32 v2, 16, v2
	v_cvt_i32_f32_e32 v2, v2
	s_branch .LBB360_30
.LBB360_9:
                                        ; implicit-def: $vgpr2
	s_mov_b64 s[0:1], 0
	s_cbranch_execnz .LBB360_199
.LBB360_10:
	s_andn2_b64 vcc, exec, s[0:1]
	s_cbranch_vccnz .LBB360_246
.LBB360_11:
	v_mul_lo_u32 v0, v10, s8
	s_bfe_i32 s0, s33, 0x80000
	v_ashrrev_i32_e32 v1, 31, v0
	s_and_b32 s24, s42, 0xff
	s_waitcnt vmcnt(0)
	v_max_i16_sdwa v4, sext(v2), s0 dst_sel:DWORD dst_unused:UNUSED_PAD src0_sel:BYTE_0 src1_sel:DWORD
	s_cmp_lt_i32 s24, 11
	v_lshl_add_u64 v[0:1], s[4:5], 0, v[0:1]
	s_cbranch_scc1 .LBB360_19
; %bb.12:
	s_and_b32 s25, 0xffff, s24
	s_cmp_gt_i32 s25, 25
	s_cbranch_scc0 .LBB360_23
; %bb.13:
	s_cmp_gt_i32 s25, 28
	s_cbranch_scc0 .LBB360_25
; %bb.14:
	;; [unrolled: 3-line block ×4, first 2 shown]
	s_mov_b64 s[18:19], 0
	s_mov_b64 s[0:1], -1
	s_cmp_eq_u32 s25, 46
	s_mov_b64 s[12:13], 0
	s_cbranch_scc0 .LBB360_34
; %bb.17:
	v_cvt_f32_i32_sdwa v2, sext(v4) dst_sel:DWORD dst_unused:UNUSED_PAD src0_sel:WORD_0
	s_movk_i32 s0, 0x7fff
	s_mov_b64 s[12:13], -1
	v_bfe_u32 v3, v2, 16, 1
	v_add3_u32 v2, v2, v3, s0
	v_lshrrev_b32_e32 v2, 16, v2
	global_store_dword v[0:1], v2, off
	s_mov_b64 s[0:1], 0
	s_branch .LBB360_34
.LBB360_18:
	s_mov_b64 s[0:1], 0
                                        ; implicit-def: $vgpr2
	s_cbranch_execnz .LBB360_166
	s_branch .LBB360_198
.LBB360_19:
	s_mov_b64 s[0:1], 0
	s_mov_b64 s[12:13], 0
	s_cbranch_execnz .LBB360_103
.LBB360_20:
	s_andn2_b64 vcc, exec, s[12:13]
	s_cbranch_vccnz .LBB360_141
.LBB360_21:
	v_add_u32_e32 v10, 0x80, v10
	s_mov_b64 s[18:19], -1
	s_branch .LBB360_247
.LBB360_22:
	s_mov_b64 s[12:13], -1
	s_mov_b64 s[0:1], 0
                                        ; implicit-def: $vgpr2
	s_branch .LBB360_149
.LBB360_23:
	s_mov_b64 s[18:19], -1
	s_mov_b64 s[0:1], 0
	s_mov_b64 s[12:13], 0
	s_branch .LBB360_61
.LBB360_24:
	s_mov_b64 s[12:13], -1
	s_mov_b64 s[0:1], 0
                                        ; implicit-def: $vgpr2
	s_branch .LBB360_144
.LBB360_25:
	s_mov_b64 s[18:19], -1
	s_mov_b64 s[0:1], 0
	s_mov_b64 s[12:13], 0
	s_branch .LBB360_44
.LBB360_26:
	s_mov_b64 s[12:13], -1
	s_branch .LBB360_29
.LBB360_27:
	s_mov_b64 s[18:19], -1
	s_mov_b64 s[0:1], 0
	s_mov_b64 s[12:13], 0
	s_branch .LBB360_40
.LBB360_28:
	s_mov_b64 s[14:15], -1
.LBB360_29:
	s_mov_b64 s[0:1], 0
                                        ; implicit-def: $vgpr2
.LBB360_30:
	s_and_b64 vcc, exec, s[12:13]
	s_cbranch_vccz .LBB360_143
; %bb.31:
	s_cmp_eq_u32 s19, 44
	s_cbranch_scc0 .LBB360_142
; %bb.32:
	global_load_ubyte v2, v[0:1], off
	s_mov_b64 s[0:1], -1
	s_mov_b64 s[14:15], 0
	s_waitcnt vmcnt(0)
	v_lshlrev_b32_e32 v3, 23, v2
	v_cvt_i32_f32_e32 v3, v3
	v_cmp_ne_u32_e32 vcc, 0, v2
	s_nop 1
	v_cndmask_b32_e32 v2, 0, v3, vcc
	s_branch .LBB360_143
.LBB360_33:
	s_mov_b64 s[18:19], -1
	s_mov_b64 s[0:1], 0
	s_mov_b64 s[12:13], 0
.LBB360_34:
	s_and_b64 vcc, exec, s[18:19]
	s_cbranch_vccz .LBB360_39
; %bb.35:
	s_cmp_eq_u32 s25, 44
	s_mov_b64 s[0:1], -1
	s_cbranch_scc0 .LBB360_39
; %bb.36:
	v_cvt_f32_i32_sdwa v2, sext(v4) dst_sel:DWORD dst_unused:UNUSED_PAD src0_sel:WORD_0
	s_movk_i32 s0, 0xff
	v_mov_b32_e32 v5, 0xff
	v_bfe_u32 v3, v2, 23, 8
	v_cmp_ne_u32_e32 vcc, s0, v3
	s_and_saveexec_b64 s[12:13], vcc
; %bb.37:
	s_mov_b32 s0, 0x3fffff
	v_lshrrev_b32_e32 v5, 23, v2
	v_and_b32_e32 v6, 0x400000, v2
	v_and_or_b32 v2, v2, s0, v3
	v_cmp_ne_u32_e32 vcc, 0, v6
	v_cmp_ne_u32_e64 s[0:1], 0, v2
	s_and_b64 s[0:1], vcc, s[0:1]
	s_nop 0
	v_cndmask_b32_e64 v2, 0, 1, s[0:1]
	v_add_u32_e32 v5, v5, v2
; %bb.38:
	s_or_b64 exec, exec, s[12:13]
	s_mov_b64 s[12:13], -1
	s_mov_b64 s[0:1], 0
	global_store_byte v[0:1], v5, off
.LBB360_39:
	s_mov_b64 s[18:19], 0
.LBB360_40:
	s_and_b64 vcc, exec, s[18:19]
	s_cbranch_vccz .LBB360_43
; %bb.41:
	s_cmp_eq_u32 s25, 29
	s_mov_b64 s[0:1], -1
	s_cbranch_scc0 .LBB360_43
; %bb.42:
	v_bfe_i32 v2, v4, 0, 16
	v_ashrrev_i32_e32 v3, 31, v2
	global_store_dwordx2 v[0:1], v[2:3], off
	s_mov_b64 s[12:13], -1
	s_mov_b64 s[0:1], 0
.LBB360_43:
	s_mov_b64 s[18:19], 0
.LBB360_44:
	s_and_b64 vcc, exec, s[18:19]
	s_cbranch_vccz .LBB360_60
; %bb.45:
	s_cmp_lt_i32 s25, 27
	s_mov_b64 s[12:13], -1
	s_cbranch_scc1 .LBB360_51
; %bb.46:
	s_cmp_gt_i32 s25, 27
	s_cbranch_scc0 .LBB360_48
; %bb.47:
	v_bfe_i32 v2, v4, 0, 16
	s_mov_b64 s[12:13], 0
	global_store_dword v[0:1], v2, off
.LBB360_48:
	s_andn2_b64 vcc, exec, s[12:13]
	s_cbranch_vccnz .LBB360_50
; %bb.49:
	global_store_short v[0:1], v4, off
.LBB360_50:
	s_mov_b64 s[12:13], 0
.LBB360_51:
	s_andn2_b64 vcc, exec, s[12:13]
	s_cbranch_vccnz .LBB360_59
; %bb.52:
	v_cvt_f32_i32_sdwa v2, sext(v4) dst_sel:DWORD dst_unused:UNUSED_PAD src0_sel:WORD_0
	s_mov_b32 s12, 0x43800000
	v_mov_b32_e32 v5, 0x80
	v_and_b32_e32 v3, 0x7fffffff, v2
	v_cmp_gt_u32_e32 vcc, s12, v3
	s_and_saveexec_b64 s[12:13], vcc
	s_cbranch_execz .LBB360_58
; %bb.53:
	s_mov_b32 s18, 0x3bffffff
	v_cmp_lt_u32_e32 vcc, s18, v3
	s_mov_b64 s[18:19], 0
                                        ; implicit-def: $vgpr3
	s_and_saveexec_b64 s[22:23], vcc
	s_xor_b64 s[22:23], exec, s[22:23]
	s_cbranch_execz .LBB360_275
; %bb.54:
	v_bfe_u32 v3, v2, 20, 1
	s_mov_b32 s26, 0x487ffff
	v_add3_u32 v3, v2, v3, s26
	s_mov_b64 s[18:19], exec
	v_lshrrev_b32_e32 v3, 20, v3
	s_andn2_saveexec_b64 s[22:23], s[22:23]
	s_cbranch_execnz .LBB360_276
.LBB360_55:
	s_or_b64 exec, exec, s[22:23]
	v_mov_b32_e32 v5, 0
	s_and_saveexec_b64 s[22:23], s[18:19]
.LBB360_56:
	v_lshrrev_b32_e32 v2, 24, v2
	s_movk_i32 s18, 0x80
	v_and_or_b32 v5, v2, s18, v3
.LBB360_57:
	s_or_b64 exec, exec, s[22:23]
.LBB360_58:
	s_or_b64 exec, exec, s[12:13]
	global_store_byte v[0:1], v5, off
.LBB360_59:
	s_mov_b64 s[12:13], -1
.LBB360_60:
	s_mov_b64 s[18:19], 0
.LBB360_61:
	s_and_b64 vcc, exec, s[18:19]
	s_cbranch_vccz .LBB360_102
; %bb.62:
	s_cmp_gt_i32 s25, 22
	s_mov_b64 s[18:19], -1
	s_cbranch_scc0 .LBB360_94
; %bb.63:
	s_cmp_lt_i32 s25, 24
	s_mov_b64 s[12:13], -1
	s_cbranch_scc1 .LBB360_83
; %bb.64:
	s_cmp_gt_i32 s25, 24
	s_cbranch_scc0 .LBB360_72
; %bb.65:
	v_cvt_f32_i32_sdwa v2, sext(v4) dst_sel:DWORD dst_unused:UNUSED_PAD src0_sel:WORD_0
	s_mov_b32 s12, 0x47800000
	v_mov_b32_e32 v5, 0x80
	v_and_b32_e32 v3, 0x7fffffff, v2
	v_cmp_gt_u32_e32 vcc, s12, v3
	s_and_saveexec_b64 s[12:13], vcc
	s_cbranch_execz .LBB360_71
; %bb.66:
	s_mov_b32 s18, 0x37ffffff
	v_cmp_lt_u32_e32 vcc, s18, v3
	s_mov_b64 s[18:19], 0
                                        ; implicit-def: $vgpr3
	s_and_saveexec_b64 s[22:23], vcc
	s_xor_b64 s[22:23], exec, s[22:23]
	s_cbranch_execz .LBB360_279
; %bb.67:
	v_bfe_u32 v3, v2, 21, 1
	s_mov_b32 s26, 0x88fffff
	v_add3_u32 v3, v2, v3, s26
	s_mov_b64 s[18:19], exec
	v_lshrrev_b32_e32 v3, 21, v3
	s_andn2_saveexec_b64 s[22:23], s[22:23]
	s_cbranch_execnz .LBB360_280
.LBB360_68:
	s_or_b64 exec, exec, s[22:23]
	v_mov_b32_e32 v5, 0
	s_and_saveexec_b64 s[22:23], s[18:19]
.LBB360_69:
	v_lshrrev_b32_e32 v2, 24, v2
	s_movk_i32 s18, 0x80
	v_and_or_b32 v5, v2, s18, v3
.LBB360_70:
	s_or_b64 exec, exec, s[22:23]
.LBB360_71:
	s_or_b64 exec, exec, s[12:13]
	s_mov_b64 s[12:13], 0
	global_store_byte v[0:1], v5, off
.LBB360_72:
	s_and_b64 vcc, exec, s[12:13]
	s_cbranch_vccz .LBB360_82
; %bb.73:
	v_cvt_f32_i32_sdwa v2, sext(v4) dst_sel:DWORD dst_unused:UNUSED_PAD src0_sel:WORD_0
	s_mov_b32 s12, 0x43f00000
                                        ; implicit-def: $vgpr3
	v_and_b32_e32 v5, 0x7fffffff, v2
	v_cmp_gt_u32_e32 vcc, s12, v5
	s_and_saveexec_b64 s[12:13], vcc
	s_xor_b64 s[12:13], exec, s[12:13]
	s_cbranch_execz .LBB360_79
; %bb.74:
	s_mov_b32 s18, 0x3c7fffff
	v_cmp_lt_u32_e32 vcc, s18, v5
                                        ; implicit-def: $vgpr3
	s_and_saveexec_b64 s[18:19], vcc
	s_xor_b64 s[18:19], exec, s[18:19]
; %bb.75:
	v_bfe_u32 v3, v2, 20, 1
	s_mov_b32 s22, 0x407ffff
	v_add3_u32 v3, v2, v3, s22
	v_lshrrev_b32_e32 v5, 20, v3
	v_and_b32_e32 v3, 0xff00000, v3
	s_mov_b32 s22, 0x7f00000
	v_mov_b32_e32 v6, 0x7e
	v_cmp_ne_u32_e32 vcc, s22, v3
	s_nop 1
	v_cndmask_b32_e32 v3, v6, v5, vcc
; %bb.76:
	s_andn2_saveexec_b64 s[18:19], s[18:19]
; %bb.77:
	s_mov_b32 s22, 0x46800000
	v_add_f32_e64 v3, |v2|, s22
; %bb.78:
	s_or_b64 exec, exec, s[18:19]
                                        ; implicit-def: $vgpr5
.LBB360_79:
	s_andn2_saveexec_b64 s[12:13], s[12:13]
; %bb.80:
	s_mov_b32 s18, 0x7f800000
	v_mov_b32_e32 v3, 0x7e
	v_mov_b32_e32 v6, 0x7f
	v_cmp_lt_u32_e32 vcc, s18, v5
	s_nop 1
	v_cndmask_b32_e32 v3, v3, v6, vcc
; %bb.81:
	s_or_b64 exec, exec, s[12:13]
	v_lshrrev_b32_e32 v2, 24, v2
	s_movk_i32 s12, 0x80
	v_and_or_b32 v2, v2, s12, v3
	global_store_byte v[0:1], v2, off
.LBB360_82:
	s_mov_b64 s[12:13], 0
.LBB360_83:
	s_andn2_b64 vcc, exec, s[12:13]
	s_cbranch_vccnz .LBB360_93
; %bb.84:
	v_cvt_f32_i32_sdwa v2, sext(v4) dst_sel:DWORD dst_unused:UNUSED_PAD src0_sel:WORD_0
	s_mov_b32 s12, 0x47800000
                                        ; implicit-def: $vgpr3
	v_and_b32_e32 v5, 0x7fffffff, v2
	v_cmp_gt_u32_e32 vcc, s12, v5
	s_and_saveexec_b64 s[12:13], vcc
	s_xor_b64 s[12:13], exec, s[12:13]
	s_cbranch_execz .LBB360_90
; %bb.85:
	s_mov_b32 s18, 0x387fffff
	v_cmp_lt_u32_e32 vcc, s18, v5
                                        ; implicit-def: $vgpr3
	s_and_saveexec_b64 s[18:19], vcc
	s_xor_b64 s[18:19], exec, s[18:19]
; %bb.86:
	v_bfe_u32 v3, v2, 21, 1
	s_mov_b32 s22, 0x80fffff
	v_add3_u32 v3, v2, v3, s22
	v_lshrrev_b32_e32 v3, 21, v3
; %bb.87:
	s_andn2_saveexec_b64 s[18:19], s[18:19]
; %bb.88:
	s_mov_b32 s22, 0x43000000
	v_add_f32_e64 v3, |v2|, s22
; %bb.89:
	s_or_b64 exec, exec, s[18:19]
                                        ; implicit-def: $vgpr5
.LBB360_90:
	s_andn2_saveexec_b64 s[12:13], s[12:13]
; %bb.91:
	s_mov_b32 s18, 0x7f800000
	v_mov_b32_e32 v3, 0x7c
	v_mov_b32_e32 v6, 0x7f
	v_cmp_lt_u32_e32 vcc, s18, v5
	s_nop 1
	v_cndmask_b32_e32 v3, v3, v6, vcc
; %bb.92:
	s_or_b64 exec, exec, s[12:13]
	v_lshrrev_b32_e32 v2, 24, v2
	s_movk_i32 s12, 0x80
	v_and_or_b32 v2, v2, s12, v3
	global_store_byte v[0:1], v2, off
.LBB360_93:
	s_mov_b64 s[18:19], 0
	s_mov_b64 s[12:13], -1
.LBB360_94:
	s_andn2_b64 vcc, exec, s[18:19]
	s_cbranch_vccnz .LBB360_102
; %bb.95:
	s_cmp_gt_i32 s25, 14
	s_mov_b64 s[18:19], -1
	s_cbranch_scc0 .LBB360_99
; %bb.96:
	s_cmp_eq_u32 s25, 15
	s_mov_b64 s[0:1], -1
	s_cbranch_scc0 .LBB360_98
; %bb.97:
	v_cvt_f32_i32_sdwa v2, sext(v4) dst_sel:DWORD dst_unused:UNUSED_PAD src0_sel:WORD_0
	s_movk_i32 s0, 0x7fff
	s_mov_b64 s[12:13], -1
	v_bfe_u32 v3, v2, 16, 1
	v_add3_u32 v2, v2, v3, s0
	global_store_short_d16_hi v[0:1], v2, off
	s_mov_b64 s[0:1], 0
.LBB360_98:
	s_mov_b64 s[18:19], 0
.LBB360_99:
	s_and_b64 vcc, exec, s[18:19]
	s_cbranch_vccz .LBB360_102
; %bb.100:
	s_cmp_eq_u32 s25, 11
	s_mov_b64 s[0:1], -1
	s_cbranch_scc0 .LBB360_102
; %bb.101:
	v_cmp_ne_u16_e32 vcc, 0, v4
	s_mov_b64 s[12:13], -1
	s_mov_b64 s[0:1], 0
	v_cndmask_b32_e64 v2, 0, 1, vcc
	global_store_byte v[0:1], v2, off
.LBB360_102:
	s_branch .LBB360_20
.LBB360_103:
	s_and_b32 s18, 0xffff, s24
	s_cmp_lt_i32 s18, 5
	s_mov_b64 s[12:13], -1
	s_cbranch_scc1 .LBB360_124
; %bb.104:
	s_cmp_lt_i32 s18, 8
	s_cbranch_scc1 .LBB360_114
; %bb.105:
	s_cmp_lt_i32 s18, 9
	s_cbranch_scc1 .LBB360_111
; %bb.106:
	s_cmp_gt_i32 s18, 9
	s_cbranch_scc0 .LBB360_108
; %bb.107:
	v_bfe_i32 v2, v4, 0, 16
	v_mov_b32_e32 v8, 0
	v_cvt_f64_i32_e32 v[6:7], v2
	v_mov_b32_e32 v9, v8
	global_store_dwordx4 v[0:1], v[6:9], off
	s_mov_b64 s[12:13], 0
.LBB360_108:
	s_andn2_b64 vcc, exec, s[12:13]
	s_cbranch_vccnz .LBB360_110
; %bb.109:
	v_cvt_f32_i32_sdwa v2, sext(v4) dst_sel:DWORD dst_unused:UNUSED_PAD src0_sel:WORD_0
	v_mov_b32_e32 v3, 0
	global_store_dwordx2 v[0:1], v[2:3], off
.LBB360_110:
	s_mov_b64 s[12:13], 0
.LBB360_111:
	s_andn2_b64 vcc, exec, s[12:13]
	s_cbranch_vccnz .LBB360_113
; %bb.112:
	v_cvt_f16_i16_e32 v2, v4
	global_store_dword v[0:1], v2, off
.LBB360_113:
	s_mov_b64 s[12:13], 0
.LBB360_114:
	s_andn2_b64 vcc, exec, s[12:13]
	s_cbranch_vccnz .LBB360_123
; %bb.115:
	s_cmp_lt_i32 s18, 6
	s_mov_b64 s[12:13], -1
	s_cbranch_scc1 .LBB360_121
; %bb.116:
	s_cmp_gt_i32 s18, 6
	s_cbranch_scc0 .LBB360_118
; %bb.117:
	v_bfe_i32 v2, v4, 0, 16
	v_cvt_f64_i32_e32 v[2:3], v2
	global_store_dwordx2 v[0:1], v[2:3], off
	s_mov_b64 s[12:13], 0
.LBB360_118:
	s_andn2_b64 vcc, exec, s[12:13]
	s_cbranch_vccnz .LBB360_120
; %bb.119:
	v_cvt_f32_i32_sdwa v2, sext(v4) dst_sel:DWORD dst_unused:UNUSED_PAD src0_sel:WORD_0
	global_store_dword v[0:1], v2, off
.LBB360_120:
	s_mov_b64 s[12:13], 0
.LBB360_121:
	s_andn2_b64 vcc, exec, s[12:13]
	s_cbranch_vccnz .LBB360_123
; %bb.122:
	v_cvt_f16_i16_e32 v2, v4
	global_store_short v[0:1], v2, off
.LBB360_123:
	s_mov_b64 s[12:13], 0
.LBB360_124:
	s_andn2_b64 vcc, exec, s[12:13]
	s_cbranch_vccnz .LBB360_140
; %bb.125:
	s_cmp_lt_i32 s18, 2
	s_mov_b64 s[12:13], -1
	s_cbranch_scc1 .LBB360_135
; %bb.126:
	s_cmp_lt_i32 s18, 3
	s_cbranch_scc1 .LBB360_132
; %bb.127:
	s_cmp_gt_i32 s18, 3
	v_bfe_i32 v2, v4, 0, 16
	s_cbranch_scc0 .LBB360_129
; %bb.128:
	v_ashrrev_i32_e32 v3, 31, v2
	global_store_dwordx2 v[0:1], v[2:3], off
	s_mov_b64 s[12:13], 0
.LBB360_129:
	s_andn2_b64 vcc, exec, s[12:13]
	s_cbranch_vccnz .LBB360_131
; %bb.130:
	global_store_dword v[0:1], v2, off
.LBB360_131:
	s_mov_b64 s[12:13], 0
.LBB360_132:
	s_andn2_b64 vcc, exec, s[12:13]
	s_cbranch_vccnz .LBB360_134
; %bb.133:
	global_store_short v[0:1], v4, off
.LBB360_134:
	s_mov_b64 s[12:13], 0
.LBB360_135:
	s_andn2_b64 vcc, exec, s[12:13]
	s_cbranch_vccnz .LBB360_140
; %bb.136:
	s_cmp_gt_i32 s18, 0
	s_mov_b64 s[12:13], -1
	s_cbranch_scc0 .LBB360_138
; %bb.137:
	global_store_byte v[0:1], v4, off
	s_mov_b64 s[12:13], 0
.LBB360_138:
	s_andn2_b64 vcc, exec, s[12:13]
	s_cbranch_vccnz .LBB360_140
; %bb.139:
	global_store_byte v[0:1], v4, off
.LBB360_140:
	s_branch .LBB360_21
.LBB360_141:
	s_mov_b64 s[18:19], 0
                                        ; implicit-def: $vgpr10
	s_branch .LBB360_247
.LBB360_142:
	s_mov_b64 s[14:15], -1
                                        ; implicit-def: $vgpr2
.LBB360_143:
	s_mov_b64 s[12:13], 0
.LBB360_144:
	s_and_b64 vcc, exec, s[12:13]
	s_cbranch_vccz .LBB360_148
; %bb.145:
	s_cmp_eq_u32 s19, 29
	s_cbranch_scc0 .LBB360_147
; %bb.146:
	global_load_dwordx2 v[2:3], v[0:1], off
	s_mov_b64 s[0:1], -1
	s_mov_b64 s[14:15], 0
	s_branch .LBB360_148
.LBB360_147:
	s_mov_b64 s[14:15], -1
                                        ; implicit-def: $vgpr2
.LBB360_148:
	s_mov_b64 s[12:13], 0
.LBB360_149:
	s_and_b64 vcc, exec, s[12:13]
	s_cbranch_vccz .LBB360_165
; %bb.150:
	s_cmp_lt_i32 s19, 27
	s_cbranch_scc1 .LBB360_153
; %bb.151:
	s_cmp_gt_i32 s19, 27
	s_cbranch_scc0 .LBB360_154
; %bb.152:
	global_load_dword v2, v[0:1], off
	s_mov_b64 s[0:1], 0
	s_branch .LBB360_155
.LBB360_153:
	s_mov_b64 s[0:1], -1
                                        ; implicit-def: $vgpr2
	s_branch .LBB360_158
.LBB360_154:
	s_mov_b64 s[0:1], -1
                                        ; implicit-def: $vgpr2
.LBB360_155:
	s_andn2_b64 vcc, exec, s[0:1]
	s_cbranch_vccnz .LBB360_157
; %bb.156:
	global_load_ushort v2, v[0:1], off
.LBB360_157:
	s_mov_b64 s[0:1], 0
.LBB360_158:
	s_andn2_b64 vcc, exec, s[0:1]
	s_cbranch_vccnz .LBB360_164
; %bb.159:
	global_load_ubyte v3, v[0:1], off
	s_movk_i32 s0, 0x7f
	s_mov_b64 s[12:13], 0
	s_waitcnt vmcnt(0)
	v_cmp_lt_i16_e32 vcc, s0, v3
	s_and_saveexec_b64 s[0:1], vcc
	s_xor_b64 s[0:1], exec, s[0:1]
	s_cbranch_execz .LBB360_175
; %bb.160:
	s_movk_i32 s12, 0x80
	v_cmp_ne_u16_e32 vcc, s12, v3
	s_and_b64 s[12:13], vcc, exec
	s_andn2_saveexec_b64 s[0:1], s[0:1]
	s_cbranch_execnz .LBB360_176
.LBB360_161:
	s_or_b64 exec, exec, s[0:1]
	v_mov_b32_e32 v2, 0
	s_and_saveexec_b64 s[0:1], s[12:13]
	s_cbranch_execz .LBB360_163
.LBB360_162:
	v_lshlrev_b32_e32 v2, 24, v3
	v_and_b32_e32 v3, 0xffff, v3
	v_and_b32_e32 v4, 7, v3
	v_ffbh_u32_e32 v6, v4
	v_min_u32_e32 v6, 32, v6
	v_subrev_u32_e32 v7, 28, v6
	v_bfe_u32 v5, v3, 3, 4
	v_lshlrev_b32_e32 v3, v7, v3
	v_sub_u32_e32 v6, 29, v6
	v_and_b32_e32 v3, 7, v3
	v_cmp_eq_u32_e32 vcc, 0, v5
	v_and_b32_e32 v2, 0x80000000, v2
	s_nop 0
	v_cndmask_b32_e32 v5, v5, v6, vcc
	v_cndmask_b32_e32 v3, v4, v3, vcc
	v_mov_b32_e32 v4, 0x3b800000
	v_lshlrev_b32_e32 v3, 20, v3
	v_lshl_add_u32 v4, v5, 23, v4
	v_or3_b32 v2, v2, v4, v3
	v_cvt_i32_f32_e32 v2, v2
.LBB360_163:
	s_or_b64 exec, exec, s[0:1]
.LBB360_164:
	s_mov_b64 s[0:1], -1
.LBB360_165:
	s_branch .LBB360_198
.LBB360_166:
	s_cmp_gt_i32 s19, 22
	s_cbranch_scc0 .LBB360_174
; %bb.167:
	s_cmp_lt_i32 s19, 24
	s_cbranch_scc1 .LBB360_177
; %bb.168:
	s_cmp_gt_i32 s19, 24
	s_cbranch_scc0 .LBB360_178
; %bb.169:
	global_load_ubyte v3, v[0:1], off
	s_movk_i32 s0, 0x7f
	s_mov_b64 s[12:13], 0
	s_waitcnt vmcnt(0)
	v_cmp_lt_i16_e32 vcc, s0, v3
	s_and_saveexec_b64 s[0:1], vcc
	s_xor_b64 s[0:1], exec, s[0:1]
	s_cbranch_execz .LBB360_190
; %bb.170:
	s_movk_i32 s12, 0x80
	v_cmp_ne_u16_e32 vcc, s12, v3
	s_and_b64 s[12:13], vcc, exec
	s_andn2_saveexec_b64 s[0:1], s[0:1]
	s_cbranch_execnz .LBB360_191
.LBB360_171:
	s_or_b64 exec, exec, s[0:1]
	v_mov_b32_e32 v2, 0
	s_and_saveexec_b64 s[0:1], s[12:13]
	s_cbranch_execz .LBB360_173
.LBB360_172:
	v_lshlrev_b32_e32 v2, 24, v3
	v_and_b32_e32 v3, 0xffff, v3
	v_and_b32_e32 v4, 3, v3
	v_ffbh_u32_e32 v6, v4
	v_min_u32_e32 v6, 32, v6
	v_subrev_u32_e32 v7, 29, v6
	v_bfe_u32 v5, v3, 2, 5
	v_lshlrev_b32_e32 v3, v7, v3
	v_sub_u32_e32 v6, 30, v6
	v_and_b32_e32 v3, 3, v3
	v_cmp_eq_u32_e32 vcc, 0, v5
	v_and_b32_e32 v2, 0x80000000, v2
	s_nop 0
	v_cndmask_b32_e32 v5, v5, v6, vcc
	v_cndmask_b32_e32 v3, v4, v3, vcc
	v_mov_b32_e32 v4, 0x37800000
	v_lshlrev_b32_e32 v3, 21, v3
	v_lshl_add_u32 v4, v5, 23, v4
	v_or3_b32 v2, v2, v4, v3
	v_cvt_i32_f32_e32 v2, v2
.LBB360_173:
	s_or_b64 exec, exec, s[0:1]
	s_mov_b64 s[0:1], 0
	s_branch .LBB360_179
.LBB360_174:
	s_mov_b64 s[12:13], -1
                                        ; implicit-def: $vgpr2
	s_branch .LBB360_185
.LBB360_175:
	s_andn2_saveexec_b64 s[0:1], s[0:1]
	s_cbranch_execz .LBB360_161
.LBB360_176:
	v_cmp_ne_u16_e32 vcc, 0, v3
	s_andn2_b64 s[12:13], s[12:13], exec
	s_and_b64 s[22:23], vcc, exec
	s_or_b64 s[12:13], s[12:13], s[22:23]
	s_or_b64 exec, exec, s[0:1]
	v_mov_b32_e32 v2, 0
	s_and_saveexec_b64 s[0:1], s[12:13]
	s_cbranch_execnz .LBB360_162
	s_branch .LBB360_163
.LBB360_177:
	s_mov_b64 s[0:1], -1
                                        ; implicit-def: $vgpr2
	s_branch .LBB360_182
.LBB360_178:
	s_mov_b64 s[0:1], -1
                                        ; implicit-def: $vgpr2
.LBB360_179:
	s_and_b64 vcc, exec, s[0:1]
	s_cbranch_vccz .LBB360_181
; %bb.180:
	global_load_ubyte v2, v[0:1], off
	s_mov_b32 s0, 0x7f800000
	s_waitcnt vmcnt(0)
	v_lshlrev_b32_e32 v2, 24, v2
	v_and_b32_e32 v3, 0x7f000000, v2
	v_ffbh_u32_e32 v4, v3
	v_min_u32_e32 v4, 32, v4
	v_sub_u32_e64 v4, v4, 4 clamp
	v_lshlrev_b32_e32 v6, v4, v3
	v_lshlrev_b32_e32 v4, 23, v4
	v_lshrrev_b32_e32 v6, 4, v6
	v_add_u32_e32 v5, 0x1000000, v3
	v_sub_u32_e32 v4, v6, v4
	v_ashrrev_i32_e32 v5, 8, v5
	v_add_u32_e32 v4, 0x3c000000, v4
	v_and_or_b32 v4, v5, s0, v4
	v_cmp_ne_u32_e32 vcc, 0, v3
	s_brev_b32 s0, 1
	s_nop 0
	v_cndmask_b32_e32 v3, 0, v4, vcc
	v_and_or_b32 v2, v2, s0, v3
	v_cvt_i32_f32_e32 v2, v2
.LBB360_181:
	s_mov_b64 s[0:1], 0
.LBB360_182:
	s_andn2_b64 vcc, exec, s[0:1]
	s_cbranch_vccnz .LBB360_184
; %bb.183:
	global_load_ubyte v2, v[0:1], off
	s_movk_i32 s0, 0x7f00
	s_brev_b32 s1, 16
	s_waitcnt vmcnt(0)
	v_lshlrev_b16_e32 v3, 8, v2
	v_lshlrev_b32_e32 v2, 25, v2
	v_lshrrev_b32_e32 v4, 4, v2
	v_and_or_b32 v5, v3, s0, 0.5
	v_or_b32_e32 v4, 0x70000000, v4
	v_add_f32_e32 v5, -0.5, v5
	v_mul_f32_e32 v4, 0x7800000, v4
	v_cmp_gt_u32_e32 vcc, s1, v2
	v_bfe_i32 v3, v3, 0, 16
	s_brev_b32 s0, 1
	v_cndmask_b32_e32 v2, v4, v5, vcc
	v_and_or_b32 v2, v3, s0, v2
	v_cvt_i32_f32_e32 v2, v2
.LBB360_184:
	s_mov_b64 s[12:13], 0
	s_mov_b64 s[0:1], -1
.LBB360_185:
	s_andn2_b64 vcc, exec, s[12:13]
	s_cbranch_vccnz .LBB360_198
; %bb.186:
	s_cmp_gt_i32 s19, 14
	s_cbranch_scc0 .LBB360_189
; %bb.187:
	s_cmp_eq_u32 s19, 15
	s_cbranch_scc0 .LBB360_192
; %bb.188:
	global_load_ushort v2, v[0:1], off
	s_mov_b64 s[0:1], -1
	s_mov_b64 s[14:15], 0
	s_waitcnt vmcnt(0)
	v_lshlrev_b32_e32 v2, 16, v2
	v_cvt_i32_f32_e32 v2, v2
	s_branch .LBB360_193
.LBB360_189:
	s_mov_b64 s[12:13], -1
                                        ; implicit-def: $vgpr2
	s_branch .LBB360_194
.LBB360_190:
	s_andn2_saveexec_b64 s[0:1], s[0:1]
	s_cbranch_execz .LBB360_171
.LBB360_191:
	v_cmp_ne_u16_e32 vcc, 0, v3
	s_andn2_b64 s[12:13], s[12:13], exec
	s_and_b64 s[22:23], vcc, exec
	s_or_b64 s[12:13], s[12:13], s[22:23]
	s_or_b64 exec, exec, s[0:1]
	v_mov_b32_e32 v2, 0
	s_and_saveexec_b64 s[0:1], s[12:13]
	s_cbranch_execnz .LBB360_172
	s_branch .LBB360_173
.LBB360_192:
	s_mov_b64 s[14:15], -1
                                        ; implicit-def: $vgpr2
.LBB360_193:
	s_mov_b64 s[12:13], 0
.LBB360_194:
	s_and_b64 vcc, exec, s[12:13]
	s_cbranch_vccz .LBB360_198
; %bb.195:
	s_cmp_eq_u32 s19, 11
	s_cbranch_scc0 .LBB360_197
; %bb.196:
	global_load_ubyte v2, v[0:1], off
	s_mov_b64 s[0:1], -1
	s_mov_b64 s[14:15], 0
	s_waitcnt vmcnt(0)
	v_cmp_ne_u16_e32 vcc, 0, v2
	s_nop 1
	v_cndmask_b32_e64 v2, 0, 1, vcc
	s_branch .LBB360_198
.LBB360_197:
	s_mov_b64 s[14:15], -1
                                        ; implicit-def: $vgpr2
.LBB360_198:
	s_branch .LBB360_10
.LBB360_199:
	s_and_b32 s12, 0xffff, s18
	s_cmp_lt_i32 s12, 5
	s_cbranch_scc1 .LBB360_204
; %bb.200:
	s_cmp_lt_i32 s12, 8
	s_cbranch_scc1 .LBB360_205
; %bb.201:
	;; [unrolled: 3-line block ×3, first 2 shown]
	s_cmp_gt_i32 s12, 9
	s_cbranch_scc0 .LBB360_207
; %bb.203:
	global_load_dwordx2 v[2:3], v[0:1], off
	s_mov_b64 s[0:1], 0
	s_waitcnt vmcnt(0)
	v_cvt_i32_f64_e32 v2, v[2:3]
	s_branch .LBB360_208
.LBB360_204:
                                        ; implicit-def: $vgpr2
	s_branch .LBB360_226
.LBB360_205:
	s_mov_b64 s[0:1], -1
                                        ; implicit-def: $vgpr2
	s_branch .LBB360_214
.LBB360_206:
	s_mov_b64 s[0:1], -1
                                        ; implicit-def: $vgpr2
	s_branch .LBB360_211
.LBB360_207:
	s_mov_b64 s[0:1], -1
                                        ; implicit-def: $vgpr2
.LBB360_208:
	s_andn2_b64 vcc, exec, s[0:1]
	s_cbranch_vccnz .LBB360_210
; %bb.209:
	global_load_dword v2, v[0:1], off
	s_waitcnt vmcnt(0)
	v_cvt_i32_f32_e32 v2, v2
.LBB360_210:
	s_mov_b64 s[0:1], 0
.LBB360_211:
	s_andn2_b64 vcc, exec, s[0:1]
	s_cbranch_vccnz .LBB360_213
; %bb.212:
	global_load_dword v2, v[0:1], off
	s_waitcnt vmcnt(0)
	v_cvt_i16_f16_e32 v2, v2
.LBB360_213:
	s_mov_b64 s[0:1], 0
.LBB360_214:
	s_andn2_b64 vcc, exec, s[0:1]
	s_cbranch_vccnz .LBB360_225
; %bb.215:
	s_cmp_lt_i32 s12, 6
	s_cbranch_scc1 .LBB360_218
; %bb.216:
	s_cmp_gt_i32 s12, 6
	s_cbranch_scc0 .LBB360_219
; %bb.217:
	global_load_dwordx2 v[2:3], v[0:1], off
	s_mov_b64 s[0:1], 0
	s_waitcnt vmcnt(0)
	v_cvt_i32_f64_e32 v2, v[2:3]
	s_branch .LBB360_220
.LBB360_218:
	s_mov_b64 s[0:1], -1
                                        ; implicit-def: $vgpr2
	s_branch .LBB360_223
.LBB360_219:
	s_mov_b64 s[0:1], -1
                                        ; implicit-def: $vgpr2
.LBB360_220:
	s_andn2_b64 vcc, exec, s[0:1]
	s_cbranch_vccnz .LBB360_222
; %bb.221:
	global_load_dword v2, v[0:1], off
	s_waitcnt vmcnt(0)
	v_cvt_i32_f32_e32 v2, v2
.LBB360_222:
	s_mov_b64 s[0:1], 0
.LBB360_223:
	s_andn2_b64 vcc, exec, s[0:1]
	s_cbranch_vccnz .LBB360_225
; %bb.224:
	global_load_ushort v2, v[0:1], off
	s_waitcnt vmcnt(0)
	v_cvt_i16_f16_e32 v2, v2
.LBB360_225:
	s_cbranch_execnz .LBB360_245
.LBB360_226:
	s_cmp_lt_i32 s12, 2
	s_cbranch_scc1 .LBB360_230
; %bb.227:
	s_cmp_lt_i32 s12, 3
	s_cbranch_scc1 .LBB360_231
; %bb.228:
	s_cmp_gt_i32 s12, 3
	s_cbranch_scc0 .LBB360_232
; %bb.229:
	global_load_dwordx2 v[2:3], v[0:1], off
	s_mov_b64 s[0:1], 0
	s_branch .LBB360_233
.LBB360_230:
	s_mov_b64 s[0:1], -1
                                        ; implicit-def: $vgpr2
	s_branch .LBB360_239
.LBB360_231:
	s_mov_b64 s[0:1], -1
                                        ; implicit-def: $vgpr2
	s_branch .LBB360_236
.LBB360_232:
	s_mov_b64 s[0:1], -1
                                        ; implicit-def: $vgpr2
.LBB360_233:
	s_andn2_b64 vcc, exec, s[0:1]
	s_cbranch_vccnz .LBB360_235
; %bb.234:
	global_load_dword v2, v[0:1], off
.LBB360_235:
	s_mov_b64 s[0:1], 0
.LBB360_236:
	s_andn2_b64 vcc, exec, s[0:1]
	s_cbranch_vccnz .LBB360_238
; %bb.237:
	global_load_ushort v2, v[0:1], off
.LBB360_238:
	s_mov_b64 s[0:1], 0
.LBB360_239:
	s_andn2_b64 vcc, exec, s[0:1]
	s_cbranch_vccnz .LBB360_245
; %bb.240:
	s_cmp_gt_i32 s12, 0
	s_cbranch_scc0 .LBB360_242
; %bb.241:
	global_load_ubyte v2, v[0:1], off
	s_mov_b64 s[0:1], 0
	s_branch .LBB360_243
.LBB360_242:
	s_mov_b64 s[0:1], -1
                                        ; implicit-def: $vgpr2
.LBB360_243:
	s_andn2_b64 vcc, exec, s[0:1]
	s_cbranch_vccnz .LBB360_245
; %bb.244:
	global_load_ubyte v2, v[0:1], off
.LBB360_245:
	s_branch .LBB360_11
.LBB360_246:
	s_mov_b64 s[0:1], 0
                                        ; implicit-def: $vgpr10
	s_mov_b64 s[18:19], 0
.LBB360_247:
	s_and_b64 s[12:13], s[0:1], exec
	s_and_b64 s[14:15], s[14:15], exec
	s_orn2_b64 s[18:19], s[18:19], exec
.LBB360_248:
	s_or_b64 exec, exec, s[16:17]
	s_mov_b64 s[22:23], 0
	s_mov_b64 s[0:1], 0
                                        ; implicit-def: $sgpr44
                                        ; implicit-def: $vgpr0_vgpr1
                                        ; implicit-def: $vgpr2
	s_and_saveexec_b64 s[16:17], s[18:19]
	s_cbranch_execz .LBB360_257
; %bb.249:
	v_cmp_gt_i32_e32 vcc, s38, v10
	s_mov_b64 s[0:1], -1
	s_mov_b64 s[18:19], s[14:15]
	s_mov_b64 s[20:21], s[12:13]
	s_and_saveexec_b64 s[22:23], vcc
	s_cbranch_execz .LBB360_505
; %bb.250:
	v_mul_lo_u32 v0, v10, s9
	v_ashrrev_i32_e32 v1, 31, v0
	s_and_b32 s24, s43, 0xff
	s_cmp_lt_i32 s24, 11
	v_lshl_add_u64 v[0:1], s[6:7], 0, v[0:1]
	s_cbranch_scc1 .LBB360_260
; %bb.251:
	s_and_b32 s25, 0xffff, s24
	s_cmp_gt_i32 s25, 25
	s_cbranch_scc0 .LBB360_269
; %bb.252:
	s_cmp_gt_i32 s25, 28
	s_cbranch_scc0 .LBB360_271
; %bb.253:
	;; [unrolled: 3-line block ×4, first 2 shown]
	s_cmp_eq_u32 s25, 46
	s_mov_b64 s[20:21], 0
	s_cbranch_scc0 .LBB360_281
; %bb.256:
	global_load_dword v2, v[0:1], off
	s_mov_b64 s[18:19], 0
	s_waitcnt vmcnt(0)
	v_lshlrev_b32_e32 v2, 16, v2
	v_cvt_i32_f32_e32 v2, v2
	s_branch .LBB360_282
.LBB360_257:
	s_or_b64 exec, exec, s[16:17]
	s_mov_b64 s[16:17], 0
	s_and_saveexec_b64 s[18:19], s[14:15]
	s_cbranch_execnz .LBB360_843
.LBB360_258:
	s_or_b64 exec, exec, s[18:19]
	s_and_saveexec_b64 s[14:15], s[20:21]
	s_xor_b64 s[14:15], exec, s[14:15]
	s_cbranch_execz .LBB360_844
.LBB360_259:
	global_load_ubyte v2, v[0:1], off
	s_or_b64 s[0:1], s[0:1], exec
	s_waitcnt vmcnt(0)
	v_cmp_ne_u16_e32 vcc, 0, v2
	s_nop 1
	v_cndmask_b32_e64 v2, 0, 1, vcc
	s_or_b64 exec, exec, s[14:15]
	s_and_saveexec_b64 s[14:15], s[22:23]
	s_cbranch_execz .LBB360_890
	s_branch .LBB360_845
.LBB360_260:
	s_mov_b64 s[0:1], 0
                                        ; implicit-def: $vgpr2
	s_mov_b64 s[18:19], s[14:15]
	s_cbranch_execnz .LBB360_455
.LBB360_261:
	s_andn2_b64 vcc, exec, s[0:1]
	s_cbranch_vccnz .LBB360_503
.LBB360_262:
	v_mul_lo_u32 v0, v10, s8
	s_bfe_i32 s0, s33, 0x80000
	v_ashrrev_i32_e32 v1, 31, v0
	s_and_b32 s28, s42, 0xff
	s_waitcnt vmcnt(0)
	v_max_i16_sdwa v4, sext(v2), s0 dst_sel:DWORD dst_unused:UNUSED_PAD src0_sel:BYTE_0 src1_sel:DWORD
	s_cmp_lt_i32 s28, 11
	v_lshl_add_u64 v[0:1], s[4:5], 0, v[0:1]
	s_cbranch_scc1 .LBB360_270
; %bb.263:
	s_and_b32 s29, 0xffff, s28
	s_cmp_gt_i32 s29, 25
	s_cbranch_scc0 .LBB360_272
; %bb.264:
	s_cmp_gt_i32 s29, 28
	s_cbranch_scc0 .LBB360_274
; %bb.265:
	;; [unrolled: 3-line block ×4, first 2 shown]
	s_mov_b64 s[24:25], 0
	s_mov_b64 s[0:1], -1
	s_cmp_eq_u32 s29, 46
	s_mov_b64 s[20:21], 0
	s_cbranch_scc0 .LBB360_286
; %bb.268:
	v_cvt_f32_i32_sdwa v2, sext(v4) dst_sel:DWORD dst_unused:UNUSED_PAD src0_sel:WORD_0
	s_movk_i32 s0, 0x7fff
	s_mov_b64 s[20:21], -1
	v_bfe_u32 v3, v2, 16, 1
	v_add3_u32 v2, v2, v3, s0
	v_lshrrev_b32_e32 v2, 16, v2
	global_store_dword v[0:1], v2, off
	s_mov_b64 s[0:1], 0
	s_branch .LBB360_286
.LBB360_269:
	s_mov_b64 s[20:21], -1
	s_mov_b64 s[0:1], 0
	s_mov_b64 s[18:19], s[14:15]
                                        ; implicit-def: $vgpr2
	s_branch .LBB360_421
.LBB360_270:
	s_mov_b64 s[24:25], -1
	s_mov_b64 s[20:21], 0
	s_mov_b64 s[0:1], s[12:13]
	s_branch .LBB360_355
.LBB360_271:
	s_mov_b64 s[20:21], -1
	s_mov_b64 s[0:1], 0
	s_mov_b64 s[18:19], s[14:15]
                                        ; implicit-def: $vgpr2
	s_branch .LBB360_404
.LBB360_272:
	s_mov_b64 s[24:25], -1
	s_mov_b64 s[20:21], 0
	s_mov_b64 s[0:1], s[12:13]
	s_branch .LBB360_313
.LBB360_273:
	s_mov_b64 s[20:21], -1
	s_mov_b64 s[0:1], 0
	s_mov_b64 s[18:19], s[14:15]
                                        ; implicit-def: $vgpr2
	s_branch .LBB360_399
.LBB360_274:
	s_mov_b64 s[24:25], -1
	s_mov_b64 s[20:21], 0
	s_mov_b64 s[0:1], s[12:13]
	s_branch .LBB360_296
.LBB360_275:
	s_andn2_saveexec_b64 s[22:23], s[22:23]
	s_cbranch_execz .LBB360_55
.LBB360_276:
	s_mov_b32 s26, 0x46000000
	v_add_f32_e64 v3, |v2|, s26
	v_and_b32_e32 v3, 0xff, v3
	v_cmp_ne_u32_e32 vcc, 0, v3
	s_andn2_b64 s[18:19], s[18:19], exec
	s_and_b64 s[26:27], vcc, exec
	s_or_b64 s[18:19], s[18:19], s[26:27]
	s_or_b64 exec, exec, s[22:23]
	v_mov_b32_e32 v5, 0
	s_and_saveexec_b64 s[22:23], s[18:19]
	s_cbranch_execnz .LBB360_56
	s_branch .LBB360_57
.LBB360_277:
	s_mov_b64 s[20:21], -1
	s_mov_b64 s[0:1], 0
	s_mov_b64 s[18:19], s[14:15]
                                        ; implicit-def: $vgpr2
	s_branch .LBB360_282
.LBB360_278:
	s_mov_b64 s[24:25], -1
	s_mov_b64 s[20:21], 0
	s_mov_b64 s[0:1], s[12:13]
	s_branch .LBB360_292
.LBB360_279:
	s_andn2_saveexec_b64 s[22:23], s[22:23]
	s_cbranch_execz .LBB360_68
.LBB360_280:
	s_mov_b32 s26, 0x42800000
	v_add_f32_e64 v3, |v2|, s26
	v_and_b32_e32 v3, 0xff, v3
	v_cmp_ne_u32_e32 vcc, 0, v3
	s_andn2_b64 s[18:19], s[18:19], exec
	s_and_b64 s[26:27], vcc, exec
	s_or_b64 s[18:19], s[18:19], s[26:27]
	s_or_b64 exec, exec, s[22:23]
	v_mov_b32_e32 v5, 0
	s_and_saveexec_b64 s[22:23], s[18:19]
	s_cbranch_execnz .LBB360_69
	s_branch .LBB360_70
.LBB360_281:
	s_mov_b64 s[18:19], -1
                                        ; implicit-def: $vgpr2
	s_mov_b64 s[0:1], 0
.LBB360_282:
	s_and_b64 vcc, exec, s[20:21]
	s_cbranch_vccz .LBB360_398
; %bb.283:
	s_cmp_eq_u32 s25, 44
	s_cbranch_scc0 .LBB360_397
; %bb.284:
	global_load_ubyte v2, v[0:1], off
	s_mov_b64 s[0:1], -1
	s_mov_b64 s[18:19], 0
	s_waitcnt vmcnt(0)
	v_lshlrev_b32_e32 v3, 23, v2
	v_cvt_i32_f32_e32 v3, v3
	v_cmp_ne_u32_e32 vcc, 0, v2
	s_nop 1
	v_cndmask_b32_e32 v2, 0, v3, vcc
	s_branch .LBB360_398
.LBB360_285:
	s_mov_b64 s[24:25], -1
	s_mov_b64 s[20:21], 0
	s_mov_b64 s[0:1], s[12:13]
.LBB360_286:
	s_and_b64 vcc, exec, s[24:25]
	s_cbranch_vccz .LBB360_291
; %bb.287:
	s_cmp_eq_u32 s29, 44
	s_mov_b64 s[0:1], -1
	s_cbranch_scc0 .LBB360_291
; %bb.288:
	v_cvt_f32_i32_sdwa v2, sext(v4) dst_sel:DWORD dst_unused:UNUSED_PAD src0_sel:WORD_0
	s_movk_i32 s0, 0xff
	v_mov_b32_e32 v5, 0xff
	v_bfe_u32 v3, v2, 23, 8
	v_cmp_ne_u32_e32 vcc, s0, v3
	s_and_saveexec_b64 s[20:21], vcc
; %bb.289:
	s_mov_b32 s0, 0x3fffff
	v_lshrrev_b32_e32 v5, 23, v2
	v_and_b32_e32 v6, 0x400000, v2
	v_and_or_b32 v2, v2, s0, v3
	v_cmp_ne_u32_e32 vcc, 0, v6
	v_cmp_ne_u32_e64 s[0:1], 0, v2
	s_and_b64 s[0:1], vcc, s[0:1]
	s_nop 0
	v_cndmask_b32_e64 v2, 0, 1, s[0:1]
	v_add_u32_e32 v5, v5, v2
; %bb.290:
	s_or_b64 exec, exec, s[20:21]
	s_mov_b64 s[20:21], -1
	s_mov_b64 s[0:1], 0
	global_store_byte v[0:1], v5, off
.LBB360_291:
	s_mov_b64 s[24:25], 0
.LBB360_292:
	s_and_b64 vcc, exec, s[24:25]
	s_cbranch_vccz .LBB360_295
; %bb.293:
	s_cmp_eq_u32 s29, 29
	s_mov_b64 s[0:1], -1
	s_cbranch_scc0 .LBB360_295
; %bb.294:
	v_bfe_i32 v2, v4, 0, 16
	v_ashrrev_i32_e32 v3, 31, v2
	global_store_dwordx2 v[0:1], v[2:3], off
	s_mov_b64 s[20:21], -1
	s_mov_b64 s[0:1], 0
.LBB360_295:
	s_mov_b64 s[24:25], 0
.LBB360_296:
	s_and_b64 vcc, exec, s[24:25]
	s_cbranch_vccz .LBB360_312
; %bb.297:
	s_cmp_lt_i32 s29, 27
	s_mov_b64 s[20:21], -1
	s_cbranch_scc1 .LBB360_303
; %bb.298:
	s_cmp_gt_i32 s29, 27
	s_cbranch_scc0 .LBB360_300
; %bb.299:
	v_bfe_i32 v2, v4, 0, 16
	s_mov_b64 s[20:21], 0
	global_store_dword v[0:1], v2, off
.LBB360_300:
	s_andn2_b64 vcc, exec, s[20:21]
	s_cbranch_vccnz .LBB360_302
; %bb.301:
	global_store_short v[0:1], v4, off
.LBB360_302:
	s_mov_b64 s[20:21], 0
.LBB360_303:
	s_andn2_b64 vcc, exec, s[20:21]
	s_cbranch_vccnz .LBB360_311
; %bb.304:
	v_cvt_f32_i32_sdwa v2, sext(v4) dst_sel:DWORD dst_unused:UNUSED_PAD src0_sel:WORD_0
	s_mov_b32 s20, 0x43800000
	v_mov_b32_e32 v5, 0x80
	v_and_b32_e32 v3, 0x7fffffff, v2
	v_cmp_gt_u32_e32 vcc, s20, v3
	s_and_saveexec_b64 s[20:21], vcc
	s_cbranch_execz .LBB360_310
; %bb.305:
	s_mov_b32 s24, 0x3bffffff
	v_cmp_lt_u32_e32 vcc, s24, v3
	s_mov_b64 s[24:25], 0
                                        ; implicit-def: $vgpr3
	s_and_saveexec_b64 s[26:27], vcc
	s_xor_b64 s[26:27], exec, s[26:27]
	s_cbranch_execz .LBB360_518
; %bb.306:
	v_bfe_u32 v3, v2, 20, 1
	s_mov_b32 s30, 0x487ffff
	v_add3_u32 v3, v2, v3, s30
	s_mov_b64 s[24:25], exec
	v_lshrrev_b32_e32 v3, 20, v3
	s_andn2_saveexec_b64 s[26:27], s[26:27]
	s_cbranch_execnz .LBB360_519
.LBB360_307:
	s_or_b64 exec, exec, s[26:27]
	v_mov_b32_e32 v5, 0
	s_and_saveexec_b64 s[26:27], s[24:25]
.LBB360_308:
	v_lshrrev_b32_e32 v2, 24, v2
	s_movk_i32 s24, 0x80
	v_and_or_b32 v5, v2, s24, v3
.LBB360_309:
	s_or_b64 exec, exec, s[26:27]
.LBB360_310:
	s_or_b64 exec, exec, s[20:21]
	global_store_byte v[0:1], v5, off
.LBB360_311:
	s_mov_b64 s[20:21], -1
.LBB360_312:
	s_mov_b64 s[24:25], 0
.LBB360_313:
	s_and_b64 vcc, exec, s[24:25]
	s_cbranch_vccz .LBB360_354
; %bb.314:
	s_cmp_gt_i32 s29, 22
	s_mov_b64 s[24:25], -1
	s_cbranch_scc0 .LBB360_346
; %bb.315:
	s_cmp_lt_i32 s29, 24
	s_mov_b64 s[20:21], -1
	s_cbranch_scc1 .LBB360_335
; %bb.316:
	s_cmp_gt_i32 s29, 24
	s_cbranch_scc0 .LBB360_324
; %bb.317:
	v_cvt_f32_i32_sdwa v2, sext(v4) dst_sel:DWORD dst_unused:UNUSED_PAD src0_sel:WORD_0
	s_mov_b32 s20, 0x47800000
	v_mov_b32_e32 v5, 0x80
	v_and_b32_e32 v3, 0x7fffffff, v2
	v_cmp_gt_u32_e32 vcc, s20, v3
	s_and_saveexec_b64 s[20:21], vcc
	s_cbranch_execz .LBB360_323
; %bb.318:
	s_mov_b32 s24, 0x37ffffff
	v_cmp_lt_u32_e32 vcc, s24, v3
	s_mov_b64 s[24:25], 0
                                        ; implicit-def: $vgpr3
	s_and_saveexec_b64 s[26:27], vcc
	s_xor_b64 s[26:27], exec, s[26:27]
	s_cbranch_execz .LBB360_521
; %bb.319:
	v_bfe_u32 v3, v2, 21, 1
	s_mov_b32 s30, 0x88fffff
	v_add3_u32 v3, v2, v3, s30
	s_mov_b64 s[24:25], exec
	v_lshrrev_b32_e32 v3, 21, v3
	s_andn2_saveexec_b64 s[26:27], s[26:27]
	s_cbranch_execnz .LBB360_522
.LBB360_320:
	s_or_b64 exec, exec, s[26:27]
	v_mov_b32_e32 v5, 0
	s_and_saveexec_b64 s[26:27], s[24:25]
.LBB360_321:
	v_lshrrev_b32_e32 v2, 24, v2
	s_movk_i32 s24, 0x80
	v_and_or_b32 v5, v2, s24, v3
.LBB360_322:
	s_or_b64 exec, exec, s[26:27]
.LBB360_323:
	s_or_b64 exec, exec, s[20:21]
	s_mov_b64 s[20:21], 0
	global_store_byte v[0:1], v5, off
.LBB360_324:
	s_and_b64 vcc, exec, s[20:21]
	s_cbranch_vccz .LBB360_334
; %bb.325:
	v_cvt_f32_i32_sdwa v2, sext(v4) dst_sel:DWORD dst_unused:UNUSED_PAD src0_sel:WORD_0
	s_mov_b32 s20, 0x43f00000
                                        ; implicit-def: $vgpr3
	v_and_b32_e32 v5, 0x7fffffff, v2
	v_cmp_gt_u32_e32 vcc, s20, v5
	s_and_saveexec_b64 s[20:21], vcc
	s_xor_b64 s[20:21], exec, s[20:21]
	s_cbranch_execz .LBB360_331
; %bb.326:
	s_mov_b32 s24, 0x3c7fffff
	v_cmp_lt_u32_e32 vcc, s24, v5
                                        ; implicit-def: $vgpr3
	s_and_saveexec_b64 s[24:25], vcc
	s_xor_b64 s[24:25], exec, s[24:25]
; %bb.327:
	v_bfe_u32 v3, v2, 20, 1
	s_mov_b32 s26, 0x407ffff
	v_add3_u32 v3, v2, v3, s26
	v_lshrrev_b32_e32 v5, 20, v3
	v_and_b32_e32 v3, 0xff00000, v3
	s_mov_b32 s26, 0x7f00000
	v_mov_b32_e32 v6, 0x7e
	v_cmp_ne_u32_e32 vcc, s26, v3
	s_nop 1
	v_cndmask_b32_e32 v3, v6, v5, vcc
; %bb.328:
	s_andn2_saveexec_b64 s[24:25], s[24:25]
; %bb.329:
	s_mov_b32 s26, 0x46800000
	v_add_f32_e64 v3, |v2|, s26
; %bb.330:
	s_or_b64 exec, exec, s[24:25]
                                        ; implicit-def: $vgpr5
.LBB360_331:
	s_andn2_saveexec_b64 s[20:21], s[20:21]
; %bb.332:
	s_mov_b32 s24, 0x7f800000
	v_mov_b32_e32 v3, 0x7e
	v_mov_b32_e32 v6, 0x7f
	v_cmp_lt_u32_e32 vcc, s24, v5
	s_nop 1
	v_cndmask_b32_e32 v3, v3, v6, vcc
; %bb.333:
	s_or_b64 exec, exec, s[20:21]
	v_lshrrev_b32_e32 v2, 24, v2
	s_movk_i32 s20, 0x80
	v_and_or_b32 v2, v2, s20, v3
	global_store_byte v[0:1], v2, off
.LBB360_334:
	s_mov_b64 s[20:21], 0
.LBB360_335:
	s_andn2_b64 vcc, exec, s[20:21]
	s_cbranch_vccnz .LBB360_345
; %bb.336:
	v_cvt_f32_i32_sdwa v2, sext(v4) dst_sel:DWORD dst_unused:UNUSED_PAD src0_sel:WORD_0
	s_mov_b32 s20, 0x47800000
                                        ; implicit-def: $vgpr3
	v_and_b32_e32 v5, 0x7fffffff, v2
	v_cmp_gt_u32_e32 vcc, s20, v5
	s_and_saveexec_b64 s[20:21], vcc
	s_xor_b64 s[20:21], exec, s[20:21]
	s_cbranch_execz .LBB360_342
; %bb.337:
	s_mov_b32 s24, 0x387fffff
	v_cmp_lt_u32_e32 vcc, s24, v5
                                        ; implicit-def: $vgpr3
	s_and_saveexec_b64 s[24:25], vcc
	s_xor_b64 s[24:25], exec, s[24:25]
; %bb.338:
	v_bfe_u32 v3, v2, 21, 1
	s_mov_b32 s26, 0x80fffff
	v_add3_u32 v3, v2, v3, s26
	v_lshrrev_b32_e32 v3, 21, v3
; %bb.339:
	s_andn2_saveexec_b64 s[24:25], s[24:25]
; %bb.340:
	s_mov_b32 s26, 0x43000000
	v_add_f32_e64 v3, |v2|, s26
; %bb.341:
	s_or_b64 exec, exec, s[24:25]
                                        ; implicit-def: $vgpr5
.LBB360_342:
	s_andn2_saveexec_b64 s[20:21], s[20:21]
; %bb.343:
	s_mov_b32 s24, 0x7f800000
	v_mov_b32_e32 v3, 0x7c
	v_mov_b32_e32 v6, 0x7f
	v_cmp_lt_u32_e32 vcc, s24, v5
	s_nop 1
	v_cndmask_b32_e32 v3, v3, v6, vcc
; %bb.344:
	s_or_b64 exec, exec, s[20:21]
	v_lshrrev_b32_e32 v2, 24, v2
	s_movk_i32 s20, 0x80
	v_and_or_b32 v2, v2, s20, v3
	global_store_byte v[0:1], v2, off
.LBB360_345:
	s_mov_b64 s[24:25], 0
	s_mov_b64 s[20:21], -1
.LBB360_346:
	s_andn2_b64 vcc, exec, s[24:25]
	s_cbranch_vccnz .LBB360_354
; %bb.347:
	s_cmp_gt_i32 s29, 14
	s_mov_b64 s[24:25], -1
	s_cbranch_scc0 .LBB360_351
; %bb.348:
	s_cmp_eq_u32 s29, 15
	s_mov_b64 s[0:1], -1
	s_cbranch_scc0 .LBB360_350
; %bb.349:
	v_cvt_f32_i32_sdwa v2, sext(v4) dst_sel:DWORD dst_unused:UNUSED_PAD src0_sel:WORD_0
	s_movk_i32 s0, 0x7fff
	s_mov_b64 s[20:21], -1
	v_bfe_u32 v3, v2, 16, 1
	v_add3_u32 v2, v2, v3, s0
	global_store_short_d16_hi v[0:1], v2, off
	s_mov_b64 s[0:1], 0
.LBB360_350:
	s_mov_b64 s[24:25], 0
.LBB360_351:
	s_and_b64 vcc, exec, s[24:25]
	s_cbranch_vccz .LBB360_354
; %bb.352:
	s_cmp_eq_u32 s29, 11
	s_mov_b64 s[0:1], -1
	s_cbranch_scc0 .LBB360_354
; %bb.353:
	v_cmp_ne_u16_e32 vcc, 0, v4
	s_mov_b64 s[20:21], -1
	s_mov_b64 s[0:1], 0
	v_cndmask_b32_e64 v2, 0, 1, vcc
	global_store_byte v[0:1], v2, off
.LBB360_354:
	s_mov_b64 s[24:25], 0
.LBB360_355:
	s_and_b64 vcc, exec, s[24:25]
	s_cbranch_vccz .LBB360_394
; %bb.356:
	s_and_b32 s24, 0xffff, s28
	s_cmp_lt_i32 s24, 5
	s_mov_b64 s[20:21], -1
	s_cbranch_scc1 .LBB360_377
; %bb.357:
	s_cmp_lt_i32 s24, 8
	s_cbranch_scc1 .LBB360_367
; %bb.358:
	s_cmp_lt_i32 s24, 9
	s_cbranch_scc1 .LBB360_364
; %bb.359:
	s_cmp_gt_i32 s24, 9
	s_cbranch_scc0 .LBB360_361
; %bb.360:
	v_bfe_i32 v2, v4, 0, 16
	v_mov_b32_e32 v8, 0
	v_cvt_f64_i32_e32 v[6:7], v2
	v_mov_b32_e32 v9, v8
	s_mov_b64 s[20:21], 0
	global_store_dwordx4 v[0:1], v[6:9], off
.LBB360_361:
	s_andn2_b64 vcc, exec, s[20:21]
	s_cbranch_vccnz .LBB360_363
; %bb.362:
	v_cvt_f32_i32_sdwa v2, sext(v4) dst_sel:DWORD dst_unused:UNUSED_PAD src0_sel:WORD_0
	v_mov_b32_e32 v3, 0
	global_store_dwordx2 v[0:1], v[2:3], off
.LBB360_363:
	s_mov_b64 s[20:21], 0
.LBB360_364:
	s_andn2_b64 vcc, exec, s[20:21]
	s_cbranch_vccnz .LBB360_366
; %bb.365:
	v_cvt_f16_i16_e32 v2, v4
	global_store_dword v[0:1], v2, off
.LBB360_366:
	s_mov_b64 s[20:21], 0
.LBB360_367:
	s_andn2_b64 vcc, exec, s[20:21]
	s_cbranch_vccnz .LBB360_376
; %bb.368:
	s_cmp_lt_i32 s24, 6
	s_mov_b64 s[20:21], -1
	s_cbranch_scc1 .LBB360_374
; %bb.369:
	s_cmp_gt_i32 s24, 6
	s_cbranch_scc0 .LBB360_371
; %bb.370:
	v_bfe_i32 v2, v4, 0, 16
	v_cvt_f64_i32_e32 v[2:3], v2
	s_mov_b64 s[20:21], 0
	global_store_dwordx2 v[0:1], v[2:3], off
.LBB360_371:
	s_andn2_b64 vcc, exec, s[20:21]
	s_cbranch_vccnz .LBB360_373
; %bb.372:
	v_cvt_f32_i32_sdwa v2, sext(v4) dst_sel:DWORD dst_unused:UNUSED_PAD src0_sel:WORD_0
	global_store_dword v[0:1], v2, off
.LBB360_373:
	s_mov_b64 s[20:21], 0
.LBB360_374:
	s_andn2_b64 vcc, exec, s[20:21]
	s_cbranch_vccnz .LBB360_376
; %bb.375:
	v_cvt_f16_i16_e32 v2, v4
	global_store_short v[0:1], v2, off
.LBB360_376:
	s_mov_b64 s[20:21], 0
.LBB360_377:
	s_andn2_b64 vcc, exec, s[20:21]
	s_cbranch_vccnz .LBB360_393
; %bb.378:
	s_cmp_lt_i32 s24, 2
	s_mov_b64 s[20:21], -1
	s_cbranch_scc1 .LBB360_388
; %bb.379:
	s_cmp_lt_i32 s24, 3
	s_cbranch_scc1 .LBB360_385
; %bb.380:
	s_cmp_gt_i32 s24, 3
	v_bfe_i32 v2, v4, 0, 16
	s_cbranch_scc0 .LBB360_382
; %bb.381:
	v_ashrrev_i32_e32 v3, 31, v2
	s_mov_b64 s[20:21], 0
	global_store_dwordx2 v[0:1], v[2:3], off
.LBB360_382:
	s_andn2_b64 vcc, exec, s[20:21]
	s_cbranch_vccnz .LBB360_384
; %bb.383:
	global_store_dword v[0:1], v2, off
.LBB360_384:
	s_mov_b64 s[20:21], 0
.LBB360_385:
	s_andn2_b64 vcc, exec, s[20:21]
	s_cbranch_vccnz .LBB360_387
; %bb.386:
	global_store_short v[0:1], v4, off
.LBB360_387:
	s_mov_b64 s[20:21], 0
.LBB360_388:
	s_andn2_b64 vcc, exec, s[20:21]
	s_cbranch_vccnz .LBB360_393
; %bb.389:
	s_cmp_gt_i32 s24, 0
	s_mov_b64 s[20:21], -1
	s_cbranch_scc0 .LBB360_391
; %bb.390:
	s_mov_b64 s[20:21], 0
	global_store_byte v[0:1], v4, off
.LBB360_391:
	s_andn2_b64 vcc, exec, s[20:21]
	s_cbranch_vccnz .LBB360_393
; %bb.392:
	global_store_byte v[0:1], v4, off
.LBB360_393:
	s_mov_b64 s[20:21], -1
.LBB360_394:
	s_andn2_b64 vcc, exec, s[20:21]
	s_cbranch_vccnz .LBB360_396
; %bb.395:
	v_add_u32_e32 v10, 0x80, v10
	s_mov_b64 s[24:25], -1
	s_branch .LBB360_504
.LBB360_396:
	s_mov_b64 s[24:25], 0
                                        ; implicit-def: $vgpr10
	s_branch .LBB360_504
.LBB360_397:
	s_mov_b64 s[18:19], -1
                                        ; implicit-def: $vgpr2
.LBB360_398:
	s_mov_b64 s[20:21], 0
.LBB360_399:
	s_and_b64 vcc, exec, s[20:21]
	s_cbranch_vccz .LBB360_403
; %bb.400:
	s_cmp_eq_u32 s25, 29
	s_cbranch_scc0 .LBB360_402
; %bb.401:
	global_load_dwordx2 v[2:3], v[0:1], off
	s_mov_b64 s[0:1], -1
	s_mov_b64 s[18:19], 0
	s_branch .LBB360_403
.LBB360_402:
	s_mov_b64 s[18:19], -1
                                        ; implicit-def: $vgpr2
.LBB360_403:
	s_mov_b64 s[20:21], 0
.LBB360_404:
	s_and_b64 vcc, exec, s[20:21]
	s_cbranch_vccz .LBB360_420
; %bb.405:
	s_cmp_lt_i32 s25, 27
	s_cbranch_scc1 .LBB360_408
; %bb.406:
	s_cmp_gt_i32 s25, 27
	s_cbranch_scc0 .LBB360_409
; %bb.407:
	global_load_dword v2, v[0:1], off
	s_mov_b64 s[0:1], 0
	s_branch .LBB360_410
.LBB360_408:
	s_mov_b64 s[0:1], -1
                                        ; implicit-def: $vgpr2
	s_branch .LBB360_413
.LBB360_409:
	s_mov_b64 s[0:1], -1
                                        ; implicit-def: $vgpr2
.LBB360_410:
	s_andn2_b64 vcc, exec, s[0:1]
	s_cbranch_vccnz .LBB360_412
; %bb.411:
	global_load_ushort v2, v[0:1], off
.LBB360_412:
	s_mov_b64 s[0:1], 0
.LBB360_413:
	s_andn2_b64 vcc, exec, s[0:1]
	s_cbranch_vccnz .LBB360_419
; %bb.414:
	global_load_ubyte v3, v[0:1], off
	s_movk_i32 s0, 0x7f
	s_mov_b64 s[20:21], 0
	s_waitcnt vmcnt(0)
	v_cmp_lt_i16_e32 vcc, s0, v3
	s_and_saveexec_b64 s[0:1], vcc
	s_xor_b64 s[0:1], exec, s[0:1]
	s_cbranch_execz .LBB360_431
; %bb.415:
	s_movk_i32 s20, 0x80
	v_cmp_ne_u16_e32 vcc, s20, v3
	s_and_b64 s[20:21], vcc, exec
	s_andn2_saveexec_b64 s[0:1], s[0:1]
	s_cbranch_execnz .LBB360_432
.LBB360_416:
	s_or_b64 exec, exec, s[0:1]
	v_mov_b32_e32 v2, 0
	s_and_saveexec_b64 s[0:1], s[20:21]
	s_cbranch_execz .LBB360_418
.LBB360_417:
	v_lshlrev_b32_e32 v2, 24, v3
	v_and_b32_e32 v3, 0xffff, v3
	v_and_b32_e32 v4, 7, v3
	v_ffbh_u32_e32 v6, v4
	v_min_u32_e32 v6, 32, v6
	v_subrev_u32_e32 v7, 28, v6
	v_bfe_u32 v5, v3, 3, 4
	v_lshlrev_b32_e32 v3, v7, v3
	v_sub_u32_e32 v6, 29, v6
	v_and_b32_e32 v3, 7, v3
	v_cmp_eq_u32_e32 vcc, 0, v5
	v_and_b32_e32 v2, 0x80000000, v2
	s_nop 0
	v_cndmask_b32_e32 v5, v5, v6, vcc
	v_cndmask_b32_e32 v3, v4, v3, vcc
	v_mov_b32_e32 v4, 0x3b800000
	v_lshlrev_b32_e32 v3, 20, v3
	v_lshl_add_u32 v4, v5, 23, v4
	v_or3_b32 v2, v2, v4, v3
	v_cvt_i32_f32_e32 v2, v2
.LBB360_418:
	s_or_b64 exec, exec, s[0:1]
.LBB360_419:
	s_mov_b64 s[0:1], -1
.LBB360_420:
	s_mov_b64 s[20:21], 0
.LBB360_421:
	s_and_b64 vcc, exec, s[20:21]
	s_cbranch_vccz .LBB360_454
; %bb.422:
	s_cmp_gt_i32 s25, 22
	s_cbranch_scc0 .LBB360_430
; %bb.423:
	s_cmp_lt_i32 s25, 24
	s_cbranch_scc1 .LBB360_433
; %bb.424:
	s_cmp_gt_i32 s25, 24
	s_cbranch_scc0 .LBB360_434
; %bb.425:
	global_load_ubyte v3, v[0:1], off
	s_movk_i32 s0, 0x7f
	s_mov_b64 s[20:21], 0
	s_waitcnt vmcnt(0)
	v_cmp_lt_i16_e32 vcc, s0, v3
	s_and_saveexec_b64 s[0:1], vcc
	s_xor_b64 s[0:1], exec, s[0:1]
	s_cbranch_execz .LBB360_446
; %bb.426:
	s_movk_i32 s20, 0x80
	v_cmp_ne_u16_e32 vcc, s20, v3
	s_and_b64 s[20:21], vcc, exec
	s_andn2_saveexec_b64 s[0:1], s[0:1]
	s_cbranch_execnz .LBB360_447
.LBB360_427:
	s_or_b64 exec, exec, s[0:1]
	v_mov_b32_e32 v2, 0
	s_and_saveexec_b64 s[0:1], s[20:21]
	s_cbranch_execz .LBB360_429
.LBB360_428:
	v_lshlrev_b32_e32 v2, 24, v3
	v_and_b32_e32 v3, 0xffff, v3
	v_and_b32_e32 v4, 3, v3
	v_ffbh_u32_e32 v6, v4
	v_min_u32_e32 v6, 32, v6
	v_subrev_u32_e32 v7, 29, v6
	v_bfe_u32 v5, v3, 2, 5
	v_lshlrev_b32_e32 v3, v7, v3
	v_sub_u32_e32 v6, 30, v6
	v_and_b32_e32 v3, 3, v3
	v_cmp_eq_u32_e32 vcc, 0, v5
	v_and_b32_e32 v2, 0x80000000, v2
	s_nop 0
	v_cndmask_b32_e32 v5, v5, v6, vcc
	v_cndmask_b32_e32 v3, v4, v3, vcc
	v_mov_b32_e32 v4, 0x37800000
	v_lshlrev_b32_e32 v3, 21, v3
	v_lshl_add_u32 v4, v5, 23, v4
	v_or3_b32 v2, v2, v4, v3
	v_cvt_i32_f32_e32 v2, v2
.LBB360_429:
	s_or_b64 exec, exec, s[0:1]
	s_mov_b64 s[0:1], 0
	s_branch .LBB360_435
.LBB360_430:
	s_mov_b64 s[20:21], -1
                                        ; implicit-def: $vgpr2
	s_branch .LBB360_441
.LBB360_431:
	s_andn2_saveexec_b64 s[0:1], s[0:1]
	s_cbranch_execz .LBB360_416
.LBB360_432:
	v_cmp_ne_u16_e32 vcc, 0, v3
	s_andn2_b64 s[20:21], s[20:21], exec
	s_and_b64 s[26:27], vcc, exec
	s_or_b64 s[20:21], s[20:21], s[26:27]
	s_or_b64 exec, exec, s[0:1]
	v_mov_b32_e32 v2, 0
	s_and_saveexec_b64 s[0:1], s[20:21]
	s_cbranch_execnz .LBB360_417
	s_branch .LBB360_418
.LBB360_433:
	s_mov_b64 s[0:1], -1
                                        ; implicit-def: $vgpr2
	s_branch .LBB360_438
.LBB360_434:
	s_mov_b64 s[0:1], -1
                                        ; implicit-def: $vgpr2
.LBB360_435:
	s_and_b64 vcc, exec, s[0:1]
	s_cbranch_vccz .LBB360_437
; %bb.436:
	global_load_ubyte v2, v[0:1], off
	s_mov_b32 s0, 0x7f800000
	s_waitcnt vmcnt(0)
	v_lshlrev_b32_e32 v2, 24, v2
	v_and_b32_e32 v3, 0x7f000000, v2
	v_ffbh_u32_e32 v4, v3
	v_min_u32_e32 v4, 32, v4
	v_sub_u32_e64 v4, v4, 4 clamp
	v_lshlrev_b32_e32 v6, v4, v3
	v_lshlrev_b32_e32 v4, 23, v4
	v_lshrrev_b32_e32 v6, 4, v6
	v_add_u32_e32 v5, 0x1000000, v3
	v_sub_u32_e32 v4, v6, v4
	v_ashrrev_i32_e32 v5, 8, v5
	v_add_u32_e32 v4, 0x3c000000, v4
	v_and_or_b32 v4, v5, s0, v4
	v_cmp_ne_u32_e32 vcc, 0, v3
	s_brev_b32 s0, 1
	s_nop 0
	v_cndmask_b32_e32 v3, 0, v4, vcc
	v_and_or_b32 v2, v2, s0, v3
	v_cvt_i32_f32_e32 v2, v2
.LBB360_437:
	s_mov_b64 s[0:1], 0
.LBB360_438:
	s_andn2_b64 vcc, exec, s[0:1]
	s_cbranch_vccnz .LBB360_440
; %bb.439:
	global_load_ubyte v2, v[0:1], off
	s_movk_i32 s0, 0x7f00
	s_brev_b32 s1, 16
	s_waitcnt vmcnt(0)
	v_lshlrev_b16_e32 v3, 8, v2
	v_lshlrev_b32_e32 v2, 25, v2
	v_lshrrev_b32_e32 v4, 4, v2
	v_and_or_b32 v5, v3, s0, 0.5
	v_or_b32_e32 v4, 0x70000000, v4
	v_add_f32_e32 v5, -0.5, v5
	v_mul_f32_e32 v4, 0x7800000, v4
	v_cmp_gt_u32_e32 vcc, s1, v2
	v_bfe_i32 v3, v3, 0, 16
	s_brev_b32 s0, 1
	v_cndmask_b32_e32 v2, v4, v5, vcc
	v_and_or_b32 v2, v3, s0, v2
	v_cvt_i32_f32_e32 v2, v2
.LBB360_440:
	s_mov_b64 s[20:21], 0
	s_mov_b64 s[0:1], -1
.LBB360_441:
	s_andn2_b64 vcc, exec, s[20:21]
	s_cbranch_vccnz .LBB360_454
; %bb.442:
	s_cmp_gt_i32 s25, 14
	s_cbranch_scc0 .LBB360_445
; %bb.443:
	s_cmp_eq_u32 s25, 15
	s_cbranch_scc0 .LBB360_448
; %bb.444:
	global_load_ushort v2, v[0:1], off
	s_mov_b64 s[0:1], -1
	s_mov_b64 s[18:19], 0
	s_waitcnt vmcnt(0)
	v_lshlrev_b32_e32 v2, 16, v2
	v_cvt_i32_f32_e32 v2, v2
	s_branch .LBB360_449
.LBB360_445:
	s_mov_b64 s[20:21], -1
                                        ; implicit-def: $vgpr2
	s_branch .LBB360_450
.LBB360_446:
	s_andn2_saveexec_b64 s[0:1], s[0:1]
	s_cbranch_execz .LBB360_427
.LBB360_447:
	v_cmp_ne_u16_e32 vcc, 0, v3
	s_andn2_b64 s[20:21], s[20:21], exec
	s_and_b64 s[26:27], vcc, exec
	s_or_b64 s[20:21], s[20:21], s[26:27]
	s_or_b64 exec, exec, s[0:1]
	v_mov_b32_e32 v2, 0
	s_and_saveexec_b64 s[0:1], s[20:21]
	s_cbranch_execnz .LBB360_428
	s_branch .LBB360_429
.LBB360_448:
	s_mov_b64 s[18:19], -1
                                        ; implicit-def: $vgpr2
.LBB360_449:
	s_mov_b64 s[20:21], 0
.LBB360_450:
	s_and_b64 vcc, exec, s[20:21]
	s_cbranch_vccz .LBB360_454
; %bb.451:
	s_cmp_eq_u32 s25, 11
	s_cbranch_scc0 .LBB360_453
; %bb.452:
	global_load_ubyte v2, v[0:1], off
	s_mov_b64 s[0:1], -1
	s_mov_b64 s[18:19], 0
	s_waitcnt vmcnt(0)
	v_cmp_ne_u16_e32 vcc, 0, v2
	s_nop 1
	v_cndmask_b32_e64 v2, 0, 1, vcc
	s_branch .LBB360_454
.LBB360_453:
	s_mov_b64 s[18:19], -1
                                        ; implicit-def: $vgpr2
.LBB360_454:
	s_branch .LBB360_261
.LBB360_455:
	s_and_b32 s20, 0xffff, s24
	s_cmp_lt_i32 s20, 5
	s_cbranch_scc1 .LBB360_460
; %bb.456:
	s_cmp_lt_i32 s20, 8
	s_cbranch_scc1 .LBB360_461
; %bb.457:
	s_cmp_lt_i32 s20, 9
	s_cbranch_scc1 .LBB360_462
; %bb.458:
	s_cmp_gt_i32 s20, 9
	s_cbranch_scc0 .LBB360_463
; %bb.459:
	global_load_dwordx2 v[2:3], v[0:1], off
	s_mov_b64 s[0:1], 0
	s_waitcnt vmcnt(0)
	v_cvt_i32_f64_e32 v2, v[2:3]
	s_branch .LBB360_464
.LBB360_460:
	s_mov_b64 s[0:1], -1
                                        ; implicit-def: $vgpr2
	s_branch .LBB360_482
.LBB360_461:
	s_mov_b64 s[0:1], -1
                                        ; implicit-def: $vgpr2
	s_branch .LBB360_470
.LBB360_462:
	s_mov_b64 s[0:1], -1
                                        ; implicit-def: $vgpr2
	s_branch .LBB360_467
.LBB360_463:
	s_mov_b64 s[0:1], -1
                                        ; implicit-def: $vgpr2
.LBB360_464:
	s_andn2_b64 vcc, exec, s[0:1]
	s_cbranch_vccnz .LBB360_466
; %bb.465:
	global_load_dword v2, v[0:1], off
	s_waitcnt vmcnt(0)
	v_cvt_i32_f32_e32 v2, v2
.LBB360_466:
	s_mov_b64 s[0:1], 0
.LBB360_467:
	s_andn2_b64 vcc, exec, s[0:1]
	s_cbranch_vccnz .LBB360_469
; %bb.468:
	global_load_dword v2, v[0:1], off
	s_waitcnt vmcnt(0)
	v_cvt_i16_f16_e32 v2, v2
.LBB360_469:
	s_mov_b64 s[0:1], 0
.LBB360_470:
	s_andn2_b64 vcc, exec, s[0:1]
	s_cbranch_vccnz .LBB360_481
; %bb.471:
	s_cmp_lt_i32 s20, 6
	s_cbranch_scc1 .LBB360_474
; %bb.472:
	s_cmp_gt_i32 s20, 6
	s_cbranch_scc0 .LBB360_475
; %bb.473:
	global_load_dwordx2 v[2:3], v[0:1], off
	s_mov_b64 s[0:1], 0
	s_waitcnt vmcnt(0)
	v_cvt_i32_f64_e32 v2, v[2:3]
	s_branch .LBB360_476
.LBB360_474:
	s_mov_b64 s[0:1], -1
                                        ; implicit-def: $vgpr2
	s_branch .LBB360_479
.LBB360_475:
	s_mov_b64 s[0:1], -1
                                        ; implicit-def: $vgpr2
.LBB360_476:
	s_andn2_b64 vcc, exec, s[0:1]
	s_cbranch_vccnz .LBB360_478
; %bb.477:
	global_load_dword v2, v[0:1], off
	s_waitcnt vmcnt(0)
	v_cvt_i32_f32_e32 v2, v2
.LBB360_478:
	s_mov_b64 s[0:1], 0
.LBB360_479:
	s_andn2_b64 vcc, exec, s[0:1]
	s_cbranch_vccnz .LBB360_481
; %bb.480:
	global_load_ushort v2, v[0:1], off
	s_waitcnt vmcnt(0)
	v_cvt_i16_f16_e32 v2, v2
.LBB360_481:
	s_mov_b64 s[0:1], 0
.LBB360_482:
	s_andn2_b64 vcc, exec, s[0:1]
	s_cbranch_vccnz .LBB360_502
; %bb.483:
	s_cmp_lt_i32 s20, 2
	s_cbranch_scc1 .LBB360_487
; %bb.484:
	s_cmp_lt_i32 s20, 3
	s_cbranch_scc1 .LBB360_488
; %bb.485:
	s_cmp_gt_i32 s20, 3
	s_cbranch_scc0 .LBB360_489
; %bb.486:
	global_load_dwordx2 v[2:3], v[0:1], off
	s_mov_b64 s[0:1], 0
	s_branch .LBB360_490
.LBB360_487:
	s_mov_b64 s[0:1], -1
                                        ; implicit-def: $vgpr2
	s_branch .LBB360_496
.LBB360_488:
	s_mov_b64 s[0:1], -1
                                        ; implicit-def: $vgpr2
	s_branch .LBB360_493
.LBB360_489:
	s_mov_b64 s[0:1], -1
                                        ; implicit-def: $vgpr2
.LBB360_490:
	s_andn2_b64 vcc, exec, s[0:1]
	s_cbranch_vccnz .LBB360_492
; %bb.491:
	global_load_dword v2, v[0:1], off
.LBB360_492:
	s_mov_b64 s[0:1], 0
.LBB360_493:
	s_andn2_b64 vcc, exec, s[0:1]
	s_cbranch_vccnz .LBB360_495
; %bb.494:
	global_load_ushort v2, v[0:1], off
.LBB360_495:
	s_mov_b64 s[0:1], 0
.LBB360_496:
	s_andn2_b64 vcc, exec, s[0:1]
	s_cbranch_vccnz .LBB360_502
; %bb.497:
	s_cmp_gt_i32 s20, 0
	s_cbranch_scc0 .LBB360_499
; %bb.498:
	global_load_ubyte v2, v[0:1], off
	s_mov_b64 s[0:1], 0
	s_branch .LBB360_500
.LBB360_499:
	s_mov_b64 s[0:1], -1
                                        ; implicit-def: $vgpr2
.LBB360_500:
	s_andn2_b64 vcc, exec, s[0:1]
	s_cbranch_vccnz .LBB360_502
; %bb.501:
	global_load_ubyte v2, v[0:1], off
.LBB360_502:
	s_branch .LBB360_262
.LBB360_503:
	s_mov_b64 s[24:25], 0
                                        ; implicit-def: $vgpr10
	s_mov_b64 s[0:1], s[12:13]
.LBB360_504:
	s_andn2_b64 s[20:21], s[12:13], exec
	s_and_b64 s[0:1], s[0:1], exec
	s_or_b64 s[20:21], s[20:21], s[0:1]
	s_andn2_b64 s[0:1], s[14:15], exec
	s_and_b64 s[18:19], s[18:19], exec
	s_or_b64 s[18:19], s[0:1], s[18:19]
	s_orn2_b64 s[0:1], s[24:25], exec
.LBB360_505:
	s_or_b64 exec, exec, s[22:23]
	s_mov_b64 s[24:25], 0
	s_mov_b64 s[26:27], 0
	s_mov_b64 s[28:29], 0
                                        ; implicit-def: $sgpr44
                                        ; implicit-def: $vgpr0_vgpr1
                                        ; implicit-def: $vgpr2
	s_and_saveexec_b64 s[22:23], s[0:1]
	s_cbranch_execz .LBB360_842
; %bb.506:
	v_cmp_gt_i32_e32 vcc, s38, v10
	s_mov_b64 s[34:35], -1
	s_mov_b64 s[0:1], s[18:19]
	s_mov_b64 s[28:29], s[20:21]
	s_and_saveexec_b64 s[24:25], vcc
	s_cbranch_execz .LBB360_760
; %bb.507:
	v_mul_lo_u32 v0, v10, s9
	v_ashrrev_i32_e32 v1, 31, v0
	s_and_b32 s30, s43, 0xff
	s_cmp_lt_i32 s30, 11
	v_lshl_add_u64 v[0:1], s[6:7], 0, v[0:1]
	s_cbranch_scc1 .LBB360_514
; %bb.508:
	s_and_b32 s31, 0xffff, s30
	s_cmp_gt_i32 s31, 25
	s_cbranch_scc0 .LBB360_515
; %bb.509:
	s_cmp_gt_i32 s31, 28
	s_cbranch_scc0 .LBB360_516
; %bb.510:
	;; [unrolled: 3-line block ×4, first 2 shown]
	s_cmp_eq_u32 s31, 46
	s_mov_b64 s[28:29], 0
	s_cbranch_scc0 .LBB360_523
; %bb.513:
	global_load_dword v2, v[0:1], off
	s_mov_b64 s[0:1], -1
	s_waitcnt vmcnt(0)
	v_lshlrev_b32_e32 v2, 16, v2
	v_cvt_i32_f32_e32 v2, v2
	s_branch .LBB360_524
.LBB360_514:
	s_mov_b64 s[28:29], -1
	s_mov_b64 s[0:1], 0
                                        ; implicit-def: $vgpr2
	s_mov_b64 s[26:27], s[18:19]
	s_branch .LBB360_585
.LBB360_515:
	s_mov_b64 s[28:29], -1
	s_mov_b64 s[0:1], 0
	s_mov_b64 s[26:27], s[18:19]
                                        ; implicit-def: $vgpr2
	s_branch .LBB360_551
.LBB360_516:
	s_mov_b64 s[28:29], -1
	s_mov_b64 s[0:1], 0
	s_mov_b64 s[26:27], s[18:19]
                                        ; implicit-def: $vgpr2
	s_branch .LBB360_534
.LBB360_517:
	s_mov_b64 s[28:29], -1
	s_mov_b64 s[0:1], 0
	s_mov_b64 s[26:27], s[18:19]
                                        ; implicit-def: $vgpr2
	s_branch .LBB360_529
.LBB360_518:
	s_andn2_saveexec_b64 s[26:27], s[26:27]
	s_cbranch_execz .LBB360_307
.LBB360_519:
	s_mov_b32 s30, 0x46000000
	v_add_f32_e64 v3, |v2|, s30
	v_and_b32_e32 v3, 0xff, v3
	v_cmp_ne_u32_e32 vcc, 0, v3
	s_andn2_b64 s[24:25], s[24:25], exec
	s_and_b64 s[30:31], vcc, exec
	s_or_b64 s[24:25], s[24:25], s[30:31]
	s_or_b64 exec, exec, s[26:27]
	v_mov_b32_e32 v5, 0
	s_and_saveexec_b64 s[26:27], s[24:25]
	s_cbranch_execnz .LBB360_308
	s_branch .LBB360_309
.LBB360_520:
	s_mov_b64 s[28:29], -1
	s_mov_b64 s[0:1], 0
	s_mov_b64 s[26:27], s[18:19]
                                        ; implicit-def: $vgpr2
	s_branch .LBB360_524
.LBB360_521:
	s_andn2_saveexec_b64 s[26:27], s[26:27]
	s_cbranch_execz .LBB360_320
.LBB360_522:
	s_mov_b32 s30, 0x42800000
	v_add_f32_e64 v3, |v2|, s30
	v_and_b32_e32 v3, 0xff, v3
	v_cmp_ne_u32_e32 vcc, 0, v3
	s_andn2_b64 s[24:25], s[24:25], exec
	s_and_b64 s[30:31], vcc, exec
	s_or_b64 s[24:25], s[24:25], s[30:31]
	s_or_b64 exec, exec, s[26:27]
	v_mov_b32_e32 v5, 0
	s_and_saveexec_b64 s[26:27], s[24:25]
	s_cbranch_execnz .LBB360_321
	s_branch .LBB360_322
.LBB360_523:
	s_mov_b64 s[26:27], -1
                                        ; implicit-def: $vgpr2
	s_mov_b64 s[0:1], 0
.LBB360_524:
	s_and_b64 vcc, exec, s[28:29]
	s_cbranch_vccz .LBB360_528
; %bb.525:
	s_cmp_eq_u32 s31, 44
	s_cbranch_scc0 .LBB360_527
; %bb.526:
	global_load_ubyte v2, v[0:1], off
	s_mov_b64 s[0:1], -1
	s_mov_b64 s[26:27], 0
	s_waitcnt vmcnt(0)
	v_lshlrev_b32_e32 v3, 23, v2
	v_cvt_i32_f32_e32 v3, v3
	v_cmp_ne_u32_e32 vcc, 0, v2
	s_nop 1
	v_cndmask_b32_e32 v2, 0, v3, vcc
	s_branch .LBB360_528
.LBB360_527:
	s_mov_b64 s[26:27], -1
                                        ; implicit-def: $vgpr2
.LBB360_528:
	s_mov_b64 s[28:29], 0
.LBB360_529:
	s_and_b64 vcc, exec, s[28:29]
	s_cbranch_vccz .LBB360_533
; %bb.530:
	s_cmp_eq_u32 s31, 29
	s_cbranch_scc0 .LBB360_532
; %bb.531:
	global_load_dwordx2 v[2:3], v[0:1], off
	s_mov_b64 s[0:1], -1
	s_mov_b64 s[26:27], 0
	s_branch .LBB360_533
.LBB360_532:
	s_mov_b64 s[26:27], -1
                                        ; implicit-def: $vgpr2
.LBB360_533:
	s_mov_b64 s[28:29], 0
.LBB360_534:
	s_and_b64 vcc, exec, s[28:29]
	s_cbranch_vccz .LBB360_550
; %bb.535:
	s_cmp_lt_i32 s31, 27
	s_cbranch_scc1 .LBB360_538
; %bb.536:
	s_cmp_gt_i32 s31, 27
	s_cbranch_scc0 .LBB360_539
; %bb.537:
	global_load_dword v2, v[0:1], off
	s_mov_b64 s[0:1], 0
	s_branch .LBB360_540
.LBB360_538:
	s_mov_b64 s[0:1], -1
                                        ; implicit-def: $vgpr2
	s_branch .LBB360_543
.LBB360_539:
	s_mov_b64 s[0:1], -1
                                        ; implicit-def: $vgpr2
.LBB360_540:
	s_andn2_b64 vcc, exec, s[0:1]
	s_cbranch_vccnz .LBB360_542
; %bb.541:
	global_load_ushort v2, v[0:1], off
.LBB360_542:
	s_mov_b64 s[0:1], 0
.LBB360_543:
	s_andn2_b64 vcc, exec, s[0:1]
	s_cbranch_vccnz .LBB360_549
; %bb.544:
	global_load_ubyte v3, v[0:1], off
	s_movk_i32 s0, 0x7f
	s_mov_b64 s[28:29], 0
	s_waitcnt vmcnt(0)
	v_cmp_lt_i16_e32 vcc, s0, v3
	s_and_saveexec_b64 s[0:1], vcc
	s_xor_b64 s[0:1], exec, s[0:1]
	s_cbranch_execz .LBB360_561
; %bb.545:
	s_movk_i32 s28, 0x80
	v_cmp_ne_u16_e32 vcc, s28, v3
	s_and_b64 s[28:29], vcc, exec
	s_andn2_saveexec_b64 s[0:1], s[0:1]
	s_cbranch_execnz .LBB360_562
.LBB360_546:
	s_or_b64 exec, exec, s[0:1]
	v_mov_b32_e32 v2, 0
	s_and_saveexec_b64 s[0:1], s[28:29]
	s_cbranch_execz .LBB360_548
.LBB360_547:
	v_lshlrev_b32_e32 v2, 24, v3
	v_and_b32_e32 v3, 0xffff, v3
	v_and_b32_e32 v4, 7, v3
	v_ffbh_u32_e32 v6, v4
	v_min_u32_e32 v6, 32, v6
	v_subrev_u32_e32 v7, 28, v6
	v_bfe_u32 v5, v3, 3, 4
	v_lshlrev_b32_e32 v3, v7, v3
	v_sub_u32_e32 v6, 29, v6
	v_and_b32_e32 v3, 7, v3
	v_cmp_eq_u32_e32 vcc, 0, v5
	v_and_b32_e32 v2, 0x80000000, v2
	s_nop 0
	v_cndmask_b32_e32 v5, v5, v6, vcc
	v_cndmask_b32_e32 v3, v4, v3, vcc
	v_mov_b32_e32 v4, 0x3b800000
	v_lshlrev_b32_e32 v3, 20, v3
	v_lshl_add_u32 v4, v5, 23, v4
	v_or3_b32 v2, v2, v4, v3
	v_cvt_i32_f32_e32 v2, v2
.LBB360_548:
	s_or_b64 exec, exec, s[0:1]
.LBB360_549:
	s_mov_b64 s[0:1], -1
.LBB360_550:
	s_mov_b64 s[28:29], 0
.LBB360_551:
	s_and_b64 vcc, exec, s[28:29]
	s_cbranch_vccz .LBB360_584
; %bb.552:
	s_cmp_gt_i32 s31, 22
	s_cbranch_scc0 .LBB360_560
; %bb.553:
	s_cmp_lt_i32 s31, 24
	s_cbranch_scc1 .LBB360_563
; %bb.554:
	s_cmp_gt_i32 s31, 24
	s_cbranch_scc0 .LBB360_564
; %bb.555:
	global_load_ubyte v3, v[0:1], off
	s_movk_i32 s0, 0x7f
	s_mov_b64 s[28:29], 0
	s_waitcnt vmcnt(0)
	v_cmp_lt_i16_e32 vcc, s0, v3
	s_and_saveexec_b64 s[0:1], vcc
	s_xor_b64 s[0:1], exec, s[0:1]
	s_cbranch_execz .LBB360_576
; %bb.556:
	s_movk_i32 s28, 0x80
	v_cmp_ne_u16_e32 vcc, s28, v3
	s_and_b64 s[28:29], vcc, exec
	s_andn2_saveexec_b64 s[0:1], s[0:1]
	s_cbranch_execnz .LBB360_577
.LBB360_557:
	s_or_b64 exec, exec, s[0:1]
	v_mov_b32_e32 v2, 0
	s_and_saveexec_b64 s[0:1], s[28:29]
	s_cbranch_execz .LBB360_559
.LBB360_558:
	v_lshlrev_b32_e32 v2, 24, v3
	v_and_b32_e32 v3, 0xffff, v3
	v_and_b32_e32 v4, 3, v3
	v_ffbh_u32_e32 v6, v4
	v_min_u32_e32 v6, 32, v6
	v_subrev_u32_e32 v7, 29, v6
	v_bfe_u32 v5, v3, 2, 5
	v_lshlrev_b32_e32 v3, v7, v3
	v_sub_u32_e32 v6, 30, v6
	v_and_b32_e32 v3, 3, v3
	v_cmp_eq_u32_e32 vcc, 0, v5
	v_and_b32_e32 v2, 0x80000000, v2
	s_nop 0
	v_cndmask_b32_e32 v5, v5, v6, vcc
	v_cndmask_b32_e32 v3, v4, v3, vcc
	v_mov_b32_e32 v4, 0x37800000
	v_lshlrev_b32_e32 v3, 21, v3
	v_lshl_add_u32 v4, v5, 23, v4
	v_or3_b32 v2, v2, v4, v3
	v_cvt_i32_f32_e32 v2, v2
.LBB360_559:
	s_or_b64 exec, exec, s[0:1]
	s_mov_b64 s[0:1], 0
	s_branch .LBB360_565
.LBB360_560:
	s_mov_b64 s[28:29], -1
                                        ; implicit-def: $vgpr2
	s_branch .LBB360_571
.LBB360_561:
	s_andn2_saveexec_b64 s[0:1], s[0:1]
	s_cbranch_execz .LBB360_546
.LBB360_562:
	v_cmp_ne_u16_e32 vcc, 0, v3
	s_andn2_b64 s[28:29], s[28:29], exec
	s_and_b64 s[34:35], vcc, exec
	s_or_b64 s[28:29], s[28:29], s[34:35]
	s_or_b64 exec, exec, s[0:1]
	v_mov_b32_e32 v2, 0
	s_and_saveexec_b64 s[0:1], s[28:29]
	s_cbranch_execnz .LBB360_547
	s_branch .LBB360_548
.LBB360_563:
	s_mov_b64 s[0:1], -1
                                        ; implicit-def: $vgpr2
	s_branch .LBB360_568
.LBB360_564:
	s_mov_b64 s[0:1], -1
                                        ; implicit-def: $vgpr2
.LBB360_565:
	s_and_b64 vcc, exec, s[0:1]
	s_cbranch_vccz .LBB360_567
; %bb.566:
	global_load_ubyte v2, v[0:1], off
	s_mov_b32 s0, 0x7f800000
	s_waitcnt vmcnt(0)
	v_lshlrev_b32_e32 v2, 24, v2
	v_and_b32_e32 v3, 0x7f000000, v2
	v_ffbh_u32_e32 v4, v3
	v_min_u32_e32 v4, 32, v4
	v_sub_u32_e64 v4, v4, 4 clamp
	v_lshlrev_b32_e32 v6, v4, v3
	v_lshlrev_b32_e32 v4, 23, v4
	v_lshrrev_b32_e32 v6, 4, v6
	v_add_u32_e32 v5, 0x1000000, v3
	v_sub_u32_e32 v4, v6, v4
	v_ashrrev_i32_e32 v5, 8, v5
	v_add_u32_e32 v4, 0x3c000000, v4
	v_and_or_b32 v4, v5, s0, v4
	v_cmp_ne_u32_e32 vcc, 0, v3
	s_brev_b32 s0, 1
	s_nop 0
	v_cndmask_b32_e32 v3, 0, v4, vcc
	v_and_or_b32 v2, v2, s0, v3
	v_cvt_i32_f32_e32 v2, v2
.LBB360_567:
	s_mov_b64 s[0:1], 0
.LBB360_568:
	s_andn2_b64 vcc, exec, s[0:1]
	s_cbranch_vccnz .LBB360_570
; %bb.569:
	global_load_ubyte v2, v[0:1], off
	s_movk_i32 s0, 0x7f00
	s_brev_b32 s1, 16
	s_waitcnt vmcnt(0)
	v_lshlrev_b16_e32 v3, 8, v2
	v_lshlrev_b32_e32 v2, 25, v2
	v_lshrrev_b32_e32 v4, 4, v2
	v_and_or_b32 v5, v3, s0, 0.5
	v_or_b32_e32 v4, 0x70000000, v4
	v_add_f32_e32 v5, -0.5, v5
	v_mul_f32_e32 v4, 0x7800000, v4
	v_cmp_gt_u32_e32 vcc, s1, v2
	v_bfe_i32 v3, v3, 0, 16
	s_brev_b32 s0, 1
	v_cndmask_b32_e32 v2, v4, v5, vcc
	v_and_or_b32 v2, v3, s0, v2
	v_cvt_i32_f32_e32 v2, v2
.LBB360_570:
	s_mov_b64 s[28:29], 0
	s_mov_b64 s[0:1], -1
.LBB360_571:
	s_andn2_b64 vcc, exec, s[28:29]
	s_cbranch_vccnz .LBB360_584
; %bb.572:
	s_cmp_gt_i32 s31, 14
	s_cbranch_scc0 .LBB360_575
; %bb.573:
	s_cmp_eq_u32 s31, 15
	s_cbranch_scc0 .LBB360_578
; %bb.574:
	global_load_ushort v2, v[0:1], off
	s_mov_b64 s[0:1], -1
	s_mov_b64 s[26:27], 0
	s_waitcnt vmcnt(0)
	v_lshlrev_b32_e32 v2, 16, v2
	v_cvt_i32_f32_e32 v2, v2
	s_branch .LBB360_579
.LBB360_575:
	s_mov_b64 s[28:29], -1
                                        ; implicit-def: $vgpr2
	s_branch .LBB360_580
.LBB360_576:
	s_andn2_saveexec_b64 s[0:1], s[0:1]
	s_cbranch_execz .LBB360_557
.LBB360_577:
	v_cmp_ne_u16_e32 vcc, 0, v3
	s_andn2_b64 s[28:29], s[28:29], exec
	s_and_b64 s[34:35], vcc, exec
	s_or_b64 s[28:29], s[28:29], s[34:35]
	s_or_b64 exec, exec, s[0:1]
	v_mov_b32_e32 v2, 0
	s_and_saveexec_b64 s[0:1], s[28:29]
	s_cbranch_execnz .LBB360_558
	s_branch .LBB360_559
.LBB360_578:
	s_mov_b64 s[26:27], -1
                                        ; implicit-def: $vgpr2
.LBB360_579:
	s_mov_b64 s[28:29], 0
.LBB360_580:
	s_and_b64 vcc, exec, s[28:29]
	s_cbranch_vccz .LBB360_584
; %bb.581:
	s_cmp_eq_u32 s31, 11
	s_cbranch_scc0 .LBB360_583
; %bb.582:
	global_load_ubyte v2, v[0:1], off
	s_mov_b64 s[0:1], -1
	s_mov_b64 s[26:27], 0
	s_waitcnt vmcnt(0)
	v_cmp_ne_u16_e32 vcc, 0, v2
	s_nop 1
	v_cndmask_b32_e64 v2, 0, 1, vcc
	s_branch .LBB360_584
.LBB360_583:
	s_mov_b64 s[26:27], -1
                                        ; implicit-def: $vgpr2
.LBB360_584:
	s_mov_b64 s[28:29], 0
.LBB360_585:
	s_and_b64 vcc, exec, s[28:29]
	s_cbranch_vccz .LBB360_634
; %bb.586:
	s_and_b32 s28, 0xffff, s30
	s_cmp_lt_i32 s28, 5
	s_cbranch_scc1 .LBB360_591
; %bb.587:
	s_cmp_lt_i32 s28, 8
	s_cbranch_scc1 .LBB360_592
; %bb.588:
	;; [unrolled: 3-line block ×3, first 2 shown]
	s_cmp_gt_i32 s28, 9
	s_cbranch_scc0 .LBB360_594
; %bb.590:
	global_load_dwordx2 v[2:3], v[0:1], off
	s_mov_b64 s[0:1], 0
	s_waitcnt vmcnt(0)
	v_cvt_i32_f64_e32 v2, v[2:3]
	s_branch .LBB360_595
.LBB360_591:
	s_mov_b64 s[0:1], -1
                                        ; implicit-def: $vgpr2
	s_branch .LBB360_613
.LBB360_592:
	s_mov_b64 s[0:1], -1
                                        ; implicit-def: $vgpr2
	s_branch .LBB360_601
.LBB360_593:
	s_mov_b64 s[0:1], -1
                                        ; implicit-def: $vgpr2
	s_branch .LBB360_598
.LBB360_594:
	s_mov_b64 s[0:1], -1
                                        ; implicit-def: $vgpr2
.LBB360_595:
	s_andn2_b64 vcc, exec, s[0:1]
	s_cbranch_vccnz .LBB360_597
; %bb.596:
	global_load_dword v2, v[0:1], off
	s_waitcnt vmcnt(0)
	v_cvt_i32_f32_e32 v2, v2
.LBB360_597:
	s_mov_b64 s[0:1], 0
.LBB360_598:
	s_andn2_b64 vcc, exec, s[0:1]
	s_cbranch_vccnz .LBB360_600
; %bb.599:
	global_load_dword v2, v[0:1], off
	s_waitcnt vmcnt(0)
	v_cvt_i16_f16_e32 v2, v2
.LBB360_600:
	s_mov_b64 s[0:1], 0
.LBB360_601:
	s_andn2_b64 vcc, exec, s[0:1]
	s_cbranch_vccnz .LBB360_612
; %bb.602:
	s_cmp_lt_i32 s28, 6
	s_cbranch_scc1 .LBB360_605
; %bb.603:
	s_cmp_gt_i32 s28, 6
	s_cbranch_scc0 .LBB360_606
; %bb.604:
	global_load_dwordx2 v[2:3], v[0:1], off
	s_mov_b64 s[0:1], 0
	s_waitcnt vmcnt(0)
	v_cvt_i32_f64_e32 v2, v[2:3]
	s_branch .LBB360_607
.LBB360_605:
	s_mov_b64 s[0:1], -1
                                        ; implicit-def: $vgpr2
	s_branch .LBB360_610
.LBB360_606:
	s_mov_b64 s[0:1], -1
                                        ; implicit-def: $vgpr2
.LBB360_607:
	s_andn2_b64 vcc, exec, s[0:1]
	s_cbranch_vccnz .LBB360_609
; %bb.608:
	global_load_dword v2, v[0:1], off
	s_waitcnt vmcnt(0)
	v_cvt_i32_f32_e32 v2, v2
.LBB360_609:
	s_mov_b64 s[0:1], 0
.LBB360_610:
	s_andn2_b64 vcc, exec, s[0:1]
	s_cbranch_vccnz .LBB360_612
; %bb.611:
	global_load_ushort v2, v[0:1], off
	s_waitcnt vmcnt(0)
	v_cvt_i16_f16_e32 v2, v2
.LBB360_612:
	s_mov_b64 s[0:1], 0
.LBB360_613:
	s_andn2_b64 vcc, exec, s[0:1]
	s_cbranch_vccnz .LBB360_633
; %bb.614:
	s_cmp_lt_i32 s28, 2
	s_cbranch_scc1 .LBB360_618
; %bb.615:
	s_cmp_lt_i32 s28, 3
	s_cbranch_scc1 .LBB360_619
; %bb.616:
	s_cmp_gt_i32 s28, 3
	s_cbranch_scc0 .LBB360_620
; %bb.617:
	global_load_dwordx2 v[2:3], v[0:1], off
	s_mov_b64 s[0:1], 0
	s_branch .LBB360_621
.LBB360_618:
	s_mov_b64 s[0:1], -1
                                        ; implicit-def: $vgpr2
	s_branch .LBB360_627
.LBB360_619:
	s_mov_b64 s[0:1], -1
                                        ; implicit-def: $vgpr2
	s_branch .LBB360_624
.LBB360_620:
	s_mov_b64 s[0:1], -1
                                        ; implicit-def: $vgpr2
.LBB360_621:
	s_andn2_b64 vcc, exec, s[0:1]
	s_cbranch_vccnz .LBB360_623
; %bb.622:
	global_load_dword v2, v[0:1], off
.LBB360_623:
	s_mov_b64 s[0:1], 0
.LBB360_624:
	s_andn2_b64 vcc, exec, s[0:1]
	s_cbranch_vccnz .LBB360_626
; %bb.625:
	global_load_ushort v2, v[0:1], off
.LBB360_626:
	s_mov_b64 s[0:1], 0
.LBB360_627:
	s_andn2_b64 vcc, exec, s[0:1]
	s_cbranch_vccnz .LBB360_633
; %bb.628:
	s_cmp_gt_i32 s28, 0
	s_cbranch_scc0 .LBB360_630
; %bb.629:
	global_load_ubyte v2, v[0:1], off
	s_mov_b64 s[0:1], 0
	s_branch .LBB360_631
.LBB360_630:
	s_mov_b64 s[0:1], -1
                                        ; implicit-def: $vgpr2
.LBB360_631:
	s_andn2_b64 vcc, exec, s[0:1]
	s_cbranch_vccnz .LBB360_633
; %bb.632:
	global_load_ubyte v2, v[0:1], off
.LBB360_633:
	s_mov_b64 s[0:1], -1
.LBB360_634:
	s_andn2_b64 vcc, exec, s[0:1]
	s_cbranch_vccnz .LBB360_642
; %bb.635:
	v_mul_lo_u32 v0, v10, s8
	s_bfe_i32 s0, s33, 0x80000
	v_ashrrev_i32_e32 v1, 31, v0
	s_and_b32 s36, s42, 0xff
	s_waitcnt vmcnt(0)
	v_max_i16_sdwa v4, sext(v2), s0 dst_sel:DWORD dst_unused:UNUSED_PAD src0_sel:BYTE_0 src1_sel:DWORD
	s_cmp_lt_i32 s36, 11
	v_lshl_add_u64 v[0:1], s[4:5], 0, v[0:1]
	s_cbranch_scc1 .LBB360_643
; %bb.636:
	s_and_b32 s37, 0xffff, s36
	s_cmp_gt_i32 s37, 25
	s_cbranch_scc0 .LBB360_644
; %bb.637:
	s_cmp_gt_i32 s37, 28
	s_cbranch_scc0 .LBB360_645
; %bb.638:
	;; [unrolled: 3-line block ×4, first 2 shown]
	s_mov_b64 s[30:31], 0
	s_mov_b64 s[0:1], -1
	s_cmp_eq_u32 s37, 46
	s_mov_b64 s[28:29], 0
	s_cbranch_scc0 .LBB360_648
; %bb.641:
	v_cvt_f32_i32_sdwa v2, sext(v4) dst_sel:DWORD dst_unused:UNUSED_PAD src0_sel:WORD_0
	s_movk_i32 s0, 0x7fff
	s_mov_b64 s[28:29], -1
	v_bfe_u32 v3, v2, 16, 1
	v_add3_u32 v2, v2, v3, s0
	v_lshrrev_b32_e32 v2, 16, v2
	global_store_dword v[0:1], v2, off
	s_mov_b64 s[0:1], 0
	s_branch .LBB360_648
.LBB360_642:
	s_mov_b64 s[30:31], 0
                                        ; implicit-def: $vgpr10
	s_mov_b64 s[0:1], s[20:21]
	s_branch .LBB360_759
.LBB360_643:
	s_mov_b64 s[30:31], -1
	s_mov_b64 s[28:29], 0
	s_mov_b64 s[0:1], s[20:21]
	s_branch .LBB360_717
.LBB360_644:
	s_mov_b64 s[30:31], -1
	s_mov_b64 s[28:29], 0
	s_mov_b64 s[0:1], s[20:21]
	s_branch .LBB360_675
.LBB360_645:
	s_mov_b64 s[30:31], -1
	s_mov_b64 s[28:29], 0
	s_mov_b64 s[0:1], s[20:21]
	s_branch .LBB360_658
.LBB360_646:
	s_mov_b64 s[30:31], -1
	s_mov_b64 s[28:29], 0
	s_mov_b64 s[0:1], s[20:21]
	s_branch .LBB360_654
.LBB360_647:
	s_mov_b64 s[30:31], -1
	s_mov_b64 s[28:29], 0
	s_mov_b64 s[0:1], s[20:21]
.LBB360_648:
	s_and_b64 vcc, exec, s[30:31]
	s_cbranch_vccz .LBB360_653
; %bb.649:
	s_cmp_eq_u32 s37, 44
	s_mov_b64 s[0:1], -1
	s_cbranch_scc0 .LBB360_653
; %bb.650:
	v_cvt_f32_i32_sdwa v2, sext(v4) dst_sel:DWORD dst_unused:UNUSED_PAD src0_sel:WORD_0
	s_movk_i32 s0, 0xff
	v_mov_b32_e32 v5, 0xff
	v_bfe_u32 v3, v2, 23, 8
	v_cmp_ne_u32_e32 vcc, s0, v3
	s_and_saveexec_b64 s[28:29], vcc
; %bb.651:
	s_mov_b32 s0, 0x3fffff
	v_lshrrev_b32_e32 v5, 23, v2
	v_and_b32_e32 v6, 0x400000, v2
	v_and_or_b32 v2, v2, s0, v3
	v_cmp_ne_u32_e32 vcc, 0, v6
	v_cmp_ne_u32_e64 s[0:1], 0, v2
	s_and_b64 s[0:1], vcc, s[0:1]
	s_nop 0
	v_cndmask_b32_e64 v2, 0, 1, s[0:1]
	v_add_u32_e32 v5, v5, v2
; %bb.652:
	s_or_b64 exec, exec, s[28:29]
	s_mov_b64 s[28:29], -1
	s_mov_b64 s[0:1], 0
	global_store_byte v[0:1], v5, off
.LBB360_653:
	s_mov_b64 s[30:31], 0
.LBB360_654:
	s_and_b64 vcc, exec, s[30:31]
	s_cbranch_vccz .LBB360_657
; %bb.655:
	s_cmp_eq_u32 s37, 29
	s_mov_b64 s[0:1], -1
	s_cbranch_scc0 .LBB360_657
; %bb.656:
	v_bfe_i32 v2, v4, 0, 16
	v_ashrrev_i32_e32 v3, 31, v2
	global_store_dwordx2 v[0:1], v[2:3], off
	s_mov_b64 s[28:29], -1
	s_mov_b64 s[0:1], 0
.LBB360_657:
	s_mov_b64 s[30:31], 0
.LBB360_658:
	s_and_b64 vcc, exec, s[30:31]
	s_cbranch_vccz .LBB360_674
; %bb.659:
	s_cmp_lt_i32 s37, 27
	s_mov_b64 s[28:29], -1
	s_cbranch_scc1 .LBB360_665
; %bb.660:
	s_cmp_gt_i32 s37, 27
	s_cbranch_scc0 .LBB360_662
; %bb.661:
	v_bfe_i32 v2, v4, 0, 16
	s_mov_b64 s[28:29], 0
	global_store_dword v[0:1], v2, off
.LBB360_662:
	s_andn2_b64 vcc, exec, s[28:29]
	s_cbranch_vccnz .LBB360_664
; %bb.663:
	global_store_short v[0:1], v4, off
.LBB360_664:
	s_mov_b64 s[28:29], 0
.LBB360_665:
	s_andn2_b64 vcc, exec, s[28:29]
	s_cbranch_vccnz .LBB360_673
; %bb.666:
	v_cvt_f32_i32_sdwa v2, sext(v4) dst_sel:DWORD dst_unused:UNUSED_PAD src0_sel:WORD_0
	s_mov_b32 s28, 0x43800000
	v_mov_b32_e32 v5, 0x80
	v_and_b32_e32 v3, 0x7fffffff, v2
	v_cmp_gt_u32_e32 vcc, s28, v3
	s_and_saveexec_b64 s[28:29], vcc
	s_cbranch_execz .LBB360_672
; %bb.667:
	s_mov_b32 s30, 0x3bffffff
	v_cmp_lt_u32_e32 vcc, s30, v3
	s_mov_b64 s[30:31], 0
                                        ; implicit-def: $vgpr3
	s_and_saveexec_b64 s[34:35], vcc
	s_xor_b64 s[34:35], exec, s[34:35]
	s_cbranch_execz .LBB360_773
; %bb.668:
	v_bfe_u32 v3, v2, 20, 1
	s_mov_b32 s39, 0x487ffff
	v_add3_u32 v3, v2, v3, s39
	s_mov_b64 s[30:31], exec
	v_lshrrev_b32_e32 v3, 20, v3
	s_andn2_saveexec_b64 s[34:35], s[34:35]
	s_cbranch_execnz .LBB360_774
.LBB360_669:
	s_or_b64 exec, exec, s[34:35]
	v_mov_b32_e32 v5, 0
	s_and_saveexec_b64 s[34:35], s[30:31]
.LBB360_670:
	v_lshrrev_b32_e32 v2, 24, v2
	s_movk_i32 s30, 0x80
	v_and_or_b32 v5, v2, s30, v3
.LBB360_671:
	s_or_b64 exec, exec, s[34:35]
.LBB360_672:
	s_or_b64 exec, exec, s[28:29]
	global_store_byte v[0:1], v5, off
.LBB360_673:
	s_mov_b64 s[28:29], -1
.LBB360_674:
	s_mov_b64 s[30:31], 0
.LBB360_675:
	s_and_b64 vcc, exec, s[30:31]
	s_cbranch_vccz .LBB360_716
; %bb.676:
	s_cmp_gt_i32 s37, 22
	s_mov_b64 s[30:31], -1
	s_cbranch_scc0 .LBB360_708
; %bb.677:
	s_cmp_lt_i32 s37, 24
	s_mov_b64 s[28:29], -1
	s_cbranch_scc1 .LBB360_697
; %bb.678:
	s_cmp_gt_i32 s37, 24
	s_cbranch_scc0 .LBB360_686
; %bb.679:
	v_cvt_f32_i32_sdwa v2, sext(v4) dst_sel:DWORD dst_unused:UNUSED_PAD src0_sel:WORD_0
	s_mov_b32 s28, 0x47800000
	v_mov_b32_e32 v5, 0x80
	v_and_b32_e32 v3, 0x7fffffff, v2
	v_cmp_gt_u32_e32 vcc, s28, v3
	s_and_saveexec_b64 s[28:29], vcc
	s_cbranch_execz .LBB360_685
; %bb.680:
	s_mov_b32 s30, 0x37ffffff
	v_cmp_lt_u32_e32 vcc, s30, v3
	s_mov_b64 s[30:31], 0
                                        ; implicit-def: $vgpr3
	s_and_saveexec_b64 s[34:35], vcc
	s_xor_b64 s[34:35], exec, s[34:35]
	s_cbranch_execz .LBB360_776
; %bb.681:
	v_bfe_u32 v3, v2, 21, 1
	s_mov_b32 s39, 0x88fffff
	v_add3_u32 v3, v2, v3, s39
	s_mov_b64 s[30:31], exec
	v_lshrrev_b32_e32 v3, 21, v3
	s_andn2_saveexec_b64 s[34:35], s[34:35]
	s_cbranch_execnz .LBB360_777
.LBB360_682:
	s_or_b64 exec, exec, s[34:35]
	v_mov_b32_e32 v5, 0
	s_and_saveexec_b64 s[34:35], s[30:31]
.LBB360_683:
	v_lshrrev_b32_e32 v2, 24, v2
	s_movk_i32 s30, 0x80
	v_and_or_b32 v5, v2, s30, v3
.LBB360_684:
	s_or_b64 exec, exec, s[34:35]
.LBB360_685:
	s_or_b64 exec, exec, s[28:29]
	s_mov_b64 s[28:29], 0
	global_store_byte v[0:1], v5, off
.LBB360_686:
	s_and_b64 vcc, exec, s[28:29]
	s_cbranch_vccz .LBB360_696
; %bb.687:
	v_cvt_f32_i32_sdwa v2, sext(v4) dst_sel:DWORD dst_unused:UNUSED_PAD src0_sel:WORD_0
	s_mov_b32 s28, 0x43f00000
                                        ; implicit-def: $vgpr3
	v_and_b32_e32 v5, 0x7fffffff, v2
	v_cmp_gt_u32_e32 vcc, s28, v5
	s_and_saveexec_b64 s[28:29], vcc
	s_xor_b64 s[28:29], exec, s[28:29]
	s_cbranch_execz .LBB360_693
; %bb.688:
	s_mov_b32 s30, 0x3c7fffff
	v_cmp_lt_u32_e32 vcc, s30, v5
                                        ; implicit-def: $vgpr3
	s_and_saveexec_b64 s[30:31], vcc
	s_xor_b64 s[30:31], exec, s[30:31]
; %bb.689:
	v_bfe_u32 v3, v2, 20, 1
	s_mov_b32 s34, 0x407ffff
	v_add3_u32 v3, v2, v3, s34
	v_lshrrev_b32_e32 v5, 20, v3
	v_and_b32_e32 v3, 0xff00000, v3
	s_mov_b32 s34, 0x7f00000
	v_mov_b32_e32 v6, 0x7e
	v_cmp_ne_u32_e32 vcc, s34, v3
	s_nop 1
	v_cndmask_b32_e32 v3, v6, v5, vcc
; %bb.690:
	s_andn2_saveexec_b64 s[30:31], s[30:31]
; %bb.691:
	s_mov_b32 s34, 0x46800000
	v_add_f32_e64 v3, |v2|, s34
; %bb.692:
	s_or_b64 exec, exec, s[30:31]
                                        ; implicit-def: $vgpr5
.LBB360_693:
	s_andn2_saveexec_b64 s[28:29], s[28:29]
; %bb.694:
	s_mov_b32 s30, 0x7f800000
	v_mov_b32_e32 v3, 0x7e
	v_mov_b32_e32 v6, 0x7f
	v_cmp_lt_u32_e32 vcc, s30, v5
	s_nop 1
	v_cndmask_b32_e32 v3, v3, v6, vcc
; %bb.695:
	s_or_b64 exec, exec, s[28:29]
	v_lshrrev_b32_e32 v2, 24, v2
	s_movk_i32 s28, 0x80
	v_and_or_b32 v2, v2, s28, v3
	global_store_byte v[0:1], v2, off
.LBB360_696:
	s_mov_b64 s[28:29], 0
.LBB360_697:
	s_andn2_b64 vcc, exec, s[28:29]
	s_cbranch_vccnz .LBB360_707
; %bb.698:
	v_cvt_f32_i32_sdwa v2, sext(v4) dst_sel:DWORD dst_unused:UNUSED_PAD src0_sel:WORD_0
	s_mov_b32 s28, 0x47800000
                                        ; implicit-def: $vgpr3
	v_and_b32_e32 v5, 0x7fffffff, v2
	v_cmp_gt_u32_e32 vcc, s28, v5
	s_and_saveexec_b64 s[28:29], vcc
	s_xor_b64 s[28:29], exec, s[28:29]
	s_cbranch_execz .LBB360_704
; %bb.699:
	s_mov_b32 s30, 0x387fffff
	v_cmp_lt_u32_e32 vcc, s30, v5
                                        ; implicit-def: $vgpr3
	s_and_saveexec_b64 s[30:31], vcc
	s_xor_b64 s[30:31], exec, s[30:31]
; %bb.700:
	v_bfe_u32 v3, v2, 21, 1
	s_mov_b32 s34, 0x80fffff
	v_add3_u32 v3, v2, v3, s34
	v_lshrrev_b32_e32 v3, 21, v3
; %bb.701:
	s_andn2_saveexec_b64 s[30:31], s[30:31]
; %bb.702:
	s_mov_b32 s34, 0x43000000
	v_add_f32_e64 v3, |v2|, s34
; %bb.703:
	s_or_b64 exec, exec, s[30:31]
                                        ; implicit-def: $vgpr5
.LBB360_704:
	s_andn2_saveexec_b64 s[28:29], s[28:29]
; %bb.705:
	s_mov_b32 s30, 0x7f800000
	v_mov_b32_e32 v3, 0x7c
	v_mov_b32_e32 v6, 0x7f
	v_cmp_lt_u32_e32 vcc, s30, v5
	s_nop 1
	v_cndmask_b32_e32 v3, v3, v6, vcc
; %bb.706:
	s_or_b64 exec, exec, s[28:29]
	v_lshrrev_b32_e32 v2, 24, v2
	s_movk_i32 s28, 0x80
	v_and_or_b32 v2, v2, s28, v3
	global_store_byte v[0:1], v2, off
.LBB360_707:
	s_mov_b64 s[30:31], 0
	s_mov_b64 s[28:29], -1
.LBB360_708:
	s_andn2_b64 vcc, exec, s[30:31]
	s_cbranch_vccnz .LBB360_716
; %bb.709:
	s_cmp_gt_i32 s37, 14
	s_mov_b64 s[30:31], -1
	s_cbranch_scc0 .LBB360_713
; %bb.710:
	s_cmp_eq_u32 s37, 15
	s_mov_b64 s[0:1], -1
	s_cbranch_scc0 .LBB360_712
; %bb.711:
	v_cvt_f32_i32_sdwa v2, sext(v4) dst_sel:DWORD dst_unused:UNUSED_PAD src0_sel:WORD_0
	s_movk_i32 s0, 0x7fff
	s_mov_b64 s[28:29], -1
	v_bfe_u32 v3, v2, 16, 1
	v_add3_u32 v2, v2, v3, s0
	global_store_short_d16_hi v[0:1], v2, off
	s_mov_b64 s[0:1], 0
.LBB360_712:
	s_mov_b64 s[30:31], 0
.LBB360_713:
	s_and_b64 vcc, exec, s[30:31]
	s_cbranch_vccz .LBB360_716
; %bb.714:
	s_cmp_eq_u32 s37, 11
	s_mov_b64 s[0:1], -1
	s_cbranch_scc0 .LBB360_716
; %bb.715:
	v_cmp_ne_u16_e32 vcc, 0, v4
	s_mov_b64 s[28:29], -1
	s_mov_b64 s[0:1], 0
	v_cndmask_b32_e64 v2, 0, 1, vcc
	global_store_byte v[0:1], v2, off
.LBB360_716:
	s_mov_b64 s[30:31], 0
.LBB360_717:
	s_and_b64 vcc, exec, s[30:31]
	s_cbranch_vccz .LBB360_756
; %bb.718:
	s_and_b32 s30, 0xffff, s36
	s_cmp_lt_i32 s30, 5
	s_mov_b64 s[28:29], -1
	s_cbranch_scc1 .LBB360_739
; %bb.719:
	s_cmp_lt_i32 s30, 8
	s_cbranch_scc1 .LBB360_729
; %bb.720:
	s_cmp_lt_i32 s30, 9
	s_cbranch_scc1 .LBB360_726
; %bb.721:
	s_cmp_gt_i32 s30, 9
	s_cbranch_scc0 .LBB360_723
; %bb.722:
	v_bfe_i32 v2, v4, 0, 16
	v_mov_b32_e32 v8, 0
	v_cvt_f64_i32_e32 v[6:7], v2
	v_mov_b32_e32 v9, v8
	s_mov_b64 s[28:29], 0
	global_store_dwordx4 v[0:1], v[6:9], off
.LBB360_723:
	s_andn2_b64 vcc, exec, s[28:29]
	s_cbranch_vccnz .LBB360_725
; %bb.724:
	v_cvt_f32_i32_sdwa v2, sext(v4) dst_sel:DWORD dst_unused:UNUSED_PAD src0_sel:WORD_0
	v_mov_b32_e32 v3, 0
	global_store_dwordx2 v[0:1], v[2:3], off
.LBB360_725:
	s_mov_b64 s[28:29], 0
.LBB360_726:
	s_andn2_b64 vcc, exec, s[28:29]
	s_cbranch_vccnz .LBB360_728
; %bb.727:
	v_cvt_f16_i16_e32 v2, v4
	global_store_dword v[0:1], v2, off
.LBB360_728:
	s_mov_b64 s[28:29], 0
.LBB360_729:
	s_andn2_b64 vcc, exec, s[28:29]
	s_cbranch_vccnz .LBB360_738
; %bb.730:
	s_cmp_lt_i32 s30, 6
	s_mov_b64 s[28:29], -1
	s_cbranch_scc1 .LBB360_736
; %bb.731:
	s_cmp_gt_i32 s30, 6
	s_cbranch_scc0 .LBB360_733
; %bb.732:
	v_bfe_i32 v2, v4, 0, 16
	v_cvt_f64_i32_e32 v[2:3], v2
	s_mov_b64 s[28:29], 0
	global_store_dwordx2 v[0:1], v[2:3], off
.LBB360_733:
	s_andn2_b64 vcc, exec, s[28:29]
	s_cbranch_vccnz .LBB360_735
; %bb.734:
	v_cvt_f32_i32_sdwa v2, sext(v4) dst_sel:DWORD dst_unused:UNUSED_PAD src0_sel:WORD_0
	global_store_dword v[0:1], v2, off
.LBB360_735:
	s_mov_b64 s[28:29], 0
.LBB360_736:
	s_andn2_b64 vcc, exec, s[28:29]
	s_cbranch_vccnz .LBB360_738
; %bb.737:
	v_cvt_f16_i16_e32 v2, v4
	global_store_short v[0:1], v2, off
.LBB360_738:
	s_mov_b64 s[28:29], 0
.LBB360_739:
	s_andn2_b64 vcc, exec, s[28:29]
	s_cbranch_vccnz .LBB360_755
; %bb.740:
	s_cmp_lt_i32 s30, 2
	s_mov_b64 s[28:29], -1
	s_cbranch_scc1 .LBB360_750
; %bb.741:
	s_cmp_lt_i32 s30, 3
	s_cbranch_scc1 .LBB360_747
; %bb.742:
	s_cmp_gt_i32 s30, 3
	v_bfe_i32 v2, v4, 0, 16
	s_cbranch_scc0 .LBB360_744
; %bb.743:
	v_ashrrev_i32_e32 v3, 31, v2
	s_mov_b64 s[28:29], 0
	global_store_dwordx2 v[0:1], v[2:3], off
.LBB360_744:
	s_andn2_b64 vcc, exec, s[28:29]
	s_cbranch_vccnz .LBB360_746
; %bb.745:
	global_store_dword v[0:1], v2, off
.LBB360_746:
	s_mov_b64 s[28:29], 0
.LBB360_747:
	s_andn2_b64 vcc, exec, s[28:29]
	s_cbranch_vccnz .LBB360_749
; %bb.748:
	global_store_short v[0:1], v4, off
.LBB360_749:
	s_mov_b64 s[28:29], 0
.LBB360_750:
	s_andn2_b64 vcc, exec, s[28:29]
	s_cbranch_vccnz .LBB360_755
; %bb.751:
	s_cmp_gt_i32 s30, 0
	s_mov_b64 s[28:29], -1
	s_cbranch_scc0 .LBB360_753
; %bb.752:
	s_mov_b64 s[28:29], 0
	global_store_byte v[0:1], v4, off
.LBB360_753:
	s_andn2_b64 vcc, exec, s[28:29]
	s_cbranch_vccnz .LBB360_755
; %bb.754:
	global_store_byte v[0:1], v4, off
.LBB360_755:
	s_mov_b64 s[28:29], -1
.LBB360_756:
	s_andn2_b64 vcc, exec, s[28:29]
	s_cbranch_vccnz .LBB360_758
; %bb.757:
	v_add_u32_e32 v10, 0x80, v10
	s_mov_b64 s[30:31], -1
	s_branch .LBB360_759
.LBB360_758:
	s_mov_b64 s[30:31], 0
                                        ; implicit-def: $vgpr10
.LBB360_759:
	s_andn2_b64 s[28:29], s[20:21], exec
	s_and_b64 s[0:1], s[0:1], exec
	s_or_b64 s[28:29], s[28:29], s[0:1]
	s_andn2_b64 s[0:1], s[18:19], exec
	s_and_b64 s[26:27], s[26:27], exec
	s_or_b64 s[0:1], s[0:1], s[26:27]
	s_orn2_b64 s[34:35], s[30:31], exec
.LBB360_760:
	s_or_b64 exec, exec, s[24:25]
	s_mov_b64 s[30:31], 0
	s_mov_b64 s[26:27], 0
	;; [unrolled: 1-line block ×3, first 2 shown]
                                        ; implicit-def: $sgpr44
                                        ; implicit-def: $vgpr0_vgpr1
                                        ; implicit-def: $vgpr2
	s_and_saveexec_b64 s[24:25], s[34:35]
	s_cbranch_execz .LBB360_841
; %bb.761:
	v_cmp_gt_i32_e32 vcc, s38, v10
	s_mov_b64 s[34:35], 0
	s_mov_b64 s[38:39], s[0:1]
	;; [unrolled: 1-line block ×3, first 2 shown]
                                        ; implicit-def: $sgpr44
                                        ; implicit-def: $vgpr0_vgpr1
                                        ; implicit-def: $vgpr2
	s_and_saveexec_b64 s[26:27], vcc
	s_cbranch_execz .LBB360_840
; %bb.762:
	v_mul_lo_u32 v0, v10, s9
	v_ashrrev_i32_e32 v1, 31, v0
	s_and_b32 s44, s43, 0xff
	s_cmp_lt_i32 s44, 11
	v_lshl_add_u64 v[0:1], s[6:7], 0, v[0:1]
	s_cbranch_scc1 .LBB360_769
; %bb.763:
	s_and_b32 s40, 0xffff, s44
	s_cmp_gt_i32 s40, 25
	s_cbranch_scc0 .LBB360_770
; %bb.764:
	s_cmp_gt_i32 s40, 28
	s_cbranch_scc0 .LBB360_771
; %bb.765:
	s_cmp_gt_i32 s40, 43
	s_cbranch_scc0 .LBB360_772
; %bb.766:
	s_cmp_gt_i32 s40, 45
	s_cbranch_scc0 .LBB360_775
; %bb.767:
	s_cmp_eq_u32 s40, 46
	s_mov_b64 s[38:39], 0
	s_cbranch_scc0 .LBB360_778
; %bb.768:
	global_load_dword v2, v[0:1], off
	s_mov_b64 s[36:37], -1
	s_waitcnt vmcnt(0)
	v_lshlrev_b32_e32 v2, 16, v2
	v_cvt_i32_f32_e32 v2, v2
	s_branch .LBB360_780
.LBB360_769:
	s_mov_b64 s[38:39], -1
                                        ; implicit-def: $vgpr2
	s_mov_b64 s[30:31], s[0:1]
	s_branch .LBB360_839
.LBB360_770:
	s_mov_b64 s[38:39], -1
	s_mov_b64 s[30:31], s[0:1]
                                        ; implicit-def: $vgpr2
	s_branch .LBB360_807
.LBB360_771:
	s_mov_b64 s[38:39], -1
	s_mov_b64 s[30:31], s[0:1]
                                        ; implicit-def: $vgpr2
	s_branch .LBB360_790
.LBB360_772:
	s_mov_b64 s[38:39], -1
	s_mov_b64 s[30:31], s[0:1]
                                        ; implicit-def: $vgpr2
	s_branch .LBB360_785
.LBB360_773:
	s_andn2_saveexec_b64 s[34:35], s[34:35]
	s_cbranch_execz .LBB360_669
.LBB360_774:
	s_mov_b32 s39, 0x46000000
	v_add_f32_e64 v3, |v2|, s39
	v_and_b32_e32 v3, 0xff, v3
	v_cmp_ne_u32_e32 vcc, 0, v3
	s_andn2_b64 s[30:31], s[30:31], exec
	s_and_b64 s[40:41], vcc, exec
	s_or_b64 s[30:31], s[30:31], s[40:41]
	s_or_b64 exec, exec, s[34:35]
	v_mov_b32_e32 v5, 0
	s_and_saveexec_b64 s[34:35], s[30:31]
	s_cbranch_execnz .LBB360_670
	s_branch .LBB360_671
.LBB360_775:
	s_mov_b64 s[38:39], -1
	s_mov_b64 s[30:31], s[0:1]
	s_branch .LBB360_779
.LBB360_776:
	s_andn2_saveexec_b64 s[34:35], s[34:35]
	s_cbranch_execz .LBB360_682
.LBB360_777:
	s_mov_b32 s39, 0x42800000
	v_add_f32_e64 v3, |v2|, s39
	v_and_b32_e32 v3, 0xff, v3
	v_cmp_ne_u32_e32 vcc, 0, v3
	s_andn2_b64 s[30:31], s[30:31], exec
	s_and_b64 s[40:41], vcc, exec
	s_or_b64 s[30:31], s[30:31], s[40:41]
	s_or_b64 exec, exec, s[34:35]
	v_mov_b32_e32 v5, 0
	s_and_saveexec_b64 s[34:35], s[30:31]
	s_cbranch_execnz .LBB360_683
	s_branch .LBB360_684
.LBB360_778:
	s_mov_b64 s[30:31], -1
.LBB360_779:
                                        ; implicit-def: $vgpr2
.LBB360_780:
	s_and_b64 vcc, exec, s[38:39]
	s_cbranch_vccz .LBB360_784
; %bb.781:
	s_cmp_eq_u32 s40, 44
	s_cbranch_scc0 .LBB360_783
; %bb.782:
	global_load_ubyte v2, v[0:1], off
	s_mov_b64 s[30:31], 0
	s_mov_b64 s[36:37], -1
	s_waitcnt vmcnt(0)
	v_lshlrev_b32_e32 v3, 23, v2
	v_cvt_i32_f32_e32 v3, v3
	v_cmp_ne_u32_e32 vcc, 0, v2
	s_nop 1
	v_cndmask_b32_e32 v2, 0, v3, vcc
	s_branch .LBB360_784
.LBB360_783:
	s_mov_b64 s[30:31], -1
                                        ; implicit-def: $vgpr2
.LBB360_784:
	s_mov_b64 s[38:39], 0
.LBB360_785:
	s_and_b64 vcc, exec, s[38:39]
	s_cbranch_vccz .LBB360_789
; %bb.786:
	s_cmp_eq_u32 s40, 29
	s_cbranch_scc0 .LBB360_788
; %bb.787:
	global_load_dwordx2 v[2:3], v[0:1], off
	s_mov_b64 s[30:31], 0
	s_mov_b64 s[36:37], -1
	s_branch .LBB360_789
.LBB360_788:
	s_mov_b64 s[30:31], -1
                                        ; implicit-def: $vgpr2
.LBB360_789:
	s_mov_b64 s[38:39], 0
.LBB360_790:
	s_and_b64 vcc, exec, s[38:39]
	s_cbranch_vccz .LBB360_806
; %bb.791:
	s_cmp_lt_i32 s40, 27
	s_cbranch_scc1 .LBB360_794
; %bb.792:
	s_cmp_gt_i32 s40, 27
	s_cbranch_scc0 .LBB360_795
; %bb.793:
	global_load_dword v2, v[0:1], off
	s_mov_b64 s[36:37], 0
	s_branch .LBB360_796
.LBB360_794:
	s_mov_b64 s[36:37], -1
                                        ; implicit-def: $vgpr2
	s_branch .LBB360_799
.LBB360_795:
	s_mov_b64 s[36:37], -1
                                        ; implicit-def: $vgpr2
.LBB360_796:
	s_andn2_b64 vcc, exec, s[36:37]
	s_cbranch_vccnz .LBB360_798
; %bb.797:
	global_load_ushort v2, v[0:1], off
.LBB360_798:
	s_mov_b64 s[36:37], 0
.LBB360_799:
	s_andn2_b64 vcc, exec, s[36:37]
	s_cbranch_vccnz .LBB360_805
; %bb.800:
	global_load_ubyte v3, v[0:1], off
	s_movk_i32 s36, 0x7f
	s_mov_b64 s[38:39], 0
	s_waitcnt vmcnt(0)
	v_cmp_lt_i16_e32 vcc, s36, v3
	s_and_saveexec_b64 s[36:37], vcc
	s_xor_b64 s[36:37], exec, s[36:37]
	s_cbranch_execz .LBB360_817
; %bb.801:
	s_movk_i32 s38, 0x80
	v_cmp_ne_u16_e32 vcc, s38, v3
	s_and_b64 s[38:39], vcc, exec
	s_andn2_saveexec_b64 s[36:37], s[36:37]
	s_cbranch_execnz .LBB360_818
.LBB360_802:
	s_or_b64 exec, exec, s[36:37]
	v_mov_b32_e32 v2, 0
	s_and_saveexec_b64 s[36:37], s[38:39]
	s_cbranch_execz .LBB360_804
.LBB360_803:
	v_lshlrev_b32_e32 v2, 24, v3
	v_and_b32_e32 v3, 0xffff, v3
	v_and_b32_e32 v4, 7, v3
	v_ffbh_u32_e32 v6, v4
	v_min_u32_e32 v6, 32, v6
	v_subrev_u32_e32 v7, 28, v6
	v_bfe_u32 v5, v3, 3, 4
	v_lshlrev_b32_e32 v3, v7, v3
	v_sub_u32_e32 v6, 29, v6
	v_and_b32_e32 v3, 7, v3
	v_cmp_eq_u32_e32 vcc, 0, v5
	v_and_b32_e32 v2, 0x80000000, v2
	s_nop 0
	v_cndmask_b32_e32 v5, v5, v6, vcc
	v_cndmask_b32_e32 v3, v4, v3, vcc
	v_mov_b32_e32 v4, 0x3b800000
	v_lshlrev_b32_e32 v3, 20, v3
	v_lshl_add_u32 v4, v5, 23, v4
	v_or3_b32 v2, v2, v4, v3
	v_cvt_i32_f32_e32 v2, v2
.LBB360_804:
	s_or_b64 exec, exec, s[36:37]
.LBB360_805:
	s_mov_b64 s[36:37], -1
.LBB360_806:
	s_mov_b64 s[38:39], 0
.LBB360_807:
	s_and_b64 vcc, exec, s[38:39]
	s_cbranch_vccz .LBB360_838
; %bb.808:
	s_cmp_gt_i32 s40, 22
	s_cbranch_scc0 .LBB360_816
; %bb.809:
	s_cmp_lt_i32 s40, 24
	s_cbranch_scc1 .LBB360_819
; %bb.810:
	s_cmp_gt_i32 s40, 24
	s_cbranch_scc0 .LBB360_820
; %bb.811:
	global_load_ubyte v3, v[0:1], off
	s_movk_i32 s34, 0x7f
	s_mov_b64 s[36:37], 0
	s_waitcnt vmcnt(0)
	v_cmp_lt_i16_e32 vcc, s34, v3
	s_and_saveexec_b64 s[34:35], vcc
	s_xor_b64 s[34:35], exec, s[34:35]
	s_cbranch_execz .LBB360_832
; %bb.812:
	s_movk_i32 s36, 0x80
	v_cmp_ne_u16_e32 vcc, s36, v3
	s_and_b64 s[36:37], vcc, exec
	s_andn2_saveexec_b64 s[34:35], s[34:35]
	s_cbranch_execnz .LBB360_833
.LBB360_813:
	s_or_b64 exec, exec, s[34:35]
	v_mov_b32_e32 v2, 0
	s_and_saveexec_b64 s[34:35], s[36:37]
	s_cbranch_execz .LBB360_815
.LBB360_814:
	v_lshlrev_b32_e32 v2, 24, v3
	v_and_b32_e32 v3, 0xffff, v3
	v_and_b32_e32 v4, 3, v3
	v_ffbh_u32_e32 v6, v4
	v_min_u32_e32 v6, 32, v6
	v_subrev_u32_e32 v7, 29, v6
	v_bfe_u32 v5, v3, 2, 5
	v_lshlrev_b32_e32 v3, v7, v3
	v_sub_u32_e32 v6, 30, v6
	v_and_b32_e32 v3, 3, v3
	v_cmp_eq_u32_e32 vcc, 0, v5
	v_and_b32_e32 v2, 0x80000000, v2
	s_nop 0
	v_cndmask_b32_e32 v5, v5, v6, vcc
	v_cndmask_b32_e32 v3, v4, v3, vcc
	v_mov_b32_e32 v4, 0x37800000
	v_lshlrev_b32_e32 v3, 21, v3
	v_lshl_add_u32 v4, v5, 23, v4
	v_or3_b32 v2, v2, v4, v3
	v_cvt_i32_f32_e32 v2, v2
.LBB360_815:
	s_or_b64 exec, exec, s[34:35]
	s_mov_b64 s[34:35], 0
	s_branch .LBB360_821
.LBB360_816:
	s_mov_b64 s[34:35], -1
                                        ; implicit-def: $vgpr2
	s_branch .LBB360_827
.LBB360_817:
	s_andn2_saveexec_b64 s[36:37], s[36:37]
	s_cbranch_execz .LBB360_802
.LBB360_818:
	v_cmp_ne_u16_e32 vcc, 0, v3
	s_andn2_b64 s[38:39], s[38:39], exec
	s_and_b64 s[46:47], vcc, exec
	s_or_b64 s[38:39], s[38:39], s[46:47]
	s_or_b64 exec, exec, s[36:37]
	v_mov_b32_e32 v2, 0
	s_and_saveexec_b64 s[36:37], s[38:39]
	s_cbranch_execnz .LBB360_803
	s_branch .LBB360_804
.LBB360_819:
	s_mov_b64 s[34:35], -1
                                        ; implicit-def: $vgpr2
	s_branch .LBB360_824
.LBB360_820:
	s_mov_b64 s[34:35], -1
                                        ; implicit-def: $vgpr2
.LBB360_821:
	s_and_b64 vcc, exec, s[34:35]
	s_cbranch_vccz .LBB360_823
; %bb.822:
	global_load_ubyte v2, v[0:1], off
	s_mov_b32 s34, 0x7f800000
	s_waitcnt vmcnt(0)
	v_lshlrev_b32_e32 v2, 24, v2
	v_and_b32_e32 v3, 0x7f000000, v2
	v_ffbh_u32_e32 v4, v3
	v_min_u32_e32 v4, 32, v4
	v_sub_u32_e64 v4, v4, 4 clamp
	v_lshlrev_b32_e32 v6, v4, v3
	v_lshlrev_b32_e32 v4, 23, v4
	v_lshrrev_b32_e32 v6, 4, v6
	v_add_u32_e32 v5, 0x1000000, v3
	v_sub_u32_e32 v4, v6, v4
	v_ashrrev_i32_e32 v5, 8, v5
	v_add_u32_e32 v4, 0x3c000000, v4
	v_and_or_b32 v4, v5, s34, v4
	v_cmp_ne_u32_e32 vcc, 0, v3
	s_brev_b32 s34, 1
	s_nop 0
	v_cndmask_b32_e32 v3, 0, v4, vcc
	v_and_or_b32 v2, v2, s34, v3
	v_cvt_i32_f32_e32 v2, v2
.LBB360_823:
	s_mov_b64 s[34:35], 0
.LBB360_824:
	s_andn2_b64 vcc, exec, s[34:35]
	s_cbranch_vccnz .LBB360_826
; %bb.825:
	global_load_ubyte v2, v[0:1], off
	s_movk_i32 s34, 0x7f00
	s_brev_b32 s35, 16
	s_waitcnt vmcnt(0)
	v_lshlrev_b16_e32 v3, 8, v2
	v_lshlrev_b32_e32 v2, 25, v2
	v_lshrrev_b32_e32 v4, 4, v2
	v_and_or_b32 v5, v3, s34, 0.5
	v_or_b32_e32 v4, 0x70000000, v4
	v_add_f32_e32 v5, -0.5, v5
	v_mul_f32_e32 v4, 0x7800000, v4
	v_cmp_gt_u32_e32 vcc, s35, v2
	v_bfe_i32 v3, v3, 0, 16
	s_brev_b32 s34, 1
	v_cndmask_b32_e32 v2, v4, v5, vcc
	v_and_or_b32 v2, v3, s34, v2
	v_cvt_i32_f32_e32 v2, v2
.LBB360_826:
	s_mov_b64 s[34:35], 0
	s_mov_b64 s[36:37], -1
.LBB360_827:
	s_andn2_b64 vcc, exec, s[34:35]
	s_mov_b64 s[34:35], 0
	s_cbranch_vccnz .LBB360_838
; %bb.828:
	s_cmp_gt_i32 s40, 14
	s_cbranch_scc0 .LBB360_831
; %bb.829:
	s_cmp_eq_u32 s40, 15
	s_cbranch_scc0 .LBB360_834
; %bb.830:
	global_load_ushort v2, v[0:1], off
	s_mov_b64 s[30:31], 0
	s_mov_b64 s[36:37], -1
	s_waitcnt vmcnt(0)
	v_lshlrev_b32_e32 v2, 16, v2
	v_cvt_i32_f32_e32 v2, v2
	s_branch .LBB360_835
.LBB360_831:
	s_mov_b64 s[38:39], -1
                                        ; implicit-def: $vgpr2
	s_branch .LBB360_836
.LBB360_832:
	s_andn2_saveexec_b64 s[34:35], s[34:35]
	s_cbranch_execz .LBB360_813
.LBB360_833:
	v_cmp_ne_u16_e32 vcc, 0, v3
	s_andn2_b64 s[36:37], s[36:37], exec
	s_and_b64 s[38:39], vcc, exec
	s_or_b64 s[36:37], s[36:37], s[38:39]
	s_or_b64 exec, exec, s[34:35]
	v_mov_b32_e32 v2, 0
	s_and_saveexec_b64 s[34:35], s[36:37]
	s_cbranch_execnz .LBB360_814
	s_branch .LBB360_815
.LBB360_834:
	s_mov_b64 s[30:31], -1
                                        ; implicit-def: $vgpr2
.LBB360_835:
	s_mov_b64 s[38:39], 0
.LBB360_836:
	s_and_b64 vcc, exec, s[38:39]
	s_cbranch_vccz .LBB360_838
; %bb.837:
	s_cmp_lg_u32 s40, 11
	s_cselect_b64 s[38:39], -1, 0
	s_andn2_b64 s[30:31], s[30:31], exec
	s_and_b64 s[38:39], s[38:39], exec
	s_mov_b64 s[34:35], -1
	s_or_b64 s[30:31], s[30:31], s[38:39]
.LBB360_838:
	s_mov_b64 s[38:39], 0
.LBB360_839:
	s_and_b64 s[40:41], s[38:39], exec
	s_andn2_b64 s[38:39], s[0:1], exec
	s_and_b64 s[30:31], s[30:31], exec
	s_and_b64 s[36:37], s[36:37], exec
	;; [unrolled: 1-line block ×3, first 2 shown]
	s_or_b64 s[38:39], s[38:39], s[30:31]
.LBB360_840:
	s_or_b64 exec, exec, s[26:27]
	s_and_b64 s[30:31], s[34:35], exec
	s_andn2_b64 s[0:1], s[0:1], exec
	s_and_b64 s[34:35], s[38:39], exec
	s_and_b64 s[36:37], s[36:37], exec
	;; [unrolled: 1-line block ×3, first 2 shown]
	s_or_b64 s[0:1], s[0:1], s[34:35]
.LBB360_841:
	s_or_b64 exec, exec, s[24:25]
	s_andn2_b64 s[20:21], s[20:21], exec
	s_and_b64 s[24:25], s[28:29], exec
	s_andn2_b64 s[18:19], s[18:19], exec
	s_and_b64 s[0:1], s[0:1], exec
	s_or_b64 s[20:21], s[20:21], s[24:25]
	s_and_b64 s[28:29], s[36:37], exec
	s_and_b64 s[26:27], s[26:27], exec
	;; [unrolled: 1-line block ×3, first 2 shown]
	s_or_b64 s[18:19], s[18:19], s[0:1]
.LBB360_842:
	s_or_b64 exec, exec, s[22:23]
	s_andn2_b64 s[0:1], s[12:13], exec
	s_and_b64 s[12:13], s[20:21], exec
	s_andn2_b64 s[14:15], s[14:15], exec
	s_and_b64 s[18:19], s[18:19], exec
	s_or_b64 s[12:13], s[0:1], s[12:13]
	s_and_b64 s[0:1], s[28:29], exec
	s_and_b64 s[22:23], s[26:27], exec
	;; [unrolled: 1-line block ×3, first 2 shown]
	s_or_b64 s[14:15], s[14:15], s[18:19]
	s_or_b64 exec, exec, s[16:17]
	s_mov_b64 s[16:17], 0
	s_and_saveexec_b64 s[18:19], s[14:15]
	s_cbranch_execz .LBB360_258
.LBB360_843:
	s_mov_b64 s[16:17], exec
	s_andn2_b64 s[20:21], s[20:21], exec
	s_trap 2
	s_or_b64 exec, exec, s[18:19]
	s_and_saveexec_b64 s[14:15], s[20:21]
	s_xor_b64 s[14:15], exec, s[14:15]
	s_cbranch_execnz .LBB360_259
.LBB360_844:
	s_or_b64 exec, exec, s[14:15]
	s_and_saveexec_b64 s[14:15], s[22:23]
	s_cbranch_execz .LBB360_890
.LBB360_845:
	s_sext_i32_i16 s18, s44
	s_cmp_lt_i32 s18, 5
	s_cbranch_scc1 .LBB360_850
; %bb.846:
	s_cmp_lt_i32 s18, 8
	s_cbranch_scc1 .LBB360_851
; %bb.847:
	;; [unrolled: 3-line block ×3, first 2 shown]
	s_cmp_gt_i32 s18, 9
	s_cbranch_scc0 .LBB360_853
; %bb.849:
	global_load_dwordx2 v[2:3], v[0:1], off
	s_mov_b64 s[18:19], 0
	s_waitcnt vmcnt(0)
	v_cvt_i32_f64_e32 v2, v[2:3]
	s_branch .LBB360_854
.LBB360_850:
                                        ; implicit-def: $vgpr2
	s_branch .LBB360_871
.LBB360_851:
                                        ; implicit-def: $vgpr2
	s_branch .LBB360_860
.LBB360_852:
	s_mov_b64 s[18:19], -1
                                        ; implicit-def: $vgpr2
	s_branch .LBB360_857
.LBB360_853:
	s_mov_b64 s[18:19], -1
                                        ; implicit-def: $vgpr2
.LBB360_854:
	s_andn2_b64 vcc, exec, s[18:19]
	s_cbranch_vccnz .LBB360_856
; %bb.855:
	global_load_dword v2, v[0:1], off
	s_waitcnt vmcnt(0)
	v_cvt_i32_f32_e32 v2, v2
.LBB360_856:
	s_mov_b64 s[18:19], 0
.LBB360_857:
	s_andn2_b64 vcc, exec, s[18:19]
	s_cbranch_vccnz .LBB360_859
; %bb.858:
	global_load_dword v2, v[0:1], off
	s_waitcnt vmcnt(0)
	v_cvt_i16_f16_e32 v2, v2
.LBB360_859:
	s_cbranch_execnz .LBB360_870
.LBB360_860:
	s_sext_i32_i16 s18, s44
	s_cmp_lt_i32 s18, 6
	s_cbranch_scc1 .LBB360_863
; %bb.861:
	s_cmp_gt_i32 s18, 6
	s_cbranch_scc0 .LBB360_864
; %bb.862:
	global_load_dwordx2 v[2:3], v[0:1], off
	s_mov_b64 s[18:19], 0
	s_waitcnt vmcnt(0)
	v_cvt_i32_f64_e32 v2, v[2:3]
	s_branch .LBB360_865
.LBB360_863:
	s_mov_b64 s[18:19], -1
                                        ; implicit-def: $vgpr2
	s_branch .LBB360_868
.LBB360_864:
	s_mov_b64 s[18:19], -1
                                        ; implicit-def: $vgpr2
.LBB360_865:
	s_andn2_b64 vcc, exec, s[18:19]
	s_cbranch_vccnz .LBB360_867
; %bb.866:
	global_load_dword v2, v[0:1], off
	s_waitcnt vmcnt(0)
	v_cvt_i32_f32_e32 v2, v2
.LBB360_867:
	s_mov_b64 s[18:19], 0
.LBB360_868:
	s_andn2_b64 vcc, exec, s[18:19]
	s_cbranch_vccnz .LBB360_870
; %bb.869:
	global_load_ushort v2, v[0:1], off
	s_waitcnt vmcnt(0)
	v_cvt_i16_f16_e32 v2, v2
.LBB360_870:
	s_cbranch_execnz .LBB360_889
.LBB360_871:
	s_sext_i32_i16 s18, s44
	s_cmp_lt_i32 s18, 2
	s_cbranch_scc1 .LBB360_875
; %bb.872:
	s_cmp_lt_i32 s18, 3
	s_cbranch_scc1 .LBB360_876
; %bb.873:
	s_cmp_gt_i32 s18, 3
	s_cbranch_scc0 .LBB360_877
; %bb.874:
	global_load_dwordx2 v[2:3], v[0:1], off
	s_mov_b64 s[18:19], 0
	s_branch .LBB360_878
.LBB360_875:
                                        ; implicit-def: $vgpr2
	s_branch .LBB360_884
.LBB360_876:
	s_mov_b64 s[18:19], -1
                                        ; implicit-def: $vgpr2
	s_branch .LBB360_881
.LBB360_877:
	s_mov_b64 s[18:19], -1
                                        ; implicit-def: $vgpr2
.LBB360_878:
	s_andn2_b64 vcc, exec, s[18:19]
	s_cbranch_vccnz .LBB360_880
; %bb.879:
	global_load_dword v2, v[0:1], off
.LBB360_880:
	s_mov_b64 s[18:19], 0
.LBB360_881:
	s_andn2_b64 vcc, exec, s[18:19]
	s_cbranch_vccnz .LBB360_883
; %bb.882:
	global_load_ushort v2, v[0:1], off
.LBB360_883:
	s_cbranch_execnz .LBB360_889
.LBB360_884:
	s_sext_i32_i16 s18, s44
	s_cmp_gt_i32 s18, 0
	s_cbranch_scc0 .LBB360_886
; %bb.885:
	global_load_ubyte v2, v[0:1], off
	s_mov_b64 s[18:19], 0
	s_branch .LBB360_887
.LBB360_886:
	s_mov_b64 s[18:19], -1
                                        ; implicit-def: $vgpr2
.LBB360_887:
	s_andn2_b64 vcc, exec, s[18:19]
	s_cbranch_vccnz .LBB360_889
; %bb.888:
	global_load_ubyte v2, v[0:1], off
.LBB360_889:
	s_or_b64 s[0:1], s[0:1], exec
.LBB360_890:
	s_or_b64 exec, exec, s[14:15]
	s_mov_b64 s[20:21], 0
	s_mov_b64 s[18:19], 0
                                        ; implicit-def: $sgpr26
                                        ; implicit-def: $vgpr0_vgpr1
                                        ; implicit-def: $vgpr3
	s_and_saveexec_b64 s[14:15], s[0:1]
	s_cbranch_execz .LBB360_898
; %bb.891:
	v_mul_lo_u32 v0, v10, s8
	s_bfe_i32 s0, s33, 0x80000
	v_ashrrev_i32_e32 v1, 31, v0
	s_and_b32 s26, s42, 0xff
	s_waitcnt vmcnt(0)
	v_max_i16_sdwa v3, sext(v2), s0 dst_sel:DWORD dst_unused:UNUSED_PAD src0_sel:BYTE_0 src1_sel:DWORD
	s_cmp_lt_i32 s26, 11
	v_lshl_add_u64 v[0:1], s[4:5], 0, v[0:1]
	s_cbranch_scc1 .LBB360_901
; %bb.892:
	s_and_b32 s27, 0xffff, s26
	s_mov_b64 s[20:21], -1
	s_cmp_gt_i32 s27, 25
	s_mov_b64 s[0:1], s[12:13]
	s_cbranch_scc0 .LBB360_929
; %bb.893:
	s_mov_b64 s[18:19], -1
	s_cmp_gt_i32 s27, 28
	s_mov_b64 s[0:1], s[12:13]
	s_cbranch_scc0 .LBB360_913
; %bb.894:
	s_cmp_gt_i32 s27, 43
	s_mov_b64 s[0:1], s[12:13]
	s_cbranch_scc0 .LBB360_909
; %bb.895:
	;; [unrolled: 4-line block ×3, first 2 shown]
	s_cmp_eq_u32 s27, 46
	s_mov_b64 s[0:1], -1
	s_cbranch_scc0 .LBB360_902
; %bb.897:
	v_cvt_f32_i32_sdwa v2, sext(v3) dst_sel:DWORD dst_unused:UNUSED_PAD src0_sel:WORD_0
	s_movk_i32 s0, 0x7fff
	s_mov_b64 s[18:19], 0
	v_bfe_u32 v4, v2, 16, 1
	v_add3_u32 v2, v2, v4, s0
	v_lshrrev_b32_e32 v2, 16, v2
	global_store_dword v[0:1], v2, off
	s_mov_b64 s[0:1], 0
	s_branch .LBB360_903
.LBB360_898:
	s_or_b64 exec, exec, s[14:15]
	s_and_saveexec_b64 s[0:1], s[12:13]
	s_cbranch_execnz .LBB360_971
.LBB360_899:
	s_or_b64 exec, exec, s[0:1]
	s_and_saveexec_b64 s[0:1], s[20:21]
	s_xor_b64 s[0:1], exec, s[0:1]
	s_cbranch_execz .LBB360_972
.LBB360_900:
	s_waitcnt vmcnt(0)
	v_mov_b32_e32 v2, 0
	v_cmp_ne_u16_sdwa s[12:13], v3, v2 src0_sel:BYTE_0 src1_sel:DWORD
	s_nop 1
	v_cndmask_b32_e64 v2, 0, 1, s[12:13]
	global_store_byte v[0:1], v2, off
	s_or_b64 exec, exec, s[0:1]
	s_and_saveexec_b64 s[0:1], s[18:19]
	s_xor_b64 s[0:1], exec, s[0:1]
	s_cbranch_execz .LBB360_1010
	s_branch .LBB360_973
.LBB360_901:
	s_mov_b64 s[18:19], -1
	s_mov_b64 s[0:1], s[12:13]
	s_branch .LBB360_970
.LBB360_902:
	s_mov_b64 s[18:19], 0
.LBB360_903:
	s_and_b64 vcc, exec, s[18:19]
	s_cbranch_vccz .LBB360_908
; %bb.904:
	s_cmp_eq_u32 s27, 44
	s_mov_b64 s[0:1], -1
	s_cbranch_scc0 .LBB360_908
; %bb.905:
	v_cvt_f32_i32_sdwa v2, sext(v3) dst_sel:DWORD dst_unused:UNUSED_PAD src0_sel:WORD_0
	s_movk_i32 s0, 0xff
	v_mov_b32_e32 v5, 0xff
	v_bfe_u32 v4, v2, 23, 8
	v_cmp_ne_u32_e32 vcc, s0, v4
	s_and_saveexec_b64 s[18:19], vcc
; %bb.906:
	s_mov_b32 s0, 0x3fffff
	v_lshrrev_b32_e32 v5, 23, v2
	v_and_b32_e32 v6, 0x400000, v2
	v_and_or_b32 v2, v2, s0, v4
	v_cmp_ne_u32_e32 vcc, 0, v6
	v_cmp_ne_u32_e64 s[0:1], 0, v2
	s_and_b64 s[0:1], vcc, s[0:1]
	s_nop 0
	v_cndmask_b32_e64 v2, 0, 1, s[0:1]
	v_add_u32_e32 v5, v5, v2
; %bb.907:
	s_or_b64 exec, exec, s[18:19]
	s_mov_b64 s[0:1], 0
	global_store_byte v[0:1], v5, off
.LBB360_908:
	s_mov_b64 s[18:19], 0
.LBB360_909:
	s_and_b64 vcc, exec, s[18:19]
	s_cbranch_vccz .LBB360_912
; %bb.910:
	s_cmp_eq_u32 s27, 29
	s_mov_b64 s[0:1], -1
	s_cbranch_scc0 .LBB360_912
; %bb.911:
	v_bfe_i32 v4, v3, 0, 16
	v_ashrrev_i32_e32 v5, 31, v4
	global_store_dwordx2 v[0:1], v[4:5], off
	s_mov_b64 s[0:1], 0
.LBB360_912:
	s_mov_b64 s[18:19], 0
.LBB360_913:
	s_and_b64 vcc, exec, s[18:19]
	s_cbranch_vccz .LBB360_928
; %bb.914:
	s_cmp_lt_i32 s27, 27
	s_mov_b64 s[18:19], -1
	s_cbranch_scc1 .LBB360_920
; %bb.915:
	s_cmp_gt_i32 s27, 27
	s_cbranch_scc0 .LBB360_917
; %bb.916:
	v_bfe_i32 v2, v3, 0, 16
	s_mov_b64 s[18:19], 0
	global_store_dword v[0:1], v2, off
.LBB360_917:
	s_andn2_b64 vcc, exec, s[18:19]
	s_cbranch_vccnz .LBB360_919
; %bb.918:
	global_store_short v[0:1], v3, off
.LBB360_919:
	s_mov_b64 s[18:19], 0
.LBB360_920:
	s_andn2_b64 vcc, exec, s[18:19]
	s_cbranch_vccnz .LBB360_928
; %bb.921:
	v_cvt_f32_i32_sdwa v2, sext(v3) dst_sel:DWORD dst_unused:UNUSED_PAD src0_sel:WORD_0
	s_mov_b32 s18, 0x43800000
	v_mov_b32_e32 v5, 0x80
	v_and_b32_e32 v4, 0x7fffffff, v2
	v_cmp_gt_u32_e32 vcc, s18, v4
	s_and_saveexec_b64 s[18:19], vcc
	s_cbranch_execz .LBB360_927
; %bb.922:
	s_mov_b32 s20, 0x3bffffff
	v_cmp_lt_u32_e32 vcc, s20, v4
	s_mov_b64 s[20:21], 0
                                        ; implicit-def: $vgpr4
	s_and_saveexec_b64 s[22:23], vcc
	s_xor_b64 s[22:23], exec, s[22:23]
	s_cbranch_execz .LBB360_1025
; %bb.923:
	v_bfe_u32 v4, v2, 20, 1
	s_mov_b32 s24, 0x487ffff
	v_add3_u32 v4, v2, v4, s24
	s_mov_b64 s[20:21], exec
	v_lshrrev_b32_e32 v4, 20, v4
	s_andn2_saveexec_b64 s[22:23], s[22:23]
	s_cbranch_execnz .LBB360_1026
.LBB360_924:
	s_or_b64 exec, exec, s[22:23]
	v_mov_b32_e32 v5, 0
	s_and_saveexec_b64 s[22:23], s[20:21]
.LBB360_925:
	v_lshrrev_b32_e32 v2, 24, v2
	s_movk_i32 s20, 0x80
	v_and_or_b32 v5, v2, s20, v4
.LBB360_926:
	s_or_b64 exec, exec, s[22:23]
.LBB360_927:
	s_or_b64 exec, exec, s[18:19]
	global_store_byte v[0:1], v5, off
.LBB360_928:
	s_mov_b64 s[20:21], 0
.LBB360_929:
	s_mov_b64 s[18:19], 0
	s_and_b64 vcc, exec, s[20:21]
	s_cbranch_vccz .LBB360_969
; %bb.930:
	s_cmp_gt_i32 s27, 22
	s_mov_b64 s[20:21], -1
	s_cbranch_scc0 .LBB360_962
; %bb.931:
	s_cmp_lt_i32 s27, 24
	s_cbranch_scc1 .LBB360_951
; %bb.932:
	s_cmp_gt_i32 s27, 24
	s_cbranch_scc0 .LBB360_940
; %bb.933:
	v_cvt_f32_i32_sdwa v2, sext(v3) dst_sel:DWORD dst_unused:UNUSED_PAD src0_sel:WORD_0
	s_mov_b32 s20, 0x47800000
	v_mov_b32_e32 v5, 0x80
	v_and_b32_e32 v4, 0x7fffffff, v2
	v_cmp_gt_u32_e32 vcc, s20, v4
	s_and_saveexec_b64 s[20:21], vcc
	s_cbranch_execz .LBB360_939
; %bb.934:
	s_mov_b32 s22, 0x37ffffff
	v_cmp_lt_u32_e32 vcc, s22, v4
	s_mov_b64 s[22:23], 0
                                        ; implicit-def: $vgpr4
	s_and_saveexec_b64 s[24:25], vcc
	s_xor_b64 s[24:25], exec, s[24:25]
	s_cbranch_execz .LBB360_1145
; %bb.935:
	v_bfe_u32 v4, v2, 21, 1
	s_mov_b32 s28, 0x88fffff
	v_add3_u32 v4, v2, v4, s28
	s_mov_b64 s[22:23], exec
	v_lshrrev_b32_e32 v4, 21, v4
	s_andn2_saveexec_b64 s[24:25], s[24:25]
	s_cbranch_execnz .LBB360_1146
.LBB360_936:
	s_or_b64 exec, exec, s[24:25]
	v_mov_b32_e32 v5, 0
	s_and_saveexec_b64 s[24:25], s[22:23]
.LBB360_937:
	v_lshrrev_b32_e32 v2, 24, v2
	s_movk_i32 s22, 0x80
	v_and_or_b32 v5, v2, s22, v4
.LBB360_938:
	s_or_b64 exec, exec, s[24:25]
.LBB360_939:
	s_or_b64 exec, exec, s[20:21]
	s_mov_b64 s[20:21], 0
	global_store_byte v[0:1], v5, off
.LBB360_940:
	s_and_b64 vcc, exec, s[20:21]
	s_cbranch_vccz .LBB360_950
; %bb.941:
	v_cvt_f32_i32_sdwa v2, sext(v3) dst_sel:DWORD dst_unused:UNUSED_PAD src0_sel:WORD_0
	s_mov_b32 s20, 0x43f00000
                                        ; implicit-def: $vgpr4
	v_and_b32_e32 v5, 0x7fffffff, v2
	v_cmp_gt_u32_e32 vcc, s20, v5
	s_and_saveexec_b64 s[20:21], vcc
	s_xor_b64 s[20:21], exec, s[20:21]
	s_cbranch_execz .LBB360_947
; %bb.942:
	s_mov_b32 s22, 0x3c7fffff
	v_cmp_lt_u32_e32 vcc, s22, v5
                                        ; implicit-def: $vgpr4
	s_and_saveexec_b64 s[22:23], vcc
	s_xor_b64 s[22:23], exec, s[22:23]
; %bb.943:
	v_bfe_u32 v4, v2, 20, 1
	s_mov_b32 s24, 0x407ffff
	v_add3_u32 v4, v2, v4, s24
	v_lshrrev_b32_e32 v5, 20, v4
	v_and_b32_e32 v4, 0xff00000, v4
	s_mov_b32 s24, 0x7f00000
	v_mov_b32_e32 v6, 0x7e
	v_cmp_ne_u32_e32 vcc, s24, v4
	s_nop 1
	v_cndmask_b32_e32 v4, v6, v5, vcc
; %bb.944:
	s_andn2_saveexec_b64 s[22:23], s[22:23]
; %bb.945:
	s_mov_b32 s24, 0x46800000
	v_add_f32_e64 v4, |v2|, s24
; %bb.946:
	s_or_b64 exec, exec, s[22:23]
                                        ; implicit-def: $vgpr5
.LBB360_947:
	s_andn2_saveexec_b64 s[20:21], s[20:21]
; %bb.948:
	s_mov_b32 s22, 0x7f800000
	v_mov_b32_e32 v4, 0x7e
	v_mov_b32_e32 v6, 0x7f
	v_cmp_lt_u32_e32 vcc, s22, v5
	s_nop 1
	v_cndmask_b32_e32 v4, v4, v6, vcc
; %bb.949:
	s_or_b64 exec, exec, s[20:21]
	v_lshrrev_b32_e32 v2, 24, v2
	s_movk_i32 s20, 0x80
	v_and_or_b32 v2, v2, s20, v4
	global_store_byte v[0:1], v2, off
.LBB360_950:
	s_mov_b64 s[20:21], 0
.LBB360_951:
	s_andn2_b64 vcc, exec, s[20:21]
	s_cbranch_vccnz .LBB360_961
; %bb.952:
	v_cvt_f32_i32_sdwa v2, sext(v3) dst_sel:DWORD dst_unused:UNUSED_PAD src0_sel:WORD_0
	s_mov_b32 s20, 0x47800000
                                        ; implicit-def: $vgpr4
	v_and_b32_e32 v5, 0x7fffffff, v2
	v_cmp_gt_u32_e32 vcc, s20, v5
	s_and_saveexec_b64 s[20:21], vcc
	s_xor_b64 s[20:21], exec, s[20:21]
	s_cbranch_execz .LBB360_958
; %bb.953:
	s_mov_b32 s22, 0x387fffff
	v_cmp_lt_u32_e32 vcc, s22, v5
                                        ; implicit-def: $vgpr4
	s_and_saveexec_b64 s[22:23], vcc
	s_xor_b64 s[22:23], exec, s[22:23]
; %bb.954:
	v_bfe_u32 v4, v2, 21, 1
	s_mov_b32 s24, 0x80fffff
	v_add3_u32 v4, v2, v4, s24
	v_lshrrev_b32_e32 v4, 21, v4
; %bb.955:
	s_andn2_saveexec_b64 s[22:23], s[22:23]
; %bb.956:
	s_mov_b32 s24, 0x43000000
	v_add_f32_e64 v4, |v2|, s24
; %bb.957:
	s_or_b64 exec, exec, s[22:23]
                                        ; implicit-def: $vgpr5
.LBB360_958:
	s_andn2_saveexec_b64 s[20:21], s[20:21]
; %bb.959:
	s_mov_b32 s22, 0x7f800000
	v_mov_b32_e32 v4, 0x7c
	v_mov_b32_e32 v6, 0x7f
	v_cmp_lt_u32_e32 vcc, s22, v5
	s_nop 1
	v_cndmask_b32_e32 v4, v4, v6, vcc
; %bb.960:
	s_or_b64 exec, exec, s[20:21]
	v_lshrrev_b32_e32 v2, 24, v2
	s_movk_i32 s20, 0x80
	v_and_or_b32 v2, v2, s20, v4
	global_store_byte v[0:1], v2, off
.LBB360_961:
	s_mov_b64 s[20:21], 0
.LBB360_962:
	s_andn2_b64 vcc, exec, s[20:21]
	s_mov_b64 s[20:21], 0
	s_cbranch_vccnz .LBB360_970
; %bb.963:
	s_cmp_gt_i32 s27, 14
	s_mov_b64 s[22:23], -1
	s_cbranch_scc0 .LBB360_967
; %bb.964:
	s_cmp_eq_u32 s27, 15
	s_mov_b64 s[0:1], -1
	s_cbranch_scc0 .LBB360_966
; %bb.965:
	v_cvt_f32_i32_sdwa v2, sext(v3) dst_sel:DWORD dst_unused:UNUSED_PAD src0_sel:WORD_0
	s_movk_i32 s0, 0x7fff
	v_bfe_u32 v4, v2, 16, 1
	v_add3_u32 v2, v2, v4, s0
	global_store_short_d16_hi v[0:1], v2, off
	s_mov_b64 s[0:1], 0
.LBB360_966:
	s_mov_b64 s[22:23], 0
.LBB360_967:
	s_and_b64 vcc, exec, s[22:23]
	s_cbranch_vccz .LBB360_970
; %bb.968:
	s_cmp_lg_u32 s27, 11
	s_cselect_b64 s[22:23], -1, 0
	s_andn2_b64 s[0:1], s[0:1], exec
	s_and_b64 s[22:23], s[22:23], exec
	s_mov_b64 s[20:21], -1
	s_or_b64 s[0:1], s[0:1], s[22:23]
	s_branch .LBB360_970
.LBB360_969:
	s_mov_b64 s[20:21], 0
.LBB360_970:
	s_andn2_b64 s[12:13], s[12:13], exec
	s_and_b64 s[0:1], s[0:1], exec
	s_and_b64 s[18:19], s[18:19], exec
	;; [unrolled: 1-line block ×3, first 2 shown]
	s_or_b64 s[12:13], s[12:13], s[0:1]
	s_or_b64 exec, exec, s[14:15]
	s_and_saveexec_b64 s[0:1], s[12:13]
	s_cbranch_execz .LBB360_899
.LBB360_971:
	s_or_b64 s[16:17], s[16:17], exec
	s_andn2_b64 s[20:21], s[20:21], exec
	s_trap 2
	s_or_b64 exec, exec, s[0:1]
	s_and_saveexec_b64 s[0:1], s[20:21]
	s_xor_b64 s[0:1], exec, s[0:1]
	s_cbranch_execnz .LBB360_900
.LBB360_972:
	s_or_b64 exec, exec, s[0:1]
	s_and_saveexec_b64 s[0:1], s[18:19]
	s_xor_b64 s[0:1], exec, s[0:1]
	s_cbranch_execz .LBB360_1010
.LBB360_973:
	s_sext_i32_i16 s14, s26
	s_cmp_lt_i32 s14, 5
	s_mov_b64 s[12:13], -1
	s_cbranch_scc1 .LBB360_994
; %bb.974:
	s_cmp_lt_i32 s14, 8
	s_cbranch_scc1 .LBB360_984
; %bb.975:
	s_cmp_lt_i32 s14, 9
	s_cbranch_scc1 .LBB360_981
; %bb.976:
	s_cmp_gt_i32 s14, 9
	s_cbranch_scc0 .LBB360_978
; %bb.977:
	s_waitcnt vmcnt(0)
	v_bfe_i32 v2, v3, 0, 8
	v_bfe_i32 v2, v2, 0, 16
	v_mov_b32_e32 v6, 0
	v_cvt_f64_i32_e32 v[4:5], v2
	v_mov_b32_e32 v7, v6
	s_mov_b64 s[12:13], 0
	global_store_dwordx4 v[0:1], v[4:7], off
.LBB360_978:
	s_andn2_b64 vcc, exec, s[12:13]
	s_cbranch_vccnz .LBB360_980
; %bb.979:
	s_waitcnt vmcnt(0)
	v_bfe_i32 v2, v3, 0, 8
	v_cvt_f32_i32_sdwa v4, sext(v2) dst_sel:DWORD dst_unused:UNUSED_PAD src0_sel:WORD_0
	v_mov_b32_e32 v5, 0
	global_store_dwordx2 v[0:1], v[4:5], off
.LBB360_980:
	s_mov_b64 s[12:13], 0
.LBB360_981:
	s_andn2_b64 vcc, exec, s[12:13]
	s_cbranch_vccnz .LBB360_983
; %bb.982:
	s_waitcnt vmcnt(0)
	v_cvt_f16_i16_sdwa v2, sext(v3) dst_sel:DWORD dst_unused:UNUSED_PAD src0_sel:BYTE_0
	global_store_dword v[0:1], v2, off
.LBB360_983:
	s_mov_b64 s[12:13], 0
.LBB360_984:
	s_andn2_b64 vcc, exec, s[12:13]
	s_cbranch_vccnz .LBB360_993
; %bb.985:
	s_sext_i32_i16 s14, s26
	s_cmp_lt_i32 s14, 6
	s_mov_b64 s[12:13], -1
	s_cbranch_scc1 .LBB360_991
; %bb.986:
	s_cmp_gt_i32 s14, 6
	s_cbranch_scc0 .LBB360_988
; %bb.987:
	s_waitcnt vmcnt(0)
	v_bfe_i32 v2, v3, 0, 8
	v_bfe_i32 v2, v2, 0, 16
	v_cvt_f64_i32_e32 v[4:5], v2
	s_mov_b64 s[12:13], 0
	global_store_dwordx2 v[0:1], v[4:5], off
.LBB360_988:
	s_andn2_b64 vcc, exec, s[12:13]
	s_cbranch_vccnz .LBB360_990
; %bb.989:
	s_waitcnt vmcnt(0)
	v_bfe_i32 v2, v3, 0, 8
	v_cvt_f32_i32_sdwa v2, sext(v2) dst_sel:DWORD dst_unused:UNUSED_PAD src0_sel:WORD_0
	global_store_dword v[0:1], v2, off
.LBB360_990:
	s_mov_b64 s[12:13], 0
.LBB360_991:
	s_andn2_b64 vcc, exec, s[12:13]
	s_cbranch_vccnz .LBB360_993
; %bb.992:
	s_waitcnt vmcnt(0)
	v_cvt_f16_i16_sdwa v2, sext(v3) dst_sel:DWORD dst_unused:UNUSED_PAD src0_sel:BYTE_0
	global_store_short v[0:1], v2, off
.LBB360_993:
	s_mov_b64 s[12:13], 0
.LBB360_994:
	s_andn2_b64 vcc, exec, s[12:13]
	s_cbranch_vccnz .LBB360_1010
; %bb.995:
	s_sext_i32_i16 s14, s26
	s_cmp_lt_i32 s14, 2
	s_mov_b64 s[12:13], -1
	s_cbranch_scc1 .LBB360_1005
; %bb.996:
	s_cmp_lt_i32 s14, 3
	s_cbranch_scc1 .LBB360_1002
; %bb.997:
	s_cmp_gt_i32 s14, 3
	s_cbranch_scc0 .LBB360_999
; %bb.998:
	s_waitcnt vmcnt(0)
	v_bfe_i32 v4, v3, 0, 8
	v_ashrrev_i32_e32 v5, 31, v4
	s_mov_b64 s[12:13], 0
	global_store_dwordx2 v[0:1], v[4:5], off
.LBB360_999:
	s_andn2_b64 vcc, exec, s[12:13]
	s_cbranch_vccnz .LBB360_1001
; %bb.1000:
	s_waitcnt vmcnt(0)
	v_bfe_i32 v2, v3, 0, 8
	global_store_dword v[0:1], v2, off
.LBB360_1001:
	s_mov_b64 s[12:13], 0
.LBB360_1002:
	s_andn2_b64 vcc, exec, s[12:13]
	s_cbranch_vccnz .LBB360_1004
; %bb.1003:
	s_waitcnt vmcnt(0)
	v_bfe_i32 v2, v3, 0, 8
	global_store_short v[0:1], v2, off
.LBB360_1004:
	s_mov_b64 s[12:13], 0
.LBB360_1005:
	s_andn2_b64 vcc, exec, s[12:13]
	s_cbranch_vccnz .LBB360_1010
; %bb.1006:
	s_sext_i32_i16 s12, s26
	s_cmp_gt_i32 s12, 0
	s_mov_b64 s[12:13], -1
	s_cbranch_scc0 .LBB360_1008
; %bb.1007:
	s_mov_b64 s[12:13], 0
	s_waitcnt vmcnt(0)
	global_store_byte v[0:1], v3, off
.LBB360_1008:
	s_andn2_b64 vcc, exec, s[12:13]
	s_cbranch_vccnz .LBB360_1010
; %bb.1009:
	s_waitcnt vmcnt(0)
	global_store_byte v[0:1], v3, off
.LBB360_1010:
	s_or_b64 exec, exec, s[0:1]
	s_and_b64 s[12:13], s[16:17], exec
                                        ; implicit-def: $vgpr10
.LBB360_1011:
	s_or_saveexec_b64 s[10:11], s[10:11]
	s_mov_b64 s[0:1], 0
                                        ; implicit-def: $sgpr20
                                        ; implicit-def: $vgpr0_vgpr1
                                        ; implicit-def: $vgpr3
	s_xor_b64 exec, exec, s[10:11]
	s_cbranch_execz .LBB360_1942
; %bb.1012:
	v_mul_lo_u32 v0, s9, v10
	v_ashrrev_i32_e32 v1, 31, v0
	s_and_b32 s20, s43, 0xff
	s_cmp_lt_i32 s20, 11
	s_waitcnt vmcnt(0)
	v_lshl_add_u64 v[2:3], s[6:7], 0, v[0:1]
	s_cbranch_scc1 .LBB360_1019
; %bb.1013:
	s_and_b32 s18, 0xffff, s20
	s_cmp_gt_i32 s18, 25
	s_cbranch_scc0 .LBB360_1021
; %bb.1014:
	s_cmp_gt_i32 s18, 28
	s_cbranch_scc0 .LBB360_1022
; %bb.1015:
	;; [unrolled: 3-line block ×4, first 2 shown]
	s_cmp_eq_u32 s18, 46
	s_mov_b64 s[14:15], 0
	s_cbranch_scc0 .LBB360_1027
; %bb.1018:
	global_load_dword v1, v[2:3], off
	s_mov_b64 s[16:17], -1
	s_waitcnt vmcnt(0)
	v_lshlrev_b32_e32 v1, 16, v1
	v_cvt_i32_f32_e32 v6, v1
	s_branch .LBB360_1028
.LBB360_1019:
	s_mov_b64 s[16:17], 0
                                        ; implicit-def: $vgpr6
	s_mov_b64 s[14:15], s[12:13]
	s_cbranch_execnz .LBB360_1086
.LBB360_1020:
	s_andn2_b64 vcc, exec, s[16:17]
	s_cbranch_vccz .LBB360_1131
	s_branch .LBB360_1940
.LBB360_1021:
	s_mov_b64 s[16:17], 0
                                        ; implicit-def: $vgpr6
	s_cbranch_execnz .LBB360_1053
	s_branch .LBB360_1082
.LBB360_1022:
	s_mov_b64 s[16:17], 0
                                        ; implicit-def: $vgpr6
	s_cbranch_execz .LBB360_1052
	s_branch .LBB360_1037
.LBB360_1023:
	s_mov_b64 s[16:17], 0
                                        ; implicit-def: $vgpr6
	s_cbranch_execnz .LBB360_1033
	s_branch .LBB360_1036
.LBB360_1024:
	s_mov_b64 s[14:15], -1
	s_mov_b64 s[16:17], 0
                                        ; implicit-def: $vgpr6
	s_branch .LBB360_1028
.LBB360_1025:
	s_andn2_saveexec_b64 s[22:23], s[22:23]
	s_cbranch_execz .LBB360_924
.LBB360_1026:
	s_mov_b32 s24, 0x46000000
	v_add_f32_e64 v4, |v2|, s24
	v_and_b32_e32 v4, 0xff, v4
	v_cmp_ne_u32_e32 vcc, 0, v4
	s_andn2_b64 s[20:21], s[20:21], exec
	s_and_b64 s[24:25], vcc, exec
	s_or_b64 s[20:21], s[20:21], s[24:25]
	s_or_b64 exec, exec, s[22:23]
	v_mov_b32_e32 v5, 0
	s_and_saveexec_b64 s[22:23], s[20:21]
	s_cbranch_execnz .LBB360_925
	s_branch .LBB360_926
.LBB360_1027:
	s_mov_b64 s[0:1], -1
                                        ; implicit-def: $vgpr6
	s_mov_b64 s[16:17], 0
.LBB360_1028:
	s_and_b64 vcc, exec, s[14:15]
	s_cbranch_vccz .LBB360_1031
; %bb.1029:
	s_cmp_eq_u32 s18, 44
	s_cbranch_scc0 .LBB360_1032
; %bb.1030:
	global_load_ubyte v1, v[2:3], off
	s_mov_b64 s[0:1], 0
	s_mov_b64 s[16:17], -1
	s_waitcnt vmcnt(0)
	v_lshlrev_b32_e32 v4, 23, v1
	v_cvt_i32_f32_e32 v4, v4
	v_cmp_ne_u32_e32 vcc, 0, v1
	s_nop 1
	v_cndmask_b32_e32 v6, 0, v4, vcc
.LBB360_1031:
	s_branch .LBB360_1036
.LBB360_1032:
	s_mov_b64 s[0:1], -1
                                        ; implicit-def: $vgpr6
	s_branch .LBB360_1036
.LBB360_1033:
	s_cmp_eq_u32 s18, 29
	s_cbranch_scc0 .LBB360_1035
; %bb.1034:
	global_load_dwordx2 v[6:7], v[2:3], off
	s_mov_b64 s[0:1], 0
	s_mov_b64 s[16:17], -1
	s_branch .LBB360_1036
.LBB360_1035:
	s_mov_b64 s[0:1], -1
                                        ; implicit-def: $vgpr6
.LBB360_1036:
	s_branch .LBB360_1052
.LBB360_1037:
	s_cmp_lt_i32 s18, 27
	s_cbranch_scc1 .LBB360_1040
; %bb.1038:
	s_cmp_gt_i32 s18, 27
	s_cbranch_scc0 .LBB360_1041
; %bb.1039:
	global_load_dword v6, v[2:3], off
	s_mov_b64 s[14:15], 0
	s_branch .LBB360_1042
.LBB360_1040:
	s_mov_b64 s[14:15], -1
                                        ; implicit-def: $vgpr6
	s_branch .LBB360_1045
.LBB360_1041:
	s_mov_b64 s[14:15], -1
                                        ; implicit-def: $vgpr6
.LBB360_1042:
	s_andn2_b64 vcc, exec, s[14:15]
	s_cbranch_vccnz .LBB360_1044
; %bb.1043:
	global_load_ushort v6, v[2:3], off
.LBB360_1044:
	s_mov_b64 s[14:15], 0
.LBB360_1045:
	s_andn2_b64 vcc, exec, s[14:15]
	s_cbranch_vccnz .LBB360_1051
; %bb.1046:
	global_load_ubyte v1, v[2:3], off
	s_movk_i32 s14, 0x7f
	s_mov_b64 s[16:17], 0
	s_waitcnt vmcnt(0)
	v_cmp_lt_i16_e32 vcc, s14, v1
	s_and_saveexec_b64 s[14:15], vcc
	s_xor_b64 s[14:15], exec, s[14:15]
	s_cbranch_execz .LBB360_1062
; %bb.1047:
	s_movk_i32 s16, 0x80
	v_cmp_ne_u16_e32 vcc, s16, v1
	s_and_b64 s[16:17], vcc, exec
	s_andn2_saveexec_b64 s[14:15], s[14:15]
	s_cbranch_execnz .LBB360_1063
.LBB360_1048:
	s_or_b64 exec, exec, s[14:15]
	v_mov_b32_e32 v6, 0
	s_and_saveexec_b64 s[14:15], s[16:17]
	s_cbranch_execz .LBB360_1050
.LBB360_1049:
	v_lshlrev_b32_e32 v4, 24, v1
	v_and_b32_e32 v1, 0xffff, v1
	v_and_b32_e32 v5, 7, v1
	v_ffbh_u32_e32 v7, v5
	v_min_u32_e32 v7, 32, v7
	v_subrev_u32_e32 v8, 28, v7
	v_bfe_u32 v6, v1, 3, 4
	v_lshlrev_b32_e32 v1, v8, v1
	v_sub_u32_e32 v7, 29, v7
	v_and_b32_e32 v1, 7, v1
	v_cmp_eq_u32_e32 vcc, 0, v6
	v_and_b32_e32 v4, 0x80000000, v4
	s_nop 0
	v_cndmask_b32_e32 v6, v6, v7, vcc
	v_cndmask_b32_e32 v1, v5, v1, vcc
	v_mov_b32_e32 v5, 0x3b800000
	v_lshlrev_b32_e32 v1, 20, v1
	v_lshl_add_u32 v5, v6, 23, v5
	v_or3_b32 v1, v4, v5, v1
	v_cvt_i32_f32_e32 v6, v1
.LBB360_1050:
	s_or_b64 exec, exec, s[14:15]
.LBB360_1051:
	s_mov_b64 s[16:17], -1
.LBB360_1052:
	s_branch .LBB360_1082
.LBB360_1053:
	s_cmp_gt_i32 s18, 22
	s_cbranch_scc0 .LBB360_1061
; %bb.1054:
	s_cmp_lt_i32 s18, 24
	s_cbranch_scc1 .LBB360_1064
; %bb.1055:
	s_cmp_gt_i32 s18, 24
	s_cbranch_scc0 .LBB360_1065
; %bb.1056:
	global_load_ubyte v1, v[2:3], off
	s_movk_i32 s2, 0x7f
	s_mov_b64 s[14:15], 0
	s_waitcnt vmcnt(0)
	v_cmp_lt_i16_e32 vcc, s2, v1
	s_and_saveexec_b64 s[2:3], vcc
	s_xor_b64 s[2:3], exec, s[2:3]
	s_cbranch_execz .LBB360_1076
; %bb.1057:
	s_movk_i32 s14, 0x80
	v_cmp_ne_u16_e32 vcc, s14, v1
	s_and_b64 s[14:15], vcc, exec
	s_andn2_saveexec_b64 s[2:3], s[2:3]
	s_cbranch_execnz .LBB360_1077
.LBB360_1058:
	s_or_b64 exec, exec, s[2:3]
	v_mov_b32_e32 v6, 0
	s_and_saveexec_b64 s[2:3], s[14:15]
	s_cbranch_execz .LBB360_1060
.LBB360_1059:
	v_lshlrev_b32_e32 v4, 24, v1
	v_and_b32_e32 v1, 0xffff, v1
	v_and_b32_e32 v5, 3, v1
	v_ffbh_u32_e32 v7, v5
	v_min_u32_e32 v7, 32, v7
	v_subrev_u32_e32 v8, 29, v7
	v_bfe_u32 v6, v1, 2, 5
	v_lshlrev_b32_e32 v1, v8, v1
	v_sub_u32_e32 v7, 30, v7
	v_and_b32_e32 v1, 3, v1
	v_cmp_eq_u32_e32 vcc, 0, v6
	v_and_b32_e32 v4, 0x80000000, v4
	s_nop 0
	v_cndmask_b32_e32 v6, v6, v7, vcc
	v_cndmask_b32_e32 v1, v5, v1, vcc
	v_mov_b32_e32 v5, 0x37800000
	v_lshlrev_b32_e32 v1, 21, v1
	v_lshl_add_u32 v5, v6, 23, v5
	v_or3_b32 v1, v4, v5, v1
	v_cvt_i32_f32_e32 v6, v1
.LBB360_1060:
	s_or_b64 exec, exec, s[2:3]
	s_mov_b64 s[2:3], 0
	s_branch .LBB360_1066
.LBB360_1061:
                                        ; implicit-def: $vgpr6
	s_mov_b64 s[2:3], 0
	s_branch .LBB360_1072
.LBB360_1062:
	s_andn2_saveexec_b64 s[14:15], s[14:15]
	s_cbranch_execz .LBB360_1048
.LBB360_1063:
	v_cmp_ne_u16_e32 vcc, 0, v1
	s_andn2_b64 s[16:17], s[16:17], exec
	s_and_b64 s[22:23], vcc, exec
	s_or_b64 s[16:17], s[16:17], s[22:23]
	s_or_b64 exec, exec, s[14:15]
	v_mov_b32_e32 v6, 0
	s_and_saveexec_b64 s[14:15], s[16:17]
	s_cbranch_execnz .LBB360_1049
	s_branch .LBB360_1050
.LBB360_1064:
	s_mov_b64 s[2:3], -1
                                        ; implicit-def: $vgpr6
	s_branch .LBB360_1069
.LBB360_1065:
	s_mov_b64 s[2:3], -1
                                        ; implicit-def: $vgpr6
.LBB360_1066:
	s_and_b64 vcc, exec, s[2:3]
	s_cbranch_vccz .LBB360_1068
; %bb.1067:
	global_load_ubyte v1, v[2:3], off
	s_mov_b32 s2, 0x7f800000
	s_waitcnt vmcnt(0)
	v_lshlrev_b32_e32 v1, 24, v1
	v_and_b32_e32 v4, 0x7f000000, v1
	v_ffbh_u32_e32 v5, v4
	v_min_u32_e32 v5, 32, v5
	v_sub_u32_e64 v5, v5, 4 clamp
	v_lshlrev_b32_e32 v7, v5, v4
	v_lshlrev_b32_e32 v5, 23, v5
	v_lshrrev_b32_e32 v7, 4, v7
	v_add_u32_e32 v6, 0x1000000, v4
	v_sub_u32_e32 v5, v7, v5
	v_ashrrev_i32_e32 v6, 8, v6
	v_add_u32_e32 v5, 0x3c000000, v5
	v_and_or_b32 v5, v6, s2, v5
	v_cmp_ne_u32_e32 vcc, 0, v4
	s_brev_b32 s2, 1
	s_nop 0
	v_cndmask_b32_e32 v4, 0, v5, vcc
	v_and_or_b32 v1, v1, s2, v4
	v_cvt_i32_f32_e32 v6, v1
.LBB360_1068:
	s_mov_b64 s[2:3], 0
.LBB360_1069:
	s_andn2_b64 vcc, exec, s[2:3]
	s_cbranch_vccnz .LBB360_1071
; %bb.1070:
	global_load_ubyte v1, v[2:3], off
	s_movk_i32 s2, 0x7f00
	s_brev_b32 s3, 16
	s_waitcnt vmcnt(0)
	v_lshlrev_b16_e32 v4, 8, v1
	v_lshlrev_b32_e32 v1, 25, v1
	v_lshrrev_b32_e32 v5, 4, v1
	v_and_or_b32 v6, v4, s2, 0.5
	v_or_b32_e32 v5, 0x70000000, v5
	v_add_f32_e32 v6, -0.5, v6
	v_mul_f32_e32 v5, 0x7800000, v5
	v_cmp_gt_u32_e32 vcc, s3, v1
	v_bfe_i32 v4, v4, 0, 16
	s_brev_b32 s2, 1
	v_cndmask_b32_e32 v1, v5, v6, vcc
	v_and_or_b32 v1, v4, s2, v1
	v_cvt_i32_f32_e32 v6, v1
.LBB360_1071:
	s_mov_b64 s[16:17], -1
	s_mov_b64 s[2:3], 0
	s_cbranch_execnz .LBB360_1082
.LBB360_1072:
	s_cmp_gt_i32 s18, 14
	s_cbranch_scc0 .LBB360_1075
; %bb.1073:
	s_cmp_eq_u32 s18, 15
	s_cbranch_scc0 .LBB360_1078
; %bb.1074:
	global_load_ushort v1, v[2:3], off
	s_mov_b64 s[0:1], 0
	s_mov_b64 s[16:17], -1
	s_waitcnt vmcnt(0)
	v_lshlrev_b32_e32 v1, 16, v1
	v_cvt_i32_f32_e32 v6, v1
	s_branch .LBB360_1079
.LBB360_1075:
	s_mov_b64 s[14:15], -1
                                        ; implicit-def: $vgpr6
	s_branch .LBB360_1080
.LBB360_1076:
	s_andn2_saveexec_b64 s[2:3], s[2:3]
	s_cbranch_execz .LBB360_1058
.LBB360_1077:
	v_cmp_ne_u16_e32 vcc, 0, v1
	s_andn2_b64 s[14:15], s[14:15], exec
	s_and_b64 s[16:17], vcc, exec
	s_or_b64 s[14:15], s[14:15], s[16:17]
	s_or_b64 exec, exec, s[2:3]
	v_mov_b32_e32 v6, 0
	s_and_saveexec_b64 s[2:3], s[14:15]
	s_cbranch_execnz .LBB360_1059
	s_branch .LBB360_1060
.LBB360_1078:
	s_mov_b64 s[0:1], -1
                                        ; implicit-def: $vgpr6
.LBB360_1079:
	s_mov_b64 s[14:15], 0
.LBB360_1080:
	s_and_b64 vcc, exec, s[14:15]
	s_cbranch_vccz .LBB360_1082
; %bb.1081:
	s_cmp_lg_u32 s18, 11
	s_mov_b64 s[2:3], -1
	s_cselect_b64 s[0:1], -1, 0
.LBB360_1082:
	s_and_b64 vcc, exec, s[0:1]
	s_mov_b64 s[14:15], s[12:13]
	s_cbranch_vccnz .LBB360_1143
; %bb.1083:
	s_andn2_b64 vcc, exec, s[2:3]
	s_cbranch_vccnz .LBB360_1085
.LBB360_1084:
	global_load_ubyte v1, v[2:3], off
	s_mov_b64 s[16:17], -1
	s_waitcnt vmcnt(0)
	v_cmp_ne_u16_e32 vcc, 0, v1
	s_nop 1
	v_cndmask_b32_e64 v6, 0, 1, vcc
.LBB360_1085:
	s_branch .LBB360_1020
.LBB360_1086:
	s_and_b32 s2, 0xffff, s20
	s_cmp_lt_i32 s2, 5
	s_cbranch_scc1 .LBB360_1091
; %bb.1087:
	s_cmp_lt_i32 s2, 8
	s_cbranch_scc1 .LBB360_1092
; %bb.1088:
	;; [unrolled: 3-line block ×3, first 2 shown]
	s_cmp_gt_i32 s2, 9
	s_cbranch_scc0 .LBB360_1094
; %bb.1090:
	global_load_dwordx2 v[4:5], v[2:3], off
	s_mov_b64 s[0:1], 0
	s_waitcnt vmcnt(0)
	v_cvt_i32_f64_e32 v6, v[4:5]
	s_branch .LBB360_1095
.LBB360_1091:
                                        ; implicit-def: $vgpr6
	s_branch .LBB360_1112
.LBB360_1092:
                                        ; implicit-def: $vgpr6
	s_branch .LBB360_1101
.LBB360_1093:
	s_mov_b64 s[0:1], -1
                                        ; implicit-def: $vgpr6
	s_branch .LBB360_1098
.LBB360_1094:
	s_mov_b64 s[0:1], -1
                                        ; implicit-def: $vgpr6
.LBB360_1095:
	s_andn2_b64 vcc, exec, s[0:1]
	s_cbranch_vccnz .LBB360_1097
; %bb.1096:
	global_load_dword v1, v[2:3], off
	s_waitcnt vmcnt(0)
	v_cvt_i32_f32_e32 v6, v1
.LBB360_1097:
	s_mov_b64 s[0:1], 0
.LBB360_1098:
	s_andn2_b64 vcc, exec, s[0:1]
	s_cbranch_vccnz .LBB360_1100
; %bb.1099:
	global_load_dword v1, v[2:3], off
	s_waitcnt vmcnt(0)
	v_cvt_i16_f16_e32 v6, v1
.LBB360_1100:
	s_cbranch_execnz .LBB360_1111
.LBB360_1101:
	s_cmp_lt_i32 s2, 6
	s_cbranch_scc1 .LBB360_1104
; %bb.1102:
	s_cmp_gt_i32 s2, 6
	s_cbranch_scc0 .LBB360_1105
; %bb.1103:
	global_load_dwordx2 v[4:5], v[2:3], off
	s_mov_b64 s[0:1], 0
	s_waitcnt vmcnt(0)
	v_cvt_i32_f64_e32 v6, v[4:5]
	s_branch .LBB360_1106
.LBB360_1104:
	s_mov_b64 s[0:1], -1
                                        ; implicit-def: $vgpr6
	s_branch .LBB360_1109
.LBB360_1105:
	s_mov_b64 s[0:1], -1
                                        ; implicit-def: $vgpr6
.LBB360_1106:
	s_andn2_b64 vcc, exec, s[0:1]
	s_cbranch_vccnz .LBB360_1108
; %bb.1107:
	global_load_dword v1, v[2:3], off
	s_waitcnt vmcnt(0)
	v_cvt_i32_f32_e32 v6, v1
.LBB360_1108:
	s_mov_b64 s[0:1], 0
.LBB360_1109:
	s_andn2_b64 vcc, exec, s[0:1]
	s_cbranch_vccnz .LBB360_1111
; %bb.1110:
	global_load_ushort v1, v[2:3], off
	s_waitcnt vmcnt(0)
	v_cvt_i16_f16_e32 v6, v1
.LBB360_1111:
	s_cbranch_execnz .LBB360_1130
.LBB360_1112:
	s_cmp_lt_i32 s2, 2
	s_cbranch_scc1 .LBB360_1116
; %bb.1113:
	s_cmp_lt_i32 s2, 3
	s_cbranch_scc1 .LBB360_1117
; %bb.1114:
	s_cmp_gt_i32 s2, 3
	s_cbranch_scc0 .LBB360_1118
; %bb.1115:
	global_load_dwordx2 v[6:7], v[2:3], off
	s_mov_b64 s[0:1], 0
	s_branch .LBB360_1119
.LBB360_1116:
                                        ; implicit-def: $vgpr6
	s_branch .LBB360_1125
.LBB360_1117:
	s_mov_b64 s[0:1], -1
                                        ; implicit-def: $vgpr6
	s_branch .LBB360_1122
.LBB360_1118:
	s_mov_b64 s[0:1], -1
                                        ; implicit-def: $vgpr6
.LBB360_1119:
	s_andn2_b64 vcc, exec, s[0:1]
	s_cbranch_vccnz .LBB360_1121
; %bb.1120:
	global_load_dword v6, v[2:3], off
.LBB360_1121:
	s_mov_b64 s[0:1], 0
.LBB360_1122:
	s_andn2_b64 vcc, exec, s[0:1]
	s_cbranch_vccnz .LBB360_1124
; %bb.1123:
	global_load_ushort v6, v[2:3], off
.LBB360_1124:
	s_cbranch_execnz .LBB360_1130
.LBB360_1125:
	s_cmp_gt_i32 s2, 0
	s_cbranch_scc0 .LBB360_1127
; %bb.1126:
	global_load_ubyte v6, v[2:3], off
	s_mov_b64 s[0:1], 0
	s_branch .LBB360_1128
.LBB360_1127:
	s_mov_b64 s[0:1], -1
                                        ; implicit-def: $vgpr6
.LBB360_1128:
	s_andn2_b64 vcc, exec, s[0:1]
	s_cbranch_vccnz .LBB360_1130
; %bb.1129:
	global_load_ubyte v6, v[2:3], off
.LBB360_1130:
.LBB360_1131:
	s_lshl_b32 s9, s9, 7
	v_add_u32_e32 v0, s9, v0
	v_ashrrev_i32_e32 v1, 31, v0
	s_cmp_lt_i32 s20, 11
	v_lshl_add_u64 v[2:3], s[6:7], 0, v[0:1]
	s_cbranch_scc1 .LBB360_1138
; %bb.1132:
	s_and_b32 s21, 0xffff, s20
	s_cmp_gt_i32 s21, 25
	s_mov_b64 s[2:3], 0
	s_cbranch_scc0 .LBB360_1140
; %bb.1133:
	s_cmp_gt_i32 s21, 28
	s_cbranch_scc0 .LBB360_1141
; %bb.1134:
	s_cmp_gt_i32 s21, 43
	;; [unrolled: 3-line block ×3, first 2 shown]
	s_cbranch_scc0 .LBB360_1144
; %bb.1136:
	s_cmp_eq_u32 s21, 46
	s_mov_b64 s[18:19], 0
	s_cbranch_scc0 .LBB360_1147
; %bb.1137:
	global_load_dword v1, v[2:3], off
	s_mov_b64 s[0:1], 0
	s_mov_b64 s[16:17], -1
	s_waitcnt vmcnt(0)
	v_lshlrev_b32_e32 v1, 16, v1
	v_cvt_i32_f32_e32 v4, v1
	s_branch .LBB360_1148
.LBB360_1138:
	s_mov_b64 s[16:17], 0
                                        ; implicit-def: $vgpr4
	s_cbranch_execnz .LBB360_1209
.LBB360_1139:
	s_andn2_b64 vcc, exec, s[16:17]
	s_cbranch_vccnz .LBB360_1940
	s_branch .LBB360_1256
.LBB360_1140:
	s_mov_b64 s[16:17], 0
	s_mov_b64 s[0:1], 0
                                        ; implicit-def: $vgpr4
	s_cbranch_execnz .LBB360_1175
	s_branch .LBB360_1205
.LBB360_1141:
	s_mov_b64 s[18:19], -1
	s_mov_b64 s[16:17], 0
	s_mov_b64 s[0:1], 0
                                        ; implicit-def: $vgpr4
	s_branch .LBB360_1158
.LBB360_1142:
	s_mov_b64 s[18:19], -1
	s_mov_b64 s[16:17], 0
	s_mov_b64 s[0:1], 0
                                        ; implicit-def: $vgpr4
	s_branch .LBB360_1153
.LBB360_1143:
	s_or_b64 s[14:15], s[12:13], exec
	s_trap 2
	s_cbranch_execz .LBB360_1084
	s_branch .LBB360_1085
.LBB360_1144:
	s_mov_b64 s[18:19], -1
	s_mov_b64 s[16:17], 0
	s_mov_b64 s[0:1], 0
                                        ; implicit-def: $vgpr4
	s_branch .LBB360_1148
.LBB360_1145:
	s_andn2_saveexec_b64 s[24:25], s[24:25]
	s_cbranch_execz .LBB360_936
.LBB360_1146:
	s_mov_b32 s28, 0x42800000
	v_add_f32_e64 v4, |v2|, s28
	v_and_b32_e32 v4, 0xff, v4
	v_cmp_ne_u32_e32 vcc, 0, v4
	s_andn2_b64 s[22:23], s[22:23], exec
	s_and_b64 s[28:29], vcc, exec
	s_or_b64 s[22:23], s[22:23], s[28:29]
	s_or_b64 exec, exec, s[24:25]
	v_mov_b32_e32 v5, 0
	s_and_saveexec_b64 s[24:25], s[22:23]
	s_cbranch_execnz .LBB360_937
	s_branch .LBB360_938
.LBB360_1147:
	s_mov_b64 s[0:1], -1
                                        ; implicit-def: $vgpr4
	s_mov_b64 s[16:17], 0
.LBB360_1148:
	s_and_b64 vcc, exec, s[18:19]
	s_cbranch_vccz .LBB360_1152
; %bb.1149:
	s_cmp_eq_u32 s21, 44
	s_cbranch_scc0 .LBB360_1151
; %bb.1150:
	global_load_ubyte v1, v[2:3], off
	s_mov_b64 s[0:1], 0
	s_mov_b64 s[16:17], -1
	s_waitcnt vmcnt(0)
	v_lshlrev_b32_e32 v4, 23, v1
	v_cvt_i32_f32_e32 v4, v4
	v_cmp_ne_u32_e32 vcc, 0, v1
	s_nop 1
	v_cndmask_b32_e32 v4, 0, v4, vcc
	s_branch .LBB360_1152
.LBB360_1151:
	s_mov_b64 s[0:1], -1
                                        ; implicit-def: $vgpr4
.LBB360_1152:
	s_mov_b64 s[18:19], 0
.LBB360_1153:
	s_and_b64 vcc, exec, s[18:19]
	s_cbranch_vccz .LBB360_1157
; %bb.1154:
	s_cmp_eq_u32 s21, 29
	s_cbranch_scc0 .LBB360_1156
; %bb.1155:
	global_load_dwordx2 v[4:5], v[2:3], off
	s_mov_b64 s[0:1], 0
	s_mov_b64 s[16:17], -1
	s_branch .LBB360_1157
.LBB360_1156:
	s_mov_b64 s[0:1], -1
                                        ; implicit-def: $vgpr4
.LBB360_1157:
	s_mov_b64 s[18:19], 0
.LBB360_1158:
	s_and_b64 vcc, exec, s[18:19]
	s_cbranch_vccz .LBB360_1174
; %bb.1159:
	s_cmp_lt_i32 s21, 27
	s_cbranch_scc1 .LBB360_1162
; %bb.1160:
	s_cmp_gt_i32 s21, 27
	s_cbranch_scc0 .LBB360_1163
; %bb.1161:
	global_load_dword v4, v[2:3], off
	s_mov_b64 s[16:17], 0
	s_branch .LBB360_1164
.LBB360_1162:
	s_mov_b64 s[16:17], -1
                                        ; implicit-def: $vgpr4
	s_branch .LBB360_1167
.LBB360_1163:
	s_mov_b64 s[16:17], -1
                                        ; implicit-def: $vgpr4
.LBB360_1164:
	s_andn2_b64 vcc, exec, s[16:17]
	s_cbranch_vccnz .LBB360_1166
; %bb.1165:
	global_load_ushort v4, v[2:3], off
.LBB360_1166:
	s_mov_b64 s[16:17], 0
.LBB360_1167:
	s_andn2_b64 vcc, exec, s[16:17]
	s_cbranch_vccnz .LBB360_1173
; %bb.1168:
	global_load_ubyte v1, v[2:3], off
	s_movk_i32 s16, 0x7f
	s_mov_b64 s[18:19], 0
	s_waitcnt vmcnt(0)
	v_cmp_lt_i16_e32 vcc, s16, v1
	s_and_saveexec_b64 s[16:17], vcc
	s_xor_b64 s[16:17], exec, s[16:17]
	s_cbranch_execz .LBB360_1184
; %bb.1169:
	s_movk_i32 s18, 0x80
	v_cmp_ne_u16_e32 vcc, s18, v1
	s_and_b64 s[18:19], vcc, exec
	s_andn2_saveexec_b64 s[16:17], s[16:17]
	s_cbranch_execnz .LBB360_1185
.LBB360_1170:
	s_or_b64 exec, exec, s[16:17]
	v_mov_b32_e32 v4, 0
	s_and_saveexec_b64 s[16:17], s[18:19]
	s_cbranch_execz .LBB360_1172
.LBB360_1171:
	v_lshlrev_b32_e32 v4, 24, v1
	v_and_b32_e32 v1, 0xffff, v1
	v_and_b32_e32 v5, 7, v1
	v_ffbh_u32_e32 v8, v5
	v_min_u32_e32 v8, 32, v8
	v_subrev_u32_e32 v9, 28, v8
	v_bfe_u32 v7, v1, 3, 4
	v_lshlrev_b32_e32 v1, v9, v1
	v_sub_u32_e32 v8, 29, v8
	v_and_b32_e32 v1, 7, v1
	v_cmp_eq_u32_e32 vcc, 0, v7
	v_and_b32_e32 v4, 0x80000000, v4
	s_nop 0
	v_cndmask_b32_e32 v7, v7, v8, vcc
	v_cndmask_b32_e32 v1, v5, v1, vcc
	v_mov_b32_e32 v5, 0x3b800000
	v_lshlrev_b32_e32 v1, 20, v1
	v_lshl_add_u32 v5, v7, 23, v5
	v_or3_b32 v1, v4, v5, v1
	v_cvt_i32_f32_e32 v4, v1
.LBB360_1172:
	s_or_b64 exec, exec, s[16:17]
.LBB360_1173:
	s_mov_b64 s[16:17], -1
.LBB360_1174:
	s_branch .LBB360_1205
.LBB360_1175:
	s_cmp_gt_i32 s21, 22
	s_cbranch_scc0 .LBB360_1183
; %bb.1176:
	s_cmp_lt_i32 s21, 24
	s_cbranch_scc1 .LBB360_1186
; %bb.1177:
	s_cmp_gt_i32 s21, 24
	s_cbranch_scc0 .LBB360_1187
; %bb.1178:
	global_load_ubyte v1, v[2:3], off
	s_movk_i32 s2, 0x7f
	s_mov_b64 s[16:17], 0
	s_waitcnt vmcnt(0)
	v_cmp_lt_i16_e32 vcc, s2, v1
	s_and_saveexec_b64 s[2:3], vcc
	s_xor_b64 s[2:3], exec, s[2:3]
	s_cbranch_execz .LBB360_1199
; %bb.1179:
	s_movk_i32 s16, 0x80
	v_cmp_ne_u16_e32 vcc, s16, v1
	s_and_b64 s[16:17], vcc, exec
	s_andn2_saveexec_b64 s[2:3], s[2:3]
	s_cbranch_execnz .LBB360_1200
.LBB360_1180:
	s_or_b64 exec, exec, s[2:3]
	v_mov_b32_e32 v4, 0
	s_and_saveexec_b64 s[2:3], s[16:17]
	s_cbranch_execz .LBB360_1182
.LBB360_1181:
	v_lshlrev_b32_e32 v4, 24, v1
	v_and_b32_e32 v1, 0xffff, v1
	v_and_b32_e32 v5, 3, v1
	v_ffbh_u32_e32 v8, v5
	v_min_u32_e32 v8, 32, v8
	v_subrev_u32_e32 v9, 29, v8
	v_bfe_u32 v7, v1, 2, 5
	v_lshlrev_b32_e32 v1, v9, v1
	v_sub_u32_e32 v8, 30, v8
	v_and_b32_e32 v1, 3, v1
	v_cmp_eq_u32_e32 vcc, 0, v7
	v_and_b32_e32 v4, 0x80000000, v4
	s_nop 0
	v_cndmask_b32_e32 v7, v7, v8, vcc
	v_cndmask_b32_e32 v1, v5, v1, vcc
	v_mov_b32_e32 v5, 0x37800000
	v_lshlrev_b32_e32 v1, 21, v1
	v_lshl_add_u32 v5, v7, 23, v5
	v_or3_b32 v1, v4, v5, v1
	v_cvt_i32_f32_e32 v4, v1
.LBB360_1182:
	s_or_b64 exec, exec, s[2:3]
	s_mov_b64 s[2:3], 0
	s_branch .LBB360_1188
.LBB360_1183:
	s_mov_b64 s[2:3], -1
                                        ; implicit-def: $vgpr4
	s_branch .LBB360_1194
.LBB360_1184:
	s_andn2_saveexec_b64 s[16:17], s[16:17]
	s_cbranch_execz .LBB360_1170
.LBB360_1185:
	v_cmp_ne_u16_e32 vcc, 0, v1
	s_andn2_b64 s[18:19], s[18:19], exec
	s_and_b64 s[22:23], vcc, exec
	s_or_b64 s[18:19], s[18:19], s[22:23]
	s_or_b64 exec, exec, s[16:17]
	v_mov_b32_e32 v4, 0
	s_and_saveexec_b64 s[16:17], s[18:19]
	s_cbranch_execnz .LBB360_1171
	s_branch .LBB360_1172
.LBB360_1186:
	s_mov_b64 s[2:3], -1
                                        ; implicit-def: $vgpr4
	s_branch .LBB360_1191
.LBB360_1187:
	s_mov_b64 s[2:3], -1
                                        ; implicit-def: $vgpr4
.LBB360_1188:
	s_and_b64 vcc, exec, s[2:3]
	s_cbranch_vccz .LBB360_1190
; %bb.1189:
	global_load_ubyte v1, v[2:3], off
	s_mov_b32 s2, 0x7f800000
	s_waitcnt vmcnt(0)
	v_lshlrev_b32_e32 v1, 24, v1
	v_and_b32_e32 v4, 0x7f000000, v1
	v_ffbh_u32_e32 v5, v4
	v_min_u32_e32 v5, 32, v5
	v_sub_u32_e64 v5, v5, 4 clamp
	v_lshlrev_b32_e32 v8, v5, v4
	v_lshlrev_b32_e32 v5, 23, v5
	v_lshrrev_b32_e32 v8, 4, v8
	v_add_u32_e32 v7, 0x1000000, v4
	v_sub_u32_e32 v5, v8, v5
	v_ashrrev_i32_e32 v7, 8, v7
	v_add_u32_e32 v5, 0x3c000000, v5
	v_and_or_b32 v5, v7, s2, v5
	v_cmp_ne_u32_e32 vcc, 0, v4
	s_brev_b32 s2, 1
	s_nop 0
	v_cndmask_b32_e32 v4, 0, v5, vcc
	v_and_or_b32 v1, v1, s2, v4
	v_cvt_i32_f32_e32 v4, v1
.LBB360_1190:
	s_mov_b64 s[2:3], 0
.LBB360_1191:
	s_andn2_b64 vcc, exec, s[2:3]
	s_cbranch_vccnz .LBB360_1193
; %bb.1192:
	global_load_ubyte v1, v[2:3], off
	s_movk_i32 s2, 0x7f00
	s_brev_b32 s3, 16
	s_waitcnt vmcnt(0)
	v_lshlrev_b16_e32 v4, 8, v1
	v_lshlrev_b32_e32 v1, 25, v1
	v_lshrrev_b32_e32 v5, 4, v1
	v_and_or_b32 v7, v4, s2, 0.5
	v_or_b32_e32 v5, 0x70000000, v5
	v_add_f32_e32 v7, -0.5, v7
	v_mul_f32_e32 v5, 0x7800000, v5
	v_cmp_gt_u32_e32 vcc, s3, v1
	v_bfe_i32 v4, v4, 0, 16
	s_brev_b32 s2, 1
	v_cndmask_b32_e32 v1, v5, v7, vcc
	v_and_or_b32 v1, v4, s2, v1
	v_cvt_i32_f32_e32 v4, v1
.LBB360_1193:
	s_mov_b64 s[2:3], 0
	s_mov_b64 s[16:17], -1
.LBB360_1194:
	s_andn2_b64 vcc, exec, s[2:3]
	s_mov_b64 s[2:3], 0
	s_cbranch_vccnz .LBB360_1205
; %bb.1195:
	s_cmp_gt_i32 s21, 14
	s_cbranch_scc0 .LBB360_1198
; %bb.1196:
	s_cmp_eq_u32 s21, 15
	s_cbranch_scc0 .LBB360_1201
; %bb.1197:
	global_load_ushort v1, v[2:3], off
	s_mov_b64 s[0:1], 0
	s_mov_b64 s[16:17], -1
	s_waitcnt vmcnt(0)
	v_lshlrev_b32_e32 v1, 16, v1
	v_cvt_i32_f32_e32 v4, v1
	s_branch .LBB360_1202
.LBB360_1198:
	s_mov_b64 s[18:19], -1
                                        ; implicit-def: $vgpr4
	s_branch .LBB360_1203
.LBB360_1199:
	s_andn2_saveexec_b64 s[2:3], s[2:3]
	s_cbranch_execz .LBB360_1180
.LBB360_1200:
	v_cmp_ne_u16_e32 vcc, 0, v1
	s_andn2_b64 s[16:17], s[16:17], exec
	s_and_b64 s[18:19], vcc, exec
	s_or_b64 s[16:17], s[16:17], s[18:19]
	s_or_b64 exec, exec, s[2:3]
	v_mov_b32_e32 v4, 0
	s_and_saveexec_b64 s[2:3], s[16:17]
	s_cbranch_execnz .LBB360_1181
	s_branch .LBB360_1182
.LBB360_1201:
	s_mov_b64 s[0:1], -1
                                        ; implicit-def: $vgpr4
.LBB360_1202:
	s_mov_b64 s[18:19], 0
.LBB360_1203:
	s_and_b64 vcc, exec, s[18:19]
	s_cbranch_vccz .LBB360_1205
; %bb.1204:
	s_cmp_lg_u32 s21, 11
	s_mov_b64 s[2:3], -1
	s_cselect_b64 s[0:1], -1, 0
.LBB360_1205:
	s_and_b64 vcc, exec, s[0:1]
	s_cbranch_vccnz .LBB360_1268
; %bb.1206:
	s_andn2_b64 vcc, exec, s[2:3]
	s_cbranch_vccnz .LBB360_1208
.LBB360_1207:
	global_load_ubyte v1, v[2:3], off
	s_mov_b64 s[16:17], -1
	s_waitcnt vmcnt(0)
	v_cmp_ne_u16_e32 vcc, 0, v1
	s_nop 1
	v_cndmask_b32_e64 v4, 0, 1, vcc
.LBB360_1208:
	s_branch .LBB360_1139
.LBB360_1209:
	s_and_b32 s2, 0xffff, s20
	s_cmp_lt_i32 s2, 5
	s_cbranch_scc1 .LBB360_1214
; %bb.1210:
	s_cmp_lt_i32 s2, 8
	s_cbranch_scc1 .LBB360_1215
; %bb.1211:
	;; [unrolled: 3-line block ×3, first 2 shown]
	s_cmp_gt_i32 s2, 9
	s_cbranch_scc0 .LBB360_1217
; %bb.1213:
	global_load_dwordx2 v[4:5], v[2:3], off
	s_mov_b64 s[0:1], 0
	s_waitcnt vmcnt(0)
	v_cvt_i32_f64_e32 v4, v[4:5]
	s_branch .LBB360_1218
.LBB360_1214:
                                        ; implicit-def: $vgpr4
	s_branch .LBB360_1236
.LBB360_1215:
	s_mov_b64 s[0:1], -1
                                        ; implicit-def: $vgpr4
	s_branch .LBB360_1224
.LBB360_1216:
	s_mov_b64 s[0:1], -1
                                        ; implicit-def: $vgpr4
	s_branch .LBB360_1221
.LBB360_1217:
	s_mov_b64 s[0:1], -1
                                        ; implicit-def: $vgpr4
.LBB360_1218:
	s_andn2_b64 vcc, exec, s[0:1]
	s_cbranch_vccnz .LBB360_1220
; %bb.1219:
	global_load_dword v1, v[2:3], off
	s_waitcnt vmcnt(0)
	v_cvt_i32_f32_e32 v4, v1
.LBB360_1220:
	s_mov_b64 s[0:1], 0
.LBB360_1221:
	s_andn2_b64 vcc, exec, s[0:1]
	s_cbranch_vccnz .LBB360_1223
; %bb.1222:
	global_load_dword v1, v[2:3], off
	s_waitcnt vmcnt(0)
	v_cvt_i16_f16_e32 v4, v1
.LBB360_1223:
	s_mov_b64 s[0:1], 0
.LBB360_1224:
	s_andn2_b64 vcc, exec, s[0:1]
	s_cbranch_vccnz .LBB360_1235
; %bb.1225:
	s_cmp_lt_i32 s2, 6
	s_cbranch_scc1 .LBB360_1228
; %bb.1226:
	s_cmp_gt_i32 s2, 6
	s_cbranch_scc0 .LBB360_1229
; %bb.1227:
	global_load_dwordx2 v[4:5], v[2:3], off
	s_mov_b64 s[0:1], 0
	s_waitcnt vmcnt(0)
	v_cvt_i32_f64_e32 v4, v[4:5]
	s_branch .LBB360_1230
.LBB360_1228:
	s_mov_b64 s[0:1], -1
                                        ; implicit-def: $vgpr4
	s_branch .LBB360_1233
.LBB360_1229:
	s_mov_b64 s[0:1], -1
                                        ; implicit-def: $vgpr4
.LBB360_1230:
	s_andn2_b64 vcc, exec, s[0:1]
	s_cbranch_vccnz .LBB360_1232
; %bb.1231:
	global_load_dword v1, v[2:3], off
	s_waitcnt vmcnt(0)
	v_cvt_i32_f32_e32 v4, v1
.LBB360_1232:
	s_mov_b64 s[0:1], 0
.LBB360_1233:
	s_andn2_b64 vcc, exec, s[0:1]
	s_cbranch_vccnz .LBB360_1235
; %bb.1234:
	global_load_ushort v1, v[2:3], off
	s_waitcnt vmcnt(0)
	v_cvt_i16_f16_e32 v4, v1
.LBB360_1235:
	s_cbranch_execnz .LBB360_1255
.LBB360_1236:
	s_cmp_lt_i32 s2, 2
	s_cbranch_scc1 .LBB360_1240
; %bb.1237:
	s_cmp_lt_i32 s2, 3
	s_cbranch_scc1 .LBB360_1241
; %bb.1238:
	s_cmp_gt_i32 s2, 3
	s_cbranch_scc0 .LBB360_1242
; %bb.1239:
	global_load_dwordx2 v[4:5], v[2:3], off
	s_mov_b64 s[0:1], 0
	s_branch .LBB360_1243
.LBB360_1240:
	s_mov_b64 s[0:1], -1
                                        ; implicit-def: $vgpr4
	s_branch .LBB360_1249
.LBB360_1241:
	s_mov_b64 s[0:1], -1
                                        ; implicit-def: $vgpr4
	s_branch .LBB360_1246
.LBB360_1242:
	s_mov_b64 s[0:1], -1
                                        ; implicit-def: $vgpr4
.LBB360_1243:
	s_andn2_b64 vcc, exec, s[0:1]
	s_cbranch_vccnz .LBB360_1245
; %bb.1244:
	global_load_dword v4, v[2:3], off
.LBB360_1245:
	s_mov_b64 s[0:1], 0
.LBB360_1246:
	s_andn2_b64 vcc, exec, s[0:1]
	s_cbranch_vccnz .LBB360_1248
; %bb.1247:
	global_load_ushort v4, v[2:3], off
.LBB360_1248:
	s_mov_b64 s[0:1], 0
.LBB360_1249:
	s_andn2_b64 vcc, exec, s[0:1]
	s_cbranch_vccnz .LBB360_1255
; %bb.1250:
	s_cmp_gt_i32 s2, 0
	s_cbranch_scc0 .LBB360_1252
; %bb.1251:
	global_load_ubyte v4, v[2:3], off
	s_mov_b64 s[0:1], 0
	s_branch .LBB360_1253
.LBB360_1252:
	s_mov_b64 s[0:1], -1
                                        ; implicit-def: $vgpr4
.LBB360_1253:
	s_andn2_b64 vcc, exec, s[0:1]
	s_cbranch_vccnz .LBB360_1255
; %bb.1254:
	global_load_ubyte v4, v[2:3], off
.LBB360_1255:
.LBB360_1256:
	v_add_u32_e32 v0, s9, v0
	v_ashrrev_i32_e32 v1, 31, v0
	s_cmp_lt_i32 s20, 11
	v_lshl_add_u64 v[8:9], s[6:7], 0, v[0:1]
	s_cbranch_scc1 .LBB360_1263
; %bb.1257:
	s_and_b32 s21, 0xffff, s20
	s_cmp_gt_i32 s21, 25
	s_mov_b64 s[2:3], 0
	s_cbranch_scc0 .LBB360_1265
; %bb.1258:
	s_cmp_gt_i32 s21, 28
	s_cbranch_scc0 .LBB360_1266
; %bb.1259:
	s_cmp_gt_i32 s21, 43
	;; [unrolled: 3-line block ×3, first 2 shown]
	s_cbranch_scc0 .LBB360_1269
; %bb.1261:
	s_cmp_eq_u32 s21, 46
	s_mov_b64 s[18:19], 0
	s_cbranch_scc0 .LBB360_1270
; %bb.1262:
	global_load_dword v1, v[8:9], off
	s_mov_b64 s[0:1], 0
	s_mov_b64 s[16:17], -1
	s_waitcnt vmcnt(0)
	v_lshlrev_b32_e32 v1, 16, v1
	v_cvt_i32_f32_e32 v2, v1
	s_branch .LBB360_1271
.LBB360_1263:
	s_mov_b64 s[16:17], 0
                                        ; implicit-def: $vgpr2
	s_cbranch_execnz .LBB360_1333
.LBB360_1264:
	s_andn2_b64 vcc, exec, s[16:17]
	s_cbranch_vccnz .LBB360_1940
	s_branch .LBB360_1381
.LBB360_1265:
	s_mov_b64 s[18:19], -1
	s_mov_b64 s[16:17], 0
	s_mov_b64 s[0:1], 0
                                        ; implicit-def: $vgpr2
	s_branch .LBB360_1298
.LBB360_1266:
	s_mov_b64 s[18:19], -1
	s_mov_b64 s[16:17], 0
	s_mov_b64 s[0:1], 0
                                        ; implicit-def: $vgpr2
	s_branch .LBB360_1281
.LBB360_1267:
	s_mov_b64 s[18:19], -1
	s_mov_b64 s[16:17], 0
	s_mov_b64 s[0:1], 0
                                        ; implicit-def: $vgpr2
	s_branch .LBB360_1276
.LBB360_1268:
	s_trap 2
	s_or_b64 s[14:15], s[14:15], exec
	s_cbranch_execz .LBB360_1207
	s_branch .LBB360_1208
.LBB360_1269:
	s_mov_b64 s[18:19], -1
	s_mov_b64 s[16:17], 0
	s_mov_b64 s[0:1], 0
                                        ; implicit-def: $vgpr2
	s_branch .LBB360_1271
.LBB360_1270:
	s_mov_b64 s[0:1], -1
                                        ; implicit-def: $vgpr2
	s_mov_b64 s[16:17], 0
.LBB360_1271:
	s_and_b64 vcc, exec, s[18:19]
	s_cbranch_vccz .LBB360_1275
; %bb.1272:
	s_cmp_eq_u32 s21, 44
	s_cbranch_scc0 .LBB360_1274
; %bb.1273:
	global_load_ubyte v1, v[8:9], off
	s_mov_b64 s[0:1], 0
	s_mov_b64 s[16:17], -1
	s_waitcnt vmcnt(0)
	v_lshlrev_b32_e32 v2, 23, v1
	v_cvt_i32_f32_e32 v2, v2
	v_cmp_ne_u32_e32 vcc, 0, v1
	s_nop 1
	v_cndmask_b32_e32 v2, 0, v2, vcc
	s_branch .LBB360_1275
.LBB360_1274:
	s_mov_b64 s[0:1], -1
                                        ; implicit-def: $vgpr2
.LBB360_1275:
	s_mov_b64 s[18:19], 0
.LBB360_1276:
	s_and_b64 vcc, exec, s[18:19]
	s_cbranch_vccz .LBB360_1280
; %bb.1277:
	s_cmp_eq_u32 s21, 29
	s_cbranch_scc0 .LBB360_1279
; %bb.1278:
	global_load_dwordx2 v[2:3], v[8:9], off
	s_mov_b64 s[0:1], 0
	s_mov_b64 s[16:17], -1
	s_branch .LBB360_1280
.LBB360_1279:
	s_mov_b64 s[0:1], -1
                                        ; implicit-def: $vgpr2
.LBB360_1280:
	s_mov_b64 s[18:19], 0
.LBB360_1281:
	s_and_b64 vcc, exec, s[18:19]
	s_cbranch_vccz .LBB360_1297
; %bb.1282:
	s_cmp_lt_i32 s21, 27
	s_cbranch_scc1 .LBB360_1285
; %bb.1283:
	s_cmp_gt_i32 s21, 27
	s_cbranch_scc0 .LBB360_1286
; %bb.1284:
	global_load_dword v2, v[8:9], off
	s_mov_b64 s[16:17], 0
	s_branch .LBB360_1287
.LBB360_1285:
	s_mov_b64 s[16:17], -1
                                        ; implicit-def: $vgpr2
	s_branch .LBB360_1290
.LBB360_1286:
	s_mov_b64 s[16:17], -1
                                        ; implicit-def: $vgpr2
.LBB360_1287:
	s_andn2_b64 vcc, exec, s[16:17]
	s_cbranch_vccnz .LBB360_1289
; %bb.1288:
	global_load_ushort v2, v[8:9], off
.LBB360_1289:
	s_mov_b64 s[16:17], 0
.LBB360_1290:
	s_andn2_b64 vcc, exec, s[16:17]
	s_cbranch_vccnz .LBB360_1296
; %bb.1291:
	global_load_ubyte v1, v[8:9], off
	s_movk_i32 s16, 0x7f
	s_mov_b64 s[18:19], 0
	s_waitcnt vmcnt(0)
	v_cmp_lt_i16_e32 vcc, s16, v1
	s_and_saveexec_b64 s[16:17], vcc
	s_xor_b64 s[16:17], exec, s[16:17]
	s_cbranch_execz .LBB360_1308
; %bb.1292:
	s_movk_i32 s18, 0x80
	v_cmp_ne_u16_e32 vcc, s18, v1
	s_and_b64 s[18:19], vcc, exec
	s_andn2_saveexec_b64 s[16:17], s[16:17]
	s_cbranch_execnz .LBB360_1309
.LBB360_1293:
	s_or_b64 exec, exec, s[16:17]
	v_mov_b32_e32 v2, 0
	s_and_saveexec_b64 s[16:17], s[18:19]
	s_cbranch_execz .LBB360_1295
.LBB360_1294:
	v_lshlrev_b32_e32 v2, 24, v1
	v_and_b32_e32 v1, 0xffff, v1
	v_and_b32_e32 v3, 7, v1
	v_ffbh_u32_e32 v7, v3
	v_min_u32_e32 v7, 32, v7
	v_subrev_u32_e32 v11, 28, v7
	v_bfe_u32 v5, v1, 3, 4
	v_lshlrev_b32_e32 v1, v11, v1
	v_sub_u32_e32 v7, 29, v7
	v_and_b32_e32 v1, 7, v1
	v_cmp_eq_u32_e32 vcc, 0, v5
	v_and_b32_e32 v2, 0x80000000, v2
	s_nop 0
	v_cndmask_b32_e32 v5, v5, v7, vcc
	v_cndmask_b32_e32 v1, v3, v1, vcc
	v_mov_b32_e32 v3, 0x3b800000
	v_lshlrev_b32_e32 v1, 20, v1
	v_lshl_add_u32 v3, v5, 23, v3
	v_or3_b32 v1, v2, v3, v1
	v_cvt_i32_f32_e32 v2, v1
.LBB360_1295:
	s_or_b64 exec, exec, s[16:17]
.LBB360_1296:
	s_mov_b64 s[16:17], -1
.LBB360_1297:
	s_mov_b64 s[18:19], 0
.LBB360_1298:
	s_and_b64 vcc, exec, s[18:19]
	s_cbranch_vccz .LBB360_1329
; %bb.1299:
	s_cmp_gt_i32 s21, 22
	s_cbranch_scc0 .LBB360_1307
; %bb.1300:
	s_cmp_lt_i32 s21, 24
	s_cbranch_scc1 .LBB360_1310
; %bb.1301:
	s_cmp_gt_i32 s21, 24
	s_cbranch_scc0 .LBB360_1311
; %bb.1302:
	global_load_ubyte v1, v[8:9], off
	s_movk_i32 s2, 0x7f
	s_mov_b64 s[16:17], 0
	s_waitcnt vmcnt(0)
	v_cmp_lt_i16_e32 vcc, s2, v1
	s_and_saveexec_b64 s[2:3], vcc
	s_xor_b64 s[2:3], exec, s[2:3]
	s_cbranch_execz .LBB360_1323
; %bb.1303:
	s_movk_i32 s16, 0x80
	v_cmp_ne_u16_e32 vcc, s16, v1
	s_and_b64 s[16:17], vcc, exec
	s_andn2_saveexec_b64 s[2:3], s[2:3]
	s_cbranch_execnz .LBB360_1324
.LBB360_1304:
	s_or_b64 exec, exec, s[2:3]
	v_mov_b32_e32 v2, 0
	s_and_saveexec_b64 s[2:3], s[16:17]
	s_cbranch_execz .LBB360_1306
.LBB360_1305:
	v_lshlrev_b32_e32 v2, 24, v1
	v_and_b32_e32 v1, 0xffff, v1
	v_and_b32_e32 v3, 3, v1
	v_ffbh_u32_e32 v7, v3
	v_min_u32_e32 v7, 32, v7
	v_subrev_u32_e32 v11, 29, v7
	v_bfe_u32 v5, v1, 2, 5
	v_lshlrev_b32_e32 v1, v11, v1
	v_sub_u32_e32 v7, 30, v7
	v_and_b32_e32 v1, 3, v1
	v_cmp_eq_u32_e32 vcc, 0, v5
	v_and_b32_e32 v2, 0x80000000, v2
	s_nop 0
	v_cndmask_b32_e32 v5, v5, v7, vcc
	v_cndmask_b32_e32 v1, v3, v1, vcc
	v_mov_b32_e32 v3, 0x37800000
	v_lshlrev_b32_e32 v1, 21, v1
	v_lshl_add_u32 v3, v5, 23, v3
	v_or3_b32 v1, v2, v3, v1
	v_cvt_i32_f32_e32 v2, v1
.LBB360_1306:
	s_or_b64 exec, exec, s[2:3]
	s_mov_b64 s[2:3], 0
	s_branch .LBB360_1312
.LBB360_1307:
	s_mov_b64 s[2:3], -1
                                        ; implicit-def: $vgpr2
	s_branch .LBB360_1318
.LBB360_1308:
	s_andn2_saveexec_b64 s[16:17], s[16:17]
	s_cbranch_execz .LBB360_1293
.LBB360_1309:
	v_cmp_ne_u16_e32 vcc, 0, v1
	s_andn2_b64 s[18:19], s[18:19], exec
	s_and_b64 s[22:23], vcc, exec
	s_or_b64 s[18:19], s[18:19], s[22:23]
	s_or_b64 exec, exec, s[16:17]
	v_mov_b32_e32 v2, 0
	s_and_saveexec_b64 s[16:17], s[18:19]
	s_cbranch_execnz .LBB360_1294
	s_branch .LBB360_1295
.LBB360_1310:
	s_mov_b64 s[2:3], -1
                                        ; implicit-def: $vgpr2
	s_branch .LBB360_1315
.LBB360_1311:
	s_mov_b64 s[2:3], -1
                                        ; implicit-def: $vgpr2
.LBB360_1312:
	s_and_b64 vcc, exec, s[2:3]
	s_cbranch_vccz .LBB360_1314
; %bb.1313:
	global_load_ubyte v1, v[8:9], off
	s_mov_b32 s2, 0x7f800000
	s_waitcnt vmcnt(0)
	v_lshlrev_b32_e32 v1, 24, v1
	v_and_b32_e32 v2, 0x7f000000, v1
	v_ffbh_u32_e32 v3, v2
	v_min_u32_e32 v3, 32, v3
	v_sub_u32_e64 v3, v3, 4 clamp
	v_lshlrev_b32_e32 v7, v3, v2
	v_lshlrev_b32_e32 v3, 23, v3
	v_lshrrev_b32_e32 v7, 4, v7
	v_add_u32_e32 v5, 0x1000000, v2
	v_sub_u32_e32 v3, v7, v3
	v_ashrrev_i32_e32 v5, 8, v5
	v_add_u32_e32 v3, 0x3c000000, v3
	v_and_or_b32 v3, v5, s2, v3
	v_cmp_ne_u32_e32 vcc, 0, v2
	s_brev_b32 s2, 1
	s_nop 0
	v_cndmask_b32_e32 v2, 0, v3, vcc
	v_and_or_b32 v1, v1, s2, v2
	v_cvt_i32_f32_e32 v2, v1
.LBB360_1314:
	s_mov_b64 s[2:3], 0
.LBB360_1315:
	s_andn2_b64 vcc, exec, s[2:3]
	s_cbranch_vccnz .LBB360_1317
; %bb.1316:
	global_load_ubyte v1, v[8:9], off
	s_movk_i32 s2, 0x7f00
	s_brev_b32 s3, 16
	s_waitcnt vmcnt(0)
	v_lshlrev_b16_e32 v2, 8, v1
	v_lshlrev_b32_e32 v1, 25, v1
	v_lshrrev_b32_e32 v3, 4, v1
	v_and_or_b32 v5, v2, s2, 0.5
	v_or_b32_e32 v3, 0x70000000, v3
	v_add_f32_e32 v5, -0.5, v5
	v_mul_f32_e32 v3, 0x7800000, v3
	v_cmp_gt_u32_e32 vcc, s3, v1
	v_bfe_i32 v2, v2, 0, 16
	s_brev_b32 s2, 1
	v_cndmask_b32_e32 v1, v3, v5, vcc
	v_and_or_b32 v1, v2, s2, v1
	v_cvt_i32_f32_e32 v2, v1
.LBB360_1317:
	s_mov_b64 s[2:3], 0
	s_mov_b64 s[16:17], -1
.LBB360_1318:
	s_andn2_b64 vcc, exec, s[2:3]
	s_mov_b64 s[2:3], 0
	s_cbranch_vccnz .LBB360_1329
; %bb.1319:
	s_cmp_gt_i32 s21, 14
	s_cbranch_scc0 .LBB360_1322
; %bb.1320:
	s_cmp_eq_u32 s21, 15
	s_cbranch_scc0 .LBB360_1325
; %bb.1321:
	global_load_ushort v1, v[8:9], off
	s_mov_b64 s[0:1], 0
	s_mov_b64 s[16:17], -1
	s_waitcnt vmcnt(0)
	v_lshlrev_b32_e32 v1, 16, v1
	v_cvt_i32_f32_e32 v2, v1
	s_branch .LBB360_1326
.LBB360_1322:
	s_mov_b64 s[18:19], -1
                                        ; implicit-def: $vgpr2
	s_branch .LBB360_1327
.LBB360_1323:
	s_andn2_saveexec_b64 s[2:3], s[2:3]
	s_cbranch_execz .LBB360_1304
.LBB360_1324:
	v_cmp_ne_u16_e32 vcc, 0, v1
	s_andn2_b64 s[16:17], s[16:17], exec
	s_and_b64 s[18:19], vcc, exec
	s_or_b64 s[16:17], s[16:17], s[18:19]
	s_or_b64 exec, exec, s[2:3]
	v_mov_b32_e32 v2, 0
	s_and_saveexec_b64 s[2:3], s[16:17]
	s_cbranch_execnz .LBB360_1305
	s_branch .LBB360_1306
.LBB360_1325:
	s_mov_b64 s[0:1], -1
                                        ; implicit-def: $vgpr2
.LBB360_1326:
	s_mov_b64 s[18:19], 0
.LBB360_1327:
	s_and_b64 vcc, exec, s[18:19]
	s_cbranch_vccz .LBB360_1329
; %bb.1328:
	s_cmp_lg_u32 s21, 11
	s_mov_b64 s[2:3], -1
	s_cselect_b64 s[0:1], -1, 0
.LBB360_1329:
	s_and_b64 vcc, exec, s[0:1]
	s_cbranch_vccnz .LBB360_1392
; %bb.1330:
	s_andn2_b64 vcc, exec, s[2:3]
	s_cbranch_vccnz .LBB360_1332
.LBB360_1331:
	global_load_ubyte v1, v[8:9], off
	s_mov_b64 s[16:17], -1
	s_waitcnt vmcnt(0)
	v_cmp_ne_u16_e32 vcc, 0, v1
	s_nop 1
	v_cndmask_b32_e64 v2, 0, 1, vcc
.LBB360_1332:
	s_branch .LBB360_1264
.LBB360_1333:
	s_and_b32 s2, 0xffff, s20
	s_cmp_lt_i32 s2, 5
	s_cbranch_scc1 .LBB360_1338
; %bb.1334:
	s_cmp_lt_i32 s2, 8
	s_cbranch_scc1 .LBB360_1339
; %bb.1335:
	;; [unrolled: 3-line block ×3, first 2 shown]
	s_cmp_gt_i32 s2, 9
	s_cbranch_scc0 .LBB360_1341
; %bb.1337:
	global_load_dwordx2 v[2:3], v[8:9], off
	s_mov_b64 s[0:1], 0
	s_waitcnt vmcnt(0)
	v_cvt_i32_f64_e32 v2, v[2:3]
	s_branch .LBB360_1342
.LBB360_1338:
	s_mov_b64 s[0:1], -1
                                        ; implicit-def: $vgpr2
	s_branch .LBB360_1360
.LBB360_1339:
	s_mov_b64 s[0:1], -1
                                        ; implicit-def: $vgpr2
	s_branch .LBB360_1348
.LBB360_1340:
	s_mov_b64 s[0:1], -1
                                        ; implicit-def: $vgpr2
	s_branch .LBB360_1345
.LBB360_1341:
	s_mov_b64 s[0:1], -1
                                        ; implicit-def: $vgpr2
.LBB360_1342:
	s_andn2_b64 vcc, exec, s[0:1]
	s_cbranch_vccnz .LBB360_1344
; %bb.1343:
	global_load_dword v1, v[8:9], off
	s_waitcnt vmcnt(0)
	v_cvt_i32_f32_e32 v2, v1
.LBB360_1344:
	s_mov_b64 s[0:1], 0
.LBB360_1345:
	s_andn2_b64 vcc, exec, s[0:1]
	s_cbranch_vccnz .LBB360_1347
; %bb.1346:
	global_load_dword v1, v[8:9], off
	s_waitcnt vmcnt(0)
	v_cvt_i16_f16_e32 v2, v1
.LBB360_1347:
	s_mov_b64 s[0:1], 0
.LBB360_1348:
	s_andn2_b64 vcc, exec, s[0:1]
	s_cbranch_vccnz .LBB360_1359
; %bb.1349:
	s_cmp_lt_i32 s2, 6
	s_cbranch_scc1 .LBB360_1352
; %bb.1350:
	s_cmp_gt_i32 s2, 6
	s_cbranch_scc0 .LBB360_1353
; %bb.1351:
	global_load_dwordx2 v[2:3], v[8:9], off
	s_mov_b64 s[0:1], 0
	s_waitcnt vmcnt(0)
	v_cvt_i32_f64_e32 v2, v[2:3]
	s_branch .LBB360_1354
.LBB360_1352:
	s_mov_b64 s[0:1], -1
                                        ; implicit-def: $vgpr2
	s_branch .LBB360_1357
.LBB360_1353:
	s_mov_b64 s[0:1], -1
                                        ; implicit-def: $vgpr2
.LBB360_1354:
	s_andn2_b64 vcc, exec, s[0:1]
	s_cbranch_vccnz .LBB360_1356
; %bb.1355:
	global_load_dword v1, v[8:9], off
	s_waitcnt vmcnt(0)
	v_cvt_i32_f32_e32 v2, v1
.LBB360_1356:
	s_mov_b64 s[0:1], 0
.LBB360_1357:
	s_andn2_b64 vcc, exec, s[0:1]
	s_cbranch_vccnz .LBB360_1359
; %bb.1358:
	global_load_ushort v1, v[8:9], off
	s_waitcnt vmcnt(0)
	v_cvt_i16_f16_e32 v2, v1
.LBB360_1359:
	s_mov_b64 s[0:1], 0
.LBB360_1360:
	s_andn2_b64 vcc, exec, s[0:1]
	s_cbranch_vccnz .LBB360_1380
; %bb.1361:
	s_cmp_lt_i32 s2, 2
	s_cbranch_scc1 .LBB360_1365
; %bb.1362:
	s_cmp_lt_i32 s2, 3
	s_cbranch_scc1 .LBB360_1366
; %bb.1363:
	s_cmp_gt_i32 s2, 3
	s_cbranch_scc0 .LBB360_1367
; %bb.1364:
	global_load_dwordx2 v[2:3], v[8:9], off
	s_mov_b64 s[0:1], 0
	s_branch .LBB360_1368
.LBB360_1365:
	s_mov_b64 s[0:1], -1
                                        ; implicit-def: $vgpr2
	s_branch .LBB360_1374
.LBB360_1366:
	s_mov_b64 s[0:1], -1
                                        ; implicit-def: $vgpr2
	s_branch .LBB360_1371
.LBB360_1367:
	s_mov_b64 s[0:1], -1
                                        ; implicit-def: $vgpr2
.LBB360_1368:
	s_andn2_b64 vcc, exec, s[0:1]
	s_cbranch_vccnz .LBB360_1370
; %bb.1369:
	global_load_dword v2, v[8:9], off
.LBB360_1370:
	s_mov_b64 s[0:1], 0
.LBB360_1371:
	s_andn2_b64 vcc, exec, s[0:1]
	s_cbranch_vccnz .LBB360_1373
; %bb.1372:
	global_load_ushort v2, v[8:9], off
.LBB360_1373:
	s_mov_b64 s[0:1], 0
.LBB360_1374:
	s_andn2_b64 vcc, exec, s[0:1]
	s_cbranch_vccnz .LBB360_1380
; %bb.1375:
	s_cmp_gt_i32 s2, 0
	s_cbranch_scc0 .LBB360_1377
; %bb.1376:
	global_load_ubyte v2, v[8:9], off
	s_mov_b64 s[0:1], 0
	s_branch .LBB360_1378
.LBB360_1377:
	s_mov_b64 s[0:1], -1
                                        ; implicit-def: $vgpr2
.LBB360_1378:
	s_andn2_b64 vcc, exec, s[0:1]
	s_cbranch_vccnz .LBB360_1380
; %bb.1379:
	global_load_ubyte v2, v[8:9], off
.LBB360_1380:
.LBB360_1381:
	v_add_u32_e32 v0, s9, v0
	v_ashrrev_i32_e32 v1, 31, v0
	s_cmp_lt_i32 s20, 11
	v_lshl_add_u64 v[8:9], s[6:7], 0, v[0:1]
	s_cbranch_scc1 .LBB360_1388
; %bb.1382:
	s_and_b32 s9, 0xffff, s20
	s_cmp_gt_i32 s9, 25
	s_mov_b64 s[2:3], 0
	s_cbranch_scc0 .LBB360_1389
; %bb.1383:
	s_cmp_gt_i32 s9, 28
	s_cbranch_scc0 .LBB360_1390
; %bb.1384:
	s_cmp_gt_i32 s9, 43
	;; [unrolled: 3-line block ×3, first 2 shown]
	s_cbranch_scc0 .LBB360_1393
; %bb.1386:
	s_cmp_eq_u32 s9, 46
	s_mov_b64 s[16:17], 0
	s_cbranch_scc0 .LBB360_1394
; %bb.1387:
	global_load_dword v0, v[8:9], off
	s_mov_b64 s[0:1], 0
	s_mov_b64 s[6:7], -1
	s_waitcnt vmcnt(0)
	v_lshlrev_b32_e32 v0, 16, v0
	v_cvt_i32_f32_e32 v0, v0
	s_branch .LBB360_1395
.LBB360_1388:
	s_mov_b64 s[0:1], -1
	s_mov_b64 s[6:7], 0
                                        ; implicit-def: $vgpr0
	s_branch .LBB360_1457
.LBB360_1389:
	s_mov_b64 s[16:17], -1
	s_mov_b64 s[6:7], 0
	s_mov_b64 s[0:1], 0
                                        ; implicit-def: $vgpr0
	s_branch .LBB360_1422
.LBB360_1390:
	s_mov_b64 s[16:17], -1
	s_mov_b64 s[6:7], 0
	s_mov_b64 s[0:1], 0
                                        ; implicit-def: $vgpr0
	s_branch .LBB360_1405
.LBB360_1391:
	s_mov_b64 s[16:17], -1
	s_mov_b64 s[6:7], 0
	s_mov_b64 s[0:1], 0
                                        ; implicit-def: $vgpr0
	s_branch .LBB360_1400
.LBB360_1392:
	s_trap 2
	s_or_b64 s[14:15], s[14:15], exec
	s_cbranch_execz .LBB360_1331
	s_branch .LBB360_1332
.LBB360_1393:
	s_mov_b64 s[16:17], -1
	s_mov_b64 s[6:7], 0
	s_mov_b64 s[0:1], 0
                                        ; implicit-def: $vgpr0
	s_branch .LBB360_1395
.LBB360_1394:
	s_mov_b64 s[0:1], -1
                                        ; implicit-def: $vgpr0
	s_mov_b64 s[6:7], 0
.LBB360_1395:
	s_and_b64 vcc, exec, s[16:17]
	s_cbranch_vccz .LBB360_1399
; %bb.1396:
	s_cmp_eq_u32 s9, 44
	s_cbranch_scc0 .LBB360_1398
; %bb.1397:
	global_load_ubyte v0, v[8:9], off
	s_mov_b64 s[0:1], 0
	s_mov_b64 s[6:7], -1
	s_waitcnt vmcnt(0)
	v_lshlrev_b32_e32 v1, 23, v0
	v_cvt_i32_f32_e32 v1, v1
	v_cmp_ne_u32_e32 vcc, 0, v0
	s_nop 1
	v_cndmask_b32_e32 v0, 0, v1, vcc
	s_branch .LBB360_1399
.LBB360_1398:
	s_mov_b64 s[0:1], -1
                                        ; implicit-def: $vgpr0
.LBB360_1399:
	s_mov_b64 s[16:17], 0
.LBB360_1400:
	s_and_b64 vcc, exec, s[16:17]
	s_cbranch_vccz .LBB360_1404
; %bb.1401:
	s_cmp_eq_u32 s9, 29
	s_cbranch_scc0 .LBB360_1403
; %bb.1402:
	global_load_dwordx2 v[0:1], v[8:9], off
	s_mov_b64 s[0:1], 0
	s_mov_b64 s[6:7], -1
	s_branch .LBB360_1404
.LBB360_1403:
	s_mov_b64 s[0:1], -1
                                        ; implicit-def: $vgpr0
.LBB360_1404:
	s_mov_b64 s[16:17], 0
.LBB360_1405:
	s_and_b64 vcc, exec, s[16:17]
	s_cbranch_vccz .LBB360_1421
; %bb.1406:
	s_cmp_lt_i32 s9, 27
	s_cbranch_scc1 .LBB360_1409
; %bb.1407:
	s_cmp_gt_i32 s9, 27
	s_cbranch_scc0 .LBB360_1410
; %bb.1408:
	global_load_dword v0, v[8:9], off
	s_mov_b64 s[6:7], 0
	s_branch .LBB360_1411
.LBB360_1409:
	s_mov_b64 s[6:7], -1
                                        ; implicit-def: $vgpr0
	s_branch .LBB360_1414
.LBB360_1410:
	s_mov_b64 s[6:7], -1
                                        ; implicit-def: $vgpr0
.LBB360_1411:
	s_andn2_b64 vcc, exec, s[6:7]
	s_cbranch_vccnz .LBB360_1413
; %bb.1412:
	global_load_ushort v0, v[8:9], off
.LBB360_1413:
	s_mov_b64 s[6:7], 0
.LBB360_1414:
	s_andn2_b64 vcc, exec, s[6:7]
	s_cbranch_vccnz .LBB360_1420
; %bb.1415:
	global_load_ubyte v1, v[8:9], off
	s_movk_i32 s6, 0x7f
	s_mov_b64 s[16:17], 0
	s_waitcnt vmcnt(0)
	v_cmp_lt_i16_e32 vcc, s6, v1
	s_and_saveexec_b64 s[6:7], vcc
	s_xor_b64 s[6:7], exec, s[6:7]
	s_cbranch_execz .LBB360_1432
; %bb.1416:
	s_movk_i32 s16, 0x80
	v_cmp_ne_u16_e32 vcc, s16, v1
	s_and_b64 s[16:17], vcc, exec
	s_andn2_saveexec_b64 s[6:7], s[6:7]
	s_cbranch_execnz .LBB360_1433
.LBB360_1417:
	s_or_b64 exec, exec, s[6:7]
	v_mov_b32_e32 v0, 0
	s_and_saveexec_b64 s[6:7], s[16:17]
	s_cbranch_execz .LBB360_1419
.LBB360_1418:
	v_lshlrev_b32_e32 v0, 24, v1
	v_and_b32_e32 v1, 0xffff, v1
	v_and_b32_e32 v3, 7, v1
	v_ffbh_u32_e32 v7, v3
	v_min_u32_e32 v7, 32, v7
	v_subrev_u32_e32 v11, 28, v7
	v_bfe_u32 v5, v1, 3, 4
	v_lshlrev_b32_e32 v1, v11, v1
	v_sub_u32_e32 v7, 29, v7
	v_and_b32_e32 v1, 7, v1
	v_cmp_eq_u32_e32 vcc, 0, v5
	v_and_b32_e32 v0, 0x80000000, v0
	s_nop 0
	v_cndmask_b32_e32 v5, v5, v7, vcc
	v_cndmask_b32_e32 v1, v3, v1, vcc
	v_mov_b32_e32 v3, 0x3b800000
	v_lshlrev_b32_e32 v1, 20, v1
	v_lshl_add_u32 v3, v5, 23, v3
	v_or3_b32 v0, v0, v3, v1
	v_cvt_i32_f32_e32 v0, v0
.LBB360_1419:
	s_or_b64 exec, exec, s[6:7]
.LBB360_1420:
	s_mov_b64 s[6:7], -1
.LBB360_1421:
	s_mov_b64 s[16:17], 0
.LBB360_1422:
	s_and_b64 vcc, exec, s[16:17]
	s_cbranch_vccz .LBB360_1453
; %bb.1423:
	s_cmp_gt_i32 s9, 22
	s_cbranch_scc0 .LBB360_1431
; %bb.1424:
	s_cmp_lt_i32 s9, 24
	s_cbranch_scc1 .LBB360_1434
; %bb.1425:
	s_cmp_gt_i32 s9, 24
	s_cbranch_scc0 .LBB360_1435
; %bb.1426:
	global_load_ubyte v1, v[8:9], off
	s_movk_i32 s2, 0x7f
	s_mov_b64 s[6:7], 0
	s_waitcnt vmcnt(0)
	v_cmp_lt_i16_e32 vcc, s2, v1
	s_and_saveexec_b64 s[2:3], vcc
	s_xor_b64 s[2:3], exec, s[2:3]
	s_cbranch_execz .LBB360_1447
; %bb.1427:
	s_movk_i32 s6, 0x80
	v_cmp_ne_u16_e32 vcc, s6, v1
	s_and_b64 s[6:7], vcc, exec
	s_andn2_saveexec_b64 s[2:3], s[2:3]
	s_cbranch_execnz .LBB360_1448
.LBB360_1428:
	s_or_b64 exec, exec, s[2:3]
	v_mov_b32_e32 v0, 0
	s_and_saveexec_b64 s[2:3], s[6:7]
	s_cbranch_execz .LBB360_1430
.LBB360_1429:
	v_lshlrev_b32_e32 v0, 24, v1
	v_and_b32_e32 v1, 0xffff, v1
	v_and_b32_e32 v3, 3, v1
	v_ffbh_u32_e32 v7, v3
	v_min_u32_e32 v7, 32, v7
	v_subrev_u32_e32 v11, 29, v7
	v_bfe_u32 v5, v1, 2, 5
	v_lshlrev_b32_e32 v1, v11, v1
	v_sub_u32_e32 v7, 30, v7
	v_and_b32_e32 v1, 3, v1
	v_cmp_eq_u32_e32 vcc, 0, v5
	v_and_b32_e32 v0, 0x80000000, v0
	s_nop 0
	v_cndmask_b32_e32 v5, v5, v7, vcc
	v_cndmask_b32_e32 v1, v3, v1, vcc
	v_mov_b32_e32 v3, 0x37800000
	v_lshlrev_b32_e32 v1, 21, v1
	v_lshl_add_u32 v3, v5, 23, v3
	v_or3_b32 v0, v0, v3, v1
	v_cvt_i32_f32_e32 v0, v0
.LBB360_1430:
	s_or_b64 exec, exec, s[2:3]
	s_mov_b64 s[2:3], 0
	s_branch .LBB360_1436
.LBB360_1431:
	s_mov_b64 s[2:3], -1
                                        ; implicit-def: $vgpr0
	s_branch .LBB360_1442
.LBB360_1432:
	s_andn2_saveexec_b64 s[6:7], s[6:7]
	s_cbranch_execz .LBB360_1417
.LBB360_1433:
	v_cmp_ne_u16_e32 vcc, 0, v1
	s_andn2_b64 s[16:17], s[16:17], exec
	s_and_b64 s[18:19], vcc, exec
	s_or_b64 s[16:17], s[16:17], s[18:19]
	s_or_b64 exec, exec, s[6:7]
	v_mov_b32_e32 v0, 0
	s_and_saveexec_b64 s[6:7], s[16:17]
	s_cbranch_execnz .LBB360_1418
	s_branch .LBB360_1419
.LBB360_1434:
	s_mov_b64 s[2:3], -1
                                        ; implicit-def: $vgpr0
	s_branch .LBB360_1439
.LBB360_1435:
	s_mov_b64 s[2:3], -1
                                        ; implicit-def: $vgpr0
.LBB360_1436:
	s_and_b64 vcc, exec, s[2:3]
	s_cbranch_vccz .LBB360_1438
; %bb.1437:
	global_load_ubyte v0, v[8:9], off
	s_mov_b32 s2, 0x7f800000
	s_waitcnt vmcnt(0)
	v_lshlrev_b32_e32 v0, 24, v0
	v_and_b32_e32 v1, 0x7f000000, v0
	v_ffbh_u32_e32 v3, v1
	v_min_u32_e32 v3, 32, v3
	v_sub_u32_e64 v3, v3, 4 clamp
	v_lshlrev_b32_e32 v7, v3, v1
	v_lshlrev_b32_e32 v3, 23, v3
	v_lshrrev_b32_e32 v7, 4, v7
	v_add_u32_e32 v5, 0x1000000, v1
	v_sub_u32_e32 v3, v7, v3
	v_ashrrev_i32_e32 v5, 8, v5
	v_add_u32_e32 v3, 0x3c000000, v3
	v_and_or_b32 v3, v5, s2, v3
	v_cmp_ne_u32_e32 vcc, 0, v1
	s_brev_b32 s2, 1
	s_nop 0
	v_cndmask_b32_e32 v1, 0, v3, vcc
	v_and_or_b32 v0, v0, s2, v1
	v_cvt_i32_f32_e32 v0, v0
.LBB360_1438:
	s_mov_b64 s[2:3], 0
.LBB360_1439:
	s_andn2_b64 vcc, exec, s[2:3]
	s_cbranch_vccnz .LBB360_1441
; %bb.1440:
	global_load_ubyte v0, v[8:9], off
	s_movk_i32 s2, 0x7f00
	s_brev_b32 s3, 16
	s_waitcnt vmcnt(0)
	v_lshlrev_b16_e32 v1, 8, v0
	v_lshlrev_b32_e32 v0, 25, v0
	v_lshrrev_b32_e32 v3, 4, v0
	v_and_or_b32 v5, v1, s2, 0.5
	v_or_b32_e32 v3, 0x70000000, v3
	v_add_f32_e32 v5, -0.5, v5
	v_mul_f32_e32 v3, 0x7800000, v3
	v_cmp_gt_u32_e32 vcc, s3, v0
	v_bfe_i32 v1, v1, 0, 16
	s_brev_b32 s2, 1
	v_cndmask_b32_e32 v0, v3, v5, vcc
	v_and_or_b32 v0, v1, s2, v0
	v_cvt_i32_f32_e32 v0, v0
.LBB360_1441:
	s_mov_b64 s[2:3], 0
	s_mov_b64 s[6:7], -1
.LBB360_1442:
	s_andn2_b64 vcc, exec, s[2:3]
	s_mov_b64 s[2:3], 0
	s_cbranch_vccnz .LBB360_1453
; %bb.1443:
	s_cmp_gt_i32 s9, 14
	s_cbranch_scc0 .LBB360_1446
; %bb.1444:
	s_cmp_eq_u32 s9, 15
	s_cbranch_scc0 .LBB360_1449
; %bb.1445:
	global_load_ushort v0, v[8:9], off
	s_mov_b64 s[0:1], 0
	s_mov_b64 s[6:7], -1
	s_waitcnt vmcnt(0)
	v_lshlrev_b32_e32 v0, 16, v0
	v_cvt_i32_f32_e32 v0, v0
	s_branch .LBB360_1450
.LBB360_1446:
	s_mov_b64 s[16:17], -1
                                        ; implicit-def: $vgpr0
	s_branch .LBB360_1451
.LBB360_1447:
	s_andn2_saveexec_b64 s[2:3], s[2:3]
	s_cbranch_execz .LBB360_1428
.LBB360_1448:
	v_cmp_ne_u16_e32 vcc, 0, v1
	s_andn2_b64 s[6:7], s[6:7], exec
	s_and_b64 s[16:17], vcc, exec
	s_or_b64 s[6:7], s[6:7], s[16:17]
	s_or_b64 exec, exec, s[2:3]
	v_mov_b32_e32 v0, 0
	s_and_saveexec_b64 s[2:3], s[6:7]
	s_cbranch_execnz .LBB360_1429
	s_branch .LBB360_1430
.LBB360_1449:
	s_mov_b64 s[0:1], -1
                                        ; implicit-def: $vgpr0
.LBB360_1450:
	s_mov_b64 s[16:17], 0
.LBB360_1451:
	s_and_b64 vcc, exec, s[16:17]
	s_cbranch_vccz .LBB360_1453
; %bb.1452:
	s_cmp_lg_u32 s9, 11
	s_mov_b64 s[2:3], -1
	s_cselect_b64 s[0:1], -1, 0
.LBB360_1453:
	s_and_b64 vcc, exec, s[0:1]
	s_cbranch_vccnz .LBB360_1986
; %bb.1454:
	s_andn2_b64 vcc, exec, s[2:3]
	s_cbranch_vccnz .LBB360_1456
.LBB360_1455:
	global_load_ubyte v0, v[8:9], off
	s_mov_b64 s[6:7], -1
	s_waitcnt vmcnt(0)
	v_cmp_ne_u16_e32 vcc, 0, v0
	s_nop 1
	v_cndmask_b32_e64 v0, 0, 1, vcc
.LBB360_1456:
	s_mov_b64 s[0:1], 0
.LBB360_1457:
	s_and_b64 vcc, exec, s[0:1]
	s_cbranch_vccz .LBB360_1506
; %bb.1458:
	s_and_b32 s2, 0xffff, s20
	s_cmp_lt_i32 s2, 5
	s_cbranch_scc1 .LBB360_1463
; %bb.1459:
	s_cmp_lt_i32 s2, 8
	s_cbranch_scc1 .LBB360_1464
; %bb.1460:
	s_cmp_lt_i32 s2, 9
	s_cbranch_scc1 .LBB360_1465
; %bb.1461:
	s_cmp_gt_i32 s2, 9
	s_cbranch_scc0 .LBB360_1466
; %bb.1462:
	global_load_dwordx2 v[0:1], v[8:9], off
	s_mov_b64 s[0:1], 0
	s_waitcnt vmcnt(0)
	v_cvt_i32_f64_e32 v0, v[0:1]
	s_branch .LBB360_1467
.LBB360_1463:
	s_mov_b64 s[0:1], -1
                                        ; implicit-def: $vgpr0
	s_branch .LBB360_1485
.LBB360_1464:
	s_mov_b64 s[0:1], -1
                                        ; implicit-def: $vgpr0
	s_branch .LBB360_1473
.LBB360_1465:
	s_mov_b64 s[0:1], -1
                                        ; implicit-def: $vgpr0
	s_branch .LBB360_1470
.LBB360_1466:
	s_mov_b64 s[0:1], -1
                                        ; implicit-def: $vgpr0
.LBB360_1467:
	s_andn2_b64 vcc, exec, s[0:1]
	s_cbranch_vccnz .LBB360_1469
; %bb.1468:
	global_load_dword v0, v[8:9], off
	s_waitcnt vmcnt(0)
	v_cvt_i32_f32_e32 v0, v0
.LBB360_1469:
	s_mov_b64 s[0:1], 0
.LBB360_1470:
	s_andn2_b64 vcc, exec, s[0:1]
	s_cbranch_vccnz .LBB360_1472
; %bb.1471:
	global_load_dword v0, v[8:9], off
	s_waitcnt vmcnt(0)
	v_cvt_i16_f16_e32 v0, v0
.LBB360_1472:
	s_mov_b64 s[0:1], 0
.LBB360_1473:
	s_andn2_b64 vcc, exec, s[0:1]
	s_cbranch_vccnz .LBB360_1484
; %bb.1474:
	s_cmp_lt_i32 s2, 6
	s_cbranch_scc1 .LBB360_1477
; %bb.1475:
	s_cmp_gt_i32 s2, 6
	s_cbranch_scc0 .LBB360_1478
; %bb.1476:
	global_load_dwordx2 v[0:1], v[8:9], off
	s_mov_b64 s[0:1], 0
	s_waitcnt vmcnt(0)
	v_cvt_i32_f64_e32 v0, v[0:1]
	s_branch .LBB360_1479
.LBB360_1477:
	s_mov_b64 s[0:1], -1
                                        ; implicit-def: $vgpr0
	s_branch .LBB360_1482
.LBB360_1478:
	s_mov_b64 s[0:1], -1
                                        ; implicit-def: $vgpr0
.LBB360_1479:
	s_andn2_b64 vcc, exec, s[0:1]
	s_cbranch_vccnz .LBB360_1481
; %bb.1480:
	global_load_dword v0, v[8:9], off
	s_waitcnt vmcnt(0)
	v_cvt_i32_f32_e32 v0, v0
.LBB360_1481:
	s_mov_b64 s[0:1], 0
.LBB360_1482:
	s_andn2_b64 vcc, exec, s[0:1]
	s_cbranch_vccnz .LBB360_1484
; %bb.1483:
	global_load_ushort v0, v[8:9], off
	s_waitcnt vmcnt(0)
	v_cvt_i16_f16_e32 v0, v0
.LBB360_1484:
	s_mov_b64 s[0:1], 0
.LBB360_1485:
	s_andn2_b64 vcc, exec, s[0:1]
	s_cbranch_vccnz .LBB360_1505
; %bb.1486:
	s_cmp_lt_i32 s2, 2
	s_cbranch_scc1 .LBB360_1490
; %bb.1487:
	s_cmp_lt_i32 s2, 3
	s_cbranch_scc1 .LBB360_1491
; %bb.1488:
	s_cmp_gt_i32 s2, 3
	s_cbranch_scc0 .LBB360_1492
; %bb.1489:
	global_load_dwordx2 v[0:1], v[8:9], off
	s_mov_b64 s[0:1], 0
	s_branch .LBB360_1493
.LBB360_1490:
	s_mov_b64 s[0:1], -1
                                        ; implicit-def: $vgpr0
	s_branch .LBB360_1499
.LBB360_1491:
	s_mov_b64 s[0:1], -1
                                        ; implicit-def: $vgpr0
	s_branch .LBB360_1496
.LBB360_1492:
	s_mov_b64 s[0:1], -1
                                        ; implicit-def: $vgpr0
.LBB360_1493:
	s_andn2_b64 vcc, exec, s[0:1]
	s_cbranch_vccnz .LBB360_1495
; %bb.1494:
	global_load_dword v0, v[8:9], off
.LBB360_1495:
	s_mov_b64 s[0:1], 0
.LBB360_1496:
	s_andn2_b64 vcc, exec, s[0:1]
	s_cbranch_vccnz .LBB360_1498
; %bb.1497:
	global_load_ushort v0, v[8:9], off
.LBB360_1498:
	s_mov_b64 s[0:1], 0
.LBB360_1499:
	s_andn2_b64 vcc, exec, s[0:1]
	s_cbranch_vccnz .LBB360_1505
; %bb.1500:
	s_cmp_gt_i32 s2, 0
	s_cbranch_scc0 .LBB360_1502
; %bb.1501:
	global_load_ubyte v0, v[8:9], off
	s_mov_b64 s[0:1], 0
	s_branch .LBB360_1503
.LBB360_1502:
	s_mov_b64 s[0:1], -1
                                        ; implicit-def: $vgpr0
.LBB360_1503:
	s_andn2_b64 vcc, exec, s[0:1]
	s_cbranch_vccnz .LBB360_1505
; %bb.1504:
	global_load_ubyte v0, v[8:9], off
.LBB360_1505:
	s_mov_b64 s[6:7], -1
.LBB360_1506:
	s_andn2_b64 vcc, exec, s[6:7]
	s_cbranch_vccnz .LBB360_1940
; %bb.1507:
	s_bfe_i32 s21, s33, 0x80000
	s_waitcnt vmcnt(0)
	v_max_i16_sdwa v1, sext(v6), s21 dst_sel:DWORD dst_unused:UNUSED_PAD src0_sel:BYTE_0 src1_sel:DWORD
	v_mul_lo_u32 v6, s8, v10
	v_ashrrev_i32_e32 v7, 31, v6
	s_and_b32 s20, s42, 0xff
	s_cmp_lt_i32 s20, 11
	v_lshl_add_u64 v[8:9], s[4:5], 0, v[6:7]
	s_cbranch_scc1 .LBB360_1585
; %bb.1508:
	s_and_b32 s9, 0xffff, s20
	s_mov_b64 s[16:17], -1
	s_mov_b64 s[2:3], 0
	s_cmp_gt_i32 s9, 25
	s_mov_b64 s[6:7], 0
	s_mov_b64 s[0:1], 0
	s_cbranch_scc0 .LBB360_1541
; %bb.1509:
	s_cmp_gt_i32 s9, 28
	s_cbranch_scc0 .LBB360_1524
; %bb.1510:
	s_cmp_gt_i32 s9, 43
	;; [unrolled: 3-line block ×3, first 2 shown]
	s_cbranch_scc0 .LBB360_1514
; %bb.1512:
	s_mov_b64 s[0:1], -1
	s_mov_b64 s[16:17], 0
	s_cmp_eq_u32 s9, 46
	s_cbranch_scc0 .LBB360_1514
; %bb.1513:
	v_cvt_f32_i32_sdwa v3, sext(v1) dst_sel:DWORD dst_unused:UNUSED_PAD src0_sel:WORD_0
	s_movk_i32 s6, 0x7fff
	s_mov_b64 s[0:1], 0
	v_bfe_u32 v5, v3, 16, 1
	v_add3_u32 v3, v3, v5, s6
	v_lshrrev_b32_e32 v3, 16, v3
	global_store_dword v[8:9], v3, off
	s_mov_b64 s[6:7], -1
.LBB360_1514:
	s_and_b64 vcc, exec, s[16:17]
	s_cbranch_vccz .LBB360_1519
; %bb.1515:
	s_cmp_eq_u32 s9, 44
	s_mov_b64 s[0:1], -1
	s_cbranch_scc0 .LBB360_1519
; %bb.1516:
	v_cvt_f32_i32_sdwa v3, sext(v1) dst_sel:DWORD dst_unused:UNUSED_PAD src0_sel:WORD_0
	s_movk_i32 s0, 0xff
	v_mov_b32_e32 v7, 0xff
	v_bfe_u32 v5, v3, 23, 8
	v_cmp_ne_u32_e32 vcc, s0, v5
	s_and_saveexec_b64 s[6:7], vcc
; %bb.1517:
	s_mov_b32 s0, 0x3fffff
	v_lshrrev_b32_e32 v7, 23, v3
	v_and_b32_e32 v10, 0x400000, v3
	v_and_or_b32 v3, v3, s0, v5
	v_cmp_ne_u32_e32 vcc, 0, v10
	v_cmp_ne_u32_e64 s[0:1], 0, v3
	s_and_b64 s[0:1], vcc, s[0:1]
	s_nop 0
	v_cndmask_b32_e64 v3, 0, 1, s[0:1]
	v_add_u32_e32 v7, v7, v3
; %bb.1518:
	s_or_b64 exec, exec, s[6:7]
	s_mov_b64 s[0:1], 0
	s_mov_b64 s[6:7], -1
	global_store_byte v[8:9], v7, off
.LBB360_1519:
	s_mov_b64 s[16:17], 0
.LBB360_1520:
	s_and_b64 vcc, exec, s[16:17]
	s_cbranch_vccz .LBB360_1523
; %bb.1521:
	s_cmp_eq_u32 s9, 29
	s_mov_b64 s[0:1], -1
	s_cbranch_scc0 .LBB360_1523
; %bb.1522:
	v_bfe_i32 v10, v1, 0, 16
	v_ashrrev_i32_e32 v11, 31, v10
	global_store_dwordx2 v[8:9], v[10:11], off
	s_mov_b64 s[0:1], 0
	s_mov_b64 s[6:7], -1
.LBB360_1523:
	s_mov_b64 s[16:17], 0
.LBB360_1524:
	s_and_b64 vcc, exec, s[16:17]
	s_cbranch_vccz .LBB360_1540
; %bb.1525:
	s_cmp_lt_i32 s9, 27
	s_mov_b64 s[6:7], -1
	s_cbranch_scc1 .LBB360_1531
; %bb.1526:
	s_cmp_gt_i32 s9, 27
	s_cbranch_scc0 .LBB360_1528
; %bb.1527:
	v_bfe_i32 v3, v1, 0, 16
	s_mov_b64 s[6:7], 0
	global_store_dword v[8:9], v3, off
.LBB360_1528:
	s_andn2_b64 vcc, exec, s[6:7]
	s_cbranch_vccnz .LBB360_1530
; %bb.1529:
	global_store_short v[8:9], v1, off
.LBB360_1530:
	s_mov_b64 s[6:7], 0
.LBB360_1531:
	s_andn2_b64 vcc, exec, s[6:7]
	s_cbranch_vccnz .LBB360_1539
; %bb.1532:
	v_cvt_f32_i32_sdwa v3, sext(v1) dst_sel:DWORD dst_unused:UNUSED_PAD src0_sel:WORD_0
	s_mov_b32 s6, 0x43800000
	v_mov_b32_e32 v7, 0x80
	v_and_b32_e32 v5, 0x7fffffff, v3
	v_cmp_gt_u32_e32 vcc, s6, v5
	s_and_saveexec_b64 s[6:7], vcc
	s_cbranch_execz .LBB360_1538
; %bb.1533:
	s_mov_b32 s16, 0x3bffffff
	v_cmp_lt_u32_e32 vcc, s16, v5
	s_mov_b64 s[16:17], 0
                                        ; implicit-def: $vgpr5
	s_and_saveexec_b64 s[18:19], vcc
	s_xor_b64 s[18:19], exec, s[18:19]
	s_cbranch_execz .LBB360_1987
; %bb.1534:
	v_bfe_u32 v5, v3, 20, 1
	s_mov_b32 s22, 0x487ffff
	v_add3_u32 v5, v3, v5, s22
	s_mov_b64 s[16:17], exec
	v_lshrrev_b32_e32 v5, 20, v5
	s_andn2_saveexec_b64 s[18:19], s[18:19]
	s_cbranch_execnz .LBB360_1988
.LBB360_1535:
	s_or_b64 exec, exec, s[18:19]
	v_mov_b32_e32 v7, 0
	s_and_saveexec_b64 s[18:19], s[16:17]
.LBB360_1536:
	v_lshrrev_b32_e32 v3, 24, v3
	s_movk_i32 s16, 0x80
	v_and_or_b32 v7, v3, s16, v5
.LBB360_1537:
	s_or_b64 exec, exec, s[18:19]
.LBB360_1538:
	s_or_b64 exec, exec, s[6:7]
	global_store_byte v[8:9], v7, off
.LBB360_1539:
	s_mov_b64 s[6:7], -1
.LBB360_1540:
	s_mov_b64 s[16:17], 0
.LBB360_1541:
	s_and_b64 vcc, exec, s[16:17]
	s_cbranch_vccz .LBB360_1581
; %bb.1542:
	s_cmp_gt_i32 s9, 22
	s_mov_b64 s[2:3], -1
	s_cbranch_scc0 .LBB360_1574
; %bb.1543:
	s_cmp_lt_i32 s9, 24
	s_cbranch_scc1 .LBB360_1563
; %bb.1544:
	s_cmp_gt_i32 s9, 24
	s_cbranch_scc0 .LBB360_1552
; %bb.1545:
	v_cvt_f32_i32_sdwa v3, sext(v1) dst_sel:DWORD dst_unused:UNUSED_PAD src0_sel:WORD_0
	s_mov_b32 s2, 0x47800000
	v_mov_b32_e32 v7, 0x80
	v_and_b32_e32 v5, 0x7fffffff, v3
	v_cmp_gt_u32_e32 vcc, s2, v5
	s_and_saveexec_b64 s[2:3], vcc
	s_cbranch_execz .LBB360_1551
; %bb.1546:
	s_mov_b32 s6, 0x37ffffff
	v_cmp_lt_u32_e32 vcc, s6, v5
	s_mov_b64 s[6:7], 0
                                        ; implicit-def: $vgpr5
	s_and_saveexec_b64 s[16:17], vcc
	s_xor_b64 s[16:17], exec, s[16:17]
	s_cbranch_execz .LBB360_1990
; %bb.1547:
	v_bfe_u32 v5, v3, 21, 1
	s_mov_b32 s18, 0x88fffff
	v_add3_u32 v5, v3, v5, s18
	s_mov_b64 s[6:7], exec
	v_lshrrev_b32_e32 v5, 21, v5
	s_andn2_saveexec_b64 s[16:17], s[16:17]
	s_cbranch_execnz .LBB360_1991
.LBB360_1548:
	s_or_b64 exec, exec, s[16:17]
	v_mov_b32_e32 v7, 0
	s_and_saveexec_b64 s[16:17], s[6:7]
.LBB360_1549:
	v_lshrrev_b32_e32 v3, 24, v3
	s_movk_i32 s6, 0x80
	v_and_or_b32 v7, v3, s6, v5
.LBB360_1550:
	s_or_b64 exec, exec, s[16:17]
.LBB360_1551:
	s_or_b64 exec, exec, s[2:3]
	s_mov_b64 s[2:3], 0
	global_store_byte v[8:9], v7, off
.LBB360_1552:
	s_and_b64 vcc, exec, s[2:3]
	s_cbranch_vccz .LBB360_1562
; %bb.1553:
	v_cvt_f32_i32_sdwa v3, sext(v1) dst_sel:DWORD dst_unused:UNUSED_PAD src0_sel:WORD_0
	s_mov_b32 s2, 0x43f00000
                                        ; implicit-def: $vgpr5
	v_and_b32_e32 v7, 0x7fffffff, v3
	v_cmp_gt_u32_e32 vcc, s2, v7
	s_and_saveexec_b64 s[2:3], vcc
	s_xor_b64 s[2:3], exec, s[2:3]
	s_cbranch_execz .LBB360_1559
; %bb.1554:
	s_mov_b32 s6, 0x3c7fffff
	v_cmp_lt_u32_e32 vcc, s6, v7
                                        ; implicit-def: $vgpr5
	s_and_saveexec_b64 s[6:7], vcc
	s_xor_b64 s[6:7], exec, s[6:7]
; %bb.1555:
	v_bfe_u32 v5, v3, 20, 1
	s_mov_b32 s16, 0x407ffff
	v_add3_u32 v5, v3, v5, s16
	v_lshrrev_b32_e32 v7, 20, v5
	v_and_b32_e32 v5, 0xff00000, v5
	s_mov_b32 s16, 0x7f00000
	v_mov_b32_e32 v10, 0x7e
	v_cmp_ne_u32_e32 vcc, s16, v5
	s_nop 1
	v_cndmask_b32_e32 v5, v10, v7, vcc
; %bb.1556:
	s_andn2_saveexec_b64 s[6:7], s[6:7]
; %bb.1557:
	s_mov_b32 s16, 0x46800000
	v_add_f32_e64 v5, |v3|, s16
; %bb.1558:
	s_or_b64 exec, exec, s[6:7]
                                        ; implicit-def: $vgpr7
.LBB360_1559:
	s_andn2_saveexec_b64 s[2:3], s[2:3]
; %bb.1560:
	s_mov_b32 s6, 0x7f800000
	v_mov_b32_e32 v5, 0x7e
	v_mov_b32_e32 v10, 0x7f
	v_cmp_lt_u32_e32 vcc, s6, v7
	s_nop 1
	v_cndmask_b32_e32 v5, v5, v10, vcc
; %bb.1561:
	s_or_b64 exec, exec, s[2:3]
	v_lshrrev_b32_e32 v3, 24, v3
	s_movk_i32 s2, 0x80
	v_and_or_b32 v3, v3, s2, v5
	global_store_byte v[8:9], v3, off
.LBB360_1562:
	s_mov_b64 s[2:3], 0
.LBB360_1563:
	s_andn2_b64 vcc, exec, s[2:3]
	s_cbranch_vccnz .LBB360_1573
; %bb.1564:
	v_cvt_f32_i32_sdwa v3, sext(v1) dst_sel:DWORD dst_unused:UNUSED_PAD src0_sel:WORD_0
	s_mov_b32 s2, 0x47800000
                                        ; implicit-def: $vgpr5
	v_and_b32_e32 v7, 0x7fffffff, v3
	v_cmp_gt_u32_e32 vcc, s2, v7
	s_and_saveexec_b64 s[2:3], vcc
	s_xor_b64 s[2:3], exec, s[2:3]
	s_cbranch_execz .LBB360_1570
; %bb.1565:
	s_mov_b32 s6, 0x387fffff
	v_cmp_lt_u32_e32 vcc, s6, v7
                                        ; implicit-def: $vgpr5
	s_and_saveexec_b64 s[6:7], vcc
	s_xor_b64 s[6:7], exec, s[6:7]
; %bb.1566:
	v_bfe_u32 v5, v3, 21, 1
	s_mov_b32 s16, 0x80fffff
	v_add3_u32 v5, v3, v5, s16
	v_lshrrev_b32_e32 v5, 21, v5
; %bb.1567:
	s_andn2_saveexec_b64 s[6:7], s[6:7]
; %bb.1568:
	s_mov_b32 s16, 0x43000000
	v_add_f32_e64 v5, |v3|, s16
; %bb.1569:
	s_or_b64 exec, exec, s[6:7]
                                        ; implicit-def: $vgpr7
.LBB360_1570:
	s_andn2_saveexec_b64 s[2:3], s[2:3]
; %bb.1571:
	s_mov_b32 s6, 0x7f800000
	v_mov_b32_e32 v5, 0x7c
	v_mov_b32_e32 v10, 0x7f
	v_cmp_lt_u32_e32 vcc, s6, v7
	s_nop 1
	v_cndmask_b32_e32 v5, v5, v10, vcc
; %bb.1572:
	s_or_b64 exec, exec, s[2:3]
	v_lshrrev_b32_e32 v3, 24, v3
	s_movk_i32 s2, 0x80
	v_and_or_b32 v3, v3, s2, v5
	global_store_byte v[8:9], v3, off
.LBB360_1573:
	s_mov_b64 s[2:3], 0
	s_mov_b64 s[6:7], -1
.LBB360_1574:
	s_andn2_b64 vcc, exec, s[2:3]
	s_mov_b64 s[2:3], 0
	s_cbranch_vccnz .LBB360_1581
; %bb.1575:
	s_cmp_gt_i32 s9, 14
	s_mov_b64 s[16:17], -1
	s_cbranch_scc0 .LBB360_1579
; %bb.1576:
	s_cmp_eq_u32 s9, 15
	s_mov_b64 s[0:1], -1
	s_cbranch_scc0 .LBB360_1578
; %bb.1577:
	v_cvt_f32_i32_sdwa v3, sext(v1) dst_sel:DWORD dst_unused:UNUSED_PAD src0_sel:WORD_0
	s_movk_i32 s2, 0x7fff
	s_mov_b64 s[0:1], 0
	s_mov_b64 s[6:7], -1
	v_bfe_u32 v5, v3, 16, 1
	v_add3_u32 v3, v3, v5, s2
	global_store_short_d16_hi v[8:9], v3, off
.LBB360_1578:
	s_mov_b64 s[16:17], 0
.LBB360_1579:
	s_mov_b64 s[2:3], 0
	s_and_b64 vcc, exec, s[16:17]
	s_cbranch_vccz .LBB360_1581
; %bb.1580:
	s_cmp_lg_u32 s9, 11
	s_mov_b64 s[2:3], -1
	s_cselect_b64 s[0:1], -1, 0
.LBB360_1581:
	s_and_b64 vcc, exec, s[0:1]
	s_cbranch_vccnz .LBB360_1989
; %bb.1582:
	s_andn2_b64 vcc, exec, s[2:3]
	s_cbranch_vccnz .LBB360_1584
.LBB360_1583:
	v_cmp_ne_u16_e32 vcc, 0, v1
	s_mov_b64 s[6:7], -1
	s_nop 0
	v_cndmask_b32_e64 v3, 0, 1, vcc
	global_store_byte v[8:9], v3, off
.LBB360_1584:
	s_mov_b64 s[0:1], 0
	s_branch .LBB360_1586
.LBB360_1585:
	s_mov_b64 s[0:1], -1
	s_mov_b64 s[6:7], 0
.LBB360_1586:
	s_and_b64 vcc, exec, s[0:1]
	s_cbranch_vccz .LBB360_1625
; %bb.1587:
	s_and_b32 s2, 0xffff, s20
	s_cmp_lt_i32 s2, 5
	s_mov_b64 s[0:1], -1
	s_cbranch_scc1 .LBB360_1608
; %bb.1588:
	s_cmp_lt_i32 s2, 8
	s_cbranch_scc1 .LBB360_1598
; %bb.1589:
	s_cmp_lt_i32 s2, 9
	s_cbranch_scc1 .LBB360_1595
; %bb.1590:
	s_cmp_gt_i32 s2, 9
	s_cbranch_scc0 .LBB360_1592
; %bb.1591:
	v_bfe_i32 v3, v1, 0, 16
	v_mov_b32_e32 v12, 0
	v_cvt_f64_i32_e32 v[10:11], v3
	v_mov_b32_e32 v13, v12
	global_store_dwordx4 v[8:9], v[10:13], off
	s_mov_b64 s[0:1], 0
.LBB360_1592:
	s_andn2_b64 vcc, exec, s[0:1]
	s_cbranch_vccnz .LBB360_1594
; %bb.1593:
	v_cvt_f32_i32_sdwa v10, sext(v1) dst_sel:DWORD dst_unused:UNUSED_PAD src0_sel:WORD_0
	v_mov_b32_e32 v11, 0
	global_store_dwordx2 v[8:9], v[10:11], off
.LBB360_1594:
	s_mov_b64 s[0:1], 0
.LBB360_1595:
	s_andn2_b64 vcc, exec, s[0:1]
	s_cbranch_vccnz .LBB360_1597
; %bb.1596:
	v_cvt_f16_i16_e32 v3, v1
	global_store_dword v[8:9], v3, off
.LBB360_1597:
	s_mov_b64 s[0:1], 0
.LBB360_1598:
	s_andn2_b64 vcc, exec, s[0:1]
	s_cbranch_vccnz .LBB360_1607
; %bb.1599:
	s_cmp_lt_i32 s2, 6
	s_mov_b64 s[0:1], -1
	s_cbranch_scc1 .LBB360_1605
; %bb.1600:
	s_cmp_gt_i32 s2, 6
	s_cbranch_scc0 .LBB360_1602
; %bb.1601:
	v_bfe_i32 v3, v1, 0, 16
	v_cvt_f64_i32_e32 v[10:11], v3
	global_store_dwordx2 v[8:9], v[10:11], off
	s_mov_b64 s[0:1], 0
.LBB360_1602:
	s_andn2_b64 vcc, exec, s[0:1]
	s_cbranch_vccnz .LBB360_1604
; %bb.1603:
	v_cvt_f32_i32_sdwa v3, sext(v1) dst_sel:DWORD dst_unused:UNUSED_PAD src0_sel:WORD_0
	global_store_dword v[8:9], v3, off
.LBB360_1604:
	s_mov_b64 s[0:1], 0
.LBB360_1605:
	s_andn2_b64 vcc, exec, s[0:1]
	s_cbranch_vccnz .LBB360_1607
; %bb.1606:
	v_cvt_f16_i16_e32 v3, v1
	global_store_short v[8:9], v3, off
.LBB360_1607:
	s_mov_b64 s[0:1], 0
.LBB360_1608:
	s_andn2_b64 vcc, exec, s[0:1]
	s_cbranch_vccnz .LBB360_1624
; %bb.1609:
	s_cmp_lt_i32 s2, 2
	s_mov_b64 s[0:1], -1
	s_cbranch_scc1 .LBB360_1619
; %bb.1610:
	s_cmp_lt_i32 s2, 3
	s_cbranch_scc1 .LBB360_1616
; %bb.1611:
	s_cmp_gt_i32 s2, 3
	v_bfe_i32 v10, v1, 0, 16
	s_cbranch_scc0 .LBB360_1613
; %bb.1612:
	v_ashrrev_i32_e32 v11, 31, v10
	global_store_dwordx2 v[8:9], v[10:11], off
	s_mov_b64 s[0:1], 0
.LBB360_1613:
	s_andn2_b64 vcc, exec, s[0:1]
	s_cbranch_vccnz .LBB360_1615
; %bb.1614:
	global_store_dword v[8:9], v10, off
.LBB360_1615:
	s_mov_b64 s[0:1], 0
.LBB360_1616:
	s_andn2_b64 vcc, exec, s[0:1]
	s_cbranch_vccnz .LBB360_1618
; %bb.1617:
	global_store_short v[8:9], v1, off
.LBB360_1618:
	s_mov_b64 s[0:1], 0
.LBB360_1619:
	s_andn2_b64 vcc, exec, s[0:1]
	s_cbranch_vccnz .LBB360_1624
; %bb.1620:
	s_cmp_gt_i32 s2, 0
	s_mov_b64 s[0:1], -1
	s_cbranch_scc0 .LBB360_1622
; %bb.1621:
	global_store_byte v[8:9], v1, off
	s_mov_b64 s[0:1], 0
.LBB360_1622:
	s_andn2_b64 vcc, exec, s[0:1]
	s_cbranch_vccnz .LBB360_1624
; %bb.1623:
	global_store_byte v[8:9], v1, off
.LBB360_1624:
	s_mov_b64 s[6:7], -1
.LBB360_1625:
	s_andn2_b64 vcc, exec, s[6:7]
	s_cbranch_vccnz .LBB360_1940
; %bb.1626:
	s_lshl_b32 s18, s8, 7
	v_max_i16_sdwa v1, sext(v4), s21 dst_sel:DWORD dst_unused:UNUSED_PAD src0_sel:BYTE_0 src1_sel:DWORD
	v_add_u32_e32 v4, s18, v6
	v_ashrrev_i32_e32 v5, 31, v4
	s_cmp_lt_i32 s20, 11
	v_lshl_add_u64 v[6:7], s[4:5], 0, v[4:5]
	s_cbranch_scc1 .LBB360_1704
; %bb.1627:
	s_and_b32 s19, 0xffff, s20
	s_mov_b64 s[8:9], -1
	s_mov_b64 s[2:3], 0
	s_cmp_gt_i32 s19, 25
	s_mov_b64 s[6:7], 0
	s_mov_b64 s[0:1], 0
	s_cbranch_scc0 .LBB360_1660
; %bb.1628:
	s_cmp_gt_i32 s19, 28
	s_cbranch_scc0 .LBB360_1643
; %bb.1629:
	s_cmp_gt_i32 s19, 43
	;; [unrolled: 3-line block ×3, first 2 shown]
	s_cbranch_scc0 .LBB360_1633
; %bb.1631:
	s_mov_b64 s[0:1], -1
	s_mov_b64 s[8:9], 0
	s_cmp_eq_u32 s19, 46
	s_cbranch_scc0 .LBB360_1633
; %bb.1632:
	v_cvt_f32_i32_sdwa v3, sext(v1) dst_sel:DWORD dst_unused:UNUSED_PAD src0_sel:WORD_0
	s_movk_i32 s6, 0x7fff
	s_mov_b64 s[0:1], 0
	v_bfe_u32 v5, v3, 16, 1
	v_add3_u32 v3, v3, v5, s6
	v_lshrrev_b32_e32 v3, 16, v3
	global_store_dword v[6:7], v3, off
	s_mov_b64 s[6:7], -1
.LBB360_1633:
	s_and_b64 vcc, exec, s[8:9]
	s_cbranch_vccz .LBB360_1638
; %bb.1634:
	s_cmp_eq_u32 s19, 44
	s_mov_b64 s[0:1], -1
	s_cbranch_scc0 .LBB360_1638
; %bb.1635:
	v_cvt_f32_i32_sdwa v3, sext(v1) dst_sel:DWORD dst_unused:UNUSED_PAD src0_sel:WORD_0
	s_movk_i32 s0, 0xff
	v_mov_b32_e32 v8, 0xff
	v_bfe_u32 v5, v3, 23, 8
	v_cmp_ne_u32_e32 vcc, s0, v5
	s_and_saveexec_b64 s[6:7], vcc
; %bb.1636:
	s_mov_b32 s0, 0x3fffff
	v_lshrrev_b32_e32 v8, 23, v3
	v_and_b32_e32 v9, 0x400000, v3
	v_and_or_b32 v3, v3, s0, v5
	v_cmp_ne_u32_e32 vcc, 0, v9
	v_cmp_ne_u32_e64 s[0:1], 0, v3
	s_and_b64 s[0:1], vcc, s[0:1]
	s_nop 0
	v_cndmask_b32_e64 v3, 0, 1, s[0:1]
	v_add_u32_e32 v8, v8, v3
; %bb.1637:
	s_or_b64 exec, exec, s[6:7]
	s_mov_b64 s[0:1], 0
	s_mov_b64 s[6:7], -1
	global_store_byte v[6:7], v8, off
.LBB360_1638:
	s_mov_b64 s[8:9], 0
.LBB360_1639:
	s_and_b64 vcc, exec, s[8:9]
	s_cbranch_vccz .LBB360_1642
; %bb.1640:
	s_cmp_eq_u32 s19, 29
	s_mov_b64 s[0:1], -1
	s_cbranch_scc0 .LBB360_1642
; %bb.1641:
	v_bfe_i32 v8, v1, 0, 16
	v_ashrrev_i32_e32 v9, 31, v8
	global_store_dwordx2 v[6:7], v[8:9], off
	s_mov_b64 s[0:1], 0
	s_mov_b64 s[6:7], -1
.LBB360_1642:
	s_mov_b64 s[8:9], 0
.LBB360_1643:
	s_and_b64 vcc, exec, s[8:9]
	s_cbranch_vccz .LBB360_1659
; %bb.1644:
	s_cmp_lt_i32 s19, 27
	s_mov_b64 s[6:7], -1
	s_cbranch_scc1 .LBB360_1650
; %bb.1645:
	s_cmp_gt_i32 s19, 27
	s_cbranch_scc0 .LBB360_1647
; %bb.1646:
	v_bfe_i32 v3, v1, 0, 16
	s_mov_b64 s[6:7], 0
	global_store_dword v[6:7], v3, off
.LBB360_1647:
	s_andn2_b64 vcc, exec, s[6:7]
	s_cbranch_vccnz .LBB360_1649
; %bb.1648:
	global_store_short v[6:7], v1, off
.LBB360_1649:
	s_mov_b64 s[6:7], 0
.LBB360_1650:
	s_andn2_b64 vcc, exec, s[6:7]
	s_cbranch_vccnz .LBB360_1658
; %bb.1651:
	v_cvt_f32_i32_sdwa v3, sext(v1) dst_sel:DWORD dst_unused:UNUSED_PAD src0_sel:WORD_0
	s_mov_b32 s6, 0x43800000
	v_mov_b32_e32 v8, 0x80
	v_and_b32_e32 v5, 0x7fffffff, v3
	v_cmp_gt_u32_e32 vcc, s6, v5
	s_and_saveexec_b64 s[6:7], vcc
	s_cbranch_execz .LBB360_1657
; %bb.1652:
	s_mov_b32 s8, 0x3bffffff
	v_cmp_lt_u32_e32 vcc, s8, v5
	s_mov_b64 s[8:9], 0
                                        ; implicit-def: $vgpr5
	s_and_saveexec_b64 s[16:17], vcc
	s_xor_b64 s[16:17], exec, s[16:17]
	s_cbranch_execz .LBB360_1992
; %bb.1653:
	v_bfe_u32 v5, v3, 20, 1
	s_mov_b32 s22, 0x487ffff
	v_add3_u32 v5, v3, v5, s22
	s_mov_b64 s[8:9], exec
	v_lshrrev_b32_e32 v5, 20, v5
	s_andn2_saveexec_b64 s[16:17], s[16:17]
	s_cbranch_execnz .LBB360_1993
.LBB360_1654:
	s_or_b64 exec, exec, s[16:17]
	v_mov_b32_e32 v8, 0
	s_and_saveexec_b64 s[16:17], s[8:9]
.LBB360_1655:
	v_lshrrev_b32_e32 v3, 24, v3
	s_movk_i32 s8, 0x80
	v_and_or_b32 v8, v3, s8, v5
.LBB360_1656:
	s_or_b64 exec, exec, s[16:17]
.LBB360_1657:
	s_or_b64 exec, exec, s[6:7]
	global_store_byte v[6:7], v8, off
.LBB360_1658:
	s_mov_b64 s[6:7], -1
.LBB360_1659:
	s_mov_b64 s[8:9], 0
.LBB360_1660:
	s_and_b64 vcc, exec, s[8:9]
	s_cbranch_vccz .LBB360_1700
; %bb.1661:
	s_cmp_gt_i32 s19, 22
	s_mov_b64 s[2:3], -1
	s_cbranch_scc0 .LBB360_1693
; %bb.1662:
	s_cmp_lt_i32 s19, 24
	s_cbranch_scc1 .LBB360_1682
; %bb.1663:
	s_cmp_gt_i32 s19, 24
	s_cbranch_scc0 .LBB360_1671
; %bb.1664:
	v_cvt_f32_i32_sdwa v3, sext(v1) dst_sel:DWORD dst_unused:UNUSED_PAD src0_sel:WORD_0
	s_mov_b32 s2, 0x47800000
	v_mov_b32_e32 v8, 0x80
	v_and_b32_e32 v5, 0x7fffffff, v3
	v_cmp_gt_u32_e32 vcc, s2, v5
	s_and_saveexec_b64 s[2:3], vcc
	s_cbranch_execz .LBB360_1670
; %bb.1665:
	s_mov_b32 s6, 0x37ffffff
	v_cmp_lt_u32_e32 vcc, s6, v5
	s_mov_b64 s[6:7], 0
                                        ; implicit-def: $vgpr5
	s_and_saveexec_b64 s[8:9], vcc
	s_xor_b64 s[8:9], exec, s[8:9]
	s_cbranch_execz .LBB360_1995
; %bb.1666:
	v_bfe_u32 v5, v3, 21, 1
	s_mov_b32 s16, 0x88fffff
	v_add3_u32 v5, v3, v5, s16
	s_mov_b64 s[6:7], exec
	v_lshrrev_b32_e32 v5, 21, v5
	s_andn2_saveexec_b64 s[8:9], s[8:9]
	s_cbranch_execnz .LBB360_1996
.LBB360_1667:
	s_or_b64 exec, exec, s[8:9]
	v_mov_b32_e32 v8, 0
	s_and_saveexec_b64 s[8:9], s[6:7]
.LBB360_1668:
	v_lshrrev_b32_e32 v3, 24, v3
	s_movk_i32 s6, 0x80
	v_and_or_b32 v8, v3, s6, v5
.LBB360_1669:
	s_or_b64 exec, exec, s[8:9]
.LBB360_1670:
	s_or_b64 exec, exec, s[2:3]
	s_mov_b64 s[2:3], 0
	global_store_byte v[6:7], v8, off
.LBB360_1671:
	s_and_b64 vcc, exec, s[2:3]
	s_cbranch_vccz .LBB360_1681
; %bb.1672:
	v_cvt_f32_i32_sdwa v3, sext(v1) dst_sel:DWORD dst_unused:UNUSED_PAD src0_sel:WORD_0
	s_mov_b32 s2, 0x43f00000
                                        ; implicit-def: $vgpr5
	v_and_b32_e32 v8, 0x7fffffff, v3
	v_cmp_gt_u32_e32 vcc, s2, v8
	s_and_saveexec_b64 s[2:3], vcc
	s_xor_b64 s[2:3], exec, s[2:3]
	s_cbranch_execz .LBB360_1678
; %bb.1673:
	s_mov_b32 s6, 0x3c7fffff
	v_cmp_lt_u32_e32 vcc, s6, v8
                                        ; implicit-def: $vgpr5
	s_and_saveexec_b64 s[6:7], vcc
	s_xor_b64 s[6:7], exec, s[6:7]
; %bb.1674:
	v_bfe_u32 v5, v3, 20, 1
	s_mov_b32 s8, 0x407ffff
	v_add3_u32 v5, v3, v5, s8
	v_lshrrev_b32_e32 v8, 20, v5
	v_and_b32_e32 v5, 0xff00000, v5
	s_mov_b32 s8, 0x7f00000
	v_mov_b32_e32 v9, 0x7e
	v_cmp_ne_u32_e32 vcc, s8, v5
	s_nop 1
	v_cndmask_b32_e32 v5, v9, v8, vcc
; %bb.1675:
	s_andn2_saveexec_b64 s[6:7], s[6:7]
; %bb.1676:
	s_mov_b32 s8, 0x46800000
	v_add_f32_e64 v5, |v3|, s8
; %bb.1677:
	s_or_b64 exec, exec, s[6:7]
                                        ; implicit-def: $vgpr8
.LBB360_1678:
	s_andn2_saveexec_b64 s[2:3], s[2:3]
; %bb.1679:
	s_mov_b32 s6, 0x7f800000
	v_mov_b32_e32 v5, 0x7e
	v_mov_b32_e32 v9, 0x7f
	v_cmp_lt_u32_e32 vcc, s6, v8
	s_nop 1
	v_cndmask_b32_e32 v5, v5, v9, vcc
; %bb.1680:
	s_or_b64 exec, exec, s[2:3]
	v_lshrrev_b32_e32 v3, 24, v3
	s_movk_i32 s2, 0x80
	v_and_or_b32 v3, v3, s2, v5
	global_store_byte v[6:7], v3, off
.LBB360_1681:
	s_mov_b64 s[2:3], 0
.LBB360_1682:
	s_andn2_b64 vcc, exec, s[2:3]
	s_cbranch_vccnz .LBB360_1692
; %bb.1683:
	v_cvt_f32_i32_sdwa v3, sext(v1) dst_sel:DWORD dst_unused:UNUSED_PAD src0_sel:WORD_0
	s_mov_b32 s2, 0x47800000
                                        ; implicit-def: $vgpr5
	v_and_b32_e32 v8, 0x7fffffff, v3
	v_cmp_gt_u32_e32 vcc, s2, v8
	s_and_saveexec_b64 s[2:3], vcc
	s_xor_b64 s[2:3], exec, s[2:3]
	s_cbranch_execz .LBB360_1689
; %bb.1684:
	s_mov_b32 s6, 0x387fffff
	v_cmp_lt_u32_e32 vcc, s6, v8
                                        ; implicit-def: $vgpr5
	s_and_saveexec_b64 s[6:7], vcc
	s_xor_b64 s[6:7], exec, s[6:7]
; %bb.1685:
	v_bfe_u32 v5, v3, 21, 1
	s_mov_b32 s8, 0x80fffff
	v_add3_u32 v5, v3, v5, s8
	v_lshrrev_b32_e32 v5, 21, v5
; %bb.1686:
	s_andn2_saveexec_b64 s[6:7], s[6:7]
; %bb.1687:
	s_mov_b32 s8, 0x43000000
	v_add_f32_e64 v5, |v3|, s8
; %bb.1688:
	s_or_b64 exec, exec, s[6:7]
                                        ; implicit-def: $vgpr8
.LBB360_1689:
	s_andn2_saveexec_b64 s[2:3], s[2:3]
; %bb.1690:
	s_mov_b32 s6, 0x7f800000
	v_mov_b32_e32 v5, 0x7c
	v_mov_b32_e32 v9, 0x7f
	v_cmp_lt_u32_e32 vcc, s6, v8
	s_nop 1
	v_cndmask_b32_e32 v5, v5, v9, vcc
; %bb.1691:
	s_or_b64 exec, exec, s[2:3]
	v_lshrrev_b32_e32 v3, 24, v3
	s_movk_i32 s2, 0x80
	v_and_or_b32 v3, v3, s2, v5
	global_store_byte v[6:7], v3, off
.LBB360_1692:
	s_mov_b64 s[2:3], 0
	s_mov_b64 s[6:7], -1
.LBB360_1693:
	s_andn2_b64 vcc, exec, s[2:3]
	s_mov_b64 s[2:3], 0
	s_cbranch_vccnz .LBB360_1700
; %bb.1694:
	s_cmp_gt_i32 s19, 14
	s_mov_b64 s[8:9], -1
	s_cbranch_scc0 .LBB360_1698
; %bb.1695:
	s_cmp_eq_u32 s19, 15
	s_mov_b64 s[0:1], -1
	s_cbranch_scc0 .LBB360_1697
; %bb.1696:
	v_cvt_f32_i32_sdwa v3, sext(v1) dst_sel:DWORD dst_unused:UNUSED_PAD src0_sel:WORD_0
	s_movk_i32 s2, 0x7fff
	s_mov_b64 s[0:1], 0
	s_mov_b64 s[6:7], -1
	v_bfe_u32 v5, v3, 16, 1
	v_add3_u32 v3, v3, v5, s2
	global_store_short_d16_hi v[6:7], v3, off
.LBB360_1697:
	s_mov_b64 s[8:9], 0
.LBB360_1698:
	s_mov_b64 s[2:3], 0
	s_and_b64 vcc, exec, s[8:9]
	s_cbranch_vccz .LBB360_1700
; %bb.1699:
	s_cmp_lg_u32 s19, 11
	s_mov_b64 s[2:3], -1
	s_cselect_b64 s[0:1], -1, 0
.LBB360_1700:
	s_and_b64 vcc, exec, s[0:1]
	s_cbranch_vccnz .LBB360_1994
; %bb.1701:
	s_andn2_b64 vcc, exec, s[2:3]
	s_cbranch_vccnz .LBB360_1703
.LBB360_1702:
	v_cmp_ne_u16_e32 vcc, 0, v1
	s_mov_b64 s[6:7], -1
	s_nop 0
	v_cndmask_b32_e64 v3, 0, 1, vcc
	global_store_byte v[6:7], v3, off
.LBB360_1703:
	s_mov_b64 s[0:1], 0
	s_branch .LBB360_1705
.LBB360_1704:
	s_mov_b64 s[0:1], -1
	s_mov_b64 s[6:7], 0
.LBB360_1705:
	s_and_b64 vcc, exec, s[0:1]
	s_cbranch_vccz .LBB360_1744
; %bb.1706:
	s_and_b32 s2, 0xffff, s20
	s_cmp_lt_i32 s2, 5
	s_mov_b64 s[0:1], -1
	s_cbranch_scc1 .LBB360_1727
; %bb.1707:
	s_cmp_lt_i32 s2, 8
	s_cbranch_scc1 .LBB360_1717
; %bb.1708:
	s_cmp_lt_i32 s2, 9
	s_cbranch_scc1 .LBB360_1714
; %bb.1709:
	s_cmp_gt_i32 s2, 9
	s_cbranch_scc0 .LBB360_1711
; %bb.1710:
	v_bfe_i32 v3, v1, 0, 16
	v_mov_b32_e32 v10, 0
	v_cvt_f64_i32_e32 v[8:9], v3
	v_mov_b32_e32 v11, v10
	global_store_dwordx4 v[6:7], v[8:11], off
	s_mov_b64 s[0:1], 0
.LBB360_1711:
	s_andn2_b64 vcc, exec, s[0:1]
	s_cbranch_vccnz .LBB360_1713
; %bb.1712:
	v_cvt_f32_i32_sdwa v8, sext(v1) dst_sel:DWORD dst_unused:UNUSED_PAD src0_sel:WORD_0
	v_mov_b32_e32 v9, 0
	global_store_dwordx2 v[6:7], v[8:9], off
.LBB360_1713:
	s_mov_b64 s[0:1], 0
.LBB360_1714:
	s_andn2_b64 vcc, exec, s[0:1]
	s_cbranch_vccnz .LBB360_1716
; %bb.1715:
	v_cvt_f16_i16_e32 v3, v1
	global_store_dword v[6:7], v3, off
.LBB360_1716:
	s_mov_b64 s[0:1], 0
.LBB360_1717:
	s_andn2_b64 vcc, exec, s[0:1]
	s_cbranch_vccnz .LBB360_1726
; %bb.1718:
	s_cmp_lt_i32 s2, 6
	s_mov_b64 s[0:1], -1
	s_cbranch_scc1 .LBB360_1724
; %bb.1719:
	s_cmp_gt_i32 s2, 6
	s_cbranch_scc0 .LBB360_1721
; %bb.1720:
	v_bfe_i32 v3, v1, 0, 16
	v_cvt_f64_i32_e32 v[8:9], v3
	global_store_dwordx2 v[6:7], v[8:9], off
	s_mov_b64 s[0:1], 0
.LBB360_1721:
	s_andn2_b64 vcc, exec, s[0:1]
	s_cbranch_vccnz .LBB360_1723
; %bb.1722:
	v_cvt_f32_i32_sdwa v3, sext(v1) dst_sel:DWORD dst_unused:UNUSED_PAD src0_sel:WORD_0
	global_store_dword v[6:7], v3, off
.LBB360_1723:
	s_mov_b64 s[0:1], 0
.LBB360_1724:
	s_andn2_b64 vcc, exec, s[0:1]
	s_cbranch_vccnz .LBB360_1726
; %bb.1725:
	v_cvt_f16_i16_e32 v3, v1
	global_store_short v[6:7], v3, off
.LBB360_1726:
	s_mov_b64 s[0:1], 0
.LBB360_1727:
	s_andn2_b64 vcc, exec, s[0:1]
	s_cbranch_vccnz .LBB360_1743
; %bb.1728:
	s_cmp_lt_i32 s2, 2
	s_mov_b64 s[0:1], -1
	s_cbranch_scc1 .LBB360_1738
; %bb.1729:
	s_cmp_lt_i32 s2, 3
	s_cbranch_scc1 .LBB360_1735
; %bb.1730:
	s_cmp_gt_i32 s2, 3
	v_bfe_i32 v8, v1, 0, 16
	s_cbranch_scc0 .LBB360_1732
; %bb.1731:
	v_ashrrev_i32_e32 v9, 31, v8
	global_store_dwordx2 v[6:7], v[8:9], off
	s_mov_b64 s[0:1], 0
.LBB360_1732:
	s_andn2_b64 vcc, exec, s[0:1]
	s_cbranch_vccnz .LBB360_1734
; %bb.1733:
	global_store_dword v[6:7], v8, off
.LBB360_1734:
	s_mov_b64 s[0:1], 0
.LBB360_1735:
	s_andn2_b64 vcc, exec, s[0:1]
	s_cbranch_vccnz .LBB360_1737
; %bb.1736:
	global_store_short v[6:7], v1, off
.LBB360_1737:
	s_mov_b64 s[0:1], 0
.LBB360_1738:
	s_andn2_b64 vcc, exec, s[0:1]
	s_cbranch_vccnz .LBB360_1743
; %bb.1739:
	s_cmp_gt_i32 s2, 0
	s_mov_b64 s[0:1], -1
	s_cbranch_scc0 .LBB360_1741
; %bb.1740:
	global_store_byte v[6:7], v1, off
	s_mov_b64 s[0:1], 0
.LBB360_1741:
	s_andn2_b64 vcc, exec, s[0:1]
	s_cbranch_vccnz .LBB360_1743
; %bb.1742:
	global_store_byte v[6:7], v1, off
.LBB360_1743:
	s_mov_b64 s[6:7], -1
.LBB360_1744:
	s_andn2_b64 vcc, exec, s[6:7]
	s_cbranch_vccnz .LBB360_1940
; %bb.1745:
	v_max_i16_sdwa v1, sext(v2), s21 dst_sel:DWORD dst_unused:UNUSED_PAD src0_sel:BYTE_0 src1_sel:DWORD
	v_add_u32_e32 v2, s18, v4
	v_ashrrev_i32_e32 v3, 31, v2
	s_cmp_lt_i32 s20, 11
	v_lshl_add_u64 v[4:5], s[4:5], 0, v[2:3]
	s_cbranch_scc1 .LBB360_1823
; %bb.1746:
	s_and_b32 s19, 0xffff, s20
	s_mov_b64 s[8:9], -1
	s_mov_b64 s[2:3], 0
	s_cmp_gt_i32 s19, 25
	s_mov_b64 s[6:7], 0
	s_mov_b64 s[0:1], 0
	s_cbranch_scc0 .LBB360_1779
; %bb.1747:
	s_cmp_gt_i32 s19, 28
	s_cbranch_scc0 .LBB360_1762
; %bb.1748:
	s_cmp_gt_i32 s19, 43
	;; [unrolled: 3-line block ×3, first 2 shown]
	s_cbranch_scc0 .LBB360_1752
; %bb.1750:
	s_mov_b64 s[0:1], -1
	s_mov_b64 s[8:9], 0
	s_cmp_eq_u32 s19, 46
	s_cbranch_scc0 .LBB360_1752
; %bb.1751:
	v_cvt_f32_i32_sdwa v3, sext(v1) dst_sel:DWORD dst_unused:UNUSED_PAD src0_sel:WORD_0
	s_movk_i32 s6, 0x7fff
	s_mov_b64 s[0:1], 0
	v_bfe_u32 v6, v3, 16, 1
	v_add3_u32 v3, v3, v6, s6
	v_lshrrev_b32_e32 v3, 16, v3
	global_store_dword v[4:5], v3, off
	s_mov_b64 s[6:7], -1
.LBB360_1752:
	s_and_b64 vcc, exec, s[8:9]
	s_cbranch_vccz .LBB360_1757
; %bb.1753:
	s_cmp_eq_u32 s19, 44
	s_mov_b64 s[0:1], -1
	s_cbranch_scc0 .LBB360_1757
; %bb.1754:
	v_cvt_f32_i32_sdwa v3, sext(v1) dst_sel:DWORD dst_unused:UNUSED_PAD src0_sel:WORD_0
	s_movk_i32 s0, 0xff
	v_mov_b32_e32 v7, 0xff
	v_bfe_u32 v6, v3, 23, 8
	v_cmp_ne_u32_e32 vcc, s0, v6
	s_and_saveexec_b64 s[6:7], vcc
; %bb.1755:
	s_mov_b32 s0, 0x3fffff
	v_lshrrev_b32_e32 v7, 23, v3
	v_and_b32_e32 v8, 0x400000, v3
	v_and_or_b32 v3, v3, s0, v6
	v_cmp_ne_u32_e32 vcc, 0, v8
	v_cmp_ne_u32_e64 s[0:1], 0, v3
	s_and_b64 s[0:1], vcc, s[0:1]
	s_nop 0
	v_cndmask_b32_e64 v3, 0, 1, s[0:1]
	v_add_u32_e32 v7, v7, v3
; %bb.1756:
	s_or_b64 exec, exec, s[6:7]
	s_mov_b64 s[0:1], 0
	s_mov_b64 s[6:7], -1
	global_store_byte v[4:5], v7, off
.LBB360_1757:
	s_mov_b64 s[8:9], 0
.LBB360_1758:
	s_and_b64 vcc, exec, s[8:9]
	s_cbranch_vccz .LBB360_1761
; %bb.1759:
	s_cmp_eq_u32 s19, 29
	s_mov_b64 s[0:1], -1
	s_cbranch_scc0 .LBB360_1761
; %bb.1760:
	v_bfe_i32 v6, v1, 0, 16
	v_ashrrev_i32_e32 v7, 31, v6
	global_store_dwordx2 v[4:5], v[6:7], off
	s_mov_b64 s[0:1], 0
	s_mov_b64 s[6:7], -1
.LBB360_1761:
	s_mov_b64 s[8:9], 0
.LBB360_1762:
	s_and_b64 vcc, exec, s[8:9]
	s_cbranch_vccz .LBB360_1778
; %bb.1763:
	s_cmp_lt_i32 s19, 27
	s_mov_b64 s[6:7], -1
	s_cbranch_scc1 .LBB360_1769
; %bb.1764:
	s_cmp_gt_i32 s19, 27
	s_cbranch_scc0 .LBB360_1766
; %bb.1765:
	v_bfe_i32 v3, v1, 0, 16
	s_mov_b64 s[6:7], 0
	global_store_dword v[4:5], v3, off
.LBB360_1766:
	s_andn2_b64 vcc, exec, s[6:7]
	s_cbranch_vccnz .LBB360_1768
; %bb.1767:
	global_store_short v[4:5], v1, off
.LBB360_1768:
	s_mov_b64 s[6:7], 0
.LBB360_1769:
	s_andn2_b64 vcc, exec, s[6:7]
	s_cbranch_vccnz .LBB360_1777
; %bb.1770:
	v_cvt_f32_i32_sdwa v3, sext(v1) dst_sel:DWORD dst_unused:UNUSED_PAD src0_sel:WORD_0
	s_mov_b32 s6, 0x43800000
	v_mov_b32_e32 v7, 0x80
	v_and_b32_e32 v6, 0x7fffffff, v3
	v_cmp_gt_u32_e32 vcc, s6, v6
	s_and_saveexec_b64 s[6:7], vcc
	s_cbranch_execz .LBB360_1776
; %bb.1771:
	s_mov_b32 s8, 0x3bffffff
	v_cmp_lt_u32_e32 vcc, s8, v6
	s_mov_b64 s[8:9], 0
                                        ; implicit-def: $vgpr6
	s_and_saveexec_b64 s[16:17], vcc
	s_xor_b64 s[16:17], exec, s[16:17]
	s_cbranch_execz .LBB360_1997
; %bb.1772:
	v_bfe_u32 v6, v3, 20, 1
	s_mov_b32 s22, 0x487ffff
	v_add3_u32 v6, v3, v6, s22
	s_mov_b64 s[8:9], exec
	v_lshrrev_b32_e32 v6, 20, v6
	s_andn2_saveexec_b64 s[16:17], s[16:17]
	s_cbranch_execnz .LBB360_1998
.LBB360_1773:
	s_or_b64 exec, exec, s[16:17]
	v_mov_b32_e32 v7, 0
	s_and_saveexec_b64 s[16:17], s[8:9]
.LBB360_1774:
	v_lshrrev_b32_e32 v3, 24, v3
	s_movk_i32 s8, 0x80
	v_and_or_b32 v7, v3, s8, v6
.LBB360_1775:
	s_or_b64 exec, exec, s[16:17]
.LBB360_1776:
	s_or_b64 exec, exec, s[6:7]
	global_store_byte v[4:5], v7, off
.LBB360_1777:
	s_mov_b64 s[6:7], -1
.LBB360_1778:
	s_mov_b64 s[8:9], 0
.LBB360_1779:
	s_and_b64 vcc, exec, s[8:9]
	s_cbranch_vccz .LBB360_1819
; %bb.1780:
	s_cmp_gt_i32 s19, 22
	s_mov_b64 s[2:3], -1
	s_cbranch_scc0 .LBB360_1812
; %bb.1781:
	s_cmp_lt_i32 s19, 24
	s_cbranch_scc1 .LBB360_1801
; %bb.1782:
	s_cmp_gt_i32 s19, 24
	s_cbranch_scc0 .LBB360_1790
; %bb.1783:
	v_cvt_f32_i32_sdwa v3, sext(v1) dst_sel:DWORD dst_unused:UNUSED_PAD src0_sel:WORD_0
	s_mov_b32 s2, 0x47800000
	v_mov_b32_e32 v7, 0x80
	v_and_b32_e32 v6, 0x7fffffff, v3
	v_cmp_gt_u32_e32 vcc, s2, v6
	s_and_saveexec_b64 s[2:3], vcc
	s_cbranch_execz .LBB360_1789
; %bb.1784:
	s_mov_b32 s6, 0x37ffffff
	v_cmp_lt_u32_e32 vcc, s6, v6
	s_mov_b64 s[6:7], 0
                                        ; implicit-def: $vgpr6
	s_and_saveexec_b64 s[8:9], vcc
	s_xor_b64 s[8:9], exec, s[8:9]
	s_cbranch_execz .LBB360_2000
; %bb.1785:
	v_bfe_u32 v6, v3, 21, 1
	s_mov_b32 s16, 0x88fffff
	v_add3_u32 v6, v3, v6, s16
	s_mov_b64 s[6:7], exec
	v_lshrrev_b32_e32 v6, 21, v6
	s_andn2_saveexec_b64 s[8:9], s[8:9]
	s_cbranch_execnz .LBB360_2001
.LBB360_1786:
	s_or_b64 exec, exec, s[8:9]
	v_mov_b32_e32 v7, 0
	s_and_saveexec_b64 s[8:9], s[6:7]
.LBB360_1787:
	v_lshrrev_b32_e32 v3, 24, v3
	s_movk_i32 s6, 0x80
	v_and_or_b32 v7, v3, s6, v6
.LBB360_1788:
	s_or_b64 exec, exec, s[8:9]
.LBB360_1789:
	s_or_b64 exec, exec, s[2:3]
	s_mov_b64 s[2:3], 0
	global_store_byte v[4:5], v7, off
.LBB360_1790:
	s_and_b64 vcc, exec, s[2:3]
	s_cbranch_vccz .LBB360_1800
; %bb.1791:
	v_cvt_f32_i32_sdwa v3, sext(v1) dst_sel:DWORD dst_unused:UNUSED_PAD src0_sel:WORD_0
	s_mov_b32 s2, 0x43f00000
                                        ; implicit-def: $vgpr6
	v_and_b32_e32 v7, 0x7fffffff, v3
	v_cmp_gt_u32_e32 vcc, s2, v7
	s_and_saveexec_b64 s[2:3], vcc
	s_xor_b64 s[2:3], exec, s[2:3]
	s_cbranch_execz .LBB360_1797
; %bb.1792:
	s_mov_b32 s6, 0x3c7fffff
	v_cmp_lt_u32_e32 vcc, s6, v7
                                        ; implicit-def: $vgpr6
	s_and_saveexec_b64 s[6:7], vcc
	s_xor_b64 s[6:7], exec, s[6:7]
; %bb.1793:
	v_bfe_u32 v6, v3, 20, 1
	s_mov_b32 s8, 0x407ffff
	v_add3_u32 v6, v3, v6, s8
	v_lshrrev_b32_e32 v7, 20, v6
	v_and_b32_e32 v6, 0xff00000, v6
	s_mov_b32 s8, 0x7f00000
	v_mov_b32_e32 v8, 0x7e
	v_cmp_ne_u32_e32 vcc, s8, v6
	s_nop 1
	v_cndmask_b32_e32 v6, v8, v7, vcc
; %bb.1794:
	s_andn2_saveexec_b64 s[6:7], s[6:7]
; %bb.1795:
	s_mov_b32 s8, 0x46800000
	v_add_f32_e64 v6, |v3|, s8
; %bb.1796:
	s_or_b64 exec, exec, s[6:7]
                                        ; implicit-def: $vgpr7
.LBB360_1797:
	s_andn2_saveexec_b64 s[2:3], s[2:3]
; %bb.1798:
	s_mov_b32 s6, 0x7f800000
	v_mov_b32_e32 v6, 0x7e
	v_mov_b32_e32 v8, 0x7f
	v_cmp_lt_u32_e32 vcc, s6, v7
	s_nop 1
	v_cndmask_b32_e32 v6, v6, v8, vcc
; %bb.1799:
	s_or_b64 exec, exec, s[2:3]
	v_lshrrev_b32_e32 v3, 24, v3
	s_movk_i32 s2, 0x80
	v_and_or_b32 v3, v3, s2, v6
	global_store_byte v[4:5], v3, off
.LBB360_1800:
	s_mov_b64 s[2:3], 0
.LBB360_1801:
	s_andn2_b64 vcc, exec, s[2:3]
	s_cbranch_vccnz .LBB360_1811
; %bb.1802:
	v_cvt_f32_i32_sdwa v3, sext(v1) dst_sel:DWORD dst_unused:UNUSED_PAD src0_sel:WORD_0
	s_mov_b32 s2, 0x47800000
                                        ; implicit-def: $vgpr6
	v_and_b32_e32 v7, 0x7fffffff, v3
	v_cmp_gt_u32_e32 vcc, s2, v7
	s_and_saveexec_b64 s[2:3], vcc
	s_xor_b64 s[2:3], exec, s[2:3]
	s_cbranch_execz .LBB360_1808
; %bb.1803:
	s_mov_b32 s6, 0x387fffff
	v_cmp_lt_u32_e32 vcc, s6, v7
                                        ; implicit-def: $vgpr6
	s_and_saveexec_b64 s[6:7], vcc
	s_xor_b64 s[6:7], exec, s[6:7]
; %bb.1804:
	v_bfe_u32 v6, v3, 21, 1
	s_mov_b32 s8, 0x80fffff
	v_add3_u32 v6, v3, v6, s8
	v_lshrrev_b32_e32 v6, 21, v6
; %bb.1805:
	s_andn2_saveexec_b64 s[6:7], s[6:7]
; %bb.1806:
	s_mov_b32 s8, 0x43000000
	v_add_f32_e64 v6, |v3|, s8
; %bb.1807:
	s_or_b64 exec, exec, s[6:7]
                                        ; implicit-def: $vgpr7
.LBB360_1808:
	s_andn2_saveexec_b64 s[2:3], s[2:3]
; %bb.1809:
	s_mov_b32 s6, 0x7f800000
	v_mov_b32_e32 v6, 0x7c
	v_mov_b32_e32 v8, 0x7f
	v_cmp_lt_u32_e32 vcc, s6, v7
	s_nop 1
	v_cndmask_b32_e32 v6, v6, v8, vcc
; %bb.1810:
	s_or_b64 exec, exec, s[2:3]
	v_lshrrev_b32_e32 v3, 24, v3
	s_movk_i32 s2, 0x80
	v_and_or_b32 v3, v3, s2, v6
	global_store_byte v[4:5], v3, off
.LBB360_1811:
	s_mov_b64 s[2:3], 0
	s_mov_b64 s[6:7], -1
.LBB360_1812:
	s_andn2_b64 vcc, exec, s[2:3]
	s_mov_b64 s[2:3], 0
	s_cbranch_vccnz .LBB360_1819
; %bb.1813:
	s_cmp_gt_i32 s19, 14
	s_mov_b64 s[8:9], -1
	s_cbranch_scc0 .LBB360_1817
; %bb.1814:
	s_cmp_eq_u32 s19, 15
	s_mov_b64 s[0:1], -1
	s_cbranch_scc0 .LBB360_1816
; %bb.1815:
	v_cvt_f32_i32_sdwa v3, sext(v1) dst_sel:DWORD dst_unused:UNUSED_PAD src0_sel:WORD_0
	s_movk_i32 s2, 0x7fff
	s_mov_b64 s[0:1], 0
	s_mov_b64 s[6:7], -1
	v_bfe_u32 v6, v3, 16, 1
	v_add3_u32 v3, v3, v6, s2
	global_store_short_d16_hi v[4:5], v3, off
.LBB360_1816:
	s_mov_b64 s[8:9], 0
.LBB360_1817:
	s_mov_b64 s[2:3], 0
	s_and_b64 vcc, exec, s[8:9]
	s_cbranch_vccz .LBB360_1819
; %bb.1818:
	s_cmp_lg_u32 s19, 11
	s_mov_b64 s[2:3], -1
	s_cselect_b64 s[0:1], -1, 0
.LBB360_1819:
	s_and_b64 vcc, exec, s[0:1]
	s_cbranch_vccnz .LBB360_1999
; %bb.1820:
	s_andn2_b64 vcc, exec, s[2:3]
	s_cbranch_vccnz .LBB360_1822
.LBB360_1821:
	v_cmp_ne_u16_e32 vcc, 0, v1
	s_mov_b64 s[6:7], -1
	s_nop 0
	v_cndmask_b32_e64 v3, 0, 1, vcc
	global_store_byte v[4:5], v3, off
.LBB360_1822:
	s_mov_b64 s[0:1], 0
	s_branch .LBB360_1824
.LBB360_1823:
	s_mov_b64 s[0:1], -1
	s_mov_b64 s[6:7], 0
.LBB360_1824:
	s_and_b64 vcc, exec, s[0:1]
	s_cbranch_vccz .LBB360_1863
; %bb.1825:
	s_and_b32 s2, 0xffff, s20
	s_cmp_lt_i32 s2, 5
	s_mov_b64 s[0:1], -1
	s_cbranch_scc1 .LBB360_1846
; %bb.1826:
	s_cmp_lt_i32 s2, 8
	s_cbranch_scc1 .LBB360_1836
; %bb.1827:
	s_cmp_lt_i32 s2, 9
	s_cbranch_scc1 .LBB360_1833
; %bb.1828:
	s_cmp_gt_i32 s2, 9
	s_cbranch_scc0 .LBB360_1830
; %bb.1829:
	v_bfe_i32 v3, v1, 0, 16
	v_mov_b32_e32 v8, 0
	v_cvt_f64_i32_e32 v[6:7], v3
	v_mov_b32_e32 v9, v8
	global_store_dwordx4 v[4:5], v[6:9], off
	s_mov_b64 s[0:1], 0
.LBB360_1830:
	s_andn2_b64 vcc, exec, s[0:1]
	s_cbranch_vccnz .LBB360_1832
; %bb.1831:
	v_cvt_f32_i32_sdwa v6, sext(v1) dst_sel:DWORD dst_unused:UNUSED_PAD src0_sel:WORD_0
	v_mov_b32_e32 v7, 0
	global_store_dwordx2 v[4:5], v[6:7], off
.LBB360_1832:
	s_mov_b64 s[0:1], 0
.LBB360_1833:
	s_andn2_b64 vcc, exec, s[0:1]
	s_cbranch_vccnz .LBB360_1835
; %bb.1834:
	v_cvt_f16_i16_e32 v3, v1
	global_store_dword v[4:5], v3, off
.LBB360_1835:
	s_mov_b64 s[0:1], 0
.LBB360_1836:
	s_andn2_b64 vcc, exec, s[0:1]
	s_cbranch_vccnz .LBB360_1845
; %bb.1837:
	s_cmp_lt_i32 s2, 6
	s_mov_b64 s[0:1], -1
	s_cbranch_scc1 .LBB360_1843
; %bb.1838:
	s_cmp_gt_i32 s2, 6
	s_cbranch_scc0 .LBB360_1840
; %bb.1839:
	v_bfe_i32 v3, v1, 0, 16
	v_cvt_f64_i32_e32 v[6:7], v3
	global_store_dwordx2 v[4:5], v[6:7], off
	s_mov_b64 s[0:1], 0
.LBB360_1840:
	s_andn2_b64 vcc, exec, s[0:1]
	s_cbranch_vccnz .LBB360_1842
; %bb.1841:
	v_cvt_f32_i32_sdwa v3, sext(v1) dst_sel:DWORD dst_unused:UNUSED_PAD src0_sel:WORD_0
	global_store_dword v[4:5], v3, off
.LBB360_1842:
	s_mov_b64 s[0:1], 0
.LBB360_1843:
	s_andn2_b64 vcc, exec, s[0:1]
	s_cbranch_vccnz .LBB360_1845
; %bb.1844:
	v_cvt_f16_i16_e32 v3, v1
	global_store_short v[4:5], v3, off
.LBB360_1845:
	s_mov_b64 s[0:1], 0
.LBB360_1846:
	s_andn2_b64 vcc, exec, s[0:1]
	s_cbranch_vccnz .LBB360_1862
; %bb.1847:
	s_cmp_lt_i32 s2, 2
	s_mov_b64 s[0:1], -1
	s_cbranch_scc1 .LBB360_1857
; %bb.1848:
	s_cmp_lt_i32 s2, 3
	s_cbranch_scc1 .LBB360_1854
; %bb.1849:
	s_cmp_gt_i32 s2, 3
	v_bfe_i32 v6, v1, 0, 16
	s_cbranch_scc0 .LBB360_1851
; %bb.1850:
	v_ashrrev_i32_e32 v7, 31, v6
	global_store_dwordx2 v[4:5], v[6:7], off
	s_mov_b64 s[0:1], 0
.LBB360_1851:
	s_andn2_b64 vcc, exec, s[0:1]
	s_cbranch_vccnz .LBB360_1853
; %bb.1852:
	global_store_dword v[4:5], v6, off
.LBB360_1853:
	s_mov_b64 s[0:1], 0
.LBB360_1854:
	s_andn2_b64 vcc, exec, s[0:1]
	s_cbranch_vccnz .LBB360_1856
; %bb.1855:
	global_store_short v[4:5], v1, off
.LBB360_1856:
	s_mov_b64 s[0:1], 0
.LBB360_1857:
	s_andn2_b64 vcc, exec, s[0:1]
	s_cbranch_vccnz .LBB360_1862
; %bb.1858:
	s_cmp_gt_i32 s2, 0
	s_mov_b64 s[0:1], -1
	s_cbranch_scc0 .LBB360_1860
; %bb.1859:
	global_store_byte v[4:5], v1, off
	s_mov_b64 s[0:1], 0
.LBB360_1860:
	s_andn2_b64 vcc, exec, s[0:1]
	s_cbranch_vccnz .LBB360_1862
; %bb.1861:
	global_store_byte v[4:5], v1, off
.LBB360_1862:
	s_mov_b64 s[6:7], -1
.LBB360_1863:
	s_andn2_b64 vcc, exec, s[6:7]
	s_cbranch_vccnz .LBB360_1940
; %bb.1864:
	v_max_i16_sdwa v3, sext(v0), s21 dst_sel:DWORD dst_unused:UNUSED_PAD src0_sel:BYTE_0 src1_sel:DWORD
	v_add_u32_e32 v0, s18, v2
	v_ashrrev_i32_e32 v1, 31, v0
	s_cmp_lt_i32 s20, 11
	v_lshl_add_u64 v[0:1], s[4:5], 0, v[0:1]
	s_cbranch_scc1 .LBB360_1985
; %bb.1865:
	s_and_b32 s16, 0xffff, s20
	s_mov_b64 s[4:5], -1
	s_mov_b64 s[2:3], 0
	s_cmp_gt_i32 s16, 25
	s_mov_b64 s[0:1], 0
	s_cbranch_scc0 .LBB360_1898
; %bb.1866:
	s_cmp_gt_i32 s16, 28
	s_cbranch_scc0 .LBB360_1882
; %bb.1867:
	s_cmp_gt_i32 s16, 43
	;; [unrolled: 3-line block ×3, first 2 shown]
	s_cbranch_scc0 .LBB360_1872
; %bb.1869:
	s_cmp_eq_u32 s16, 46
	s_mov_b64 s[0:1], -1
	s_cbranch_scc0 .LBB360_1871
; %bb.1870:
	v_cvt_f32_i32_sdwa v2, sext(v3) dst_sel:DWORD dst_unused:UNUSED_PAD src0_sel:WORD_0
	s_movk_i32 s0, 0x7fff
	v_bfe_u32 v4, v2, 16, 1
	v_add3_u32 v2, v2, v4, s0
	v_lshrrev_b32_e32 v2, 16, v2
	global_store_dword v[0:1], v2, off
	s_mov_b64 s[0:1], 0
.LBB360_1871:
	s_mov_b64 s[4:5], 0
.LBB360_1872:
	s_and_b64 vcc, exec, s[4:5]
	s_cbranch_vccz .LBB360_1877
; %bb.1873:
	s_cmp_eq_u32 s16, 44
	s_mov_b64 s[0:1], -1
	s_cbranch_scc0 .LBB360_1877
; %bb.1874:
	v_cvt_f32_i32_sdwa v2, sext(v3) dst_sel:DWORD dst_unused:UNUSED_PAD src0_sel:WORD_0
	s_movk_i32 s0, 0xff
	v_mov_b32_e32 v5, 0xff
	v_bfe_u32 v4, v2, 23, 8
	v_cmp_ne_u32_e32 vcc, s0, v4
	s_and_saveexec_b64 s[4:5], vcc
; %bb.1875:
	s_mov_b32 s0, 0x3fffff
	v_lshrrev_b32_e32 v5, 23, v2
	v_and_b32_e32 v6, 0x400000, v2
	v_and_or_b32 v2, v2, s0, v4
	v_cmp_ne_u32_e32 vcc, 0, v6
	v_cmp_ne_u32_e64 s[0:1], 0, v2
	s_and_b64 s[0:1], vcc, s[0:1]
	s_nop 0
	v_cndmask_b32_e64 v2, 0, 1, s[0:1]
	v_add_u32_e32 v5, v5, v2
; %bb.1876:
	s_or_b64 exec, exec, s[4:5]
	s_mov_b64 s[0:1], 0
	global_store_byte v[0:1], v5, off
.LBB360_1877:
	s_mov_b64 s[4:5], 0
.LBB360_1878:
	s_and_b64 vcc, exec, s[4:5]
	s_cbranch_vccz .LBB360_1881
; %bb.1879:
	s_cmp_eq_u32 s16, 29
	s_mov_b64 s[0:1], -1
	s_cbranch_scc0 .LBB360_1881
; %bb.1880:
	v_bfe_i32 v4, v3, 0, 16
	v_ashrrev_i32_e32 v5, 31, v4
	global_store_dwordx2 v[0:1], v[4:5], off
	s_mov_b64 s[0:1], 0
.LBB360_1881:
	s_mov_b64 s[4:5], 0
.LBB360_1882:
	s_and_b64 vcc, exec, s[4:5]
	s_cbranch_vccz .LBB360_1897
; %bb.1883:
	s_cmp_lt_i32 s16, 27
	s_mov_b64 s[4:5], -1
	s_cbranch_scc1 .LBB360_1889
; %bb.1884:
	s_cmp_gt_i32 s16, 27
	s_cbranch_scc0 .LBB360_1886
; %bb.1885:
	v_bfe_i32 v2, v3, 0, 16
	global_store_dword v[0:1], v2, off
	s_mov_b64 s[4:5], 0
.LBB360_1886:
	s_andn2_b64 vcc, exec, s[4:5]
	s_cbranch_vccnz .LBB360_1888
; %bb.1887:
	global_store_short v[0:1], v3, off
.LBB360_1888:
	s_mov_b64 s[4:5], 0
.LBB360_1889:
	s_andn2_b64 vcc, exec, s[4:5]
	s_cbranch_vccnz .LBB360_1897
; %bb.1890:
	v_cvt_f32_i32_sdwa v2, sext(v3) dst_sel:DWORD dst_unused:UNUSED_PAD src0_sel:WORD_0
	s_mov_b32 s4, 0x43800000
	v_mov_b32_e32 v5, 0x80
	v_and_b32_e32 v4, 0x7fffffff, v2
	v_cmp_gt_u32_e32 vcc, s4, v4
	s_and_saveexec_b64 s[4:5], vcc
	s_cbranch_execz .LBB360_1896
; %bb.1891:
	s_mov_b32 s6, 0x3bffffff
	v_cmp_lt_u32_e32 vcc, s6, v4
	s_mov_b64 s[6:7], 0
                                        ; implicit-def: $vgpr4
	s_and_saveexec_b64 s[8:9], vcc
	s_xor_b64 s[8:9], exec, s[8:9]
	s_cbranch_execz .LBB360_2002
; %bb.1892:
	v_bfe_u32 v4, v2, 20, 1
	s_mov_b32 s17, 0x487ffff
	v_add3_u32 v4, v2, v4, s17
	s_mov_b64 s[6:7], exec
	v_lshrrev_b32_e32 v4, 20, v4
	s_andn2_saveexec_b64 s[8:9], s[8:9]
	s_cbranch_execnz .LBB360_2003
.LBB360_1893:
	s_or_b64 exec, exec, s[8:9]
	v_mov_b32_e32 v5, 0
	s_and_saveexec_b64 s[8:9], s[6:7]
.LBB360_1894:
	v_lshrrev_b32_e32 v2, 24, v2
	s_movk_i32 s6, 0x80
	v_and_or_b32 v5, v2, s6, v4
.LBB360_1895:
	s_or_b64 exec, exec, s[8:9]
.LBB360_1896:
	s_or_b64 exec, exec, s[4:5]
	global_store_byte v[0:1], v5, off
.LBB360_1897:
	s_mov_b64 s[4:5], 0
.LBB360_1898:
	s_and_b64 vcc, exec, s[4:5]
	s_cbranch_vccz .LBB360_1938
; %bb.1899:
	s_cmp_gt_i32 s16, 22
	s_mov_b64 s[2:3], -1
	s_cbranch_scc0 .LBB360_1931
; %bb.1900:
	s_cmp_lt_i32 s16, 24
	s_cbranch_scc1 .LBB360_1920
; %bb.1901:
	s_cmp_gt_i32 s16, 24
	s_cbranch_scc0 .LBB360_1909
; %bb.1902:
	v_cvt_f32_i32_sdwa v2, sext(v3) dst_sel:DWORD dst_unused:UNUSED_PAD src0_sel:WORD_0
	s_mov_b32 s2, 0x47800000
	v_mov_b32_e32 v5, 0x80
	v_and_b32_e32 v4, 0x7fffffff, v2
	v_cmp_gt_u32_e32 vcc, s2, v4
	s_and_saveexec_b64 s[2:3], vcc
	s_cbranch_execz .LBB360_1908
; %bb.1903:
	s_mov_b32 s4, 0x37ffffff
	v_cmp_lt_u32_e32 vcc, s4, v4
	s_mov_b64 s[4:5], 0
                                        ; implicit-def: $vgpr4
	s_and_saveexec_b64 s[6:7], vcc
	s_xor_b64 s[6:7], exec, s[6:7]
	s_cbranch_execz .LBB360_2005
; %bb.1904:
	v_bfe_u32 v4, v2, 21, 1
	s_mov_b32 s8, 0x88fffff
	v_add3_u32 v4, v2, v4, s8
	s_mov_b64 s[4:5], exec
	v_lshrrev_b32_e32 v4, 21, v4
	s_andn2_saveexec_b64 s[6:7], s[6:7]
	s_cbranch_execnz .LBB360_2006
.LBB360_1905:
	s_or_b64 exec, exec, s[6:7]
	v_mov_b32_e32 v5, 0
	s_and_saveexec_b64 s[6:7], s[4:5]
.LBB360_1906:
	v_lshrrev_b32_e32 v2, 24, v2
	s_movk_i32 s4, 0x80
	v_and_or_b32 v5, v2, s4, v4
.LBB360_1907:
	s_or_b64 exec, exec, s[6:7]
.LBB360_1908:
	s_or_b64 exec, exec, s[2:3]
	s_mov_b64 s[2:3], 0
	global_store_byte v[0:1], v5, off
.LBB360_1909:
	s_and_b64 vcc, exec, s[2:3]
	s_cbranch_vccz .LBB360_1919
; %bb.1910:
	v_cvt_f32_i32_sdwa v2, sext(v3) dst_sel:DWORD dst_unused:UNUSED_PAD src0_sel:WORD_0
	s_mov_b32 s2, 0x43f00000
                                        ; implicit-def: $vgpr4
	v_and_b32_e32 v5, 0x7fffffff, v2
	v_cmp_gt_u32_e32 vcc, s2, v5
	s_and_saveexec_b64 s[2:3], vcc
	s_xor_b64 s[2:3], exec, s[2:3]
	s_cbranch_execz .LBB360_1916
; %bb.1911:
	s_mov_b32 s4, 0x3c7fffff
	v_cmp_lt_u32_e32 vcc, s4, v5
                                        ; implicit-def: $vgpr4
	s_and_saveexec_b64 s[4:5], vcc
	s_xor_b64 s[4:5], exec, s[4:5]
; %bb.1912:
	v_bfe_u32 v4, v2, 20, 1
	s_mov_b32 s6, 0x407ffff
	v_add3_u32 v4, v2, v4, s6
	v_lshrrev_b32_e32 v5, 20, v4
	v_and_b32_e32 v4, 0xff00000, v4
	s_mov_b32 s6, 0x7f00000
	v_mov_b32_e32 v6, 0x7e
	v_cmp_ne_u32_e32 vcc, s6, v4
	s_nop 1
	v_cndmask_b32_e32 v4, v6, v5, vcc
; %bb.1913:
	s_andn2_saveexec_b64 s[4:5], s[4:5]
; %bb.1914:
	s_mov_b32 s6, 0x46800000
	v_add_f32_e64 v4, |v2|, s6
; %bb.1915:
	s_or_b64 exec, exec, s[4:5]
                                        ; implicit-def: $vgpr5
.LBB360_1916:
	s_andn2_saveexec_b64 s[2:3], s[2:3]
; %bb.1917:
	s_mov_b32 s4, 0x7f800000
	v_mov_b32_e32 v4, 0x7e
	v_mov_b32_e32 v6, 0x7f
	v_cmp_lt_u32_e32 vcc, s4, v5
	s_nop 1
	v_cndmask_b32_e32 v4, v4, v6, vcc
; %bb.1918:
	s_or_b64 exec, exec, s[2:3]
	v_lshrrev_b32_e32 v2, 24, v2
	s_movk_i32 s2, 0x80
	v_and_or_b32 v2, v2, s2, v4
	global_store_byte v[0:1], v2, off
.LBB360_1919:
	s_mov_b64 s[2:3], 0
.LBB360_1920:
	s_andn2_b64 vcc, exec, s[2:3]
	s_cbranch_vccnz .LBB360_1930
; %bb.1921:
	v_cvt_f32_i32_sdwa v2, sext(v3) dst_sel:DWORD dst_unused:UNUSED_PAD src0_sel:WORD_0
	s_mov_b32 s2, 0x47800000
                                        ; implicit-def: $vgpr4
	v_and_b32_e32 v5, 0x7fffffff, v2
	v_cmp_gt_u32_e32 vcc, s2, v5
	s_and_saveexec_b64 s[2:3], vcc
	s_xor_b64 s[2:3], exec, s[2:3]
	s_cbranch_execz .LBB360_1927
; %bb.1922:
	s_mov_b32 s4, 0x387fffff
	v_cmp_lt_u32_e32 vcc, s4, v5
                                        ; implicit-def: $vgpr4
	s_and_saveexec_b64 s[4:5], vcc
	s_xor_b64 s[4:5], exec, s[4:5]
; %bb.1923:
	v_bfe_u32 v4, v2, 21, 1
	s_mov_b32 s6, 0x80fffff
	v_add3_u32 v4, v2, v4, s6
	v_lshrrev_b32_e32 v4, 21, v4
; %bb.1924:
	s_andn2_saveexec_b64 s[4:5], s[4:5]
; %bb.1925:
	s_mov_b32 s6, 0x43000000
	v_add_f32_e64 v4, |v2|, s6
; %bb.1926:
	s_or_b64 exec, exec, s[4:5]
                                        ; implicit-def: $vgpr5
.LBB360_1927:
	s_andn2_saveexec_b64 s[2:3], s[2:3]
; %bb.1928:
	s_mov_b32 s4, 0x7f800000
	v_mov_b32_e32 v4, 0x7c
	v_mov_b32_e32 v6, 0x7f
	v_cmp_lt_u32_e32 vcc, s4, v5
	s_nop 1
	v_cndmask_b32_e32 v4, v4, v6, vcc
; %bb.1929:
	s_or_b64 exec, exec, s[2:3]
	v_lshrrev_b32_e32 v2, 24, v2
	s_movk_i32 s2, 0x80
	v_and_or_b32 v2, v2, s2, v4
	global_store_byte v[0:1], v2, off
.LBB360_1930:
	s_mov_b64 s[2:3], 0
.LBB360_1931:
	s_andn2_b64 vcc, exec, s[2:3]
	s_mov_b64 s[2:3], 0
	s_cbranch_vccnz .LBB360_1938
; %bb.1932:
	s_cmp_gt_i32 s16, 14
	s_mov_b64 s[4:5], -1
	s_cbranch_scc0 .LBB360_1936
; %bb.1933:
	s_cmp_eq_u32 s16, 15
	s_mov_b64 s[0:1], -1
	s_cbranch_scc0 .LBB360_1935
; %bb.1934:
	v_cvt_f32_i32_sdwa v2, sext(v3) dst_sel:DWORD dst_unused:UNUSED_PAD src0_sel:WORD_0
	s_movk_i32 s0, 0x7fff
	v_bfe_u32 v4, v2, 16, 1
	v_add3_u32 v2, v2, v4, s0
	global_store_short_d16_hi v[0:1], v2, off
	s_mov_b64 s[0:1], 0
.LBB360_1935:
	s_mov_b64 s[4:5], 0
.LBB360_1936:
	s_and_b64 vcc, exec, s[4:5]
	s_cbranch_vccz .LBB360_1938
; %bb.1937:
	s_cmp_lg_u32 s16, 11
	s_mov_b64 s[2:3], -1
	s_cselect_b64 s[0:1], -1, 0
.LBB360_1938:
	s_and_b64 vcc, exec, s[0:1]
	s_cbranch_vccnz .LBB360_2004
.LBB360_1939:
	s_mov_b64 s[0:1], 0
	s_branch .LBB360_1941
.LBB360_1940:
	s_mov_b64 s[0:1], 0
	s_mov_b64 s[2:3], 0
                                        ; implicit-def: $sgpr20
                                        ; implicit-def: $vgpr0_vgpr1
                                        ; implicit-def: $vgpr3
.LBB360_1941:
	s_andn2_b64 s[4:5], s[12:13], exec
	s_and_b64 s[6:7], s[14:15], exec
	s_and_b64 s[0:1], s[0:1], exec
	;; [unrolled: 1-line block ×3, first 2 shown]
	s_or_b64 s[12:13], s[4:5], s[6:7]
.LBB360_1942:
	s_or_b64 exec, exec, s[10:11]
	s_and_saveexec_b64 s[4:5], s[12:13]
	s_cbranch_execz .LBB360_1945
; %bb.1943:
	; divergent unreachable
	s_or_b64 exec, exec, s[4:5]
	s_and_saveexec_b64 s[4:5], s[2:3]
	s_xor_b64 s[2:3], exec, s[4:5]
	s_cbranch_execnz .LBB360_1946
.LBB360_1944:
	s_or_b64 exec, exec, s[2:3]
	s_and_saveexec_b64 s[2:3], s[0:1]
	s_cbranch_execnz .LBB360_1947
	s_branch .LBB360_1984
.LBB360_1945:
	s_or_b64 exec, exec, s[4:5]
	s_and_saveexec_b64 s[4:5], s[2:3]
	s_xor_b64 s[2:3], exec, s[4:5]
	s_cbranch_execz .LBB360_1944
.LBB360_1946:
	s_waitcnt vmcnt(0)
	v_mov_b32_e32 v2, 0
	v_cmp_ne_u16_sdwa s[4:5], v3, v2 src0_sel:BYTE_0 src1_sel:DWORD
	s_nop 1
	v_cndmask_b32_e64 v2, 0, 1, s[4:5]
	global_store_byte v[0:1], v2, off
	s_or_b64 exec, exec, s[2:3]
	s_and_saveexec_b64 s[2:3], s[0:1]
	s_cbranch_execz .LBB360_1984
.LBB360_1947:
	s_sext_i32_i16 s2, s20
	s_cmp_lt_i32 s2, 5
	s_mov_b64 s[0:1], -1
	s_cbranch_scc1 .LBB360_1968
; %bb.1948:
	s_cmp_lt_i32 s2, 8
	s_cbranch_scc1 .LBB360_1958
; %bb.1949:
	s_cmp_lt_i32 s2, 9
	s_cbranch_scc1 .LBB360_1955
; %bb.1950:
	s_cmp_gt_i32 s2, 9
	s_cbranch_scc0 .LBB360_1952
; %bb.1951:
	s_waitcnt vmcnt(0)
	v_bfe_i32 v2, v3, 0, 8
	v_bfe_i32 v2, v2, 0, 16
	v_mov_b32_e32 v6, 0
	v_cvt_f64_i32_e32 v[4:5], v2
	v_mov_b32_e32 v7, v6
	global_store_dwordx4 v[0:1], v[4:7], off
	s_mov_b64 s[0:1], 0
.LBB360_1952:
	s_andn2_b64 vcc, exec, s[0:1]
	s_cbranch_vccnz .LBB360_1954
; %bb.1953:
	s_waitcnt vmcnt(0)
	v_bfe_i32 v2, v3, 0, 8
	v_cvt_f32_i32_sdwa v4, sext(v2) dst_sel:DWORD dst_unused:UNUSED_PAD src0_sel:WORD_0
	v_mov_b32_e32 v5, 0
	global_store_dwordx2 v[0:1], v[4:5], off
.LBB360_1954:
	s_mov_b64 s[0:1], 0
.LBB360_1955:
	s_andn2_b64 vcc, exec, s[0:1]
	s_cbranch_vccnz .LBB360_1957
; %bb.1956:
	s_waitcnt vmcnt(0)
	v_cvt_f16_i16_sdwa v2, sext(v3) dst_sel:DWORD dst_unused:UNUSED_PAD src0_sel:BYTE_0
	global_store_dword v[0:1], v2, off
.LBB360_1957:
	s_mov_b64 s[0:1], 0
.LBB360_1958:
	s_andn2_b64 vcc, exec, s[0:1]
	s_cbranch_vccnz .LBB360_1967
; %bb.1959:
	s_sext_i32_i16 s2, s20
	s_cmp_lt_i32 s2, 6
	s_mov_b64 s[0:1], -1
	s_cbranch_scc1 .LBB360_1965
; %bb.1960:
	s_cmp_gt_i32 s2, 6
	s_cbranch_scc0 .LBB360_1962
; %bb.1961:
	s_waitcnt vmcnt(0)
	v_bfe_i32 v2, v3, 0, 8
	v_bfe_i32 v2, v2, 0, 16
	v_cvt_f64_i32_e32 v[4:5], v2
	global_store_dwordx2 v[0:1], v[4:5], off
	s_mov_b64 s[0:1], 0
.LBB360_1962:
	s_andn2_b64 vcc, exec, s[0:1]
	s_cbranch_vccnz .LBB360_1964
; %bb.1963:
	s_waitcnt vmcnt(0)
	v_bfe_i32 v2, v3, 0, 8
	v_cvt_f32_i32_sdwa v2, sext(v2) dst_sel:DWORD dst_unused:UNUSED_PAD src0_sel:WORD_0
	global_store_dword v[0:1], v2, off
.LBB360_1964:
	s_mov_b64 s[0:1], 0
.LBB360_1965:
	s_andn2_b64 vcc, exec, s[0:1]
	s_cbranch_vccnz .LBB360_1967
; %bb.1966:
	s_waitcnt vmcnt(0)
	v_cvt_f16_i16_sdwa v2, sext(v3) dst_sel:DWORD dst_unused:UNUSED_PAD src0_sel:BYTE_0
	global_store_short v[0:1], v2, off
.LBB360_1967:
	s_mov_b64 s[0:1], 0
.LBB360_1968:
	s_andn2_b64 vcc, exec, s[0:1]
	s_cbranch_vccnz .LBB360_1984
; %bb.1969:
	s_sext_i32_i16 s2, s20
	s_cmp_lt_i32 s2, 2
	s_mov_b64 s[0:1], -1
	s_cbranch_scc1 .LBB360_1979
; %bb.1970:
	s_cmp_lt_i32 s2, 3
	s_cbranch_scc1 .LBB360_1976
; %bb.1971:
	s_cmp_gt_i32 s2, 3
	s_cbranch_scc0 .LBB360_1973
; %bb.1972:
	s_waitcnt vmcnt(0)
	v_bfe_i32 v4, v3, 0, 8
	v_ashrrev_i32_e32 v5, 31, v4
	global_store_dwordx2 v[0:1], v[4:5], off
	s_mov_b64 s[0:1], 0
.LBB360_1973:
	s_andn2_b64 vcc, exec, s[0:1]
	s_cbranch_vccnz .LBB360_1975
; %bb.1974:
	s_waitcnt vmcnt(0)
	v_bfe_i32 v2, v3, 0, 8
	global_store_dword v[0:1], v2, off
.LBB360_1975:
	s_mov_b64 s[0:1], 0
.LBB360_1976:
	s_andn2_b64 vcc, exec, s[0:1]
	s_cbranch_vccnz .LBB360_1978
; %bb.1977:
	s_waitcnt vmcnt(0)
	v_bfe_i32 v2, v3, 0, 8
	global_store_short v[0:1], v2, off
.LBB360_1978:
	s_mov_b64 s[0:1], 0
.LBB360_1979:
	s_andn2_b64 vcc, exec, s[0:1]
	s_cbranch_vccnz .LBB360_1984
; %bb.1980:
	s_sext_i32_i16 s0, s20
	s_cmp_gt_i32 s0, 0
	s_mov_b64 s[0:1], -1
	s_cbranch_scc0 .LBB360_1982
; %bb.1981:
	s_waitcnt vmcnt(0)
	global_store_byte v[0:1], v3, off
	s_mov_b64 s[0:1], 0
.LBB360_1982:
	s_andn2_b64 vcc, exec, s[0:1]
	s_cbranch_vccnz .LBB360_1984
; %bb.1983:
	s_waitcnt vmcnt(0)
	global_store_byte v[0:1], v3, off
	s_endpgm
.LBB360_1984:
	s_endpgm
.LBB360_1985:
	s_mov_b64 s[2:3], 0
	s_mov_b64 s[0:1], -1
	s_branch .LBB360_1941
.LBB360_1986:
	s_trap 2
	s_or_b64 s[14:15], s[14:15], exec
	s_cbranch_execz .LBB360_1455
	s_branch .LBB360_1456
.LBB360_1987:
	s_andn2_saveexec_b64 s[18:19], s[18:19]
	s_cbranch_execz .LBB360_1535
.LBB360_1988:
	s_mov_b32 s22, 0x46000000
	v_add_f32_e64 v5, |v3|, s22
	v_and_b32_e32 v5, 0xff, v5
	v_cmp_ne_u32_e32 vcc, 0, v5
	s_andn2_b64 s[16:17], s[16:17], exec
	s_and_b64 s[22:23], vcc, exec
	s_or_b64 s[16:17], s[16:17], s[22:23]
	s_or_b64 exec, exec, s[18:19]
	v_mov_b32_e32 v7, 0
	s_and_saveexec_b64 s[18:19], s[16:17]
	s_cbranch_execnz .LBB360_1536
	s_branch .LBB360_1537
.LBB360_1989:
	s_trap 2
	s_or_b64 s[14:15], s[14:15], exec
	s_cbranch_execz .LBB360_1583
	s_branch .LBB360_1584
.LBB360_1990:
	s_andn2_saveexec_b64 s[16:17], s[16:17]
	s_cbranch_execz .LBB360_1548
.LBB360_1991:
	s_mov_b32 s18, 0x42800000
	v_add_f32_e64 v5, |v3|, s18
	v_and_b32_e32 v5, 0xff, v5
	v_cmp_ne_u32_e32 vcc, 0, v5
	s_andn2_b64 s[6:7], s[6:7], exec
	s_and_b64 s[18:19], vcc, exec
	s_or_b64 s[6:7], s[6:7], s[18:19]
	s_or_b64 exec, exec, s[16:17]
	v_mov_b32_e32 v7, 0
	s_and_saveexec_b64 s[16:17], s[6:7]
	s_cbranch_execnz .LBB360_1549
	s_branch .LBB360_1550
.LBB360_1992:
	s_andn2_saveexec_b64 s[16:17], s[16:17]
	s_cbranch_execz .LBB360_1654
.LBB360_1993:
	s_mov_b32 s22, 0x46000000
	v_add_f32_e64 v5, |v3|, s22
	v_and_b32_e32 v5, 0xff, v5
	v_cmp_ne_u32_e32 vcc, 0, v5
	s_andn2_b64 s[8:9], s[8:9], exec
	s_and_b64 s[22:23], vcc, exec
	s_or_b64 s[8:9], s[8:9], s[22:23]
	s_or_b64 exec, exec, s[16:17]
	v_mov_b32_e32 v8, 0
	s_and_saveexec_b64 s[16:17], s[8:9]
	s_cbranch_execnz .LBB360_1655
	s_branch .LBB360_1656
.LBB360_1994:
	s_trap 2
	s_or_b64 s[14:15], s[14:15], exec
	s_cbranch_execz .LBB360_1702
	s_branch .LBB360_1703
.LBB360_1995:
	s_andn2_saveexec_b64 s[8:9], s[8:9]
	s_cbranch_execz .LBB360_1667
.LBB360_1996:
	s_mov_b32 s16, 0x42800000
	v_add_f32_e64 v5, |v3|, s16
	v_and_b32_e32 v5, 0xff, v5
	v_cmp_ne_u32_e32 vcc, 0, v5
	s_andn2_b64 s[6:7], s[6:7], exec
	s_and_b64 s[16:17], vcc, exec
	s_or_b64 s[6:7], s[6:7], s[16:17]
	s_or_b64 exec, exec, s[8:9]
	v_mov_b32_e32 v8, 0
	s_and_saveexec_b64 s[8:9], s[6:7]
	s_cbranch_execnz .LBB360_1668
	s_branch .LBB360_1669
.LBB360_1997:
	s_andn2_saveexec_b64 s[16:17], s[16:17]
	s_cbranch_execz .LBB360_1773
.LBB360_1998:
	s_mov_b32 s22, 0x46000000
	v_add_f32_e64 v6, |v3|, s22
	v_and_b32_e32 v6, 0xff, v6
	v_cmp_ne_u32_e32 vcc, 0, v6
	s_andn2_b64 s[8:9], s[8:9], exec
	s_and_b64 s[22:23], vcc, exec
	s_or_b64 s[8:9], s[8:9], s[22:23]
	s_or_b64 exec, exec, s[16:17]
	v_mov_b32_e32 v7, 0
	s_and_saveexec_b64 s[16:17], s[8:9]
	s_cbranch_execnz .LBB360_1774
	s_branch .LBB360_1775
.LBB360_1999:
	s_trap 2
	s_or_b64 s[14:15], s[14:15], exec
	s_cbranch_execz .LBB360_1821
	s_branch .LBB360_1822
.LBB360_2000:
	s_andn2_saveexec_b64 s[8:9], s[8:9]
	s_cbranch_execz .LBB360_1786
.LBB360_2001:
	s_mov_b32 s16, 0x42800000
	v_add_f32_e64 v6, |v3|, s16
	v_and_b32_e32 v6, 0xff, v6
	v_cmp_ne_u32_e32 vcc, 0, v6
	s_andn2_b64 s[6:7], s[6:7], exec
	s_and_b64 s[16:17], vcc, exec
	s_or_b64 s[6:7], s[6:7], s[16:17]
	s_or_b64 exec, exec, s[8:9]
	v_mov_b32_e32 v7, 0
	s_and_saveexec_b64 s[8:9], s[6:7]
	s_cbranch_execnz .LBB360_1787
	s_branch .LBB360_1788
.LBB360_2002:
	s_andn2_saveexec_b64 s[8:9], s[8:9]
	s_cbranch_execz .LBB360_1893
.LBB360_2003:
	s_mov_b32 s17, 0x46000000
	v_add_f32_e64 v4, |v2|, s17
	v_and_b32_e32 v4, 0xff, v4
	v_cmp_ne_u32_e32 vcc, 0, v4
	s_andn2_b64 s[6:7], s[6:7], exec
	s_and_b64 s[18:19], vcc, exec
	s_or_b64 s[6:7], s[6:7], s[18:19]
	s_or_b64 exec, exec, s[8:9]
	v_mov_b32_e32 v5, 0
	s_and_saveexec_b64 s[8:9], s[6:7]
	s_cbranch_execnz .LBB360_1894
	s_branch .LBB360_1895
.LBB360_2004:
	s_mov_b64 s[2:3], 0
	s_or_b64 s[14:15], s[14:15], exec
	s_trap 2
	s_branch .LBB360_1939
.LBB360_2005:
	s_andn2_saveexec_b64 s[6:7], s[6:7]
	s_cbranch_execz .LBB360_1905
.LBB360_2006:
	s_mov_b32 s8, 0x42800000
	v_add_f32_e64 v4, |v2|, s8
	v_and_b32_e32 v4, 0xff, v4
	v_cmp_ne_u32_e32 vcc, 0, v4
	s_andn2_b64 s[4:5], s[4:5], exec
	s_and_b64 s[8:9], vcc, exec
	s_or_b64 s[4:5], s[4:5], s[8:9]
	s_or_b64 exec, exec, s[6:7]
	v_mov_b32_e32 v5, 0
	s_and_saveexec_b64 s[6:7], s[4:5]
	s_cbranch_execnz .LBB360_1906
	s_branch .LBB360_1907
	.section	.rodata,"a",@progbits
	.p2align	6, 0x0
	.amdhsa_kernel _ZN2at6native32elementwise_kernel_manual_unrollILi128ELi4EZNS0_15gpu_kernel_implIZZZNS0_21clamp_min_kernel_cudaERNS_18TensorIteratorBaseERKN3c106ScalarEENKUlvE_clEvENKUlvE0_clEvEUlaE_EEvS4_RKT_EUlibE_EEviT1_
		.amdhsa_group_segment_fixed_size 0
		.amdhsa_private_segment_fixed_size 0
		.amdhsa_kernarg_size 40
		.amdhsa_user_sgpr_count 2
		.amdhsa_user_sgpr_dispatch_ptr 0
		.amdhsa_user_sgpr_queue_ptr 0
		.amdhsa_user_sgpr_kernarg_segment_ptr 1
		.amdhsa_user_sgpr_dispatch_id 0
		.amdhsa_user_sgpr_kernarg_preload_length 0
		.amdhsa_user_sgpr_kernarg_preload_offset 0
		.amdhsa_user_sgpr_private_segment_size 0
		.amdhsa_uses_dynamic_stack 0
		.amdhsa_enable_private_segment 0
		.amdhsa_system_sgpr_workgroup_id_x 1
		.amdhsa_system_sgpr_workgroup_id_y 0
		.amdhsa_system_sgpr_workgroup_id_z 0
		.amdhsa_system_sgpr_workgroup_info 0
		.amdhsa_system_vgpr_workitem_id 0
		.amdhsa_next_free_vgpr 14
		.amdhsa_next_free_sgpr 48
		.amdhsa_accum_offset 16
		.amdhsa_reserve_vcc 1
		.amdhsa_float_round_mode_32 0
		.amdhsa_float_round_mode_16_64 0
		.amdhsa_float_denorm_mode_32 3
		.amdhsa_float_denorm_mode_16_64 3
		.amdhsa_dx10_clamp 1
		.amdhsa_ieee_mode 1
		.amdhsa_fp16_overflow 0
		.amdhsa_tg_split 0
		.amdhsa_exception_fp_ieee_invalid_op 0
		.amdhsa_exception_fp_denorm_src 0
		.amdhsa_exception_fp_ieee_div_zero 0
		.amdhsa_exception_fp_ieee_overflow 0
		.amdhsa_exception_fp_ieee_underflow 0
		.amdhsa_exception_fp_ieee_inexact 0
		.amdhsa_exception_int_div_zero 0
	.end_amdhsa_kernel
	.section	.text._ZN2at6native32elementwise_kernel_manual_unrollILi128ELi4EZNS0_15gpu_kernel_implIZZZNS0_21clamp_min_kernel_cudaERNS_18TensorIteratorBaseERKN3c106ScalarEENKUlvE_clEvENKUlvE0_clEvEUlaE_EEvS4_RKT_EUlibE_EEviT1_,"axG",@progbits,_ZN2at6native32elementwise_kernel_manual_unrollILi128ELi4EZNS0_15gpu_kernel_implIZZZNS0_21clamp_min_kernel_cudaERNS_18TensorIteratorBaseERKN3c106ScalarEENKUlvE_clEvENKUlvE0_clEvEUlaE_EEvS4_RKT_EUlibE_EEviT1_,comdat
.Lfunc_end360:
	.size	_ZN2at6native32elementwise_kernel_manual_unrollILi128ELi4EZNS0_15gpu_kernel_implIZZZNS0_21clamp_min_kernel_cudaERNS_18TensorIteratorBaseERKN3c106ScalarEENKUlvE_clEvENKUlvE0_clEvEUlaE_EEvS4_RKT_EUlibE_EEviT1_, .Lfunc_end360-_ZN2at6native32elementwise_kernel_manual_unrollILi128ELi4EZNS0_15gpu_kernel_implIZZZNS0_21clamp_min_kernel_cudaERNS_18TensorIteratorBaseERKN3c106ScalarEENKUlvE_clEvENKUlvE0_clEvEUlaE_EEvS4_RKT_EUlibE_EEviT1_
                                        ; -- End function
	.set _ZN2at6native32elementwise_kernel_manual_unrollILi128ELi4EZNS0_15gpu_kernel_implIZZZNS0_21clamp_min_kernel_cudaERNS_18TensorIteratorBaseERKN3c106ScalarEENKUlvE_clEvENKUlvE0_clEvEUlaE_EEvS4_RKT_EUlibE_EEviT1_.num_vgpr, 14
	.set _ZN2at6native32elementwise_kernel_manual_unrollILi128ELi4EZNS0_15gpu_kernel_implIZZZNS0_21clamp_min_kernel_cudaERNS_18TensorIteratorBaseERKN3c106ScalarEENKUlvE_clEvENKUlvE0_clEvEUlaE_EEvS4_RKT_EUlibE_EEviT1_.num_agpr, 0
	.set _ZN2at6native32elementwise_kernel_manual_unrollILi128ELi4EZNS0_15gpu_kernel_implIZZZNS0_21clamp_min_kernel_cudaERNS_18TensorIteratorBaseERKN3c106ScalarEENKUlvE_clEvENKUlvE0_clEvEUlaE_EEvS4_RKT_EUlibE_EEviT1_.numbered_sgpr, 48
	.set _ZN2at6native32elementwise_kernel_manual_unrollILi128ELi4EZNS0_15gpu_kernel_implIZZZNS0_21clamp_min_kernel_cudaERNS_18TensorIteratorBaseERKN3c106ScalarEENKUlvE_clEvENKUlvE0_clEvEUlaE_EEvS4_RKT_EUlibE_EEviT1_.num_named_barrier, 0
	.set _ZN2at6native32elementwise_kernel_manual_unrollILi128ELi4EZNS0_15gpu_kernel_implIZZZNS0_21clamp_min_kernel_cudaERNS_18TensorIteratorBaseERKN3c106ScalarEENKUlvE_clEvENKUlvE0_clEvEUlaE_EEvS4_RKT_EUlibE_EEviT1_.private_seg_size, 0
	.set _ZN2at6native32elementwise_kernel_manual_unrollILi128ELi4EZNS0_15gpu_kernel_implIZZZNS0_21clamp_min_kernel_cudaERNS_18TensorIteratorBaseERKN3c106ScalarEENKUlvE_clEvENKUlvE0_clEvEUlaE_EEvS4_RKT_EUlibE_EEviT1_.uses_vcc, 1
	.set _ZN2at6native32elementwise_kernel_manual_unrollILi128ELi4EZNS0_15gpu_kernel_implIZZZNS0_21clamp_min_kernel_cudaERNS_18TensorIteratorBaseERKN3c106ScalarEENKUlvE_clEvENKUlvE0_clEvEUlaE_EEvS4_RKT_EUlibE_EEviT1_.uses_flat_scratch, 0
	.set _ZN2at6native32elementwise_kernel_manual_unrollILi128ELi4EZNS0_15gpu_kernel_implIZZZNS0_21clamp_min_kernel_cudaERNS_18TensorIteratorBaseERKN3c106ScalarEENKUlvE_clEvENKUlvE0_clEvEUlaE_EEvS4_RKT_EUlibE_EEviT1_.has_dyn_sized_stack, 0
	.set _ZN2at6native32elementwise_kernel_manual_unrollILi128ELi4EZNS0_15gpu_kernel_implIZZZNS0_21clamp_min_kernel_cudaERNS_18TensorIteratorBaseERKN3c106ScalarEENKUlvE_clEvENKUlvE0_clEvEUlaE_EEvS4_RKT_EUlibE_EEviT1_.has_recursion, 0
	.set _ZN2at6native32elementwise_kernel_manual_unrollILi128ELi4EZNS0_15gpu_kernel_implIZZZNS0_21clamp_min_kernel_cudaERNS_18TensorIteratorBaseERKN3c106ScalarEENKUlvE_clEvENKUlvE0_clEvEUlaE_EEvS4_RKT_EUlibE_EEviT1_.has_indirect_call, 0
	.section	.AMDGPU.csdata,"",@progbits
; Kernel info:
; codeLenInByte = 30336
; TotalNumSgprs: 54
; NumVgprs: 14
; NumAgprs: 0
; TotalNumVgprs: 14
; ScratchSize: 0
; MemoryBound: 1
; FloatMode: 240
; IeeeMode: 1
; LDSByteSize: 0 bytes/workgroup (compile time only)
; SGPRBlocks: 6
; VGPRBlocks: 1
; NumSGPRsForWavesPerEU: 54
; NumVGPRsForWavesPerEU: 14
; AccumOffset: 16
; Occupancy: 8
; WaveLimiterHint : 0
; COMPUTE_PGM_RSRC2:SCRATCH_EN: 0
; COMPUTE_PGM_RSRC2:USER_SGPR: 2
; COMPUTE_PGM_RSRC2:TRAP_HANDLER: 0
; COMPUTE_PGM_RSRC2:TGID_X_EN: 1
; COMPUTE_PGM_RSRC2:TGID_Y_EN: 0
; COMPUTE_PGM_RSRC2:TGID_Z_EN: 0
; COMPUTE_PGM_RSRC2:TIDIG_COMP_CNT: 0
; COMPUTE_PGM_RSRC3_GFX90A:ACCUM_OFFSET: 3
; COMPUTE_PGM_RSRC3_GFX90A:TG_SPLIT: 0
	.section	.text._ZN2at6native32elementwise_kernel_manual_unrollILi128ELi4EZNS0_15gpu_kernel_implIZZZNS0_21clamp_min_kernel_cudaERNS_18TensorIteratorBaseERKN3c106ScalarEENKUlvE_clEvENKUlvE0_clEvEUlaE_EEvS4_RKT_EUlibE0_EEviT1_,"axG",@progbits,_ZN2at6native32elementwise_kernel_manual_unrollILi128ELi4EZNS0_15gpu_kernel_implIZZZNS0_21clamp_min_kernel_cudaERNS_18TensorIteratorBaseERKN3c106ScalarEENKUlvE_clEvENKUlvE0_clEvEUlaE_EEvS4_RKT_EUlibE0_EEviT1_,comdat
	.globl	_ZN2at6native32elementwise_kernel_manual_unrollILi128ELi4EZNS0_15gpu_kernel_implIZZZNS0_21clamp_min_kernel_cudaERNS_18TensorIteratorBaseERKN3c106ScalarEENKUlvE_clEvENKUlvE0_clEvEUlaE_EEvS4_RKT_EUlibE0_EEviT1_ ; -- Begin function _ZN2at6native32elementwise_kernel_manual_unrollILi128ELi4EZNS0_15gpu_kernel_implIZZZNS0_21clamp_min_kernel_cudaERNS_18TensorIteratorBaseERKN3c106ScalarEENKUlvE_clEvENKUlvE0_clEvEUlaE_EEvS4_RKT_EUlibE0_EEviT1_
	.p2align	8
	.type	_ZN2at6native32elementwise_kernel_manual_unrollILi128ELi4EZNS0_15gpu_kernel_implIZZZNS0_21clamp_min_kernel_cudaERNS_18TensorIteratorBaseERKN3c106ScalarEENKUlvE_clEvENKUlvE0_clEvEUlaE_EEvS4_RKT_EUlibE0_EEviT1_,@function
_ZN2at6native32elementwise_kernel_manual_unrollILi128ELi4EZNS0_15gpu_kernel_implIZZZNS0_21clamp_min_kernel_cudaERNS_18TensorIteratorBaseERKN3c106ScalarEENKUlvE_clEvENKUlvE0_clEvEUlaE_EEvS4_RKT_EUlibE0_EEviT1_: ; @_ZN2at6native32elementwise_kernel_manual_unrollILi128ELi4EZNS0_15gpu_kernel_implIZZZNS0_21clamp_min_kernel_cudaERNS_18TensorIteratorBaseERKN3c106ScalarEENKUlvE_clEvENKUlvE0_clEvEUlaE_EEvS4_RKT_EUlibE0_EEviT1_
; %bb.0:
	s_load_dword s70, s[0:1], 0x0
	s_load_dword s33, s[0:1], 0x8
	s_add_u32 s34, s0, 8
	s_addc_u32 s35, s1, 0
	v_lshl_or_b32 v8, s2, 9, v0
	v_or_b32_e32 v16, 0x180, v8
	s_waitcnt lgkmcnt(0)
	s_add_i32 s72, s33, -1
	s_cmp_gt_u32 s72, 1
	v_cmp_le_i32_e32 vcc, s70, v16
	s_cselect_b64 s[42:43], -1, 0
	s_mov_b64 s[40:41], 0
	s_mov_b64 s[24:25], 0
	s_and_saveexec_b64 s[2:3], vcc
	s_xor_b64 s[44:45], exec, s[2:3]
	s_cbranch_execz .LBB361_1074
; %bb.1:
	s_load_dwordx4 s[24:27], s[34:35], 0x4
	s_load_dwordx2 s[46:47], s[34:35], 0x14
	s_load_dword s74, s[34:35], 0x158
	s_cmp_lg_u32 s33, 0
	s_load_dwordx4 s[28:31], s[34:35], 0xc4
	s_load_dwordx4 s[20:23], s[34:35], 0x148
	s_cselect_b64 s[52:53], -1, 0
	s_add_u32 s50, s34, 0xc4
	s_addc_u32 s51, s35, 0
	s_min_u32 s76, s72, 15
	s_cmp_gt_u32 s33, 1
	s_cselect_b64 s[48:49], -1, 0
	s_waitcnt lgkmcnt(0)
	s_lshr_b32 s73, s74, 8
	s_lshr_b32 s75, s74, 16
	v_cmp_gt_i32_e32 vcc, s70, v8
	s_mov_b64 s[4:5], -1
	s_mov_b64 s[62:63], 0
	s_mov_b64 s[56:57], 0
	;; [unrolled: 1-line block ×3, first 2 shown]
	s_and_saveexec_b64 s[58:59], vcc
	s_cbranch_execz .LBB361_263
; %bb.2:
	s_andn2_b64 vcc, exec, s[42:43]
	s_cbranch_vccnz .LBB361_8
; %bb.3:
	s_andn2_b64 vcc, exec, s[52:53]
	s_cbranch_vccnz .LBB361_9
; %bb.4:
	s_add_i32 s57, s76, 1
	s_cmp_eq_u32 s72, 2
	s_cbranch_scc1 .LBB361_10
; %bb.5:
	s_and_b32 s56, s57, 28
	s_mov_b32 s60, 0
	v_mov_b32_e32 v0, 0
	v_mov_b32_e32 v2, 0
	s_mov_b64 s[2:3], s[34:35]
	s_mov_b64 s[54:55], s[50:51]
	v_mov_b32_e32 v4, v8
.LBB361_6:                              ; =>This Inner Loop Header: Depth=1
	s_load_dwordx8 s[12:19], s[2:3], 0x4
	s_load_dwordx4 s[36:39], s[2:3], 0x24
	s_load_dwordx8 s[4:11], s[54:55], 0x0
	s_add_u32 s2, s2, 48
	s_addc_u32 s3, s3, 0
	s_waitcnt lgkmcnt(0)
	v_mul_hi_u32 v1, s13, v4
	v_add_u32_e32 v1, v4, v1
	v_lshrrev_b32_e32 v1, s14, v1
	v_mul_lo_u32 v3, v1, s12
	v_mul_hi_u32 v5, s16, v1
	v_sub_u32_e32 v3, v4, v3
	v_add_u32_e32 v4, v1, v5
	v_lshrrev_b32_e32 v4, s17, v4
	v_mul_lo_u32 v6, v4, s15
	v_mul_hi_u32 v7, s19, v4
	v_sub_u32_e32 v1, v1, v6
	v_add_u32_e32 v6, v4, v7
	v_mul_lo_u32 v5, v3, s5
	v_mul_lo_u32 v3, v3, s4
	;; [unrolled: 1-line block ×4, first 2 shown]
	v_lshrrev_b32_e32 v6, s36, v6
	v_add3_u32 v0, v3, v0, v1
	v_mul_hi_u32 v3, s38, v6
	v_add3_u32 v1, v5, v2, v7
	v_mul_lo_u32 v2, v6, s18
	v_add_u32_e32 v3, v6, v3
	v_sub_u32_e32 v2, v4, v2
	v_lshrrev_b32_e32 v4, s39, v3
	s_add_i32 s60, s60, 4
	v_mul_lo_u32 v3, v4, s37
	s_add_u32 s54, s54, 32
	v_sub_u32_e32 v3, v6, v3
	s_addc_u32 s55, s55, 0
	v_mul_lo_u32 v5, v2, s8
	v_mul_lo_u32 v2, v2, s9
	;; [unrolled: 1-line block ×4, first 2 shown]
	s_cmp_lg_u32 s56, s60
	v_add3_u32 v2, v2, v1, v3
	v_add3_u32 v0, v5, v0, v6
	s_cbranch_scc1 .LBB361_6
; %bb.7:
	v_mov_b32_e32 v1, v2
	s_branch .LBB361_11
.LBB361_8:
                                        ; implicit-def: $vgpr2
                                        ; implicit-def: $vgpr0
	s_branch .LBB361_15
.LBB361_9:
	v_mov_b32_e32 v2, 0
	v_mov_b32_e32 v0, 0
	s_branch .LBB361_14
.LBB361_10:
	v_mov_b32_e32 v0, 0
	s_mov_b32 s56, 0
	v_mov_b32_e32 v1, v0
                                        ; implicit-def: $vgpr2
	v_mov_b32_e32 v4, v8
.LBB361_11:
	s_and_b32 s6, s57, 3
	s_cmp_eq_u32 s6, 0
	s_cbranch_scc1 .LBB361_14
; %bb.12:
	s_lshl_b32 s2, s56, 3
	s_add_u32 s2, s34, s2
	s_addc_u32 s3, s35, 0
	s_add_u32 s2, s2, 0xc4
	s_addc_u32 s3, s3, 0
	s_mul_i32 s4, s56, 12
	s_add_u32 s4, s34, s4
	s_addc_u32 s5, s35, 0
.LBB361_13:                             ; =>This Inner Loop Header: Depth=1
	s_load_dwordx2 s[8:9], s[4:5], 0x4
	s_load_dword s7, s[4:5], 0xc
	s_load_dwordx2 s[10:11], s[2:3], 0x0
	v_mov_b32_e32 v2, v1
	s_add_u32 s4, s4, 12
	s_waitcnt lgkmcnt(0)
	v_mul_hi_u32 v1, s9, v4
	v_add_u32_e32 v1, v4, v1
	v_lshrrev_b32_e32 v1, s7, v1
	s_addc_u32 s5, s5, 0
	v_mul_lo_u32 v3, v1, s8
	s_add_u32 s2, s2, 8
	v_sub_u32_e32 v5, v4, v3
	s_addc_u32 s3, s3, 0
	s_add_i32 s6, s6, -1
	v_mov_b32_e32 v4, v1
	v_mad_u64_u32 v[2:3], s[8:9], v5, s11, v[2:3]
	v_mad_u64_u32 v[0:1], s[8:9], v5, s10, v[0:1]
	s_cmp_lg_u32 s6, 0
	v_mov_b32_e32 v1, v2
	s_cbranch_scc1 .LBB361_13
.LBB361_14:
	s_cbranch_execnz .LBB361_17
.LBB361_15:
	v_mul_hi_u32 v0, s25, v8
	v_add_u32_e32 v0, v8, v0
	v_lshrrev_b32_e32 v1, s26, v0
	v_mul_lo_u32 v0, v1, s24
	v_sub_u32_e32 v0, v8, v0
	v_mul_lo_u32 v2, v0, s29
	s_andn2_b64 vcc, exec, s[48:49]
	v_mul_lo_u32 v0, v0, s28
	s_cbranch_vccnz .LBB361_17
; %bb.16:
	v_mul_hi_u32 v3, s46, v1
	v_add_u32_e32 v3, v1, v3
	v_lshrrev_b32_e32 v3, s47, v3
	v_mul_lo_u32 v3, v3, s27
	v_sub_u32_e32 v3, v1, v3
	v_mad_u64_u32 v[0:1], s[2:3], v3, s30, v[0:1]
	v_mad_u64_u32 v[2:3], s[2:3], v3, s31, v[2:3]
.LBB361_17:
	v_mov_b32_e32 v3, 0
	s_and_b32 s8, s75, 0xff
	s_cmp_lt_i32 s8, 11
	v_lshl_add_u64 v[2:3], s[22:23], 0, v[2:3]
	s_cbranch_scc1 .LBB361_24
; %bb.18:
	s_and_b32 s9, 0xffff, s8
	s_cmp_gt_i32 s9, 25
	s_cbranch_scc0 .LBB361_33
; %bb.19:
	s_cmp_gt_i32 s9, 28
	s_cbranch_scc0 .LBB361_36
; %bb.20:
	;; [unrolled: 3-line block ×4, first 2 shown]
	s_cmp_eq_u32 s9, 46
	s_mov_b64 s[6:7], 0
	s_cbranch_scc0 .LBB361_42
; %bb.23:
	global_load_dword v1, v[2:3], off
	s_mov_b64 s[2:3], -1
	s_mov_b64 s[4:5], 0
	s_waitcnt vmcnt(0)
	v_lshlrev_b32_e32 v1, 16, v1
	v_cvt_i32_f32_e32 v4, v1
	s_branch .LBB361_44
.LBB361_24:
	s_mov_b64 s[4:5], 0
                                        ; implicit-def: $vgpr4
	s_mov_b64 s[2:3], 0
	s_cbranch_execnz .LBB361_213
.LBB361_25:
	s_andn2_b64 vcc, exec, s[2:3]
	s_cbranch_vccnz .LBB361_260
.LBB361_26:
	s_bfe_i32 s2, s74, 0x80000
	v_mov_b32_e32 v1, 0
	s_and_b32 s12, s73, 0xff
	s_waitcnt vmcnt(0)
	v_max_i16_sdwa v4, sext(v4), s2 dst_sel:DWORD dst_unused:UNUSED_PAD src0_sel:BYTE_0 src1_sel:DWORD
	s_cmp_lt_i32 s12, 11
	v_lshl_add_u64 v[0:1], s[20:21], 0, v[0:1]
	s_cbranch_scc1 .LBB361_34
; %bb.27:
	s_and_b32 s13, 0xffff, s12
	s_cmp_gt_i32 s13, 25
	s_cbranch_scc0 .LBB361_37
; %bb.28:
	s_cmp_gt_i32 s13, 28
	s_cbranch_scc0 .LBB361_39
; %bb.29:
	;; [unrolled: 3-line block ×4, first 2 shown]
	s_mov_b64 s[8:9], 0
	s_mov_b64 s[2:3], -1
	s_cmp_eq_u32 s13, 46
	s_mov_b64 s[6:7], 0
	s_cbranch_scc0 .LBB361_48
; %bb.32:
	v_cvt_f32_i32_sdwa v2, sext(v4) dst_sel:DWORD dst_unused:UNUSED_PAD src0_sel:WORD_0
	s_movk_i32 s2, 0x7fff
	s_mov_b64 s[6:7], -1
	v_bfe_u32 v3, v2, 16, 1
	v_add3_u32 v2, v2, v3, s2
	v_lshrrev_b32_e32 v2, 16, v2
	global_store_dword v[0:1], v2, off
	s_mov_b64 s[2:3], 0
	s_branch .LBB361_48
.LBB361_33:
	s_mov_b64 s[4:5], 0
	s_mov_b64 s[2:3], 0
                                        ; implicit-def: $vgpr4
	s_cbranch_execnz .LBB361_180
	s_branch .LBB361_212
.LBB361_34:
	s_mov_b64 s[2:3], 0
	s_mov_b64 s[6:7], 0
	s_cbranch_execnz .LBB361_117
.LBB361_35:
	s_andn2_b64 vcc, exec, s[6:7]
	s_cbranch_vccnz .LBB361_261
	s_branch .LBB361_155
.LBB361_36:
	s_mov_b64 s[6:7], -1
	s_mov_b64 s[4:5], 0
	s_mov_b64 s[2:3], 0
                                        ; implicit-def: $vgpr4
	s_branch .LBB361_163
.LBB361_37:
	s_mov_b64 s[8:9], -1
	s_mov_b64 s[2:3], 0
	s_mov_b64 s[6:7], 0
	s_branch .LBB361_75
.LBB361_38:
	s_mov_b64 s[6:7], -1
	s_mov_b64 s[4:5], 0
	s_mov_b64 s[2:3], 0
                                        ; implicit-def: $vgpr4
	s_branch .LBB361_158
.LBB361_39:
	s_mov_b64 s[8:9], -1
	s_mov_b64 s[2:3], 0
	s_mov_b64 s[6:7], 0
	s_branch .LBB361_58
.LBB361_40:
	s_mov_b64 s[6:7], -1
	s_mov_b64 s[4:5], 0
	s_branch .LBB361_43
.LBB361_41:
	s_mov_b64 s[8:9], -1
	s_mov_b64 s[2:3], 0
	s_mov_b64 s[6:7], 0
	s_branch .LBB361_54
.LBB361_42:
	s_mov_b64 s[4:5], -1
.LBB361_43:
	s_mov_b64 s[2:3], 0
                                        ; implicit-def: $vgpr4
.LBB361_44:
	s_and_b64 vcc, exec, s[6:7]
	s_cbranch_vccz .LBB361_157
; %bb.45:
	s_cmp_eq_u32 s9, 44
	s_cbranch_scc0 .LBB361_156
; %bb.46:
	global_load_ubyte v1, v[2:3], off
	s_mov_b64 s[2:3], -1
	s_mov_b64 s[4:5], 0
	s_waitcnt vmcnt(0)
	v_lshlrev_b32_e32 v4, 23, v1
	v_cvt_i32_f32_e32 v4, v4
	v_cmp_ne_u32_e32 vcc, 0, v1
	s_nop 1
	v_cndmask_b32_e32 v4, 0, v4, vcc
	s_branch .LBB361_157
.LBB361_47:
	s_mov_b64 s[8:9], -1
	s_mov_b64 s[2:3], 0
	s_mov_b64 s[6:7], 0
.LBB361_48:
	s_and_b64 vcc, exec, s[8:9]
	s_cbranch_vccz .LBB361_53
; %bb.49:
	s_cmp_eq_u32 s13, 44
	s_mov_b64 s[2:3], -1
	s_cbranch_scc0 .LBB361_53
; %bb.50:
	v_cvt_f32_i32_sdwa v2, sext(v4) dst_sel:DWORD dst_unused:UNUSED_PAD src0_sel:WORD_0
	s_movk_i32 s2, 0xff
	v_mov_b32_e32 v5, 0xff
	v_bfe_u32 v3, v2, 23, 8
	v_cmp_ne_u32_e32 vcc, s2, v3
	s_and_saveexec_b64 s[6:7], vcc
; %bb.51:
	s_mov_b32 s2, 0x3fffff
	v_lshrrev_b32_e32 v5, 23, v2
	v_and_b32_e32 v6, 0x400000, v2
	v_and_or_b32 v2, v2, s2, v3
	v_cmp_ne_u32_e32 vcc, 0, v6
	v_cmp_ne_u32_e64 s[2:3], 0, v2
	s_and_b64 s[2:3], vcc, s[2:3]
	s_nop 0
	v_cndmask_b32_e64 v2, 0, 1, s[2:3]
	v_add_u32_e32 v5, v5, v2
; %bb.52:
	s_or_b64 exec, exec, s[6:7]
	s_mov_b64 s[6:7], -1
	s_mov_b64 s[2:3], 0
	global_store_byte v[0:1], v5, off
.LBB361_53:
	s_mov_b64 s[8:9], 0
.LBB361_54:
	s_and_b64 vcc, exec, s[8:9]
	s_cbranch_vccz .LBB361_57
; %bb.55:
	s_cmp_eq_u32 s13, 29
	s_mov_b64 s[2:3], -1
	s_cbranch_scc0 .LBB361_57
; %bb.56:
	v_bfe_i32 v2, v4, 0, 16
	v_ashrrev_i32_e32 v3, 31, v2
	global_store_dwordx2 v[0:1], v[2:3], off
	s_mov_b64 s[6:7], -1
	s_mov_b64 s[2:3], 0
.LBB361_57:
	s_mov_b64 s[8:9], 0
.LBB361_58:
	s_and_b64 vcc, exec, s[8:9]
	s_cbranch_vccz .LBB361_74
; %bb.59:
	s_cmp_lt_i32 s13, 27
	s_mov_b64 s[6:7], -1
	s_cbranch_scc1 .LBB361_65
; %bb.60:
	s_cmp_gt_i32 s13, 27
	s_cbranch_scc0 .LBB361_62
; %bb.61:
	v_bfe_i32 v2, v4, 0, 16
	s_mov_b64 s[6:7], 0
	global_store_dword v[0:1], v2, off
.LBB361_62:
	s_andn2_b64 vcc, exec, s[6:7]
	s_cbranch_vccnz .LBB361_64
; %bb.63:
	global_store_short v[0:1], v4, off
.LBB361_64:
	s_mov_b64 s[6:7], 0
.LBB361_65:
	s_andn2_b64 vcc, exec, s[6:7]
	s_cbranch_vccnz .LBB361_73
; %bb.66:
	v_cvt_f32_i32_sdwa v2, sext(v4) dst_sel:DWORD dst_unused:UNUSED_PAD src0_sel:WORD_0
	s_mov_b32 s6, 0x43800000
	v_mov_b32_e32 v5, 0x80
	v_and_b32_e32 v3, 0x7fffffff, v2
	v_cmp_gt_u32_e32 vcc, s6, v3
	s_and_saveexec_b64 s[6:7], vcc
	s_cbranch_execz .LBB361_72
; %bb.67:
	s_mov_b32 s8, 0x3bffffff
	v_cmp_lt_u32_e32 vcc, s8, v3
	s_mov_b64 s[8:9], 0
                                        ; implicit-def: $vgpr3
	s_and_saveexec_b64 s[10:11], vcc
	s_xor_b64 s[10:11], exec, s[10:11]
	s_cbranch_execz .LBB361_305
; %bb.68:
	v_bfe_u32 v3, v2, 20, 1
	s_mov_b32 s14, 0x487ffff
	v_add3_u32 v3, v2, v3, s14
	s_mov_b64 s[8:9], exec
	v_lshrrev_b32_e32 v3, 20, v3
	s_andn2_saveexec_b64 s[10:11], s[10:11]
	s_cbranch_execnz .LBB361_306
.LBB361_69:
	s_or_b64 exec, exec, s[10:11]
	v_mov_b32_e32 v5, 0
	s_and_saveexec_b64 s[10:11], s[8:9]
.LBB361_70:
	v_lshrrev_b32_e32 v2, 24, v2
	s_movk_i32 s8, 0x80
	v_and_or_b32 v5, v2, s8, v3
.LBB361_71:
	s_or_b64 exec, exec, s[10:11]
.LBB361_72:
	s_or_b64 exec, exec, s[6:7]
	global_store_byte v[0:1], v5, off
.LBB361_73:
	s_mov_b64 s[6:7], -1
.LBB361_74:
	s_mov_b64 s[8:9], 0
.LBB361_75:
	s_and_b64 vcc, exec, s[8:9]
	s_cbranch_vccz .LBB361_116
; %bb.76:
	s_cmp_gt_i32 s13, 22
	s_mov_b64 s[8:9], -1
	s_cbranch_scc0 .LBB361_108
; %bb.77:
	s_cmp_lt_i32 s13, 24
	s_mov_b64 s[6:7], -1
	s_cbranch_scc1 .LBB361_97
; %bb.78:
	s_cmp_gt_i32 s13, 24
	s_cbranch_scc0 .LBB361_86
; %bb.79:
	v_cvt_f32_i32_sdwa v2, sext(v4) dst_sel:DWORD dst_unused:UNUSED_PAD src0_sel:WORD_0
	s_mov_b32 s6, 0x47800000
	v_mov_b32_e32 v5, 0x80
	v_and_b32_e32 v3, 0x7fffffff, v2
	v_cmp_gt_u32_e32 vcc, s6, v3
	s_and_saveexec_b64 s[6:7], vcc
	s_cbranch_execz .LBB361_85
; %bb.80:
	s_mov_b32 s8, 0x37ffffff
	v_cmp_lt_u32_e32 vcc, s8, v3
	s_mov_b64 s[8:9], 0
                                        ; implicit-def: $vgpr3
	s_and_saveexec_b64 s[10:11], vcc
	s_xor_b64 s[10:11], exec, s[10:11]
	s_cbranch_execz .LBB361_309
; %bb.81:
	v_bfe_u32 v3, v2, 21, 1
	s_mov_b32 s14, 0x88fffff
	v_add3_u32 v3, v2, v3, s14
	s_mov_b64 s[8:9], exec
	v_lshrrev_b32_e32 v3, 21, v3
	s_andn2_saveexec_b64 s[10:11], s[10:11]
	s_cbranch_execnz .LBB361_310
.LBB361_82:
	s_or_b64 exec, exec, s[10:11]
	v_mov_b32_e32 v5, 0
	s_and_saveexec_b64 s[10:11], s[8:9]
.LBB361_83:
	v_lshrrev_b32_e32 v2, 24, v2
	s_movk_i32 s8, 0x80
	v_and_or_b32 v5, v2, s8, v3
.LBB361_84:
	s_or_b64 exec, exec, s[10:11]
.LBB361_85:
	s_or_b64 exec, exec, s[6:7]
	s_mov_b64 s[6:7], 0
	global_store_byte v[0:1], v5, off
.LBB361_86:
	s_and_b64 vcc, exec, s[6:7]
	s_cbranch_vccz .LBB361_96
; %bb.87:
	v_cvt_f32_i32_sdwa v2, sext(v4) dst_sel:DWORD dst_unused:UNUSED_PAD src0_sel:WORD_0
	s_mov_b32 s6, 0x43f00000
                                        ; implicit-def: $vgpr3
	v_and_b32_e32 v5, 0x7fffffff, v2
	v_cmp_gt_u32_e32 vcc, s6, v5
	s_and_saveexec_b64 s[6:7], vcc
	s_xor_b64 s[6:7], exec, s[6:7]
	s_cbranch_execz .LBB361_93
; %bb.88:
	s_mov_b32 s8, 0x3c7fffff
	v_cmp_lt_u32_e32 vcc, s8, v5
                                        ; implicit-def: $vgpr3
	s_and_saveexec_b64 s[8:9], vcc
	s_xor_b64 s[8:9], exec, s[8:9]
; %bb.89:
	v_bfe_u32 v3, v2, 20, 1
	s_mov_b32 s10, 0x407ffff
	v_add3_u32 v3, v2, v3, s10
	v_lshrrev_b32_e32 v5, 20, v3
	v_and_b32_e32 v3, 0xff00000, v3
	s_mov_b32 s10, 0x7f00000
	v_mov_b32_e32 v6, 0x7e
	v_cmp_ne_u32_e32 vcc, s10, v3
	s_nop 1
	v_cndmask_b32_e32 v3, v6, v5, vcc
; %bb.90:
	s_andn2_saveexec_b64 s[8:9], s[8:9]
; %bb.91:
	s_mov_b32 s10, 0x46800000
	v_add_f32_e64 v3, |v2|, s10
; %bb.92:
	s_or_b64 exec, exec, s[8:9]
                                        ; implicit-def: $vgpr5
.LBB361_93:
	s_andn2_saveexec_b64 s[6:7], s[6:7]
; %bb.94:
	s_mov_b32 s8, 0x7f800000
	v_mov_b32_e32 v3, 0x7e
	v_mov_b32_e32 v6, 0x7f
	v_cmp_lt_u32_e32 vcc, s8, v5
	s_nop 1
	v_cndmask_b32_e32 v3, v3, v6, vcc
; %bb.95:
	s_or_b64 exec, exec, s[6:7]
	v_lshrrev_b32_e32 v2, 24, v2
	s_movk_i32 s6, 0x80
	v_and_or_b32 v2, v2, s6, v3
	global_store_byte v[0:1], v2, off
.LBB361_96:
	s_mov_b64 s[6:7], 0
.LBB361_97:
	s_andn2_b64 vcc, exec, s[6:7]
	s_cbranch_vccnz .LBB361_107
; %bb.98:
	v_cvt_f32_i32_sdwa v2, sext(v4) dst_sel:DWORD dst_unused:UNUSED_PAD src0_sel:WORD_0
	s_mov_b32 s6, 0x47800000
                                        ; implicit-def: $vgpr3
	v_and_b32_e32 v5, 0x7fffffff, v2
	v_cmp_gt_u32_e32 vcc, s6, v5
	s_and_saveexec_b64 s[6:7], vcc
	s_xor_b64 s[6:7], exec, s[6:7]
	s_cbranch_execz .LBB361_104
; %bb.99:
	s_mov_b32 s8, 0x387fffff
	v_cmp_lt_u32_e32 vcc, s8, v5
                                        ; implicit-def: $vgpr3
	s_and_saveexec_b64 s[8:9], vcc
	s_xor_b64 s[8:9], exec, s[8:9]
; %bb.100:
	v_bfe_u32 v3, v2, 21, 1
	s_mov_b32 s10, 0x80fffff
	v_add3_u32 v3, v2, v3, s10
	v_lshrrev_b32_e32 v3, 21, v3
; %bb.101:
	s_andn2_saveexec_b64 s[8:9], s[8:9]
; %bb.102:
	s_mov_b32 s10, 0x43000000
	v_add_f32_e64 v3, |v2|, s10
; %bb.103:
	s_or_b64 exec, exec, s[8:9]
                                        ; implicit-def: $vgpr5
.LBB361_104:
	s_andn2_saveexec_b64 s[6:7], s[6:7]
; %bb.105:
	s_mov_b32 s8, 0x7f800000
	v_mov_b32_e32 v3, 0x7c
	v_mov_b32_e32 v6, 0x7f
	v_cmp_lt_u32_e32 vcc, s8, v5
	s_nop 1
	v_cndmask_b32_e32 v3, v3, v6, vcc
; %bb.106:
	s_or_b64 exec, exec, s[6:7]
	v_lshrrev_b32_e32 v2, 24, v2
	s_movk_i32 s6, 0x80
	v_and_or_b32 v2, v2, s6, v3
	global_store_byte v[0:1], v2, off
.LBB361_107:
	s_mov_b64 s[8:9], 0
	s_mov_b64 s[6:7], -1
.LBB361_108:
	s_andn2_b64 vcc, exec, s[8:9]
	s_cbranch_vccnz .LBB361_116
; %bb.109:
	s_cmp_gt_i32 s13, 14
	s_mov_b64 s[8:9], -1
	s_cbranch_scc0 .LBB361_113
; %bb.110:
	s_cmp_eq_u32 s13, 15
	s_mov_b64 s[2:3], -1
	s_cbranch_scc0 .LBB361_112
; %bb.111:
	v_cvt_f32_i32_sdwa v2, sext(v4) dst_sel:DWORD dst_unused:UNUSED_PAD src0_sel:WORD_0
	s_movk_i32 s2, 0x7fff
	s_mov_b64 s[6:7], -1
	v_bfe_u32 v3, v2, 16, 1
	v_add3_u32 v2, v2, v3, s2
	global_store_short_d16_hi v[0:1], v2, off
	s_mov_b64 s[2:3], 0
.LBB361_112:
	s_mov_b64 s[8:9], 0
.LBB361_113:
	s_and_b64 vcc, exec, s[8:9]
	s_cbranch_vccz .LBB361_116
; %bb.114:
	s_cmp_eq_u32 s13, 11
	s_mov_b64 s[2:3], -1
	s_cbranch_scc0 .LBB361_116
; %bb.115:
	v_cmp_ne_u16_e32 vcc, 0, v4
	s_mov_b64 s[6:7], -1
	s_mov_b64 s[2:3], 0
	v_cndmask_b32_e64 v2, 0, 1, vcc
	global_store_byte v[0:1], v2, off
.LBB361_116:
	s_branch .LBB361_35
.LBB361_117:
	s_and_b32 s8, 0xffff, s12
	s_cmp_lt_i32 s8, 5
	s_mov_b64 s[6:7], -1
	s_cbranch_scc1 .LBB361_138
; %bb.118:
	s_cmp_lt_i32 s8, 8
	s_cbranch_scc1 .LBB361_128
; %bb.119:
	s_cmp_lt_i32 s8, 9
	s_cbranch_scc1 .LBB361_125
; %bb.120:
	s_cmp_gt_i32 s8, 9
	s_cbranch_scc0 .LBB361_122
; %bb.121:
	v_bfe_i32 v2, v4, 0, 16
	v_mov_b32_e32 v12, 0
	v_cvt_f64_i32_e32 v[10:11], v2
	v_mov_b32_e32 v13, v12
	global_store_dwordx4 v[0:1], v[10:13], off
	s_mov_b64 s[6:7], 0
.LBB361_122:
	s_andn2_b64 vcc, exec, s[6:7]
	s_cbranch_vccnz .LBB361_124
; %bb.123:
	v_cvt_f32_i32_sdwa v2, sext(v4) dst_sel:DWORD dst_unused:UNUSED_PAD src0_sel:WORD_0
	v_mov_b32_e32 v3, 0
	global_store_dwordx2 v[0:1], v[2:3], off
.LBB361_124:
	s_mov_b64 s[6:7], 0
.LBB361_125:
	s_andn2_b64 vcc, exec, s[6:7]
	s_cbranch_vccnz .LBB361_127
; %bb.126:
	v_cvt_f16_i16_e32 v2, v4
	global_store_dword v[0:1], v2, off
.LBB361_127:
	s_mov_b64 s[6:7], 0
.LBB361_128:
	s_andn2_b64 vcc, exec, s[6:7]
	s_cbranch_vccnz .LBB361_137
; %bb.129:
	s_cmp_lt_i32 s8, 6
	s_mov_b64 s[6:7], -1
	s_cbranch_scc1 .LBB361_135
; %bb.130:
	s_cmp_gt_i32 s8, 6
	s_cbranch_scc0 .LBB361_132
; %bb.131:
	v_bfe_i32 v2, v4, 0, 16
	v_cvt_f64_i32_e32 v[2:3], v2
	global_store_dwordx2 v[0:1], v[2:3], off
	s_mov_b64 s[6:7], 0
.LBB361_132:
	s_andn2_b64 vcc, exec, s[6:7]
	s_cbranch_vccnz .LBB361_134
; %bb.133:
	v_cvt_f32_i32_sdwa v2, sext(v4) dst_sel:DWORD dst_unused:UNUSED_PAD src0_sel:WORD_0
	global_store_dword v[0:1], v2, off
.LBB361_134:
	s_mov_b64 s[6:7], 0
.LBB361_135:
	s_andn2_b64 vcc, exec, s[6:7]
	s_cbranch_vccnz .LBB361_137
; %bb.136:
	v_cvt_f16_i16_e32 v2, v4
	global_store_short v[0:1], v2, off
.LBB361_137:
	s_mov_b64 s[6:7], 0
.LBB361_138:
	s_andn2_b64 vcc, exec, s[6:7]
	s_cbranch_vccnz .LBB361_154
; %bb.139:
	s_cmp_lt_i32 s8, 2
	s_mov_b64 s[6:7], -1
	s_cbranch_scc1 .LBB361_149
; %bb.140:
	s_cmp_lt_i32 s8, 3
	s_cbranch_scc1 .LBB361_146
; %bb.141:
	s_cmp_gt_i32 s8, 3
	v_bfe_i32 v2, v4, 0, 16
	s_cbranch_scc0 .LBB361_143
; %bb.142:
	v_ashrrev_i32_e32 v3, 31, v2
	global_store_dwordx2 v[0:1], v[2:3], off
	s_mov_b64 s[6:7], 0
.LBB361_143:
	s_andn2_b64 vcc, exec, s[6:7]
	s_cbranch_vccnz .LBB361_145
; %bb.144:
	global_store_dword v[0:1], v2, off
.LBB361_145:
	s_mov_b64 s[6:7], 0
.LBB361_146:
	s_andn2_b64 vcc, exec, s[6:7]
	s_cbranch_vccnz .LBB361_148
; %bb.147:
	global_store_short v[0:1], v4, off
.LBB361_148:
	s_mov_b64 s[6:7], 0
.LBB361_149:
	s_andn2_b64 vcc, exec, s[6:7]
	s_cbranch_vccnz .LBB361_154
; %bb.150:
	s_cmp_gt_i32 s8, 0
	s_mov_b64 s[6:7], -1
	s_cbranch_scc0 .LBB361_152
; %bb.151:
	global_store_byte v[0:1], v4, off
	s_mov_b64 s[6:7], 0
.LBB361_152:
	s_andn2_b64 vcc, exec, s[6:7]
	s_cbranch_vccnz .LBB361_154
; %bb.153:
	global_store_byte v[0:1], v4, off
.LBB361_154:
.LBB361_155:
	v_add_u32_e32 v8, 0x80, v8
	s_mov_b64 s[6:7], -1
	s_branch .LBB361_262
.LBB361_156:
	s_mov_b64 s[4:5], -1
                                        ; implicit-def: $vgpr4
.LBB361_157:
	s_mov_b64 s[6:7], 0
.LBB361_158:
	s_and_b64 vcc, exec, s[6:7]
	s_cbranch_vccz .LBB361_162
; %bb.159:
	s_cmp_eq_u32 s9, 29
	s_cbranch_scc0 .LBB361_161
; %bb.160:
	global_load_dwordx2 v[4:5], v[2:3], off
	s_mov_b64 s[2:3], -1
	s_mov_b64 s[4:5], 0
	s_branch .LBB361_162
.LBB361_161:
	s_mov_b64 s[4:5], -1
                                        ; implicit-def: $vgpr4
.LBB361_162:
	s_mov_b64 s[6:7], 0
.LBB361_163:
	s_and_b64 vcc, exec, s[6:7]
	s_cbranch_vccz .LBB361_179
; %bb.164:
	s_cmp_lt_i32 s9, 27
	s_cbranch_scc1 .LBB361_167
; %bb.165:
	s_cmp_gt_i32 s9, 27
	s_cbranch_scc0 .LBB361_168
; %bb.166:
	global_load_dword v4, v[2:3], off
	s_mov_b64 s[2:3], 0
	s_branch .LBB361_169
.LBB361_167:
	s_mov_b64 s[2:3], -1
                                        ; implicit-def: $vgpr4
	s_branch .LBB361_172
.LBB361_168:
	s_mov_b64 s[2:3], -1
                                        ; implicit-def: $vgpr4
.LBB361_169:
	s_andn2_b64 vcc, exec, s[2:3]
	s_cbranch_vccnz .LBB361_171
; %bb.170:
	global_load_ushort v4, v[2:3], off
.LBB361_171:
	s_mov_b64 s[2:3], 0
.LBB361_172:
	s_andn2_b64 vcc, exec, s[2:3]
	s_cbranch_vccnz .LBB361_178
; %bb.173:
	global_load_ubyte v1, v[2:3], off
	s_movk_i32 s2, 0x7f
	s_mov_b64 s[6:7], 0
	s_waitcnt vmcnt(0)
	v_cmp_lt_i16_e32 vcc, s2, v1
	s_and_saveexec_b64 s[2:3], vcc
	s_xor_b64 s[2:3], exec, s[2:3]
	s_cbranch_execz .LBB361_189
; %bb.174:
	s_movk_i32 s6, 0x80
	v_cmp_ne_u16_e32 vcc, s6, v1
	s_and_b64 s[6:7], vcc, exec
	s_andn2_saveexec_b64 s[2:3], s[2:3]
	s_cbranch_execnz .LBB361_190
.LBB361_175:
	s_or_b64 exec, exec, s[2:3]
	v_mov_b32_e32 v4, 0
	s_and_saveexec_b64 s[2:3], s[6:7]
	s_cbranch_execz .LBB361_177
.LBB361_176:
	v_lshlrev_b32_e32 v4, 24, v1
	v_and_b32_e32 v1, 0xffff, v1
	v_and_b32_e32 v5, 7, v1
	v_ffbh_u32_e32 v7, v5
	v_min_u32_e32 v7, 32, v7
	v_subrev_u32_e32 v9, 28, v7
	v_bfe_u32 v6, v1, 3, 4
	v_lshlrev_b32_e32 v1, v9, v1
	v_sub_u32_e32 v7, 29, v7
	v_and_b32_e32 v1, 7, v1
	v_cmp_eq_u32_e32 vcc, 0, v6
	v_and_b32_e32 v4, 0x80000000, v4
	s_nop 0
	v_cndmask_b32_e32 v6, v6, v7, vcc
	v_cndmask_b32_e32 v1, v5, v1, vcc
	v_mov_b32_e32 v5, 0x3b800000
	v_lshlrev_b32_e32 v1, 20, v1
	v_lshl_add_u32 v5, v6, 23, v5
	v_or3_b32 v1, v4, v5, v1
	v_cvt_i32_f32_e32 v4, v1
.LBB361_177:
	s_or_b64 exec, exec, s[2:3]
.LBB361_178:
	s_mov_b64 s[2:3], -1
.LBB361_179:
	s_branch .LBB361_212
.LBB361_180:
	s_cmp_gt_i32 s9, 22
	s_cbranch_scc0 .LBB361_188
; %bb.181:
	s_cmp_lt_i32 s9, 24
	s_cbranch_scc1 .LBB361_191
; %bb.182:
	s_cmp_gt_i32 s9, 24
	s_cbranch_scc0 .LBB361_192
; %bb.183:
	global_load_ubyte v1, v[2:3], off
	s_movk_i32 s2, 0x7f
	s_mov_b64 s[6:7], 0
	s_waitcnt vmcnt(0)
	v_cmp_lt_i16_e32 vcc, s2, v1
	s_and_saveexec_b64 s[2:3], vcc
	s_xor_b64 s[2:3], exec, s[2:3]
	s_cbranch_execz .LBB361_204
; %bb.184:
	s_movk_i32 s6, 0x80
	v_cmp_ne_u16_e32 vcc, s6, v1
	s_and_b64 s[6:7], vcc, exec
	s_andn2_saveexec_b64 s[2:3], s[2:3]
	s_cbranch_execnz .LBB361_205
.LBB361_185:
	s_or_b64 exec, exec, s[2:3]
	v_mov_b32_e32 v4, 0
	s_and_saveexec_b64 s[2:3], s[6:7]
	s_cbranch_execz .LBB361_187
.LBB361_186:
	v_lshlrev_b32_e32 v4, 24, v1
	v_and_b32_e32 v1, 0xffff, v1
	v_and_b32_e32 v5, 3, v1
	v_ffbh_u32_e32 v7, v5
	v_min_u32_e32 v7, 32, v7
	v_subrev_u32_e32 v9, 29, v7
	v_bfe_u32 v6, v1, 2, 5
	v_lshlrev_b32_e32 v1, v9, v1
	v_sub_u32_e32 v7, 30, v7
	v_and_b32_e32 v1, 3, v1
	v_cmp_eq_u32_e32 vcc, 0, v6
	v_and_b32_e32 v4, 0x80000000, v4
	s_nop 0
	v_cndmask_b32_e32 v6, v6, v7, vcc
	v_cndmask_b32_e32 v1, v5, v1, vcc
	v_mov_b32_e32 v5, 0x37800000
	v_lshlrev_b32_e32 v1, 21, v1
	v_lshl_add_u32 v5, v6, 23, v5
	v_or3_b32 v1, v4, v5, v1
	v_cvt_i32_f32_e32 v4, v1
.LBB361_187:
	s_or_b64 exec, exec, s[2:3]
	s_mov_b64 s[2:3], 0
	s_branch .LBB361_193
.LBB361_188:
	s_mov_b64 s[6:7], -1
                                        ; implicit-def: $vgpr4
	s_branch .LBB361_199
.LBB361_189:
	s_andn2_saveexec_b64 s[2:3], s[2:3]
	s_cbranch_execz .LBB361_175
.LBB361_190:
	v_cmp_ne_u16_e32 vcc, 0, v1
	s_andn2_b64 s[6:7], s[6:7], exec
	s_and_b64 s[10:11], vcc, exec
	s_or_b64 s[6:7], s[6:7], s[10:11]
	s_or_b64 exec, exec, s[2:3]
	v_mov_b32_e32 v4, 0
	s_and_saveexec_b64 s[2:3], s[6:7]
	s_cbranch_execnz .LBB361_176
	s_branch .LBB361_177
.LBB361_191:
	s_mov_b64 s[2:3], -1
                                        ; implicit-def: $vgpr4
	s_branch .LBB361_196
.LBB361_192:
	s_mov_b64 s[2:3], -1
                                        ; implicit-def: $vgpr4
.LBB361_193:
	s_and_b64 vcc, exec, s[2:3]
	s_cbranch_vccz .LBB361_195
; %bb.194:
	global_load_ubyte v1, v[2:3], off
	s_mov_b32 s2, 0x7f800000
	s_waitcnt vmcnt(0)
	v_lshlrev_b32_e32 v1, 24, v1
	v_and_b32_e32 v4, 0x7f000000, v1
	v_ffbh_u32_e32 v5, v4
	v_min_u32_e32 v5, 32, v5
	v_sub_u32_e64 v5, v5, 4 clamp
	v_lshlrev_b32_e32 v7, v5, v4
	v_lshlrev_b32_e32 v5, 23, v5
	v_lshrrev_b32_e32 v7, 4, v7
	v_add_u32_e32 v6, 0x1000000, v4
	v_sub_u32_e32 v5, v7, v5
	v_ashrrev_i32_e32 v6, 8, v6
	v_add_u32_e32 v5, 0x3c000000, v5
	v_and_or_b32 v5, v6, s2, v5
	v_cmp_ne_u32_e32 vcc, 0, v4
	s_brev_b32 s2, 1
	s_nop 0
	v_cndmask_b32_e32 v4, 0, v5, vcc
	v_and_or_b32 v1, v1, s2, v4
	v_cvt_i32_f32_e32 v4, v1
.LBB361_195:
	s_mov_b64 s[2:3], 0
.LBB361_196:
	s_andn2_b64 vcc, exec, s[2:3]
	s_cbranch_vccnz .LBB361_198
; %bb.197:
	global_load_ubyte v1, v[2:3], off
	s_movk_i32 s2, 0x7f00
	s_brev_b32 s3, 16
	s_waitcnt vmcnt(0)
	v_lshlrev_b16_e32 v4, 8, v1
	v_lshlrev_b32_e32 v1, 25, v1
	v_lshrrev_b32_e32 v5, 4, v1
	v_and_or_b32 v6, v4, s2, 0.5
	v_or_b32_e32 v5, 0x70000000, v5
	v_add_f32_e32 v6, -0.5, v6
	v_mul_f32_e32 v5, 0x7800000, v5
	v_cmp_gt_u32_e32 vcc, s3, v1
	v_bfe_i32 v4, v4, 0, 16
	s_brev_b32 s2, 1
	v_cndmask_b32_e32 v1, v5, v6, vcc
	v_and_or_b32 v1, v4, s2, v1
	v_cvt_i32_f32_e32 v4, v1
.LBB361_198:
	s_mov_b64 s[6:7], 0
	s_mov_b64 s[2:3], -1
.LBB361_199:
	s_andn2_b64 vcc, exec, s[6:7]
	s_cbranch_vccnz .LBB361_212
; %bb.200:
	s_cmp_gt_i32 s9, 14
	s_cbranch_scc0 .LBB361_203
; %bb.201:
	s_cmp_eq_u32 s9, 15
	s_cbranch_scc0 .LBB361_206
; %bb.202:
	global_load_ushort v1, v[2:3], off
	s_mov_b64 s[2:3], -1
	s_mov_b64 s[4:5], 0
	s_waitcnt vmcnt(0)
	v_lshlrev_b32_e32 v1, 16, v1
	v_cvt_i32_f32_e32 v4, v1
	s_branch .LBB361_207
.LBB361_203:
	s_mov_b64 s[6:7], -1
                                        ; implicit-def: $vgpr4
	s_branch .LBB361_208
.LBB361_204:
	s_andn2_saveexec_b64 s[2:3], s[2:3]
	s_cbranch_execz .LBB361_185
.LBB361_205:
	v_cmp_ne_u16_e32 vcc, 0, v1
	s_andn2_b64 s[6:7], s[6:7], exec
	s_and_b64 s[10:11], vcc, exec
	s_or_b64 s[6:7], s[6:7], s[10:11]
	s_or_b64 exec, exec, s[2:3]
	v_mov_b32_e32 v4, 0
	s_and_saveexec_b64 s[2:3], s[6:7]
	s_cbranch_execnz .LBB361_186
	s_branch .LBB361_187
.LBB361_206:
	s_mov_b64 s[4:5], -1
                                        ; implicit-def: $vgpr4
.LBB361_207:
	s_mov_b64 s[6:7], 0
.LBB361_208:
	s_and_b64 vcc, exec, s[6:7]
	s_cbranch_vccz .LBB361_212
; %bb.209:
	s_cmp_eq_u32 s9, 11
	s_cbranch_scc0 .LBB361_211
; %bb.210:
	global_load_ubyte v1, v[2:3], off
	s_mov_b64 s[2:3], -1
	s_mov_b64 s[4:5], 0
	s_waitcnt vmcnt(0)
	v_cmp_ne_u16_e32 vcc, 0, v1
	s_nop 1
	v_cndmask_b32_e64 v4, 0, 1, vcc
	s_branch .LBB361_212
.LBB361_211:
	s_mov_b64 s[4:5], -1
                                        ; implicit-def: $vgpr4
.LBB361_212:
	s_branch .LBB361_25
.LBB361_213:
	s_and_b32 s6, 0xffff, s8
	s_cmp_lt_i32 s6, 5
	s_cbranch_scc1 .LBB361_218
; %bb.214:
	s_cmp_lt_i32 s6, 8
	s_cbranch_scc1 .LBB361_219
; %bb.215:
	s_cmp_lt_i32 s6, 9
	s_cbranch_scc1 .LBB361_220
; %bb.216:
	s_cmp_gt_i32 s6, 9
	s_cbranch_scc0 .LBB361_221
; %bb.217:
	global_load_dwordx2 v[4:5], v[2:3], off
	s_mov_b64 s[2:3], 0
	s_waitcnt vmcnt(0)
	v_cvt_i32_f64_e32 v4, v[4:5]
	s_branch .LBB361_222
.LBB361_218:
                                        ; implicit-def: $vgpr4
	s_branch .LBB361_240
.LBB361_219:
	s_mov_b64 s[2:3], -1
                                        ; implicit-def: $vgpr4
	s_branch .LBB361_228
.LBB361_220:
	s_mov_b64 s[2:3], -1
                                        ; implicit-def: $vgpr4
	s_branch .LBB361_225
.LBB361_221:
	s_mov_b64 s[2:3], -1
                                        ; implicit-def: $vgpr4
.LBB361_222:
	s_andn2_b64 vcc, exec, s[2:3]
	s_cbranch_vccnz .LBB361_224
; %bb.223:
	global_load_dword v1, v[2:3], off
	s_waitcnt vmcnt(0)
	v_cvt_i32_f32_e32 v4, v1
.LBB361_224:
	s_mov_b64 s[2:3], 0
.LBB361_225:
	s_andn2_b64 vcc, exec, s[2:3]
	s_cbranch_vccnz .LBB361_227
; %bb.226:
	global_load_dword v1, v[2:3], off
	s_waitcnt vmcnt(0)
	v_cvt_i16_f16_e32 v4, v1
.LBB361_227:
	s_mov_b64 s[2:3], 0
.LBB361_228:
	s_andn2_b64 vcc, exec, s[2:3]
	s_cbranch_vccnz .LBB361_239
; %bb.229:
	s_cmp_lt_i32 s6, 6
	s_cbranch_scc1 .LBB361_232
; %bb.230:
	s_cmp_gt_i32 s6, 6
	s_cbranch_scc0 .LBB361_233
; %bb.231:
	global_load_dwordx2 v[4:5], v[2:3], off
	s_mov_b64 s[2:3], 0
	s_waitcnt vmcnt(0)
	v_cvt_i32_f64_e32 v4, v[4:5]
	s_branch .LBB361_234
.LBB361_232:
	s_mov_b64 s[2:3], -1
                                        ; implicit-def: $vgpr4
	s_branch .LBB361_237
.LBB361_233:
	s_mov_b64 s[2:3], -1
                                        ; implicit-def: $vgpr4
.LBB361_234:
	s_andn2_b64 vcc, exec, s[2:3]
	s_cbranch_vccnz .LBB361_236
; %bb.235:
	global_load_dword v1, v[2:3], off
	s_waitcnt vmcnt(0)
	v_cvt_i32_f32_e32 v4, v1
.LBB361_236:
	s_mov_b64 s[2:3], 0
.LBB361_237:
	s_andn2_b64 vcc, exec, s[2:3]
	s_cbranch_vccnz .LBB361_239
; %bb.238:
	global_load_ushort v1, v[2:3], off
	s_waitcnt vmcnt(0)
	v_cvt_i16_f16_e32 v4, v1
.LBB361_239:
	s_cbranch_execnz .LBB361_259
.LBB361_240:
	s_cmp_lt_i32 s6, 2
	s_cbranch_scc1 .LBB361_244
; %bb.241:
	s_cmp_lt_i32 s6, 3
	s_cbranch_scc1 .LBB361_245
; %bb.242:
	s_cmp_gt_i32 s6, 3
	s_cbranch_scc0 .LBB361_246
; %bb.243:
	global_load_dwordx2 v[4:5], v[2:3], off
	s_mov_b64 s[2:3], 0
	s_branch .LBB361_247
.LBB361_244:
	s_mov_b64 s[2:3], -1
                                        ; implicit-def: $vgpr4
	s_branch .LBB361_253
.LBB361_245:
	s_mov_b64 s[2:3], -1
                                        ; implicit-def: $vgpr4
	s_branch .LBB361_250
.LBB361_246:
	s_mov_b64 s[2:3], -1
                                        ; implicit-def: $vgpr4
.LBB361_247:
	s_andn2_b64 vcc, exec, s[2:3]
	s_cbranch_vccnz .LBB361_249
; %bb.248:
	global_load_dword v4, v[2:3], off
.LBB361_249:
	s_mov_b64 s[2:3], 0
.LBB361_250:
	s_andn2_b64 vcc, exec, s[2:3]
	s_cbranch_vccnz .LBB361_252
; %bb.251:
	global_load_ushort v4, v[2:3], off
.LBB361_252:
	s_mov_b64 s[2:3], 0
.LBB361_253:
	s_andn2_b64 vcc, exec, s[2:3]
	s_cbranch_vccnz .LBB361_259
; %bb.254:
	s_cmp_gt_i32 s6, 0
	s_cbranch_scc0 .LBB361_256
; %bb.255:
	global_load_ubyte v4, v[2:3], off
	s_mov_b64 s[2:3], 0
	s_branch .LBB361_257
.LBB361_256:
	s_mov_b64 s[2:3], -1
                                        ; implicit-def: $vgpr4
.LBB361_257:
	s_andn2_b64 vcc, exec, s[2:3]
	s_cbranch_vccnz .LBB361_259
; %bb.258:
	global_load_ubyte v4, v[2:3], off
.LBB361_259:
	s_branch .LBB361_26
.LBB361_260:
	s_mov_b64 s[2:3], 0
.LBB361_261:
	s_mov_b64 s[6:7], 0
                                        ; implicit-def: $vgpr8
.LBB361_262:
	s_and_b64 s[54:55], s[2:3], exec
	s_and_b64 s[56:57], s[4:5], exec
	s_orn2_b64 s[4:5], s[6:7], exec
.LBB361_263:
	s_or_b64 exec, exec, s[58:59]
	s_mov_b64 s[8:9], 0
	s_mov_b64 s[2:3], 0
                                        ; implicit-def: $sgpr14
                                        ; implicit-def: $vgpr2_vgpr3
                                        ; implicit-def: $vgpr0
                                        ; implicit-def: $vgpr4
	s_and_saveexec_b64 s[58:59], s[4:5]
	s_cbranch_execz .LBB361_271
; %bb.264:
	v_cmp_gt_i32_e32 vcc, s70, v8
	s_mov_b64 s[2:3], -1
	s_mov_b64 s[60:61], s[56:57]
	s_mov_b64 s[62:63], s[54:55]
	s_and_saveexec_b64 s[64:65], vcc
	s_cbranch_execz .LBB361_536
; %bb.265:
	s_andn2_b64 vcc, exec, s[42:43]
	s_cbranch_vccnz .LBB361_274
; %bb.266:
	s_andn2_b64 vcc, exec, s[52:53]
	s_cbranch_vccnz .LBB361_275
; %bb.267:
	s_add_i32 s63, s76, 1
	s_cmp_eq_u32 s72, 2
	s_cbranch_scc1 .LBB361_276
; %bb.268:
	s_and_b32 s62, s63, 28
	s_mov_b32 s66, 0
	v_mov_b32_e32 v0, 0
	v_mov_b32_e32 v2, 0
	s_mov_b64 s[2:3], s[34:35]
	s_mov_b64 s[60:61], s[50:51]
	s_waitcnt vmcnt(0)
	v_mov_b32_e32 v4, v8
.LBB361_269:                            ; =>This Inner Loop Header: Depth=1
	s_load_dwordx8 s[12:19], s[2:3], 0x4
	s_load_dwordx4 s[36:39], s[2:3], 0x24
	s_load_dwordx8 s[4:11], s[60:61], 0x0
	s_add_u32 s2, s2, 48
	s_addc_u32 s3, s3, 0
	s_waitcnt lgkmcnt(0)
	v_mul_hi_u32 v1, s13, v4
	v_add_u32_e32 v1, v4, v1
	v_lshrrev_b32_e32 v1, s14, v1
	v_mul_lo_u32 v3, v1, s12
	v_mul_hi_u32 v5, s16, v1
	v_sub_u32_e32 v3, v4, v3
	v_add_u32_e32 v4, v1, v5
	v_lshrrev_b32_e32 v4, s17, v4
	v_mul_lo_u32 v6, v4, s15
	v_mul_hi_u32 v7, s19, v4
	v_sub_u32_e32 v1, v1, v6
	v_add_u32_e32 v6, v4, v7
	v_mul_lo_u32 v5, v3, s5
	v_mul_lo_u32 v3, v3, s4
	v_mul_lo_u32 v7, v1, s7
	v_mul_lo_u32 v1, v1, s6
	v_lshrrev_b32_e32 v6, s36, v6
	v_add3_u32 v0, v3, v0, v1
	v_mul_hi_u32 v3, s38, v6
	v_add3_u32 v1, v5, v2, v7
	v_mul_lo_u32 v2, v6, s18
	v_add_u32_e32 v3, v6, v3
	v_sub_u32_e32 v2, v4, v2
	v_lshrrev_b32_e32 v4, s39, v3
	s_add_i32 s66, s66, 4
	v_mul_lo_u32 v3, v4, s37
	s_add_u32 s60, s60, 32
	v_sub_u32_e32 v3, v6, v3
	s_addc_u32 s61, s61, 0
	v_mul_lo_u32 v5, v2, s8
	v_mul_lo_u32 v2, v2, s9
	;; [unrolled: 1-line block ×4, first 2 shown]
	s_cmp_eq_u32 s62, s66
	v_add3_u32 v2, v2, v1, v3
	v_add3_u32 v0, v5, v0, v6
	s_cbranch_scc0 .LBB361_269
; %bb.270:
	v_mov_b32_e32 v1, v2
	s_branch .LBB361_277
.LBB361_271:
	s_or_b64 exec, exec, s[58:59]
	s_mov_b64 s[4:5], 0
	s_and_saveexec_b64 s[6:7], s[56:57]
	s_cbranch_execnz .LBB361_906
.LBB361_272:
	s_or_b64 exec, exec, s[6:7]
	s_and_saveexec_b64 s[6:7], s[62:63]
	s_xor_b64 s[6:7], exec, s[6:7]
	s_cbranch_execz .LBB361_907
.LBB361_273:
	global_load_ubyte v1, v[2:3], off
	s_or_b64 s[2:3], s[2:3], exec
	s_waitcnt vmcnt(0)
	v_cmp_ne_u16_e32 vcc, 0, v1
	s_nop 1
	v_cndmask_b32_e64 v4, 0, 1, vcc
	s_or_b64 exec, exec, s[6:7]
	s_and_saveexec_b64 s[6:7], s[8:9]
	s_cbranch_execz .LBB361_953
	s_branch .LBB361_908
.LBB361_274:
                                        ; implicit-def: $vgpr2
                                        ; implicit-def: $vgpr0
	s_andn2_b64 vcc, exec, s[2:3]
	s_cbranch_vccz .LBB361_281
	s_branch .LBB361_283
.LBB361_275:
	v_mov_b32_e32 v2, 0
	v_mov_b32_e32 v0, 0
	s_branch .LBB361_280
.LBB361_276:
	v_mov_b32_e32 v0, 0
	s_mov_b32 s62, 0
	v_mov_b32_e32 v1, v0
                                        ; implicit-def: $vgpr2
	s_waitcnt vmcnt(0)
	v_mov_b32_e32 v4, v8
.LBB361_277:
	s_and_b32 s6, s63, 3
	s_cmp_eq_u32 s6, 0
	s_cbranch_scc1 .LBB361_280
; %bb.278:
	s_lshl_b32 s2, s62, 3
	s_add_u32 s2, s34, s2
	s_addc_u32 s3, s35, 0
	s_add_u32 s2, s2, 0xc4
	s_addc_u32 s3, s3, 0
	s_mul_i32 s4, s62, 12
	s_add_u32 s4, s34, s4
	s_addc_u32 s5, s35, 0
.LBB361_279:                            ; =>This Inner Loop Header: Depth=1
	s_load_dwordx2 s[8:9], s[4:5], 0x4
	s_load_dword s7, s[4:5], 0xc
	s_load_dwordx2 s[10:11], s[2:3], 0x0
	v_mov_b32_e32 v2, v1
	s_add_u32 s4, s4, 12
	s_waitcnt lgkmcnt(0)
	v_mul_hi_u32 v1, s9, v4
	v_add_u32_e32 v1, v4, v1
	v_lshrrev_b32_e32 v1, s7, v1
	s_addc_u32 s5, s5, 0
	v_mul_lo_u32 v3, v1, s8
	s_add_u32 s2, s2, 8
	v_sub_u32_e32 v5, v4, v3
	s_addc_u32 s3, s3, 0
	s_add_i32 s6, s6, -1
	v_mov_b32_e32 v4, v1
	v_mad_u64_u32 v[2:3], s[8:9], v5, s11, v[2:3]
	v_mad_u64_u32 v[0:1], s[8:9], v5, s10, v[0:1]
	s_cmp_lg_u32 s6, 0
	v_mov_b32_e32 v1, v2
	s_cbranch_scc1 .LBB361_279
.LBB361_280:
	s_cbranch_execnz .LBB361_283
.LBB361_281:
	v_mul_hi_u32 v0, s25, v8
	v_add_u32_e32 v0, v8, v0
	v_lshrrev_b32_e32 v1, s26, v0
	v_mul_lo_u32 v0, v1, s24
	v_sub_u32_e32 v0, v8, v0
	v_mul_lo_u32 v2, v0, s29
	s_andn2_b64 vcc, exec, s[48:49]
	v_mul_lo_u32 v0, v0, s28
	s_cbranch_vccnz .LBB361_283
; %bb.282:
	v_mul_hi_u32 v3, s46, v1
	v_add_u32_e32 v3, v1, v3
	v_lshrrev_b32_e32 v3, s47, v3
	v_mul_lo_u32 v3, v3, s27
	v_sub_u32_e32 v3, v1, v3
	v_mad_u64_u32 v[0:1], s[2:3], v3, s30, v[0:1]
	v_mad_u64_u32 v[2:3], s[2:3], v3, s31, v[2:3]
.LBB361_283:
	v_mov_b32_e32 v3, 0
	s_and_b32 s8, s75, 0xff
	s_cmp_lt_i32 s8, 11
	v_lshl_add_u64 v[2:3], s[22:23], 0, v[2:3]
	s_cbranch_scc1 .LBB361_290
; %bb.284:
	s_and_b32 s9, 0xffff, s8
	s_cmp_gt_i32 s9, 25
	s_cbranch_scc0 .LBB361_299
; %bb.285:
	s_cmp_gt_i32 s9, 28
	s_cbranch_scc0 .LBB361_301
; %bb.286:
	;; [unrolled: 3-line block ×4, first 2 shown]
	s_cmp_eq_u32 s9, 46
	s_mov_b64 s[6:7], 0
	s_cbranch_scc0 .LBB361_311
; %bb.289:
	global_load_dword v1, v[2:3], off
	s_mov_b64 s[2:3], -1
	s_mov_b64 s[4:5], 0
	s_waitcnt vmcnt(0)
	v_lshlrev_b32_e32 v1, 16, v1
	v_cvt_i32_f32_e32 v4, v1
	s_branch .LBB361_312
.LBB361_290:
	s_mov_b64 s[2:3], 0
                                        ; implicit-def: $vgpr4
	s_mov_b64 s[4:5], s[56:57]
	s_cbranch_execnz .LBB361_485
.LBB361_291:
	s_andn2_b64 vcc, exec, s[2:3]
	s_cbranch_vccnz .LBB361_533
.LBB361_292:
	s_bfe_i32 s2, s74, 0x80000
	v_mov_b32_e32 v1, 0
	s_and_b32 s12, s73, 0xff
	s_waitcnt vmcnt(0)
	v_max_i16_sdwa v4, sext(v4), s2 dst_sel:DWORD dst_unused:UNUSED_PAD src0_sel:BYTE_0 src1_sel:DWORD
	s_cmp_lt_i32 s12, 11
	v_lshl_add_u64 v[0:1], s[20:21], 0, v[0:1]
	s_cbranch_scc1 .LBB361_300
; %bb.293:
	s_and_b32 s13, 0xffff, s12
	s_cmp_gt_i32 s13, 25
	s_cbranch_scc0 .LBB361_302
; %bb.294:
	s_cmp_gt_i32 s13, 28
	s_cbranch_scc0 .LBB361_304
; %bb.295:
	;; [unrolled: 3-line block ×4, first 2 shown]
	s_mov_b64 s[8:9], 0
	s_mov_b64 s[2:3], -1
	s_cmp_eq_u32 s13, 46
	s_mov_b64 s[6:7], 0
	s_cbranch_scc0 .LBB361_316
; %bb.298:
	v_cvt_f32_i32_sdwa v2, sext(v4) dst_sel:DWORD dst_unused:UNUSED_PAD src0_sel:WORD_0
	s_movk_i32 s2, 0x7fff
	s_mov_b64 s[6:7], -1
	v_bfe_u32 v3, v2, 16, 1
	v_add3_u32 v2, v2, v3, s2
	v_lshrrev_b32_e32 v2, 16, v2
	global_store_dword v[0:1], v2, off
	s_mov_b64 s[2:3], 0
	s_branch .LBB361_316
.LBB361_299:
	s_mov_b64 s[6:7], -1
	s_mov_b64 s[2:3], 0
	s_mov_b64 s[4:5], s[56:57]
                                        ; implicit-def: $vgpr4
	s_branch .LBB361_451
.LBB361_300:
	s_mov_b64 s[8:9], -1
	s_mov_b64 s[6:7], 0
	s_mov_b64 s[2:3], s[54:55]
	s_branch .LBB361_385
.LBB361_301:
	s_mov_b64 s[6:7], -1
	s_mov_b64 s[2:3], 0
	s_mov_b64 s[4:5], s[56:57]
                                        ; implicit-def: $vgpr4
	s_branch .LBB361_434
.LBB361_302:
	s_mov_b64 s[8:9], -1
	s_mov_b64 s[6:7], 0
	s_mov_b64 s[2:3], s[54:55]
	s_branch .LBB361_343
.LBB361_303:
	s_mov_b64 s[6:7], -1
	s_mov_b64 s[2:3], 0
	s_mov_b64 s[4:5], s[56:57]
                                        ; implicit-def: $vgpr4
	s_branch .LBB361_429
.LBB361_304:
	s_mov_b64 s[8:9], -1
	s_mov_b64 s[6:7], 0
	s_mov_b64 s[2:3], s[54:55]
	s_branch .LBB361_326
.LBB361_305:
	s_andn2_saveexec_b64 s[10:11], s[10:11]
	s_cbranch_execz .LBB361_69
.LBB361_306:
	s_mov_b32 s14, 0x46000000
	v_add_f32_e64 v3, |v2|, s14
	v_and_b32_e32 v3, 0xff, v3
	v_cmp_ne_u32_e32 vcc, 0, v3
	s_andn2_b64 s[8:9], s[8:9], exec
	s_and_b64 s[14:15], vcc, exec
	s_or_b64 s[8:9], s[8:9], s[14:15]
	s_or_b64 exec, exec, s[10:11]
	v_mov_b32_e32 v5, 0
	s_and_saveexec_b64 s[10:11], s[8:9]
	s_cbranch_execnz .LBB361_70
	s_branch .LBB361_71
.LBB361_307:
	s_mov_b64 s[6:7], -1
	s_mov_b64 s[2:3], 0
	s_mov_b64 s[4:5], s[56:57]
                                        ; implicit-def: $vgpr4
	s_branch .LBB361_312
.LBB361_308:
	s_mov_b64 s[8:9], -1
	s_mov_b64 s[6:7], 0
	s_mov_b64 s[2:3], s[54:55]
	s_branch .LBB361_322
.LBB361_309:
	s_andn2_saveexec_b64 s[10:11], s[10:11]
	s_cbranch_execz .LBB361_82
.LBB361_310:
	s_mov_b32 s14, 0x42800000
	v_add_f32_e64 v3, |v2|, s14
	v_and_b32_e32 v3, 0xff, v3
	v_cmp_ne_u32_e32 vcc, 0, v3
	s_andn2_b64 s[8:9], s[8:9], exec
	s_and_b64 s[14:15], vcc, exec
	s_or_b64 s[8:9], s[8:9], s[14:15]
	s_or_b64 exec, exec, s[10:11]
	v_mov_b32_e32 v5, 0
	s_and_saveexec_b64 s[10:11], s[8:9]
	s_cbranch_execnz .LBB361_83
	s_branch .LBB361_84
.LBB361_311:
	s_mov_b64 s[4:5], -1
                                        ; implicit-def: $vgpr4
	s_mov_b64 s[2:3], 0
.LBB361_312:
	s_and_b64 vcc, exec, s[6:7]
	s_cbranch_vccz .LBB361_428
; %bb.313:
	s_cmp_eq_u32 s9, 44
	s_cbranch_scc0 .LBB361_427
; %bb.314:
	global_load_ubyte v1, v[2:3], off
	s_mov_b64 s[2:3], -1
	s_mov_b64 s[4:5], 0
	s_waitcnt vmcnt(0)
	v_lshlrev_b32_e32 v4, 23, v1
	v_cvt_i32_f32_e32 v4, v4
	v_cmp_ne_u32_e32 vcc, 0, v1
	s_nop 1
	v_cndmask_b32_e32 v4, 0, v4, vcc
	s_branch .LBB361_428
.LBB361_315:
	s_mov_b64 s[8:9], -1
	s_mov_b64 s[6:7], 0
	s_mov_b64 s[2:3], s[54:55]
.LBB361_316:
	s_and_b64 vcc, exec, s[8:9]
	s_cbranch_vccz .LBB361_321
; %bb.317:
	s_cmp_eq_u32 s13, 44
	s_mov_b64 s[2:3], -1
	s_cbranch_scc0 .LBB361_321
; %bb.318:
	v_cvt_f32_i32_sdwa v2, sext(v4) dst_sel:DWORD dst_unused:UNUSED_PAD src0_sel:WORD_0
	s_movk_i32 s2, 0xff
	v_mov_b32_e32 v5, 0xff
	v_bfe_u32 v3, v2, 23, 8
	v_cmp_ne_u32_e32 vcc, s2, v3
	s_and_saveexec_b64 s[6:7], vcc
; %bb.319:
	s_mov_b32 s2, 0x3fffff
	v_lshrrev_b32_e32 v5, 23, v2
	v_and_b32_e32 v6, 0x400000, v2
	v_and_or_b32 v2, v2, s2, v3
	v_cmp_ne_u32_e32 vcc, 0, v6
	v_cmp_ne_u32_e64 s[2:3], 0, v2
	s_and_b64 s[2:3], vcc, s[2:3]
	s_nop 0
	v_cndmask_b32_e64 v2, 0, 1, s[2:3]
	v_add_u32_e32 v5, v5, v2
; %bb.320:
	s_or_b64 exec, exec, s[6:7]
	s_mov_b64 s[6:7], -1
	s_mov_b64 s[2:3], 0
	global_store_byte v[0:1], v5, off
.LBB361_321:
	s_mov_b64 s[8:9], 0
.LBB361_322:
	s_and_b64 vcc, exec, s[8:9]
	s_cbranch_vccz .LBB361_325
; %bb.323:
	s_cmp_eq_u32 s13, 29
	s_mov_b64 s[2:3], -1
	s_cbranch_scc0 .LBB361_325
; %bb.324:
	v_bfe_i32 v2, v4, 0, 16
	v_ashrrev_i32_e32 v3, 31, v2
	global_store_dwordx2 v[0:1], v[2:3], off
	s_mov_b64 s[6:7], -1
	s_mov_b64 s[2:3], 0
.LBB361_325:
	s_mov_b64 s[8:9], 0
.LBB361_326:
	s_and_b64 vcc, exec, s[8:9]
	s_cbranch_vccz .LBB361_342
; %bb.327:
	s_cmp_lt_i32 s13, 27
	s_mov_b64 s[6:7], -1
	s_cbranch_scc1 .LBB361_333
; %bb.328:
	s_cmp_gt_i32 s13, 27
	s_cbranch_scc0 .LBB361_330
; %bb.329:
	v_bfe_i32 v2, v4, 0, 16
	s_mov_b64 s[6:7], 0
	global_store_dword v[0:1], v2, off
.LBB361_330:
	s_andn2_b64 vcc, exec, s[6:7]
	s_cbranch_vccnz .LBB361_332
; %bb.331:
	global_store_short v[0:1], v4, off
.LBB361_332:
	s_mov_b64 s[6:7], 0
.LBB361_333:
	s_andn2_b64 vcc, exec, s[6:7]
	s_cbranch_vccnz .LBB361_341
; %bb.334:
	v_cvt_f32_i32_sdwa v2, sext(v4) dst_sel:DWORD dst_unused:UNUSED_PAD src0_sel:WORD_0
	s_mov_b32 s6, 0x43800000
	v_mov_b32_e32 v5, 0x80
	v_and_b32_e32 v3, 0x7fffffff, v2
	v_cmp_gt_u32_e32 vcc, s6, v3
	s_and_saveexec_b64 s[6:7], vcc
	s_cbranch_execz .LBB361_340
; %bb.335:
	s_mov_b32 s8, 0x3bffffff
	v_cmp_lt_u32_e32 vcc, s8, v3
	s_mov_b64 s[8:9], 0
                                        ; implicit-def: $vgpr3
	s_and_saveexec_b64 s[10:11], vcc
	s_xor_b64 s[10:11], exec, s[10:11]
	s_cbranch_execz .LBB361_565
; %bb.336:
	v_bfe_u32 v3, v2, 20, 1
	s_mov_b32 s14, 0x487ffff
	v_add3_u32 v3, v2, v3, s14
	s_mov_b64 s[8:9], exec
	v_lshrrev_b32_e32 v3, 20, v3
	s_andn2_saveexec_b64 s[10:11], s[10:11]
	s_cbranch_execnz .LBB361_566
.LBB361_337:
	s_or_b64 exec, exec, s[10:11]
	v_mov_b32_e32 v5, 0
	s_and_saveexec_b64 s[10:11], s[8:9]
.LBB361_338:
	v_lshrrev_b32_e32 v2, 24, v2
	s_movk_i32 s8, 0x80
	v_and_or_b32 v5, v2, s8, v3
.LBB361_339:
	s_or_b64 exec, exec, s[10:11]
.LBB361_340:
	s_or_b64 exec, exec, s[6:7]
	global_store_byte v[0:1], v5, off
.LBB361_341:
	s_mov_b64 s[6:7], -1
.LBB361_342:
	s_mov_b64 s[8:9], 0
.LBB361_343:
	s_and_b64 vcc, exec, s[8:9]
	s_cbranch_vccz .LBB361_384
; %bb.344:
	s_cmp_gt_i32 s13, 22
	s_mov_b64 s[8:9], -1
	s_cbranch_scc0 .LBB361_376
; %bb.345:
	s_cmp_lt_i32 s13, 24
	s_mov_b64 s[6:7], -1
	s_cbranch_scc1 .LBB361_365
; %bb.346:
	s_cmp_gt_i32 s13, 24
	s_cbranch_scc0 .LBB361_354
; %bb.347:
	v_cvt_f32_i32_sdwa v2, sext(v4) dst_sel:DWORD dst_unused:UNUSED_PAD src0_sel:WORD_0
	s_mov_b32 s6, 0x47800000
	v_mov_b32_e32 v5, 0x80
	v_and_b32_e32 v3, 0x7fffffff, v2
	v_cmp_gt_u32_e32 vcc, s6, v3
	s_and_saveexec_b64 s[6:7], vcc
	s_cbranch_execz .LBB361_353
; %bb.348:
	s_mov_b32 s8, 0x37ffffff
	v_cmp_lt_u32_e32 vcc, s8, v3
	s_mov_b64 s[8:9], 0
                                        ; implicit-def: $vgpr3
	s_and_saveexec_b64 s[10:11], vcc
	s_xor_b64 s[10:11], exec, s[10:11]
	s_cbranch_execz .LBB361_568
; %bb.349:
	v_bfe_u32 v3, v2, 21, 1
	s_mov_b32 s14, 0x88fffff
	v_add3_u32 v3, v2, v3, s14
	s_mov_b64 s[8:9], exec
	v_lshrrev_b32_e32 v3, 21, v3
	s_andn2_saveexec_b64 s[10:11], s[10:11]
	s_cbranch_execnz .LBB361_569
.LBB361_350:
	s_or_b64 exec, exec, s[10:11]
	v_mov_b32_e32 v5, 0
	s_and_saveexec_b64 s[10:11], s[8:9]
.LBB361_351:
	v_lshrrev_b32_e32 v2, 24, v2
	s_movk_i32 s8, 0x80
	v_and_or_b32 v5, v2, s8, v3
.LBB361_352:
	s_or_b64 exec, exec, s[10:11]
.LBB361_353:
	s_or_b64 exec, exec, s[6:7]
	s_mov_b64 s[6:7], 0
	global_store_byte v[0:1], v5, off
.LBB361_354:
	s_and_b64 vcc, exec, s[6:7]
	s_cbranch_vccz .LBB361_364
; %bb.355:
	v_cvt_f32_i32_sdwa v2, sext(v4) dst_sel:DWORD dst_unused:UNUSED_PAD src0_sel:WORD_0
	s_mov_b32 s6, 0x43f00000
                                        ; implicit-def: $vgpr3
	v_and_b32_e32 v5, 0x7fffffff, v2
	v_cmp_gt_u32_e32 vcc, s6, v5
	s_and_saveexec_b64 s[6:7], vcc
	s_xor_b64 s[6:7], exec, s[6:7]
	s_cbranch_execz .LBB361_361
; %bb.356:
	s_mov_b32 s8, 0x3c7fffff
	v_cmp_lt_u32_e32 vcc, s8, v5
                                        ; implicit-def: $vgpr3
	s_and_saveexec_b64 s[8:9], vcc
	s_xor_b64 s[8:9], exec, s[8:9]
; %bb.357:
	v_bfe_u32 v3, v2, 20, 1
	s_mov_b32 s10, 0x407ffff
	v_add3_u32 v3, v2, v3, s10
	v_lshrrev_b32_e32 v5, 20, v3
	v_and_b32_e32 v3, 0xff00000, v3
	s_mov_b32 s10, 0x7f00000
	v_mov_b32_e32 v6, 0x7e
	v_cmp_ne_u32_e32 vcc, s10, v3
	s_nop 1
	v_cndmask_b32_e32 v3, v6, v5, vcc
; %bb.358:
	s_andn2_saveexec_b64 s[8:9], s[8:9]
; %bb.359:
	s_mov_b32 s10, 0x46800000
	v_add_f32_e64 v3, |v2|, s10
; %bb.360:
	s_or_b64 exec, exec, s[8:9]
                                        ; implicit-def: $vgpr5
.LBB361_361:
	s_andn2_saveexec_b64 s[6:7], s[6:7]
; %bb.362:
	s_mov_b32 s8, 0x7f800000
	v_mov_b32_e32 v3, 0x7e
	v_mov_b32_e32 v6, 0x7f
	v_cmp_lt_u32_e32 vcc, s8, v5
	s_nop 1
	v_cndmask_b32_e32 v3, v3, v6, vcc
; %bb.363:
	s_or_b64 exec, exec, s[6:7]
	v_lshrrev_b32_e32 v2, 24, v2
	s_movk_i32 s6, 0x80
	v_and_or_b32 v2, v2, s6, v3
	global_store_byte v[0:1], v2, off
.LBB361_364:
	s_mov_b64 s[6:7], 0
.LBB361_365:
	s_andn2_b64 vcc, exec, s[6:7]
	s_cbranch_vccnz .LBB361_375
; %bb.366:
	v_cvt_f32_i32_sdwa v2, sext(v4) dst_sel:DWORD dst_unused:UNUSED_PAD src0_sel:WORD_0
	s_mov_b32 s6, 0x47800000
                                        ; implicit-def: $vgpr3
	v_and_b32_e32 v5, 0x7fffffff, v2
	v_cmp_gt_u32_e32 vcc, s6, v5
	s_and_saveexec_b64 s[6:7], vcc
	s_xor_b64 s[6:7], exec, s[6:7]
	s_cbranch_execz .LBB361_372
; %bb.367:
	s_mov_b32 s8, 0x387fffff
	v_cmp_lt_u32_e32 vcc, s8, v5
                                        ; implicit-def: $vgpr3
	s_and_saveexec_b64 s[8:9], vcc
	s_xor_b64 s[8:9], exec, s[8:9]
; %bb.368:
	v_bfe_u32 v3, v2, 21, 1
	s_mov_b32 s10, 0x80fffff
	v_add3_u32 v3, v2, v3, s10
	v_lshrrev_b32_e32 v3, 21, v3
; %bb.369:
	s_andn2_saveexec_b64 s[8:9], s[8:9]
; %bb.370:
	s_mov_b32 s10, 0x43000000
	v_add_f32_e64 v3, |v2|, s10
; %bb.371:
	s_or_b64 exec, exec, s[8:9]
                                        ; implicit-def: $vgpr5
.LBB361_372:
	s_andn2_saveexec_b64 s[6:7], s[6:7]
; %bb.373:
	s_mov_b32 s8, 0x7f800000
	v_mov_b32_e32 v3, 0x7c
	v_mov_b32_e32 v6, 0x7f
	v_cmp_lt_u32_e32 vcc, s8, v5
	s_nop 1
	v_cndmask_b32_e32 v3, v3, v6, vcc
; %bb.374:
	s_or_b64 exec, exec, s[6:7]
	v_lshrrev_b32_e32 v2, 24, v2
	s_movk_i32 s6, 0x80
	v_and_or_b32 v2, v2, s6, v3
	global_store_byte v[0:1], v2, off
.LBB361_375:
	s_mov_b64 s[8:9], 0
	s_mov_b64 s[6:7], -1
.LBB361_376:
	s_andn2_b64 vcc, exec, s[8:9]
	s_cbranch_vccnz .LBB361_384
; %bb.377:
	s_cmp_gt_i32 s13, 14
	s_mov_b64 s[8:9], -1
	s_cbranch_scc0 .LBB361_381
; %bb.378:
	s_cmp_eq_u32 s13, 15
	s_mov_b64 s[2:3], -1
	s_cbranch_scc0 .LBB361_380
; %bb.379:
	v_cvt_f32_i32_sdwa v2, sext(v4) dst_sel:DWORD dst_unused:UNUSED_PAD src0_sel:WORD_0
	s_movk_i32 s2, 0x7fff
	s_mov_b64 s[6:7], -1
	v_bfe_u32 v3, v2, 16, 1
	v_add3_u32 v2, v2, v3, s2
	global_store_short_d16_hi v[0:1], v2, off
	s_mov_b64 s[2:3], 0
.LBB361_380:
	s_mov_b64 s[8:9], 0
.LBB361_381:
	s_and_b64 vcc, exec, s[8:9]
	s_cbranch_vccz .LBB361_384
; %bb.382:
	s_cmp_eq_u32 s13, 11
	s_mov_b64 s[2:3], -1
	s_cbranch_scc0 .LBB361_384
; %bb.383:
	v_cmp_ne_u16_e32 vcc, 0, v4
	s_mov_b64 s[6:7], -1
	s_mov_b64 s[2:3], 0
	v_cndmask_b32_e64 v2, 0, 1, vcc
	global_store_byte v[0:1], v2, off
.LBB361_384:
	s_mov_b64 s[8:9], 0
.LBB361_385:
	s_and_b64 vcc, exec, s[8:9]
	s_cbranch_vccz .LBB361_424
; %bb.386:
	s_and_b32 s8, 0xffff, s12
	s_cmp_lt_i32 s8, 5
	s_mov_b64 s[6:7], -1
	s_cbranch_scc1 .LBB361_407
; %bb.387:
	s_cmp_lt_i32 s8, 8
	s_cbranch_scc1 .LBB361_397
; %bb.388:
	s_cmp_lt_i32 s8, 9
	s_cbranch_scc1 .LBB361_394
; %bb.389:
	s_cmp_gt_i32 s8, 9
	s_cbranch_scc0 .LBB361_391
; %bb.390:
	v_bfe_i32 v2, v4, 0, 16
	v_mov_b32_e32 v12, 0
	v_cvt_f64_i32_e32 v[10:11], v2
	v_mov_b32_e32 v13, v12
	s_mov_b64 s[6:7], 0
	global_store_dwordx4 v[0:1], v[10:13], off
.LBB361_391:
	s_andn2_b64 vcc, exec, s[6:7]
	s_cbranch_vccnz .LBB361_393
; %bb.392:
	v_cvt_f32_i32_sdwa v2, sext(v4) dst_sel:DWORD dst_unused:UNUSED_PAD src0_sel:WORD_0
	v_mov_b32_e32 v3, 0
	global_store_dwordx2 v[0:1], v[2:3], off
.LBB361_393:
	s_mov_b64 s[6:7], 0
.LBB361_394:
	s_andn2_b64 vcc, exec, s[6:7]
	s_cbranch_vccnz .LBB361_396
; %bb.395:
	v_cvt_f16_i16_e32 v2, v4
	global_store_dword v[0:1], v2, off
.LBB361_396:
	s_mov_b64 s[6:7], 0
.LBB361_397:
	s_andn2_b64 vcc, exec, s[6:7]
	s_cbranch_vccnz .LBB361_406
; %bb.398:
	s_cmp_lt_i32 s8, 6
	s_mov_b64 s[6:7], -1
	s_cbranch_scc1 .LBB361_404
; %bb.399:
	s_cmp_gt_i32 s8, 6
	s_cbranch_scc0 .LBB361_401
; %bb.400:
	v_bfe_i32 v2, v4, 0, 16
	v_cvt_f64_i32_e32 v[2:3], v2
	s_mov_b64 s[6:7], 0
	global_store_dwordx2 v[0:1], v[2:3], off
.LBB361_401:
	s_andn2_b64 vcc, exec, s[6:7]
	s_cbranch_vccnz .LBB361_403
; %bb.402:
	v_cvt_f32_i32_sdwa v2, sext(v4) dst_sel:DWORD dst_unused:UNUSED_PAD src0_sel:WORD_0
	global_store_dword v[0:1], v2, off
.LBB361_403:
	s_mov_b64 s[6:7], 0
.LBB361_404:
	s_andn2_b64 vcc, exec, s[6:7]
	s_cbranch_vccnz .LBB361_406
; %bb.405:
	v_cvt_f16_i16_e32 v2, v4
	global_store_short v[0:1], v2, off
.LBB361_406:
	s_mov_b64 s[6:7], 0
.LBB361_407:
	s_andn2_b64 vcc, exec, s[6:7]
	s_cbranch_vccnz .LBB361_423
; %bb.408:
	s_cmp_lt_i32 s8, 2
	s_mov_b64 s[6:7], -1
	s_cbranch_scc1 .LBB361_418
; %bb.409:
	s_cmp_lt_i32 s8, 3
	s_cbranch_scc1 .LBB361_415
; %bb.410:
	s_cmp_gt_i32 s8, 3
	v_bfe_i32 v2, v4, 0, 16
	s_cbranch_scc0 .LBB361_412
; %bb.411:
	v_ashrrev_i32_e32 v3, 31, v2
	s_mov_b64 s[6:7], 0
	global_store_dwordx2 v[0:1], v[2:3], off
.LBB361_412:
	s_andn2_b64 vcc, exec, s[6:7]
	s_cbranch_vccnz .LBB361_414
; %bb.413:
	global_store_dword v[0:1], v2, off
.LBB361_414:
	s_mov_b64 s[6:7], 0
.LBB361_415:
	s_andn2_b64 vcc, exec, s[6:7]
	s_cbranch_vccnz .LBB361_417
; %bb.416:
	global_store_short v[0:1], v4, off
.LBB361_417:
	s_mov_b64 s[6:7], 0
.LBB361_418:
	s_andn2_b64 vcc, exec, s[6:7]
	s_cbranch_vccnz .LBB361_423
; %bb.419:
	s_cmp_gt_i32 s8, 0
	s_mov_b64 s[6:7], -1
	s_cbranch_scc0 .LBB361_421
; %bb.420:
	s_mov_b64 s[6:7], 0
	global_store_byte v[0:1], v4, off
.LBB361_421:
	s_andn2_b64 vcc, exec, s[6:7]
	s_cbranch_vccnz .LBB361_423
; %bb.422:
	global_store_byte v[0:1], v4, off
.LBB361_423:
	s_mov_b64 s[6:7], -1
.LBB361_424:
	s_andn2_b64 vcc, exec, s[6:7]
	s_cbranch_vccnz .LBB361_426
; %bb.425:
	v_add_u32_e32 v8, 0x80, v8
	s_mov_b64 s[6:7], -1
	s_branch .LBB361_535
.LBB361_426:
	s_mov_b64 s[6:7], 0
	s_branch .LBB361_534
.LBB361_427:
	s_mov_b64 s[4:5], -1
                                        ; implicit-def: $vgpr4
.LBB361_428:
	s_mov_b64 s[6:7], 0
.LBB361_429:
	s_and_b64 vcc, exec, s[6:7]
	s_cbranch_vccz .LBB361_433
; %bb.430:
	s_cmp_eq_u32 s9, 29
	s_cbranch_scc0 .LBB361_432
; %bb.431:
	global_load_dwordx2 v[4:5], v[2:3], off
	s_mov_b64 s[2:3], -1
	s_mov_b64 s[4:5], 0
	s_branch .LBB361_433
.LBB361_432:
	s_mov_b64 s[4:5], -1
                                        ; implicit-def: $vgpr4
.LBB361_433:
	s_mov_b64 s[6:7], 0
.LBB361_434:
	s_and_b64 vcc, exec, s[6:7]
	s_cbranch_vccz .LBB361_450
; %bb.435:
	s_cmp_lt_i32 s9, 27
	s_cbranch_scc1 .LBB361_438
; %bb.436:
	s_cmp_gt_i32 s9, 27
	s_cbranch_scc0 .LBB361_439
; %bb.437:
	global_load_dword v4, v[2:3], off
	s_mov_b64 s[2:3], 0
	s_branch .LBB361_440
.LBB361_438:
	s_mov_b64 s[2:3], -1
                                        ; implicit-def: $vgpr4
	s_branch .LBB361_443
.LBB361_439:
	s_mov_b64 s[2:3], -1
                                        ; implicit-def: $vgpr4
.LBB361_440:
	s_andn2_b64 vcc, exec, s[2:3]
	s_cbranch_vccnz .LBB361_442
; %bb.441:
	global_load_ushort v4, v[2:3], off
.LBB361_442:
	s_mov_b64 s[2:3], 0
.LBB361_443:
	s_andn2_b64 vcc, exec, s[2:3]
	s_cbranch_vccnz .LBB361_449
; %bb.444:
	global_load_ubyte v1, v[2:3], off
	s_movk_i32 s2, 0x7f
	s_mov_b64 s[6:7], 0
	s_waitcnt vmcnt(0)
	v_cmp_lt_i16_e32 vcc, s2, v1
	s_and_saveexec_b64 s[2:3], vcc
	s_xor_b64 s[2:3], exec, s[2:3]
	s_cbranch_execz .LBB361_461
; %bb.445:
	s_movk_i32 s6, 0x80
	v_cmp_ne_u16_e32 vcc, s6, v1
	s_and_b64 s[6:7], vcc, exec
	s_andn2_saveexec_b64 s[2:3], s[2:3]
	s_cbranch_execnz .LBB361_462
.LBB361_446:
	s_or_b64 exec, exec, s[2:3]
	v_mov_b32_e32 v4, 0
	s_and_saveexec_b64 s[2:3], s[6:7]
	s_cbranch_execz .LBB361_448
.LBB361_447:
	v_lshlrev_b32_e32 v4, 24, v1
	v_and_b32_e32 v1, 0xffff, v1
	v_and_b32_e32 v5, 7, v1
	v_ffbh_u32_e32 v7, v5
	v_min_u32_e32 v7, 32, v7
	v_subrev_u32_e32 v9, 28, v7
	v_bfe_u32 v6, v1, 3, 4
	v_lshlrev_b32_e32 v1, v9, v1
	v_sub_u32_e32 v7, 29, v7
	v_and_b32_e32 v1, 7, v1
	v_cmp_eq_u32_e32 vcc, 0, v6
	v_and_b32_e32 v4, 0x80000000, v4
	s_nop 0
	v_cndmask_b32_e32 v6, v6, v7, vcc
	v_cndmask_b32_e32 v1, v5, v1, vcc
	v_mov_b32_e32 v5, 0x3b800000
	v_lshlrev_b32_e32 v1, 20, v1
	v_lshl_add_u32 v5, v6, 23, v5
	v_or3_b32 v1, v4, v5, v1
	v_cvt_i32_f32_e32 v4, v1
.LBB361_448:
	s_or_b64 exec, exec, s[2:3]
.LBB361_449:
	s_mov_b64 s[2:3], -1
.LBB361_450:
	s_mov_b64 s[6:7], 0
.LBB361_451:
	s_and_b64 vcc, exec, s[6:7]
	s_cbranch_vccz .LBB361_484
; %bb.452:
	s_cmp_gt_i32 s9, 22
	s_cbranch_scc0 .LBB361_460
; %bb.453:
	s_cmp_lt_i32 s9, 24
	s_cbranch_scc1 .LBB361_463
; %bb.454:
	s_cmp_gt_i32 s9, 24
	s_cbranch_scc0 .LBB361_464
; %bb.455:
	global_load_ubyte v1, v[2:3], off
	s_movk_i32 s2, 0x7f
	s_mov_b64 s[6:7], 0
	s_waitcnt vmcnt(0)
	v_cmp_lt_i16_e32 vcc, s2, v1
	s_and_saveexec_b64 s[2:3], vcc
	s_xor_b64 s[2:3], exec, s[2:3]
	s_cbranch_execz .LBB361_476
; %bb.456:
	s_movk_i32 s6, 0x80
	v_cmp_ne_u16_e32 vcc, s6, v1
	s_and_b64 s[6:7], vcc, exec
	s_andn2_saveexec_b64 s[2:3], s[2:3]
	s_cbranch_execnz .LBB361_477
.LBB361_457:
	s_or_b64 exec, exec, s[2:3]
	v_mov_b32_e32 v4, 0
	s_and_saveexec_b64 s[2:3], s[6:7]
	s_cbranch_execz .LBB361_459
.LBB361_458:
	v_lshlrev_b32_e32 v4, 24, v1
	v_and_b32_e32 v1, 0xffff, v1
	v_and_b32_e32 v5, 3, v1
	v_ffbh_u32_e32 v7, v5
	v_min_u32_e32 v7, 32, v7
	v_subrev_u32_e32 v9, 29, v7
	v_bfe_u32 v6, v1, 2, 5
	v_lshlrev_b32_e32 v1, v9, v1
	v_sub_u32_e32 v7, 30, v7
	v_and_b32_e32 v1, 3, v1
	v_cmp_eq_u32_e32 vcc, 0, v6
	v_and_b32_e32 v4, 0x80000000, v4
	s_nop 0
	v_cndmask_b32_e32 v6, v6, v7, vcc
	v_cndmask_b32_e32 v1, v5, v1, vcc
	v_mov_b32_e32 v5, 0x37800000
	v_lshlrev_b32_e32 v1, 21, v1
	v_lshl_add_u32 v5, v6, 23, v5
	v_or3_b32 v1, v4, v5, v1
	v_cvt_i32_f32_e32 v4, v1
.LBB361_459:
	s_or_b64 exec, exec, s[2:3]
	s_mov_b64 s[2:3], 0
	s_branch .LBB361_465
.LBB361_460:
	s_mov_b64 s[6:7], -1
                                        ; implicit-def: $vgpr4
	s_branch .LBB361_471
.LBB361_461:
	s_andn2_saveexec_b64 s[2:3], s[2:3]
	s_cbranch_execz .LBB361_446
.LBB361_462:
	v_cmp_ne_u16_e32 vcc, 0, v1
	s_andn2_b64 s[6:7], s[6:7], exec
	s_and_b64 s[10:11], vcc, exec
	s_or_b64 s[6:7], s[6:7], s[10:11]
	s_or_b64 exec, exec, s[2:3]
	v_mov_b32_e32 v4, 0
	s_and_saveexec_b64 s[2:3], s[6:7]
	s_cbranch_execnz .LBB361_447
	s_branch .LBB361_448
.LBB361_463:
	s_mov_b64 s[2:3], -1
                                        ; implicit-def: $vgpr4
	s_branch .LBB361_468
.LBB361_464:
	s_mov_b64 s[2:3], -1
                                        ; implicit-def: $vgpr4
.LBB361_465:
	s_and_b64 vcc, exec, s[2:3]
	s_cbranch_vccz .LBB361_467
; %bb.466:
	global_load_ubyte v1, v[2:3], off
	s_mov_b32 s2, 0x7f800000
	s_waitcnt vmcnt(0)
	v_lshlrev_b32_e32 v1, 24, v1
	v_and_b32_e32 v4, 0x7f000000, v1
	v_ffbh_u32_e32 v5, v4
	v_min_u32_e32 v5, 32, v5
	v_sub_u32_e64 v5, v5, 4 clamp
	v_lshlrev_b32_e32 v7, v5, v4
	v_lshlrev_b32_e32 v5, 23, v5
	v_lshrrev_b32_e32 v7, 4, v7
	v_add_u32_e32 v6, 0x1000000, v4
	v_sub_u32_e32 v5, v7, v5
	v_ashrrev_i32_e32 v6, 8, v6
	v_add_u32_e32 v5, 0x3c000000, v5
	v_and_or_b32 v5, v6, s2, v5
	v_cmp_ne_u32_e32 vcc, 0, v4
	s_brev_b32 s2, 1
	s_nop 0
	v_cndmask_b32_e32 v4, 0, v5, vcc
	v_and_or_b32 v1, v1, s2, v4
	v_cvt_i32_f32_e32 v4, v1
.LBB361_467:
	s_mov_b64 s[2:3], 0
.LBB361_468:
	s_andn2_b64 vcc, exec, s[2:3]
	s_cbranch_vccnz .LBB361_470
; %bb.469:
	global_load_ubyte v1, v[2:3], off
	s_movk_i32 s2, 0x7f00
	s_brev_b32 s3, 16
	s_waitcnt vmcnt(0)
	v_lshlrev_b16_e32 v4, 8, v1
	v_lshlrev_b32_e32 v1, 25, v1
	v_lshrrev_b32_e32 v5, 4, v1
	v_and_or_b32 v6, v4, s2, 0.5
	v_or_b32_e32 v5, 0x70000000, v5
	v_add_f32_e32 v6, -0.5, v6
	v_mul_f32_e32 v5, 0x7800000, v5
	v_cmp_gt_u32_e32 vcc, s3, v1
	v_bfe_i32 v4, v4, 0, 16
	s_brev_b32 s2, 1
	v_cndmask_b32_e32 v1, v5, v6, vcc
	v_and_or_b32 v1, v4, s2, v1
	v_cvt_i32_f32_e32 v4, v1
.LBB361_470:
	s_mov_b64 s[6:7], 0
	s_mov_b64 s[2:3], -1
.LBB361_471:
	s_andn2_b64 vcc, exec, s[6:7]
	s_cbranch_vccnz .LBB361_484
; %bb.472:
	s_cmp_gt_i32 s9, 14
	s_cbranch_scc0 .LBB361_475
; %bb.473:
	s_cmp_eq_u32 s9, 15
	s_cbranch_scc0 .LBB361_478
; %bb.474:
	global_load_ushort v1, v[2:3], off
	s_mov_b64 s[2:3], -1
	s_mov_b64 s[4:5], 0
	s_waitcnt vmcnt(0)
	v_lshlrev_b32_e32 v1, 16, v1
	v_cvt_i32_f32_e32 v4, v1
	s_branch .LBB361_479
.LBB361_475:
	s_mov_b64 s[6:7], -1
                                        ; implicit-def: $vgpr4
	s_branch .LBB361_480
.LBB361_476:
	s_andn2_saveexec_b64 s[2:3], s[2:3]
	s_cbranch_execz .LBB361_457
.LBB361_477:
	v_cmp_ne_u16_e32 vcc, 0, v1
	s_andn2_b64 s[6:7], s[6:7], exec
	s_and_b64 s[10:11], vcc, exec
	s_or_b64 s[6:7], s[6:7], s[10:11]
	s_or_b64 exec, exec, s[2:3]
	v_mov_b32_e32 v4, 0
	s_and_saveexec_b64 s[2:3], s[6:7]
	s_cbranch_execnz .LBB361_458
	s_branch .LBB361_459
.LBB361_478:
	s_mov_b64 s[4:5], -1
                                        ; implicit-def: $vgpr4
.LBB361_479:
	s_mov_b64 s[6:7], 0
.LBB361_480:
	s_and_b64 vcc, exec, s[6:7]
	s_cbranch_vccz .LBB361_484
; %bb.481:
	s_cmp_eq_u32 s9, 11
	s_cbranch_scc0 .LBB361_483
; %bb.482:
	global_load_ubyte v1, v[2:3], off
	s_mov_b64 s[2:3], -1
	s_mov_b64 s[4:5], 0
	s_waitcnt vmcnt(0)
	v_cmp_ne_u16_e32 vcc, 0, v1
	s_nop 1
	v_cndmask_b32_e64 v4, 0, 1, vcc
	s_branch .LBB361_484
.LBB361_483:
	s_mov_b64 s[4:5], -1
                                        ; implicit-def: $vgpr4
.LBB361_484:
	s_branch .LBB361_291
.LBB361_485:
	s_and_b32 s6, 0xffff, s8
	s_cmp_lt_i32 s6, 5
	s_cbranch_scc1 .LBB361_490
; %bb.486:
	s_cmp_lt_i32 s6, 8
	s_cbranch_scc1 .LBB361_491
; %bb.487:
	;; [unrolled: 3-line block ×3, first 2 shown]
	s_cmp_gt_i32 s6, 9
	s_cbranch_scc0 .LBB361_493
; %bb.489:
	global_load_dwordx2 v[4:5], v[2:3], off
	s_mov_b64 s[2:3], 0
	s_waitcnt vmcnt(0)
	v_cvt_i32_f64_e32 v4, v[4:5]
	s_branch .LBB361_494
.LBB361_490:
	s_mov_b64 s[2:3], -1
                                        ; implicit-def: $vgpr4
	s_branch .LBB361_512
.LBB361_491:
	s_mov_b64 s[2:3], -1
                                        ; implicit-def: $vgpr4
	s_branch .LBB361_500
.LBB361_492:
	s_mov_b64 s[2:3], -1
                                        ; implicit-def: $vgpr4
	s_branch .LBB361_497
.LBB361_493:
	s_mov_b64 s[2:3], -1
                                        ; implicit-def: $vgpr4
.LBB361_494:
	s_andn2_b64 vcc, exec, s[2:3]
	s_cbranch_vccnz .LBB361_496
; %bb.495:
	global_load_dword v1, v[2:3], off
	s_waitcnt vmcnt(0)
	v_cvt_i32_f32_e32 v4, v1
.LBB361_496:
	s_mov_b64 s[2:3], 0
.LBB361_497:
	s_andn2_b64 vcc, exec, s[2:3]
	s_cbranch_vccnz .LBB361_499
; %bb.498:
	global_load_dword v1, v[2:3], off
	s_waitcnt vmcnt(0)
	v_cvt_i16_f16_e32 v4, v1
.LBB361_499:
	s_mov_b64 s[2:3], 0
.LBB361_500:
	s_andn2_b64 vcc, exec, s[2:3]
	s_cbranch_vccnz .LBB361_511
; %bb.501:
	s_cmp_lt_i32 s6, 6
	s_cbranch_scc1 .LBB361_504
; %bb.502:
	s_cmp_gt_i32 s6, 6
	s_cbranch_scc0 .LBB361_505
; %bb.503:
	global_load_dwordx2 v[4:5], v[2:3], off
	s_mov_b64 s[2:3], 0
	s_waitcnt vmcnt(0)
	v_cvt_i32_f64_e32 v4, v[4:5]
	s_branch .LBB361_506
.LBB361_504:
	s_mov_b64 s[2:3], -1
                                        ; implicit-def: $vgpr4
	s_branch .LBB361_509
.LBB361_505:
	s_mov_b64 s[2:3], -1
                                        ; implicit-def: $vgpr4
.LBB361_506:
	s_andn2_b64 vcc, exec, s[2:3]
	s_cbranch_vccnz .LBB361_508
; %bb.507:
	global_load_dword v1, v[2:3], off
	s_waitcnt vmcnt(0)
	v_cvt_i32_f32_e32 v4, v1
.LBB361_508:
	s_mov_b64 s[2:3], 0
.LBB361_509:
	s_andn2_b64 vcc, exec, s[2:3]
	s_cbranch_vccnz .LBB361_511
; %bb.510:
	global_load_ushort v1, v[2:3], off
	s_waitcnt vmcnt(0)
	v_cvt_i16_f16_e32 v4, v1
.LBB361_511:
	s_mov_b64 s[2:3], 0
.LBB361_512:
	s_andn2_b64 vcc, exec, s[2:3]
	s_cbranch_vccnz .LBB361_532
; %bb.513:
	s_cmp_lt_i32 s6, 2
	s_cbranch_scc1 .LBB361_517
; %bb.514:
	s_cmp_lt_i32 s6, 3
	s_cbranch_scc1 .LBB361_518
; %bb.515:
	s_cmp_gt_i32 s6, 3
	s_cbranch_scc0 .LBB361_519
; %bb.516:
	global_load_dwordx2 v[4:5], v[2:3], off
	s_mov_b64 s[2:3], 0
	s_branch .LBB361_520
.LBB361_517:
	s_mov_b64 s[2:3], -1
                                        ; implicit-def: $vgpr4
	s_branch .LBB361_526
.LBB361_518:
	s_mov_b64 s[2:3], -1
                                        ; implicit-def: $vgpr4
	s_branch .LBB361_523
.LBB361_519:
	s_mov_b64 s[2:3], -1
                                        ; implicit-def: $vgpr4
.LBB361_520:
	s_andn2_b64 vcc, exec, s[2:3]
	s_cbranch_vccnz .LBB361_522
; %bb.521:
	global_load_dword v4, v[2:3], off
.LBB361_522:
	s_mov_b64 s[2:3], 0
.LBB361_523:
	s_andn2_b64 vcc, exec, s[2:3]
	s_cbranch_vccnz .LBB361_525
; %bb.524:
	global_load_ushort v4, v[2:3], off
.LBB361_525:
	s_mov_b64 s[2:3], 0
.LBB361_526:
	s_andn2_b64 vcc, exec, s[2:3]
	s_cbranch_vccnz .LBB361_532
; %bb.527:
	s_cmp_gt_i32 s6, 0
	s_cbranch_scc0 .LBB361_529
; %bb.528:
	global_load_ubyte v4, v[2:3], off
	s_mov_b64 s[2:3], 0
	s_branch .LBB361_530
.LBB361_529:
	s_mov_b64 s[2:3], -1
                                        ; implicit-def: $vgpr4
.LBB361_530:
	s_andn2_b64 vcc, exec, s[2:3]
	s_cbranch_vccnz .LBB361_532
; %bb.531:
	global_load_ubyte v4, v[2:3], off
.LBB361_532:
	s_branch .LBB361_292
.LBB361_533:
	s_mov_b64 s[6:7], 0
	s_mov_b64 s[2:3], s[54:55]
.LBB361_534:
                                        ; implicit-def: $vgpr8
.LBB361_535:
	s_andn2_b64 s[8:9], s[54:55], exec
	s_and_b64 s[2:3], s[2:3], exec
	s_or_b64 s[62:63], s[8:9], s[2:3]
	s_andn2_b64 s[2:3], s[56:57], exec
	s_and_b64 s[4:5], s[4:5], exec
	s_or_b64 s[60:61], s[2:3], s[4:5]
	s_orn2_b64 s[2:3], s[6:7], exec
.LBB361_536:
	s_or_b64 exec, exec, s[64:65]
	s_mov_b64 s[4:5], 0
	s_mov_b64 s[6:7], 0
	;; [unrolled: 1-line block ×3, first 2 shown]
                                        ; implicit-def: $sgpr14
                                        ; implicit-def: $vgpr2_vgpr3
                                        ; implicit-def: $vgpr0
                                        ; implicit-def: $vgpr4
	s_and_saveexec_b64 s[64:65], s[2:3]
	s_cbranch_execz .LBB361_905
; %bb.537:
	v_cmp_gt_i32_e32 vcc, s70, v8
	s_mov_b64 s[6:7], -1
	s_mov_b64 s[2:3], s[60:61]
	s_mov_b64 s[68:69], s[62:63]
	s_and_saveexec_b64 s[66:67], vcc
	s_cbranch_execz .LBB361_808
; %bb.538:
	s_andn2_b64 vcc, exec, s[42:43]
	s_cbranch_vccnz .LBB361_544
; %bb.539:
	s_andn2_b64 vcc, exec, s[52:53]
	s_cbranch_vccnz .LBB361_545
; %bb.540:
	s_add_i32 s77, s76, 1
	s_cmp_eq_u32 s72, 2
	s_cbranch_scc1 .LBB361_546
; %bb.541:
	s_and_b32 s71, s77, 28
	s_mov_b32 s78, 0
	v_mov_b32_e32 v0, 0
	v_mov_b32_e32 v2, 0
	s_mov_b64 s[2:3], s[34:35]
	s_mov_b64 s[68:69], s[50:51]
	s_waitcnt vmcnt(0)
	v_mov_b32_e32 v4, v8
.LBB361_542:                            ; =>This Inner Loop Header: Depth=1
	s_load_dwordx8 s[12:19], s[2:3], 0x4
	s_load_dwordx4 s[36:39], s[2:3], 0x24
	s_load_dwordx8 s[4:11], s[68:69], 0x0
	s_add_u32 s2, s2, 48
	s_addc_u32 s3, s3, 0
	s_waitcnt lgkmcnt(0)
	v_mul_hi_u32 v1, s13, v4
	v_add_u32_e32 v1, v4, v1
	v_lshrrev_b32_e32 v1, s14, v1
	v_mul_lo_u32 v3, v1, s12
	v_mul_hi_u32 v5, s16, v1
	v_sub_u32_e32 v3, v4, v3
	v_add_u32_e32 v4, v1, v5
	v_lshrrev_b32_e32 v4, s17, v4
	v_mul_lo_u32 v6, v4, s15
	v_mul_hi_u32 v7, s19, v4
	v_sub_u32_e32 v1, v1, v6
	v_add_u32_e32 v6, v4, v7
	v_mul_lo_u32 v5, v3, s5
	v_mul_lo_u32 v3, v3, s4
	;; [unrolled: 1-line block ×4, first 2 shown]
	v_lshrrev_b32_e32 v6, s36, v6
	v_add3_u32 v0, v3, v0, v1
	v_mul_hi_u32 v3, s38, v6
	v_add3_u32 v1, v5, v2, v7
	v_mul_lo_u32 v2, v6, s18
	v_add_u32_e32 v3, v6, v3
	v_sub_u32_e32 v2, v4, v2
	v_lshrrev_b32_e32 v4, s39, v3
	s_add_i32 s78, s78, 4
	v_mul_lo_u32 v3, v4, s37
	s_add_u32 s68, s68, 32
	v_sub_u32_e32 v3, v6, v3
	s_addc_u32 s69, s69, 0
	v_mul_lo_u32 v5, v2, s8
	v_mul_lo_u32 v2, v2, s9
	;; [unrolled: 1-line block ×4, first 2 shown]
	s_cmp_eq_u32 s71, s78
	v_add3_u32 v2, v2, v1, v3
	v_add3_u32 v0, v5, v0, v6
	s_cbranch_scc0 .LBB361_542
; %bb.543:
	v_mov_b32_e32 v1, v2
	s_branch .LBB361_547
.LBB361_544:
	s_mov_b64 s[2:3], -1
                                        ; implicit-def: $vgpr2
                                        ; implicit-def: $vgpr0
	s_branch .LBB361_551
.LBB361_545:
	v_mov_b32_e32 v2, 0
	v_mov_b32_e32 v0, 0
	s_branch .LBB361_550
.LBB361_546:
	v_mov_b32_e32 v0, 0
	s_mov_b32 s71, 0
	v_mov_b32_e32 v1, v0
                                        ; implicit-def: $vgpr2
	s_waitcnt vmcnt(0)
	v_mov_b32_e32 v4, v8
.LBB361_547:
	s_and_b32 s6, s77, 3
	s_cmp_eq_u32 s6, 0
	s_cbranch_scc1 .LBB361_550
; %bb.548:
	s_lshl_b32 s2, s71, 3
	s_add_u32 s2, s34, s2
	s_addc_u32 s3, s35, 0
	s_add_u32 s2, s2, 0xc4
	s_addc_u32 s3, s3, 0
	s_mul_i32 s4, s71, 12
	s_add_u32 s4, s34, s4
	s_addc_u32 s5, s35, 0
.LBB361_549:                            ; =>This Inner Loop Header: Depth=1
	s_load_dwordx2 s[8:9], s[4:5], 0x4
	s_load_dword s7, s[4:5], 0xc
	s_load_dwordx2 s[10:11], s[2:3], 0x0
	v_mov_b32_e32 v2, v1
	s_add_u32 s4, s4, 12
	s_waitcnt lgkmcnt(0)
	v_mul_hi_u32 v1, s9, v4
	v_add_u32_e32 v1, v4, v1
	v_lshrrev_b32_e32 v1, s7, v1
	s_addc_u32 s5, s5, 0
	v_mul_lo_u32 v3, v1, s8
	s_add_u32 s2, s2, 8
	v_sub_u32_e32 v5, v4, v3
	s_addc_u32 s3, s3, 0
	s_add_i32 s6, s6, -1
	v_mov_b32_e32 v4, v1
	v_mad_u64_u32 v[2:3], s[8:9], v5, s11, v[2:3]
	v_mad_u64_u32 v[0:1], s[8:9], v5, s10, v[0:1]
	s_cmp_lg_u32 s6, 0
	v_mov_b32_e32 v1, v2
	s_cbranch_scc1 .LBB361_549
.LBB361_550:
	s_mov_b64 s[2:3], 0
.LBB361_551:
	s_andn2_b64 vcc, exec, s[2:3]
	s_cbranch_vccnz .LBB361_554
; %bb.552:
	v_mul_hi_u32 v0, s25, v8
	v_add_u32_e32 v0, v8, v0
	v_lshrrev_b32_e32 v1, s26, v0
	v_mul_lo_u32 v0, v1, s24
	v_sub_u32_e32 v0, v8, v0
	v_mul_lo_u32 v2, v0, s29
	s_andn2_b64 vcc, exec, s[48:49]
	v_mul_lo_u32 v0, v0, s28
	s_cbranch_vccnz .LBB361_554
; %bb.553:
	v_mul_hi_u32 v3, s46, v1
	v_add_u32_e32 v3, v1, v3
	v_lshrrev_b32_e32 v3, s47, v3
	v_mul_lo_u32 v3, v3, s27
	v_sub_u32_e32 v3, v1, v3
	v_mad_u64_u32 v[0:1], s[2:3], v3, s30, v[0:1]
	v_mad_u64_u32 v[2:3], s[2:3], v3, s31, v[2:3]
.LBB361_554:
	v_mov_b32_e32 v3, 0
	s_and_b32 s8, s75, 0xff
	s_cmp_lt_i32 s8, 11
	v_lshl_add_u64 v[2:3], s[22:23], 0, v[2:3]
	s_cbranch_scc1 .LBB361_561
; %bb.555:
	s_and_b32 s9, 0xffff, s8
	s_cmp_gt_i32 s9, 25
	s_cbranch_scc0 .LBB361_562
; %bb.556:
	s_cmp_gt_i32 s9, 28
	s_cbranch_scc0 .LBB361_563
; %bb.557:
	;; [unrolled: 3-line block ×4, first 2 shown]
	s_cmp_eq_u32 s9, 46
	s_mov_b64 s[6:7], 0
	s_cbranch_scc0 .LBB361_570
; %bb.560:
	global_load_dword v1, v[2:3], off
	s_mov_b64 s[2:3], -1
	s_mov_b64 s[4:5], 0
	s_waitcnt vmcnt(0)
	v_lshlrev_b32_e32 v1, 16, v1
	v_cvt_i32_f32_e32 v4, v1
	s_branch .LBB361_571
.LBB361_561:
	s_mov_b64 s[6:7], -1
	s_mov_b64 s[2:3], 0
                                        ; implicit-def: $vgpr4
	s_mov_b64 s[4:5], s[60:61]
	s_branch .LBB361_632
.LBB361_562:
	s_mov_b64 s[6:7], -1
	s_mov_b64 s[2:3], 0
	s_mov_b64 s[4:5], s[60:61]
                                        ; implicit-def: $vgpr4
	s_branch .LBB361_598
.LBB361_563:
	s_mov_b64 s[6:7], -1
	s_mov_b64 s[2:3], 0
	s_mov_b64 s[4:5], s[60:61]
                                        ; implicit-def: $vgpr4
	s_branch .LBB361_581
.LBB361_564:
	s_mov_b64 s[6:7], -1
	s_mov_b64 s[2:3], 0
	s_mov_b64 s[4:5], s[60:61]
                                        ; implicit-def: $vgpr4
	s_branch .LBB361_576
.LBB361_565:
	s_andn2_saveexec_b64 s[10:11], s[10:11]
	s_cbranch_execz .LBB361_337
.LBB361_566:
	s_mov_b32 s14, 0x46000000
	v_add_f32_e64 v3, |v2|, s14
	v_and_b32_e32 v3, 0xff, v3
	v_cmp_ne_u32_e32 vcc, 0, v3
	s_andn2_b64 s[8:9], s[8:9], exec
	s_and_b64 s[14:15], vcc, exec
	s_or_b64 s[8:9], s[8:9], s[14:15]
	s_or_b64 exec, exec, s[10:11]
	v_mov_b32_e32 v5, 0
	s_and_saveexec_b64 s[10:11], s[8:9]
	s_cbranch_execnz .LBB361_338
	s_branch .LBB361_339
.LBB361_567:
	s_mov_b64 s[6:7], -1
	s_mov_b64 s[2:3], 0
	s_mov_b64 s[4:5], s[60:61]
                                        ; implicit-def: $vgpr4
	s_branch .LBB361_571
.LBB361_568:
	s_andn2_saveexec_b64 s[10:11], s[10:11]
	s_cbranch_execz .LBB361_350
.LBB361_569:
	s_mov_b32 s14, 0x42800000
	v_add_f32_e64 v3, |v2|, s14
	v_and_b32_e32 v3, 0xff, v3
	v_cmp_ne_u32_e32 vcc, 0, v3
	s_andn2_b64 s[8:9], s[8:9], exec
	s_and_b64 s[14:15], vcc, exec
	s_or_b64 s[8:9], s[8:9], s[14:15]
	s_or_b64 exec, exec, s[10:11]
	v_mov_b32_e32 v5, 0
	s_and_saveexec_b64 s[10:11], s[8:9]
	s_cbranch_execnz .LBB361_351
	s_branch .LBB361_352
.LBB361_570:
	s_mov_b64 s[4:5], -1
                                        ; implicit-def: $vgpr4
	s_mov_b64 s[2:3], 0
.LBB361_571:
	s_and_b64 vcc, exec, s[6:7]
	s_cbranch_vccz .LBB361_575
; %bb.572:
	s_cmp_eq_u32 s9, 44
	s_cbranch_scc0 .LBB361_574
; %bb.573:
	global_load_ubyte v1, v[2:3], off
	s_mov_b64 s[2:3], -1
	s_mov_b64 s[4:5], 0
	s_waitcnt vmcnt(0)
	v_lshlrev_b32_e32 v4, 23, v1
	v_cvt_i32_f32_e32 v4, v4
	v_cmp_ne_u32_e32 vcc, 0, v1
	s_nop 1
	v_cndmask_b32_e32 v4, 0, v4, vcc
	s_branch .LBB361_575
.LBB361_574:
	s_mov_b64 s[4:5], -1
                                        ; implicit-def: $vgpr4
.LBB361_575:
	s_mov_b64 s[6:7], 0
.LBB361_576:
	s_and_b64 vcc, exec, s[6:7]
	s_cbranch_vccz .LBB361_580
; %bb.577:
	s_cmp_eq_u32 s9, 29
	s_cbranch_scc0 .LBB361_579
; %bb.578:
	global_load_dwordx2 v[4:5], v[2:3], off
	s_mov_b64 s[2:3], -1
	s_mov_b64 s[4:5], 0
	s_branch .LBB361_580
.LBB361_579:
	s_mov_b64 s[4:5], -1
                                        ; implicit-def: $vgpr4
.LBB361_580:
	s_mov_b64 s[6:7], 0
.LBB361_581:
	s_and_b64 vcc, exec, s[6:7]
	s_cbranch_vccz .LBB361_597
; %bb.582:
	s_cmp_lt_i32 s9, 27
	s_cbranch_scc1 .LBB361_585
; %bb.583:
	s_cmp_gt_i32 s9, 27
	s_cbranch_scc0 .LBB361_586
; %bb.584:
	global_load_dword v4, v[2:3], off
	s_mov_b64 s[2:3], 0
	s_branch .LBB361_587
.LBB361_585:
	s_mov_b64 s[2:3], -1
                                        ; implicit-def: $vgpr4
	s_branch .LBB361_590
.LBB361_586:
	s_mov_b64 s[2:3], -1
                                        ; implicit-def: $vgpr4
.LBB361_587:
	s_andn2_b64 vcc, exec, s[2:3]
	s_cbranch_vccnz .LBB361_589
; %bb.588:
	global_load_ushort v4, v[2:3], off
.LBB361_589:
	s_mov_b64 s[2:3], 0
.LBB361_590:
	s_andn2_b64 vcc, exec, s[2:3]
	s_cbranch_vccnz .LBB361_596
; %bb.591:
	global_load_ubyte v1, v[2:3], off
	s_movk_i32 s2, 0x7f
	s_mov_b64 s[6:7], 0
	s_waitcnt vmcnt(0)
	v_cmp_lt_i16_e32 vcc, s2, v1
	s_and_saveexec_b64 s[2:3], vcc
	s_xor_b64 s[2:3], exec, s[2:3]
	s_cbranch_execz .LBB361_608
; %bb.592:
	s_movk_i32 s6, 0x80
	v_cmp_ne_u16_e32 vcc, s6, v1
	s_and_b64 s[6:7], vcc, exec
	s_andn2_saveexec_b64 s[2:3], s[2:3]
	s_cbranch_execnz .LBB361_609
.LBB361_593:
	s_or_b64 exec, exec, s[2:3]
	v_mov_b32_e32 v4, 0
	s_and_saveexec_b64 s[2:3], s[6:7]
	s_cbranch_execz .LBB361_595
.LBB361_594:
	v_lshlrev_b32_e32 v4, 24, v1
	v_and_b32_e32 v1, 0xffff, v1
	v_and_b32_e32 v5, 7, v1
	v_ffbh_u32_e32 v7, v5
	v_min_u32_e32 v7, 32, v7
	v_subrev_u32_e32 v9, 28, v7
	v_bfe_u32 v6, v1, 3, 4
	v_lshlrev_b32_e32 v1, v9, v1
	v_sub_u32_e32 v7, 29, v7
	v_and_b32_e32 v1, 7, v1
	v_cmp_eq_u32_e32 vcc, 0, v6
	v_and_b32_e32 v4, 0x80000000, v4
	s_nop 0
	v_cndmask_b32_e32 v6, v6, v7, vcc
	v_cndmask_b32_e32 v1, v5, v1, vcc
	v_mov_b32_e32 v5, 0x3b800000
	v_lshlrev_b32_e32 v1, 20, v1
	v_lshl_add_u32 v5, v6, 23, v5
	v_or3_b32 v1, v4, v5, v1
	v_cvt_i32_f32_e32 v4, v1
.LBB361_595:
	s_or_b64 exec, exec, s[2:3]
.LBB361_596:
	s_mov_b64 s[2:3], -1
.LBB361_597:
	s_mov_b64 s[6:7], 0
.LBB361_598:
	s_and_b64 vcc, exec, s[6:7]
	s_cbranch_vccz .LBB361_631
; %bb.599:
	s_cmp_gt_i32 s9, 22
	s_cbranch_scc0 .LBB361_607
; %bb.600:
	s_cmp_lt_i32 s9, 24
	s_cbranch_scc1 .LBB361_610
; %bb.601:
	s_cmp_gt_i32 s9, 24
	s_cbranch_scc0 .LBB361_611
; %bb.602:
	global_load_ubyte v1, v[2:3], off
	s_movk_i32 s2, 0x7f
	s_mov_b64 s[6:7], 0
	s_waitcnt vmcnt(0)
	v_cmp_lt_i16_e32 vcc, s2, v1
	s_and_saveexec_b64 s[2:3], vcc
	s_xor_b64 s[2:3], exec, s[2:3]
	s_cbranch_execz .LBB361_623
; %bb.603:
	s_movk_i32 s6, 0x80
	v_cmp_ne_u16_e32 vcc, s6, v1
	s_and_b64 s[6:7], vcc, exec
	s_andn2_saveexec_b64 s[2:3], s[2:3]
	s_cbranch_execnz .LBB361_624
.LBB361_604:
	s_or_b64 exec, exec, s[2:3]
	v_mov_b32_e32 v4, 0
	s_and_saveexec_b64 s[2:3], s[6:7]
	s_cbranch_execz .LBB361_606
.LBB361_605:
	v_lshlrev_b32_e32 v4, 24, v1
	v_and_b32_e32 v1, 0xffff, v1
	v_and_b32_e32 v5, 3, v1
	v_ffbh_u32_e32 v7, v5
	v_min_u32_e32 v7, 32, v7
	v_subrev_u32_e32 v9, 29, v7
	v_bfe_u32 v6, v1, 2, 5
	v_lshlrev_b32_e32 v1, v9, v1
	v_sub_u32_e32 v7, 30, v7
	v_and_b32_e32 v1, 3, v1
	v_cmp_eq_u32_e32 vcc, 0, v6
	v_and_b32_e32 v4, 0x80000000, v4
	s_nop 0
	v_cndmask_b32_e32 v6, v6, v7, vcc
	v_cndmask_b32_e32 v1, v5, v1, vcc
	v_mov_b32_e32 v5, 0x37800000
	v_lshlrev_b32_e32 v1, 21, v1
	v_lshl_add_u32 v5, v6, 23, v5
	v_or3_b32 v1, v4, v5, v1
	v_cvt_i32_f32_e32 v4, v1
.LBB361_606:
	s_or_b64 exec, exec, s[2:3]
	s_mov_b64 s[2:3], 0
	s_branch .LBB361_612
.LBB361_607:
	s_mov_b64 s[6:7], -1
                                        ; implicit-def: $vgpr4
	s_branch .LBB361_618
.LBB361_608:
	s_andn2_saveexec_b64 s[2:3], s[2:3]
	s_cbranch_execz .LBB361_593
.LBB361_609:
	v_cmp_ne_u16_e32 vcc, 0, v1
	s_andn2_b64 s[6:7], s[6:7], exec
	s_and_b64 s[10:11], vcc, exec
	s_or_b64 s[6:7], s[6:7], s[10:11]
	s_or_b64 exec, exec, s[2:3]
	v_mov_b32_e32 v4, 0
	s_and_saveexec_b64 s[2:3], s[6:7]
	s_cbranch_execnz .LBB361_594
	s_branch .LBB361_595
.LBB361_610:
	s_mov_b64 s[2:3], -1
                                        ; implicit-def: $vgpr4
	s_branch .LBB361_615
.LBB361_611:
	s_mov_b64 s[2:3], -1
                                        ; implicit-def: $vgpr4
.LBB361_612:
	s_and_b64 vcc, exec, s[2:3]
	s_cbranch_vccz .LBB361_614
; %bb.613:
	global_load_ubyte v1, v[2:3], off
	s_mov_b32 s2, 0x7f800000
	s_waitcnt vmcnt(0)
	v_lshlrev_b32_e32 v1, 24, v1
	v_and_b32_e32 v4, 0x7f000000, v1
	v_ffbh_u32_e32 v5, v4
	v_min_u32_e32 v5, 32, v5
	v_sub_u32_e64 v5, v5, 4 clamp
	v_lshlrev_b32_e32 v7, v5, v4
	v_lshlrev_b32_e32 v5, 23, v5
	v_lshrrev_b32_e32 v7, 4, v7
	v_add_u32_e32 v6, 0x1000000, v4
	v_sub_u32_e32 v5, v7, v5
	v_ashrrev_i32_e32 v6, 8, v6
	v_add_u32_e32 v5, 0x3c000000, v5
	v_and_or_b32 v5, v6, s2, v5
	v_cmp_ne_u32_e32 vcc, 0, v4
	s_brev_b32 s2, 1
	s_nop 0
	v_cndmask_b32_e32 v4, 0, v5, vcc
	v_and_or_b32 v1, v1, s2, v4
	v_cvt_i32_f32_e32 v4, v1
.LBB361_614:
	s_mov_b64 s[2:3], 0
.LBB361_615:
	s_andn2_b64 vcc, exec, s[2:3]
	s_cbranch_vccnz .LBB361_617
; %bb.616:
	global_load_ubyte v1, v[2:3], off
	s_movk_i32 s2, 0x7f00
	s_brev_b32 s3, 16
	s_waitcnt vmcnt(0)
	v_lshlrev_b16_e32 v4, 8, v1
	v_lshlrev_b32_e32 v1, 25, v1
	v_lshrrev_b32_e32 v5, 4, v1
	v_and_or_b32 v6, v4, s2, 0.5
	v_or_b32_e32 v5, 0x70000000, v5
	v_add_f32_e32 v6, -0.5, v6
	v_mul_f32_e32 v5, 0x7800000, v5
	v_cmp_gt_u32_e32 vcc, s3, v1
	v_bfe_i32 v4, v4, 0, 16
	s_brev_b32 s2, 1
	v_cndmask_b32_e32 v1, v5, v6, vcc
	v_and_or_b32 v1, v4, s2, v1
	v_cvt_i32_f32_e32 v4, v1
.LBB361_617:
	s_mov_b64 s[6:7], 0
	s_mov_b64 s[2:3], -1
.LBB361_618:
	s_andn2_b64 vcc, exec, s[6:7]
	s_cbranch_vccnz .LBB361_631
; %bb.619:
	s_cmp_gt_i32 s9, 14
	s_cbranch_scc0 .LBB361_622
; %bb.620:
	s_cmp_eq_u32 s9, 15
	s_cbranch_scc0 .LBB361_625
; %bb.621:
	global_load_ushort v1, v[2:3], off
	s_mov_b64 s[2:3], -1
	s_mov_b64 s[4:5], 0
	s_waitcnt vmcnt(0)
	v_lshlrev_b32_e32 v1, 16, v1
	v_cvt_i32_f32_e32 v4, v1
	s_branch .LBB361_626
.LBB361_622:
	s_mov_b64 s[6:7], -1
                                        ; implicit-def: $vgpr4
	s_branch .LBB361_627
.LBB361_623:
	s_andn2_saveexec_b64 s[2:3], s[2:3]
	s_cbranch_execz .LBB361_604
.LBB361_624:
	v_cmp_ne_u16_e32 vcc, 0, v1
	s_andn2_b64 s[6:7], s[6:7], exec
	s_and_b64 s[10:11], vcc, exec
	s_or_b64 s[6:7], s[6:7], s[10:11]
	s_or_b64 exec, exec, s[2:3]
	v_mov_b32_e32 v4, 0
	s_and_saveexec_b64 s[2:3], s[6:7]
	s_cbranch_execnz .LBB361_605
	s_branch .LBB361_606
.LBB361_625:
	s_mov_b64 s[4:5], -1
                                        ; implicit-def: $vgpr4
.LBB361_626:
	s_mov_b64 s[6:7], 0
.LBB361_627:
	s_and_b64 vcc, exec, s[6:7]
	s_cbranch_vccz .LBB361_631
; %bb.628:
	s_cmp_eq_u32 s9, 11
	s_cbranch_scc0 .LBB361_630
; %bb.629:
	global_load_ubyte v1, v[2:3], off
	s_mov_b64 s[2:3], -1
	s_mov_b64 s[4:5], 0
	s_waitcnt vmcnt(0)
	v_cmp_ne_u16_e32 vcc, 0, v1
	s_nop 1
	v_cndmask_b32_e64 v4, 0, 1, vcc
	s_branch .LBB361_631
.LBB361_630:
	s_mov_b64 s[4:5], -1
                                        ; implicit-def: $vgpr4
.LBB361_631:
	s_mov_b64 s[6:7], 0
.LBB361_632:
	s_and_b64 vcc, exec, s[6:7]
	s_cbranch_vccz .LBB361_681
; %bb.633:
	s_and_b32 s6, 0xffff, s8
	s_cmp_lt_i32 s6, 5
	s_cbranch_scc1 .LBB361_638
; %bb.634:
	s_cmp_lt_i32 s6, 8
	s_cbranch_scc1 .LBB361_639
; %bb.635:
	;; [unrolled: 3-line block ×3, first 2 shown]
	s_cmp_gt_i32 s6, 9
	s_cbranch_scc0 .LBB361_641
; %bb.637:
	global_load_dwordx2 v[4:5], v[2:3], off
	s_mov_b64 s[2:3], 0
	s_waitcnt vmcnt(0)
	v_cvt_i32_f64_e32 v4, v[4:5]
	s_branch .LBB361_642
.LBB361_638:
	s_mov_b64 s[2:3], -1
                                        ; implicit-def: $vgpr4
	s_branch .LBB361_660
.LBB361_639:
	s_mov_b64 s[2:3], -1
                                        ; implicit-def: $vgpr4
	s_branch .LBB361_648
.LBB361_640:
	s_mov_b64 s[2:3], -1
                                        ; implicit-def: $vgpr4
	s_branch .LBB361_645
.LBB361_641:
	s_mov_b64 s[2:3], -1
                                        ; implicit-def: $vgpr4
.LBB361_642:
	s_andn2_b64 vcc, exec, s[2:3]
	s_cbranch_vccnz .LBB361_644
; %bb.643:
	global_load_dword v1, v[2:3], off
	s_waitcnt vmcnt(0)
	v_cvt_i32_f32_e32 v4, v1
.LBB361_644:
	s_mov_b64 s[2:3], 0
.LBB361_645:
	s_andn2_b64 vcc, exec, s[2:3]
	s_cbranch_vccnz .LBB361_647
; %bb.646:
	global_load_dword v1, v[2:3], off
	s_waitcnt vmcnt(0)
	v_cvt_i16_f16_e32 v4, v1
.LBB361_647:
	s_mov_b64 s[2:3], 0
.LBB361_648:
	s_andn2_b64 vcc, exec, s[2:3]
	s_cbranch_vccnz .LBB361_659
; %bb.649:
	s_cmp_lt_i32 s6, 6
	s_cbranch_scc1 .LBB361_652
; %bb.650:
	s_cmp_gt_i32 s6, 6
	s_cbranch_scc0 .LBB361_653
; %bb.651:
	global_load_dwordx2 v[4:5], v[2:3], off
	s_mov_b64 s[2:3], 0
	s_waitcnt vmcnt(0)
	v_cvt_i32_f64_e32 v4, v[4:5]
	s_branch .LBB361_654
.LBB361_652:
	s_mov_b64 s[2:3], -1
                                        ; implicit-def: $vgpr4
	s_branch .LBB361_657
.LBB361_653:
	s_mov_b64 s[2:3], -1
                                        ; implicit-def: $vgpr4
.LBB361_654:
	s_andn2_b64 vcc, exec, s[2:3]
	s_cbranch_vccnz .LBB361_656
; %bb.655:
	global_load_dword v1, v[2:3], off
	s_waitcnt vmcnt(0)
	v_cvt_i32_f32_e32 v4, v1
.LBB361_656:
	s_mov_b64 s[2:3], 0
.LBB361_657:
	s_andn2_b64 vcc, exec, s[2:3]
	s_cbranch_vccnz .LBB361_659
; %bb.658:
	global_load_ushort v1, v[2:3], off
	s_waitcnt vmcnt(0)
	v_cvt_i16_f16_e32 v4, v1
.LBB361_659:
	s_mov_b64 s[2:3], 0
.LBB361_660:
	s_andn2_b64 vcc, exec, s[2:3]
	s_cbranch_vccnz .LBB361_680
; %bb.661:
	s_cmp_lt_i32 s6, 2
	s_cbranch_scc1 .LBB361_665
; %bb.662:
	s_cmp_lt_i32 s6, 3
	s_cbranch_scc1 .LBB361_666
; %bb.663:
	s_cmp_gt_i32 s6, 3
	s_cbranch_scc0 .LBB361_667
; %bb.664:
	global_load_dwordx2 v[4:5], v[2:3], off
	s_mov_b64 s[2:3], 0
	s_branch .LBB361_668
.LBB361_665:
	s_mov_b64 s[2:3], -1
                                        ; implicit-def: $vgpr4
	s_branch .LBB361_674
.LBB361_666:
	s_mov_b64 s[2:3], -1
                                        ; implicit-def: $vgpr4
	s_branch .LBB361_671
.LBB361_667:
	s_mov_b64 s[2:3], -1
                                        ; implicit-def: $vgpr4
.LBB361_668:
	s_andn2_b64 vcc, exec, s[2:3]
	s_cbranch_vccnz .LBB361_670
; %bb.669:
	global_load_dword v4, v[2:3], off
.LBB361_670:
	s_mov_b64 s[2:3], 0
.LBB361_671:
	s_andn2_b64 vcc, exec, s[2:3]
	s_cbranch_vccnz .LBB361_673
; %bb.672:
	global_load_ushort v4, v[2:3], off
.LBB361_673:
	s_mov_b64 s[2:3], 0
.LBB361_674:
	s_andn2_b64 vcc, exec, s[2:3]
	s_cbranch_vccnz .LBB361_680
; %bb.675:
	s_cmp_gt_i32 s6, 0
	s_cbranch_scc0 .LBB361_677
; %bb.676:
	global_load_ubyte v4, v[2:3], off
	s_mov_b64 s[2:3], 0
	s_branch .LBB361_678
.LBB361_677:
	s_mov_b64 s[2:3], -1
                                        ; implicit-def: $vgpr4
.LBB361_678:
	s_andn2_b64 vcc, exec, s[2:3]
	s_cbranch_vccnz .LBB361_680
; %bb.679:
	global_load_ubyte v4, v[2:3], off
.LBB361_680:
	s_mov_b64 s[2:3], -1
.LBB361_681:
	s_andn2_b64 vcc, exec, s[2:3]
	s_cbranch_vccnz .LBB361_689
; %bb.682:
	s_bfe_i32 s2, s74, 0x80000
	v_mov_b32_e32 v1, 0
	s_and_b32 s12, s73, 0xff
	s_waitcnt vmcnt(0)
	v_max_i16_sdwa v4, sext(v4), s2 dst_sel:DWORD dst_unused:UNUSED_PAD src0_sel:BYTE_0 src1_sel:DWORD
	s_cmp_lt_i32 s12, 11
	v_lshl_add_u64 v[0:1], s[20:21], 0, v[0:1]
	s_cbranch_scc1 .LBB361_690
; %bb.683:
	s_and_b32 s13, 0xffff, s12
	s_cmp_gt_i32 s13, 25
	s_cbranch_scc0 .LBB361_691
; %bb.684:
	s_cmp_gt_i32 s13, 28
	s_cbranch_scc0 .LBB361_692
; %bb.685:
	;; [unrolled: 3-line block ×4, first 2 shown]
	s_mov_b64 s[8:9], 0
	s_mov_b64 s[2:3], -1
	s_cmp_eq_u32 s13, 46
	s_mov_b64 s[6:7], 0
	s_cbranch_scc0 .LBB361_695
; %bb.688:
	v_cvt_f32_i32_sdwa v2, sext(v4) dst_sel:DWORD dst_unused:UNUSED_PAD src0_sel:WORD_0
	s_movk_i32 s2, 0x7fff
	s_mov_b64 s[6:7], -1
	v_bfe_u32 v3, v2, 16, 1
	v_add3_u32 v2, v2, v3, s2
	v_lshrrev_b32_e32 v2, 16, v2
	global_store_dword v[0:1], v2, off
	s_mov_b64 s[2:3], 0
	s_branch .LBB361_695
.LBB361_689:
	s_mov_b64 s[6:7], 0
	s_mov_b64 s[2:3], s[62:63]
	s_branch .LBB361_806
.LBB361_690:
	s_mov_b64 s[8:9], -1
	s_mov_b64 s[6:7], 0
	s_mov_b64 s[2:3], s[62:63]
	s_branch .LBB361_764
.LBB361_691:
	s_mov_b64 s[8:9], -1
	s_mov_b64 s[6:7], 0
	s_mov_b64 s[2:3], s[62:63]
	s_branch .LBB361_722
.LBB361_692:
	s_mov_b64 s[8:9], -1
	s_mov_b64 s[6:7], 0
	s_mov_b64 s[2:3], s[62:63]
	s_branch .LBB361_705
.LBB361_693:
	s_mov_b64 s[8:9], -1
	s_mov_b64 s[6:7], 0
	s_mov_b64 s[2:3], s[62:63]
	s_branch .LBB361_701
.LBB361_694:
	s_mov_b64 s[8:9], -1
	s_mov_b64 s[6:7], 0
	s_mov_b64 s[2:3], s[62:63]
.LBB361_695:
	s_and_b64 vcc, exec, s[8:9]
	s_cbranch_vccz .LBB361_700
; %bb.696:
	s_cmp_eq_u32 s13, 44
	s_mov_b64 s[2:3], -1
	s_cbranch_scc0 .LBB361_700
; %bb.697:
	v_cvt_f32_i32_sdwa v2, sext(v4) dst_sel:DWORD dst_unused:UNUSED_PAD src0_sel:WORD_0
	s_movk_i32 s2, 0xff
	v_mov_b32_e32 v5, 0xff
	v_bfe_u32 v3, v2, 23, 8
	v_cmp_ne_u32_e32 vcc, s2, v3
	s_and_saveexec_b64 s[6:7], vcc
; %bb.698:
	s_mov_b32 s2, 0x3fffff
	v_lshrrev_b32_e32 v5, 23, v2
	v_and_b32_e32 v6, 0x400000, v2
	v_and_or_b32 v2, v2, s2, v3
	v_cmp_ne_u32_e32 vcc, 0, v6
	v_cmp_ne_u32_e64 s[2:3], 0, v2
	s_and_b64 s[2:3], vcc, s[2:3]
	s_nop 0
	v_cndmask_b32_e64 v2, 0, 1, s[2:3]
	v_add_u32_e32 v5, v5, v2
; %bb.699:
	s_or_b64 exec, exec, s[6:7]
	s_mov_b64 s[6:7], -1
	s_mov_b64 s[2:3], 0
	global_store_byte v[0:1], v5, off
.LBB361_700:
	s_mov_b64 s[8:9], 0
.LBB361_701:
	s_and_b64 vcc, exec, s[8:9]
	s_cbranch_vccz .LBB361_704
; %bb.702:
	s_cmp_eq_u32 s13, 29
	s_mov_b64 s[2:3], -1
	s_cbranch_scc0 .LBB361_704
; %bb.703:
	v_bfe_i32 v2, v4, 0, 16
	v_ashrrev_i32_e32 v3, 31, v2
	global_store_dwordx2 v[0:1], v[2:3], off
	s_mov_b64 s[6:7], -1
	s_mov_b64 s[2:3], 0
.LBB361_704:
	s_mov_b64 s[8:9], 0
.LBB361_705:
	s_and_b64 vcc, exec, s[8:9]
	s_cbranch_vccz .LBB361_721
; %bb.706:
	s_cmp_lt_i32 s13, 27
	s_mov_b64 s[6:7], -1
	s_cbranch_scc1 .LBB361_712
; %bb.707:
	s_cmp_gt_i32 s13, 27
	s_cbranch_scc0 .LBB361_709
; %bb.708:
	v_bfe_i32 v2, v4, 0, 16
	s_mov_b64 s[6:7], 0
	global_store_dword v[0:1], v2, off
.LBB361_709:
	s_andn2_b64 vcc, exec, s[6:7]
	s_cbranch_vccnz .LBB361_711
; %bb.710:
	global_store_short v[0:1], v4, off
.LBB361_711:
	s_mov_b64 s[6:7], 0
.LBB361_712:
	s_andn2_b64 vcc, exec, s[6:7]
	s_cbranch_vccnz .LBB361_720
; %bb.713:
	v_cvt_f32_i32_sdwa v2, sext(v4) dst_sel:DWORD dst_unused:UNUSED_PAD src0_sel:WORD_0
	s_mov_b32 s6, 0x43800000
	v_mov_b32_e32 v5, 0x80
	v_and_b32_e32 v3, 0x7fffffff, v2
	v_cmp_gt_u32_e32 vcc, s6, v3
	s_and_saveexec_b64 s[6:7], vcc
	s_cbranch_execz .LBB361_719
; %bb.714:
	s_mov_b32 s8, 0x3bffffff
	v_cmp_lt_u32_e32 vcc, s8, v3
	s_mov_b64 s[8:9], 0
                                        ; implicit-def: $vgpr3
	s_and_saveexec_b64 s[10:11], vcc
	s_xor_b64 s[10:11], exec, s[10:11]
	s_cbranch_execz .LBB361_837
; %bb.715:
	v_bfe_u32 v3, v2, 20, 1
	s_mov_b32 s14, 0x487ffff
	v_add3_u32 v3, v2, v3, s14
	s_mov_b64 s[8:9], exec
	v_lshrrev_b32_e32 v3, 20, v3
	s_andn2_saveexec_b64 s[10:11], s[10:11]
	s_cbranch_execnz .LBB361_838
.LBB361_716:
	s_or_b64 exec, exec, s[10:11]
	v_mov_b32_e32 v5, 0
	s_and_saveexec_b64 s[10:11], s[8:9]
.LBB361_717:
	v_lshrrev_b32_e32 v2, 24, v2
	s_movk_i32 s8, 0x80
	v_and_or_b32 v5, v2, s8, v3
.LBB361_718:
	s_or_b64 exec, exec, s[10:11]
.LBB361_719:
	s_or_b64 exec, exec, s[6:7]
	global_store_byte v[0:1], v5, off
.LBB361_720:
	s_mov_b64 s[6:7], -1
.LBB361_721:
	s_mov_b64 s[8:9], 0
.LBB361_722:
	s_and_b64 vcc, exec, s[8:9]
	s_cbranch_vccz .LBB361_763
; %bb.723:
	s_cmp_gt_i32 s13, 22
	s_mov_b64 s[8:9], -1
	s_cbranch_scc0 .LBB361_755
; %bb.724:
	s_cmp_lt_i32 s13, 24
	s_mov_b64 s[6:7], -1
	s_cbranch_scc1 .LBB361_744
; %bb.725:
	s_cmp_gt_i32 s13, 24
	s_cbranch_scc0 .LBB361_733
; %bb.726:
	v_cvt_f32_i32_sdwa v2, sext(v4) dst_sel:DWORD dst_unused:UNUSED_PAD src0_sel:WORD_0
	s_mov_b32 s6, 0x47800000
	v_mov_b32_e32 v5, 0x80
	v_and_b32_e32 v3, 0x7fffffff, v2
	v_cmp_gt_u32_e32 vcc, s6, v3
	s_and_saveexec_b64 s[6:7], vcc
	s_cbranch_execz .LBB361_732
; %bb.727:
	s_mov_b32 s8, 0x37ffffff
	v_cmp_lt_u32_e32 vcc, s8, v3
	s_mov_b64 s[8:9], 0
                                        ; implicit-def: $vgpr3
	s_and_saveexec_b64 s[10:11], vcc
	s_xor_b64 s[10:11], exec, s[10:11]
	s_cbranch_execz .LBB361_840
; %bb.728:
	v_bfe_u32 v3, v2, 21, 1
	s_mov_b32 s14, 0x88fffff
	v_add3_u32 v3, v2, v3, s14
	s_mov_b64 s[8:9], exec
	v_lshrrev_b32_e32 v3, 21, v3
	s_andn2_saveexec_b64 s[10:11], s[10:11]
	s_cbranch_execnz .LBB361_841
.LBB361_729:
	s_or_b64 exec, exec, s[10:11]
	v_mov_b32_e32 v5, 0
	s_and_saveexec_b64 s[10:11], s[8:9]
.LBB361_730:
	v_lshrrev_b32_e32 v2, 24, v2
	s_movk_i32 s8, 0x80
	v_and_or_b32 v5, v2, s8, v3
.LBB361_731:
	s_or_b64 exec, exec, s[10:11]
.LBB361_732:
	s_or_b64 exec, exec, s[6:7]
	s_mov_b64 s[6:7], 0
	global_store_byte v[0:1], v5, off
.LBB361_733:
	s_and_b64 vcc, exec, s[6:7]
	s_cbranch_vccz .LBB361_743
; %bb.734:
	v_cvt_f32_i32_sdwa v2, sext(v4) dst_sel:DWORD dst_unused:UNUSED_PAD src0_sel:WORD_0
	s_mov_b32 s6, 0x43f00000
                                        ; implicit-def: $vgpr3
	v_and_b32_e32 v5, 0x7fffffff, v2
	v_cmp_gt_u32_e32 vcc, s6, v5
	s_and_saveexec_b64 s[6:7], vcc
	s_xor_b64 s[6:7], exec, s[6:7]
	s_cbranch_execz .LBB361_740
; %bb.735:
	s_mov_b32 s8, 0x3c7fffff
	v_cmp_lt_u32_e32 vcc, s8, v5
                                        ; implicit-def: $vgpr3
	s_and_saveexec_b64 s[8:9], vcc
	s_xor_b64 s[8:9], exec, s[8:9]
; %bb.736:
	v_bfe_u32 v3, v2, 20, 1
	s_mov_b32 s10, 0x407ffff
	v_add3_u32 v3, v2, v3, s10
	v_lshrrev_b32_e32 v5, 20, v3
	v_and_b32_e32 v3, 0xff00000, v3
	s_mov_b32 s10, 0x7f00000
	v_mov_b32_e32 v6, 0x7e
	v_cmp_ne_u32_e32 vcc, s10, v3
	s_nop 1
	v_cndmask_b32_e32 v3, v6, v5, vcc
; %bb.737:
	s_andn2_saveexec_b64 s[8:9], s[8:9]
; %bb.738:
	s_mov_b32 s10, 0x46800000
	v_add_f32_e64 v3, |v2|, s10
; %bb.739:
	s_or_b64 exec, exec, s[8:9]
                                        ; implicit-def: $vgpr5
.LBB361_740:
	s_andn2_saveexec_b64 s[6:7], s[6:7]
; %bb.741:
	s_mov_b32 s8, 0x7f800000
	v_mov_b32_e32 v3, 0x7e
	v_mov_b32_e32 v6, 0x7f
	v_cmp_lt_u32_e32 vcc, s8, v5
	s_nop 1
	v_cndmask_b32_e32 v3, v3, v6, vcc
; %bb.742:
	s_or_b64 exec, exec, s[6:7]
	v_lshrrev_b32_e32 v2, 24, v2
	s_movk_i32 s6, 0x80
	v_and_or_b32 v2, v2, s6, v3
	global_store_byte v[0:1], v2, off
.LBB361_743:
	s_mov_b64 s[6:7], 0
.LBB361_744:
	s_andn2_b64 vcc, exec, s[6:7]
	s_cbranch_vccnz .LBB361_754
; %bb.745:
	v_cvt_f32_i32_sdwa v2, sext(v4) dst_sel:DWORD dst_unused:UNUSED_PAD src0_sel:WORD_0
	s_mov_b32 s6, 0x47800000
                                        ; implicit-def: $vgpr3
	v_and_b32_e32 v5, 0x7fffffff, v2
	v_cmp_gt_u32_e32 vcc, s6, v5
	s_and_saveexec_b64 s[6:7], vcc
	s_xor_b64 s[6:7], exec, s[6:7]
	s_cbranch_execz .LBB361_751
; %bb.746:
	s_mov_b32 s8, 0x387fffff
	v_cmp_lt_u32_e32 vcc, s8, v5
                                        ; implicit-def: $vgpr3
	s_and_saveexec_b64 s[8:9], vcc
	s_xor_b64 s[8:9], exec, s[8:9]
; %bb.747:
	v_bfe_u32 v3, v2, 21, 1
	s_mov_b32 s10, 0x80fffff
	v_add3_u32 v3, v2, v3, s10
	v_lshrrev_b32_e32 v3, 21, v3
; %bb.748:
	s_andn2_saveexec_b64 s[8:9], s[8:9]
; %bb.749:
	s_mov_b32 s10, 0x43000000
	v_add_f32_e64 v3, |v2|, s10
; %bb.750:
	s_or_b64 exec, exec, s[8:9]
                                        ; implicit-def: $vgpr5
.LBB361_751:
	s_andn2_saveexec_b64 s[6:7], s[6:7]
; %bb.752:
	s_mov_b32 s8, 0x7f800000
	v_mov_b32_e32 v3, 0x7c
	v_mov_b32_e32 v6, 0x7f
	v_cmp_lt_u32_e32 vcc, s8, v5
	s_nop 1
	v_cndmask_b32_e32 v3, v3, v6, vcc
; %bb.753:
	s_or_b64 exec, exec, s[6:7]
	v_lshrrev_b32_e32 v2, 24, v2
	s_movk_i32 s6, 0x80
	v_and_or_b32 v2, v2, s6, v3
	global_store_byte v[0:1], v2, off
.LBB361_754:
	s_mov_b64 s[8:9], 0
	s_mov_b64 s[6:7], -1
.LBB361_755:
	s_andn2_b64 vcc, exec, s[8:9]
	s_cbranch_vccnz .LBB361_763
; %bb.756:
	s_cmp_gt_i32 s13, 14
	s_mov_b64 s[8:9], -1
	s_cbranch_scc0 .LBB361_760
; %bb.757:
	s_cmp_eq_u32 s13, 15
	s_mov_b64 s[2:3], -1
	s_cbranch_scc0 .LBB361_759
; %bb.758:
	v_cvt_f32_i32_sdwa v2, sext(v4) dst_sel:DWORD dst_unused:UNUSED_PAD src0_sel:WORD_0
	s_movk_i32 s2, 0x7fff
	s_mov_b64 s[6:7], -1
	v_bfe_u32 v3, v2, 16, 1
	v_add3_u32 v2, v2, v3, s2
	global_store_short_d16_hi v[0:1], v2, off
	s_mov_b64 s[2:3], 0
.LBB361_759:
	s_mov_b64 s[8:9], 0
.LBB361_760:
	s_and_b64 vcc, exec, s[8:9]
	s_cbranch_vccz .LBB361_763
; %bb.761:
	s_cmp_eq_u32 s13, 11
	s_mov_b64 s[2:3], -1
	s_cbranch_scc0 .LBB361_763
; %bb.762:
	v_cmp_ne_u16_e32 vcc, 0, v4
	s_mov_b64 s[6:7], -1
	s_mov_b64 s[2:3], 0
	v_cndmask_b32_e64 v2, 0, 1, vcc
	global_store_byte v[0:1], v2, off
.LBB361_763:
	s_mov_b64 s[8:9], 0
.LBB361_764:
	s_and_b64 vcc, exec, s[8:9]
	s_cbranch_vccz .LBB361_803
; %bb.765:
	s_and_b32 s8, 0xffff, s12
	s_cmp_lt_i32 s8, 5
	s_mov_b64 s[6:7], -1
	s_cbranch_scc1 .LBB361_786
; %bb.766:
	s_cmp_lt_i32 s8, 8
	s_cbranch_scc1 .LBB361_776
; %bb.767:
	s_cmp_lt_i32 s8, 9
	s_cbranch_scc1 .LBB361_773
; %bb.768:
	s_cmp_gt_i32 s8, 9
	s_cbranch_scc0 .LBB361_770
; %bb.769:
	v_bfe_i32 v2, v4, 0, 16
	v_mov_b32_e32 v12, 0
	v_cvt_f64_i32_e32 v[10:11], v2
	v_mov_b32_e32 v13, v12
	s_mov_b64 s[6:7], 0
	global_store_dwordx4 v[0:1], v[10:13], off
.LBB361_770:
	s_andn2_b64 vcc, exec, s[6:7]
	s_cbranch_vccnz .LBB361_772
; %bb.771:
	v_cvt_f32_i32_sdwa v2, sext(v4) dst_sel:DWORD dst_unused:UNUSED_PAD src0_sel:WORD_0
	v_mov_b32_e32 v3, 0
	global_store_dwordx2 v[0:1], v[2:3], off
.LBB361_772:
	s_mov_b64 s[6:7], 0
.LBB361_773:
	s_andn2_b64 vcc, exec, s[6:7]
	s_cbranch_vccnz .LBB361_775
; %bb.774:
	v_cvt_f16_i16_e32 v2, v4
	global_store_dword v[0:1], v2, off
.LBB361_775:
	s_mov_b64 s[6:7], 0
.LBB361_776:
	s_andn2_b64 vcc, exec, s[6:7]
	s_cbranch_vccnz .LBB361_785
; %bb.777:
	s_cmp_lt_i32 s8, 6
	s_mov_b64 s[6:7], -1
	s_cbranch_scc1 .LBB361_783
; %bb.778:
	s_cmp_gt_i32 s8, 6
	s_cbranch_scc0 .LBB361_780
; %bb.779:
	v_bfe_i32 v2, v4, 0, 16
	v_cvt_f64_i32_e32 v[2:3], v2
	s_mov_b64 s[6:7], 0
	global_store_dwordx2 v[0:1], v[2:3], off
.LBB361_780:
	s_andn2_b64 vcc, exec, s[6:7]
	s_cbranch_vccnz .LBB361_782
; %bb.781:
	v_cvt_f32_i32_sdwa v2, sext(v4) dst_sel:DWORD dst_unused:UNUSED_PAD src0_sel:WORD_0
	global_store_dword v[0:1], v2, off
.LBB361_782:
	s_mov_b64 s[6:7], 0
.LBB361_783:
	s_andn2_b64 vcc, exec, s[6:7]
	s_cbranch_vccnz .LBB361_785
; %bb.784:
	v_cvt_f16_i16_e32 v2, v4
	global_store_short v[0:1], v2, off
.LBB361_785:
	s_mov_b64 s[6:7], 0
.LBB361_786:
	s_andn2_b64 vcc, exec, s[6:7]
	s_cbranch_vccnz .LBB361_802
; %bb.787:
	s_cmp_lt_i32 s8, 2
	s_mov_b64 s[6:7], -1
	s_cbranch_scc1 .LBB361_797
; %bb.788:
	s_cmp_lt_i32 s8, 3
	s_cbranch_scc1 .LBB361_794
; %bb.789:
	s_cmp_gt_i32 s8, 3
	v_bfe_i32 v2, v4, 0, 16
	s_cbranch_scc0 .LBB361_791
; %bb.790:
	v_ashrrev_i32_e32 v3, 31, v2
	s_mov_b64 s[6:7], 0
	global_store_dwordx2 v[0:1], v[2:3], off
.LBB361_791:
	s_andn2_b64 vcc, exec, s[6:7]
	s_cbranch_vccnz .LBB361_793
; %bb.792:
	global_store_dword v[0:1], v2, off
.LBB361_793:
	s_mov_b64 s[6:7], 0
.LBB361_794:
	s_andn2_b64 vcc, exec, s[6:7]
	s_cbranch_vccnz .LBB361_796
; %bb.795:
	global_store_short v[0:1], v4, off
.LBB361_796:
	s_mov_b64 s[6:7], 0
.LBB361_797:
	s_andn2_b64 vcc, exec, s[6:7]
	s_cbranch_vccnz .LBB361_802
; %bb.798:
	s_cmp_gt_i32 s8, 0
	s_mov_b64 s[6:7], -1
	s_cbranch_scc0 .LBB361_800
; %bb.799:
	s_mov_b64 s[6:7], 0
	global_store_byte v[0:1], v4, off
.LBB361_800:
	s_andn2_b64 vcc, exec, s[6:7]
	s_cbranch_vccnz .LBB361_802
; %bb.801:
	global_store_byte v[0:1], v4, off
.LBB361_802:
	s_mov_b64 s[6:7], -1
.LBB361_803:
	s_andn2_b64 vcc, exec, s[6:7]
	s_cbranch_vccnz .LBB361_805
; %bb.804:
	v_add_u32_e32 v8, 0x80, v8
	s_mov_b64 s[6:7], -1
	s_branch .LBB361_807
.LBB361_805:
	s_mov_b64 s[6:7], 0
.LBB361_806:
                                        ; implicit-def: $vgpr8
.LBB361_807:
	s_andn2_b64 s[8:9], s[62:63], exec
	s_and_b64 s[2:3], s[2:3], exec
	s_or_b64 s[68:69], s[8:9], s[2:3]
	s_andn2_b64 s[2:3], s[60:61], exec
	s_and_b64 s[4:5], s[4:5], exec
	s_or_b64 s[2:3], s[2:3], s[4:5]
	s_orn2_b64 s[6:7], s[6:7], exec
.LBB361_808:
	s_or_b64 exec, exec, s[66:67]
	s_mov_b64 s[4:5], 0
	s_mov_b64 s[10:11], 0
	;; [unrolled: 1-line block ×3, first 2 shown]
                                        ; implicit-def: $sgpr14
                                        ; implicit-def: $vgpr2_vgpr3
                                        ; implicit-def: $vgpr0
                                        ; implicit-def: $vgpr4
	s_and_saveexec_b64 s[66:67], s[6:7]
	s_cbranch_execz .LBB361_904
; %bb.809:
	v_cmp_gt_i32_e32 vcc, s70, v8
	s_mov_b64 s[6:7], 0
	s_mov_b64 s[12:13], s[2:3]
                                        ; implicit-def: $sgpr14
                                        ; implicit-def: $vgpr2_vgpr3
                                        ; implicit-def: $vgpr0
                                        ; implicit-def: $vgpr4
	s_and_saveexec_b64 s[70:71], vcc
	s_cbranch_execz .LBB361_903
; %bb.810:
	s_andn2_b64 vcc, exec, s[42:43]
	s_cbranch_vccnz .LBB361_816
; %bb.811:
	s_andn2_b64 vcc, exec, s[52:53]
	s_cbranch_vccnz .LBB361_817
; %bb.812:
	s_add_i32 s77, s76, 1
	s_cmp_eq_u32 s72, 2
	s_cbranch_scc1 .LBB361_818
; %bb.813:
	s_and_b32 s76, s77, 28
	s_mov_b32 s78, 0
	v_mov_b32_e32 v0, 0
	v_mov_b32_e32 v2, 0
	s_mov_b64 s[52:53], s[34:35]
	s_waitcnt vmcnt(0)
	v_mov_b32_e32 v4, v8
.LBB361_814:                            ; =>This Inner Loop Header: Depth=1
	s_load_dwordx8 s[12:19], s[52:53], 0x4
	s_load_dwordx4 s[36:39], s[52:53], 0x24
	s_load_dwordx8 s[4:11], s[50:51], 0x0
	s_add_u32 s52, s52, 48
	s_addc_u32 s53, s53, 0
	s_waitcnt lgkmcnt(0)
	v_mul_hi_u32 v1, s13, v4
	v_add_u32_e32 v1, v4, v1
	v_lshrrev_b32_e32 v1, s14, v1
	v_mul_lo_u32 v3, v1, s12
	v_mul_hi_u32 v5, s16, v1
	v_sub_u32_e32 v3, v4, v3
	v_add_u32_e32 v4, v1, v5
	v_lshrrev_b32_e32 v4, s17, v4
	v_mul_lo_u32 v6, v4, s15
	v_mul_hi_u32 v7, s19, v4
	v_sub_u32_e32 v1, v1, v6
	v_add_u32_e32 v6, v4, v7
	v_mul_lo_u32 v5, v3, s5
	v_mul_lo_u32 v3, v3, s4
	;; [unrolled: 1-line block ×4, first 2 shown]
	v_lshrrev_b32_e32 v6, s36, v6
	v_add3_u32 v0, v3, v0, v1
	v_mul_hi_u32 v3, s38, v6
	v_add3_u32 v1, v5, v2, v7
	v_mul_lo_u32 v2, v6, s18
	v_add_u32_e32 v3, v6, v3
	v_sub_u32_e32 v2, v4, v2
	v_lshrrev_b32_e32 v4, s39, v3
	s_add_i32 s78, s78, 4
	v_mul_lo_u32 v3, v4, s37
	s_add_u32 s50, s50, 32
	v_sub_u32_e32 v3, v6, v3
	s_addc_u32 s51, s51, 0
	v_mul_lo_u32 v5, v2, s8
	v_mul_lo_u32 v2, v2, s9
	;; [unrolled: 1-line block ×4, first 2 shown]
	s_cmp_eq_u32 s76, s78
	v_add3_u32 v2, v2, v1, v3
	v_add3_u32 v0, v5, v0, v6
	s_cbranch_scc0 .LBB361_814
; %bb.815:
	v_mov_b32_e32 v1, v2
	s_branch .LBB361_819
.LBB361_816:
	s_mov_b64 s[4:5], -1
                                        ; implicit-def: $vgpr2
                                        ; implicit-def: $vgpr0
	s_branch .LBB361_823
.LBB361_817:
	v_mov_b32_e32 v2, 0
	v_mov_b32_e32 v0, 0
	s_branch .LBB361_822
.LBB361_818:
	v_mov_b32_e32 v0, 0
	s_mov_b32 s76, 0
	v_mov_b32_e32 v1, v0
                                        ; implicit-def: $vgpr2
	s_waitcnt vmcnt(0)
	v_mov_b32_e32 v4, v8
.LBB361_819:
	s_and_b32 s8, s77, 3
	s_cmp_eq_u32 s8, 0
	s_cbranch_scc1 .LBB361_822
; %bb.820:
	s_lshl_b32 s4, s76, 3
	s_add_u32 s4, s34, s4
	s_addc_u32 s5, s35, 0
	s_add_u32 s4, s4, 0xc4
	s_addc_u32 s5, s5, 0
	s_mul_i32 s6, s76, 12
	s_add_u32 s6, s34, s6
	s_addc_u32 s7, s35, 0
.LBB361_821:                            ; =>This Inner Loop Header: Depth=1
	s_load_dwordx2 s[10:11], s[6:7], 0x4
	s_load_dword s9, s[6:7], 0xc
	s_load_dwordx2 s[12:13], s[4:5], 0x0
	v_mov_b32_e32 v2, v1
	s_add_u32 s6, s6, 12
	s_waitcnt lgkmcnt(0)
	v_mul_hi_u32 v1, s11, v4
	v_add_u32_e32 v1, v4, v1
	v_lshrrev_b32_e32 v1, s9, v1
	s_addc_u32 s7, s7, 0
	v_mul_lo_u32 v3, v1, s10
	s_add_u32 s4, s4, 8
	v_sub_u32_e32 v5, v4, v3
	s_addc_u32 s5, s5, 0
	s_add_i32 s8, s8, -1
	v_mov_b32_e32 v4, v1
	v_mad_u64_u32 v[2:3], s[10:11], v5, s13, v[2:3]
	v_mad_u64_u32 v[0:1], s[10:11], v5, s12, v[0:1]
	s_cmp_lg_u32 s8, 0
	v_mov_b32_e32 v1, v2
	s_cbranch_scc1 .LBB361_821
.LBB361_822:
	s_mov_b64 s[4:5], 0
.LBB361_823:
	s_andn2_b64 vcc, exec, s[4:5]
	s_cbranch_vccnz .LBB361_826
; %bb.824:
	v_mul_hi_u32 v0, s25, v8
	v_add_u32_e32 v0, v8, v0
	v_lshrrev_b32_e32 v1, s26, v0
	v_mul_lo_u32 v0, v1, s24
	v_sub_u32_e32 v0, v8, v0
	v_mul_lo_u32 v2, v0, s29
	s_andn2_b64 vcc, exec, s[48:49]
	v_mul_lo_u32 v0, v0, s28
	s_cbranch_vccnz .LBB361_826
; %bb.825:
	v_mul_hi_u32 v3, s46, v1
	v_add_u32_e32 v3, v1, v3
	v_lshrrev_b32_e32 v3, s47, v3
	v_mul_lo_u32 v3, v3, s27
	v_sub_u32_e32 v3, v1, v3
	v_mad_u64_u32 v[0:1], s[4:5], v3, s30, v[0:1]
	v_mad_u64_u32 v[2:3], s[4:5], v3, s31, v[2:3]
.LBB361_826:
	v_mov_b32_e32 v3, 0
	s_and_b32 s14, s75, 0xff
	s_cmp_lt_i32 s14, 11
	v_lshl_add_u64 v[2:3], s[22:23], 0, v[2:3]
	s_cbranch_scc1 .LBB361_833
; %bb.827:
	s_and_b32 s12, 0xffff, s14
	s_cmp_gt_i32 s12, 25
	s_mov_b64 s[6:7], 0
	s_cbranch_scc0 .LBB361_834
; %bb.828:
	s_cmp_gt_i32 s12, 28
	s_cbranch_scc0 .LBB361_835
; %bb.829:
	s_cmp_gt_i32 s12, 43
	;; [unrolled: 3-line block ×3, first 2 shown]
	s_cbranch_scc0 .LBB361_839
; %bb.831:
	s_cmp_eq_u32 s12, 46
	s_mov_b64 s[10:11], 0
	s_cbranch_scc0 .LBB361_842
; %bb.832:
	global_load_dword v1, v[2:3], off
	s_mov_b64 s[4:5], 0
	s_mov_b64 s[8:9], -1
	s_waitcnt vmcnt(0)
	v_lshlrev_b32_e32 v1, 16, v1
	v_cvt_i32_f32_e32 v4, v1
	s_branch .LBB361_843
.LBB361_833:
	s_mov_b64 s[10:11], -1
	s_mov_b64 s[8:9], 0
	s_mov_b64 s[6:7], 0
	;; [unrolled: 1-line block ×3, first 2 shown]
                                        ; implicit-def: $vgpr4
	s_branch .LBB361_902
.LBB361_834:
	s_mov_b64 s[10:11], -1
	s_mov_b64 s[8:9], 0
	s_mov_b64 s[4:5], s[2:3]
                                        ; implicit-def: $vgpr4
	s_branch .LBB361_870
.LBB361_835:
	s_mov_b64 s[10:11], -1
	s_mov_b64 s[8:9], 0
	s_mov_b64 s[4:5], s[2:3]
                                        ; implicit-def: $vgpr4
	s_branch .LBB361_853
.LBB361_836:
	s_mov_b64 s[10:11], -1
	s_mov_b64 s[8:9], 0
	s_mov_b64 s[4:5], s[2:3]
                                        ; implicit-def: $vgpr4
	s_branch .LBB361_848
.LBB361_837:
	s_andn2_saveexec_b64 s[10:11], s[10:11]
	s_cbranch_execz .LBB361_716
.LBB361_838:
	s_mov_b32 s14, 0x46000000
	v_add_f32_e64 v3, |v2|, s14
	v_and_b32_e32 v3, 0xff, v3
	v_cmp_ne_u32_e32 vcc, 0, v3
	s_andn2_b64 s[8:9], s[8:9], exec
	s_and_b64 s[14:15], vcc, exec
	s_or_b64 s[8:9], s[8:9], s[14:15]
	s_or_b64 exec, exec, s[10:11]
	v_mov_b32_e32 v5, 0
	s_and_saveexec_b64 s[10:11], s[8:9]
	s_cbranch_execnz .LBB361_717
	s_branch .LBB361_718
.LBB361_839:
	s_mov_b64 s[10:11], -1
	s_mov_b64 s[8:9], 0
	s_mov_b64 s[4:5], s[2:3]
                                        ; implicit-def: $vgpr4
	s_branch .LBB361_843
.LBB361_840:
	s_andn2_saveexec_b64 s[10:11], s[10:11]
	s_cbranch_execz .LBB361_729
.LBB361_841:
	s_mov_b32 s14, 0x42800000
	v_add_f32_e64 v3, |v2|, s14
	v_and_b32_e32 v3, 0xff, v3
	v_cmp_ne_u32_e32 vcc, 0, v3
	s_andn2_b64 s[8:9], s[8:9], exec
	s_and_b64 s[14:15], vcc, exec
	s_or_b64 s[8:9], s[8:9], s[14:15]
	s_or_b64 exec, exec, s[10:11]
	v_mov_b32_e32 v5, 0
	s_and_saveexec_b64 s[10:11], s[8:9]
	s_cbranch_execnz .LBB361_730
	s_branch .LBB361_731
.LBB361_842:
	s_mov_b64 s[4:5], -1
                                        ; implicit-def: $vgpr4
	s_mov_b64 s[8:9], 0
.LBB361_843:
	s_and_b64 vcc, exec, s[10:11]
	s_cbranch_vccz .LBB361_847
; %bb.844:
	s_cmp_eq_u32 s12, 44
	s_cbranch_scc0 .LBB361_846
; %bb.845:
	global_load_ubyte v1, v[2:3], off
	s_mov_b64 s[4:5], 0
	s_mov_b64 s[8:9], -1
	s_waitcnt vmcnt(0)
	v_lshlrev_b32_e32 v4, 23, v1
	v_cvt_i32_f32_e32 v4, v4
	v_cmp_ne_u32_e32 vcc, 0, v1
	s_nop 1
	v_cndmask_b32_e32 v4, 0, v4, vcc
	s_branch .LBB361_847
.LBB361_846:
	s_mov_b64 s[4:5], -1
                                        ; implicit-def: $vgpr4
.LBB361_847:
	s_mov_b64 s[10:11], 0
.LBB361_848:
	s_and_b64 vcc, exec, s[10:11]
	s_cbranch_vccz .LBB361_852
; %bb.849:
	s_cmp_eq_u32 s12, 29
	s_cbranch_scc0 .LBB361_851
; %bb.850:
	global_load_dwordx2 v[4:5], v[2:3], off
	s_mov_b64 s[4:5], 0
	s_mov_b64 s[8:9], -1
	s_branch .LBB361_852
.LBB361_851:
	s_mov_b64 s[4:5], -1
                                        ; implicit-def: $vgpr4
.LBB361_852:
	s_mov_b64 s[10:11], 0
.LBB361_853:
	s_and_b64 vcc, exec, s[10:11]
	s_cbranch_vccz .LBB361_869
; %bb.854:
	s_cmp_lt_i32 s12, 27
	s_cbranch_scc1 .LBB361_857
; %bb.855:
	s_cmp_gt_i32 s12, 27
	s_cbranch_scc0 .LBB361_858
; %bb.856:
	global_load_dword v4, v[2:3], off
	s_mov_b64 s[8:9], 0
	s_branch .LBB361_859
.LBB361_857:
	s_mov_b64 s[8:9], -1
                                        ; implicit-def: $vgpr4
	s_branch .LBB361_862
.LBB361_858:
	s_mov_b64 s[8:9], -1
                                        ; implicit-def: $vgpr4
.LBB361_859:
	s_andn2_b64 vcc, exec, s[8:9]
	s_cbranch_vccnz .LBB361_861
; %bb.860:
	global_load_ushort v4, v[2:3], off
.LBB361_861:
	s_mov_b64 s[8:9], 0
.LBB361_862:
	s_andn2_b64 vcc, exec, s[8:9]
	s_cbranch_vccnz .LBB361_868
; %bb.863:
	global_load_ubyte v1, v[2:3], off
	s_movk_i32 s8, 0x7f
	s_mov_b64 s[10:11], 0
	s_waitcnt vmcnt(0)
	v_cmp_lt_i16_e32 vcc, s8, v1
	s_and_saveexec_b64 s[8:9], vcc
	s_xor_b64 s[8:9], exec, s[8:9]
	s_cbranch_execz .LBB361_880
; %bb.864:
	s_movk_i32 s10, 0x80
	v_cmp_ne_u16_e32 vcc, s10, v1
	s_and_b64 s[10:11], vcc, exec
	s_andn2_saveexec_b64 s[8:9], s[8:9]
	s_cbranch_execnz .LBB361_881
.LBB361_865:
	s_or_b64 exec, exec, s[8:9]
	v_mov_b32_e32 v4, 0
	s_and_saveexec_b64 s[8:9], s[10:11]
	s_cbranch_execz .LBB361_867
.LBB361_866:
	v_lshlrev_b32_e32 v4, 24, v1
	v_and_b32_e32 v1, 0xffff, v1
	v_and_b32_e32 v5, 7, v1
	v_ffbh_u32_e32 v7, v5
	v_min_u32_e32 v7, 32, v7
	v_subrev_u32_e32 v8, 28, v7
	v_bfe_u32 v6, v1, 3, 4
	v_lshlrev_b32_e32 v1, v8, v1
	v_sub_u32_e32 v7, 29, v7
	v_and_b32_e32 v1, 7, v1
	v_cmp_eq_u32_e32 vcc, 0, v6
	v_and_b32_e32 v4, 0x80000000, v4
	s_nop 0
	v_cndmask_b32_e32 v6, v6, v7, vcc
	v_cndmask_b32_e32 v1, v5, v1, vcc
	v_mov_b32_e32 v5, 0x3b800000
	v_lshlrev_b32_e32 v1, 20, v1
	v_lshl_add_u32 v5, v6, 23, v5
	v_or3_b32 v1, v4, v5, v1
	v_cvt_i32_f32_e32 v4, v1
.LBB361_867:
	s_or_b64 exec, exec, s[8:9]
.LBB361_868:
	s_mov_b64 s[8:9], -1
.LBB361_869:
	s_mov_b64 s[10:11], 0
.LBB361_870:
	s_and_b64 vcc, exec, s[10:11]
	s_cbranch_vccz .LBB361_901
; %bb.871:
	s_cmp_gt_i32 s12, 22
	s_cbranch_scc0 .LBB361_879
; %bb.872:
	s_cmp_lt_i32 s12, 24
	s_cbranch_scc1 .LBB361_882
; %bb.873:
	s_cmp_gt_i32 s12, 24
	s_cbranch_scc0 .LBB361_883
; %bb.874:
	global_load_ubyte v1, v[2:3], off
	s_movk_i32 s6, 0x7f
	s_mov_b64 s[8:9], 0
	s_waitcnt vmcnt(0)
	v_cmp_lt_i16_e32 vcc, s6, v1
	s_and_saveexec_b64 s[6:7], vcc
	s_xor_b64 s[6:7], exec, s[6:7]
	s_cbranch_execz .LBB361_895
; %bb.875:
	s_movk_i32 s8, 0x80
	v_cmp_ne_u16_e32 vcc, s8, v1
	s_and_b64 s[8:9], vcc, exec
	s_andn2_saveexec_b64 s[6:7], s[6:7]
	s_cbranch_execnz .LBB361_896
.LBB361_876:
	s_or_b64 exec, exec, s[6:7]
	v_mov_b32_e32 v4, 0
	s_and_saveexec_b64 s[6:7], s[8:9]
	s_cbranch_execz .LBB361_878
.LBB361_877:
	v_lshlrev_b32_e32 v4, 24, v1
	v_and_b32_e32 v1, 0xffff, v1
	v_and_b32_e32 v5, 3, v1
	v_ffbh_u32_e32 v7, v5
	v_min_u32_e32 v7, 32, v7
	v_subrev_u32_e32 v8, 29, v7
	v_bfe_u32 v6, v1, 2, 5
	v_lshlrev_b32_e32 v1, v8, v1
	v_sub_u32_e32 v7, 30, v7
	v_and_b32_e32 v1, 3, v1
	v_cmp_eq_u32_e32 vcc, 0, v6
	v_and_b32_e32 v4, 0x80000000, v4
	s_nop 0
	v_cndmask_b32_e32 v6, v6, v7, vcc
	v_cndmask_b32_e32 v1, v5, v1, vcc
	v_mov_b32_e32 v5, 0x37800000
	v_lshlrev_b32_e32 v1, 21, v1
	v_lshl_add_u32 v5, v6, 23, v5
	v_or3_b32 v1, v4, v5, v1
	v_cvt_i32_f32_e32 v4, v1
.LBB361_878:
	s_or_b64 exec, exec, s[6:7]
	s_mov_b64 s[6:7], 0
	s_branch .LBB361_884
.LBB361_879:
	s_mov_b64 s[6:7], -1
                                        ; implicit-def: $vgpr4
	s_branch .LBB361_890
.LBB361_880:
	s_andn2_saveexec_b64 s[8:9], s[8:9]
	s_cbranch_execz .LBB361_865
.LBB361_881:
	v_cmp_ne_u16_e32 vcc, 0, v1
	s_andn2_b64 s[10:11], s[10:11], exec
	s_and_b64 s[16:17], vcc, exec
	s_or_b64 s[10:11], s[10:11], s[16:17]
	s_or_b64 exec, exec, s[8:9]
	v_mov_b32_e32 v4, 0
	s_and_saveexec_b64 s[8:9], s[10:11]
	s_cbranch_execnz .LBB361_866
	s_branch .LBB361_867
.LBB361_882:
	s_mov_b64 s[6:7], -1
                                        ; implicit-def: $vgpr4
	s_branch .LBB361_887
.LBB361_883:
	s_mov_b64 s[6:7], -1
                                        ; implicit-def: $vgpr4
.LBB361_884:
	s_and_b64 vcc, exec, s[6:7]
	s_cbranch_vccz .LBB361_886
; %bb.885:
	global_load_ubyte v1, v[2:3], off
	s_mov_b32 s6, 0x7f800000
	s_waitcnt vmcnt(0)
	v_lshlrev_b32_e32 v1, 24, v1
	v_and_b32_e32 v4, 0x7f000000, v1
	v_ffbh_u32_e32 v5, v4
	v_min_u32_e32 v5, 32, v5
	v_sub_u32_e64 v5, v5, 4 clamp
	v_lshlrev_b32_e32 v7, v5, v4
	v_lshlrev_b32_e32 v5, 23, v5
	v_lshrrev_b32_e32 v7, 4, v7
	v_add_u32_e32 v6, 0x1000000, v4
	v_sub_u32_e32 v5, v7, v5
	v_ashrrev_i32_e32 v6, 8, v6
	v_add_u32_e32 v5, 0x3c000000, v5
	v_and_or_b32 v5, v6, s6, v5
	v_cmp_ne_u32_e32 vcc, 0, v4
	s_brev_b32 s6, 1
	s_nop 0
	v_cndmask_b32_e32 v4, 0, v5, vcc
	v_and_or_b32 v1, v1, s6, v4
	v_cvt_i32_f32_e32 v4, v1
.LBB361_886:
	s_mov_b64 s[6:7], 0
.LBB361_887:
	s_andn2_b64 vcc, exec, s[6:7]
	s_cbranch_vccnz .LBB361_889
; %bb.888:
	global_load_ubyte v1, v[2:3], off
	s_movk_i32 s6, 0x7f00
	s_brev_b32 s7, 16
	s_waitcnt vmcnt(0)
	v_lshlrev_b16_e32 v4, 8, v1
	v_lshlrev_b32_e32 v1, 25, v1
	v_lshrrev_b32_e32 v5, 4, v1
	v_and_or_b32 v6, v4, s6, 0.5
	v_or_b32_e32 v5, 0x70000000, v5
	v_add_f32_e32 v6, -0.5, v6
	v_mul_f32_e32 v5, 0x7800000, v5
	v_cmp_gt_u32_e32 vcc, s7, v1
	v_bfe_i32 v4, v4, 0, 16
	s_brev_b32 s6, 1
	v_cndmask_b32_e32 v1, v5, v6, vcc
	v_and_or_b32 v1, v4, s6, v1
	v_cvt_i32_f32_e32 v4, v1
.LBB361_889:
	s_mov_b64 s[6:7], 0
	s_mov_b64 s[8:9], -1
.LBB361_890:
	s_andn2_b64 vcc, exec, s[6:7]
	s_mov_b64 s[6:7], 0
	s_cbranch_vccnz .LBB361_901
; %bb.891:
	s_cmp_gt_i32 s12, 14
	s_cbranch_scc0 .LBB361_894
; %bb.892:
	s_cmp_eq_u32 s12, 15
	s_cbranch_scc0 .LBB361_897
; %bb.893:
	global_load_ushort v1, v[2:3], off
	s_mov_b64 s[4:5], 0
	s_mov_b64 s[8:9], -1
	s_waitcnt vmcnt(0)
	v_lshlrev_b32_e32 v1, 16, v1
	v_cvt_i32_f32_e32 v4, v1
	s_branch .LBB361_898
.LBB361_894:
	s_mov_b64 s[10:11], -1
                                        ; implicit-def: $vgpr4
	s_branch .LBB361_899
.LBB361_895:
	s_andn2_saveexec_b64 s[6:7], s[6:7]
	s_cbranch_execz .LBB361_876
.LBB361_896:
	v_cmp_ne_u16_e32 vcc, 0, v1
	s_andn2_b64 s[8:9], s[8:9], exec
	s_and_b64 s[10:11], vcc, exec
	s_or_b64 s[8:9], s[8:9], s[10:11]
	s_or_b64 exec, exec, s[6:7]
	v_mov_b32_e32 v4, 0
	s_and_saveexec_b64 s[6:7], s[8:9]
	s_cbranch_execnz .LBB361_877
	s_branch .LBB361_878
.LBB361_897:
	s_mov_b64 s[4:5], -1
                                        ; implicit-def: $vgpr4
.LBB361_898:
	s_mov_b64 s[10:11], 0
.LBB361_899:
	s_and_b64 vcc, exec, s[10:11]
	s_cbranch_vccz .LBB361_901
; %bb.900:
	s_cmp_lg_u32 s12, 11
	s_cselect_b64 s[10:11], -1, 0
	s_andn2_b64 s[4:5], s[4:5], exec
	s_and_b64 s[10:11], s[10:11], exec
	s_mov_b64 s[6:7], -1
	s_or_b64 s[4:5], s[4:5], s[10:11]
.LBB361_901:
	s_mov_b64 s[10:11], 0
.LBB361_902:
	s_andn2_b64 s[12:13], s[2:3], exec
	s_and_b64 s[4:5], s[4:5], exec
	s_and_b64 s[8:9], s[8:9], exec
	;; [unrolled: 1-line block ×4, first 2 shown]
	s_or_b64 s[12:13], s[12:13], s[4:5]
.LBB361_903:
	s_or_b64 exec, exec, s[70:71]
	s_and_b64 s[4:5], s[6:7], exec
	s_andn2_b64 s[2:3], s[2:3], exec
	s_and_b64 s[6:7], s[12:13], exec
	s_and_b64 s[8:9], s[8:9], exec
	;; [unrolled: 1-line block ×3, first 2 shown]
	s_or_b64 s[2:3], s[2:3], s[6:7]
.LBB361_904:
	s_or_b64 exec, exec, s[66:67]
	s_andn2_b64 s[6:7], s[62:63], exec
	s_and_b64 s[12:13], s[68:69], exec
	s_or_b64 s[62:63], s[6:7], s[12:13]
	s_and_b64 s[6:7], s[10:11], exec
	s_andn2_b64 s[10:11], s[60:61], exec
	s_and_b64 s[2:3], s[2:3], exec
	s_and_b64 s[8:9], s[8:9], exec
	;; [unrolled: 1-line block ×3, first 2 shown]
	s_or_b64 s[60:61], s[10:11], s[2:3]
.LBB361_905:
	s_or_b64 exec, exec, s[64:65]
	s_andn2_b64 s[2:3], s[54:55], exec
	s_and_b64 s[10:11], s[62:63], exec
	s_or_b64 s[54:55], s[2:3], s[10:11]
	s_and_b64 s[2:3], s[8:9], exec
	s_and_b64 s[8:9], s[6:7], exec
	;; [unrolled: 1-line block ×3, first 2 shown]
	s_andn2_b64 s[4:5], s[56:57], exec
	s_and_b64 s[6:7], s[60:61], exec
	s_or_b64 s[56:57], s[4:5], s[6:7]
	s_or_b64 exec, exec, s[58:59]
	s_mov_b64 s[4:5], 0
	s_and_saveexec_b64 s[6:7], s[56:57]
	s_cbranch_execz .LBB361_272
.LBB361_906:
	s_mov_b64 s[4:5], exec
	s_andn2_b64 s[62:63], s[62:63], exec
	s_trap 2
	s_or_b64 exec, exec, s[6:7]
	s_and_saveexec_b64 s[6:7], s[62:63]
	s_xor_b64 s[6:7], exec, s[6:7]
	s_cbranch_execnz .LBB361_273
.LBB361_907:
	s_or_b64 exec, exec, s[6:7]
	s_and_saveexec_b64 s[6:7], s[8:9]
	s_cbranch_execz .LBB361_953
.LBB361_908:
	s_sext_i32_i16 s8, s14
	s_cmp_lt_i32 s8, 5
	s_cbranch_scc1 .LBB361_913
; %bb.909:
	s_cmp_lt_i32 s8, 8
	s_cbranch_scc1 .LBB361_914
; %bb.910:
	;; [unrolled: 3-line block ×3, first 2 shown]
	s_cmp_gt_i32 s8, 9
	s_cbranch_scc0 .LBB361_916
; %bb.912:
	global_load_dwordx2 v[4:5], v[2:3], off
	s_mov_b64 s[8:9], 0
	s_waitcnt vmcnt(0)
	v_cvt_i32_f64_e32 v4, v[4:5]
	s_branch .LBB361_917
.LBB361_913:
                                        ; implicit-def: $vgpr4
	s_branch .LBB361_934
.LBB361_914:
                                        ; implicit-def: $vgpr4
	s_branch .LBB361_923
.LBB361_915:
	s_mov_b64 s[8:9], -1
                                        ; implicit-def: $vgpr4
	s_branch .LBB361_920
.LBB361_916:
	s_mov_b64 s[8:9], -1
                                        ; implicit-def: $vgpr4
.LBB361_917:
	s_andn2_b64 vcc, exec, s[8:9]
	s_cbranch_vccnz .LBB361_919
; %bb.918:
	global_load_dword v1, v[2:3], off
	s_waitcnt vmcnt(0)
	v_cvt_i32_f32_e32 v4, v1
.LBB361_919:
	s_mov_b64 s[8:9], 0
.LBB361_920:
	s_andn2_b64 vcc, exec, s[8:9]
	s_cbranch_vccnz .LBB361_922
; %bb.921:
	global_load_dword v1, v[2:3], off
	s_waitcnt vmcnt(0)
	v_cvt_i16_f16_e32 v4, v1
.LBB361_922:
	s_cbranch_execnz .LBB361_933
.LBB361_923:
	s_sext_i32_i16 s8, s14
	s_cmp_lt_i32 s8, 6
	s_cbranch_scc1 .LBB361_926
; %bb.924:
	s_cmp_gt_i32 s8, 6
	s_cbranch_scc0 .LBB361_927
; %bb.925:
	global_load_dwordx2 v[4:5], v[2:3], off
	s_mov_b64 s[8:9], 0
	s_waitcnt vmcnt(0)
	v_cvt_i32_f64_e32 v4, v[4:5]
	s_branch .LBB361_928
.LBB361_926:
	s_mov_b64 s[8:9], -1
                                        ; implicit-def: $vgpr4
	s_branch .LBB361_931
.LBB361_927:
	s_mov_b64 s[8:9], -1
                                        ; implicit-def: $vgpr4
.LBB361_928:
	s_andn2_b64 vcc, exec, s[8:9]
	s_cbranch_vccnz .LBB361_930
; %bb.929:
	global_load_dword v1, v[2:3], off
	s_waitcnt vmcnt(0)
	v_cvt_i32_f32_e32 v4, v1
.LBB361_930:
	s_mov_b64 s[8:9], 0
.LBB361_931:
	s_andn2_b64 vcc, exec, s[8:9]
	s_cbranch_vccnz .LBB361_933
; %bb.932:
	global_load_ushort v1, v[2:3], off
	s_waitcnt vmcnt(0)
	v_cvt_i16_f16_e32 v4, v1
.LBB361_933:
	s_cbranch_execnz .LBB361_952
.LBB361_934:
	s_sext_i32_i16 s8, s14
	s_cmp_lt_i32 s8, 2
	s_cbranch_scc1 .LBB361_938
; %bb.935:
	s_cmp_lt_i32 s8, 3
	s_cbranch_scc1 .LBB361_939
; %bb.936:
	s_cmp_gt_i32 s8, 3
	s_cbranch_scc0 .LBB361_940
; %bb.937:
	global_load_dwordx2 v[4:5], v[2:3], off
	s_mov_b64 s[8:9], 0
	s_branch .LBB361_941
.LBB361_938:
                                        ; implicit-def: $vgpr4
	s_branch .LBB361_947
.LBB361_939:
	s_mov_b64 s[8:9], -1
                                        ; implicit-def: $vgpr4
	s_branch .LBB361_944
.LBB361_940:
	s_mov_b64 s[8:9], -1
                                        ; implicit-def: $vgpr4
.LBB361_941:
	s_andn2_b64 vcc, exec, s[8:9]
	s_cbranch_vccnz .LBB361_943
; %bb.942:
	global_load_dword v4, v[2:3], off
.LBB361_943:
	s_mov_b64 s[8:9], 0
.LBB361_944:
	s_andn2_b64 vcc, exec, s[8:9]
	s_cbranch_vccnz .LBB361_946
; %bb.945:
	global_load_ushort v4, v[2:3], off
.LBB361_946:
	s_cbranch_execnz .LBB361_952
.LBB361_947:
	s_sext_i32_i16 s8, s14
	s_cmp_gt_i32 s8, 0
	s_cbranch_scc0 .LBB361_949
; %bb.948:
	global_load_ubyte v4, v[2:3], off
	s_mov_b64 s[8:9], 0
	s_branch .LBB361_950
.LBB361_949:
	s_mov_b64 s[8:9], -1
                                        ; implicit-def: $vgpr4
.LBB361_950:
	s_andn2_b64 vcc, exec, s[8:9]
	s_cbranch_vccnz .LBB361_952
; %bb.951:
	global_load_ubyte v4, v[2:3], off
.LBB361_952:
	s_or_b64 s[2:3], s[2:3], exec
.LBB361_953:
	s_or_b64 exec, exec, s[6:7]
	s_mov_b64 s[10:11], 0
	s_mov_b64 s[8:9], 0
                                        ; implicit-def: $sgpr16
                                        ; implicit-def: $vgpr2_vgpr3
                                        ; implicit-def: $vgpr5
	s_and_saveexec_b64 s[6:7], s[2:3]
	s_cbranch_execz .LBB361_961
; %bb.954:
	s_bfe_i32 s2, s74, 0x80000
	v_mov_b32_e32 v1, 0
	s_and_b32 s16, s73, 0xff
	s_waitcnt vmcnt(0)
	v_max_i16_sdwa v5, sext(v4), s2 dst_sel:DWORD dst_unused:UNUSED_PAD src0_sel:BYTE_0 src1_sel:DWORD
	s_cmp_lt_i32 s16, 11
	v_lshl_add_u64 v[2:3], s[20:21], 0, v[0:1]
	s_cbranch_scc1 .LBB361_964
; %bb.955:
	s_and_b32 s17, 0xffff, s16
	s_mov_b64 s[10:11], -1
	s_cmp_gt_i32 s17, 25
	s_mov_b64 s[2:3], s[54:55]
	s_cbranch_scc0 .LBB361_992
; %bb.956:
	s_mov_b64 s[8:9], -1
	s_cmp_gt_i32 s17, 28
	s_mov_b64 s[2:3], s[54:55]
	s_cbranch_scc0 .LBB361_976
; %bb.957:
	s_cmp_gt_i32 s17, 43
	s_mov_b64 s[2:3], s[54:55]
	s_cbranch_scc0 .LBB361_972
; %bb.958:
	;; [unrolled: 4-line block ×3, first 2 shown]
	s_cmp_eq_u32 s17, 46
	s_mov_b64 s[2:3], -1
	s_cbranch_scc0 .LBB361_965
; %bb.960:
	v_cvt_f32_i32_sdwa v0, sext(v5) dst_sel:DWORD dst_unused:UNUSED_PAD src0_sel:WORD_0
	s_movk_i32 s2, 0x7fff
	s_mov_b64 s[8:9], 0
	v_bfe_u32 v1, v0, 16, 1
	v_add3_u32 v0, v0, v1, s2
	v_lshrrev_b32_e32 v0, 16, v0
	global_store_dword v[2:3], v0, off
	s_mov_b64 s[2:3], 0
	s_branch .LBB361_966
.LBB361_961:
	s_or_b64 exec, exec, s[6:7]
	s_and_saveexec_b64 s[2:3], s[54:55]
	s_cbranch_execnz .LBB361_1034
.LBB361_962:
	s_or_b64 exec, exec, s[2:3]
	s_and_saveexec_b64 s[2:3], s[10:11]
	s_xor_b64 s[2:3], exec, s[2:3]
	s_cbranch_execz .LBB361_1035
.LBB361_963:
	v_mov_b32_e32 v0, 0
	s_waitcnt vmcnt(0)
	v_cmp_ne_u16_sdwa s[6:7], v5, v0 src0_sel:BYTE_0 src1_sel:DWORD
	s_nop 1
	v_cndmask_b32_e64 v0, 0, 1, s[6:7]
	global_store_byte v[2:3], v0, off
	s_or_b64 exec, exec, s[2:3]
	s_and_saveexec_b64 s[2:3], s[8:9]
	s_xor_b64 s[2:3], exec, s[2:3]
	s_cbranch_execz .LBB361_1073
	s_branch .LBB361_1036
.LBB361_964:
	s_mov_b64 s[8:9], -1
	s_mov_b64 s[2:3], s[54:55]
	s_branch .LBB361_1033
.LBB361_965:
	s_mov_b64 s[8:9], 0
.LBB361_966:
	s_and_b64 vcc, exec, s[8:9]
	s_cbranch_vccz .LBB361_971
; %bb.967:
	s_cmp_eq_u32 s17, 44
	s_mov_b64 s[2:3], -1
	s_cbranch_scc0 .LBB361_971
; %bb.968:
	v_cvt_f32_i32_sdwa v0, sext(v5) dst_sel:DWORD dst_unused:UNUSED_PAD src0_sel:WORD_0
	s_movk_i32 s2, 0xff
	v_mov_b32_e32 v4, 0xff
	v_bfe_u32 v1, v0, 23, 8
	v_cmp_ne_u32_e32 vcc, s2, v1
	s_and_saveexec_b64 s[8:9], vcc
; %bb.969:
	s_mov_b32 s2, 0x3fffff
	v_lshrrev_b32_e32 v4, 23, v0
	v_and_b32_e32 v6, 0x400000, v0
	v_and_or_b32 v0, v0, s2, v1
	v_cmp_ne_u32_e32 vcc, 0, v6
	v_cmp_ne_u32_e64 s[2:3], 0, v0
	s_and_b64 s[2:3], vcc, s[2:3]
	s_nop 0
	v_cndmask_b32_e64 v0, 0, 1, s[2:3]
	v_add_u32_e32 v4, v4, v0
; %bb.970:
	s_or_b64 exec, exec, s[8:9]
	s_mov_b64 s[2:3], 0
	global_store_byte v[2:3], v4, off
.LBB361_971:
	s_mov_b64 s[8:9], 0
.LBB361_972:
	s_and_b64 vcc, exec, s[8:9]
	s_cbranch_vccz .LBB361_975
; %bb.973:
	s_cmp_eq_u32 s17, 29
	s_mov_b64 s[2:3], -1
	s_cbranch_scc0 .LBB361_975
; %bb.974:
	v_bfe_i32 v0, v5, 0, 16
	v_ashrrev_i32_e32 v1, 31, v0
	global_store_dwordx2 v[2:3], v[0:1], off
	s_mov_b64 s[2:3], 0
.LBB361_975:
	s_mov_b64 s[8:9], 0
.LBB361_976:
	s_and_b64 vcc, exec, s[8:9]
	s_cbranch_vccz .LBB361_991
; %bb.977:
	s_cmp_lt_i32 s17, 27
	s_mov_b64 s[8:9], -1
	s_cbranch_scc1 .LBB361_983
; %bb.978:
	s_cmp_gt_i32 s17, 27
	s_cbranch_scc0 .LBB361_980
; %bb.979:
	v_bfe_i32 v0, v5, 0, 16
	s_mov_b64 s[8:9], 0
	global_store_dword v[2:3], v0, off
.LBB361_980:
	s_andn2_b64 vcc, exec, s[8:9]
	s_cbranch_vccnz .LBB361_982
; %bb.981:
	global_store_short v[2:3], v5, off
.LBB361_982:
	s_mov_b64 s[8:9], 0
.LBB361_983:
	s_andn2_b64 vcc, exec, s[8:9]
	s_cbranch_vccnz .LBB361_991
; %bb.984:
	v_cvt_f32_i32_sdwa v0, sext(v5) dst_sel:DWORD dst_unused:UNUSED_PAD src0_sel:WORD_0
	s_mov_b32 s8, 0x43800000
	v_mov_b32_e32 v4, 0x80
	v_and_b32_e32 v1, 0x7fffffff, v0
	v_cmp_gt_u32_e32 vcc, s8, v1
	s_and_saveexec_b64 s[8:9], vcc
	s_cbranch_execz .LBB361_990
; %bb.985:
	s_mov_b32 s10, 0x3bffffff
	v_cmp_lt_u32_e32 vcc, s10, v1
	s_mov_b64 s[10:11], 0
                                        ; implicit-def: $vgpr1
	s_and_saveexec_b64 s[12:13], vcc
	s_xor_b64 s[12:13], exec, s[12:13]
	s_cbranch_execz .LBB361_1144
; %bb.986:
	v_bfe_u32 v1, v0, 20, 1
	s_mov_b32 s14, 0x487ffff
	v_add3_u32 v1, v0, v1, s14
	s_mov_b64 s[10:11], exec
	v_lshrrev_b32_e32 v1, 20, v1
	s_andn2_saveexec_b64 s[12:13], s[12:13]
	s_cbranch_execnz .LBB361_1145
.LBB361_987:
	s_or_b64 exec, exec, s[12:13]
	v_mov_b32_e32 v4, 0
	s_and_saveexec_b64 s[12:13], s[10:11]
.LBB361_988:
	v_lshrrev_b32_e32 v0, 24, v0
	s_movk_i32 s10, 0x80
	v_and_or_b32 v4, v0, s10, v1
.LBB361_989:
	s_or_b64 exec, exec, s[12:13]
.LBB361_990:
	s_or_b64 exec, exec, s[8:9]
	global_store_byte v[2:3], v4, off
.LBB361_991:
	s_mov_b64 s[10:11], 0
.LBB361_992:
	s_mov_b64 s[8:9], 0
	s_and_b64 vcc, exec, s[10:11]
	s_cbranch_vccz .LBB361_1032
; %bb.993:
	s_cmp_gt_i32 s17, 22
	s_mov_b64 s[10:11], -1
	s_cbranch_scc0 .LBB361_1025
; %bb.994:
	s_cmp_lt_i32 s17, 24
	s_cbranch_scc1 .LBB361_1014
; %bb.995:
	s_cmp_gt_i32 s17, 24
	s_cbranch_scc0 .LBB361_1003
; %bb.996:
	v_cvt_f32_i32_sdwa v0, sext(v5) dst_sel:DWORD dst_unused:UNUSED_PAD src0_sel:WORD_0
	s_mov_b32 s10, 0x47800000
	v_mov_b32_e32 v4, 0x80
	v_and_b32_e32 v1, 0x7fffffff, v0
	v_cmp_gt_u32_e32 vcc, s10, v1
	s_and_saveexec_b64 s[10:11], vcc
	s_cbranch_execz .LBB361_1002
; %bb.997:
	s_mov_b32 s12, 0x37ffffff
	v_cmp_lt_u32_e32 vcc, s12, v1
	s_mov_b64 s[12:13], 0
                                        ; implicit-def: $vgpr1
	s_and_saveexec_b64 s[14:15], vcc
	s_xor_b64 s[14:15], exec, s[14:15]
	s_cbranch_execz .LBB361_1264
; %bb.998:
	v_bfe_u32 v1, v0, 21, 1
	s_mov_b32 s18, 0x88fffff
	v_add3_u32 v1, v0, v1, s18
	s_mov_b64 s[12:13], exec
	v_lshrrev_b32_e32 v1, 21, v1
	s_andn2_saveexec_b64 s[14:15], s[14:15]
	s_cbranch_execnz .LBB361_1265
.LBB361_999:
	s_or_b64 exec, exec, s[14:15]
	v_mov_b32_e32 v4, 0
	s_and_saveexec_b64 s[14:15], s[12:13]
.LBB361_1000:
	v_lshrrev_b32_e32 v0, 24, v0
	s_movk_i32 s12, 0x80
	v_and_or_b32 v4, v0, s12, v1
.LBB361_1001:
	s_or_b64 exec, exec, s[14:15]
.LBB361_1002:
	s_or_b64 exec, exec, s[10:11]
	s_mov_b64 s[10:11], 0
	global_store_byte v[2:3], v4, off
.LBB361_1003:
	s_and_b64 vcc, exec, s[10:11]
	s_cbranch_vccz .LBB361_1013
; %bb.1004:
	v_cvt_f32_i32_sdwa v0, sext(v5) dst_sel:DWORD dst_unused:UNUSED_PAD src0_sel:WORD_0
	s_mov_b32 s10, 0x43f00000
                                        ; implicit-def: $vgpr1
	v_and_b32_e32 v4, 0x7fffffff, v0
	v_cmp_gt_u32_e32 vcc, s10, v4
	s_and_saveexec_b64 s[10:11], vcc
	s_xor_b64 s[10:11], exec, s[10:11]
	s_cbranch_execz .LBB361_1010
; %bb.1005:
	s_mov_b32 s12, 0x3c7fffff
	v_cmp_lt_u32_e32 vcc, s12, v4
                                        ; implicit-def: $vgpr1
	s_and_saveexec_b64 s[12:13], vcc
	s_xor_b64 s[12:13], exec, s[12:13]
; %bb.1006:
	v_bfe_u32 v1, v0, 20, 1
	s_mov_b32 s14, 0x407ffff
	v_add3_u32 v1, v0, v1, s14
	v_lshrrev_b32_e32 v4, 20, v1
	v_and_b32_e32 v1, 0xff00000, v1
	s_mov_b32 s14, 0x7f00000
	v_mov_b32_e32 v6, 0x7e
	v_cmp_ne_u32_e32 vcc, s14, v1
	s_nop 1
	v_cndmask_b32_e32 v1, v6, v4, vcc
; %bb.1007:
	s_andn2_saveexec_b64 s[12:13], s[12:13]
; %bb.1008:
	s_mov_b32 s14, 0x46800000
	v_add_f32_e64 v1, |v0|, s14
; %bb.1009:
	s_or_b64 exec, exec, s[12:13]
                                        ; implicit-def: $vgpr4
.LBB361_1010:
	s_andn2_saveexec_b64 s[10:11], s[10:11]
; %bb.1011:
	s_mov_b32 s12, 0x7f800000
	v_mov_b32_e32 v1, 0x7e
	v_mov_b32_e32 v6, 0x7f
	v_cmp_lt_u32_e32 vcc, s12, v4
	s_nop 1
	v_cndmask_b32_e32 v1, v1, v6, vcc
; %bb.1012:
	s_or_b64 exec, exec, s[10:11]
	v_lshrrev_b32_e32 v0, 24, v0
	s_movk_i32 s10, 0x80
	v_and_or_b32 v0, v0, s10, v1
	global_store_byte v[2:3], v0, off
.LBB361_1013:
	s_mov_b64 s[10:11], 0
.LBB361_1014:
	s_andn2_b64 vcc, exec, s[10:11]
	s_cbranch_vccnz .LBB361_1024
; %bb.1015:
	v_cvt_f32_i32_sdwa v0, sext(v5) dst_sel:DWORD dst_unused:UNUSED_PAD src0_sel:WORD_0
	s_mov_b32 s10, 0x47800000
                                        ; implicit-def: $vgpr1
	v_and_b32_e32 v4, 0x7fffffff, v0
	v_cmp_gt_u32_e32 vcc, s10, v4
	s_and_saveexec_b64 s[10:11], vcc
	s_xor_b64 s[10:11], exec, s[10:11]
	s_cbranch_execz .LBB361_1021
; %bb.1016:
	s_mov_b32 s12, 0x387fffff
	v_cmp_lt_u32_e32 vcc, s12, v4
                                        ; implicit-def: $vgpr1
	s_and_saveexec_b64 s[12:13], vcc
	s_xor_b64 s[12:13], exec, s[12:13]
; %bb.1017:
	v_bfe_u32 v1, v0, 21, 1
	s_mov_b32 s14, 0x80fffff
	v_add3_u32 v1, v0, v1, s14
	v_lshrrev_b32_e32 v1, 21, v1
; %bb.1018:
	s_andn2_saveexec_b64 s[12:13], s[12:13]
; %bb.1019:
	s_mov_b32 s14, 0x43000000
	v_add_f32_e64 v1, |v0|, s14
; %bb.1020:
	s_or_b64 exec, exec, s[12:13]
                                        ; implicit-def: $vgpr4
.LBB361_1021:
	s_andn2_saveexec_b64 s[10:11], s[10:11]
; %bb.1022:
	s_mov_b32 s12, 0x7f800000
	v_mov_b32_e32 v1, 0x7c
	v_mov_b32_e32 v6, 0x7f
	v_cmp_lt_u32_e32 vcc, s12, v4
	s_nop 1
	v_cndmask_b32_e32 v1, v1, v6, vcc
; %bb.1023:
	s_or_b64 exec, exec, s[10:11]
	v_lshrrev_b32_e32 v0, 24, v0
	s_movk_i32 s10, 0x80
	v_and_or_b32 v0, v0, s10, v1
	global_store_byte v[2:3], v0, off
.LBB361_1024:
	s_mov_b64 s[10:11], 0
.LBB361_1025:
	s_andn2_b64 vcc, exec, s[10:11]
	s_mov_b64 s[10:11], 0
	s_cbranch_vccnz .LBB361_1033
; %bb.1026:
	s_cmp_gt_i32 s17, 14
	s_mov_b64 s[12:13], -1
	s_cbranch_scc0 .LBB361_1030
; %bb.1027:
	s_cmp_eq_u32 s17, 15
	s_mov_b64 s[2:3], -1
	s_cbranch_scc0 .LBB361_1029
; %bb.1028:
	v_cvt_f32_i32_sdwa v0, sext(v5) dst_sel:DWORD dst_unused:UNUSED_PAD src0_sel:WORD_0
	s_movk_i32 s2, 0x7fff
	v_bfe_u32 v1, v0, 16, 1
	v_add3_u32 v0, v0, v1, s2
	global_store_short_d16_hi v[2:3], v0, off
	s_mov_b64 s[2:3], 0
.LBB361_1029:
	s_mov_b64 s[12:13], 0
.LBB361_1030:
	s_and_b64 vcc, exec, s[12:13]
	s_cbranch_vccz .LBB361_1033
; %bb.1031:
	s_cmp_lg_u32 s17, 11
	s_cselect_b64 s[12:13], -1, 0
	s_andn2_b64 s[2:3], s[2:3], exec
	s_and_b64 s[12:13], s[12:13], exec
	s_mov_b64 s[10:11], -1
	s_or_b64 s[2:3], s[2:3], s[12:13]
	s_branch .LBB361_1033
.LBB361_1032:
	s_mov_b64 s[10:11], 0
.LBB361_1033:
	s_andn2_b64 s[12:13], s[54:55], exec
	s_and_b64 s[2:3], s[2:3], exec
	s_and_b64 s[8:9], s[8:9], exec
	;; [unrolled: 1-line block ×3, first 2 shown]
	s_or_b64 s[54:55], s[12:13], s[2:3]
	s_or_b64 exec, exec, s[6:7]
	s_and_saveexec_b64 s[2:3], s[54:55]
	s_cbranch_execz .LBB361_962
.LBB361_1034:
	s_or_b64 s[4:5], s[4:5], exec
	s_andn2_b64 s[10:11], s[10:11], exec
	s_trap 2
	s_or_b64 exec, exec, s[2:3]
	s_and_saveexec_b64 s[2:3], s[10:11]
	s_xor_b64 s[2:3], exec, s[2:3]
	s_cbranch_execnz .LBB361_963
.LBB361_1035:
	s_or_b64 exec, exec, s[2:3]
	s_and_saveexec_b64 s[2:3], s[8:9]
	s_xor_b64 s[2:3], exec, s[2:3]
	s_cbranch_execz .LBB361_1073
.LBB361_1036:
	s_sext_i32_i16 s8, s16
	s_cmp_lt_i32 s8, 5
	s_mov_b64 s[6:7], -1
	s_cbranch_scc1 .LBB361_1057
; %bb.1037:
	s_cmp_lt_i32 s8, 8
	s_cbranch_scc1 .LBB361_1047
; %bb.1038:
	s_cmp_lt_i32 s8, 9
	s_cbranch_scc1 .LBB361_1044
; %bb.1039:
	s_cmp_gt_i32 s8, 9
	s_cbranch_scc0 .LBB361_1041
; %bb.1040:
	s_waitcnt vmcnt(0)
	v_bfe_i32 v0, v5, 0, 8
	v_bfe_i32 v0, v0, 0, 16
	v_mov_b32_e32 v8, 0
	v_cvt_f64_i32_e32 v[6:7], v0
	v_mov_b32_e32 v9, v8
	s_mov_b64 s[6:7], 0
	global_store_dwordx4 v[2:3], v[6:9], off
.LBB361_1041:
	s_andn2_b64 vcc, exec, s[6:7]
	s_cbranch_vccnz .LBB361_1043
; %bb.1042:
	s_waitcnt vmcnt(0)
	v_bfe_i32 v0, v5, 0, 8
	v_cvt_f32_i32_sdwa v0, sext(v0) dst_sel:DWORD dst_unused:UNUSED_PAD src0_sel:WORD_0
	v_mov_b32_e32 v1, 0
	global_store_dwordx2 v[2:3], v[0:1], off
.LBB361_1043:
	s_mov_b64 s[6:7], 0
.LBB361_1044:
	s_andn2_b64 vcc, exec, s[6:7]
	s_cbranch_vccnz .LBB361_1046
; %bb.1045:
	s_waitcnt vmcnt(0)
	v_cvt_f16_i16_sdwa v0, sext(v5) dst_sel:DWORD dst_unused:UNUSED_PAD src0_sel:BYTE_0
	global_store_dword v[2:3], v0, off
.LBB361_1046:
	s_mov_b64 s[6:7], 0
.LBB361_1047:
	s_andn2_b64 vcc, exec, s[6:7]
	s_cbranch_vccnz .LBB361_1056
; %bb.1048:
	s_sext_i32_i16 s8, s16
	s_cmp_lt_i32 s8, 6
	s_mov_b64 s[6:7], -1
	s_cbranch_scc1 .LBB361_1054
; %bb.1049:
	s_cmp_gt_i32 s8, 6
	s_cbranch_scc0 .LBB361_1051
; %bb.1050:
	s_waitcnt vmcnt(0)
	v_bfe_i32 v0, v5, 0, 8
	v_bfe_i32 v0, v0, 0, 16
	v_cvt_f64_i32_e32 v[0:1], v0
	s_mov_b64 s[6:7], 0
	global_store_dwordx2 v[2:3], v[0:1], off
.LBB361_1051:
	s_andn2_b64 vcc, exec, s[6:7]
	s_cbranch_vccnz .LBB361_1053
; %bb.1052:
	s_waitcnt vmcnt(0)
	v_bfe_i32 v0, v5, 0, 8
	v_cvt_f32_i32_sdwa v0, sext(v0) dst_sel:DWORD dst_unused:UNUSED_PAD src0_sel:WORD_0
	global_store_dword v[2:3], v0, off
.LBB361_1053:
	s_mov_b64 s[6:7], 0
.LBB361_1054:
	s_andn2_b64 vcc, exec, s[6:7]
	s_cbranch_vccnz .LBB361_1056
; %bb.1055:
	s_waitcnt vmcnt(0)
	v_cvt_f16_i16_sdwa v0, sext(v5) dst_sel:DWORD dst_unused:UNUSED_PAD src0_sel:BYTE_0
	global_store_short v[2:3], v0, off
.LBB361_1056:
	s_mov_b64 s[6:7], 0
.LBB361_1057:
	s_andn2_b64 vcc, exec, s[6:7]
	s_cbranch_vccnz .LBB361_1073
; %bb.1058:
	s_sext_i32_i16 s8, s16
	s_cmp_lt_i32 s8, 2
	s_mov_b64 s[6:7], -1
	s_cbranch_scc1 .LBB361_1068
; %bb.1059:
	s_cmp_lt_i32 s8, 3
	s_cbranch_scc1 .LBB361_1065
; %bb.1060:
	s_cmp_gt_i32 s8, 3
	s_cbranch_scc0 .LBB361_1062
; %bb.1061:
	s_waitcnt vmcnt(0)
	v_bfe_i32 v0, v5, 0, 8
	v_ashrrev_i32_e32 v1, 31, v0
	s_mov_b64 s[6:7], 0
	global_store_dwordx2 v[2:3], v[0:1], off
.LBB361_1062:
	s_andn2_b64 vcc, exec, s[6:7]
	s_cbranch_vccnz .LBB361_1064
; %bb.1063:
	s_waitcnt vmcnt(0)
	v_bfe_i32 v0, v5, 0, 8
	global_store_dword v[2:3], v0, off
.LBB361_1064:
	s_mov_b64 s[6:7], 0
.LBB361_1065:
	s_andn2_b64 vcc, exec, s[6:7]
	s_cbranch_vccnz .LBB361_1067
; %bb.1066:
	s_waitcnt vmcnt(0)
	v_bfe_i32 v0, v5, 0, 8
	global_store_short v[2:3], v0, off
.LBB361_1067:
	s_mov_b64 s[6:7], 0
.LBB361_1068:
	s_andn2_b64 vcc, exec, s[6:7]
	s_cbranch_vccnz .LBB361_1073
; %bb.1069:
	s_sext_i32_i16 s6, s16
	s_cmp_gt_i32 s6, 0
	s_mov_b64 s[6:7], -1
	s_cbranch_scc0 .LBB361_1071
; %bb.1070:
	s_mov_b64 s[6:7], 0
	s_waitcnt vmcnt(0)
	global_store_byte v[2:3], v5, off
.LBB361_1071:
	s_andn2_b64 vcc, exec, s[6:7]
	s_cbranch_vccnz .LBB361_1073
; %bb.1072:
	s_waitcnt vmcnt(0)
	global_store_byte v[2:3], v5, off
.LBB361_1073:
	s_or_b64 exec, exec, s[2:3]
	s_and_b64 s[24:25], s[4:5], exec
                                        ; implicit-def: $vgpr16
                                        ; implicit-def: $vgpr8
.LBB361_1074:
	s_or_saveexec_b64 s[26:27], s[44:45]
	s_mov_b64 s[6:7], 0
                                        ; implicit-def: $vgpr0_vgpr1
                                        ; implicit-def: $sgpr14
                                        ; implicit-def: $vgpr2
	s_xor_b64 exec, exec, s[26:27]
	s_cbranch_execz .LBB361_2061
; %bb.1075:
	v_cndmask_b32_e64 v0, 0, 1, s[42:43]
	v_cmp_ne_u32_e64 s[2:3], 1, v0
	s_andn2_b64 vcc, exec, s[42:43]
	s_cbranch_vccnz .LBB361_1081
; %bb.1076:
	s_cmp_lg_u32 s33, 0
	s_mov_b32 s36, 0
	s_cbranch_scc0 .LBB361_1082
; %bb.1077:
	s_min_u32 s37, s72, 15
	s_add_i32 s37, s37, 1
	s_cmp_eq_u32 s72, 2
	s_cbranch_scc1 .LBB361_1083
; %bb.1078:
	s_and_b32 s36, s37, 28
	s_add_u32 s28, s34, 0xc4
	s_addc_u32 s29, s35, 0
	s_mov_b32 s38, 0
	v_mov_b32_e32 v6, 0
	v_mov_b32_e32 v14, 0
	s_mov_b64 s[30:31], s[34:35]
	v_mov_b32_e32 v0, v8
.LBB361_1079:                           ; =>This Inner Loop Header: Depth=1
	s_load_dwordx8 s[12:19], s[30:31], 0x4
	s_load_dwordx4 s[20:23], s[30:31], 0x24
	s_load_dwordx8 s[4:11], s[28:29], 0x0
	s_add_u32 s30, s30, 48
	s_addc_u32 s31, s31, 0
	s_waitcnt lgkmcnt(0)
	v_mul_hi_u32 v1, s13, v0
	v_add_u32_e32 v1, v0, v1
	v_lshrrev_b32_e32 v1, s14, v1
	v_mul_lo_u32 v2, v1, s12
	v_mul_hi_u32 v3, s16, v1
	v_sub_u32_e32 v0, v0, v2
	v_add_u32_e32 v2, v1, v3
	v_lshrrev_b32_e32 v2, s17, v2
	s_waitcnt vmcnt(0)
	v_mul_lo_u32 v4, v2, s15
	v_mul_hi_u32 v5, s19, v2
	v_sub_u32_e32 v1, v1, v4
	v_add_u32_e32 v4, v2, v5
	v_mul_lo_u32 v3, v0, s5
	v_mul_lo_u32 v0, v0, s4
	;; [unrolled: 1-line block ×4, first 2 shown]
	v_lshrrev_b32_e32 v4, s20, v4
	v_add3_u32 v1, v0, v6, v1
	v_add3_u32 v3, v3, v14, v5
	v_mul_lo_u32 v0, v4, s18
	v_mul_hi_u32 v5, s22, v4
	v_sub_u32_e32 v0, v2, v0
	v_add_u32_e32 v2, v4, v5
	v_mul_lo_u32 v5, v0, s8
	v_mul_lo_u32 v6, v0, s9
	v_lshrrev_b32_e32 v0, s23, v2
	s_add_i32 s38, s38, 4
	v_mul_lo_u32 v2, v0, s21
	s_add_u32 s28, s28, 32
	v_sub_u32_e32 v2, v4, v2
	s_addc_u32 s29, s29, 0
	v_mul_lo_u32 v4, v2, s10
	v_mul_lo_u32 v2, v2, s11
	s_cmp_lg_u32 s36, s38
	v_add3_u32 v14, v6, v3, v2
	v_add3_u32 v6, v5, v1, v4
	s_cbranch_scc1 .LBB361_1079
; %bb.1080:
	v_mov_b32_e32 v1, v14
	s_and_b32 s8, s37, 3
	s_cmp_eq_u32 s8, 0
	s_cbranch_scc0 .LBB361_1084
	s_branch .LBB361_1086
.LBB361_1081:
                                        ; implicit-def: $vgpr14
                                        ; implicit-def: $vgpr6
	s_branch .LBB361_1087
.LBB361_1082:
	v_mov_b32_e32 v14, 0
	v_mov_b32_e32 v6, 0
	s_branch .LBB361_1086
.LBB361_1083:
	v_mov_b32_e32 v6, 0
                                        ; implicit-def: $vgpr14
	v_mov_b32_e32 v1, v6
	v_mov_b32_e32 v0, v8
	s_and_b32 s8, s37, 3
	s_cmp_eq_u32 s8, 0
	s_cbranch_scc1 .LBB361_1086
.LBB361_1084:
	s_lshl_b32 s4, s36, 3
	s_add_u32 s4, s34, s4
	s_addc_u32 s5, s35, 0
	s_add_u32 s4, s4, 0xc4
	s_addc_u32 s5, s5, 0
	s_mul_i32 s6, s36, 12
	s_add_u32 s6, s34, s6
	s_addc_u32 s7, s35, 0
.LBB361_1085:                           ; =>This Inner Loop Header: Depth=1
	s_load_dwordx2 s[10:11], s[6:7], 0x4
	s_load_dword s9, s[6:7], 0xc
	s_load_dwordx2 s[12:13], s[4:5], 0x0
	v_mov_b32_e32 v2, v1
	s_add_u32 s6, s6, 12
	s_waitcnt lgkmcnt(0)
	v_mul_hi_u32 v1, s11, v0
	v_add_u32_e32 v1, v0, v1
	v_lshrrev_b32_e32 v1, s9, v1
	s_addc_u32 s7, s7, 0
	v_mul_lo_u32 v3, v1, s10
	s_add_u32 s4, s4, 8
	v_sub_u32_e32 v3, v0, v3
	s_addc_u32 s5, s5, 0
	s_add_i32 s8, s8, -1
	v_mad_u64_u32 v[14:15], s[10:11], v3, s13, v[2:3]
	s_cmp_lg_u32 s8, 0
	v_mov_b32_e32 v0, v1
	v_mad_u64_u32 v[6:7], s[10:11], v3, s12, v[6:7]
	v_mov_b32_e32 v1, v14
	s_cbranch_scc1 .LBB361_1085
.LBB361_1086:
	s_cbranch_execnz .LBB361_1089
.LBB361_1087:
	s_load_dwordx4 s[4:7], s[34:35], 0x4
	s_load_dwordx2 s[8:9], s[34:35], 0xc4
	s_cmp_lt_u32 s33, 2
	s_waitcnt lgkmcnt(0)
	v_mul_hi_u32 v0, s5, v8
	v_add_u32_e32 v0, v8, v0
	v_lshrrev_b32_e32 v0, s6, v0
	v_mul_lo_u32 v1, v0, s4
	v_sub_u32_e32 v1, v8, v1
	v_mul_lo_u32 v14, v1, s9
	v_mul_lo_u32 v6, v1, s8
	s_cbranch_scc1 .LBB361_1089
; %bb.1088:
	s_load_dwordx4 s[4:7], s[34:35], 0x10
	s_load_dwordx2 s[8:9], s[34:35], 0xcc
	s_waitcnt lgkmcnt(0)
	v_mul_hi_u32 v1, s5, v0
	v_add_u32_e32 v1, v0, v1
	v_lshrrev_b32_e32 v1, s6, v1
	v_mul_lo_u32 v1, v1, s4
	v_sub_u32_e32 v0, v0, v1
	v_mad_u64_u32 v[6:7], s[4:5], v0, s8, v[6:7]
	v_mad_u64_u32 v[14:15], s[4:5], v0, s9, v[14:15]
.LBB361_1089:
	s_and_b64 vcc, exec, s[2:3]
	v_add_u32_e32 v0, 0x80, v8
	s_cbranch_vccnz .LBB361_1095
; %bb.1090:
	s_cmp_lg_u32 s33, 0
	s_mov_b32 s36, 0
	s_cbranch_scc0 .LBB361_1096
; %bb.1091:
	s_min_u32 s37, s72, 15
	s_add_i32 s37, s37, 1
	s_cmp_eq_u32 s72, 2
	s_cbranch_scc1 .LBB361_1097
; %bb.1092:
	s_and_b32 s36, s37, 28
	s_add_u32 s28, s34, 0xc4
	s_addc_u32 s29, s35, 0
	s_mov_b32 s38, 0
	s_waitcnt vmcnt(0)
	v_mov_b32_e32 v4, 0
	v_mov_b32_e32 v12, 0
	s_mov_b64 s[30:31], s[34:35]
	v_mov_b32_e32 v2, v0
.LBB361_1093:                           ; =>This Inner Loop Header: Depth=1
	s_load_dwordx8 s[12:19], s[30:31], 0x4
	s_load_dwordx4 s[20:23], s[30:31], 0x24
	s_load_dwordx8 s[4:11], s[28:29], 0x0
	s_add_u32 s30, s30, 48
	s_addc_u32 s31, s31, 0
	s_waitcnt lgkmcnt(0)
	v_mul_hi_u32 v1, s13, v2
	v_add_u32_e32 v1, v2, v1
	v_lshrrev_b32_e32 v1, s14, v1
	v_mul_lo_u32 v3, v1, s12
	v_mul_hi_u32 v5, s16, v1
	v_sub_u32_e32 v2, v2, v3
	v_add_u32_e32 v3, v1, v5
	v_lshrrev_b32_e32 v3, s17, v3
	v_mul_lo_u32 v7, v3, s15
	v_mul_hi_u32 v9, s19, v3
	v_sub_u32_e32 v1, v1, v7
	v_add_u32_e32 v7, v3, v9
	v_mul_lo_u32 v5, v2, s5
	v_mul_lo_u32 v2, v2, s4
	;; [unrolled: 1-line block ×4, first 2 shown]
	v_lshrrev_b32_e32 v7, s20, v7
	v_add3_u32 v1, v2, v4, v1
	v_add3_u32 v4, v5, v12, v9
	v_mul_lo_u32 v2, v7, s18
	v_mul_hi_u32 v5, s22, v7
	v_sub_u32_e32 v2, v3, v2
	v_add_u32_e32 v3, v7, v5
	v_mul_lo_u32 v5, v2, s8
	v_mul_lo_u32 v9, v2, s9
	v_lshrrev_b32_e32 v2, s23, v3
	s_add_i32 s38, s38, 4
	v_mul_lo_u32 v3, v2, s21
	s_add_u32 s28, s28, 32
	v_sub_u32_e32 v3, v7, v3
	s_addc_u32 s29, s29, 0
	v_mul_lo_u32 v7, v3, s10
	v_mul_lo_u32 v3, v3, s11
	s_cmp_lg_u32 s36, s38
	v_add3_u32 v12, v9, v4, v3
	v_add3_u32 v4, v5, v1, v7
	s_cbranch_scc1 .LBB361_1093
; %bb.1094:
	v_mov_b32_e32 v1, v12
	s_and_b32 s8, s37, 3
	s_cmp_eq_u32 s8, 0
	s_cbranch_scc0 .LBB361_1098
	s_branch .LBB361_1100
.LBB361_1095:
                                        ; implicit-def: $vgpr12
                                        ; implicit-def: $vgpr4
	s_branch .LBB361_1101
.LBB361_1096:
	v_mov_b32_e32 v12, 0
	s_waitcnt vmcnt(0)
	v_mov_b32_e32 v4, 0
	s_branch .LBB361_1100
.LBB361_1097:
	s_waitcnt vmcnt(0)
	v_mov_b32_e32 v4, 0
                                        ; implicit-def: $vgpr12
	v_mov_b32_e32 v1, v4
	v_mov_b32_e32 v2, v0
	s_and_b32 s8, s37, 3
	s_cmp_eq_u32 s8, 0
	s_cbranch_scc1 .LBB361_1100
.LBB361_1098:
	s_lshl_b32 s4, s36, 3
	s_add_u32 s4, s34, s4
	s_addc_u32 s5, s35, 0
	s_add_u32 s4, s4, 0xc4
	s_addc_u32 s5, s5, 0
	s_mul_i32 s6, s36, 12
	s_add_u32 s6, s34, s6
	s_addc_u32 s7, s35, 0
.LBB361_1099:                           ; =>This Inner Loop Header: Depth=1
	s_load_dwordx2 s[10:11], s[6:7], 0x4
	s_load_dword s9, s[6:7], 0xc
	s_load_dwordx2 s[12:13], s[4:5], 0x0
	v_mov_b32_e32 v10, v1
	s_add_u32 s6, s6, 12
	s_waitcnt lgkmcnt(0)
	v_mul_hi_u32 v1, s11, v2
	v_add_u32_e32 v1, v2, v1
	v_lshrrev_b32_e32 v1, s9, v1
	s_addc_u32 s7, s7, 0
	v_mul_lo_u32 v3, v1, s10
	s_add_u32 s4, s4, 8
	v_sub_u32_e32 v3, v2, v3
	s_addc_u32 s5, s5, 0
	s_add_i32 s8, s8, -1
	v_mad_u64_u32 v[12:13], s[10:11], v3, s13, v[10:11]
	s_cmp_lg_u32 s8, 0
	v_mov_b32_e32 v2, v1
	v_mad_u64_u32 v[4:5], s[10:11], v3, s12, v[4:5]
	v_mov_b32_e32 v1, v12
	s_cbranch_scc1 .LBB361_1099
.LBB361_1100:
	s_cbranch_execnz .LBB361_1103
.LBB361_1101:
	s_load_dwordx4 s[4:7], s[34:35], 0x4
	s_load_dwordx2 s[8:9], s[34:35], 0xc4
	s_cmp_lt_u32 s33, 2
	s_waitcnt lgkmcnt(0)
	v_mul_hi_u32 v1, s5, v0
	v_add_u32_e32 v1, v0, v1
	v_lshrrev_b32_e32 v1, s6, v1
	v_mul_lo_u32 v2, v1, s4
	v_sub_u32_e32 v0, v0, v2
	v_mul_lo_u32 v12, v0, s9
	s_waitcnt vmcnt(0)
	v_mul_lo_u32 v4, v0, s8
	s_cbranch_scc1 .LBB361_1103
; %bb.1102:
	s_load_dwordx4 s[4:7], s[34:35], 0x10
	s_load_dwordx2 s[8:9], s[34:35], 0xcc
	s_waitcnt lgkmcnt(0)
	v_mul_hi_u32 v0, s5, v1
	v_add_u32_e32 v0, v1, v0
	v_lshrrev_b32_e32 v0, s6, v0
	v_mul_lo_u32 v0, v0, s4
	v_sub_u32_e32 v0, v1, v0
	v_mad_u64_u32 v[4:5], s[4:5], v0, s8, v[4:5]
	v_mad_u64_u32 v[12:13], s[4:5], v0, s9, v[12:13]
.LBB361_1103:
	s_and_b64 vcc, exec, s[2:3]
	v_add_u32_e32 v0, 0x100, v8
	s_cbranch_vccnz .LBB361_1109
; %bb.1104:
	s_cmp_lg_u32 s33, 0
	s_mov_b32 s36, 0
	s_cbranch_scc0 .LBB361_1110
; %bb.1105:
	s_min_u32 s37, s72, 15
	s_add_i32 s37, s37, 1
	s_cmp_eq_u32 s72, 2
	s_cbranch_scc1 .LBB361_1111
; %bb.1106:
	s_and_b32 s36, s37, 28
	s_add_u32 s28, s34, 0xc4
	s_addc_u32 s29, s35, 0
	s_mov_b32 s38, 0
	v_mov_b32_e32 v2, 0
	v_mov_b32_e32 v10, 0
	s_mov_b64 s[30:31], s[34:35]
	s_waitcnt vmcnt(0)
	v_mov_b32_e32 v5, v0
.LBB361_1107:                           ; =>This Inner Loop Header: Depth=1
	s_load_dwordx8 s[12:19], s[30:31], 0x4
	s_load_dwordx4 s[20:23], s[30:31], 0x24
	s_load_dwordx8 s[4:11], s[28:29], 0x0
	s_add_u32 s30, s30, 48
	s_addc_u32 s31, s31, 0
	s_waitcnt lgkmcnt(0)
	v_mul_hi_u32 v1, s13, v5
	v_add_u32_e32 v1, v5, v1
	v_lshrrev_b32_e32 v1, s14, v1
	v_mul_lo_u32 v3, v1, s12
	v_mul_hi_u32 v7, s16, v1
	v_sub_u32_e32 v3, v5, v3
	v_add_u32_e32 v5, v1, v7
	v_lshrrev_b32_e32 v5, s17, v5
	v_mul_lo_u32 v8, v5, s15
	v_mul_hi_u32 v9, s19, v5
	v_sub_u32_e32 v1, v1, v8
	v_add_u32_e32 v8, v5, v9
	v_mul_lo_u32 v7, v3, s5
	v_mul_lo_u32 v3, v3, s4
	;; [unrolled: 1-line block ×4, first 2 shown]
	v_lshrrev_b32_e32 v8, s20, v8
	v_add3_u32 v1, v3, v2, v1
	v_add3_u32 v2, v7, v10, v9
	v_mul_lo_u32 v3, v8, s18
	v_mul_hi_u32 v7, s22, v8
	v_sub_u32_e32 v3, v5, v3
	v_add_u32_e32 v5, v8, v7
	v_lshrrev_b32_e32 v5, s23, v5
	s_add_i32 s38, s38, 4
	v_mul_lo_u32 v9, v5, s21
	s_add_u32 s28, s28, 32
	v_sub_u32_e32 v8, v8, v9
	s_addc_u32 s29, s29, 0
	v_mul_lo_u32 v7, v3, s8
	v_mul_lo_u32 v3, v3, s9
	;; [unrolled: 1-line block ×4, first 2 shown]
	s_cmp_lg_u32 s36, s38
	v_add3_u32 v10, v3, v2, v8
	v_add3_u32 v2, v7, v1, v9
	s_cbranch_scc1 .LBB361_1107
; %bb.1108:
	v_mov_b32_e32 v1, v10
	s_and_b32 s8, s37, 3
	s_cmp_eq_u32 s8, 0
	s_cbranch_scc0 .LBB361_1112
	s_branch .LBB361_1114
.LBB361_1109:
                                        ; implicit-def: $vgpr10
                                        ; implicit-def: $vgpr2
	s_branch .LBB361_1115
.LBB361_1110:
	v_mov_b32_e32 v10, 0
	v_mov_b32_e32 v2, 0
	s_branch .LBB361_1114
.LBB361_1111:
	v_mov_b32_e32 v2, 0
                                        ; implicit-def: $vgpr10
	v_mov_b32_e32 v1, v2
	s_waitcnt vmcnt(0)
	v_mov_b32_e32 v5, v0
	s_and_b32 s8, s37, 3
	s_cmp_eq_u32 s8, 0
	s_cbranch_scc1 .LBB361_1114
.LBB361_1112:
	s_lshl_b32 s4, s36, 3
	s_add_u32 s4, s34, s4
	s_addc_u32 s5, s35, 0
	s_add_u32 s4, s4, 0xc4
	s_addc_u32 s5, s5, 0
	s_mul_i32 s6, s36, 12
	s_add_u32 s6, s34, s6
	s_addc_u32 s7, s35, 0
.LBB361_1113:                           ; =>This Inner Loop Header: Depth=1
	s_load_dwordx2 s[10:11], s[6:7], 0x4
	s_load_dword s9, s[6:7], 0xc
	s_load_dwordx2 s[12:13], s[4:5], 0x0
	v_mov_b32_e32 v8, v1
	s_add_u32 s6, s6, 12
	s_waitcnt lgkmcnt(0)
	v_mul_hi_u32 v1, s11, v5
	v_add_u32_e32 v1, v5, v1
	v_lshrrev_b32_e32 v1, s9, v1
	s_addc_u32 s7, s7, 0
	v_mul_lo_u32 v3, v1, s10
	s_add_u32 s4, s4, 8
	v_sub_u32_e32 v3, v5, v3
	s_addc_u32 s5, s5, 0
	s_add_i32 s8, s8, -1
	v_mad_u64_u32 v[10:11], s[10:11], v3, s13, v[8:9]
	s_cmp_lg_u32 s8, 0
	v_mov_b32_e32 v5, v1
	v_mad_u64_u32 v[2:3], s[10:11], v3, s12, v[2:3]
	v_mov_b32_e32 v1, v10
	s_cbranch_scc1 .LBB361_1113
.LBB361_1114:
	s_cbranch_execnz .LBB361_1117
.LBB361_1115:
	s_load_dwordx4 s[4:7], s[34:35], 0x4
	s_load_dwordx2 s[8:9], s[34:35], 0xc4
	s_cmp_lt_u32 s33, 2
	s_waitcnt lgkmcnt(0)
	v_mul_hi_u32 v1, s5, v0
	v_add_u32_e32 v1, v0, v1
	v_lshrrev_b32_e32 v1, s6, v1
	v_mul_lo_u32 v2, v1, s4
	v_sub_u32_e32 v0, v0, v2
	v_mul_lo_u32 v10, v0, s9
	v_mul_lo_u32 v2, v0, s8
	s_cbranch_scc1 .LBB361_1117
; %bb.1116:
	s_load_dwordx4 s[4:7], s[34:35], 0x10
	s_load_dwordx2 s[8:9], s[34:35], 0xcc
	s_waitcnt lgkmcnt(0)
	v_mul_hi_u32 v0, s5, v1
	v_add_u32_e32 v0, v1, v0
	v_lshrrev_b32_e32 v0, s6, v0
	v_mul_lo_u32 v0, v0, s4
	v_sub_u32_e32 v0, v1, v0
	v_mad_u64_u32 v[2:3], s[4:5], v0, s8, v[2:3]
	v_mad_u64_u32 v[10:11], s[4:5], v0, s9, v[10:11]
.LBB361_1117:
	s_and_b64 vcc, exec, s[2:3]
	s_cbranch_vccnz .LBB361_1123
; %bb.1118:
	s_cmp_lg_u32 s33, 0
	s_mov_b32 s30, 0
	s_cbranch_scc0 .LBB361_1124
; %bb.1119:
	s_min_u32 s31, s72, 15
	s_add_i32 s31, s31, 1
	s_cmp_eq_u32 s72, 2
	s_cbranch_scc1 .LBB361_1125
; %bb.1120:
	s_and_b32 s30, s31, 28
	s_add_u32 s2, s34, 0xc4
	s_addc_u32 s3, s35, 0
	s_mov_b32 s36, 0
	v_mov_b32_e32 v0, 0
	v_mov_b32_e32 v8, 0
	s_mov_b64 s[28:29], s[34:35]
	v_mov_b32_e32 v3, v16
.LBB361_1121:                           ; =>This Inner Loop Header: Depth=1
	s_load_dwordx8 s[12:19], s[28:29], 0x4
	s_load_dwordx4 s[20:23], s[28:29], 0x24
	s_load_dwordx8 s[4:11], s[2:3], 0x0
	s_add_u32 s28, s28, 48
	s_addc_u32 s29, s29, 0
	s_waitcnt lgkmcnt(0)
	v_mul_hi_u32 v1, s13, v3
	v_add_u32_e32 v1, v3, v1
	v_lshrrev_b32_e32 v1, s14, v1
	s_waitcnt vmcnt(0)
	v_mul_lo_u32 v5, v1, s12
	v_mul_hi_u32 v7, s16, v1
	v_sub_u32_e32 v3, v3, v5
	v_add_u32_e32 v5, v1, v7
	v_lshrrev_b32_e32 v5, s17, v5
	v_mul_lo_u32 v9, v5, s15
	v_mul_hi_u32 v11, s19, v5
	v_sub_u32_e32 v1, v1, v9
	v_add_u32_e32 v9, v5, v11
	v_mul_lo_u32 v7, v3, s5
	v_mul_lo_u32 v3, v3, s4
	;; [unrolled: 1-line block ×4, first 2 shown]
	v_lshrrev_b32_e32 v9, s20, v9
	v_add3_u32 v0, v3, v0, v1
	v_add3_u32 v1, v7, v8, v11
	v_mul_lo_u32 v3, v9, s18
	v_mul_hi_u32 v7, s22, v9
	v_sub_u32_e32 v3, v5, v3
	v_add_u32_e32 v5, v9, v7
	v_mul_lo_u32 v7, v3, s8
	v_mul_lo_u32 v8, v3, s9
	v_lshrrev_b32_e32 v3, s23, v5
	s_add_i32 s36, s36, 4
	v_mul_lo_u32 v5, v3, s21
	s_add_u32 s2, s2, 32
	v_sub_u32_e32 v5, v9, v5
	s_addc_u32 s3, s3, 0
	v_mul_lo_u32 v9, v5, s10
	v_mul_lo_u32 v5, v5, s11
	s_cmp_lg_u32 s30, s36
	v_add3_u32 v8, v8, v1, v5
	v_add3_u32 v0, v7, v0, v9
	s_cbranch_scc1 .LBB361_1121
; %bb.1122:
	v_mov_b32_e32 v1, v8
	s_and_b32 s6, s31, 3
	s_cmp_eq_u32 s6, 0
	s_cbranch_scc0 .LBB361_1126
	s_branch .LBB361_1128
.LBB361_1123:
                                        ; implicit-def: $vgpr8
                                        ; implicit-def: $vgpr0
	s_branch .LBB361_1129
.LBB361_1124:
	v_mov_b32_e32 v8, 0
	v_mov_b32_e32 v0, 0
	s_branch .LBB361_1128
.LBB361_1125:
	v_mov_b32_e32 v0, 0
                                        ; implicit-def: $vgpr8
	v_mov_b32_e32 v1, v0
	v_mov_b32_e32 v3, v16
	s_and_b32 s6, s31, 3
	s_cmp_eq_u32 s6, 0
	s_cbranch_scc1 .LBB361_1128
.LBB361_1126:
	s_lshl_b32 s2, s30, 3
	s_add_u32 s2, s34, s2
	s_addc_u32 s3, s35, 0
	s_add_u32 s2, s2, 0xc4
	s_addc_u32 s3, s3, 0
	s_mul_i32 s4, s30, 12
	s_add_u32 s4, s34, s4
	s_addc_u32 s5, s35, 0
.LBB361_1127:                           ; =>This Inner Loop Header: Depth=1
	s_load_dwordx2 s[8:9], s[4:5], 0x4
	s_load_dword s7, s[4:5], 0xc
	s_load_dwordx2 s[10:11], s[2:3], 0x0
	v_mov_b32_e32 v8, v1
	s_add_u32 s4, s4, 12
	s_waitcnt lgkmcnt(0)
	v_mul_hi_u32 v1, s9, v3
	v_add_u32_e32 v1, v3, v1
	v_lshrrev_b32_e32 v1, s7, v1
	s_addc_u32 s5, s5, 0
	s_waitcnt vmcnt(0)
	v_mul_lo_u32 v5, v1, s8
	s_add_u32 s2, s2, 8
	v_sub_u32_e32 v5, v3, v5
	s_addc_u32 s3, s3, 0
	s_add_i32 s6, s6, -1
	v_mov_b32_e32 v3, v1
	v_mad_u64_u32 v[8:9], s[8:9], v5, s11, v[8:9]
	v_mad_u64_u32 v[0:1], s[8:9], v5, s10, v[0:1]
	s_cmp_lg_u32 s6, 0
	v_mov_b32_e32 v1, v8
	s_cbranch_scc1 .LBB361_1127
.LBB361_1128:
	s_cbranch_execnz .LBB361_1131
.LBB361_1129:
	s_load_dwordx4 s[4:7], s[34:35], 0x4
	s_load_dwordx2 s[2:3], s[34:35], 0xc4
	s_cmp_lt_u32 s33, 2
	s_waitcnt lgkmcnt(0)
	v_mul_hi_u32 v0, s5, v16
	v_add_u32_e32 v0, v16, v0
	v_lshrrev_b32_e32 v1, s6, v0
	v_mul_lo_u32 v0, v1, s4
	v_sub_u32_e32 v0, v16, v0
	v_mul_lo_u32 v8, v0, s3
	v_mul_lo_u32 v0, v0, s2
	s_cbranch_scc1 .LBB361_1131
; %bb.1130:
	s_load_dwordx4 s[4:7], s[34:35], 0x10
	s_load_dwordx2 s[2:3], s[34:35], 0xcc
	s_waitcnt lgkmcnt(0)
	v_mul_hi_u32 v3, s5, v1
	v_add_u32_e32 v3, v1, v3
	v_lshrrev_b32_e32 v3, s6, v3
	v_mul_lo_u32 v3, v3, s4
	v_sub_u32_e32 v3, v1, v3
	v_mad_u64_u32 v[0:1], s[4:5], v3, s2, v[0:1]
	v_mad_u64_u32 v[8:9], s[2:3], v3, s3, v[8:9]
.LBB361_1131:
	s_load_dword s14, s[0:1], 0x160
	s_load_dwordx4 s[4:7], s[34:35], 0x148
	v_mov_b32_e32 v15, 0
	s_waitcnt lgkmcnt(0)
	s_bfe_u32 s12, s14, 0x80010
	s_cmp_lt_i32 s12, 11
	v_lshl_add_u64 v[16:17], s[6:7], 0, v[14:15]
	s_cbranch_scc1 .LBB361_1138
; %bb.1132:
	s_and_b32 s13, 0xffff, s12
	s_cmp_gt_i32 s13, 25
	s_mov_b64 s[8:9], 0
	s_cbranch_scc0 .LBB361_1140
; %bb.1133:
	s_cmp_gt_i32 s13, 28
	s_cbranch_scc0 .LBB361_1141
; %bb.1134:
	s_cmp_gt_i32 s13, 43
	;; [unrolled: 3-line block ×3, first 2 shown]
	s_cbranch_scc0 .LBB361_1143
; %bb.1136:
	s_cmp_eq_u32 s13, 46
	s_mov_b64 s[2:3], 0
	s_cbranch_scc0 .LBB361_1146
; %bb.1137:
	global_load_dword v1, v[16:17], off
	s_mov_b64 s[0:1], 0
	s_mov_b64 s[10:11], -1
	s_waitcnt vmcnt(0)
	v_lshlrev_b32_e32 v1, 16, v1
	v_cvt_i32_f32_e32 v14, v1
	s_branch .LBB361_1147
.LBB361_1138:
	s_mov_b64 s[10:11], 0
                                        ; implicit-def: $vgpr14
	s_mov_b64 s[2:3], s[24:25]
	s_cbranch_execnz .LBB361_1205
.LBB361_1139:
	s_andn2_b64 vcc, exec, s[10:11]
	s_cbranch_vccz .LBB361_1250
	s_branch .LBB361_2059
.LBB361_1140:
	s_mov_b64 s[10:11], 0
	s_mov_b64 s[0:1], 0
                                        ; implicit-def: $vgpr14
	s_cbranch_execnz .LBB361_1172
	s_branch .LBB361_1201
.LBB361_1141:
	s_mov_b64 s[10:11], 0
	s_mov_b64 s[0:1], 0
                                        ; implicit-def: $vgpr14
	s_cbranch_execz .LBB361_1171
	s_branch .LBB361_1156
.LBB361_1142:
	s_mov_b64 s[10:11], 0
	s_mov_b64 s[0:1], 0
                                        ; implicit-def: $vgpr14
	s_cbranch_execnz .LBB361_1152
	s_branch .LBB361_1155
.LBB361_1143:
	s_mov_b64 s[2:3], -1
	s_mov_b64 s[10:11], 0
	s_mov_b64 s[0:1], 0
                                        ; implicit-def: $vgpr14
	s_branch .LBB361_1147
.LBB361_1144:
	s_andn2_saveexec_b64 s[12:13], s[12:13]
	s_cbranch_execz .LBB361_987
.LBB361_1145:
	s_mov_b32 s14, 0x46000000
	v_add_f32_e64 v1, |v0|, s14
	v_and_b32_e32 v1, 0xff, v1
	v_cmp_ne_u32_e32 vcc, 0, v1
	s_andn2_b64 s[10:11], s[10:11], exec
	s_and_b64 s[14:15], vcc, exec
	s_or_b64 s[10:11], s[10:11], s[14:15]
	s_or_b64 exec, exec, s[12:13]
	v_mov_b32_e32 v4, 0
	s_and_saveexec_b64 s[12:13], s[10:11]
	s_cbranch_execnz .LBB361_988
	s_branch .LBB361_989
.LBB361_1146:
	s_mov_b64 s[0:1], -1
                                        ; implicit-def: $vgpr14
	s_mov_b64 s[10:11], 0
.LBB361_1147:
	s_and_b64 vcc, exec, s[2:3]
	s_cbranch_vccz .LBB361_1150
; %bb.1148:
	s_cmp_eq_u32 s13, 44
	s_cbranch_scc0 .LBB361_1151
; %bb.1149:
	global_load_ubyte v1, v[16:17], off
	s_mov_b64 s[0:1], 0
	s_mov_b64 s[10:11], -1
	s_waitcnt vmcnt(0)
	v_lshlrev_b32_e32 v3, 23, v1
	v_cvt_i32_f32_e32 v3, v3
	v_cmp_ne_u32_e32 vcc, 0, v1
	s_nop 1
	v_cndmask_b32_e32 v14, 0, v3, vcc
.LBB361_1150:
	s_branch .LBB361_1155
.LBB361_1151:
	s_mov_b64 s[0:1], -1
                                        ; implicit-def: $vgpr14
	s_branch .LBB361_1155
.LBB361_1152:
	s_cmp_eq_u32 s13, 29
	s_cbranch_scc0 .LBB361_1154
; %bb.1153:
	global_load_dwordx2 v[14:15], v[16:17], off
	s_mov_b64 s[0:1], 0
	s_mov_b64 s[10:11], -1
	s_branch .LBB361_1155
.LBB361_1154:
	s_mov_b64 s[0:1], -1
                                        ; implicit-def: $vgpr14
.LBB361_1155:
	s_branch .LBB361_1171
.LBB361_1156:
	s_cmp_lt_i32 s13, 27
	s_cbranch_scc1 .LBB361_1159
; %bb.1157:
	s_cmp_gt_i32 s13, 27
	s_cbranch_scc0 .LBB361_1160
; %bb.1158:
	global_load_dword v14, v[16:17], off
	s_mov_b64 s[2:3], 0
	s_branch .LBB361_1161
.LBB361_1159:
	s_mov_b64 s[2:3], -1
                                        ; implicit-def: $vgpr14
	s_branch .LBB361_1164
.LBB361_1160:
	s_mov_b64 s[2:3], -1
                                        ; implicit-def: $vgpr14
.LBB361_1161:
	s_andn2_b64 vcc, exec, s[2:3]
	s_cbranch_vccnz .LBB361_1163
; %bb.1162:
	global_load_ushort v14, v[16:17], off
.LBB361_1163:
	s_mov_b64 s[2:3], 0
.LBB361_1164:
	s_andn2_b64 vcc, exec, s[2:3]
	s_cbranch_vccnz .LBB361_1170
; %bb.1165:
	global_load_ubyte v1, v[16:17], off
	s_movk_i32 s2, 0x7f
	s_mov_b64 s[10:11], 0
	s_waitcnt vmcnt(0)
	v_cmp_lt_i16_e32 vcc, s2, v1
	s_and_saveexec_b64 s[2:3], vcc
	s_xor_b64 s[2:3], exec, s[2:3]
	s_cbranch_execz .LBB361_1181
; %bb.1166:
	s_movk_i32 s10, 0x80
	v_cmp_ne_u16_e32 vcc, s10, v1
	s_and_b64 s[10:11], vcc, exec
	s_andn2_saveexec_b64 s[2:3], s[2:3]
	s_cbranch_execnz .LBB361_1182
.LBB361_1167:
	s_or_b64 exec, exec, s[2:3]
	v_mov_b32_e32 v14, 0
	s_and_saveexec_b64 s[2:3], s[10:11]
	s_cbranch_execz .LBB361_1169
.LBB361_1168:
	v_lshlrev_b32_e32 v3, 24, v1
	v_and_b32_e32 v1, 0xffff, v1
	v_and_b32_e32 v5, 7, v1
	v_ffbh_u32_e32 v9, v5
	v_min_u32_e32 v9, 32, v9
	v_subrev_u32_e32 v11, 28, v9
	v_bfe_u32 v7, v1, 3, 4
	v_lshlrev_b32_e32 v1, v11, v1
	v_sub_u32_e32 v9, 29, v9
	v_and_b32_e32 v1, 7, v1
	v_cmp_eq_u32_e32 vcc, 0, v7
	v_and_b32_e32 v3, 0x80000000, v3
	s_nop 0
	v_cndmask_b32_e32 v7, v7, v9, vcc
	v_cndmask_b32_e32 v1, v5, v1, vcc
	v_mov_b32_e32 v5, 0x3b800000
	v_lshlrev_b32_e32 v1, 20, v1
	v_lshl_add_u32 v5, v7, 23, v5
	v_or3_b32 v1, v3, v5, v1
	v_cvt_i32_f32_e32 v14, v1
.LBB361_1169:
	s_or_b64 exec, exec, s[2:3]
.LBB361_1170:
	s_mov_b64 s[10:11], -1
.LBB361_1171:
	s_branch .LBB361_1201
.LBB361_1172:
	s_cmp_gt_i32 s13, 22
	s_cbranch_scc0 .LBB361_1180
; %bb.1173:
	s_cmp_lt_i32 s13, 24
	s_cbranch_scc1 .LBB361_1183
; %bb.1174:
	s_cmp_gt_i32 s13, 24
	s_cbranch_scc0 .LBB361_1184
; %bb.1175:
	global_load_ubyte v1, v[16:17], off
	s_movk_i32 s2, 0x7f
	s_waitcnt vmcnt(0)
	v_cmp_lt_i16_e32 vcc, s2, v1
	s_and_saveexec_b64 s[2:3], vcc
	s_xor_b64 s[2:3], exec, s[2:3]
	s_cbranch_execz .LBB361_1195
; %bb.1176:
	s_movk_i32 s8, 0x80
	v_cmp_ne_u16_e32 vcc, s8, v1
	s_and_b64 s[8:9], vcc, exec
	s_andn2_saveexec_b64 s[2:3], s[2:3]
	s_cbranch_execnz .LBB361_1196
.LBB361_1177:
	s_or_b64 exec, exec, s[2:3]
	v_mov_b32_e32 v14, 0
	s_and_saveexec_b64 s[2:3], s[8:9]
	s_cbranch_execz .LBB361_1179
.LBB361_1178:
	v_lshlrev_b32_e32 v3, 24, v1
	v_and_b32_e32 v1, 0xffff, v1
	v_and_b32_e32 v5, 3, v1
	v_ffbh_u32_e32 v9, v5
	v_min_u32_e32 v9, 32, v9
	v_subrev_u32_e32 v11, 29, v9
	v_bfe_u32 v7, v1, 2, 5
	v_lshlrev_b32_e32 v1, v11, v1
	v_sub_u32_e32 v9, 30, v9
	v_and_b32_e32 v1, 3, v1
	v_cmp_eq_u32_e32 vcc, 0, v7
	v_and_b32_e32 v3, 0x80000000, v3
	s_nop 0
	v_cndmask_b32_e32 v7, v7, v9, vcc
	v_cndmask_b32_e32 v1, v5, v1, vcc
	v_mov_b32_e32 v5, 0x37800000
	v_lshlrev_b32_e32 v1, 21, v1
	v_lshl_add_u32 v5, v7, 23, v5
	v_or3_b32 v1, v3, v5, v1
	v_cvt_i32_f32_e32 v14, v1
.LBB361_1179:
	s_or_b64 exec, exec, s[2:3]
	s_mov_b64 s[2:3], 0
	s_branch .LBB361_1185
.LBB361_1180:
                                        ; implicit-def: $vgpr14
	s_mov_b64 s[8:9], 0
	s_branch .LBB361_1191
.LBB361_1181:
	s_andn2_saveexec_b64 s[2:3], s[2:3]
	s_cbranch_execz .LBB361_1167
.LBB361_1182:
	v_cmp_ne_u16_e32 vcc, 0, v1
	s_andn2_b64 s[10:11], s[10:11], exec
	s_and_b64 s[16:17], vcc, exec
	s_or_b64 s[10:11], s[10:11], s[16:17]
	s_or_b64 exec, exec, s[2:3]
	v_mov_b32_e32 v14, 0
	s_and_saveexec_b64 s[2:3], s[10:11]
	s_cbranch_execnz .LBB361_1168
	s_branch .LBB361_1169
.LBB361_1183:
	s_mov_b64 s[2:3], -1
                                        ; implicit-def: $vgpr14
	s_branch .LBB361_1188
.LBB361_1184:
	s_mov_b64 s[2:3], -1
                                        ; implicit-def: $vgpr14
.LBB361_1185:
	s_and_b64 vcc, exec, s[2:3]
	s_cbranch_vccz .LBB361_1187
; %bb.1186:
	global_load_ubyte v1, v[16:17], off
	s_mov_b32 s2, 0x7f800000
	s_waitcnt vmcnt(0)
	v_lshlrev_b32_e32 v1, 24, v1
	v_and_b32_e32 v3, 0x7f000000, v1
	v_ffbh_u32_e32 v5, v3
	v_min_u32_e32 v5, 32, v5
	v_sub_u32_e64 v5, v5, 4 clamp
	v_lshlrev_b32_e32 v9, v5, v3
	v_lshlrev_b32_e32 v5, 23, v5
	v_lshrrev_b32_e32 v9, 4, v9
	v_add_u32_e32 v7, 0x1000000, v3
	v_sub_u32_e32 v5, v9, v5
	v_ashrrev_i32_e32 v7, 8, v7
	v_add_u32_e32 v5, 0x3c000000, v5
	v_and_or_b32 v5, v7, s2, v5
	v_cmp_ne_u32_e32 vcc, 0, v3
	s_brev_b32 s2, 1
	s_nop 0
	v_cndmask_b32_e32 v3, 0, v5, vcc
	v_and_or_b32 v1, v1, s2, v3
	v_cvt_i32_f32_e32 v14, v1
.LBB361_1187:
	s_mov_b64 s[2:3], 0
.LBB361_1188:
	s_andn2_b64 vcc, exec, s[2:3]
	s_cbranch_vccnz .LBB361_1190
; %bb.1189:
	global_load_ubyte v1, v[16:17], off
	s_movk_i32 s2, 0x7f00
	s_brev_b32 s3, 16
	s_waitcnt vmcnt(0)
	v_lshlrev_b16_e32 v3, 8, v1
	v_lshlrev_b32_e32 v1, 25, v1
	v_lshrrev_b32_e32 v5, 4, v1
	v_and_or_b32 v7, v3, s2, 0.5
	v_or_b32_e32 v5, 0x70000000, v5
	v_add_f32_e32 v7, -0.5, v7
	v_mul_f32_e32 v5, 0x7800000, v5
	v_cmp_gt_u32_e32 vcc, s3, v1
	v_bfe_i32 v3, v3, 0, 16
	s_brev_b32 s2, 1
	v_cndmask_b32_e32 v1, v5, v7, vcc
	v_and_or_b32 v1, v3, s2, v1
	v_cvt_i32_f32_e32 v14, v1
.LBB361_1190:
	s_mov_b64 s[10:11], -1
	s_mov_b64 s[8:9], 0
	s_cbranch_execnz .LBB361_1201
.LBB361_1191:
	s_cmp_gt_i32 s13, 14
	s_cbranch_scc0 .LBB361_1194
; %bb.1192:
	s_cmp_eq_u32 s13, 15
	s_cbranch_scc0 .LBB361_1197
; %bb.1193:
	global_load_ushort v1, v[16:17], off
	s_mov_b64 s[0:1], 0
	s_mov_b64 s[10:11], -1
	s_waitcnt vmcnt(0)
	v_lshlrev_b32_e32 v1, 16, v1
	v_cvt_i32_f32_e32 v14, v1
	s_branch .LBB361_1198
.LBB361_1194:
	s_mov_b64 s[2:3], -1
                                        ; implicit-def: $vgpr14
	s_branch .LBB361_1199
.LBB361_1195:
	s_andn2_saveexec_b64 s[2:3], s[2:3]
	s_cbranch_execz .LBB361_1177
.LBB361_1196:
	v_cmp_ne_u16_e32 vcc, 0, v1
	s_andn2_b64 s[8:9], s[8:9], exec
	s_and_b64 s[10:11], vcc, exec
	s_or_b64 s[8:9], s[8:9], s[10:11]
	s_or_b64 exec, exec, s[2:3]
	v_mov_b32_e32 v14, 0
	s_and_saveexec_b64 s[2:3], s[8:9]
	s_cbranch_execnz .LBB361_1178
	s_branch .LBB361_1179
.LBB361_1197:
	s_mov_b64 s[0:1], -1
                                        ; implicit-def: $vgpr14
.LBB361_1198:
	s_mov_b64 s[2:3], 0
.LBB361_1199:
	s_and_b64 vcc, exec, s[2:3]
	s_cbranch_vccz .LBB361_1201
; %bb.1200:
	s_cmp_lg_u32 s13, 11
	s_mov_b64 s[8:9], -1
	s_cselect_b64 s[0:1], -1, 0
.LBB361_1201:
	s_and_b64 vcc, exec, s[0:1]
	s_mov_b64 s[2:3], s[24:25]
	s_cbranch_vccnz .LBB361_1262
; %bb.1202:
	s_andn2_b64 vcc, exec, s[8:9]
	s_cbranch_vccnz .LBB361_1204
.LBB361_1203:
	global_load_ubyte v1, v[16:17], off
	s_mov_b64 s[10:11], -1
	s_waitcnt vmcnt(0)
	v_cmp_ne_u16_e32 vcc, 0, v1
	s_nop 1
	v_cndmask_b32_e64 v14, 0, 1, vcc
.LBB361_1204:
	s_branch .LBB361_1139
.LBB361_1205:
	s_and_b32 s8, 0xffff, s12
	s_cmp_lt_i32 s8, 5
	s_cbranch_scc1 .LBB361_1210
; %bb.1206:
	s_cmp_lt_i32 s8, 8
	s_cbranch_scc1 .LBB361_1211
; %bb.1207:
	;; [unrolled: 3-line block ×3, first 2 shown]
	s_cmp_gt_i32 s8, 9
	s_cbranch_scc0 .LBB361_1213
; %bb.1209:
	global_load_dwordx2 v[14:15], v[16:17], off
	s_mov_b64 s[0:1], 0
	s_waitcnt vmcnt(0)
	v_cvt_i32_f64_e32 v14, v[14:15]
	s_branch .LBB361_1214
.LBB361_1210:
                                        ; implicit-def: $vgpr14
	s_branch .LBB361_1231
.LBB361_1211:
                                        ; implicit-def: $vgpr14
	s_branch .LBB361_1220
.LBB361_1212:
	s_mov_b64 s[0:1], -1
                                        ; implicit-def: $vgpr14
	s_branch .LBB361_1217
.LBB361_1213:
	s_mov_b64 s[0:1], -1
                                        ; implicit-def: $vgpr14
.LBB361_1214:
	s_andn2_b64 vcc, exec, s[0:1]
	s_cbranch_vccnz .LBB361_1216
; %bb.1215:
	global_load_dword v1, v[16:17], off
	s_waitcnt vmcnt(0)
	v_cvt_i32_f32_e32 v14, v1
.LBB361_1216:
	s_mov_b64 s[0:1], 0
.LBB361_1217:
	s_andn2_b64 vcc, exec, s[0:1]
	s_cbranch_vccnz .LBB361_1219
; %bb.1218:
	global_load_dword v1, v[16:17], off
	s_waitcnt vmcnt(0)
	v_cvt_i16_f16_e32 v14, v1
.LBB361_1219:
	s_cbranch_execnz .LBB361_1230
.LBB361_1220:
	s_cmp_lt_i32 s8, 6
	s_cbranch_scc1 .LBB361_1223
; %bb.1221:
	s_cmp_gt_i32 s8, 6
	s_cbranch_scc0 .LBB361_1224
; %bb.1222:
	global_load_dwordx2 v[14:15], v[16:17], off
	s_mov_b64 s[0:1], 0
	s_waitcnt vmcnt(0)
	v_cvt_i32_f64_e32 v14, v[14:15]
	s_branch .LBB361_1225
.LBB361_1223:
	s_mov_b64 s[0:1], -1
                                        ; implicit-def: $vgpr14
	s_branch .LBB361_1228
.LBB361_1224:
	s_mov_b64 s[0:1], -1
                                        ; implicit-def: $vgpr14
.LBB361_1225:
	s_andn2_b64 vcc, exec, s[0:1]
	s_cbranch_vccnz .LBB361_1227
; %bb.1226:
	global_load_dword v1, v[16:17], off
	s_waitcnt vmcnt(0)
	v_cvt_i32_f32_e32 v14, v1
.LBB361_1227:
	s_mov_b64 s[0:1], 0
.LBB361_1228:
	s_andn2_b64 vcc, exec, s[0:1]
	s_cbranch_vccnz .LBB361_1230
; %bb.1229:
	global_load_ushort v1, v[16:17], off
	s_waitcnt vmcnt(0)
	v_cvt_i16_f16_e32 v14, v1
.LBB361_1230:
	s_cbranch_execnz .LBB361_1249
.LBB361_1231:
	s_cmp_lt_i32 s8, 2
	s_cbranch_scc1 .LBB361_1235
; %bb.1232:
	s_cmp_lt_i32 s8, 3
	s_cbranch_scc1 .LBB361_1236
; %bb.1233:
	s_cmp_gt_i32 s8, 3
	s_cbranch_scc0 .LBB361_1237
; %bb.1234:
	global_load_dwordx2 v[14:15], v[16:17], off
	s_mov_b64 s[0:1], 0
	s_branch .LBB361_1238
.LBB361_1235:
                                        ; implicit-def: $vgpr14
	s_branch .LBB361_1244
.LBB361_1236:
	s_mov_b64 s[0:1], -1
                                        ; implicit-def: $vgpr14
	s_branch .LBB361_1241
.LBB361_1237:
	s_mov_b64 s[0:1], -1
                                        ; implicit-def: $vgpr14
.LBB361_1238:
	s_andn2_b64 vcc, exec, s[0:1]
	s_cbranch_vccnz .LBB361_1240
; %bb.1239:
	global_load_dword v14, v[16:17], off
.LBB361_1240:
	s_mov_b64 s[0:1], 0
.LBB361_1241:
	s_andn2_b64 vcc, exec, s[0:1]
	s_cbranch_vccnz .LBB361_1243
; %bb.1242:
	global_load_ushort v14, v[16:17], off
.LBB361_1243:
	s_cbranch_execnz .LBB361_1249
.LBB361_1244:
	s_cmp_gt_i32 s8, 0
	s_cbranch_scc0 .LBB361_1246
; %bb.1245:
	global_load_ubyte v14, v[16:17], off
	s_mov_b64 s[0:1], 0
	s_branch .LBB361_1247
.LBB361_1246:
	s_mov_b64 s[0:1], -1
                                        ; implicit-def: $vgpr14
.LBB361_1247:
	s_andn2_b64 vcc, exec, s[0:1]
	s_cbranch_vccnz .LBB361_1249
; %bb.1248:
	global_load_ubyte v14, v[16:17], off
.LBB361_1249:
.LBB361_1250:
	s_lshr_b32 s0, s14, 16
	v_mov_b32_e32 v13, 0
	s_and_b32 s15, s0, 0xff
	s_cmp_lt_i32 s15, 11
	v_lshl_add_u64 v[16:17], s[6:7], 0, v[12:13]
	s_cbranch_scc1 .LBB361_1257
; %bb.1251:
	s_and_b32 s16, 0xffff, s15
	s_cmp_gt_i32 s16, 25
	s_mov_b64 s[8:9], 0
	s_cbranch_scc0 .LBB361_1259
; %bb.1252:
	s_cmp_gt_i32 s16, 28
	s_cbranch_scc0 .LBB361_1260
; %bb.1253:
	s_cmp_gt_i32 s16, 43
	;; [unrolled: 3-line block ×3, first 2 shown]
	s_cbranch_scc0 .LBB361_1263
; %bb.1255:
	s_cmp_eq_u32 s16, 46
	s_mov_b64 s[12:13], 0
	s_cbranch_scc0 .LBB361_1266
; %bb.1256:
	global_load_dword v1, v[16:17], off
	s_mov_b64 s[0:1], 0
	s_mov_b64 s[10:11], -1
	s_waitcnt vmcnt(0)
	v_lshlrev_b32_e32 v1, 16, v1
	v_cvt_i32_f32_e32 v12, v1
	s_branch .LBB361_1267
.LBB361_1257:
	s_mov_b64 s[10:11], 0
                                        ; implicit-def: $vgpr12
	s_cbranch_execnz .LBB361_1328
.LBB361_1258:
	s_andn2_b64 vcc, exec, s[10:11]
	s_cbranch_vccnz .LBB361_2059
	s_branch .LBB361_1375
.LBB361_1259:
	s_mov_b64 s[10:11], 0
	s_mov_b64 s[0:1], 0
                                        ; implicit-def: $vgpr12
	s_cbranch_execnz .LBB361_1294
	s_branch .LBB361_1324
.LBB361_1260:
	s_mov_b64 s[12:13], -1
	s_mov_b64 s[10:11], 0
	s_mov_b64 s[0:1], 0
                                        ; implicit-def: $vgpr12
	s_branch .LBB361_1277
.LBB361_1261:
	s_mov_b64 s[12:13], -1
	s_mov_b64 s[10:11], 0
	s_mov_b64 s[0:1], 0
                                        ; implicit-def: $vgpr12
	s_branch .LBB361_1272
.LBB361_1262:
	s_or_b64 s[2:3], s[24:25], exec
	s_trap 2
	s_cbranch_execz .LBB361_1203
	s_branch .LBB361_1204
.LBB361_1263:
	s_mov_b64 s[12:13], -1
	s_mov_b64 s[10:11], 0
	s_mov_b64 s[0:1], 0
                                        ; implicit-def: $vgpr12
	s_branch .LBB361_1267
.LBB361_1264:
	s_andn2_saveexec_b64 s[14:15], s[14:15]
	s_cbranch_execz .LBB361_999
.LBB361_1265:
	s_mov_b32 s18, 0x42800000
	v_add_f32_e64 v1, |v0|, s18
	v_and_b32_e32 v1, 0xff, v1
	v_cmp_ne_u32_e32 vcc, 0, v1
	s_andn2_b64 s[12:13], s[12:13], exec
	s_and_b64 s[18:19], vcc, exec
	s_or_b64 s[12:13], s[12:13], s[18:19]
	s_or_b64 exec, exec, s[14:15]
	v_mov_b32_e32 v4, 0
	s_and_saveexec_b64 s[14:15], s[12:13]
	s_cbranch_execnz .LBB361_1000
	s_branch .LBB361_1001
.LBB361_1266:
	s_mov_b64 s[0:1], -1
                                        ; implicit-def: $vgpr12
	s_mov_b64 s[10:11], 0
.LBB361_1267:
	s_and_b64 vcc, exec, s[12:13]
	s_cbranch_vccz .LBB361_1271
; %bb.1268:
	s_cmp_eq_u32 s16, 44
	s_cbranch_scc0 .LBB361_1270
; %bb.1269:
	global_load_ubyte v1, v[16:17], off
	s_mov_b64 s[0:1], 0
	s_mov_b64 s[10:11], -1
	s_waitcnt vmcnt(0)
	v_lshlrev_b32_e32 v3, 23, v1
	v_cvt_i32_f32_e32 v3, v3
	v_cmp_ne_u32_e32 vcc, 0, v1
	s_nop 1
	v_cndmask_b32_e32 v12, 0, v3, vcc
	s_branch .LBB361_1271
.LBB361_1270:
	s_mov_b64 s[0:1], -1
                                        ; implicit-def: $vgpr12
.LBB361_1271:
	s_mov_b64 s[12:13], 0
.LBB361_1272:
	s_and_b64 vcc, exec, s[12:13]
	s_cbranch_vccz .LBB361_1276
; %bb.1273:
	s_cmp_eq_u32 s16, 29
	s_cbranch_scc0 .LBB361_1275
; %bb.1274:
	global_load_dwordx2 v[12:13], v[16:17], off
	s_mov_b64 s[0:1], 0
	s_mov_b64 s[10:11], -1
	s_branch .LBB361_1276
.LBB361_1275:
	s_mov_b64 s[0:1], -1
                                        ; implicit-def: $vgpr12
.LBB361_1276:
	s_mov_b64 s[12:13], 0
.LBB361_1277:
	s_and_b64 vcc, exec, s[12:13]
	s_cbranch_vccz .LBB361_1293
; %bb.1278:
	s_cmp_lt_i32 s16, 27
	s_cbranch_scc1 .LBB361_1281
; %bb.1279:
	s_cmp_gt_i32 s16, 27
	s_cbranch_scc0 .LBB361_1282
; %bb.1280:
	global_load_dword v12, v[16:17], off
	s_mov_b64 s[10:11], 0
	s_branch .LBB361_1283
.LBB361_1281:
	s_mov_b64 s[10:11], -1
                                        ; implicit-def: $vgpr12
	s_branch .LBB361_1286
.LBB361_1282:
	s_mov_b64 s[10:11], -1
                                        ; implicit-def: $vgpr12
.LBB361_1283:
	s_andn2_b64 vcc, exec, s[10:11]
	s_cbranch_vccnz .LBB361_1285
; %bb.1284:
	global_load_ushort v12, v[16:17], off
.LBB361_1285:
	s_mov_b64 s[10:11], 0
.LBB361_1286:
	s_andn2_b64 vcc, exec, s[10:11]
	s_cbranch_vccnz .LBB361_1292
; %bb.1287:
	global_load_ubyte v1, v[16:17], off
	s_movk_i32 s10, 0x7f
	s_mov_b64 s[12:13], 0
	s_waitcnt vmcnt(0)
	v_cmp_lt_i16_e32 vcc, s10, v1
	s_and_saveexec_b64 s[10:11], vcc
	s_xor_b64 s[10:11], exec, s[10:11]
	s_cbranch_execz .LBB361_1303
; %bb.1288:
	s_movk_i32 s12, 0x80
	v_cmp_ne_u16_e32 vcc, s12, v1
	s_and_b64 s[12:13], vcc, exec
	s_andn2_saveexec_b64 s[10:11], s[10:11]
	s_cbranch_execnz .LBB361_1304
.LBB361_1289:
	s_or_b64 exec, exec, s[10:11]
	v_mov_b32_e32 v12, 0
	s_and_saveexec_b64 s[10:11], s[12:13]
	s_cbranch_execz .LBB361_1291
.LBB361_1290:
	v_lshlrev_b32_e32 v3, 24, v1
	v_and_b32_e32 v1, 0xffff, v1
	v_and_b32_e32 v5, 7, v1
	v_ffbh_u32_e32 v9, v5
	v_min_u32_e32 v9, 32, v9
	v_subrev_u32_e32 v11, 28, v9
	v_bfe_u32 v7, v1, 3, 4
	v_lshlrev_b32_e32 v1, v11, v1
	v_sub_u32_e32 v9, 29, v9
	v_and_b32_e32 v1, 7, v1
	v_cmp_eq_u32_e32 vcc, 0, v7
	v_and_b32_e32 v3, 0x80000000, v3
	s_nop 0
	v_cndmask_b32_e32 v7, v7, v9, vcc
	v_cndmask_b32_e32 v1, v5, v1, vcc
	v_mov_b32_e32 v5, 0x3b800000
	v_lshlrev_b32_e32 v1, 20, v1
	v_lshl_add_u32 v5, v7, 23, v5
	v_or3_b32 v1, v3, v5, v1
	v_cvt_i32_f32_e32 v12, v1
.LBB361_1291:
	s_or_b64 exec, exec, s[10:11]
.LBB361_1292:
	s_mov_b64 s[10:11], -1
.LBB361_1293:
	s_branch .LBB361_1324
.LBB361_1294:
	s_cmp_gt_i32 s16, 22
	s_cbranch_scc0 .LBB361_1302
; %bb.1295:
	s_cmp_lt_i32 s16, 24
	s_cbranch_scc1 .LBB361_1305
; %bb.1296:
	s_cmp_gt_i32 s16, 24
	s_cbranch_scc0 .LBB361_1306
; %bb.1297:
	global_load_ubyte v1, v[16:17], off
	s_movk_i32 s8, 0x7f
	s_mov_b64 s[10:11], 0
	s_waitcnt vmcnt(0)
	v_cmp_lt_i16_e32 vcc, s8, v1
	s_and_saveexec_b64 s[8:9], vcc
	s_xor_b64 s[8:9], exec, s[8:9]
	s_cbranch_execz .LBB361_1318
; %bb.1298:
	s_movk_i32 s10, 0x80
	v_cmp_ne_u16_e32 vcc, s10, v1
	s_and_b64 s[10:11], vcc, exec
	s_andn2_saveexec_b64 s[8:9], s[8:9]
	s_cbranch_execnz .LBB361_1319
.LBB361_1299:
	s_or_b64 exec, exec, s[8:9]
	v_mov_b32_e32 v12, 0
	s_and_saveexec_b64 s[8:9], s[10:11]
	s_cbranch_execz .LBB361_1301
.LBB361_1300:
	v_lshlrev_b32_e32 v3, 24, v1
	v_and_b32_e32 v1, 0xffff, v1
	v_and_b32_e32 v5, 3, v1
	v_ffbh_u32_e32 v9, v5
	v_min_u32_e32 v9, 32, v9
	v_subrev_u32_e32 v11, 29, v9
	v_bfe_u32 v7, v1, 2, 5
	v_lshlrev_b32_e32 v1, v11, v1
	v_sub_u32_e32 v9, 30, v9
	v_and_b32_e32 v1, 3, v1
	v_cmp_eq_u32_e32 vcc, 0, v7
	v_and_b32_e32 v3, 0x80000000, v3
	s_nop 0
	v_cndmask_b32_e32 v7, v7, v9, vcc
	v_cndmask_b32_e32 v1, v5, v1, vcc
	v_mov_b32_e32 v5, 0x37800000
	v_lshlrev_b32_e32 v1, 21, v1
	v_lshl_add_u32 v5, v7, 23, v5
	v_or3_b32 v1, v3, v5, v1
	v_cvt_i32_f32_e32 v12, v1
.LBB361_1301:
	s_or_b64 exec, exec, s[8:9]
	s_mov_b64 s[8:9], 0
	s_branch .LBB361_1307
.LBB361_1302:
	s_mov_b64 s[8:9], -1
                                        ; implicit-def: $vgpr12
	s_branch .LBB361_1313
.LBB361_1303:
	s_andn2_saveexec_b64 s[10:11], s[10:11]
	s_cbranch_execz .LBB361_1289
.LBB361_1304:
	v_cmp_ne_u16_e32 vcc, 0, v1
	s_andn2_b64 s[12:13], s[12:13], exec
	s_and_b64 s[18:19], vcc, exec
	s_or_b64 s[12:13], s[12:13], s[18:19]
	s_or_b64 exec, exec, s[10:11]
	v_mov_b32_e32 v12, 0
	s_and_saveexec_b64 s[10:11], s[12:13]
	s_cbranch_execnz .LBB361_1290
	s_branch .LBB361_1291
.LBB361_1305:
	s_mov_b64 s[8:9], -1
                                        ; implicit-def: $vgpr12
	s_branch .LBB361_1310
.LBB361_1306:
	s_mov_b64 s[8:9], -1
                                        ; implicit-def: $vgpr12
.LBB361_1307:
	s_and_b64 vcc, exec, s[8:9]
	s_cbranch_vccz .LBB361_1309
; %bb.1308:
	global_load_ubyte v1, v[16:17], off
	s_mov_b32 s8, 0x7f800000
	s_waitcnt vmcnt(0)
	v_lshlrev_b32_e32 v1, 24, v1
	v_and_b32_e32 v3, 0x7f000000, v1
	v_ffbh_u32_e32 v5, v3
	v_min_u32_e32 v5, 32, v5
	v_sub_u32_e64 v5, v5, 4 clamp
	v_lshlrev_b32_e32 v9, v5, v3
	v_lshlrev_b32_e32 v5, 23, v5
	v_lshrrev_b32_e32 v9, 4, v9
	v_add_u32_e32 v7, 0x1000000, v3
	v_sub_u32_e32 v5, v9, v5
	v_ashrrev_i32_e32 v7, 8, v7
	v_add_u32_e32 v5, 0x3c000000, v5
	v_and_or_b32 v5, v7, s8, v5
	v_cmp_ne_u32_e32 vcc, 0, v3
	s_brev_b32 s8, 1
	s_nop 0
	v_cndmask_b32_e32 v3, 0, v5, vcc
	v_and_or_b32 v1, v1, s8, v3
	v_cvt_i32_f32_e32 v12, v1
.LBB361_1309:
	s_mov_b64 s[8:9], 0
.LBB361_1310:
	s_andn2_b64 vcc, exec, s[8:9]
	s_cbranch_vccnz .LBB361_1312
; %bb.1311:
	global_load_ubyte v1, v[16:17], off
	s_movk_i32 s8, 0x7f00
	s_brev_b32 s9, 16
	s_waitcnt vmcnt(0)
	v_lshlrev_b16_e32 v3, 8, v1
	v_lshlrev_b32_e32 v1, 25, v1
	v_lshrrev_b32_e32 v5, 4, v1
	v_and_or_b32 v7, v3, s8, 0.5
	v_or_b32_e32 v5, 0x70000000, v5
	v_add_f32_e32 v7, -0.5, v7
	v_mul_f32_e32 v5, 0x7800000, v5
	v_cmp_gt_u32_e32 vcc, s9, v1
	v_bfe_i32 v3, v3, 0, 16
	s_brev_b32 s8, 1
	v_cndmask_b32_e32 v1, v5, v7, vcc
	v_and_or_b32 v1, v3, s8, v1
	v_cvt_i32_f32_e32 v12, v1
.LBB361_1312:
	s_mov_b64 s[8:9], 0
	s_mov_b64 s[10:11], -1
.LBB361_1313:
	s_andn2_b64 vcc, exec, s[8:9]
	s_mov_b64 s[8:9], 0
	s_cbranch_vccnz .LBB361_1324
; %bb.1314:
	s_cmp_gt_i32 s16, 14
	s_cbranch_scc0 .LBB361_1317
; %bb.1315:
	s_cmp_eq_u32 s16, 15
	s_cbranch_scc0 .LBB361_1320
; %bb.1316:
	global_load_ushort v1, v[16:17], off
	s_mov_b64 s[0:1], 0
	s_mov_b64 s[10:11], -1
	s_waitcnt vmcnt(0)
	v_lshlrev_b32_e32 v1, 16, v1
	v_cvt_i32_f32_e32 v12, v1
	s_branch .LBB361_1321
.LBB361_1317:
	s_mov_b64 s[12:13], -1
                                        ; implicit-def: $vgpr12
	s_branch .LBB361_1322
.LBB361_1318:
	s_andn2_saveexec_b64 s[8:9], s[8:9]
	s_cbranch_execz .LBB361_1299
.LBB361_1319:
	v_cmp_ne_u16_e32 vcc, 0, v1
	s_andn2_b64 s[10:11], s[10:11], exec
	s_and_b64 s[12:13], vcc, exec
	s_or_b64 s[10:11], s[10:11], s[12:13]
	s_or_b64 exec, exec, s[8:9]
	v_mov_b32_e32 v12, 0
	s_and_saveexec_b64 s[8:9], s[10:11]
	s_cbranch_execnz .LBB361_1300
	s_branch .LBB361_1301
.LBB361_1320:
	s_mov_b64 s[0:1], -1
                                        ; implicit-def: $vgpr12
.LBB361_1321:
	s_mov_b64 s[12:13], 0
.LBB361_1322:
	s_and_b64 vcc, exec, s[12:13]
	s_cbranch_vccz .LBB361_1324
; %bb.1323:
	s_cmp_lg_u32 s16, 11
	s_mov_b64 s[8:9], -1
	s_cselect_b64 s[0:1], -1, 0
.LBB361_1324:
	s_and_b64 vcc, exec, s[0:1]
	s_cbranch_vccnz .LBB361_1387
; %bb.1325:
	s_andn2_b64 vcc, exec, s[8:9]
	s_cbranch_vccnz .LBB361_1327
.LBB361_1326:
	global_load_ubyte v1, v[16:17], off
	s_mov_b64 s[10:11], -1
	s_waitcnt vmcnt(0)
	v_cmp_ne_u16_e32 vcc, 0, v1
	s_nop 1
	v_cndmask_b32_e64 v12, 0, 1, vcc
.LBB361_1327:
	s_branch .LBB361_1258
.LBB361_1328:
	s_and_b32 s8, 0xffff, s15
	s_cmp_lt_i32 s8, 5
	s_cbranch_scc1 .LBB361_1333
; %bb.1329:
	s_cmp_lt_i32 s8, 8
	s_cbranch_scc1 .LBB361_1334
; %bb.1330:
	;; [unrolled: 3-line block ×3, first 2 shown]
	s_cmp_gt_i32 s8, 9
	s_cbranch_scc0 .LBB361_1336
; %bb.1332:
	global_load_dwordx2 v[12:13], v[16:17], off
	s_mov_b64 s[0:1], 0
	s_waitcnt vmcnt(0)
	v_cvt_i32_f64_e32 v12, v[12:13]
	s_branch .LBB361_1337
.LBB361_1333:
                                        ; implicit-def: $vgpr12
	s_branch .LBB361_1355
.LBB361_1334:
	s_mov_b64 s[0:1], -1
                                        ; implicit-def: $vgpr12
	s_branch .LBB361_1343
.LBB361_1335:
	s_mov_b64 s[0:1], -1
                                        ; implicit-def: $vgpr12
	s_branch .LBB361_1340
.LBB361_1336:
	s_mov_b64 s[0:1], -1
                                        ; implicit-def: $vgpr12
.LBB361_1337:
	s_andn2_b64 vcc, exec, s[0:1]
	s_cbranch_vccnz .LBB361_1339
; %bb.1338:
	global_load_dword v1, v[16:17], off
	s_waitcnt vmcnt(0)
	v_cvt_i32_f32_e32 v12, v1
.LBB361_1339:
	s_mov_b64 s[0:1], 0
.LBB361_1340:
	s_andn2_b64 vcc, exec, s[0:1]
	s_cbranch_vccnz .LBB361_1342
; %bb.1341:
	global_load_dword v1, v[16:17], off
	s_waitcnt vmcnt(0)
	v_cvt_i16_f16_e32 v12, v1
.LBB361_1342:
	s_mov_b64 s[0:1], 0
.LBB361_1343:
	s_andn2_b64 vcc, exec, s[0:1]
	s_cbranch_vccnz .LBB361_1354
; %bb.1344:
	s_cmp_lt_i32 s8, 6
	s_cbranch_scc1 .LBB361_1347
; %bb.1345:
	s_cmp_gt_i32 s8, 6
	s_cbranch_scc0 .LBB361_1348
; %bb.1346:
	global_load_dwordx2 v[12:13], v[16:17], off
	s_mov_b64 s[0:1], 0
	s_waitcnt vmcnt(0)
	v_cvt_i32_f64_e32 v12, v[12:13]
	s_branch .LBB361_1349
.LBB361_1347:
	s_mov_b64 s[0:1], -1
                                        ; implicit-def: $vgpr12
	s_branch .LBB361_1352
.LBB361_1348:
	s_mov_b64 s[0:1], -1
                                        ; implicit-def: $vgpr12
.LBB361_1349:
	s_andn2_b64 vcc, exec, s[0:1]
	s_cbranch_vccnz .LBB361_1351
; %bb.1350:
	global_load_dword v1, v[16:17], off
	s_waitcnt vmcnt(0)
	v_cvt_i32_f32_e32 v12, v1
.LBB361_1351:
	s_mov_b64 s[0:1], 0
.LBB361_1352:
	s_andn2_b64 vcc, exec, s[0:1]
	s_cbranch_vccnz .LBB361_1354
; %bb.1353:
	global_load_ushort v1, v[16:17], off
	s_waitcnt vmcnt(0)
	v_cvt_i16_f16_e32 v12, v1
.LBB361_1354:
	s_cbranch_execnz .LBB361_1374
.LBB361_1355:
	s_cmp_lt_i32 s8, 2
	s_cbranch_scc1 .LBB361_1359
; %bb.1356:
	s_cmp_lt_i32 s8, 3
	s_cbranch_scc1 .LBB361_1360
; %bb.1357:
	s_cmp_gt_i32 s8, 3
	s_cbranch_scc0 .LBB361_1361
; %bb.1358:
	global_load_dwordx2 v[12:13], v[16:17], off
	s_mov_b64 s[0:1], 0
	s_branch .LBB361_1362
.LBB361_1359:
	s_mov_b64 s[0:1], -1
                                        ; implicit-def: $vgpr12
	s_branch .LBB361_1368
.LBB361_1360:
	s_mov_b64 s[0:1], -1
                                        ; implicit-def: $vgpr12
	s_branch .LBB361_1365
.LBB361_1361:
	s_mov_b64 s[0:1], -1
                                        ; implicit-def: $vgpr12
.LBB361_1362:
	s_andn2_b64 vcc, exec, s[0:1]
	s_cbranch_vccnz .LBB361_1364
; %bb.1363:
	global_load_dword v12, v[16:17], off
.LBB361_1364:
	s_mov_b64 s[0:1], 0
.LBB361_1365:
	s_andn2_b64 vcc, exec, s[0:1]
	s_cbranch_vccnz .LBB361_1367
; %bb.1366:
	global_load_ushort v12, v[16:17], off
.LBB361_1367:
	s_mov_b64 s[0:1], 0
.LBB361_1368:
	s_andn2_b64 vcc, exec, s[0:1]
	s_cbranch_vccnz .LBB361_1374
; %bb.1369:
	s_cmp_gt_i32 s8, 0
	s_cbranch_scc0 .LBB361_1371
; %bb.1370:
	global_load_ubyte v12, v[16:17], off
	s_mov_b64 s[0:1], 0
	s_branch .LBB361_1372
.LBB361_1371:
	s_mov_b64 s[0:1], -1
                                        ; implicit-def: $vgpr12
.LBB361_1372:
	s_andn2_b64 vcc, exec, s[0:1]
	s_cbranch_vccnz .LBB361_1374
; %bb.1373:
	global_load_ubyte v12, v[16:17], off
.LBB361_1374:
.LBB361_1375:
	v_mov_b32_e32 v11, 0
	s_cmp_lt_i32 s15, 11
	v_lshl_add_u64 v[16:17], s[6:7], 0, v[10:11]
	s_cbranch_scc1 .LBB361_1382
; %bb.1376:
	s_and_b32 s16, 0xffff, s15
	s_cmp_gt_i32 s16, 25
	s_mov_b64 s[8:9], 0
	s_cbranch_scc0 .LBB361_1384
; %bb.1377:
	s_cmp_gt_i32 s16, 28
	s_cbranch_scc0 .LBB361_1385
; %bb.1378:
	s_cmp_gt_i32 s16, 43
	;; [unrolled: 3-line block ×3, first 2 shown]
	s_cbranch_scc0 .LBB361_1388
; %bb.1380:
	s_cmp_eq_u32 s16, 46
	s_mov_b64 s[12:13], 0
	s_cbranch_scc0 .LBB361_1389
; %bb.1381:
	global_load_dword v1, v[16:17], off
	s_mov_b64 s[0:1], 0
	s_mov_b64 s[10:11], -1
	s_waitcnt vmcnt(0)
	v_lshlrev_b32_e32 v1, 16, v1
	v_cvt_i32_f32_e32 v10, v1
	s_branch .LBB361_1390
.LBB361_1382:
	s_mov_b64 s[10:11], 0
                                        ; implicit-def: $vgpr10
	s_cbranch_execnz .LBB361_1452
.LBB361_1383:
	s_andn2_b64 vcc, exec, s[10:11]
	s_cbranch_vccnz .LBB361_2059
	s_branch .LBB361_1500
.LBB361_1384:
	s_mov_b64 s[12:13], -1
	s_mov_b64 s[10:11], 0
	s_mov_b64 s[0:1], 0
                                        ; implicit-def: $vgpr10
	s_branch .LBB361_1417
.LBB361_1385:
	s_mov_b64 s[12:13], -1
	s_mov_b64 s[10:11], 0
	s_mov_b64 s[0:1], 0
                                        ; implicit-def: $vgpr10
	s_branch .LBB361_1400
.LBB361_1386:
	s_mov_b64 s[12:13], -1
	s_mov_b64 s[10:11], 0
	s_mov_b64 s[0:1], 0
                                        ; implicit-def: $vgpr10
	s_branch .LBB361_1395
.LBB361_1387:
	s_trap 2
	s_or_b64 s[2:3], s[2:3], exec
	s_cbranch_execz .LBB361_1326
	s_branch .LBB361_1327
.LBB361_1388:
	s_mov_b64 s[12:13], -1
	s_mov_b64 s[10:11], 0
	s_mov_b64 s[0:1], 0
                                        ; implicit-def: $vgpr10
	s_branch .LBB361_1390
.LBB361_1389:
	s_mov_b64 s[0:1], -1
                                        ; implicit-def: $vgpr10
	s_mov_b64 s[10:11], 0
.LBB361_1390:
	s_and_b64 vcc, exec, s[12:13]
	s_cbranch_vccz .LBB361_1394
; %bb.1391:
	s_cmp_eq_u32 s16, 44
	s_cbranch_scc0 .LBB361_1393
; %bb.1392:
	global_load_ubyte v1, v[16:17], off
	s_mov_b64 s[0:1], 0
	s_mov_b64 s[10:11], -1
	s_waitcnt vmcnt(0)
	v_lshlrev_b32_e32 v3, 23, v1
	v_cvt_i32_f32_e32 v3, v3
	v_cmp_ne_u32_e32 vcc, 0, v1
	s_nop 1
	v_cndmask_b32_e32 v10, 0, v3, vcc
	s_branch .LBB361_1394
.LBB361_1393:
	s_mov_b64 s[0:1], -1
                                        ; implicit-def: $vgpr10
.LBB361_1394:
	s_mov_b64 s[12:13], 0
.LBB361_1395:
	s_and_b64 vcc, exec, s[12:13]
	s_cbranch_vccz .LBB361_1399
; %bb.1396:
	s_cmp_eq_u32 s16, 29
	s_cbranch_scc0 .LBB361_1398
; %bb.1397:
	global_load_dwordx2 v[10:11], v[16:17], off
	s_mov_b64 s[0:1], 0
	s_mov_b64 s[10:11], -1
	s_branch .LBB361_1399
.LBB361_1398:
	s_mov_b64 s[0:1], -1
                                        ; implicit-def: $vgpr10
.LBB361_1399:
	s_mov_b64 s[12:13], 0
.LBB361_1400:
	s_and_b64 vcc, exec, s[12:13]
	s_cbranch_vccz .LBB361_1416
; %bb.1401:
	s_cmp_lt_i32 s16, 27
	s_cbranch_scc1 .LBB361_1404
; %bb.1402:
	s_cmp_gt_i32 s16, 27
	s_cbranch_scc0 .LBB361_1405
; %bb.1403:
	global_load_dword v10, v[16:17], off
	s_mov_b64 s[10:11], 0
	s_branch .LBB361_1406
.LBB361_1404:
	s_mov_b64 s[10:11], -1
                                        ; implicit-def: $vgpr10
	s_branch .LBB361_1409
.LBB361_1405:
	s_mov_b64 s[10:11], -1
                                        ; implicit-def: $vgpr10
.LBB361_1406:
	s_andn2_b64 vcc, exec, s[10:11]
	s_cbranch_vccnz .LBB361_1408
; %bb.1407:
	global_load_ushort v10, v[16:17], off
.LBB361_1408:
	s_mov_b64 s[10:11], 0
.LBB361_1409:
	s_andn2_b64 vcc, exec, s[10:11]
	s_cbranch_vccnz .LBB361_1415
; %bb.1410:
	global_load_ubyte v1, v[16:17], off
	s_movk_i32 s10, 0x7f
	s_mov_b64 s[12:13], 0
	s_waitcnt vmcnt(0)
	v_cmp_lt_i16_e32 vcc, s10, v1
	s_and_saveexec_b64 s[10:11], vcc
	s_xor_b64 s[10:11], exec, s[10:11]
	s_cbranch_execz .LBB361_1427
; %bb.1411:
	s_movk_i32 s12, 0x80
	v_cmp_ne_u16_e32 vcc, s12, v1
	s_and_b64 s[12:13], vcc, exec
	s_andn2_saveexec_b64 s[10:11], s[10:11]
	s_cbranch_execnz .LBB361_1428
.LBB361_1412:
	s_or_b64 exec, exec, s[10:11]
	v_mov_b32_e32 v10, 0
	s_and_saveexec_b64 s[10:11], s[12:13]
	s_cbranch_execz .LBB361_1414
.LBB361_1413:
	v_lshlrev_b32_e32 v3, 24, v1
	v_and_b32_e32 v1, 0xffff, v1
	v_and_b32_e32 v5, 7, v1
	v_ffbh_u32_e32 v9, v5
	v_min_u32_e32 v9, 32, v9
	v_subrev_u32_e32 v10, 28, v9
	v_bfe_u32 v7, v1, 3, 4
	v_lshlrev_b32_e32 v1, v10, v1
	v_sub_u32_e32 v9, 29, v9
	v_and_b32_e32 v1, 7, v1
	v_cmp_eq_u32_e32 vcc, 0, v7
	v_and_b32_e32 v3, 0x80000000, v3
	s_nop 0
	v_cndmask_b32_e32 v7, v7, v9, vcc
	v_cndmask_b32_e32 v1, v5, v1, vcc
	v_mov_b32_e32 v5, 0x3b800000
	v_lshlrev_b32_e32 v1, 20, v1
	v_lshl_add_u32 v5, v7, 23, v5
	v_or3_b32 v1, v3, v5, v1
	v_cvt_i32_f32_e32 v10, v1
.LBB361_1414:
	s_or_b64 exec, exec, s[10:11]
.LBB361_1415:
	s_mov_b64 s[10:11], -1
.LBB361_1416:
	s_mov_b64 s[12:13], 0
.LBB361_1417:
	s_and_b64 vcc, exec, s[12:13]
	s_cbranch_vccz .LBB361_1448
; %bb.1418:
	s_cmp_gt_i32 s16, 22
	s_cbranch_scc0 .LBB361_1426
; %bb.1419:
	s_cmp_lt_i32 s16, 24
	s_cbranch_scc1 .LBB361_1429
; %bb.1420:
	s_cmp_gt_i32 s16, 24
	s_cbranch_scc0 .LBB361_1430
; %bb.1421:
	global_load_ubyte v1, v[16:17], off
	s_movk_i32 s8, 0x7f
	s_mov_b64 s[10:11], 0
	s_waitcnt vmcnt(0)
	v_cmp_lt_i16_e32 vcc, s8, v1
	s_and_saveexec_b64 s[8:9], vcc
	s_xor_b64 s[8:9], exec, s[8:9]
	s_cbranch_execz .LBB361_1442
; %bb.1422:
	s_movk_i32 s10, 0x80
	v_cmp_ne_u16_e32 vcc, s10, v1
	s_and_b64 s[10:11], vcc, exec
	s_andn2_saveexec_b64 s[8:9], s[8:9]
	s_cbranch_execnz .LBB361_1443
.LBB361_1423:
	s_or_b64 exec, exec, s[8:9]
	v_mov_b32_e32 v10, 0
	s_and_saveexec_b64 s[8:9], s[10:11]
	s_cbranch_execz .LBB361_1425
.LBB361_1424:
	v_lshlrev_b32_e32 v3, 24, v1
	v_and_b32_e32 v1, 0xffff, v1
	v_and_b32_e32 v5, 3, v1
	v_ffbh_u32_e32 v9, v5
	v_min_u32_e32 v9, 32, v9
	v_subrev_u32_e32 v10, 29, v9
	v_bfe_u32 v7, v1, 2, 5
	v_lshlrev_b32_e32 v1, v10, v1
	v_sub_u32_e32 v9, 30, v9
	v_and_b32_e32 v1, 3, v1
	v_cmp_eq_u32_e32 vcc, 0, v7
	v_and_b32_e32 v3, 0x80000000, v3
	s_nop 0
	v_cndmask_b32_e32 v7, v7, v9, vcc
	v_cndmask_b32_e32 v1, v5, v1, vcc
	v_mov_b32_e32 v5, 0x37800000
	v_lshlrev_b32_e32 v1, 21, v1
	v_lshl_add_u32 v5, v7, 23, v5
	v_or3_b32 v1, v3, v5, v1
	v_cvt_i32_f32_e32 v10, v1
.LBB361_1425:
	s_or_b64 exec, exec, s[8:9]
	s_mov_b64 s[8:9], 0
	s_branch .LBB361_1431
.LBB361_1426:
	s_mov_b64 s[8:9], -1
                                        ; implicit-def: $vgpr10
	s_branch .LBB361_1437
.LBB361_1427:
	s_andn2_saveexec_b64 s[10:11], s[10:11]
	s_cbranch_execz .LBB361_1412
.LBB361_1428:
	v_cmp_ne_u16_e32 vcc, 0, v1
	s_andn2_b64 s[12:13], s[12:13], exec
	s_and_b64 s[18:19], vcc, exec
	s_or_b64 s[12:13], s[12:13], s[18:19]
	s_or_b64 exec, exec, s[10:11]
	v_mov_b32_e32 v10, 0
	s_and_saveexec_b64 s[10:11], s[12:13]
	s_cbranch_execnz .LBB361_1413
	s_branch .LBB361_1414
.LBB361_1429:
	s_mov_b64 s[8:9], -1
                                        ; implicit-def: $vgpr10
	s_branch .LBB361_1434
.LBB361_1430:
	s_mov_b64 s[8:9], -1
                                        ; implicit-def: $vgpr10
.LBB361_1431:
	s_and_b64 vcc, exec, s[8:9]
	s_cbranch_vccz .LBB361_1433
; %bb.1432:
	global_load_ubyte v1, v[16:17], off
	s_mov_b32 s8, 0x7f800000
	s_waitcnt vmcnt(0)
	v_lshlrev_b32_e32 v1, 24, v1
	v_and_b32_e32 v3, 0x7f000000, v1
	v_ffbh_u32_e32 v5, v3
	v_min_u32_e32 v5, 32, v5
	v_sub_u32_e64 v5, v5, 4 clamp
	v_lshlrev_b32_e32 v9, v5, v3
	v_lshlrev_b32_e32 v5, 23, v5
	v_lshrrev_b32_e32 v9, 4, v9
	v_add_u32_e32 v7, 0x1000000, v3
	v_sub_u32_e32 v5, v9, v5
	v_ashrrev_i32_e32 v7, 8, v7
	v_add_u32_e32 v5, 0x3c000000, v5
	v_and_or_b32 v5, v7, s8, v5
	v_cmp_ne_u32_e32 vcc, 0, v3
	s_brev_b32 s8, 1
	s_nop 0
	v_cndmask_b32_e32 v3, 0, v5, vcc
	v_and_or_b32 v1, v1, s8, v3
	v_cvt_i32_f32_e32 v10, v1
.LBB361_1433:
	s_mov_b64 s[8:9], 0
.LBB361_1434:
	s_andn2_b64 vcc, exec, s[8:9]
	s_cbranch_vccnz .LBB361_1436
; %bb.1435:
	global_load_ubyte v1, v[16:17], off
	s_movk_i32 s8, 0x7f00
	s_brev_b32 s9, 16
	s_waitcnt vmcnt(0)
	v_lshlrev_b16_e32 v3, 8, v1
	v_lshlrev_b32_e32 v1, 25, v1
	v_lshrrev_b32_e32 v5, 4, v1
	v_and_or_b32 v7, v3, s8, 0.5
	v_or_b32_e32 v5, 0x70000000, v5
	v_add_f32_e32 v7, -0.5, v7
	v_mul_f32_e32 v5, 0x7800000, v5
	v_cmp_gt_u32_e32 vcc, s9, v1
	v_bfe_i32 v3, v3, 0, 16
	s_brev_b32 s8, 1
	v_cndmask_b32_e32 v1, v5, v7, vcc
	v_and_or_b32 v1, v3, s8, v1
	v_cvt_i32_f32_e32 v10, v1
.LBB361_1436:
	s_mov_b64 s[8:9], 0
	s_mov_b64 s[10:11], -1
.LBB361_1437:
	s_andn2_b64 vcc, exec, s[8:9]
	s_mov_b64 s[8:9], 0
	s_cbranch_vccnz .LBB361_1448
; %bb.1438:
	s_cmp_gt_i32 s16, 14
	s_cbranch_scc0 .LBB361_1441
; %bb.1439:
	s_cmp_eq_u32 s16, 15
	s_cbranch_scc0 .LBB361_1444
; %bb.1440:
	global_load_ushort v1, v[16:17], off
	s_mov_b64 s[0:1], 0
	s_mov_b64 s[10:11], -1
	s_waitcnt vmcnt(0)
	v_lshlrev_b32_e32 v1, 16, v1
	v_cvt_i32_f32_e32 v10, v1
	s_branch .LBB361_1445
.LBB361_1441:
	s_mov_b64 s[12:13], -1
                                        ; implicit-def: $vgpr10
	s_branch .LBB361_1446
.LBB361_1442:
	s_andn2_saveexec_b64 s[8:9], s[8:9]
	s_cbranch_execz .LBB361_1423
.LBB361_1443:
	v_cmp_ne_u16_e32 vcc, 0, v1
	s_andn2_b64 s[10:11], s[10:11], exec
	s_and_b64 s[12:13], vcc, exec
	s_or_b64 s[10:11], s[10:11], s[12:13]
	s_or_b64 exec, exec, s[8:9]
	v_mov_b32_e32 v10, 0
	s_and_saveexec_b64 s[8:9], s[10:11]
	s_cbranch_execnz .LBB361_1424
	s_branch .LBB361_1425
.LBB361_1444:
	s_mov_b64 s[0:1], -1
                                        ; implicit-def: $vgpr10
.LBB361_1445:
	s_mov_b64 s[12:13], 0
.LBB361_1446:
	s_and_b64 vcc, exec, s[12:13]
	s_cbranch_vccz .LBB361_1448
; %bb.1447:
	s_cmp_lg_u32 s16, 11
	s_mov_b64 s[8:9], -1
	s_cselect_b64 s[0:1], -1, 0
.LBB361_1448:
	s_and_b64 vcc, exec, s[0:1]
	s_cbranch_vccnz .LBB361_1511
; %bb.1449:
	s_andn2_b64 vcc, exec, s[8:9]
	s_cbranch_vccnz .LBB361_1451
.LBB361_1450:
	global_load_ubyte v1, v[16:17], off
	s_mov_b64 s[10:11], -1
	s_waitcnt vmcnt(0)
	v_cmp_ne_u16_e32 vcc, 0, v1
	s_nop 1
	v_cndmask_b32_e64 v10, 0, 1, vcc
.LBB361_1451:
	s_branch .LBB361_1383
.LBB361_1452:
	s_and_b32 s8, 0xffff, s15
	s_cmp_lt_i32 s8, 5
	s_cbranch_scc1 .LBB361_1457
; %bb.1453:
	s_cmp_lt_i32 s8, 8
	s_cbranch_scc1 .LBB361_1458
; %bb.1454:
	;; [unrolled: 3-line block ×3, first 2 shown]
	s_cmp_gt_i32 s8, 9
	s_cbranch_scc0 .LBB361_1460
; %bb.1456:
	global_load_dwordx2 v[10:11], v[16:17], off
	s_mov_b64 s[0:1], 0
	s_waitcnt vmcnt(0)
	v_cvt_i32_f64_e32 v10, v[10:11]
	s_branch .LBB361_1461
.LBB361_1457:
	s_mov_b64 s[0:1], -1
                                        ; implicit-def: $vgpr10
	s_branch .LBB361_1479
.LBB361_1458:
	s_mov_b64 s[0:1], -1
                                        ; implicit-def: $vgpr10
	s_branch .LBB361_1467
.LBB361_1459:
	s_mov_b64 s[0:1], -1
                                        ; implicit-def: $vgpr10
	s_branch .LBB361_1464
.LBB361_1460:
	s_mov_b64 s[0:1], -1
                                        ; implicit-def: $vgpr10
.LBB361_1461:
	s_andn2_b64 vcc, exec, s[0:1]
	s_cbranch_vccnz .LBB361_1463
; %bb.1462:
	global_load_dword v1, v[16:17], off
	s_waitcnt vmcnt(0)
	v_cvt_i32_f32_e32 v10, v1
.LBB361_1463:
	s_mov_b64 s[0:1], 0
.LBB361_1464:
	s_andn2_b64 vcc, exec, s[0:1]
	s_cbranch_vccnz .LBB361_1466
; %bb.1465:
	global_load_dword v1, v[16:17], off
	s_waitcnt vmcnt(0)
	v_cvt_i16_f16_e32 v10, v1
.LBB361_1466:
	s_mov_b64 s[0:1], 0
.LBB361_1467:
	s_andn2_b64 vcc, exec, s[0:1]
	s_cbranch_vccnz .LBB361_1478
; %bb.1468:
	s_cmp_lt_i32 s8, 6
	s_cbranch_scc1 .LBB361_1471
; %bb.1469:
	s_cmp_gt_i32 s8, 6
	s_cbranch_scc0 .LBB361_1472
; %bb.1470:
	global_load_dwordx2 v[10:11], v[16:17], off
	s_mov_b64 s[0:1], 0
	s_waitcnt vmcnt(0)
	v_cvt_i32_f64_e32 v10, v[10:11]
	s_branch .LBB361_1473
.LBB361_1471:
	s_mov_b64 s[0:1], -1
                                        ; implicit-def: $vgpr10
	s_branch .LBB361_1476
.LBB361_1472:
	s_mov_b64 s[0:1], -1
                                        ; implicit-def: $vgpr10
.LBB361_1473:
	s_andn2_b64 vcc, exec, s[0:1]
	s_cbranch_vccnz .LBB361_1475
; %bb.1474:
	global_load_dword v1, v[16:17], off
	s_waitcnt vmcnt(0)
	v_cvt_i32_f32_e32 v10, v1
.LBB361_1475:
	s_mov_b64 s[0:1], 0
.LBB361_1476:
	s_andn2_b64 vcc, exec, s[0:1]
	s_cbranch_vccnz .LBB361_1478
; %bb.1477:
	global_load_ushort v1, v[16:17], off
	s_waitcnt vmcnt(0)
	v_cvt_i16_f16_e32 v10, v1
.LBB361_1478:
	s_mov_b64 s[0:1], 0
.LBB361_1479:
	s_andn2_b64 vcc, exec, s[0:1]
	s_cbranch_vccnz .LBB361_1499
; %bb.1480:
	s_cmp_lt_i32 s8, 2
	s_cbranch_scc1 .LBB361_1484
; %bb.1481:
	s_cmp_lt_i32 s8, 3
	s_cbranch_scc1 .LBB361_1485
; %bb.1482:
	s_cmp_gt_i32 s8, 3
	s_cbranch_scc0 .LBB361_1486
; %bb.1483:
	global_load_dwordx2 v[10:11], v[16:17], off
	s_mov_b64 s[0:1], 0
	s_branch .LBB361_1487
.LBB361_1484:
	s_mov_b64 s[0:1], -1
                                        ; implicit-def: $vgpr10
	s_branch .LBB361_1493
.LBB361_1485:
	s_mov_b64 s[0:1], -1
                                        ; implicit-def: $vgpr10
	s_branch .LBB361_1490
.LBB361_1486:
	s_mov_b64 s[0:1], -1
                                        ; implicit-def: $vgpr10
.LBB361_1487:
	s_andn2_b64 vcc, exec, s[0:1]
	s_cbranch_vccnz .LBB361_1489
; %bb.1488:
	global_load_dword v10, v[16:17], off
.LBB361_1489:
	s_mov_b64 s[0:1], 0
.LBB361_1490:
	s_andn2_b64 vcc, exec, s[0:1]
	s_cbranch_vccnz .LBB361_1492
; %bb.1491:
	global_load_ushort v10, v[16:17], off
.LBB361_1492:
	s_mov_b64 s[0:1], 0
.LBB361_1493:
	s_andn2_b64 vcc, exec, s[0:1]
	s_cbranch_vccnz .LBB361_1499
; %bb.1494:
	s_cmp_gt_i32 s8, 0
	s_cbranch_scc0 .LBB361_1496
; %bb.1495:
	global_load_ubyte v10, v[16:17], off
	s_mov_b64 s[0:1], 0
	s_branch .LBB361_1497
.LBB361_1496:
	s_mov_b64 s[0:1], -1
                                        ; implicit-def: $vgpr10
.LBB361_1497:
	s_andn2_b64 vcc, exec, s[0:1]
	s_cbranch_vccnz .LBB361_1499
; %bb.1498:
	global_load_ubyte v10, v[16:17], off
.LBB361_1499:
.LBB361_1500:
	v_mov_b32_e32 v9, 0
	s_cmp_lt_i32 s15, 11
	v_lshl_add_u64 v[16:17], s[6:7], 0, v[8:9]
	s_cbranch_scc1 .LBB361_1507
; %bb.1501:
	s_and_b32 s12, 0xffff, s15
	s_cmp_gt_i32 s12, 25
	s_mov_b64 s[6:7], 0
	s_cbranch_scc0 .LBB361_1508
; %bb.1502:
	s_cmp_gt_i32 s12, 28
	s_cbranch_scc0 .LBB361_1509
; %bb.1503:
	s_cmp_gt_i32 s12, 43
	;; [unrolled: 3-line block ×3, first 2 shown]
	s_cbranch_scc0 .LBB361_1512
; %bb.1505:
	s_cmp_eq_u32 s12, 46
	s_mov_b64 s[10:11], 0
	s_cbranch_scc0 .LBB361_1513
; %bb.1506:
	global_load_dword v1, v[16:17], off
	s_mov_b64 s[0:1], 0
	s_mov_b64 s[8:9], -1
	s_waitcnt vmcnt(0)
	v_lshlrev_b32_e32 v1, 16, v1
	v_cvt_i32_f32_e32 v8, v1
	s_branch .LBB361_1514
.LBB361_1507:
	s_mov_b64 s[0:1], -1
	s_mov_b64 s[8:9], 0
                                        ; implicit-def: $vgpr8
	s_branch .LBB361_1576
.LBB361_1508:
	s_mov_b64 s[10:11], -1
	s_mov_b64 s[8:9], 0
	s_mov_b64 s[0:1], 0
                                        ; implicit-def: $vgpr8
	s_branch .LBB361_1541
.LBB361_1509:
	s_mov_b64 s[10:11], -1
	s_mov_b64 s[8:9], 0
	s_mov_b64 s[0:1], 0
                                        ; implicit-def: $vgpr8
	s_branch .LBB361_1524
.LBB361_1510:
	s_mov_b64 s[10:11], -1
	s_mov_b64 s[8:9], 0
	s_mov_b64 s[0:1], 0
                                        ; implicit-def: $vgpr8
	s_branch .LBB361_1519
.LBB361_1511:
	s_trap 2
	s_or_b64 s[2:3], s[2:3], exec
	s_cbranch_execz .LBB361_1450
	s_branch .LBB361_1451
.LBB361_1512:
	s_mov_b64 s[10:11], -1
	s_mov_b64 s[8:9], 0
	s_mov_b64 s[0:1], 0
                                        ; implicit-def: $vgpr8
	s_branch .LBB361_1514
.LBB361_1513:
	s_mov_b64 s[0:1], -1
                                        ; implicit-def: $vgpr8
	s_mov_b64 s[8:9], 0
.LBB361_1514:
	s_and_b64 vcc, exec, s[10:11]
	s_cbranch_vccz .LBB361_1518
; %bb.1515:
	s_cmp_eq_u32 s12, 44
	s_cbranch_scc0 .LBB361_1517
; %bb.1516:
	global_load_ubyte v1, v[16:17], off
	s_mov_b64 s[0:1], 0
	s_mov_b64 s[8:9], -1
	s_waitcnt vmcnt(0)
	v_lshlrev_b32_e32 v3, 23, v1
	v_cvt_i32_f32_e32 v3, v3
	v_cmp_ne_u32_e32 vcc, 0, v1
	s_nop 1
	v_cndmask_b32_e32 v8, 0, v3, vcc
	s_branch .LBB361_1518
.LBB361_1517:
	s_mov_b64 s[0:1], -1
                                        ; implicit-def: $vgpr8
.LBB361_1518:
	s_mov_b64 s[10:11], 0
.LBB361_1519:
	s_and_b64 vcc, exec, s[10:11]
	s_cbranch_vccz .LBB361_1523
; %bb.1520:
	s_cmp_eq_u32 s12, 29
	s_cbranch_scc0 .LBB361_1522
; %bb.1521:
	global_load_dwordx2 v[8:9], v[16:17], off
	s_mov_b64 s[0:1], 0
	s_mov_b64 s[8:9], -1
	s_branch .LBB361_1523
.LBB361_1522:
	s_mov_b64 s[0:1], -1
                                        ; implicit-def: $vgpr8
.LBB361_1523:
	s_mov_b64 s[10:11], 0
.LBB361_1524:
	s_and_b64 vcc, exec, s[10:11]
	s_cbranch_vccz .LBB361_1540
; %bb.1525:
	s_cmp_lt_i32 s12, 27
	s_cbranch_scc1 .LBB361_1528
; %bb.1526:
	s_cmp_gt_i32 s12, 27
	s_cbranch_scc0 .LBB361_1529
; %bb.1527:
	global_load_dword v8, v[16:17], off
	s_mov_b64 s[8:9], 0
	s_branch .LBB361_1530
.LBB361_1528:
	s_mov_b64 s[8:9], -1
                                        ; implicit-def: $vgpr8
	s_branch .LBB361_1533
.LBB361_1529:
	s_mov_b64 s[8:9], -1
                                        ; implicit-def: $vgpr8
.LBB361_1530:
	s_andn2_b64 vcc, exec, s[8:9]
	s_cbranch_vccnz .LBB361_1532
; %bb.1531:
	global_load_ushort v8, v[16:17], off
.LBB361_1532:
	s_mov_b64 s[8:9], 0
.LBB361_1533:
	s_andn2_b64 vcc, exec, s[8:9]
	s_cbranch_vccnz .LBB361_1539
; %bb.1534:
	global_load_ubyte v1, v[16:17], off
	s_movk_i32 s8, 0x7f
	s_mov_b64 s[10:11], 0
	s_waitcnt vmcnt(0)
	v_cmp_lt_i16_e32 vcc, s8, v1
	s_and_saveexec_b64 s[8:9], vcc
	s_xor_b64 s[8:9], exec, s[8:9]
	s_cbranch_execz .LBB361_1551
; %bb.1535:
	s_movk_i32 s10, 0x80
	v_cmp_ne_u16_e32 vcc, s10, v1
	s_and_b64 s[10:11], vcc, exec
	s_andn2_saveexec_b64 s[8:9], s[8:9]
	s_cbranch_execnz .LBB361_1552
.LBB361_1536:
	s_or_b64 exec, exec, s[8:9]
	v_mov_b32_e32 v8, 0
	s_and_saveexec_b64 s[8:9], s[10:11]
	s_cbranch_execz .LBB361_1538
.LBB361_1537:
	v_lshlrev_b32_e32 v3, 24, v1
	v_and_b32_e32 v1, 0xffff, v1
	v_and_b32_e32 v5, 7, v1
	v_ffbh_u32_e32 v8, v5
	v_min_u32_e32 v8, 32, v8
	v_subrev_u32_e32 v9, 28, v8
	v_bfe_u32 v7, v1, 3, 4
	v_lshlrev_b32_e32 v1, v9, v1
	v_sub_u32_e32 v8, 29, v8
	v_and_b32_e32 v1, 7, v1
	v_cmp_eq_u32_e32 vcc, 0, v7
	v_and_b32_e32 v3, 0x80000000, v3
	s_nop 0
	v_cndmask_b32_e32 v7, v7, v8, vcc
	v_cndmask_b32_e32 v1, v5, v1, vcc
	v_mov_b32_e32 v5, 0x3b800000
	v_lshlrev_b32_e32 v1, 20, v1
	v_lshl_add_u32 v5, v7, 23, v5
	v_or3_b32 v1, v3, v5, v1
	v_cvt_i32_f32_e32 v8, v1
.LBB361_1538:
	s_or_b64 exec, exec, s[8:9]
.LBB361_1539:
	s_mov_b64 s[8:9], -1
.LBB361_1540:
	s_mov_b64 s[10:11], 0
.LBB361_1541:
	s_and_b64 vcc, exec, s[10:11]
	s_cbranch_vccz .LBB361_1572
; %bb.1542:
	s_cmp_gt_i32 s12, 22
	s_cbranch_scc0 .LBB361_1550
; %bb.1543:
	s_cmp_lt_i32 s12, 24
	s_cbranch_scc1 .LBB361_1553
; %bb.1544:
	s_cmp_gt_i32 s12, 24
	s_cbranch_scc0 .LBB361_1554
; %bb.1545:
	global_load_ubyte v1, v[16:17], off
	s_movk_i32 s6, 0x7f
	s_mov_b64 s[8:9], 0
	s_waitcnt vmcnt(0)
	v_cmp_lt_i16_e32 vcc, s6, v1
	s_and_saveexec_b64 s[6:7], vcc
	s_xor_b64 s[6:7], exec, s[6:7]
	s_cbranch_execz .LBB361_1566
; %bb.1546:
	s_movk_i32 s8, 0x80
	v_cmp_ne_u16_e32 vcc, s8, v1
	s_and_b64 s[8:9], vcc, exec
	s_andn2_saveexec_b64 s[6:7], s[6:7]
	s_cbranch_execnz .LBB361_1567
.LBB361_1547:
	s_or_b64 exec, exec, s[6:7]
	v_mov_b32_e32 v8, 0
	s_and_saveexec_b64 s[6:7], s[8:9]
	s_cbranch_execz .LBB361_1549
.LBB361_1548:
	v_lshlrev_b32_e32 v3, 24, v1
	v_and_b32_e32 v1, 0xffff, v1
	v_and_b32_e32 v5, 3, v1
	v_ffbh_u32_e32 v8, v5
	v_min_u32_e32 v8, 32, v8
	v_subrev_u32_e32 v9, 29, v8
	v_bfe_u32 v7, v1, 2, 5
	v_lshlrev_b32_e32 v1, v9, v1
	v_sub_u32_e32 v8, 30, v8
	v_and_b32_e32 v1, 3, v1
	v_cmp_eq_u32_e32 vcc, 0, v7
	v_and_b32_e32 v3, 0x80000000, v3
	s_nop 0
	v_cndmask_b32_e32 v7, v7, v8, vcc
	v_cndmask_b32_e32 v1, v5, v1, vcc
	v_mov_b32_e32 v5, 0x37800000
	v_lshlrev_b32_e32 v1, 21, v1
	v_lshl_add_u32 v5, v7, 23, v5
	v_or3_b32 v1, v3, v5, v1
	v_cvt_i32_f32_e32 v8, v1
.LBB361_1549:
	s_or_b64 exec, exec, s[6:7]
	s_mov_b64 s[6:7], 0
	s_branch .LBB361_1555
.LBB361_1550:
	s_mov_b64 s[6:7], -1
                                        ; implicit-def: $vgpr8
	s_branch .LBB361_1561
.LBB361_1551:
	s_andn2_saveexec_b64 s[8:9], s[8:9]
	s_cbranch_execz .LBB361_1536
.LBB361_1552:
	v_cmp_ne_u16_e32 vcc, 0, v1
	s_andn2_b64 s[10:11], s[10:11], exec
	s_and_b64 s[16:17], vcc, exec
	s_or_b64 s[10:11], s[10:11], s[16:17]
	s_or_b64 exec, exec, s[8:9]
	v_mov_b32_e32 v8, 0
	s_and_saveexec_b64 s[8:9], s[10:11]
	s_cbranch_execnz .LBB361_1537
	s_branch .LBB361_1538
.LBB361_1553:
	s_mov_b64 s[6:7], -1
                                        ; implicit-def: $vgpr8
	s_branch .LBB361_1558
.LBB361_1554:
	s_mov_b64 s[6:7], -1
                                        ; implicit-def: $vgpr8
.LBB361_1555:
	s_and_b64 vcc, exec, s[6:7]
	s_cbranch_vccz .LBB361_1557
; %bb.1556:
	global_load_ubyte v1, v[16:17], off
	s_mov_b32 s6, 0x7f800000
	s_waitcnt vmcnt(0)
	v_lshlrev_b32_e32 v1, 24, v1
	v_and_b32_e32 v3, 0x7f000000, v1
	v_ffbh_u32_e32 v5, v3
	v_min_u32_e32 v5, 32, v5
	v_sub_u32_e64 v5, v5, 4 clamp
	v_lshlrev_b32_e32 v8, v5, v3
	v_lshlrev_b32_e32 v5, 23, v5
	v_lshrrev_b32_e32 v8, 4, v8
	v_add_u32_e32 v7, 0x1000000, v3
	v_sub_u32_e32 v5, v8, v5
	v_ashrrev_i32_e32 v7, 8, v7
	v_add_u32_e32 v5, 0x3c000000, v5
	v_and_or_b32 v5, v7, s6, v5
	v_cmp_ne_u32_e32 vcc, 0, v3
	s_brev_b32 s6, 1
	s_nop 0
	v_cndmask_b32_e32 v3, 0, v5, vcc
	v_and_or_b32 v1, v1, s6, v3
	v_cvt_i32_f32_e32 v8, v1
.LBB361_1557:
	s_mov_b64 s[6:7], 0
.LBB361_1558:
	s_andn2_b64 vcc, exec, s[6:7]
	s_cbranch_vccnz .LBB361_1560
; %bb.1559:
	global_load_ubyte v1, v[16:17], off
	s_movk_i32 s6, 0x7f00
	s_brev_b32 s7, 16
	s_waitcnt vmcnt(0)
	v_lshlrev_b16_e32 v3, 8, v1
	v_lshlrev_b32_e32 v1, 25, v1
	v_lshrrev_b32_e32 v5, 4, v1
	v_and_or_b32 v7, v3, s6, 0.5
	v_or_b32_e32 v5, 0x70000000, v5
	v_add_f32_e32 v7, -0.5, v7
	v_mul_f32_e32 v5, 0x7800000, v5
	v_cmp_gt_u32_e32 vcc, s7, v1
	v_bfe_i32 v3, v3, 0, 16
	s_brev_b32 s6, 1
	v_cndmask_b32_e32 v1, v5, v7, vcc
	v_and_or_b32 v1, v3, s6, v1
	v_cvt_i32_f32_e32 v8, v1
.LBB361_1560:
	s_mov_b64 s[6:7], 0
	s_mov_b64 s[8:9], -1
.LBB361_1561:
	s_andn2_b64 vcc, exec, s[6:7]
	s_mov_b64 s[6:7], 0
	s_cbranch_vccnz .LBB361_1572
; %bb.1562:
	s_cmp_gt_i32 s12, 14
	s_cbranch_scc0 .LBB361_1565
; %bb.1563:
	s_cmp_eq_u32 s12, 15
	s_cbranch_scc0 .LBB361_1568
; %bb.1564:
	global_load_ushort v1, v[16:17], off
	s_mov_b64 s[0:1], 0
	s_mov_b64 s[8:9], -1
	s_waitcnt vmcnt(0)
	v_lshlrev_b32_e32 v1, 16, v1
	v_cvt_i32_f32_e32 v8, v1
	s_branch .LBB361_1569
.LBB361_1565:
	s_mov_b64 s[10:11], -1
                                        ; implicit-def: $vgpr8
	s_branch .LBB361_1570
.LBB361_1566:
	s_andn2_saveexec_b64 s[6:7], s[6:7]
	s_cbranch_execz .LBB361_1547
.LBB361_1567:
	v_cmp_ne_u16_e32 vcc, 0, v1
	s_andn2_b64 s[8:9], s[8:9], exec
	s_and_b64 s[10:11], vcc, exec
	s_or_b64 s[8:9], s[8:9], s[10:11]
	s_or_b64 exec, exec, s[6:7]
	v_mov_b32_e32 v8, 0
	s_and_saveexec_b64 s[6:7], s[8:9]
	s_cbranch_execnz .LBB361_1548
	s_branch .LBB361_1549
.LBB361_1568:
	s_mov_b64 s[0:1], -1
                                        ; implicit-def: $vgpr8
.LBB361_1569:
	s_mov_b64 s[10:11], 0
.LBB361_1570:
	s_and_b64 vcc, exec, s[10:11]
	s_cbranch_vccz .LBB361_1572
; %bb.1571:
	s_cmp_lg_u32 s12, 11
	s_mov_b64 s[6:7], -1
	s_cselect_b64 s[0:1], -1, 0
.LBB361_1572:
	s_and_b64 vcc, exec, s[0:1]
	s_cbranch_vccnz .LBB361_2105
; %bb.1573:
	s_andn2_b64 vcc, exec, s[6:7]
	s_cbranch_vccnz .LBB361_1575
.LBB361_1574:
	global_load_ubyte v1, v[16:17], off
	s_mov_b64 s[8:9], -1
	s_waitcnt vmcnt(0)
	v_cmp_ne_u16_e32 vcc, 0, v1
	s_nop 1
	v_cndmask_b32_e64 v8, 0, 1, vcc
.LBB361_1575:
	s_mov_b64 s[0:1], 0
.LBB361_1576:
	s_and_b64 vcc, exec, s[0:1]
	s_cbranch_vccz .LBB361_1625
; %bb.1577:
	s_and_b32 s6, 0xffff, s15
	s_cmp_lt_i32 s6, 5
	s_cbranch_scc1 .LBB361_1582
; %bb.1578:
	s_cmp_lt_i32 s6, 8
	s_cbranch_scc1 .LBB361_1583
; %bb.1579:
	;; [unrolled: 3-line block ×3, first 2 shown]
	s_cmp_gt_i32 s6, 9
	s_cbranch_scc0 .LBB361_1585
; %bb.1581:
	global_load_dwordx2 v[8:9], v[16:17], off
	s_mov_b64 s[0:1], 0
	s_waitcnt vmcnt(0)
	v_cvt_i32_f64_e32 v8, v[8:9]
	s_branch .LBB361_1586
.LBB361_1582:
	s_mov_b64 s[0:1], -1
                                        ; implicit-def: $vgpr8
	s_branch .LBB361_1604
.LBB361_1583:
	s_mov_b64 s[0:1], -1
                                        ; implicit-def: $vgpr8
	s_branch .LBB361_1592
.LBB361_1584:
	s_mov_b64 s[0:1], -1
                                        ; implicit-def: $vgpr8
	s_branch .LBB361_1589
.LBB361_1585:
	s_mov_b64 s[0:1], -1
                                        ; implicit-def: $vgpr8
.LBB361_1586:
	s_andn2_b64 vcc, exec, s[0:1]
	s_cbranch_vccnz .LBB361_1588
; %bb.1587:
	global_load_dword v1, v[16:17], off
	s_waitcnt vmcnt(0)
	v_cvt_i32_f32_e32 v8, v1
.LBB361_1588:
	s_mov_b64 s[0:1], 0
.LBB361_1589:
	s_andn2_b64 vcc, exec, s[0:1]
	s_cbranch_vccnz .LBB361_1591
; %bb.1590:
	global_load_dword v1, v[16:17], off
	s_waitcnt vmcnt(0)
	v_cvt_i16_f16_e32 v8, v1
.LBB361_1591:
	s_mov_b64 s[0:1], 0
.LBB361_1592:
	s_andn2_b64 vcc, exec, s[0:1]
	s_cbranch_vccnz .LBB361_1603
; %bb.1593:
	s_cmp_lt_i32 s6, 6
	s_cbranch_scc1 .LBB361_1596
; %bb.1594:
	s_cmp_gt_i32 s6, 6
	s_cbranch_scc0 .LBB361_1597
; %bb.1595:
	global_load_dwordx2 v[8:9], v[16:17], off
	s_mov_b64 s[0:1], 0
	s_waitcnt vmcnt(0)
	v_cvt_i32_f64_e32 v8, v[8:9]
	s_branch .LBB361_1598
.LBB361_1596:
	s_mov_b64 s[0:1], -1
                                        ; implicit-def: $vgpr8
	s_branch .LBB361_1601
.LBB361_1597:
	s_mov_b64 s[0:1], -1
                                        ; implicit-def: $vgpr8
.LBB361_1598:
	s_andn2_b64 vcc, exec, s[0:1]
	s_cbranch_vccnz .LBB361_1600
; %bb.1599:
	global_load_dword v1, v[16:17], off
	s_waitcnt vmcnt(0)
	v_cvt_i32_f32_e32 v8, v1
.LBB361_1600:
	s_mov_b64 s[0:1], 0
.LBB361_1601:
	s_andn2_b64 vcc, exec, s[0:1]
	s_cbranch_vccnz .LBB361_1603
; %bb.1602:
	global_load_ushort v1, v[16:17], off
	s_waitcnt vmcnt(0)
	v_cvt_i16_f16_e32 v8, v1
.LBB361_1603:
	s_mov_b64 s[0:1], 0
.LBB361_1604:
	s_andn2_b64 vcc, exec, s[0:1]
	s_cbranch_vccnz .LBB361_1624
; %bb.1605:
	s_cmp_lt_i32 s6, 2
	s_cbranch_scc1 .LBB361_1609
; %bb.1606:
	s_cmp_lt_i32 s6, 3
	s_cbranch_scc1 .LBB361_1610
; %bb.1607:
	s_cmp_gt_i32 s6, 3
	s_cbranch_scc0 .LBB361_1611
; %bb.1608:
	global_load_dwordx2 v[8:9], v[16:17], off
	s_mov_b64 s[0:1], 0
	s_branch .LBB361_1612
.LBB361_1609:
	s_mov_b64 s[0:1], -1
                                        ; implicit-def: $vgpr8
	s_branch .LBB361_1618
.LBB361_1610:
	s_mov_b64 s[0:1], -1
                                        ; implicit-def: $vgpr8
	s_branch .LBB361_1615
.LBB361_1611:
	s_mov_b64 s[0:1], -1
                                        ; implicit-def: $vgpr8
.LBB361_1612:
	s_andn2_b64 vcc, exec, s[0:1]
	s_cbranch_vccnz .LBB361_1614
; %bb.1613:
	global_load_dword v8, v[16:17], off
.LBB361_1614:
	s_mov_b64 s[0:1], 0
.LBB361_1615:
	s_andn2_b64 vcc, exec, s[0:1]
	s_cbranch_vccnz .LBB361_1617
; %bb.1616:
	global_load_ushort v8, v[16:17], off
.LBB361_1617:
	s_mov_b64 s[0:1], 0
.LBB361_1618:
	s_andn2_b64 vcc, exec, s[0:1]
	s_cbranch_vccnz .LBB361_1624
; %bb.1619:
	s_cmp_gt_i32 s6, 0
	s_cbranch_scc0 .LBB361_1621
; %bb.1620:
	global_load_ubyte v8, v[16:17], off
	s_mov_b64 s[0:1], 0
	s_branch .LBB361_1622
.LBB361_1621:
	s_mov_b64 s[0:1], -1
                                        ; implicit-def: $vgpr8
.LBB361_1622:
	s_andn2_b64 vcc, exec, s[0:1]
	s_cbranch_vccnz .LBB361_1624
; %bb.1623:
	global_load_ubyte v8, v[16:17], off
.LBB361_1624:
	s_mov_b64 s[8:9], -1
.LBB361_1625:
	s_andn2_b64 vcc, exec, s[8:9]
	s_cbranch_vccnz .LBB361_2059
; %bb.1626:
	s_load_dword s0, s[34:35], 0x158
	s_bfe_u32 s16, s14, 0x80008
	v_mov_b32_e32 v7, 0
	v_lshl_add_u64 v[6:7], s[4:5], 0, v[6:7]
	s_waitcnt lgkmcnt(0)
	s_bfe_i32 s15, s0, 0x80000
	s_waitcnt vmcnt(0)
	v_max_i16_sdwa v1, sext(v14), s15 dst_sel:DWORD dst_unused:UNUSED_PAD src0_sel:BYTE_0 src1_sel:DWORD
	s_cmp_lt_i32 s16, 11
	s_cbranch_scc1 .LBB361_1704
; %bb.1627:
	s_and_b32 s17, 0xffff, s16
	s_mov_b64 s[10:11], -1
	s_mov_b64 s[6:7], 0
	s_cmp_gt_i32 s17, 25
	s_mov_b64 s[8:9], 0
	s_mov_b64 s[0:1], 0
	s_cbranch_scc0 .LBB361_1660
; %bb.1628:
	s_cmp_gt_i32 s17, 28
	s_cbranch_scc0 .LBB361_1643
; %bb.1629:
	s_cmp_gt_i32 s17, 43
	;; [unrolled: 3-line block ×3, first 2 shown]
	s_cbranch_scc0 .LBB361_1633
; %bb.1631:
	s_mov_b64 s[0:1], -1
	s_mov_b64 s[10:11], 0
	s_cmp_eq_u32 s17, 46
	s_cbranch_scc0 .LBB361_1633
; %bb.1632:
	v_cvt_f32_i32_sdwa v3, sext(v1) dst_sel:DWORD dst_unused:UNUSED_PAD src0_sel:WORD_0
	s_movk_i32 s8, 0x7fff
	s_mov_b64 s[0:1], 0
	v_bfe_u32 v5, v3, 16, 1
	v_add3_u32 v3, v3, v5, s8
	v_lshrrev_b32_e32 v3, 16, v3
	global_store_dword v[6:7], v3, off
	s_mov_b64 s[8:9], -1
.LBB361_1633:
	s_and_b64 vcc, exec, s[10:11]
	s_cbranch_vccz .LBB361_1638
; %bb.1634:
	s_cmp_eq_u32 s17, 44
	s_mov_b64 s[0:1], -1
	s_cbranch_scc0 .LBB361_1638
; %bb.1635:
	v_cvt_f32_i32_sdwa v3, sext(v1) dst_sel:DWORD dst_unused:UNUSED_PAD src0_sel:WORD_0
	s_movk_i32 s0, 0xff
	v_mov_b32_e32 v9, 0xff
	v_bfe_u32 v5, v3, 23, 8
	v_cmp_ne_u32_e32 vcc, s0, v5
	s_and_saveexec_b64 s[8:9], vcc
; %bb.1636:
	s_mov_b32 s0, 0x3fffff
	v_lshrrev_b32_e32 v9, 23, v3
	v_and_b32_e32 v11, 0x400000, v3
	v_and_or_b32 v3, v3, s0, v5
	v_cmp_ne_u32_e32 vcc, 0, v11
	v_cmp_ne_u32_e64 s[0:1], 0, v3
	s_and_b64 s[0:1], vcc, s[0:1]
	s_nop 0
	v_cndmask_b32_e64 v3, 0, 1, s[0:1]
	v_add_u32_e32 v9, v9, v3
; %bb.1637:
	s_or_b64 exec, exec, s[8:9]
	s_mov_b64 s[0:1], 0
	s_mov_b64 s[8:9], -1
	global_store_byte v[6:7], v9, off
.LBB361_1638:
	s_mov_b64 s[10:11], 0
.LBB361_1639:
	s_and_b64 vcc, exec, s[10:11]
	s_cbranch_vccz .LBB361_1642
; %bb.1640:
	s_cmp_eq_u32 s17, 29
	s_mov_b64 s[0:1], -1
	s_cbranch_scc0 .LBB361_1642
; %bb.1641:
	v_bfe_i32 v14, v1, 0, 16
	v_ashrrev_i32_e32 v15, 31, v14
	global_store_dwordx2 v[6:7], v[14:15], off
	s_mov_b64 s[0:1], 0
	s_mov_b64 s[8:9], -1
.LBB361_1642:
	s_mov_b64 s[10:11], 0
.LBB361_1643:
	s_and_b64 vcc, exec, s[10:11]
	s_cbranch_vccz .LBB361_1659
; %bb.1644:
	s_cmp_lt_i32 s17, 27
	s_mov_b64 s[8:9], -1
	s_cbranch_scc1 .LBB361_1650
; %bb.1645:
	s_cmp_gt_i32 s17, 27
	s_cbranch_scc0 .LBB361_1647
; %bb.1646:
	v_bfe_i32 v3, v1, 0, 16
	s_mov_b64 s[8:9], 0
	global_store_dword v[6:7], v3, off
.LBB361_1647:
	s_andn2_b64 vcc, exec, s[8:9]
	s_cbranch_vccnz .LBB361_1649
; %bb.1648:
	global_store_short v[6:7], v1, off
.LBB361_1649:
	s_mov_b64 s[8:9], 0
.LBB361_1650:
	s_andn2_b64 vcc, exec, s[8:9]
	s_cbranch_vccnz .LBB361_1658
; %bb.1651:
	v_cvt_f32_i32_sdwa v3, sext(v1) dst_sel:DWORD dst_unused:UNUSED_PAD src0_sel:WORD_0
	s_mov_b32 s8, 0x43800000
	v_mov_b32_e32 v9, 0x80
	v_and_b32_e32 v5, 0x7fffffff, v3
	v_cmp_gt_u32_e32 vcc, s8, v5
	s_and_saveexec_b64 s[8:9], vcc
	s_cbranch_execz .LBB361_1657
; %bb.1652:
	s_mov_b32 s10, 0x3bffffff
	v_cmp_lt_u32_e32 vcc, s10, v5
	s_mov_b64 s[10:11], 0
                                        ; implicit-def: $vgpr5
	s_and_saveexec_b64 s[12:13], vcc
	s_xor_b64 s[12:13], exec, s[12:13]
	s_cbranch_execz .LBB361_2106
; %bb.1653:
	v_bfe_u32 v5, v3, 20, 1
	s_mov_b32 s18, 0x487ffff
	v_add3_u32 v5, v3, v5, s18
	s_mov_b64 s[10:11], exec
	v_lshrrev_b32_e32 v5, 20, v5
	s_andn2_saveexec_b64 s[12:13], s[12:13]
	s_cbranch_execnz .LBB361_2107
.LBB361_1654:
	s_or_b64 exec, exec, s[12:13]
	v_mov_b32_e32 v9, 0
	s_and_saveexec_b64 s[12:13], s[10:11]
.LBB361_1655:
	v_lshrrev_b32_e32 v3, 24, v3
	s_movk_i32 s10, 0x80
	v_and_or_b32 v9, v3, s10, v5
.LBB361_1656:
	s_or_b64 exec, exec, s[12:13]
.LBB361_1657:
	s_or_b64 exec, exec, s[8:9]
	global_store_byte v[6:7], v9, off
.LBB361_1658:
	s_mov_b64 s[8:9], -1
.LBB361_1659:
	s_mov_b64 s[10:11], 0
.LBB361_1660:
	s_and_b64 vcc, exec, s[10:11]
	s_cbranch_vccz .LBB361_1700
; %bb.1661:
	s_cmp_gt_i32 s17, 22
	s_mov_b64 s[6:7], -1
	s_cbranch_scc0 .LBB361_1693
; %bb.1662:
	s_cmp_lt_i32 s17, 24
	s_cbranch_scc1 .LBB361_1682
; %bb.1663:
	s_cmp_gt_i32 s17, 24
	s_cbranch_scc0 .LBB361_1671
; %bb.1664:
	v_cvt_f32_i32_sdwa v3, sext(v1) dst_sel:DWORD dst_unused:UNUSED_PAD src0_sel:WORD_0
	s_mov_b32 s6, 0x47800000
	v_mov_b32_e32 v9, 0x80
	v_and_b32_e32 v5, 0x7fffffff, v3
	v_cmp_gt_u32_e32 vcc, s6, v5
	s_and_saveexec_b64 s[6:7], vcc
	s_cbranch_execz .LBB361_1670
; %bb.1665:
	s_mov_b32 s8, 0x37ffffff
	v_cmp_lt_u32_e32 vcc, s8, v5
	s_mov_b64 s[8:9], 0
                                        ; implicit-def: $vgpr5
	s_and_saveexec_b64 s[10:11], vcc
	s_xor_b64 s[10:11], exec, s[10:11]
	s_cbranch_execz .LBB361_2109
; %bb.1666:
	v_bfe_u32 v5, v3, 21, 1
	s_mov_b32 s12, 0x88fffff
	v_add3_u32 v5, v3, v5, s12
	s_mov_b64 s[8:9], exec
	v_lshrrev_b32_e32 v5, 21, v5
	s_andn2_saveexec_b64 s[10:11], s[10:11]
	s_cbranch_execnz .LBB361_2110
.LBB361_1667:
	s_or_b64 exec, exec, s[10:11]
	v_mov_b32_e32 v9, 0
	s_and_saveexec_b64 s[10:11], s[8:9]
.LBB361_1668:
	v_lshrrev_b32_e32 v3, 24, v3
	s_movk_i32 s8, 0x80
	v_and_or_b32 v9, v3, s8, v5
.LBB361_1669:
	s_or_b64 exec, exec, s[10:11]
.LBB361_1670:
	s_or_b64 exec, exec, s[6:7]
	s_mov_b64 s[6:7], 0
	global_store_byte v[6:7], v9, off
.LBB361_1671:
	s_and_b64 vcc, exec, s[6:7]
	s_cbranch_vccz .LBB361_1681
; %bb.1672:
	v_cvt_f32_i32_sdwa v3, sext(v1) dst_sel:DWORD dst_unused:UNUSED_PAD src0_sel:WORD_0
	s_mov_b32 s6, 0x43f00000
                                        ; implicit-def: $vgpr5
	v_and_b32_e32 v9, 0x7fffffff, v3
	v_cmp_gt_u32_e32 vcc, s6, v9
	s_and_saveexec_b64 s[6:7], vcc
	s_xor_b64 s[6:7], exec, s[6:7]
	s_cbranch_execz .LBB361_1678
; %bb.1673:
	s_mov_b32 s8, 0x3c7fffff
	v_cmp_lt_u32_e32 vcc, s8, v9
                                        ; implicit-def: $vgpr5
	s_and_saveexec_b64 s[8:9], vcc
	s_xor_b64 s[8:9], exec, s[8:9]
; %bb.1674:
	v_bfe_u32 v5, v3, 20, 1
	s_mov_b32 s10, 0x407ffff
	v_add3_u32 v5, v3, v5, s10
	v_lshrrev_b32_e32 v9, 20, v5
	v_and_b32_e32 v5, 0xff00000, v5
	s_mov_b32 s10, 0x7f00000
	v_mov_b32_e32 v11, 0x7e
	v_cmp_ne_u32_e32 vcc, s10, v5
	s_nop 1
	v_cndmask_b32_e32 v5, v11, v9, vcc
; %bb.1675:
	s_andn2_saveexec_b64 s[8:9], s[8:9]
; %bb.1676:
	s_mov_b32 s10, 0x46800000
	v_add_f32_e64 v5, |v3|, s10
; %bb.1677:
	s_or_b64 exec, exec, s[8:9]
                                        ; implicit-def: $vgpr9
.LBB361_1678:
	s_andn2_saveexec_b64 s[6:7], s[6:7]
; %bb.1679:
	s_mov_b32 s8, 0x7f800000
	v_mov_b32_e32 v5, 0x7e
	v_mov_b32_e32 v11, 0x7f
	v_cmp_lt_u32_e32 vcc, s8, v9
	s_nop 1
	v_cndmask_b32_e32 v5, v5, v11, vcc
; %bb.1680:
	s_or_b64 exec, exec, s[6:7]
	v_lshrrev_b32_e32 v3, 24, v3
	s_movk_i32 s6, 0x80
	v_and_or_b32 v3, v3, s6, v5
	global_store_byte v[6:7], v3, off
.LBB361_1681:
	s_mov_b64 s[6:7], 0
.LBB361_1682:
	s_andn2_b64 vcc, exec, s[6:7]
	s_cbranch_vccnz .LBB361_1692
; %bb.1683:
	v_cvt_f32_i32_sdwa v3, sext(v1) dst_sel:DWORD dst_unused:UNUSED_PAD src0_sel:WORD_0
	s_mov_b32 s6, 0x47800000
                                        ; implicit-def: $vgpr5
	v_and_b32_e32 v9, 0x7fffffff, v3
	v_cmp_gt_u32_e32 vcc, s6, v9
	s_and_saveexec_b64 s[6:7], vcc
	s_xor_b64 s[6:7], exec, s[6:7]
	s_cbranch_execz .LBB361_1689
; %bb.1684:
	s_mov_b32 s8, 0x387fffff
	v_cmp_lt_u32_e32 vcc, s8, v9
                                        ; implicit-def: $vgpr5
	s_and_saveexec_b64 s[8:9], vcc
	s_xor_b64 s[8:9], exec, s[8:9]
; %bb.1685:
	v_bfe_u32 v5, v3, 21, 1
	s_mov_b32 s10, 0x80fffff
	v_add3_u32 v5, v3, v5, s10
	v_lshrrev_b32_e32 v5, 21, v5
; %bb.1686:
	s_andn2_saveexec_b64 s[8:9], s[8:9]
; %bb.1687:
	s_mov_b32 s10, 0x43000000
	v_add_f32_e64 v5, |v3|, s10
; %bb.1688:
	s_or_b64 exec, exec, s[8:9]
                                        ; implicit-def: $vgpr9
.LBB361_1689:
	s_andn2_saveexec_b64 s[6:7], s[6:7]
; %bb.1690:
	s_mov_b32 s8, 0x7f800000
	v_mov_b32_e32 v5, 0x7c
	v_mov_b32_e32 v11, 0x7f
	v_cmp_lt_u32_e32 vcc, s8, v9
	s_nop 1
	v_cndmask_b32_e32 v5, v5, v11, vcc
; %bb.1691:
	s_or_b64 exec, exec, s[6:7]
	v_lshrrev_b32_e32 v3, 24, v3
	s_movk_i32 s6, 0x80
	v_and_or_b32 v3, v3, s6, v5
	global_store_byte v[6:7], v3, off
.LBB361_1692:
	s_mov_b64 s[6:7], 0
	s_mov_b64 s[8:9], -1
.LBB361_1693:
	s_andn2_b64 vcc, exec, s[6:7]
	s_mov_b64 s[6:7], 0
	s_cbranch_vccnz .LBB361_1700
; %bb.1694:
	s_cmp_gt_i32 s17, 14
	s_mov_b64 s[10:11], -1
	s_cbranch_scc0 .LBB361_1698
; %bb.1695:
	s_cmp_eq_u32 s17, 15
	s_mov_b64 s[0:1], -1
	s_cbranch_scc0 .LBB361_1697
; %bb.1696:
	v_cvt_f32_i32_sdwa v3, sext(v1) dst_sel:DWORD dst_unused:UNUSED_PAD src0_sel:WORD_0
	s_movk_i32 s6, 0x7fff
	s_mov_b64 s[0:1], 0
	s_mov_b64 s[8:9], -1
	v_bfe_u32 v5, v3, 16, 1
	v_add3_u32 v3, v3, v5, s6
	global_store_short_d16_hi v[6:7], v3, off
.LBB361_1697:
	s_mov_b64 s[10:11], 0
.LBB361_1698:
	s_mov_b64 s[6:7], 0
	s_and_b64 vcc, exec, s[10:11]
	s_cbranch_vccz .LBB361_1700
; %bb.1699:
	s_cmp_lg_u32 s17, 11
	s_mov_b64 s[6:7], -1
	s_cselect_b64 s[0:1], -1, 0
.LBB361_1700:
	s_and_b64 vcc, exec, s[0:1]
	s_cbranch_vccnz .LBB361_2108
; %bb.1701:
	s_andn2_b64 vcc, exec, s[6:7]
	s_cbranch_vccnz .LBB361_1703
.LBB361_1702:
	v_cmp_ne_u16_e32 vcc, 0, v1
	s_mov_b64 s[8:9], -1
	s_nop 0
	v_cndmask_b32_e64 v3, 0, 1, vcc
	global_store_byte v[6:7], v3, off
.LBB361_1703:
	s_mov_b64 s[0:1], 0
	s_branch .LBB361_1705
.LBB361_1704:
	s_mov_b64 s[0:1], -1
	s_mov_b64 s[8:9], 0
.LBB361_1705:
	s_and_b64 vcc, exec, s[0:1]
	s_cbranch_vccz .LBB361_1744
; %bb.1706:
	s_and_b32 s6, 0xffff, s16
	s_cmp_lt_i32 s6, 5
	s_mov_b64 s[0:1], -1
	s_cbranch_scc1 .LBB361_1727
; %bb.1707:
	s_cmp_lt_i32 s6, 8
	s_cbranch_scc1 .LBB361_1717
; %bb.1708:
	s_cmp_lt_i32 s6, 9
	s_cbranch_scc1 .LBB361_1714
; %bb.1709:
	s_cmp_gt_i32 s6, 9
	s_cbranch_scc0 .LBB361_1711
; %bb.1710:
	v_bfe_i32 v3, v1, 0, 16
	v_mov_b32_e32 v16, 0
	v_cvt_f64_i32_e32 v[14:15], v3
	v_mov_b32_e32 v17, v16
	global_store_dwordx4 v[6:7], v[14:17], off
	s_mov_b64 s[0:1], 0
.LBB361_1711:
	s_andn2_b64 vcc, exec, s[0:1]
	s_cbranch_vccnz .LBB361_1713
; %bb.1712:
	v_cvt_f32_i32_sdwa v14, sext(v1) dst_sel:DWORD dst_unused:UNUSED_PAD src0_sel:WORD_0
	v_mov_b32_e32 v15, 0
	global_store_dwordx2 v[6:7], v[14:15], off
.LBB361_1713:
	s_mov_b64 s[0:1], 0
.LBB361_1714:
	s_andn2_b64 vcc, exec, s[0:1]
	s_cbranch_vccnz .LBB361_1716
; %bb.1715:
	v_cvt_f16_i16_e32 v3, v1
	global_store_dword v[6:7], v3, off
.LBB361_1716:
	s_mov_b64 s[0:1], 0
.LBB361_1717:
	s_andn2_b64 vcc, exec, s[0:1]
	s_cbranch_vccnz .LBB361_1726
; %bb.1718:
	s_cmp_lt_i32 s6, 6
	s_mov_b64 s[0:1], -1
	s_cbranch_scc1 .LBB361_1724
; %bb.1719:
	s_cmp_gt_i32 s6, 6
	s_cbranch_scc0 .LBB361_1721
; %bb.1720:
	v_bfe_i32 v3, v1, 0, 16
	v_cvt_f64_i32_e32 v[14:15], v3
	global_store_dwordx2 v[6:7], v[14:15], off
	s_mov_b64 s[0:1], 0
.LBB361_1721:
	s_andn2_b64 vcc, exec, s[0:1]
	s_cbranch_vccnz .LBB361_1723
; %bb.1722:
	v_cvt_f32_i32_sdwa v3, sext(v1) dst_sel:DWORD dst_unused:UNUSED_PAD src0_sel:WORD_0
	global_store_dword v[6:7], v3, off
.LBB361_1723:
	s_mov_b64 s[0:1], 0
.LBB361_1724:
	s_andn2_b64 vcc, exec, s[0:1]
	s_cbranch_vccnz .LBB361_1726
; %bb.1725:
	v_cvt_f16_i16_e32 v3, v1
	global_store_short v[6:7], v3, off
.LBB361_1726:
	s_mov_b64 s[0:1], 0
.LBB361_1727:
	s_andn2_b64 vcc, exec, s[0:1]
	s_cbranch_vccnz .LBB361_1743
; %bb.1728:
	s_cmp_lt_i32 s6, 2
	s_mov_b64 s[0:1], -1
	s_cbranch_scc1 .LBB361_1738
; %bb.1729:
	s_cmp_lt_i32 s6, 3
	s_cbranch_scc1 .LBB361_1735
; %bb.1730:
	s_cmp_gt_i32 s6, 3
	v_bfe_i32 v14, v1, 0, 16
	s_cbranch_scc0 .LBB361_1732
; %bb.1731:
	v_ashrrev_i32_e32 v15, 31, v14
	global_store_dwordx2 v[6:7], v[14:15], off
	s_mov_b64 s[0:1], 0
.LBB361_1732:
	s_andn2_b64 vcc, exec, s[0:1]
	s_cbranch_vccnz .LBB361_1734
; %bb.1733:
	global_store_dword v[6:7], v14, off
.LBB361_1734:
	s_mov_b64 s[0:1], 0
.LBB361_1735:
	s_andn2_b64 vcc, exec, s[0:1]
	s_cbranch_vccnz .LBB361_1737
; %bb.1736:
	global_store_short v[6:7], v1, off
.LBB361_1737:
	s_mov_b64 s[0:1], 0
.LBB361_1738:
	s_andn2_b64 vcc, exec, s[0:1]
	s_cbranch_vccnz .LBB361_1743
; %bb.1739:
	s_cmp_gt_i32 s6, 0
	s_mov_b64 s[0:1], -1
	s_cbranch_scc0 .LBB361_1741
; %bb.1740:
	global_store_byte v[6:7], v1, off
	s_mov_b64 s[0:1], 0
.LBB361_1741:
	s_andn2_b64 vcc, exec, s[0:1]
	s_cbranch_vccnz .LBB361_1743
; %bb.1742:
	global_store_byte v[6:7], v1, off
.LBB361_1743:
	s_mov_b64 s[8:9], -1
.LBB361_1744:
	s_andn2_b64 vcc, exec, s[8:9]
	s_cbranch_vccnz .LBB361_2059
; %bb.1745:
	s_lshr_b32 s0, s14, 8
	s_and_b32 s14, s0, 0xff
	v_mov_b32_e32 v5, 0
	v_max_i16_sdwa v1, sext(v12), s15 dst_sel:DWORD dst_unused:UNUSED_PAD src0_sel:BYTE_0 src1_sel:DWORD
	s_cmp_lt_i32 s14, 11
	v_lshl_add_u64 v[4:5], s[4:5], 0, v[4:5]
	s_cbranch_scc1 .LBB361_1823
; %bb.1746:
	s_and_b32 s16, 0xffff, s14
	s_mov_b64 s[10:11], -1
	s_mov_b64 s[6:7], 0
	s_cmp_gt_i32 s16, 25
	s_mov_b64 s[8:9], 0
	s_mov_b64 s[0:1], 0
	s_cbranch_scc0 .LBB361_1779
; %bb.1747:
	s_cmp_gt_i32 s16, 28
	s_cbranch_scc0 .LBB361_1762
; %bb.1748:
	s_cmp_gt_i32 s16, 43
	;; [unrolled: 3-line block ×3, first 2 shown]
	s_cbranch_scc0 .LBB361_1752
; %bb.1750:
	s_mov_b64 s[0:1], -1
	s_mov_b64 s[10:11], 0
	s_cmp_eq_u32 s16, 46
	s_cbranch_scc0 .LBB361_1752
; %bb.1751:
	v_cvt_f32_i32_sdwa v3, sext(v1) dst_sel:DWORD dst_unused:UNUSED_PAD src0_sel:WORD_0
	s_movk_i32 s8, 0x7fff
	s_mov_b64 s[0:1], 0
	v_bfe_u32 v6, v3, 16, 1
	v_add3_u32 v3, v3, v6, s8
	v_lshrrev_b32_e32 v3, 16, v3
	global_store_dword v[4:5], v3, off
	s_mov_b64 s[8:9], -1
.LBB361_1752:
	s_and_b64 vcc, exec, s[10:11]
	s_cbranch_vccz .LBB361_1757
; %bb.1753:
	s_cmp_eq_u32 s16, 44
	s_mov_b64 s[0:1], -1
	s_cbranch_scc0 .LBB361_1757
; %bb.1754:
	v_cvt_f32_i32_sdwa v3, sext(v1) dst_sel:DWORD dst_unused:UNUSED_PAD src0_sel:WORD_0
	s_movk_i32 s0, 0xff
	v_mov_b32_e32 v7, 0xff
	v_bfe_u32 v6, v3, 23, 8
	v_cmp_ne_u32_e32 vcc, s0, v6
	s_and_saveexec_b64 s[8:9], vcc
; %bb.1755:
	s_mov_b32 s0, 0x3fffff
	v_lshrrev_b32_e32 v7, 23, v3
	v_and_b32_e32 v9, 0x400000, v3
	v_and_or_b32 v3, v3, s0, v6
	v_cmp_ne_u32_e32 vcc, 0, v9
	v_cmp_ne_u32_e64 s[0:1], 0, v3
	s_and_b64 s[0:1], vcc, s[0:1]
	s_nop 0
	v_cndmask_b32_e64 v3, 0, 1, s[0:1]
	v_add_u32_e32 v7, v7, v3
; %bb.1756:
	s_or_b64 exec, exec, s[8:9]
	s_mov_b64 s[0:1], 0
	s_mov_b64 s[8:9], -1
	global_store_byte v[4:5], v7, off
.LBB361_1757:
	s_mov_b64 s[10:11], 0
.LBB361_1758:
	s_and_b64 vcc, exec, s[10:11]
	s_cbranch_vccz .LBB361_1761
; %bb.1759:
	s_cmp_eq_u32 s16, 29
	s_mov_b64 s[0:1], -1
	s_cbranch_scc0 .LBB361_1761
; %bb.1760:
	v_bfe_i32 v6, v1, 0, 16
	v_ashrrev_i32_e32 v7, 31, v6
	global_store_dwordx2 v[4:5], v[6:7], off
	s_mov_b64 s[0:1], 0
	s_mov_b64 s[8:9], -1
.LBB361_1761:
	s_mov_b64 s[10:11], 0
.LBB361_1762:
	s_and_b64 vcc, exec, s[10:11]
	s_cbranch_vccz .LBB361_1778
; %bb.1763:
	s_cmp_lt_i32 s16, 27
	s_mov_b64 s[8:9], -1
	s_cbranch_scc1 .LBB361_1769
; %bb.1764:
	s_cmp_gt_i32 s16, 27
	s_cbranch_scc0 .LBB361_1766
; %bb.1765:
	v_bfe_i32 v3, v1, 0, 16
	s_mov_b64 s[8:9], 0
	global_store_dword v[4:5], v3, off
.LBB361_1766:
	s_andn2_b64 vcc, exec, s[8:9]
	s_cbranch_vccnz .LBB361_1768
; %bb.1767:
	global_store_short v[4:5], v1, off
.LBB361_1768:
	s_mov_b64 s[8:9], 0
.LBB361_1769:
	s_andn2_b64 vcc, exec, s[8:9]
	s_cbranch_vccnz .LBB361_1777
; %bb.1770:
	v_cvt_f32_i32_sdwa v3, sext(v1) dst_sel:DWORD dst_unused:UNUSED_PAD src0_sel:WORD_0
	s_mov_b32 s8, 0x43800000
	v_mov_b32_e32 v7, 0x80
	v_and_b32_e32 v6, 0x7fffffff, v3
	v_cmp_gt_u32_e32 vcc, s8, v6
	s_and_saveexec_b64 s[8:9], vcc
	s_cbranch_execz .LBB361_1776
; %bb.1771:
	s_mov_b32 s10, 0x3bffffff
	v_cmp_lt_u32_e32 vcc, s10, v6
	s_mov_b64 s[10:11], 0
                                        ; implicit-def: $vgpr6
	s_and_saveexec_b64 s[12:13], vcc
	s_xor_b64 s[12:13], exec, s[12:13]
	s_cbranch_execz .LBB361_2111
; %bb.1772:
	v_bfe_u32 v6, v3, 20, 1
	s_mov_b32 s17, 0x487ffff
	v_add3_u32 v6, v3, v6, s17
	s_mov_b64 s[10:11], exec
	v_lshrrev_b32_e32 v6, 20, v6
	s_andn2_saveexec_b64 s[12:13], s[12:13]
	s_cbranch_execnz .LBB361_2112
.LBB361_1773:
	s_or_b64 exec, exec, s[12:13]
	v_mov_b32_e32 v7, 0
	s_and_saveexec_b64 s[12:13], s[10:11]
.LBB361_1774:
	v_lshrrev_b32_e32 v3, 24, v3
	s_movk_i32 s10, 0x80
	v_and_or_b32 v7, v3, s10, v6
.LBB361_1775:
	s_or_b64 exec, exec, s[12:13]
.LBB361_1776:
	s_or_b64 exec, exec, s[8:9]
	global_store_byte v[4:5], v7, off
.LBB361_1777:
	s_mov_b64 s[8:9], -1
.LBB361_1778:
	s_mov_b64 s[10:11], 0
.LBB361_1779:
	s_and_b64 vcc, exec, s[10:11]
	s_cbranch_vccz .LBB361_1819
; %bb.1780:
	s_cmp_gt_i32 s16, 22
	s_mov_b64 s[6:7], -1
	s_cbranch_scc0 .LBB361_1812
; %bb.1781:
	s_cmp_lt_i32 s16, 24
	s_cbranch_scc1 .LBB361_1801
; %bb.1782:
	s_cmp_gt_i32 s16, 24
	s_cbranch_scc0 .LBB361_1790
; %bb.1783:
	v_cvt_f32_i32_sdwa v3, sext(v1) dst_sel:DWORD dst_unused:UNUSED_PAD src0_sel:WORD_0
	s_mov_b32 s6, 0x47800000
	v_mov_b32_e32 v7, 0x80
	v_and_b32_e32 v6, 0x7fffffff, v3
	v_cmp_gt_u32_e32 vcc, s6, v6
	s_and_saveexec_b64 s[6:7], vcc
	s_cbranch_execz .LBB361_1789
; %bb.1784:
	s_mov_b32 s8, 0x37ffffff
	v_cmp_lt_u32_e32 vcc, s8, v6
	s_mov_b64 s[8:9], 0
                                        ; implicit-def: $vgpr6
	s_and_saveexec_b64 s[10:11], vcc
	s_xor_b64 s[10:11], exec, s[10:11]
	s_cbranch_execz .LBB361_2114
; %bb.1785:
	v_bfe_u32 v6, v3, 21, 1
	s_mov_b32 s12, 0x88fffff
	v_add3_u32 v6, v3, v6, s12
	s_mov_b64 s[8:9], exec
	v_lshrrev_b32_e32 v6, 21, v6
	s_andn2_saveexec_b64 s[10:11], s[10:11]
	s_cbranch_execnz .LBB361_2115
.LBB361_1786:
	s_or_b64 exec, exec, s[10:11]
	v_mov_b32_e32 v7, 0
	s_and_saveexec_b64 s[10:11], s[8:9]
.LBB361_1787:
	v_lshrrev_b32_e32 v3, 24, v3
	s_movk_i32 s8, 0x80
	v_and_or_b32 v7, v3, s8, v6
.LBB361_1788:
	s_or_b64 exec, exec, s[10:11]
.LBB361_1789:
	s_or_b64 exec, exec, s[6:7]
	s_mov_b64 s[6:7], 0
	global_store_byte v[4:5], v7, off
.LBB361_1790:
	s_and_b64 vcc, exec, s[6:7]
	s_cbranch_vccz .LBB361_1800
; %bb.1791:
	v_cvt_f32_i32_sdwa v3, sext(v1) dst_sel:DWORD dst_unused:UNUSED_PAD src0_sel:WORD_0
	s_mov_b32 s6, 0x43f00000
                                        ; implicit-def: $vgpr6
	v_and_b32_e32 v7, 0x7fffffff, v3
	v_cmp_gt_u32_e32 vcc, s6, v7
	s_and_saveexec_b64 s[6:7], vcc
	s_xor_b64 s[6:7], exec, s[6:7]
	s_cbranch_execz .LBB361_1797
; %bb.1792:
	s_mov_b32 s8, 0x3c7fffff
	v_cmp_lt_u32_e32 vcc, s8, v7
                                        ; implicit-def: $vgpr6
	s_and_saveexec_b64 s[8:9], vcc
	s_xor_b64 s[8:9], exec, s[8:9]
; %bb.1793:
	v_bfe_u32 v6, v3, 20, 1
	s_mov_b32 s10, 0x407ffff
	v_add3_u32 v6, v3, v6, s10
	v_lshrrev_b32_e32 v7, 20, v6
	v_and_b32_e32 v6, 0xff00000, v6
	s_mov_b32 s10, 0x7f00000
	v_mov_b32_e32 v9, 0x7e
	v_cmp_ne_u32_e32 vcc, s10, v6
	s_nop 1
	v_cndmask_b32_e32 v6, v9, v7, vcc
; %bb.1794:
	s_andn2_saveexec_b64 s[8:9], s[8:9]
; %bb.1795:
	s_mov_b32 s10, 0x46800000
	v_add_f32_e64 v6, |v3|, s10
; %bb.1796:
	s_or_b64 exec, exec, s[8:9]
                                        ; implicit-def: $vgpr7
.LBB361_1797:
	s_andn2_saveexec_b64 s[6:7], s[6:7]
; %bb.1798:
	s_mov_b32 s8, 0x7f800000
	v_mov_b32_e32 v6, 0x7e
	v_mov_b32_e32 v9, 0x7f
	v_cmp_lt_u32_e32 vcc, s8, v7
	s_nop 1
	v_cndmask_b32_e32 v6, v6, v9, vcc
; %bb.1799:
	s_or_b64 exec, exec, s[6:7]
	v_lshrrev_b32_e32 v3, 24, v3
	s_movk_i32 s6, 0x80
	v_and_or_b32 v3, v3, s6, v6
	global_store_byte v[4:5], v3, off
.LBB361_1800:
	s_mov_b64 s[6:7], 0
.LBB361_1801:
	s_andn2_b64 vcc, exec, s[6:7]
	s_cbranch_vccnz .LBB361_1811
; %bb.1802:
	v_cvt_f32_i32_sdwa v3, sext(v1) dst_sel:DWORD dst_unused:UNUSED_PAD src0_sel:WORD_0
	s_mov_b32 s6, 0x47800000
                                        ; implicit-def: $vgpr6
	v_and_b32_e32 v7, 0x7fffffff, v3
	v_cmp_gt_u32_e32 vcc, s6, v7
	s_and_saveexec_b64 s[6:7], vcc
	s_xor_b64 s[6:7], exec, s[6:7]
	s_cbranch_execz .LBB361_1808
; %bb.1803:
	s_mov_b32 s8, 0x387fffff
	v_cmp_lt_u32_e32 vcc, s8, v7
                                        ; implicit-def: $vgpr6
	s_and_saveexec_b64 s[8:9], vcc
	s_xor_b64 s[8:9], exec, s[8:9]
; %bb.1804:
	v_bfe_u32 v6, v3, 21, 1
	s_mov_b32 s10, 0x80fffff
	v_add3_u32 v6, v3, v6, s10
	v_lshrrev_b32_e32 v6, 21, v6
; %bb.1805:
	s_andn2_saveexec_b64 s[8:9], s[8:9]
; %bb.1806:
	s_mov_b32 s10, 0x43000000
	v_add_f32_e64 v6, |v3|, s10
; %bb.1807:
	s_or_b64 exec, exec, s[8:9]
                                        ; implicit-def: $vgpr7
.LBB361_1808:
	s_andn2_saveexec_b64 s[6:7], s[6:7]
; %bb.1809:
	s_mov_b32 s8, 0x7f800000
	v_mov_b32_e32 v6, 0x7c
	v_mov_b32_e32 v9, 0x7f
	v_cmp_lt_u32_e32 vcc, s8, v7
	s_nop 1
	v_cndmask_b32_e32 v6, v6, v9, vcc
; %bb.1810:
	s_or_b64 exec, exec, s[6:7]
	v_lshrrev_b32_e32 v3, 24, v3
	s_movk_i32 s6, 0x80
	v_and_or_b32 v3, v3, s6, v6
	global_store_byte v[4:5], v3, off
.LBB361_1811:
	s_mov_b64 s[6:7], 0
	s_mov_b64 s[8:9], -1
.LBB361_1812:
	s_andn2_b64 vcc, exec, s[6:7]
	s_mov_b64 s[6:7], 0
	s_cbranch_vccnz .LBB361_1819
; %bb.1813:
	s_cmp_gt_i32 s16, 14
	s_mov_b64 s[10:11], -1
	s_cbranch_scc0 .LBB361_1817
; %bb.1814:
	s_cmp_eq_u32 s16, 15
	s_mov_b64 s[0:1], -1
	s_cbranch_scc0 .LBB361_1816
; %bb.1815:
	v_cvt_f32_i32_sdwa v3, sext(v1) dst_sel:DWORD dst_unused:UNUSED_PAD src0_sel:WORD_0
	s_movk_i32 s6, 0x7fff
	s_mov_b64 s[0:1], 0
	s_mov_b64 s[8:9], -1
	v_bfe_u32 v6, v3, 16, 1
	v_add3_u32 v3, v3, v6, s6
	global_store_short_d16_hi v[4:5], v3, off
.LBB361_1816:
	s_mov_b64 s[10:11], 0
.LBB361_1817:
	s_mov_b64 s[6:7], 0
	s_and_b64 vcc, exec, s[10:11]
	s_cbranch_vccz .LBB361_1819
; %bb.1818:
	s_cmp_lg_u32 s16, 11
	s_mov_b64 s[6:7], -1
	s_cselect_b64 s[0:1], -1, 0
.LBB361_1819:
	s_and_b64 vcc, exec, s[0:1]
	s_cbranch_vccnz .LBB361_2113
; %bb.1820:
	s_andn2_b64 vcc, exec, s[6:7]
	s_cbranch_vccnz .LBB361_1822
.LBB361_1821:
	v_cmp_ne_u16_e32 vcc, 0, v1
	s_mov_b64 s[8:9], -1
	s_nop 0
	v_cndmask_b32_e64 v3, 0, 1, vcc
	global_store_byte v[4:5], v3, off
.LBB361_1822:
	s_mov_b64 s[0:1], 0
	s_branch .LBB361_1824
.LBB361_1823:
	s_mov_b64 s[0:1], -1
	s_mov_b64 s[8:9], 0
.LBB361_1824:
	s_and_b64 vcc, exec, s[0:1]
	s_cbranch_vccz .LBB361_1863
; %bb.1825:
	s_and_b32 s6, 0xffff, s14
	s_cmp_lt_i32 s6, 5
	s_mov_b64 s[0:1], -1
	s_cbranch_scc1 .LBB361_1846
; %bb.1826:
	s_cmp_lt_i32 s6, 8
	s_cbranch_scc1 .LBB361_1836
; %bb.1827:
	s_cmp_lt_i32 s6, 9
	s_cbranch_scc1 .LBB361_1833
; %bb.1828:
	s_cmp_gt_i32 s6, 9
	s_cbranch_scc0 .LBB361_1830
; %bb.1829:
	v_bfe_i32 v3, v1, 0, 16
	v_mov_b32_e32 v14, 0
	v_cvt_f64_i32_e32 v[12:13], v3
	v_mov_b32_e32 v15, v14
	global_store_dwordx4 v[4:5], v[12:15], off
	s_mov_b64 s[0:1], 0
.LBB361_1830:
	s_andn2_b64 vcc, exec, s[0:1]
	s_cbranch_vccnz .LBB361_1832
; %bb.1831:
	v_cvt_f32_i32_sdwa v6, sext(v1) dst_sel:DWORD dst_unused:UNUSED_PAD src0_sel:WORD_0
	v_mov_b32_e32 v7, 0
	global_store_dwordx2 v[4:5], v[6:7], off
.LBB361_1832:
	s_mov_b64 s[0:1], 0
.LBB361_1833:
	s_andn2_b64 vcc, exec, s[0:1]
	s_cbranch_vccnz .LBB361_1835
; %bb.1834:
	v_cvt_f16_i16_e32 v3, v1
	global_store_dword v[4:5], v3, off
.LBB361_1835:
	s_mov_b64 s[0:1], 0
.LBB361_1836:
	s_andn2_b64 vcc, exec, s[0:1]
	s_cbranch_vccnz .LBB361_1845
; %bb.1837:
	s_cmp_lt_i32 s6, 6
	s_mov_b64 s[0:1], -1
	s_cbranch_scc1 .LBB361_1843
; %bb.1838:
	s_cmp_gt_i32 s6, 6
	s_cbranch_scc0 .LBB361_1840
; %bb.1839:
	v_bfe_i32 v3, v1, 0, 16
	v_cvt_f64_i32_e32 v[6:7], v3
	global_store_dwordx2 v[4:5], v[6:7], off
	s_mov_b64 s[0:1], 0
.LBB361_1840:
	s_andn2_b64 vcc, exec, s[0:1]
	s_cbranch_vccnz .LBB361_1842
; %bb.1841:
	v_cvt_f32_i32_sdwa v3, sext(v1) dst_sel:DWORD dst_unused:UNUSED_PAD src0_sel:WORD_0
	global_store_dword v[4:5], v3, off
.LBB361_1842:
	s_mov_b64 s[0:1], 0
.LBB361_1843:
	s_andn2_b64 vcc, exec, s[0:1]
	s_cbranch_vccnz .LBB361_1845
; %bb.1844:
	v_cvt_f16_i16_e32 v3, v1
	global_store_short v[4:5], v3, off
.LBB361_1845:
	s_mov_b64 s[0:1], 0
.LBB361_1846:
	s_andn2_b64 vcc, exec, s[0:1]
	s_cbranch_vccnz .LBB361_1862
; %bb.1847:
	s_cmp_lt_i32 s6, 2
	s_mov_b64 s[0:1], -1
	s_cbranch_scc1 .LBB361_1857
; %bb.1848:
	s_cmp_lt_i32 s6, 3
	s_cbranch_scc1 .LBB361_1854
; %bb.1849:
	s_cmp_gt_i32 s6, 3
	s_cbranch_scc0 .LBB361_1851
; %bb.1850:
	v_bfe_i32 v6, v1, 0, 16
	v_ashrrev_i32_e32 v7, 31, v6
	global_store_dwordx2 v[4:5], v[6:7], off
	s_mov_b64 s[0:1], 0
.LBB361_1851:
	s_andn2_b64 vcc, exec, s[0:1]
	s_cbranch_vccnz .LBB361_1853
; %bb.1852:
	v_bfe_i32 v3, v1, 0, 16
	global_store_dword v[4:5], v3, off
.LBB361_1853:
	s_mov_b64 s[0:1], 0
.LBB361_1854:
	s_andn2_b64 vcc, exec, s[0:1]
	s_cbranch_vccnz .LBB361_1856
; %bb.1855:
	global_store_short v[4:5], v1, off
.LBB361_1856:
	s_mov_b64 s[0:1], 0
.LBB361_1857:
	s_andn2_b64 vcc, exec, s[0:1]
	s_cbranch_vccnz .LBB361_1862
; %bb.1858:
	s_cmp_gt_i32 s6, 0
	s_mov_b64 s[0:1], -1
	s_cbranch_scc0 .LBB361_1860
; %bb.1859:
	global_store_byte v[4:5], v1, off
	s_mov_b64 s[0:1], 0
.LBB361_1860:
	s_andn2_b64 vcc, exec, s[0:1]
	s_cbranch_vccnz .LBB361_1862
; %bb.1861:
	global_store_byte v[4:5], v1, off
.LBB361_1862:
	s_mov_b64 s[8:9], -1
.LBB361_1863:
	s_andn2_b64 vcc, exec, s[8:9]
	s_cbranch_vccnz .LBB361_2059
; %bb.1864:
	v_mov_b32_e32 v3, 0
	v_max_i16_sdwa v1, sext(v10), s15 dst_sel:DWORD dst_unused:UNUSED_PAD src0_sel:BYTE_0 src1_sel:DWORD
	s_cmp_lt_i32 s14, 11
	v_lshl_add_u64 v[2:3], s[4:5], 0, v[2:3]
	s_cbranch_scc1 .LBB361_1942
; %bb.1865:
	s_and_b32 s16, 0xffff, s14
	s_mov_b64 s[10:11], -1
	s_mov_b64 s[6:7], 0
	s_cmp_gt_i32 s16, 25
	s_mov_b64 s[8:9], 0
	s_mov_b64 s[0:1], 0
	s_cbranch_scc0 .LBB361_1898
; %bb.1866:
	s_cmp_gt_i32 s16, 28
	s_cbranch_scc0 .LBB361_1881
; %bb.1867:
	s_cmp_gt_i32 s16, 43
	;; [unrolled: 3-line block ×3, first 2 shown]
	s_cbranch_scc0 .LBB361_1871
; %bb.1869:
	s_mov_b64 s[0:1], -1
	s_mov_b64 s[10:11], 0
	s_cmp_eq_u32 s16, 46
	s_cbranch_scc0 .LBB361_1871
; %bb.1870:
	v_cvt_f32_i32_sdwa v4, sext(v1) dst_sel:DWORD dst_unused:UNUSED_PAD src0_sel:WORD_0
	s_movk_i32 s8, 0x7fff
	s_mov_b64 s[0:1], 0
	v_bfe_u32 v5, v4, 16, 1
	v_add3_u32 v4, v4, v5, s8
	v_lshrrev_b32_e32 v4, 16, v4
	global_store_dword v[2:3], v4, off
	s_mov_b64 s[8:9], -1
.LBB361_1871:
	s_and_b64 vcc, exec, s[10:11]
	s_cbranch_vccz .LBB361_1876
; %bb.1872:
	s_cmp_eq_u32 s16, 44
	s_mov_b64 s[0:1], -1
	s_cbranch_scc0 .LBB361_1876
; %bb.1873:
	v_cvt_f32_i32_sdwa v4, sext(v1) dst_sel:DWORD dst_unused:UNUSED_PAD src0_sel:WORD_0
	s_movk_i32 s0, 0xff
	v_mov_b32_e32 v6, 0xff
	v_bfe_u32 v5, v4, 23, 8
	v_cmp_ne_u32_e32 vcc, s0, v5
	s_and_saveexec_b64 s[8:9], vcc
; %bb.1874:
	s_mov_b32 s0, 0x3fffff
	v_lshrrev_b32_e32 v6, 23, v4
	v_and_b32_e32 v7, 0x400000, v4
	v_and_or_b32 v4, v4, s0, v5
	v_cmp_ne_u32_e32 vcc, 0, v7
	v_cmp_ne_u32_e64 s[0:1], 0, v4
	s_and_b64 s[0:1], vcc, s[0:1]
	s_nop 0
	v_cndmask_b32_e64 v4, 0, 1, s[0:1]
	v_add_u32_e32 v6, v6, v4
; %bb.1875:
	s_or_b64 exec, exec, s[8:9]
	s_mov_b64 s[0:1], 0
	s_mov_b64 s[8:9], -1
	global_store_byte v[2:3], v6, off
.LBB361_1876:
	s_mov_b64 s[10:11], 0
.LBB361_1877:
	s_and_b64 vcc, exec, s[10:11]
	s_cbranch_vccz .LBB361_1880
; %bb.1878:
	s_cmp_eq_u32 s16, 29
	s_mov_b64 s[0:1], -1
	s_cbranch_scc0 .LBB361_1880
; %bb.1879:
	v_bfe_i32 v4, v1, 0, 16
	v_ashrrev_i32_e32 v5, 31, v4
	global_store_dwordx2 v[2:3], v[4:5], off
	s_mov_b64 s[0:1], 0
	s_mov_b64 s[8:9], -1
.LBB361_1880:
	s_mov_b64 s[10:11], 0
.LBB361_1881:
	s_and_b64 vcc, exec, s[10:11]
	s_cbranch_vccz .LBB361_1897
; %bb.1882:
	s_cmp_lt_i32 s16, 27
	s_mov_b64 s[8:9], -1
	s_cbranch_scc1 .LBB361_1888
; %bb.1883:
	s_cmp_gt_i32 s16, 27
	s_cbranch_scc0 .LBB361_1885
; %bb.1884:
	v_bfe_i32 v4, v1, 0, 16
	s_mov_b64 s[8:9], 0
	global_store_dword v[2:3], v4, off
.LBB361_1885:
	s_andn2_b64 vcc, exec, s[8:9]
	s_cbranch_vccnz .LBB361_1887
; %bb.1886:
	global_store_short v[2:3], v1, off
.LBB361_1887:
	s_mov_b64 s[8:9], 0
.LBB361_1888:
	s_andn2_b64 vcc, exec, s[8:9]
	s_cbranch_vccnz .LBB361_1896
; %bb.1889:
	v_cvt_f32_i32_sdwa v4, sext(v1) dst_sel:DWORD dst_unused:UNUSED_PAD src0_sel:WORD_0
	s_mov_b32 s8, 0x43800000
	v_mov_b32_e32 v6, 0x80
	v_and_b32_e32 v5, 0x7fffffff, v4
	v_cmp_gt_u32_e32 vcc, s8, v5
	s_and_saveexec_b64 s[8:9], vcc
	s_cbranch_execz .LBB361_1895
; %bb.1890:
	s_mov_b32 s10, 0x3bffffff
	v_cmp_lt_u32_e32 vcc, s10, v5
	s_mov_b64 s[10:11], 0
                                        ; implicit-def: $vgpr5
	s_and_saveexec_b64 s[12:13], vcc
	s_xor_b64 s[12:13], exec, s[12:13]
	s_cbranch_execz .LBB361_2116
; %bb.1891:
	v_bfe_u32 v5, v4, 20, 1
	s_mov_b32 s17, 0x487ffff
	v_add3_u32 v5, v4, v5, s17
	s_mov_b64 s[10:11], exec
	v_lshrrev_b32_e32 v5, 20, v5
	s_andn2_saveexec_b64 s[12:13], s[12:13]
	s_cbranch_execnz .LBB361_2117
.LBB361_1892:
	s_or_b64 exec, exec, s[12:13]
	v_mov_b32_e32 v6, 0
	s_and_saveexec_b64 s[12:13], s[10:11]
.LBB361_1893:
	v_lshrrev_b32_e32 v4, 24, v4
	s_movk_i32 s10, 0x80
	v_and_or_b32 v6, v4, s10, v5
.LBB361_1894:
	s_or_b64 exec, exec, s[12:13]
.LBB361_1895:
	s_or_b64 exec, exec, s[8:9]
	global_store_byte v[2:3], v6, off
.LBB361_1896:
	s_mov_b64 s[8:9], -1
.LBB361_1897:
	s_mov_b64 s[10:11], 0
.LBB361_1898:
	s_and_b64 vcc, exec, s[10:11]
	s_cbranch_vccz .LBB361_1938
; %bb.1899:
	s_cmp_gt_i32 s16, 22
	s_mov_b64 s[6:7], -1
	s_cbranch_scc0 .LBB361_1931
; %bb.1900:
	s_cmp_lt_i32 s16, 24
	s_cbranch_scc1 .LBB361_1920
; %bb.1901:
	s_cmp_gt_i32 s16, 24
	s_cbranch_scc0 .LBB361_1909
; %bb.1902:
	v_cvt_f32_i32_sdwa v4, sext(v1) dst_sel:DWORD dst_unused:UNUSED_PAD src0_sel:WORD_0
	s_mov_b32 s6, 0x47800000
	v_mov_b32_e32 v6, 0x80
	v_and_b32_e32 v5, 0x7fffffff, v4
	v_cmp_gt_u32_e32 vcc, s6, v5
	s_and_saveexec_b64 s[6:7], vcc
	s_cbranch_execz .LBB361_1908
; %bb.1903:
	s_mov_b32 s8, 0x37ffffff
	v_cmp_lt_u32_e32 vcc, s8, v5
	s_mov_b64 s[8:9], 0
                                        ; implicit-def: $vgpr5
	s_and_saveexec_b64 s[10:11], vcc
	s_xor_b64 s[10:11], exec, s[10:11]
	s_cbranch_execz .LBB361_2119
; %bb.1904:
	v_bfe_u32 v5, v4, 21, 1
	s_mov_b32 s12, 0x88fffff
	v_add3_u32 v5, v4, v5, s12
	s_mov_b64 s[8:9], exec
	v_lshrrev_b32_e32 v5, 21, v5
	s_andn2_saveexec_b64 s[10:11], s[10:11]
	s_cbranch_execnz .LBB361_2120
.LBB361_1905:
	s_or_b64 exec, exec, s[10:11]
	v_mov_b32_e32 v6, 0
	s_and_saveexec_b64 s[10:11], s[8:9]
.LBB361_1906:
	v_lshrrev_b32_e32 v4, 24, v4
	s_movk_i32 s8, 0x80
	v_and_or_b32 v6, v4, s8, v5
.LBB361_1907:
	s_or_b64 exec, exec, s[10:11]
.LBB361_1908:
	s_or_b64 exec, exec, s[6:7]
	s_mov_b64 s[6:7], 0
	global_store_byte v[2:3], v6, off
.LBB361_1909:
	s_and_b64 vcc, exec, s[6:7]
	s_cbranch_vccz .LBB361_1919
; %bb.1910:
	v_cvt_f32_i32_sdwa v4, sext(v1) dst_sel:DWORD dst_unused:UNUSED_PAD src0_sel:WORD_0
	s_mov_b32 s6, 0x43f00000
                                        ; implicit-def: $vgpr5
	v_and_b32_e32 v6, 0x7fffffff, v4
	v_cmp_gt_u32_e32 vcc, s6, v6
	s_and_saveexec_b64 s[6:7], vcc
	s_xor_b64 s[6:7], exec, s[6:7]
	s_cbranch_execz .LBB361_1916
; %bb.1911:
	s_mov_b32 s8, 0x3c7fffff
	v_cmp_lt_u32_e32 vcc, s8, v6
                                        ; implicit-def: $vgpr5
	s_and_saveexec_b64 s[8:9], vcc
	s_xor_b64 s[8:9], exec, s[8:9]
; %bb.1912:
	v_bfe_u32 v5, v4, 20, 1
	s_mov_b32 s10, 0x407ffff
	v_add3_u32 v5, v4, v5, s10
	v_lshrrev_b32_e32 v6, 20, v5
	v_and_b32_e32 v5, 0xff00000, v5
	s_mov_b32 s10, 0x7f00000
	v_mov_b32_e32 v7, 0x7e
	v_cmp_ne_u32_e32 vcc, s10, v5
	s_nop 1
	v_cndmask_b32_e32 v5, v7, v6, vcc
; %bb.1913:
	s_andn2_saveexec_b64 s[8:9], s[8:9]
; %bb.1914:
	s_mov_b32 s10, 0x46800000
	v_add_f32_e64 v5, |v4|, s10
; %bb.1915:
	s_or_b64 exec, exec, s[8:9]
                                        ; implicit-def: $vgpr6
.LBB361_1916:
	s_andn2_saveexec_b64 s[6:7], s[6:7]
; %bb.1917:
	s_mov_b32 s8, 0x7f800000
	v_mov_b32_e32 v5, 0x7e
	v_mov_b32_e32 v7, 0x7f
	v_cmp_lt_u32_e32 vcc, s8, v6
	s_nop 1
	v_cndmask_b32_e32 v5, v5, v7, vcc
; %bb.1918:
	s_or_b64 exec, exec, s[6:7]
	v_lshrrev_b32_e32 v4, 24, v4
	s_movk_i32 s6, 0x80
	v_and_or_b32 v4, v4, s6, v5
	global_store_byte v[2:3], v4, off
.LBB361_1919:
	s_mov_b64 s[6:7], 0
.LBB361_1920:
	s_andn2_b64 vcc, exec, s[6:7]
	s_cbranch_vccnz .LBB361_1930
; %bb.1921:
	v_cvt_f32_i32_sdwa v4, sext(v1) dst_sel:DWORD dst_unused:UNUSED_PAD src0_sel:WORD_0
	s_mov_b32 s6, 0x47800000
                                        ; implicit-def: $vgpr5
	v_and_b32_e32 v6, 0x7fffffff, v4
	v_cmp_gt_u32_e32 vcc, s6, v6
	s_and_saveexec_b64 s[6:7], vcc
	s_xor_b64 s[6:7], exec, s[6:7]
	s_cbranch_execz .LBB361_1927
; %bb.1922:
	s_mov_b32 s8, 0x387fffff
	v_cmp_lt_u32_e32 vcc, s8, v6
                                        ; implicit-def: $vgpr5
	s_and_saveexec_b64 s[8:9], vcc
	s_xor_b64 s[8:9], exec, s[8:9]
; %bb.1923:
	v_bfe_u32 v5, v4, 21, 1
	s_mov_b32 s10, 0x80fffff
	v_add3_u32 v5, v4, v5, s10
	v_lshrrev_b32_e32 v5, 21, v5
; %bb.1924:
	s_andn2_saveexec_b64 s[8:9], s[8:9]
; %bb.1925:
	s_mov_b32 s10, 0x43000000
	v_add_f32_e64 v5, |v4|, s10
; %bb.1926:
	s_or_b64 exec, exec, s[8:9]
                                        ; implicit-def: $vgpr6
.LBB361_1927:
	s_andn2_saveexec_b64 s[6:7], s[6:7]
; %bb.1928:
	s_mov_b32 s8, 0x7f800000
	v_mov_b32_e32 v5, 0x7c
	v_mov_b32_e32 v7, 0x7f
	v_cmp_lt_u32_e32 vcc, s8, v6
	s_nop 1
	v_cndmask_b32_e32 v5, v5, v7, vcc
; %bb.1929:
	s_or_b64 exec, exec, s[6:7]
	v_lshrrev_b32_e32 v4, 24, v4
	s_movk_i32 s6, 0x80
	v_and_or_b32 v4, v4, s6, v5
	global_store_byte v[2:3], v4, off
.LBB361_1930:
	s_mov_b64 s[6:7], 0
	s_mov_b64 s[8:9], -1
.LBB361_1931:
	s_andn2_b64 vcc, exec, s[6:7]
	s_mov_b64 s[6:7], 0
	s_cbranch_vccnz .LBB361_1938
; %bb.1932:
	s_cmp_gt_i32 s16, 14
	s_mov_b64 s[10:11], -1
	s_cbranch_scc0 .LBB361_1936
; %bb.1933:
	s_cmp_eq_u32 s16, 15
	s_mov_b64 s[0:1], -1
	s_cbranch_scc0 .LBB361_1935
; %bb.1934:
	v_cvt_f32_i32_sdwa v4, sext(v1) dst_sel:DWORD dst_unused:UNUSED_PAD src0_sel:WORD_0
	s_movk_i32 s6, 0x7fff
	s_mov_b64 s[0:1], 0
	s_mov_b64 s[8:9], -1
	v_bfe_u32 v5, v4, 16, 1
	v_add3_u32 v4, v4, v5, s6
	global_store_short_d16_hi v[2:3], v4, off
.LBB361_1935:
	s_mov_b64 s[10:11], 0
.LBB361_1936:
	s_mov_b64 s[6:7], 0
	s_and_b64 vcc, exec, s[10:11]
	s_cbranch_vccz .LBB361_1938
; %bb.1937:
	s_cmp_lg_u32 s16, 11
	s_mov_b64 s[6:7], -1
	s_cselect_b64 s[0:1], -1, 0
.LBB361_1938:
	s_and_b64 vcc, exec, s[0:1]
	s_cbranch_vccnz .LBB361_2118
; %bb.1939:
	s_andn2_b64 vcc, exec, s[6:7]
	s_cbranch_vccnz .LBB361_1941
.LBB361_1940:
	v_cmp_ne_u16_e32 vcc, 0, v1
	s_mov_b64 s[8:9], -1
	s_nop 0
	v_cndmask_b32_e64 v4, 0, 1, vcc
	global_store_byte v[2:3], v4, off
.LBB361_1941:
	s_mov_b64 s[0:1], 0
	s_branch .LBB361_1943
.LBB361_1942:
	s_mov_b64 s[0:1], -1
	s_mov_b64 s[8:9], 0
.LBB361_1943:
	s_and_b64 vcc, exec, s[0:1]
	s_cbranch_vccz .LBB361_1982
; %bb.1944:
	s_and_b32 s6, 0xffff, s14
	s_cmp_lt_i32 s6, 5
	s_mov_b64 s[0:1], -1
	s_cbranch_scc1 .LBB361_1965
; %bb.1945:
	s_cmp_lt_i32 s6, 8
	s_cbranch_scc1 .LBB361_1955
; %bb.1946:
	s_cmp_lt_i32 s6, 9
	s_cbranch_scc1 .LBB361_1952
; %bb.1947:
	s_cmp_gt_i32 s6, 9
	s_cbranch_scc0 .LBB361_1949
; %bb.1948:
	v_bfe_i32 v4, v1, 0, 16
	v_mov_b32_e32 v6, 0
	v_cvt_f64_i32_e32 v[4:5], v4
	v_mov_b32_e32 v7, v6
	global_store_dwordx4 v[2:3], v[4:7], off
	s_mov_b64 s[0:1], 0
.LBB361_1949:
	s_andn2_b64 vcc, exec, s[0:1]
	s_cbranch_vccnz .LBB361_1951
; %bb.1950:
	v_cvt_f32_i32_sdwa v4, sext(v1) dst_sel:DWORD dst_unused:UNUSED_PAD src0_sel:WORD_0
	v_mov_b32_e32 v5, 0
	global_store_dwordx2 v[2:3], v[4:5], off
.LBB361_1951:
	s_mov_b64 s[0:1], 0
.LBB361_1952:
	s_andn2_b64 vcc, exec, s[0:1]
	s_cbranch_vccnz .LBB361_1954
; %bb.1953:
	v_cvt_f16_i16_e32 v4, v1
	global_store_dword v[2:3], v4, off
.LBB361_1954:
	s_mov_b64 s[0:1], 0
.LBB361_1955:
	s_andn2_b64 vcc, exec, s[0:1]
	s_cbranch_vccnz .LBB361_1964
; %bb.1956:
	s_cmp_lt_i32 s6, 6
	s_mov_b64 s[0:1], -1
	s_cbranch_scc1 .LBB361_1962
; %bb.1957:
	s_cmp_gt_i32 s6, 6
	s_cbranch_scc0 .LBB361_1959
; %bb.1958:
	v_bfe_i32 v4, v1, 0, 16
	v_cvt_f64_i32_e32 v[4:5], v4
	global_store_dwordx2 v[2:3], v[4:5], off
	s_mov_b64 s[0:1], 0
.LBB361_1959:
	s_andn2_b64 vcc, exec, s[0:1]
	s_cbranch_vccnz .LBB361_1961
; %bb.1960:
	v_cvt_f32_i32_sdwa v4, sext(v1) dst_sel:DWORD dst_unused:UNUSED_PAD src0_sel:WORD_0
	global_store_dword v[2:3], v4, off
.LBB361_1961:
	s_mov_b64 s[0:1], 0
.LBB361_1962:
	s_andn2_b64 vcc, exec, s[0:1]
	s_cbranch_vccnz .LBB361_1964
; %bb.1963:
	v_cvt_f16_i16_e32 v4, v1
	global_store_short v[2:3], v4, off
.LBB361_1964:
	s_mov_b64 s[0:1], 0
.LBB361_1965:
	s_andn2_b64 vcc, exec, s[0:1]
	s_cbranch_vccnz .LBB361_1981
; %bb.1966:
	s_cmp_lt_i32 s6, 2
	s_mov_b64 s[0:1], -1
	s_cbranch_scc1 .LBB361_1976
; %bb.1967:
	s_cmp_lt_i32 s6, 3
	s_cbranch_scc1 .LBB361_1973
; %bb.1968:
	s_cmp_gt_i32 s6, 3
	v_bfe_i32 v4, v1, 0, 16
	s_cbranch_scc0 .LBB361_1970
; %bb.1969:
	v_ashrrev_i32_e32 v5, 31, v4
	global_store_dwordx2 v[2:3], v[4:5], off
	s_mov_b64 s[0:1], 0
.LBB361_1970:
	s_andn2_b64 vcc, exec, s[0:1]
	s_cbranch_vccnz .LBB361_1972
; %bb.1971:
	global_store_dword v[2:3], v4, off
.LBB361_1972:
	s_mov_b64 s[0:1], 0
.LBB361_1973:
	s_andn2_b64 vcc, exec, s[0:1]
	s_cbranch_vccnz .LBB361_1975
; %bb.1974:
	global_store_short v[2:3], v1, off
.LBB361_1975:
	s_mov_b64 s[0:1], 0
.LBB361_1976:
	s_andn2_b64 vcc, exec, s[0:1]
	s_cbranch_vccnz .LBB361_1981
; %bb.1977:
	s_cmp_gt_i32 s6, 0
	s_mov_b64 s[0:1], -1
	s_cbranch_scc0 .LBB361_1979
; %bb.1978:
	global_store_byte v[2:3], v1, off
	s_mov_b64 s[0:1], 0
.LBB361_1979:
	s_andn2_b64 vcc, exec, s[0:1]
	s_cbranch_vccnz .LBB361_1981
; %bb.1980:
	global_store_byte v[2:3], v1, off
.LBB361_1981:
	s_mov_b64 s[8:9], -1
.LBB361_1982:
	s_andn2_b64 vcc, exec, s[8:9]
	s_cbranch_vccnz .LBB361_2059
; %bb.1983:
	v_mov_b32_e32 v1, 0
	v_max_i16_sdwa v2, sext(v8), s15 dst_sel:DWORD dst_unused:UNUSED_PAD src0_sel:BYTE_0 src1_sel:DWORD
	s_cmp_lt_i32 s14, 11
	v_lshl_add_u64 v[0:1], s[4:5], 0, v[0:1]
	s_cbranch_scc1 .LBB361_2104
; %bb.1984:
	s_and_b32 s12, 0xffff, s14
	s_mov_b64 s[6:7], -1
	s_mov_b64 s[4:5], 0
	s_cmp_gt_i32 s12, 25
	s_mov_b64 s[0:1], 0
	s_cbranch_scc0 .LBB361_2017
; %bb.1985:
	s_cmp_gt_i32 s12, 28
	s_cbranch_scc0 .LBB361_2001
; %bb.1986:
	s_cmp_gt_i32 s12, 43
	;; [unrolled: 3-line block ×3, first 2 shown]
	s_cbranch_scc0 .LBB361_1991
; %bb.1988:
	s_cmp_eq_u32 s12, 46
	s_mov_b64 s[0:1], -1
	s_cbranch_scc0 .LBB361_1990
; %bb.1989:
	v_cvt_f32_i32_sdwa v3, sext(v2) dst_sel:DWORD dst_unused:UNUSED_PAD src0_sel:WORD_0
	s_movk_i32 s0, 0x7fff
	v_bfe_u32 v4, v3, 16, 1
	v_add3_u32 v3, v3, v4, s0
	v_lshrrev_b32_e32 v3, 16, v3
	global_store_dword v[0:1], v3, off
	s_mov_b64 s[0:1], 0
.LBB361_1990:
	s_mov_b64 s[6:7], 0
.LBB361_1991:
	s_and_b64 vcc, exec, s[6:7]
	s_cbranch_vccz .LBB361_1996
; %bb.1992:
	s_cmp_eq_u32 s12, 44
	s_mov_b64 s[0:1], -1
	s_cbranch_scc0 .LBB361_1996
; %bb.1993:
	v_cvt_f32_i32_sdwa v3, sext(v2) dst_sel:DWORD dst_unused:UNUSED_PAD src0_sel:WORD_0
	s_movk_i32 s0, 0xff
	v_mov_b32_e32 v5, 0xff
	v_bfe_u32 v4, v3, 23, 8
	v_cmp_ne_u32_e32 vcc, s0, v4
	s_and_saveexec_b64 s[6:7], vcc
; %bb.1994:
	s_mov_b32 s0, 0x3fffff
	v_lshrrev_b32_e32 v5, 23, v3
	v_and_b32_e32 v6, 0x400000, v3
	v_and_or_b32 v3, v3, s0, v4
	v_cmp_ne_u32_e32 vcc, 0, v6
	v_cmp_ne_u32_e64 s[0:1], 0, v3
	s_and_b64 s[0:1], vcc, s[0:1]
	s_nop 0
	v_cndmask_b32_e64 v3, 0, 1, s[0:1]
	v_add_u32_e32 v5, v5, v3
; %bb.1995:
	s_or_b64 exec, exec, s[6:7]
	s_mov_b64 s[0:1], 0
	global_store_byte v[0:1], v5, off
.LBB361_1996:
	s_mov_b64 s[6:7], 0
.LBB361_1997:
	s_and_b64 vcc, exec, s[6:7]
	s_cbranch_vccz .LBB361_2000
; %bb.1998:
	s_cmp_eq_u32 s12, 29
	s_mov_b64 s[0:1], -1
	s_cbranch_scc0 .LBB361_2000
; %bb.1999:
	v_bfe_i32 v4, v2, 0, 16
	v_ashrrev_i32_e32 v5, 31, v4
	global_store_dwordx2 v[0:1], v[4:5], off
	s_mov_b64 s[0:1], 0
.LBB361_2000:
	s_mov_b64 s[6:7], 0
.LBB361_2001:
	s_and_b64 vcc, exec, s[6:7]
	s_cbranch_vccz .LBB361_2016
; %bb.2002:
	s_cmp_lt_i32 s12, 27
	s_mov_b64 s[6:7], -1
	s_cbranch_scc1 .LBB361_2008
; %bb.2003:
	s_cmp_gt_i32 s12, 27
	s_cbranch_scc0 .LBB361_2005
; %bb.2004:
	v_bfe_i32 v3, v2, 0, 16
	global_store_dword v[0:1], v3, off
	s_mov_b64 s[6:7], 0
.LBB361_2005:
	s_andn2_b64 vcc, exec, s[6:7]
	s_cbranch_vccnz .LBB361_2007
; %bb.2006:
	global_store_short v[0:1], v2, off
.LBB361_2007:
	s_mov_b64 s[6:7], 0
.LBB361_2008:
	s_andn2_b64 vcc, exec, s[6:7]
	s_cbranch_vccnz .LBB361_2016
; %bb.2009:
	v_cvt_f32_i32_sdwa v3, sext(v2) dst_sel:DWORD dst_unused:UNUSED_PAD src0_sel:WORD_0
	s_mov_b32 s6, 0x43800000
	v_mov_b32_e32 v5, 0x80
	v_and_b32_e32 v4, 0x7fffffff, v3
	v_cmp_gt_u32_e32 vcc, s6, v4
	s_and_saveexec_b64 s[6:7], vcc
	s_cbranch_execz .LBB361_2015
; %bb.2010:
	s_mov_b32 s8, 0x3bffffff
	v_cmp_lt_u32_e32 vcc, s8, v4
	s_mov_b64 s[8:9], 0
                                        ; implicit-def: $vgpr4
	s_and_saveexec_b64 s[10:11], vcc
	s_xor_b64 s[10:11], exec, s[10:11]
	s_cbranch_execz .LBB361_2121
; %bb.2011:
	v_bfe_u32 v4, v3, 20, 1
	s_mov_b32 s13, 0x487ffff
	v_add3_u32 v4, v3, v4, s13
	s_mov_b64 s[8:9], exec
	v_lshrrev_b32_e32 v4, 20, v4
	s_andn2_saveexec_b64 s[10:11], s[10:11]
	s_cbranch_execnz .LBB361_2122
.LBB361_2012:
	s_or_b64 exec, exec, s[10:11]
	v_mov_b32_e32 v5, 0
	s_and_saveexec_b64 s[10:11], s[8:9]
.LBB361_2013:
	v_lshrrev_b32_e32 v3, 24, v3
	s_movk_i32 s8, 0x80
	v_and_or_b32 v5, v3, s8, v4
.LBB361_2014:
	s_or_b64 exec, exec, s[10:11]
.LBB361_2015:
	s_or_b64 exec, exec, s[6:7]
	global_store_byte v[0:1], v5, off
.LBB361_2016:
	s_mov_b64 s[6:7], 0
.LBB361_2017:
	s_and_b64 vcc, exec, s[6:7]
	s_cbranch_vccz .LBB361_2057
; %bb.2018:
	s_cmp_gt_i32 s12, 22
	s_mov_b64 s[4:5], -1
	s_cbranch_scc0 .LBB361_2050
; %bb.2019:
	s_cmp_lt_i32 s12, 24
	s_cbranch_scc1 .LBB361_2039
; %bb.2020:
	s_cmp_gt_i32 s12, 24
	s_cbranch_scc0 .LBB361_2028
; %bb.2021:
	v_cvt_f32_i32_sdwa v3, sext(v2) dst_sel:DWORD dst_unused:UNUSED_PAD src0_sel:WORD_0
	s_mov_b32 s4, 0x47800000
	v_mov_b32_e32 v5, 0x80
	v_and_b32_e32 v4, 0x7fffffff, v3
	v_cmp_gt_u32_e32 vcc, s4, v4
	s_and_saveexec_b64 s[4:5], vcc
	s_cbranch_execz .LBB361_2027
; %bb.2022:
	s_mov_b32 s6, 0x37ffffff
	v_cmp_lt_u32_e32 vcc, s6, v4
	s_mov_b64 s[6:7], 0
                                        ; implicit-def: $vgpr4
	s_and_saveexec_b64 s[8:9], vcc
	s_xor_b64 s[8:9], exec, s[8:9]
	s_cbranch_execz .LBB361_2124
; %bb.2023:
	v_bfe_u32 v4, v3, 21, 1
	s_mov_b32 s10, 0x88fffff
	v_add3_u32 v4, v3, v4, s10
	s_mov_b64 s[6:7], exec
	v_lshrrev_b32_e32 v4, 21, v4
	s_andn2_saveexec_b64 s[8:9], s[8:9]
	s_cbranch_execnz .LBB361_2125
.LBB361_2024:
	s_or_b64 exec, exec, s[8:9]
	v_mov_b32_e32 v5, 0
	s_and_saveexec_b64 s[8:9], s[6:7]
.LBB361_2025:
	v_lshrrev_b32_e32 v3, 24, v3
	s_movk_i32 s6, 0x80
	v_and_or_b32 v5, v3, s6, v4
.LBB361_2026:
	s_or_b64 exec, exec, s[8:9]
.LBB361_2027:
	s_or_b64 exec, exec, s[4:5]
	s_mov_b64 s[4:5], 0
	global_store_byte v[0:1], v5, off
.LBB361_2028:
	s_and_b64 vcc, exec, s[4:5]
	s_cbranch_vccz .LBB361_2038
; %bb.2029:
	v_cvt_f32_i32_sdwa v3, sext(v2) dst_sel:DWORD dst_unused:UNUSED_PAD src0_sel:WORD_0
	s_mov_b32 s4, 0x43f00000
                                        ; implicit-def: $vgpr4
	v_and_b32_e32 v5, 0x7fffffff, v3
	v_cmp_gt_u32_e32 vcc, s4, v5
	s_and_saveexec_b64 s[4:5], vcc
	s_xor_b64 s[4:5], exec, s[4:5]
	s_cbranch_execz .LBB361_2035
; %bb.2030:
	s_mov_b32 s6, 0x3c7fffff
	v_cmp_lt_u32_e32 vcc, s6, v5
                                        ; implicit-def: $vgpr4
	s_and_saveexec_b64 s[6:7], vcc
	s_xor_b64 s[6:7], exec, s[6:7]
; %bb.2031:
	v_bfe_u32 v4, v3, 20, 1
	s_mov_b32 s8, 0x407ffff
	v_add3_u32 v4, v3, v4, s8
	v_lshrrev_b32_e32 v5, 20, v4
	v_and_b32_e32 v4, 0xff00000, v4
	s_mov_b32 s8, 0x7f00000
	v_mov_b32_e32 v6, 0x7e
	v_cmp_ne_u32_e32 vcc, s8, v4
	s_nop 1
	v_cndmask_b32_e32 v4, v6, v5, vcc
; %bb.2032:
	s_andn2_saveexec_b64 s[6:7], s[6:7]
; %bb.2033:
	s_mov_b32 s8, 0x46800000
	v_add_f32_e64 v4, |v3|, s8
; %bb.2034:
	s_or_b64 exec, exec, s[6:7]
                                        ; implicit-def: $vgpr5
.LBB361_2035:
	s_andn2_saveexec_b64 s[4:5], s[4:5]
; %bb.2036:
	s_mov_b32 s6, 0x7f800000
	v_mov_b32_e32 v4, 0x7e
	v_mov_b32_e32 v6, 0x7f
	v_cmp_lt_u32_e32 vcc, s6, v5
	s_nop 1
	v_cndmask_b32_e32 v4, v4, v6, vcc
; %bb.2037:
	s_or_b64 exec, exec, s[4:5]
	v_lshrrev_b32_e32 v3, 24, v3
	s_movk_i32 s4, 0x80
	v_and_or_b32 v3, v3, s4, v4
	global_store_byte v[0:1], v3, off
.LBB361_2038:
	s_mov_b64 s[4:5], 0
.LBB361_2039:
	s_andn2_b64 vcc, exec, s[4:5]
	s_cbranch_vccnz .LBB361_2049
; %bb.2040:
	v_cvt_f32_i32_sdwa v3, sext(v2) dst_sel:DWORD dst_unused:UNUSED_PAD src0_sel:WORD_0
	s_mov_b32 s4, 0x47800000
                                        ; implicit-def: $vgpr4
	v_and_b32_e32 v5, 0x7fffffff, v3
	v_cmp_gt_u32_e32 vcc, s4, v5
	s_and_saveexec_b64 s[4:5], vcc
	s_xor_b64 s[4:5], exec, s[4:5]
	s_cbranch_execz .LBB361_2046
; %bb.2041:
	s_mov_b32 s6, 0x387fffff
	v_cmp_lt_u32_e32 vcc, s6, v5
                                        ; implicit-def: $vgpr4
	s_and_saveexec_b64 s[6:7], vcc
	s_xor_b64 s[6:7], exec, s[6:7]
; %bb.2042:
	v_bfe_u32 v4, v3, 21, 1
	s_mov_b32 s8, 0x80fffff
	v_add3_u32 v4, v3, v4, s8
	v_lshrrev_b32_e32 v4, 21, v4
; %bb.2043:
	s_andn2_saveexec_b64 s[6:7], s[6:7]
; %bb.2044:
	s_mov_b32 s8, 0x43000000
	v_add_f32_e64 v4, |v3|, s8
; %bb.2045:
	s_or_b64 exec, exec, s[6:7]
                                        ; implicit-def: $vgpr5
.LBB361_2046:
	s_andn2_saveexec_b64 s[4:5], s[4:5]
; %bb.2047:
	s_mov_b32 s6, 0x7f800000
	v_mov_b32_e32 v4, 0x7c
	v_mov_b32_e32 v6, 0x7f
	v_cmp_lt_u32_e32 vcc, s6, v5
	s_nop 1
	v_cndmask_b32_e32 v4, v4, v6, vcc
; %bb.2048:
	s_or_b64 exec, exec, s[4:5]
	v_lshrrev_b32_e32 v3, 24, v3
	s_movk_i32 s4, 0x80
	v_and_or_b32 v3, v3, s4, v4
	global_store_byte v[0:1], v3, off
.LBB361_2049:
	s_mov_b64 s[4:5], 0
.LBB361_2050:
	s_andn2_b64 vcc, exec, s[4:5]
	s_mov_b64 s[4:5], 0
	s_cbranch_vccnz .LBB361_2057
; %bb.2051:
	s_cmp_gt_i32 s12, 14
	s_mov_b64 s[6:7], -1
	s_cbranch_scc0 .LBB361_2055
; %bb.2052:
	s_cmp_eq_u32 s12, 15
	s_mov_b64 s[0:1], -1
	s_cbranch_scc0 .LBB361_2054
; %bb.2053:
	v_cvt_f32_i32_sdwa v3, sext(v2) dst_sel:DWORD dst_unused:UNUSED_PAD src0_sel:WORD_0
	s_movk_i32 s0, 0x7fff
	v_bfe_u32 v4, v3, 16, 1
	v_add3_u32 v3, v3, v4, s0
	global_store_short_d16_hi v[0:1], v3, off
	s_mov_b64 s[0:1], 0
.LBB361_2054:
	s_mov_b64 s[6:7], 0
.LBB361_2055:
	s_and_b64 vcc, exec, s[6:7]
	s_cbranch_vccz .LBB361_2057
; %bb.2056:
	s_cmp_lg_u32 s12, 11
	s_mov_b64 s[4:5], -1
	s_cselect_b64 s[0:1], -1, 0
.LBB361_2057:
	s_and_b64 vcc, exec, s[0:1]
	s_cbranch_vccnz .LBB361_2123
.LBB361_2058:
	s_mov_b64 s[0:1], 0
	s_branch .LBB361_2060
.LBB361_2059:
	s_mov_b64 s[0:1], 0
	s_mov_b64 s[4:5], 0
                                        ; implicit-def: $vgpr0_vgpr1
                                        ; implicit-def: $sgpr14
                                        ; implicit-def: $vgpr2
.LBB361_2060:
	s_and_b64 s[6:7], s[0:1], exec
	s_andn2_b64 s[0:1], s[24:25], exec
	s_and_b64 s[2:3], s[2:3], exec
	s_and_b64 s[40:41], s[4:5], exec
	s_or_b64 s[24:25], s[0:1], s[2:3]
.LBB361_2061:
	s_or_b64 exec, exec, s[26:27]
	s_and_saveexec_b64 s[0:1], s[24:25]
	s_cbranch_execz .LBB361_2064
; %bb.2062:
	; divergent unreachable
	s_or_b64 exec, exec, s[0:1]
	s_and_saveexec_b64 s[0:1], s[40:41]
	s_xor_b64 s[0:1], exec, s[0:1]
	s_cbranch_execnz .LBB361_2065
.LBB361_2063:
	s_or_b64 exec, exec, s[0:1]
	s_and_saveexec_b64 s[0:1], s[6:7]
	s_cbranch_execnz .LBB361_2066
	s_branch .LBB361_2103
.LBB361_2064:
	s_or_b64 exec, exec, s[0:1]
	s_and_saveexec_b64 s[0:1], s[40:41]
	s_xor_b64 s[0:1], exec, s[0:1]
	s_cbranch_execz .LBB361_2063
.LBB361_2065:
	v_mov_b32_e32 v3, 0
	v_cmp_ne_u16_sdwa s[2:3], v2, v3 src0_sel:BYTE_0 src1_sel:DWORD
	s_nop 1
	v_cndmask_b32_e64 v3, 0, 1, s[2:3]
	global_store_byte v[0:1], v3, off
	s_or_b64 exec, exec, s[0:1]
	s_and_saveexec_b64 s[0:1], s[6:7]
	s_cbranch_execz .LBB361_2103
.LBB361_2066:
	s_sext_i32_i16 s2, s14
	s_cmp_lt_i32 s2, 5
	s_mov_b64 s[0:1], -1
	s_cbranch_scc1 .LBB361_2087
; %bb.2067:
	s_cmp_lt_i32 s2, 8
	s_cbranch_scc1 .LBB361_2077
; %bb.2068:
	s_cmp_lt_i32 s2, 9
	s_cbranch_scc1 .LBB361_2074
; %bb.2069:
	s_cmp_gt_i32 s2, 9
	s_cbranch_scc0 .LBB361_2071
; %bb.2070:
	v_bfe_i32 v3, v2, 0, 8
	v_bfe_i32 v3, v3, 0, 16
	v_mov_b32_e32 v6, 0
	s_waitcnt vmcnt(0)
	v_cvt_f64_i32_e32 v[4:5], v3
	v_mov_b32_e32 v7, v6
	global_store_dwordx4 v[0:1], v[4:7], off
	s_mov_b64 s[0:1], 0
.LBB361_2071:
	s_andn2_b64 vcc, exec, s[0:1]
	s_cbranch_vccnz .LBB361_2073
; %bb.2072:
	v_bfe_i32 v3, v2, 0, 8
	s_waitcnt vmcnt(0)
	v_cvt_f32_i32_sdwa v4, sext(v3) dst_sel:DWORD dst_unused:UNUSED_PAD src0_sel:WORD_0
	v_mov_b32_e32 v5, 0
	global_store_dwordx2 v[0:1], v[4:5], off
.LBB361_2073:
	s_mov_b64 s[0:1], 0
.LBB361_2074:
	s_andn2_b64 vcc, exec, s[0:1]
	s_cbranch_vccnz .LBB361_2076
; %bb.2075:
	v_cvt_f16_i16_sdwa v3, sext(v2) dst_sel:DWORD dst_unused:UNUSED_PAD src0_sel:BYTE_0
	global_store_dword v[0:1], v3, off
.LBB361_2076:
	s_mov_b64 s[0:1], 0
.LBB361_2077:
	s_andn2_b64 vcc, exec, s[0:1]
	s_cbranch_vccnz .LBB361_2086
; %bb.2078:
	s_sext_i32_i16 s2, s14
	s_cmp_lt_i32 s2, 6
	s_mov_b64 s[0:1], -1
	s_cbranch_scc1 .LBB361_2084
; %bb.2079:
	s_cmp_gt_i32 s2, 6
	s_cbranch_scc0 .LBB361_2081
; %bb.2080:
	v_bfe_i32 v3, v2, 0, 8
	v_bfe_i32 v3, v3, 0, 16
	s_waitcnt vmcnt(0)
	v_cvt_f64_i32_e32 v[4:5], v3
	global_store_dwordx2 v[0:1], v[4:5], off
	s_mov_b64 s[0:1], 0
.LBB361_2081:
	s_andn2_b64 vcc, exec, s[0:1]
	s_cbranch_vccnz .LBB361_2083
; %bb.2082:
	v_bfe_i32 v3, v2, 0, 8
	v_cvt_f32_i32_sdwa v3, sext(v3) dst_sel:DWORD dst_unused:UNUSED_PAD src0_sel:WORD_0
	global_store_dword v[0:1], v3, off
.LBB361_2083:
	s_mov_b64 s[0:1], 0
.LBB361_2084:
	s_andn2_b64 vcc, exec, s[0:1]
	s_cbranch_vccnz .LBB361_2086
; %bb.2085:
	v_cvt_f16_i16_sdwa v3, sext(v2) dst_sel:DWORD dst_unused:UNUSED_PAD src0_sel:BYTE_0
	global_store_short v[0:1], v3, off
.LBB361_2086:
	s_mov_b64 s[0:1], 0
.LBB361_2087:
	s_andn2_b64 vcc, exec, s[0:1]
	s_cbranch_vccnz .LBB361_2103
; %bb.2088:
	s_sext_i32_i16 s2, s14
	s_cmp_lt_i32 s2, 2
	s_mov_b64 s[0:1], -1
	s_cbranch_scc1 .LBB361_2098
; %bb.2089:
	s_cmp_lt_i32 s2, 3
	s_cbranch_scc1 .LBB361_2095
; %bb.2090:
	s_cmp_gt_i32 s2, 3
	s_cbranch_scc0 .LBB361_2092
; %bb.2091:
	s_waitcnt vmcnt(0)
	v_bfe_i32 v4, v2, 0, 8
	v_ashrrev_i32_e32 v5, 31, v4
	global_store_dwordx2 v[0:1], v[4:5], off
	s_mov_b64 s[0:1], 0
.LBB361_2092:
	s_andn2_b64 vcc, exec, s[0:1]
	s_cbranch_vccnz .LBB361_2094
; %bb.2093:
	v_bfe_i32 v3, v2, 0, 8
	global_store_dword v[0:1], v3, off
.LBB361_2094:
	s_mov_b64 s[0:1], 0
.LBB361_2095:
	s_andn2_b64 vcc, exec, s[0:1]
	s_cbranch_vccnz .LBB361_2097
; %bb.2096:
	v_bfe_i32 v3, v2, 0, 8
	global_store_short v[0:1], v3, off
.LBB361_2097:
	s_mov_b64 s[0:1], 0
.LBB361_2098:
	s_andn2_b64 vcc, exec, s[0:1]
	s_cbranch_vccnz .LBB361_2103
; %bb.2099:
	s_sext_i32_i16 s0, s14
	s_cmp_gt_i32 s0, 0
	s_mov_b64 s[0:1], -1
	s_cbranch_scc0 .LBB361_2101
; %bb.2100:
	global_store_byte v[0:1], v2, off
	s_mov_b64 s[0:1], 0
.LBB361_2101:
	s_andn2_b64 vcc, exec, s[0:1]
	s_cbranch_vccnz .LBB361_2103
; %bb.2102:
	global_store_byte v[0:1], v2, off
	s_endpgm
.LBB361_2103:
	s_endpgm
.LBB361_2104:
	s_mov_b64 s[4:5], 0
	s_mov_b64 s[0:1], -1
	s_branch .LBB361_2060
.LBB361_2105:
	s_trap 2
	s_or_b64 s[2:3], s[2:3], exec
	s_cbranch_execz .LBB361_1574
	s_branch .LBB361_1575
.LBB361_2106:
	s_andn2_saveexec_b64 s[12:13], s[12:13]
	s_cbranch_execz .LBB361_1654
.LBB361_2107:
	s_mov_b32 s18, 0x46000000
	v_add_f32_e64 v5, |v3|, s18
	v_and_b32_e32 v5, 0xff, v5
	v_cmp_ne_u32_e32 vcc, 0, v5
	s_andn2_b64 s[10:11], s[10:11], exec
	s_and_b64 s[18:19], vcc, exec
	s_or_b64 s[10:11], s[10:11], s[18:19]
	s_or_b64 exec, exec, s[12:13]
	v_mov_b32_e32 v9, 0
	s_and_saveexec_b64 s[12:13], s[10:11]
	s_cbranch_execnz .LBB361_1655
	s_branch .LBB361_1656
.LBB361_2108:
	s_trap 2
	s_or_b64 s[2:3], s[2:3], exec
	s_cbranch_execz .LBB361_1702
	s_branch .LBB361_1703
.LBB361_2109:
	s_andn2_saveexec_b64 s[10:11], s[10:11]
	s_cbranch_execz .LBB361_1667
.LBB361_2110:
	s_mov_b32 s12, 0x42800000
	v_add_f32_e64 v5, |v3|, s12
	v_and_b32_e32 v5, 0xff, v5
	v_cmp_ne_u32_e32 vcc, 0, v5
	s_andn2_b64 s[8:9], s[8:9], exec
	s_and_b64 s[12:13], vcc, exec
	s_or_b64 s[8:9], s[8:9], s[12:13]
	s_or_b64 exec, exec, s[10:11]
	v_mov_b32_e32 v9, 0
	s_and_saveexec_b64 s[10:11], s[8:9]
	s_cbranch_execnz .LBB361_1668
	s_branch .LBB361_1669
.LBB361_2111:
	s_andn2_saveexec_b64 s[12:13], s[12:13]
	s_cbranch_execz .LBB361_1773
.LBB361_2112:
	s_mov_b32 s17, 0x46000000
	v_add_f32_e64 v6, |v3|, s17
	v_and_b32_e32 v6, 0xff, v6
	v_cmp_ne_u32_e32 vcc, 0, v6
	s_andn2_b64 s[10:11], s[10:11], exec
	s_and_b64 s[18:19], vcc, exec
	s_or_b64 s[10:11], s[10:11], s[18:19]
	s_or_b64 exec, exec, s[12:13]
	v_mov_b32_e32 v7, 0
	s_and_saveexec_b64 s[12:13], s[10:11]
	s_cbranch_execnz .LBB361_1774
	s_branch .LBB361_1775
.LBB361_2113:
	s_trap 2
	s_or_b64 s[2:3], s[2:3], exec
	s_cbranch_execz .LBB361_1821
	s_branch .LBB361_1822
.LBB361_2114:
	s_andn2_saveexec_b64 s[10:11], s[10:11]
	s_cbranch_execz .LBB361_1786
.LBB361_2115:
	s_mov_b32 s12, 0x42800000
	v_add_f32_e64 v6, |v3|, s12
	v_and_b32_e32 v6, 0xff, v6
	v_cmp_ne_u32_e32 vcc, 0, v6
	s_andn2_b64 s[8:9], s[8:9], exec
	s_and_b64 s[12:13], vcc, exec
	s_or_b64 s[8:9], s[8:9], s[12:13]
	s_or_b64 exec, exec, s[10:11]
	v_mov_b32_e32 v7, 0
	s_and_saveexec_b64 s[10:11], s[8:9]
	s_cbranch_execnz .LBB361_1787
	s_branch .LBB361_1788
.LBB361_2116:
	s_andn2_saveexec_b64 s[12:13], s[12:13]
	s_cbranch_execz .LBB361_1892
.LBB361_2117:
	s_mov_b32 s17, 0x46000000
	v_add_f32_e64 v5, |v4|, s17
	v_and_b32_e32 v5, 0xff, v5
	v_cmp_ne_u32_e32 vcc, 0, v5
	s_andn2_b64 s[10:11], s[10:11], exec
	s_and_b64 s[18:19], vcc, exec
	s_or_b64 s[10:11], s[10:11], s[18:19]
	s_or_b64 exec, exec, s[12:13]
	v_mov_b32_e32 v6, 0
	s_and_saveexec_b64 s[12:13], s[10:11]
	s_cbranch_execnz .LBB361_1893
	s_branch .LBB361_1894
.LBB361_2118:
	s_trap 2
	s_or_b64 s[2:3], s[2:3], exec
	s_cbranch_execz .LBB361_1940
	s_branch .LBB361_1941
.LBB361_2119:
	s_andn2_saveexec_b64 s[10:11], s[10:11]
	s_cbranch_execz .LBB361_1905
.LBB361_2120:
	s_mov_b32 s12, 0x42800000
	v_add_f32_e64 v5, |v4|, s12
	v_and_b32_e32 v5, 0xff, v5
	v_cmp_ne_u32_e32 vcc, 0, v5
	s_andn2_b64 s[8:9], s[8:9], exec
	s_and_b64 s[12:13], vcc, exec
	s_or_b64 s[8:9], s[8:9], s[12:13]
	s_or_b64 exec, exec, s[10:11]
	v_mov_b32_e32 v6, 0
	s_and_saveexec_b64 s[10:11], s[8:9]
	s_cbranch_execnz .LBB361_1906
	s_branch .LBB361_1907
.LBB361_2121:
	s_andn2_saveexec_b64 s[10:11], s[10:11]
	s_cbranch_execz .LBB361_2012
.LBB361_2122:
	s_mov_b32 s13, 0x46000000
	v_add_f32_e64 v4, |v3|, s13
	v_and_b32_e32 v4, 0xff, v4
	v_cmp_ne_u32_e32 vcc, 0, v4
	s_andn2_b64 s[8:9], s[8:9], exec
	s_and_b64 s[16:17], vcc, exec
	s_or_b64 s[8:9], s[8:9], s[16:17]
	s_or_b64 exec, exec, s[10:11]
	v_mov_b32_e32 v5, 0
	s_and_saveexec_b64 s[10:11], s[8:9]
	s_cbranch_execnz .LBB361_2013
	s_branch .LBB361_2014
.LBB361_2123:
	s_mov_b64 s[4:5], 0
	s_or_b64 s[2:3], s[2:3], exec
	s_trap 2
	s_branch .LBB361_2058
.LBB361_2124:
	s_andn2_saveexec_b64 s[8:9], s[8:9]
	s_cbranch_execz .LBB361_2024
.LBB361_2125:
	s_mov_b32 s10, 0x42800000
	v_add_f32_e64 v4, |v3|, s10
	v_and_b32_e32 v4, 0xff, v4
	v_cmp_ne_u32_e32 vcc, 0, v4
	s_andn2_b64 s[6:7], s[6:7], exec
	s_and_b64 s[10:11], vcc, exec
	s_or_b64 s[6:7], s[6:7], s[10:11]
	s_or_b64 exec, exec, s[8:9]
	v_mov_b32_e32 v5, 0
	s_and_saveexec_b64 s[8:9], s[6:7]
	s_cbranch_execnz .LBB361_2025
	s_branch .LBB361_2026
	.section	.rodata,"a",@progbits
	.p2align	6, 0x0
	.amdhsa_kernel _ZN2at6native32elementwise_kernel_manual_unrollILi128ELi4EZNS0_15gpu_kernel_implIZZZNS0_21clamp_min_kernel_cudaERNS_18TensorIteratorBaseERKN3c106ScalarEENKUlvE_clEvENKUlvE0_clEvEUlaE_EEvS4_RKT_EUlibE0_EEviT1_
		.amdhsa_group_segment_fixed_size 0
		.amdhsa_private_segment_fixed_size 0
		.amdhsa_kernarg_size 360
		.amdhsa_user_sgpr_count 2
		.amdhsa_user_sgpr_dispatch_ptr 0
		.amdhsa_user_sgpr_queue_ptr 0
		.amdhsa_user_sgpr_kernarg_segment_ptr 1
		.amdhsa_user_sgpr_dispatch_id 0
		.amdhsa_user_sgpr_kernarg_preload_length 0
		.amdhsa_user_sgpr_kernarg_preload_offset 0
		.amdhsa_user_sgpr_private_segment_size 0
		.amdhsa_uses_dynamic_stack 0
		.amdhsa_enable_private_segment 0
		.amdhsa_system_sgpr_workgroup_id_x 1
		.amdhsa_system_sgpr_workgroup_id_y 0
		.amdhsa_system_sgpr_workgroup_id_z 0
		.amdhsa_system_sgpr_workgroup_info 0
		.amdhsa_system_vgpr_workitem_id 0
		.amdhsa_next_free_vgpr 18
		.amdhsa_next_free_sgpr 79
		.amdhsa_accum_offset 20
		.amdhsa_reserve_vcc 1
		.amdhsa_float_round_mode_32 0
		.amdhsa_float_round_mode_16_64 0
		.amdhsa_float_denorm_mode_32 3
		.amdhsa_float_denorm_mode_16_64 3
		.amdhsa_dx10_clamp 1
		.amdhsa_ieee_mode 1
		.amdhsa_fp16_overflow 0
		.amdhsa_tg_split 0
		.amdhsa_exception_fp_ieee_invalid_op 0
		.amdhsa_exception_fp_denorm_src 0
		.amdhsa_exception_fp_ieee_div_zero 0
		.amdhsa_exception_fp_ieee_overflow 0
		.amdhsa_exception_fp_ieee_underflow 0
		.amdhsa_exception_fp_ieee_inexact 0
		.amdhsa_exception_int_div_zero 0
	.end_amdhsa_kernel
	.section	.text._ZN2at6native32elementwise_kernel_manual_unrollILi128ELi4EZNS0_15gpu_kernel_implIZZZNS0_21clamp_min_kernel_cudaERNS_18TensorIteratorBaseERKN3c106ScalarEENKUlvE_clEvENKUlvE0_clEvEUlaE_EEvS4_RKT_EUlibE0_EEviT1_,"axG",@progbits,_ZN2at6native32elementwise_kernel_manual_unrollILi128ELi4EZNS0_15gpu_kernel_implIZZZNS0_21clamp_min_kernel_cudaERNS_18TensorIteratorBaseERKN3c106ScalarEENKUlvE_clEvENKUlvE0_clEvEUlaE_EEvS4_RKT_EUlibE0_EEviT1_,comdat
.Lfunc_end361:
	.size	_ZN2at6native32elementwise_kernel_manual_unrollILi128ELi4EZNS0_15gpu_kernel_implIZZZNS0_21clamp_min_kernel_cudaERNS_18TensorIteratorBaseERKN3c106ScalarEENKUlvE_clEvENKUlvE0_clEvEUlaE_EEvS4_RKT_EUlibE0_EEviT1_, .Lfunc_end361-_ZN2at6native32elementwise_kernel_manual_unrollILi128ELi4EZNS0_15gpu_kernel_implIZZZNS0_21clamp_min_kernel_cudaERNS_18TensorIteratorBaseERKN3c106ScalarEENKUlvE_clEvENKUlvE0_clEvEUlaE_EEvS4_RKT_EUlibE0_EEviT1_
                                        ; -- End function
	.set _ZN2at6native32elementwise_kernel_manual_unrollILi128ELi4EZNS0_15gpu_kernel_implIZZZNS0_21clamp_min_kernel_cudaERNS_18TensorIteratorBaseERKN3c106ScalarEENKUlvE_clEvENKUlvE0_clEvEUlaE_EEvS4_RKT_EUlibE0_EEviT1_.num_vgpr, 18
	.set _ZN2at6native32elementwise_kernel_manual_unrollILi128ELi4EZNS0_15gpu_kernel_implIZZZNS0_21clamp_min_kernel_cudaERNS_18TensorIteratorBaseERKN3c106ScalarEENKUlvE_clEvENKUlvE0_clEvEUlaE_EEvS4_RKT_EUlibE0_EEviT1_.num_agpr, 0
	.set _ZN2at6native32elementwise_kernel_manual_unrollILi128ELi4EZNS0_15gpu_kernel_implIZZZNS0_21clamp_min_kernel_cudaERNS_18TensorIteratorBaseERKN3c106ScalarEENKUlvE_clEvENKUlvE0_clEvEUlaE_EEvS4_RKT_EUlibE0_EEviT1_.numbered_sgpr, 79
	.set _ZN2at6native32elementwise_kernel_manual_unrollILi128ELi4EZNS0_15gpu_kernel_implIZZZNS0_21clamp_min_kernel_cudaERNS_18TensorIteratorBaseERKN3c106ScalarEENKUlvE_clEvENKUlvE0_clEvEUlaE_EEvS4_RKT_EUlibE0_EEviT1_.num_named_barrier, 0
	.set _ZN2at6native32elementwise_kernel_manual_unrollILi128ELi4EZNS0_15gpu_kernel_implIZZZNS0_21clamp_min_kernel_cudaERNS_18TensorIteratorBaseERKN3c106ScalarEENKUlvE_clEvENKUlvE0_clEvEUlaE_EEvS4_RKT_EUlibE0_EEviT1_.private_seg_size, 0
	.set _ZN2at6native32elementwise_kernel_manual_unrollILi128ELi4EZNS0_15gpu_kernel_implIZZZNS0_21clamp_min_kernel_cudaERNS_18TensorIteratorBaseERKN3c106ScalarEENKUlvE_clEvENKUlvE0_clEvEUlaE_EEvS4_RKT_EUlibE0_EEviT1_.uses_vcc, 1
	.set _ZN2at6native32elementwise_kernel_manual_unrollILi128ELi4EZNS0_15gpu_kernel_implIZZZNS0_21clamp_min_kernel_cudaERNS_18TensorIteratorBaseERKN3c106ScalarEENKUlvE_clEvENKUlvE0_clEvEUlaE_EEvS4_RKT_EUlibE0_EEviT1_.uses_flat_scratch, 0
	.set _ZN2at6native32elementwise_kernel_manual_unrollILi128ELi4EZNS0_15gpu_kernel_implIZZZNS0_21clamp_min_kernel_cudaERNS_18TensorIteratorBaseERKN3c106ScalarEENKUlvE_clEvENKUlvE0_clEvEUlaE_EEvS4_RKT_EUlibE0_EEviT1_.has_dyn_sized_stack, 0
	.set _ZN2at6native32elementwise_kernel_manual_unrollILi128ELi4EZNS0_15gpu_kernel_implIZZZNS0_21clamp_min_kernel_cudaERNS_18TensorIteratorBaseERKN3c106ScalarEENKUlvE_clEvENKUlvE0_clEvEUlaE_EEvS4_RKT_EUlibE0_EEviT1_.has_recursion, 0
	.set _ZN2at6native32elementwise_kernel_manual_unrollILi128ELi4EZNS0_15gpu_kernel_implIZZZNS0_21clamp_min_kernel_cudaERNS_18TensorIteratorBaseERKN3c106ScalarEENKUlvE_clEvENKUlvE0_clEvEUlaE_EEvS4_RKT_EUlibE0_EEviT1_.has_indirect_call, 0
	.section	.AMDGPU.csdata,"",@progbits
; Kernel info:
; codeLenInByte = 35752
; TotalNumSgprs: 85
; NumVgprs: 18
; NumAgprs: 0
; TotalNumVgprs: 18
; ScratchSize: 0
; MemoryBound: 1
; FloatMode: 240
; IeeeMode: 1
; LDSByteSize: 0 bytes/workgroup (compile time only)
; SGPRBlocks: 10
; VGPRBlocks: 2
; NumSGPRsForWavesPerEU: 85
; NumVGPRsForWavesPerEU: 18
; AccumOffset: 20
; Occupancy: 8
; WaveLimiterHint : 1
; COMPUTE_PGM_RSRC2:SCRATCH_EN: 0
; COMPUTE_PGM_RSRC2:USER_SGPR: 2
; COMPUTE_PGM_RSRC2:TRAP_HANDLER: 0
; COMPUTE_PGM_RSRC2:TGID_X_EN: 1
; COMPUTE_PGM_RSRC2:TGID_Y_EN: 0
; COMPUTE_PGM_RSRC2:TGID_Z_EN: 0
; COMPUTE_PGM_RSRC2:TIDIG_COMP_CNT: 0
; COMPUTE_PGM_RSRC3_GFX90A:ACCUM_OFFSET: 4
; COMPUTE_PGM_RSRC3_GFX90A:TG_SPLIT: 0
	.section	.text._ZN2at6native29vectorized_elementwise_kernelILi16EZZZNS0_21clamp_min_kernel_cudaERNS_18TensorIteratorBaseERKN3c106ScalarEENKUlvE_clEvENKUlvE1_clEvEUliE_St5arrayIPcLm2EEEEviT0_T1_,"axG",@progbits,_ZN2at6native29vectorized_elementwise_kernelILi16EZZZNS0_21clamp_min_kernel_cudaERNS_18TensorIteratorBaseERKN3c106ScalarEENKUlvE_clEvENKUlvE1_clEvEUliE_St5arrayIPcLm2EEEEviT0_T1_,comdat
	.globl	_ZN2at6native29vectorized_elementwise_kernelILi16EZZZNS0_21clamp_min_kernel_cudaERNS_18TensorIteratorBaseERKN3c106ScalarEENKUlvE_clEvENKUlvE1_clEvEUliE_St5arrayIPcLm2EEEEviT0_T1_ ; -- Begin function _ZN2at6native29vectorized_elementwise_kernelILi16EZZZNS0_21clamp_min_kernel_cudaERNS_18TensorIteratorBaseERKN3c106ScalarEENKUlvE_clEvENKUlvE1_clEvEUliE_St5arrayIPcLm2EEEEviT0_T1_
	.p2align	8
	.type	_ZN2at6native29vectorized_elementwise_kernelILi16EZZZNS0_21clamp_min_kernel_cudaERNS_18TensorIteratorBaseERKN3c106ScalarEENKUlvE_clEvENKUlvE1_clEvEUliE_St5arrayIPcLm2EEEEviT0_T1_,@function
_ZN2at6native29vectorized_elementwise_kernelILi16EZZZNS0_21clamp_min_kernel_cudaERNS_18TensorIteratorBaseERKN3c106ScalarEENKUlvE_clEvENKUlvE1_clEvEUliE_St5arrayIPcLm2EEEEviT0_T1_: ; @_ZN2at6native29vectorized_elementwise_kernelILi16EZZZNS0_21clamp_min_kernel_cudaERNS_18TensorIteratorBaseERKN3c106ScalarEENKUlvE_clEvENKUlvE1_clEvEUliE_St5arrayIPcLm2EEEEviT0_T1_
; %bb.0:
	s_load_dwordx2 s[8:9], s[0:1], 0x0
	s_load_dwordx4 s[4:7], s[0:1], 0x8
	s_lshl_b32 s2, s2, 10
	s_mov_b64 s[0:1], -1
	s_waitcnt lgkmcnt(0)
	s_sub_i32 s8, s8, s2
	s_cmpk_gt_i32 s8, 0x3ff
	s_cbranch_scc0 .LBB362_2
; %bb.1:
	s_ashr_i32 s3, s2, 31
	s_lshl_b64 s[0:1], s[2:3], 2
	s_add_u32 s10, s6, s0
	s_addc_u32 s11, s7, s1
	v_lshlrev_b32_e32 v1, 4, v0
	global_load_dwordx4 v[2:5], v1, s[10:11]
	s_add_u32 s0, s4, s0
	s_addc_u32 s1, s5, s1
	s_waitcnt vmcnt(0)
	v_max_i32_e32 v5, s9, v5
	v_max_i32_e32 v4, s9, v4
	;; [unrolled: 1-line block ×4, first 2 shown]
	global_store_dwordx4 v1, v[2:5], s[0:1]
	s_mov_b64 s[0:1], 0
.LBB362_2:
	s_andn2_b64 vcc, exec, s[0:1]
	s_cbranch_vccnz .LBB362_16
; %bb.3:
	v_cmp_gt_i32_e32 vcc, s8, v0
	v_or_b32_e32 v1, 0x100, v0
	v_mov_b32_e32 v4, 0
	v_or_b32_e32 v2, s2, v0
	v_mov_b32_e32 v5, 0
	v_mov_b32_e32 v3, 0
	v_mov_b32_e32 v8, 0
	s_and_saveexec_b64 s[10:11], vcc
	s_cbranch_execz .LBB362_11
; %bb.4:
	v_mov_b32_e32 v3, 0
	v_lshl_add_u64 v[4:5], v[2:3], 2, s[6:7]
	global_load_dword v8, v[4:5], off
	v_cmp_gt_u32_e64 s[0:1], s8, v1
	v_mov_b32_e32 v5, v3
	v_mov_b32_e32 v4, v3
	s_and_saveexec_b64 s[12:13], s[0:1]
	s_cbranch_execz .LBB362_10
; %bb.5:
	v_add_u32_e32 v4, s2, v0
	v_mov_b32_e32 v5, 0
	v_lshl_add_u64 v[6:7], v[4:5], 2, s[6:7]
	global_load_dword v3, v[6:7], off offset:1024
	v_or_b32_e32 v4, 0x200, v0
	v_cmp_gt_u32_e64 s[0:1], s8, v4
	v_mov_b32_e32 v4, v5
	s_and_saveexec_b64 s[6:7], s[0:1]
	s_cbranch_execz .LBB362_9
; %bb.6:
	global_load_dword v5, v[6:7], off offset:2048
	v_or_b32_e32 v4, 0x300, v0
	v_cmp_gt_u32_e64 s[0:1], s8, v4
	v_mov_b32_e32 v4, 0
	s_and_saveexec_b64 s[14:15], s[0:1]
	s_cbranch_execz .LBB362_8
; %bb.7:
	global_load_dword v4, v[6:7], off offset:3072
.LBB362_8:
	s_or_b64 exec, exec, s[14:15]
.LBB362_9:
	s_or_b64 exec, exec, s[6:7]
.LBB362_10:
	s_or_b64 exec, exec, s[12:13]
.LBB362_11:
	s_or_b64 exec, exec, s[10:11]
	s_waitcnt vmcnt(0)
	v_max_i32_e32 v6, s9, v8
	v_max_i32_e32 v3, s9, v3
	v_cmp_gt_i32_e64 s[0:1], s8, v1
	v_cndmask_b32_e32 v7, 0, v6, vcc
	v_max_i32_e32 v5, s9, v5
	v_cndmask_b32_e64 v6, 0, v3, s[0:1]
	v_or_b32_e32 v3, 0x200, v0
	v_cmp_gt_i32_e64 s[0:1], s8, v3
	v_or_b32_e32 v3, 0x300, v0
	v_max_i32_e32 v4, s9, v4
	v_cndmask_b32_e64 v5, 0, v5, s[0:1]
	v_cmp_gt_i32_e64 s[0:1], s8, v3
	s_nop 1
	v_cndmask_b32_e64 v4, 0, v4, s[0:1]
	s_and_saveexec_b64 s[0:1], vcc
	s_cbranch_execnz .LBB362_17
; %bb.12:
	s_or_b64 exec, exec, s[0:1]
	v_cmp_gt_i32_e32 vcc, s8, v0
	s_and_saveexec_b64 s[0:1], vcc
	s_cbranch_execnz .LBB362_18
.LBB362_13:
	s_or_b64 exec, exec, s[0:1]
	v_cmp_gt_i32_e32 vcc, s8, v0
	s_and_saveexec_b64 s[0:1], vcc
	s_cbranch_execnz .LBB362_19
.LBB362_14:
	s_or_b64 exec, exec, s[0:1]
	v_cmp_gt_i32_e32 vcc, s8, v0
	s_and_saveexec_b64 s[0:1], vcc
	s_cbranch_execz .LBB362_16
.LBB362_15:
	v_add_u32_e32 v0, s2, v0
	v_mov_b32_e32 v1, 0
	v_lshl_add_u64 v[0:1], v[0:1], 2, s[4:5]
	global_store_dword v[0:1], v4, off
.LBB362_16:
	s_endpgm
.LBB362_17:
	v_mov_b32_e32 v3, 0
	v_lshl_add_u64 v[2:3], v[2:3], 2, s[4:5]
	v_mov_b32_e32 v0, v1
	global_store_dword v[2:3], v7, off
	s_or_b64 exec, exec, s[0:1]
	v_cmp_gt_i32_e32 vcc, s8, v0
	s_and_saveexec_b64 s[0:1], vcc
	s_cbranch_execz .LBB362_13
.LBB362_18:
	v_add_u32_e32 v2, s2, v0
	v_mov_b32_e32 v3, 0
	v_lshl_add_u64 v[2:3], v[2:3], 2, s[4:5]
	v_add_u32_e32 v0, 0x100, v0
	global_store_dword v[2:3], v6, off
	s_or_b64 exec, exec, s[0:1]
	v_cmp_gt_i32_e32 vcc, s8, v0
	s_and_saveexec_b64 s[0:1], vcc
	s_cbranch_execz .LBB362_14
.LBB362_19:
	v_add_u32_e32 v2, s2, v0
	v_mov_b32_e32 v3, 0
	v_lshl_add_u64 v[2:3], v[2:3], 2, s[4:5]
	v_add_u32_e32 v0, 0x100, v0
	global_store_dword v[2:3], v5, off
	s_or_b64 exec, exec, s[0:1]
	v_cmp_gt_i32_e32 vcc, s8, v0
	s_and_saveexec_b64 s[0:1], vcc
	s_cbranch_execnz .LBB362_15
	s_branch .LBB362_16
	.section	.rodata,"a",@progbits
	.p2align	6, 0x0
	.amdhsa_kernel _ZN2at6native29vectorized_elementwise_kernelILi16EZZZNS0_21clamp_min_kernel_cudaERNS_18TensorIteratorBaseERKN3c106ScalarEENKUlvE_clEvENKUlvE1_clEvEUliE_St5arrayIPcLm2EEEEviT0_T1_
		.amdhsa_group_segment_fixed_size 0
		.amdhsa_private_segment_fixed_size 0
		.amdhsa_kernarg_size 24
		.amdhsa_user_sgpr_count 2
		.amdhsa_user_sgpr_dispatch_ptr 0
		.amdhsa_user_sgpr_queue_ptr 0
		.amdhsa_user_sgpr_kernarg_segment_ptr 1
		.amdhsa_user_sgpr_dispatch_id 0
		.amdhsa_user_sgpr_kernarg_preload_length 0
		.amdhsa_user_sgpr_kernarg_preload_offset 0
		.amdhsa_user_sgpr_private_segment_size 0
		.amdhsa_uses_dynamic_stack 0
		.amdhsa_enable_private_segment 0
		.amdhsa_system_sgpr_workgroup_id_x 1
		.amdhsa_system_sgpr_workgroup_id_y 0
		.amdhsa_system_sgpr_workgroup_id_z 0
		.amdhsa_system_sgpr_workgroup_info 0
		.amdhsa_system_vgpr_workitem_id 0
		.amdhsa_next_free_vgpr 9
		.amdhsa_next_free_sgpr 16
		.amdhsa_accum_offset 12
		.amdhsa_reserve_vcc 1
		.amdhsa_float_round_mode_32 0
		.amdhsa_float_round_mode_16_64 0
		.amdhsa_float_denorm_mode_32 3
		.amdhsa_float_denorm_mode_16_64 3
		.amdhsa_dx10_clamp 1
		.amdhsa_ieee_mode 1
		.amdhsa_fp16_overflow 0
		.amdhsa_tg_split 0
		.amdhsa_exception_fp_ieee_invalid_op 0
		.amdhsa_exception_fp_denorm_src 0
		.amdhsa_exception_fp_ieee_div_zero 0
		.amdhsa_exception_fp_ieee_overflow 0
		.amdhsa_exception_fp_ieee_underflow 0
		.amdhsa_exception_fp_ieee_inexact 0
		.amdhsa_exception_int_div_zero 0
	.end_amdhsa_kernel
	.section	.text._ZN2at6native29vectorized_elementwise_kernelILi16EZZZNS0_21clamp_min_kernel_cudaERNS_18TensorIteratorBaseERKN3c106ScalarEENKUlvE_clEvENKUlvE1_clEvEUliE_St5arrayIPcLm2EEEEviT0_T1_,"axG",@progbits,_ZN2at6native29vectorized_elementwise_kernelILi16EZZZNS0_21clamp_min_kernel_cudaERNS_18TensorIteratorBaseERKN3c106ScalarEENKUlvE_clEvENKUlvE1_clEvEUliE_St5arrayIPcLm2EEEEviT0_T1_,comdat
.Lfunc_end362:
	.size	_ZN2at6native29vectorized_elementwise_kernelILi16EZZZNS0_21clamp_min_kernel_cudaERNS_18TensorIteratorBaseERKN3c106ScalarEENKUlvE_clEvENKUlvE1_clEvEUliE_St5arrayIPcLm2EEEEviT0_T1_, .Lfunc_end362-_ZN2at6native29vectorized_elementwise_kernelILi16EZZZNS0_21clamp_min_kernel_cudaERNS_18TensorIteratorBaseERKN3c106ScalarEENKUlvE_clEvENKUlvE1_clEvEUliE_St5arrayIPcLm2EEEEviT0_T1_
                                        ; -- End function
	.set _ZN2at6native29vectorized_elementwise_kernelILi16EZZZNS0_21clamp_min_kernel_cudaERNS_18TensorIteratorBaseERKN3c106ScalarEENKUlvE_clEvENKUlvE1_clEvEUliE_St5arrayIPcLm2EEEEviT0_T1_.num_vgpr, 9
	.set _ZN2at6native29vectorized_elementwise_kernelILi16EZZZNS0_21clamp_min_kernel_cudaERNS_18TensorIteratorBaseERKN3c106ScalarEENKUlvE_clEvENKUlvE1_clEvEUliE_St5arrayIPcLm2EEEEviT0_T1_.num_agpr, 0
	.set _ZN2at6native29vectorized_elementwise_kernelILi16EZZZNS0_21clamp_min_kernel_cudaERNS_18TensorIteratorBaseERKN3c106ScalarEENKUlvE_clEvENKUlvE1_clEvEUliE_St5arrayIPcLm2EEEEviT0_T1_.numbered_sgpr, 16
	.set _ZN2at6native29vectorized_elementwise_kernelILi16EZZZNS0_21clamp_min_kernel_cudaERNS_18TensorIteratorBaseERKN3c106ScalarEENKUlvE_clEvENKUlvE1_clEvEUliE_St5arrayIPcLm2EEEEviT0_T1_.num_named_barrier, 0
	.set _ZN2at6native29vectorized_elementwise_kernelILi16EZZZNS0_21clamp_min_kernel_cudaERNS_18TensorIteratorBaseERKN3c106ScalarEENKUlvE_clEvENKUlvE1_clEvEUliE_St5arrayIPcLm2EEEEviT0_T1_.private_seg_size, 0
	.set _ZN2at6native29vectorized_elementwise_kernelILi16EZZZNS0_21clamp_min_kernel_cudaERNS_18TensorIteratorBaseERKN3c106ScalarEENKUlvE_clEvENKUlvE1_clEvEUliE_St5arrayIPcLm2EEEEviT0_T1_.uses_vcc, 1
	.set _ZN2at6native29vectorized_elementwise_kernelILi16EZZZNS0_21clamp_min_kernel_cudaERNS_18TensorIteratorBaseERKN3c106ScalarEENKUlvE_clEvENKUlvE1_clEvEUliE_St5arrayIPcLm2EEEEviT0_T1_.uses_flat_scratch, 0
	.set _ZN2at6native29vectorized_elementwise_kernelILi16EZZZNS0_21clamp_min_kernel_cudaERNS_18TensorIteratorBaseERKN3c106ScalarEENKUlvE_clEvENKUlvE1_clEvEUliE_St5arrayIPcLm2EEEEviT0_T1_.has_dyn_sized_stack, 0
	.set _ZN2at6native29vectorized_elementwise_kernelILi16EZZZNS0_21clamp_min_kernel_cudaERNS_18TensorIteratorBaseERKN3c106ScalarEENKUlvE_clEvENKUlvE1_clEvEUliE_St5arrayIPcLm2EEEEviT0_T1_.has_recursion, 0
	.set _ZN2at6native29vectorized_elementwise_kernelILi16EZZZNS0_21clamp_min_kernel_cudaERNS_18TensorIteratorBaseERKN3c106ScalarEENKUlvE_clEvENKUlvE1_clEvEUliE_St5arrayIPcLm2EEEEviT0_T1_.has_indirect_call, 0
	.section	.AMDGPU.csdata,"",@progbits
; Kernel info:
; codeLenInByte = 628
; TotalNumSgprs: 22
; NumVgprs: 9
; NumAgprs: 0
; TotalNumVgprs: 9
; ScratchSize: 0
; MemoryBound: 0
; FloatMode: 240
; IeeeMode: 1
; LDSByteSize: 0 bytes/workgroup (compile time only)
; SGPRBlocks: 2
; VGPRBlocks: 1
; NumSGPRsForWavesPerEU: 22
; NumVGPRsForWavesPerEU: 9
; AccumOffset: 12
; Occupancy: 8
; WaveLimiterHint : 0
; COMPUTE_PGM_RSRC2:SCRATCH_EN: 0
; COMPUTE_PGM_RSRC2:USER_SGPR: 2
; COMPUTE_PGM_RSRC2:TRAP_HANDLER: 0
; COMPUTE_PGM_RSRC2:TGID_X_EN: 1
; COMPUTE_PGM_RSRC2:TGID_Y_EN: 0
; COMPUTE_PGM_RSRC2:TGID_Z_EN: 0
; COMPUTE_PGM_RSRC2:TIDIG_COMP_CNT: 0
; COMPUTE_PGM_RSRC3_GFX90A:ACCUM_OFFSET: 2
; COMPUTE_PGM_RSRC3_GFX90A:TG_SPLIT: 0
	.section	.text._ZN2at6native29vectorized_elementwise_kernelILi8EZZZNS0_21clamp_min_kernel_cudaERNS_18TensorIteratorBaseERKN3c106ScalarEENKUlvE_clEvENKUlvE1_clEvEUliE_St5arrayIPcLm2EEEEviT0_T1_,"axG",@progbits,_ZN2at6native29vectorized_elementwise_kernelILi8EZZZNS0_21clamp_min_kernel_cudaERNS_18TensorIteratorBaseERKN3c106ScalarEENKUlvE_clEvENKUlvE1_clEvEUliE_St5arrayIPcLm2EEEEviT0_T1_,comdat
	.globl	_ZN2at6native29vectorized_elementwise_kernelILi8EZZZNS0_21clamp_min_kernel_cudaERNS_18TensorIteratorBaseERKN3c106ScalarEENKUlvE_clEvENKUlvE1_clEvEUliE_St5arrayIPcLm2EEEEviT0_T1_ ; -- Begin function _ZN2at6native29vectorized_elementwise_kernelILi8EZZZNS0_21clamp_min_kernel_cudaERNS_18TensorIteratorBaseERKN3c106ScalarEENKUlvE_clEvENKUlvE1_clEvEUliE_St5arrayIPcLm2EEEEviT0_T1_
	.p2align	8
	.type	_ZN2at6native29vectorized_elementwise_kernelILi8EZZZNS0_21clamp_min_kernel_cudaERNS_18TensorIteratorBaseERKN3c106ScalarEENKUlvE_clEvENKUlvE1_clEvEUliE_St5arrayIPcLm2EEEEviT0_T1_,@function
_ZN2at6native29vectorized_elementwise_kernelILi8EZZZNS0_21clamp_min_kernel_cudaERNS_18TensorIteratorBaseERKN3c106ScalarEENKUlvE_clEvENKUlvE1_clEvEUliE_St5arrayIPcLm2EEEEviT0_T1_: ; @_ZN2at6native29vectorized_elementwise_kernelILi8EZZZNS0_21clamp_min_kernel_cudaERNS_18TensorIteratorBaseERKN3c106ScalarEENKUlvE_clEvENKUlvE1_clEvEUliE_St5arrayIPcLm2EEEEviT0_T1_
; %bb.0:
	s_load_dwordx2 s[8:9], s[0:1], 0x0
	s_load_dwordx4 s[4:7], s[0:1], 0x8
	s_lshl_b32 s2, s2, 10
	s_mov_b64 s[0:1], -1
	s_waitcnt lgkmcnt(0)
	s_sub_i32 s8, s8, s2
	s_cmpk_gt_i32 s8, 0x3ff
	s_cbranch_scc0 .LBB363_2
; %bb.1:
	s_ashr_i32 s3, s2, 31
	s_lshl_b64 s[0:1], s[2:3], 2
	s_add_u32 s10, s6, s0
	s_addc_u32 s11, s7, s1
	v_lshlrev_b32_e32 v1, 4, v0
	global_load_dwordx4 v[2:5], v1, s[10:11]
	s_add_u32 s0, s4, s0
	s_addc_u32 s1, s5, s1
	s_waitcnt vmcnt(0)
	v_max_i32_e32 v5, s9, v5
	v_max_i32_e32 v4, s9, v4
	;; [unrolled: 1-line block ×4, first 2 shown]
	global_store_dwordx4 v1, v[2:5], s[0:1]
	s_mov_b64 s[0:1], 0
.LBB363_2:
	s_andn2_b64 vcc, exec, s[0:1]
	s_cbranch_vccnz .LBB363_16
; %bb.3:
	v_cmp_gt_i32_e32 vcc, s8, v0
	v_or_b32_e32 v1, 0x100, v0
	v_mov_b32_e32 v4, 0
	v_or_b32_e32 v2, s2, v0
	v_mov_b32_e32 v5, 0
	v_mov_b32_e32 v3, 0
	;; [unrolled: 1-line block ×3, first 2 shown]
	s_and_saveexec_b64 s[10:11], vcc
	s_cbranch_execz .LBB363_11
; %bb.4:
	v_mov_b32_e32 v3, 0
	v_lshl_add_u64 v[4:5], v[2:3], 2, s[6:7]
	global_load_dword v8, v[4:5], off
	v_cmp_gt_u32_e64 s[0:1], s8, v1
	v_mov_b32_e32 v5, v3
	v_mov_b32_e32 v4, v3
	s_and_saveexec_b64 s[12:13], s[0:1]
	s_cbranch_execz .LBB363_10
; %bb.5:
	v_add_u32_e32 v4, s2, v0
	v_mov_b32_e32 v5, 0
	v_lshl_add_u64 v[6:7], v[4:5], 2, s[6:7]
	global_load_dword v3, v[6:7], off offset:1024
	v_or_b32_e32 v4, 0x200, v0
	v_cmp_gt_u32_e64 s[0:1], s8, v4
	v_mov_b32_e32 v4, v5
	s_and_saveexec_b64 s[6:7], s[0:1]
	s_cbranch_execz .LBB363_9
; %bb.6:
	global_load_dword v5, v[6:7], off offset:2048
	v_or_b32_e32 v4, 0x300, v0
	v_cmp_gt_u32_e64 s[0:1], s8, v4
	v_mov_b32_e32 v4, 0
	s_and_saveexec_b64 s[14:15], s[0:1]
	s_cbranch_execz .LBB363_8
; %bb.7:
	global_load_dword v4, v[6:7], off offset:3072
.LBB363_8:
	s_or_b64 exec, exec, s[14:15]
.LBB363_9:
	s_or_b64 exec, exec, s[6:7]
.LBB363_10:
	s_or_b64 exec, exec, s[12:13]
.LBB363_11:
	s_or_b64 exec, exec, s[10:11]
	s_waitcnt vmcnt(0)
	v_max_i32_e32 v6, s9, v8
	v_max_i32_e32 v3, s9, v3
	v_cmp_gt_i32_e64 s[0:1], s8, v1
	v_cndmask_b32_e32 v7, 0, v6, vcc
	v_max_i32_e32 v5, s9, v5
	v_cndmask_b32_e64 v6, 0, v3, s[0:1]
	v_or_b32_e32 v3, 0x200, v0
	v_cmp_gt_i32_e64 s[0:1], s8, v3
	v_or_b32_e32 v3, 0x300, v0
	v_max_i32_e32 v4, s9, v4
	v_cndmask_b32_e64 v5, 0, v5, s[0:1]
	v_cmp_gt_i32_e64 s[0:1], s8, v3
	s_nop 1
	v_cndmask_b32_e64 v4, 0, v4, s[0:1]
	s_and_saveexec_b64 s[0:1], vcc
	s_cbranch_execnz .LBB363_17
; %bb.12:
	s_or_b64 exec, exec, s[0:1]
	v_cmp_gt_i32_e32 vcc, s8, v0
	s_and_saveexec_b64 s[0:1], vcc
	s_cbranch_execnz .LBB363_18
.LBB363_13:
	s_or_b64 exec, exec, s[0:1]
	v_cmp_gt_i32_e32 vcc, s8, v0
	s_and_saveexec_b64 s[0:1], vcc
	s_cbranch_execnz .LBB363_19
.LBB363_14:
	s_or_b64 exec, exec, s[0:1]
	v_cmp_gt_i32_e32 vcc, s8, v0
	s_and_saveexec_b64 s[0:1], vcc
	s_cbranch_execz .LBB363_16
.LBB363_15:
	v_add_u32_e32 v0, s2, v0
	v_mov_b32_e32 v1, 0
	v_lshl_add_u64 v[0:1], v[0:1], 2, s[4:5]
	global_store_dword v[0:1], v4, off
.LBB363_16:
	s_endpgm
.LBB363_17:
	v_mov_b32_e32 v3, 0
	v_lshl_add_u64 v[2:3], v[2:3], 2, s[4:5]
	v_mov_b32_e32 v0, v1
	global_store_dword v[2:3], v7, off
	s_or_b64 exec, exec, s[0:1]
	v_cmp_gt_i32_e32 vcc, s8, v0
	s_and_saveexec_b64 s[0:1], vcc
	s_cbranch_execz .LBB363_13
.LBB363_18:
	v_add_u32_e32 v2, s2, v0
	v_mov_b32_e32 v3, 0
	v_lshl_add_u64 v[2:3], v[2:3], 2, s[4:5]
	v_add_u32_e32 v0, 0x100, v0
	global_store_dword v[2:3], v6, off
	s_or_b64 exec, exec, s[0:1]
	v_cmp_gt_i32_e32 vcc, s8, v0
	s_and_saveexec_b64 s[0:1], vcc
	s_cbranch_execz .LBB363_14
.LBB363_19:
	v_add_u32_e32 v2, s2, v0
	v_mov_b32_e32 v3, 0
	v_lshl_add_u64 v[2:3], v[2:3], 2, s[4:5]
	v_add_u32_e32 v0, 0x100, v0
	global_store_dword v[2:3], v5, off
	s_or_b64 exec, exec, s[0:1]
	v_cmp_gt_i32_e32 vcc, s8, v0
	s_and_saveexec_b64 s[0:1], vcc
	s_cbranch_execnz .LBB363_15
	s_branch .LBB363_16
	.section	.rodata,"a",@progbits
	.p2align	6, 0x0
	.amdhsa_kernel _ZN2at6native29vectorized_elementwise_kernelILi8EZZZNS0_21clamp_min_kernel_cudaERNS_18TensorIteratorBaseERKN3c106ScalarEENKUlvE_clEvENKUlvE1_clEvEUliE_St5arrayIPcLm2EEEEviT0_T1_
		.amdhsa_group_segment_fixed_size 0
		.amdhsa_private_segment_fixed_size 0
		.amdhsa_kernarg_size 24
		.amdhsa_user_sgpr_count 2
		.amdhsa_user_sgpr_dispatch_ptr 0
		.amdhsa_user_sgpr_queue_ptr 0
		.amdhsa_user_sgpr_kernarg_segment_ptr 1
		.amdhsa_user_sgpr_dispatch_id 0
		.amdhsa_user_sgpr_kernarg_preload_length 0
		.amdhsa_user_sgpr_kernarg_preload_offset 0
		.amdhsa_user_sgpr_private_segment_size 0
		.amdhsa_uses_dynamic_stack 0
		.amdhsa_enable_private_segment 0
		.amdhsa_system_sgpr_workgroup_id_x 1
		.amdhsa_system_sgpr_workgroup_id_y 0
		.amdhsa_system_sgpr_workgroup_id_z 0
		.amdhsa_system_sgpr_workgroup_info 0
		.amdhsa_system_vgpr_workitem_id 0
		.amdhsa_next_free_vgpr 9
		.amdhsa_next_free_sgpr 16
		.amdhsa_accum_offset 12
		.amdhsa_reserve_vcc 1
		.amdhsa_float_round_mode_32 0
		.amdhsa_float_round_mode_16_64 0
		.amdhsa_float_denorm_mode_32 3
		.amdhsa_float_denorm_mode_16_64 3
		.amdhsa_dx10_clamp 1
		.amdhsa_ieee_mode 1
		.amdhsa_fp16_overflow 0
		.amdhsa_tg_split 0
		.amdhsa_exception_fp_ieee_invalid_op 0
		.amdhsa_exception_fp_denorm_src 0
		.amdhsa_exception_fp_ieee_div_zero 0
		.amdhsa_exception_fp_ieee_overflow 0
		.amdhsa_exception_fp_ieee_underflow 0
		.amdhsa_exception_fp_ieee_inexact 0
		.amdhsa_exception_int_div_zero 0
	.end_amdhsa_kernel
	.section	.text._ZN2at6native29vectorized_elementwise_kernelILi8EZZZNS0_21clamp_min_kernel_cudaERNS_18TensorIteratorBaseERKN3c106ScalarEENKUlvE_clEvENKUlvE1_clEvEUliE_St5arrayIPcLm2EEEEviT0_T1_,"axG",@progbits,_ZN2at6native29vectorized_elementwise_kernelILi8EZZZNS0_21clamp_min_kernel_cudaERNS_18TensorIteratorBaseERKN3c106ScalarEENKUlvE_clEvENKUlvE1_clEvEUliE_St5arrayIPcLm2EEEEviT0_T1_,comdat
.Lfunc_end363:
	.size	_ZN2at6native29vectorized_elementwise_kernelILi8EZZZNS0_21clamp_min_kernel_cudaERNS_18TensorIteratorBaseERKN3c106ScalarEENKUlvE_clEvENKUlvE1_clEvEUliE_St5arrayIPcLm2EEEEviT0_T1_, .Lfunc_end363-_ZN2at6native29vectorized_elementwise_kernelILi8EZZZNS0_21clamp_min_kernel_cudaERNS_18TensorIteratorBaseERKN3c106ScalarEENKUlvE_clEvENKUlvE1_clEvEUliE_St5arrayIPcLm2EEEEviT0_T1_
                                        ; -- End function
	.set _ZN2at6native29vectorized_elementwise_kernelILi8EZZZNS0_21clamp_min_kernel_cudaERNS_18TensorIteratorBaseERKN3c106ScalarEENKUlvE_clEvENKUlvE1_clEvEUliE_St5arrayIPcLm2EEEEviT0_T1_.num_vgpr, 9
	.set _ZN2at6native29vectorized_elementwise_kernelILi8EZZZNS0_21clamp_min_kernel_cudaERNS_18TensorIteratorBaseERKN3c106ScalarEENKUlvE_clEvENKUlvE1_clEvEUliE_St5arrayIPcLm2EEEEviT0_T1_.num_agpr, 0
	.set _ZN2at6native29vectorized_elementwise_kernelILi8EZZZNS0_21clamp_min_kernel_cudaERNS_18TensorIteratorBaseERKN3c106ScalarEENKUlvE_clEvENKUlvE1_clEvEUliE_St5arrayIPcLm2EEEEviT0_T1_.numbered_sgpr, 16
	.set _ZN2at6native29vectorized_elementwise_kernelILi8EZZZNS0_21clamp_min_kernel_cudaERNS_18TensorIteratorBaseERKN3c106ScalarEENKUlvE_clEvENKUlvE1_clEvEUliE_St5arrayIPcLm2EEEEviT0_T1_.num_named_barrier, 0
	.set _ZN2at6native29vectorized_elementwise_kernelILi8EZZZNS0_21clamp_min_kernel_cudaERNS_18TensorIteratorBaseERKN3c106ScalarEENKUlvE_clEvENKUlvE1_clEvEUliE_St5arrayIPcLm2EEEEviT0_T1_.private_seg_size, 0
	.set _ZN2at6native29vectorized_elementwise_kernelILi8EZZZNS0_21clamp_min_kernel_cudaERNS_18TensorIteratorBaseERKN3c106ScalarEENKUlvE_clEvENKUlvE1_clEvEUliE_St5arrayIPcLm2EEEEviT0_T1_.uses_vcc, 1
	.set _ZN2at6native29vectorized_elementwise_kernelILi8EZZZNS0_21clamp_min_kernel_cudaERNS_18TensorIteratorBaseERKN3c106ScalarEENKUlvE_clEvENKUlvE1_clEvEUliE_St5arrayIPcLm2EEEEviT0_T1_.uses_flat_scratch, 0
	.set _ZN2at6native29vectorized_elementwise_kernelILi8EZZZNS0_21clamp_min_kernel_cudaERNS_18TensorIteratorBaseERKN3c106ScalarEENKUlvE_clEvENKUlvE1_clEvEUliE_St5arrayIPcLm2EEEEviT0_T1_.has_dyn_sized_stack, 0
	.set _ZN2at6native29vectorized_elementwise_kernelILi8EZZZNS0_21clamp_min_kernel_cudaERNS_18TensorIteratorBaseERKN3c106ScalarEENKUlvE_clEvENKUlvE1_clEvEUliE_St5arrayIPcLm2EEEEviT0_T1_.has_recursion, 0
	.set _ZN2at6native29vectorized_elementwise_kernelILi8EZZZNS0_21clamp_min_kernel_cudaERNS_18TensorIteratorBaseERKN3c106ScalarEENKUlvE_clEvENKUlvE1_clEvEUliE_St5arrayIPcLm2EEEEviT0_T1_.has_indirect_call, 0
	.section	.AMDGPU.csdata,"",@progbits
; Kernel info:
; codeLenInByte = 628
; TotalNumSgprs: 22
; NumVgprs: 9
; NumAgprs: 0
; TotalNumVgprs: 9
; ScratchSize: 0
; MemoryBound: 0
; FloatMode: 240
; IeeeMode: 1
; LDSByteSize: 0 bytes/workgroup (compile time only)
; SGPRBlocks: 2
; VGPRBlocks: 1
; NumSGPRsForWavesPerEU: 22
; NumVGPRsForWavesPerEU: 9
; AccumOffset: 12
; Occupancy: 8
; WaveLimiterHint : 0
; COMPUTE_PGM_RSRC2:SCRATCH_EN: 0
; COMPUTE_PGM_RSRC2:USER_SGPR: 2
; COMPUTE_PGM_RSRC2:TRAP_HANDLER: 0
; COMPUTE_PGM_RSRC2:TGID_X_EN: 1
; COMPUTE_PGM_RSRC2:TGID_Y_EN: 0
; COMPUTE_PGM_RSRC2:TGID_Z_EN: 0
; COMPUTE_PGM_RSRC2:TIDIG_COMP_CNT: 0
; COMPUTE_PGM_RSRC3_GFX90A:ACCUM_OFFSET: 2
; COMPUTE_PGM_RSRC3_GFX90A:TG_SPLIT: 0
	.section	.text._ZN2at6native29vectorized_elementwise_kernelILi4EZZZNS0_21clamp_min_kernel_cudaERNS_18TensorIteratorBaseERKN3c106ScalarEENKUlvE_clEvENKUlvE1_clEvEUliE_St5arrayIPcLm2EEEEviT0_T1_,"axG",@progbits,_ZN2at6native29vectorized_elementwise_kernelILi4EZZZNS0_21clamp_min_kernel_cudaERNS_18TensorIteratorBaseERKN3c106ScalarEENKUlvE_clEvENKUlvE1_clEvEUliE_St5arrayIPcLm2EEEEviT0_T1_,comdat
	.globl	_ZN2at6native29vectorized_elementwise_kernelILi4EZZZNS0_21clamp_min_kernel_cudaERNS_18TensorIteratorBaseERKN3c106ScalarEENKUlvE_clEvENKUlvE1_clEvEUliE_St5arrayIPcLm2EEEEviT0_T1_ ; -- Begin function _ZN2at6native29vectorized_elementwise_kernelILi4EZZZNS0_21clamp_min_kernel_cudaERNS_18TensorIteratorBaseERKN3c106ScalarEENKUlvE_clEvENKUlvE1_clEvEUliE_St5arrayIPcLm2EEEEviT0_T1_
	.p2align	8
	.type	_ZN2at6native29vectorized_elementwise_kernelILi4EZZZNS0_21clamp_min_kernel_cudaERNS_18TensorIteratorBaseERKN3c106ScalarEENKUlvE_clEvENKUlvE1_clEvEUliE_St5arrayIPcLm2EEEEviT0_T1_,@function
_ZN2at6native29vectorized_elementwise_kernelILi4EZZZNS0_21clamp_min_kernel_cudaERNS_18TensorIteratorBaseERKN3c106ScalarEENKUlvE_clEvENKUlvE1_clEvEUliE_St5arrayIPcLm2EEEEviT0_T1_: ; @_ZN2at6native29vectorized_elementwise_kernelILi4EZZZNS0_21clamp_min_kernel_cudaERNS_18TensorIteratorBaseERKN3c106ScalarEENKUlvE_clEvENKUlvE1_clEvEUliE_St5arrayIPcLm2EEEEviT0_T1_
; %bb.0:
	s_load_dwordx2 s[8:9], s[0:1], 0x0
	s_load_dwordx4 s[4:7], s[0:1], 0x8
	s_lshl_b32 s2, s2, 10
	s_mov_b64 s[0:1], -1
	s_waitcnt lgkmcnt(0)
	s_sub_i32 s8, s8, s2
	s_cmpk_gt_i32 s8, 0x3ff
	s_cbranch_scc0 .LBB364_2
; %bb.1:
	s_ashr_i32 s3, s2, 31
	s_lshl_b64 s[0:1], s[2:3], 2
	s_add_u32 s10, s6, s0
	s_addc_u32 s11, s7, s1
	v_lshlrev_b32_e32 v1, 4, v0
	global_load_dwordx4 v[2:5], v1, s[10:11]
	s_add_u32 s0, s4, s0
	s_addc_u32 s1, s5, s1
	s_waitcnt vmcnt(0)
	v_max_i32_e32 v5, s9, v5
	v_max_i32_e32 v4, s9, v4
	;; [unrolled: 1-line block ×4, first 2 shown]
	global_store_dwordx4 v1, v[2:5], s[0:1]
	s_mov_b64 s[0:1], 0
.LBB364_2:
	s_andn2_b64 vcc, exec, s[0:1]
	s_cbranch_vccnz .LBB364_16
; %bb.3:
	v_cmp_gt_i32_e32 vcc, s8, v0
	v_or_b32_e32 v1, 0x100, v0
	v_mov_b32_e32 v4, 0
	v_or_b32_e32 v2, s2, v0
	v_mov_b32_e32 v5, 0
	v_mov_b32_e32 v3, 0
	;; [unrolled: 1-line block ×3, first 2 shown]
	s_and_saveexec_b64 s[10:11], vcc
	s_cbranch_execz .LBB364_11
; %bb.4:
	v_mov_b32_e32 v3, 0
	v_lshl_add_u64 v[4:5], v[2:3], 2, s[6:7]
	global_load_dword v8, v[4:5], off
	v_cmp_gt_u32_e64 s[0:1], s8, v1
	v_mov_b32_e32 v5, v3
	v_mov_b32_e32 v4, v3
	s_and_saveexec_b64 s[12:13], s[0:1]
	s_cbranch_execz .LBB364_10
; %bb.5:
	v_add_u32_e32 v4, s2, v0
	v_mov_b32_e32 v5, 0
	v_lshl_add_u64 v[6:7], v[4:5], 2, s[6:7]
	global_load_dword v3, v[6:7], off offset:1024
	v_or_b32_e32 v4, 0x200, v0
	v_cmp_gt_u32_e64 s[0:1], s8, v4
	v_mov_b32_e32 v4, v5
	s_and_saveexec_b64 s[6:7], s[0:1]
	s_cbranch_execz .LBB364_9
; %bb.6:
	global_load_dword v5, v[6:7], off offset:2048
	v_or_b32_e32 v4, 0x300, v0
	v_cmp_gt_u32_e64 s[0:1], s8, v4
	v_mov_b32_e32 v4, 0
	s_and_saveexec_b64 s[14:15], s[0:1]
	s_cbranch_execz .LBB364_8
; %bb.7:
	global_load_dword v4, v[6:7], off offset:3072
.LBB364_8:
	s_or_b64 exec, exec, s[14:15]
.LBB364_9:
	s_or_b64 exec, exec, s[6:7]
.LBB364_10:
	s_or_b64 exec, exec, s[12:13]
.LBB364_11:
	s_or_b64 exec, exec, s[10:11]
	s_waitcnt vmcnt(0)
	v_max_i32_e32 v6, s9, v8
	v_max_i32_e32 v3, s9, v3
	v_cmp_gt_i32_e64 s[0:1], s8, v1
	v_cndmask_b32_e32 v7, 0, v6, vcc
	v_max_i32_e32 v5, s9, v5
	v_cndmask_b32_e64 v6, 0, v3, s[0:1]
	v_or_b32_e32 v3, 0x200, v0
	v_cmp_gt_i32_e64 s[0:1], s8, v3
	v_or_b32_e32 v3, 0x300, v0
	v_max_i32_e32 v4, s9, v4
	v_cndmask_b32_e64 v5, 0, v5, s[0:1]
	v_cmp_gt_i32_e64 s[0:1], s8, v3
	s_nop 1
	v_cndmask_b32_e64 v4, 0, v4, s[0:1]
	s_and_saveexec_b64 s[0:1], vcc
	s_cbranch_execnz .LBB364_17
; %bb.12:
	s_or_b64 exec, exec, s[0:1]
	v_cmp_gt_i32_e32 vcc, s8, v0
	s_and_saveexec_b64 s[0:1], vcc
	s_cbranch_execnz .LBB364_18
.LBB364_13:
	s_or_b64 exec, exec, s[0:1]
	v_cmp_gt_i32_e32 vcc, s8, v0
	s_and_saveexec_b64 s[0:1], vcc
	s_cbranch_execnz .LBB364_19
.LBB364_14:
	s_or_b64 exec, exec, s[0:1]
	v_cmp_gt_i32_e32 vcc, s8, v0
	s_and_saveexec_b64 s[0:1], vcc
	s_cbranch_execz .LBB364_16
.LBB364_15:
	v_add_u32_e32 v0, s2, v0
	v_mov_b32_e32 v1, 0
	v_lshl_add_u64 v[0:1], v[0:1], 2, s[4:5]
	global_store_dword v[0:1], v4, off
.LBB364_16:
	s_endpgm
.LBB364_17:
	v_mov_b32_e32 v3, 0
	v_lshl_add_u64 v[2:3], v[2:3], 2, s[4:5]
	v_mov_b32_e32 v0, v1
	global_store_dword v[2:3], v7, off
	s_or_b64 exec, exec, s[0:1]
	v_cmp_gt_i32_e32 vcc, s8, v0
	s_and_saveexec_b64 s[0:1], vcc
	s_cbranch_execz .LBB364_13
.LBB364_18:
	v_add_u32_e32 v2, s2, v0
	v_mov_b32_e32 v3, 0
	v_lshl_add_u64 v[2:3], v[2:3], 2, s[4:5]
	v_add_u32_e32 v0, 0x100, v0
	global_store_dword v[2:3], v6, off
	s_or_b64 exec, exec, s[0:1]
	v_cmp_gt_i32_e32 vcc, s8, v0
	s_and_saveexec_b64 s[0:1], vcc
	s_cbranch_execz .LBB364_14
.LBB364_19:
	v_add_u32_e32 v2, s2, v0
	v_mov_b32_e32 v3, 0
	v_lshl_add_u64 v[2:3], v[2:3], 2, s[4:5]
	v_add_u32_e32 v0, 0x100, v0
	global_store_dword v[2:3], v5, off
	s_or_b64 exec, exec, s[0:1]
	v_cmp_gt_i32_e32 vcc, s8, v0
	s_and_saveexec_b64 s[0:1], vcc
	s_cbranch_execnz .LBB364_15
	s_branch .LBB364_16
	.section	.rodata,"a",@progbits
	.p2align	6, 0x0
	.amdhsa_kernel _ZN2at6native29vectorized_elementwise_kernelILi4EZZZNS0_21clamp_min_kernel_cudaERNS_18TensorIteratorBaseERKN3c106ScalarEENKUlvE_clEvENKUlvE1_clEvEUliE_St5arrayIPcLm2EEEEviT0_T1_
		.amdhsa_group_segment_fixed_size 0
		.amdhsa_private_segment_fixed_size 0
		.amdhsa_kernarg_size 24
		.amdhsa_user_sgpr_count 2
		.amdhsa_user_sgpr_dispatch_ptr 0
		.amdhsa_user_sgpr_queue_ptr 0
		.amdhsa_user_sgpr_kernarg_segment_ptr 1
		.amdhsa_user_sgpr_dispatch_id 0
		.amdhsa_user_sgpr_kernarg_preload_length 0
		.amdhsa_user_sgpr_kernarg_preload_offset 0
		.amdhsa_user_sgpr_private_segment_size 0
		.amdhsa_uses_dynamic_stack 0
		.amdhsa_enable_private_segment 0
		.amdhsa_system_sgpr_workgroup_id_x 1
		.amdhsa_system_sgpr_workgroup_id_y 0
		.amdhsa_system_sgpr_workgroup_id_z 0
		.amdhsa_system_sgpr_workgroup_info 0
		.amdhsa_system_vgpr_workitem_id 0
		.amdhsa_next_free_vgpr 9
		.amdhsa_next_free_sgpr 16
		.amdhsa_accum_offset 12
		.amdhsa_reserve_vcc 1
		.amdhsa_float_round_mode_32 0
		.amdhsa_float_round_mode_16_64 0
		.amdhsa_float_denorm_mode_32 3
		.amdhsa_float_denorm_mode_16_64 3
		.amdhsa_dx10_clamp 1
		.amdhsa_ieee_mode 1
		.amdhsa_fp16_overflow 0
		.amdhsa_tg_split 0
		.amdhsa_exception_fp_ieee_invalid_op 0
		.amdhsa_exception_fp_denorm_src 0
		.amdhsa_exception_fp_ieee_div_zero 0
		.amdhsa_exception_fp_ieee_overflow 0
		.amdhsa_exception_fp_ieee_underflow 0
		.amdhsa_exception_fp_ieee_inexact 0
		.amdhsa_exception_int_div_zero 0
	.end_amdhsa_kernel
	.section	.text._ZN2at6native29vectorized_elementwise_kernelILi4EZZZNS0_21clamp_min_kernel_cudaERNS_18TensorIteratorBaseERKN3c106ScalarEENKUlvE_clEvENKUlvE1_clEvEUliE_St5arrayIPcLm2EEEEviT0_T1_,"axG",@progbits,_ZN2at6native29vectorized_elementwise_kernelILi4EZZZNS0_21clamp_min_kernel_cudaERNS_18TensorIteratorBaseERKN3c106ScalarEENKUlvE_clEvENKUlvE1_clEvEUliE_St5arrayIPcLm2EEEEviT0_T1_,comdat
.Lfunc_end364:
	.size	_ZN2at6native29vectorized_elementwise_kernelILi4EZZZNS0_21clamp_min_kernel_cudaERNS_18TensorIteratorBaseERKN3c106ScalarEENKUlvE_clEvENKUlvE1_clEvEUliE_St5arrayIPcLm2EEEEviT0_T1_, .Lfunc_end364-_ZN2at6native29vectorized_elementwise_kernelILi4EZZZNS0_21clamp_min_kernel_cudaERNS_18TensorIteratorBaseERKN3c106ScalarEENKUlvE_clEvENKUlvE1_clEvEUliE_St5arrayIPcLm2EEEEviT0_T1_
                                        ; -- End function
	.set _ZN2at6native29vectorized_elementwise_kernelILi4EZZZNS0_21clamp_min_kernel_cudaERNS_18TensorIteratorBaseERKN3c106ScalarEENKUlvE_clEvENKUlvE1_clEvEUliE_St5arrayIPcLm2EEEEviT0_T1_.num_vgpr, 9
	.set _ZN2at6native29vectorized_elementwise_kernelILi4EZZZNS0_21clamp_min_kernel_cudaERNS_18TensorIteratorBaseERKN3c106ScalarEENKUlvE_clEvENKUlvE1_clEvEUliE_St5arrayIPcLm2EEEEviT0_T1_.num_agpr, 0
	.set _ZN2at6native29vectorized_elementwise_kernelILi4EZZZNS0_21clamp_min_kernel_cudaERNS_18TensorIteratorBaseERKN3c106ScalarEENKUlvE_clEvENKUlvE1_clEvEUliE_St5arrayIPcLm2EEEEviT0_T1_.numbered_sgpr, 16
	.set _ZN2at6native29vectorized_elementwise_kernelILi4EZZZNS0_21clamp_min_kernel_cudaERNS_18TensorIteratorBaseERKN3c106ScalarEENKUlvE_clEvENKUlvE1_clEvEUliE_St5arrayIPcLm2EEEEviT0_T1_.num_named_barrier, 0
	.set _ZN2at6native29vectorized_elementwise_kernelILi4EZZZNS0_21clamp_min_kernel_cudaERNS_18TensorIteratorBaseERKN3c106ScalarEENKUlvE_clEvENKUlvE1_clEvEUliE_St5arrayIPcLm2EEEEviT0_T1_.private_seg_size, 0
	.set _ZN2at6native29vectorized_elementwise_kernelILi4EZZZNS0_21clamp_min_kernel_cudaERNS_18TensorIteratorBaseERKN3c106ScalarEENKUlvE_clEvENKUlvE1_clEvEUliE_St5arrayIPcLm2EEEEviT0_T1_.uses_vcc, 1
	.set _ZN2at6native29vectorized_elementwise_kernelILi4EZZZNS0_21clamp_min_kernel_cudaERNS_18TensorIteratorBaseERKN3c106ScalarEENKUlvE_clEvENKUlvE1_clEvEUliE_St5arrayIPcLm2EEEEviT0_T1_.uses_flat_scratch, 0
	.set _ZN2at6native29vectorized_elementwise_kernelILi4EZZZNS0_21clamp_min_kernel_cudaERNS_18TensorIteratorBaseERKN3c106ScalarEENKUlvE_clEvENKUlvE1_clEvEUliE_St5arrayIPcLm2EEEEviT0_T1_.has_dyn_sized_stack, 0
	.set _ZN2at6native29vectorized_elementwise_kernelILi4EZZZNS0_21clamp_min_kernel_cudaERNS_18TensorIteratorBaseERKN3c106ScalarEENKUlvE_clEvENKUlvE1_clEvEUliE_St5arrayIPcLm2EEEEviT0_T1_.has_recursion, 0
	.set _ZN2at6native29vectorized_elementwise_kernelILi4EZZZNS0_21clamp_min_kernel_cudaERNS_18TensorIteratorBaseERKN3c106ScalarEENKUlvE_clEvENKUlvE1_clEvEUliE_St5arrayIPcLm2EEEEviT0_T1_.has_indirect_call, 0
	.section	.AMDGPU.csdata,"",@progbits
; Kernel info:
; codeLenInByte = 628
; TotalNumSgprs: 22
; NumVgprs: 9
; NumAgprs: 0
; TotalNumVgprs: 9
; ScratchSize: 0
; MemoryBound: 0
; FloatMode: 240
; IeeeMode: 1
; LDSByteSize: 0 bytes/workgroup (compile time only)
; SGPRBlocks: 2
; VGPRBlocks: 1
; NumSGPRsForWavesPerEU: 22
; NumVGPRsForWavesPerEU: 9
; AccumOffset: 12
; Occupancy: 8
; WaveLimiterHint : 0
; COMPUTE_PGM_RSRC2:SCRATCH_EN: 0
; COMPUTE_PGM_RSRC2:USER_SGPR: 2
; COMPUTE_PGM_RSRC2:TRAP_HANDLER: 0
; COMPUTE_PGM_RSRC2:TGID_X_EN: 1
; COMPUTE_PGM_RSRC2:TGID_Y_EN: 0
; COMPUTE_PGM_RSRC2:TGID_Z_EN: 0
; COMPUTE_PGM_RSRC2:TIDIG_COMP_CNT: 0
; COMPUTE_PGM_RSRC3_GFX90A:ACCUM_OFFSET: 2
; COMPUTE_PGM_RSRC3_GFX90A:TG_SPLIT: 0
	.section	.text._ZN2at6native29vectorized_elementwise_kernelILi2EZZZNS0_21clamp_min_kernel_cudaERNS_18TensorIteratorBaseERKN3c106ScalarEENKUlvE_clEvENKUlvE1_clEvEUliE_St5arrayIPcLm2EEEEviT0_T1_,"axG",@progbits,_ZN2at6native29vectorized_elementwise_kernelILi2EZZZNS0_21clamp_min_kernel_cudaERNS_18TensorIteratorBaseERKN3c106ScalarEENKUlvE_clEvENKUlvE1_clEvEUliE_St5arrayIPcLm2EEEEviT0_T1_,comdat
	.globl	_ZN2at6native29vectorized_elementwise_kernelILi2EZZZNS0_21clamp_min_kernel_cudaERNS_18TensorIteratorBaseERKN3c106ScalarEENKUlvE_clEvENKUlvE1_clEvEUliE_St5arrayIPcLm2EEEEviT0_T1_ ; -- Begin function _ZN2at6native29vectorized_elementwise_kernelILi2EZZZNS0_21clamp_min_kernel_cudaERNS_18TensorIteratorBaseERKN3c106ScalarEENKUlvE_clEvENKUlvE1_clEvEUliE_St5arrayIPcLm2EEEEviT0_T1_
	.p2align	8
	.type	_ZN2at6native29vectorized_elementwise_kernelILi2EZZZNS0_21clamp_min_kernel_cudaERNS_18TensorIteratorBaseERKN3c106ScalarEENKUlvE_clEvENKUlvE1_clEvEUliE_St5arrayIPcLm2EEEEviT0_T1_,@function
_ZN2at6native29vectorized_elementwise_kernelILi2EZZZNS0_21clamp_min_kernel_cudaERNS_18TensorIteratorBaseERKN3c106ScalarEENKUlvE_clEvENKUlvE1_clEvEUliE_St5arrayIPcLm2EEEEviT0_T1_: ; @_ZN2at6native29vectorized_elementwise_kernelILi2EZZZNS0_21clamp_min_kernel_cudaERNS_18TensorIteratorBaseERKN3c106ScalarEENKUlvE_clEvENKUlvE1_clEvEUliE_St5arrayIPcLm2EEEEviT0_T1_
; %bb.0:
	s_load_dwordx2 s[8:9], s[0:1], 0x0
	s_load_dwordx4 s[4:7], s[0:1], 0x8
	s_lshl_b32 s2, s2, 10
	s_mov_b64 s[0:1], -1
	s_waitcnt lgkmcnt(0)
	s_sub_i32 s8, s8, s2
	s_cmpk_gt_i32 s8, 0x3ff
	s_cbranch_scc0 .LBB365_2
; %bb.1:
	s_ashr_i32 s3, s2, 31
	s_lshl_b64 s[0:1], s[2:3], 2
	s_add_u32 s10, s6, s0
	s_addc_u32 s11, s7, s1
	v_lshlrev_b32_e32 v1, 3, v0
	global_load_dwordx2 v[2:3], v1, s[10:11]
	global_load_dwordx2 v[4:5], v1, s[10:11] offset:2048
	s_add_u32 s0, s4, s0
	s_addc_u32 s1, s5, s1
	s_waitcnt vmcnt(1)
	v_max_i32_e32 v2, s9, v2
	v_max_i32_e32 v3, s9, v3
	s_waitcnt vmcnt(0)
	v_max_i32_e32 v4, s9, v4
	v_max_i32_e32 v5, s9, v5
	global_store_dwordx2 v1, v[2:3], s[0:1]
	global_store_dwordx2 v1, v[4:5], s[0:1] offset:2048
	s_mov_b64 s[0:1], 0
.LBB365_2:
	s_andn2_b64 vcc, exec, s[0:1]
	s_cbranch_vccnz .LBB365_16
; %bb.3:
	v_cmp_gt_i32_e32 vcc, s8, v0
	v_or_b32_e32 v1, 0x100, v0
	v_mov_b32_e32 v4, 0
	v_or_b32_e32 v2, s2, v0
	v_mov_b32_e32 v5, 0
	v_mov_b32_e32 v3, 0
	;; [unrolled: 1-line block ×3, first 2 shown]
	s_and_saveexec_b64 s[10:11], vcc
	s_cbranch_execz .LBB365_11
; %bb.4:
	v_mov_b32_e32 v3, 0
	v_lshl_add_u64 v[4:5], v[2:3], 2, s[6:7]
	global_load_dword v8, v[4:5], off
	v_cmp_gt_u32_e64 s[0:1], s8, v1
	v_mov_b32_e32 v5, v3
	v_mov_b32_e32 v4, v3
	s_and_saveexec_b64 s[12:13], s[0:1]
	s_cbranch_execz .LBB365_10
; %bb.5:
	v_add_u32_e32 v4, s2, v0
	v_mov_b32_e32 v5, 0
	v_lshl_add_u64 v[6:7], v[4:5], 2, s[6:7]
	global_load_dword v3, v[6:7], off offset:1024
	v_or_b32_e32 v4, 0x200, v0
	v_cmp_gt_u32_e64 s[0:1], s8, v4
	v_mov_b32_e32 v4, v5
	s_and_saveexec_b64 s[6:7], s[0:1]
	s_cbranch_execz .LBB365_9
; %bb.6:
	global_load_dword v5, v[6:7], off offset:2048
	v_or_b32_e32 v4, 0x300, v0
	v_cmp_gt_u32_e64 s[0:1], s8, v4
	v_mov_b32_e32 v4, 0
	s_and_saveexec_b64 s[14:15], s[0:1]
	s_cbranch_execz .LBB365_8
; %bb.7:
	global_load_dword v4, v[6:7], off offset:3072
.LBB365_8:
	s_or_b64 exec, exec, s[14:15]
.LBB365_9:
	s_or_b64 exec, exec, s[6:7]
.LBB365_10:
	s_or_b64 exec, exec, s[12:13]
.LBB365_11:
	s_or_b64 exec, exec, s[10:11]
	s_waitcnt vmcnt(0)
	v_max_i32_e32 v6, s9, v8
	v_max_i32_e32 v3, s9, v3
	v_cmp_gt_i32_e64 s[0:1], s8, v1
	v_cndmask_b32_e32 v7, 0, v6, vcc
	v_max_i32_e32 v5, s9, v5
	v_cndmask_b32_e64 v6, 0, v3, s[0:1]
	v_or_b32_e32 v3, 0x200, v0
	v_cmp_gt_i32_e64 s[0:1], s8, v3
	v_or_b32_e32 v3, 0x300, v0
	v_max_i32_e32 v4, s9, v4
	v_cndmask_b32_e64 v5, 0, v5, s[0:1]
	v_cmp_gt_i32_e64 s[0:1], s8, v3
	s_nop 1
	v_cndmask_b32_e64 v4, 0, v4, s[0:1]
	s_and_saveexec_b64 s[0:1], vcc
	s_cbranch_execnz .LBB365_17
; %bb.12:
	s_or_b64 exec, exec, s[0:1]
	v_cmp_gt_i32_e32 vcc, s8, v0
	s_and_saveexec_b64 s[0:1], vcc
	s_cbranch_execnz .LBB365_18
.LBB365_13:
	s_or_b64 exec, exec, s[0:1]
	v_cmp_gt_i32_e32 vcc, s8, v0
	s_and_saveexec_b64 s[0:1], vcc
	s_cbranch_execnz .LBB365_19
.LBB365_14:
	s_or_b64 exec, exec, s[0:1]
	v_cmp_gt_i32_e32 vcc, s8, v0
	s_and_saveexec_b64 s[0:1], vcc
	s_cbranch_execz .LBB365_16
.LBB365_15:
	v_add_u32_e32 v0, s2, v0
	v_mov_b32_e32 v1, 0
	v_lshl_add_u64 v[0:1], v[0:1], 2, s[4:5]
	global_store_dword v[0:1], v4, off
.LBB365_16:
	s_endpgm
.LBB365_17:
	v_mov_b32_e32 v3, 0
	v_lshl_add_u64 v[2:3], v[2:3], 2, s[4:5]
	v_mov_b32_e32 v0, v1
	global_store_dword v[2:3], v7, off
	s_or_b64 exec, exec, s[0:1]
	v_cmp_gt_i32_e32 vcc, s8, v0
	s_and_saveexec_b64 s[0:1], vcc
	s_cbranch_execz .LBB365_13
.LBB365_18:
	v_add_u32_e32 v2, s2, v0
	v_mov_b32_e32 v3, 0
	v_lshl_add_u64 v[2:3], v[2:3], 2, s[4:5]
	v_add_u32_e32 v0, 0x100, v0
	global_store_dword v[2:3], v6, off
	s_or_b64 exec, exec, s[0:1]
	v_cmp_gt_i32_e32 vcc, s8, v0
	s_and_saveexec_b64 s[0:1], vcc
	s_cbranch_execz .LBB365_14
.LBB365_19:
	v_add_u32_e32 v2, s2, v0
	v_mov_b32_e32 v3, 0
	v_lshl_add_u64 v[2:3], v[2:3], 2, s[4:5]
	v_add_u32_e32 v0, 0x100, v0
	global_store_dword v[2:3], v5, off
	s_or_b64 exec, exec, s[0:1]
	v_cmp_gt_i32_e32 vcc, s8, v0
	s_and_saveexec_b64 s[0:1], vcc
	s_cbranch_execnz .LBB365_15
	s_branch .LBB365_16
	.section	.rodata,"a",@progbits
	.p2align	6, 0x0
	.amdhsa_kernel _ZN2at6native29vectorized_elementwise_kernelILi2EZZZNS0_21clamp_min_kernel_cudaERNS_18TensorIteratorBaseERKN3c106ScalarEENKUlvE_clEvENKUlvE1_clEvEUliE_St5arrayIPcLm2EEEEviT0_T1_
		.amdhsa_group_segment_fixed_size 0
		.amdhsa_private_segment_fixed_size 0
		.amdhsa_kernarg_size 24
		.amdhsa_user_sgpr_count 2
		.amdhsa_user_sgpr_dispatch_ptr 0
		.amdhsa_user_sgpr_queue_ptr 0
		.amdhsa_user_sgpr_kernarg_segment_ptr 1
		.amdhsa_user_sgpr_dispatch_id 0
		.amdhsa_user_sgpr_kernarg_preload_length 0
		.amdhsa_user_sgpr_kernarg_preload_offset 0
		.amdhsa_user_sgpr_private_segment_size 0
		.amdhsa_uses_dynamic_stack 0
		.amdhsa_enable_private_segment 0
		.amdhsa_system_sgpr_workgroup_id_x 1
		.amdhsa_system_sgpr_workgroup_id_y 0
		.amdhsa_system_sgpr_workgroup_id_z 0
		.amdhsa_system_sgpr_workgroup_info 0
		.amdhsa_system_vgpr_workitem_id 0
		.amdhsa_next_free_vgpr 9
		.amdhsa_next_free_sgpr 16
		.amdhsa_accum_offset 12
		.amdhsa_reserve_vcc 1
		.amdhsa_float_round_mode_32 0
		.amdhsa_float_round_mode_16_64 0
		.amdhsa_float_denorm_mode_32 3
		.amdhsa_float_denorm_mode_16_64 3
		.amdhsa_dx10_clamp 1
		.amdhsa_ieee_mode 1
		.amdhsa_fp16_overflow 0
		.amdhsa_tg_split 0
		.amdhsa_exception_fp_ieee_invalid_op 0
		.amdhsa_exception_fp_denorm_src 0
		.amdhsa_exception_fp_ieee_div_zero 0
		.amdhsa_exception_fp_ieee_overflow 0
		.amdhsa_exception_fp_ieee_underflow 0
		.amdhsa_exception_fp_ieee_inexact 0
		.amdhsa_exception_int_div_zero 0
	.end_amdhsa_kernel
	.section	.text._ZN2at6native29vectorized_elementwise_kernelILi2EZZZNS0_21clamp_min_kernel_cudaERNS_18TensorIteratorBaseERKN3c106ScalarEENKUlvE_clEvENKUlvE1_clEvEUliE_St5arrayIPcLm2EEEEviT0_T1_,"axG",@progbits,_ZN2at6native29vectorized_elementwise_kernelILi2EZZZNS0_21clamp_min_kernel_cudaERNS_18TensorIteratorBaseERKN3c106ScalarEENKUlvE_clEvENKUlvE1_clEvEUliE_St5arrayIPcLm2EEEEviT0_T1_,comdat
.Lfunc_end365:
	.size	_ZN2at6native29vectorized_elementwise_kernelILi2EZZZNS0_21clamp_min_kernel_cudaERNS_18TensorIteratorBaseERKN3c106ScalarEENKUlvE_clEvENKUlvE1_clEvEUliE_St5arrayIPcLm2EEEEviT0_T1_, .Lfunc_end365-_ZN2at6native29vectorized_elementwise_kernelILi2EZZZNS0_21clamp_min_kernel_cudaERNS_18TensorIteratorBaseERKN3c106ScalarEENKUlvE_clEvENKUlvE1_clEvEUliE_St5arrayIPcLm2EEEEviT0_T1_
                                        ; -- End function
	.set _ZN2at6native29vectorized_elementwise_kernelILi2EZZZNS0_21clamp_min_kernel_cudaERNS_18TensorIteratorBaseERKN3c106ScalarEENKUlvE_clEvENKUlvE1_clEvEUliE_St5arrayIPcLm2EEEEviT0_T1_.num_vgpr, 9
	.set _ZN2at6native29vectorized_elementwise_kernelILi2EZZZNS0_21clamp_min_kernel_cudaERNS_18TensorIteratorBaseERKN3c106ScalarEENKUlvE_clEvENKUlvE1_clEvEUliE_St5arrayIPcLm2EEEEviT0_T1_.num_agpr, 0
	.set _ZN2at6native29vectorized_elementwise_kernelILi2EZZZNS0_21clamp_min_kernel_cudaERNS_18TensorIteratorBaseERKN3c106ScalarEENKUlvE_clEvENKUlvE1_clEvEUliE_St5arrayIPcLm2EEEEviT0_T1_.numbered_sgpr, 16
	.set _ZN2at6native29vectorized_elementwise_kernelILi2EZZZNS0_21clamp_min_kernel_cudaERNS_18TensorIteratorBaseERKN3c106ScalarEENKUlvE_clEvENKUlvE1_clEvEUliE_St5arrayIPcLm2EEEEviT0_T1_.num_named_barrier, 0
	.set _ZN2at6native29vectorized_elementwise_kernelILi2EZZZNS0_21clamp_min_kernel_cudaERNS_18TensorIteratorBaseERKN3c106ScalarEENKUlvE_clEvENKUlvE1_clEvEUliE_St5arrayIPcLm2EEEEviT0_T1_.private_seg_size, 0
	.set _ZN2at6native29vectorized_elementwise_kernelILi2EZZZNS0_21clamp_min_kernel_cudaERNS_18TensorIteratorBaseERKN3c106ScalarEENKUlvE_clEvENKUlvE1_clEvEUliE_St5arrayIPcLm2EEEEviT0_T1_.uses_vcc, 1
	.set _ZN2at6native29vectorized_elementwise_kernelILi2EZZZNS0_21clamp_min_kernel_cudaERNS_18TensorIteratorBaseERKN3c106ScalarEENKUlvE_clEvENKUlvE1_clEvEUliE_St5arrayIPcLm2EEEEviT0_T1_.uses_flat_scratch, 0
	.set _ZN2at6native29vectorized_elementwise_kernelILi2EZZZNS0_21clamp_min_kernel_cudaERNS_18TensorIteratorBaseERKN3c106ScalarEENKUlvE_clEvENKUlvE1_clEvEUliE_St5arrayIPcLm2EEEEviT0_T1_.has_dyn_sized_stack, 0
	.set _ZN2at6native29vectorized_elementwise_kernelILi2EZZZNS0_21clamp_min_kernel_cudaERNS_18TensorIteratorBaseERKN3c106ScalarEENKUlvE_clEvENKUlvE1_clEvEUliE_St5arrayIPcLm2EEEEviT0_T1_.has_recursion, 0
	.set _ZN2at6native29vectorized_elementwise_kernelILi2EZZZNS0_21clamp_min_kernel_cudaERNS_18TensorIteratorBaseERKN3c106ScalarEENKUlvE_clEvENKUlvE1_clEvEUliE_St5arrayIPcLm2EEEEviT0_T1_.has_indirect_call, 0
	.section	.AMDGPU.csdata,"",@progbits
; Kernel info:
; codeLenInByte = 648
; TotalNumSgprs: 22
; NumVgprs: 9
; NumAgprs: 0
; TotalNumVgprs: 9
; ScratchSize: 0
; MemoryBound: 0
; FloatMode: 240
; IeeeMode: 1
; LDSByteSize: 0 bytes/workgroup (compile time only)
; SGPRBlocks: 2
; VGPRBlocks: 1
; NumSGPRsForWavesPerEU: 22
; NumVGPRsForWavesPerEU: 9
; AccumOffset: 12
; Occupancy: 8
; WaveLimiterHint : 1
; COMPUTE_PGM_RSRC2:SCRATCH_EN: 0
; COMPUTE_PGM_RSRC2:USER_SGPR: 2
; COMPUTE_PGM_RSRC2:TRAP_HANDLER: 0
; COMPUTE_PGM_RSRC2:TGID_X_EN: 1
; COMPUTE_PGM_RSRC2:TGID_Y_EN: 0
; COMPUTE_PGM_RSRC2:TGID_Z_EN: 0
; COMPUTE_PGM_RSRC2:TIDIG_COMP_CNT: 0
; COMPUTE_PGM_RSRC3_GFX90A:ACCUM_OFFSET: 2
; COMPUTE_PGM_RSRC3_GFX90A:TG_SPLIT: 0
	.section	.text._ZN2at6native27unrolled_elementwise_kernelIZZZNS0_21clamp_min_kernel_cudaERNS_18TensorIteratorBaseERKN3c106ScalarEENKUlvE_clEvENKUlvE1_clEvEUliE_St5arrayIPcLm2EELi4E23TrivialOffsetCalculatorILi1EjESF_NS0_6memory15LoadWithoutCastENSG_16StoreWithoutCastEEEviT_T0_T2_T3_T4_T5_,"axG",@progbits,_ZN2at6native27unrolled_elementwise_kernelIZZZNS0_21clamp_min_kernel_cudaERNS_18TensorIteratorBaseERKN3c106ScalarEENKUlvE_clEvENKUlvE1_clEvEUliE_St5arrayIPcLm2EELi4E23TrivialOffsetCalculatorILi1EjESF_NS0_6memory15LoadWithoutCastENSG_16StoreWithoutCastEEEviT_T0_T2_T3_T4_T5_,comdat
	.globl	_ZN2at6native27unrolled_elementwise_kernelIZZZNS0_21clamp_min_kernel_cudaERNS_18TensorIteratorBaseERKN3c106ScalarEENKUlvE_clEvENKUlvE1_clEvEUliE_St5arrayIPcLm2EELi4E23TrivialOffsetCalculatorILi1EjESF_NS0_6memory15LoadWithoutCastENSG_16StoreWithoutCastEEEviT_T0_T2_T3_T4_T5_ ; -- Begin function _ZN2at6native27unrolled_elementwise_kernelIZZZNS0_21clamp_min_kernel_cudaERNS_18TensorIteratorBaseERKN3c106ScalarEENKUlvE_clEvENKUlvE1_clEvEUliE_St5arrayIPcLm2EELi4E23TrivialOffsetCalculatorILi1EjESF_NS0_6memory15LoadWithoutCastENSG_16StoreWithoutCastEEEviT_T0_T2_T3_T4_T5_
	.p2align	8
	.type	_ZN2at6native27unrolled_elementwise_kernelIZZZNS0_21clamp_min_kernel_cudaERNS_18TensorIteratorBaseERKN3c106ScalarEENKUlvE_clEvENKUlvE1_clEvEUliE_St5arrayIPcLm2EELi4E23TrivialOffsetCalculatorILi1EjESF_NS0_6memory15LoadWithoutCastENSG_16StoreWithoutCastEEEviT_T0_T2_T3_T4_T5_,@function
_ZN2at6native27unrolled_elementwise_kernelIZZZNS0_21clamp_min_kernel_cudaERNS_18TensorIteratorBaseERKN3c106ScalarEENKUlvE_clEvENKUlvE1_clEvEUliE_St5arrayIPcLm2EELi4E23TrivialOffsetCalculatorILi1EjESF_NS0_6memory15LoadWithoutCastENSG_16StoreWithoutCastEEEviT_T0_T2_T3_T4_T5_: ; @_ZN2at6native27unrolled_elementwise_kernelIZZZNS0_21clamp_min_kernel_cudaERNS_18TensorIteratorBaseERKN3c106ScalarEENKUlvE_clEvENKUlvE1_clEvEUliE_St5arrayIPcLm2EELi4E23TrivialOffsetCalculatorILi1EjESF_NS0_6memory15LoadWithoutCastENSG_16StoreWithoutCastEEEviT_T0_T2_T3_T4_T5_
; %bb.0:
	s_load_dwordx2 s[8:9], s[0:1], 0x0
	s_load_dwordx4 s[4:7], s[0:1], 0x8
	s_lshl_b32 s16, s2, 10
	v_mov_b32_e32 v7, 0
	v_or_b32_e32 v1, 0x100, v0
	s_waitcnt lgkmcnt(0)
	s_sub_i32 s8, s8, s16
	v_cmp_gt_i32_e32 vcc, s8, v0
	v_or_b32_e32 v2, s16, v0
	v_mov_b32_e32 v5, 0
	v_mov_b32_e32 v3, v7
	;; [unrolled: 1-line block ×3, first 2 shown]
	s_and_saveexec_b64 s[2:3], vcc
	s_cbranch_execz .LBB366_8
; %bb.1:
	v_mov_b32_e32 v3, 0
	v_lshl_add_u64 v[4:5], v[2:3], 2, s[6:7]
	global_load_dword v8, v[4:5], off
	v_cmp_gt_u32_e64 s[0:1], s8, v1
	v_mov_b32_e32 v5, v3
	v_mov_b32_e32 v7, v3
	s_and_saveexec_b64 s[10:11], s[0:1]
	s_cbranch_execz .LBB366_7
; %bb.2:
	v_add_u32_e32 v4, s16, v1
	v_mov_b32_e32 v5, 0
	v_lshl_add_u64 v[6:7], v[4:5], 2, s[6:7]
	global_load_dword v3, v[6:7], off
	v_or_b32_e32 v4, 0x200, v0
	v_cmp_gt_u32_e64 s[0:1], s8, v4
	v_mov_b32_e32 v7, v5
	s_and_saveexec_b64 s[12:13], s[0:1]
	s_cbranch_execz .LBB366_6
; %bb.3:
	v_add_u32_e32 v6, s16, v4
	v_mov_b32_e32 v7, 0
	v_lshl_add_u64 v[4:5], v[6:7], 2, s[6:7]
	global_load_dword v5, v[4:5], off
	v_or_b32_e32 v4, 0x300, v0
	v_cmp_gt_u32_e64 s[0:1], s8, v4
	s_and_saveexec_b64 s[14:15], s[0:1]
	s_cbranch_execz .LBB366_5
; %bb.4:
	v_add_u32_e32 v6, s16, v4
	v_mov_b32_e32 v7, 0
	v_lshl_add_u64 v[6:7], v[6:7], 2, s[6:7]
	global_load_dword v7, v[6:7], off
.LBB366_5:
	s_or_b64 exec, exec, s[14:15]
.LBB366_6:
	s_or_b64 exec, exec, s[12:13]
.LBB366_7:
	s_or_b64 exec, exec, s[10:11]
.LBB366_8:
	s_or_b64 exec, exec, s[2:3]
	s_waitcnt vmcnt(0)
	v_max_i32_e32 v3, s9, v3
	v_cmp_gt_i32_e64 s[0:1], s8, v1
	v_max_i32_e32 v4, s9, v8
	v_cndmask_b32_e32 v8, 0, v4, vcc
	v_cndmask_b32_e64 v6, 0, v3, s[0:1]
	v_or_b32_e32 v3, 0x200, v0
	v_max_i32_e32 v4, s9, v5
	v_cmp_gt_i32_e64 s[0:1], s8, v3
	v_or_b32_e32 v3, 0x300, v0
	s_nop 0
	v_cndmask_b32_e64 v5, 0, v4, s[0:1]
	v_max_i32_e32 v4, s9, v7
	v_cmp_gt_i32_e64 s[0:1], s8, v3
	s_nop 1
	v_cndmask_b32_e64 v4, 0, v4, s[0:1]
	s_and_saveexec_b64 s[0:1], vcc
	s_cbranch_execnz .LBB366_13
; %bb.9:
	s_or_b64 exec, exec, s[0:1]
	v_cmp_gt_i32_e32 vcc, s8, v0
	s_and_saveexec_b64 s[0:1], vcc
	s_cbranch_execnz .LBB366_14
.LBB366_10:
	s_or_b64 exec, exec, s[0:1]
	v_cmp_gt_i32_e32 vcc, s8, v0
	s_and_saveexec_b64 s[0:1], vcc
	s_cbranch_execnz .LBB366_15
.LBB366_11:
	s_or_b64 exec, exec, s[0:1]
	v_cmp_gt_i32_e32 vcc, s8, v0
	s_and_saveexec_b64 s[0:1], vcc
	s_cbranch_execnz .LBB366_16
.LBB366_12:
	s_endpgm
.LBB366_13:
	v_mov_b32_e32 v3, 0
	v_lshl_add_u64 v[2:3], v[2:3], 2, s[4:5]
	v_mov_b32_e32 v0, v1
	global_store_dword v[2:3], v8, off
	s_or_b64 exec, exec, s[0:1]
	v_cmp_gt_i32_e32 vcc, s8, v0
	s_and_saveexec_b64 s[0:1], vcc
	s_cbranch_execz .LBB366_10
.LBB366_14:
	v_add_u32_e32 v2, 0x100, v0
	v_add_u32_e32 v0, s16, v0
	v_mov_b32_e32 v1, 0
	v_lshl_add_u64 v[0:1], v[0:1], 2, s[4:5]
	global_store_dword v[0:1], v6, off
	v_mov_b32_e32 v0, v2
	s_or_b64 exec, exec, s[0:1]
	v_cmp_gt_i32_e32 vcc, s8, v0
	s_and_saveexec_b64 s[0:1], vcc
	s_cbranch_execz .LBB366_11
.LBB366_15:
	v_add_u32_e32 v2, 0x100, v0
	v_add_u32_e32 v0, s16, v0
	v_mov_b32_e32 v1, 0
	v_lshl_add_u64 v[0:1], v[0:1], 2, s[4:5]
	global_store_dword v[0:1], v5, off
	v_mov_b32_e32 v0, v2
	s_or_b64 exec, exec, s[0:1]
	v_cmp_gt_i32_e32 vcc, s8, v0
	s_and_saveexec_b64 s[0:1], vcc
	s_cbranch_execz .LBB366_12
.LBB366_16:
	v_add_u32_e32 v0, s16, v0
	v_mov_b32_e32 v1, 0
	v_lshl_add_u64 v[0:1], v[0:1], 2, s[4:5]
	global_store_dword v[0:1], v4, off
	s_endpgm
	.section	.rodata,"a",@progbits
	.p2align	6, 0x0
	.amdhsa_kernel _ZN2at6native27unrolled_elementwise_kernelIZZZNS0_21clamp_min_kernel_cudaERNS_18TensorIteratorBaseERKN3c106ScalarEENKUlvE_clEvENKUlvE1_clEvEUliE_St5arrayIPcLm2EELi4E23TrivialOffsetCalculatorILi1EjESF_NS0_6memory15LoadWithoutCastENSG_16StoreWithoutCastEEEviT_T0_T2_T3_T4_T5_
		.amdhsa_group_segment_fixed_size 0
		.amdhsa_private_segment_fixed_size 0
		.amdhsa_kernarg_size 28
		.amdhsa_user_sgpr_count 2
		.amdhsa_user_sgpr_dispatch_ptr 0
		.amdhsa_user_sgpr_queue_ptr 0
		.amdhsa_user_sgpr_kernarg_segment_ptr 1
		.amdhsa_user_sgpr_dispatch_id 0
		.amdhsa_user_sgpr_kernarg_preload_length 0
		.amdhsa_user_sgpr_kernarg_preload_offset 0
		.amdhsa_user_sgpr_private_segment_size 0
		.amdhsa_uses_dynamic_stack 0
		.amdhsa_enable_private_segment 0
		.amdhsa_system_sgpr_workgroup_id_x 1
		.amdhsa_system_sgpr_workgroup_id_y 0
		.amdhsa_system_sgpr_workgroup_id_z 0
		.amdhsa_system_sgpr_workgroup_info 0
		.amdhsa_system_vgpr_workitem_id 0
		.amdhsa_next_free_vgpr 9
		.amdhsa_next_free_sgpr 17
		.amdhsa_accum_offset 12
		.amdhsa_reserve_vcc 1
		.amdhsa_float_round_mode_32 0
		.amdhsa_float_round_mode_16_64 0
		.amdhsa_float_denorm_mode_32 3
		.amdhsa_float_denorm_mode_16_64 3
		.amdhsa_dx10_clamp 1
		.amdhsa_ieee_mode 1
		.amdhsa_fp16_overflow 0
		.amdhsa_tg_split 0
		.amdhsa_exception_fp_ieee_invalid_op 0
		.amdhsa_exception_fp_denorm_src 0
		.amdhsa_exception_fp_ieee_div_zero 0
		.amdhsa_exception_fp_ieee_overflow 0
		.amdhsa_exception_fp_ieee_underflow 0
		.amdhsa_exception_fp_ieee_inexact 0
		.amdhsa_exception_int_div_zero 0
	.end_amdhsa_kernel
	.section	.text._ZN2at6native27unrolled_elementwise_kernelIZZZNS0_21clamp_min_kernel_cudaERNS_18TensorIteratorBaseERKN3c106ScalarEENKUlvE_clEvENKUlvE1_clEvEUliE_St5arrayIPcLm2EELi4E23TrivialOffsetCalculatorILi1EjESF_NS0_6memory15LoadWithoutCastENSG_16StoreWithoutCastEEEviT_T0_T2_T3_T4_T5_,"axG",@progbits,_ZN2at6native27unrolled_elementwise_kernelIZZZNS0_21clamp_min_kernel_cudaERNS_18TensorIteratorBaseERKN3c106ScalarEENKUlvE_clEvENKUlvE1_clEvEUliE_St5arrayIPcLm2EELi4E23TrivialOffsetCalculatorILi1EjESF_NS0_6memory15LoadWithoutCastENSG_16StoreWithoutCastEEEviT_T0_T2_T3_T4_T5_,comdat
.Lfunc_end366:
	.size	_ZN2at6native27unrolled_elementwise_kernelIZZZNS0_21clamp_min_kernel_cudaERNS_18TensorIteratorBaseERKN3c106ScalarEENKUlvE_clEvENKUlvE1_clEvEUliE_St5arrayIPcLm2EELi4E23TrivialOffsetCalculatorILi1EjESF_NS0_6memory15LoadWithoutCastENSG_16StoreWithoutCastEEEviT_T0_T2_T3_T4_T5_, .Lfunc_end366-_ZN2at6native27unrolled_elementwise_kernelIZZZNS0_21clamp_min_kernel_cudaERNS_18TensorIteratorBaseERKN3c106ScalarEENKUlvE_clEvENKUlvE1_clEvEUliE_St5arrayIPcLm2EELi4E23TrivialOffsetCalculatorILi1EjESF_NS0_6memory15LoadWithoutCastENSG_16StoreWithoutCastEEEviT_T0_T2_T3_T4_T5_
                                        ; -- End function
	.set _ZN2at6native27unrolled_elementwise_kernelIZZZNS0_21clamp_min_kernel_cudaERNS_18TensorIteratorBaseERKN3c106ScalarEENKUlvE_clEvENKUlvE1_clEvEUliE_St5arrayIPcLm2EELi4E23TrivialOffsetCalculatorILi1EjESF_NS0_6memory15LoadWithoutCastENSG_16StoreWithoutCastEEEviT_T0_T2_T3_T4_T5_.num_vgpr, 9
	.set _ZN2at6native27unrolled_elementwise_kernelIZZZNS0_21clamp_min_kernel_cudaERNS_18TensorIteratorBaseERKN3c106ScalarEENKUlvE_clEvENKUlvE1_clEvEUliE_St5arrayIPcLm2EELi4E23TrivialOffsetCalculatorILi1EjESF_NS0_6memory15LoadWithoutCastENSG_16StoreWithoutCastEEEviT_T0_T2_T3_T4_T5_.num_agpr, 0
	.set _ZN2at6native27unrolled_elementwise_kernelIZZZNS0_21clamp_min_kernel_cudaERNS_18TensorIteratorBaseERKN3c106ScalarEENKUlvE_clEvENKUlvE1_clEvEUliE_St5arrayIPcLm2EELi4E23TrivialOffsetCalculatorILi1EjESF_NS0_6memory15LoadWithoutCastENSG_16StoreWithoutCastEEEviT_T0_T2_T3_T4_T5_.numbered_sgpr, 17
	.set _ZN2at6native27unrolled_elementwise_kernelIZZZNS0_21clamp_min_kernel_cudaERNS_18TensorIteratorBaseERKN3c106ScalarEENKUlvE_clEvENKUlvE1_clEvEUliE_St5arrayIPcLm2EELi4E23TrivialOffsetCalculatorILi1EjESF_NS0_6memory15LoadWithoutCastENSG_16StoreWithoutCastEEEviT_T0_T2_T3_T4_T5_.num_named_barrier, 0
	.set _ZN2at6native27unrolled_elementwise_kernelIZZZNS0_21clamp_min_kernel_cudaERNS_18TensorIteratorBaseERKN3c106ScalarEENKUlvE_clEvENKUlvE1_clEvEUliE_St5arrayIPcLm2EELi4E23TrivialOffsetCalculatorILi1EjESF_NS0_6memory15LoadWithoutCastENSG_16StoreWithoutCastEEEviT_T0_T2_T3_T4_T5_.private_seg_size, 0
	.set _ZN2at6native27unrolled_elementwise_kernelIZZZNS0_21clamp_min_kernel_cudaERNS_18TensorIteratorBaseERKN3c106ScalarEENKUlvE_clEvENKUlvE1_clEvEUliE_St5arrayIPcLm2EELi4E23TrivialOffsetCalculatorILi1EjESF_NS0_6memory15LoadWithoutCastENSG_16StoreWithoutCastEEEviT_T0_T2_T3_T4_T5_.uses_vcc, 1
	.set _ZN2at6native27unrolled_elementwise_kernelIZZZNS0_21clamp_min_kernel_cudaERNS_18TensorIteratorBaseERKN3c106ScalarEENKUlvE_clEvENKUlvE1_clEvEUliE_St5arrayIPcLm2EELi4E23TrivialOffsetCalculatorILi1EjESF_NS0_6memory15LoadWithoutCastENSG_16StoreWithoutCastEEEviT_T0_T2_T3_T4_T5_.uses_flat_scratch, 0
	.set _ZN2at6native27unrolled_elementwise_kernelIZZZNS0_21clamp_min_kernel_cudaERNS_18TensorIteratorBaseERKN3c106ScalarEENKUlvE_clEvENKUlvE1_clEvEUliE_St5arrayIPcLm2EELi4E23TrivialOffsetCalculatorILi1EjESF_NS0_6memory15LoadWithoutCastENSG_16StoreWithoutCastEEEviT_T0_T2_T3_T4_T5_.has_dyn_sized_stack, 0
	.set _ZN2at6native27unrolled_elementwise_kernelIZZZNS0_21clamp_min_kernel_cudaERNS_18TensorIteratorBaseERKN3c106ScalarEENKUlvE_clEvENKUlvE1_clEvEUliE_St5arrayIPcLm2EELi4E23TrivialOffsetCalculatorILi1EjESF_NS0_6memory15LoadWithoutCastENSG_16StoreWithoutCastEEEviT_T0_T2_T3_T4_T5_.has_recursion, 0
	.set _ZN2at6native27unrolled_elementwise_kernelIZZZNS0_21clamp_min_kernel_cudaERNS_18TensorIteratorBaseERKN3c106ScalarEENKUlvE_clEvENKUlvE1_clEvEUliE_St5arrayIPcLm2EELi4E23TrivialOffsetCalculatorILi1EjESF_NS0_6memory15LoadWithoutCastENSG_16StoreWithoutCastEEEviT_T0_T2_T3_T4_T5_.has_indirect_call, 0
	.section	.AMDGPU.csdata,"",@progbits
; Kernel info:
; codeLenInByte = 580
; TotalNumSgprs: 23
; NumVgprs: 9
; NumAgprs: 0
; TotalNumVgprs: 9
; ScratchSize: 0
; MemoryBound: 0
; FloatMode: 240
; IeeeMode: 1
; LDSByteSize: 0 bytes/workgroup (compile time only)
; SGPRBlocks: 2
; VGPRBlocks: 1
; NumSGPRsForWavesPerEU: 23
; NumVGPRsForWavesPerEU: 9
; AccumOffset: 12
; Occupancy: 8
; WaveLimiterHint : 0
; COMPUTE_PGM_RSRC2:SCRATCH_EN: 0
; COMPUTE_PGM_RSRC2:USER_SGPR: 2
; COMPUTE_PGM_RSRC2:TRAP_HANDLER: 0
; COMPUTE_PGM_RSRC2:TGID_X_EN: 1
; COMPUTE_PGM_RSRC2:TGID_Y_EN: 0
; COMPUTE_PGM_RSRC2:TGID_Z_EN: 0
; COMPUTE_PGM_RSRC2:TIDIG_COMP_CNT: 0
; COMPUTE_PGM_RSRC3_GFX90A:ACCUM_OFFSET: 2
; COMPUTE_PGM_RSRC3_GFX90A:TG_SPLIT: 0
	.section	.text._ZN2at6native32elementwise_kernel_manual_unrollILi128ELi4EZNS0_22gpu_kernel_impl_nocastIZZZNS0_21clamp_min_kernel_cudaERNS_18TensorIteratorBaseERKN3c106ScalarEENKUlvE_clEvENKUlvE1_clEvEUliE_EEvS4_RKT_EUlibE_EEviT1_,"axG",@progbits,_ZN2at6native32elementwise_kernel_manual_unrollILi128ELi4EZNS0_22gpu_kernel_impl_nocastIZZZNS0_21clamp_min_kernel_cudaERNS_18TensorIteratorBaseERKN3c106ScalarEENKUlvE_clEvENKUlvE1_clEvEUliE_EEvS4_RKT_EUlibE_EEviT1_,comdat
	.globl	_ZN2at6native32elementwise_kernel_manual_unrollILi128ELi4EZNS0_22gpu_kernel_impl_nocastIZZZNS0_21clamp_min_kernel_cudaERNS_18TensorIteratorBaseERKN3c106ScalarEENKUlvE_clEvENKUlvE1_clEvEUliE_EEvS4_RKT_EUlibE_EEviT1_ ; -- Begin function _ZN2at6native32elementwise_kernel_manual_unrollILi128ELi4EZNS0_22gpu_kernel_impl_nocastIZZZNS0_21clamp_min_kernel_cudaERNS_18TensorIteratorBaseERKN3c106ScalarEENKUlvE_clEvENKUlvE1_clEvEUliE_EEvS4_RKT_EUlibE_EEviT1_
	.p2align	8
	.type	_ZN2at6native32elementwise_kernel_manual_unrollILi128ELi4EZNS0_22gpu_kernel_impl_nocastIZZZNS0_21clamp_min_kernel_cudaERNS_18TensorIteratorBaseERKN3c106ScalarEENKUlvE_clEvENKUlvE1_clEvEUliE_EEvS4_RKT_EUlibE_EEviT1_,@function
_ZN2at6native32elementwise_kernel_manual_unrollILi128ELi4EZNS0_22gpu_kernel_impl_nocastIZZZNS0_21clamp_min_kernel_cudaERNS_18TensorIteratorBaseERKN3c106ScalarEENKUlvE_clEvENKUlvE1_clEvEUliE_EEvS4_RKT_EUlibE_EEviT1_: ; @_ZN2at6native32elementwise_kernel_manual_unrollILi128ELi4EZNS0_22gpu_kernel_impl_nocastIZZZNS0_21clamp_min_kernel_cudaERNS_18TensorIteratorBaseERKN3c106ScalarEENKUlvE_clEvENKUlvE1_clEvEUliE_EEvS4_RKT_EUlibE_EEviT1_
; %bb.0:
	s_load_dword s56, s[0:1], 0x0
	s_load_dword s33, s[0:1], 0x8
	s_add_u32 s34, s0, 8
	s_addc_u32 s35, s1, 0
	v_lshl_or_b32 v8, s2, 9, v0
	v_or_b32_e32 v16, 0x180, v8
	s_waitcnt lgkmcnt(0)
	s_add_i32 s54, s33, -1
	s_cmp_gt_u32 s54, 1
	v_cmp_le_i32_e32 vcc, s56, v16
	s_cselect_b64 s[36:37], -1, 0
	s_and_saveexec_b64 s[0:1], vcc
	s_xor_b64 s[38:39], exec, s[0:1]
	s_cbranch_execz .LBB367_8
; %bb.1:
	s_load_dwordx4 s[24:27], s[34:35], 0x4
	s_load_dwordx2 s[40:41], s[34:35], 0x14
	s_load_dwordx4 s[20:23], s[34:35], 0xc4
	s_load_dwordx4 s[16:19], s[34:35], 0x148
	s_load_dword s55, s[34:35], 0x158
	s_cmp_lg_u32 s33, 0
	s_cselect_b64 s[46:47], -1, 0
	s_add_u32 s44, s34, 0xc4
	s_addc_u32 s45, s35, 0
	s_min_u32 s57, s54, 15
	s_cmp_gt_u32 s33, 1
	s_cselect_b64 s[42:43], -1, 0
	v_cmp_gt_i32_e32 vcc, s56, v8
	s_and_saveexec_b64 s[48:49], vcc
	s_cbranch_execz .LBB367_15
; %bb.2:
	s_andn2_b64 vcc, exec, s[36:37]
	s_cbranch_vccnz .LBB367_23
; %bb.3:
	s_andn2_b64 vcc, exec, s[46:47]
	s_cbranch_vccnz .LBB367_75
; %bb.4:
	s_add_i32 s59, s57, 1
	s_cmp_eq_u32 s54, 2
	s_cbranch_scc1 .LBB367_77
; %bb.5:
	s_and_b32 s58, s59, 28
	s_mov_b32 s60, 0
	v_mov_b32_e32 v0, 0
	v_mov_b32_e32 v2, 0
	s_mov_b64 s[50:51], s[34:35]
	s_mov_b64 s[52:53], s[44:45]
	v_mov_b32_e32 v4, v8
.LBB367_6:                              ; =>This Inner Loop Header: Depth=1
	s_load_dwordx8 s[8:15], s[50:51], 0x4
	s_load_dwordx4 s[28:31], s[50:51], 0x24
	s_load_dwordx8 s[0:7], s[52:53], 0x0
	s_add_u32 s50, s50, 48
	s_addc_u32 s51, s51, 0
	s_waitcnt lgkmcnt(0)
	v_mul_hi_u32 v1, s9, v4
	v_add_u32_e32 v1, v4, v1
	v_lshrrev_b32_e32 v1, s10, v1
	v_mul_lo_u32 v3, v1, s8
	v_mul_hi_u32 v5, s12, v1
	v_sub_u32_e32 v3, v4, v3
	v_add_u32_e32 v4, v1, v5
	v_lshrrev_b32_e32 v4, s13, v4
	v_mul_lo_u32 v6, v4, s11
	v_mul_hi_u32 v7, s15, v4
	v_sub_u32_e32 v1, v1, v6
	v_add_u32_e32 v6, v4, v7
	v_mul_lo_u32 v5, v3, s1
	v_mul_lo_u32 v3, v3, s0
	;; [unrolled: 1-line block ×4, first 2 shown]
	v_lshrrev_b32_e32 v6, s28, v6
	v_add3_u32 v0, v3, v0, v1
	v_mul_hi_u32 v3, s30, v6
	v_add3_u32 v1, v5, v2, v7
	v_mul_lo_u32 v2, v6, s14
	v_add_u32_e32 v3, v6, v3
	v_sub_u32_e32 v2, v4, v2
	v_lshrrev_b32_e32 v4, s31, v3
	s_add_i32 s60, s60, 4
	v_mul_lo_u32 v3, v4, s29
	s_add_u32 s52, s52, 32
	v_sub_u32_e32 v3, v6, v3
	s_addc_u32 s53, s53, 0
	v_mul_lo_u32 v5, v2, s4
	v_mul_lo_u32 v2, v2, s5
	;; [unrolled: 1-line block ×4, first 2 shown]
	s_cmp_lg_u32 s58, s60
	v_add3_u32 v2, v2, v1, v3
	v_add3_u32 v0, v5, v0, v6
	s_cbranch_scc1 .LBB367_6
; %bb.7:
	v_mov_b32_e32 v1, v2
	s_branch .LBB367_78
.LBB367_8:
	s_andn2_saveexec_b64 s[0:1], s[38:39]
	s_cbranch_execz .LBB367_104
.LBB367_9:
	v_cndmask_b32_e64 v0, 0, 1, s[36:37]
	v_cmp_ne_u32_e64 s[0:1], 1, v0
	s_andn2_b64 vcc, exec, s[36:37]
	s_cbranch_vccnz .LBB367_22
; %bb.10:
	s_cmp_lg_u32 s33, 0
	s_waitcnt lgkmcnt(0)
	s_mov_b32 s26, 0
	s_cbranch_scc0 .LBB367_25
; %bb.11:
	s_min_u32 s27, s54, 15
	s_add_i32 s27, s27, 1
	s_cmp_eq_u32 s54, 2
	s_cbranch_scc1 .LBB367_26
; %bb.12:
	s_and_b32 s26, s27, 28
	s_add_u32 s2, s34, 0xc4
	s_addc_u32 s3, s35, 0
	s_mov_b32 s28, 0
	v_mov_b32_e32 v0, 0
	v_mov_b32_e32 v2, 0
	s_mov_b64 s[24:25], s[34:35]
	v_mov_b32_e32 v4, v8
.LBB367_13:                             ; =>This Inner Loop Header: Depth=1
	s_load_dwordx8 s[12:19], s[24:25], 0x4
	s_load_dwordx4 s[20:23], s[24:25], 0x24
	s_load_dwordx8 s[4:11], s[2:3], 0x0
	s_add_u32 s24, s24, 48
	s_addc_u32 s25, s25, 0
	s_waitcnt lgkmcnt(0)
	v_mul_hi_u32 v1, s13, v4
	v_add_u32_e32 v1, v4, v1
	v_lshrrev_b32_e32 v1, s14, v1
	v_mul_lo_u32 v3, v1, s12
	v_mul_hi_u32 v5, s16, v1
	v_sub_u32_e32 v3, v4, v3
	v_add_u32_e32 v4, v1, v5
	v_lshrrev_b32_e32 v4, s17, v4
	v_mul_lo_u32 v6, v4, s15
	v_mul_hi_u32 v7, s19, v4
	v_sub_u32_e32 v1, v1, v6
	v_add_u32_e32 v6, v4, v7
	v_mul_lo_u32 v5, v3, s5
	v_mul_lo_u32 v3, v3, s4
	;; [unrolled: 1-line block ×4, first 2 shown]
	v_lshrrev_b32_e32 v6, s20, v6
	v_add3_u32 v0, v3, v0, v1
	v_mul_hi_u32 v3, s22, v6
	v_add3_u32 v1, v5, v2, v7
	v_mul_lo_u32 v2, v6, s18
	v_add_u32_e32 v3, v6, v3
	v_sub_u32_e32 v2, v4, v2
	v_lshrrev_b32_e32 v4, s23, v3
	s_add_i32 s28, s28, 4
	v_mul_lo_u32 v3, v4, s21
	s_add_u32 s2, s2, 32
	v_sub_u32_e32 v3, v6, v3
	s_addc_u32 s3, s3, 0
	v_mul_lo_u32 v5, v2, s8
	v_mul_lo_u32 v2, v2, s9
	;; [unrolled: 1-line block ×4, first 2 shown]
	s_cmp_lg_u32 s26, s28
	v_add3_u32 v2, v2, v1, v3
	v_add3_u32 v0, v5, v0, v6
	s_cbranch_scc1 .LBB367_13
; %bb.14:
	v_mov_b32_e32 v1, v2
	s_and_b32 s6, s27, 3
	s_cmp_eq_u32 s6, 0
	s_cbranch_scc0 .LBB367_27
	s_branch .LBB367_29
.LBB367_15:
	s_or_b64 exec, exec, s[48:49]
	v_cmp_gt_i32_e32 vcc, s56, v8
	s_and_saveexec_b64 s[48:49], vcc
	s_cbranch_execz .LBB367_85
.LBB367_16:
	s_andn2_b64 vcc, exec, s[36:37]
	s_cbranch_vccnz .LBB367_24
; %bb.17:
	s_andn2_b64 vcc, exec, s[46:47]
	s_cbranch_vccnz .LBB367_76
; %bb.18:
	s_add_i32 s59, s57, 1
	s_cmp_eq_u32 s54, 2
	s_cbranch_scc1 .LBB367_94
; %bb.19:
	s_and_b32 s58, s59, 28
	s_mov_b32 s60, 0
	v_mov_b32_e32 v0, 0
	v_mov_b32_e32 v2, 0
	s_mov_b64 s[50:51], s[34:35]
	s_mov_b64 s[52:53], s[44:45]
	v_mov_b32_e32 v4, v8
.LBB367_20:                             ; =>This Inner Loop Header: Depth=1
	s_load_dwordx8 s[8:15], s[50:51], 0x4
	s_load_dwordx4 s[28:31], s[50:51], 0x24
	s_load_dwordx8 s[0:7], s[52:53], 0x0
	s_add_u32 s50, s50, 48
	s_addc_u32 s51, s51, 0
	s_waitcnt lgkmcnt(0)
	v_mul_hi_u32 v1, s9, v4
	v_add_u32_e32 v1, v4, v1
	v_lshrrev_b32_e32 v1, s10, v1
	v_mul_lo_u32 v3, v1, s8
	v_mul_hi_u32 v5, s12, v1
	v_sub_u32_e32 v3, v4, v3
	v_add_u32_e32 v4, v1, v5
	v_lshrrev_b32_e32 v4, s13, v4
	v_mul_lo_u32 v6, v4, s11
	v_mul_hi_u32 v7, s15, v4
	v_sub_u32_e32 v1, v1, v6
	v_add_u32_e32 v6, v4, v7
	v_mul_lo_u32 v5, v3, s1
	v_mul_lo_u32 v3, v3, s0
	;; [unrolled: 1-line block ×4, first 2 shown]
	v_lshrrev_b32_e32 v6, s28, v6
	v_add3_u32 v0, v3, v0, v1
	v_mul_hi_u32 v3, s30, v6
	v_add3_u32 v1, v5, v2, v7
	v_mul_lo_u32 v2, v6, s14
	v_add_u32_e32 v3, v6, v3
	v_sub_u32_e32 v2, v4, v2
	v_lshrrev_b32_e32 v4, s31, v3
	s_add_i32 s60, s60, 4
	v_mul_lo_u32 v3, v4, s29
	s_add_u32 s52, s52, 32
	v_sub_u32_e32 v3, v6, v3
	s_addc_u32 s53, s53, 0
	v_mul_lo_u32 v5, v2, s4
	v_mul_lo_u32 v2, v2, s5
	;; [unrolled: 1-line block ×4, first 2 shown]
	s_cmp_eq_u32 s58, s60
	v_add3_u32 v2, v2, v1, v3
	v_add3_u32 v0, v5, v0, v6
	s_cbranch_scc0 .LBB367_20
; %bb.21:
	v_mov_b32_e32 v1, v2
	s_branch .LBB367_95
.LBB367_22:
                                        ; implicit-def: $vgpr2
                                        ; implicit-def: $vgpr0
	s_branch .LBB367_30
.LBB367_23:
                                        ; implicit-def: $vgpr2
                                        ; implicit-def: $vgpr0
	s_branch .LBB367_82
.LBB367_24:
                                        ; implicit-def: $vgpr2
                                        ; implicit-def: $vgpr0
	s_branch .LBB367_99
.LBB367_25:
	v_mov_b32_e32 v2, 0
	v_mov_b32_e32 v0, 0
	s_branch .LBB367_29
.LBB367_26:
	v_mov_b32_e32 v0, 0
                                        ; implicit-def: $vgpr2
	v_mov_b32_e32 v1, v0
	v_mov_b32_e32 v4, v8
	s_and_b32 s6, s27, 3
	s_cmp_eq_u32 s6, 0
	s_cbranch_scc1 .LBB367_29
.LBB367_27:
	s_lshl_b32 s2, s26, 3
	s_add_u32 s2, s34, s2
	s_addc_u32 s3, s35, 0
	s_add_u32 s2, s2, 0xc4
	s_addc_u32 s3, s3, 0
	s_mul_i32 s4, s26, 12
	s_add_u32 s4, s34, s4
	s_addc_u32 s5, s35, 0
.LBB367_28:                             ; =>This Inner Loop Header: Depth=1
	s_load_dwordx2 s[8:9], s[4:5], 0x4
	s_load_dword s7, s[4:5], 0xc
	s_load_dwordx2 s[10:11], s[2:3], 0x0
	v_mov_b32_e32 v2, v1
	s_add_u32 s4, s4, 12
	s_waitcnt lgkmcnt(0)
	v_mul_hi_u32 v1, s9, v4
	v_add_u32_e32 v1, v4, v1
	v_lshrrev_b32_e32 v1, s7, v1
	s_addc_u32 s5, s5, 0
	v_mul_lo_u32 v3, v1, s8
	s_add_u32 s2, s2, 8
	v_sub_u32_e32 v5, v4, v3
	s_addc_u32 s3, s3, 0
	s_add_i32 s6, s6, -1
	v_mov_b32_e32 v4, v1
	v_mad_u64_u32 v[2:3], s[8:9], v5, s11, v[2:3]
	v_mad_u64_u32 v[0:1], s[8:9], v5, s10, v[0:1]
	s_cmp_lg_u32 s6, 0
	v_mov_b32_e32 v1, v2
	s_cbranch_scc1 .LBB367_28
.LBB367_29:
	s_cbranch_execnz .LBB367_32
.LBB367_30:
	s_load_dwordx4 s[4:7], s[34:35], 0x4
	s_load_dwordx2 s[2:3], s[34:35], 0xc4
	s_cmp_lt_u32 s33, 2
	s_waitcnt lgkmcnt(0)
	v_mul_hi_u32 v0, s5, v8
	v_add_u32_e32 v0, v8, v0
	v_lshrrev_b32_e32 v1, s6, v0
	v_mul_lo_u32 v0, v1, s4
	v_sub_u32_e32 v0, v8, v0
	v_mul_lo_u32 v2, v0, s3
	v_mul_lo_u32 v0, v0, s2
	s_cbranch_scc1 .LBB367_32
; %bb.31:
	s_load_dwordx4 s[4:7], s[34:35], 0x10
	s_load_dwordx2 s[2:3], s[34:35], 0xcc
	s_waitcnt lgkmcnt(0)
	v_mul_hi_u32 v3, s5, v1
	v_add_u32_e32 v3, v1, v3
	v_lshrrev_b32_e32 v3, s6, v3
	v_mul_lo_u32 v3, v3, s4
	v_sub_u32_e32 v3, v1, v3
	v_mad_u64_u32 v[0:1], s[4:5], v3, s2, v[0:1]
	v_mad_u64_u32 v[2:3], s[2:3], v3, s3, v[2:3]
.LBB367_32:
	s_and_b64 vcc, exec, s[0:1]
	v_add_u32_e32 v3, 0x80, v8
	s_cbranch_vccnz .LBB367_38
; %bb.33:
	s_cmp_lg_u32 s33, 0
	s_waitcnt lgkmcnt(0)
	s_mov_b32 s26, 0
	s_cbranch_scc0 .LBB367_39
; %bb.34:
	s_min_u32 s27, s54, 15
	s_add_i32 s27, s27, 1
	s_cmp_eq_u32 s54, 2
	s_cbranch_scc1 .LBB367_40
; %bb.35:
	s_and_b32 s26, s27, 28
	s_add_u32 s2, s34, 0xc4
	s_addc_u32 s3, s35, 0
	s_mov_b32 s28, 0
	v_mov_b32_e32 v4, 0
	v_mov_b32_e32 v6, 0
	s_mov_b64 s[24:25], s[34:35]
	v_mov_b32_e32 v9, v3
.LBB367_36:                             ; =>This Inner Loop Header: Depth=1
	s_load_dwordx8 s[12:19], s[24:25], 0x4
	s_load_dwordx4 s[20:23], s[24:25], 0x24
	s_load_dwordx8 s[4:11], s[2:3], 0x0
	s_add_u32 s24, s24, 48
	s_addc_u32 s25, s25, 0
	s_waitcnt lgkmcnt(0)
	v_mul_hi_u32 v1, s13, v9
	v_add_u32_e32 v1, v9, v1
	v_lshrrev_b32_e32 v1, s14, v1
	v_mul_hi_u32 v7, s16, v1
	v_add_u32_e32 v7, v1, v7
	v_lshrrev_b32_e32 v7, s17, v7
	v_mul_lo_u32 v5, v1, s12
	v_mul_lo_u32 v10, v7, s15
	v_mul_hi_u32 v11, s19, v7
	v_sub_u32_e32 v5, v9, v5
	v_sub_u32_e32 v1, v1, v10
	v_add_u32_e32 v10, v7, v11
	v_mul_lo_u32 v9, v5, s5
	v_mul_lo_u32 v5, v5, s4
	;; [unrolled: 1-line block ×4, first 2 shown]
	v_lshrrev_b32_e32 v10, s20, v10
	v_add3_u32 v1, v5, v4, v1
	v_add3_u32 v4, v9, v6, v11
	v_mul_hi_u32 v6, s22, v10
	v_add_u32_e32 v6, v10, v6
	v_lshrrev_b32_e32 v9, s23, v6
	s_add_i32 s28, s28, 4
	v_mul_lo_u32 v5, v10, s18
	v_mul_lo_u32 v6, v9, s21
	s_add_u32 s2, s2, 32
	v_sub_u32_e32 v5, v7, v5
	v_sub_u32_e32 v6, v10, v6
	s_addc_u32 s3, s3, 0
	v_mul_lo_u32 v7, v5, s8
	v_mul_lo_u32 v5, v5, s9
	;; [unrolled: 1-line block ×4, first 2 shown]
	s_cmp_lg_u32 s26, s28
	v_add3_u32 v6, v5, v4, v6
	v_add3_u32 v4, v7, v1, v10
	s_cbranch_scc1 .LBB367_36
; %bb.37:
	v_mov_b32_e32 v1, v6
	s_and_b32 s6, s27, 3
	s_cmp_eq_u32 s6, 0
	s_cbranch_scc0 .LBB367_41
	s_branch .LBB367_43
.LBB367_38:
                                        ; implicit-def: $vgpr6
                                        ; implicit-def: $vgpr4
	s_branch .LBB367_44
.LBB367_39:
	v_mov_b32_e32 v6, 0
	v_mov_b32_e32 v4, 0
	s_branch .LBB367_43
.LBB367_40:
	v_mov_b32_e32 v4, 0
                                        ; implicit-def: $vgpr6
	v_mov_b32_e32 v1, v4
	v_mov_b32_e32 v9, v3
	s_and_b32 s6, s27, 3
	s_cmp_eq_u32 s6, 0
	s_cbranch_scc1 .LBB367_43
.LBB367_41:
	s_lshl_b32 s2, s26, 3
	s_add_u32 s2, s34, s2
	s_addc_u32 s3, s35, 0
	s_add_u32 s2, s2, 0xc4
	s_addc_u32 s3, s3, 0
	s_mul_i32 s4, s26, 12
	s_add_u32 s4, s34, s4
	s_addc_u32 s5, s35, 0
.LBB367_42:                             ; =>This Inner Loop Header: Depth=1
	s_load_dwordx2 s[8:9], s[4:5], 0x4
	s_load_dword s7, s[4:5], 0xc
	s_load_dwordx2 s[10:11], s[2:3], 0x0
	v_mov_b32_e32 v6, v1
	s_add_u32 s4, s4, 12
	s_waitcnt lgkmcnt(0)
	v_mul_hi_u32 v1, s9, v9
	v_add_u32_e32 v1, v9, v1
	v_lshrrev_b32_e32 v1, s7, v1
	s_addc_u32 s5, s5, 0
	v_mul_lo_u32 v5, v1, s8
	s_add_u32 s2, s2, 8
	v_sub_u32_e32 v5, v9, v5
	s_addc_u32 s3, s3, 0
	s_add_i32 s6, s6, -1
	v_mad_u64_u32 v[6:7], s[8:9], v5, s11, v[6:7]
	s_cmp_lg_u32 s6, 0
	v_mov_b32_e32 v9, v1
	v_mad_u64_u32 v[4:5], s[8:9], v5, s10, v[4:5]
	v_mov_b32_e32 v1, v6
	s_cbranch_scc1 .LBB367_42
.LBB367_43:
	s_cbranch_execnz .LBB367_46
.LBB367_44:
	s_load_dwordx4 s[4:7], s[34:35], 0x4
	s_load_dwordx2 s[2:3], s[34:35], 0xc4
	s_cmp_lt_u32 s33, 2
	s_waitcnt lgkmcnt(0)
	v_mul_hi_u32 v1, s5, v3
	v_add_u32_e32 v1, v3, v1
	v_lshrrev_b32_e32 v1, s6, v1
	v_mul_lo_u32 v4, v1, s4
	v_sub_u32_e32 v3, v3, v4
	v_mul_lo_u32 v6, v3, s3
	v_mul_lo_u32 v4, v3, s2
	s_cbranch_scc1 .LBB367_46
; %bb.45:
	s_load_dwordx4 s[4:7], s[34:35], 0x10
	s_load_dwordx2 s[2:3], s[34:35], 0xcc
	s_waitcnt lgkmcnt(0)
	v_mul_hi_u32 v3, s5, v1
	v_add_u32_e32 v3, v1, v3
	v_lshrrev_b32_e32 v3, s6, v3
	v_mul_lo_u32 v3, v3, s4
	v_sub_u32_e32 v1, v1, v3
	v_mad_u64_u32 v[4:5], s[4:5], v1, s2, v[4:5]
	v_mad_u64_u32 v[6:7], s[2:3], v1, s3, v[6:7]
.LBB367_46:
	s_and_b64 vcc, exec, s[0:1]
	v_add_u32_e32 v3, 0x100, v8
	s_cbranch_vccnz .LBB367_52
; %bb.47:
	s_cmp_lg_u32 s33, 0
	s_waitcnt lgkmcnt(0)
	s_mov_b32 s26, 0
	s_cbranch_scc0 .LBB367_53
; %bb.48:
	s_min_u32 s27, s54, 15
	s_add_i32 s27, s27, 1
	s_cmp_eq_u32 s54, 2
	s_cbranch_scc1 .LBB367_54
; %bb.49:
	s_and_b32 s26, s27, 28
	s_add_u32 s2, s34, 0xc4
	s_addc_u32 s3, s35, 0
	s_mov_b32 s28, 0
	v_mov_b32_e32 v8, 0
	v_mov_b32_e32 v10, 0
	s_mov_b64 s[24:25], s[34:35]
	v_mov_b32_e32 v5, v3
.LBB367_50:                             ; =>This Inner Loop Header: Depth=1
	s_load_dwordx8 s[12:19], s[24:25], 0x4
	s_load_dwordx4 s[20:23], s[24:25], 0x24
	s_load_dwordx8 s[4:11], s[2:3], 0x0
	s_add_u32 s24, s24, 48
	s_addc_u32 s25, s25, 0
	s_waitcnt lgkmcnt(0)
	v_mul_hi_u32 v1, s13, v5
	v_add_u32_e32 v1, v5, v1
	v_lshrrev_b32_e32 v1, s14, v1
	v_mul_lo_u32 v7, v1, s12
	v_mul_hi_u32 v9, s16, v1
	v_sub_u32_e32 v5, v5, v7
	v_add_u32_e32 v7, v1, v9
	v_lshrrev_b32_e32 v7, s17, v7
	v_mul_lo_u32 v11, v7, s15
	v_mul_hi_u32 v12, s19, v7
	v_sub_u32_e32 v1, v1, v11
	v_add_u32_e32 v11, v7, v12
	v_mul_lo_u32 v9, v5, s5
	v_mul_lo_u32 v5, v5, s4
	;; [unrolled: 1-line block ×4, first 2 shown]
	v_lshrrev_b32_e32 v11, s20, v11
	v_add3_u32 v1, v5, v8, v1
	v_add3_u32 v8, v9, v10, v12
	v_mul_lo_u32 v5, v11, s18
	v_mul_hi_u32 v9, s22, v11
	v_sub_u32_e32 v5, v7, v5
	v_add_u32_e32 v7, v11, v9
	v_mul_lo_u32 v9, v5, s8
	v_mul_lo_u32 v10, v5, s9
	v_lshrrev_b32_e32 v5, s23, v7
	s_add_i32 s28, s28, 4
	v_mul_lo_u32 v7, v5, s21
	s_add_u32 s2, s2, 32
	v_sub_u32_e32 v7, v11, v7
	s_addc_u32 s3, s3, 0
	v_mul_lo_u32 v11, v7, s10
	v_mul_lo_u32 v7, v7, s11
	s_cmp_lg_u32 s26, s28
	v_add3_u32 v10, v10, v8, v7
	v_add3_u32 v8, v9, v1, v11
	s_cbranch_scc1 .LBB367_50
; %bb.51:
	v_mov_b32_e32 v1, v10
	s_and_b32 s6, s27, 3
	s_cmp_eq_u32 s6, 0
	s_cbranch_scc0 .LBB367_55
	s_branch .LBB367_57
.LBB367_52:
                                        ; implicit-def: $vgpr10
                                        ; implicit-def: $vgpr8
	s_branch .LBB367_58
.LBB367_53:
	v_mov_b32_e32 v10, 0
	v_mov_b32_e32 v8, 0
	s_branch .LBB367_57
.LBB367_54:
	v_mov_b32_e32 v8, 0
                                        ; implicit-def: $vgpr10
	v_mov_b32_e32 v1, v8
	v_mov_b32_e32 v5, v3
	s_and_b32 s6, s27, 3
	s_cmp_eq_u32 s6, 0
	s_cbranch_scc1 .LBB367_57
.LBB367_55:
	s_lshl_b32 s2, s26, 3
	s_add_u32 s2, s34, s2
	s_addc_u32 s3, s35, 0
	s_add_u32 s2, s2, 0xc4
	s_addc_u32 s3, s3, 0
	s_mul_i32 s4, s26, 12
	s_add_u32 s4, s34, s4
	s_addc_u32 s5, s35, 0
.LBB367_56:                             ; =>This Inner Loop Header: Depth=1
	s_load_dwordx2 s[8:9], s[4:5], 0x4
	s_load_dword s7, s[4:5], 0xc
	s_load_dwordx2 s[10:11], s[2:3], 0x0
	v_mov_b32_e32 v10, v1
	s_add_u32 s4, s4, 12
	s_waitcnt lgkmcnt(0)
	v_mul_hi_u32 v1, s9, v5
	v_add_u32_e32 v1, v5, v1
	v_lshrrev_b32_e32 v1, s7, v1
	s_addc_u32 s5, s5, 0
	v_mul_lo_u32 v7, v1, s8
	s_add_u32 s2, s2, 8
	v_sub_u32_e32 v7, v5, v7
	s_addc_u32 s3, s3, 0
	s_add_i32 s6, s6, -1
	v_mad_u64_u32 v[10:11], s[8:9], v7, s11, v[10:11]
	s_cmp_lg_u32 s6, 0
	v_mov_b32_e32 v5, v1
	v_mad_u64_u32 v[8:9], s[8:9], v7, s10, v[8:9]
	v_mov_b32_e32 v1, v10
	s_cbranch_scc1 .LBB367_56
.LBB367_57:
	s_cbranch_execnz .LBB367_60
.LBB367_58:
	s_load_dwordx4 s[4:7], s[34:35], 0x4
	s_load_dwordx2 s[2:3], s[34:35], 0xc4
	s_cmp_lt_u32 s33, 2
	s_waitcnt lgkmcnt(0)
	v_mul_hi_u32 v1, s5, v3
	v_add_u32_e32 v1, v3, v1
	v_lshrrev_b32_e32 v1, s6, v1
	v_mul_lo_u32 v5, v1, s4
	v_sub_u32_e32 v3, v3, v5
	v_mul_lo_u32 v10, v3, s3
	v_mul_lo_u32 v8, v3, s2
	s_cbranch_scc1 .LBB367_60
; %bb.59:
	s_load_dwordx4 s[4:7], s[34:35], 0x10
	s_load_dwordx2 s[2:3], s[34:35], 0xcc
	s_waitcnt lgkmcnt(0)
	v_mul_hi_u32 v3, s5, v1
	v_add_u32_e32 v3, v1, v3
	v_lshrrev_b32_e32 v3, s6, v3
	v_mul_lo_u32 v3, v3, s4
	v_sub_u32_e32 v1, v1, v3
	v_mad_u64_u32 v[8:9], s[4:5], v1, s2, v[8:9]
	v_mad_u64_u32 v[10:11], s[2:3], v1, s3, v[10:11]
.LBB367_60:
	s_and_b64 vcc, exec, s[0:1]
	s_cbranch_vccnz .LBB367_66
; %bb.61:
	s_cmp_lg_u32 s33, 0
	s_waitcnt lgkmcnt(0)
	s_mov_b32 s24, 0
	s_cbranch_scc0 .LBB367_67
; %bb.62:
	s_min_u32 s25, s54, 15
	s_add_i32 s25, s25, 1
	s_cmp_eq_u32 s54, 2
	s_cbranch_scc1 .LBB367_68
; %bb.63:
	s_and_b32 s24, s25, 28
	s_add_u32 s20, s34, 0xc4
	s_addc_u32 s21, s35, 0
	s_mov_b32 s26, 0
	v_mov_b32_e32 v12, 0
	v_mov_b32_e32 v14, 0
	s_mov_b64 s[22:23], s[34:35]
	v_mov_b32_e32 v3, v16
.LBB367_64:                             ; =>This Inner Loop Header: Depth=1
	s_load_dwordx8 s[8:15], s[22:23], 0x4
	s_load_dwordx4 s[16:19], s[22:23], 0x24
	s_load_dwordx8 s[0:7], s[20:21], 0x0
	s_add_u32 s22, s22, 48
	s_addc_u32 s23, s23, 0
	s_waitcnt lgkmcnt(0)
	v_mul_hi_u32 v1, s9, v3
	v_add_u32_e32 v1, v3, v1
	v_lshrrev_b32_e32 v1, s10, v1
	v_mul_lo_u32 v5, v1, s8
	v_mul_hi_u32 v7, s12, v1
	v_sub_u32_e32 v3, v3, v5
	v_add_u32_e32 v5, v1, v7
	v_lshrrev_b32_e32 v5, s13, v5
	v_mul_lo_u32 v9, v5, s11
	v_mul_hi_u32 v11, s15, v5
	v_sub_u32_e32 v1, v1, v9
	v_add_u32_e32 v9, v5, v11
	v_mul_lo_u32 v7, v3, s1
	v_mul_lo_u32 v3, v3, s0
	;; [unrolled: 1-line block ×4, first 2 shown]
	v_lshrrev_b32_e32 v9, s16, v9
	v_add3_u32 v1, v3, v12, v1
	v_add3_u32 v7, v7, v14, v11
	v_mul_lo_u32 v3, v9, s14
	v_mul_hi_u32 v11, s18, v9
	v_sub_u32_e32 v3, v5, v3
	v_add_u32_e32 v5, v9, v11
	v_mul_lo_u32 v11, v3, s4
	v_mul_lo_u32 v12, v3, s5
	v_lshrrev_b32_e32 v3, s19, v5
	s_add_i32 s26, s26, 4
	v_mul_lo_u32 v5, v3, s17
	s_add_u32 s20, s20, 32
	v_sub_u32_e32 v5, v9, v5
	s_addc_u32 s21, s21, 0
	v_mul_lo_u32 v9, v5, s6
	v_mul_lo_u32 v5, v5, s7
	s_cmp_lg_u32 s24, s26
	v_add3_u32 v14, v12, v7, v5
	v_add3_u32 v12, v11, v1, v9
	s_cbranch_scc1 .LBB367_64
; %bb.65:
	v_mov_b32_e32 v1, v14
	s_and_b32 s4, s25, 3
	s_cmp_eq_u32 s4, 0
	s_cbranch_scc0 .LBB367_69
	s_branch .LBB367_71
.LBB367_66:
                                        ; implicit-def: $vgpr14
                                        ; implicit-def: $vgpr12
	s_branch .LBB367_72
.LBB367_67:
	v_mov_b32_e32 v14, 0
	v_mov_b32_e32 v12, 0
	s_branch .LBB367_71
.LBB367_68:
	v_mov_b32_e32 v12, 0
                                        ; implicit-def: $vgpr14
	v_mov_b32_e32 v1, v12
	v_mov_b32_e32 v3, v16
	s_and_b32 s4, s25, 3
	s_cmp_eq_u32 s4, 0
	s_cbranch_scc1 .LBB367_71
.LBB367_69:
	s_lshl_b32 s0, s24, 3
	s_add_u32 s0, s34, s0
	s_addc_u32 s1, s35, 0
	s_add_u32 s0, s0, 0xc4
	s_addc_u32 s1, s1, 0
	s_mul_i32 s2, s24, 12
	s_add_u32 s2, s34, s2
	s_addc_u32 s3, s35, 0
.LBB367_70:                             ; =>This Inner Loop Header: Depth=1
	s_load_dwordx2 s[6:7], s[2:3], 0x4
	s_load_dword s5, s[2:3], 0xc
	s_load_dwordx2 s[8:9], s[0:1], 0x0
	v_mov_b32_e32 v14, v1
	s_add_u32 s2, s2, 12
	s_waitcnt lgkmcnt(0)
	v_mul_hi_u32 v1, s7, v3
	v_add_u32_e32 v1, v3, v1
	v_lshrrev_b32_e32 v1, s5, v1
	s_addc_u32 s3, s3, 0
	v_mul_lo_u32 v5, v1, s6
	s_add_u32 s0, s0, 8
	v_sub_u32_e32 v5, v3, v5
	s_addc_u32 s1, s1, 0
	s_add_i32 s4, s4, -1
	v_mad_u64_u32 v[14:15], s[6:7], v5, s9, v[14:15]
	s_cmp_lg_u32 s4, 0
	v_mov_b32_e32 v3, v1
	v_mad_u64_u32 v[12:13], s[6:7], v5, s8, v[12:13]
	v_mov_b32_e32 v1, v14
	s_cbranch_scc1 .LBB367_70
.LBB367_71:
	s_cbranch_execnz .LBB367_74
.LBB367_72:
	s_load_dwordx4 s[0:3], s[34:35], 0x4
	s_load_dwordx2 s[4:5], s[34:35], 0xc4
	s_cmp_lt_u32 s33, 2
	s_waitcnt lgkmcnt(0)
	v_mul_hi_u32 v1, s1, v16
	v_add_u32_e32 v1, v16, v1
	v_lshrrev_b32_e32 v1, s2, v1
	v_mul_lo_u32 v3, v1, s0
	v_sub_u32_e32 v3, v16, v3
	v_mul_lo_u32 v14, v3, s5
	v_mul_lo_u32 v12, v3, s4
	s_cbranch_scc1 .LBB367_74
; %bb.73:
	s_load_dwordx4 s[0:3], s[34:35], 0x10
	s_load_dwordx2 s[4:5], s[34:35], 0xcc
	s_waitcnt lgkmcnt(0)
	v_mul_hi_u32 v3, s1, v1
	v_add_u32_e32 v3, v1, v3
	v_lshrrev_b32_e32 v3, s2, v3
	v_mul_lo_u32 v3, v3, s0
	v_sub_u32_e32 v1, v1, v3
	v_mad_u64_u32 v[12:13], s[0:1], v1, s4, v[12:13]
	v_mad_u64_u32 v[14:15], s[0:1], v1, s5, v[14:15]
.LBB367_74:
	s_load_dwordx4 s[0:3], s[34:35], 0x148
	s_load_dword s4, s[34:35], 0x158
	s_waitcnt lgkmcnt(0)
	global_load_dword v1, v2, s[2:3]
	global_load_dword v3, v6, s[2:3]
	;; [unrolled: 1-line block ×4, first 2 shown]
	s_waitcnt vmcnt(3)
	v_max_i32_e32 v1, s4, v1
	s_waitcnt vmcnt(2)
	v_max_i32_e32 v2, s4, v3
	;; [unrolled: 2-line block ×4, first 2 shown]
	global_store_dword v0, v1, s[0:1]
	global_store_dword v4, v2, s[0:1]
	;; [unrolled: 1-line block ×4, first 2 shown]
	s_endpgm
.LBB367_75:
	v_mov_b32_e32 v2, 0
	v_mov_b32_e32 v0, 0
	s_branch .LBB367_81
.LBB367_76:
	v_mov_b32_e32 v2, 0
	v_mov_b32_e32 v0, 0
	s_branch .LBB367_98
.LBB367_77:
	v_mov_b32_e32 v0, 0
	s_mov_b32 s58, 0
	v_mov_b32_e32 v1, v0
                                        ; implicit-def: $vgpr2
	v_mov_b32_e32 v4, v8
.LBB367_78:
	s_and_b32 s4, s59, 3
	s_cmp_eq_u32 s4, 0
	s_cbranch_scc1 .LBB367_81
; %bb.79:
	s_lshl_b32 s0, s58, 3
	s_add_u32 s0, s34, s0
	s_addc_u32 s1, s35, 0
	s_add_u32 s0, s0, 0xc4
	s_addc_u32 s1, s1, 0
	s_mul_i32 s2, s58, 12
	s_add_u32 s2, s34, s2
	s_addc_u32 s3, s35, 0
.LBB367_80:                             ; =>This Inner Loop Header: Depth=1
	s_load_dwordx2 s[6:7], s[2:3], 0x4
	s_load_dword s5, s[2:3], 0xc
	s_load_dwordx2 s[8:9], s[0:1], 0x0
	v_mov_b32_e32 v2, v1
	s_add_u32 s2, s2, 12
	s_waitcnt lgkmcnt(0)
	v_mul_hi_u32 v1, s7, v4
	v_add_u32_e32 v1, v4, v1
	v_lshrrev_b32_e32 v1, s5, v1
	s_addc_u32 s3, s3, 0
	v_mul_lo_u32 v3, v1, s6
	s_add_u32 s0, s0, 8
	v_sub_u32_e32 v5, v4, v3
	s_addc_u32 s1, s1, 0
	s_add_i32 s4, s4, -1
	v_mov_b32_e32 v4, v1
	v_mad_u64_u32 v[2:3], s[6:7], v5, s9, v[2:3]
	v_mad_u64_u32 v[0:1], s[6:7], v5, s8, v[0:1]
	s_cmp_lg_u32 s4, 0
	v_mov_b32_e32 v1, v2
	s_cbranch_scc1 .LBB367_80
.LBB367_81:
	s_cbranch_execnz .LBB367_84
.LBB367_82:
	s_waitcnt lgkmcnt(0)
	v_mul_hi_u32 v0, s25, v8
	v_add_u32_e32 v0, v8, v0
	v_lshrrev_b32_e32 v1, s26, v0
	v_mul_lo_u32 v0, v1, s24
	v_sub_u32_e32 v0, v8, v0
	v_mul_lo_u32 v2, v0, s21
	s_andn2_b64 vcc, exec, s[42:43]
	v_mul_lo_u32 v0, v0, s20
	s_cbranch_vccnz .LBB367_84
; %bb.83:
	v_mul_hi_u32 v3, s40, v1
	v_add_u32_e32 v3, v1, v3
	v_lshrrev_b32_e32 v3, s41, v3
	v_mul_lo_u32 v3, v3, s27
	v_sub_u32_e32 v3, v1, v3
	v_mad_u64_u32 v[0:1], s[0:1], v3, s22, v[0:1]
	v_mad_u64_u32 v[2:3], s[0:1], v3, s23, v[2:3]
.LBB367_84:
	s_waitcnt lgkmcnt(0)
	global_load_dword v1, v2, s[18:19]
	v_add_u32_e32 v8, 0x80, v8
	s_waitcnt vmcnt(0)
	v_max_i32_e32 v1, s55, v1
	global_store_dword v0, v1, s[16:17]
	s_or_b64 exec, exec, s[48:49]
	v_cmp_gt_i32_e32 vcc, s56, v8
	s_and_saveexec_b64 s[48:49], vcc
	s_cbranch_execnz .LBB367_16
.LBB367_85:
	s_or_b64 exec, exec, s[48:49]
	v_cmp_gt_i32_e32 vcc, s56, v8
	s_and_saveexec_b64 s[48:49], vcc
	s_cbranch_execz .LBB367_102
.LBB367_86:
	s_andn2_b64 vcc, exec, s[36:37]
	s_cbranch_vccnz .LBB367_92
; %bb.87:
	s_andn2_b64 vcc, exec, s[46:47]
	s_cbranch_vccnz .LBB367_93
; %bb.88:
	s_add_i32 s59, s57, 1
	s_cmp_eq_u32 s54, 2
	s_cbranch_scc1 .LBB367_105
; %bb.89:
	s_and_b32 s58, s59, 28
	s_mov_b32 s60, 0
	v_mov_b32_e32 v0, 0
	v_mov_b32_e32 v2, 0
	s_mov_b64 s[50:51], s[34:35]
	s_mov_b64 s[52:53], s[44:45]
	v_mov_b32_e32 v4, v8
.LBB367_90:                             ; =>This Inner Loop Header: Depth=1
	s_load_dwordx8 s[8:15], s[50:51], 0x4
	s_load_dwordx4 s[28:31], s[50:51], 0x24
	s_load_dwordx8 s[0:7], s[52:53], 0x0
	s_add_u32 s50, s50, 48
	s_addc_u32 s51, s51, 0
	s_waitcnt lgkmcnt(0)
	v_mul_hi_u32 v1, s9, v4
	v_add_u32_e32 v1, v4, v1
	v_lshrrev_b32_e32 v1, s10, v1
	v_mul_lo_u32 v3, v1, s8
	v_mul_hi_u32 v5, s12, v1
	v_sub_u32_e32 v3, v4, v3
	v_add_u32_e32 v4, v1, v5
	v_lshrrev_b32_e32 v4, s13, v4
	v_mul_lo_u32 v6, v4, s11
	v_mul_hi_u32 v7, s15, v4
	v_sub_u32_e32 v1, v1, v6
	v_add_u32_e32 v6, v4, v7
	v_mul_lo_u32 v5, v3, s1
	v_mul_lo_u32 v3, v3, s0
	;; [unrolled: 1-line block ×4, first 2 shown]
	v_lshrrev_b32_e32 v6, s28, v6
	v_add3_u32 v0, v3, v0, v1
	v_mul_hi_u32 v3, s30, v6
	v_add3_u32 v1, v5, v2, v7
	v_mul_lo_u32 v2, v6, s14
	v_add_u32_e32 v3, v6, v3
	v_sub_u32_e32 v2, v4, v2
	v_lshrrev_b32_e32 v4, s31, v3
	s_add_i32 s60, s60, 4
	v_mul_lo_u32 v3, v4, s29
	s_add_u32 s52, s52, 32
	v_sub_u32_e32 v3, v6, v3
	s_addc_u32 s53, s53, 0
	v_mul_lo_u32 v5, v2, s4
	v_mul_lo_u32 v2, v2, s5
	;; [unrolled: 1-line block ×4, first 2 shown]
	s_cmp_eq_u32 s58, s60
	v_add3_u32 v2, v2, v1, v3
	v_add3_u32 v0, v5, v0, v6
	s_cbranch_scc0 .LBB367_90
; %bb.91:
	v_mov_b32_e32 v1, v2
	s_branch .LBB367_106
.LBB367_92:
                                        ; implicit-def: $vgpr2
                                        ; implicit-def: $vgpr0
	s_branch .LBB367_110
.LBB367_93:
	v_mov_b32_e32 v2, 0
	v_mov_b32_e32 v0, 0
	s_branch .LBB367_109
.LBB367_94:
	v_mov_b32_e32 v0, 0
	s_mov_b32 s58, 0
	v_mov_b32_e32 v1, v0
                                        ; implicit-def: $vgpr2
	v_mov_b32_e32 v4, v8
.LBB367_95:
	s_and_b32 s4, s59, 3
	s_cmp_eq_u32 s4, 0
	s_cbranch_scc1 .LBB367_98
; %bb.96:
	s_lshl_b32 s0, s58, 3
	s_add_u32 s0, s34, s0
	s_addc_u32 s1, s35, 0
	s_add_u32 s0, s0, 0xc4
	s_addc_u32 s1, s1, 0
	s_mul_i32 s2, s58, 12
	s_add_u32 s2, s34, s2
	s_addc_u32 s3, s35, 0
.LBB367_97:                             ; =>This Inner Loop Header: Depth=1
	s_load_dwordx2 s[6:7], s[2:3], 0x4
	s_load_dword s5, s[2:3], 0xc
	s_load_dwordx2 s[8:9], s[0:1], 0x0
	v_mov_b32_e32 v2, v1
	s_add_u32 s2, s2, 12
	s_waitcnt lgkmcnt(0)
	v_mul_hi_u32 v1, s7, v4
	v_add_u32_e32 v1, v4, v1
	v_lshrrev_b32_e32 v1, s5, v1
	s_addc_u32 s3, s3, 0
	v_mul_lo_u32 v3, v1, s6
	s_add_u32 s0, s0, 8
	v_sub_u32_e32 v5, v4, v3
	s_addc_u32 s1, s1, 0
	s_add_i32 s4, s4, -1
	v_mov_b32_e32 v4, v1
	v_mad_u64_u32 v[2:3], s[6:7], v5, s9, v[2:3]
	v_mad_u64_u32 v[0:1], s[6:7], v5, s8, v[0:1]
	s_cmp_lg_u32 s4, 0
	v_mov_b32_e32 v1, v2
	s_cbranch_scc1 .LBB367_97
.LBB367_98:
	s_cbranch_execnz .LBB367_101
.LBB367_99:
	s_waitcnt lgkmcnt(0)
	v_mul_hi_u32 v0, s25, v8
	v_add_u32_e32 v0, v8, v0
	v_lshrrev_b32_e32 v1, s26, v0
	v_mul_lo_u32 v0, v1, s24
	v_sub_u32_e32 v0, v8, v0
	v_mul_lo_u32 v2, v0, s21
	s_andn2_b64 vcc, exec, s[42:43]
	v_mul_lo_u32 v0, v0, s20
	s_cbranch_vccnz .LBB367_101
; %bb.100:
	v_mul_hi_u32 v3, s40, v1
	v_add_u32_e32 v3, v1, v3
	v_lshrrev_b32_e32 v3, s41, v3
	v_mul_lo_u32 v3, v3, s27
	v_sub_u32_e32 v3, v1, v3
	v_mad_u64_u32 v[0:1], s[0:1], v3, s22, v[0:1]
	v_mad_u64_u32 v[2:3], s[0:1], v3, s23, v[2:3]
.LBB367_101:
	s_waitcnt lgkmcnt(0)
	global_load_dword v1, v2, s[18:19]
	v_add_u32_e32 v8, 0x80, v8
	s_waitcnt vmcnt(0)
	v_max_i32_e32 v1, s55, v1
	global_store_dword v0, v1, s[16:17]
	s_or_b64 exec, exec, s[48:49]
	v_cmp_gt_i32_e32 vcc, s56, v8
	s_and_saveexec_b64 s[48:49], vcc
	s_cbranch_execnz .LBB367_86
.LBB367_102:
	s_or_b64 exec, exec, s[48:49]
	v_cmp_gt_i32_e32 vcc, s56, v8
	s_and_saveexec_b64 s[48:49], vcc
	s_cbranch_execnz .LBB367_113
.LBB367_103:
	s_or_b64 exec, exec, s[48:49]
                                        ; implicit-def: $vgpr16
                                        ; implicit-def: $vgpr8
	s_andn2_saveexec_b64 s[0:1], s[38:39]
	s_cbranch_execnz .LBB367_9
.LBB367_104:
	s_endpgm
.LBB367_105:
	v_mov_b32_e32 v0, 0
	s_mov_b32 s58, 0
	v_mov_b32_e32 v1, v0
                                        ; implicit-def: $vgpr2
	v_mov_b32_e32 v4, v8
.LBB367_106:
	s_and_b32 s4, s59, 3
	s_cmp_eq_u32 s4, 0
	s_cbranch_scc1 .LBB367_109
; %bb.107:
	s_lshl_b32 s0, s58, 3
	s_add_u32 s0, s34, s0
	s_addc_u32 s1, s35, 0
	s_add_u32 s0, s0, 0xc4
	s_addc_u32 s1, s1, 0
	s_mul_i32 s2, s58, 12
	s_add_u32 s2, s34, s2
	s_addc_u32 s3, s35, 0
.LBB367_108:                            ; =>This Inner Loop Header: Depth=1
	s_load_dwordx2 s[6:7], s[2:3], 0x4
	s_load_dword s5, s[2:3], 0xc
	s_load_dwordx2 s[8:9], s[0:1], 0x0
	v_mov_b32_e32 v2, v1
	s_add_u32 s2, s2, 12
	s_waitcnt lgkmcnt(0)
	v_mul_hi_u32 v1, s7, v4
	v_add_u32_e32 v1, v4, v1
	v_lshrrev_b32_e32 v1, s5, v1
	s_addc_u32 s3, s3, 0
	v_mul_lo_u32 v3, v1, s6
	s_add_u32 s0, s0, 8
	v_sub_u32_e32 v5, v4, v3
	s_addc_u32 s1, s1, 0
	s_add_i32 s4, s4, -1
	v_mov_b32_e32 v4, v1
	v_mad_u64_u32 v[2:3], s[6:7], v5, s9, v[2:3]
	v_mad_u64_u32 v[0:1], s[6:7], v5, s8, v[0:1]
	s_cmp_lg_u32 s4, 0
	v_mov_b32_e32 v1, v2
	s_cbranch_scc1 .LBB367_108
.LBB367_109:
	s_cbranch_execnz .LBB367_112
.LBB367_110:
	s_waitcnt lgkmcnt(0)
	v_mul_hi_u32 v0, s25, v8
	v_add_u32_e32 v0, v8, v0
	v_lshrrev_b32_e32 v1, s26, v0
	v_mul_lo_u32 v0, v1, s24
	v_sub_u32_e32 v0, v8, v0
	v_mul_lo_u32 v2, v0, s21
	s_andn2_b64 vcc, exec, s[42:43]
	v_mul_lo_u32 v0, v0, s20
	s_cbranch_vccnz .LBB367_112
; %bb.111:
	v_mul_hi_u32 v3, s40, v1
	v_add_u32_e32 v3, v1, v3
	v_lshrrev_b32_e32 v3, s41, v3
	v_mul_lo_u32 v3, v3, s27
	v_sub_u32_e32 v3, v1, v3
	v_mad_u64_u32 v[0:1], s[0:1], v3, s22, v[0:1]
	v_mad_u64_u32 v[2:3], s[0:1], v3, s23, v[2:3]
.LBB367_112:
	s_waitcnt lgkmcnt(0)
	global_load_dword v1, v2, s[18:19]
	v_add_u32_e32 v8, 0x80, v8
	s_waitcnt vmcnt(0)
	v_max_i32_e32 v1, s55, v1
	global_store_dword v0, v1, s[16:17]
	s_or_b64 exec, exec, s[48:49]
	v_cmp_gt_i32_e32 vcc, s56, v8
	s_and_saveexec_b64 s[48:49], vcc
	s_cbranch_execz .LBB367_103
.LBB367_113:
	s_andn2_b64 vcc, exec, s[36:37]
	s_cbranch_vccnz .LBB367_119
; %bb.114:
	s_andn2_b64 vcc, exec, s[46:47]
	s_cbranch_vccnz .LBB367_120
; %bb.115:
	s_add_i32 s57, s57, 1
	s_cmp_eq_u32 s54, 2
	s_cbranch_scc1 .LBB367_121
; %bb.116:
	s_and_b32 s50, s57, 28
	s_mov_b32 s51, 0
	v_mov_b32_e32 v0, 0
	v_mov_b32_e32 v2, 0
	s_mov_b64 s[46:47], s[34:35]
	v_mov_b32_e32 v4, v8
.LBB367_117:                            ; =>This Inner Loop Header: Depth=1
	s_load_dwordx8 s[8:15], s[46:47], 0x4
	s_load_dwordx4 s[28:31], s[46:47], 0x24
	s_load_dwordx8 s[0:7], s[44:45], 0x0
	s_add_u32 s46, s46, 48
	s_addc_u32 s47, s47, 0
	s_waitcnt lgkmcnt(0)
	v_mul_hi_u32 v1, s9, v4
	v_add_u32_e32 v1, v4, v1
	v_lshrrev_b32_e32 v1, s10, v1
	v_mul_lo_u32 v3, v1, s8
	v_mul_hi_u32 v5, s12, v1
	v_sub_u32_e32 v3, v4, v3
	v_add_u32_e32 v4, v1, v5
	v_lshrrev_b32_e32 v4, s13, v4
	v_mul_lo_u32 v6, v4, s11
	v_mul_hi_u32 v7, s15, v4
	v_sub_u32_e32 v1, v1, v6
	v_add_u32_e32 v6, v4, v7
	v_mul_lo_u32 v5, v3, s1
	v_mul_lo_u32 v3, v3, s0
	;; [unrolled: 1-line block ×4, first 2 shown]
	v_lshrrev_b32_e32 v6, s28, v6
	v_add3_u32 v0, v3, v0, v1
	v_mul_hi_u32 v3, s30, v6
	v_add3_u32 v1, v5, v2, v7
	v_mul_lo_u32 v2, v6, s14
	v_add_u32_e32 v3, v6, v3
	v_sub_u32_e32 v2, v4, v2
	v_lshrrev_b32_e32 v4, s31, v3
	s_add_i32 s51, s51, 4
	v_mul_lo_u32 v3, v4, s29
	s_add_u32 s44, s44, 32
	v_sub_u32_e32 v3, v6, v3
	s_addc_u32 s45, s45, 0
	v_mul_lo_u32 v5, v2, s4
	v_mul_lo_u32 v2, v2, s5
	;; [unrolled: 1-line block ×4, first 2 shown]
	s_cmp_eq_u32 s50, s51
	v_add3_u32 v2, v2, v1, v3
	v_add3_u32 v0, v5, v0, v6
	s_cbranch_scc0 .LBB367_117
; %bb.118:
	v_mov_b32_e32 v1, v2
	s_branch .LBB367_122
.LBB367_119:
                                        ; implicit-def: $vgpr2
                                        ; implicit-def: $vgpr0
	s_branch .LBB367_126
.LBB367_120:
	v_mov_b32_e32 v2, 0
	v_mov_b32_e32 v0, 0
	s_branch .LBB367_125
.LBB367_121:
	v_mov_b32_e32 v0, 0
	s_mov_b32 s50, 0
	v_mov_b32_e32 v1, v0
                                        ; implicit-def: $vgpr2
	v_mov_b32_e32 v4, v8
.LBB367_122:
	s_and_b32 s4, s57, 3
	s_cmp_eq_u32 s4, 0
	s_cbranch_scc1 .LBB367_125
; %bb.123:
	s_lshl_b32 s0, s50, 3
	s_add_u32 s0, s34, s0
	s_addc_u32 s1, s35, 0
	s_add_u32 s0, s0, 0xc4
	s_addc_u32 s1, s1, 0
	s_mul_i32 s2, s50, 12
	s_add_u32 s2, s34, s2
	s_addc_u32 s3, s35, 0
.LBB367_124:                            ; =>This Inner Loop Header: Depth=1
	s_load_dwordx2 s[6:7], s[2:3], 0x4
	s_load_dword s5, s[2:3], 0xc
	s_load_dwordx2 s[8:9], s[0:1], 0x0
	v_mov_b32_e32 v2, v1
	s_add_u32 s2, s2, 12
	s_waitcnt lgkmcnt(0)
	v_mul_hi_u32 v1, s7, v4
	v_add_u32_e32 v1, v4, v1
	v_lshrrev_b32_e32 v1, s5, v1
	s_addc_u32 s3, s3, 0
	v_mul_lo_u32 v3, v1, s6
	s_add_u32 s0, s0, 8
	v_sub_u32_e32 v5, v4, v3
	s_addc_u32 s1, s1, 0
	s_add_i32 s4, s4, -1
	v_mov_b32_e32 v4, v1
	v_mad_u64_u32 v[2:3], s[6:7], v5, s9, v[2:3]
	v_mad_u64_u32 v[0:1], s[6:7], v5, s8, v[0:1]
	s_cmp_lg_u32 s4, 0
	v_mov_b32_e32 v1, v2
	s_cbranch_scc1 .LBB367_124
.LBB367_125:
	s_cbranch_execnz .LBB367_128
.LBB367_126:
	s_waitcnt lgkmcnt(0)
	v_mul_hi_u32 v0, s25, v8
	v_add_u32_e32 v0, v8, v0
	v_lshrrev_b32_e32 v1, s26, v0
	v_mul_lo_u32 v0, v1, s24
	v_sub_u32_e32 v0, v8, v0
	v_mul_lo_u32 v2, v0, s21
	s_andn2_b64 vcc, exec, s[42:43]
	v_mul_lo_u32 v0, v0, s20
	s_cbranch_vccnz .LBB367_128
; %bb.127:
	v_mul_hi_u32 v3, s40, v1
	v_add_u32_e32 v3, v1, v3
	v_lshrrev_b32_e32 v3, s41, v3
	v_mul_lo_u32 v3, v3, s27
	v_sub_u32_e32 v3, v1, v3
	v_mad_u64_u32 v[0:1], s[0:1], v3, s22, v[0:1]
	v_mad_u64_u32 v[2:3], s[0:1], v3, s23, v[2:3]
.LBB367_128:
	s_waitcnt lgkmcnt(0)
	global_load_dword v1, v2, s[18:19]
	s_waitcnt vmcnt(0)
	v_max_i32_e32 v1, s55, v1
	global_store_dword v0, v1, s[16:17]
	s_or_b64 exec, exec, s[48:49]
                                        ; implicit-def: $vgpr16
                                        ; implicit-def: $vgpr8
	s_andn2_saveexec_b64 s[0:1], s[38:39]
	s_cbranch_execz .LBB367_104
	s_branch .LBB367_9
	.section	.rodata,"a",@progbits
	.p2align	6, 0x0
	.amdhsa_kernel _ZN2at6native32elementwise_kernel_manual_unrollILi128ELi4EZNS0_22gpu_kernel_impl_nocastIZZZNS0_21clamp_min_kernel_cudaERNS_18TensorIteratorBaseERKN3c106ScalarEENKUlvE_clEvENKUlvE1_clEvEUliE_EEvS4_RKT_EUlibE_EEviT1_
		.amdhsa_group_segment_fixed_size 0
		.amdhsa_private_segment_fixed_size 0
		.amdhsa_kernarg_size 360
		.amdhsa_user_sgpr_count 2
		.amdhsa_user_sgpr_dispatch_ptr 0
		.amdhsa_user_sgpr_queue_ptr 0
		.amdhsa_user_sgpr_kernarg_segment_ptr 1
		.amdhsa_user_sgpr_dispatch_id 0
		.amdhsa_user_sgpr_kernarg_preload_length 0
		.amdhsa_user_sgpr_kernarg_preload_offset 0
		.amdhsa_user_sgpr_private_segment_size 0
		.amdhsa_uses_dynamic_stack 0
		.amdhsa_enable_private_segment 0
		.amdhsa_system_sgpr_workgroup_id_x 1
		.amdhsa_system_sgpr_workgroup_id_y 0
		.amdhsa_system_sgpr_workgroup_id_z 0
		.amdhsa_system_sgpr_workgroup_info 0
		.amdhsa_system_vgpr_workitem_id 0
		.amdhsa_next_free_vgpr 17
		.amdhsa_next_free_sgpr 61
		.amdhsa_accum_offset 20
		.amdhsa_reserve_vcc 1
		.amdhsa_float_round_mode_32 0
		.amdhsa_float_round_mode_16_64 0
		.amdhsa_float_denorm_mode_32 3
		.amdhsa_float_denorm_mode_16_64 3
		.amdhsa_dx10_clamp 1
		.amdhsa_ieee_mode 1
		.amdhsa_fp16_overflow 0
		.amdhsa_tg_split 0
		.amdhsa_exception_fp_ieee_invalid_op 0
		.amdhsa_exception_fp_denorm_src 0
		.amdhsa_exception_fp_ieee_div_zero 0
		.amdhsa_exception_fp_ieee_overflow 0
		.amdhsa_exception_fp_ieee_underflow 0
		.amdhsa_exception_fp_ieee_inexact 0
		.amdhsa_exception_int_div_zero 0
	.end_amdhsa_kernel
	.section	.text._ZN2at6native32elementwise_kernel_manual_unrollILi128ELi4EZNS0_22gpu_kernel_impl_nocastIZZZNS0_21clamp_min_kernel_cudaERNS_18TensorIteratorBaseERKN3c106ScalarEENKUlvE_clEvENKUlvE1_clEvEUliE_EEvS4_RKT_EUlibE_EEviT1_,"axG",@progbits,_ZN2at6native32elementwise_kernel_manual_unrollILi128ELi4EZNS0_22gpu_kernel_impl_nocastIZZZNS0_21clamp_min_kernel_cudaERNS_18TensorIteratorBaseERKN3c106ScalarEENKUlvE_clEvENKUlvE1_clEvEUliE_EEvS4_RKT_EUlibE_EEviT1_,comdat
.Lfunc_end367:
	.size	_ZN2at6native32elementwise_kernel_manual_unrollILi128ELi4EZNS0_22gpu_kernel_impl_nocastIZZZNS0_21clamp_min_kernel_cudaERNS_18TensorIteratorBaseERKN3c106ScalarEENKUlvE_clEvENKUlvE1_clEvEUliE_EEvS4_RKT_EUlibE_EEviT1_, .Lfunc_end367-_ZN2at6native32elementwise_kernel_manual_unrollILi128ELi4EZNS0_22gpu_kernel_impl_nocastIZZZNS0_21clamp_min_kernel_cudaERNS_18TensorIteratorBaseERKN3c106ScalarEENKUlvE_clEvENKUlvE1_clEvEUliE_EEvS4_RKT_EUlibE_EEviT1_
                                        ; -- End function
	.set _ZN2at6native32elementwise_kernel_manual_unrollILi128ELi4EZNS0_22gpu_kernel_impl_nocastIZZZNS0_21clamp_min_kernel_cudaERNS_18TensorIteratorBaseERKN3c106ScalarEENKUlvE_clEvENKUlvE1_clEvEUliE_EEvS4_RKT_EUlibE_EEviT1_.num_vgpr, 17
	.set _ZN2at6native32elementwise_kernel_manual_unrollILi128ELi4EZNS0_22gpu_kernel_impl_nocastIZZZNS0_21clamp_min_kernel_cudaERNS_18TensorIteratorBaseERKN3c106ScalarEENKUlvE_clEvENKUlvE1_clEvEUliE_EEvS4_RKT_EUlibE_EEviT1_.num_agpr, 0
	.set _ZN2at6native32elementwise_kernel_manual_unrollILi128ELi4EZNS0_22gpu_kernel_impl_nocastIZZZNS0_21clamp_min_kernel_cudaERNS_18TensorIteratorBaseERKN3c106ScalarEENKUlvE_clEvENKUlvE1_clEvEUliE_EEvS4_RKT_EUlibE_EEviT1_.numbered_sgpr, 61
	.set _ZN2at6native32elementwise_kernel_manual_unrollILi128ELi4EZNS0_22gpu_kernel_impl_nocastIZZZNS0_21clamp_min_kernel_cudaERNS_18TensorIteratorBaseERKN3c106ScalarEENKUlvE_clEvENKUlvE1_clEvEUliE_EEvS4_RKT_EUlibE_EEviT1_.num_named_barrier, 0
	.set _ZN2at6native32elementwise_kernel_manual_unrollILi128ELi4EZNS0_22gpu_kernel_impl_nocastIZZZNS0_21clamp_min_kernel_cudaERNS_18TensorIteratorBaseERKN3c106ScalarEENKUlvE_clEvENKUlvE1_clEvEUliE_EEvS4_RKT_EUlibE_EEviT1_.private_seg_size, 0
	.set _ZN2at6native32elementwise_kernel_manual_unrollILi128ELi4EZNS0_22gpu_kernel_impl_nocastIZZZNS0_21clamp_min_kernel_cudaERNS_18TensorIteratorBaseERKN3c106ScalarEENKUlvE_clEvENKUlvE1_clEvEUliE_EEvS4_RKT_EUlibE_EEviT1_.uses_vcc, 1
	.set _ZN2at6native32elementwise_kernel_manual_unrollILi128ELi4EZNS0_22gpu_kernel_impl_nocastIZZZNS0_21clamp_min_kernel_cudaERNS_18TensorIteratorBaseERKN3c106ScalarEENKUlvE_clEvENKUlvE1_clEvEUliE_EEvS4_RKT_EUlibE_EEviT1_.uses_flat_scratch, 0
	.set _ZN2at6native32elementwise_kernel_manual_unrollILi128ELi4EZNS0_22gpu_kernel_impl_nocastIZZZNS0_21clamp_min_kernel_cudaERNS_18TensorIteratorBaseERKN3c106ScalarEENKUlvE_clEvENKUlvE1_clEvEUliE_EEvS4_RKT_EUlibE_EEviT1_.has_dyn_sized_stack, 0
	.set _ZN2at6native32elementwise_kernel_manual_unrollILi128ELi4EZNS0_22gpu_kernel_impl_nocastIZZZNS0_21clamp_min_kernel_cudaERNS_18TensorIteratorBaseERKN3c106ScalarEENKUlvE_clEvENKUlvE1_clEvEUliE_EEvS4_RKT_EUlibE_EEviT1_.has_recursion, 0
	.set _ZN2at6native32elementwise_kernel_manual_unrollILi128ELi4EZNS0_22gpu_kernel_impl_nocastIZZZNS0_21clamp_min_kernel_cudaERNS_18TensorIteratorBaseERKN3c106ScalarEENKUlvE_clEvENKUlvE1_clEvEUliE_EEvS4_RKT_EUlibE_EEviT1_.has_indirect_call, 0
	.section	.AMDGPU.csdata,"",@progbits
; Kernel info:
; codeLenInByte = 5824
; TotalNumSgprs: 67
; NumVgprs: 17
; NumAgprs: 0
; TotalNumVgprs: 17
; ScratchSize: 0
; MemoryBound: 0
; FloatMode: 240
; IeeeMode: 1
; LDSByteSize: 0 bytes/workgroup (compile time only)
; SGPRBlocks: 8
; VGPRBlocks: 2
; NumSGPRsForWavesPerEU: 67
; NumVGPRsForWavesPerEU: 17
; AccumOffset: 20
; Occupancy: 8
; WaveLimiterHint : 1
; COMPUTE_PGM_RSRC2:SCRATCH_EN: 0
; COMPUTE_PGM_RSRC2:USER_SGPR: 2
; COMPUTE_PGM_RSRC2:TRAP_HANDLER: 0
; COMPUTE_PGM_RSRC2:TGID_X_EN: 1
; COMPUTE_PGM_RSRC2:TGID_Y_EN: 0
; COMPUTE_PGM_RSRC2:TGID_Z_EN: 0
; COMPUTE_PGM_RSRC2:TIDIG_COMP_CNT: 0
; COMPUTE_PGM_RSRC3_GFX90A:ACCUM_OFFSET: 4
; COMPUTE_PGM_RSRC3_GFX90A:TG_SPLIT: 0
	.section	.text._ZN2at6native32elementwise_kernel_manual_unrollILi128ELi4EZNS0_15gpu_kernel_implIZZZNS0_21clamp_min_kernel_cudaERNS_18TensorIteratorBaseERKN3c106ScalarEENKUlvE_clEvENKUlvE1_clEvEUliE_EEvS4_RKT_EUlibE_EEviT1_,"axG",@progbits,_ZN2at6native32elementwise_kernel_manual_unrollILi128ELi4EZNS0_15gpu_kernel_implIZZZNS0_21clamp_min_kernel_cudaERNS_18TensorIteratorBaseERKN3c106ScalarEENKUlvE_clEvENKUlvE1_clEvEUliE_EEvS4_RKT_EUlibE_EEviT1_,comdat
	.globl	_ZN2at6native32elementwise_kernel_manual_unrollILi128ELi4EZNS0_15gpu_kernel_implIZZZNS0_21clamp_min_kernel_cudaERNS_18TensorIteratorBaseERKN3c106ScalarEENKUlvE_clEvENKUlvE1_clEvEUliE_EEvS4_RKT_EUlibE_EEviT1_ ; -- Begin function _ZN2at6native32elementwise_kernel_manual_unrollILi128ELi4EZNS0_15gpu_kernel_implIZZZNS0_21clamp_min_kernel_cudaERNS_18TensorIteratorBaseERKN3c106ScalarEENKUlvE_clEvENKUlvE1_clEvEUliE_EEvS4_RKT_EUlibE_EEviT1_
	.p2align	8
	.type	_ZN2at6native32elementwise_kernel_manual_unrollILi128ELi4EZNS0_15gpu_kernel_implIZZZNS0_21clamp_min_kernel_cudaERNS_18TensorIteratorBaseERKN3c106ScalarEENKUlvE_clEvENKUlvE1_clEvEUliE_EEvS4_RKT_EUlibE_EEviT1_,@function
_ZN2at6native32elementwise_kernel_manual_unrollILi128ELi4EZNS0_15gpu_kernel_implIZZZNS0_21clamp_min_kernel_cudaERNS_18TensorIteratorBaseERKN3c106ScalarEENKUlvE_clEvENKUlvE1_clEvEUliE_EEvS4_RKT_EUlibE_EEviT1_: ; @_ZN2at6native32elementwise_kernel_manual_unrollILi128ELi4EZNS0_15gpu_kernel_implIZZZNS0_21clamp_min_kernel_cudaERNS_18TensorIteratorBaseERKN3c106ScalarEENKUlvE_clEvENKUlvE1_clEvEUliE_EEvS4_RKT_EUlibE_EEviT1_
; %bb.0:
	s_load_dword s33, s[0:1], 0x24
	s_load_dword s40, s[0:1], 0x0
	s_load_dwordx8 s[4:11], s[0:1], 0x8
	v_lshl_or_b32 v4, s2, 9, v0
	v_or_b32_e32 v0, 0x180, v4
	s_waitcnt lgkmcnt(0)
	s_bfe_u32 s11, s33, 0x80008
	v_cmp_le_i32_e32 vcc, s40, v0
	s_mov_b64 s[2:3], 0
	s_mov_b64 s[14:15], 0
	s_and_saveexec_b64 s[0:1], vcc
	s_xor_b64 s[12:13], exec, s[0:1]
	s_cbranch_execz .LBB368_1011
; %bb.1:
	v_cmp_gt_i32_e32 vcc, s40, v4
	s_mov_b64 s[20:21], -1
	s_mov_b64 s[22:23], 0
	s_mov_b64 s[16:17], 0
	s_and_saveexec_b64 s[18:19], vcc
	s_cbranch_execz .LBB368_248
; %bb.2:
	v_mul_lo_u32 v0, v4, s9
	v_ashrrev_i32_e32 v1, 31, v0
	s_and_b32 s20, 0xffff, s11
	s_cmp_lt_i32 s20, 11
	v_lshl_add_u64 v[0:1], s[6:7], 0, v[0:1]
	s_cbranch_scc1 .LBB368_9
; %bb.3:
	s_cmp_gt_i32 s20, 25
	s_cbranch_scc0 .LBB368_18
; %bb.4:
	s_cmp_gt_i32 s20, 28
	s_cbranch_scc0 .LBB368_22
	;; [unrolled: 3-line block ×4, first 2 shown]
; %bb.7:
	s_cmp_eq_u32 s20, 46
	s_cbranch_scc0 .LBB368_28
; %bb.8:
	global_load_dword v2, v[0:1], off
	s_mov_b64 s[0:1], -1
	s_waitcnt vmcnt(0)
	v_lshlrev_b32_e32 v2, 16, v2
	v_cvt_i32_f32_e32 v2, v2
	s_branch .LBB368_30
.LBB368_9:
                                        ; implicit-def: $vgpr2
	s_mov_b64 s[0:1], 0
	s_cbranch_execnz .LBB368_199
.LBB368_10:
	s_andn2_b64 vcc, exec, s[0:1]
	s_cbranch_vccnz .LBB368_246
.LBB368_11:
	s_waitcnt vmcnt(0)
	v_max_i32_e32 v0, s10, v2
	v_mul_lo_u32 v2, v4, s8
	v_ashrrev_i32_e32 v3, 31, v2
	s_and_b32 s26, s33, 0xff
	s_cmp_lt_i32 s26, 11
	v_lshl_add_u64 v[2:3], s[4:5], 0, v[2:3]
	s_cbranch_scc1 .LBB368_19
; %bb.12:
	s_and_b32 s27, 0xffff, s26
	s_cmp_gt_i32 s27, 25
	s_cbranch_scc0 .LBB368_23
; %bb.13:
	s_cmp_gt_i32 s27, 28
	s_cbranch_scc0 .LBB368_25
; %bb.14:
	;; [unrolled: 3-line block ×4, first 2 shown]
	s_mov_b64 s[20:21], 0
	s_mov_b64 s[0:1], -1
	s_cmp_eq_u32 s27, 46
	s_mov_b64 s[14:15], 0
	s_cbranch_scc0 .LBB368_34
; %bb.17:
	v_cvt_f32_i32_e32 v1, v0
	s_movk_i32 s0, 0x7fff
	s_mov_b64 s[14:15], -1
	v_bfe_u32 v5, v1, 16, 1
	v_add3_u32 v1, v1, v5, s0
	v_lshrrev_b32_e32 v1, 16, v1
	global_store_dword v[2:3], v1, off
	s_mov_b64 s[0:1], 0
	s_branch .LBB368_34
.LBB368_18:
	s_mov_b64 s[0:1], 0
                                        ; implicit-def: $vgpr2
	s_cbranch_execnz .LBB368_166
	s_branch .LBB368_198
.LBB368_19:
	s_mov_b64 s[0:1], 0
	s_mov_b64 s[14:15], 0
	s_cbranch_execnz .LBB368_103
.LBB368_20:
	s_andn2_b64 vcc, exec, s[14:15]
	s_cbranch_vccnz .LBB368_141
.LBB368_21:
	v_add_u32_e32 v4, 0x80, v4
	s_mov_b64 s[20:21], -1
	s_branch .LBB368_247
.LBB368_22:
	s_mov_b64 s[14:15], -1
	s_mov_b64 s[0:1], 0
                                        ; implicit-def: $vgpr2
	s_branch .LBB368_149
.LBB368_23:
	s_mov_b64 s[20:21], -1
	s_mov_b64 s[0:1], 0
	s_mov_b64 s[14:15], 0
	s_branch .LBB368_61
.LBB368_24:
	s_mov_b64 s[14:15], -1
	s_mov_b64 s[0:1], 0
                                        ; implicit-def: $vgpr2
	s_branch .LBB368_144
.LBB368_25:
	s_mov_b64 s[20:21], -1
	s_mov_b64 s[0:1], 0
	s_mov_b64 s[14:15], 0
	s_branch .LBB368_44
.LBB368_26:
	s_mov_b64 s[14:15], -1
	s_branch .LBB368_29
.LBB368_27:
	s_mov_b64 s[20:21], -1
	s_mov_b64 s[0:1], 0
	s_mov_b64 s[14:15], 0
	s_branch .LBB368_40
.LBB368_28:
	s_mov_b64 s[16:17], -1
.LBB368_29:
	s_mov_b64 s[0:1], 0
                                        ; implicit-def: $vgpr2
.LBB368_30:
	s_and_b64 vcc, exec, s[14:15]
	s_cbranch_vccz .LBB368_143
; %bb.31:
	s_cmp_eq_u32 s20, 44
	s_cbranch_scc0 .LBB368_142
; %bb.32:
	global_load_ubyte v2, v[0:1], off
	s_mov_b64 s[0:1], -1
	s_mov_b64 s[16:17], 0
	s_waitcnt vmcnt(0)
	v_lshlrev_b32_e32 v3, 23, v2
	v_cvt_i32_f32_e32 v3, v3
	v_cmp_ne_u32_e32 vcc, 0, v2
	s_nop 1
	v_cndmask_b32_e32 v2, 0, v3, vcc
	s_branch .LBB368_143
.LBB368_33:
	s_mov_b64 s[20:21], -1
	s_mov_b64 s[0:1], 0
	s_mov_b64 s[14:15], 0
.LBB368_34:
	s_and_b64 vcc, exec, s[20:21]
	s_cbranch_vccz .LBB368_39
; %bb.35:
	s_cmp_eq_u32 s27, 44
	s_mov_b64 s[0:1], -1
	s_cbranch_scc0 .LBB368_39
; %bb.36:
	v_cvt_f32_i32_e32 v1, v0
	s_movk_i32 s0, 0xff
	v_mov_b32_e32 v6, 0xff
	v_bfe_u32 v5, v1, 23, 8
	v_cmp_ne_u32_e32 vcc, s0, v5
	s_and_saveexec_b64 s[14:15], vcc
; %bb.37:
	s_mov_b32 s0, 0x3fffff
	v_lshrrev_b32_e32 v6, 23, v1
	v_and_b32_e32 v7, 0x400000, v1
	v_and_or_b32 v1, v1, s0, v5
	v_cmp_ne_u32_e32 vcc, 0, v7
	v_cmp_ne_u32_e64 s[0:1], 0, v1
	s_and_b64 s[0:1], vcc, s[0:1]
	s_nop 0
	v_cndmask_b32_e64 v1, 0, 1, s[0:1]
	v_add_u32_e32 v6, v6, v1
; %bb.38:
	s_or_b64 exec, exec, s[14:15]
	s_mov_b64 s[14:15], -1
	s_mov_b64 s[0:1], 0
	global_store_byte v[2:3], v6, off
.LBB368_39:
	s_mov_b64 s[20:21], 0
.LBB368_40:
	s_and_b64 vcc, exec, s[20:21]
	s_cbranch_vccz .LBB368_43
; %bb.41:
	s_cmp_eq_u32 s27, 29
	s_mov_b64 s[0:1], -1
	s_cbranch_scc0 .LBB368_43
; %bb.42:
	v_ashrrev_i32_e32 v1, 31, v0
	global_store_dwordx2 v[2:3], v[0:1], off
	s_mov_b64 s[14:15], -1
	s_mov_b64 s[0:1], 0
.LBB368_43:
	s_mov_b64 s[20:21], 0
.LBB368_44:
	s_and_b64 vcc, exec, s[20:21]
	s_cbranch_vccz .LBB368_60
; %bb.45:
	s_cmp_lt_i32 s27, 27
	s_mov_b64 s[14:15], -1
	s_cbranch_scc1 .LBB368_51
; %bb.46:
	s_cmp_gt_i32 s27, 27
	s_cbranch_scc0 .LBB368_48
; %bb.47:
	s_mov_b64 s[14:15], 0
	global_store_dword v[2:3], v0, off
.LBB368_48:
	s_andn2_b64 vcc, exec, s[14:15]
	s_cbranch_vccnz .LBB368_50
; %bb.49:
	global_store_short v[2:3], v0, off
.LBB368_50:
	s_mov_b64 s[14:15], 0
.LBB368_51:
	s_andn2_b64 vcc, exec, s[14:15]
	s_cbranch_vccnz .LBB368_59
; %bb.52:
	v_cvt_f32_i32_e32 v1, v0
	s_mov_b32 s14, 0x43800000
	v_mov_b32_e32 v6, 0x80
	v_and_b32_e32 v5, 0x7fffffff, v1
	v_cmp_gt_u32_e32 vcc, s14, v5
	s_and_saveexec_b64 s[14:15], vcc
	s_cbranch_execz .LBB368_58
; %bb.53:
	s_mov_b32 s20, 0x3bffffff
	v_cmp_lt_u32_e32 vcc, s20, v5
	s_mov_b64 s[20:21], 0
                                        ; implicit-def: $vgpr5
	s_and_saveexec_b64 s[24:25], vcc
	s_xor_b64 s[24:25], exec, s[24:25]
	s_cbranch_execz .LBB368_275
; %bb.54:
	v_bfe_u32 v5, v1, 20, 1
	s_mov_b32 s28, 0x487ffff
	v_add3_u32 v5, v1, v5, s28
	s_mov_b64 s[20:21], exec
	v_lshrrev_b32_e32 v5, 20, v5
	s_andn2_saveexec_b64 s[24:25], s[24:25]
	s_cbranch_execnz .LBB368_276
.LBB368_55:
	s_or_b64 exec, exec, s[24:25]
	v_mov_b32_e32 v6, 0
	s_and_saveexec_b64 s[24:25], s[20:21]
.LBB368_56:
	v_lshrrev_b32_e32 v1, 24, v1
	s_movk_i32 s20, 0x80
	v_and_or_b32 v6, v1, s20, v5
.LBB368_57:
	s_or_b64 exec, exec, s[24:25]
.LBB368_58:
	s_or_b64 exec, exec, s[14:15]
	global_store_byte v[2:3], v6, off
.LBB368_59:
	s_mov_b64 s[14:15], -1
.LBB368_60:
	s_mov_b64 s[20:21], 0
.LBB368_61:
	s_and_b64 vcc, exec, s[20:21]
	s_cbranch_vccz .LBB368_102
; %bb.62:
	s_cmp_gt_i32 s27, 22
	s_mov_b64 s[20:21], -1
	s_cbranch_scc0 .LBB368_94
; %bb.63:
	s_cmp_lt_i32 s27, 24
	s_mov_b64 s[14:15], -1
	s_cbranch_scc1 .LBB368_83
; %bb.64:
	s_cmp_gt_i32 s27, 24
	s_cbranch_scc0 .LBB368_72
; %bb.65:
	v_cvt_f32_i32_e32 v1, v0
	s_mov_b32 s14, 0x47800000
	v_mov_b32_e32 v6, 0x80
	v_and_b32_e32 v5, 0x7fffffff, v1
	v_cmp_gt_u32_e32 vcc, s14, v5
	s_and_saveexec_b64 s[14:15], vcc
	s_cbranch_execz .LBB368_71
; %bb.66:
	s_mov_b32 s20, 0x37ffffff
	v_cmp_lt_u32_e32 vcc, s20, v5
	s_mov_b64 s[20:21], 0
                                        ; implicit-def: $vgpr5
	s_and_saveexec_b64 s[24:25], vcc
	s_xor_b64 s[24:25], exec, s[24:25]
	s_cbranch_execz .LBB368_279
; %bb.67:
	v_bfe_u32 v5, v1, 21, 1
	s_mov_b32 s28, 0x88fffff
	v_add3_u32 v5, v1, v5, s28
	s_mov_b64 s[20:21], exec
	v_lshrrev_b32_e32 v5, 21, v5
	s_andn2_saveexec_b64 s[24:25], s[24:25]
	s_cbranch_execnz .LBB368_280
.LBB368_68:
	s_or_b64 exec, exec, s[24:25]
	v_mov_b32_e32 v6, 0
	s_and_saveexec_b64 s[24:25], s[20:21]
.LBB368_69:
	v_lshrrev_b32_e32 v1, 24, v1
	s_movk_i32 s20, 0x80
	v_and_or_b32 v6, v1, s20, v5
.LBB368_70:
	s_or_b64 exec, exec, s[24:25]
.LBB368_71:
	s_or_b64 exec, exec, s[14:15]
	s_mov_b64 s[14:15], 0
	global_store_byte v[2:3], v6, off
.LBB368_72:
	s_and_b64 vcc, exec, s[14:15]
	s_cbranch_vccz .LBB368_82
; %bb.73:
	v_cvt_f32_i32_e32 v1, v0
	s_mov_b32 s14, 0x43f00000
                                        ; implicit-def: $vgpr5
	v_and_b32_e32 v6, 0x7fffffff, v1
	v_cmp_gt_u32_e32 vcc, s14, v6
	s_and_saveexec_b64 s[14:15], vcc
	s_xor_b64 s[14:15], exec, s[14:15]
	s_cbranch_execz .LBB368_79
; %bb.74:
	s_mov_b32 s20, 0x3c7fffff
	v_cmp_lt_u32_e32 vcc, s20, v6
                                        ; implicit-def: $vgpr5
	s_and_saveexec_b64 s[20:21], vcc
	s_xor_b64 s[20:21], exec, s[20:21]
; %bb.75:
	v_bfe_u32 v5, v1, 20, 1
	s_mov_b32 s24, 0x407ffff
	v_add3_u32 v5, v1, v5, s24
	v_lshrrev_b32_e32 v6, 20, v5
	v_and_b32_e32 v5, 0xff00000, v5
	s_mov_b32 s24, 0x7f00000
	v_mov_b32_e32 v7, 0x7e
	v_cmp_ne_u32_e32 vcc, s24, v5
	s_nop 1
	v_cndmask_b32_e32 v5, v7, v6, vcc
; %bb.76:
	s_andn2_saveexec_b64 s[20:21], s[20:21]
; %bb.77:
	s_mov_b32 s24, 0x46800000
	v_add_f32_e64 v5, |v1|, s24
; %bb.78:
	s_or_b64 exec, exec, s[20:21]
                                        ; implicit-def: $vgpr6
.LBB368_79:
	s_andn2_saveexec_b64 s[14:15], s[14:15]
; %bb.80:
	s_mov_b32 s20, 0x7f800000
	v_mov_b32_e32 v5, 0x7e
	v_mov_b32_e32 v7, 0x7f
	v_cmp_lt_u32_e32 vcc, s20, v6
	s_nop 1
	v_cndmask_b32_e32 v5, v5, v7, vcc
; %bb.81:
	s_or_b64 exec, exec, s[14:15]
	v_lshrrev_b32_e32 v1, 24, v1
	s_movk_i32 s14, 0x80
	v_and_or_b32 v1, v1, s14, v5
	global_store_byte v[2:3], v1, off
.LBB368_82:
	s_mov_b64 s[14:15], 0
.LBB368_83:
	s_andn2_b64 vcc, exec, s[14:15]
	s_cbranch_vccnz .LBB368_93
; %bb.84:
	v_cvt_f32_i32_e32 v1, v0
	s_mov_b32 s14, 0x47800000
                                        ; implicit-def: $vgpr5
	v_and_b32_e32 v6, 0x7fffffff, v1
	v_cmp_gt_u32_e32 vcc, s14, v6
	s_and_saveexec_b64 s[14:15], vcc
	s_xor_b64 s[14:15], exec, s[14:15]
	s_cbranch_execz .LBB368_90
; %bb.85:
	s_mov_b32 s20, 0x387fffff
	v_cmp_lt_u32_e32 vcc, s20, v6
                                        ; implicit-def: $vgpr5
	s_and_saveexec_b64 s[20:21], vcc
	s_xor_b64 s[20:21], exec, s[20:21]
; %bb.86:
	v_bfe_u32 v5, v1, 21, 1
	s_mov_b32 s24, 0x80fffff
	v_add3_u32 v5, v1, v5, s24
	v_lshrrev_b32_e32 v5, 21, v5
; %bb.87:
	s_andn2_saveexec_b64 s[20:21], s[20:21]
; %bb.88:
	s_mov_b32 s24, 0x43000000
	v_add_f32_e64 v5, |v1|, s24
; %bb.89:
	s_or_b64 exec, exec, s[20:21]
                                        ; implicit-def: $vgpr6
.LBB368_90:
	s_andn2_saveexec_b64 s[14:15], s[14:15]
; %bb.91:
	s_mov_b32 s20, 0x7f800000
	v_mov_b32_e32 v5, 0x7c
	v_mov_b32_e32 v7, 0x7f
	v_cmp_lt_u32_e32 vcc, s20, v6
	s_nop 1
	v_cndmask_b32_e32 v5, v5, v7, vcc
; %bb.92:
	s_or_b64 exec, exec, s[14:15]
	v_lshrrev_b32_e32 v1, 24, v1
	s_movk_i32 s14, 0x80
	v_and_or_b32 v1, v1, s14, v5
	global_store_byte v[2:3], v1, off
.LBB368_93:
	s_mov_b64 s[20:21], 0
	s_mov_b64 s[14:15], -1
.LBB368_94:
	s_andn2_b64 vcc, exec, s[20:21]
	s_cbranch_vccnz .LBB368_102
; %bb.95:
	s_cmp_gt_i32 s27, 14
	s_mov_b64 s[20:21], -1
	s_cbranch_scc0 .LBB368_99
; %bb.96:
	s_cmp_eq_u32 s27, 15
	s_mov_b64 s[0:1], -1
	s_cbranch_scc0 .LBB368_98
; %bb.97:
	v_cvt_f32_i32_e32 v1, v0
	s_movk_i32 s0, 0x7fff
	s_mov_b64 s[14:15], -1
	v_bfe_u32 v5, v1, 16, 1
	v_add3_u32 v1, v1, v5, s0
	global_store_short_d16_hi v[2:3], v1, off
	s_mov_b64 s[0:1], 0
.LBB368_98:
	s_mov_b64 s[20:21], 0
.LBB368_99:
	s_and_b64 vcc, exec, s[20:21]
	s_cbranch_vccz .LBB368_102
; %bb.100:
	s_cmp_eq_u32 s27, 11
	s_mov_b64 s[0:1], -1
	s_cbranch_scc0 .LBB368_102
; %bb.101:
	v_cmp_ne_u32_e32 vcc, 0, v0
	s_mov_b64 s[14:15], -1
	s_mov_b64 s[0:1], 0
	v_cndmask_b32_e64 v1, 0, 1, vcc
	global_store_byte v[2:3], v1, off
.LBB368_102:
	s_branch .LBB368_20
.LBB368_103:
	s_and_b32 s20, 0xffff, s26
	s_cmp_lt_i32 s20, 5
	s_mov_b64 s[14:15], -1
	s_cbranch_scc1 .LBB368_124
; %bb.104:
	s_cmp_lt_i32 s20, 8
	s_cbranch_scc1 .LBB368_114
; %bb.105:
	s_cmp_lt_i32 s20, 9
	s_cbranch_scc1 .LBB368_111
; %bb.106:
	s_cmp_gt_i32 s20, 9
	s_cbranch_scc0 .LBB368_108
; %bb.107:
	v_mov_b32_e32 v8, 0
	v_cvt_f64_i32_e32 v[6:7], v0
	v_mov_b32_e32 v9, v8
	global_store_dwordx4 v[2:3], v[6:9], off
	s_mov_b64 s[14:15], 0
.LBB368_108:
	s_andn2_b64 vcc, exec, s[14:15]
	s_cbranch_vccnz .LBB368_110
; %bb.109:
	v_cvt_f32_i32_e32 v6, v0
	v_mov_b32_e32 v7, 0
	global_store_dwordx2 v[2:3], v[6:7], off
.LBB368_110:
	s_mov_b64 s[14:15], 0
.LBB368_111:
	s_andn2_b64 vcc, exec, s[14:15]
	s_cbranch_vccnz .LBB368_113
; %bb.112:
	v_cvt_f32_i32_e32 v1, v0
	v_cvt_f16_f32_e32 v1, v1
	global_store_dword v[2:3], v1, off
.LBB368_113:
	s_mov_b64 s[14:15], 0
.LBB368_114:
	s_andn2_b64 vcc, exec, s[14:15]
	s_cbranch_vccnz .LBB368_123
; %bb.115:
	s_cmp_lt_i32 s20, 6
	s_mov_b64 s[14:15], -1
	s_cbranch_scc1 .LBB368_121
; %bb.116:
	s_cmp_gt_i32 s20, 6
	s_cbranch_scc0 .LBB368_118
; %bb.117:
	v_cvt_f64_i32_e32 v[6:7], v0
	global_store_dwordx2 v[2:3], v[6:7], off
	s_mov_b64 s[14:15], 0
.LBB368_118:
	s_andn2_b64 vcc, exec, s[14:15]
	s_cbranch_vccnz .LBB368_120
; %bb.119:
	v_cvt_f32_i32_e32 v1, v0
	global_store_dword v[2:3], v1, off
.LBB368_120:
	s_mov_b64 s[14:15], 0
.LBB368_121:
	s_andn2_b64 vcc, exec, s[14:15]
	s_cbranch_vccnz .LBB368_123
; %bb.122:
	v_cvt_f32_i32_e32 v1, v0
	v_cvt_f16_f32_e32 v1, v1
	global_store_short v[2:3], v1, off
.LBB368_123:
	s_mov_b64 s[14:15], 0
.LBB368_124:
	s_andn2_b64 vcc, exec, s[14:15]
	s_cbranch_vccnz .LBB368_140
; %bb.125:
	s_cmp_lt_i32 s20, 2
	s_mov_b64 s[14:15], -1
	s_cbranch_scc1 .LBB368_135
; %bb.126:
	s_cmp_lt_i32 s20, 3
	s_cbranch_scc1 .LBB368_132
; %bb.127:
	s_cmp_gt_i32 s20, 3
	s_cbranch_scc0 .LBB368_129
; %bb.128:
	v_ashrrev_i32_e32 v1, 31, v0
	global_store_dwordx2 v[2:3], v[0:1], off
	s_mov_b64 s[14:15], 0
.LBB368_129:
	s_andn2_b64 vcc, exec, s[14:15]
	s_cbranch_vccnz .LBB368_131
; %bb.130:
	global_store_dword v[2:3], v0, off
.LBB368_131:
	s_mov_b64 s[14:15], 0
.LBB368_132:
	s_andn2_b64 vcc, exec, s[14:15]
	s_cbranch_vccnz .LBB368_134
; %bb.133:
	global_store_short v[2:3], v0, off
.LBB368_134:
	s_mov_b64 s[14:15], 0
.LBB368_135:
	s_andn2_b64 vcc, exec, s[14:15]
	s_cbranch_vccnz .LBB368_140
; %bb.136:
	s_cmp_gt_i32 s20, 0
	s_mov_b64 s[14:15], -1
	s_cbranch_scc0 .LBB368_138
; %bb.137:
	global_store_byte v[2:3], v0, off
	s_mov_b64 s[14:15], 0
.LBB368_138:
	s_andn2_b64 vcc, exec, s[14:15]
	s_cbranch_vccnz .LBB368_140
; %bb.139:
	global_store_byte v[2:3], v0, off
.LBB368_140:
	s_branch .LBB368_21
.LBB368_141:
	s_mov_b64 s[20:21], 0
                                        ; implicit-def: $vgpr4
	s_branch .LBB368_247
.LBB368_142:
	s_mov_b64 s[16:17], -1
                                        ; implicit-def: $vgpr2
.LBB368_143:
	s_mov_b64 s[14:15], 0
.LBB368_144:
	s_and_b64 vcc, exec, s[14:15]
	s_cbranch_vccz .LBB368_148
; %bb.145:
	s_cmp_eq_u32 s20, 29
	s_cbranch_scc0 .LBB368_147
; %bb.146:
	global_load_dword v2, v[0:1], off
	s_mov_b64 s[0:1], -1
	s_mov_b64 s[16:17], 0
	s_branch .LBB368_148
.LBB368_147:
	s_mov_b64 s[16:17], -1
                                        ; implicit-def: $vgpr2
.LBB368_148:
	s_mov_b64 s[14:15], 0
.LBB368_149:
	s_and_b64 vcc, exec, s[14:15]
	s_cbranch_vccz .LBB368_165
; %bb.150:
	s_cmp_lt_i32 s20, 27
	s_cbranch_scc1 .LBB368_153
; %bb.151:
	s_cmp_gt_i32 s20, 27
	s_cbranch_scc0 .LBB368_154
; %bb.152:
	global_load_dword v2, v[0:1], off
	s_mov_b64 s[0:1], 0
	s_branch .LBB368_155
.LBB368_153:
	s_mov_b64 s[0:1], -1
                                        ; implicit-def: $vgpr2
	s_branch .LBB368_158
.LBB368_154:
	s_mov_b64 s[0:1], -1
                                        ; implicit-def: $vgpr2
.LBB368_155:
	s_andn2_b64 vcc, exec, s[0:1]
	s_cbranch_vccnz .LBB368_157
; %bb.156:
	global_load_ushort v2, v[0:1], off
.LBB368_157:
	s_mov_b64 s[0:1], 0
.LBB368_158:
	s_andn2_b64 vcc, exec, s[0:1]
	s_cbranch_vccnz .LBB368_164
; %bb.159:
	global_load_ubyte v3, v[0:1], off
	s_movk_i32 s0, 0x7f
	s_mov_b64 s[14:15], 0
	s_waitcnt vmcnt(0)
	v_cmp_lt_i16_e32 vcc, s0, v3
	s_and_saveexec_b64 s[0:1], vcc
	s_xor_b64 s[0:1], exec, s[0:1]
	s_cbranch_execz .LBB368_175
; %bb.160:
	s_movk_i32 s14, 0x80
	v_cmp_ne_u16_e32 vcc, s14, v3
	s_and_b64 s[14:15], vcc, exec
	s_andn2_saveexec_b64 s[0:1], s[0:1]
	s_cbranch_execnz .LBB368_176
.LBB368_161:
	s_or_b64 exec, exec, s[0:1]
	v_mov_b32_e32 v2, 0
	s_and_saveexec_b64 s[0:1], s[14:15]
	s_cbranch_execz .LBB368_163
.LBB368_162:
	v_lshlrev_b32_e32 v2, 24, v3
	v_and_b32_e32 v3, 0xffff, v3
	v_and_b32_e32 v5, 7, v3
	v_ffbh_u32_e32 v7, v5
	v_min_u32_e32 v7, 32, v7
	v_subrev_u32_e32 v8, 28, v7
	v_bfe_u32 v6, v3, 3, 4
	v_lshlrev_b32_e32 v3, v8, v3
	v_sub_u32_e32 v7, 29, v7
	v_and_b32_e32 v3, 7, v3
	v_cmp_eq_u32_e32 vcc, 0, v6
	v_and_b32_e32 v2, 0x80000000, v2
	s_nop 0
	v_cndmask_b32_e32 v6, v6, v7, vcc
	v_cndmask_b32_e32 v3, v5, v3, vcc
	v_mov_b32_e32 v5, 0x3b800000
	v_lshlrev_b32_e32 v3, 20, v3
	v_lshl_add_u32 v5, v6, 23, v5
	v_or3_b32 v2, v2, v5, v3
	v_cvt_i32_f32_e32 v2, v2
.LBB368_163:
	s_or_b64 exec, exec, s[0:1]
.LBB368_164:
	s_mov_b64 s[0:1], -1
.LBB368_165:
	s_branch .LBB368_198
.LBB368_166:
	s_cmp_gt_i32 s20, 22
	s_cbranch_scc0 .LBB368_174
; %bb.167:
	s_cmp_lt_i32 s20, 24
	s_cbranch_scc1 .LBB368_177
; %bb.168:
	s_cmp_gt_i32 s20, 24
	s_cbranch_scc0 .LBB368_178
; %bb.169:
	global_load_ubyte v3, v[0:1], off
	s_movk_i32 s0, 0x7f
	s_mov_b64 s[14:15], 0
	s_waitcnt vmcnt(0)
	v_cmp_lt_i16_e32 vcc, s0, v3
	s_and_saveexec_b64 s[0:1], vcc
	s_xor_b64 s[0:1], exec, s[0:1]
	s_cbranch_execz .LBB368_190
; %bb.170:
	s_movk_i32 s14, 0x80
	v_cmp_ne_u16_e32 vcc, s14, v3
	s_and_b64 s[14:15], vcc, exec
	s_andn2_saveexec_b64 s[0:1], s[0:1]
	s_cbranch_execnz .LBB368_191
.LBB368_171:
	s_or_b64 exec, exec, s[0:1]
	v_mov_b32_e32 v2, 0
	s_and_saveexec_b64 s[0:1], s[14:15]
	s_cbranch_execz .LBB368_173
.LBB368_172:
	v_lshlrev_b32_e32 v2, 24, v3
	v_and_b32_e32 v3, 0xffff, v3
	v_and_b32_e32 v5, 3, v3
	v_ffbh_u32_e32 v7, v5
	v_min_u32_e32 v7, 32, v7
	v_subrev_u32_e32 v8, 29, v7
	v_bfe_u32 v6, v3, 2, 5
	v_lshlrev_b32_e32 v3, v8, v3
	v_sub_u32_e32 v7, 30, v7
	v_and_b32_e32 v3, 3, v3
	v_cmp_eq_u32_e32 vcc, 0, v6
	v_and_b32_e32 v2, 0x80000000, v2
	s_nop 0
	v_cndmask_b32_e32 v6, v6, v7, vcc
	v_cndmask_b32_e32 v3, v5, v3, vcc
	v_mov_b32_e32 v5, 0x37800000
	v_lshlrev_b32_e32 v3, 21, v3
	v_lshl_add_u32 v5, v6, 23, v5
	v_or3_b32 v2, v2, v5, v3
	v_cvt_i32_f32_e32 v2, v2
.LBB368_173:
	s_or_b64 exec, exec, s[0:1]
	s_mov_b64 s[0:1], 0
	s_branch .LBB368_179
.LBB368_174:
	s_mov_b64 s[14:15], -1
                                        ; implicit-def: $vgpr2
	s_branch .LBB368_185
.LBB368_175:
	s_andn2_saveexec_b64 s[0:1], s[0:1]
	s_cbranch_execz .LBB368_161
.LBB368_176:
	v_cmp_ne_u16_e32 vcc, 0, v3
	s_andn2_b64 s[14:15], s[14:15], exec
	s_and_b64 s[24:25], vcc, exec
	s_or_b64 s[14:15], s[14:15], s[24:25]
	s_or_b64 exec, exec, s[0:1]
	v_mov_b32_e32 v2, 0
	s_and_saveexec_b64 s[0:1], s[14:15]
	s_cbranch_execnz .LBB368_162
	s_branch .LBB368_163
.LBB368_177:
	s_mov_b64 s[0:1], -1
                                        ; implicit-def: $vgpr2
	s_branch .LBB368_182
.LBB368_178:
	s_mov_b64 s[0:1], -1
                                        ; implicit-def: $vgpr2
.LBB368_179:
	s_and_b64 vcc, exec, s[0:1]
	s_cbranch_vccz .LBB368_181
; %bb.180:
	global_load_ubyte v2, v[0:1], off
	s_mov_b32 s0, 0x7f800000
	s_waitcnt vmcnt(0)
	v_lshlrev_b32_e32 v2, 24, v2
	v_and_b32_e32 v3, 0x7f000000, v2
	v_ffbh_u32_e32 v5, v3
	v_min_u32_e32 v5, 32, v5
	v_sub_u32_e64 v5, v5, 4 clamp
	v_lshlrev_b32_e32 v7, v5, v3
	v_lshlrev_b32_e32 v5, 23, v5
	v_lshrrev_b32_e32 v7, 4, v7
	v_add_u32_e32 v6, 0x1000000, v3
	v_sub_u32_e32 v5, v7, v5
	v_ashrrev_i32_e32 v6, 8, v6
	v_add_u32_e32 v5, 0x3c000000, v5
	v_and_or_b32 v5, v6, s0, v5
	v_cmp_ne_u32_e32 vcc, 0, v3
	s_brev_b32 s0, 1
	s_nop 0
	v_cndmask_b32_e32 v3, 0, v5, vcc
	v_and_or_b32 v2, v2, s0, v3
	v_cvt_i32_f32_e32 v2, v2
.LBB368_181:
	s_mov_b64 s[0:1], 0
.LBB368_182:
	s_andn2_b64 vcc, exec, s[0:1]
	s_cbranch_vccnz .LBB368_184
; %bb.183:
	global_load_ubyte v2, v[0:1], off
	s_movk_i32 s0, 0x7f00
	s_brev_b32 s1, 16
	s_waitcnt vmcnt(0)
	v_lshlrev_b16_e32 v3, 8, v2
	v_lshlrev_b32_e32 v2, 25, v2
	v_lshrrev_b32_e32 v5, 4, v2
	v_and_or_b32 v6, v3, s0, 0.5
	v_or_b32_e32 v5, 0x70000000, v5
	v_add_f32_e32 v6, -0.5, v6
	v_mul_f32_e32 v5, 0x7800000, v5
	v_cmp_gt_u32_e32 vcc, s1, v2
	v_bfe_i32 v3, v3, 0, 16
	s_brev_b32 s0, 1
	v_cndmask_b32_e32 v2, v5, v6, vcc
	v_and_or_b32 v2, v3, s0, v2
	v_cvt_i32_f32_e32 v2, v2
.LBB368_184:
	s_mov_b64 s[14:15], 0
	s_mov_b64 s[0:1], -1
.LBB368_185:
	s_andn2_b64 vcc, exec, s[14:15]
	s_cbranch_vccnz .LBB368_198
; %bb.186:
	s_cmp_gt_i32 s20, 14
	s_cbranch_scc0 .LBB368_189
; %bb.187:
	s_cmp_eq_u32 s20, 15
	s_cbranch_scc0 .LBB368_192
; %bb.188:
	global_load_ushort v2, v[0:1], off
	s_mov_b64 s[0:1], -1
	s_mov_b64 s[16:17], 0
	s_waitcnt vmcnt(0)
	v_lshlrev_b32_e32 v2, 16, v2
	v_cvt_i32_f32_e32 v2, v2
	s_branch .LBB368_193
.LBB368_189:
	s_mov_b64 s[14:15], -1
                                        ; implicit-def: $vgpr2
	s_branch .LBB368_194
.LBB368_190:
	s_andn2_saveexec_b64 s[0:1], s[0:1]
	s_cbranch_execz .LBB368_171
.LBB368_191:
	v_cmp_ne_u16_e32 vcc, 0, v3
	s_andn2_b64 s[14:15], s[14:15], exec
	s_and_b64 s[24:25], vcc, exec
	s_or_b64 s[14:15], s[14:15], s[24:25]
	s_or_b64 exec, exec, s[0:1]
	v_mov_b32_e32 v2, 0
	s_and_saveexec_b64 s[0:1], s[14:15]
	s_cbranch_execnz .LBB368_172
	s_branch .LBB368_173
.LBB368_192:
	s_mov_b64 s[16:17], -1
                                        ; implicit-def: $vgpr2
.LBB368_193:
	s_mov_b64 s[14:15], 0
.LBB368_194:
	s_and_b64 vcc, exec, s[14:15]
	s_cbranch_vccz .LBB368_198
; %bb.195:
	s_cmp_eq_u32 s20, 11
	s_cbranch_scc0 .LBB368_197
; %bb.196:
	global_load_ubyte v2, v[0:1], off
	s_mov_b64 s[0:1], -1
	s_mov_b64 s[16:17], 0
	s_waitcnt vmcnt(0)
	v_cmp_ne_u16_e32 vcc, 0, v2
	s_nop 1
	v_cndmask_b32_e64 v2, 0, 1, vcc
	s_branch .LBB368_198
.LBB368_197:
	s_mov_b64 s[16:17], -1
                                        ; implicit-def: $vgpr2
.LBB368_198:
	s_branch .LBB368_10
.LBB368_199:
	s_cmp_lt_i32 s20, 5
	s_cbranch_scc1 .LBB368_204
; %bb.200:
	s_cmp_lt_i32 s20, 8
	s_cbranch_scc1 .LBB368_205
; %bb.201:
	;; [unrolled: 3-line block ×3, first 2 shown]
	s_cmp_gt_i32 s20, 9
	s_cbranch_scc0 .LBB368_207
; %bb.203:
	global_load_dwordx2 v[2:3], v[0:1], off
	s_mov_b64 s[0:1], 0
	s_waitcnt vmcnt(0)
	v_cvt_i32_f64_e32 v2, v[2:3]
	s_branch .LBB368_208
.LBB368_204:
                                        ; implicit-def: $vgpr2
	s_branch .LBB368_226
.LBB368_205:
	s_mov_b64 s[0:1], -1
                                        ; implicit-def: $vgpr2
	s_branch .LBB368_214
.LBB368_206:
	s_mov_b64 s[0:1], -1
                                        ; implicit-def: $vgpr2
	s_branch .LBB368_211
.LBB368_207:
	s_mov_b64 s[0:1], -1
                                        ; implicit-def: $vgpr2
.LBB368_208:
	s_andn2_b64 vcc, exec, s[0:1]
	s_cbranch_vccnz .LBB368_210
; %bb.209:
	global_load_dword v2, v[0:1], off
	s_waitcnt vmcnt(0)
	v_cvt_i32_f32_e32 v2, v2
.LBB368_210:
	s_mov_b64 s[0:1], 0
.LBB368_211:
	s_andn2_b64 vcc, exec, s[0:1]
	s_cbranch_vccnz .LBB368_213
; %bb.212:
	global_load_dword v2, v[0:1], off
	s_waitcnt vmcnt(0)
	v_cvt_f32_f16_e32 v2, v2
	v_cvt_i32_f32_e32 v2, v2
.LBB368_213:
	s_mov_b64 s[0:1], 0
.LBB368_214:
	s_andn2_b64 vcc, exec, s[0:1]
	s_cbranch_vccnz .LBB368_225
; %bb.215:
	s_cmp_lt_i32 s20, 6
	s_cbranch_scc1 .LBB368_218
; %bb.216:
	s_cmp_gt_i32 s20, 6
	s_cbranch_scc0 .LBB368_219
; %bb.217:
	global_load_dwordx2 v[2:3], v[0:1], off
	s_mov_b64 s[0:1], 0
	s_waitcnt vmcnt(0)
	v_cvt_i32_f64_e32 v2, v[2:3]
	s_branch .LBB368_220
.LBB368_218:
	s_mov_b64 s[0:1], -1
                                        ; implicit-def: $vgpr2
	s_branch .LBB368_223
.LBB368_219:
	s_mov_b64 s[0:1], -1
                                        ; implicit-def: $vgpr2
.LBB368_220:
	s_andn2_b64 vcc, exec, s[0:1]
	s_cbranch_vccnz .LBB368_222
; %bb.221:
	global_load_dword v2, v[0:1], off
	s_waitcnt vmcnt(0)
	v_cvt_i32_f32_e32 v2, v2
.LBB368_222:
	s_mov_b64 s[0:1], 0
.LBB368_223:
	s_andn2_b64 vcc, exec, s[0:1]
	s_cbranch_vccnz .LBB368_225
; %bb.224:
	global_load_ushort v2, v[0:1], off
	s_waitcnt vmcnt(0)
	v_cvt_f32_f16_e32 v2, v2
	v_cvt_i32_f32_e32 v2, v2
.LBB368_225:
	s_cbranch_execnz .LBB368_245
.LBB368_226:
	s_cmp_lt_i32 s20, 2
	s_cbranch_scc1 .LBB368_230
; %bb.227:
	s_cmp_lt_i32 s20, 3
	s_cbranch_scc1 .LBB368_231
; %bb.228:
	s_cmp_gt_i32 s20, 3
	s_cbranch_scc0 .LBB368_232
; %bb.229:
	global_load_dword v2, v[0:1], off
	s_mov_b64 s[0:1], 0
	s_branch .LBB368_233
.LBB368_230:
	s_mov_b64 s[0:1], -1
                                        ; implicit-def: $vgpr2
	s_branch .LBB368_239
.LBB368_231:
	s_mov_b64 s[0:1], -1
                                        ; implicit-def: $vgpr2
	s_branch .LBB368_236
.LBB368_232:
	s_mov_b64 s[0:1], -1
                                        ; implicit-def: $vgpr2
.LBB368_233:
	s_andn2_b64 vcc, exec, s[0:1]
	s_cbranch_vccnz .LBB368_235
; %bb.234:
	global_load_dword v2, v[0:1], off
.LBB368_235:
	s_mov_b64 s[0:1], 0
.LBB368_236:
	s_andn2_b64 vcc, exec, s[0:1]
	s_cbranch_vccnz .LBB368_238
; %bb.237:
	global_load_sshort v2, v[0:1], off
.LBB368_238:
	s_mov_b64 s[0:1], 0
.LBB368_239:
	s_andn2_b64 vcc, exec, s[0:1]
	s_cbranch_vccnz .LBB368_245
; %bb.240:
	s_cmp_gt_i32 s20, 0
	s_cbranch_scc0 .LBB368_242
; %bb.241:
	global_load_sbyte v2, v[0:1], off
	s_mov_b64 s[0:1], 0
	s_branch .LBB368_243
.LBB368_242:
	s_mov_b64 s[0:1], -1
                                        ; implicit-def: $vgpr2
.LBB368_243:
	s_andn2_b64 vcc, exec, s[0:1]
	s_cbranch_vccnz .LBB368_245
; %bb.244:
	global_load_ubyte v2, v[0:1], off
.LBB368_245:
	s_branch .LBB368_11
.LBB368_246:
	s_mov_b64 s[0:1], 0
                                        ; implicit-def: $vgpr4
	s_mov_b64 s[20:21], 0
.LBB368_247:
	s_and_b64 s[14:15], s[0:1], exec
	s_and_b64 s[16:17], s[16:17], exec
	s_orn2_b64 s[20:21], s[20:21], exec
.LBB368_248:
	s_or_b64 exec, exec, s[18:19]
	s_mov_b64 s[24:25], 0
	s_mov_b64 s[0:1], 0
                                        ; implicit-def: $vgpr0_vgpr1
                                        ; implicit-def: $vgpr5
	s_and_saveexec_b64 s[18:19], s[20:21]
	s_cbranch_execz .LBB368_257
; %bb.249:
	v_cmp_gt_i32_e32 vcc, s40, v4
	s_mov_b64 s[0:1], -1
	s_mov_b64 s[20:21], s[16:17]
	s_mov_b64 s[22:23], s[14:15]
	s_and_saveexec_b64 s[24:25], vcc
	s_cbranch_execz .LBB368_505
; %bb.250:
	v_mul_lo_u32 v0, v4, s9
	v_ashrrev_i32_e32 v1, 31, v0
	s_and_b32 s26, 0xffff, s11
	s_cmp_lt_i32 s26, 11
	v_lshl_add_u64 v[0:1], s[6:7], 0, v[0:1]
	s_cbranch_scc1 .LBB368_260
; %bb.251:
	s_cmp_gt_i32 s26, 25
	s_cbranch_scc0 .LBB368_269
; %bb.252:
	s_cmp_gt_i32 s26, 28
	s_cbranch_scc0 .LBB368_271
	;; [unrolled: 3-line block ×4, first 2 shown]
; %bb.255:
	s_cmp_eq_u32 s26, 46
	s_mov_b64 s[22:23], 0
	s_cbranch_scc0 .LBB368_281
; %bb.256:
	global_load_dword v2, v[0:1], off
	s_mov_b64 s[20:21], 0
	s_waitcnt vmcnt(0)
	v_lshlrev_b32_e32 v2, 16, v2
	v_cvt_i32_f32_e32 v2, v2
	s_branch .LBB368_282
.LBB368_257:
	s_or_b64 exec, exec, s[18:19]
	s_mov_b64 s[18:19], 0
	s_and_saveexec_b64 s[20:21], s[16:17]
	s_cbranch_execnz .LBB368_843
.LBB368_258:
	s_or_b64 exec, exec, s[20:21]
	s_and_saveexec_b64 s[16:17], s[22:23]
	s_xor_b64 s[16:17], exec, s[16:17]
	s_cbranch_execz .LBB368_844
.LBB368_259:
	global_load_ubyte v2, v[0:1], off
	s_or_b64 s[0:1], s[0:1], exec
	s_waitcnt vmcnt(0)
	v_cmp_ne_u16_e32 vcc, 0, v2
	s_nop 1
	v_cndmask_b32_e64 v5, 0, 1, vcc
	s_or_b64 exec, exec, s[16:17]
	s_and_saveexec_b64 s[16:17], s[24:25]
	s_cbranch_execz .LBB368_890
	s_branch .LBB368_845
.LBB368_260:
	s_mov_b64 s[0:1], 0
                                        ; implicit-def: $vgpr2
	s_mov_b64 s[20:21], s[16:17]
	s_cbranch_execnz .LBB368_455
.LBB368_261:
	s_andn2_b64 vcc, exec, s[0:1]
	s_cbranch_vccnz .LBB368_503
.LBB368_262:
	s_waitcnt vmcnt(0)
	v_max_i32_e32 v0, s10, v2
	v_mul_lo_u32 v2, v4, s8
	v_ashrrev_i32_e32 v3, 31, v2
	s_and_b32 s30, s33, 0xff
	s_cmp_lt_i32 s30, 11
	v_lshl_add_u64 v[2:3], s[4:5], 0, v[2:3]
	s_cbranch_scc1 .LBB368_270
; %bb.263:
	s_and_b32 s31, 0xffff, s30
	s_cmp_gt_i32 s31, 25
	s_cbranch_scc0 .LBB368_272
; %bb.264:
	s_cmp_gt_i32 s31, 28
	s_cbranch_scc0 .LBB368_274
; %bb.265:
	;; [unrolled: 3-line block ×4, first 2 shown]
	s_mov_b64 s[26:27], 0
	s_mov_b64 s[0:1], -1
	s_cmp_eq_u32 s31, 46
	s_mov_b64 s[22:23], 0
	s_cbranch_scc0 .LBB368_286
; %bb.268:
	v_cvt_f32_i32_e32 v1, v0
	s_movk_i32 s0, 0x7fff
	s_mov_b64 s[22:23], -1
	v_bfe_u32 v5, v1, 16, 1
	v_add3_u32 v1, v1, v5, s0
	v_lshrrev_b32_e32 v1, 16, v1
	global_store_dword v[2:3], v1, off
	s_mov_b64 s[0:1], 0
	s_branch .LBB368_286
.LBB368_269:
	s_mov_b64 s[22:23], -1
	s_mov_b64 s[0:1], 0
	s_mov_b64 s[20:21], s[16:17]
                                        ; implicit-def: $vgpr2
	s_branch .LBB368_421
.LBB368_270:
	s_mov_b64 s[26:27], -1
	s_mov_b64 s[22:23], 0
	s_mov_b64 s[0:1], s[14:15]
	s_branch .LBB368_355
.LBB368_271:
	s_mov_b64 s[22:23], -1
	s_mov_b64 s[0:1], 0
	s_mov_b64 s[20:21], s[16:17]
                                        ; implicit-def: $vgpr2
	s_branch .LBB368_404
.LBB368_272:
	s_mov_b64 s[26:27], -1
	s_mov_b64 s[22:23], 0
	s_mov_b64 s[0:1], s[14:15]
	s_branch .LBB368_313
.LBB368_273:
	s_mov_b64 s[22:23], -1
	s_mov_b64 s[0:1], 0
	s_mov_b64 s[20:21], s[16:17]
                                        ; implicit-def: $vgpr2
	s_branch .LBB368_399
.LBB368_274:
	s_mov_b64 s[26:27], -1
	s_mov_b64 s[22:23], 0
	s_mov_b64 s[0:1], s[14:15]
	s_branch .LBB368_296
.LBB368_275:
	s_andn2_saveexec_b64 s[24:25], s[24:25]
	s_cbranch_execz .LBB368_55
.LBB368_276:
	s_mov_b32 s28, 0x46000000
	v_add_f32_e64 v5, |v1|, s28
	v_and_b32_e32 v5, 0xff, v5
	v_cmp_ne_u32_e32 vcc, 0, v5
	s_andn2_b64 s[20:21], s[20:21], exec
	s_and_b64 s[28:29], vcc, exec
	s_or_b64 s[20:21], s[20:21], s[28:29]
	s_or_b64 exec, exec, s[24:25]
	v_mov_b32_e32 v6, 0
	s_and_saveexec_b64 s[24:25], s[20:21]
	s_cbranch_execnz .LBB368_56
	s_branch .LBB368_57
.LBB368_277:
	s_mov_b64 s[22:23], -1
	s_mov_b64 s[0:1], 0
	s_mov_b64 s[20:21], s[16:17]
                                        ; implicit-def: $vgpr2
	s_branch .LBB368_282
.LBB368_278:
	s_mov_b64 s[26:27], -1
	s_mov_b64 s[22:23], 0
	s_mov_b64 s[0:1], s[14:15]
	s_branch .LBB368_292
.LBB368_279:
	s_andn2_saveexec_b64 s[24:25], s[24:25]
	s_cbranch_execz .LBB368_68
.LBB368_280:
	s_mov_b32 s28, 0x42800000
	v_add_f32_e64 v5, |v1|, s28
	v_and_b32_e32 v5, 0xff, v5
	v_cmp_ne_u32_e32 vcc, 0, v5
	s_andn2_b64 s[20:21], s[20:21], exec
	s_and_b64 s[28:29], vcc, exec
	s_or_b64 s[20:21], s[20:21], s[28:29]
	s_or_b64 exec, exec, s[24:25]
	v_mov_b32_e32 v6, 0
	s_and_saveexec_b64 s[24:25], s[20:21]
	s_cbranch_execnz .LBB368_69
	s_branch .LBB368_70
.LBB368_281:
	s_mov_b64 s[20:21], -1
                                        ; implicit-def: $vgpr2
	s_mov_b64 s[0:1], 0
.LBB368_282:
	s_and_b64 vcc, exec, s[22:23]
	s_cbranch_vccz .LBB368_398
; %bb.283:
	s_cmp_eq_u32 s26, 44
	s_cbranch_scc0 .LBB368_397
; %bb.284:
	global_load_ubyte v2, v[0:1], off
	s_mov_b64 s[0:1], -1
	s_mov_b64 s[20:21], 0
	s_waitcnt vmcnt(0)
	v_lshlrev_b32_e32 v3, 23, v2
	v_cvt_i32_f32_e32 v3, v3
	v_cmp_ne_u32_e32 vcc, 0, v2
	s_nop 1
	v_cndmask_b32_e32 v2, 0, v3, vcc
	s_branch .LBB368_398
.LBB368_285:
	s_mov_b64 s[26:27], -1
	s_mov_b64 s[22:23], 0
	s_mov_b64 s[0:1], s[14:15]
.LBB368_286:
	s_and_b64 vcc, exec, s[26:27]
	s_cbranch_vccz .LBB368_291
; %bb.287:
	s_cmp_eq_u32 s31, 44
	s_mov_b64 s[0:1], -1
	s_cbranch_scc0 .LBB368_291
; %bb.288:
	v_cvt_f32_i32_e32 v1, v0
	s_movk_i32 s0, 0xff
	v_mov_b32_e32 v6, 0xff
	v_bfe_u32 v5, v1, 23, 8
	v_cmp_ne_u32_e32 vcc, s0, v5
	s_and_saveexec_b64 s[22:23], vcc
; %bb.289:
	s_mov_b32 s0, 0x3fffff
	v_lshrrev_b32_e32 v6, 23, v1
	v_and_b32_e32 v7, 0x400000, v1
	v_and_or_b32 v1, v1, s0, v5
	v_cmp_ne_u32_e32 vcc, 0, v7
	v_cmp_ne_u32_e64 s[0:1], 0, v1
	s_and_b64 s[0:1], vcc, s[0:1]
	s_nop 0
	v_cndmask_b32_e64 v1, 0, 1, s[0:1]
	v_add_u32_e32 v6, v6, v1
; %bb.290:
	s_or_b64 exec, exec, s[22:23]
	s_mov_b64 s[22:23], -1
	s_mov_b64 s[0:1], 0
	global_store_byte v[2:3], v6, off
.LBB368_291:
	s_mov_b64 s[26:27], 0
.LBB368_292:
	s_and_b64 vcc, exec, s[26:27]
	s_cbranch_vccz .LBB368_295
; %bb.293:
	s_cmp_eq_u32 s31, 29
	s_mov_b64 s[0:1], -1
	s_cbranch_scc0 .LBB368_295
; %bb.294:
	v_ashrrev_i32_e32 v1, 31, v0
	global_store_dwordx2 v[2:3], v[0:1], off
	s_mov_b64 s[22:23], -1
	s_mov_b64 s[0:1], 0
.LBB368_295:
	s_mov_b64 s[26:27], 0
.LBB368_296:
	s_and_b64 vcc, exec, s[26:27]
	s_cbranch_vccz .LBB368_312
; %bb.297:
	s_cmp_lt_i32 s31, 27
	s_mov_b64 s[22:23], -1
	s_cbranch_scc1 .LBB368_303
; %bb.298:
	s_cmp_gt_i32 s31, 27
	s_cbranch_scc0 .LBB368_300
; %bb.299:
	s_mov_b64 s[22:23], 0
	global_store_dword v[2:3], v0, off
.LBB368_300:
	s_andn2_b64 vcc, exec, s[22:23]
	s_cbranch_vccnz .LBB368_302
; %bb.301:
	global_store_short v[2:3], v0, off
.LBB368_302:
	s_mov_b64 s[22:23], 0
.LBB368_303:
	s_andn2_b64 vcc, exec, s[22:23]
	s_cbranch_vccnz .LBB368_311
; %bb.304:
	v_cvt_f32_i32_e32 v1, v0
	s_mov_b32 s22, 0x43800000
	v_mov_b32_e32 v6, 0x80
	v_and_b32_e32 v5, 0x7fffffff, v1
	v_cmp_gt_u32_e32 vcc, s22, v5
	s_and_saveexec_b64 s[22:23], vcc
	s_cbranch_execz .LBB368_310
; %bb.305:
	s_mov_b32 s26, 0x3bffffff
	v_cmp_lt_u32_e32 vcc, s26, v5
	s_mov_b64 s[26:27], 0
                                        ; implicit-def: $vgpr5
	s_and_saveexec_b64 s[28:29], vcc
	s_xor_b64 s[28:29], exec, s[28:29]
	s_cbranch_execz .LBB368_518
; %bb.306:
	v_bfe_u32 v5, v1, 20, 1
	s_mov_b32 s34, 0x487ffff
	v_add3_u32 v5, v1, v5, s34
	s_mov_b64 s[26:27], exec
	v_lshrrev_b32_e32 v5, 20, v5
	s_andn2_saveexec_b64 s[28:29], s[28:29]
	s_cbranch_execnz .LBB368_519
.LBB368_307:
	s_or_b64 exec, exec, s[28:29]
	v_mov_b32_e32 v6, 0
	s_and_saveexec_b64 s[28:29], s[26:27]
.LBB368_308:
	v_lshrrev_b32_e32 v1, 24, v1
	s_movk_i32 s26, 0x80
	v_and_or_b32 v6, v1, s26, v5
.LBB368_309:
	s_or_b64 exec, exec, s[28:29]
.LBB368_310:
	s_or_b64 exec, exec, s[22:23]
	global_store_byte v[2:3], v6, off
.LBB368_311:
	s_mov_b64 s[22:23], -1
.LBB368_312:
	s_mov_b64 s[26:27], 0
.LBB368_313:
	s_and_b64 vcc, exec, s[26:27]
	s_cbranch_vccz .LBB368_354
; %bb.314:
	s_cmp_gt_i32 s31, 22
	s_mov_b64 s[26:27], -1
	s_cbranch_scc0 .LBB368_346
; %bb.315:
	s_cmp_lt_i32 s31, 24
	s_mov_b64 s[22:23], -1
	s_cbranch_scc1 .LBB368_335
; %bb.316:
	s_cmp_gt_i32 s31, 24
	s_cbranch_scc0 .LBB368_324
; %bb.317:
	v_cvt_f32_i32_e32 v1, v0
	s_mov_b32 s22, 0x47800000
	v_mov_b32_e32 v6, 0x80
	v_and_b32_e32 v5, 0x7fffffff, v1
	v_cmp_gt_u32_e32 vcc, s22, v5
	s_and_saveexec_b64 s[22:23], vcc
	s_cbranch_execz .LBB368_323
; %bb.318:
	s_mov_b32 s26, 0x37ffffff
	v_cmp_lt_u32_e32 vcc, s26, v5
	s_mov_b64 s[26:27], 0
                                        ; implicit-def: $vgpr5
	s_and_saveexec_b64 s[28:29], vcc
	s_xor_b64 s[28:29], exec, s[28:29]
	s_cbranch_execz .LBB368_521
; %bb.319:
	v_bfe_u32 v5, v1, 21, 1
	s_mov_b32 s34, 0x88fffff
	v_add3_u32 v5, v1, v5, s34
	s_mov_b64 s[26:27], exec
	v_lshrrev_b32_e32 v5, 21, v5
	s_andn2_saveexec_b64 s[28:29], s[28:29]
	s_cbranch_execnz .LBB368_522
.LBB368_320:
	s_or_b64 exec, exec, s[28:29]
	v_mov_b32_e32 v6, 0
	s_and_saveexec_b64 s[28:29], s[26:27]
.LBB368_321:
	v_lshrrev_b32_e32 v1, 24, v1
	s_movk_i32 s26, 0x80
	v_and_or_b32 v6, v1, s26, v5
.LBB368_322:
	s_or_b64 exec, exec, s[28:29]
.LBB368_323:
	s_or_b64 exec, exec, s[22:23]
	s_mov_b64 s[22:23], 0
	global_store_byte v[2:3], v6, off
.LBB368_324:
	s_and_b64 vcc, exec, s[22:23]
	s_cbranch_vccz .LBB368_334
; %bb.325:
	v_cvt_f32_i32_e32 v1, v0
	s_mov_b32 s22, 0x43f00000
                                        ; implicit-def: $vgpr5
	v_and_b32_e32 v6, 0x7fffffff, v1
	v_cmp_gt_u32_e32 vcc, s22, v6
	s_and_saveexec_b64 s[22:23], vcc
	s_xor_b64 s[22:23], exec, s[22:23]
	s_cbranch_execz .LBB368_331
; %bb.326:
	s_mov_b32 s26, 0x3c7fffff
	v_cmp_lt_u32_e32 vcc, s26, v6
                                        ; implicit-def: $vgpr5
	s_and_saveexec_b64 s[26:27], vcc
	s_xor_b64 s[26:27], exec, s[26:27]
; %bb.327:
	v_bfe_u32 v5, v1, 20, 1
	s_mov_b32 s28, 0x407ffff
	v_add3_u32 v5, v1, v5, s28
	v_lshrrev_b32_e32 v6, 20, v5
	v_and_b32_e32 v5, 0xff00000, v5
	s_mov_b32 s28, 0x7f00000
	v_mov_b32_e32 v7, 0x7e
	v_cmp_ne_u32_e32 vcc, s28, v5
	s_nop 1
	v_cndmask_b32_e32 v5, v7, v6, vcc
; %bb.328:
	s_andn2_saveexec_b64 s[26:27], s[26:27]
; %bb.329:
	s_mov_b32 s28, 0x46800000
	v_add_f32_e64 v5, |v1|, s28
; %bb.330:
	s_or_b64 exec, exec, s[26:27]
                                        ; implicit-def: $vgpr6
.LBB368_331:
	s_andn2_saveexec_b64 s[22:23], s[22:23]
; %bb.332:
	s_mov_b32 s26, 0x7f800000
	v_mov_b32_e32 v5, 0x7e
	v_mov_b32_e32 v7, 0x7f
	v_cmp_lt_u32_e32 vcc, s26, v6
	s_nop 1
	v_cndmask_b32_e32 v5, v5, v7, vcc
; %bb.333:
	s_or_b64 exec, exec, s[22:23]
	v_lshrrev_b32_e32 v1, 24, v1
	s_movk_i32 s22, 0x80
	v_and_or_b32 v1, v1, s22, v5
	global_store_byte v[2:3], v1, off
.LBB368_334:
	s_mov_b64 s[22:23], 0
.LBB368_335:
	s_andn2_b64 vcc, exec, s[22:23]
	s_cbranch_vccnz .LBB368_345
; %bb.336:
	v_cvt_f32_i32_e32 v1, v0
	s_mov_b32 s22, 0x47800000
                                        ; implicit-def: $vgpr5
	v_and_b32_e32 v6, 0x7fffffff, v1
	v_cmp_gt_u32_e32 vcc, s22, v6
	s_and_saveexec_b64 s[22:23], vcc
	s_xor_b64 s[22:23], exec, s[22:23]
	s_cbranch_execz .LBB368_342
; %bb.337:
	s_mov_b32 s26, 0x387fffff
	v_cmp_lt_u32_e32 vcc, s26, v6
                                        ; implicit-def: $vgpr5
	s_and_saveexec_b64 s[26:27], vcc
	s_xor_b64 s[26:27], exec, s[26:27]
; %bb.338:
	v_bfe_u32 v5, v1, 21, 1
	s_mov_b32 s28, 0x80fffff
	v_add3_u32 v5, v1, v5, s28
	v_lshrrev_b32_e32 v5, 21, v5
; %bb.339:
	s_andn2_saveexec_b64 s[26:27], s[26:27]
; %bb.340:
	s_mov_b32 s28, 0x43000000
	v_add_f32_e64 v5, |v1|, s28
; %bb.341:
	s_or_b64 exec, exec, s[26:27]
                                        ; implicit-def: $vgpr6
.LBB368_342:
	s_andn2_saveexec_b64 s[22:23], s[22:23]
; %bb.343:
	s_mov_b32 s26, 0x7f800000
	v_mov_b32_e32 v5, 0x7c
	v_mov_b32_e32 v7, 0x7f
	v_cmp_lt_u32_e32 vcc, s26, v6
	s_nop 1
	v_cndmask_b32_e32 v5, v5, v7, vcc
; %bb.344:
	s_or_b64 exec, exec, s[22:23]
	v_lshrrev_b32_e32 v1, 24, v1
	s_movk_i32 s22, 0x80
	v_and_or_b32 v1, v1, s22, v5
	global_store_byte v[2:3], v1, off
.LBB368_345:
	s_mov_b64 s[26:27], 0
	s_mov_b64 s[22:23], -1
.LBB368_346:
	s_andn2_b64 vcc, exec, s[26:27]
	s_cbranch_vccnz .LBB368_354
; %bb.347:
	s_cmp_gt_i32 s31, 14
	s_mov_b64 s[26:27], -1
	s_cbranch_scc0 .LBB368_351
; %bb.348:
	s_cmp_eq_u32 s31, 15
	s_mov_b64 s[0:1], -1
	s_cbranch_scc0 .LBB368_350
; %bb.349:
	v_cvt_f32_i32_e32 v1, v0
	s_movk_i32 s0, 0x7fff
	s_mov_b64 s[22:23], -1
	v_bfe_u32 v5, v1, 16, 1
	v_add3_u32 v1, v1, v5, s0
	global_store_short_d16_hi v[2:3], v1, off
	s_mov_b64 s[0:1], 0
.LBB368_350:
	s_mov_b64 s[26:27], 0
.LBB368_351:
	s_and_b64 vcc, exec, s[26:27]
	s_cbranch_vccz .LBB368_354
; %bb.352:
	s_cmp_eq_u32 s31, 11
	s_mov_b64 s[0:1], -1
	s_cbranch_scc0 .LBB368_354
; %bb.353:
	v_cmp_ne_u32_e32 vcc, 0, v0
	s_mov_b64 s[22:23], -1
	s_mov_b64 s[0:1], 0
	v_cndmask_b32_e64 v1, 0, 1, vcc
	global_store_byte v[2:3], v1, off
.LBB368_354:
	s_mov_b64 s[26:27], 0
.LBB368_355:
	s_and_b64 vcc, exec, s[26:27]
	s_cbranch_vccz .LBB368_394
; %bb.356:
	s_and_b32 s26, 0xffff, s30
	s_cmp_lt_i32 s26, 5
	s_mov_b64 s[22:23], -1
	s_cbranch_scc1 .LBB368_377
; %bb.357:
	s_cmp_lt_i32 s26, 8
	s_cbranch_scc1 .LBB368_367
; %bb.358:
	s_cmp_lt_i32 s26, 9
	s_cbranch_scc1 .LBB368_364
; %bb.359:
	s_cmp_gt_i32 s26, 9
	s_cbranch_scc0 .LBB368_361
; %bb.360:
	v_mov_b32_e32 v8, 0
	v_cvt_f64_i32_e32 v[6:7], v0
	v_mov_b32_e32 v9, v8
	s_mov_b64 s[22:23], 0
	global_store_dwordx4 v[2:3], v[6:9], off
.LBB368_361:
	s_andn2_b64 vcc, exec, s[22:23]
	s_cbranch_vccnz .LBB368_363
; %bb.362:
	v_cvt_f32_i32_e32 v6, v0
	v_mov_b32_e32 v7, 0
	global_store_dwordx2 v[2:3], v[6:7], off
.LBB368_363:
	s_mov_b64 s[22:23], 0
.LBB368_364:
	s_andn2_b64 vcc, exec, s[22:23]
	s_cbranch_vccnz .LBB368_366
; %bb.365:
	v_cvt_f32_i32_e32 v1, v0
	v_cvt_f16_f32_e32 v1, v1
	global_store_dword v[2:3], v1, off
.LBB368_366:
	s_mov_b64 s[22:23], 0
.LBB368_367:
	s_andn2_b64 vcc, exec, s[22:23]
	s_cbranch_vccnz .LBB368_376
; %bb.368:
	s_cmp_lt_i32 s26, 6
	s_mov_b64 s[22:23], -1
	s_cbranch_scc1 .LBB368_374
; %bb.369:
	s_cmp_gt_i32 s26, 6
	s_cbranch_scc0 .LBB368_371
; %bb.370:
	v_cvt_f64_i32_e32 v[6:7], v0
	s_mov_b64 s[22:23], 0
	global_store_dwordx2 v[2:3], v[6:7], off
.LBB368_371:
	s_andn2_b64 vcc, exec, s[22:23]
	s_cbranch_vccnz .LBB368_373
; %bb.372:
	v_cvt_f32_i32_e32 v1, v0
	global_store_dword v[2:3], v1, off
.LBB368_373:
	s_mov_b64 s[22:23], 0
.LBB368_374:
	s_andn2_b64 vcc, exec, s[22:23]
	s_cbranch_vccnz .LBB368_376
; %bb.375:
	v_cvt_f32_i32_e32 v1, v0
	v_cvt_f16_f32_e32 v1, v1
	global_store_short v[2:3], v1, off
.LBB368_376:
	s_mov_b64 s[22:23], 0
.LBB368_377:
	s_andn2_b64 vcc, exec, s[22:23]
	s_cbranch_vccnz .LBB368_393
; %bb.378:
	s_cmp_lt_i32 s26, 2
	s_mov_b64 s[22:23], -1
	s_cbranch_scc1 .LBB368_388
; %bb.379:
	s_cmp_lt_i32 s26, 3
	s_cbranch_scc1 .LBB368_385
; %bb.380:
	s_cmp_gt_i32 s26, 3
	s_cbranch_scc0 .LBB368_382
; %bb.381:
	v_ashrrev_i32_e32 v1, 31, v0
	s_mov_b64 s[22:23], 0
	global_store_dwordx2 v[2:3], v[0:1], off
.LBB368_382:
	s_andn2_b64 vcc, exec, s[22:23]
	s_cbranch_vccnz .LBB368_384
; %bb.383:
	global_store_dword v[2:3], v0, off
.LBB368_384:
	s_mov_b64 s[22:23], 0
.LBB368_385:
	s_andn2_b64 vcc, exec, s[22:23]
	s_cbranch_vccnz .LBB368_387
; %bb.386:
	global_store_short v[2:3], v0, off
.LBB368_387:
	s_mov_b64 s[22:23], 0
.LBB368_388:
	s_andn2_b64 vcc, exec, s[22:23]
	s_cbranch_vccnz .LBB368_393
; %bb.389:
	s_cmp_gt_i32 s26, 0
	s_mov_b64 s[22:23], -1
	s_cbranch_scc0 .LBB368_391
; %bb.390:
	s_mov_b64 s[22:23], 0
	global_store_byte v[2:3], v0, off
.LBB368_391:
	s_andn2_b64 vcc, exec, s[22:23]
	s_cbranch_vccnz .LBB368_393
; %bb.392:
	global_store_byte v[2:3], v0, off
.LBB368_393:
	s_mov_b64 s[22:23], -1
.LBB368_394:
	s_andn2_b64 vcc, exec, s[22:23]
	s_cbranch_vccnz .LBB368_396
; %bb.395:
	v_add_u32_e32 v4, 0x80, v4
	s_mov_b64 s[26:27], -1
	s_branch .LBB368_504
.LBB368_396:
	s_mov_b64 s[26:27], 0
                                        ; implicit-def: $vgpr4
	s_branch .LBB368_504
.LBB368_397:
	s_mov_b64 s[20:21], -1
                                        ; implicit-def: $vgpr2
.LBB368_398:
	s_mov_b64 s[22:23], 0
.LBB368_399:
	s_and_b64 vcc, exec, s[22:23]
	s_cbranch_vccz .LBB368_403
; %bb.400:
	s_cmp_eq_u32 s26, 29
	s_cbranch_scc0 .LBB368_402
; %bb.401:
	global_load_dword v2, v[0:1], off
	s_mov_b64 s[0:1], -1
	s_mov_b64 s[20:21], 0
	s_branch .LBB368_403
.LBB368_402:
	s_mov_b64 s[20:21], -1
                                        ; implicit-def: $vgpr2
.LBB368_403:
	s_mov_b64 s[22:23], 0
.LBB368_404:
	s_and_b64 vcc, exec, s[22:23]
	s_cbranch_vccz .LBB368_420
; %bb.405:
	s_cmp_lt_i32 s26, 27
	s_cbranch_scc1 .LBB368_408
; %bb.406:
	s_cmp_gt_i32 s26, 27
	s_cbranch_scc0 .LBB368_409
; %bb.407:
	global_load_dword v2, v[0:1], off
	s_mov_b64 s[0:1], 0
	s_branch .LBB368_410
.LBB368_408:
	s_mov_b64 s[0:1], -1
                                        ; implicit-def: $vgpr2
	s_branch .LBB368_413
.LBB368_409:
	s_mov_b64 s[0:1], -1
                                        ; implicit-def: $vgpr2
.LBB368_410:
	s_andn2_b64 vcc, exec, s[0:1]
	s_cbranch_vccnz .LBB368_412
; %bb.411:
	global_load_ushort v2, v[0:1], off
.LBB368_412:
	s_mov_b64 s[0:1], 0
.LBB368_413:
	s_andn2_b64 vcc, exec, s[0:1]
	s_cbranch_vccnz .LBB368_419
; %bb.414:
	global_load_ubyte v3, v[0:1], off
	s_movk_i32 s0, 0x7f
	s_mov_b64 s[22:23], 0
	s_waitcnt vmcnt(0)
	v_cmp_lt_i16_e32 vcc, s0, v3
	s_and_saveexec_b64 s[0:1], vcc
	s_xor_b64 s[0:1], exec, s[0:1]
	s_cbranch_execz .LBB368_431
; %bb.415:
	s_movk_i32 s22, 0x80
	v_cmp_ne_u16_e32 vcc, s22, v3
	s_and_b64 s[22:23], vcc, exec
	s_andn2_saveexec_b64 s[0:1], s[0:1]
	s_cbranch_execnz .LBB368_432
.LBB368_416:
	s_or_b64 exec, exec, s[0:1]
	v_mov_b32_e32 v2, 0
	s_and_saveexec_b64 s[0:1], s[22:23]
	s_cbranch_execz .LBB368_418
.LBB368_417:
	v_lshlrev_b32_e32 v2, 24, v3
	v_and_b32_e32 v3, 0xffff, v3
	v_and_b32_e32 v5, 7, v3
	v_ffbh_u32_e32 v7, v5
	v_min_u32_e32 v7, 32, v7
	v_subrev_u32_e32 v8, 28, v7
	v_bfe_u32 v6, v3, 3, 4
	v_lshlrev_b32_e32 v3, v8, v3
	v_sub_u32_e32 v7, 29, v7
	v_and_b32_e32 v3, 7, v3
	v_cmp_eq_u32_e32 vcc, 0, v6
	v_and_b32_e32 v2, 0x80000000, v2
	s_nop 0
	v_cndmask_b32_e32 v6, v6, v7, vcc
	v_cndmask_b32_e32 v3, v5, v3, vcc
	v_mov_b32_e32 v5, 0x3b800000
	v_lshlrev_b32_e32 v3, 20, v3
	v_lshl_add_u32 v5, v6, 23, v5
	v_or3_b32 v2, v2, v5, v3
	v_cvt_i32_f32_e32 v2, v2
.LBB368_418:
	s_or_b64 exec, exec, s[0:1]
.LBB368_419:
	s_mov_b64 s[0:1], -1
.LBB368_420:
	s_mov_b64 s[22:23], 0
.LBB368_421:
	s_and_b64 vcc, exec, s[22:23]
	s_cbranch_vccz .LBB368_454
; %bb.422:
	s_cmp_gt_i32 s26, 22
	s_cbranch_scc0 .LBB368_430
; %bb.423:
	s_cmp_lt_i32 s26, 24
	s_cbranch_scc1 .LBB368_433
; %bb.424:
	s_cmp_gt_i32 s26, 24
	s_cbranch_scc0 .LBB368_434
; %bb.425:
	global_load_ubyte v3, v[0:1], off
	s_movk_i32 s0, 0x7f
	s_mov_b64 s[22:23], 0
	s_waitcnt vmcnt(0)
	v_cmp_lt_i16_e32 vcc, s0, v3
	s_and_saveexec_b64 s[0:1], vcc
	s_xor_b64 s[0:1], exec, s[0:1]
	s_cbranch_execz .LBB368_446
; %bb.426:
	s_movk_i32 s22, 0x80
	v_cmp_ne_u16_e32 vcc, s22, v3
	s_and_b64 s[22:23], vcc, exec
	s_andn2_saveexec_b64 s[0:1], s[0:1]
	s_cbranch_execnz .LBB368_447
.LBB368_427:
	s_or_b64 exec, exec, s[0:1]
	v_mov_b32_e32 v2, 0
	s_and_saveexec_b64 s[0:1], s[22:23]
	s_cbranch_execz .LBB368_429
.LBB368_428:
	v_lshlrev_b32_e32 v2, 24, v3
	v_and_b32_e32 v3, 0xffff, v3
	v_and_b32_e32 v5, 3, v3
	v_ffbh_u32_e32 v7, v5
	v_min_u32_e32 v7, 32, v7
	v_subrev_u32_e32 v8, 29, v7
	v_bfe_u32 v6, v3, 2, 5
	v_lshlrev_b32_e32 v3, v8, v3
	v_sub_u32_e32 v7, 30, v7
	v_and_b32_e32 v3, 3, v3
	v_cmp_eq_u32_e32 vcc, 0, v6
	v_and_b32_e32 v2, 0x80000000, v2
	s_nop 0
	v_cndmask_b32_e32 v6, v6, v7, vcc
	v_cndmask_b32_e32 v3, v5, v3, vcc
	v_mov_b32_e32 v5, 0x37800000
	v_lshlrev_b32_e32 v3, 21, v3
	v_lshl_add_u32 v5, v6, 23, v5
	v_or3_b32 v2, v2, v5, v3
	v_cvt_i32_f32_e32 v2, v2
.LBB368_429:
	s_or_b64 exec, exec, s[0:1]
	s_mov_b64 s[0:1], 0
	s_branch .LBB368_435
.LBB368_430:
	s_mov_b64 s[22:23], -1
                                        ; implicit-def: $vgpr2
	s_branch .LBB368_441
.LBB368_431:
	s_andn2_saveexec_b64 s[0:1], s[0:1]
	s_cbranch_execz .LBB368_416
.LBB368_432:
	v_cmp_ne_u16_e32 vcc, 0, v3
	s_andn2_b64 s[22:23], s[22:23], exec
	s_and_b64 s[28:29], vcc, exec
	s_or_b64 s[22:23], s[22:23], s[28:29]
	s_or_b64 exec, exec, s[0:1]
	v_mov_b32_e32 v2, 0
	s_and_saveexec_b64 s[0:1], s[22:23]
	s_cbranch_execnz .LBB368_417
	s_branch .LBB368_418
.LBB368_433:
	s_mov_b64 s[0:1], -1
                                        ; implicit-def: $vgpr2
	s_branch .LBB368_438
.LBB368_434:
	s_mov_b64 s[0:1], -1
                                        ; implicit-def: $vgpr2
.LBB368_435:
	s_and_b64 vcc, exec, s[0:1]
	s_cbranch_vccz .LBB368_437
; %bb.436:
	global_load_ubyte v2, v[0:1], off
	s_mov_b32 s0, 0x7f800000
	s_waitcnt vmcnt(0)
	v_lshlrev_b32_e32 v2, 24, v2
	v_and_b32_e32 v3, 0x7f000000, v2
	v_ffbh_u32_e32 v5, v3
	v_min_u32_e32 v5, 32, v5
	v_sub_u32_e64 v5, v5, 4 clamp
	v_lshlrev_b32_e32 v7, v5, v3
	v_lshlrev_b32_e32 v5, 23, v5
	v_lshrrev_b32_e32 v7, 4, v7
	v_add_u32_e32 v6, 0x1000000, v3
	v_sub_u32_e32 v5, v7, v5
	v_ashrrev_i32_e32 v6, 8, v6
	v_add_u32_e32 v5, 0x3c000000, v5
	v_and_or_b32 v5, v6, s0, v5
	v_cmp_ne_u32_e32 vcc, 0, v3
	s_brev_b32 s0, 1
	s_nop 0
	v_cndmask_b32_e32 v3, 0, v5, vcc
	v_and_or_b32 v2, v2, s0, v3
	v_cvt_i32_f32_e32 v2, v2
.LBB368_437:
	s_mov_b64 s[0:1], 0
.LBB368_438:
	s_andn2_b64 vcc, exec, s[0:1]
	s_cbranch_vccnz .LBB368_440
; %bb.439:
	global_load_ubyte v2, v[0:1], off
	s_movk_i32 s0, 0x7f00
	s_brev_b32 s1, 16
	s_waitcnt vmcnt(0)
	v_lshlrev_b16_e32 v3, 8, v2
	v_lshlrev_b32_e32 v2, 25, v2
	v_lshrrev_b32_e32 v5, 4, v2
	v_and_or_b32 v6, v3, s0, 0.5
	v_or_b32_e32 v5, 0x70000000, v5
	v_add_f32_e32 v6, -0.5, v6
	v_mul_f32_e32 v5, 0x7800000, v5
	v_cmp_gt_u32_e32 vcc, s1, v2
	v_bfe_i32 v3, v3, 0, 16
	s_brev_b32 s0, 1
	v_cndmask_b32_e32 v2, v5, v6, vcc
	v_and_or_b32 v2, v3, s0, v2
	v_cvt_i32_f32_e32 v2, v2
.LBB368_440:
	s_mov_b64 s[22:23], 0
	s_mov_b64 s[0:1], -1
.LBB368_441:
	s_andn2_b64 vcc, exec, s[22:23]
	s_cbranch_vccnz .LBB368_454
; %bb.442:
	s_cmp_gt_i32 s26, 14
	s_cbranch_scc0 .LBB368_445
; %bb.443:
	s_cmp_eq_u32 s26, 15
	s_cbranch_scc0 .LBB368_448
; %bb.444:
	global_load_ushort v2, v[0:1], off
	s_mov_b64 s[0:1], -1
	s_mov_b64 s[20:21], 0
	s_waitcnt vmcnt(0)
	v_lshlrev_b32_e32 v2, 16, v2
	v_cvt_i32_f32_e32 v2, v2
	s_branch .LBB368_449
.LBB368_445:
	s_mov_b64 s[22:23], -1
                                        ; implicit-def: $vgpr2
	s_branch .LBB368_450
.LBB368_446:
	s_andn2_saveexec_b64 s[0:1], s[0:1]
	s_cbranch_execz .LBB368_427
.LBB368_447:
	v_cmp_ne_u16_e32 vcc, 0, v3
	s_andn2_b64 s[22:23], s[22:23], exec
	s_and_b64 s[28:29], vcc, exec
	s_or_b64 s[22:23], s[22:23], s[28:29]
	s_or_b64 exec, exec, s[0:1]
	v_mov_b32_e32 v2, 0
	s_and_saveexec_b64 s[0:1], s[22:23]
	s_cbranch_execnz .LBB368_428
	s_branch .LBB368_429
.LBB368_448:
	s_mov_b64 s[20:21], -1
                                        ; implicit-def: $vgpr2
.LBB368_449:
	s_mov_b64 s[22:23], 0
.LBB368_450:
	s_and_b64 vcc, exec, s[22:23]
	s_cbranch_vccz .LBB368_454
; %bb.451:
	s_cmp_eq_u32 s26, 11
	s_cbranch_scc0 .LBB368_453
; %bb.452:
	global_load_ubyte v2, v[0:1], off
	s_mov_b64 s[0:1], -1
	s_mov_b64 s[20:21], 0
	s_waitcnt vmcnt(0)
	v_cmp_ne_u16_e32 vcc, 0, v2
	s_nop 1
	v_cndmask_b32_e64 v2, 0, 1, vcc
	s_branch .LBB368_454
.LBB368_453:
	s_mov_b64 s[20:21], -1
                                        ; implicit-def: $vgpr2
.LBB368_454:
	s_branch .LBB368_261
.LBB368_455:
	s_cmp_lt_i32 s26, 5
	s_cbranch_scc1 .LBB368_460
; %bb.456:
	s_cmp_lt_i32 s26, 8
	s_cbranch_scc1 .LBB368_461
; %bb.457:
	;; [unrolled: 3-line block ×3, first 2 shown]
	s_cmp_gt_i32 s26, 9
	s_cbranch_scc0 .LBB368_463
; %bb.459:
	global_load_dwordx2 v[2:3], v[0:1], off
	s_mov_b64 s[0:1], 0
	s_waitcnt vmcnt(0)
	v_cvt_i32_f64_e32 v2, v[2:3]
	s_branch .LBB368_464
.LBB368_460:
	s_mov_b64 s[0:1], -1
                                        ; implicit-def: $vgpr2
	s_branch .LBB368_482
.LBB368_461:
	s_mov_b64 s[0:1], -1
                                        ; implicit-def: $vgpr2
	s_branch .LBB368_470
.LBB368_462:
	s_mov_b64 s[0:1], -1
                                        ; implicit-def: $vgpr2
	s_branch .LBB368_467
.LBB368_463:
	s_mov_b64 s[0:1], -1
                                        ; implicit-def: $vgpr2
.LBB368_464:
	s_andn2_b64 vcc, exec, s[0:1]
	s_cbranch_vccnz .LBB368_466
; %bb.465:
	global_load_dword v2, v[0:1], off
	s_waitcnt vmcnt(0)
	v_cvt_i32_f32_e32 v2, v2
.LBB368_466:
	s_mov_b64 s[0:1], 0
.LBB368_467:
	s_andn2_b64 vcc, exec, s[0:1]
	s_cbranch_vccnz .LBB368_469
; %bb.468:
	global_load_dword v2, v[0:1], off
	s_waitcnt vmcnt(0)
	v_cvt_f32_f16_e32 v2, v2
	v_cvt_i32_f32_e32 v2, v2
.LBB368_469:
	s_mov_b64 s[0:1], 0
.LBB368_470:
	s_andn2_b64 vcc, exec, s[0:1]
	s_cbranch_vccnz .LBB368_481
; %bb.471:
	s_cmp_lt_i32 s26, 6
	s_cbranch_scc1 .LBB368_474
; %bb.472:
	s_cmp_gt_i32 s26, 6
	s_cbranch_scc0 .LBB368_475
; %bb.473:
	global_load_dwordx2 v[2:3], v[0:1], off
	s_mov_b64 s[0:1], 0
	s_waitcnt vmcnt(0)
	v_cvt_i32_f64_e32 v2, v[2:3]
	s_branch .LBB368_476
.LBB368_474:
	s_mov_b64 s[0:1], -1
                                        ; implicit-def: $vgpr2
	s_branch .LBB368_479
.LBB368_475:
	s_mov_b64 s[0:1], -1
                                        ; implicit-def: $vgpr2
.LBB368_476:
	s_andn2_b64 vcc, exec, s[0:1]
	s_cbranch_vccnz .LBB368_478
; %bb.477:
	global_load_dword v2, v[0:1], off
	s_waitcnt vmcnt(0)
	v_cvt_i32_f32_e32 v2, v2
.LBB368_478:
	s_mov_b64 s[0:1], 0
.LBB368_479:
	s_andn2_b64 vcc, exec, s[0:1]
	s_cbranch_vccnz .LBB368_481
; %bb.480:
	global_load_ushort v2, v[0:1], off
	s_waitcnt vmcnt(0)
	v_cvt_f32_f16_e32 v2, v2
	v_cvt_i32_f32_e32 v2, v2
.LBB368_481:
	s_mov_b64 s[0:1], 0
.LBB368_482:
	s_andn2_b64 vcc, exec, s[0:1]
	s_cbranch_vccnz .LBB368_502
; %bb.483:
	s_cmp_lt_i32 s26, 2
	s_cbranch_scc1 .LBB368_487
; %bb.484:
	s_cmp_lt_i32 s26, 3
	s_cbranch_scc1 .LBB368_488
; %bb.485:
	s_cmp_gt_i32 s26, 3
	s_cbranch_scc0 .LBB368_489
; %bb.486:
	global_load_dword v2, v[0:1], off
	s_mov_b64 s[0:1], 0
	s_branch .LBB368_490
.LBB368_487:
	s_mov_b64 s[0:1], -1
                                        ; implicit-def: $vgpr2
	s_branch .LBB368_496
.LBB368_488:
	s_mov_b64 s[0:1], -1
                                        ; implicit-def: $vgpr2
	s_branch .LBB368_493
.LBB368_489:
	s_mov_b64 s[0:1], -1
                                        ; implicit-def: $vgpr2
.LBB368_490:
	s_andn2_b64 vcc, exec, s[0:1]
	s_cbranch_vccnz .LBB368_492
; %bb.491:
	global_load_dword v2, v[0:1], off
.LBB368_492:
	s_mov_b64 s[0:1], 0
.LBB368_493:
	s_andn2_b64 vcc, exec, s[0:1]
	s_cbranch_vccnz .LBB368_495
; %bb.494:
	global_load_sshort v2, v[0:1], off
.LBB368_495:
	s_mov_b64 s[0:1], 0
.LBB368_496:
	s_andn2_b64 vcc, exec, s[0:1]
	s_cbranch_vccnz .LBB368_502
; %bb.497:
	s_cmp_gt_i32 s26, 0
	s_cbranch_scc0 .LBB368_499
; %bb.498:
	global_load_sbyte v2, v[0:1], off
	s_mov_b64 s[0:1], 0
	s_branch .LBB368_500
.LBB368_499:
	s_mov_b64 s[0:1], -1
                                        ; implicit-def: $vgpr2
.LBB368_500:
	s_andn2_b64 vcc, exec, s[0:1]
	s_cbranch_vccnz .LBB368_502
; %bb.501:
	global_load_ubyte v2, v[0:1], off
.LBB368_502:
	s_branch .LBB368_262
.LBB368_503:
	s_mov_b64 s[26:27], 0
                                        ; implicit-def: $vgpr4
	s_mov_b64 s[0:1], s[14:15]
.LBB368_504:
	s_andn2_b64 s[22:23], s[14:15], exec
	s_and_b64 s[0:1], s[0:1], exec
	s_or_b64 s[22:23], s[22:23], s[0:1]
	s_andn2_b64 s[0:1], s[16:17], exec
	s_and_b64 s[20:21], s[20:21], exec
	s_or_b64 s[20:21], s[0:1], s[20:21]
	s_orn2_b64 s[0:1], s[26:27], exec
.LBB368_505:
	s_or_b64 exec, exec, s[24:25]
	s_mov_b64 s[26:27], 0
	s_mov_b64 s[28:29], 0
	;; [unrolled: 1-line block ×3, first 2 shown]
                                        ; implicit-def: $vgpr0_vgpr1
                                        ; implicit-def: $vgpr5
	s_and_saveexec_b64 s[24:25], s[0:1]
	s_cbranch_execz .LBB368_842
; %bb.506:
	v_cmp_gt_i32_e32 vcc, s40, v4
	s_mov_b64 s[36:37], -1
	s_mov_b64 s[0:1], s[20:21]
	s_mov_b64 s[30:31], s[22:23]
	s_and_saveexec_b64 s[26:27], vcc
	s_cbranch_execz .LBB368_760
; %bb.507:
	v_mul_lo_u32 v0, v4, s9
	v_ashrrev_i32_e32 v1, 31, v0
	s_and_b32 s34, 0xffff, s11
	s_cmp_lt_i32 s34, 11
	v_lshl_add_u64 v[0:1], s[6:7], 0, v[0:1]
	s_cbranch_scc1 .LBB368_514
; %bb.508:
	s_cmp_gt_i32 s34, 25
	s_cbranch_scc0 .LBB368_515
; %bb.509:
	s_cmp_gt_i32 s34, 28
	s_cbranch_scc0 .LBB368_516
	;; [unrolled: 3-line block ×4, first 2 shown]
; %bb.512:
	s_cmp_eq_u32 s34, 46
	s_mov_b64 s[30:31], 0
	s_cbranch_scc0 .LBB368_523
; %bb.513:
	global_load_dword v2, v[0:1], off
	s_mov_b64 s[0:1], -1
	s_waitcnt vmcnt(0)
	v_lshlrev_b32_e32 v2, 16, v2
	v_cvt_i32_f32_e32 v2, v2
	s_branch .LBB368_524
.LBB368_514:
	s_mov_b64 s[30:31], -1
	s_mov_b64 s[0:1], 0
                                        ; implicit-def: $vgpr2
	s_mov_b64 s[28:29], s[20:21]
	s_branch .LBB368_585
.LBB368_515:
	s_mov_b64 s[30:31], -1
	s_mov_b64 s[0:1], 0
	s_mov_b64 s[28:29], s[20:21]
                                        ; implicit-def: $vgpr2
	s_branch .LBB368_551
.LBB368_516:
	s_mov_b64 s[30:31], -1
	s_mov_b64 s[0:1], 0
	s_mov_b64 s[28:29], s[20:21]
                                        ; implicit-def: $vgpr2
	s_branch .LBB368_534
.LBB368_517:
	s_mov_b64 s[30:31], -1
	s_mov_b64 s[0:1], 0
	s_mov_b64 s[28:29], s[20:21]
                                        ; implicit-def: $vgpr2
	s_branch .LBB368_529
.LBB368_518:
	s_andn2_saveexec_b64 s[28:29], s[28:29]
	s_cbranch_execz .LBB368_307
.LBB368_519:
	s_mov_b32 s34, 0x46000000
	v_add_f32_e64 v5, |v1|, s34
	v_and_b32_e32 v5, 0xff, v5
	v_cmp_ne_u32_e32 vcc, 0, v5
	s_andn2_b64 s[26:27], s[26:27], exec
	s_and_b64 s[34:35], vcc, exec
	s_or_b64 s[26:27], s[26:27], s[34:35]
	s_or_b64 exec, exec, s[28:29]
	v_mov_b32_e32 v6, 0
	s_and_saveexec_b64 s[28:29], s[26:27]
	s_cbranch_execnz .LBB368_308
	s_branch .LBB368_309
.LBB368_520:
	s_mov_b64 s[30:31], -1
	s_mov_b64 s[0:1], 0
	s_mov_b64 s[28:29], s[20:21]
                                        ; implicit-def: $vgpr2
	s_branch .LBB368_524
.LBB368_521:
	s_andn2_saveexec_b64 s[28:29], s[28:29]
	s_cbranch_execz .LBB368_320
.LBB368_522:
	s_mov_b32 s34, 0x42800000
	v_add_f32_e64 v5, |v1|, s34
	v_and_b32_e32 v5, 0xff, v5
	v_cmp_ne_u32_e32 vcc, 0, v5
	s_andn2_b64 s[26:27], s[26:27], exec
	s_and_b64 s[34:35], vcc, exec
	s_or_b64 s[26:27], s[26:27], s[34:35]
	s_or_b64 exec, exec, s[28:29]
	v_mov_b32_e32 v6, 0
	s_and_saveexec_b64 s[28:29], s[26:27]
	s_cbranch_execnz .LBB368_321
	s_branch .LBB368_322
.LBB368_523:
	s_mov_b64 s[28:29], -1
                                        ; implicit-def: $vgpr2
	s_mov_b64 s[0:1], 0
.LBB368_524:
	s_and_b64 vcc, exec, s[30:31]
	s_cbranch_vccz .LBB368_528
; %bb.525:
	s_cmp_eq_u32 s34, 44
	s_cbranch_scc0 .LBB368_527
; %bb.526:
	global_load_ubyte v2, v[0:1], off
	s_mov_b64 s[0:1], -1
	s_mov_b64 s[28:29], 0
	s_waitcnt vmcnt(0)
	v_lshlrev_b32_e32 v3, 23, v2
	v_cvt_i32_f32_e32 v3, v3
	v_cmp_ne_u32_e32 vcc, 0, v2
	s_nop 1
	v_cndmask_b32_e32 v2, 0, v3, vcc
	s_branch .LBB368_528
.LBB368_527:
	s_mov_b64 s[28:29], -1
                                        ; implicit-def: $vgpr2
.LBB368_528:
	s_mov_b64 s[30:31], 0
.LBB368_529:
	s_and_b64 vcc, exec, s[30:31]
	s_cbranch_vccz .LBB368_533
; %bb.530:
	s_cmp_eq_u32 s34, 29
	s_cbranch_scc0 .LBB368_532
; %bb.531:
	global_load_dword v2, v[0:1], off
	s_mov_b64 s[0:1], -1
	s_mov_b64 s[28:29], 0
	s_branch .LBB368_533
.LBB368_532:
	s_mov_b64 s[28:29], -1
                                        ; implicit-def: $vgpr2
.LBB368_533:
	s_mov_b64 s[30:31], 0
.LBB368_534:
	s_and_b64 vcc, exec, s[30:31]
	s_cbranch_vccz .LBB368_550
; %bb.535:
	s_cmp_lt_i32 s34, 27
	s_cbranch_scc1 .LBB368_538
; %bb.536:
	s_cmp_gt_i32 s34, 27
	s_cbranch_scc0 .LBB368_539
; %bb.537:
	global_load_dword v2, v[0:1], off
	s_mov_b64 s[0:1], 0
	s_branch .LBB368_540
.LBB368_538:
	s_mov_b64 s[0:1], -1
                                        ; implicit-def: $vgpr2
	s_branch .LBB368_543
.LBB368_539:
	s_mov_b64 s[0:1], -1
                                        ; implicit-def: $vgpr2
.LBB368_540:
	s_andn2_b64 vcc, exec, s[0:1]
	s_cbranch_vccnz .LBB368_542
; %bb.541:
	global_load_ushort v2, v[0:1], off
.LBB368_542:
	s_mov_b64 s[0:1], 0
.LBB368_543:
	s_andn2_b64 vcc, exec, s[0:1]
	s_cbranch_vccnz .LBB368_549
; %bb.544:
	global_load_ubyte v3, v[0:1], off
	s_movk_i32 s0, 0x7f
	s_mov_b64 s[30:31], 0
	s_waitcnt vmcnt(0)
	v_cmp_lt_i16_e32 vcc, s0, v3
	s_and_saveexec_b64 s[0:1], vcc
	s_xor_b64 s[0:1], exec, s[0:1]
	s_cbranch_execz .LBB368_561
; %bb.545:
	s_movk_i32 s30, 0x80
	v_cmp_ne_u16_e32 vcc, s30, v3
	s_and_b64 s[30:31], vcc, exec
	s_andn2_saveexec_b64 s[0:1], s[0:1]
	s_cbranch_execnz .LBB368_562
.LBB368_546:
	s_or_b64 exec, exec, s[0:1]
	v_mov_b32_e32 v2, 0
	s_and_saveexec_b64 s[0:1], s[30:31]
	s_cbranch_execz .LBB368_548
.LBB368_547:
	v_lshlrev_b32_e32 v2, 24, v3
	v_and_b32_e32 v3, 0xffff, v3
	v_and_b32_e32 v5, 7, v3
	v_ffbh_u32_e32 v7, v5
	v_min_u32_e32 v7, 32, v7
	v_subrev_u32_e32 v8, 28, v7
	v_bfe_u32 v6, v3, 3, 4
	v_lshlrev_b32_e32 v3, v8, v3
	v_sub_u32_e32 v7, 29, v7
	v_and_b32_e32 v3, 7, v3
	v_cmp_eq_u32_e32 vcc, 0, v6
	v_and_b32_e32 v2, 0x80000000, v2
	s_nop 0
	v_cndmask_b32_e32 v6, v6, v7, vcc
	v_cndmask_b32_e32 v3, v5, v3, vcc
	v_mov_b32_e32 v5, 0x3b800000
	v_lshlrev_b32_e32 v3, 20, v3
	v_lshl_add_u32 v5, v6, 23, v5
	v_or3_b32 v2, v2, v5, v3
	v_cvt_i32_f32_e32 v2, v2
.LBB368_548:
	s_or_b64 exec, exec, s[0:1]
.LBB368_549:
	s_mov_b64 s[0:1], -1
.LBB368_550:
	s_mov_b64 s[30:31], 0
.LBB368_551:
	s_and_b64 vcc, exec, s[30:31]
	s_cbranch_vccz .LBB368_584
; %bb.552:
	s_cmp_gt_i32 s34, 22
	s_cbranch_scc0 .LBB368_560
; %bb.553:
	s_cmp_lt_i32 s34, 24
	s_cbranch_scc1 .LBB368_563
; %bb.554:
	s_cmp_gt_i32 s34, 24
	s_cbranch_scc0 .LBB368_564
; %bb.555:
	global_load_ubyte v3, v[0:1], off
	s_movk_i32 s0, 0x7f
	s_mov_b64 s[30:31], 0
	s_waitcnt vmcnt(0)
	v_cmp_lt_i16_e32 vcc, s0, v3
	s_and_saveexec_b64 s[0:1], vcc
	s_xor_b64 s[0:1], exec, s[0:1]
	s_cbranch_execz .LBB368_576
; %bb.556:
	s_movk_i32 s30, 0x80
	v_cmp_ne_u16_e32 vcc, s30, v3
	s_and_b64 s[30:31], vcc, exec
	s_andn2_saveexec_b64 s[0:1], s[0:1]
	s_cbranch_execnz .LBB368_577
.LBB368_557:
	s_or_b64 exec, exec, s[0:1]
	v_mov_b32_e32 v2, 0
	s_and_saveexec_b64 s[0:1], s[30:31]
	s_cbranch_execz .LBB368_559
.LBB368_558:
	v_lshlrev_b32_e32 v2, 24, v3
	v_and_b32_e32 v3, 0xffff, v3
	v_and_b32_e32 v5, 3, v3
	v_ffbh_u32_e32 v7, v5
	v_min_u32_e32 v7, 32, v7
	v_subrev_u32_e32 v8, 29, v7
	v_bfe_u32 v6, v3, 2, 5
	v_lshlrev_b32_e32 v3, v8, v3
	v_sub_u32_e32 v7, 30, v7
	v_and_b32_e32 v3, 3, v3
	v_cmp_eq_u32_e32 vcc, 0, v6
	v_and_b32_e32 v2, 0x80000000, v2
	s_nop 0
	v_cndmask_b32_e32 v6, v6, v7, vcc
	v_cndmask_b32_e32 v3, v5, v3, vcc
	v_mov_b32_e32 v5, 0x37800000
	v_lshlrev_b32_e32 v3, 21, v3
	v_lshl_add_u32 v5, v6, 23, v5
	v_or3_b32 v2, v2, v5, v3
	v_cvt_i32_f32_e32 v2, v2
.LBB368_559:
	s_or_b64 exec, exec, s[0:1]
	s_mov_b64 s[0:1], 0
	s_branch .LBB368_565
.LBB368_560:
	s_mov_b64 s[30:31], -1
                                        ; implicit-def: $vgpr2
	s_branch .LBB368_571
.LBB368_561:
	s_andn2_saveexec_b64 s[0:1], s[0:1]
	s_cbranch_execz .LBB368_546
.LBB368_562:
	v_cmp_ne_u16_e32 vcc, 0, v3
	s_andn2_b64 s[30:31], s[30:31], exec
	s_and_b64 s[36:37], vcc, exec
	s_or_b64 s[30:31], s[30:31], s[36:37]
	s_or_b64 exec, exec, s[0:1]
	v_mov_b32_e32 v2, 0
	s_and_saveexec_b64 s[0:1], s[30:31]
	s_cbranch_execnz .LBB368_547
	s_branch .LBB368_548
.LBB368_563:
	s_mov_b64 s[0:1], -1
                                        ; implicit-def: $vgpr2
	s_branch .LBB368_568
.LBB368_564:
	s_mov_b64 s[0:1], -1
                                        ; implicit-def: $vgpr2
.LBB368_565:
	s_and_b64 vcc, exec, s[0:1]
	s_cbranch_vccz .LBB368_567
; %bb.566:
	global_load_ubyte v2, v[0:1], off
	s_mov_b32 s0, 0x7f800000
	s_waitcnt vmcnt(0)
	v_lshlrev_b32_e32 v2, 24, v2
	v_and_b32_e32 v3, 0x7f000000, v2
	v_ffbh_u32_e32 v5, v3
	v_min_u32_e32 v5, 32, v5
	v_sub_u32_e64 v5, v5, 4 clamp
	v_lshlrev_b32_e32 v7, v5, v3
	v_lshlrev_b32_e32 v5, 23, v5
	v_lshrrev_b32_e32 v7, 4, v7
	v_add_u32_e32 v6, 0x1000000, v3
	v_sub_u32_e32 v5, v7, v5
	v_ashrrev_i32_e32 v6, 8, v6
	v_add_u32_e32 v5, 0x3c000000, v5
	v_and_or_b32 v5, v6, s0, v5
	v_cmp_ne_u32_e32 vcc, 0, v3
	s_brev_b32 s0, 1
	s_nop 0
	v_cndmask_b32_e32 v3, 0, v5, vcc
	v_and_or_b32 v2, v2, s0, v3
	v_cvt_i32_f32_e32 v2, v2
.LBB368_567:
	s_mov_b64 s[0:1], 0
.LBB368_568:
	s_andn2_b64 vcc, exec, s[0:1]
	s_cbranch_vccnz .LBB368_570
; %bb.569:
	global_load_ubyte v2, v[0:1], off
	s_movk_i32 s0, 0x7f00
	s_brev_b32 s1, 16
	s_waitcnt vmcnt(0)
	v_lshlrev_b16_e32 v3, 8, v2
	v_lshlrev_b32_e32 v2, 25, v2
	v_lshrrev_b32_e32 v5, 4, v2
	v_and_or_b32 v6, v3, s0, 0.5
	v_or_b32_e32 v5, 0x70000000, v5
	v_add_f32_e32 v6, -0.5, v6
	v_mul_f32_e32 v5, 0x7800000, v5
	v_cmp_gt_u32_e32 vcc, s1, v2
	v_bfe_i32 v3, v3, 0, 16
	s_brev_b32 s0, 1
	v_cndmask_b32_e32 v2, v5, v6, vcc
	v_and_or_b32 v2, v3, s0, v2
	v_cvt_i32_f32_e32 v2, v2
.LBB368_570:
	s_mov_b64 s[30:31], 0
	s_mov_b64 s[0:1], -1
.LBB368_571:
	s_andn2_b64 vcc, exec, s[30:31]
	s_cbranch_vccnz .LBB368_584
; %bb.572:
	s_cmp_gt_i32 s34, 14
	s_cbranch_scc0 .LBB368_575
; %bb.573:
	s_cmp_eq_u32 s34, 15
	s_cbranch_scc0 .LBB368_578
; %bb.574:
	global_load_ushort v2, v[0:1], off
	s_mov_b64 s[0:1], -1
	s_mov_b64 s[28:29], 0
	s_waitcnt vmcnt(0)
	v_lshlrev_b32_e32 v2, 16, v2
	v_cvt_i32_f32_e32 v2, v2
	s_branch .LBB368_579
.LBB368_575:
	s_mov_b64 s[30:31], -1
                                        ; implicit-def: $vgpr2
	s_branch .LBB368_580
.LBB368_576:
	s_andn2_saveexec_b64 s[0:1], s[0:1]
	s_cbranch_execz .LBB368_557
.LBB368_577:
	v_cmp_ne_u16_e32 vcc, 0, v3
	s_andn2_b64 s[30:31], s[30:31], exec
	s_and_b64 s[36:37], vcc, exec
	s_or_b64 s[30:31], s[30:31], s[36:37]
	s_or_b64 exec, exec, s[0:1]
	v_mov_b32_e32 v2, 0
	s_and_saveexec_b64 s[0:1], s[30:31]
	s_cbranch_execnz .LBB368_558
	s_branch .LBB368_559
.LBB368_578:
	s_mov_b64 s[28:29], -1
                                        ; implicit-def: $vgpr2
.LBB368_579:
	s_mov_b64 s[30:31], 0
.LBB368_580:
	s_and_b64 vcc, exec, s[30:31]
	s_cbranch_vccz .LBB368_584
; %bb.581:
	s_cmp_eq_u32 s34, 11
	s_cbranch_scc0 .LBB368_583
; %bb.582:
	global_load_ubyte v2, v[0:1], off
	s_mov_b64 s[0:1], -1
	s_mov_b64 s[28:29], 0
	s_waitcnt vmcnt(0)
	v_cmp_ne_u16_e32 vcc, 0, v2
	s_nop 1
	v_cndmask_b32_e64 v2, 0, 1, vcc
	s_branch .LBB368_584
.LBB368_583:
	s_mov_b64 s[28:29], -1
                                        ; implicit-def: $vgpr2
.LBB368_584:
	s_mov_b64 s[30:31], 0
.LBB368_585:
	s_and_b64 vcc, exec, s[30:31]
	s_cbranch_vccz .LBB368_634
; %bb.586:
	s_cmp_lt_i32 s34, 5
	s_cbranch_scc1 .LBB368_591
; %bb.587:
	s_cmp_lt_i32 s34, 8
	s_cbranch_scc1 .LBB368_592
	;; [unrolled: 3-line block ×3, first 2 shown]
; %bb.589:
	s_cmp_gt_i32 s34, 9
	s_cbranch_scc0 .LBB368_594
; %bb.590:
	global_load_dwordx2 v[2:3], v[0:1], off
	s_mov_b64 s[0:1], 0
	s_waitcnt vmcnt(0)
	v_cvt_i32_f64_e32 v2, v[2:3]
	s_branch .LBB368_595
.LBB368_591:
	s_mov_b64 s[0:1], -1
                                        ; implicit-def: $vgpr2
	s_branch .LBB368_613
.LBB368_592:
	s_mov_b64 s[0:1], -1
                                        ; implicit-def: $vgpr2
	s_branch .LBB368_601
.LBB368_593:
	s_mov_b64 s[0:1], -1
                                        ; implicit-def: $vgpr2
	s_branch .LBB368_598
.LBB368_594:
	s_mov_b64 s[0:1], -1
                                        ; implicit-def: $vgpr2
.LBB368_595:
	s_andn2_b64 vcc, exec, s[0:1]
	s_cbranch_vccnz .LBB368_597
; %bb.596:
	global_load_dword v2, v[0:1], off
	s_waitcnt vmcnt(0)
	v_cvt_i32_f32_e32 v2, v2
.LBB368_597:
	s_mov_b64 s[0:1], 0
.LBB368_598:
	s_andn2_b64 vcc, exec, s[0:1]
	s_cbranch_vccnz .LBB368_600
; %bb.599:
	global_load_dword v2, v[0:1], off
	s_waitcnt vmcnt(0)
	v_cvt_f32_f16_e32 v2, v2
	v_cvt_i32_f32_e32 v2, v2
.LBB368_600:
	s_mov_b64 s[0:1], 0
.LBB368_601:
	s_andn2_b64 vcc, exec, s[0:1]
	s_cbranch_vccnz .LBB368_612
; %bb.602:
	s_cmp_lt_i32 s34, 6
	s_cbranch_scc1 .LBB368_605
; %bb.603:
	s_cmp_gt_i32 s34, 6
	s_cbranch_scc0 .LBB368_606
; %bb.604:
	global_load_dwordx2 v[2:3], v[0:1], off
	s_mov_b64 s[0:1], 0
	s_waitcnt vmcnt(0)
	v_cvt_i32_f64_e32 v2, v[2:3]
	s_branch .LBB368_607
.LBB368_605:
	s_mov_b64 s[0:1], -1
                                        ; implicit-def: $vgpr2
	s_branch .LBB368_610
.LBB368_606:
	s_mov_b64 s[0:1], -1
                                        ; implicit-def: $vgpr2
.LBB368_607:
	s_andn2_b64 vcc, exec, s[0:1]
	s_cbranch_vccnz .LBB368_609
; %bb.608:
	global_load_dword v2, v[0:1], off
	s_waitcnt vmcnt(0)
	v_cvt_i32_f32_e32 v2, v2
.LBB368_609:
	s_mov_b64 s[0:1], 0
.LBB368_610:
	s_andn2_b64 vcc, exec, s[0:1]
	s_cbranch_vccnz .LBB368_612
; %bb.611:
	global_load_ushort v2, v[0:1], off
	s_waitcnt vmcnt(0)
	v_cvt_f32_f16_e32 v2, v2
	v_cvt_i32_f32_e32 v2, v2
.LBB368_612:
	s_mov_b64 s[0:1], 0
.LBB368_613:
	s_andn2_b64 vcc, exec, s[0:1]
	s_cbranch_vccnz .LBB368_633
; %bb.614:
	s_cmp_lt_i32 s34, 2
	s_cbranch_scc1 .LBB368_618
; %bb.615:
	s_cmp_lt_i32 s34, 3
	s_cbranch_scc1 .LBB368_619
; %bb.616:
	s_cmp_gt_i32 s34, 3
	s_cbranch_scc0 .LBB368_620
; %bb.617:
	global_load_dword v2, v[0:1], off
	s_mov_b64 s[0:1], 0
	s_branch .LBB368_621
.LBB368_618:
	s_mov_b64 s[0:1], -1
                                        ; implicit-def: $vgpr2
	s_branch .LBB368_627
.LBB368_619:
	s_mov_b64 s[0:1], -1
                                        ; implicit-def: $vgpr2
	s_branch .LBB368_624
.LBB368_620:
	s_mov_b64 s[0:1], -1
                                        ; implicit-def: $vgpr2
.LBB368_621:
	s_andn2_b64 vcc, exec, s[0:1]
	s_cbranch_vccnz .LBB368_623
; %bb.622:
	global_load_dword v2, v[0:1], off
.LBB368_623:
	s_mov_b64 s[0:1], 0
.LBB368_624:
	s_andn2_b64 vcc, exec, s[0:1]
	s_cbranch_vccnz .LBB368_626
; %bb.625:
	global_load_sshort v2, v[0:1], off
.LBB368_626:
	s_mov_b64 s[0:1], 0
.LBB368_627:
	s_andn2_b64 vcc, exec, s[0:1]
	s_cbranch_vccnz .LBB368_633
; %bb.628:
	s_cmp_gt_i32 s34, 0
	s_cbranch_scc0 .LBB368_630
; %bb.629:
	global_load_sbyte v2, v[0:1], off
	s_mov_b64 s[0:1], 0
	s_branch .LBB368_631
.LBB368_630:
	s_mov_b64 s[0:1], -1
                                        ; implicit-def: $vgpr2
.LBB368_631:
	s_andn2_b64 vcc, exec, s[0:1]
	s_cbranch_vccnz .LBB368_633
; %bb.632:
	global_load_ubyte v2, v[0:1], off
.LBB368_633:
	s_mov_b64 s[0:1], -1
.LBB368_634:
	s_andn2_b64 vcc, exec, s[0:1]
	s_cbranch_vccnz .LBB368_642
; %bb.635:
	s_waitcnt vmcnt(0)
	v_max_i32_e32 v0, s10, v2
	v_mul_lo_u32 v2, v4, s8
	v_ashrrev_i32_e32 v3, 31, v2
	s_and_b32 s38, s33, 0xff
	s_cmp_lt_i32 s38, 11
	v_lshl_add_u64 v[2:3], s[4:5], 0, v[2:3]
	s_cbranch_scc1 .LBB368_643
; %bb.636:
	s_and_b32 s39, 0xffff, s38
	s_cmp_gt_i32 s39, 25
	s_cbranch_scc0 .LBB368_644
; %bb.637:
	s_cmp_gt_i32 s39, 28
	s_cbranch_scc0 .LBB368_645
; %bb.638:
	;; [unrolled: 3-line block ×4, first 2 shown]
	s_mov_b64 s[34:35], 0
	s_mov_b64 s[0:1], -1
	s_cmp_eq_u32 s39, 46
	s_mov_b64 s[30:31], 0
	s_cbranch_scc0 .LBB368_648
; %bb.641:
	v_cvt_f32_i32_e32 v1, v0
	s_movk_i32 s0, 0x7fff
	s_mov_b64 s[30:31], -1
	v_bfe_u32 v5, v1, 16, 1
	v_add3_u32 v1, v1, v5, s0
	v_lshrrev_b32_e32 v1, 16, v1
	global_store_dword v[2:3], v1, off
	s_mov_b64 s[0:1], 0
	s_branch .LBB368_648
.LBB368_642:
	s_mov_b64 s[34:35], 0
                                        ; implicit-def: $vgpr4
	s_mov_b64 s[0:1], s[22:23]
	s_branch .LBB368_759
.LBB368_643:
	s_mov_b64 s[34:35], -1
	s_mov_b64 s[30:31], 0
	s_mov_b64 s[0:1], s[22:23]
	s_branch .LBB368_717
.LBB368_644:
	s_mov_b64 s[34:35], -1
	s_mov_b64 s[30:31], 0
	s_mov_b64 s[0:1], s[22:23]
	s_branch .LBB368_675
.LBB368_645:
	s_mov_b64 s[34:35], -1
	s_mov_b64 s[30:31], 0
	s_mov_b64 s[0:1], s[22:23]
	s_branch .LBB368_658
.LBB368_646:
	s_mov_b64 s[34:35], -1
	s_mov_b64 s[30:31], 0
	s_mov_b64 s[0:1], s[22:23]
	s_branch .LBB368_654
.LBB368_647:
	s_mov_b64 s[34:35], -1
	s_mov_b64 s[30:31], 0
	s_mov_b64 s[0:1], s[22:23]
.LBB368_648:
	s_and_b64 vcc, exec, s[34:35]
	s_cbranch_vccz .LBB368_653
; %bb.649:
	s_cmp_eq_u32 s39, 44
	s_mov_b64 s[0:1], -1
	s_cbranch_scc0 .LBB368_653
; %bb.650:
	v_cvt_f32_i32_e32 v1, v0
	s_movk_i32 s0, 0xff
	v_mov_b32_e32 v6, 0xff
	v_bfe_u32 v5, v1, 23, 8
	v_cmp_ne_u32_e32 vcc, s0, v5
	s_and_saveexec_b64 s[30:31], vcc
; %bb.651:
	s_mov_b32 s0, 0x3fffff
	v_lshrrev_b32_e32 v6, 23, v1
	v_and_b32_e32 v7, 0x400000, v1
	v_and_or_b32 v1, v1, s0, v5
	v_cmp_ne_u32_e32 vcc, 0, v7
	v_cmp_ne_u32_e64 s[0:1], 0, v1
	s_and_b64 s[0:1], vcc, s[0:1]
	s_nop 0
	v_cndmask_b32_e64 v1, 0, 1, s[0:1]
	v_add_u32_e32 v6, v6, v1
; %bb.652:
	s_or_b64 exec, exec, s[30:31]
	s_mov_b64 s[30:31], -1
	s_mov_b64 s[0:1], 0
	global_store_byte v[2:3], v6, off
.LBB368_653:
	s_mov_b64 s[34:35], 0
.LBB368_654:
	s_and_b64 vcc, exec, s[34:35]
	s_cbranch_vccz .LBB368_657
; %bb.655:
	s_cmp_eq_u32 s39, 29
	s_mov_b64 s[0:1], -1
	s_cbranch_scc0 .LBB368_657
; %bb.656:
	v_ashrrev_i32_e32 v1, 31, v0
	global_store_dwordx2 v[2:3], v[0:1], off
	s_mov_b64 s[30:31], -1
	s_mov_b64 s[0:1], 0
.LBB368_657:
	s_mov_b64 s[34:35], 0
.LBB368_658:
	s_and_b64 vcc, exec, s[34:35]
	s_cbranch_vccz .LBB368_674
; %bb.659:
	s_cmp_lt_i32 s39, 27
	s_mov_b64 s[30:31], -1
	s_cbranch_scc1 .LBB368_665
; %bb.660:
	s_cmp_gt_i32 s39, 27
	s_cbranch_scc0 .LBB368_662
; %bb.661:
	s_mov_b64 s[30:31], 0
	global_store_dword v[2:3], v0, off
.LBB368_662:
	s_andn2_b64 vcc, exec, s[30:31]
	s_cbranch_vccnz .LBB368_664
; %bb.663:
	global_store_short v[2:3], v0, off
.LBB368_664:
	s_mov_b64 s[30:31], 0
.LBB368_665:
	s_andn2_b64 vcc, exec, s[30:31]
	s_cbranch_vccnz .LBB368_673
; %bb.666:
	v_cvt_f32_i32_e32 v1, v0
	s_mov_b32 s30, 0x43800000
	v_mov_b32_e32 v6, 0x80
	v_and_b32_e32 v5, 0x7fffffff, v1
	v_cmp_gt_u32_e32 vcc, s30, v5
	s_and_saveexec_b64 s[30:31], vcc
	s_cbranch_execz .LBB368_672
; %bb.667:
	s_mov_b32 s34, 0x3bffffff
	v_cmp_lt_u32_e32 vcc, s34, v5
	s_mov_b64 s[34:35], 0
                                        ; implicit-def: $vgpr5
	s_and_saveexec_b64 s[36:37], vcc
	s_xor_b64 s[36:37], exec, s[36:37]
	s_cbranch_execz .LBB368_773
; %bb.668:
	v_bfe_u32 v5, v1, 20, 1
	s_mov_b32 s41, 0x487ffff
	v_add3_u32 v5, v1, v5, s41
	s_mov_b64 s[34:35], exec
	v_lshrrev_b32_e32 v5, 20, v5
	s_andn2_saveexec_b64 s[36:37], s[36:37]
	s_cbranch_execnz .LBB368_774
.LBB368_669:
	s_or_b64 exec, exec, s[36:37]
	v_mov_b32_e32 v6, 0
	s_and_saveexec_b64 s[36:37], s[34:35]
.LBB368_670:
	v_lshrrev_b32_e32 v1, 24, v1
	s_movk_i32 s34, 0x80
	v_and_or_b32 v6, v1, s34, v5
.LBB368_671:
	s_or_b64 exec, exec, s[36:37]
.LBB368_672:
	s_or_b64 exec, exec, s[30:31]
	global_store_byte v[2:3], v6, off
.LBB368_673:
	s_mov_b64 s[30:31], -1
.LBB368_674:
	s_mov_b64 s[34:35], 0
.LBB368_675:
	s_and_b64 vcc, exec, s[34:35]
	s_cbranch_vccz .LBB368_716
; %bb.676:
	s_cmp_gt_i32 s39, 22
	s_mov_b64 s[34:35], -1
	s_cbranch_scc0 .LBB368_708
; %bb.677:
	s_cmp_lt_i32 s39, 24
	s_mov_b64 s[30:31], -1
	s_cbranch_scc1 .LBB368_697
; %bb.678:
	s_cmp_gt_i32 s39, 24
	s_cbranch_scc0 .LBB368_686
; %bb.679:
	v_cvt_f32_i32_e32 v1, v0
	s_mov_b32 s30, 0x47800000
	v_mov_b32_e32 v6, 0x80
	v_and_b32_e32 v5, 0x7fffffff, v1
	v_cmp_gt_u32_e32 vcc, s30, v5
	s_and_saveexec_b64 s[30:31], vcc
	s_cbranch_execz .LBB368_685
; %bb.680:
	s_mov_b32 s34, 0x37ffffff
	v_cmp_lt_u32_e32 vcc, s34, v5
	s_mov_b64 s[34:35], 0
                                        ; implicit-def: $vgpr5
	s_and_saveexec_b64 s[36:37], vcc
	s_xor_b64 s[36:37], exec, s[36:37]
	s_cbranch_execz .LBB368_776
; %bb.681:
	v_bfe_u32 v5, v1, 21, 1
	s_mov_b32 s41, 0x88fffff
	v_add3_u32 v5, v1, v5, s41
	s_mov_b64 s[34:35], exec
	v_lshrrev_b32_e32 v5, 21, v5
	s_andn2_saveexec_b64 s[36:37], s[36:37]
	s_cbranch_execnz .LBB368_777
.LBB368_682:
	s_or_b64 exec, exec, s[36:37]
	v_mov_b32_e32 v6, 0
	s_and_saveexec_b64 s[36:37], s[34:35]
.LBB368_683:
	v_lshrrev_b32_e32 v1, 24, v1
	s_movk_i32 s34, 0x80
	v_and_or_b32 v6, v1, s34, v5
.LBB368_684:
	s_or_b64 exec, exec, s[36:37]
.LBB368_685:
	s_or_b64 exec, exec, s[30:31]
	s_mov_b64 s[30:31], 0
	global_store_byte v[2:3], v6, off
.LBB368_686:
	s_and_b64 vcc, exec, s[30:31]
	s_cbranch_vccz .LBB368_696
; %bb.687:
	v_cvt_f32_i32_e32 v1, v0
	s_mov_b32 s30, 0x43f00000
                                        ; implicit-def: $vgpr5
	v_and_b32_e32 v6, 0x7fffffff, v1
	v_cmp_gt_u32_e32 vcc, s30, v6
	s_and_saveexec_b64 s[30:31], vcc
	s_xor_b64 s[30:31], exec, s[30:31]
	s_cbranch_execz .LBB368_693
; %bb.688:
	s_mov_b32 s34, 0x3c7fffff
	v_cmp_lt_u32_e32 vcc, s34, v6
                                        ; implicit-def: $vgpr5
	s_and_saveexec_b64 s[34:35], vcc
	s_xor_b64 s[34:35], exec, s[34:35]
; %bb.689:
	v_bfe_u32 v5, v1, 20, 1
	s_mov_b32 s36, 0x407ffff
	v_add3_u32 v5, v1, v5, s36
	v_lshrrev_b32_e32 v6, 20, v5
	v_and_b32_e32 v5, 0xff00000, v5
	s_mov_b32 s36, 0x7f00000
	v_mov_b32_e32 v7, 0x7e
	v_cmp_ne_u32_e32 vcc, s36, v5
	s_nop 1
	v_cndmask_b32_e32 v5, v7, v6, vcc
; %bb.690:
	s_andn2_saveexec_b64 s[34:35], s[34:35]
; %bb.691:
	s_mov_b32 s36, 0x46800000
	v_add_f32_e64 v5, |v1|, s36
; %bb.692:
	s_or_b64 exec, exec, s[34:35]
                                        ; implicit-def: $vgpr6
.LBB368_693:
	s_andn2_saveexec_b64 s[30:31], s[30:31]
; %bb.694:
	s_mov_b32 s34, 0x7f800000
	v_mov_b32_e32 v5, 0x7e
	v_mov_b32_e32 v7, 0x7f
	v_cmp_lt_u32_e32 vcc, s34, v6
	s_nop 1
	v_cndmask_b32_e32 v5, v5, v7, vcc
; %bb.695:
	s_or_b64 exec, exec, s[30:31]
	v_lshrrev_b32_e32 v1, 24, v1
	s_movk_i32 s30, 0x80
	v_and_or_b32 v1, v1, s30, v5
	global_store_byte v[2:3], v1, off
.LBB368_696:
	s_mov_b64 s[30:31], 0
.LBB368_697:
	s_andn2_b64 vcc, exec, s[30:31]
	s_cbranch_vccnz .LBB368_707
; %bb.698:
	v_cvt_f32_i32_e32 v1, v0
	s_mov_b32 s30, 0x47800000
                                        ; implicit-def: $vgpr5
	v_and_b32_e32 v6, 0x7fffffff, v1
	v_cmp_gt_u32_e32 vcc, s30, v6
	s_and_saveexec_b64 s[30:31], vcc
	s_xor_b64 s[30:31], exec, s[30:31]
	s_cbranch_execz .LBB368_704
; %bb.699:
	s_mov_b32 s34, 0x387fffff
	v_cmp_lt_u32_e32 vcc, s34, v6
                                        ; implicit-def: $vgpr5
	s_and_saveexec_b64 s[34:35], vcc
	s_xor_b64 s[34:35], exec, s[34:35]
; %bb.700:
	v_bfe_u32 v5, v1, 21, 1
	s_mov_b32 s36, 0x80fffff
	v_add3_u32 v5, v1, v5, s36
	v_lshrrev_b32_e32 v5, 21, v5
; %bb.701:
	s_andn2_saveexec_b64 s[34:35], s[34:35]
; %bb.702:
	s_mov_b32 s36, 0x43000000
	v_add_f32_e64 v5, |v1|, s36
; %bb.703:
	s_or_b64 exec, exec, s[34:35]
                                        ; implicit-def: $vgpr6
.LBB368_704:
	s_andn2_saveexec_b64 s[30:31], s[30:31]
; %bb.705:
	s_mov_b32 s34, 0x7f800000
	v_mov_b32_e32 v5, 0x7c
	v_mov_b32_e32 v7, 0x7f
	v_cmp_lt_u32_e32 vcc, s34, v6
	s_nop 1
	v_cndmask_b32_e32 v5, v5, v7, vcc
; %bb.706:
	s_or_b64 exec, exec, s[30:31]
	v_lshrrev_b32_e32 v1, 24, v1
	s_movk_i32 s30, 0x80
	v_and_or_b32 v1, v1, s30, v5
	global_store_byte v[2:3], v1, off
.LBB368_707:
	s_mov_b64 s[34:35], 0
	s_mov_b64 s[30:31], -1
.LBB368_708:
	s_andn2_b64 vcc, exec, s[34:35]
	s_cbranch_vccnz .LBB368_716
; %bb.709:
	s_cmp_gt_i32 s39, 14
	s_mov_b64 s[34:35], -1
	s_cbranch_scc0 .LBB368_713
; %bb.710:
	s_cmp_eq_u32 s39, 15
	s_mov_b64 s[0:1], -1
	s_cbranch_scc0 .LBB368_712
; %bb.711:
	v_cvt_f32_i32_e32 v1, v0
	s_movk_i32 s0, 0x7fff
	s_mov_b64 s[30:31], -1
	v_bfe_u32 v5, v1, 16, 1
	v_add3_u32 v1, v1, v5, s0
	global_store_short_d16_hi v[2:3], v1, off
	s_mov_b64 s[0:1], 0
.LBB368_712:
	s_mov_b64 s[34:35], 0
.LBB368_713:
	s_and_b64 vcc, exec, s[34:35]
	s_cbranch_vccz .LBB368_716
; %bb.714:
	s_cmp_eq_u32 s39, 11
	s_mov_b64 s[0:1], -1
	s_cbranch_scc0 .LBB368_716
; %bb.715:
	v_cmp_ne_u32_e32 vcc, 0, v0
	s_mov_b64 s[30:31], -1
	s_mov_b64 s[0:1], 0
	v_cndmask_b32_e64 v1, 0, 1, vcc
	global_store_byte v[2:3], v1, off
.LBB368_716:
	s_mov_b64 s[34:35], 0
.LBB368_717:
	s_and_b64 vcc, exec, s[34:35]
	s_cbranch_vccz .LBB368_756
; %bb.718:
	s_and_b32 s34, 0xffff, s38
	s_cmp_lt_i32 s34, 5
	s_mov_b64 s[30:31], -1
	s_cbranch_scc1 .LBB368_739
; %bb.719:
	s_cmp_lt_i32 s34, 8
	s_cbranch_scc1 .LBB368_729
; %bb.720:
	s_cmp_lt_i32 s34, 9
	s_cbranch_scc1 .LBB368_726
; %bb.721:
	s_cmp_gt_i32 s34, 9
	s_cbranch_scc0 .LBB368_723
; %bb.722:
	v_mov_b32_e32 v8, 0
	v_cvt_f64_i32_e32 v[6:7], v0
	v_mov_b32_e32 v9, v8
	s_mov_b64 s[30:31], 0
	global_store_dwordx4 v[2:3], v[6:9], off
.LBB368_723:
	s_andn2_b64 vcc, exec, s[30:31]
	s_cbranch_vccnz .LBB368_725
; %bb.724:
	v_cvt_f32_i32_e32 v6, v0
	v_mov_b32_e32 v7, 0
	global_store_dwordx2 v[2:3], v[6:7], off
.LBB368_725:
	s_mov_b64 s[30:31], 0
.LBB368_726:
	s_andn2_b64 vcc, exec, s[30:31]
	s_cbranch_vccnz .LBB368_728
; %bb.727:
	v_cvt_f32_i32_e32 v1, v0
	v_cvt_f16_f32_e32 v1, v1
	global_store_dword v[2:3], v1, off
.LBB368_728:
	s_mov_b64 s[30:31], 0
.LBB368_729:
	s_andn2_b64 vcc, exec, s[30:31]
	s_cbranch_vccnz .LBB368_738
; %bb.730:
	s_cmp_lt_i32 s34, 6
	s_mov_b64 s[30:31], -1
	s_cbranch_scc1 .LBB368_736
; %bb.731:
	s_cmp_gt_i32 s34, 6
	s_cbranch_scc0 .LBB368_733
; %bb.732:
	v_cvt_f64_i32_e32 v[6:7], v0
	s_mov_b64 s[30:31], 0
	global_store_dwordx2 v[2:3], v[6:7], off
.LBB368_733:
	s_andn2_b64 vcc, exec, s[30:31]
	s_cbranch_vccnz .LBB368_735
; %bb.734:
	v_cvt_f32_i32_e32 v1, v0
	global_store_dword v[2:3], v1, off
.LBB368_735:
	s_mov_b64 s[30:31], 0
.LBB368_736:
	s_andn2_b64 vcc, exec, s[30:31]
	s_cbranch_vccnz .LBB368_738
; %bb.737:
	v_cvt_f32_i32_e32 v1, v0
	v_cvt_f16_f32_e32 v1, v1
	global_store_short v[2:3], v1, off
.LBB368_738:
	s_mov_b64 s[30:31], 0
.LBB368_739:
	s_andn2_b64 vcc, exec, s[30:31]
	s_cbranch_vccnz .LBB368_755
; %bb.740:
	s_cmp_lt_i32 s34, 2
	s_mov_b64 s[30:31], -1
	s_cbranch_scc1 .LBB368_750
; %bb.741:
	s_cmp_lt_i32 s34, 3
	s_cbranch_scc1 .LBB368_747
; %bb.742:
	s_cmp_gt_i32 s34, 3
	s_cbranch_scc0 .LBB368_744
; %bb.743:
	v_ashrrev_i32_e32 v1, 31, v0
	s_mov_b64 s[30:31], 0
	global_store_dwordx2 v[2:3], v[0:1], off
.LBB368_744:
	s_andn2_b64 vcc, exec, s[30:31]
	s_cbranch_vccnz .LBB368_746
; %bb.745:
	global_store_dword v[2:3], v0, off
.LBB368_746:
	s_mov_b64 s[30:31], 0
.LBB368_747:
	s_andn2_b64 vcc, exec, s[30:31]
	s_cbranch_vccnz .LBB368_749
; %bb.748:
	global_store_short v[2:3], v0, off
.LBB368_749:
	s_mov_b64 s[30:31], 0
.LBB368_750:
	s_andn2_b64 vcc, exec, s[30:31]
	s_cbranch_vccnz .LBB368_755
; %bb.751:
	s_cmp_gt_i32 s34, 0
	s_mov_b64 s[30:31], -1
	s_cbranch_scc0 .LBB368_753
; %bb.752:
	s_mov_b64 s[30:31], 0
	global_store_byte v[2:3], v0, off
.LBB368_753:
	s_andn2_b64 vcc, exec, s[30:31]
	s_cbranch_vccnz .LBB368_755
; %bb.754:
	global_store_byte v[2:3], v0, off
.LBB368_755:
	s_mov_b64 s[30:31], -1
.LBB368_756:
	s_andn2_b64 vcc, exec, s[30:31]
	s_cbranch_vccnz .LBB368_758
; %bb.757:
	v_add_u32_e32 v4, 0x80, v4
	s_mov_b64 s[34:35], -1
	s_branch .LBB368_759
.LBB368_758:
	s_mov_b64 s[34:35], 0
                                        ; implicit-def: $vgpr4
.LBB368_759:
	s_andn2_b64 s[30:31], s[22:23], exec
	s_and_b64 s[0:1], s[0:1], exec
	s_or_b64 s[30:31], s[30:31], s[0:1]
	s_andn2_b64 s[0:1], s[20:21], exec
	s_and_b64 s[28:29], s[28:29], exec
	s_or_b64 s[0:1], s[0:1], s[28:29]
	s_orn2_b64 s[36:37], s[34:35], exec
.LBB368_760:
	s_or_b64 exec, exec, s[26:27]
	s_mov_b64 s[34:35], 0
	s_mov_b64 s[28:29], 0
	;; [unrolled: 1-line block ×3, first 2 shown]
                                        ; implicit-def: $vgpr0_vgpr1
                                        ; implicit-def: $vgpr5
	s_and_saveexec_b64 s[26:27], s[36:37]
	s_cbranch_execz .LBB368_841
; %bb.761:
	v_cmp_gt_i32_e32 vcc, s40, v4
	s_mov_b64 s[36:37], 0
	s_mov_b64 s[40:41], s[0:1]
	;; [unrolled: 1-line block ×3, first 2 shown]
                                        ; implicit-def: $vgpr0_vgpr1
                                        ; implicit-def: $vgpr5
	s_and_saveexec_b64 s[28:29], vcc
	s_cbranch_execz .LBB368_840
; %bb.762:
	v_mul_lo_u32 v0, v4, s9
	v_ashrrev_i32_e32 v1, 31, v0
	s_and_b32 s42, 0xffff, s11
	s_cmp_lt_i32 s42, 11
	v_lshl_add_u64 v[0:1], s[6:7], 0, v[0:1]
	s_cbranch_scc1 .LBB368_769
; %bb.763:
	s_cmp_gt_i32 s42, 25
	s_cbranch_scc0 .LBB368_770
; %bb.764:
	s_cmp_gt_i32 s42, 28
	s_cbranch_scc0 .LBB368_771
	;; [unrolled: 3-line block ×4, first 2 shown]
; %bb.767:
	s_cmp_eq_u32 s42, 46
	s_mov_b64 s[40:41], 0
	s_cbranch_scc0 .LBB368_778
; %bb.768:
	global_load_dword v2, v[0:1], off
	s_mov_b64 s[38:39], -1
	s_waitcnt vmcnt(0)
	v_lshlrev_b32_e32 v2, 16, v2
	v_cvt_i32_f32_e32 v5, v2
	s_branch .LBB368_780
.LBB368_769:
	s_mov_b64 s[40:41], -1
                                        ; implicit-def: $vgpr5
	s_mov_b64 s[34:35], s[0:1]
	s_branch .LBB368_839
.LBB368_770:
	s_mov_b64 s[40:41], -1
	s_mov_b64 s[34:35], s[0:1]
                                        ; implicit-def: $vgpr5
	s_branch .LBB368_807
.LBB368_771:
	s_mov_b64 s[40:41], -1
	s_mov_b64 s[34:35], s[0:1]
                                        ; implicit-def: $vgpr5
	s_branch .LBB368_790
.LBB368_772:
	s_mov_b64 s[40:41], -1
	s_mov_b64 s[34:35], s[0:1]
                                        ; implicit-def: $vgpr5
	s_branch .LBB368_785
.LBB368_773:
	s_andn2_saveexec_b64 s[36:37], s[36:37]
	s_cbranch_execz .LBB368_669
.LBB368_774:
	s_mov_b32 s41, 0x46000000
	v_add_f32_e64 v5, |v1|, s41
	v_and_b32_e32 v5, 0xff, v5
	v_cmp_ne_u32_e32 vcc, 0, v5
	s_andn2_b64 s[34:35], s[34:35], exec
	s_and_b64 s[42:43], vcc, exec
	s_or_b64 s[34:35], s[34:35], s[42:43]
	s_or_b64 exec, exec, s[36:37]
	v_mov_b32_e32 v6, 0
	s_and_saveexec_b64 s[36:37], s[34:35]
	s_cbranch_execnz .LBB368_670
	s_branch .LBB368_671
.LBB368_775:
	s_mov_b64 s[40:41], -1
	s_mov_b64 s[34:35], s[0:1]
	s_branch .LBB368_779
.LBB368_776:
	s_andn2_saveexec_b64 s[36:37], s[36:37]
	s_cbranch_execz .LBB368_682
.LBB368_777:
	s_mov_b32 s41, 0x42800000
	v_add_f32_e64 v5, |v1|, s41
	v_and_b32_e32 v5, 0xff, v5
	v_cmp_ne_u32_e32 vcc, 0, v5
	s_andn2_b64 s[34:35], s[34:35], exec
	s_and_b64 s[42:43], vcc, exec
	s_or_b64 s[34:35], s[34:35], s[42:43]
	s_or_b64 exec, exec, s[36:37]
	v_mov_b32_e32 v6, 0
	s_and_saveexec_b64 s[36:37], s[34:35]
	s_cbranch_execnz .LBB368_683
	s_branch .LBB368_684
.LBB368_778:
	s_mov_b64 s[34:35], -1
.LBB368_779:
                                        ; implicit-def: $vgpr5
.LBB368_780:
	s_and_b64 vcc, exec, s[40:41]
	s_cbranch_vccz .LBB368_784
; %bb.781:
	s_cmp_eq_u32 s42, 44
	s_cbranch_scc0 .LBB368_783
; %bb.782:
	global_load_ubyte v2, v[0:1], off
	s_mov_b64 s[34:35], 0
	s_mov_b64 s[38:39], -1
	s_waitcnt vmcnt(0)
	v_lshlrev_b32_e32 v3, 23, v2
	v_cvt_i32_f32_e32 v3, v3
	v_cmp_ne_u32_e32 vcc, 0, v2
	s_nop 1
	v_cndmask_b32_e32 v5, 0, v3, vcc
	s_branch .LBB368_784
.LBB368_783:
	s_mov_b64 s[34:35], -1
                                        ; implicit-def: $vgpr5
.LBB368_784:
	s_mov_b64 s[40:41], 0
.LBB368_785:
	s_and_b64 vcc, exec, s[40:41]
	s_cbranch_vccz .LBB368_789
; %bb.786:
	s_cmp_eq_u32 s42, 29
	s_cbranch_scc0 .LBB368_788
; %bb.787:
	global_load_dword v5, v[0:1], off
	s_mov_b64 s[34:35], 0
	s_mov_b64 s[38:39], -1
	s_branch .LBB368_789
.LBB368_788:
	s_mov_b64 s[34:35], -1
                                        ; implicit-def: $vgpr5
.LBB368_789:
	s_mov_b64 s[40:41], 0
.LBB368_790:
	s_and_b64 vcc, exec, s[40:41]
	s_cbranch_vccz .LBB368_806
; %bb.791:
	s_cmp_lt_i32 s42, 27
	s_cbranch_scc1 .LBB368_794
; %bb.792:
	s_cmp_gt_i32 s42, 27
	s_cbranch_scc0 .LBB368_795
; %bb.793:
	global_load_dword v5, v[0:1], off
	s_mov_b64 s[38:39], 0
	s_branch .LBB368_796
.LBB368_794:
	s_mov_b64 s[38:39], -1
                                        ; implicit-def: $vgpr5
	s_branch .LBB368_799
.LBB368_795:
	s_mov_b64 s[38:39], -1
                                        ; implicit-def: $vgpr5
.LBB368_796:
	s_andn2_b64 vcc, exec, s[38:39]
	s_cbranch_vccnz .LBB368_798
; %bb.797:
	global_load_ushort v5, v[0:1], off
.LBB368_798:
	s_mov_b64 s[38:39], 0
.LBB368_799:
	s_andn2_b64 vcc, exec, s[38:39]
	s_cbranch_vccnz .LBB368_805
; %bb.800:
	global_load_ubyte v2, v[0:1], off
	s_movk_i32 s38, 0x7f
	s_mov_b64 s[40:41], 0
	s_waitcnt vmcnt(0)
	v_cmp_lt_i16_e32 vcc, s38, v2
	s_and_saveexec_b64 s[38:39], vcc
	s_xor_b64 s[38:39], exec, s[38:39]
	s_cbranch_execz .LBB368_817
; %bb.801:
	s_movk_i32 s40, 0x80
	v_cmp_ne_u16_e32 vcc, s40, v2
	s_and_b64 s[40:41], vcc, exec
	s_andn2_saveexec_b64 s[38:39], s[38:39]
	s_cbranch_execnz .LBB368_818
.LBB368_802:
	s_or_b64 exec, exec, s[38:39]
	v_mov_b32_e32 v5, 0
	s_and_saveexec_b64 s[38:39], s[40:41]
	s_cbranch_execz .LBB368_804
.LBB368_803:
	v_lshlrev_b32_e32 v3, 24, v2
	v_and_b32_e32 v2, 0xffff, v2
	v_and_b32_e32 v5, 7, v2
	v_ffbh_u32_e32 v7, v5
	v_min_u32_e32 v7, 32, v7
	v_subrev_u32_e32 v8, 28, v7
	v_bfe_u32 v6, v2, 3, 4
	v_lshlrev_b32_e32 v2, v8, v2
	v_sub_u32_e32 v7, 29, v7
	v_and_b32_e32 v2, 7, v2
	v_cmp_eq_u32_e32 vcc, 0, v6
	v_and_b32_e32 v3, 0x80000000, v3
	s_nop 0
	v_cndmask_b32_e32 v6, v6, v7, vcc
	v_cndmask_b32_e32 v2, v5, v2, vcc
	v_mov_b32_e32 v5, 0x3b800000
	v_lshlrev_b32_e32 v2, 20, v2
	v_lshl_add_u32 v5, v6, 23, v5
	v_or3_b32 v2, v3, v5, v2
	v_cvt_i32_f32_e32 v5, v2
.LBB368_804:
	s_or_b64 exec, exec, s[38:39]
.LBB368_805:
	s_mov_b64 s[38:39], -1
.LBB368_806:
	s_mov_b64 s[40:41], 0
.LBB368_807:
	s_and_b64 vcc, exec, s[40:41]
	s_cbranch_vccz .LBB368_838
; %bb.808:
	s_cmp_gt_i32 s42, 22
	s_cbranch_scc0 .LBB368_816
; %bb.809:
	s_cmp_lt_i32 s42, 24
	s_cbranch_scc1 .LBB368_819
; %bb.810:
	s_cmp_gt_i32 s42, 24
	s_cbranch_scc0 .LBB368_820
; %bb.811:
	global_load_ubyte v2, v[0:1], off
	s_movk_i32 s36, 0x7f
	s_mov_b64 s[38:39], 0
	s_waitcnt vmcnt(0)
	v_cmp_lt_i16_e32 vcc, s36, v2
	s_and_saveexec_b64 s[36:37], vcc
	s_xor_b64 s[36:37], exec, s[36:37]
	s_cbranch_execz .LBB368_832
; %bb.812:
	s_movk_i32 s38, 0x80
	v_cmp_ne_u16_e32 vcc, s38, v2
	s_and_b64 s[38:39], vcc, exec
	s_andn2_saveexec_b64 s[36:37], s[36:37]
	s_cbranch_execnz .LBB368_833
.LBB368_813:
	s_or_b64 exec, exec, s[36:37]
	v_mov_b32_e32 v5, 0
	s_and_saveexec_b64 s[36:37], s[38:39]
	s_cbranch_execz .LBB368_815
.LBB368_814:
	v_lshlrev_b32_e32 v3, 24, v2
	v_and_b32_e32 v2, 0xffff, v2
	v_and_b32_e32 v5, 3, v2
	v_ffbh_u32_e32 v7, v5
	v_min_u32_e32 v7, 32, v7
	v_subrev_u32_e32 v8, 29, v7
	v_bfe_u32 v6, v2, 2, 5
	v_lshlrev_b32_e32 v2, v8, v2
	v_sub_u32_e32 v7, 30, v7
	v_and_b32_e32 v2, 3, v2
	v_cmp_eq_u32_e32 vcc, 0, v6
	v_and_b32_e32 v3, 0x80000000, v3
	s_nop 0
	v_cndmask_b32_e32 v6, v6, v7, vcc
	v_cndmask_b32_e32 v2, v5, v2, vcc
	v_mov_b32_e32 v5, 0x37800000
	v_lshlrev_b32_e32 v2, 21, v2
	v_lshl_add_u32 v5, v6, 23, v5
	v_or3_b32 v2, v3, v5, v2
	v_cvt_i32_f32_e32 v5, v2
.LBB368_815:
	s_or_b64 exec, exec, s[36:37]
	s_mov_b64 s[36:37], 0
	s_branch .LBB368_821
.LBB368_816:
	s_mov_b64 s[36:37], -1
                                        ; implicit-def: $vgpr5
	s_branch .LBB368_827
.LBB368_817:
	s_andn2_saveexec_b64 s[38:39], s[38:39]
	s_cbranch_execz .LBB368_802
.LBB368_818:
	v_cmp_ne_u16_e32 vcc, 0, v2
	s_andn2_b64 s[40:41], s[40:41], exec
	s_and_b64 s[44:45], vcc, exec
	s_or_b64 s[40:41], s[40:41], s[44:45]
	s_or_b64 exec, exec, s[38:39]
	v_mov_b32_e32 v5, 0
	s_and_saveexec_b64 s[38:39], s[40:41]
	s_cbranch_execnz .LBB368_803
	s_branch .LBB368_804
.LBB368_819:
	s_mov_b64 s[36:37], -1
                                        ; implicit-def: $vgpr5
	s_branch .LBB368_824
.LBB368_820:
	s_mov_b64 s[36:37], -1
                                        ; implicit-def: $vgpr5
.LBB368_821:
	s_and_b64 vcc, exec, s[36:37]
	s_cbranch_vccz .LBB368_823
; %bb.822:
	global_load_ubyte v2, v[0:1], off
	s_mov_b32 s36, 0x7f800000
	s_waitcnt vmcnt(0)
	v_lshlrev_b32_e32 v2, 24, v2
	v_and_b32_e32 v3, 0x7f000000, v2
	v_ffbh_u32_e32 v5, v3
	v_min_u32_e32 v5, 32, v5
	v_sub_u32_e64 v5, v5, 4 clamp
	v_lshlrev_b32_e32 v7, v5, v3
	v_lshlrev_b32_e32 v5, 23, v5
	v_lshrrev_b32_e32 v7, 4, v7
	v_add_u32_e32 v6, 0x1000000, v3
	v_sub_u32_e32 v5, v7, v5
	v_ashrrev_i32_e32 v6, 8, v6
	v_add_u32_e32 v5, 0x3c000000, v5
	v_and_or_b32 v5, v6, s36, v5
	v_cmp_ne_u32_e32 vcc, 0, v3
	s_brev_b32 s36, 1
	s_nop 0
	v_cndmask_b32_e32 v3, 0, v5, vcc
	v_and_or_b32 v2, v2, s36, v3
	v_cvt_i32_f32_e32 v5, v2
.LBB368_823:
	s_mov_b64 s[36:37], 0
.LBB368_824:
	s_andn2_b64 vcc, exec, s[36:37]
	s_cbranch_vccnz .LBB368_826
; %bb.825:
	global_load_ubyte v2, v[0:1], off
	s_movk_i32 s36, 0x7f00
	s_brev_b32 s37, 16
	s_waitcnt vmcnt(0)
	v_lshlrev_b16_e32 v3, 8, v2
	v_lshlrev_b32_e32 v2, 25, v2
	v_lshrrev_b32_e32 v5, 4, v2
	v_and_or_b32 v6, v3, s36, 0.5
	v_or_b32_e32 v5, 0x70000000, v5
	v_add_f32_e32 v6, -0.5, v6
	v_mul_f32_e32 v5, 0x7800000, v5
	v_cmp_gt_u32_e32 vcc, s37, v2
	v_bfe_i32 v3, v3, 0, 16
	s_brev_b32 s36, 1
	v_cndmask_b32_e32 v2, v5, v6, vcc
	v_and_or_b32 v2, v3, s36, v2
	v_cvt_i32_f32_e32 v5, v2
.LBB368_826:
	s_mov_b64 s[36:37], 0
	s_mov_b64 s[38:39], -1
.LBB368_827:
	s_andn2_b64 vcc, exec, s[36:37]
	s_mov_b64 s[36:37], 0
	s_cbranch_vccnz .LBB368_838
; %bb.828:
	s_cmp_gt_i32 s42, 14
	s_cbranch_scc0 .LBB368_831
; %bb.829:
	s_cmp_eq_u32 s42, 15
	s_cbranch_scc0 .LBB368_834
; %bb.830:
	global_load_ushort v2, v[0:1], off
	s_mov_b64 s[34:35], 0
	s_mov_b64 s[38:39], -1
	s_waitcnt vmcnt(0)
	v_lshlrev_b32_e32 v2, 16, v2
	v_cvt_i32_f32_e32 v5, v2
	s_branch .LBB368_835
.LBB368_831:
	s_mov_b64 s[40:41], -1
                                        ; implicit-def: $vgpr5
	s_branch .LBB368_836
.LBB368_832:
	s_andn2_saveexec_b64 s[36:37], s[36:37]
	s_cbranch_execz .LBB368_813
.LBB368_833:
	v_cmp_ne_u16_e32 vcc, 0, v2
	s_andn2_b64 s[38:39], s[38:39], exec
	s_and_b64 s[40:41], vcc, exec
	s_or_b64 s[38:39], s[38:39], s[40:41]
	s_or_b64 exec, exec, s[36:37]
	v_mov_b32_e32 v5, 0
	s_and_saveexec_b64 s[36:37], s[38:39]
	s_cbranch_execnz .LBB368_814
	s_branch .LBB368_815
.LBB368_834:
	s_mov_b64 s[34:35], -1
                                        ; implicit-def: $vgpr5
.LBB368_835:
	s_mov_b64 s[40:41], 0
.LBB368_836:
	s_and_b64 vcc, exec, s[40:41]
	s_cbranch_vccz .LBB368_838
; %bb.837:
	s_cmp_lg_u32 s42, 11
	s_cselect_b64 s[40:41], -1, 0
	s_andn2_b64 s[34:35], s[34:35], exec
	s_and_b64 s[40:41], s[40:41], exec
	s_mov_b64 s[36:37], -1
	s_or_b64 s[34:35], s[34:35], s[40:41]
.LBB368_838:
	s_mov_b64 s[40:41], 0
.LBB368_839:
	s_and_b64 s[42:43], s[40:41], exec
	s_andn2_b64 s[40:41], s[0:1], exec
	s_and_b64 s[34:35], s[34:35], exec
	s_and_b64 s[38:39], s[38:39], exec
	;; [unrolled: 1-line block ×3, first 2 shown]
	s_or_b64 s[40:41], s[40:41], s[34:35]
.LBB368_840:
	s_or_b64 exec, exec, s[28:29]
	s_and_b64 s[34:35], s[36:37], exec
	s_andn2_b64 s[0:1], s[0:1], exec
	s_and_b64 s[36:37], s[40:41], exec
	s_and_b64 s[38:39], s[38:39], exec
	;; [unrolled: 1-line block ×3, first 2 shown]
	s_or_b64 s[0:1], s[0:1], s[36:37]
.LBB368_841:
	s_or_b64 exec, exec, s[26:27]
	s_andn2_b64 s[22:23], s[22:23], exec
	s_and_b64 s[26:27], s[30:31], exec
	s_andn2_b64 s[20:21], s[20:21], exec
	s_and_b64 s[0:1], s[0:1], exec
	s_or_b64 s[22:23], s[22:23], s[26:27]
	s_and_b64 s[30:31], s[38:39], exec
	s_and_b64 s[28:29], s[28:29], exec
	;; [unrolled: 1-line block ×3, first 2 shown]
	s_or_b64 s[20:21], s[20:21], s[0:1]
.LBB368_842:
	s_or_b64 exec, exec, s[24:25]
	s_andn2_b64 s[0:1], s[14:15], exec
	s_and_b64 s[14:15], s[22:23], exec
	s_andn2_b64 s[16:17], s[16:17], exec
	s_and_b64 s[20:21], s[20:21], exec
	s_or_b64 s[14:15], s[0:1], s[14:15]
	s_and_b64 s[0:1], s[30:31], exec
	s_and_b64 s[24:25], s[28:29], exec
	;; [unrolled: 1-line block ×3, first 2 shown]
	s_or_b64 s[16:17], s[16:17], s[20:21]
	s_or_b64 exec, exec, s[18:19]
	s_mov_b64 s[18:19], 0
	s_and_saveexec_b64 s[20:21], s[16:17]
	s_cbranch_execz .LBB368_258
.LBB368_843:
	s_mov_b64 s[18:19], exec
	s_andn2_b64 s[22:23], s[22:23], exec
	s_trap 2
	s_or_b64 exec, exec, s[20:21]
	s_and_saveexec_b64 s[16:17], s[22:23]
	s_xor_b64 s[16:17], exec, s[16:17]
	s_cbranch_execnz .LBB368_259
.LBB368_844:
	s_or_b64 exec, exec, s[16:17]
	s_and_saveexec_b64 s[16:17], s[24:25]
	s_cbranch_execz .LBB368_890
.LBB368_845:
	s_sext_i32_i16 s20, s11
	s_cmp_lt_i32 s20, 5
	s_cbranch_scc1 .LBB368_850
; %bb.846:
	s_cmp_lt_i32 s20, 8
	s_cbranch_scc1 .LBB368_851
; %bb.847:
	;; [unrolled: 3-line block ×3, first 2 shown]
	s_cmp_gt_i32 s20, 9
	s_cbranch_scc0 .LBB368_853
; %bb.849:
	global_load_dwordx2 v[2:3], v[0:1], off
	s_mov_b64 s[20:21], 0
	s_waitcnt vmcnt(0)
	v_cvt_i32_f64_e32 v5, v[2:3]
	s_branch .LBB368_854
.LBB368_850:
                                        ; implicit-def: $vgpr5
	s_branch .LBB368_871
.LBB368_851:
                                        ; implicit-def: $vgpr5
	s_branch .LBB368_860
.LBB368_852:
	s_mov_b64 s[20:21], -1
                                        ; implicit-def: $vgpr5
	s_branch .LBB368_857
.LBB368_853:
	s_mov_b64 s[20:21], -1
                                        ; implicit-def: $vgpr5
.LBB368_854:
	s_andn2_b64 vcc, exec, s[20:21]
	s_cbranch_vccnz .LBB368_856
; %bb.855:
	global_load_dword v2, v[0:1], off
	s_waitcnt vmcnt(0)
	v_cvt_i32_f32_e32 v5, v2
.LBB368_856:
	s_mov_b64 s[20:21], 0
.LBB368_857:
	s_andn2_b64 vcc, exec, s[20:21]
	s_cbranch_vccnz .LBB368_859
; %bb.858:
	global_load_dword v2, v[0:1], off
	s_waitcnt vmcnt(0)
	v_cvt_f32_f16_e32 v2, v2
	v_cvt_i32_f32_e32 v5, v2
.LBB368_859:
	s_cbranch_execnz .LBB368_870
.LBB368_860:
	s_sext_i32_i16 s20, s11
	s_cmp_lt_i32 s20, 6
	s_cbranch_scc1 .LBB368_863
; %bb.861:
	s_cmp_gt_i32 s20, 6
	s_cbranch_scc0 .LBB368_864
; %bb.862:
	global_load_dwordx2 v[2:3], v[0:1], off
	s_mov_b64 s[20:21], 0
	s_waitcnt vmcnt(0)
	v_cvt_i32_f64_e32 v5, v[2:3]
	s_branch .LBB368_865
.LBB368_863:
	s_mov_b64 s[20:21], -1
                                        ; implicit-def: $vgpr5
	s_branch .LBB368_868
.LBB368_864:
	s_mov_b64 s[20:21], -1
                                        ; implicit-def: $vgpr5
.LBB368_865:
	s_andn2_b64 vcc, exec, s[20:21]
	s_cbranch_vccnz .LBB368_867
; %bb.866:
	global_load_dword v2, v[0:1], off
	s_waitcnt vmcnt(0)
	v_cvt_i32_f32_e32 v5, v2
.LBB368_867:
	s_mov_b64 s[20:21], 0
.LBB368_868:
	s_andn2_b64 vcc, exec, s[20:21]
	s_cbranch_vccnz .LBB368_870
; %bb.869:
	global_load_ushort v2, v[0:1], off
	s_waitcnt vmcnt(0)
	v_cvt_f32_f16_e32 v2, v2
	v_cvt_i32_f32_e32 v5, v2
.LBB368_870:
	s_cbranch_execnz .LBB368_889
.LBB368_871:
	s_sext_i32_i16 s20, s11
	s_cmp_lt_i32 s20, 2
	s_cbranch_scc1 .LBB368_875
; %bb.872:
	s_cmp_lt_i32 s20, 3
	s_cbranch_scc1 .LBB368_876
; %bb.873:
	s_cmp_gt_i32 s20, 3
	s_cbranch_scc0 .LBB368_877
; %bb.874:
	global_load_dword v5, v[0:1], off
	s_mov_b64 s[20:21], 0
	s_branch .LBB368_878
.LBB368_875:
                                        ; implicit-def: $vgpr5
	s_branch .LBB368_884
.LBB368_876:
	s_mov_b64 s[20:21], -1
                                        ; implicit-def: $vgpr5
	s_branch .LBB368_881
.LBB368_877:
	s_mov_b64 s[20:21], -1
                                        ; implicit-def: $vgpr5
.LBB368_878:
	s_andn2_b64 vcc, exec, s[20:21]
	s_cbranch_vccnz .LBB368_880
; %bb.879:
	global_load_dword v5, v[0:1], off
.LBB368_880:
	s_mov_b64 s[20:21], 0
.LBB368_881:
	s_andn2_b64 vcc, exec, s[20:21]
	s_cbranch_vccnz .LBB368_883
; %bb.882:
	global_load_sshort v5, v[0:1], off
.LBB368_883:
	s_cbranch_execnz .LBB368_889
.LBB368_884:
	s_sext_i32_i16 s20, s11
	s_cmp_gt_i32 s20, 0
	s_cbranch_scc0 .LBB368_886
; %bb.885:
	global_load_sbyte v5, v[0:1], off
	s_mov_b64 s[20:21], 0
	s_branch .LBB368_887
.LBB368_886:
	s_mov_b64 s[20:21], -1
                                        ; implicit-def: $vgpr5
.LBB368_887:
	s_andn2_b64 vcc, exec, s[20:21]
	s_cbranch_vccnz .LBB368_889
; %bb.888:
	global_load_ubyte v5, v[0:1], off
.LBB368_889:
	s_or_b64 s[0:1], s[0:1], exec
.LBB368_890:
	s_or_b64 exec, exec, s[16:17]
	s_mov_b64 s[22:23], 0
	s_mov_b64 s[20:21], 0
                                        ; implicit-def: $sgpr28
                                        ; implicit-def: $vgpr2_vgpr3
                                        ; implicit-def: $vgpr0
	s_and_saveexec_b64 s[16:17], s[0:1]
	s_cbranch_execz .LBB368_898
; %bb.891:
	s_waitcnt vmcnt(0)
	v_mul_lo_u32 v2, v4, s8
	v_ashrrev_i32_e32 v3, 31, v2
	s_and_b32 s28, s33, 0xff
	v_max_i32_e32 v0, s10, v5
	s_cmp_lt_i32 s28, 11
	v_lshl_add_u64 v[2:3], s[4:5], 0, v[2:3]
	s_cbranch_scc1 .LBB368_901
; %bb.892:
	s_and_b32 s29, 0xffff, s28
	s_mov_b64 s[22:23], -1
	s_cmp_gt_i32 s29, 25
	s_mov_b64 s[0:1], s[14:15]
	s_cbranch_scc0 .LBB368_929
; %bb.893:
	s_mov_b64 s[20:21], -1
	s_cmp_gt_i32 s29, 28
	s_mov_b64 s[0:1], s[14:15]
	s_cbranch_scc0 .LBB368_913
; %bb.894:
	s_cmp_gt_i32 s29, 43
	s_mov_b64 s[0:1], s[14:15]
	s_cbranch_scc0 .LBB368_909
; %bb.895:
	;; [unrolled: 4-line block ×3, first 2 shown]
	s_cmp_eq_u32 s29, 46
	s_mov_b64 s[0:1], -1
	s_cbranch_scc0 .LBB368_902
; %bb.897:
	v_cvt_f32_i32_e32 v1, v0
	s_movk_i32 s0, 0x7fff
	s_mov_b64 s[20:21], 0
	v_bfe_u32 v4, v1, 16, 1
	v_add3_u32 v1, v1, v4, s0
	v_lshrrev_b32_e32 v1, 16, v1
	global_store_dword v[2:3], v1, off
	s_mov_b64 s[0:1], 0
	s_branch .LBB368_903
.LBB368_898:
	s_or_b64 exec, exec, s[16:17]
	s_and_saveexec_b64 s[0:1], s[14:15]
	s_cbranch_execnz .LBB368_971
.LBB368_899:
	s_or_b64 exec, exec, s[0:1]
	s_and_saveexec_b64 s[0:1], s[22:23]
	s_xor_b64 s[0:1], exec, s[0:1]
	s_cbranch_execz .LBB368_972
.LBB368_900:
	v_cmp_ne_u32_e32 vcc, 0, v0
	s_nop 1
	v_cndmask_b32_e64 v1, 0, 1, vcc
	s_waitcnt vmcnt(0)
	global_store_byte v[2:3], v1, off
	s_or_b64 exec, exec, s[0:1]
	s_and_saveexec_b64 s[0:1], s[20:21]
	s_xor_b64 s[0:1], exec, s[0:1]
	s_cbranch_execz .LBB368_1010
	s_branch .LBB368_973
.LBB368_901:
	s_mov_b64 s[20:21], -1
	s_mov_b64 s[0:1], s[14:15]
	s_branch .LBB368_970
.LBB368_902:
	s_mov_b64 s[20:21], 0
.LBB368_903:
	s_and_b64 vcc, exec, s[20:21]
	s_cbranch_vccz .LBB368_908
; %bb.904:
	s_cmp_eq_u32 s29, 44
	s_mov_b64 s[0:1], -1
	s_cbranch_scc0 .LBB368_908
; %bb.905:
	v_cvt_f32_i32_e32 v1, v0
	s_movk_i32 s0, 0xff
	v_mov_b32_e32 v5, 0xff
	v_bfe_u32 v4, v1, 23, 8
	v_cmp_ne_u32_e32 vcc, s0, v4
	s_and_saveexec_b64 s[20:21], vcc
; %bb.906:
	s_mov_b32 s0, 0x3fffff
	v_lshrrev_b32_e32 v5, 23, v1
	v_and_b32_e32 v6, 0x400000, v1
	v_and_or_b32 v1, v1, s0, v4
	v_cmp_ne_u32_e32 vcc, 0, v6
	v_cmp_ne_u32_e64 s[0:1], 0, v1
	s_and_b64 s[0:1], vcc, s[0:1]
	s_nop 0
	v_cndmask_b32_e64 v1, 0, 1, s[0:1]
	v_add_u32_e32 v5, v5, v1
; %bb.907:
	s_or_b64 exec, exec, s[20:21]
	s_mov_b64 s[0:1], 0
	global_store_byte v[2:3], v5, off
.LBB368_908:
	s_mov_b64 s[20:21], 0
.LBB368_909:
	s_and_b64 vcc, exec, s[20:21]
	s_cbranch_vccz .LBB368_912
; %bb.910:
	s_cmp_eq_u32 s29, 29
	s_mov_b64 s[0:1], -1
	s_cbranch_scc0 .LBB368_912
; %bb.911:
	v_ashrrev_i32_e32 v1, 31, v0
	global_store_dwordx2 v[2:3], v[0:1], off
	s_mov_b64 s[0:1], 0
.LBB368_912:
	s_mov_b64 s[20:21], 0
.LBB368_913:
	s_and_b64 vcc, exec, s[20:21]
	s_cbranch_vccz .LBB368_928
; %bb.914:
	s_cmp_lt_i32 s29, 27
	s_mov_b64 s[20:21], -1
	s_cbranch_scc1 .LBB368_920
; %bb.915:
	s_cmp_gt_i32 s29, 27
	s_cbranch_scc0 .LBB368_917
; %bb.916:
	s_mov_b64 s[20:21], 0
	global_store_dword v[2:3], v0, off
.LBB368_917:
	s_andn2_b64 vcc, exec, s[20:21]
	s_cbranch_vccnz .LBB368_919
; %bb.918:
	global_store_short v[2:3], v0, off
.LBB368_919:
	s_mov_b64 s[20:21], 0
.LBB368_920:
	s_andn2_b64 vcc, exec, s[20:21]
	s_cbranch_vccnz .LBB368_928
; %bb.921:
	v_cvt_f32_i32_e32 v1, v0
	s_mov_b32 s20, 0x43800000
	v_mov_b32_e32 v5, 0x80
	v_and_b32_e32 v4, 0x7fffffff, v1
	v_cmp_gt_u32_e32 vcc, s20, v4
	s_and_saveexec_b64 s[20:21], vcc
	s_cbranch_execz .LBB368_927
; %bb.922:
	s_mov_b32 s22, 0x3bffffff
	v_cmp_lt_u32_e32 vcc, s22, v4
	s_mov_b64 s[22:23], 0
                                        ; implicit-def: $vgpr4
	s_and_saveexec_b64 s[24:25], vcc
	s_xor_b64 s[24:25], exec, s[24:25]
	s_cbranch_execz .LBB368_1025
; %bb.923:
	v_bfe_u32 v4, v1, 20, 1
	s_mov_b32 s26, 0x487ffff
	v_add3_u32 v4, v1, v4, s26
	s_mov_b64 s[22:23], exec
	v_lshrrev_b32_e32 v4, 20, v4
	s_andn2_saveexec_b64 s[24:25], s[24:25]
	s_cbranch_execnz .LBB368_1026
.LBB368_924:
	s_or_b64 exec, exec, s[24:25]
	v_mov_b32_e32 v5, 0
	s_and_saveexec_b64 s[24:25], s[22:23]
.LBB368_925:
	v_lshrrev_b32_e32 v1, 24, v1
	s_movk_i32 s22, 0x80
	v_and_or_b32 v5, v1, s22, v4
.LBB368_926:
	s_or_b64 exec, exec, s[24:25]
.LBB368_927:
	s_or_b64 exec, exec, s[20:21]
	global_store_byte v[2:3], v5, off
.LBB368_928:
	s_mov_b64 s[22:23], 0
.LBB368_929:
	s_mov_b64 s[20:21], 0
	s_and_b64 vcc, exec, s[22:23]
	s_cbranch_vccz .LBB368_969
; %bb.930:
	s_cmp_gt_i32 s29, 22
	s_mov_b64 s[22:23], -1
	s_cbranch_scc0 .LBB368_962
; %bb.931:
	s_cmp_lt_i32 s29, 24
	s_cbranch_scc1 .LBB368_951
; %bb.932:
	s_cmp_gt_i32 s29, 24
	s_cbranch_scc0 .LBB368_940
; %bb.933:
	v_cvt_f32_i32_e32 v1, v0
	s_mov_b32 s22, 0x47800000
	v_mov_b32_e32 v5, 0x80
	v_and_b32_e32 v4, 0x7fffffff, v1
	v_cmp_gt_u32_e32 vcc, s22, v4
	s_and_saveexec_b64 s[22:23], vcc
	s_cbranch_execz .LBB368_939
; %bb.934:
	s_mov_b32 s24, 0x37ffffff
	v_cmp_lt_u32_e32 vcc, s24, v4
	s_mov_b64 s[24:25], 0
                                        ; implicit-def: $vgpr4
	s_and_saveexec_b64 s[26:27], vcc
	s_xor_b64 s[26:27], exec, s[26:27]
	s_cbranch_execz .LBB368_1145
; %bb.935:
	v_bfe_u32 v4, v1, 21, 1
	s_mov_b32 s30, 0x88fffff
	v_add3_u32 v4, v1, v4, s30
	s_mov_b64 s[24:25], exec
	v_lshrrev_b32_e32 v4, 21, v4
	s_andn2_saveexec_b64 s[26:27], s[26:27]
	s_cbranch_execnz .LBB368_1146
.LBB368_936:
	s_or_b64 exec, exec, s[26:27]
	v_mov_b32_e32 v5, 0
	s_and_saveexec_b64 s[26:27], s[24:25]
.LBB368_937:
	v_lshrrev_b32_e32 v1, 24, v1
	s_movk_i32 s24, 0x80
	v_and_or_b32 v5, v1, s24, v4
.LBB368_938:
	s_or_b64 exec, exec, s[26:27]
.LBB368_939:
	s_or_b64 exec, exec, s[22:23]
	s_mov_b64 s[22:23], 0
	global_store_byte v[2:3], v5, off
.LBB368_940:
	s_and_b64 vcc, exec, s[22:23]
	s_cbranch_vccz .LBB368_950
; %bb.941:
	v_cvt_f32_i32_e32 v1, v0
	s_mov_b32 s22, 0x43f00000
                                        ; implicit-def: $vgpr4
	v_and_b32_e32 v5, 0x7fffffff, v1
	v_cmp_gt_u32_e32 vcc, s22, v5
	s_and_saveexec_b64 s[22:23], vcc
	s_xor_b64 s[22:23], exec, s[22:23]
	s_cbranch_execz .LBB368_947
; %bb.942:
	s_mov_b32 s24, 0x3c7fffff
	v_cmp_lt_u32_e32 vcc, s24, v5
                                        ; implicit-def: $vgpr4
	s_and_saveexec_b64 s[24:25], vcc
	s_xor_b64 s[24:25], exec, s[24:25]
; %bb.943:
	v_bfe_u32 v4, v1, 20, 1
	s_mov_b32 s26, 0x407ffff
	v_add3_u32 v4, v1, v4, s26
	v_lshrrev_b32_e32 v5, 20, v4
	v_and_b32_e32 v4, 0xff00000, v4
	s_mov_b32 s26, 0x7f00000
	v_mov_b32_e32 v6, 0x7e
	v_cmp_ne_u32_e32 vcc, s26, v4
	s_nop 1
	v_cndmask_b32_e32 v4, v6, v5, vcc
; %bb.944:
	s_andn2_saveexec_b64 s[24:25], s[24:25]
; %bb.945:
	s_mov_b32 s26, 0x46800000
	v_add_f32_e64 v4, |v1|, s26
; %bb.946:
	s_or_b64 exec, exec, s[24:25]
                                        ; implicit-def: $vgpr5
.LBB368_947:
	s_andn2_saveexec_b64 s[22:23], s[22:23]
; %bb.948:
	s_mov_b32 s24, 0x7f800000
	v_mov_b32_e32 v4, 0x7e
	v_mov_b32_e32 v6, 0x7f
	v_cmp_lt_u32_e32 vcc, s24, v5
	s_nop 1
	v_cndmask_b32_e32 v4, v4, v6, vcc
; %bb.949:
	s_or_b64 exec, exec, s[22:23]
	v_lshrrev_b32_e32 v1, 24, v1
	s_movk_i32 s22, 0x80
	v_and_or_b32 v1, v1, s22, v4
	global_store_byte v[2:3], v1, off
.LBB368_950:
	s_mov_b64 s[22:23], 0
.LBB368_951:
	s_andn2_b64 vcc, exec, s[22:23]
	s_cbranch_vccnz .LBB368_961
; %bb.952:
	v_cvt_f32_i32_e32 v1, v0
	s_mov_b32 s22, 0x47800000
                                        ; implicit-def: $vgpr4
	v_and_b32_e32 v5, 0x7fffffff, v1
	v_cmp_gt_u32_e32 vcc, s22, v5
	s_and_saveexec_b64 s[22:23], vcc
	s_xor_b64 s[22:23], exec, s[22:23]
	s_cbranch_execz .LBB368_958
; %bb.953:
	s_mov_b32 s24, 0x387fffff
	v_cmp_lt_u32_e32 vcc, s24, v5
                                        ; implicit-def: $vgpr4
	s_and_saveexec_b64 s[24:25], vcc
	s_xor_b64 s[24:25], exec, s[24:25]
; %bb.954:
	v_bfe_u32 v4, v1, 21, 1
	s_mov_b32 s26, 0x80fffff
	v_add3_u32 v4, v1, v4, s26
	v_lshrrev_b32_e32 v4, 21, v4
; %bb.955:
	s_andn2_saveexec_b64 s[24:25], s[24:25]
; %bb.956:
	s_mov_b32 s26, 0x43000000
	v_add_f32_e64 v4, |v1|, s26
; %bb.957:
	s_or_b64 exec, exec, s[24:25]
                                        ; implicit-def: $vgpr5
.LBB368_958:
	s_andn2_saveexec_b64 s[22:23], s[22:23]
; %bb.959:
	s_mov_b32 s24, 0x7f800000
	v_mov_b32_e32 v4, 0x7c
	v_mov_b32_e32 v6, 0x7f
	v_cmp_lt_u32_e32 vcc, s24, v5
	s_nop 1
	v_cndmask_b32_e32 v4, v4, v6, vcc
; %bb.960:
	s_or_b64 exec, exec, s[22:23]
	v_lshrrev_b32_e32 v1, 24, v1
	s_movk_i32 s22, 0x80
	v_and_or_b32 v1, v1, s22, v4
	global_store_byte v[2:3], v1, off
.LBB368_961:
	s_mov_b64 s[22:23], 0
.LBB368_962:
	s_andn2_b64 vcc, exec, s[22:23]
	s_mov_b64 s[22:23], 0
	s_cbranch_vccnz .LBB368_970
; %bb.963:
	s_cmp_gt_i32 s29, 14
	s_mov_b64 s[24:25], -1
	s_cbranch_scc0 .LBB368_967
; %bb.964:
	s_cmp_eq_u32 s29, 15
	s_mov_b64 s[0:1], -1
	s_cbranch_scc0 .LBB368_966
; %bb.965:
	v_cvt_f32_i32_e32 v1, v0
	s_movk_i32 s0, 0x7fff
	v_bfe_u32 v4, v1, 16, 1
	v_add3_u32 v1, v1, v4, s0
	global_store_short_d16_hi v[2:3], v1, off
	s_mov_b64 s[0:1], 0
.LBB368_966:
	s_mov_b64 s[24:25], 0
.LBB368_967:
	s_and_b64 vcc, exec, s[24:25]
	s_cbranch_vccz .LBB368_970
; %bb.968:
	s_cmp_lg_u32 s29, 11
	s_cselect_b64 s[24:25], -1, 0
	s_andn2_b64 s[0:1], s[0:1], exec
	s_and_b64 s[24:25], s[24:25], exec
	s_mov_b64 s[22:23], -1
	s_or_b64 s[0:1], s[0:1], s[24:25]
	s_branch .LBB368_970
.LBB368_969:
	s_mov_b64 s[22:23], 0
.LBB368_970:
	s_andn2_b64 s[14:15], s[14:15], exec
	s_and_b64 s[0:1], s[0:1], exec
	s_and_b64 s[20:21], s[20:21], exec
	;; [unrolled: 1-line block ×3, first 2 shown]
	s_or_b64 s[14:15], s[14:15], s[0:1]
	s_or_b64 exec, exec, s[16:17]
	s_and_saveexec_b64 s[0:1], s[14:15]
	s_cbranch_execz .LBB368_899
.LBB368_971:
	s_or_b64 s[18:19], s[18:19], exec
	s_andn2_b64 s[22:23], s[22:23], exec
	s_trap 2
	s_or_b64 exec, exec, s[0:1]
	s_and_saveexec_b64 s[0:1], s[22:23]
	s_xor_b64 s[0:1], exec, s[0:1]
	s_cbranch_execnz .LBB368_900
.LBB368_972:
	s_or_b64 exec, exec, s[0:1]
	s_and_saveexec_b64 s[0:1], s[20:21]
	s_xor_b64 s[0:1], exec, s[0:1]
	s_cbranch_execz .LBB368_1010
.LBB368_973:
	s_sext_i32_i16 s16, s28
	s_cmp_lt_i32 s16, 5
	s_mov_b64 s[14:15], -1
	s_cbranch_scc1 .LBB368_994
; %bb.974:
	s_cmp_lt_i32 s16, 8
	s_cbranch_scc1 .LBB368_984
; %bb.975:
	s_cmp_lt_i32 s16, 9
	s_cbranch_scc1 .LBB368_981
; %bb.976:
	s_cmp_gt_i32 s16, 9
	s_cbranch_scc0 .LBB368_978
; %bb.977:
	v_mov_b32_e32 v6, 0
	s_waitcnt vmcnt(0)
	v_cvt_f64_i32_e32 v[4:5], v0
	v_mov_b32_e32 v7, v6
	s_mov_b64 s[14:15], 0
	global_store_dwordx4 v[2:3], v[4:7], off
.LBB368_978:
	s_andn2_b64 vcc, exec, s[14:15]
	s_cbranch_vccnz .LBB368_980
; %bb.979:
	v_cvt_f32_i32_e32 v4, v0
	s_waitcnt vmcnt(0)
	v_mov_b32_e32 v5, 0
	global_store_dwordx2 v[2:3], v[4:5], off
.LBB368_980:
	s_mov_b64 s[14:15], 0
.LBB368_981:
	s_andn2_b64 vcc, exec, s[14:15]
	s_cbranch_vccnz .LBB368_983
; %bb.982:
	v_cvt_f32_i32_e32 v1, v0
	v_cvt_f16_f32_e32 v1, v1
	s_waitcnt vmcnt(0)
	global_store_dword v[2:3], v1, off
.LBB368_983:
	s_mov_b64 s[14:15], 0
.LBB368_984:
	s_andn2_b64 vcc, exec, s[14:15]
	s_cbranch_vccnz .LBB368_993
; %bb.985:
	s_sext_i32_i16 s16, s28
	s_cmp_lt_i32 s16, 6
	s_mov_b64 s[14:15], -1
	s_cbranch_scc1 .LBB368_991
; %bb.986:
	s_cmp_gt_i32 s16, 6
	s_cbranch_scc0 .LBB368_988
; %bb.987:
	s_waitcnt vmcnt(0)
	v_cvt_f64_i32_e32 v[4:5], v0
	s_mov_b64 s[14:15], 0
	global_store_dwordx2 v[2:3], v[4:5], off
.LBB368_988:
	s_andn2_b64 vcc, exec, s[14:15]
	s_cbranch_vccnz .LBB368_990
; %bb.989:
	v_cvt_f32_i32_e32 v1, v0
	s_waitcnt vmcnt(0)
	global_store_dword v[2:3], v1, off
.LBB368_990:
	s_mov_b64 s[14:15], 0
.LBB368_991:
	s_andn2_b64 vcc, exec, s[14:15]
	s_cbranch_vccnz .LBB368_993
; %bb.992:
	v_cvt_f32_i32_e32 v1, v0
	v_cvt_f16_f32_e32 v1, v1
	s_waitcnt vmcnt(0)
	global_store_short v[2:3], v1, off
.LBB368_993:
	s_mov_b64 s[14:15], 0
.LBB368_994:
	s_andn2_b64 vcc, exec, s[14:15]
	s_cbranch_vccnz .LBB368_1010
; %bb.995:
	s_sext_i32_i16 s16, s28
	s_cmp_lt_i32 s16, 2
	s_mov_b64 s[14:15], -1
	s_cbranch_scc1 .LBB368_1005
; %bb.996:
	s_cmp_lt_i32 s16, 3
	s_cbranch_scc1 .LBB368_1002
; %bb.997:
	s_cmp_gt_i32 s16, 3
	s_cbranch_scc0 .LBB368_999
; %bb.998:
	v_ashrrev_i32_e32 v1, 31, v0
	s_mov_b64 s[14:15], 0
	s_waitcnt vmcnt(0)
	global_store_dwordx2 v[2:3], v[0:1], off
.LBB368_999:
	s_andn2_b64 vcc, exec, s[14:15]
	s_cbranch_vccnz .LBB368_1001
; %bb.1000:
	s_waitcnt vmcnt(0)
	global_store_dword v[2:3], v0, off
.LBB368_1001:
	s_mov_b64 s[14:15], 0
.LBB368_1002:
	s_andn2_b64 vcc, exec, s[14:15]
	s_cbranch_vccnz .LBB368_1004
; %bb.1003:
	s_waitcnt vmcnt(0)
	global_store_short v[2:3], v0, off
.LBB368_1004:
	s_mov_b64 s[14:15], 0
.LBB368_1005:
	s_andn2_b64 vcc, exec, s[14:15]
	s_cbranch_vccnz .LBB368_1010
; %bb.1006:
	s_sext_i32_i16 s14, s28
	s_cmp_gt_i32 s14, 0
	s_mov_b64 s[14:15], -1
	s_cbranch_scc0 .LBB368_1008
; %bb.1007:
	s_mov_b64 s[14:15], 0
	s_waitcnt vmcnt(0)
	global_store_byte v[2:3], v0, off
.LBB368_1008:
	s_andn2_b64 vcc, exec, s[14:15]
	s_cbranch_vccnz .LBB368_1010
; %bb.1009:
	s_waitcnt vmcnt(0)
	global_store_byte v[2:3], v0, off
.LBB368_1010:
	s_or_b64 exec, exec, s[0:1]
	s_and_b64 s[14:15], s[18:19], exec
                                        ; implicit-def: $vgpr4
.LBB368_1011:
	s_or_saveexec_b64 s[12:13], s[12:13]
	s_mov_b64 s[0:1], 0
                                        ; implicit-def: $sgpr22
                                        ; implicit-def: $vgpr0_vgpr1
                                        ; implicit-def: $vgpr2
	s_xor_b64 exec, exec, s[12:13]
	s_cbranch_execz .LBB368_1942
; %bb.1012:
	v_mul_lo_u32 v0, s9, v4
	v_ashrrev_i32_e32 v1, 31, v0
	s_and_b32 s11, 0xffff, s11
	s_cmp_lt_i32 s11, 11
	s_waitcnt vmcnt(0)
	v_lshl_add_u64 v[2:3], s[6:7], 0, v[0:1]
	s_cbranch_scc1 .LBB368_1019
; %bb.1013:
	s_cmp_gt_i32 s11, 25
	s_cbranch_scc0 .LBB368_1021
; %bb.1014:
	s_cmp_gt_i32 s11, 28
	s_cbranch_scc0 .LBB368_1022
	;; [unrolled: 3-line block ×4, first 2 shown]
; %bb.1017:
	s_cmp_eq_u32 s11, 46
	s_mov_b64 s[16:17], 0
	s_cbranch_scc0 .LBB368_1027
; %bb.1018:
	global_load_dword v1, v[2:3], off
	s_mov_b64 s[18:19], -1
	s_waitcnt vmcnt(0)
	v_lshlrev_b32_e32 v1, 16, v1
	v_cvt_i32_f32_e32 v5, v1
	s_branch .LBB368_1028
.LBB368_1019:
	s_mov_b64 s[18:19], 0
                                        ; implicit-def: $vgpr5
	s_mov_b64 s[16:17], s[14:15]
	s_cbranch_execnz .LBB368_1086
.LBB368_1020:
	s_andn2_b64 vcc, exec, s[18:19]
	s_cbranch_vccz .LBB368_1131
	s_branch .LBB368_1940
.LBB368_1021:
	s_mov_b64 s[18:19], 0
                                        ; implicit-def: $vgpr5
	s_cbranch_execnz .LBB368_1053
	s_branch .LBB368_1082
.LBB368_1022:
	s_mov_b64 s[18:19], 0
                                        ; implicit-def: $vgpr5
	s_cbranch_execz .LBB368_1052
	s_branch .LBB368_1037
.LBB368_1023:
	s_mov_b64 s[18:19], 0
                                        ; implicit-def: $vgpr5
	s_cbranch_execnz .LBB368_1033
	s_branch .LBB368_1036
.LBB368_1024:
	s_mov_b64 s[16:17], -1
	s_mov_b64 s[18:19], 0
                                        ; implicit-def: $vgpr5
	s_branch .LBB368_1028
.LBB368_1025:
	s_andn2_saveexec_b64 s[24:25], s[24:25]
	s_cbranch_execz .LBB368_924
.LBB368_1026:
	s_mov_b32 s26, 0x46000000
	v_add_f32_e64 v4, |v1|, s26
	v_and_b32_e32 v4, 0xff, v4
	v_cmp_ne_u32_e32 vcc, 0, v4
	s_andn2_b64 s[22:23], s[22:23], exec
	s_and_b64 s[26:27], vcc, exec
	s_or_b64 s[22:23], s[22:23], s[26:27]
	s_or_b64 exec, exec, s[24:25]
	v_mov_b32_e32 v5, 0
	s_and_saveexec_b64 s[24:25], s[22:23]
	s_cbranch_execnz .LBB368_925
	s_branch .LBB368_926
.LBB368_1027:
	s_mov_b64 s[0:1], -1
                                        ; implicit-def: $vgpr5
	s_mov_b64 s[18:19], 0
.LBB368_1028:
	s_and_b64 vcc, exec, s[16:17]
	s_cbranch_vccz .LBB368_1031
; %bb.1029:
	s_cmp_eq_u32 s11, 44
	s_cbranch_scc0 .LBB368_1032
; %bb.1030:
	global_load_ubyte v1, v[2:3], off
	s_mov_b64 s[0:1], 0
	s_mov_b64 s[18:19], -1
	s_waitcnt vmcnt(0)
	v_lshlrev_b32_e32 v5, 23, v1
	v_cvt_i32_f32_e32 v5, v5
	v_cmp_ne_u32_e32 vcc, 0, v1
	s_nop 1
	v_cndmask_b32_e32 v5, 0, v5, vcc
.LBB368_1031:
	s_branch .LBB368_1036
.LBB368_1032:
	s_mov_b64 s[0:1], -1
                                        ; implicit-def: $vgpr5
	s_branch .LBB368_1036
.LBB368_1033:
	s_cmp_eq_u32 s11, 29
	s_cbranch_scc0 .LBB368_1035
; %bb.1034:
	global_load_dword v5, v[2:3], off
	s_mov_b64 s[0:1], 0
	s_mov_b64 s[18:19], -1
	s_branch .LBB368_1036
.LBB368_1035:
	s_mov_b64 s[0:1], -1
                                        ; implicit-def: $vgpr5
.LBB368_1036:
	s_branch .LBB368_1052
.LBB368_1037:
	s_cmp_lt_i32 s11, 27
	s_cbranch_scc1 .LBB368_1040
; %bb.1038:
	s_cmp_gt_i32 s11, 27
	s_cbranch_scc0 .LBB368_1041
; %bb.1039:
	global_load_dword v5, v[2:3], off
	s_mov_b64 s[16:17], 0
	s_branch .LBB368_1042
.LBB368_1040:
	s_mov_b64 s[16:17], -1
                                        ; implicit-def: $vgpr5
	s_branch .LBB368_1045
.LBB368_1041:
	s_mov_b64 s[16:17], -1
                                        ; implicit-def: $vgpr5
.LBB368_1042:
	s_andn2_b64 vcc, exec, s[16:17]
	s_cbranch_vccnz .LBB368_1044
; %bb.1043:
	global_load_ushort v5, v[2:3], off
.LBB368_1044:
	s_mov_b64 s[16:17], 0
.LBB368_1045:
	s_andn2_b64 vcc, exec, s[16:17]
	s_cbranch_vccnz .LBB368_1051
; %bb.1046:
	global_load_ubyte v1, v[2:3], off
	s_movk_i32 s16, 0x7f
	s_mov_b64 s[18:19], 0
	s_waitcnt vmcnt(0)
	v_cmp_lt_i16_e32 vcc, s16, v1
	s_and_saveexec_b64 s[16:17], vcc
	s_xor_b64 s[16:17], exec, s[16:17]
	s_cbranch_execz .LBB368_1062
; %bb.1047:
	s_movk_i32 s18, 0x80
	v_cmp_ne_u16_e32 vcc, s18, v1
	s_and_b64 s[18:19], vcc, exec
	s_andn2_saveexec_b64 s[16:17], s[16:17]
	s_cbranch_execnz .LBB368_1063
.LBB368_1048:
	s_or_b64 exec, exec, s[16:17]
	v_mov_b32_e32 v5, 0
	s_and_saveexec_b64 s[16:17], s[18:19]
	s_cbranch_execz .LBB368_1050
.LBB368_1049:
	v_lshlrev_b32_e32 v5, 24, v1
	v_and_b32_e32 v1, 0xffff, v1
	v_and_b32_e32 v6, 7, v1
	v_ffbh_u32_e32 v8, v6
	v_min_u32_e32 v8, 32, v8
	v_subrev_u32_e32 v9, 28, v8
	v_bfe_u32 v7, v1, 3, 4
	v_lshlrev_b32_e32 v1, v9, v1
	v_sub_u32_e32 v8, 29, v8
	v_and_b32_e32 v1, 7, v1
	v_cmp_eq_u32_e32 vcc, 0, v7
	v_and_b32_e32 v5, 0x80000000, v5
	s_nop 0
	v_cndmask_b32_e32 v7, v7, v8, vcc
	v_cndmask_b32_e32 v1, v6, v1, vcc
	v_mov_b32_e32 v6, 0x3b800000
	v_lshlrev_b32_e32 v1, 20, v1
	v_lshl_add_u32 v6, v7, 23, v6
	v_or3_b32 v1, v5, v6, v1
	v_cvt_i32_f32_e32 v5, v1
.LBB368_1050:
	s_or_b64 exec, exec, s[16:17]
.LBB368_1051:
	s_mov_b64 s[18:19], -1
.LBB368_1052:
	s_branch .LBB368_1082
.LBB368_1053:
	s_cmp_gt_i32 s11, 22
	s_cbranch_scc0 .LBB368_1061
; %bb.1054:
	s_cmp_lt_i32 s11, 24
	s_cbranch_scc1 .LBB368_1064
; %bb.1055:
	s_cmp_gt_i32 s11, 24
	s_cbranch_scc0 .LBB368_1065
; %bb.1056:
	global_load_ubyte v1, v[2:3], off
	s_movk_i32 s2, 0x7f
	s_mov_b64 s[16:17], 0
	s_waitcnt vmcnt(0)
	v_cmp_lt_i16_e32 vcc, s2, v1
	s_and_saveexec_b64 s[2:3], vcc
	s_xor_b64 s[2:3], exec, s[2:3]
	s_cbranch_execz .LBB368_1076
; %bb.1057:
	s_movk_i32 s16, 0x80
	v_cmp_ne_u16_e32 vcc, s16, v1
	s_and_b64 s[16:17], vcc, exec
	s_andn2_saveexec_b64 s[2:3], s[2:3]
	s_cbranch_execnz .LBB368_1077
.LBB368_1058:
	s_or_b64 exec, exec, s[2:3]
	v_mov_b32_e32 v5, 0
	s_and_saveexec_b64 s[2:3], s[16:17]
	s_cbranch_execz .LBB368_1060
.LBB368_1059:
	v_lshlrev_b32_e32 v5, 24, v1
	v_and_b32_e32 v1, 0xffff, v1
	v_and_b32_e32 v6, 3, v1
	v_ffbh_u32_e32 v8, v6
	v_min_u32_e32 v8, 32, v8
	v_subrev_u32_e32 v9, 29, v8
	v_bfe_u32 v7, v1, 2, 5
	v_lshlrev_b32_e32 v1, v9, v1
	v_sub_u32_e32 v8, 30, v8
	v_and_b32_e32 v1, 3, v1
	v_cmp_eq_u32_e32 vcc, 0, v7
	v_and_b32_e32 v5, 0x80000000, v5
	s_nop 0
	v_cndmask_b32_e32 v7, v7, v8, vcc
	v_cndmask_b32_e32 v1, v6, v1, vcc
	v_mov_b32_e32 v6, 0x37800000
	v_lshlrev_b32_e32 v1, 21, v1
	v_lshl_add_u32 v6, v7, 23, v6
	v_or3_b32 v1, v5, v6, v1
	v_cvt_i32_f32_e32 v5, v1
.LBB368_1060:
	s_or_b64 exec, exec, s[2:3]
	s_mov_b64 s[2:3], 0
	s_branch .LBB368_1066
.LBB368_1061:
                                        ; implicit-def: $vgpr5
	s_mov_b64 s[2:3], 0
	s_branch .LBB368_1072
.LBB368_1062:
	s_andn2_saveexec_b64 s[16:17], s[16:17]
	s_cbranch_execz .LBB368_1048
.LBB368_1063:
	v_cmp_ne_u16_e32 vcc, 0, v1
	s_andn2_b64 s[18:19], s[18:19], exec
	s_and_b64 s[20:21], vcc, exec
	s_or_b64 s[18:19], s[18:19], s[20:21]
	s_or_b64 exec, exec, s[16:17]
	v_mov_b32_e32 v5, 0
	s_and_saveexec_b64 s[16:17], s[18:19]
	s_cbranch_execnz .LBB368_1049
	s_branch .LBB368_1050
.LBB368_1064:
	s_mov_b64 s[2:3], -1
                                        ; implicit-def: $vgpr5
	s_branch .LBB368_1069
.LBB368_1065:
	s_mov_b64 s[2:3], -1
                                        ; implicit-def: $vgpr5
.LBB368_1066:
	s_and_b64 vcc, exec, s[2:3]
	s_cbranch_vccz .LBB368_1068
; %bb.1067:
	global_load_ubyte v1, v[2:3], off
	s_mov_b32 s2, 0x7f800000
	s_waitcnt vmcnt(0)
	v_lshlrev_b32_e32 v1, 24, v1
	v_and_b32_e32 v5, 0x7f000000, v1
	v_ffbh_u32_e32 v6, v5
	v_min_u32_e32 v6, 32, v6
	v_sub_u32_e64 v6, v6, 4 clamp
	v_lshlrev_b32_e32 v8, v6, v5
	v_lshlrev_b32_e32 v6, 23, v6
	v_lshrrev_b32_e32 v8, 4, v8
	v_add_u32_e32 v7, 0x1000000, v5
	v_sub_u32_e32 v6, v8, v6
	v_ashrrev_i32_e32 v7, 8, v7
	v_add_u32_e32 v6, 0x3c000000, v6
	v_and_or_b32 v6, v7, s2, v6
	v_cmp_ne_u32_e32 vcc, 0, v5
	s_brev_b32 s2, 1
	s_nop 0
	v_cndmask_b32_e32 v5, 0, v6, vcc
	v_and_or_b32 v1, v1, s2, v5
	v_cvt_i32_f32_e32 v5, v1
.LBB368_1068:
	s_mov_b64 s[2:3], 0
.LBB368_1069:
	s_andn2_b64 vcc, exec, s[2:3]
	s_cbranch_vccnz .LBB368_1071
; %bb.1070:
	global_load_ubyte v1, v[2:3], off
	s_movk_i32 s2, 0x7f00
	s_brev_b32 s3, 16
	s_waitcnt vmcnt(0)
	v_lshlrev_b16_e32 v5, 8, v1
	v_lshlrev_b32_e32 v1, 25, v1
	v_lshrrev_b32_e32 v6, 4, v1
	v_and_or_b32 v7, v5, s2, 0.5
	v_or_b32_e32 v6, 0x70000000, v6
	v_add_f32_e32 v7, -0.5, v7
	v_mul_f32_e32 v6, 0x7800000, v6
	v_cmp_gt_u32_e32 vcc, s3, v1
	v_bfe_i32 v5, v5, 0, 16
	s_brev_b32 s2, 1
	v_cndmask_b32_e32 v1, v6, v7, vcc
	v_and_or_b32 v1, v5, s2, v1
	v_cvt_i32_f32_e32 v5, v1
.LBB368_1071:
	s_mov_b64 s[18:19], -1
	s_mov_b64 s[2:3], 0
	s_cbranch_execnz .LBB368_1082
.LBB368_1072:
	s_cmp_gt_i32 s11, 14
	s_cbranch_scc0 .LBB368_1075
; %bb.1073:
	s_cmp_eq_u32 s11, 15
	s_cbranch_scc0 .LBB368_1078
; %bb.1074:
	global_load_ushort v1, v[2:3], off
	s_mov_b64 s[0:1], 0
	s_mov_b64 s[18:19], -1
	s_waitcnt vmcnt(0)
	v_lshlrev_b32_e32 v1, 16, v1
	v_cvt_i32_f32_e32 v5, v1
	s_branch .LBB368_1079
.LBB368_1075:
	s_mov_b64 s[16:17], -1
                                        ; implicit-def: $vgpr5
	s_branch .LBB368_1080
.LBB368_1076:
	s_andn2_saveexec_b64 s[2:3], s[2:3]
	s_cbranch_execz .LBB368_1058
.LBB368_1077:
	v_cmp_ne_u16_e32 vcc, 0, v1
	s_andn2_b64 s[16:17], s[16:17], exec
	s_and_b64 s[18:19], vcc, exec
	s_or_b64 s[16:17], s[16:17], s[18:19]
	s_or_b64 exec, exec, s[2:3]
	v_mov_b32_e32 v5, 0
	s_and_saveexec_b64 s[2:3], s[16:17]
	s_cbranch_execnz .LBB368_1059
	s_branch .LBB368_1060
.LBB368_1078:
	s_mov_b64 s[0:1], -1
                                        ; implicit-def: $vgpr5
.LBB368_1079:
	s_mov_b64 s[16:17], 0
.LBB368_1080:
	s_and_b64 vcc, exec, s[16:17]
	s_cbranch_vccz .LBB368_1082
; %bb.1081:
	s_cmp_lg_u32 s11, 11
	s_mov_b64 s[2:3], -1
	s_cselect_b64 s[0:1], -1, 0
.LBB368_1082:
	s_and_b64 vcc, exec, s[0:1]
	s_mov_b64 s[16:17], s[14:15]
	s_cbranch_vccnz .LBB368_1143
; %bb.1083:
	s_andn2_b64 vcc, exec, s[2:3]
	s_cbranch_vccnz .LBB368_1085
.LBB368_1084:
	global_load_ubyte v1, v[2:3], off
	s_mov_b64 s[18:19], -1
	s_waitcnt vmcnt(0)
	v_cmp_ne_u16_e32 vcc, 0, v1
	s_nop 1
	v_cndmask_b32_e64 v5, 0, 1, vcc
.LBB368_1085:
	s_branch .LBB368_1020
.LBB368_1086:
	s_cmp_lt_i32 s11, 5
	s_cbranch_scc1 .LBB368_1091
; %bb.1087:
	s_cmp_lt_i32 s11, 8
	s_cbranch_scc1 .LBB368_1092
; %bb.1088:
	s_cmp_lt_i32 s11, 9
	s_cbranch_scc1 .LBB368_1093
; %bb.1089:
	s_cmp_gt_i32 s11, 9
	s_cbranch_scc0 .LBB368_1094
; %bb.1090:
	global_load_dwordx2 v[6:7], v[2:3], off
	s_mov_b64 s[0:1], 0
	s_waitcnt vmcnt(0)
	v_cvt_i32_f64_e32 v5, v[6:7]
	s_branch .LBB368_1095
.LBB368_1091:
                                        ; implicit-def: $vgpr5
	s_branch .LBB368_1112
.LBB368_1092:
                                        ; implicit-def: $vgpr5
	s_branch .LBB368_1101
.LBB368_1093:
	s_mov_b64 s[0:1], -1
                                        ; implicit-def: $vgpr5
	s_branch .LBB368_1098
.LBB368_1094:
	s_mov_b64 s[0:1], -1
                                        ; implicit-def: $vgpr5
.LBB368_1095:
	s_andn2_b64 vcc, exec, s[0:1]
	s_cbranch_vccnz .LBB368_1097
; %bb.1096:
	global_load_dword v1, v[2:3], off
	s_waitcnt vmcnt(0)
	v_cvt_i32_f32_e32 v5, v1
.LBB368_1097:
	s_mov_b64 s[0:1], 0
.LBB368_1098:
	s_andn2_b64 vcc, exec, s[0:1]
	s_cbranch_vccnz .LBB368_1100
; %bb.1099:
	global_load_dword v1, v[2:3], off
	s_waitcnt vmcnt(0)
	v_cvt_f32_f16_e32 v1, v1
	v_cvt_i32_f32_e32 v5, v1
.LBB368_1100:
	s_cbranch_execnz .LBB368_1111
.LBB368_1101:
	s_cmp_lt_i32 s11, 6
	s_cbranch_scc1 .LBB368_1104
; %bb.1102:
	s_cmp_gt_i32 s11, 6
	s_cbranch_scc0 .LBB368_1105
; %bb.1103:
	global_load_dwordx2 v[6:7], v[2:3], off
	s_mov_b64 s[0:1], 0
	s_waitcnt vmcnt(0)
	v_cvt_i32_f64_e32 v5, v[6:7]
	s_branch .LBB368_1106
.LBB368_1104:
	s_mov_b64 s[0:1], -1
                                        ; implicit-def: $vgpr5
	s_branch .LBB368_1109
.LBB368_1105:
	s_mov_b64 s[0:1], -1
                                        ; implicit-def: $vgpr5
.LBB368_1106:
	s_andn2_b64 vcc, exec, s[0:1]
	s_cbranch_vccnz .LBB368_1108
; %bb.1107:
	global_load_dword v1, v[2:3], off
	s_waitcnt vmcnt(0)
	v_cvt_i32_f32_e32 v5, v1
.LBB368_1108:
	s_mov_b64 s[0:1], 0
.LBB368_1109:
	s_andn2_b64 vcc, exec, s[0:1]
	s_cbranch_vccnz .LBB368_1111
; %bb.1110:
	global_load_ushort v1, v[2:3], off
	s_waitcnt vmcnt(0)
	v_cvt_f32_f16_e32 v1, v1
	v_cvt_i32_f32_e32 v5, v1
.LBB368_1111:
	s_cbranch_execnz .LBB368_1130
.LBB368_1112:
	s_cmp_lt_i32 s11, 2
	s_cbranch_scc1 .LBB368_1116
; %bb.1113:
	s_cmp_lt_i32 s11, 3
	s_cbranch_scc1 .LBB368_1117
; %bb.1114:
	s_cmp_gt_i32 s11, 3
	s_cbranch_scc0 .LBB368_1118
; %bb.1115:
	global_load_dword v5, v[2:3], off
	s_mov_b64 s[0:1], 0
	s_branch .LBB368_1119
.LBB368_1116:
                                        ; implicit-def: $vgpr5
	s_branch .LBB368_1125
.LBB368_1117:
	s_mov_b64 s[0:1], -1
                                        ; implicit-def: $vgpr5
	s_branch .LBB368_1122
.LBB368_1118:
	s_mov_b64 s[0:1], -1
                                        ; implicit-def: $vgpr5
.LBB368_1119:
	s_andn2_b64 vcc, exec, s[0:1]
	s_cbranch_vccnz .LBB368_1121
; %bb.1120:
	global_load_dword v5, v[2:3], off
.LBB368_1121:
	s_mov_b64 s[0:1], 0
.LBB368_1122:
	s_andn2_b64 vcc, exec, s[0:1]
	s_cbranch_vccnz .LBB368_1124
; %bb.1123:
	global_load_sshort v5, v[2:3], off
.LBB368_1124:
	s_cbranch_execnz .LBB368_1130
.LBB368_1125:
	s_cmp_gt_i32 s11, 0
	s_cbranch_scc0 .LBB368_1127
; %bb.1126:
	global_load_sbyte v5, v[2:3], off
	s_mov_b64 s[0:1], 0
	s_branch .LBB368_1128
.LBB368_1127:
	s_mov_b64 s[0:1], -1
                                        ; implicit-def: $vgpr5
.LBB368_1128:
	s_andn2_b64 vcc, exec, s[0:1]
	s_cbranch_vccnz .LBB368_1130
; %bb.1129:
	global_load_ubyte v5, v[2:3], off
.LBB368_1130:
.LBB368_1131:
	s_lshl_b32 s9, s9, 7
	v_add_u32_e32 v0, s9, v0
	v_ashrrev_i32_e32 v1, 31, v0
	s_cmp_lt_i32 s11, 11
	v_lshl_add_u64 v[2:3], s[6:7], 0, v[0:1]
	s_cbranch_scc1 .LBB368_1138
; %bb.1132:
	s_cmp_gt_i32 s11, 25
	s_mov_b64 s[2:3], 0
	s_cbranch_scc0 .LBB368_1140
; %bb.1133:
	s_cmp_gt_i32 s11, 28
	s_cbranch_scc0 .LBB368_1141
; %bb.1134:
	s_cmp_gt_i32 s11, 43
	;; [unrolled: 3-line block ×3, first 2 shown]
	s_cbranch_scc0 .LBB368_1144
; %bb.1136:
	s_cmp_eq_u32 s11, 46
	s_mov_b64 s[20:21], 0
	s_cbranch_scc0 .LBB368_1147
; %bb.1137:
	global_load_dword v1, v[2:3], off
	s_mov_b64 s[0:1], 0
	s_mov_b64 s[18:19], -1
	s_waitcnt vmcnt(0)
	v_lshlrev_b32_e32 v1, 16, v1
	v_cvt_i32_f32_e32 v8, v1
	s_branch .LBB368_1148
.LBB368_1138:
	s_mov_b64 s[18:19], 0
                                        ; implicit-def: $vgpr8
	s_cbranch_execnz .LBB368_1209
.LBB368_1139:
	s_andn2_b64 vcc, exec, s[18:19]
	s_cbranch_vccnz .LBB368_1940
	s_branch .LBB368_1256
.LBB368_1140:
	s_mov_b64 s[18:19], 0
	s_mov_b64 s[0:1], 0
                                        ; implicit-def: $vgpr8
	s_cbranch_execnz .LBB368_1175
	s_branch .LBB368_1205
.LBB368_1141:
	s_mov_b64 s[20:21], -1
	s_mov_b64 s[18:19], 0
	s_mov_b64 s[0:1], 0
                                        ; implicit-def: $vgpr8
	s_branch .LBB368_1158
.LBB368_1142:
	s_mov_b64 s[20:21], -1
	s_mov_b64 s[18:19], 0
	s_mov_b64 s[0:1], 0
                                        ; implicit-def: $vgpr8
	s_branch .LBB368_1153
.LBB368_1143:
	s_or_b64 s[16:17], s[14:15], exec
	s_trap 2
	s_cbranch_execz .LBB368_1084
	s_branch .LBB368_1085
.LBB368_1144:
	s_mov_b64 s[20:21], -1
	s_mov_b64 s[18:19], 0
	s_mov_b64 s[0:1], 0
                                        ; implicit-def: $vgpr8
	s_branch .LBB368_1148
.LBB368_1145:
	s_andn2_saveexec_b64 s[26:27], s[26:27]
	s_cbranch_execz .LBB368_936
.LBB368_1146:
	s_mov_b32 s30, 0x42800000
	v_add_f32_e64 v4, |v1|, s30
	v_and_b32_e32 v4, 0xff, v4
	v_cmp_ne_u32_e32 vcc, 0, v4
	s_andn2_b64 s[24:25], s[24:25], exec
	s_and_b64 s[30:31], vcc, exec
	s_or_b64 s[24:25], s[24:25], s[30:31]
	s_or_b64 exec, exec, s[26:27]
	v_mov_b32_e32 v5, 0
	s_and_saveexec_b64 s[26:27], s[24:25]
	s_cbranch_execnz .LBB368_937
	s_branch .LBB368_938
.LBB368_1147:
	s_mov_b64 s[0:1], -1
                                        ; implicit-def: $vgpr8
	s_mov_b64 s[18:19], 0
.LBB368_1148:
	s_and_b64 vcc, exec, s[20:21]
	s_cbranch_vccz .LBB368_1152
; %bb.1149:
	s_cmp_eq_u32 s11, 44
	s_cbranch_scc0 .LBB368_1151
; %bb.1150:
	global_load_ubyte v1, v[2:3], off
	s_mov_b64 s[0:1], 0
	s_mov_b64 s[18:19], -1
	s_waitcnt vmcnt(0)
	v_lshlrev_b32_e32 v6, 23, v1
	v_cvt_i32_f32_e32 v6, v6
	v_cmp_ne_u32_e32 vcc, 0, v1
	s_nop 1
	v_cndmask_b32_e32 v8, 0, v6, vcc
	s_branch .LBB368_1152
.LBB368_1151:
	s_mov_b64 s[0:1], -1
                                        ; implicit-def: $vgpr8
.LBB368_1152:
	s_mov_b64 s[20:21], 0
.LBB368_1153:
	s_and_b64 vcc, exec, s[20:21]
	s_cbranch_vccz .LBB368_1157
; %bb.1154:
	s_cmp_eq_u32 s11, 29
	s_cbranch_scc0 .LBB368_1156
; %bb.1155:
	global_load_dword v8, v[2:3], off
	s_mov_b64 s[0:1], 0
	s_mov_b64 s[18:19], -1
	s_branch .LBB368_1157
.LBB368_1156:
	s_mov_b64 s[0:1], -1
                                        ; implicit-def: $vgpr8
.LBB368_1157:
	s_mov_b64 s[20:21], 0
.LBB368_1158:
	s_and_b64 vcc, exec, s[20:21]
	s_cbranch_vccz .LBB368_1174
; %bb.1159:
	s_cmp_lt_i32 s11, 27
	s_cbranch_scc1 .LBB368_1162
; %bb.1160:
	s_cmp_gt_i32 s11, 27
	s_cbranch_scc0 .LBB368_1163
; %bb.1161:
	global_load_dword v8, v[2:3], off
	s_mov_b64 s[18:19], 0
	s_branch .LBB368_1164
.LBB368_1162:
	s_mov_b64 s[18:19], -1
                                        ; implicit-def: $vgpr8
	s_branch .LBB368_1167
.LBB368_1163:
	s_mov_b64 s[18:19], -1
                                        ; implicit-def: $vgpr8
.LBB368_1164:
	s_andn2_b64 vcc, exec, s[18:19]
	s_cbranch_vccnz .LBB368_1166
; %bb.1165:
	global_load_ushort v8, v[2:3], off
.LBB368_1166:
	s_mov_b64 s[18:19], 0
.LBB368_1167:
	s_andn2_b64 vcc, exec, s[18:19]
	s_cbranch_vccnz .LBB368_1173
; %bb.1168:
	global_load_ubyte v1, v[2:3], off
	s_movk_i32 s18, 0x7f
	s_mov_b64 s[20:21], 0
	s_waitcnt vmcnt(0)
	v_cmp_lt_i16_e32 vcc, s18, v1
	s_and_saveexec_b64 s[18:19], vcc
	s_xor_b64 s[18:19], exec, s[18:19]
	s_cbranch_execz .LBB368_1184
; %bb.1169:
	s_movk_i32 s20, 0x80
	v_cmp_ne_u16_e32 vcc, s20, v1
	s_and_b64 s[20:21], vcc, exec
	s_andn2_saveexec_b64 s[18:19], s[18:19]
	s_cbranch_execnz .LBB368_1185
.LBB368_1170:
	s_or_b64 exec, exec, s[18:19]
	v_mov_b32_e32 v8, 0
	s_and_saveexec_b64 s[18:19], s[20:21]
	s_cbranch_execz .LBB368_1172
.LBB368_1171:
	v_lshlrev_b32_e32 v6, 24, v1
	v_and_b32_e32 v1, 0xffff, v1
	v_and_b32_e32 v7, 7, v1
	v_ffbh_u32_e32 v9, v7
	v_min_u32_e32 v9, 32, v9
	v_subrev_u32_e32 v10, 28, v9
	v_bfe_u32 v8, v1, 3, 4
	v_lshlrev_b32_e32 v1, v10, v1
	v_sub_u32_e32 v9, 29, v9
	v_and_b32_e32 v1, 7, v1
	v_cmp_eq_u32_e32 vcc, 0, v8
	v_and_b32_e32 v6, 0x80000000, v6
	s_nop 0
	v_cndmask_b32_e32 v8, v8, v9, vcc
	v_cndmask_b32_e32 v1, v7, v1, vcc
	v_mov_b32_e32 v7, 0x3b800000
	v_lshlrev_b32_e32 v1, 20, v1
	v_lshl_add_u32 v7, v8, 23, v7
	v_or3_b32 v1, v6, v7, v1
	v_cvt_i32_f32_e32 v8, v1
.LBB368_1172:
	s_or_b64 exec, exec, s[18:19]
.LBB368_1173:
	s_mov_b64 s[18:19], -1
.LBB368_1174:
	s_branch .LBB368_1205
.LBB368_1175:
	s_cmp_gt_i32 s11, 22
	s_cbranch_scc0 .LBB368_1183
; %bb.1176:
	s_cmp_lt_i32 s11, 24
	s_cbranch_scc1 .LBB368_1186
; %bb.1177:
	s_cmp_gt_i32 s11, 24
	s_cbranch_scc0 .LBB368_1187
; %bb.1178:
	global_load_ubyte v1, v[2:3], off
	s_movk_i32 s2, 0x7f
	s_mov_b64 s[18:19], 0
	s_waitcnt vmcnt(0)
	v_cmp_lt_i16_e32 vcc, s2, v1
	s_and_saveexec_b64 s[2:3], vcc
	s_xor_b64 s[2:3], exec, s[2:3]
	s_cbranch_execz .LBB368_1199
; %bb.1179:
	s_movk_i32 s18, 0x80
	v_cmp_ne_u16_e32 vcc, s18, v1
	s_and_b64 s[18:19], vcc, exec
	s_andn2_saveexec_b64 s[2:3], s[2:3]
	s_cbranch_execnz .LBB368_1200
.LBB368_1180:
	s_or_b64 exec, exec, s[2:3]
	v_mov_b32_e32 v8, 0
	s_and_saveexec_b64 s[2:3], s[18:19]
	s_cbranch_execz .LBB368_1182
.LBB368_1181:
	v_lshlrev_b32_e32 v6, 24, v1
	v_and_b32_e32 v1, 0xffff, v1
	v_and_b32_e32 v7, 3, v1
	v_ffbh_u32_e32 v9, v7
	v_min_u32_e32 v9, 32, v9
	v_subrev_u32_e32 v10, 29, v9
	v_bfe_u32 v8, v1, 2, 5
	v_lshlrev_b32_e32 v1, v10, v1
	v_sub_u32_e32 v9, 30, v9
	v_and_b32_e32 v1, 3, v1
	v_cmp_eq_u32_e32 vcc, 0, v8
	v_and_b32_e32 v6, 0x80000000, v6
	s_nop 0
	v_cndmask_b32_e32 v8, v8, v9, vcc
	v_cndmask_b32_e32 v1, v7, v1, vcc
	v_mov_b32_e32 v7, 0x37800000
	v_lshlrev_b32_e32 v1, 21, v1
	v_lshl_add_u32 v7, v8, 23, v7
	v_or3_b32 v1, v6, v7, v1
	v_cvt_i32_f32_e32 v8, v1
.LBB368_1182:
	s_or_b64 exec, exec, s[2:3]
	s_mov_b64 s[2:3], 0
	s_branch .LBB368_1188
.LBB368_1183:
	s_mov_b64 s[2:3], -1
                                        ; implicit-def: $vgpr8
	s_branch .LBB368_1194
.LBB368_1184:
	s_andn2_saveexec_b64 s[18:19], s[18:19]
	s_cbranch_execz .LBB368_1170
.LBB368_1185:
	v_cmp_ne_u16_e32 vcc, 0, v1
	s_andn2_b64 s[20:21], s[20:21], exec
	s_and_b64 s[22:23], vcc, exec
	s_or_b64 s[20:21], s[20:21], s[22:23]
	s_or_b64 exec, exec, s[18:19]
	v_mov_b32_e32 v8, 0
	s_and_saveexec_b64 s[18:19], s[20:21]
	s_cbranch_execnz .LBB368_1171
	s_branch .LBB368_1172
.LBB368_1186:
	s_mov_b64 s[2:3], -1
                                        ; implicit-def: $vgpr8
	s_branch .LBB368_1191
.LBB368_1187:
	s_mov_b64 s[2:3], -1
                                        ; implicit-def: $vgpr8
.LBB368_1188:
	s_and_b64 vcc, exec, s[2:3]
	s_cbranch_vccz .LBB368_1190
; %bb.1189:
	global_load_ubyte v1, v[2:3], off
	s_mov_b32 s2, 0x7f800000
	s_waitcnt vmcnt(0)
	v_lshlrev_b32_e32 v1, 24, v1
	v_and_b32_e32 v6, 0x7f000000, v1
	v_ffbh_u32_e32 v7, v6
	v_min_u32_e32 v7, 32, v7
	v_sub_u32_e64 v7, v7, 4 clamp
	v_lshlrev_b32_e32 v9, v7, v6
	v_lshlrev_b32_e32 v7, 23, v7
	v_lshrrev_b32_e32 v9, 4, v9
	v_add_u32_e32 v8, 0x1000000, v6
	v_sub_u32_e32 v7, v9, v7
	v_ashrrev_i32_e32 v8, 8, v8
	v_add_u32_e32 v7, 0x3c000000, v7
	v_and_or_b32 v7, v8, s2, v7
	v_cmp_ne_u32_e32 vcc, 0, v6
	s_brev_b32 s2, 1
	s_nop 0
	v_cndmask_b32_e32 v6, 0, v7, vcc
	v_and_or_b32 v1, v1, s2, v6
	v_cvt_i32_f32_e32 v8, v1
.LBB368_1190:
	s_mov_b64 s[2:3], 0
.LBB368_1191:
	s_andn2_b64 vcc, exec, s[2:3]
	s_cbranch_vccnz .LBB368_1193
; %bb.1192:
	global_load_ubyte v1, v[2:3], off
	s_movk_i32 s2, 0x7f00
	s_brev_b32 s3, 16
	s_waitcnt vmcnt(0)
	v_lshlrev_b16_e32 v6, 8, v1
	v_lshlrev_b32_e32 v1, 25, v1
	v_lshrrev_b32_e32 v7, 4, v1
	v_and_or_b32 v8, v6, s2, 0.5
	v_or_b32_e32 v7, 0x70000000, v7
	v_add_f32_e32 v8, -0.5, v8
	v_mul_f32_e32 v7, 0x7800000, v7
	v_cmp_gt_u32_e32 vcc, s3, v1
	v_bfe_i32 v6, v6, 0, 16
	s_brev_b32 s2, 1
	v_cndmask_b32_e32 v1, v7, v8, vcc
	v_and_or_b32 v1, v6, s2, v1
	v_cvt_i32_f32_e32 v8, v1
.LBB368_1193:
	s_mov_b64 s[2:3], 0
	s_mov_b64 s[18:19], -1
.LBB368_1194:
	s_andn2_b64 vcc, exec, s[2:3]
	s_mov_b64 s[2:3], 0
	s_cbranch_vccnz .LBB368_1205
; %bb.1195:
	s_cmp_gt_i32 s11, 14
	s_cbranch_scc0 .LBB368_1198
; %bb.1196:
	s_cmp_eq_u32 s11, 15
	s_cbranch_scc0 .LBB368_1201
; %bb.1197:
	global_load_ushort v1, v[2:3], off
	s_mov_b64 s[0:1], 0
	s_mov_b64 s[18:19], -1
	s_waitcnt vmcnt(0)
	v_lshlrev_b32_e32 v1, 16, v1
	v_cvt_i32_f32_e32 v8, v1
	s_branch .LBB368_1202
.LBB368_1198:
	s_mov_b64 s[20:21], -1
                                        ; implicit-def: $vgpr8
	s_branch .LBB368_1203
.LBB368_1199:
	s_andn2_saveexec_b64 s[2:3], s[2:3]
	s_cbranch_execz .LBB368_1180
.LBB368_1200:
	v_cmp_ne_u16_e32 vcc, 0, v1
	s_andn2_b64 s[18:19], s[18:19], exec
	s_and_b64 s[20:21], vcc, exec
	s_or_b64 s[18:19], s[18:19], s[20:21]
	s_or_b64 exec, exec, s[2:3]
	v_mov_b32_e32 v8, 0
	s_and_saveexec_b64 s[2:3], s[18:19]
	s_cbranch_execnz .LBB368_1181
	s_branch .LBB368_1182
.LBB368_1201:
	s_mov_b64 s[0:1], -1
                                        ; implicit-def: $vgpr8
.LBB368_1202:
	s_mov_b64 s[20:21], 0
.LBB368_1203:
	s_and_b64 vcc, exec, s[20:21]
	s_cbranch_vccz .LBB368_1205
; %bb.1204:
	s_cmp_lg_u32 s11, 11
	s_mov_b64 s[2:3], -1
	s_cselect_b64 s[0:1], -1, 0
.LBB368_1205:
	s_and_b64 vcc, exec, s[0:1]
	s_cbranch_vccnz .LBB368_1268
; %bb.1206:
	s_andn2_b64 vcc, exec, s[2:3]
	s_cbranch_vccnz .LBB368_1208
.LBB368_1207:
	global_load_ubyte v1, v[2:3], off
	s_mov_b64 s[18:19], -1
	s_waitcnt vmcnt(0)
	v_cmp_ne_u16_e32 vcc, 0, v1
	s_nop 1
	v_cndmask_b32_e64 v8, 0, 1, vcc
.LBB368_1208:
	s_branch .LBB368_1139
.LBB368_1209:
	s_cmp_lt_i32 s11, 5
	s_cbranch_scc1 .LBB368_1214
; %bb.1210:
	s_cmp_lt_i32 s11, 8
	s_cbranch_scc1 .LBB368_1215
; %bb.1211:
	;; [unrolled: 3-line block ×3, first 2 shown]
	s_cmp_gt_i32 s11, 9
	s_cbranch_scc0 .LBB368_1217
; %bb.1213:
	global_load_dwordx2 v[6:7], v[2:3], off
	s_mov_b64 s[0:1], 0
	s_waitcnt vmcnt(0)
	v_cvt_i32_f64_e32 v8, v[6:7]
	s_branch .LBB368_1218
.LBB368_1214:
                                        ; implicit-def: $vgpr8
	s_branch .LBB368_1236
.LBB368_1215:
	s_mov_b64 s[0:1], -1
                                        ; implicit-def: $vgpr8
	s_branch .LBB368_1224
.LBB368_1216:
	s_mov_b64 s[0:1], -1
                                        ; implicit-def: $vgpr8
	s_branch .LBB368_1221
.LBB368_1217:
	s_mov_b64 s[0:1], -1
                                        ; implicit-def: $vgpr8
.LBB368_1218:
	s_andn2_b64 vcc, exec, s[0:1]
	s_cbranch_vccnz .LBB368_1220
; %bb.1219:
	global_load_dword v1, v[2:3], off
	s_waitcnt vmcnt(0)
	v_cvt_i32_f32_e32 v8, v1
.LBB368_1220:
	s_mov_b64 s[0:1], 0
.LBB368_1221:
	s_andn2_b64 vcc, exec, s[0:1]
	s_cbranch_vccnz .LBB368_1223
; %bb.1222:
	global_load_dword v1, v[2:3], off
	s_waitcnt vmcnt(0)
	v_cvt_f32_f16_e32 v1, v1
	v_cvt_i32_f32_e32 v8, v1
.LBB368_1223:
	s_mov_b64 s[0:1], 0
.LBB368_1224:
	s_andn2_b64 vcc, exec, s[0:1]
	s_cbranch_vccnz .LBB368_1235
; %bb.1225:
	s_cmp_lt_i32 s11, 6
	s_cbranch_scc1 .LBB368_1228
; %bb.1226:
	s_cmp_gt_i32 s11, 6
	s_cbranch_scc0 .LBB368_1229
; %bb.1227:
	global_load_dwordx2 v[6:7], v[2:3], off
	s_mov_b64 s[0:1], 0
	s_waitcnt vmcnt(0)
	v_cvt_i32_f64_e32 v8, v[6:7]
	s_branch .LBB368_1230
.LBB368_1228:
	s_mov_b64 s[0:1], -1
                                        ; implicit-def: $vgpr8
	s_branch .LBB368_1233
.LBB368_1229:
	s_mov_b64 s[0:1], -1
                                        ; implicit-def: $vgpr8
.LBB368_1230:
	s_andn2_b64 vcc, exec, s[0:1]
	s_cbranch_vccnz .LBB368_1232
; %bb.1231:
	global_load_dword v1, v[2:3], off
	s_waitcnt vmcnt(0)
	v_cvt_i32_f32_e32 v8, v1
.LBB368_1232:
	s_mov_b64 s[0:1], 0
.LBB368_1233:
	s_andn2_b64 vcc, exec, s[0:1]
	s_cbranch_vccnz .LBB368_1235
; %bb.1234:
	global_load_ushort v1, v[2:3], off
	s_waitcnt vmcnt(0)
	v_cvt_f32_f16_e32 v1, v1
	v_cvt_i32_f32_e32 v8, v1
.LBB368_1235:
	s_cbranch_execnz .LBB368_1255
.LBB368_1236:
	s_cmp_lt_i32 s11, 2
	s_cbranch_scc1 .LBB368_1240
; %bb.1237:
	s_cmp_lt_i32 s11, 3
	s_cbranch_scc1 .LBB368_1241
; %bb.1238:
	s_cmp_gt_i32 s11, 3
	s_cbranch_scc0 .LBB368_1242
; %bb.1239:
	global_load_dword v8, v[2:3], off
	s_mov_b64 s[0:1], 0
	s_branch .LBB368_1243
.LBB368_1240:
	s_mov_b64 s[0:1], -1
                                        ; implicit-def: $vgpr8
	s_branch .LBB368_1249
.LBB368_1241:
	s_mov_b64 s[0:1], -1
                                        ; implicit-def: $vgpr8
	s_branch .LBB368_1246
.LBB368_1242:
	s_mov_b64 s[0:1], -1
                                        ; implicit-def: $vgpr8
.LBB368_1243:
	s_andn2_b64 vcc, exec, s[0:1]
	s_cbranch_vccnz .LBB368_1245
; %bb.1244:
	global_load_dword v8, v[2:3], off
.LBB368_1245:
	s_mov_b64 s[0:1], 0
.LBB368_1246:
	s_andn2_b64 vcc, exec, s[0:1]
	s_cbranch_vccnz .LBB368_1248
; %bb.1247:
	global_load_sshort v8, v[2:3], off
.LBB368_1248:
	s_mov_b64 s[0:1], 0
.LBB368_1249:
	s_andn2_b64 vcc, exec, s[0:1]
	s_cbranch_vccnz .LBB368_1255
; %bb.1250:
	s_cmp_gt_i32 s11, 0
	s_cbranch_scc0 .LBB368_1252
; %bb.1251:
	global_load_sbyte v8, v[2:3], off
	s_mov_b64 s[0:1], 0
	s_branch .LBB368_1253
.LBB368_1252:
	s_mov_b64 s[0:1], -1
                                        ; implicit-def: $vgpr8
.LBB368_1253:
	s_andn2_b64 vcc, exec, s[0:1]
	s_cbranch_vccnz .LBB368_1255
; %bb.1254:
	global_load_ubyte v8, v[2:3], off
.LBB368_1255:
.LBB368_1256:
	v_add_u32_e32 v0, s9, v0
	v_ashrrev_i32_e32 v1, 31, v0
	s_cmp_lt_i32 s11, 11
	v_lshl_add_u64 v[2:3], s[6:7], 0, v[0:1]
	s_cbranch_scc1 .LBB368_1263
; %bb.1257:
	s_cmp_gt_i32 s11, 25
	s_mov_b64 s[2:3], 0
	s_cbranch_scc0 .LBB368_1265
; %bb.1258:
	s_cmp_gt_i32 s11, 28
	s_cbranch_scc0 .LBB368_1266
; %bb.1259:
	s_cmp_gt_i32 s11, 43
	;; [unrolled: 3-line block ×3, first 2 shown]
	s_cbranch_scc0 .LBB368_1269
; %bb.1261:
	s_cmp_eq_u32 s11, 46
	s_mov_b64 s[20:21], 0
	s_cbranch_scc0 .LBB368_1270
; %bb.1262:
	global_load_dword v1, v[2:3], off
	s_mov_b64 s[0:1], 0
	s_mov_b64 s[18:19], -1
	s_waitcnt vmcnt(0)
	v_lshlrev_b32_e32 v1, 16, v1
	v_cvt_i32_f32_e32 v7, v1
	s_branch .LBB368_1271
.LBB368_1263:
	s_mov_b64 s[18:19], 0
                                        ; implicit-def: $vgpr7
	s_cbranch_execnz .LBB368_1333
.LBB368_1264:
	s_andn2_b64 vcc, exec, s[18:19]
	s_cbranch_vccnz .LBB368_1940
	s_branch .LBB368_1381
.LBB368_1265:
	s_mov_b64 s[20:21], -1
	s_mov_b64 s[18:19], 0
	s_mov_b64 s[0:1], 0
                                        ; implicit-def: $vgpr7
	s_branch .LBB368_1298
.LBB368_1266:
	s_mov_b64 s[20:21], -1
	s_mov_b64 s[18:19], 0
	s_mov_b64 s[0:1], 0
                                        ; implicit-def: $vgpr7
	s_branch .LBB368_1281
.LBB368_1267:
	s_mov_b64 s[20:21], -1
	s_mov_b64 s[18:19], 0
	s_mov_b64 s[0:1], 0
                                        ; implicit-def: $vgpr7
	s_branch .LBB368_1276
.LBB368_1268:
	s_trap 2
	s_or_b64 s[16:17], s[16:17], exec
	s_cbranch_execz .LBB368_1207
	s_branch .LBB368_1208
.LBB368_1269:
	s_mov_b64 s[20:21], -1
	s_mov_b64 s[18:19], 0
	s_mov_b64 s[0:1], 0
                                        ; implicit-def: $vgpr7
	s_branch .LBB368_1271
.LBB368_1270:
	s_mov_b64 s[0:1], -1
                                        ; implicit-def: $vgpr7
	s_mov_b64 s[18:19], 0
.LBB368_1271:
	s_and_b64 vcc, exec, s[20:21]
	s_cbranch_vccz .LBB368_1275
; %bb.1272:
	s_cmp_eq_u32 s11, 44
	s_cbranch_scc0 .LBB368_1274
; %bb.1273:
	global_load_ubyte v1, v[2:3], off
	s_mov_b64 s[0:1], 0
	s_mov_b64 s[18:19], -1
	s_waitcnt vmcnt(0)
	v_lshlrev_b32_e32 v6, 23, v1
	v_cvt_i32_f32_e32 v6, v6
	v_cmp_ne_u32_e32 vcc, 0, v1
	s_nop 1
	v_cndmask_b32_e32 v7, 0, v6, vcc
	s_branch .LBB368_1275
.LBB368_1274:
	s_mov_b64 s[0:1], -1
                                        ; implicit-def: $vgpr7
.LBB368_1275:
	s_mov_b64 s[20:21], 0
.LBB368_1276:
	s_and_b64 vcc, exec, s[20:21]
	s_cbranch_vccz .LBB368_1280
; %bb.1277:
	s_cmp_eq_u32 s11, 29
	s_cbranch_scc0 .LBB368_1279
; %bb.1278:
	global_load_dword v7, v[2:3], off
	s_mov_b64 s[0:1], 0
	s_mov_b64 s[18:19], -1
	s_branch .LBB368_1280
.LBB368_1279:
	s_mov_b64 s[0:1], -1
                                        ; implicit-def: $vgpr7
.LBB368_1280:
	s_mov_b64 s[20:21], 0
.LBB368_1281:
	s_and_b64 vcc, exec, s[20:21]
	s_cbranch_vccz .LBB368_1297
; %bb.1282:
	s_cmp_lt_i32 s11, 27
	s_cbranch_scc1 .LBB368_1285
; %bb.1283:
	s_cmp_gt_i32 s11, 27
	s_cbranch_scc0 .LBB368_1286
; %bb.1284:
	global_load_dword v7, v[2:3], off
	s_mov_b64 s[18:19], 0
	s_branch .LBB368_1287
.LBB368_1285:
	s_mov_b64 s[18:19], -1
                                        ; implicit-def: $vgpr7
	s_branch .LBB368_1290
.LBB368_1286:
	s_mov_b64 s[18:19], -1
                                        ; implicit-def: $vgpr7
.LBB368_1287:
	s_andn2_b64 vcc, exec, s[18:19]
	s_cbranch_vccnz .LBB368_1289
; %bb.1288:
	global_load_ushort v7, v[2:3], off
.LBB368_1289:
	s_mov_b64 s[18:19], 0
.LBB368_1290:
	s_andn2_b64 vcc, exec, s[18:19]
	s_cbranch_vccnz .LBB368_1296
; %bb.1291:
	global_load_ubyte v1, v[2:3], off
	s_movk_i32 s18, 0x7f
	s_mov_b64 s[20:21], 0
	s_waitcnt vmcnt(0)
	v_cmp_lt_i16_e32 vcc, s18, v1
	s_and_saveexec_b64 s[18:19], vcc
	s_xor_b64 s[18:19], exec, s[18:19]
	s_cbranch_execz .LBB368_1308
; %bb.1292:
	s_movk_i32 s20, 0x80
	v_cmp_ne_u16_e32 vcc, s20, v1
	s_and_b64 s[20:21], vcc, exec
	s_andn2_saveexec_b64 s[18:19], s[18:19]
	s_cbranch_execnz .LBB368_1309
.LBB368_1293:
	s_or_b64 exec, exec, s[18:19]
	v_mov_b32_e32 v7, 0
	s_and_saveexec_b64 s[18:19], s[20:21]
	s_cbranch_execz .LBB368_1295
.LBB368_1294:
	v_lshlrev_b32_e32 v6, 24, v1
	v_and_b32_e32 v1, 0xffff, v1
	v_and_b32_e32 v7, 7, v1
	v_ffbh_u32_e32 v10, v7
	v_min_u32_e32 v10, 32, v10
	v_subrev_u32_e32 v11, 28, v10
	v_bfe_u32 v9, v1, 3, 4
	v_lshlrev_b32_e32 v1, v11, v1
	v_sub_u32_e32 v10, 29, v10
	v_and_b32_e32 v1, 7, v1
	v_cmp_eq_u32_e32 vcc, 0, v9
	v_and_b32_e32 v6, 0x80000000, v6
	s_nop 0
	v_cndmask_b32_e32 v9, v9, v10, vcc
	v_cndmask_b32_e32 v1, v7, v1, vcc
	v_mov_b32_e32 v7, 0x3b800000
	v_lshlrev_b32_e32 v1, 20, v1
	v_lshl_add_u32 v7, v9, 23, v7
	v_or3_b32 v1, v6, v7, v1
	v_cvt_i32_f32_e32 v7, v1
.LBB368_1295:
	s_or_b64 exec, exec, s[18:19]
.LBB368_1296:
	s_mov_b64 s[18:19], -1
.LBB368_1297:
	s_mov_b64 s[20:21], 0
.LBB368_1298:
	s_and_b64 vcc, exec, s[20:21]
	s_cbranch_vccz .LBB368_1329
; %bb.1299:
	s_cmp_gt_i32 s11, 22
	s_cbranch_scc0 .LBB368_1307
; %bb.1300:
	s_cmp_lt_i32 s11, 24
	s_cbranch_scc1 .LBB368_1310
; %bb.1301:
	s_cmp_gt_i32 s11, 24
	s_cbranch_scc0 .LBB368_1311
; %bb.1302:
	global_load_ubyte v1, v[2:3], off
	s_movk_i32 s2, 0x7f
	s_mov_b64 s[18:19], 0
	s_waitcnt vmcnt(0)
	v_cmp_lt_i16_e32 vcc, s2, v1
	s_and_saveexec_b64 s[2:3], vcc
	s_xor_b64 s[2:3], exec, s[2:3]
	s_cbranch_execz .LBB368_1323
; %bb.1303:
	s_movk_i32 s18, 0x80
	v_cmp_ne_u16_e32 vcc, s18, v1
	s_and_b64 s[18:19], vcc, exec
	s_andn2_saveexec_b64 s[2:3], s[2:3]
	s_cbranch_execnz .LBB368_1324
.LBB368_1304:
	s_or_b64 exec, exec, s[2:3]
	v_mov_b32_e32 v7, 0
	s_and_saveexec_b64 s[2:3], s[18:19]
	s_cbranch_execz .LBB368_1306
.LBB368_1305:
	v_lshlrev_b32_e32 v6, 24, v1
	v_and_b32_e32 v1, 0xffff, v1
	v_and_b32_e32 v7, 3, v1
	v_ffbh_u32_e32 v10, v7
	v_min_u32_e32 v10, 32, v10
	v_subrev_u32_e32 v11, 29, v10
	v_bfe_u32 v9, v1, 2, 5
	v_lshlrev_b32_e32 v1, v11, v1
	v_sub_u32_e32 v10, 30, v10
	v_and_b32_e32 v1, 3, v1
	v_cmp_eq_u32_e32 vcc, 0, v9
	v_and_b32_e32 v6, 0x80000000, v6
	s_nop 0
	v_cndmask_b32_e32 v9, v9, v10, vcc
	v_cndmask_b32_e32 v1, v7, v1, vcc
	v_mov_b32_e32 v7, 0x37800000
	v_lshlrev_b32_e32 v1, 21, v1
	v_lshl_add_u32 v7, v9, 23, v7
	v_or3_b32 v1, v6, v7, v1
	v_cvt_i32_f32_e32 v7, v1
.LBB368_1306:
	s_or_b64 exec, exec, s[2:3]
	s_mov_b64 s[2:3], 0
	s_branch .LBB368_1312
.LBB368_1307:
	s_mov_b64 s[2:3], -1
                                        ; implicit-def: $vgpr7
	s_branch .LBB368_1318
.LBB368_1308:
	s_andn2_saveexec_b64 s[18:19], s[18:19]
	s_cbranch_execz .LBB368_1293
.LBB368_1309:
	v_cmp_ne_u16_e32 vcc, 0, v1
	s_andn2_b64 s[20:21], s[20:21], exec
	s_and_b64 s[22:23], vcc, exec
	s_or_b64 s[20:21], s[20:21], s[22:23]
	s_or_b64 exec, exec, s[18:19]
	v_mov_b32_e32 v7, 0
	s_and_saveexec_b64 s[18:19], s[20:21]
	s_cbranch_execnz .LBB368_1294
	s_branch .LBB368_1295
.LBB368_1310:
	s_mov_b64 s[2:3], -1
                                        ; implicit-def: $vgpr7
	s_branch .LBB368_1315
.LBB368_1311:
	s_mov_b64 s[2:3], -1
                                        ; implicit-def: $vgpr7
.LBB368_1312:
	s_and_b64 vcc, exec, s[2:3]
	s_cbranch_vccz .LBB368_1314
; %bb.1313:
	global_load_ubyte v1, v[2:3], off
	s_mov_b32 s2, 0x7f800000
	s_waitcnt vmcnt(0)
	v_lshlrev_b32_e32 v1, 24, v1
	v_and_b32_e32 v6, 0x7f000000, v1
	v_ffbh_u32_e32 v7, v6
	v_min_u32_e32 v7, 32, v7
	v_sub_u32_e64 v7, v7, 4 clamp
	v_lshlrev_b32_e32 v10, v7, v6
	v_lshlrev_b32_e32 v7, 23, v7
	v_lshrrev_b32_e32 v10, 4, v10
	v_add_u32_e32 v9, 0x1000000, v6
	v_sub_u32_e32 v7, v10, v7
	v_ashrrev_i32_e32 v9, 8, v9
	v_add_u32_e32 v7, 0x3c000000, v7
	v_and_or_b32 v7, v9, s2, v7
	v_cmp_ne_u32_e32 vcc, 0, v6
	s_brev_b32 s2, 1
	s_nop 0
	v_cndmask_b32_e32 v6, 0, v7, vcc
	v_and_or_b32 v1, v1, s2, v6
	v_cvt_i32_f32_e32 v7, v1
.LBB368_1314:
	s_mov_b64 s[2:3], 0
.LBB368_1315:
	s_andn2_b64 vcc, exec, s[2:3]
	s_cbranch_vccnz .LBB368_1317
; %bb.1316:
	global_load_ubyte v1, v[2:3], off
	s_movk_i32 s2, 0x7f00
	s_brev_b32 s3, 16
	s_waitcnt vmcnt(0)
	v_lshlrev_b16_e32 v6, 8, v1
	v_lshlrev_b32_e32 v1, 25, v1
	v_lshrrev_b32_e32 v7, 4, v1
	v_and_or_b32 v9, v6, s2, 0.5
	v_or_b32_e32 v7, 0x70000000, v7
	v_add_f32_e32 v9, -0.5, v9
	v_mul_f32_e32 v7, 0x7800000, v7
	v_cmp_gt_u32_e32 vcc, s3, v1
	v_bfe_i32 v6, v6, 0, 16
	s_brev_b32 s2, 1
	v_cndmask_b32_e32 v1, v7, v9, vcc
	v_and_or_b32 v1, v6, s2, v1
	v_cvt_i32_f32_e32 v7, v1
.LBB368_1317:
	s_mov_b64 s[2:3], 0
	s_mov_b64 s[18:19], -1
.LBB368_1318:
	s_andn2_b64 vcc, exec, s[2:3]
	s_mov_b64 s[2:3], 0
	s_cbranch_vccnz .LBB368_1329
; %bb.1319:
	s_cmp_gt_i32 s11, 14
	s_cbranch_scc0 .LBB368_1322
; %bb.1320:
	s_cmp_eq_u32 s11, 15
	s_cbranch_scc0 .LBB368_1325
; %bb.1321:
	global_load_ushort v1, v[2:3], off
	s_mov_b64 s[0:1], 0
	s_mov_b64 s[18:19], -1
	s_waitcnt vmcnt(0)
	v_lshlrev_b32_e32 v1, 16, v1
	v_cvt_i32_f32_e32 v7, v1
	s_branch .LBB368_1326
.LBB368_1322:
	s_mov_b64 s[20:21], -1
                                        ; implicit-def: $vgpr7
	s_branch .LBB368_1327
.LBB368_1323:
	s_andn2_saveexec_b64 s[2:3], s[2:3]
	s_cbranch_execz .LBB368_1304
.LBB368_1324:
	v_cmp_ne_u16_e32 vcc, 0, v1
	s_andn2_b64 s[18:19], s[18:19], exec
	s_and_b64 s[20:21], vcc, exec
	s_or_b64 s[18:19], s[18:19], s[20:21]
	s_or_b64 exec, exec, s[2:3]
	v_mov_b32_e32 v7, 0
	s_and_saveexec_b64 s[2:3], s[18:19]
	s_cbranch_execnz .LBB368_1305
	s_branch .LBB368_1306
.LBB368_1325:
	s_mov_b64 s[0:1], -1
                                        ; implicit-def: $vgpr7
.LBB368_1326:
	s_mov_b64 s[20:21], 0
.LBB368_1327:
	s_and_b64 vcc, exec, s[20:21]
	s_cbranch_vccz .LBB368_1329
; %bb.1328:
	s_cmp_lg_u32 s11, 11
	s_mov_b64 s[2:3], -1
	s_cselect_b64 s[0:1], -1, 0
.LBB368_1329:
	s_and_b64 vcc, exec, s[0:1]
	s_cbranch_vccnz .LBB368_1392
; %bb.1330:
	s_andn2_b64 vcc, exec, s[2:3]
	s_cbranch_vccnz .LBB368_1332
.LBB368_1331:
	global_load_ubyte v1, v[2:3], off
	s_mov_b64 s[18:19], -1
	s_waitcnt vmcnt(0)
	v_cmp_ne_u16_e32 vcc, 0, v1
	s_nop 1
	v_cndmask_b32_e64 v7, 0, 1, vcc
.LBB368_1332:
	s_branch .LBB368_1264
.LBB368_1333:
	s_cmp_lt_i32 s11, 5
	s_cbranch_scc1 .LBB368_1338
; %bb.1334:
	s_cmp_lt_i32 s11, 8
	s_cbranch_scc1 .LBB368_1339
; %bb.1335:
	;; [unrolled: 3-line block ×3, first 2 shown]
	s_cmp_gt_i32 s11, 9
	s_cbranch_scc0 .LBB368_1341
; %bb.1337:
	global_load_dwordx2 v[6:7], v[2:3], off
	s_mov_b64 s[0:1], 0
	s_waitcnt vmcnt(0)
	v_cvt_i32_f64_e32 v7, v[6:7]
	s_branch .LBB368_1342
.LBB368_1338:
	s_mov_b64 s[0:1], -1
                                        ; implicit-def: $vgpr7
	s_branch .LBB368_1360
.LBB368_1339:
	s_mov_b64 s[0:1], -1
                                        ; implicit-def: $vgpr7
	s_branch .LBB368_1348
.LBB368_1340:
	s_mov_b64 s[0:1], -1
                                        ; implicit-def: $vgpr7
	s_branch .LBB368_1345
.LBB368_1341:
	s_mov_b64 s[0:1], -1
                                        ; implicit-def: $vgpr7
.LBB368_1342:
	s_andn2_b64 vcc, exec, s[0:1]
	s_cbranch_vccnz .LBB368_1344
; %bb.1343:
	global_load_dword v1, v[2:3], off
	s_waitcnt vmcnt(0)
	v_cvt_i32_f32_e32 v7, v1
.LBB368_1344:
	s_mov_b64 s[0:1], 0
.LBB368_1345:
	s_andn2_b64 vcc, exec, s[0:1]
	s_cbranch_vccnz .LBB368_1347
; %bb.1346:
	global_load_dword v1, v[2:3], off
	s_waitcnt vmcnt(0)
	v_cvt_f32_f16_e32 v1, v1
	v_cvt_i32_f32_e32 v7, v1
.LBB368_1347:
	s_mov_b64 s[0:1], 0
.LBB368_1348:
	s_andn2_b64 vcc, exec, s[0:1]
	s_cbranch_vccnz .LBB368_1359
; %bb.1349:
	s_cmp_lt_i32 s11, 6
	s_cbranch_scc1 .LBB368_1352
; %bb.1350:
	s_cmp_gt_i32 s11, 6
	s_cbranch_scc0 .LBB368_1353
; %bb.1351:
	global_load_dwordx2 v[6:7], v[2:3], off
	s_mov_b64 s[0:1], 0
	s_waitcnt vmcnt(0)
	v_cvt_i32_f64_e32 v7, v[6:7]
	s_branch .LBB368_1354
.LBB368_1352:
	s_mov_b64 s[0:1], -1
                                        ; implicit-def: $vgpr7
	s_branch .LBB368_1357
.LBB368_1353:
	s_mov_b64 s[0:1], -1
                                        ; implicit-def: $vgpr7
.LBB368_1354:
	s_andn2_b64 vcc, exec, s[0:1]
	s_cbranch_vccnz .LBB368_1356
; %bb.1355:
	global_load_dword v1, v[2:3], off
	s_waitcnt vmcnt(0)
	v_cvt_i32_f32_e32 v7, v1
.LBB368_1356:
	s_mov_b64 s[0:1], 0
.LBB368_1357:
	s_andn2_b64 vcc, exec, s[0:1]
	s_cbranch_vccnz .LBB368_1359
; %bb.1358:
	global_load_ushort v1, v[2:3], off
	s_waitcnt vmcnt(0)
	v_cvt_f32_f16_e32 v1, v1
	v_cvt_i32_f32_e32 v7, v1
.LBB368_1359:
	s_mov_b64 s[0:1], 0
.LBB368_1360:
	s_andn2_b64 vcc, exec, s[0:1]
	s_cbranch_vccnz .LBB368_1380
; %bb.1361:
	s_cmp_lt_i32 s11, 2
	s_cbranch_scc1 .LBB368_1365
; %bb.1362:
	s_cmp_lt_i32 s11, 3
	s_cbranch_scc1 .LBB368_1366
; %bb.1363:
	s_cmp_gt_i32 s11, 3
	s_cbranch_scc0 .LBB368_1367
; %bb.1364:
	global_load_dword v7, v[2:3], off
	s_mov_b64 s[0:1], 0
	s_branch .LBB368_1368
.LBB368_1365:
	s_mov_b64 s[0:1], -1
                                        ; implicit-def: $vgpr7
	s_branch .LBB368_1374
.LBB368_1366:
	s_mov_b64 s[0:1], -1
                                        ; implicit-def: $vgpr7
	s_branch .LBB368_1371
.LBB368_1367:
	s_mov_b64 s[0:1], -1
                                        ; implicit-def: $vgpr7
.LBB368_1368:
	s_andn2_b64 vcc, exec, s[0:1]
	s_cbranch_vccnz .LBB368_1370
; %bb.1369:
	global_load_dword v7, v[2:3], off
.LBB368_1370:
	s_mov_b64 s[0:1], 0
.LBB368_1371:
	s_andn2_b64 vcc, exec, s[0:1]
	s_cbranch_vccnz .LBB368_1373
; %bb.1372:
	global_load_sshort v7, v[2:3], off
.LBB368_1373:
	s_mov_b64 s[0:1], 0
.LBB368_1374:
	s_andn2_b64 vcc, exec, s[0:1]
	s_cbranch_vccnz .LBB368_1380
; %bb.1375:
	s_cmp_gt_i32 s11, 0
	s_cbranch_scc0 .LBB368_1377
; %bb.1376:
	global_load_sbyte v7, v[2:3], off
	s_mov_b64 s[0:1], 0
	s_branch .LBB368_1378
.LBB368_1377:
	s_mov_b64 s[0:1], -1
                                        ; implicit-def: $vgpr7
.LBB368_1378:
	s_andn2_b64 vcc, exec, s[0:1]
	s_cbranch_vccnz .LBB368_1380
; %bb.1379:
	global_load_ubyte v7, v[2:3], off
.LBB368_1380:
.LBB368_1381:
	v_add_u32_e32 v0, s9, v0
	v_ashrrev_i32_e32 v1, 31, v0
	s_cmp_lt_i32 s11, 11
	v_lshl_add_u64 v[0:1], s[6:7], 0, v[0:1]
	s_cbranch_scc1 .LBB368_1388
; %bb.1382:
	s_cmp_gt_i32 s11, 25
	s_mov_b64 s[2:3], 0
	s_cbranch_scc0 .LBB368_1389
; %bb.1383:
	s_cmp_gt_i32 s11, 28
	s_cbranch_scc0 .LBB368_1390
; %bb.1384:
	s_cmp_gt_i32 s11, 43
	;; [unrolled: 3-line block ×3, first 2 shown]
	s_cbranch_scc0 .LBB368_1393
; %bb.1386:
	s_cmp_eq_u32 s11, 46
	s_mov_b64 s[18:19], 0
	s_cbranch_scc0 .LBB368_1394
; %bb.1387:
	global_load_dword v2, v[0:1], off
	s_mov_b64 s[0:1], 0
	s_mov_b64 s[6:7], -1
	s_waitcnt vmcnt(0)
	v_lshlrev_b32_e32 v2, 16, v2
	v_cvt_i32_f32_e32 v6, v2
	s_branch .LBB368_1395
.LBB368_1388:
	s_mov_b64 s[0:1], -1
	s_mov_b64 s[6:7], 0
                                        ; implicit-def: $vgpr6
	s_branch .LBB368_1457
.LBB368_1389:
	s_mov_b64 s[18:19], -1
	s_mov_b64 s[6:7], 0
	s_mov_b64 s[0:1], 0
                                        ; implicit-def: $vgpr6
	s_branch .LBB368_1422
.LBB368_1390:
	s_mov_b64 s[18:19], -1
	s_mov_b64 s[6:7], 0
	s_mov_b64 s[0:1], 0
                                        ; implicit-def: $vgpr6
	s_branch .LBB368_1405
.LBB368_1391:
	s_mov_b64 s[18:19], -1
	s_mov_b64 s[6:7], 0
	s_mov_b64 s[0:1], 0
                                        ; implicit-def: $vgpr6
	s_branch .LBB368_1400
.LBB368_1392:
	s_trap 2
	s_or_b64 s[16:17], s[16:17], exec
	s_cbranch_execz .LBB368_1331
	s_branch .LBB368_1332
.LBB368_1393:
	s_mov_b64 s[18:19], -1
	s_mov_b64 s[6:7], 0
	s_mov_b64 s[0:1], 0
                                        ; implicit-def: $vgpr6
	s_branch .LBB368_1395
.LBB368_1394:
	s_mov_b64 s[0:1], -1
                                        ; implicit-def: $vgpr6
	s_mov_b64 s[6:7], 0
.LBB368_1395:
	s_and_b64 vcc, exec, s[18:19]
	s_cbranch_vccz .LBB368_1399
; %bb.1396:
	s_cmp_eq_u32 s11, 44
	s_cbranch_scc0 .LBB368_1398
; %bb.1397:
	global_load_ubyte v2, v[0:1], off
	s_mov_b64 s[0:1], 0
	s_mov_b64 s[6:7], -1
	s_waitcnt vmcnt(0)
	v_lshlrev_b32_e32 v3, 23, v2
	v_cvt_i32_f32_e32 v3, v3
	v_cmp_ne_u32_e32 vcc, 0, v2
	s_nop 1
	v_cndmask_b32_e32 v6, 0, v3, vcc
	s_branch .LBB368_1399
.LBB368_1398:
	s_mov_b64 s[0:1], -1
                                        ; implicit-def: $vgpr6
.LBB368_1399:
	s_mov_b64 s[18:19], 0
.LBB368_1400:
	s_and_b64 vcc, exec, s[18:19]
	s_cbranch_vccz .LBB368_1404
; %bb.1401:
	s_cmp_eq_u32 s11, 29
	s_cbranch_scc0 .LBB368_1403
; %bb.1402:
	global_load_dword v6, v[0:1], off
	s_mov_b64 s[0:1], 0
	s_mov_b64 s[6:7], -1
	s_branch .LBB368_1404
.LBB368_1403:
	s_mov_b64 s[0:1], -1
                                        ; implicit-def: $vgpr6
.LBB368_1404:
	s_mov_b64 s[18:19], 0
.LBB368_1405:
	s_and_b64 vcc, exec, s[18:19]
	s_cbranch_vccz .LBB368_1421
; %bb.1406:
	s_cmp_lt_i32 s11, 27
	s_cbranch_scc1 .LBB368_1409
; %bb.1407:
	s_cmp_gt_i32 s11, 27
	s_cbranch_scc0 .LBB368_1410
; %bb.1408:
	global_load_dword v6, v[0:1], off
	s_mov_b64 s[6:7], 0
	s_branch .LBB368_1411
.LBB368_1409:
	s_mov_b64 s[6:7], -1
                                        ; implicit-def: $vgpr6
	s_branch .LBB368_1414
.LBB368_1410:
	s_mov_b64 s[6:7], -1
                                        ; implicit-def: $vgpr6
.LBB368_1411:
	s_andn2_b64 vcc, exec, s[6:7]
	s_cbranch_vccnz .LBB368_1413
; %bb.1412:
	global_load_ushort v6, v[0:1], off
.LBB368_1413:
	s_mov_b64 s[6:7], 0
.LBB368_1414:
	s_andn2_b64 vcc, exec, s[6:7]
	s_cbranch_vccnz .LBB368_1420
; %bb.1415:
	global_load_ubyte v2, v[0:1], off
	s_movk_i32 s6, 0x7f
	s_mov_b64 s[18:19], 0
	s_waitcnt vmcnt(0)
	v_cmp_lt_i16_e32 vcc, s6, v2
	s_and_saveexec_b64 s[6:7], vcc
	s_xor_b64 s[6:7], exec, s[6:7]
	s_cbranch_execz .LBB368_1432
; %bb.1416:
	s_movk_i32 s9, 0x80
	v_cmp_ne_u16_e32 vcc, s9, v2
	s_and_b64 s[18:19], vcc, exec
	s_andn2_saveexec_b64 s[6:7], s[6:7]
	s_cbranch_execnz .LBB368_1433
.LBB368_1417:
	s_or_b64 exec, exec, s[6:7]
	v_mov_b32_e32 v6, 0
	s_and_saveexec_b64 s[6:7], s[18:19]
	s_cbranch_execz .LBB368_1419
.LBB368_1418:
	v_lshlrev_b32_e32 v3, 24, v2
	v_and_b32_e32 v2, 0xffff, v2
	v_and_b32_e32 v6, 7, v2
	v_ffbh_u32_e32 v10, v6
	v_min_u32_e32 v10, 32, v10
	v_subrev_u32_e32 v11, 28, v10
	v_bfe_u32 v9, v2, 3, 4
	v_lshlrev_b32_e32 v2, v11, v2
	v_sub_u32_e32 v10, 29, v10
	v_and_b32_e32 v2, 7, v2
	v_cmp_eq_u32_e32 vcc, 0, v9
	v_and_b32_e32 v3, 0x80000000, v3
	s_nop 0
	v_cndmask_b32_e32 v9, v9, v10, vcc
	v_cndmask_b32_e32 v2, v6, v2, vcc
	v_mov_b32_e32 v6, 0x3b800000
	v_lshlrev_b32_e32 v2, 20, v2
	v_lshl_add_u32 v6, v9, 23, v6
	v_or3_b32 v2, v3, v6, v2
	v_cvt_i32_f32_e32 v6, v2
.LBB368_1419:
	s_or_b64 exec, exec, s[6:7]
.LBB368_1420:
	s_mov_b64 s[6:7], -1
.LBB368_1421:
	s_mov_b64 s[18:19], 0
.LBB368_1422:
	s_and_b64 vcc, exec, s[18:19]
	s_cbranch_vccz .LBB368_1453
; %bb.1423:
	s_cmp_gt_i32 s11, 22
	s_cbranch_scc0 .LBB368_1431
; %bb.1424:
	s_cmp_lt_i32 s11, 24
	s_cbranch_scc1 .LBB368_1434
; %bb.1425:
	s_cmp_gt_i32 s11, 24
	s_cbranch_scc0 .LBB368_1435
; %bb.1426:
	global_load_ubyte v2, v[0:1], off
	s_movk_i32 s2, 0x7f
	s_mov_b64 s[6:7], 0
	s_waitcnt vmcnt(0)
	v_cmp_lt_i16_e32 vcc, s2, v2
	s_and_saveexec_b64 s[2:3], vcc
	s_xor_b64 s[2:3], exec, s[2:3]
	s_cbranch_execz .LBB368_1447
; %bb.1427:
	s_movk_i32 s6, 0x80
	v_cmp_ne_u16_e32 vcc, s6, v2
	s_and_b64 s[6:7], vcc, exec
	s_andn2_saveexec_b64 s[2:3], s[2:3]
	s_cbranch_execnz .LBB368_1448
.LBB368_1428:
	s_or_b64 exec, exec, s[2:3]
	v_mov_b32_e32 v6, 0
	s_and_saveexec_b64 s[2:3], s[6:7]
	s_cbranch_execz .LBB368_1430
.LBB368_1429:
	v_lshlrev_b32_e32 v3, 24, v2
	v_and_b32_e32 v2, 0xffff, v2
	v_and_b32_e32 v6, 3, v2
	v_ffbh_u32_e32 v10, v6
	v_min_u32_e32 v10, 32, v10
	v_subrev_u32_e32 v11, 29, v10
	v_bfe_u32 v9, v2, 2, 5
	v_lshlrev_b32_e32 v2, v11, v2
	v_sub_u32_e32 v10, 30, v10
	v_and_b32_e32 v2, 3, v2
	v_cmp_eq_u32_e32 vcc, 0, v9
	v_and_b32_e32 v3, 0x80000000, v3
	s_nop 0
	v_cndmask_b32_e32 v9, v9, v10, vcc
	v_cndmask_b32_e32 v2, v6, v2, vcc
	v_mov_b32_e32 v6, 0x37800000
	v_lshlrev_b32_e32 v2, 21, v2
	v_lshl_add_u32 v6, v9, 23, v6
	v_or3_b32 v2, v3, v6, v2
	v_cvt_i32_f32_e32 v6, v2
.LBB368_1430:
	s_or_b64 exec, exec, s[2:3]
	s_mov_b64 s[2:3], 0
	s_branch .LBB368_1436
.LBB368_1431:
	s_mov_b64 s[2:3], -1
                                        ; implicit-def: $vgpr6
	s_branch .LBB368_1442
.LBB368_1432:
	s_andn2_saveexec_b64 s[6:7], s[6:7]
	s_cbranch_execz .LBB368_1417
.LBB368_1433:
	v_cmp_ne_u16_e32 vcc, 0, v2
	s_andn2_b64 s[18:19], s[18:19], exec
	s_and_b64 s[20:21], vcc, exec
	s_or_b64 s[18:19], s[18:19], s[20:21]
	s_or_b64 exec, exec, s[6:7]
	v_mov_b32_e32 v6, 0
	s_and_saveexec_b64 s[6:7], s[18:19]
	s_cbranch_execnz .LBB368_1418
	s_branch .LBB368_1419
.LBB368_1434:
	s_mov_b64 s[2:3], -1
                                        ; implicit-def: $vgpr6
	s_branch .LBB368_1439
.LBB368_1435:
	s_mov_b64 s[2:3], -1
                                        ; implicit-def: $vgpr6
.LBB368_1436:
	s_and_b64 vcc, exec, s[2:3]
	s_cbranch_vccz .LBB368_1438
; %bb.1437:
	global_load_ubyte v2, v[0:1], off
	s_mov_b32 s2, 0x7f800000
	s_waitcnt vmcnt(0)
	v_lshlrev_b32_e32 v2, 24, v2
	v_and_b32_e32 v3, 0x7f000000, v2
	v_ffbh_u32_e32 v6, v3
	v_min_u32_e32 v6, 32, v6
	v_sub_u32_e64 v6, v6, 4 clamp
	v_lshlrev_b32_e32 v10, v6, v3
	v_lshlrev_b32_e32 v6, 23, v6
	v_lshrrev_b32_e32 v10, 4, v10
	v_add_u32_e32 v9, 0x1000000, v3
	v_sub_u32_e32 v6, v10, v6
	v_ashrrev_i32_e32 v9, 8, v9
	v_add_u32_e32 v6, 0x3c000000, v6
	v_and_or_b32 v6, v9, s2, v6
	v_cmp_ne_u32_e32 vcc, 0, v3
	s_brev_b32 s2, 1
	s_nop 0
	v_cndmask_b32_e32 v3, 0, v6, vcc
	v_and_or_b32 v2, v2, s2, v3
	v_cvt_i32_f32_e32 v6, v2
.LBB368_1438:
	s_mov_b64 s[2:3], 0
.LBB368_1439:
	s_andn2_b64 vcc, exec, s[2:3]
	s_cbranch_vccnz .LBB368_1441
; %bb.1440:
	global_load_ubyte v2, v[0:1], off
	s_movk_i32 s2, 0x7f00
	s_brev_b32 s3, 16
	s_waitcnt vmcnt(0)
	v_lshlrev_b16_e32 v3, 8, v2
	v_lshlrev_b32_e32 v2, 25, v2
	v_lshrrev_b32_e32 v6, 4, v2
	v_and_or_b32 v9, v3, s2, 0.5
	v_or_b32_e32 v6, 0x70000000, v6
	v_add_f32_e32 v9, -0.5, v9
	v_mul_f32_e32 v6, 0x7800000, v6
	v_cmp_gt_u32_e32 vcc, s3, v2
	v_bfe_i32 v3, v3, 0, 16
	s_brev_b32 s2, 1
	v_cndmask_b32_e32 v2, v6, v9, vcc
	v_and_or_b32 v2, v3, s2, v2
	v_cvt_i32_f32_e32 v6, v2
.LBB368_1441:
	s_mov_b64 s[2:3], 0
	s_mov_b64 s[6:7], -1
.LBB368_1442:
	s_andn2_b64 vcc, exec, s[2:3]
	s_mov_b64 s[2:3], 0
	s_cbranch_vccnz .LBB368_1453
; %bb.1443:
	s_cmp_gt_i32 s11, 14
	s_cbranch_scc0 .LBB368_1446
; %bb.1444:
	s_cmp_eq_u32 s11, 15
	s_cbranch_scc0 .LBB368_1449
; %bb.1445:
	global_load_ushort v2, v[0:1], off
	s_mov_b64 s[0:1], 0
	s_mov_b64 s[6:7], -1
	s_waitcnt vmcnt(0)
	v_lshlrev_b32_e32 v2, 16, v2
	v_cvt_i32_f32_e32 v6, v2
	s_branch .LBB368_1450
.LBB368_1446:
	s_mov_b64 s[18:19], -1
                                        ; implicit-def: $vgpr6
	s_branch .LBB368_1451
.LBB368_1447:
	s_andn2_saveexec_b64 s[2:3], s[2:3]
	s_cbranch_execz .LBB368_1428
.LBB368_1448:
	v_cmp_ne_u16_e32 vcc, 0, v2
	s_andn2_b64 s[6:7], s[6:7], exec
	s_and_b64 s[18:19], vcc, exec
	s_or_b64 s[6:7], s[6:7], s[18:19]
	s_or_b64 exec, exec, s[2:3]
	v_mov_b32_e32 v6, 0
	s_and_saveexec_b64 s[2:3], s[6:7]
	s_cbranch_execnz .LBB368_1429
	s_branch .LBB368_1430
.LBB368_1449:
	s_mov_b64 s[0:1], -1
                                        ; implicit-def: $vgpr6
.LBB368_1450:
	s_mov_b64 s[18:19], 0
.LBB368_1451:
	s_and_b64 vcc, exec, s[18:19]
	s_cbranch_vccz .LBB368_1453
; %bb.1452:
	s_cmp_lg_u32 s11, 11
	s_mov_b64 s[2:3], -1
	s_cselect_b64 s[0:1], -1, 0
.LBB368_1453:
	s_and_b64 vcc, exec, s[0:1]
	s_cbranch_vccnz .LBB368_1986
; %bb.1454:
	s_andn2_b64 vcc, exec, s[2:3]
	s_cbranch_vccnz .LBB368_1456
.LBB368_1455:
	global_load_ubyte v2, v[0:1], off
	s_mov_b64 s[6:7], -1
	s_waitcnt vmcnt(0)
	v_cmp_ne_u16_e32 vcc, 0, v2
	s_nop 1
	v_cndmask_b32_e64 v6, 0, 1, vcc
.LBB368_1456:
	s_mov_b64 s[0:1], 0
.LBB368_1457:
	s_and_b64 vcc, exec, s[0:1]
	s_cbranch_vccz .LBB368_1506
; %bb.1458:
	s_cmp_lt_i32 s11, 5
	s_cbranch_scc1 .LBB368_1463
; %bb.1459:
	s_cmp_lt_i32 s11, 8
	s_cbranch_scc1 .LBB368_1464
	;; [unrolled: 3-line block ×3, first 2 shown]
; %bb.1461:
	s_cmp_gt_i32 s11, 9
	s_cbranch_scc0 .LBB368_1466
; %bb.1462:
	global_load_dwordx2 v[2:3], v[0:1], off
	s_mov_b64 s[0:1], 0
	s_waitcnt vmcnt(0)
	v_cvt_i32_f64_e32 v6, v[2:3]
	s_branch .LBB368_1467
.LBB368_1463:
	s_mov_b64 s[0:1], -1
                                        ; implicit-def: $vgpr6
	s_branch .LBB368_1485
.LBB368_1464:
	s_mov_b64 s[0:1], -1
                                        ; implicit-def: $vgpr6
	s_branch .LBB368_1473
.LBB368_1465:
	s_mov_b64 s[0:1], -1
                                        ; implicit-def: $vgpr6
	s_branch .LBB368_1470
.LBB368_1466:
	s_mov_b64 s[0:1], -1
                                        ; implicit-def: $vgpr6
.LBB368_1467:
	s_andn2_b64 vcc, exec, s[0:1]
	s_cbranch_vccnz .LBB368_1469
; %bb.1468:
	global_load_dword v2, v[0:1], off
	s_waitcnt vmcnt(0)
	v_cvt_i32_f32_e32 v6, v2
.LBB368_1469:
	s_mov_b64 s[0:1], 0
.LBB368_1470:
	s_andn2_b64 vcc, exec, s[0:1]
	s_cbranch_vccnz .LBB368_1472
; %bb.1471:
	global_load_dword v2, v[0:1], off
	s_waitcnt vmcnt(0)
	v_cvt_f32_f16_e32 v2, v2
	v_cvt_i32_f32_e32 v6, v2
.LBB368_1472:
	s_mov_b64 s[0:1], 0
.LBB368_1473:
	s_andn2_b64 vcc, exec, s[0:1]
	s_cbranch_vccnz .LBB368_1484
; %bb.1474:
	s_cmp_lt_i32 s11, 6
	s_cbranch_scc1 .LBB368_1477
; %bb.1475:
	s_cmp_gt_i32 s11, 6
	s_cbranch_scc0 .LBB368_1478
; %bb.1476:
	global_load_dwordx2 v[2:3], v[0:1], off
	s_mov_b64 s[0:1], 0
	s_waitcnt vmcnt(0)
	v_cvt_i32_f64_e32 v6, v[2:3]
	s_branch .LBB368_1479
.LBB368_1477:
	s_mov_b64 s[0:1], -1
                                        ; implicit-def: $vgpr6
	s_branch .LBB368_1482
.LBB368_1478:
	s_mov_b64 s[0:1], -1
                                        ; implicit-def: $vgpr6
.LBB368_1479:
	s_andn2_b64 vcc, exec, s[0:1]
	s_cbranch_vccnz .LBB368_1481
; %bb.1480:
	global_load_dword v2, v[0:1], off
	s_waitcnt vmcnt(0)
	v_cvt_i32_f32_e32 v6, v2
.LBB368_1481:
	s_mov_b64 s[0:1], 0
.LBB368_1482:
	s_andn2_b64 vcc, exec, s[0:1]
	s_cbranch_vccnz .LBB368_1484
; %bb.1483:
	global_load_ushort v2, v[0:1], off
	s_waitcnt vmcnt(0)
	v_cvt_f32_f16_e32 v2, v2
	v_cvt_i32_f32_e32 v6, v2
.LBB368_1484:
	s_mov_b64 s[0:1], 0
.LBB368_1485:
	s_andn2_b64 vcc, exec, s[0:1]
	s_cbranch_vccnz .LBB368_1505
; %bb.1486:
	s_cmp_lt_i32 s11, 2
	s_cbranch_scc1 .LBB368_1490
; %bb.1487:
	s_cmp_lt_i32 s11, 3
	s_cbranch_scc1 .LBB368_1491
; %bb.1488:
	s_cmp_gt_i32 s11, 3
	s_cbranch_scc0 .LBB368_1492
; %bb.1489:
	global_load_dword v6, v[0:1], off
	s_mov_b64 s[0:1], 0
	s_branch .LBB368_1493
.LBB368_1490:
	s_mov_b64 s[0:1], -1
                                        ; implicit-def: $vgpr6
	s_branch .LBB368_1499
.LBB368_1491:
	s_mov_b64 s[0:1], -1
                                        ; implicit-def: $vgpr6
	s_branch .LBB368_1496
.LBB368_1492:
	s_mov_b64 s[0:1], -1
                                        ; implicit-def: $vgpr6
.LBB368_1493:
	s_andn2_b64 vcc, exec, s[0:1]
	s_cbranch_vccnz .LBB368_1495
; %bb.1494:
	global_load_dword v6, v[0:1], off
.LBB368_1495:
	s_mov_b64 s[0:1], 0
.LBB368_1496:
	s_andn2_b64 vcc, exec, s[0:1]
	s_cbranch_vccnz .LBB368_1498
; %bb.1497:
	global_load_sshort v6, v[0:1], off
.LBB368_1498:
	s_mov_b64 s[0:1], 0
.LBB368_1499:
	s_andn2_b64 vcc, exec, s[0:1]
	s_cbranch_vccnz .LBB368_1505
; %bb.1500:
	s_cmp_gt_i32 s11, 0
	s_cbranch_scc0 .LBB368_1502
; %bb.1501:
	global_load_sbyte v6, v[0:1], off
	s_mov_b64 s[0:1], 0
	s_branch .LBB368_1503
.LBB368_1502:
	s_mov_b64 s[0:1], -1
                                        ; implicit-def: $vgpr6
.LBB368_1503:
	s_andn2_b64 vcc, exec, s[0:1]
	s_cbranch_vccnz .LBB368_1505
; %bb.1504:
	global_load_ubyte v6, v[0:1], off
.LBB368_1505:
	s_mov_b64 s[6:7], -1
.LBB368_1506:
	s_andn2_b64 vcc, exec, s[6:7]
	s_cbranch_vccnz .LBB368_1940
; %bb.1507:
	v_mul_lo_u32 v0, s8, v4
	v_ashrrev_i32_e32 v1, 31, v0
	s_and_b32 s22, s33, 0xff
	s_waitcnt vmcnt(0)
	v_max_i32_e32 v2, s10, v5
	s_cmp_lt_i32 s22, 11
	v_lshl_add_u64 v[4:5], s[4:5], 0, v[0:1]
	s_cbranch_scc1 .LBB368_1585
; %bb.1508:
	s_and_b32 s9, 0xffff, s22
	s_mov_b64 s[18:19], -1
	s_mov_b64 s[2:3], 0
	s_cmp_gt_i32 s9, 25
	s_mov_b64 s[6:7], 0
	s_mov_b64 s[0:1], 0
	s_cbranch_scc0 .LBB368_1541
; %bb.1509:
	s_cmp_gt_i32 s9, 28
	s_cbranch_scc0 .LBB368_1524
; %bb.1510:
	s_cmp_gt_i32 s9, 43
	;; [unrolled: 3-line block ×3, first 2 shown]
	s_cbranch_scc0 .LBB368_1514
; %bb.1512:
	s_mov_b64 s[0:1], -1
	s_mov_b64 s[18:19], 0
	s_cmp_eq_u32 s9, 46
	s_cbranch_scc0 .LBB368_1514
; %bb.1513:
	v_cvt_f32_i32_e32 v1, v2
	s_movk_i32 s6, 0x7fff
	s_mov_b64 s[0:1], 0
	v_bfe_u32 v3, v1, 16, 1
	v_add3_u32 v1, v1, v3, s6
	v_lshrrev_b32_e32 v1, 16, v1
	global_store_dword v[4:5], v1, off
	s_mov_b64 s[6:7], -1
.LBB368_1514:
	s_and_b64 vcc, exec, s[18:19]
	s_cbranch_vccz .LBB368_1519
; %bb.1515:
	s_cmp_eq_u32 s9, 44
	s_mov_b64 s[0:1], -1
	s_cbranch_scc0 .LBB368_1519
; %bb.1516:
	v_cvt_f32_i32_e32 v1, v2
	s_movk_i32 s0, 0xff
	v_mov_b32_e32 v9, 0xff
	v_bfe_u32 v3, v1, 23, 8
	v_cmp_ne_u32_e32 vcc, s0, v3
	s_and_saveexec_b64 s[6:7], vcc
; %bb.1517:
	s_mov_b32 s0, 0x3fffff
	v_lshrrev_b32_e32 v9, 23, v1
	v_and_b32_e32 v10, 0x400000, v1
	v_and_or_b32 v1, v1, s0, v3
	v_cmp_ne_u32_e32 vcc, 0, v10
	v_cmp_ne_u32_e64 s[0:1], 0, v1
	s_and_b64 s[0:1], vcc, s[0:1]
	s_nop 0
	v_cndmask_b32_e64 v1, 0, 1, s[0:1]
	v_add_u32_e32 v9, v9, v1
; %bb.1518:
	s_or_b64 exec, exec, s[6:7]
	s_mov_b64 s[0:1], 0
	s_mov_b64 s[6:7], -1
	global_store_byte v[4:5], v9, off
.LBB368_1519:
	s_mov_b64 s[18:19], 0
.LBB368_1520:
	s_and_b64 vcc, exec, s[18:19]
	s_cbranch_vccz .LBB368_1523
; %bb.1521:
	s_cmp_eq_u32 s9, 29
	s_mov_b64 s[0:1], -1
	s_cbranch_scc0 .LBB368_1523
; %bb.1522:
	v_ashrrev_i32_e32 v3, 31, v2
	global_store_dwordx2 v[4:5], v[2:3], off
	s_mov_b64 s[0:1], 0
	s_mov_b64 s[6:7], -1
.LBB368_1523:
	s_mov_b64 s[18:19], 0
.LBB368_1524:
	s_and_b64 vcc, exec, s[18:19]
	s_cbranch_vccz .LBB368_1540
; %bb.1525:
	s_cmp_lt_i32 s9, 27
	s_mov_b64 s[6:7], -1
	s_cbranch_scc1 .LBB368_1531
; %bb.1526:
	s_cmp_gt_i32 s9, 27
	s_cbranch_scc0 .LBB368_1528
; %bb.1527:
	s_mov_b64 s[6:7], 0
	global_store_dword v[4:5], v2, off
.LBB368_1528:
	s_andn2_b64 vcc, exec, s[6:7]
	s_cbranch_vccnz .LBB368_1530
; %bb.1529:
	global_store_short v[4:5], v2, off
.LBB368_1530:
	s_mov_b64 s[6:7], 0
.LBB368_1531:
	s_andn2_b64 vcc, exec, s[6:7]
	s_cbranch_vccnz .LBB368_1539
; %bb.1532:
	v_cvt_f32_i32_e32 v1, v2
	s_mov_b32 s6, 0x43800000
	v_mov_b32_e32 v9, 0x80
	v_and_b32_e32 v3, 0x7fffffff, v1
	v_cmp_gt_u32_e32 vcc, s6, v3
	s_and_saveexec_b64 s[6:7], vcc
	s_cbranch_execz .LBB368_1538
; %bb.1533:
	s_mov_b32 s11, 0x3bffffff
	v_cmp_lt_u32_e32 vcc, s11, v3
	s_mov_b64 s[18:19], 0
                                        ; implicit-def: $vgpr3
	s_and_saveexec_b64 s[20:21], vcc
	s_xor_b64 s[20:21], exec, s[20:21]
	s_cbranch_execz .LBB368_1987
; %bb.1534:
	v_bfe_u32 v3, v1, 20, 1
	s_mov_b32 s11, 0x487ffff
	v_add3_u32 v3, v1, v3, s11
	s_mov_b64 s[18:19], exec
	v_lshrrev_b32_e32 v3, 20, v3
	s_andn2_saveexec_b64 s[20:21], s[20:21]
	s_cbranch_execnz .LBB368_1988
.LBB368_1535:
	s_or_b64 exec, exec, s[20:21]
	v_mov_b32_e32 v9, 0
	s_and_saveexec_b64 s[20:21], s[18:19]
.LBB368_1536:
	v_lshrrev_b32_e32 v1, 24, v1
	s_movk_i32 s11, 0x80
	v_and_or_b32 v9, v1, s11, v3
.LBB368_1537:
	s_or_b64 exec, exec, s[20:21]
.LBB368_1538:
	s_or_b64 exec, exec, s[6:7]
	global_store_byte v[4:5], v9, off
.LBB368_1539:
	s_mov_b64 s[6:7], -1
.LBB368_1540:
	s_mov_b64 s[18:19], 0
.LBB368_1541:
	s_and_b64 vcc, exec, s[18:19]
	s_cbranch_vccz .LBB368_1581
; %bb.1542:
	s_cmp_gt_i32 s9, 22
	s_mov_b64 s[2:3], -1
	s_cbranch_scc0 .LBB368_1574
; %bb.1543:
	s_cmp_lt_i32 s9, 24
	s_cbranch_scc1 .LBB368_1563
; %bb.1544:
	s_cmp_gt_i32 s9, 24
	s_cbranch_scc0 .LBB368_1552
; %bb.1545:
	v_cvt_f32_i32_e32 v1, v2
	s_mov_b32 s2, 0x47800000
	v_mov_b32_e32 v9, 0x80
	v_and_b32_e32 v3, 0x7fffffff, v1
	v_cmp_gt_u32_e32 vcc, s2, v3
	s_and_saveexec_b64 s[2:3], vcc
	s_cbranch_execz .LBB368_1551
; %bb.1546:
	s_mov_b32 s6, 0x37ffffff
	v_cmp_lt_u32_e32 vcc, s6, v3
	s_mov_b64 s[6:7], 0
                                        ; implicit-def: $vgpr3
	s_and_saveexec_b64 s[18:19], vcc
	s_xor_b64 s[18:19], exec, s[18:19]
	s_cbranch_execz .LBB368_1990
; %bb.1547:
	v_bfe_u32 v3, v1, 21, 1
	s_mov_b32 s11, 0x88fffff
	v_add3_u32 v3, v1, v3, s11
	s_mov_b64 s[6:7], exec
	v_lshrrev_b32_e32 v3, 21, v3
	s_andn2_saveexec_b64 s[18:19], s[18:19]
	s_cbranch_execnz .LBB368_1991
.LBB368_1548:
	s_or_b64 exec, exec, s[18:19]
	v_mov_b32_e32 v9, 0
	s_and_saveexec_b64 s[18:19], s[6:7]
.LBB368_1549:
	v_lshrrev_b32_e32 v1, 24, v1
	s_movk_i32 s6, 0x80
	v_and_or_b32 v9, v1, s6, v3
.LBB368_1550:
	s_or_b64 exec, exec, s[18:19]
.LBB368_1551:
	s_or_b64 exec, exec, s[2:3]
	s_mov_b64 s[2:3], 0
	global_store_byte v[4:5], v9, off
.LBB368_1552:
	s_and_b64 vcc, exec, s[2:3]
	s_cbranch_vccz .LBB368_1562
; %bb.1553:
	v_cvt_f32_i32_e32 v1, v2
	s_mov_b32 s2, 0x43f00000
                                        ; implicit-def: $vgpr3
	v_and_b32_e32 v9, 0x7fffffff, v1
	v_cmp_gt_u32_e32 vcc, s2, v9
	s_and_saveexec_b64 s[2:3], vcc
	s_xor_b64 s[2:3], exec, s[2:3]
	s_cbranch_execz .LBB368_1559
; %bb.1554:
	s_mov_b32 s6, 0x3c7fffff
	v_cmp_lt_u32_e32 vcc, s6, v9
                                        ; implicit-def: $vgpr3
	s_and_saveexec_b64 s[6:7], vcc
	s_xor_b64 s[6:7], exec, s[6:7]
; %bb.1555:
	v_bfe_u32 v3, v1, 20, 1
	s_mov_b32 s11, 0x407ffff
	v_add3_u32 v3, v1, v3, s11
	v_lshrrev_b32_e32 v9, 20, v3
	v_and_b32_e32 v3, 0xff00000, v3
	s_mov_b32 s11, 0x7f00000
	v_mov_b32_e32 v10, 0x7e
	v_cmp_ne_u32_e32 vcc, s11, v3
	s_nop 1
	v_cndmask_b32_e32 v3, v10, v9, vcc
; %bb.1556:
	s_andn2_saveexec_b64 s[6:7], s[6:7]
; %bb.1557:
	s_mov_b32 s11, 0x46800000
	v_add_f32_e64 v3, |v1|, s11
; %bb.1558:
	s_or_b64 exec, exec, s[6:7]
                                        ; implicit-def: $vgpr9
.LBB368_1559:
	s_andn2_saveexec_b64 s[2:3], s[2:3]
; %bb.1560:
	s_mov_b32 s6, 0x7f800000
	v_mov_b32_e32 v3, 0x7e
	v_mov_b32_e32 v10, 0x7f
	v_cmp_lt_u32_e32 vcc, s6, v9
	s_nop 1
	v_cndmask_b32_e32 v3, v3, v10, vcc
; %bb.1561:
	s_or_b64 exec, exec, s[2:3]
	v_lshrrev_b32_e32 v1, 24, v1
	s_movk_i32 s2, 0x80
	v_and_or_b32 v1, v1, s2, v3
	global_store_byte v[4:5], v1, off
.LBB368_1562:
	s_mov_b64 s[2:3], 0
.LBB368_1563:
	s_andn2_b64 vcc, exec, s[2:3]
	s_cbranch_vccnz .LBB368_1573
; %bb.1564:
	v_cvt_f32_i32_e32 v1, v2
	s_mov_b32 s2, 0x47800000
                                        ; implicit-def: $vgpr3
	v_and_b32_e32 v9, 0x7fffffff, v1
	v_cmp_gt_u32_e32 vcc, s2, v9
	s_and_saveexec_b64 s[2:3], vcc
	s_xor_b64 s[2:3], exec, s[2:3]
	s_cbranch_execz .LBB368_1570
; %bb.1565:
	s_mov_b32 s6, 0x387fffff
	v_cmp_lt_u32_e32 vcc, s6, v9
                                        ; implicit-def: $vgpr3
	s_and_saveexec_b64 s[6:7], vcc
	s_xor_b64 s[6:7], exec, s[6:7]
; %bb.1566:
	v_bfe_u32 v3, v1, 21, 1
	s_mov_b32 s11, 0x80fffff
	v_add3_u32 v3, v1, v3, s11
	v_lshrrev_b32_e32 v3, 21, v3
; %bb.1567:
	s_andn2_saveexec_b64 s[6:7], s[6:7]
; %bb.1568:
	s_mov_b32 s11, 0x43000000
	v_add_f32_e64 v3, |v1|, s11
; %bb.1569:
	s_or_b64 exec, exec, s[6:7]
                                        ; implicit-def: $vgpr9
.LBB368_1570:
	s_andn2_saveexec_b64 s[2:3], s[2:3]
; %bb.1571:
	s_mov_b32 s6, 0x7f800000
	v_mov_b32_e32 v3, 0x7c
	v_mov_b32_e32 v10, 0x7f
	v_cmp_lt_u32_e32 vcc, s6, v9
	s_nop 1
	v_cndmask_b32_e32 v3, v3, v10, vcc
; %bb.1572:
	s_or_b64 exec, exec, s[2:3]
	v_lshrrev_b32_e32 v1, 24, v1
	s_movk_i32 s2, 0x80
	v_and_or_b32 v1, v1, s2, v3
	global_store_byte v[4:5], v1, off
.LBB368_1573:
	s_mov_b64 s[2:3], 0
	s_mov_b64 s[6:7], -1
.LBB368_1574:
	s_andn2_b64 vcc, exec, s[2:3]
	s_mov_b64 s[2:3], 0
	s_cbranch_vccnz .LBB368_1581
; %bb.1575:
	s_cmp_gt_i32 s9, 14
	s_mov_b64 s[18:19], -1
	s_cbranch_scc0 .LBB368_1579
; %bb.1576:
	s_cmp_eq_u32 s9, 15
	s_mov_b64 s[0:1], -1
	s_cbranch_scc0 .LBB368_1578
; %bb.1577:
	v_cvt_f32_i32_e32 v1, v2
	s_movk_i32 s2, 0x7fff
	s_mov_b64 s[0:1], 0
	s_mov_b64 s[6:7], -1
	v_bfe_u32 v3, v1, 16, 1
	v_add3_u32 v1, v1, v3, s2
	global_store_short_d16_hi v[4:5], v1, off
.LBB368_1578:
	s_mov_b64 s[18:19], 0
.LBB368_1579:
	s_mov_b64 s[2:3], 0
	s_and_b64 vcc, exec, s[18:19]
	s_cbranch_vccz .LBB368_1581
; %bb.1580:
	s_cmp_lg_u32 s9, 11
	s_mov_b64 s[2:3], -1
	s_cselect_b64 s[0:1], -1, 0
.LBB368_1581:
	s_and_b64 vcc, exec, s[0:1]
	s_cbranch_vccnz .LBB368_1989
; %bb.1582:
	s_andn2_b64 vcc, exec, s[2:3]
	s_cbranch_vccnz .LBB368_1584
.LBB368_1583:
	v_cmp_ne_u32_e32 vcc, 0, v2
	s_mov_b64 s[6:7], -1
	s_nop 0
	v_cndmask_b32_e64 v1, 0, 1, vcc
	global_store_byte v[4:5], v1, off
.LBB368_1584:
	s_mov_b64 s[0:1], 0
	s_branch .LBB368_1586
.LBB368_1585:
	s_mov_b64 s[0:1], -1
	s_mov_b64 s[6:7], 0
.LBB368_1586:
	s_and_b64 vcc, exec, s[0:1]
	s_cbranch_vccz .LBB368_1625
; %bb.1587:
	s_and_b32 s2, 0xffff, s22
	s_cmp_lt_i32 s2, 5
	s_mov_b64 s[0:1], -1
	s_cbranch_scc1 .LBB368_1608
; %bb.1588:
	s_cmp_lt_i32 s2, 8
	s_cbranch_scc1 .LBB368_1598
; %bb.1589:
	s_cmp_lt_i32 s2, 9
	s_cbranch_scc1 .LBB368_1595
; %bb.1590:
	s_cmp_gt_i32 s2, 9
	s_cbranch_scc0 .LBB368_1592
; %bb.1591:
	v_mov_b32_e32 v12, 0
	v_cvt_f64_i32_e32 v[10:11], v2
	v_mov_b32_e32 v13, v12
	global_store_dwordx4 v[4:5], v[10:13], off
	s_mov_b64 s[0:1], 0
.LBB368_1592:
	s_andn2_b64 vcc, exec, s[0:1]
	s_cbranch_vccnz .LBB368_1594
; %bb.1593:
	v_cvt_f32_i32_e32 v10, v2
	v_mov_b32_e32 v11, 0
	global_store_dwordx2 v[4:5], v[10:11], off
.LBB368_1594:
	s_mov_b64 s[0:1], 0
.LBB368_1595:
	s_andn2_b64 vcc, exec, s[0:1]
	s_cbranch_vccnz .LBB368_1597
; %bb.1596:
	v_cvt_f32_i32_e32 v1, v2
	v_cvt_f16_f32_e32 v1, v1
	global_store_dword v[4:5], v1, off
.LBB368_1597:
	s_mov_b64 s[0:1], 0
.LBB368_1598:
	s_andn2_b64 vcc, exec, s[0:1]
	s_cbranch_vccnz .LBB368_1607
; %bb.1599:
	s_cmp_lt_i32 s2, 6
	s_mov_b64 s[0:1], -1
	s_cbranch_scc1 .LBB368_1605
; %bb.1600:
	s_cmp_gt_i32 s2, 6
	s_cbranch_scc0 .LBB368_1602
; %bb.1601:
	v_cvt_f64_i32_e32 v[10:11], v2
	global_store_dwordx2 v[4:5], v[10:11], off
	s_mov_b64 s[0:1], 0
.LBB368_1602:
	s_andn2_b64 vcc, exec, s[0:1]
	s_cbranch_vccnz .LBB368_1604
; %bb.1603:
	v_cvt_f32_i32_e32 v1, v2
	global_store_dword v[4:5], v1, off
.LBB368_1604:
	s_mov_b64 s[0:1], 0
.LBB368_1605:
	s_andn2_b64 vcc, exec, s[0:1]
	s_cbranch_vccnz .LBB368_1607
; %bb.1606:
	v_cvt_f32_i32_e32 v1, v2
	v_cvt_f16_f32_e32 v1, v1
	global_store_short v[4:5], v1, off
.LBB368_1607:
	s_mov_b64 s[0:1], 0
.LBB368_1608:
	s_andn2_b64 vcc, exec, s[0:1]
	s_cbranch_vccnz .LBB368_1624
; %bb.1609:
	s_cmp_lt_i32 s2, 2
	s_mov_b64 s[0:1], -1
	s_cbranch_scc1 .LBB368_1619
; %bb.1610:
	s_cmp_lt_i32 s2, 3
	s_cbranch_scc1 .LBB368_1616
; %bb.1611:
	s_cmp_gt_i32 s2, 3
	s_cbranch_scc0 .LBB368_1613
; %bb.1612:
	v_ashrrev_i32_e32 v3, 31, v2
	global_store_dwordx2 v[4:5], v[2:3], off
	s_mov_b64 s[0:1], 0
.LBB368_1613:
	s_andn2_b64 vcc, exec, s[0:1]
	s_cbranch_vccnz .LBB368_1615
; %bb.1614:
	global_store_dword v[4:5], v2, off
.LBB368_1615:
	s_mov_b64 s[0:1], 0
.LBB368_1616:
	s_andn2_b64 vcc, exec, s[0:1]
	s_cbranch_vccnz .LBB368_1618
; %bb.1617:
	global_store_short v[4:5], v2, off
.LBB368_1618:
	s_mov_b64 s[0:1], 0
.LBB368_1619:
	s_andn2_b64 vcc, exec, s[0:1]
	s_cbranch_vccnz .LBB368_1624
; %bb.1620:
	s_cmp_gt_i32 s2, 0
	s_mov_b64 s[0:1], -1
	s_cbranch_scc0 .LBB368_1622
; %bb.1621:
	global_store_byte v[4:5], v2, off
	s_mov_b64 s[0:1], 0
.LBB368_1622:
	s_andn2_b64 vcc, exec, s[0:1]
	s_cbranch_vccnz .LBB368_1624
; %bb.1623:
	global_store_byte v[4:5], v2, off
.LBB368_1624:
	s_mov_b64 s[6:7], -1
.LBB368_1625:
	s_andn2_b64 vcc, exec, s[6:7]
	s_cbranch_vccnz .LBB368_1940
; %bb.1626:
	s_lshl_b32 s11, s8, 7
	v_add_u32_e32 v0, s11, v0
	v_ashrrev_i32_e32 v1, 31, v0
	v_max_i32_e32 v2, s10, v8
	s_cmp_lt_i32 s22, 11
	v_lshl_add_u64 v[4:5], s[4:5], 0, v[0:1]
	s_cbranch_scc1 .LBB368_1704
; %bb.1627:
	s_and_b32 s20, 0xffff, s22
	s_mov_b64 s[8:9], -1
	s_mov_b64 s[2:3], 0
	s_cmp_gt_i32 s20, 25
	s_mov_b64 s[6:7], 0
	s_mov_b64 s[0:1], 0
	s_cbranch_scc0 .LBB368_1660
; %bb.1628:
	s_cmp_gt_i32 s20, 28
	s_cbranch_scc0 .LBB368_1643
; %bb.1629:
	s_cmp_gt_i32 s20, 43
	;; [unrolled: 3-line block ×3, first 2 shown]
	s_cbranch_scc0 .LBB368_1633
; %bb.1631:
	s_mov_b64 s[0:1], -1
	s_mov_b64 s[8:9], 0
	s_cmp_eq_u32 s20, 46
	s_cbranch_scc0 .LBB368_1633
; %bb.1632:
	v_cvt_f32_i32_e32 v1, v2
	s_movk_i32 s6, 0x7fff
	s_mov_b64 s[0:1], 0
	v_bfe_u32 v3, v1, 16, 1
	v_add3_u32 v1, v1, v3, s6
	v_lshrrev_b32_e32 v1, 16, v1
	global_store_dword v[4:5], v1, off
	s_mov_b64 s[6:7], -1
.LBB368_1633:
	s_and_b64 vcc, exec, s[8:9]
	s_cbranch_vccz .LBB368_1638
; %bb.1634:
	s_cmp_eq_u32 s20, 44
	s_mov_b64 s[0:1], -1
	s_cbranch_scc0 .LBB368_1638
; %bb.1635:
	v_cvt_f32_i32_e32 v1, v2
	s_movk_i32 s0, 0xff
	v_mov_b32_e32 v8, 0xff
	v_bfe_u32 v3, v1, 23, 8
	v_cmp_ne_u32_e32 vcc, s0, v3
	s_and_saveexec_b64 s[6:7], vcc
; %bb.1636:
	s_mov_b32 s0, 0x3fffff
	v_lshrrev_b32_e32 v8, 23, v1
	v_and_b32_e32 v9, 0x400000, v1
	v_and_or_b32 v1, v1, s0, v3
	v_cmp_ne_u32_e32 vcc, 0, v9
	v_cmp_ne_u32_e64 s[0:1], 0, v1
	s_and_b64 s[0:1], vcc, s[0:1]
	s_nop 0
	v_cndmask_b32_e64 v1, 0, 1, s[0:1]
	v_add_u32_e32 v8, v8, v1
; %bb.1637:
	s_or_b64 exec, exec, s[6:7]
	s_mov_b64 s[0:1], 0
	s_mov_b64 s[6:7], -1
	global_store_byte v[4:5], v8, off
.LBB368_1638:
	s_mov_b64 s[8:9], 0
.LBB368_1639:
	s_and_b64 vcc, exec, s[8:9]
	s_cbranch_vccz .LBB368_1642
; %bb.1640:
	s_cmp_eq_u32 s20, 29
	s_mov_b64 s[0:1], -1
	s_cbranch_scc0 .LBB368_1642
; %bb.1641:
	v_ashrrev_i32_e32 v3, 31, v2
	global_store_dwordx2 v[4:5], v[2:3], off
	s_mov_b64 s[0:1], 0
	s_mov_b64 s[6:7], -1
.LBB368_1642:
	s_mov_b64 s[8:9], 0
.LBB368_1643:
	s_and_b64 vcc, exec, s[8:9]
	s_cbranch_vccz .LBB368_1659
; %bb.1644:
	s_cmp_lt_i32 s20, 27
	s_mov_b64 s[6:7], -1
	s_cbranch_scc1 .LBB368_1650
; %bb.1645:
	s_cmp_gt_i32 s20, 27
	s_cbranch_scc0 .LBB368_1647
; %bb.1646:
	s_mov_b64 s[6:7], 0
	global_store_dword v[4:5], v2, off
.LBB368_1647:
	s_andn2_b64 vcc, exec, s[6:7]
	s_cbranch_vccnz .LBB368_1649
; %bb.1648:
	global_store_short v[4:5], v2, off
.LBB368_1649:
	s_mov_b64 s[6:7], 0
.LBB368_1650:
	s_andn2_b64 vcc, exec, s[6:7]
	s_cbranch_vccnz .LBB368_1658
; %bb.1651:
	v_cvt_f32_i32_e32 v1, v2
	s_mov_b32 s6, 0x43800000
	v_mov_b32_e32 v8, 0x80
	v_and_b32_e32 v3, 0x7fffffff, v1
	v_cmp_gt_u32_e32 vcc, s6, v3
	s_and_saveexec_b64 s[6:7], vcc
	s_cbranch_execz .LBB368_1657
; %bb.1652:
	s_mov_b32 s8, 0x3bffffff
	v_cmp_lt_u32_e32 vcc, s8, v3
	s_mov_b64 s[8:9], 0
                                        ; implicit-def: $vgpr3
	s_and_saveexec_b64 s[18:19], vcc
	s_xor_b64 s[18:19], exec, s[18:19]
	s_cbranch_execz .LBB368_1992
; %bb.1653:
	v_bfe_u32 v3, v1, 20, 1
	s_mov_b32 s21, 0x487ffff
	v_add3_u32 v3, v1, v3, s21
	s_mov_b64 s[8:9], exec
	v_lshrrev_b32_e32 v3, 20, v3
	s_andn2_saveexec_b64 s[18:19], s[18:19]
	s_cbranch_execnz .LBB368_1993
.LBB368_1654:
	s_or_b64 exec, exec, s[18:19]
	v_mov_b32_e32 v8, 0
	s_and_saveexec_b64 s[18:19], s[8:9]
.LBB368_1655:
	v_lshrrev_b32_e32 v1, 24, v1
	s_movk_i32 s8, 0x80
	v_and_or_b32 v8, v1, s8, v3
.LBB368_1656:
	s_or_b64 exec, exec, s[18:19]
.LBB368_1657:
	s_or_b64 exec, exec, s[6:7]
	global_store_byte v[4:5], v8, off
.LBB368_1658:
	s_mov_b64 s[6:7], -1
.LBB368_1659:
	s_mov_b64 s[8:9], 0
.LBB368_1660:
	s_and_b64 vcc, exec, s[8:9]
	s_cbranch_vccz .LBB368_1700
; %bb.1661:
	s_cmp_gt_i32 s20, 22
	s_mov_b64 s[2:3], -1
	s_cbranch_scc0 .LBB368_1693
; %bb.1662:
	s_cmp_lt_i32 s20, 24
	s_cbranch_scc1 .LBB368_1682
; %bb.1663:
	s_cmp_gt_i32 s20, 24
	s_cbranch_scc0 .LBB368_1671
; %bb.1664:
	v_cvt_f32_i32_e32 v1, v2
	s_mov_b32 s2, 0x47800000
	v_mov_b32_e32 v8, 0x80
	v_and_b32_e32 v3, 0x7fffffff, v1
	v_cmp_gt_u32_e32 vcc, s2, v3
	s_and_saveexec_b64 s[2:3], vcc
	s_cbranch_execz .LBB368_1670
; %bb.1665:
	s_mov_b32 s6, 0x37ffffff
	v_cmp_lt_u32_e32 vcc, s6, v3
	s_mov_b64 s[6:7], 0
                                        ; implicit-def: $vgpr3
	s_and_saveexec_b64 s[8:9], vcc
	s_xor_b64 s[8:9], exec, s[8:9]
	s_cbranch_execz .LBB368_1995
; %bb.1666:
	v_bfe_u32 v3, v1, 21, 1
	s_mov_b32 s18, 0x88fffff
	v_add3_u32 v3, v1, v3, s18
	s_mov_b64 s[6:7], exec
	v_lshrrev_b32_e32 v3, 21, v3
	s_andn2_saveexec_b64 s[8:9], s[8:9]
	s_cbranch_execnz .LBB368_1996
.LBB368_1667:
	s_or_b64 exec, exec, s[8:9]
	v_mov_b32_e32 v8, 0
	s_and_saveexec_b64 s[8:9], s[6:7]
.LBB368_1668:
	v_lshrrev_b32_e32 v1, 24, v1
	s_movk_i32 s6, 0x80
	v_and_or_b32 v8, v1, s6, v3
.LBB368_1669:
	s_or_b64 exec, exec, s[8:9]
.LBB368_1670:
	s_or_b64 exec, exec, s[2:3]
	s_mov_b64 s[2:3], 0
	global_store_byte v[4:5], v8, off
.LBB368_1671:
	s_and_b64 vcc, exec, s[2:3]
	s_cbranch_vccz .LBB368_1681
; %bb.1672:
	v_cvt_f32_i32_e32 v1, v2
	s_mov_b32 s2, 0x43f00000
                                        ; implicit-def: $vgpr3
	v_and_b32_e32 v8, 0x7fffffff, v1
	v_cmp_gt_u32_e32 vcc, s2, v8
	s_and_saveexec_b64 s[2:3], vcc
	s_xor_b64 s[2:3], exec, s[2:3]
	s_cbranch_execz .LBB368_1678
; %bb.1673:
	s_mov_b32 s6, 0x3c7fffff
	v_cmp_lt_u32_e32 vcc, s6, v8
                                        ; implicit-def: $vgpr3
	s_and_saveexec_b64 s[6:7], vcc
	s_xor_b64 s[6:7], exec, s[6:7]
; %bb.1674:
	v_bfe_u32 v3, v1, 20, 1
	s_mov_b32 s8, 0x407ffff
	v_add3_u32 v3, v1, v3, s8
	v_lshrrev_b32_e32 v8, 20, v3
	v_and_b32_e32 v3, 0xff00000, v3
	s_mov_b32 s8, 0x7f00000
	v_mov_b32_e32 v9, 0x7e
	v_cmp_ne_u32_e32 vcc, s8, v3
	s_nop 1
	v_cndmask_b32_e32 v3, v9, v8, vcc
; %bb.1675:
	s_andn2_saveexec_b64 s[6:7], s[6:7]
; %bb.1676:
	s_mov_b32 s8, 0x46800000
	v_add_f32_e64 v3, |v1|, s8
; %bb.1677:
	s_or_b64 exec, exec, s[6:7]
                                        ; implicit-def: $vgpr8
.LBB368_1678:
	s_andn2_saveexec_b64 s[2:3], s[2:3]
; %bb.1679:
	s_mov_b32 s6, 0x7f800000
	v_mov_b32_e32 v3, 0x7e
	v_mov_b32_e32 v9, 0x7f
	v_cmp_lt_u32_e32 vcc, s6, v8
	s_nop 1
	v_cndmask_b32_e32 v3, v3, v9, vcc
; %bb.1680:
	s_or_b64 exec, exec, s[2:3]
	v_lshrrev_b32_e32 v1, 24, v1
	s_movk_i32 s2, 0x80
	v_and_or_b32 v1, v1, s2, v3
	global_store_byte v[4:5], v1, off
.LBB368_1681:
	s_mov_b64 s[2:3], 0
.LBB368_1682:
	s_andn2_b64 vcc, exec, s[2:3]
	s_cbranch_vccnz .LBB368_1692
; %bb.1683:
	v_cvt_f32_i32_e32 v1, v2
	s_mov_b32 s2, 0x47800000
                                        ; implicit-def: $vgpr3
	v_and_b32_e32 v8, 0x7fffffff, v1
	v_cmp_gt_u32_e32 vcc, s2, v8
	s_and_saveexec_b64 s[2:3], vcc
	s_xor_b64 s[2:3], exec, s[2:3]
	s_cbranch_execz .LBB368_1689
; %bb.1684:
	s_mov_b32 s6, 0x387fffff
	v_cmp_lt_u32_e32 vcc, s6, v8
                                        ; implicit-def: $vgpr3
	s_and_saveexec_b64 s[6:7], vcc
	s_xor_b64 s[6:7], exec, s[6:7]
; %bb.1685:
	v_bfe_u32 v3, v1, 21, 1
	s_mov_b32 s8, 0x80fffff
	v_add3_u32 v3, v1, v3, s8
	v_lshrrev_b32_e32 v3, 21, v3
; %bb.1686:
	s_andn2_saveexec_b64 s[6:7], s[6:7]
; %bb.1687:
	s_mov_b32 s8, 0x43000000
	v_add_f32_e64 v3, |v1|, s8
; %bb.1688:
	s_or_b64 exec, exec, s[6:7]
                                        ; implicit-def: $vgpr8
.LBB368_1689:
	s_andn2_saveexec_b64 s[2:3], s[2:3]
; %bb.1690:
	s_mov_b32 s6, 0x7f800000
	v_mov_b32_e32 v3, 0x7c
	v_mov_b32_e32 v9, 0x7f
	v_cmp_lt_u32_e32 vcc, s6, v8
	s_nop 1
	v_cndmask_b32_e32 v3, v3, v9, vcc
; %bb.1691:
	s_or_b64 exec, exec, s[2:3]
	v_lshrrev_b32_e32 v1, 24, v1
	s_movk_i32 s2, 0x80
	v_and_or_b32 v1, v1, s2, v3
	global_store_byte v[4:5], v1, off
.LBB368_1692:
	s_mov_b64 s[2:3], 0
	s_mov_b64 s[6:7], -1
.LBB368_1693:
	s_andn2_b64 vcc, exec, s[2:3]
	s_mov_b64 s[2:3], 0
	s_cbranch_vccnz .LBB368_1700
; %bb.1694:
	s_cmp_gt_i32 s20, 14
	s_mov_b64 s[8:9], -1
	s_cbranch_scc0 .LBB368_1698
; %bb.1695:
	s_cmp_eq_u32 s20, 15
	s_mov_b64 s[0:1], -1
	s_cbranch_scc0 .LBB368_1697
; %bb.1696:
	v_cvt_f32_i32_e32 v1, v2
	s_movk_i32 s2, 0x7fff
	s_mov_b64 s[0:1], 0
	s_mov_b64 s[6:7], -1
	v_bfe_u32 v3, v1, 16, 1
	v_add3_u32 v1, v1, v3, s2
	global_store_short_d16_hi v[4:5], v1, off
.LBB368_1697:
	s_mov_b64 s[8:9], 0
.LBB368_1698:
	s_mov_b64 s[2:3], 0
	s_and_b64 vcc, exec, s[8:9]
	s_cbranch_vccz .LBB368_1700
; %bb.1699:
	s_cmp_lg_u32 s20, 11
	s_mov_b64 s[2:3], -1
	s_cselect_b64 s[0:1], -1, 0
.LBB368_1700:
	s_and_b64 vcc, exec, s[0:1]
	s_cbranch_vccnz .LBB368_1994
; %bb.1701:
	s_andn2_b64 vcc, exec, s[2:3]
	s_cbranch_vccnz .LBB368_1703
.LBB368_1702:
	v_cmp_ne_u32_e32 vcc, 0, v2
	s_mov_b64 s[6:7], -1
	s_nop 0
	v_cndmask_b32_e64 v1, 0, 1, vcc
	global_store_byte v[4:5], v1, off
.LBB368_1703:
	s_mov_b64 s[0:1], 0
	s_branch .LBB368_1705
.LBB368_1704:
	s_mov_b64 s[0:1], -1
	s_mov_b64 s[6:7], 0
.LBB368_1705:
	s_and_b64 vcc, exec, s[0:1]
	s_cbranch_vccz .LBB368_1744
; %bb.1706:
	s_and_b32 s2, 0xffff, s22
	s_cmp_lt_i32 s2, 5
	s_mov_b64 s[0:1], -1
	s_cbranch_scc1 .LBB368_1727
; %bb.1707:
	s_cmp_lt_i32 s2, 8
	s_cbranch_scc1 .LBB368_1717
; %bb.1708:
	s_cmp_lt_i32 s2, 9
	s_cbranch_scc1 .LBB368_1714
; %bb.1709:
	s_cmp_gt_i32 s2, 9
	s_cbranch_scc0 .LBB368_1711
; %bb.1710:
	v_mov_b32_e32 v10, 0
	v_cvt_f64_i32_e32 v[8:9], v2
	v_mov_b32_e32 v11, v10
	global_store_dwordx4 v[4:5], v[8:11], off
	s_mov_b64 s[0:1], 0
.LBB368_1711:
	s_andn2_b64 vcc, exec, s[0:1]
	s_cbranch_vccnz .LBB368_1713
; %bb.1712:
	v_cvt_f32_i32_e32 v8, v2
	v_mov_b32_e32 v9, 0
	global_store_dwordx2 v[4:5], v[8:9], off
.LBB368_1713:
	s_mov_b64 s[0:1], 0
.LBB368_1714:
	s_andn2_b64 vcc, exec, s[0:1]
	s_cbranch_vccnz .LBB368_1716
; %bb.1715:
	v_cvt_f32_i32_e32 v1, v2
	v_cvt_f16_f32_e32 v1, v1
	global_store_dword v[4:5], v1, off
.LBB368_1716:
	s_mov_b64 s[0:1], 0
.LBB368_1717:
	s_andn2_b64 vcc, exec, s[0:1]
	s_cbranch_vccnz .LBB368_1726
; %bb.1718:
	s_cmp_lt_i32 s2, 6
	s_mov_b64 s[0:1], -1
	s_cbranch_scc1 .LBB368_1724
; %bb.1719:
	s_cmp_gt_i32 s2, 6
	s_cbranch_scc0 .LBB368_1721
; %bb.1720:
	v_cvt_f64_i32_e32 v[8:9], v2
	global_store_dwordx2 v[4:5], v[8:9], off
	s_mov_b64 s[0:1], 0
.LBB368_1721:
	s_andn2_b64 vcc, exec, s[0:1]
	s_cbranch_vccnz .LBB368_1723
; %bb.1722:
	v_cvt_f32_i32_e32 v1, v2
	global_store_dword v[4:5], v1, off
.LBB368_1723:
	s_mov_b64 s[0:1], 0
.LBB368_1724:
	s_andn2_b64 vcc, exec, s[0:1]
	s_cbranch_vccnz .LBB368_1726
; %bb.1725:
	v_cvt_f32_i32_e32 v1, v2
	v_cvt_f16_f32_e32 v1, v1
	global_store_short v[4:5], v1, off
.LBB368_1726:
	s_mov_b64 s[0:1], 0
.LBB368_1727:
	s_andn2_b64 vcc, exec, s[0:1]
	s_cbranch_vccnz .LBB368_1743
; %bb.1728:
	s_cmp_lt_i32 s2, 2
	s_mov_b64 s[0:1], -1
	s_cbranch_scc1 .LBB368_1738
; %bb.1729:
	s_cmp_lt_i32 s2, 3
	s_cbranch_scc1 .LBB368_1735
; %bb.1730:
	s_cmp_gt_i32 s2, 3
	s_cbranch_scc0 .LBB368_1732
; %bb.1731:
	v_ashrrev_i32_e32 v3, 31, v2
	global_store_dwordx2 v[4:5], v[2:3], off
	s_mov_b64 s[0:1], 0
.LBB368_1732:
	s_andn2_b64 vcc, exec, s[0:1]
	s_cbranch_vccnz .LBB368_1734
; %bb.1733:
	global_store_dword v[4:5], v2, off
.LBB368_1734:
	s_mov_b64 s[0:1], 0
.LBB368_1735:
	s_andn2_b64 vcc, exec, s[0:1]
	s_cbranch_vccnz .LBB368_1737
; %bb.1736:
	global_store_short v[4:5], v2, off
.LBB368_1737:
	s_mov_b64 s[0:1], 0
.LBB368_1738:
	s_andn2_b64 vcc, exec, s[0:1]
	s_cbranch_vccnz .LBB368_1743
; %bb.1739:
	s_cmp_gt_i32 s2, 0
	s_mov_b64 s[0:1], -1
	s_cbranch_scc0 .LBB368_1741
; %bb.1740:
	global_store_byte v[4:5], v2, off
	s_mov_b64 s[0:1], 0
.LBB368_1741:
	s_andn2_b64 vcc, exec, s[0:1]
	s_cbranch_vccnz .LBB368_1743
; %bb.1742:
	global_store_byte v[4:5], v2, off
.LBB368_1743:
	s_mov_b64 s[6:7], -1
.LBB368_1744:
	s_andn2_b64 vcc, exec, s[6:7]
	s_cbranch_vccnz .LBB368_1940
; %bb.1745:
	v_add_u32_e32 v0, s11, v0
	v_ashrrev_i32_e32 v1, 31, v0
	v_max_i32_e32 v2, s10, v7
	s_cmp_lt_i32 s22, 11
	v_lshl_add_u64 v[4:5], s[4:5], 0, v[0:1]
	s_cbranch_scc1 .LBB368_1823
; %bb.1746:
	s_and_b32 s20, 0xffff, s22
	s_mov_b64 s[8:9], -1
	s_mov_b64 s[2:3], 0
	s_cmp_gt_i32 s20, 25
	s_mov_b64 s[6:7], 0
	s_mov_b64 s[0:1], 0
	s_cbranch_scc0 .LBB368_1779
; %bb.1747:
	s_cmp_gt_i32 s20, 28
	s_cbranch_scc0 .LBB368_1762
; %bb.1748:
	s_cmp_gt_i32 s20, 43
	;; [unrolled: 3-line block ×3, first 2 shown]
	s_cbranch_scc0 .LBB368_1752
; %bb.1750:
	s_mov_b64 s[0:1], -1
	s_mov_b64 s[8:9], 0
	s_cmp_eq_u32 s20, 46
	s_cbranch_scc0 .LBB368_1752
; %bb.1751:
	v_cvt_f32_i32_e32 v1, v2
	s_movk_i32 s6, 0x7fff
	s_mov_b64 s[0:1], 0
	v_bfe_u32 v3, v1, 16, 1
	v_add3_u32 v1, v1, v3, s6
	v_lshrrev_b32_e32 v1, 16, v1
	global_store_dword v[4:5], v1, off
	s_mov_b64 s[6:7], -1
.LBB368_1752:
	s_and_b64 vcc, exec, s[8:9]
	s_cbranch_vccz .LBB368_1757
; %bb.1753:
	s_cmp_eq_u32 s20, 44
	s_mov_b64 s[0:1], -1
	s_cbranch_scc0 .LBB368_1757
; %bb.1754:
	v_cvt_f32_i32_e32 v1, v2
	s_movk_i32 s0, 0xff
	v_mov_b32_e32 v7, 0xff
	v_bfe_u32 v3, v1, 23, 8
	v_cmp_ne_u32_e32 vcc, s0, v3
	s_and_saveexec_b64 s[6:7], vcc
; %bb.1755:
	s_mov_b32 s0, 0x3fffff
	v_lshrrev_b32_e32 v7, 23, v1
	v_and_b32_e32 v8, 0x400000, v1
	v_and_or_b32 v1, v1, s0, v3
	v_cmp_ne_u32_e32 vcc, 0, v8
	v_cmp_ne_u32_e64 s[0:1], 0, v1
	s_and_b64 s[0:1], vcc, s[0:1]
	s_nop 0
	v_cndmask_b32_e64 v1, 0, 1, s[0:1]
	v_add_u32_e32 v7, v7, v1
; %bb.1756:
	s_or_b64 exec, exec, s[6:7]
	s_mov_b64 s[0:1], 0
	s_mov_b64 s[6:7], -1
	global_store_byte v[4:5], v7, off
.LBB368_1757:
	s_mov_b64 s[8:9], 0
.LBB368_1758:
	s_and_b64 vcc, exec, s[8:9]
	s_cbranch_vccz .LBB368_1761
; %bb.1759:
	s_cmp_eq_u32 s20, 29
	s_mov_b64 s[0:1], -1
	s_cbranch_scc0 .LBB368_1761
; %bb.1760:
	v_ashrrev_i32_e32 v3, 31, v2
	global_store_dwordx2 v[4:5], v[2:3], off
	s_mov_b64 s[0:1], 0
	s_mov_b64 s[6:7], -1
.LBB368_1761:
	s_mov_b64 s[8:9], 0
.LBB368_1762:
	s_and_b64 vcc, exec, s[8:9]
	s_cbranch_vccz .LBB368_1778
; %bb.1763:
	s_cmp_lt_i32 s20, 27
	s_mov_b64 s[6:7], -1
	s_cbranch_scc1 .LBB368_1769
; %bb.1764:
	s_cmp_gt_i32 s20, 27
	s_cbranch_scc0 .LBB368_1766
; %bb.1765:
	s_mov_b64 s[6:7], 0
	global_store_dword v[4:5], v2, off
.LBB368_1766:
	s_andn2_b64 vcc, exec, s[6:7]
	s_cbranch_vccnz .LBB368_1768
; %bb.1767:
	global_store_short v[4:5], v2, off
.LBB368_1768:
	s_mov_b64 s[6:7], 0
.LBB368_1769:
	s_andn2_b64 vcc, exec, s[6:7]
	s_cbranch_vccnz .LBB368_1777
; %bb.1770:
	v_cvt_f32_i32_e32 v1, v2
	s_mov_b32 s6, 0x43800000
	v_mov_b32_e32 v7, 0x80
	v_and_b32_e32 v3, 0x7fffffff, v1
	v_cmp_gt_u32_e32 vcc, s6, v3
	s_and_saveexec_b64 s[6:7], vcc
	s_cbranch_execz .LBB368_1776
; %bb.1771:
	s_mov_b32 s8, 0x3bffffff
	v_cmp_lt_u32_e32 vcc, s8, v3
	s_mov_b64 s[8:9], 0
                                        ; implicit-def: $vgpr3
	s_and_saveexec_b64 s[18:19], vcc
	s_xor_b64 s[18:19], exec, s[18:19]
	s_cbranch_execz .LBB368_1997
; %bb.1772:
	v_bfe_u32 v3, v1, 20, 1
	s_mov_b32 s21, 0x487ffff
	v_add3_u32 v3, v1, v3, s21
	s_mov_b64 s[8:9], exec
	v_lshrrev_b32_e32 v3, 20, v3
	s_andn2_saveexec_b64 s[18:19], s[18:19]
	s_cbranch_execnz .LBB368_1998
.LBB368_1773:
	s_or_b64 exec, exec, s[18:19]
	v_mov_b32_e32 v7, 0
	s_and_saveexec_b64 s[18:19], s[8:9]
.LBB368_1774:
	v_lshrrev_b32_e32 v1, 24, v1
	s_movk_i32 s8, 0x80
	v_and_or_b32 v7, v1, s8, v3
.LBB368_1775:
	s_or_b64 exec, exec, s[18:19]
.LBB368_1776:
	s_or_b64 exec, exec, s[6:7]
	global_store_byte v[4:5], v7, off
.LBB368_1777:
	s_mov_b64 s[6:7], -1
.LBB368_1778:
	s_mov_b64 s[8:9], 0
.LBB368_1779:
	s_and_b64 vcc, exec, s[8:9]
	s_cbranch_vccz .LBB368_1819
; %bb.1780:
	s_cmp_gt_i32 s20, 22
	s_mov_b64 s[2:3], -1
	s_cbranch_scc0 .LBB368_1812
; %bb.1781:
	s_cmp_lt_i32 s20, 24
	s_cbranch_scc1 .LBB368_1801
; %bb.1782:
	s_cmp_gt_i32 s20, 24
	s_cbranch_scc0 .LBB368_1790
; %bb.1783:
	v_cvt_f32_i32_e32 v1, v2
	s_mov_b32 s2, 0x47800000
	v_mov_b32_e32 v7, 0x80
	v_and_b32_e32 v3, 0x7fffffff, v1
	v_cmp_gt_u32_e32 vcc, s2, v3
	s_and_saveexec_b64 s[2:3], vcc
	s_cbranch_execz .LBB368_1789
; %bb.1784:
	s_mov_b32 s6, 0x37ffffff
	v_cmp_lt_u32_e32 vcc, s6, v3
	s_mov_b64 s[6:7], 0
                                        ; implicit-def: $vgpr3
	s_and_saveexec_b64 s[8:9], vcc
	s_xor_b64 s[8:9], exec, s[8:9]
	s_cbranch_execz .LBB368_2000
; %bb.1785:
	v_bfe_u32 v3, v1, 21, 1
	s_mov_b32 s18, 0x88fffff
	v_add3_u32 v3, v1, v3, s18
	s_mov_b64 s[6:7], exec
	v_lshrrev_b32_e32 v3, 21, v3
	s_andn2_saveexec_b64 s[8:9], s[8:9]
	s_cbranch_execnz .LBB368_2001
.LBB368_1786:
	s_or_b64 exec, exec, s[8:9]
	v_mov_b32_e32 v7, 0
	s_and_saveexec_b64 s[8:9], s[6:7]
.LBB368_1787:
	v_lshrrev_b32_e32 v1, 24, v1
	s_movk_i32 s6, 0x80
	v_and_or_b32 v7, v1, s6, v3
.LBB368_1788:
	s_or_b64 exec, exec, s[8:9]
.LBB368_1789:
	s_or_b64 exec, exec, s[2:3]
	s_mov_b64 s[2:3], 0
	global_store_byte v[4:5], v7, off
.LBB368_1790:
	s_and_b64 vcc, exec, s[2:3]
	s_cbranch_vccz .LBB368_1800
; %bb.1791:
	v_cvt_f32_i32_e32 v1, v2
	s_mov_b32 s2, 0x43f00000
                                        ; implicit-def: $vgpr3
	v_and_b32_e32 v7, 0x7fffffff, v1
	v_cmp_gt_u32_e32 vcc, s2, v7
	s_and_saveexec_b64 s[2:3], vcc
	s_xor_b64 s[2:3], exec, s[2:3]
	s_cbranch_execz .LBB368_1797
; %bb.1792:
	s_mov_b32 s6, 0x3c7fffff
	v_cmp_lt_u32_e32 vcc, s6, v7
                                        ; implicit-def: $vgpr3
	s_and_saveexec_b64 s[6:7], vcc
	s_xor_b64 s[6:7], exec, s[6:7]
; %bb.1793:
	v_bfe_u32 v3, v1, 20, 1
	s_mov_b32 s8, 0x407ffff
	v_add3_u32 v3, v1, v3, s8
	v_lshrrev_b32_e32 v7, 20, v3
	v_and_b32_e32 v3, 0xff00000, v3
	s_mov_b32 s8, 0x7f00000
	v_mov_b32_e32 v8, 0x7e
	v_cmp_ne_u32_e32 vcc, s8, v3
	s_nop 1
	v_cndmask_b32_e32 v3, v8, v7, vcc
; %bb.1794:
	s_andn2_saveexec_b64 s[6:7], s[6:7]
; %bb.1795:
	s_mov_b32 s8, 0x46800000
	v_add_f32_e64 v3, |v1|, s8
; %bb.1796:
	s_or_b64 exec, exec, s[6:7]
                                        ; implicit-def: $vgpr7
.LBB368_1797:
	s_andn2_saveexec_b64 s[2:3], s[2:3]
; %bb.1798:
	s_mov_b32 s6, 0x7f800000
	v_mov_b32_e32 v3, 0x7e
	v_mov_b32_e32 v8, 0x7f
	v_cmp_lt_u32_e32 vcc, s6, v7
	s_nop 1
	v_cndmask_b32_e32 v3, v3, v8, vcc
; %bb.1799:
	s_or_b64 exec, exec, s[2:3]
	v_lshrrev_b32_e32 v1, 24, v1
	s_movk_i32 s2, 0x80
	v_and_or_b32 v1, v1, s2, v3
	global_store_byte v[4:5], v1, off
.LBB368_1800:
	s_mov_b64 s[2:3], 0
.LBB368_1801:
	s_andn2_b64 vcc, exec, s[2:3]
	s_cbranch_vccnz .LBB368_1811
; %bb.1802:
	v_cvt_f32_i32_e32 v1, v2
	s_mov_b32 s2, 0x47800000
                                        ; implicit-def: $vgpr3
	v_and_b32_e32 v7, 0x7fffffff, v1
	v_cmp_gt_u32_e32 vcc, s2, v7
	s_and_saveexec_b64 s[2:3], vcc
	s_xor_b64 s[2:3], exec, s[2:3]
	s_cbranch_execz .LBB368_1808
; %bb.1803:
	s_mov_b32 s6, 0x387fffff
	v_cmp_lt_u32_e32 vcc, s6, v7
                                        ; implicit-def: $vgpr3
	s_and_saveexec_b64 s[6:7], vcc
	s_xor_b64 s[6:7], exec, s[6:7]
; %bb.1804:
	v_bfe_u32 v3, v1, 21, 1
	s_mov_b32 s8, 0x80fffff
	v_add3_u32 v3, v1, v3, s8
	v_lshrrev_b32_e32 v3, 21, v3
; %bb.1805:
	s_andn2_saveexec_b64 s[6:7], s[6:7]
; %bb.1806:
	s_mov_b32 s8, 0x43000000
	v_add_f32_e64 v3, |v1|, s8
; %bb.1807:
	s_or_b64 exec, exec, s[6:7]
                                        ; implicit-def: $vgpr7
.LBB368_1808:
	s_andn2_saveexec_b64 s[2:3], s[2:3]
; %bb.1809:
	s_mov_b32 s6, 0x7f800000
	v_mov_b32_e32 v3, 0x7c
	v_mov_b32_e32 v8, 0x7f
	v_cmp_lt_u32_e32 vcc, s6, v7
	s_nop 1
	v_cndmask_b32_e32 v3, v3, v8, vcc
; %bb.1810:
	s_or_b64 exec, exec, s[2:3]
	v_lshrrev_b32_e32 v1, 24, v1
	s_movk_i32 s2, 0x80
	v_and_or_b32 v1, v1, s2, v3
	global_store_byte v[4:5], v1, off
.LBB368_1811:
	s_mov_b64 s[2:3], 0
	s_mov_b64 s[6:7], -1
.LBB368_1812:
	s_andn2_b64 vcc, exec, s[2:3]
	s_mov_b64 s[2:3], 0
	s_cbranch_vccnz .LBB368_1819
; %bb.1813:
	s_cmp_gt_i32 s20, 14
	s_mov_b64 s[8:9], -1
	s_cbranch_scc0 .LBB368_1817
; %bb.1814:
	s_cmp_eq_u32 s20, 15
	s_mov_b64 s[0:1], -1
	s_cbranch_scc0 .LBB368_1816
; %bb.1815:
	v_cvt_f32_i32_e32 v1, v2
	s_movk_i32 s2, 0x7fff
	s_mov_b64 s[0:1], 0
	s_mov_b64 s[6:7], -1
	v_bfe_u32 v3, v1, 16, 1
	v_add3_u32 v1, v1, v3, s2
	global_store_short_d16_hi v[4:5], v1, off
.LBB368_1816:
	s_mov_b64 s[8:9], 0
.LBB368_1817:
	s_mov_b64 s[2:3], 0
	s_and_b64 vcc, exec, s[8:9]
	s_cbranch_vccz .LBB368_1819
; %bb.1818:
	s_cmp_lg_u32 s20, 11
	s_mov_b64 s[2:3], -1
	s_cselect_b64 s[0:1], -1, 0
.LBB368_1819:
	s_and_b64 vcc, exec, s[0:1]
	s_cbranch_vccnz .LBB368_1999
; %bb.1820:
	s_andn2_b64 vcc, exec, s[2:3]
	s_cbranch_vccnz .LBB368_1822
.LBB368_1821:
	v_cmp_ne_u32_e32 vcc, 0, v2
	s_mov_b64 s[6:7], -1
	s_nop 0
	v_cndmask_b32_e64 v1, 0, 1, vcc
	global_store_byte v[4:5], v1, off
.LBB368_1822:
	s_mov_b64 s[0:1], 0
	s_branch .LBB368_1824
.LBB368_1823:
	s_mov_b64 s[0:1], -1
	s_mov_b64 s[6:7], 0
.LBB368_1824:
	s_and_b64 vcc, exec, s[0:1]
	s_cbranch_vccz .LBB368_1863
; %bb.1825:
	s_and_b32 s2, 0xffff, s22
	s_cmp_lt_i32 s2, 5
	s_mov_b64 s[0:1], -1
	s_cbranch_scc1 .LBB368_1846
; %bb.1826:
	s_cmp_lt_i32 s2, 8
	s_cbranch_scc1 .LBB368_1836
; %bb.1827:
	s_cmp_lt_i32 s2, 9
	s_cbranch_scc1 .LBB368_1833
; %bb.1828:
	s_cmp_gt_i32 s2, 9
	s_cbranch_scc0 .LBB368_1830
; %bb.1829:
	v_mov_b32_e32 v10, 0
	v_cvt_f64_i32_e32 v[8:9], v2
	v_mov_b32_e32 v11, v10
	global_store_dwordx4 v[4:5], v[8:11], off
	s_mov_b64 s[0:1], 0
.LBB368_1830:
	s_andn2_b64 vcc, exec, s[0:1]
	s_cbranch_vccnz .LBB368_1832
; %bb.1831:
	v_cvt_f32_i32_e32 v8, v2
	v_mov_b32_e32 v9, 0
	global_store_dwordx2 v[4:5], v[8:9], off
.LBB368_1832:
	s_mov_b64 s[0:1], 0
.LBB368_1833:
	s_andn2_b64 vcc, exec, s[0:1]
	s_cbranch_vccnz .LBB368_1835
; %bb.1834:
	v_cvt_f32_i32_e32 v1, v2
	v_cvt_f16_f32_e32 v1, v1
	global_store_dword v[4:5], v1, off
.LBB368_1835:
	s_mov_b64 s[0:1], 0
.LBB368_1836:
	s_andn2_b64 vcc, exec, s[0:1]
	s_cbranch_vccnz .LBB368_1845
; %bb.1837:
	s_cmp_lt_i32 s2, 6
	s_mov_b64 s[0:1], -1
	s_cbranch_scc1 .LBB368_1843
; %bb.1838:
	s_cmp_gt_i32 s2, 6
	s_cbranch_scc0 .LBB368_1840
; %bb.1839:
	v_cvt_f64_i32_e32 v[8:9], v2
	global_store_dwordx2 v[4:5], v[8:9], off
	s_mov_b64 s[0:1], 0
.LBB368_1840:
	s_andn2_b64 vcc, exec, s[0:1]
	s_cbranch_vccnz .LBB368_1842
; %bb.1841:
	v_cvt_f32_i32_e32 v1, v2
	global_store_dword v[4:5], v1, off
.LBB368_1842:
	s_mov_b64 s[0:1], 0
.LBB368_1843:
	s_andn2_b64 vcc, exec, s[0:1]
	s_cbranch_vccnz .LBB368_1845
; %bb.1844:
	v_cvt_f32_i32_e32 v1, v2
	v_cvt_f16_f32_e32 v1, v1
	global_store_short v[4:5], v1, off
.LBB368_1845:
	s_mov_b64 s[0:1], 0
.LBB368_1846:
	s_andn2_b64 vcc, exec, s[0:1]
	s_cbranch_vccnz .LBB368_1862
; %bb.1847:
	s_cmp_lt_i32 s2, 2
	s_mov_b64 s[0:1], -1
	s_cbranch_scc1 .LBB368_1857
; %bb.1848:
	s_cmp_lt_i32 s2, 3
	s_cbranch_scc1 .LBB368_1854
; %bb.1849:
	s_cmp_gt_i32 s2, 3
	s_cbranch_scc0 .LBB368_1851
; %bb.1850:
	v_ashrrev_i32_e32 v3, 31, v2
	global_store_dwordx2 v[4:5], v[2:3], off
	s_mov_b64 s[0:1], 0
.LBB368_1851:
	s_andn2_b64 vcc, exec, s[0:1]
	s_cbranch_vccnz .LBB368_1853
; %bb.1852:
	global_store_dword v[4:5], v2, off
.LBB368_1853:
	s_mov_b64 s[0:1], 0
.LBB368_1854:
	s_andn2_b64 vcc, exec, s[0:1]
	s_cbranch_vccnz .LBB368_1856
; %bb.1855:
	global_store_short v[4:5], v2, off
.LBB368_1856:
	s_mov_b64 s[0:1], 0
.LBB368_1857:
	s_andn2_b64 vcc, exec, s[0:1]
	s_cbranch_vccnz .LBB368_1862
; %bb.1858:
	s_cmp_gt_i32 s2, 0
	s_mov_b64 s[0:1], -1
	s_cbranch_scc0 .LBB368_1860
; %bb.1859:
	global_store_byte v[4:5], v2, off
	s_mov_b64 s[0:1], 0
.LBB368_1860:
	s_andn2_b64 vcc, exec, s[0:1]
	s_cbranch_vccnz .LBB368_1862
; %bb.1861:
	global_store_byte v[4:5], v2, off
.LBB368_1862:
	s_mov_b64 s[6:7], -1
.LBB368_1863:
	s_andn2_b64 vcc, exec, s[6:7]
	s_cbranch_vccnz .LBB368_1940
; %bb.1864:
	v_add_u32_e32 v0, s11, v0
	v_ashrrev_i32_e32 v1, 31, v0
	v_max_i32_e32 v2, s10, v6
	s_cmp_lt_i32 s22, 11
	v_lshl_add_u64 v[0:1], s[4:5], 0, v[0:1]
	s_cbranch_scc1 .LBB368_1985
; %bb.1865:
	s_and_b32 s10, 0xffff, s22
	s_mov_b64 s[4:5], -1
	s_mov_b64 s[2:3], 0
	s_cmp_gt_i32 s10, 25
	s_mov_b64 s[0:1], 0
	s_cbranch_scc0 .LBB368_1898
; %bb.1866:
	s_cmp_gt_i32 s10, 28
	s_cbranch_scc0 .LBB368_1882
; %bb.1867:
	s_cmp_gt_i32 s10, 43
	;; [unrolled: 3-line block ×3, first 2 shown]
	s_cbranch_scc0 .LBB368_1872
; %bb.1869:
	s_cmp_eq_u32 s10, 46
	s_mov_b64 s[0:1], -1
	s_cbranch_scc0 .LBB368_1871
; %bb.1870:
	v_cvt_f32_i32_e32 v3, v2
	s_movk_i32 s0, 0x7fff
	v_bfe_u32 v4, v3, 16, 1
	v_add3_u32 v3, v3, v4, s0
	v_lshrrev_b32_e32 v3, 16, v3
	global_store_dword v[0:1], v3, off
	s_mov_b64 s[0:1], 0
.LBB368_1871:
	s_mov_b64 s[4:5], 0
.LBB368_1872:
	s_and_b64 vcc, exec, s[4:5]
	s_cbranch_vccz .LBB368_1877
; %bb.1873:
	s_cmp_eq_u32 s10, 44
	s_mov_b64 s[0:1], -1
	s_cbranch_scc0 .LBB368_1877
; %bb.1874:
	v_cvt_f32_i32_e32 v3, v2
	s_movk_i32 s0, 0xff
	v_mov_b32_e32 v5, 0xff
	v_bfe_u32 v4, v3, 23, 8
	v_cmp_ne_u32_e32 vcc, s0, v4
	s_and_saveexec_b64 s[4:5], vcc
; %bb.1875:
	s_mov_b32 s0, 0x3fffff
	v_lshrrev_b32_e32 v5, 23, v3
	v_and_b32_e32 v6, 0x400000, v3
	v_and_or_b32 v3, v3, s0, v4
	v_cmp_ne_u32_e32 vcc, 0, v6
	v_cmp_ne_u32_e64 s[0:1], 0, v3
	s_and_b64 s[0:1], vcc, s[0:1]
	s_nop 0
	v_cndmask_b32_e64 v3, 0, 1, s[0:1]
	v_add_u32_e32 v5, v5, v3
; %bb.1876:
	s_or_b64 exec, exec, s[4:5]
	s_mov_b64 s[0:1], 0
	global_store_byte v[0:1], v5, off
.LBB368_1877:
	s_mov_b64 s[4:5], 0
.LBB368_1878:
	s_and_b64 vcc, exec, s[4:5]
	s_cbranch_vccz .LBB368_1881
; %bb.1879:
	s_cmp_eq_u32 s10, 29
	s_mov_b64 s[0:1], -1
	s_cbranch_scc0 .LBB368_1881
; %bb.1880:
	v_ashrrev_i32_e32 v3, 31, v2
	global_store_dwordx2 v[0:1], v[2:3], off
	s_mov_b64 s[0:1], 0
.LBB368_1881:
	s_mov_b64 s[4:5], 0
.LBB368_1882:
	s_and_b64 vcc, exec, s[4:5]
	s_cbranch_vccz .LBB368_1897
; %bb.1883:
	s_cmp_lt_i32 s10, 27
	s_mov_b64 s[4:5], -1
	s_cbranch_scc1 .LBB368_1889
; %bb.1884:
	s_cmp_gt_i32 s10, 27
	s_cbranch_scc0 .LBB368_1886
; %bb.1885:
	global_store_dword v[0:1], v2, off
	s_mov_b64 s[4:5], 0
.LBB368_1886:
	s_andn2_b64 vcc, exec, s[4:5]
	s_cbranch_vccnz .LBB368_1888
; %bb.1887:
	global_store_short v[0:1], v2, off
.LBB368_1888:
	s_mov_b64 s[4:5], 0
.LBB368_1889:
	s_andn2_b64 vcc, exec, s[4:5]
	s_cbranch_vccnz .LBB368_1897
; %bb.1890:
	v_cvt_f32_i32_e32 v3, v2
	s_mov_b32 s4, 0x43800000
	v_mov_b32_e32 v5, 0x80
	v_and_b32_e32 v4, 0x7fffffff, v3
	v_cmp_gt_u32_e32 vcc, s4, v4
	s_and_saveexec_b64 s[4:5], vcc
	s_cbranch_execz .LBB368_1896
; %bb.1891:
	s_mov_b32 s6, 0x3bffffff
	v_cmp_lt_u32_e32 vcc, s6, v4
	s_mov_b64 s[6:7], 0
                                        ; implicit-def: $vgpr4
	s_and_saveexec_b64 s[8:9], vcc
	s_xor_b64 s[8:9], exec, s[8:9]
	s_cbranch_execz .LBB368_2002
; %bb.1892:
	v_bfe_u32 v4, v3, 20, 1
	s_mov_b32 s11, 0x487ffff
	v_add3_u32 v4, v3, v4, s11
	s_mov_b64 s[6:7], exec
	v_lshrrev_b32_e32 v4, 20, v4
	s_andn2_saveexec_b64 s[8:9], s[8:9]
	s_cbranch_execnz .LBB368_2003
.LBB368_1893:
	s_or_b64 exec, exec, s[8:9]
	v_mov_b32_e32 v5, 0
	s_and_saveexec_b64 s[8:9], s[6:7]
.LBB368_1894:
	v_lshrrev_b32_e32 v3, 24, v3
	s_movk_i32 s6, 0x80
	v_and_or_b32 v5, v3, s6, v4
.LBB368_1895:
	s_or_b64 exec, exec, s[8:9]
.LBB368_1896:
	s_or_b64 exec, exec, s[4:5]
	global_store_byte v[0:1], v5, off
.LBB368_1897:
	s_mov_b64 s[4:5], 0
.LBB368_1898:
	s_and_b64 vcc, exec, s[4:5]
	s_cbranch_vccz .LBB368_1938
; %bb.1899:
	s_cmp_gt_i32 s10, 22
	s_mov_b64 s[2:3], -1
	s_cbranch_scc0 .LBB368_1931
; %bb.1900:
	s_cmp_lt_i32 s10, 24
	s_cbranch_scc1 .LBB368_1920
; %bb.1901:
	s_cmp_gt_i32 s10, 24
	s_cbranch_scc0 .LBB368_1909
; %bb.1902:
	v_cvt_f32_i32_e32 v3, v2
	s_mov_b32 s2, 0x47800000
	v_mov_b32_e32 v5, 0x80
	v_and_b32_e32 v4, 0x7fffffff, v3
	v_cmp_gt_u32_e32 vcc, s2, v4
	s_and_saveexec_b64 s[2:3], vcc
	s_cbranch_execz .LBB368_1908
; %bb.1903:
	s_mov_b32 s4, 0x37ffffff
	v_cmp_lt_u32_e32 vcc, s4, v4
	s_mov_b64 s[4:5], 0
                                        ; implicit-def: $vgpr4
	s_and_saveexec_b64 s[6:7], vcc
	s_xor_b64 s[6:7], exec, s[6:7]
	s_cbranch_execz .LBB368_2005
; %bb.1904:
	v_bfe_u32 v4, v3, 21, 1
	s_mov_b32 s8, 0x88fffff
	v_add3_u32 v4, v3, v4, s8
	s_mov_b64 s[4:5], exec
	v_lshrrev_b32_e32 v4, 21, v4
	s_andn2_saveexec_b64 s[6:7], s[6:7]
	s_cbranch_execnz .LBB368_2006
.LBB368_1905:
	s_or_b64 exec, exec, s[6:7]
	v_mov_b32_e32 v5, 0
	s_and_saveexec_b64 s[6:7], s[4:5]
.LBB368_1906:
	v_lshrrev_b32_e32 v3, 24, v3
	s_movk_i32 s4, 0x80
	v_and_or_b32 v5, v3, s4, v4
.LBB368_1907:
	s_or_b64 exec, exec, s[6:7]
.LBB368_1908:
	s_or_b64 exec, exec, s[2:3]
	s_mov_b64 s[2:3], 0
	global_store_byte v[0:1], v5, off
.LBB368_1909:
	s_and_b64 vcc, exec, s[2:3]
	s_cbranch_vccz .LBB368_1919
; %bb.1910:
	v_cvt_f32_i32_e32 v3, v2
	s_mov_b32 s2, 0x43f00000
                                        ; implicit-def: $vgpr4
	v_and_b32_e32 v5, 0x7fffffff, v3
	v_cmp_gt_u32_e32 vcc, s2, v5
	s_and_saveexec_b64 s[2:3], vcc
	s_xor_b64 s[2:3], exec, s[2:3]
	s_cbranch_execz .LBB368_1916
; %bb.1911:
	s_mov_b32 s4, 0x3c7fffff
	v_cmp_lt_u32_e32 vcc, s4, v5
                                        ; implicit-def: $vgpr4
	s_and_saveexec_b64 s[4:5], vcc
	s_xor_b64 s[4:5], exec, s[4:5]
; %bb.1912:
	v_bfe_u32 v4, v3, 20, 1
	s_mov_b32 s6, 0x407ffff
	v_add3_u32 v4, v3, v4, s6
	v_lshrrev_b32_e32 v5, 20, v4
	v_and_b32_e32 v4, 0xff00000, v4
	s_mov_b32 s6, 0x7f00000
	v_mov_b32_e32 v6, 0x7e
	v_cmp_ne_u32_e32 vcc, s6, v4
	s_nop 1
	v_cndmask_b32_e32 v4, v6, v5, vcc
; %bb.1913:
	s_andn2_saveexec_b64 s[4:5], s[4:5]
; %bb.1914:
	s_mov_b32 s6, 0x46800000
	v_add_f32_e64 v4, |v3|, s6
; %bb.1915:
	s_or_b64 exec, exec, s[4:5]
                                        ; implicit-def: $vgpr5
.LBB368_1916:
	s_andn2_saveexec_b64 s[2:3], s[2:3]
; %bb.1917:
	s_mov_b32 s4, 0x7f800000
	v_mov_b32_e32 v4, 0x7e
	v_mov_b32_e32 v6, 0x7f
	v_cmp_lt_u32_e32 vcc, s4, v5
	s_nop 1
	v_cndmask_b32_e32 v4, v4, v6, vcc
; %bb.1918:
	s_or_b64 exec, exec, s[2:3]
	v_lshrrev_b32_e32 v3, 24, v3
	s_movk_i32 s2, 0x80
	v_and_or_b32 v3, v3, s2, v4
	global_store_byte v[0:1], v3, off
.LBB368_1919:
	s_mov_b64 s[2:3], 0
.LBB368_1920:
	s_andn2_b64 vcc, exec, s[2:3]
	s_cbranch_vccnz .LBB368_1930
; %bb.1921:
	v_cvt_f32_i32_e32 v3, v2
	s_mov_b32 s2, 0x47800000
                                        ; implicit-def: $vgpr4
	v_and_b32_e32 v5, 0x7fffffff, v3
	v_cmp_gt_u32_e32 vcc, s2, v5
	s_and_saveexec_b64 s[2:3], vcc
	s_xor_b64 s[2:3], exec, s[2:3]
	s_cbranch_execz .LBB368_1927
; %bb.1922:
	s_mov_b32 s4, 0x387fffff
	v_cmp_lt_u32_e32 vcc, s4, v5
                                        ; implicit-def: $vgpr4
	s_and_saveexec_b64 s[4:5], vcc
	s_xor_b64 s[4:5], exec, s[4:5]
; %bb.1923:
	v_bfe_u32 v4, v3, 21, 1
	s_mov_b32 s6, 0x80fffff
	v_add3_u32 v4, v3, v4, s6
	v_lshrrev_b32_e32 v4, 21, v4
; %bb.1924:
	s_andn2_saveexec_b64 s[4:5], s[4:5]
; %bb.1925:
	s_mov_b32 s6, 0x43000000
	v_add_f32_e64 v4, |v3|, s6
; %bb.1926:
	s_or_b64 exec, exec, s[4:5]
                                        ; implicit-def: $vgpr5
.LBB368_1927:
	s_andn2_saveexec_b64 s[2:3], s[2:3]
; %bb.1928:
	s_mov_b32 s4, 0x7f800000
	v_mov_b32_e32 v4, 0x7c
	v_mov_b32_e32 v6, 0x7f
	v_cmp_lt_u32_e32 vcc, s4, v5
	s_nop 1
	v_cndmask_b32_e32 v4, v4, v6, vcc
; %bb.1929:
	s_or_b64 exec, exec, s[2:3]
	v_lshrrev_b32_e32 v3, 24, v3
	s_movk_i32 s2, 0x80
	v_and_or_b32 v3, v3, s2, v4
	global_store_byte v[0:1], v3, off
.LBB368_1930:
	s_mov_b64 s[2:3], 0
.LBB368_1931:
	s_andn2_b64 vcc, exec, s[2:3]
	s_mov_b64 s[2:3], 0
	s_cbranch_vccnz .LBB368_1938
; %bb.1932:
	s_cmp_gt_i32 s10, 14
	s_mov_b64 s[4:5], -1
	s_cbranch_scc0 .LBB368_1936
; %bb.1933:
	s_cmp_eq_u32 s10, 15
	s_mov_b64 s[0:1], -1
	s_cbranch_scc0 .LBB368_1935
; %bb.1934:
	v_cvt_f32_i32_e32 v3, v2
	s_movk_i32 s0, 0x7fff
	v_bfe_u32 v4, v3, 16, 1
	v_add3_u32 v3, v3, v4, s0
	global_store_short_d16_hi v[0:1], v3, off
	s_mov_b64 s[0:1], 0
.LBB368_1935:
	s_mov_b64 s[4:5], 0
.LBB368_1936:
	s_and_b64 vcc, exec, s[4:5]
	s_cbranch_vccz .LBB368_1938
; %bb.1937:
	s_cmp_lg_u32 s10, 11
	s_mov_b64 s[2:3], -1
	s_cselect_b64 s[0:1], -1, 0
.LBB368_1938:
	s_and_b64 vcc, exec, s[0:1]
	s_cbranch_vccnz .LBB368_2004
.LBB368_1939:
	s_mov_b64 s[0:1], 0
	s_branch .LBB368_1941
.LBB368_1940:
	s_mov_b64 s[0:1], 0
	s_mov_b64 s[2:3], 0
                                        ; implicit-def: $sgpr22
                                        ; implicit-def: $vgpr0_vgpr1
                                        ; implicit-def: $vgpr2
.LBB368_1941:
	s_andn2_b64 s[4:5], s[14:15], exec
	s_and_b64 s[6:7], s[16:17], exec
	s_and_b64 s[0:1], s[0:1], exec
	;; [unrolled: 1-line block ×3, first 2 shown]
	s_or_b64 s[14:15], s[4:5], s[6:7]
.LBB368_1942:
	s_or_b64 exec, exec, s[12:13]
	s_and_saveexec_b64 s[4:5], s[14:15]
	s_cbranch_execz .LBB368_1945
; %bb.1943:
	; divergent unreachable
	s_or_b64 exec, exec, s[4:5]
	s_and_saveexec_b64 s[4:5], s[2:3]
	s_xor_b64 s[2:3], exec, s[4:5]
	s_cbranch_execnz .LBB368_1946
.LBB368_1944:
	s_or_b64 exec, exec, s[2:3]
	s_and_saveexec_b64 s[2:3], s[0:1]
	s_cbranch_execnz .LBB368_1947
	s_branch .LBB368_1984
.LBB368_1945:
	s_or_b64 exec, exec, s[4:5]
	s_and_saveexec_b64 s[4:5], s[2:3]
	s_xor_b64 s[2:3], exec, s[4:5]
	s_cbranch_execz .LBB368_1944
.LBB368_1946:
	s_waitcnt vmcnt(0)
	v_cmp_ne_u32_e32 vcc, 0, v2
	s_nop 1
	v_cndmask_b32_e64 v3, 0, 1, vcc
	global_store_byte v[0:1], v3, off
	s_or_b64 exec, exec, s[2:3]
	s_and_saveexec_b64 s[2:3], s[0:1]
	s_cbranch_execz .LBB368_1984
.LBB368_1947:
	s_sext_i32_i16 s2, s22
	s_cmp_lt_i32 s2, 5
	s_mov_b64 s[0:1], -1
	s_cbranch_scc1 .LBB368_1968
; %bb.1948:
	s_cmp_lt_i32 s2, 8
	s_cbranch_scc1 .LBB368_1958
; %bb.1949:
	s_cmp_lt_i32 s2, 9
	s_cbranch_scc1 .LBB368_1955
; %bb.1950:
	s_cmp_gt_i32 s2, 9
	s_cbranch_scc0 .LBB368_1952
; %bb.1951:
	s_waitcnt vmcnt(0)
	v_mov_b32_e32 v6, 0
	v_cvt_f64_i32_e32 v[4:5], v2
	v_mov_b32_e32 v7, v6
	global_store_dwordx4 v[0:1], v[4:7], off
	s_mov_b64 s[0:1], 0
.LBB368_1952:
	s_andn2_b64 vcc, exec, s[0:1]
	s_cbranch_vccnz .LBB368_1954
; %bb.1953:
	s_waitcnt vmcnt(0)
	v_cvt_f32_i32_e32 v4, v2
	v_mov_b32_e32 v5, 0
	global_store_dwordx2 v[0:1], v[4:5], off
.LBB368_1954:
	s_mov_b64 s[0:1], 0
.LBB368_1955:
	s_andn2_b64 vcc, exec, s[0:1]
	s_cbranch_vccnz .LBB368_1957
; %bb.1956:
	s_waitcnt vmcnt(0)
	v_cvt_f32_i32_e32 v3, v2
	v_cvt_f16_f32_e32 v3, v3
	global_store_dword v[0:1], v3, off
.LBB368_1957:
	s_mov_b64 s[0:1], 0
.LBB368_1958:
	s_andn2_b64 vcc, exec, s[0:1]
	s_cbranch_vccnz .LBB368_1967
; %bb.1959:
	s_sext_i32_i16 s2, s22
	s_cmp_lt_i32 s2, 6
	s_mov_b64 s[0:1], -1
	s_cbranch_scc1 .LBB368_1965
; %bb.1960:
	s_cmp_gt_i32 s2, 6
	s_cbranch_scc0 .LBB368_1962
; %bb.1961:
	s_waitcnt vmcnt(0)
	v_cvt_f64_i32_e32 v[4:5], v2
	global_store_dwordx2 v[0:1], v[4:5], off
	s_mov_b64 s[0:1], 0
.LBB368_1962:
	s_andn2_b64 vcc, exec, s[0:1]
	s_cbranch_vccnz .LBB368_1964
; %bb.1963:
	s_waitcnt vmcnt(0)
	v_cvt_f32_i32_e32 v3, v2
	global_store_dword v[0:1], v3, off
.LBB368_1964:
	s_mov_b64 s[0:1], 0
.LBB368_1965:
	s_andn2_b64 vcc, exec, s[0:1]
	s_cbranch_vccnz .LBB368_1967
; %bb.1966:
	s_waitcnt vmcnt(0)
	v_cvt_f32_i32_e32 v3, v2
	v_cvt_f16_f32_e32 v3, v3
	global_store_short v[0:1], v3, off
.LBB368_1967:
	s_mov_b64 s[0:1], 0
.LBB368_1968:
	s_andn2_b64 vcc, exec, s[0:1]
	s_cbranch_vccnz .LBB368_1984
; %bb.1969:
	s_sext_i32_i16 s2, s22
	s_cmp_lt_i32 s2, 2
	s_mov_b64 s[0:1], -1
	s_cbranch_scc1 .LBB368_1979
; %bb.1970:
	s_cmp_lt_i32 s2, 3
	s_cbranch_scc1 .LBB368_1976
; %bb.1971:
	s_cmp_gt_i32 s2, 3
	s_cbranch_scc0 .LBB368_1973
; %bb.1972:
	s_waitcnt vmcnt(0)
	v_ashrrev_i32_e32 v3, 31, v2
	global_store_dwordx2 v[0:1], v[2:3], off
	s_mov_b64 s[0:1], 0
.LBB368_1973:
	s_andn2_b64 vcc, exec, s[0:1]
	s_cbranch_vccnz .LBB368_1975
; %bb.1974:
	s_waitcnt vmcnt(0)
	global_store_dword v[0:1], v2, off
.LBB368_1975:
	s_mov_b64 s[0:1], 0
.LBB368_1976:
	s_andn2_b64 vcc, exec, s[0:1]
	s_cbranch_vccnz .LBB368_1978
; %bb.1977:
	s_waitcnt vmcnt(0)
	global_store_short v[0:1], v2, off
.LBB368_1978:
	s_mov_b64 s[0:1], 0
.LBB368_1979:
	s_andn2_b64 vcc, exec, s[0:1]
	s_cbranch_vccnz .LBB368_1984
; %bb.1980:
	s_sext_i32_i16 s0, s22
	s_cmp_gt_i32 s0, 0
	s_mov_b64 s[0:1], -1
	s_cbranch_scc0 .LBB368_1982
; %bb.1981:
	s_waitcnt vmcnt(0)
	global_store_byte v[0:1], v2, off
	s_mov_b64 s[0:1], 0
.LBB368_1982:
	s_andn2_b64 vcc, exec, s[0:1]
	s_cbranch_vccnz .LBB368_1984
; %bb.1983:
	s_waitcnt vmcnt(0)
	global_store_byte v[0:1], v2, off
	s_endpgm
.LBB368_1984:
	s_endpgm
.LBB368_1985:
	s_mov_b64 s[2:3], 0
	s_mov_b64 s[0:1], -1
	s_branch .LBB368_1941
.LBB368_1986:
	s_trap 2
	s_or_b64 s[16:17], s[16:17], exec
	s_cbranch_execz .LBB368_1455
	s_branch .LBB368_1456
.LBB368_1987:
	s_andn2_saveexec_b64 s[20:21], s[20:21]
	s_cbranch_execz .LBB368_1535
.LBB368_1988:
	s_mov_b32 s11, 0x46000000
	v_add_f32_e64 v3, |v1|, s11
	v_and_b32_e32 v3, 0xff, v3
	v_cmp_ne_u32_e32 vcc, 0, v3
	s_andn2_b64 s[18:19], s[18:19], exec
	s_and_b64 s[24:25], vcc, exec
	s_or_b64 s[18:19], s[18:19], s[24:25]
	s_or_b64 exec, exec, s[20:21]
	v_mov_b32_e32 v9, 0
	s_and_saveexec_b64 s[20:21], s[18:19]
	s_cbranch_execnz .LBB368_1536
	s_branch .LBB368_1537
.LBB368_1989:
	s_trap 2
	s_or_b64 s[16:17], s[16:17], exec
	s_cbranch_execz .LBB368_1583
	s_branch .LBB368_1584
.LBB368_1990:
	s_andn2_saveexec_b64 s[18:19], s[18:19]
	s_cbranch_execz .LBB368_1548
.LBB368_1991:
	s_mov_b32 s11, 0x42800000
	v_add_f32_e64 v3, |v1|, s11
	v_and_b32_e32 v3, 0xff, v3
	v_cmp_ne_u32_e32 vcc, 0, v3
	s_andn2_b64 s[6:7], s[6:7], exec
	s_and_b64 s[20:21], vcc, exec
	s_or_b64 s[6:7], s[6:7], s[20:21]
	s_or_b64 exec, exec, s[18:19]
	v_mov_b32_e32 v9, 0
	s_and_saveexec_b64 s[18:19], s[6:7]
	s_cbranch_execnz .LBB368_1549
	s_branch .LBB368_1550
.LBB368_1992:
	s_andn2_saveexec_b64 s[18:19], s[18:19]
	s_cbranch_execz .LBB368_1654
.LBB368_1993:
	s_mov_b32 s21, 0x46000000
	v_add_f32_e64 v3, |v1|, s21
	v_and_b32_e32 v3, 0xff, v3
	v_cmp_ne_u32_e32 vcc, 0, v3
	s_andn2_b64 s[8:9], s[8:9], exec
	s_and_b64 s[24:25], vcc, exec
	s_or_b64 s[8:9], s[8:9], s[24:25]
	s_or_b64 exec, exec, s[18:19]
	v_mov_b32_e32 v8, 0
	s_and_saveexec_b64 s[18:19], s[8:9]
	s_cbranch_execnz .LBB368_1655
	s_branch .LBB368_1656
.LBB368_1994:
	s_trap 2
	s_or_b64 s[16:17], s[16:17], exec
	s_cbranch_execz .LBB368_1702
	s_branch .LBB368_1703
.LBB368_1995:
	s_andn2_saveexec_b64 s[8:9], s[8:9]
	s_cbranch_execz .LBB368_1667
.LBB368_1996:
	s_mov_b32 s18, 0x42800000
	v_add_f32_e64 v3, |v1|, s18
	v_and_b32_e32 v3, 0xff, v3
	v_cmp_ne_u32_e32 vcc, 0, v3
	s_andn2_b64 s[6:7], s[6:7], exec
	s_and_b64 s[18:19], vcc, exec
	s_or_b64 s[6:7], s[6:7], s[18:19]
	s_or_b64 exec, exec, s[8:9]
	v_mov_b32_e32 v8, 0
	s_and_saveexec_b64 s[8:9], s[6:7]
	s_cbranch_execnz .LBB368_1668
	s_branch .LBB368_1669
.LBB368_1997:
	s_andn2_saveexec_b64 s[18:19], s[18:19]
	s_cbranch_execz .LBB368_1773
.LBB368_1998:
	s_mov_b32 s21, 0x46000000
	v_add_f32_e64 v3, |v1|, s21
	v_and_b32_e32 v3, 0xff, v3
	v_cmp_ne_u32_e32 vcc, 0, v3
	s_andn2_b64 s[8:9], s[8:9], exec
	s_and_b64 s[24:25], vcc, exec
	s_or_b64 s[8:9], s[8:9], s[24:25]
	s_or_b64 exec, exec, s[18:19]
	v_mov_b32_e32 v7, 0
	s_and_saveexec_b64 s[18:19], s[8:9]
	s_cbranch_execnz .LBB368_1774
	s_branch .LBB368_1775
.LBB368_1999:
	s_trap 2
	s_or_b64 s[16:17], s[16:17], exec
	s_cbranch_execz .LBB368_1821
	s_branch .LBB368_1822
.LBB368_2000:
	s_andn2_saveexec_b64 s[8:9], s[8:9]
	s_cbranch_execz .LBB368_1786
.LBB368_2001:
	s_mov_b32 s18, 0x42800000
	v_add_f32_e64 v3, |v1|, s18
	v_and_b32_e32 v3, 0xff, v3
	v_cmp_ne_u32_e32 vcc, 0, v3
	s_andn2_b64 s[6:7], s[6:7], exec
	s_and_b64 s[18:19], vcc, exec
	s_or_b64 s[6:7], s[6:7], s[18:19]
	s_or_b64 exec, exec, s[8:9]
	v_mov_b32_e32 v7, 0
	s_and_saveexec_b64 s[8:9], s[6:7]
	s_cbranch_execnz .LBB368_1787
	s_branch .LBB368_1788
.LBB368_2002:
	s_andn2_saveexec_b64 s[8:9], s[8:9]
	s_cbranch_execz .LBB368_1893
.LBB368_2003:
	s_mov_b32 s11, 0x46000000
	v_add_f32_e64 v4, |v3|, s11
	v_and_b32_e32 v4, 0xff, v4
	v_cmp_ne_u32_e32 vcc, 0, v4
	s_andn2_b64 s[6:7], s[6:7], exec
	s_and_b64 s[18:19], vcc, exec
	s_or_b64 s[6:7], s[6:7], s[18:19]
	s_or_b64 exec, exec, s[8:9]
	v_mov_b32_e32 v5, 0
	s_and_saveexec_b64 s[8:9], s[6:7]
	s_cbranch_execnz .LBB368_1894
	s_branch .LBB368_1895
.LBB368_2004:
	s_mov_b64 s[2:3], 0
	s_or_b64 s[16:17], s[16:17], exec
	s_trap 2
	s_branch .LBB368_1939
.LBB368_2005:
	s_andn2_saveexec_b64 s[6:7], s[6:7]
	s_cbranch_execz .LBB368_1905
.LBB368_2006:
	s_mov_b32 s8, 0x42800000
	v_add_f32_e64 v4, |v3|, s8
	v_and_b32_e32 v4, 0xff, v4
	v_cmp_ne_u32_e32 vcc, 0, v4
	s_andn2_b64 s[4:5], s[4:5], exec
	s_and_b64 s[8:9], vcc, exec
	s_or_b64 s[4:5], s[4:5], s[8:9]
	s_or_b64 exec, exec, s[6:7]
	v_mov_b32_e32 v5, 0
	s_and_saveexec_b64 s[6:7], s[4:5]
	s_cbranch_execnz .LBB368_1906
	s_branch .LBB368_1907
	.section	.rodata,"a",@progbits
	.p2align	6, 0x0
	.amdhsa_kernel _ZN2at6native32elementwise_kernel_manual_unrollILi128ELi4EZNS0_15gpu_kernel_implIZZZNS0_21clamp_min_kernel_cudaERNS_18TensorIteratorBaseERKN3c106ScalarEENKUlvE_clEvENKUlvE1_clEvEUliE_EEvS4_RKT_EUlibE_EEviT1_
		.amdhsa_group_segment_fixed_size 0
		.amdhsa_private_segment_fixed_size 0
		.amdhsa_kernarg_size 40
		.amdhsa_user_sgpr_count 2
		.amdhsa_user_sgpr_dispatch_ptr 0
		.amdhsa_user_sgpr_queue_ptr 0
		.amdhsa_user_sgpr_kernarg_segment_ptr 1
		.amdhsa_user_sgpr_dispatch_id 0
		.amdhsa_user_sgpr_kernarg_preload_length 0
		.amdhsa_user_sgpr_kernarg_preload_offset 0
		.amdhsa_user_sgpr_private_segment_size 0
		.amdhsa_uses_dynamic_stack 0
		.amdhsa_enable_private_segment 0
		.amdhsa_system_sgpr_workgroup_id_x 1
		.amdhsa_system_sgpr_workgroup_id_y 0
		.amdhsa_system_sgpr_workgroup_id_z 0
		.amdhsa_system_sgpr_workgroup_info 0
		.amdhsa_system_vgpr_workitem_id 0
		.amdhsa_next_free_vgpr 14
		.amdhsa_next_free_sgpr 46
		.amdhsa_accum_offset 16
		.amdhsa_reserve_vcc 1
		.amdhsa_float_round_mode_32 0
		.amdhsa_float_round_mode_16_64 0
		.amdhsa_float_denorm_mode_32 3
		.amdhsa_float_denorm_mode_16_64 3
		.amdhsa_dx10_clamp 1
		.amdhsa_ieee_mode 1
		.amdhsa_fp16_overflow 0
		.amdhsa_tg_split 0
		.amdhsa_exception_fp_ieee_invalid_op 0
		.amdhsa_exception_fp_denorm_src 0
		.amdhsa_exception_fp_ieee_div_zero 0
		.amdhsa_exception_fp_ieee_overflow 0
		.amdhsa_exception_fp_ieee_underflow 0
		.amdhsa_exception_fp_ieee_inexact 0
		.amdhsa_exception_int_div_zero 0
	.end_amdhsa_kernel
	.section	.text._ZN2at6native32elementwise_kernel_manual_unrollILi128ELi4EZNS0_15gpu_kernel_implIZZZNS0_21clamp_min_kernel_cudaERNS_18TensorIteratorBaseERKN3c106ScalarEENKUlvE_clEvENKUlvE1_clEvEUliE_EEvS4_RKT_EUlibE_EEviT1_,"axG",@progbits,_ZN2at6native32elementwise_kernel_manual_unrollILi128ELi4EZNS0_15gpu_kernel_implIZZZNS0_21clamp_min_kernel_cudaERNS_18TensorIteratorBaseERKN3c106ScalarEENKUlvE_clEvENKUlvE1_clEvEUliE_EEvS4_RKT_EUlibE_EEviT1_,comdat
.Lfunc_end368:
	.size	_ZN2at6native32elementwise_kernel_manual_unrollILi128ELi4EZNS0_15gpu_kernel_implIZZZNS0_21clamp_min_kernel_cudaERNS_18TensorIteratorBaseERKN3c106ScalarEENKUlvE_clEvENKUlvE1_clEvEUliE_EEvS4_RKT_EUlibE_EEviT1_, .Lfunc_end368-_ZN2at6native32elementwise_kernel_manual_unrollILi128ELi4EZNS0_15gpu_kernel_implIZZZNS0_21clamp_min_kernel_cudaERNS_18TensorIteratorBaseERKN3c106ScalarEENKUlvE_clEvENKUlvE1_clEvEUliE_EEvS4_RKT_EUlibE_EEviT1_
                                        ; -- End function
	.set _ZN2at6native32elementwise_kernel_manual_unrollILi128ELi4EZNS0_15gpu_kernel_implIZZZNS0_21clamp_min_kernel_cudaERNS_18TensorIteratorBaseERKN3c106ScalarEENKUlvE_clEvENKUlvE1_clEvEUliE_EEvS4_RKT_EUlibE_EEviT1_.num_vgpr, 14
	.set _ZN2at6native32elementwise_kernel_manual_unrollILi128ELi4EZNS0_15gpu_kernel_implIZZZNS0_21clamp_min_kernel_cudaERNS_18TensorIteratorBaseERKN3c106ScalarEENKUlvE_clEvENKUlvE1_clEvEUliE_EEvS4_RKT_EUlibE_EEviT1_.num_agpr, 0
	.set _ZN2at6native32elementwise_kernel_manual_unrollILi128ELi4EZNS0_15gpu_kernel_implIZZZNS0_21clamp_min_kernel_cudaERNS_18TensorIteratorBaseERKN3c106ScalarEENKUlvE_clEvENKUlvE1_clEvEUliE_EEvS4_RKT_EUlibE_EEviT1_.numbered_sgpr, 46
	.set _ZN2at6native32elementwise_kernel_manual_unrollILi128ELi4EZNS0_15gpu_kernel_implIZZZNS0_21clamp_min_kernel_cudaERNS_18TensorIteratorBaseERKN3c106ScalarEENKUlvE_clEvENKUlvE1_clEvEUliE_EEvS4_RKT_EUlibE_EEviT1_.num_named_barrier, 0
	.set _ZN2at6native32elementwise_kernel_manual_unrollILi128ELi4EZNS0_15gpu_kernel_implIZZZNS0_21clamp_min_kernel_cudaERNS_18TensorIteratorBaseERKN3c106ScalarEENKUlvE_clEvENKUlvE1_clEvEUliE_EEvS4_RKT_EUlibE_EEviT1_.private_seg_size, 0
	.set _ZN2at6native32elementwise_kernel_manual_unrollILi128ELi4EZNS0_15gpu_kernel_implIZZZNS0_21clamp_min_kernel_cudaERNS_18TensorIteratorBaseERKN3c106ScalarEENKUlvE_clEvENKUlvE1_clEvEUliE_EEvS4_RKT_EUlibE_EEviT1_.uses_vcc, 1
	.set _ZN2at6native32elementwise_kernel_manual_unrollILi128ELi4EZNS0_15gpu_kernel_implIZZZNS0_21clamp_min_kernel_cudaERNS_18TensorIteratorBaseERKN3c106ScalarEENKUlvE_clEvENKUlvE1_clEvEUliE_EEvS4_RKT_EUlibE_EEviT1_.uses_flat_scratch, 0
	.set _ZN2at6native32elementwise_kernel_manual_unrollILi128ELi4EZNS0_15gpu_kernel_implIZZZNS0_21clamp_min_kernel_cudaERNS_18TensorIteratorBaseERKN3c106ScalarEENKUlvE_clEvENKUlvE1_clEvEUliE_EEvS4_RKT_EUlibE_EEviT1_.has_dyn_sized_stack, 0
	.set _ZN2at6native32elementwise_kernel_manual_unrollILi128ELi4EZNS0_15gpu_kernel_implIZZZNS0_21clamp_min_kernel_cudaERNS_18TensorIteratorBaseERKN3c106ScalarEENKUlvE_clEvENKUlvE1_clEvEUliE_EEvS4_RKT_EUlibE_EEviT1_.has_recursion, 0
	.set _ZN2at6native32elementwise_kernel_manual_unrollILi128ELi4EZNS0_15gpu_kernel_implIZZZNS0_21clamp_min_kernel_cudaERNS_18TensorIteratorBaseERKN3c106ScalarEENKUlvE_clEvENKUlvE1_clEvEUliE_EEvS4_RKT_EUlibE_EEviT1_.has_indirect_call, 0
	.section	.AMDGPU.csdata,"",@progbits
; Kernel info:
; codeLenInByte = 29528
; TotalNumSgprs: 52
; NumVgprs: 14
; NumAgprs: 0
; TotalNumVgprs: 14
; ScratchSize: 0
; MemoryBound: 1
; FloatMode: 240
; IeeeMode: 1
; LDSByteSize: 0 bytes/workgroup (compile time only)
; SGPRBlocks: 6
; VGPRBlocks: 1
; NumSGPRsForWavesPerEU: 52
; NumVGPRsForWavesPerEU: 14
; AccumOffset: 16
; Occupancy: 8
; WaveLimiterHint : 0
; COMPUTE_PGM_RSRC2:SCRATCH_EN: 0
; COMPUTE_PGM_RSRC2:USER_SGPR: 2
; COMPUTE_PGM_RSRC2:TRAP_HANDLER: 0
; COMPUTE_PGM_RSRC2:TGID_X_EN: 1
; COMPUTE_PGM_RSRC2:TGID_Y_EN: 0
; COMPUTE_PGM_RSRC2:TGID_Z_EN: 0
; COMPUTE_PGM_RSRC2:TIDIG_COMP_CNT: 0
; COMPUTE_PGM_RSRC3_GFX90A:ACCUM_OFFSET: 3
; COMPUTE_PGM_RSRC3_GFX90A:TG_SPLIT: 0
	.section	.text._ZN2at6native32elementwise_kernel_manual_unrollILi128ELi4EZNS0_15gpu_kernel_implIZZZNS0_21clamp_min_kernel_cudaERNS_18TensorIteratorBaseERKN3c106ScalarEENKUlvE_clEvENKUlvE1_clEvEUliE_EEvS4_RKT_EUlibE0_EEviT1_,"axG",@progbits,_ZN2at6native32elementwise_kernel_manual_unrollILi128ELi4EZNS0_15gpu_kernel_implIZZZNS0_21clamp_min_kernel_cudaERNS_18TensorIteratorBaseERKN3c106ScalarEENKUlvE_clEvENKUlvE1_clEvEUliE_EEvS4_RKT_EUlibE0_EEviT1_,comdat
	.globl	_ZN2at6native32elementwise_kernel_manual_unrollILi128ELi4EZNS0_15gpu_kernel_implIZZZNS0_21clamp_min_kernel_cudaERNS_18TensorIteratorBaseERKN3c106ScalarEENKUlvE_clEvENKUlvE1_clEvEUliE_EEvS4_RKT_EUlibE0_EEviT1_ ; -- Begin function _ZN2at6native32elementwise_kernel_manual_unrollILi128ELi4EZNS0_15gpu_kernel_implIZZZNS0_21clamp_min_kernel_cudaERNS_18TensorIteratorBaseERKN3c106ScalarEENKUlvE_clEvENKUlvE1_clEvEUliE_EEvS4_RKT_EUlibE0_EEviT1_
	.p2align	8
	.type	_ZN2at6native32elementwise_kernel_manual_unrollILi128ELi4EZNS0_15gpu_kernel_implIZZZNS0_21clamp_min_kernel_cudaERNS_18TensorIteratorBaseERKN3c106ScalarEENKUlvE_clEvENKUlvE1_clEvEUliE_EEvS4_RKT_EUlibE0_EEviT1_,@function
_ZN2at6native32elementwise_kernel_manual_unrollILi128ELi4EZNS0_15gpu_kernel_implIZZZNS0_21clamp_min_kernel_cudaERNS_18TensorIteratorBaseERKN3c106ScalarEENKUlvE_clEvENKUlvE1_clEvEUliE_EEvS4_RKT_EUlibE0_EEviT1_: ; @_ZN2at6native32elementwise_kernel_manual_unrollILi128ELi4EZNS0_15gpu_kernel_implIZZZNS0_21clamp_min_kernel_cudaERNS_18TensorIteratorBaseERKN3c106ScalarEENKUlvE_clEvENKUlvE1_clEvEUliE_EEvS4_RKT_EUlibE0_EEviT1_
; %bb.0:
	s_load_dword s72, s[0:1], 0x0
	s_load_dword s33, s[0:1], 0x8
	s_add_u32 s34, s0, 8
	s_addc_u32 s35, s1, 0
	v_lshl_or_b32 v8, s2, 9, v0
	v_or_b32_e32 v16, 0x180, v8
	s_waitcnt lgkmcnt(0)
	s_add_i32 s74, s33, -1
	s_cmp_gt_u32 s74, 1
	v_cmp_le_i32_e32 vcc, s72, v16
	s_cselect_b64 s[42:43], -1, 0
	s_mov_b64 s[40:41], 0
	s_mov_b64 s[24:25], 0
	s_and_saveexec_b64 s[2:3], vcc
	s_xor_b64 s[44:45], exec, s[2:3]
	s_cbranch_execz .LBB369_1074
; %bb.1:
	s_load_dwordx4 s[24:27], s[34:35], 0x4
	s_load_dwordx2 s[48:49], s[34:35], 0x14
	s_load_dwordx2 s[46:47], s[34:35], 0x158
	s_cmp_lg_u32 s33, 0
	s_load_dwordx4 s[28:31], s[34:35], 0xc4
	s_load_dwordx4 s[20:23], s[34:35], 0x148
	s_cselect_b64 s[54:55], -1, 0
	s_add_u32 s52, s34, 0xc4
	s_addc_u32 s53, s35, 0
	s_min_u32 s76, s74, 15
	s_cmp_gt_u32 s33, 1
	s_cselect_b64 s[50:51], -1, 0
	s_waitcnt lgkmcnt(0)
	s_bfe_u32 s75, s47, 0x80008
	v_cmp_gt_i32_e32 vcc, s72, v8
	s_mov_b64 s[4:5], -1
	s_mov_b64 s[64:65], 0
	s_mov_b64 s[58:59], 0
	;; [unrolled: 1-line block ×3, first 2 shown]
	s_and_saveexec_b64 s[60:61], vcc
	s_cbranch_execz .LBB369_263
; %bb.2:
	s_andn2_b64 vcc, exec, s[42:43]
	s_cbranch_vccnz .LBB369_8
; %bb.3:
	s_andn2_b64 vcc, exec, s[54:55]
	s_cbranch_vccnz .LBB369_9
; %bb.4:
	s_add_i32 s59, s76, 1
	s_cmp_eq_u32 s74, 2
	s_cbranch_scc1 .LBB369_10
; %bb.5:
	s_and_b32 s58, s59, 28
	s_mov_b32 s62, 0
	v_mov_b32_e32 v0, 0
	v_mov_b32_e32 v2, 0
	s_mov_b64 s[2:3], s[34:35]
	s_mov_b64 s[56:57], s[52:53]
	v_mov_b32_e32 v4, v8
.LBB369_6:                              ; =>This Inner Loop Header: Depth=1
	s_load_dwordx8 s[12:19], s[2:3], 0x4
	s_load_dwordx4 s[36:39], s[2:3], 0x24
	s_load_dwordx8 s[4:11], s[56:57], 0x0
	s_add_u32 s2, s2, 48
	s_addc_u32 s3, s3, 0
	s_waitcnt lgkmcnt(0)
	v_mul_hi_u32 v1, s13, v4
	v_add_u32_e32 v1, v4, v1
	v_lshrrev_b32_e32 v1, s14, v1
	v_mul_lo_u32 v3, v1, s12
	v_mul_hi_u32 v5, s16, v1
	v_sub_u32_e32 v3, v4, v3
	v_add_u32_e32 v4, v1, v5
	v_lshrrev_b32_e32 v4, s17, v4
	v_mul_lo_u32 v6, v4, s15
	v_mul_hi_u32 v7, s19, v4
	v_sub_u32_e32 v1, v1, v6
	v_add_u32_e32 v6, v4, v7
	v_mul_lo_u32 v5, v3, s5
	v_mul_lo_u32 v3, v3, s4
	;; [unrolled: 1-line block ×4, first 2 shown]
	v_lshrrev_b32_e32 v6, s36, v6
	v_add3_u32 v0, v3, v0, v1
	v_mul_hi_u32 v3, s38, v6
	v_add3_u32 v1, v5, v2, v7
	v_mul_lo_u32 v2, v6, s18
	v_add_u32_e32 v3, v6, v3
	v_sub_u32_e32 v2, v4, v2
	v_lshrrev_b32_e32 v4, s39, v3
	s_add_i32 s62, s62, 4
	v_mul_lo_u32 v3, v4, s37
	s_add_u32 s56, s56, 32
	v_sub_u32_e32 v3, v6, v3
	s_addc_u32 s57, s57, 0
	v_mul_lo_u32 v5, v2, s8
	v_mul_lo_u32 v2, v2, s9
	;; [unrolled: 1-line block ×4, first 2 shown]
	s_cmp_lg_u32 s58, s62
	v_add3_u32 v2, v2, v1, v3
	v_add3_u32 v0, v5, v0, v6
	s_cbranch_scc1 .LBB369_6
; %bb.7:
	v_mov_b32_e32 v1, v2
	s_branch .LBB369_11
.LBB369_8:
                                        ; implicit-def: $vgpr2
                                        ; implicit-def: $vgpr0
	s_branch .LBB369_15
.LBB369_9:
	v_mov_b32_e32 v2, 0
	v_mov_b32_e32 v0, 0
	s_branch .LBB369_14
.LBB369_10:
	v_mov_b32_e32 v0, 0
	s_mov_b32 s58, 0
	v_mov_b32_e32 v1, v0
                                        ; implicit-def: $vgpr2
	v_mov_b32_e32 v4, v8
.LBB369_11:
	s_and_b32 s6, s59, 3
	s_cmp_eq_u32 s6, 0
	s_cbranch_scc1 .LBB369_14
; %bb.12:
	s_lshl_b32 s2, s58, 3
	s_add_u32 s2, s34, s2
	s_addc_u32 s3, s35, 0
	s_add_u32 s2, s2, 0xc4
	s_addc_u32 s3, s3, 0
	s_mul_i32 s4, s58, 12
	s_add_u32 s4, s34, s4
	s_addc_u32 s5, s35, 0
.LBB369_13:                             ; =>This Inner Loop Header: Depth=1
	s_load_dwordx2 s[8:9], s[4:5], 0x4
	s_load_dword s7, s[4:5], 0xc
	s_load_dwordx2 s[10:11], s[2:3], 0x0
	v_mov_b32_e32 v2, v1
	s_add_u32 s4, s4, 12
	s_waitcnt lgkmcnt(0)
	v_mul_hi_u32 v1, s9, v4
	v_add_u32_e32 v1, v4, v1
	v_lshrrev_b32_e32 v1, s7, v1
	s_addc_u32 s5, s5, 0
	v_mul_lo_u32 v3, v1, s8
	s_add_u32 s2, s2, 8
	v_sub_u32_e32 v5, v4, v3
	s_addc_u32 s3, s3, 0
	s_add_i32 s6, s6, -1
	v_mov_b32_e32 v4, v1
	v_mad_u64_u32 v[2:3], s[8:9], v5, s11, v[2:3]
	v_mad_u64_u32 v[0:1], s[8:9], v5, s10, v[0:1]
	s_cmp_lg_u32 s6, 0
	v_mov_b32_e32 v1, v2
	s_cbranch_scc1 .LBB369_13
.LBB369_14:
	s_cbranch_execnz .LBB369_17
.LBB369_15:
	v_mul_hi_u32 v0, s25, v8
	v_add_u32_e32 v0, v8, v0
	v_lshrrev_b32_e32 v1, s26, v0
	v_mul_lo_u32 v0, v1, s24
	v_sub_u32_e32 v0, v8, v0
	v_mul_lo_u32 v2, v0, s29
	s_andn2_b64 vcc, exec, s[50:51]
	v_mul_lo_u32 v0, v0, s28
	s_cbranch_vccnz .LBB369_17
; %bb.16:
	v_mul_hi_u32 v3, s48, v1
	v_add_u32_e32 v3, v1, v3
	v_lshrrev_b32_e32 v3, s49, v3
	v_mul_lo_u32 v3, v3, s27
	v_sub_u32_e32 v3, v1, v3
	v_mad_u64_u32 v[0:1], s[2:3], v3, s30, v[0:1]
	v_mad_u64_u32 v[2:3], s[2:3], v3, s31, v[2:3]
.LBB369_17:
	v_mov_b32_e32 v3, 0
	s_and_b32 s8, 0xffff, s75
	s_cmp_lt_i32 s8, 11
	v_lshl_add_u64 v[2:3], s[22:23], 0, v[2:3]
	s_cbranch_scc1 .LBB369_24
; %bb.18:
	s_cmp_gt_i32 s8, 25
	s_cbranch_scc0 .LBB369_33
; %bb.19:
	s_cmp_gt_i32 s8, 28
	s_cbranch_scc0 .LBB369_36
	;; [unrolled: 3-line block ×4, first 2 shown]
; %bb.22:
	s_cmp_eq_u32 s8, 46
	s_mov_b64 s[6:7], 0
	s_cbranch_scc0 .LBB369_42
; %bb.23:
	global_load_dword v1, v[2:3], off
	s_mov_b64 s[2:3], -1
	s_mov_b64 s[4:5], 0
	s_waitcnt vmcnt(0)
	v_lshlrev_b32_e32 v1, 16, v1
	v_cvt_i32_f32_e32 v1, v1
	s_branch .LBB369_44
.LBB369_24:
	s_mov_b64 s[4:5], 0
                                        ; implicit-def: $vgpr1
	s_mov_b64 s[2:3], 0
	s_cbranch_execnz .LBB369_213
.LBB369_25:
	s_andn2_b64 vcc, exec, s[2:3]
	s_cbranch_vccnz .LBB369_260
.LBB369_26:
	s_waitcnt vmcnt(0)
	v_max_i32_e32 v2, s46, v1
	v_mov_b32_e32 v1, 0
	s_and_b32 s12, s47, 0xff
	s_cmp_lt_i32 s12, 11
	v_lshl_add_u64 v[0:1], s[20:21], 0, v[0:1]
	s_cbranch_scc1 .LBB369_34
; %bb.27:
	s_and_b32 s13, 0xffff, s12
	s_cmp_gt_i32 s13, 25
	s_cbranch_scc0 .LBB369_37
; %bb.28:
	s_cmp_gt_i32 s13, 28
	s_cbranch_scc0 .LBB369_39
; %bb.29:
	;; [unrolled: 3-line block ×4, first 2 shown]
	s_mov_b64 s[8:9], 0
	s_mov_b64 s[2:3], -1
	s_cmp_eq_u32 s13, 46
	s_mov_b64 s[6:7], 0
	s_cbranch_scc0 .LBB369_48
; %bb.32:
	v_cvt_f32_i32_e32 v3, v2
	s_movk_i32 s2, 0x7fff
	s_mov_b64 s[6:7], -1
	v_bfe_u32 v4, v3, 16, 1
	v_add3_u32 v3, v3, v4, s2
	v_lshrrev_b32_e32 v3, 16, v3
	global_store_dword v[0:1], v3, off
	s_mov_b64 s[2:3], 0
	s_branch .LBB369_48
.LBB369_33:
	s_mov_b64 s[4:5], 0
	s_mov_b64 s[2:3], 0
                                        ; implicit-def: $vgpr1
	s_cbranch_execnz .LBB369_180
	s_branch .LBB369_212
.LBB369_34:
	s_mov_b64 s[2:3], 0
	s_mov_b64 s[6:7], 0
	s_cbranch_execnz .LBB369_117
.LBB369_35:
	s_andn2_b64 vcc, exec, s[6:7]
	s_cbranch_vccnz .LBB369_261
	s_branch .LBB369_155
.LBB369_36:
	s_mov_b64 s[6:7], -1
	s_mov_b64 s[4:5], 0
	s_mov_b64 s[2:3], 0
                                        ; implicit-def: $vgpr1
	s_branch .LBB369_163
.LBB369_37:
	s_mov_b64 s[8:9], -1
	s_mov_b64 s[2:3], 0
	s_mov_b64 s[6:7], 0
	s_branch .LBB369_75
.LBB369_38:
	s_mov_b64 s[6:7], -1
	s_mov_b64 s[4:5], 0
	s_mov_b64 s[2:3], 0
                                        ; implicit-def: $vgpr1
	s_branch .LBB369_158
.LBB369_39:
	s_mov_b64 s[8:9], -1
	s_mov_b64 s[2:3], 0
	s_mov_b64 s[6:7], 0
	s_branch .LBB369_58
.LBB369_40:
	s_mov_b64 s[6:7], -1
	s_mov_b64 s[4:5], 0
	s_branch .LBB369_43
.LBB369_41:
	s_mov_b64 s[8:9], -1
	s_mov_b64 s[2:3], 0
	s_mov_b64 s[6:7], 0
	s_branch .LBB369_54
.LBB369_42:
	s_mov_b64 s[4:5], -1
.LBB369_43:
	s_mov_b64 s[2:3], 0
                                        ; implicit-def: $vgpr1
.LBB369_44:
	s_and_b64 vcc, exec, s[6:7]
	s_cbranch_vccz .LBB369_157
; %bb.45:
	s_cmp_eq_u32 s8, 44
	s_cbranch_scc0 .LBB369_156
; %bb.46:
	global_load_ubyte v1, v[2:3], off
	s_mov_b64 s[2:3], -1
	s_mov_b64 s[4:5], 0
	s_waitcnt vmcnt(0)
	v_lshlrev_b32_e32 v4, 23, v1
	v_cvt_i32_f32_e32 v4, v4
	v_cmp_ne_u32_e32 vcc, 0, v1
	s_nop 1
	v_cndmask_b32_e32 v1, 0, v4, vcc
	s_branch .LBB369_157
.LBB369_47:
	s_mov_b64 s[8:9], -1
	s_mov_b64 s[2:3], 0
	s_mov_b64 s[6:7], 0
.LBB369_48:
	s_and_b64 vcc, exec, s[8:9]
	s_cbranch_vccz .LBB369_53
; %bb.49:
	s_cmp_eq_u32 s13, 44
	s_mov_b64 s[2:3], -1
	s_cbranch_scc0 .LBB369_53
; %bb.50:
	v_cvt_f32_i32_e32 v3, v2
	s_movk_i32 s2, 0xff
	v_mov_b32_e32 v5, 0xff
	v_bfe_u32 v4, v3, 23, 8
	v_cmp_ne_u32_e32 vcc, s2, v4
	s_and_saveexec_b64 s[6:7], vcc
; %bb.51:
	s_mov_b32 s2, 0x3fffff
	v_lshrrev_b32_e32 v5, 23, v3
	v_and_b32_e32 v6, 0x400000, v3
	v_and_or_b32 v3, v3, s2, v4
	v_cmp_ne_u32_e32 vcc, 0, v6
	v_cmp_ne_u32_e64 s[2:3], 0, v3
	s_and_b64 s[2:3], vcc, s[2:3]
	s_nop 0
	v_cndmask_b32_e64 v3, 0, 1, s[2:3]
	v_add_u32_e32 v5, v5, v3
; %bb.52:
	s_or_b64 exec, exec, s[6:7]
	s_mov_b64 s[6:7], -1
	s_mov_b64 s[2:3], 0
	global_store_byte v[0:1], v5, off
.LBB369_53:
	s_mov_b64 s[8:9], 0
.LBB369_54:
	s_and_b64 vcc, exec, s[8:9]
	s_cbranch_vccz .LBB369_57
; %bb.55:
	s_cmp_eq_u32 s13, 29
	s_mov_b64 s[2:3], -1
	s_cbranch_scc0 .LBB369_57
; %bb.56:
	v_ashrrev_i32_e32 v3, 31, v2
	global_store_dwordx2 v[0:1], v[2:3], off
	s_mov_b64 s[6:7], -1
	s_mov_b64 s[2:3], 0
.LBB369_57:
	s_mov_b64 s[8:9], 0
.LBB369_58:
	s_and_b64 vcc, exec, s[8:9]
	s_cbranch_vccz .LBB369_74
; %bb.59:
	s_cmp_lt_i32 s13, 27
	s_mov_b64 s[6:7], -1
	s_cbranch_scc1 .LBB369_65
; %bb.60:
	s_cmp_gt_i32 s13, 27
	s_cbranch_scc0 .LBB369_62
; %bb.61:
	s_mov_b64 s[6:7], 0
	global_store_dword v[0:1], v2, off
.LBB369_62:
	s_andn2_b64 vcc, exec, s[6:7]
	s_cbranch_vccnz .LBB369_64
; %bb.63:
	global_store_short v[0:1], v2, off
.LBB369_64:
	s_mov_b64 s[6:7], 0
.LBB369_65:
	s_andn2_b64 vcc, exec, s[6:7]
	s_cbranch_vccnz .LBB369_73
; %bb.66:
	v_cvt_f32_i32_e32 v3, v2
	s_mov_b32 s6, 0x43800000
	v_mov_b32_e32 v5, 0x80
	v_and_b32_e32 v4, 0x7fffffff, v3
	v_cmp_gt_u32_e32 vcc, s6, v4
	s_and_saveexec_b64 s[6:7], vcc
	s_cbranch_execz .LBB369_72
; %bb.67:
	s_mov_b32 s8, 0x3bffffff
	v_cmp_lt_u32_e32 vcc, s8, v4
	s_mov_b64 s[8:9], 0
                                        ; implicit-def: $vgpr4
	s_and_saveexec_b64 s[10:11], vcc
	s_xor_b64 s[10:11], exec, s[10:11]
	s_cbranch_execz .LBB369_305
; %bb.68:
	v_bfe_u32 v4, v3, 20, 1
	s_mov_b32 s14, 0x487ffff
	v_add3_u32 v4, v3, v4, s14
	s_mov_b64 s[8:9], exec
	v_lshrrev_b32_e32 v4, 20, v4
	s_andn2_saveexec_b64 s[10:11], s[10:11]
	s_cbranch_execnz .LBB369_306
.LBB369_69:
	s_or_b64 exec, exec, s[10:11]
	v_mov_b32_e32 v5, 0
	s_and_saveexec_b64 s[10:11], s[8:9]
.LBB369_70:
	v_lshrrev_b32_e32 v3, 24, v3
	s_movk_i32 s8, 0x80
	v_and_or_b32 v5, v3, s8, v4
.LBB369_71:
	s_or_b64 exec, exec, s[10:11]
.LBB369_72:
	s_or_b64 exec, exec, s[6:7]
	global_store_byte v[0:1], v5, off
.LBB369_73:
	s_mov_b64 s[6:7], -1
.LBB369_74:
	s_mov_b64 s[8:9], 0
.LBB369_75:
	s_and_b64 vcc, exec, s[8:9]
	s_cbranch_vccz .LBB369_116
; %bb.76:
	s_cmp_gt_i32 s13, 22
	s_mov_b64 s[8:9], -1
	s_cbranch_scc0 .LBB369_108
; %bb.77:
	s_cmp_lt_i32 s13, 24
	s_mov_b64 s[6:7], -1
	s_cbranch_scc1 .LBB369_97
; %bb.78:
	s_cmp_gt_i32 s13, 24
	s_cbranch_scc0 .LBB369_86
; %bb.79:
	v_cvt_f32_i32_e32 v3, v2
	s_mov_b32 s6, 0x47800000
	v_mov_b32_e32 v5, 0x80
	v_and_b32_e32 v4, 0x7fffffff, v3
	v_cmp_gt_u32_e32 vcc, s6, v4
	s_and_saveexec_b64 s[6:7], vcc
	s_cbranch_execz .LBB369_85
; %bb.80:
	s_mov_b32 s8, 0x37ffffff
	v_cmp_lt_u32_e32 vcc, s8, v4
	s_mov_b64 s[8:9], 0
                                        ; implicit-def: $vgpr4
	s_and_saveexec_b64 s[10:11], vcc
	s_xor_b64 s[10:11], exec, s[10:11]
	s_cbranch_execz .LBB369_309
; %bb.81:
	v_bfe_u32 v4, v3, 21, 1
	s_mov_b32 s14, 0x88fffff
	v_add3_u32 v4, v3, v4, s14
	s_mov_b64 s[8:9], exec
	v_lshrrev_b32_e32 v4, 21, v4
	s_andn2_saveexec_b64 s[10:11], s[10:11]
	s_cbranch_execnz .LBB369_310
.LBB369_82:
	s_or_b64 exec, exec, s[10:11]
	v_mov_b32_e32 v5, 0
	s_and_saveexec_b64 s[10:11], s[8:9]
.LBB369_83:
	v_lshrrev_b32_e32 v3, 24, v3
	s_movk_i32 s8, 0x80
	v_and_or_b32 v5, v3, s8, v4
.LBB369_84:
	s_or_b64 exec, exec, s[10:11]
.LBB369_85:
	s_or_b64 exec, exec, s[6:7]
	s_mov_b64 s[6:7], 0
	global_store_byte v[0:1], v5, off
.LBB369_86:
	s_and_b64 vcc, exec, s[6:7]
	s_cbranch_vccz .LBB369_96
; %bb.87:
	v_cvt_f32_i32_e32 v3, v2
	s_mov_b32 s6, 0x43f00000
                                        ; implicit-def: $vgpr4
	v_and_b32_e32 v5, 0x7fffffff, v3
	v_cmp_gt_u32_e32 vcc, s6, v5
	s_and_saveexec_b64 s[6:7], vcc
	s_xor_b64 s[6:7], exec, s[6:7]
	s_cbranch_execz .LBB369_93
; %bb.88:
	s_mov_b32 s8, 0x3c7fffff
	v_cmp_lt_u32_e32 vcc, s8, v5
                                        ; implicit-def: $vgpr4
	s_and_saveexec_b64 s[8:9], vcc
	s_xor_b64 s[8:9], exec, s[8:9]
; %bb.89:
	v_bfe_u32 v4, v3, 20, 1
	s_mov_b32 s10, 0x407ffff
	v_add3_u32 v4, v3, v4, s10
	v_lshrrev_b32_e32 v5, 20, v4
	v_and_b32_e32 v4, 0xff00000, v4
	s_mov_b32 s10, 0x7f00000
	v_mov_b32_e32 v6, 0x7e
	v_cmp_ne_u32_e32 vcc, s10, v4
	s_nop 1
	v_cndmask_b32_e32 v4, v6, v5, vcc
; %bb.90:
	s_andn2_saveexec_b64 s[8:9], s[8:9]
; %bb.91:
	s_mov_b32 s10, 0x46800000
	v_add_f32_e64 v4, |v3|, s10
; %bb.92:
	s_or_b64 exec, exec, s[8:9]
                                        ; implicit-def: $vgpr5
.LBB369_93:
	s_andn2_saveexec_b64 s[6:7], s[6:7]
; %bb.94:
	s_mov_b32 s8, 0x7f800000
	v_mov_b32_e32 v4, 0x7e
	v_mov_b32_e32 v6, 0x7f
	v_cmp_lt_u32_e32 vcc, s8, v5
	s_nop 1
	v_cndmask_b32_e32 v4, v4, v6, vcc
; %bb.95:
	s_or_b64 exec, exec, s[6:7]
	v_lshrrev_b32_e32 v3, 24, v3
	s_movk_i32 s6, 0x80
	v_and_or_b32 v3, v3, s6, v4
	global_store_byte v[0:1], v3, off
.LBB369_96:
	s_mov_b64 s[6:7], 0
.LBB369_97:
	s_andn2_b64 vcc, exec, s[6:7]
	s_cbranch_vccnz .LBB369_107
; %bb.98:
	v_cvt_f32_i32_e32 v3, v2
	s_mov_b32 s6, 0x47800000
                                        ; implicit-def: $vgpr4
	v_and_b32_e32 v5, 0x7fffffff, v3
	v_cmp_gt_u32_e32 vcc, s6, v5
	s_and_saveexec_b64 s[6:7], vcc
	s_xor_b64 s[6:7], exec, s[6:7]
	s_cbranch_execz .LBB369_104
; %bb.99:
	s_mov_b32 s8, 0x387fffff
	v_cmp_lt_u32_e32 vcc, s8, v5
                                        ; implicit-def: $vgpr4
	s_and_saveexec_b64 s[8:9], vcc
	s_xor_b64 s[8:9], exec, s[8:9]
; %bb.100:
	v_bfe_u32 v4, v3, 21, 1
	s_mov_b32 s10, 0x80fffff
	v_add3_u32 v4, v3, v4, s10
	v_lshrrev_b32_e32 v4, 21, v4
; %bb.101:
	s_andn2_saveexec_b64 s[8:9], s[8:9]
; %bb.102:
	s_mov_b32 s10, 0x43000000
	v_add_f32_e64 v4, |v3|, s10
; %bb.103:
	s_or_b64 exec, exec, s[8:9]
                                        ; implicit-def: $vgpr5
.LBB369_104:
	s_andn2_saveexec_b64 s[6:7], s[6:7]
; %bb.105:
	s_mov_b32 s8, 0x7f800000
	v_mov_b32_e32 v4, 0x7c
	v_mov_b32_e32 v6, 0x7f
	v_cmp_lt_u32_e32 vcc, s8, v5
	s_nop 1
	v_cndmask_b32_e32 v4, v4, v6, vcc
; %bb.106:
	s_or_b64 exec, exec, s[6:7]
	v_lshrrev_b32_e32 v3, 24, v3
	s_movk_i32 s6, 0x80
	v_and_or_b32 v3, v3, s6, v4
	global_store_byte v[0:1], v3, off
.LBB369_107:
	s_mov_b64 s[8:9], 0
	s_mov_b64 s[6:7], -1
.LBB369_108:
	s_andn2_b64 vcc, exec, s[8:9]
	s_cbranch_vccnz .LBB369_116
; %bb.109:
	s_cmp_gt_i32 s13, 14
	s_mov_b64 s[8:9], -1
	s_cbranch_scc0 .LBB369_113
; %bb.110:
	s_cmp_eq_u32 s13, 15
	s_mov_b64 s[2:3], -1
	s_cbranch_scc0 .LBB369_112
; %bb.111:
	v_cvt_f32_i32_e32 v3, v2
	s_movk_i32 s2, 0x7fff
	s_mov_b64 s[6:7], -1
	v_bfe_u32 v4, v3, 16, 1
	v_add3_u32 v3, v3, v4, s2
	global_store_short_d16_hi v[0:1], v3, off
	s_mov_b64 s[2:3], 0
.LBB369_112:
	s_mov_b64 s[8:9], 0
.LBB369_113:
	s_and_b64 vcc, exec, s[8:9]
	s_cbranch_vccz .LBB369_116
; %bb.114:
	s_cmp_eq_u32 s13, 11
	s_mov_b64 s[2:3], -1
	s_cbranch_scc0 .LBB369_116
; %bb.115:
	v_cmp_ne_u32_e32 vcc, 0, v2
	s_mov_b64 s[6:7], -1
	s_mov_b64 s[2:3], 0
	v_cndmask_b32_e64 v3, 0, 1, vcc
	global_store_byte v[0:1], v3, off
.LBB369_116:
	s_branch .LBB369_35
.LBB369_117:
	s_and_b32 s8, 0xffff, s12
	s_cmp_lt_i32 s8, 5
	s_mov_b64 s[6:7], -1
	s_cbranch_scc1 .LBB369_138
; %bb.118:
	s_cmp_lt_i32 s8, 8
	s_cbranch_scc1 .LBB369_128
; %bb.119:
	s_cmp_lt_i32 s8, 9
	s_cbranch_scc1 .LBB369_125
; %bb.120:
	s_cmp_gt_i32 s8, 9
	s_cbranch_scc0 .LBB369_122
; %bb.121:
	v_mov_b32_e32 v6, 0
	v_cvt_f64_i32_e32 v[4:5], v2
	v_mov_b32_e32 v7, v6
	global_store_dwordx4 v[0:1], v[4:7], off
	s_mov_b64 s[6:7], 0
.LBB369_122:
	s_andn2_b64 vcc, exec, s[6:7]
	s_cbranch_vccnz .LBB369_124
; %bb.123:
	v_cvt_f32_i32_e32 v4, v2
	v_mov_b32_e32 v5, 0
	global_store_dwordx2 v[0:1], v[4:5], off
.LBB369_124:
	s_mov_b64 s[6:7], 0
.LBB369_125:
	s_andn2_b64 vcc, exec, s[6:7]
	s_cbranch_vccnz .LBB369_127
; %bb.126:
	v_cvt_f32_i32_e32 v3, v2
	v_cvt_f16_f32_e32 v3, v3
	global_store_dword v[0:1], v3, off
.LBB369_127:
	s_mov_b64 s[6:7], 0
.LBB369_128:
	s_andn2_b64 vcc, exec, s[6:7]
	s_cbranch_vccnz .LBB369_137
; %bb.129:
	s_cmp_lt_i32 s8, 6
	s_mov_b64 s[6:7], -1
	s_cbranch_scc1 .LBB369_135
; %bb.130:
	s_cmp_gt_i32 s8, 6
	s_cbranch_scc0 .LBB369_132
; %bb.131:
	v_cvt_f64_i32_e32 v[4:5], v2
	global_store_dwordx2 v[0:1], v[4:5], off
	s_mov_b64 s[6:7], 0
.LBB369_132:
	s_andn2_b64 vcc, exec, s[6:7]
	s_cbranch_vccnz .LBB369_134
; %bb.133:
	v_cvt_f32_i32_e32 v3, v2
	global_store_dword v[0:1], v3, off
.LBB369_134:
	s_mov_b64 s[6:7], 0
.LBB369_135:
	s_andn2_b64 vcc, exec, s[6:7]
	s_cbranch_vccnz .LBB369_137
; %bb.136:
	v_cvt_f32_i32_e32 v3, v2
	v_cvt_f16_f32_e32 v3, v3
	global_store_short v[0:1], v3, off
.LBB369_137:
	s_mov_b64 s[6:7], 0
.LBB369_138:
	s_andn2_b64 vcc, exec, s[6:7]
	s_cbranch_vccnz .LBB369_154
; %bb.139:
	s_cmp_lt_i32 s8, 2
	s_mov_b64 s[6:7], -1
	s_cbranch_scc1 .LBB369_149
; %bb.140:
	s_cmp_lt_i32 s8, 3
	s_cbranch_scc1 .LBB369_146
; %bb.141:
	s_cmp_gt_i32 s8, 3
	s_cbranch_scc0 .LBB369_143
; %bb.142:
	v_ashrrev_i32_e32 v3, 31, v2
	global_store_dwordx2 v[0:1], v[2:3], off
	s_mov_b64 s[6:7], 0
.LBB369_143:
	s_andn2_b64 vcc, exec, s[6:7]
	s_cbranch_vccnz .LBB369_145
; %bb.144:
	global_store_dword v[0:1], v2, off
.LBB369_145:
	s_mov_b64 s[6:7], 0
.LBB369_146:
	s_andn2_b64 vcc, exec, s[6:7]
	s_cbranch_vccnz .LBB369_148
; %bb.147:
	global_store_short v[0:1], v2, off
.LBB369_148:
	s_mov_b64 s[6:7], 0
.LBB369_149:
	s_andn2_b64 vcc, exec, s[6:7]
	s_cbranch_vccnz .LBB369_154
; %bb.150:
	s_cmp_gt_i32 s8, 0
	s_mov_b64 s[6:7], -1
	s_cbranch_scc0 .LBB369_152
; %bb.151:
	global_store_byte v[0:1], v2, off
	s_mov_b64 s[6:7], 0
.LBB369_152:
	s_andn2_b64 vcc, exec, s[6:7]
	s_cbranch_vccnz .LBB369_154
; %bb.153:
	global_store_byte v[0:1], v2, off
.LBB369_154:
.LBB369_155:
	v_add_u32_e32 v8, 0x80, v8
	s_mov_b64 s[6:7], -1
	s_branch .LBB369_262
.LBB369_156:
	s_mov_b64 s[4:5], -1
                                        ; implicit-def: $vgpr1
.LBB369_157:
	s_mov_b64 s[6:7], 0
.LBB369_158:
	s_and_b64 vcc, exec, s[6:7]
	s_cbranch_vccz .LBB369_162
; %bb.159:
	s_cmp_eq_u32 s8, 29
	s_cbranch_scc0 .LBB369_161
; %bb.160:
	global_load_dword v1, v[2:3], off
	s_mov_b64 s[2:3], -1
	s_mov_b64 s[4:5], 0
	s_branch .LBB369_162
.LBB369_161:
	s_mov_b64 s[4:5], -1
                                        ; implicit-def: $vgpr1
.LBB369_162:
	s_mov_b64 s[6:7], 0
.LBB369_163:
	s_and_b64 vcc, exec, s[6:7]
	s_cbranch_vccz .LBB369_179
; %bb.164:
	s_cmp_lt_i32 s8, 27
	s_cbranch_scc1 .LBB369_167
; %bb.165:
	s_cmp_gt_i32 s8, 27
	s_cbranch_scc0 .LBB369_168
; %bb.166:
	global_load_dword v1, v[2:3], off
	s_mov_b64 s[2:3], 0
	s_branch .LBB369_169
.LBB369_167:
	s_mov_b64 s[2:3], -1
                                        ; implicit-def: $vgpr1
	s_branch .LBB369_172
.LBB369_168:
	s_mov_b64 s[2:3], -1
                                        ; implicit-def: $vgpr1
.LBB369_169:
	s_andn2_b64 vcc, exec, s[2:3]
	s_cbranch_vccnz .LBB369_171
; %bb.170:
	global_load_ushort v1, v[2:3], off
.LBB369_171:
	s_mov_b64 s[2:3], 0
.LBB369_172:
	s_andn2_b64 vcc, exec, s[2:3]
	s_cbranch_vccnz .LBB369_178
; %bb.173:
	global_load_ubyte v4, v[2:3], off
	s_movk_i32 s2, 0x7f
	s_mov_b64 s[6:7], 0
	s_waitcnt vmcnt(0)
	v_cmp_lt_i16_e32 vcc, s2, v4
	s_and_saveexec_b64 s[2:3], vcc
	s_xor_b64 s[2:3], exec, s[2:3]
	s_cbranch_execz .LBB369_189
; %bb.174:
	s_movk_i32 s6, 0x80
	v_cmp_ne_u16_e32 vcc, s6, v4
	s_and_b64 s[6:7], vcc, exec
	s_andn2_saveexec_b64 s[2:3], s[2:3]
	s_cbranch_execnz .LBB369_190
.LBB369_175:
	s_or_b64 exec, exec, s[2:3]
	v_mov_b32_e32 v1, 0
	s_and_saveexec_b64 s[2:3], s[6:7]
	s_cbranch_execz .LBB369_177
.LBB369_176:
	v_lshlrev_b32_e32 v1, 24, v4
	v_and_b32_e32 v4, 0xffff, v4
	v_and_b32_e32 v5, 7, v4
	v_ffbh_u32_e32 v7, v5
	v_min_u32_e32 v7, 32, v7
	v_subrev_u32_e32 v9, 28, v7
	v_bfe_u32 v6, v4, 3, 4
	v_lshlrev_b32_e32 v4, v9, v4
	v_sub_u32_e32 v7, 29, v7
	v_and_b32_e32 v4, 7, v4
	v_cmp_eq_u32_e32 vcc, 0, v6
	v_and_b32_e32 v1, 0x80000000, v1
	s_nop 0
	v_cndmask_b32_e32 v6, v6, v7, vcc
	v_cndmask_b32_e32 v4, v5, v4, vcc
	v_mov_b32_e32 v5, 0x3b800000
	v_lshlrev_b32_e32 v4, 20, v4
	v_lshl_add_u32 v5, v6, 23, v5
	v_or3_b32 v1, v1, v5, v4
	v_cvt_i32_f32_e32 v1, v1
.LBB369_177:
	s_or_b64 exec, exec, s[2:3]
.LBB369_178:
	s_mov_b64 s[2:3], -1
.LBB369_179:
	s_branch .LBB369_212
.LBB369_180:
	s_cmp_gt_i32 s8, 22
	s_cbranch_scc0 .LBB369_188
; %bb.181:
	s_cmp_lt_i32 s8, 24
	s_cbranch_scc1 .LBB369_191
; %bb.182:
	s_cmp_gt_i32 s8, 24
	s_cbranch_scc0 .LBB369_192
; %bb.183:
	global_load_ubyte v4, v[2:3], off
	s_movk_i32 s2, 0x7f
	s_mov_b64 s[6:7], 0
	s_waitcnt vmcnt(0)
	v_cmp_lt_i16_e32 vcc, s2, v4
	s_and_saveexec_b64 s[2:3], vcc
	s_xor_b64 s[2:3], exec, s[2:3]
	s_cbranch_execz .LBB369_204
; %bb.184:
	s_movk_i32 s6, 0x80
	v_cmp_ne_u16_e32 vcc, s6, v4
	s_and_b64 s[6:7], vcc, exec
	s_andn2_saveexec_b64 s[2:3], s[2:3]
	s_cbranch_execnz .LBB369_205
.LBB369_185:
	s_or_b64 exec, exec, s[2:3]
	v_mov_b32_e32 v1, 0
	s_and_saveexec_b64 s[2:3], s[6:7]
	s_cbranch_execz .LBB369_187
.LBB369_186:
	v_lshlrev_b32_e32 v1, 24, v4
	v_and_b32_e32 v4, 0xffff, v4
	v_and_b32_e32 v5, 3, v4
	v_ffbh_u32_e32 v7, v5
	v_min_u32_e32 v7, 32, v7
	v_subrev_u32_e32 v9, 29, v7
	v_bfe_u32 v6, v4, 2, 5
	v_lshlrev_b32_e32 v4, v9, v4
	v_sub_u32_e32 v7, 30, v7
	v_and_b32_e32 v4, 3, v4
	v_cmp_eq_u32_e32 vcc, 0, v6
	v_and_b32_e32 v1, 0x80000000, v1
	s_nop 0
	v_cndmask_b32_e32 v6, v6, v7, vcc
	v_cndmask_b32_e32 v4, v5, v4, vcc
	v_mov_b32_e32 v5, 0x37800000
	v_lshlrev_b32_e32 v4, 21, v4
	v_lshl_add_u32 v5, v6, 23, v5
	v_or3_b32 v1, v1, v5, v4
	v_cvt_i32_f32_e32 v1, v1
.LBB369_187:
	s_or_b64 exec, exec, s[2:3]
	s_mov_b64 s[2:3], 0
	s_branch .LBB369_193
.LBB369_188:
	s_mov_b64 s[6:7], -1
                                        ; implicit-def: $vgpr1
	s_branch .LBB369_199
.LBB369_189:
	s_andn2_saveexec_b64 s[2:3], s[2:3]
	s_cbranch_execz .LBB369_175
.LBB369_190:
	v_cmp_ne_u16_e32 vcc, 0, v4
	s_andn2_b64 s[6:7], s[6:7], exec
	s_and_b64 s[10:11], vcc, exec
	s_or_b64 s[6:7], s[6:7], s[10:11]
	s_or_b64 exec, exec, s[2:3]
	v_mov_b32_e32 v1, 0
	s_and_saveexec_b64 s[2:3], s[6:7]
	s_cbranch_execnz .LBB369_176
	s_branch .LBB369_177
.LBB369_191:
	s_mov_b64 s[2:3], -1
                                        ; implicit-def: $vgpr1
	s_branch .LBB369_196
.LBB369_192:
	s_mov_b64 s[2:3], -1
                                        ; implicit-def: $vgpr1
.LBB369_193:
	s_and_b64 vcc, exec, s[2:3]
	s_cbranch_vccz .LBB369_195
; %bb.194:
	global_load_ubyte v1, v[2:3], off
	s_mov_b32 s2, 0x7f800000
	s_waitcnt vmcnt(0)
	v_lshlrev_b32_e32 v1, 24, v1
	v_and_b32_e32 v4, 0x7f000000, v1
	v_ffbh_u32_e32 v5, v4
	v_min_u32_e32 v5, 32, v5
	v_sub_u32_e64 v5, v5, 4 clamp
	v_lshlrev_b32_e32 v7, v5, v4
	v_lshlrev_b32_e32 v5, 23, v5
	v_lshrrev_b32_e32 v7, 4, v7
	v_add_u32_e32 v6, 0x1000000, v4
	v_sub_u32_e32 v5, v7, v5
	v_ashrrev_i32_e32 v6, 8, v6
	v_add_u32_e32 v5, 0x3c000000, v5
	v_and_or_b32 v5, v6, s2, v5
	v_cmp_ne_u32_e32 vcc, 0, v4
	s_brev_b32 s2, 1
	s_nop 0
	v_cndmask_b32_e32 v4, 0, v5, vcc
	v_and_or_b32 v1, v1, s2, v4
	v_cvt_i32_f32_e32 v1, v1
.LBB369_195:
	s_mov_b64 s[2:3], 0
.LBB369_196:
	s_andn2_b64 vcc, exec, s[2:3]
	s_cbranch_vccnz .LBB369_198
; %bb.197:
	global_load_ubyte v1, v[2:3], off
	s_movk_i32 s2, 0x7f00
	s_brev_b32 s3, 16
	s_waitcnt vmcnt(0)
	v_lshlrev_b16_e32 v4, 8, v1
	v_lshlrev_b32_e32 v1, 25, v1
	v_lshrrev_b32_e32 v5, 4, v1
	v_and_or_b32 v6, v4, s2, 0.5
	v_or_b32_e32 v5, 0x70000000, v5
	v_add_f32_e32 v6, -0.5, v6
	v_mul_f32_e32 v5, 0x7800000, v5
	v_cmp_gt_u32_e32 vcc, s3, v1
	v_bfe_i32 v4, v4, 0, 16
	s_brev_b32 s2, 1
	v_cndmask_b32_e32 v1, v5, v6, vcc
	v_and_or_b32 v1, v4, s2, v1
	v_cvt_i32_f32_e32 v1, v1
.LBB369_198:
	s_mov_b64 s[6:7], 0
	s_mov_b64 s[2:3], -1
.LBB369_199:
	s_andn2_b64 vcc, exec, s[6:7]
	s_cbranch_vccnz .LBB369_212
; %bb.200:
	s_cmp_gt_i32 s8, 14
	s_cbranch_scc0 .LBB369_203
; %bb.201:
	s_cmp_eq_u32 s8, 15
	s_cbranch_scc0 .LBB369_206
; %bb.202:
	global_load_ushort v1, v[2:3], off
	s_mov_b64 s[2:3], -1
	s_mov_b64 s[4:5], 0
	s_waitcnt vmcnt(0)
	v_lshlrev_b32_e32 v1, 16, v1
	v_cvt_i32_f32_e32 v1, v1
	s_branch .LBB369_207
.LBB369_203:
	s_mov_b64 s[6:7], -1
                                        ; implicit-def: $vgpr1
	s_branch .LBB369_208
.LBB369_204:
	s_andn2_saveexec_b64 s[2:3], s[2:3]
	s_cbranch_execz .LBB369_185
.LBB369_205:
	v_cmp_ne_u16_e32 vcc, 0, v4
	s_andn2_b64 s[6:7], s[6:7], exec
	s_and_b64 s[10:11], vcc, exec
	s_or_b64 s[6:7], s[6:7], s[10:11]
	s_or_b64 exec, exec, s[2:3]
	v_mov_b32_e32 v1, 0
	s_and_saveexec_b64 s[2:3], s[6:7]
	s_cbranch_execnz .LBB369_186
	s_branch .LBB369_187
.LBB369_206:
	s_mov_b64 s[4:5], -1
                                        ; implicit-def: $vgpr1
.LBB369_207:
	s_mov_b64 s[6:7], 0
.LBB369_208:
	s_and_b64 vcc, exec, s[6:7]
	s_cbranch_vccz .LBB369_212
; %bb.209:
	s_cmp_eq_u32 s8, 11
	s_cbranch_scc0 .LBB369_211
; %bb.210:
	global_load_ubyte v1, v[2:3], off
	s_mov_b64 s[2:3], -1
	s_mov_b64 s[4:5], 0
	s_waitcnt vmcnt(0)
	v_cmp_ne_u16_e32 vcc, 0, v1
	s_nop 1
	v_cndmask_b32_e64 v1, 0, 1, vcc
	s_branch .LBB369_212
.LBB369_211:
	s_mov_b64 s[4:5], -1
                                        ; implicit-def: $vgpr1
.LBB369_212:
	s_branch .LBB369_25
.LBB369_213:
	s_cmp_lt_i32 s8, 5
	s_cbranch_scc1 .LBB369_218
; %bb.214:
	s_cmp_lt_i32 s8, 8
	s_cbranch_scc1 .LBB369_219
; %bb.215:
	;; [unrolled: 3-line block ×3, first 2 shown]
	s_cmp_gt_i32 s8, 9
	s_cbranch_scc0 .LBB369_221
; %bb.217:
	global_load_dwordx2 v[4:5], v[2:3], off
	s_mov_b64 s[2:3], 0
	s_waitcnt vmcnt(0)
	v_cvt_i32_f64_e32 v1, v[4:5]
	s_branch .LBB369_222
.LBB369_218:
                                        ; implicit-def: $vgpr1
	s_branch .LBB369_240
.LBB369_219:
	s_mov_b64 s[2:3], -1
                                        ; implicit-def: $vgpr1
	s_branch .LBB369_228
.LBB369_220:
	s_mov_b64 s[2:3], -1
                                        ; implicit-def: $vgpr1
	s_branch .LBB369_225
.LBB369_221:
	s_mov_b64 s[2:3], -1
                                        ; implicit-def: $vgpr1
.LBB369_222:
	s_andn2_b64 vcc, exec, s[2:3]
	s_cbranch_vccnz .LBB369_224
; %bb.223:
	global_load_dword v1, v[2:3], off
	s_waitcnt vmcnt(0)
	v_cvt_i32_f32_e32 v1, v1
.LBB369_224:
	s_mov_b64 s[2:3], 0
.LBB369_225:
	s_andn2_b64 vcc, exec, s[2:3]
	s_cbranch_vccnz .LBB369_227
; %bb.226:
	global_load_dword v1, v[2:3], off
	s_waitcnt vmcnt(0)
	v_cvt_f32_f16_e32 v1, v1
	v_cvt_i32_f32_e32 v1, v1
.LBB369_227:
	s_mov_b64 s[2:3], 0
.LBB369_228:
	s_andn2_b64 vcc, exec, s[2:3]
	s_cbranch_vccnz .LBB369_239
; %bb.229:
	s_cmp_lt_i32 s8, 6
	s_cbranch_scc1 .LBB369_232
; %bb.230:
	s_cmp_gt_i32 s8, 6
	s_cbranch_scc0 .LBB369_233
; %bb.231:
	global_load_dwordx2 v[4:5], v[2:3], off
	s_mov_b64 s[2:3], 0
	s_waitcnt vmcnt(0)
	v_cvt_i32_f64_e32 v1, v[4:5]
	s_branch .LBB369_234
.LBB369_232:
	s_mov_b64 s[2:3], -1
                                        ; implicit-def: $vgpr1
	s_branch .LBB369_237
.LBB369_233:
	s_mov_b64 s[2:3], -1
                                        ; implicit-def: $vgpr1
.LBB369_234:
	s_andn2_b64 vcc, exec, s[2:3]
	s_cbranch_vccnz .LBB369_236
; %bb.235:
	global_load_dword v1, v[2:3], off
	s_waitcnt vmcnt(0)
	v_cvt_i32_f32_e32 v1, v1
.LBB369_236:
	s_mov_b64 s[2:3], 0
.LBB369_237:
	s_andn2_b64 vcc, exec, s[2:3]
	s_cbranch_vccnz .LBB369_239
; %bb.238:
	global_load_ushort v1, v[2:3], off
	s_waitcnt vmcnt(0)
	v_cvt_f32_f16_e32 v1, v1
	v_cvt_i32_f32_e32 v1, v1
.LBB369_239:
	s_cbranch_execnz .LBB369_259
.LBB369_240:
	s_cmp_lt_i32 s8, 2
	s_cbranch_scc1 .LBB369_244
; %bb.241:
	s_cmp_lt_i32 s8, 3
	s_cbranch_scc1 .LBB369_245
; %bb.242:
	s_cmp_gt_i32 s8, 3
	s_cbranch_scc0 .LBB369_246
; %bb.243:
	global_load_dword v1, v[2:3], off
	s_mov_b64 s[2:3], 0
	s_branch .LBB369_247
.LBB369_244:
	s_mov_b64 s[2:3], -1
                                        ; implicit-def: $vgpr1
	s_branch .LBB369_253
.LBB369_245:
	s_mov_b64 s[2:3], -1
                                        ; implicit-def: $vgpr1
	s_branch .LBB369_250
.LBB369_246:
	s_mov_b64 s[2:3], -1
                                        ; implicit-def: $vgpr1
.LBB369_247:
	s_andn2_b64 vcc, exec, s[2:3]
	s_cbranch_vccnz .LBB369_249
; %bb.248:
	global_load_dword v1, v[2:3], off
.LBB369_249:
	s_mov_b64 s[2:3], 0
.LBB369_250:
	s_andn2_b64 vcc, exec, s[2:3]
	s_cbranch_vccnz .LBB369_252
; %bb.251:
	global_load_sshort v1, v[2:3], off
.LBB369_252:
	s_mov_b64 s[2:3], 0
.LBB369_253:
	s_andn2_b64 vcc, exec, s[2:3]
	s_cbranch_vccnz .LBB369_259
; %bb.254:
	s_cmp_gt_i32 s8, 0
	s_cbranch_scc0 .LBB369_256
; %bb.255:
	global_load_sbyte v1, v[2:3], off
	s_mov_b64 s[2:3], 0
	s_branch .LBB369_257
.LBB369_256:
	s_mov_b64 s[2:3], -1
                                        ; implicit-def: $vgpr1
.LBB369_257:
	s_andn2_b64 vcc, exec, s[2:3]
	s_cbranch_vccnz .LBB369_259
; %bb.258:
	global_load_ubyte v1, v[2:3], off
.LBB369_259:
	s_branch .LBB369_26
.LBB369_260:
	s_mov_b64 s[2:3], 0
.LBB369_261:
	s_mov_b64 s[6:7], 0
                                        ; implicit-def: $vgpr8
.LBB369_262:
	s_and_b64 s[56:57], s[2:3], exec
	s_and_b64 s[58:59], s[4:5], exec
	s_orn2_b64 s[4:5], s[6:7], exec
.LBB369_263:
	s_or_b64 exec, exec, s[60:61]
	s_mov_b64 s[8:9], 0
	s_mov_b64 s[2:3], 0
                                        ; implicit-def: $vgpr2_vgpr3
                                        ; implicit-def: $vgpr0
                                        ; implicit-def: $vgpr1
	s_and_saveexec_b64 s[60:61], s[4:5]
	s_cbranch_execz .LBB369_271
; %bb.264:
	v_cmp_gt_i32_e32 vcc, s72, v8
	s_mov_b64 s[2:3], -1
	s_mov_b64 s[62:63], s[58:59]
	s_mov_b64 s[64:65], s[56:57]
	s_and_saveexec_b64 s[66:67], vcc
	s_cbranch_execz .LBB369_536
; %bb.265:
	s_andn2_b64 vcc, exec, s[42:43]
	s_cbranch_vccnz .LBB369_274
; %bb.266:
	s_andn2_b64 vcc, exec, s[54:55]
	s_cbranch_vccnz .LBB369_275
; %bb.267:
	s_add_i32 s65, s76, 1
	s_cmp_eq_u32 s74, 2
	s_cbranch_scc1 .LBB369_276
; %bb.268:
	s_and_b32 s64, s65, 28
	s_mov_b32 s68, 0
	v_mov_b32_e32 v0, 0
	v_mov_b32_e32 v2, 0
	s_mov_b64 s[2:3], s[34:35]
	s_mov_b64 s[62:63], s[52:53]
	v_mov_b32_e32 v4, v8
.LBB369_269:                            ; =>This Inner Loop Header: Depth=1
	s_load_dwordx8 s[12:19], s[2:3], 0x4
	s_load_dwordx4 s[36:39], s[2:3], 0x24
	s_load_dwordx8 s[4:11], s[62:63], 0x0
	s_add_u32 s2, s2, 48
	s_addc_u32 s3, s3, 0
	s_waitcnt vmcnt(0) lgkmcnt(0)
	v_mul_hi_u32 v1, s13, v4
	v_add_u32_e32 v1, v4, v1
	v_lshrrev_b32_e32 v1, s14, v1
	v_mul_lo_u32 v3, v1, s12
	v_mul_hi_u32 v5, s16, v1
	v_sub_u32_e32 v3, v4, v3
	v_add_u32_e32 v4, v1, v5
	v_lshrrev_b32_e32 v4, s17, v4
	v_mul_lo_u32 v6, v4, s15
	v_mul_hi_u32 v7, s19, v4
	v_sub_u32_e32 v1, v1, v6
	v_add_u32_e32 v6, v4, v7
	v_mul_lo_u32 v5, v3, s5
	v_mul_lo_u32 v3, v3, s4
	;; [unrolled: 1-line block ×4, first 2 shown]
	v_lshrrev_b32_e32 v6, s36, v6
	v_add3_u32 v0, v3, v0, v1
	v_mul_hi_u32 v3, s38, v6
	v_add3_u32 v1, v5, v2, v7
	v_mul_lo_u32 v2, v6, s18
	v_add_u32_e32 v3, v6, v3
	v_sub_u32_e32 v2, v4, v2
	v_lshrrev_b32_e32 v4, s39, v3
	s_add_i32 s68, s68, 4
	v_mul_lo_u32 v3, v4, s37
	s_add_u32 s62, s62, 32
	v_sub_u32_e32 v3, v6, v3
	s_addc_u32 s63, s63, 0
	v_mul_lo_u32 v5, v2, s8
	v_mul_lo_u32 v2, v2, s9
	;; [unrolled: 1-line block ×4, first 2 shown]
	s_cmp_eq_u32 s64, s68
	v_add3_u32 v2, v2, v1, v3
	v_add3_u32 v0, v5, v0, v6
	s_cbranch_scc0 .LBB369_269
; %bb.270:
	v_mov_b32_e32 v1, v2
	s_branch .LBB369_277
.LBB369_271:
	s_or_b64 exec, exec, s[60:61]
	s_mov_b64 s[4:5], 0
	s_and_saveexec_b64 s[6:7], s[58:59]
	s_cbranch_execnz .LBB369_906
.LBB369_272:
	s_or_b64 exec, exec, s[6:7]
	s_and_saveexec_b64 s[6:7], s[64:65]
	s_xor_b64 s[6:7], exec, s[6:7]
	s_cbranch_execz .LBB369_907
.LBB369_273:
	global_load_ubyte v1, v[2:3], off
	s_or_b64 s[2:3], s[2:3], exec
	s_waitcnt vmcnt(0)
	v_cmp_ne_u16_e32 vcc, 0, v1
	s_nop 1
	v_cndmask_b32_e64 v1, 0, 1, vcc
	s_or_b64 exec, exec, s[6:7]
	s_and_saveexec_b64 s[6:7], s[8:9]
	s_cbranch_execz .LBB369_953
	s_branch .LBB369_908
.LBB369_274:
                                        ; implicit-def: $vgpr2
                                        ; implicit-def: $vgpr0
	s_andn2_b64 vcc, exec, s[2:3]
	s_cbranch_vccz .LBB369_281
	s_branch .LBB369_283
.LBB369_275:
	v_mov_b32_e32 v2, 0
	v_mov_b32_e32 v0, 0
	s_branch .LBB369_280
.LBB369_276:
	v_mov_b32_e32 v0, 0
	s_mov_b32 s64, 0
	s_waitcnt vmcnt(0)
	v_mov_b32_e32 v1, v0
                                        ; implicit-def: $vgpr2
	v_mov_b32_e32 v4, v8
.LBB369_277:
	s_and_b32 s6, s65, 3
	s_cmp_eq_u32 s6, 0
	s_cbranch_scc1 .LBB369_280
; %bb.278:
	s_lshl_b32 s2, s64, 3
	s_add_u32 s2, s34, s2
	s_addc_u32 s3, s35, 0
	s_add_u32 s2, s2, 0xc4
	s_addc_u32 s3, s3, 0
	s_mul_i32 s4, s64, 12
	s_add_u32 s4, s34, s4
	s_addc_u32 s5, s35, 0
.LBB369_279:                            ; =>This Inner Loop Header: Depth=1
	s_load_dwordx2 s[8:9], s[4:5], 0x4
	s_load_dword s7, s[4:5], 0xc
	s_load_dwordx2 s[10:11], s[2:3], 0x0
	v_mov_b32_e32 v2, v1
	s_add_u32 s4, s4, 12
	s_waitcnt lgkmcnt(0)
	v_mul_hi_u32 v1, s9, v4
	v_add_u32_e32 v1, v4, v1
	v_lshrrev_b32_e32 v1, s7, v1
	s_addc_u32 s5, s5, 0
	v_mul_lo_u32 v3, v1, s8
	s_add_u32 s2, s2, 8
	v_sub_u32_e32 v5, v4, v3
	s_addc_u32 s3, s3, 0
	s_add_i32 s6, s6, -1
	v_mov_b32_e32 v4, v1
	v_mad_u64_u32 v[2:3], s[8:9], v5, s11, v[2:3]
	v_mad_u64_u32 v[0:1], s[8:9], v5, s10, v[0:1]
	s_cmp_lg_u32 s6, 0
	v_mov_b32_e32 v1, v2
	s_cbranch_scc1 .LBB369_279
.LBB369_280:
	s_cbranch_execnz .LBB369_283
.LBB369_281:
	v_mul_hi_u32 v0, s25, v8
	v_add_u32_e32 v0, v8, v0
	s_waitcnt vmcnt(0)
	v_lshrrev_b32_e32 v1, s26, v0
	v_mul_lo_u32 v0, v1, s24
	v_sub_u32_e32 v0, v8, v0
	v_mul_lo_u32 v2, v0, s29
	s_andn2_b64 vcc, exec, s[50:51]
	v_mul_lo_u32 v0, v0, s28
	s_cbranch_vccnz .LBB369_283
; %bb.282:
	v_mul_hi_u32 v3, s48, v1
	v_add_u32_e32 v3, v1, v3
	v_lshrrev_b32_e32 v3, s49, v3
	v_mul_lo_u32 v3, v3, s27
	v_sub_u32_e32 v3, v1, v3
	v_mad_u64_u32 v[0:1], s[2:3], v3, s30, v[0:1]
	v_mad_u64_u32 v[2:3], s[2:3], v3, s31, v[2:3]
.LBB369_283:
	v_mov_b32_e32 v3, 0
	s_and_b32 s8, 0xffff, s75
	s_cmp_lt_i32 s8, 11
	v_lshl_add_u64 v[2:3], s[22:23], 0, v[2:3]
	s_cbranch_scc1 .LBB369_290
; %bb.284:
	s_cmp_gt_i32 s8, 25
	s_cbranch_scc0 .LBB369_299
; %bb.285:
	s_cmp_gt_i32 s8, 28
	s_cbranch_scc0 .LBB369_301
	;; [unrolled: 3-line block ×4, first 2 shown]
; %bb.288:
	s_cmp_eq_u32 s8, 46
	s_mov_b64 s[6:7], 0
	s_cbranch_scc0 .LBB369_311
; %bb.289:
	global_load_dword v1, v[2:3], off
	s_mov_b64 s[2:3], -1
	s_mov_b64 s[4:5], 0
	s_waitcnt vmcnt(0)
	v_lshlrev_b32_e32 v1, 16, v1
	v_cvt_i32_f32_e32 v1, v1
	s_branch .LBB369_312
.LBB369_290:
	s_mov_b64 s[2:3], 0
                                        ; implicit-def: $vgpr1
	s_mov_b64 s[4:5], s[58:59]
	s_cbranch_execnz .LBB369_485
.LBB369_291:
	s_andn2_b64 vcc, exec, s[2:3]
	s_cbranch_vccnz .LBB369_533
.LBB369_292:
	s_waitcnt vmcnt(0)
	v_max_i32_e32 v2, s46, v1
	v_mov_b32_e32 v1, 0
	s_and_b32 s12, s47, 0xff
	s_cmp_lt_i32 s12, 11
	v_lshl_add_u64 v[0:1], s[20:21], 0, v[0:1]
	s_cbranch_scc1 .LBB369_300
; %bb.293:
	s_and_b32 s13, 0xffff, s12
	s_cmp_gt_i32 s13, 25
	s_cbranch_scc0 .LBB369_302
; %bb.294:
	s_cmp_gt_i32 s13, 28
	s_cbranch_scc0 .LBB369_304
; %bb.295:
	;; [unrolled: 3-line block ×4, first 2 shown]
	s_mov_b64 s[8:9], 0
	s_mov_b64 s[2:3], -1
	s_cmp_eq_u32 s13, 46
	s_mov_b64 s[6:7], 0
	s_cbranch_scc0 .LBB369_316
; %bb.298:
	v_cvt_f32_i32_e32 v3, v2
	s_movk_i32 s2, 0x7fff
	s_mov_b64 s[6:7], -1
	v_bfe_u32 v4, v3, 16, 1
	v_add3_u32 v3, v3, v4, s2
	v_lshrrev_b32_e32 v3, 16, v3
	global_store_dword v[0:1], v3, off
	s_mov_b64 s[2:3], 0
	s_branch .LBB369_316
.LBB369_299:
	s_mov_b64 s[6:7], -1
	s_mov_b64 s[2:3], 0
	s_mov_b64 s[4:5], s[58:59]
                                        ; implicit-def: $vgpr1
	s_branch .LBB369_451
.LBB369_300:
	s_mov_b64 s[8:9], -1
	s_mov_b64 s[6:7], 0
	s_mov_b64 s[2:3], s[56:57]
	s_branch .LBB369_385
.LBB369_301:
	s_mov_b64 s[6:7], -1
	s_mov_b64 s[2:3], 0
	s_mov_b64 s[4:5], s[58:59]
                                        ; implicit-def: $vgpr1
	s_branch .LBB369_434
.LBB369_302:
	s_mov_b64 s[8:9], -1
	s_mov_b64 s[6:7], 0
	s_mov_b64 s[2:3], s[56:57]
	s_branch .LBB369_343
.LBB369_303:
	s_mov_b64 s[6:7], -1
	s_mov_b64 s[2:3], 0
	s_mov_b64 s[4:5], s[58:59]
                                        ; implicit-def: $vgpr1
	s_branch .LBB369_429
.LBB369_304:
	s_mov_b64 s[8:9], -1
	s_mov_b64 s[6:7], 0
	s_mov_b64 s[2:3], s[56:57]
	s_branch .LBB369_326
.LBB369_305:
	s_andn2_saveexec_b64 s[10:11], s[10:11]
	s_cbranch_execz .LBB369_69
.LBB369_306:
	s_mov_b32 s14, 0x46000000
	v_add_f32_e64 v4, |v3|, s14
	v_and_b32_e32 v4, 0xff, v4
	v_cmp_ne_u32_e32 vcc, 0, v4
	s_andn2_b64 s[8:9], s[8:9], exec
	s_and_b64 s[14:15], vcc, exec
	s_or_b64 s[8:9], s[8:9], s[14:15]
	s_or_b64 exec, exec, s[10:11]
	v_mov_b32_e32 v5, 0
	s_and_saveexec_b64 s[10:11], s[8:9]
	s_cbranch_execnz .LBB369_70
	s_branch .LBB369_71
.LBB369_307:
	s_mov_b64 s[6:7], -1
	s_mov_b64 s[2:3], 0
	s_mov_b64 s[4:5], s[58:59]
                                        ; implicit-def: $vgpr1
	s_branch .LBB369_312
.LBB369_308:
	s_mov_b64 s[8:9], -1
	s_mov_b64 s[6:7], 0
	s_mov_b64 s[2:3], s[56:57]
	s_branch .LBB369_322
.LBB369_309:
	s_andn2_saveexec_b64 s[10:11], s[10:11]
	s_cbranch_execz .LBB369_82
.LBB369_310:
	s_mov_b32 s14, 0x42800000
	v_add_f32_e64 v4, |v3|, s14
	v_and_b32_e32 v4, 0xff, v4
	v_cmp_ne_u32_e32 vcc, 0, v4
	s_andn2_b64 s[8:9], s[8:9], exec
	s_and_b64 s[14:15], vcc, exec
	s_or_b64 s[8:9], s[8:9], s[14:15]
	s_or_b64 exec, exec, s[10:11]
	v_mov_b32_e32 v5, 0
	s_and_saveexec_b64 s[10:11], s[8:9]
	s_cbranch_execnz .LBB369_83
	s_branch .LBB369_84
.LBB369_311:
	s_mov_b64 s[4:5], -1
                                        ; implicit-def: $vgpr1
	s_mov_b64 s[2:3], 0
.LBB369_312:
	s_and_b64 vcc, exec, s[6:7]
	s_cbranch_vccz .LBB369_428
; %bb.313:
	s_cmp_eq_u32 s8, 44
	s_cbranch_scc0 .LBB369_427
; %bb.314:
	global_load_ubyte v1, v[2:3], off
	s_mov_b64 s[2:3], -1
	s_mov_b64 s[4:5], 0
	s_waitcnt vmcnt(0)
	v_lshlrev_b32_e32 v4, 23, v1
	v_cvt_i32_f32_e32 v4, v4
	v_cmp_ne_u32_e32 vcc, 0, v1
	s_nop 1
	v_cndmask_b32_e32 v1, 0, v4, vcc
	s_branch .LBB369_428
.LBB369_315:
	s_mov_b64 s[8:9], -1
	s_mov_b64 s[6:7], 0
	s_mov_b64 s[2:3], s[56:57]
.LBB369_316:
	s_and_b64 vcc, exec, s[8:9]
	s_cbranch_vccz .LBB369_321
; %bb.317:
	s_cmp_eq_u32 s13, 44
	s_mov_b64 s[2:3], -1
	s_cbranch_scc0 .LBB369_321
; %bb.318:
	v_cvt_f32_i32_e32 v3, v2
	s_movk_i32 s2, 0xff
	v_mov_b32_e32 v5, 0xff
	v_bfe_u32 v4, v3, 23, 8
	v_cmp_ne_u32_e32 vcc, s2, v4
	s_and_saveexec_b64 s[6:7], vcc
; %bb.319:
	s_mov_b32 s2, 0x3fffff
	v_lshrrev_b32_e32 v5, 23, v3
	v_and_b32_e32 v6, 0x400000, v3
	v_and_or_b32 v3, v3, s2, v4
	v_cmp_ne_u32_e32 vcc, 0, v6
	v_cmp_ne_u32_e64 s[2:3], 0, v3
	s_and_b64 s[2:3], vcc, s[2:3]
	s_nop 0
	v_cndmask_b32_e64 v3, 0, 1, s[2:3]
	v_add_u32_e32 v5, v5, v3
; %bb.320:
	s_or_b64 exec, exec, s[6:7]
	s_mov_b64 s[6:7], -1
	s_mov_b64 s[2:3], 0
	global_store_byte v[0:1], v5, off
.LBB369_321:
	s_mov_b64 s[8:9], 0
.LBB369_322:
	s_and_b64 vcc, exec, s[8:9]
	s_cbranch_vccz .LBB369_325
; %bb.323:
	s_cmp_eq_u32 s13, 29
	s_mov_b64 s[2:3], -1
	s_cbranch_scc0 .LBB369_325
; %bb.324:
	v_ashrrev_i32_e32 v3, 31, v2
	global_store_dwordx2 v[0:1], v[2:3], off
	s_mov_b64 s[6:7], -1
	s_mov_b64 s[2:3], 0
.LBB369_325:
	s_mov_b64 s[8:9], 0
.LBB369_326:
	s_and_b64 vcc, exec, s[8:9]
	s_cbranch_vccz .LBB369_342
; %bb.327:
	s_cmp_lt_i32 s13, 27
	s_mov_b64 s[6:7], -1
	s_cbranch_scc1 .LBB369_333
; %bb.328:
	s_cmp_gt_i32 s13, 27
	s_cbranch_scc0 .LBB369_330
; %bb.329:
	s_mov_b64 s[6:7], 0
	global_store_dword v[0:1], v2, off
.LBB369_330:
	s_andn2_b64 vcc, exec, s[6:7]
	s_cbranch_vccnz .LBB369_332
; %bb.331:
	global_store_short v[0:1], v2, off
.LBB369_332:
	s_mov_b64 s[6:7], 0
.LBB369_333:
	s_andn2_b64 vcc, exec, s[6:7]
	s_cbranch_vccnz .LBB369_341
; %bb.334:
	v_cvt_f32_i32_e32 v3, v2
	s_mov_b32 s6, 0x43800000
	v_mov_b32_e32 v5, 0x80
	v_and_b32_e32 v4, 0x7fffffff, v3
	v_cmp_gt_u32_e32 vcc, s6, v4
	s_and_saveexec_b64 s[6:7], vcc
	s_cbranch_execz .LBB369_340
; %bb.335:
	s_mov_b32 s8, 0x3bffffff
	v_cmp_lt_u32_e32 vcc, s8, v4
	s_mov_b64 s[8:9], 0
                                        ; implicit-def: $vgpr4
	s_and_saveexec_b64 s[10:11], vcc
	s_xor_b64 s[10:11], exec, s[10:11]
	s_cbranch_execz .LBB369_565
; %bb.336:
	v_bfe_u32 v4, v3, 20, 1
	s_mov_b32 s14, 0x487ffff
	v_add3_u32 v4, v3, v4, s14
	s_mov_b64 s[8:9], exec
	v_lshrrev_b32_e32 v4, 20, v4
	s_andn2_saveexec_b64 s[10:11], s[10:11]
	s_cbranch_execnz .LBB369_566
.LBB369_337:
	s_or_b64 exec, exec, s[10:11]
	v_mov_b32_e32 v5, 0
	s_and_saveexec_b64 s[10:11], s[8:9]
.LBB369_338:
	v_lshrrev_b32_e32 v3, 24, v3
	s_movk_i32 s8, 0x80
	v_and_or_b32 v5, v3, s8, v4
.LBB369_339:
	s_or_b64 exec, exec, s[10:11]
.LBB369_340:
	s_or_b64 exec, exec, s[6:7]
	global_store_byte v[0:1], v5, off
.LBB369_341:
	s_mov_b64 s[6:7], -1
.LBB369_342:
	s_mov_b64 s[8:9], 0
.LBB369_343:
	s_and_b64 vcc, exec, s[8:9]
	s_cbranch_vccz .LBB369_384
; %bb.344:
	s_cmp_gt_i32 s13, 22
	s_mov_b64 s[8:9], -1
	s_cbranch_scc0 .LBB369_376
; %bb.345:
	s_cmp_lt_i32 s13, 24
	s_mov_b64 s[6:7], -1
	s_cbranch_scc1 .LBB369_365
; %bb.346:
	s_cmp_gt_i32 s13, 24
	s_cbranch_scc0 .LBB369_354
; %bb.347:
	v_cvt_f32_i32_e32 v3, v2
	s_mov_b32 s6, 0x47800000
	v_mov_b32_e32 v5, 0x80
	v_and_b32_e32 v4, 0x7fffffff, v3
	v_cmp_gt_u32_e32 vcc, s6, v4
	s_and_saveexec_b64 s[6:7], vcc
	s_cbranch_execz .LBB369_353
; %bb.348:
	s_mov_b32 s8, 0x37ffffff
	v_cmp_lt_u32_e32 vcc, s8, v4
	s_mov_b64 s[8:9], 0
                                        ; implicit-def: $vgpr4
	s_and_saveexec_b64 s[10:11], vcc
	s_xor_b64 s[10:11], exec, s[10:11]
	s_cbranch_execz .LBB369_568
; %bb.349:
	v_bfe_u32 v4, v3, 21, 1
	s_mov_b32 s14, 0x88fffff
	v_add3_u32 v4, v3, v4, s14
	s_mov_b64 s[8:9], exec
	v_lshrrev_b32_e32 v4, 21, v4
	s_andn2_saveexec_b64 s[10:11], s[10:11]
	s_cbranch_execnz .LBB369_569
.LBB369_350:
	s_or_b64 exec, exec, s[10:11]
	v_mov_b32_e32 v5, 0
	s_and_saveexec_b64 s[10:11], s[8:9]
.LBB369_351:
	v_lshrrev_b32_e32 v3, 24, v3
	s_movk_i32 s8, 0x80
	v_and_or_b32 v5, v3, s8, v4
.LBB369_352:
	s_or_b64 exec, exec, s[10:11]
.LBB369_353:
	s_or_b64 exec, exec, s[6:7]
	s_mov_b64 s[6:7], 0
	global_store_byte v[0:1], v5, off
.LBB369_354:
	s_and_b64 vcc, exec, s[6:7]
	s_cbranch_vccz .LBB369_364
; %bb.355:
	v_cvt_f32_i32_e32 v3, v2
	s_mov_b32 s6, 0x43f00000
                                        ; implicit-def: $vgpr4
	v_and_b32_e32 v5, 0x7fffffff, v3
	v_cmp_gt_u32_e32 vcc, s6, v5
	s_and_saveexec_b64 s[6:7], vcc
	s_xor_b64 s[6:7], exec, s[6:7]
	s_cbranch_execz .LBB369_361
; %bb.356:
	s_mov_b32 s8, 0x3c7fffff
	v_cmp_lt_u32_e32 vcc, s8, v5
                                        ; implicit-def: $vgpr4
	s_and_saveexec_b64 s[8:9], vcc
	s_xor_b64 s[8:9], exec, s[8:9]
; %bb.357:
	v_bfe_u32 v4, v3, 20, 1
	s_mov_b32 s10, 0x407ffff
	v_add3_u32 v4, v3, v4, s10
	v_lshrrev_b32_e32 v5, 20, v4
	v_and_b32_e32 v4, 0xff00000, v4
	s_mov_b32 s10, 0x7f00000
	v_mov_b32_e32 v6, 0x7e
	v_cmp_ne_u32_e32 vcc, s10, v4
	s_nop 1
	v_cndmask_b32_e32 v4, v6, v5, vcc
; %bb.358:
	s_andn2_saveexec_b64 s[8:9], s[8:9]
; %bb.359:
	s_mov_b32 s10, 0x46800000
	v_add_f32_e64 v4, |v3|, s10
; %bb.360:
	s_or_b64 exec, exec, s[8:9]
                                        ; implicit-def: $vgpr5
.LBB369_361:
	s_andn2_saveexec_b64 s[6:7], s[6:7]
; %bb.362:
	s_mov_b32 s8, 0x7f800000
	v_mov_b32_e32 v4, 0x7e
	v_mov_b32_e32 v6, 0x7f
	v_cmp_lt_u32_e32 vcc, s8, v5
	s_nop 1
	v_cndmask_b32_e32 v4, v4, v6, vcc
; %bb.363:
	s_or_b64 exec, exec, s[6:7]
	v_lshrrev_b32_e32 v3, 24, v3
	s_movk_i32 s6, 0x80
	v_and_or_b32 v3, v3, s6, v4
	global_store_byte v[0:1], v3, off
.LBB369_364:
	s_mov_b64 s[6:7], 0
.LBB369_365:
	s_andn2_b64 vcc, exec, s[6:7]
	s_cbranch_vccnz .LBB369_375
; %bb.366:
	v_cvt_f32_i32_e32 v3, v2
	s_mov_b32 s6, 0x47800000
                                        ; implicit-def: $vgpr4
	v_and_b32_e32 v5, 0x7fffffff, v3
	v_cmp_gt_u32_e32 vcc, s6, v5
	s_and_saveexec_b64 s[6:7], vcc
	s_xor_b64 s[6:7], exec, s[6:7]
	s_cbranch_execz .LBB369_372
; %bb.367:
	s_mov_b32 s8, 0x387fffff
	v_cmp_lt_u32_e32 vcc, s8, v5
                                        ; implicit-def: $vgpr4
	s_and_saveexec_b64 s[8:9], vcc
	s_xor_b64 s[8:9], exec, s[8:9]
; %bb.368:
	v_bfe_u32 v4, v3, 21, 1
	s_mov_b32 s10, 0x80fffff
	v_add3_u32 v4, v3, v4, s10
	v_lshrrev_b32_e32 v4, 21, v4
; %bb.369:
	s_andn2_saveexec_b64 s[8:9], s[8:9]
; %bb.370:
	s_mov_b32 s10, 0x43000000
	v_add_f32_e64 v4, |v3|, s10
; %bb.371:
	s_or_b64 exec, exec, s[8:9]
                                        ; implicit-def: $vgpr5
.LBB369_372:
	s_andn2_saveexec_b64 s[6:7], s[6:7]
; %bb.373:
	s_mov_b32 s8, 0x7f800000
	v_mov_b32_e32 v4, 0x7c
	v_mov_b32_e32 v6, 0x7f
	v_cmp_lt_u32_e32 vcc, s8, v5
	s_nop 1
	v_cndmask_b32_e32 v4, v4, v6, vcc
; %bb.374:
	s_or_b64 exec, exec, s[6:7]
	v_lshrrev_b32_e32 v3, 24, v3
	s_movk_i32 s6, 0x80
	v_and_or_b32 v3, v3, s6, v4
	global_store_byte v[0:1], v3, off
.LBB369_375:
	s_mov_b64 s[8:9], 0
	s_mov_b64 s[6:7], -1
.LBB369_376:
	s_andn2_b64 vcc, exec, s[8:9]
	s_cbranch_vccnz .LBB369_384
; %bb.377:
	s_cmp_gt_i32 s13, 14
	s_mov_b64 s[8:9], -1
	s_cbranch_scc0 .LBB369_381
; %bb.378:
	s_cmp_eq_u32 s13, 15
	s_mov_b64 s[2:3], -1
	s_cbranch_scc0 .LBB369_380
; %bb.379:
	v_cvt_f32_i32_e32 v3, v2
	s_movk_i32 s2, 0x7fff
	s_mov_b64 s[6:7], -1
	v_bfe_u32 v4, v3, 16, 1
	v_add3_u32 v3, v3, v4, s2
	global_store_short_d16_hi v[0:1], v3, off
	s_mov_b64 s[2:3], 0
.LBB369_380:
	s_mov_b64 s[8:9], 0
.LBB369_381:
	s_and_b64 vcc, exec, s[8:9]
	s_cbranch_vccz .LBB369_384
; %bb.382:
	s_cmp_eq_u32 s13, 11
	s_mov_b64 s[2:3], -1
	s_cbranch_scc0 .LBB369_384
; %bb.383:
	v_cmp_ne_u32_e32 vcc, 0, v2
	s_mov_b64 s[6:7], -1
	s_mov_b64 s[2:3], 0
	v_cndmask_b32_e64 v3, 0, 1, vcc
	global_store_byte v[0:1], v3, off
.LBB369_384:
	s_mov_b64 s[8:9], 0
.LBB369_385:
	s_and_b64 vcc, exec, s[8:9]
	s_cbranch_vccz .LBB369_424
; %bb.386:
	s_and_b32 s8, 0xffff, s12
	s_cmp_lt_i32 s8, 5
	s_mov_b64 s[6:7], -1
	s_cbranch_scc1 .LBB369_407
; %bb.387:
	s_cmp_lt_i32 s8, 8
	s_cbranch_scc1 .LBB369_397
; %bb.388:
	s_cmp_lt_i32 s8, 9
	s_cbranch_scc1 .LBB369_394
; %bb.389:
	s_cmp_gt_i32 s8, 9
	s_cbranch_scc0 .LBB369_391
; %bb.390:
	v_mov_b32_e32 v6, 0
	v_cvt_f64_i32_e32 v[4:5], v2
	v_mov_b32_e32 v7, v6
	s_mov_b64 s[6:7], 0
	global_store_dwordx4 v[0:1], v[4:7], off
.LBB369_391:
	s_andn2_b64 vcc, exec, s[6:7]
	s_cbranch_vccnz .LBB369_393
; %bb.392:
	v_cvt_f32_i32_e32 v4, v2
	v_mov_b32_e32 v5, 0
	global_store_dwordx2 v[0:1], v[4:5], off
.LBB369_393:
	s_mov_b64 s[6:7], 0
.LBB369_394:
	s_andn2_b64 vcc, exec, s[6:7]
	s_cbranch_vccnz .LBB369_396
; %bb.395:
	v_cvt_f32_i32_e32 v3, v2
	v_cvt_f16_f32_e32 v3, v3
	global_store_dword v[0:1], v3, off
.LBB369_396:
	s_mov_b64 s[6:7], 0
.LBB369_397:
	s_andn2_b64 vcc, exec, s[6:7]
	s_cbranch_vccnz .LBB369_406
; %bb.398:
	s_cmp_lt_i32 s8, 6
	s_mov_b64 s[6:7], -1
	s_cbranch_scc1 .LBB369_404
; %bb.399:
	s_cmp_gt_i32 s8, 6
	s_cbranch_scc0 .LBB369_401
; %bb.400:
	v_cvt_f64_i32_e32 v[4:5], v2
	s_mov_b64 s[6:7], 0
	global_store_dwordx2 v[0:1], v[4:5], off
.LBB369_401:
	s_andn2_b64 vcc, exec, s[6:7]
	s_cbranch_vccnz .LBB369_403
; %bb.402:
	v_cvt_f32_i32_e32 v3, v2
	global_store_dword v[0:1], v3, off
.LBB369_403:
	s_mov_b64 s[6:7], 0
.LBB369_404:
	s_andn2_b64 vcc, exec, s[6:7]
	s_cbranch_vccnz .LBB369_406
; %bb.405:
	v_cvt_f32_i32_e32 v3, v2
	v_cvt_f16_f32_e32 v3, v3
	global_store_short v[0:1], v3, off
.LBB369_406:
	s_mov_b64 s[6:7], 0
.LBB369_407:
	s_andn2_b64 vcc, exec, s[6:7]
	s_cbranch_vccnz .LBB369_423
; %bb.408:
	s_cmp_lt_i32 s8, 2
	s_mov_b64 s[6:7], -1
	s_cbranch_scc1 .LBB369_418
; %bb.409:
	s_cmp_lt_i32 s8, 3
	s_cbranch_scc1 .LBB369_415
; %bb.410:
	s_cmp_gt_i32 s8, 3
	s_cbranch_scc0 .LBB369_412
; %bb.411:
	v_ashrrev_i32_e32 v3, 31, v2
	s_mov_b64 s[6:7], 0
	global_store_dwordx2 v[0:1], v[2:3], off
.LBB369_412:
	s_andn2_b64 vcc, exec, s[6:7]
	s_cbranch_vccnz .LBB369_414
; %bb.413:
	global_store_dword v[0:1], v2, off
.LBB369_414:
	s_mov_b64 s[6:7], 0
.LBB369_415:
	s_andn2_b64 vcc, exec, s[6:7]
	s_cbranch_vccnz .LBB369_417
; %bb.416:
	global_store_short v[0:1], v2, off
.LBB369_417:
	s_mov_b64 s[6:7], 0
.LBB369_418:
	s_andn2_b64 vcc, exec, s[6:7]
	s_cbranch_vccnz .LBB369_423
; %bb.419:
	s_cmp_gt_i32 s8, 0
	s_mov_b64 s[6:7], -1
	s_cbranch_scc0 .LBB369_421
; %bb.420:
	s_mov_b64 s[6:7], 0
	global_store_byte v[0:1], v2, off
.LBB369_421:
	s_andn2_b64 vcc, exec, s[6:7]
	s_cbranch_vccnz .LBB369_423
; %bb.422:
	global_store_byte v[0:1], v2, off
.LBB369_423:
	s_mov_b64 s[6:7], -1
.LBB369_424:
	s_andn2_b64 vcc, exec, s[6:7]
	s_cbranch_vccnz .LBB369_426
; %bb.425:
	v_add_u32_e32 v8, 0x80, v8
	s_mov_b64 s[6:7], -1
	s_branch .LBB369_535
.LBB369_426:
	s_mov_b64 s[6:7], 0
	s_branch .LBB369_534
.LBB369_427:
	s_mov_b64 s[4:5], -1
                                        ; implicit-def: $vgpr1
.LBB369_428:
	s_mov_b64 s[6:7], 0
.LBB369_429:
	s_and_b64 vcc, exec, s[6:7]
	s_cbranch_vccz .LBB369_433
; %bb.430:
	s_cmp_eq_u32 s8, 29
	s_cbranch_scc0 .LBB369_432
; %bb.431:
	global_load_dword v1, v[2:3], off
	s_mov_b64 s[2:3], -1
	s_mov_b64 s[4:5], 0
	s_branch .LBB369_433
.LBB369_432:
	s_mov_b64 s[4:5], -1
                                        ; implicit-def: $vgpr1
.LBB369_433:
	s_mov_b64 s[6:7], 0
.LBB369_434:
	s_and_b64 vcc, exec, s[6:7]
	s_cbranch_vccz .LBB369_450
; %bb.435:
	s_cmp_lt_i32 s8, 27
	s_cbranch_scc1 .LBB369_438
; %bb.436:
	s_cmp_gt_i32 s8, 27
	s_cbranch_scc0 .LBB369_439
; %bb.437:
	global_load_dword v1, v[2:3], off
	s_mov_b64 s[2:3], 0
	s_branch .LBB369_440
.LBB369_438:
	s_mov_b64 s[2:3], -1
                                        ; implicit-def: $vgpr1
	s_branch .LBB369_443
.LBB369_439:
	s_mov_b64 s[2:3], -1
                                        ; implicit-def: $vgpr1
.LBB369_440:
	s_andn2_b64 vcc, exec, s[2:3]
	s_cbranch_vccnz .LBB369_442
; %bb.441:
	global_load_ushort v1, v[2:3], off
.LBB369_442:
	s_mov_b64 s[2:3], 0
.LBB369_443:
	s_andn2_b64 vcc, exec, s[2:3]
	s_cbranch_vccnz .LBB369_449
; %bb.444:
	global_load_ubyte v4, v[2:3], off
	s_movk_i32 s2, 0x7f
	s_mov_b64 s[6:7], 0
	s_waitcnt vmcnt(0)
	v_cmp_lt_i16_e32 vcc, s2, v4
	s_and_saveexec_b64 s[2:3], vcc
	s_xor_b64 s[2:3], exec, s[2:3]
	s_cbranch_execz .LBB369_461
; %bb.445:
	s_movk_i32 s6, 0x80
	v_cmp_ne_u16_e32 vcc, s6, v4
	s_and_b64 s[6:7], vcc, exec
	s_andn2_saveexec_b64 s[2:3], s[2:3]
	s_cbranch_execnz .LBB369_462
.LBB369_446:
	s_or_b64 exec, exec, s[2:3]
	v_mov_b32_e32 v1, 0
	s_and_saveexec_b64 s[2:3], s[6:7]
	s_cbranch_execz .LBB369_448
.LBB369_447:
	v_lshlrev_b32_e32 v1, 24, v4
	v_and_b32_e32 v4, 0xffff, v4
	v_and_b32_e32 v5, 7, v4
	v_ffbh_u32_e32 v7, v5
	v_min_u32_e32 v7, 32, v7
	v_subrev_u32_e32 v9, 28, v7
	v_bfe_u32 v6, v4, 3, 4
	v_lshlrev_b32_e32 v4, v9, v4
	v_sub_u32_e32 v7, 29, v7
	v_and_b32_e32 v4, 7, v4
	v_cmp_eq_u32_e32 vcc, 0, v6
	v_and_b32_e32 v1, 0x80000000, v1
	s_nop 0
	v_cndmask_b32_e32 v6, v6, v7, vcc
	v_cndmask_b32_e32 v4, v5, v4, vcc
	v_mov_b32_e32 v5, 0x3b800000
	v_lshlrev_b32_e32 v4, 20, v4
	v_lshl_add_u32 v5, v6, 23, v5
	v_or3_b32 v1, v1, v5, v4
	v_cvt_i32_f32_e32 v1, v1
.LBB369_448:
	s_or_b64 exec, exec, s[2:3]
.LBB369_449:
	s_mov_b64 s[2:3], -1
.LBB369_450:
	s_mov_b64 s[6:7], 0
.LBB369_451:
	s_and_b64 vcc, exec, s[6:7]
	s_cbranch_vccz .LBB369_484
; %bb.452:
	s_cmp_gt_i32 s8, 22
	s_cbranch_scc0 .LBB369_460
; %bb.453:
	s_cmp_lt_i32 s8, 24
	s_cbranch_scc1 .LBB369_463
; %bb.454:
	s_cmp_gt_i32 s8, 24
	s_cbranch_scc0 .LBB369_464
; %bb.455:
	global_load_ubyte v4, v[2:3], off
	s_movk_i32 s2, 0x7f
	s_mov_b64 s[6:7], 0
	s_waitcnt vmcnt(0)
	v_cmp_lt_i16_e32 vcc, s2, v4
	s_and_saveexec_b64 s[2:3], vcc
	s_xor_b64 s[2:3], exec, s[2:3]
	s_cbranch_execz .LBB369_476
; %bb.456:
	s_movk_i32 s6, 0x80
	v_cmp_ne_u16_e32 vcc, s6, v4
	s_and_b64 s[6:7], vcc, exec
	s_andn2_saveexec_b64 s[2:3], s[2:3]
	s_cbranch_execnz .LBB369_477
.LBB369_457:
	s_or_b64 exec, exec, s[2:3]
	v_mov_b32_e32 v1, 0
	s_and_saveexec_b64 s[2:3], s[6:7]
	s_cbranch_execz .LBB369_459
.LBB369_458:
	v_lshlrev_b32_e32 v1, 24, v4
	v_and_b32_e32 v4, 0xffff, v4
	v_and_b32_e32 v5, 3, v4
	v_ffbh_u32_e32 v7, v5
	v_min_u32_e32 v7, 32, v7
	v_subrev_u32_e32 v9, 29, v7
	v_bfe_u32 v6, v4, 2, 5
	v_lshlrev_b32_e32 v4, v9, v4
	v_sub_u32_e32 v7, 30, v7
	v_and_b32_e32 v4, 3, v4
	v_cmp_eq_u32_e32 vcc, 0, v6
	v_and_b32_e32 v1, 0x80000000, v1
	s_nop 0
	v_cndmask_b32_e32 v6, v6, v7, vcc
	v_cndmask_b32_e32 v4, v5, v4, vcc
	v_mov_b32_e32 v5, 0x37800000
	v_lshlrev_b32_e32 v4, 21, v4
	v_lshl_add_u32 v5, v6, 23, v5
	v_or3_b32 v1, v1, v5, v4
	v_cvt_i32_f32_e32 v1, v1
.LBB369_459:
	s_or_b64 exec, exec, s[2:3]
	s_mov_b64 s[2:3], 0
	s_branch .LBB369_465
.LBB369_460:
	s_mov_b64 s[6:7], -1
                                        ; implicit-def: $vgpr1
	s_branch .LBB369_471
.LBB369_461:
	s_andn2_saveexec_b64 s[2:3], s[2:3]
	s_cbranch_execz .LBB369_446
.LBB369_462:
	v_cmp_ne_u16_e32 vcc, 0, v4
	s_andn2_b64 s[6:7], s[6:7], exec
	s_and_b64 s[10:11], vcc, exec
	s_or_b64 s[6:7], s[6:7], s[10:11]
	s_or_b64 exec, exec, s[2:3]
	v_mov_b32_e32 v1, 0
	s_and_saveexec_b64 s[2:3], s[6:7]
	s_cbranch_execnz .LBB369_447
	s_branch .LBB369_448
.LBB369_463:
	s_mov_b64 s[2:3], -1
                                        ; implicit-def: $vgpr1
	s_branch .LBB369_468
.LBB369_464:
	s_mov_b64 s[2:3], -1
                                        ; implicit-def: $vgpr1
.LBB369_465:
	s_and_b64 vcc, exec, s[2:3]
	s_cbranch_vccz .LBB369_467
; %bb.466:
	global_load_ubyte v1, v[2:3], off
	s_mov_b32 s2, 0x7f800000
	s_waitcnt vmcnt(0)
	v_lshlrev_b32_e32 v1, 24, v1
	v_and_b32_e32 v4, 0x7f000000, v1
	v_ffbh_u32_e32 v5, v4
	v_min_u32_e32 v5, 32, v5
	v_sub_u32_e64 v5, v5, 4 clamp
	v_lshlrev_b32_e32 v7, v5, v4
	v_lshlrev_b32_e32 v5, 23, v5
	v_lshrrev_b32_e32 v7, 4, v7
	v_add_u32_e32 v6, 0x1000000, v4
	v_sub_u32_e32 v5, v7, v5
	v_ashrrev_i32_e32 v6, 8, v6
	v_add_u32_e32 v5, 0x3c000000, v5
	v_and_or_b32 v5, v6, s2, v5
	v_cmp_ne_u32_e32 vcc, 0, v4
	s_brev_b32 s2, 1
	s_nop 0
	v_cndmask_b32_e32 v4, 0, v5, vcc
	v_and_or_b32 v1, v1, s2, v4
	v_cvt_i32_f32_e32 v1, v1
.LBB369_467:
	s_mov_b64 s[2:3], 0
.LBB369_468:
	s_andn2_b64 vcc, exec, s[2:3]
	s_cbranch_vccnz .LBB369_470
; %bb.469:
	global_load_ubyte v1, v[2:3], off
	s_movk_i32 s2, 0x7f00
	s_brev_b32 s3, 16
	s_waitcnt vmcnt(0)
	v_lshlrev_b16_e32 v4, 8, v1
	v_lshlrev_b32_e32 v1, 25, v1
	v_lshrrev_b32_e32 v5, 4, v1
	v_and_or_b32 v6, v4, s2, 0.5
	v_or_b32_e32 v5, 0x70000000, v5
	v_add_f32_e32 v6, -0.5, v6
	v_mul_f32_e32 v5, 0x7800000, v5
	v_cmp_gt_u32_e32 vcc, s3, v1
	v_bfe_i32 v4, v4, 0, 16
	s_brev_b32 s2, 1
	v_cndmask_b32_e32 v1, v5, v6, vcc
	v_and_or_b32 v1, v4, s2, v1
	v_cvt_i32_f32_e32 v1, v1
.LBB369_470:
	s_mov_b64 s[6:7], 0
	s_mov_b64 s[2:3], -1
.LBB369_471:
	s_andn2_b64 vcc, exec, s[6:7]
	s_cbranch_vccnz .LBB369_484
; %bb.472:
	s_cmp_gt_i32 s8, 14
	s_cbranch_scc0 .LBB369_475
; %bb.473:
	s_cmp_eq_u32 s8, 15
	s_cbranch_scc0 .LBB369_478
; %bb.474:
	global_load_ushort v1, v[2:3], off
	s_mov_b64 s[2:3], -1
	s_mov_b64 s[4:5], 0
	s_waitcnt vmcnt(0)
	v_lshlrev_b32_e32 v1, 16, v1
	v_cvt_i32_f32_e32 v1, v1
	s_branch .LBB369_479
.LBB369_475:
	s_mov_b64 s[6:7], -1
                                        ; implicit-def: $vgpr1
	s_branch .LBB369_480
.LBB369_476:
	s_andn2_saveexec_b64 s[2:3], s[2:3]
	s_cbranch_execz .LBB369_457
.LBB369_477:
	v_cmp_ne_u16_e32 vcc, 0, v4
	s_andn2_b64 s[6:7], s[6:7], exec
	s_and_b64 s[10:11], vcc, exec
	s_or_b64 s[6:7], s[6:7], s[10:11]
	s_or_b64 exec, exec, s[2:3]
	v_mov_b32_e32 v1, 0
	s_and_saveexec_b64 s[2:3], s[6:7]
	s_cbranch_execnz .LBB369_458
	s_branch .LBB369_459
.LBB369_478:
	s_mov_b64 s[4:5], -1
                                        ; implicit-def: $vgpr1
.LBB369_479:
	s_mov_b64 s[6:7], 0
.LBB369_480:
	s_and_b64 vcc, exec, s[6:7]
	s_cbranch_vccz .LBB369_484
; %bb.481:
	s_cmp_eq_u32 s8, 11
	s_cbranch_scc0 .LBB369_483
; %bb.482:
	global_load_ubyte v1, v[2:3], off
	s_mov_b64 s[2:3], -1
	s_mov_b64 s[4:5], 0
	s_waitcnt vmcnt(0)
	v_cmp_ne_u16_e32 vcc, 0, v1
	s_nop 1
	v_cndmask_b32_e64 v1, 0, 1, vcc
	s_branch .LBB369_484
.LBB369_483:
	s_mov_b64 s[4:5], -1
                                        ; implicit-def: $vgpr1
.LBB369_484:
	s_branch .LBB369_291
.LBB369_485:
	s_cmp_lt_i32 s8, 5
	s_cbranch_scc1 .LBB369_490
; %bb.486:
	s_cmp_lt_i32 s8, 8
	s_cbranch_scc1 .LBB369_491
; %bb.487:
	;; [unrolled: 3-line block ×3, first 2 shown]
	s_cmp_gt_i32 s8, 9
	s_cbranch_scc0 .LBB369_493
; %bb.489:
	global_load_dwordx2 v[4:5], v[2:3], off
	s_mov_b64 s[2:3], 0
	s_waitcnt vmcnt(0)
	v_cvt_i32_f64_e32 v1, v[4:5]
	s_branch .LBB369_494
.LBB369_490:
	s_mov_b64 s[2:3], -1
                                        ; implicit-def: $vgpr1
	s_branch .LBB369_512
.LBB369_491:
	s_mov_b64 s[2:3], -1
                                        ; implicit-def: $vgpr1
	s_branch .LBB369_500
.LBB369_492:
	s_mov_b64 s[2:3], -1
                                        ; implicit-def: $vgpr1
	s_branch .LBB369_497
.LBB369_493:
	s_mov_b64 s[2:3], -1
                                        ; implicit-def: $vgpr1
.LBB369_494:
	s_andn2_b64 vcc, exec, s[2:3]
	s_cbranch_vccnz .LBB369_496
; %bb.495:
	global_load_dword v1, v[2:3], off
	s_waitcnt vmcnt(0)
	v_cvt_i32_f32_e32 v1, v1
.LBB369_496:
	s_mov_b64 s[2:3], 0
.LBB369_497:
	s_andn2_b64 vcc, exec, s[2:3]
	s_cbranch_vccnz .LBB369_499
; %bb.498:
	global_load_dword v1, v[2:3], off
	s_waitcnt vmcnt(0)
	v_cvt_f32_f16_e32 v1, v1
	v_cvt_i32_f32_e32 v1, v1
.LBB369_499:
	s_mov_b64 s[2:3], 0
.LBB369_500:
	s_andn2_b64 vcc, exec, s[2:3]
	s_cbranch_vccnz .LBB369_511
; %bb.501:
	s_cmp_lt_i32 s8, 6
	s_cbranch_scc1 .LBB369_504
; %bb.502:
	s_cmp_gt_i32 s8, 6
	s_cbranch_scc0 .LBB369_505
; %bb.503:
	global_load_dwordx2 v[4:5], v[2:3], off
	s_mov_b64 s[2:3], 0
	s_waitcnt vmcnt(0)
	v_cvt_i32_f64_e32 v1, v[4:5]
	s_branch .LBB369_506
.LBB369_504:
	s_mov_b64 s[2:3], -1
                                        ; implicit-def: $vgpr1
	s_branch .LBB369_509
.LBB369_505:
	s_mov_b64 s[2:3], -1
                                        ; implicit-def: $vgpr1
.LBB369_506:
	s_andn2_b64 vcc, exec, s[2:3]
	s_cbranch_vccnz .LBB369_508
; %bb.507:
	global_load_dword v1, v[2:3], off
	s_waitcnt vmcnt(0)
	v_cvt_i32_f32_e32 v1, v1
.LBB369_508:
	s_mov_b64 s[2:3], 0
.LBB369_509:
	s_andn2_b64 vcc, exec, s[2:3]
	s_cbranch_vccnz .LBB369_511
; %bb.510:
	global_load_ushort v1, v[2:3], off
	s_waitcnt vmcnt(0)
	v_cvt_f32_f16_e32 v1, v1
	v_cvt_i32_f32_e32 v1, v1
.LBB369_511:
	s_mov_b64 s[2:3], 0
.LBB369_512:
	s_andn2_b64 vcc, exec, s[2:3]
	s_cbranch_vccnz .LBB369_532
; %bb.513:
	s_cmp_lt_i32 s8, 2
	s_cbranch_scc1 .LBB369_517
; %bb.514:
	s_cmp_lt_i32 s8, 3
	s_cbranch_scc1 .LBB369_518
; %bb.515:
	s_cmp_gt_i32 s8, 3
	s_cbranch_scc0 .LBB369_519
; %bb.516:
	global_load_dword v1, v[2:3], off
	s_mov_b64 s[2:3], 0
	s_branch .LBB369_520
.LBB369_517:
	s_mov_b64 s[2:3], -1
                                        ; implicit-def: $vgpr1
	s_branch .LBB369_526
.LBB369_518:
	s_mov_b64 s[2:3], -1
                                        ; implicit-def: $vgpr1
	s_branch .LBB369_523
.LBB369_519:
	s_mov_b64 s[2:3], -1
                                        ; implicit-def: $vgpr1
.LBB369_520:
	s_andn2_b64 vcc, exec, s[2:3]
	s_cbranch_vccnz .LBB369_522
; %bb.521:
	global_load_dword v1, v[2:3], off
.LBB369_522:
	s_mov_b64 s[2:3], 0
.LBB369_523:
	s_andn2_b64 vcc, exec, s[2:3]
	s_cbranch_vccnz .LBB369_525
; %bb.524:
	global_load_sshort v1, v[2:3], off
.LBB369_525:
	s_mov_b64 s[2:3], 0
.LBB369_526:
	s_andn2_b64 vcc, exec, s[2:3]
	s_cbranch_vccnz .LBB369_532
; %bb.527:
	s_cmp_gt_i32 s8, 0
	s_cbranch_scc0 .LBB369_529
; %bb.528:
	global_load_sbyte v1, v[2:3], off
	s_mov_b64 s[2:3], 0
	s_branch .LBB369_530
.LBB369_529:
	s_mov_b64 s[2:3], -1
                                        ; implicit-def: $vgpr1
.LBB369_530:
	s_andn2_b64 vcc, exec, s[2:3]
	s_cbranch_vccnz .LBB369_532
; %bb.531:
	global_load_ubyte v1, v[2:3], off
.LBB369_532:
	s_branch .LBB369_292
.LBB369_533:
	s_mov_b64 s[6:7], 0
	s_mov_b64 s[2:3], s[56:57]
.LBB369_534:
                                        ; implicit-def: $vgpr8
.LBB369_535:
	s_andn2_b64 s[8:9], s[56:57], exec
	s_and_b64 s[2:3], s[2:3], exec
	s_or_b64 s[64:65], s[8:9], s[2:3]
	s_andn2_b64 s[2:3], s[58:59], exec
	s_and_b64 s[4:5], s[4:5], exec
	s_or_b64 s[62:63], s[2:3], s[4:5]
	s_orn2_b64 s[2:3], s[6:7], exec
.LBB369_536:
	s_or_b64 exec, exec, s[66:67]
	s_mov_b64 s[4:5], 0
	s_mov_b64 s[6:7], 0
	;; [unrolled: 1-line block ×3, first 2 shown]
                                        ; implicit-def: $vgpr2_vgpr3
                                        ; implicit-def: $vgpr0
                                        ; implicit-def: $vgpr1
	s_and_saveexec_b64 s[66:67], s[2:3]
	s_cbranch_execz .LBB369_905
; %bb.537:
	v_cmp_gt_i32_e32 vcc, s72, v8
	s_mov_b64 s[6:7], -1
	s_mov_b64 s[2:3], s[62:63]
	s_mov_b64 s[70:71], s[64:65]
	s_and_saveexec_b64 s[68:69], vcc
	s_cbranch_execz .LBB369_808
; %bb.538:
	s_andn2_b64 vcc, exec, s[42:43]
	s_cbranch_vccnz .LBB369_544
; %bb.539:
	s_andn2_b64 vcc, exec, s[54:55]
	s_cbranch_vccnz .LBB369_545
; %bb.540:
	s_add_i32 s77, s76, 1
	s_cmp_eq_u32 s74, 2
	s_cbranch_scc1 .LBB369_546
; %bb.541:
	s_and_b32 s73, s77, 28
	s_mov_b32 s78, 0
	v_mov_b32_e32 v0, 0
	v_mov_b32_e32 v2, 0
	s_mov_b64 s[2:3], s[34:35]
	s_mov_b64 s[70:71], s[52:53]
	v_mov_b32_e32 v4, v8
.LBB369_542:                            ; =>This Inner Loop Header: Depth=1
	s_load_dwordx8 s[12:19], s[2:3], 0x4
	s_load_dwordx4 s[36:39], s[2:3], 0x24
	s_load_dwordx8 s[4:11], s[70:71], 0x0
	s_add_u32 s2, s2, 48
	s_addc_u32 s3, s3, 0
	s_waitcnt vmcnt(0) lgkmcnt(0)
	v_mul_hi_u32 v1, s13, v4
	v_add_u32_e32 v1, v4, v1
	v_lshrrev_b32_e32 v1, s14, v1
	v_mul_lo_u32 v3, v1, s12
	v_mul_hi_u32 v5, s16, v1
	v_sub_u32_e32 v3, v4, v3
	v_add_u32_e32 v4, v1, v5
	v_lshrrev_b32_e32 v4, s17, v4
	v_mul_lo_u32 v6, v4, s15
	v_mul_hi_u32 v7, s19, v4
	v_sub_u32_e32 v1, v1, v6
	v_add_u32_e32 v6, v4, v7
	v_mul_lo_u32 v5, v3, s5
	v_mul_lo_u32 v3, v3, s4
	;; [unrolled: 1-line block ×4, first 2 shown]
	v_lshrrev_b32_e32 v6, s36, v6
	v_add3_u32 v0, v3, v0, v1
	v_mul_hi_u32 v3, s38, v6
	v_add3_u32 v1, v5, v2, v7
	v_mul_lo_u32 v2, v6, s18
	v_add_u32_e32 v3, v6, v3
	v_sub_u32_e32 v2, v4, v2
	v_lshrrev_b32_e32 v4, s39, v3
	s_add_i32 s78, s78, 4
	v_mul_lo_u32 v3, v4, s37
	s_add_u32 s70, s70, 32
	v_sub_u32_e32 v3, v6, v3
	s_addc_u32 s71, s71, 0
	v_mul_lo_u32 v5, v2, s8
	v_mul_lo_u32 v2, v2, s9
	;; [unrolled: 1-line block ×4, first 2 shown]
	s_cmp_eq_u32 s73, s78
	v_add3_u32 v2, v2, v1, v3
	v_add3_u32 v0, v5, v0, v6
	s_cbranch_scc0 .LBB369_542
; %bb.543:
	v_mov_b32_e32 v1, v2
	s_branch .LBB369_547
.LBB369_544:
	s_mov_b64 s[2:3], -1
                                        ; implicit-def: $vgpr2
                                        ; implicit-def: $vgpr0
	s_branch .LBB369_551
.LBB369_545:
	v_mov_b32_e32 v2, 0
	v_mov_b32_e32 v0, 0
	s_branch .LBB369_550
.LBB369_546:
	v_mov_b32_e32 v0, 0
	s_mov_b32 s73, 0
	s_waitcnt vmcnt(0)
	v_mov_b32_e32 v1, v0
                                        ; implicit-def: $vgpr2
	v_mov_b32_e32 v4, v8
.LBB369_547:
	s_and_b32 s6, s77, 3
	s_cmp_eq_u32 s6, 0
	s_cbranch_scc1 .LBB369_550
; %bb.548:
	s_lshl_b32 s2, s73, 3
	s_add_u32 s2, s34, s2
	s_addc_u32 s3, s35, 0
	s_add_u32 s2, s2, 0xc4
	s_addc_u32 s3, s3, 0
	s_mul_i32 s4, s73, 12
	s_add_u32 s4, s34, s4
	s_addc_u32 s5, s35, 0
.LBB369_549:                            ; =>This Inner Loop Header: Depth=1
	s_load_dwordx2 s[8:9], s[4:5], 0x4
	s_load_dword s7, s[4:5], 0xc
	s_load_dwordx2 s[10:11], s[2:3], 0x0
	v_mov_b32_e32 v2, v1
	s_add_u32 s4, s4, 12
	s_waitcnt lgkmcnt(0)
	v_mul_hi_u32 v1, s9, v4
	v_add_u32_e32 v1, v4, v1
	v_lshrrev_b32_e32 v1, s7, v1
	s_addc_u32 s5, s5, 0
	v_mul_lo_u32 v3, v1, s8
	s_add_u32 s2, s2, 8
	v_sub_u32_e32 v5, v4, v3
	s_addc_u32 s3, s3, 0
	s_add_i32 s6, s6, -1
	v_mov_b32_e32 v4, v1
	v_mad_u64_u32 v[2:3], s[8:9], v5, s11, v[2:3]
	v_mad_u64_u32 v[0:1], s[8:9], v5, s10, v[0:1]
	s_cmp_lg_u32 s6, 0
	v_mov_b32_e32 v1, v2
	s_cbranch_scc1 .LBB369_549
.LBB369_550:
	s_mov_b64 s[2:3], 0
.LBB369_551:
	s_andn2_b64 vcc, exec, s[2:3]
	s_cbranch_vccnz .LBB369_554
; %bb.552:
	v_mul_hi_u32 v0, s25, v8
	v_add_u32_e32 v0, v8, v0
	s_waitcnt vmcnt(0)
	v_lshrrev_b32_e32 v1, s26, v0
	v_mul_lo_u32 v0, v1, s24
	v_sub_u32_e32 v0, v8, v0
	v_mul_lo_u32 v2, v0, s29
	s_andn2_b64 vcc, exec, s[50:51]
	v_mul_lo_u32 v0, v0, s28
	s_cbranch_vccnz .LBB369_554
; %bb.553:
	v_mul_hi_u32 v3, s48, v1
	v_add_u32_e32 v3, v1, v3
	v_lshrrev_b32_e32 v3, s49, v3
	v_mul_lo_u32 v3, v3, s27
	v_sub_u32_e32 v3, v1, v3
	v_mad_u64_u32 v[0:1], s[2:3], v3, s30, v[0:1]
	v_mad_u64_u32 v[2:3], s[2:3], v3, s31, v[2:3]
.LBB369_554:
	v_mov_b32_e32 v3, 0
	s_and_b32 s8, 0xffff, s75
	s_cmp_lt_i32 s8, 11
	v_lshl_add_u64 v[2:3], s[22:23], 0, v[2:3]
	s_cbranch_scc1 .LBB369_561
; %bb.555:
	s_cmp_gt_i32 s8, 25
	s_cbranch_scc0 .LBB369_562
; %bb.556:
	s_cmp_gt_i32 s8, 28
	s_cbranch_scc0 .LBB369_563
	;; [unrolled: 3-line block ×4, first 2 shown]
; %bb.559:
	s_cmp_eq_u32 s8, 46
	s_mov_b64 s[6:7], 0
	s_cbranch_scc0 .LBB369_570
; %bb.560:
	global_load_dword v1, v[2:3], off
	s_mov_b64 s[2:3], -1
	s_mov_b64 s[4:5], 0
	s_waitcnt vmcnt(0)
	v_lshlrev_b32_e32 v1, 16, v1
	v_cvt_i32_f32_e32 v1, v1
	s_branch .LBB369_571
.LBB369_561:
	s_mov_b64 s[6:7], -1
	s_mov_b64 s[2:3], 0
                                        ; implicit-def: $vgpr1
	s_mov_b64 s[4:5], s[62:63]
	s_branch .LBB369_632
.LBB369_562:
	s_mov_b64 s[6:7], -1
	s_mov_b64 s[2:3], 0
	s_mov_b64 s[4:5], s[62:63]
                                        ; implicit-def: $vgpr1
	s_branch .LBB369_598
.LBB369_563:
	s_mov_b64 s[6:7], -1
	s_mov_b64 s[2:3], 0
	s_mov_b64 s[4:5], s[62:63]
                                        ; implicit-def: $vgpr1
	s_branch .LBB369_581
.LBB369_564:
	s_mov_b64 s[6:7], -1
	s_mov_b64 s[2:3], 0
	s_mov_b64 s[4:5], s[62:63]
                                        ; implicit-def: $vgpr1
	s_branch .LBB369_576
.LBB369_565:
	s_andn2_saveexec_b64 s[10:11], s[10:11]
	s_cbranch_execz .LBB369_337
.LBB369_566:
	s_mov_b32 s14, 0x46000000
	v_add_f32_e64 v4, |v3|, s14
	v_and_b32_e32 v4, 0xff, v4
	v_cmp_ne_u32_e32 vcc, 0, v4
	s_andn2_b64 s[8:9], s[8:9], exec
	s_and_b64 s[14:15], vcc, exec
	s_or_b64 s[8:9], s[8:9], s[14:15]
	s_or_b64 exec, exec, s[10:11]
	v_mov_b32_e32 v5, 0
	s_and_saveexec_b64 s[10:11], s[8:9]
	s_cbranch_execnz .LBB369_338
	s_branch .LBB369_339
.LBB369_567:
	s_mov_b64 s[6:7], -1
	s_mov_b64 s[2:3], 0
	s_mov_b64 s[4:5], s[62:63]
                                        ; implicit-def: $vgpr1
	s_branch .LBB369_571
.LBB369_568:
	s_andn2_saveexec_b64 s[10:11], s[10:11]
	s_cbranch_execz .LBB369_350
.LBB369_569:
	s_mov_b32 s14, 0x42800000
	v_add_f32_e64 v4, |v3|, s14
	v_and_b32_e32 v4, 0xff, v4
	v_cmp_ne_u32_e32 vcc, 0, v4
	s_andn2_b64 s[8:9], s[8:9], exec
	s_and_b64 s[14:15], vcc, exec
	s_or_b64 s[8:9], s[8:9], s[14:15]
	s_or_b64 exec, exec, s[10:11]
	v_mov_b32_e32 v5, 0
	s_and_saveexec_b64 s[10:11], s[8:9]
	s_cbranch_execnz .LBB369_351
	s_branch .LBB369_352
.LBB369_570:
	s_mov_b64 s[4:5], -1
                                        ; implicit-def: $vgpr1
	s_mov_b64 s[2:3], 0
.LBB369_571:
	s_and_b64 vcc, exec, s[6:7]
	s_cbranch_vccz .LBB369_575
; %bb.572:
	s_cmp_eq_u32 s8, 44
	s_cbranch_scc0 .LBB369_574
; %bb.573:
	global_load_ubyte v1, v[2:3], off
	s_mov_b64 s[2:3], -1
	s_mov_b64 s[4:5], 0
	s_waitcnt vmcnt(0)
	v_lshlrev_b32_e32 v4, 23, v1
	v_cvt_i32_f32_e32 v4, v4
	v_cmp_ne_u32_e32 vcc, 0, v1
	s_nop 1
	v_cndmask_b32_e32 v1, 0, v4, vcc
	s_branch .LBB369_575
.LBB369_574:
	s_mov_b64 s[4:5], -1
                                        ; implicit-def: $vgpr1
.LBB369_575:
	s_mov_b64 s[6:7], 0
.LBB369_576:
	s_and_b64 vcc, exec, s[6:7]
	s_cbranch_vccz .LBB369_580
; %bb.577:
	s_cmp_eq_u32 s8, 29
	s_cbranch_scc0 .LBB369_579
; %bb.578:
	global_load_dword v1, v[2:3], off
	s_mov_b64 s[2:3], -1
	s_mov_b64 s[4:5], 0
	s_branch .LBB369_580
.LBB369_579:
	s_mov_b64 s[4:5], -1
                                        ; implicit-def: $vgpr1
.LBB369_580:
	s_mov_b64 s[6:7], 0
.LBB369_581:
	s_and_b64 vcc, exec, s[6:7]
	s_cbranch_vccz .LBB369_597
; %bb.582:
	s_cmp_lt_i32 s8, 27
	s_cbranch_scc1 .LBB369_585
; %bb.583:
	s_cmp_gt_i32 s8, 27
	s_cbranch_scc0 .LBB369_586
; %bb.584:
	global_load_dword v1, v[2:3], off
	s_mov_b64 s[2:3], 0
	s_branch .LBB369_587
.LBB369_585:
	s_mov_b64 s[2:3], -1
                                        ; implicit-def: $vgpr1
	s_branch .LBB369_590
.LBB369_586:
	s_mov_b64 s[2:3], -1
                                        ; implicit-def: $vgpr1
.LBB369_587:
	s_andn2_b64 vcc, exec, s[2:3]
	s_cbranch_vccnz .LBB369_589
; %bb.588:
	global_load_ushort v1, v[2:3], off
.LBB369_589:
	s_mov_b64 s[2:3], 0
.LBB369_590:
	s_andn2_b64 vcc, exec, s[2:3]
	s_cbranch_vccnz .LBB369_596
; %bb.591:
	global_load_ubyte v4, v[2:3], off
	s_movk_i32 s2, 0x7f
	s_mov_b64 s[6:7], 0
	s_waitcnt vmcnt(0)
	v_cmp_lt_i16_e32 vcc, s2, v4
	s_and_saveexec_b64 s[2:3], vcc
	s_xor_b64 s[2:3], exec, s[2:3]
	s_cbranch_execz .LBB369_608
; %bb.592:
	s_movk_i32 s6, 0x80
	v_cmp_ne_u16_e32 vcc, s6, v4
	s_and_b64 s[6:7], vcc, exec
	s_andn2_saveexec_b64 s[2:3], s[2:3]
	s_cbranch_execnz .LBB369_609
.LBB369_593:
	s_or_b64 exec, exec, s[2:3]
	v_mov_b32_e32 v1, 0
	s_and_saveexec_b64 s[2:3], s[6:7]
	s_cbranch_execz .LBB369_595
.LBB369_594:
	v_lshlrev_b32_e32 v1, 24, v4
	v_and_b32_e32 v4, 0xffff, v4
	v_and_b32_e32 v5, 7, v4
	v_ffbh_u32_e32 v7, v5
	v_min_u32_e32 v7, 32, v7
	v_subrev_u32_e32 v9, 28, v7
	v_bfe_u32 v6, v4, 3, 4
	v_lshlrev_b32_e32 v4, v9, v4
	v_sub_u32_e32 v7, 29, v7
	v_and_b32_e32 v4, 7, v4
	v_cmp_eq_u32_e32 vcc, 0, v6
	v_and_b32_e32 v1, 0x80000000, v1
	s_nop 0
	v_cndmask_b32_e32 v6, v6, v7, vcc
	v_cndmask_b32_e32 v4, v5, v4, vcc
	v_mov_b32_e32 v5, 0x3b800000
	v_lshlrev_b32_e32 v4, 20, v4
	v_lshl_add_u32 v5, v6, 23, v5
	v_or3_b32 v1, v1, v5, v4
	v_cvt_i32_f32_e32 v1, v1
.LBB369_595:
	s_or_b64 exec, exec, s[2:3]
.LBB369_596:
	s_mov_b64 s[2:3], -1
.LBB369_597:
	s_mov_b64 s[6:7], 0
.LBB369_598:
	s_and_b64 vcc, exec, s[6:7]
	s_cbranch_vccz .LBB369_631
; %bb.599:
	s_cmp_gt_i32 s8, 22
	s_cbranch_scc0 .LBB369_607
; %bb.600:
	s_cmp_lt_i32 s8, 24
	s_cbranch_scc1 .LBB369_610
; %bb.601:
	s_cmp_gt_i32 s8, 24
	s_cbranch_scc0 .LBB369_611
; %bb.602:
	global_load_ubyte v4, v[2:3], off
	s_movk_i32 s2, 0x7f
	s_mov_b64 s[6:7], 0
	s_waitcnt vmcnt(0)
	v_cmp_lt_i16_e32 vcc, s2, v4
	s_and_saveexec_b64 s[2:3], vcc
	s_xor_b64 s[2:3], exec, s[2:3]
	s_cbranch_execz .LBB369_623
; %bb.603:
	s_movk_i32 s6, 0x80
	v_cmp_ne_u16_e32 vcc, s6, v4
	s_and_b64 s[6:7], vcc, exec
	s_andn2_saveexec_b64 s[2:3], s[2:3]
	s_cbranch_execnz .LBB369_624
.LBB369_604:
	s_or_b64 exec, exec, s[2:3]
	v_mov_b32_e32 v1, 0
	s_and_saveexec_b64 s[2:3], s[6:7]
	s_cbranch_execz .LBB369_606
.LBB369_605:
	v_lshlrev_b32_e32 v1, 24, v4
	v_and_b32_e32 v4, 0xffff, v4
	v_and_b32_e32 v5, 3, v4
	v_ffbh_u32_e32 v7, v5
	v_min_u32_e32 v7, 32, v7
	v_subrev_u32_e32 v9, 29, v7
	v_bfe_u32 v6, v4, 2, 5
	v_lshlrev_b32_e32 v4, v9, v4
	v_sub_u32_e32 v7, 30, v7
	v_and_b32_e32 v4, 3, v4
	v_cmp_eq_u32_e32 vcc, 0, v6
	v_and_b32_e32 v1, 0x80000000, v1
	s_nop 0
	v_cndmask_b32_e32 v6, v6, v7, vcc
	v_cndmask_b32_e32 v4, v5, v4, vcc
	v_mov_b32_e32 v5, 0x37800000
	v_lshlrev_b32_e32 v4, 21, v4
	v_lshl_add_u32 v5, v6, 23, v5
	v_or3_b32 v1, v1, v5, v4
	v_cvt_i32_f32_e32 v1, v1
.LBB369_606:
	s_or_b64 exec, exec, s[2:3]
	s_mov_b64 s[2:3], 0
	s_branch .LBB369_612
.LBB369_607:
	s_mov_b64 s[6:7], -1
                                        ; implicit-def: $vgpr1
	s_branch .LBB369_618
.LBB369_608:
	s_andn2_saveexec_b64 s[2:3], s[2:3]
	s_cbranch_execz .LBB369_593
.LBB369_609:
	v_cmp_ne_u16_e32 vcc, 0, v4
	s_andn2_b64 s[6:7], s[6:7], exec
	s_and_b64 s[10:11], vcc, exec
	s_or_b64 s[6:7], s[6:7], s[10:11]
	s_or_b64 exec, exec, s[2:3]
	v_mov_b32_e32 v1, 0
	s_and_saveexec_b64 s[2:3], s[6:7]
	s_cbranch_execnz .LBB369_594
	s_branch .LBB369_595
.LBB369_610:
	s_mov_b64 s[2:3], -1
                                        ; implicit-def: $vgpr1
	s_branch .LBB369_615
.LBB369_611:
	s_mov_b64 s[2:3], -1
                                        ; implicit-def: $vgpr1
.LBB369_612:
	s_and_b64 vcc, exec, s[2:3]
	s_cbranch_vccz .LBB369_614
; %bb.613:
	global_load_ubyte v1, v[2:3], off
	s_mov_b32 s2, 0x7f800000
	s_waitcnt vmcnt(0)
	v_lshlrev_b32_e32 v1, 24, v1
	v_and_b32_e32 v4, 0x7f000000, v1
	v_ffbh_u32_e32 v5, v4
	v_min_u32_e32 v5, 32, v5
	v_sub_u32_e64 v5, v5, 4 clamp
	v_lshlrev_b32_e32 v7, v5, v4
	v_lshlrev_b32_e32 v5, 23, v5
	v_lshrrev_b32_e32 v7, 4, v7
	v_add_u32_e32 v6, 0x1000000, v4
	v_sub_u32_e32 v5, v7, v5
	v_ashrrev_i32_e32 v6, 8, v6
	v_add_u32_e32 v5, 0x3c000000, v5
	v_and_or_b32 v5, v6, s2, v5
	v_cmp_ne_u32_e32 vcc, 0, v4
	s_brev_b32 s2, 1
	s_nop 0
	v_cndmask_b32_e32 v4, 0, v5, vcc
	v_and_or_b32 v1, v1, s2, v4
	v_cvt_i32_f32_e32 v1, v1
.LBB369_614:
	s_mov_b64 s[2:3], 0
.LBB369_615:
	s_andn2_b64 vcc, exec, s[2:3]
	s_cbranch_vccnz .LBB369_617
; %bb.616:
	global_load_ubyte v1, v[2:3], off
	s_movk_i32 s2, 0x7f00
	s_brev_b32 s3, 16
	s_waitcnt vmcnt(0)
	v_lshlrev_b16_e32 v4, 8, v1
	v_lshlrev_b32_e32 v1, 25, v1
	v_lshrrev_b32_e32 v5, 4, v1
	v_and_or_b32 v6, v4, s2, 0.5
	v_or_b32_e32 v5, 0x70000000, v5
	v_add_f32_e32 v6, -0.5, v6
	v_mul_f32_e32 v5, 0x7800000, v5
	v_cmp_gt_u32_e32 vcc, s3, v1
	v_bfe_i32 v4, v4, 0, 16
	s_brev_b32 s2, 1
	v_cndmask_b32_e32 v1, v5, v6, vcc
	v_and_or_b32 v1, v4, s2, v1
	v_cvt_i32_f32_e32 v1, v1
.LBB369_617:
	s_mov_b64 s[6:7], 0
	s_mov_b64 s[2:3], -1
.LBB369_618:
	s_andn2_b64 vcc, exec, s[6:7]
	s_cbranch_vccnz .LBB369_631
; %bb.619:
	s_cmp_gt_i32 s8, 14
	s_cbranch_scc0 .LBB369_622
; %bb.620:
	s_cmp_eq_u32 s8, 15
	s_cbranch_scc0 .LBB369_625
; %bb.621:
	global_load_ushort v1, v[2:3], off
	s_mov_b64 s[2:3], -1
	s_mov_b64 s[4:5], 0
	s_waitcnt vmcnt(0)
	v_lshlrev_b32_e32 v1, 16, v1
	v_cvt_i32_f32_e32 v1, v1
	s_branch .LBB369_626
.LBB369_622:
	s_mov_b64 s[6:7], -1
                                        ; implicit-def: $vgpr1
	s_branch .LBB369_627
.LBB369_623:
	s_andn2_saveexec_b64 s[2:3], s[2:3]
	s_cbranch_execz .LBB369_604
.LBB369_624:
	v_cmp_ne_u16_e32 vcc, 0, v4
	s_andn2_b64 s[6:7], s[6:7], exec
	s_and_b64 s[10:11], vcc, exec
	s_or_b64 s[6:7], s[6:7], s[10:11]
	s_or_b64 exec, exec, s[2:3]
	v_mov_b32_e32 v1, 0
	s_and_saveexec_b64 s[2:3], s[6:7]
	s_cbranch_execnz .LBB369_605
	s_branch .LBB369_606
.LBB369_625:
	s_mov_b64 s[4:5], -1
                                        ; implicit-def: $vgpr1
.LBB369_626:
	s_mov_b64 s[6:7], 0
.LBB369_627:
	s_and_b64 vcc, exec, s[6:7]
	s_cbranch_vccz .LBB369_631
; %bb.628:
	s_cmp_eq_u32 s8, 11
	s_cbranch_scc0 .LBB369_630
; %bb.629:
	global_load_ubyte v1, v[2:3], off
	s_mov_b64 s[2:3], -1
	s_mov_b64 s[4:5], 0
	s_waitcnt vmcnt(0)
	v_cmp_ne_u16_e32 vcc, 0, v1
	s_nop 1
	v_cndmask_b32_e64 v1, 0, 1, vcc
	s_branch .LBB369_631
.LBB369_630:
	s_mov_b64 s[4:5], -1
                                        ; implicit-def: $vgpr1
.LBB369_631:
	s_mov_b64 s[6:7], 0
.LBB369_632:
	s_and_b64 vcc, exec, s[6:7]
	s_cbranch_vccz .LBB369_681
; %bb.633:
	s_cmp_lt_i32 s8, 5
	s_cbranch_scc1 .LBB369_638
; %bb.634:
	s_cmp_lt_i32 s8, 8
	s_cbranch_scc1 .LBB369_639
	;; [unrolled: 3-line block ×3, first 2 shown]
; %bb.636:
	s_cmp_gt_i32 s8, 9
	s_cbranch_scc0 .LBB369_641
; %bb.637:
	global_load_dwordx2 v[4:5], v[2:3], off
	s_mov_b64 s[2:3], 0
	s_waitcnt vmcnt(0)
	v_cvt_i32_f64_e32 v1, v[4:5]
	s_branch .LBB369_642
.LBB369_638:
	s_mov_b64 s[2:3], -1
                                        ; implicit-def: $vgpr1
	s_branch .LBB369_660
.LBB369_639:
	s_mov_b64 s[2:3], -1
                                        ; implicit-def: $vgpr1
	s_branch .LBB369_648
.LBB369_640:
	s_mov_b64 s[2:3], -1
                                        ; implicit-def: $vgpr1
	s_branch .LBB369_645
.LBB369_641:
	s_mov_b64 s[2:3], -1
                                        ; implicit-def: $vgpr1
.LBB369_642:
	s_andn2_b64 vcc, exec, s[2:3]
	s_cbranch_vccnz .LBB369_644
; %bb.643:
	global_load_dword v1, v[2:3], off
	s_waitcnt vmcnt(0)
	v_cvt_i32_f32_e32 v1, v1
.LBB369_644:
	s_mov_b64 s[2:3], 0
.LBB369_645:
	s_andn2_b64 vcc, exec, s[2:3]
	s_cbranch_vccnz .LBB369_647
; %bb.646:
	global_load_dword v1, v[2:3], off
	s_waitcnt vmcnt(0)
	v_cvt_f32_f16_e32 v1, v1
	v_cvt_i32_f32_e32 v1, v1
.LBB369_647:
	s_mov_b64 s[2:3], 0
.LBB369_648:
	s_andn2_b64 vcc, exec, s[2:3]
	s_cbranch_vccnz .LBB369_659
; %bb.649:
	s_cmp_lt_i32 s8, 6
	s_cbranch_scc1 .LBB369_652
; %bb.650:
	s_cmp_gt_i32 s8, 6
	s_cbranch_scc0 .LBB369_653
; %bb.651:
	global_load_dwordx2 v[4:5], v[2:3], off
	s_mov_b64 s[2:3], 0
	s_waitcnt vmcnt(0)
	v_cvt_i32_f64_e32 v1, v[4:5]
	s_branch .LBB369_654
.LBB369_652:
	s_mov_b64 s[2:3], -1
                                        ; implicit-def: $vgpr1
	s_branch .LBB369_657
.LBB369_653:
	s_mov_b64 s[2:3], -1
                                        ; implicit-def: $vgpr1
.LBB369_654:
	s_andn2_b64 vcc, exec, s[2:3]
	s_cbranch_vccnz .LBB369_656
; %bb.655:
	global_load_dword v1, v[2:3], off
	s_waitcnt vmcnt(0)
	v_cvt_i32_f32_e32 v1, v1
.LBB369_656:
	s_mov_b64 s[2:3], 0
.LBB369_657:
	s_andn2_b64 vcc, exec, s[2:3]
	s_cbranch_vccnz .LBB369_659
; %bb.658:
	global_load_ushort v1, v[2:3], off
	s_waitcnt vmcnt(0)
	v_cvt_f32_f16_e32 v1, v1
	v_cvt_i32_f32_e32 v1, v1
.LBB369_659:
	s_mov_b64 s[2:3], 0
.LBB369_660:
	s_andn2_b64 vcc, exec, s[2:3]
	s_cbranch_vccnz .LBB369_680
; %bb.661:
	s_cmp_lt_i32 s8, 2
	s_cbranch_scc1 .LBB369_665
; %bb.662:
	s_cmp_lt_i32 s8, 3
	s_cbranch_scc1 .LBB369_666
; %bb.663:
	s_cmp_gt_i32 s8, 3
	s_cbranch_scc0 .LBB369_667
; %bb.664:
	global_load_dword v1, v[2:3], off
	s_mov_b64 s[2:3], 0
	s_branch .LBB369_668
.LBB369_665:
	s_mov_b64 s[2:3], -1
                                        ; implicit-def: $vgpr1
	s_branch .LBB369_674
.LBB369_666:
	s_mov_b64 s[2:3], -1
                                        ; implicit-def: $vgpr1
	s_branch .LBB369_671
.LBB369_667:
	s_mov_b64 s[2:3], -1
                                        ; implicit-def: $vgpr1
.LBB369_668:
	s_andn2_b64 vcc, exec, s[2:3]
	s_cbranch_vccnz .LBB369_670
; %bb.669:
	global_load_dword v1, v[2:3], off
.LBB369_670:
	s_mov_b64 s[2:3], 0
.LBB369_671:
	s_andn2_b64 vcc, exec, s[2:3]
	s_cbranch_vccnz .LBB369_673
; %bb.672:
	global_load_sshort v1, v[2:3], off
.LBB369_673:
	s_mov_b64 s[2:3], 0
.LBB369_674:
	s_andn2_b64 vcc, exec, s[2:3]
	s_cbranch_vccnz .LBB369_680
; %bb.675:
	s_cmp_gt_i32 s8, 0
	s_cbranch_scc0 .LBB369_677
; %bb.676:
	global_load_sbyte v1, v[2:3], off
	s_mov_b64 s[2:3], 0
	s_branch .LBB369_678
.LBB369_677:
	s_mov_b64 s[2:3], -1
                                        ; implicit-def: $vgpr1
.LBB369_678:
	s_andn2_b64 vcc, exec, s[2:3]
	s_cbranch_vccnz .LBB369_680
; %bb.679:
	global_load_ubyte v1, v[2:3], off
.LBB369_680:
	s_mov_b64 s[2:3], -1
.LBB369_681:
	s_andn2_b64 vcc, exec, s[2:3]
	s_cbranch_vccnz .LBB369_689
; %bb.682:
	s_waitcnt vmcnt(0)
	v_max_i32_e32 v2, s46, v1
	v_mov_b32_e32 v1, 0
	s_and_b32 s12, s47, 0xff
	s_cmp_lt_i32 s12, 11
	v_lshl_add_u64 v[0:1], s[20:21], 0, v[0:1]
	s_cbranch_scc1 .LBB369_690
; %bb.683:
	s_and_b32 s13, 0xffff, s12
	s_cmp_gt_i32 s13, 25
	s_cbranch_scc0 .LBB369_691
; %bb.684:
	s_cmp_gt_i32 s13, 28
	s_cbranch_scc0 .LBB369_692
; %bb.685:
	;; [unrolled: 3-line block ×4, first 2 shown]
	s_mov_b64 s[8:9], 0
	s_mov_b64 s[2:3], -1
	s_cmp_eq_u32 s13, 46
	s_mov_b64 s[6:7], 0
	s_cbranch_scc0 .LBB369_695
; %bb.688:
	v_cvt_f32_i32_e32 v3, v2
	s_movk_i32 s2, 0x7fff
	s_mov_b64 s[6:7], -1
	v_bfe_u32 v4, v3, 16, 1
	v_add3_u32 v3, v3, v4, s2
	v_lshrrev_b32_e32 v3, 16, v3
	global_store_dword v[0:1], v3, off
	s_mov_b64 s[2:3], 0
	s_branch .LBB369_695
.LBB369_689:
	s_mov_b64 s[6:7], 0
	s_mov_b64 s[2:3], s[64:65]
	s_branch .LBB369_806
.LBB369_690:
	s_mov_b64 s[8:9], -1
	s_mov_b64 s[6:7], 0
	s_mov_b64 s[2:3], s[64:65]
	s_branch .LBB369_764
.LBB369_691:
	s_mov_b64 s[8:9], -1
	s_mov_b64 s[6:7], 0
	s_mov_b64 s[2:3], s[64:65]
	s_branch .LBB369_722
.LBB369_692:
	s_mov_b64 s[8:9], -1
	s_mov_b64 s[6:7], 0
	s_mov_b64 s[2:3], s[64:65]
	s_branch .LBB369_705
.LBB369_693:
	s_mov_b64 s[8:9], -1
	s_mov_b64 s[6:7], 0
	s_mov_b64 s[2:3], s[64:65]
	s_branch .LBB369_701
.LBB369_694:
	s_mov_b64 s[8:9], -1
	s_mov_b64 s[6:7], 0
	s_mov_b64 s[2:3], s[64:65]
.LBB369_695:
	s_and_b64 vcc, exec, s[8:9]
	s_cbranch_vccz .LBB369_700
; %bb.696:
	s_cmp_eq_u32 s13, 44
	s_mov_b64 s[2:3], -1
	s_cbranch_scc0 .LBB369_700
; %bb.697:
	v_cvt_f32_i32_e32 v3, v2
	s_movk_i32 s2, 0xff
	v_mov_b32_e32 v5, 0xff
	v_bfe_u32 v4, v3, 23, 8
	v_cmp_ne_u32_e32 vcc, s2, v4
	s_and_saveexec_b64 s[6:7], vcc
; %bb.698:
	s_mov_b32 s2, 0x3fffff
	v_lshrrev_b32_e32 v5, 23, v3
	v_and_b32_e32 v6, 0x400000, v3
	v_and_or_b32 v3, v3, s2, v4
	v_cmp_ne_u32_e32 vcc, 0, v6
	v_cmp_ne_u32_e64 s[2:3], 0, v3
	s_and_b64 s[2:3], vcc, s[2:3]
	s_nop 0
	v_cndmask_b32_e64 v3, 0, 1, s[2:3]
	v_add_u32_e32 v5, v5, v3
; %bb.699:
	s_or_b64 exec, exec, s[6:7]
	s_mov_b64 s[6:7], -1
	s_mov_b64 s[2:3], 0
	global_store_byte v[0:1], v5, off
.LBB369_700:
	s_mov_b64 s[8:9], 0
.LBB369_701:
	s_and_b64 vcc, exec, s[8:9]
	s_cbranch_vccz .LBB369_704
; %bb.702:
	s_cmp_eq_u32 s13, 29
	s_mov_b64 s[2:3], -1
	s_cbranch_scc0 .LBB369_704
; %bb.703:
	v_ashrrev_i32_e32 v3, 31, v2
	global_store_dwordx2 v[0:1], v[2:3], off
	s_mov_b64 s[6:7], -1
	s_mov_b64 s[2:3], 0
.LBB369_704:
	s_mov_b64 s[8:9], 0
.LBB369_705:
	s_and_b64 vcc, exec, s[8:9]
	s_cbranch_vccz .LBB369_721
; %bb.706:
	s_cmp_lt_i32 s13, 27
	s_mov_b64 s[6:7], -1
	s_cbranch_scc1 .LBB369_712
; %bb.707:
	s_cmp_gt_i32 s13, 27
	s_cbranch_scc0 .LBB369_709
; %bb.708:
	s_mov_b64 s[6:7], 0
	global_store_dword v[0:1], v2, off
.LBB369_709:
	s_andn2_b64 vcc, exec, s[6:7]
	s_cbranch_vccnz .LBB369_711
; %bb.710:
	global_store_short v[0:1], v2, off
.LBB369_711:
	s_mov_b64 s[6:7], 0
.LBB369_712:
	s_andn2_b64 vcc, exec, s[6:7]
	s_cbranch_vccnz .LBB369_720
; %bb.713:
	v_cvt_f32_i32_e32 v3, v2
	s_mov_b32 s6, 0x43800000
	v_mov_b32_e32 v5, 0x80
	v_and_b32_e32 v4, 0x7fffffff, v3
	v_cmp_gt_u32_e32 vcc, s6, v4
	s_and_saveexec_b64 s[6:7], vcc
	s_cbranch_execz .LBB369_719
; %bb.714:
	s_mov_b32 s8, 0x3bffffff
	v_cmp_lt_u32_e32 vcc, s8, v4
	s_mov_b64 s[8:9], 0
                                        ; implicit-def: $vgpr4
	s_and_saveexec_b64 s[10:11], vcc
	s_xor_b64 s[10:11], exec, s[10:11]
	s_cbranch_execz .LBB369_837
; %bb.715:
	v_bfe_u32 v4, v3, 20, 1
	s_mov_b32 s14, 0x487ffff
	v_add3_u32 v4, v3, v4, s14
	s_mov_b64 s[8:9], exec
	v_lshrrev_b32_e32 v4, 20, v4
	s_andn2_saveexec_b64 s[10:11], s[10:11]
	s_cbranch_execnz .LBB369_838
.LBB369_716:
	s_or_b64 exec, exec, s[10:11]
	v_mov_b32_e32 v5, 0
	s_and_saveexec_b64 s[10:11], s[8:9]
.LBB369_717:
	v_lshrrev_b32_e32 v3, 24, v3
	s_movk_i32 s8, 0x80
	v_and_or_b32 v5, v3, s8, v4
.LBB369_718:
	s_or_b64 exec, exec, s[10:11]
.LBB369_719:
	s_or_b64 exec, exec, s[6:7]
	global_store_byte v[0:1], v5, off
.LBB369_720:
	s_mov_b64 s[6:7], -1
.LBB369_721:
	s_mov_b64 s[8:9], 0
.LBB369_722:
	s_and_b64 vcc, exec, s[8:9]
	s_cbranch_vccz .LBB369_763
; %bb.723:
	s_cmp_gt_i32 s13, 22
	s_mov_b64 s[8:9], -1
	s_cbranch_scc0 .LBB369_755
; %bb.724:
	s_cmp_lt_i32 s13, 24
	s_mov_b64 s[6:7], -1
	s_cbranch_scc1 .LBB369_744
; %bb.725:
	s_cmp_gt_i32 s13, 24
	s_cbranch_scc0 .LBB369_733
; %bb.726:
	v_cvt_f32_i32_e32 v3, v2
	s_mov_b32 s6, 0x47800000
	v_mov_b32_e32 v5, 0x80
	v_and_b32_e32 v4, 0x7fffffff, v3
	v_cmp_gt_u32_e32 vcc, s6, v4
	s_and_saveexec_b64 s[6:7], vcc
	s_cbranch_execz .LBB369_732
; %bb.727:
	s_mov_b32 s8, 0x37ffffff
	v_cmp_lt_u32_e32 vcc, s8, v4
	s_mov_b64 s[8:9], 0
                                        ; implicit-def: $vgpr4
	s_and_saveexec_b64 s[10:11], vcc
	s_xor_b64 s[10:11], exec, s[10:11]
	s_cbranch_execz .LBB369_840
; %bb.728:
	v_bfe_u32 v4, v3, 21, 1
	s_mov_b32 s14, 0x88fffff
	v_add3_u32 v4, v3, v4, s14
	s_mov_b64 s[8:9], exec
	v_lshrrev_b32_e32 v4, 21, v4
	s_andn2_saveexec_b64 s[10:11], s[10:11]
	s_cbranch_execnz .LBB369_841
.LBB369_729:
	s_or_b64 exec, exec, s[10:11]
	v_mov_b32_e32 v5, 0
	s_and_saveexec_b64 s[10:11], s[8:9]
.LBB369_730:
	v_lshrrev_b32_e32 v3, 24, v3
	s_movk_i32 s8, 0x80
	v_and_or_b32 v5, v3, s8, v4
.LBB369_731:
	s_or_b64 exec, exec, s[10:11]
.LBB369_732:
	s_or_b64 exec, exec, s[6:7]
	s_mov_b64 s[6:7], 0
	global_store_byte v[0:1], v5, off
.LBB369_733:
	s_and_b64 vcc, exec, s[6:7]
	s_cbranch_vccz .LBB369_743
; %bb.734:
	v_cvt_f32_i32_e32 v3, v2
	s_mov_b32 s6, 0x43f00000
                                        ; implicit-def: $vgpr4
	v_and_b32_e32 v5, 0x7fffffff, v3
	v_cmp_gt_u32_e32 vcc, s6, v5
	s_and_saveexec_b64 s[6:7], vcc
	s_xor_b64 s[6:7], exec, s[6:7]
	s_cbranch_execz .LBB369_740
; %bb.735:
	s_mov_b32 s8, 0x3c7fffff
	v_cmp_lt_u32_e32 vcc, s8, v5
                                        ; implicit-def: $vgpr4
	s_and_saveexec_b64 s[8:9], vcc
	s_xor_b64 s[8:9], exec, s[8:9]
; %bb.736:
	v_bfe_u32 v4, v3, 20, 1
	s_mov_b32 s10, 0x407ffff
	v_add3_u32 v4, v3, v4, s10
	v_lshrrev_b32_e32 v5, 20, v4
	v_and_b32_e32 v4, 0xff00000, v4
	s_mov_b32 s10, 0x7f00000
	v_mov_b32_e32 v6, 0x7e
	v_cmp_ne_u32_e32 vcc, s10, v4
	s_nop 1
	v_cndmask_b32_e32 v4, v6, v5, vcc
; %bb.737:
	s_andn2_saveexec_b64 s[8:9], s[8:9]
; %bb.738:
	s_mov_b32 s10, 0x46800000
	v_add_f32_e64 v4, |v3|, s10
; %bb.739:
	s_or_b64 exec, exec, s[8:9]
                                        ; implicit-def: $vgpr5
.LBB369_740:
	s_andn2_saveexec_b64 s[6:7], s[6:7]
; %bb.741:
	s_mov_b32 s8, 0x7f800000
	v_mov_b32_e32 v4, 0x7e
	v_mov_b32_e32 v6, 0x7f
	v_cmp_lt_u32_e32 vcc, s8, v5
	s_nop 1
	v_cndmask_b32_e32 v4, v4, v6, vcc
; %bb.742:
	s_or_b64 exec, exec, s[6:7]
	v_lshrrev_b32_e32 v3, 24, v3
	s_movk_i32 s6, 0x80
	v_and_or_b32 v3, v3, s6, v4
	global_store_byte v[0:1], v3, off
.LBB369_743:
	s_mov_b64 s[6:7], 0
.LBB369_744:
	s_andn2_b64 vcc, exec, s[6:7]
	s_cbranch_vccnz .LBB369_754
; %bb.745:
	v_cvt_f32_i32_e32 v3, v2
	s_mov_b32 s6, 0x47800000
                                        ; implicit-def: $vgpr4
	v_and_b32_e32 v5, 0x7fffffff, v3
	v_cmp_gt_u32_e32 vcc, s6, v5
	s_and_saveexec_b64 s[6:7], vcc
	s_xor_b64 s[6:7], exec, s[6:7]
	s_cbranch_execz .LBB369_751
; %bb.746:
	s_mov_b32 s8, 0x387fffff
	v_cmp_lt_u32_e32 vcc, s8, v5
                                        ; implicit-def: $vgpr4
	s_and_saveexec_b64 s[8:9], vcc
	s_xor_b64 s[8:9], exec, s[8:9]
; %bb.747:
	v_bfe_u32 v4, v3, 21, 1
	s_mov_b32 s10, 0x80fffff
	v_add3_u32 v4, v3, v4, s10
	v_lshrrev_b32_e32 v4, 21, v4
; %bb.748:
	s_andn2_saveexec_b64 s[8:9], s[8:9]
; %bb.749:
	s_mov_b32 s10, 0x43000000
	v_add_f32_e64 v4, |v3|, s10
; %bb.750:
	s_or_b64 exec, exec, s[8:9]
                                        ; implicit-def: $vgpr5
.LBB369_751:
	s_andn2_saveexec_b64 s[6:7], s[6:7]
; %bb.752:
	s_mov_b32 s8, 0x7f800000
	v_mov_b32_e32 v4, 0x7c
	v_mov_b32_e32 v6, 0x7f
	v_cmp_lt_u32_e32 vcc, s8, v5
	s_nop 1
	v_cndmask_b32_e32 v4, v4, v6, vcc
; %bb.753:
	s_or_b64 exec, exec, s[6:7]
	v_lshrrev_b32_e32 v3, 24, v3
	s_movk_i32 s6, 0x80
	v_and_or_b32 v3, v3, s6, v4
	global_store_byte v[0:1], v3, off
.LBB369_754:
	s_mov_b64 s[8:9], 0
	s_mov_b64 s[6:7], -1
.LBB369_755:
	s_andn2_b64 vcc, exec, s[8:9]
	s_cbranch_vccnz .LBB369_763
; %bb.756:
	s_cmp_gt_i32 s13, 14
	s_mov_b64 s[8:9], -1
	s_cbranch_scc0 .LBB369_760
; %bb.757:
	s_cmp_eq_u32 s13, 15
	s_mov_b64 s[2:3], -1
	s_cbranch_scc0 .LBB369_759
; %bb.758:
	v_cvt_f32_i32_e32 v3, v2
	s_movk_i32 s2, 0x7fff
	s_mov_b64 s[6:7], -1
	v_bfe_u32 v4, v3, 16, 1
	v_add3_u32 v3, v3, v4, s2
	global_store_short_d16_hi v[0:1], v3, off
	s_mov_b64 s[2:3], 0
.LBB369_759:
	s_mov_b64 s[8:9], 0
.LBB369_760:
	s_and_b64 vcc, exec, s[8:9]
	s_cbranch_vccz .LBB369_763
; %bb.761:
	s_cmp_eq_u32 s13, 11
	s_mov_b64 s[2:3], -1
	s_cbranch_scc0 .LBB369_763
; %bb.762:
	v_cmp_ne_u32_e32 vcc, 0, v2
	s_mov_b64 s[6:7], -1
	s_mov_b64 s[2:3], 0
	v_cndmask_b32_e64 v3, 0, 1, vcc
	global_store_byte v[0:1], v3, off
.LBB369_763:
	s_mov_b64 s[8:9], 0
.LBB369_764:
	s_and_b64 vcc, exec, s[8:9]
	s_cbranch_vccz .LBB369_803
; %bb.765:
	s_and_b32 s8, 0xffff, s12
	s_cmp_lt_i32 s8, 5
	s_mov_b64 s[6:7], -1
	s_cbranch_scc1 .LBB369_786
; %bb.766:
	s_cmp_lt_i32 s8, 8
	s_cbranch_scc1 .LBB369_776
; %bb.767:
	s_cmp_lt_i32 s8, 9
	s_cbranch_scc1 .LBB369_773
; %bb.768:
	s_cmp_gt_i32 s8, 9
	s_cbranch_scc0 .LBB369_770
; %bb.769:
	v_mov_b32_e32 v6, 0
	v_cvt_f64_i32_e32 v[4:5], v2
	v_mov_b32_e32 v7, v6
	s_mov_b64 s[6:7], 0
	global_store_dwordx4 v[0:1], v[4:7], off
.LBB369_770:
	s_andn2_b64 vcc, exec, s[6:7]
	s_cbranch_vccnz .LBB369_772
; %bb.771:
	v_cvt_f32_i32_e32 v4, v2
	v_mov_b32_e32 v5, 0
	global_store_dwordx2 v[0:1], v[4:5], off
.LBB369_772:
	s_mov_b64 s[6:7], 0
.LBB369_773:
	s_andn2_b64 vcc, exec, s[6:7]
	s_cbranch_vccnz .LBB369_775
; %bb.774:
	v_cvt_f32_i32_e32 v3, v2
	v_cvt_f16_f32_e32 v3, v3
	global_store_dword v[0:1], v3, off
.LBB369_775:
	s_mov_b64 s[6:7], 0
.LBB369_776:
	s_andn2_b64 vcc, exec, s[6:7]
	s_cbranch_vccnz .LBB369_785
; %bb.777:
	s_cmp_lt_i32 s8, 6
	s_mov_b64 s[6:7], -1
	s_cbranch_scc1 .LBB369_783
; %bb.778:
	s_cmp_gt_i32 s8, 6
	s_cbranch_scc0 .LBB369_780
; %bb.779:
	v_cvt_f64_i32_e32 v[4:5], v2
	s_mov_b64 s[6:7], 0
	global_store_dwordx2 v[0:1], v[4:5], off
.LBB369_780:
	s_andn2_b64 vcc, exec, s[6:7]
	s_cbranch_vccnz .LBB369_782
; %bb.781:
	v_cvt_f32_i32_e32 v3, v2
	global_store_dword v[0:1], v3, off
.LBB369_782:
	s_mov_b64 s[6:7], 0
.LBB369_783:
	s_andn2_b64 vcc, exec, s[6:7]
	s_cbranch_vccnz .LBB369_785
; %bb.784:
	v_cvt_f32_i32_e32 v3, v2
	v_cvt_f16_f32_e32 v3, v3
	global_store_short v[0:1], v3, off
.LBB369_785:
	s_mov_b64 s[6:7], 0
.LBB369_786:
	s_andn2_b64 vcc, exec, s[6:7]
	s_cbranch_vccnz .LBB369_802
; %bb.787:
	s_cmp_lt_i32 s8, 2
	s_mov_b64 s[6:7], -1
	s_cbranch_scc1 .LBB369_797
; %bb.788:
	s_cmp_lt_i32 s8, 3
	s_cbranch_scc1 .LBB369_794
; %bb.789:
	s_cmp_gt_i32 s8, 3
	s_cbranch_scc0 .LBB369_791
; %bb.790:
	v_ashrrev_i32_e32 v3, 31, v2
	s_mov_b64 s[6:7], 0
	global_store_dwordx2 v[0:1], v[2:3], off
.LBB369_791:
	s_andn2_b64 vcc, exec, s[6:7]
	s_cbranch_vccnz .LBB369_793
; %bb.792:
	global_store_dword v[0:1], v2, off
.LBB369_793:
	s_mov_b64 s[6:7], 0
.LBB369_794:
	s_andn2_b64 vcc, exec, s[6:7]
	s_cbranch_vccnz .LBB369_796
; %bb.795:
	global_store_short v[0:1], v2, off
.LBB369_796:
	s_mov_b64 s[6:7], 0
.LBB369_797:
	s_andn2_b64 vcc, exec, s[6:7]
	s_cbranch_vccnz .LBB369_802
; %bb.798:
	s_cmp_gt_i32 s8, 0
	s_mov_b64 s[6:7], -1
	s_cbranch_scc0 .LBB369_800
; %bb.799:
	s_mov_b64 s[6:7], 0
	global_store_byte v[0:1], v2, off
.LBB369_800:
	s_andn2_b64 vcc, exec, s[6:7]
	s_cbranch_vccnz .LBB369_802
; %bb.801:
	global_store_byte v[0:1], v2, off
.LBB369_802:
	s_mov_b64 s[6:7], -1
.LBB369_803:
	s_andn2_b64 vcc, exec, s[6:7]
	s_cbranch_vccnz .LBB369_805
; %bb.804:
	v_add_u32_e32 v8, 0x80, v8
	s_mov_b64 s[6:7], -1
	s_branch .LBB369_807
.LBB369_805:
	s_mov_b64 s[6:7], 0
.LBB369_806:
                                        ; implicit-def: $vgpr8
.LBB369_807:
	s_andn2_b64 s[8:9], s[64:65], exec
	s_and_b64 s[2:3], s[2:3], exec
	s_or_b64 s[70:71], s[8:9], s[2:3]
	s_andn2_b64 s[2:3], s[62:63], exec
	s_and_b64 s[4:5], s[4:5], exec
	s_or_b64 s[2:3], s[2:3], s[4:5]
	s_orn2_b64 s[6:7], s[6:7], exec
.LBB369_808:
	s_or_b64 exec, exec, s[68:69]
	s_mov_b64 s[4:5], 0
	s_mov_b64 s[10:11], 0
	;; [unrolled: 1-line block ×3, first 2 shown]
                                        ; implicit-def: $vgpr2_vgpr3
                                        ; implicit-def: $vgpr0
                                        ; implicit-def: $vgpr1
	s_and_saveexec_b64 s[68:69], s[6:7]
	s_cbranch_execz .LBB369_904
; %bb.809:
	v_cmp_gt_i32_e32 vcc, s72, v8
	s_mov_b64 s[6:7], 0
	s_mov_b64 s[12:13], s[2:3]
                                        ; implicit-def: $vgpr2_vgpr3
                                        ; implicit-def: $vgpr0
                                        ; implicit-def: $vgpr1
	s_and_saveexec_b64 s[72:73], vcc
	s_cbranch_execz .LBB369_903
; %bb.810:
	s_andn2_b64 vcc, exec, s[42:43]
	s_cbranch_vccnz .LBB369_816
; %bb.811:
	s_andn2_b64 vcc, exec, s[54:55]
	s_cbranch_vccnz .LBB369_817
; %bb.812:
	s_add_i32 s77, s76, 1
	s_cmp_eq_u32 s74, 2
	s_cbranch_scc1 .LBB369_818
; %bb.813:
	s_and_b32 s76, s77, 28
	s_mov_b32 s78, 0
	v_mov_b32_e32 v0, 0
	v_mov_b32_e32 v2, 0
	s_mov_b64 s[54:55], s[34:35]
	v_mov_b32_e32 v4, v8
.LBB369_814:                            ; =>This Inner Loop Header: Depth=1
	s_load_dwordx8 s[12:19], s[54:55], 0x4
	s_load_dwordx4 s[36:39], s[54:55], 0x24
	s_load_dwordx8 s[4:11], s[52:53], 0x0
	s_add_u32 s54, s54, 48
	s_addc_u32 s55, s55, 0
	s_waitcnt vmcnt(0) lgkmcnt(0)
	v_mul_hi_u32 v1, s13, v4
	v_add_u32_e32 v1, v4, v1
	v_lshrrev_b32_e32 v1, s14, v1
	v_mul_lo_u32 v3, v1, s12
	v_mul_hi_u32 v5, s16, v1
	v_sub_u32_e32 v3, v4, v3
	v_add_u32_e32 v4, v1, v5
	v_lshrrev_b32_e32 v4, s17, v4
	v_mul_lo_u32 v6, v4, s15
	v_mul_hi_u32 v7, s19, v4
	v_sub_u32_e32 v1, v1, v6
	v_add_u32_e32 v6, v4, v7
	v_mul_lo_u32 v5, v3, s5
	v_mul_lo_u32 v3, v3, s4
	;; [unrolled: 1-line block ×4, first 2 shown]
	v_lshrrev_b32_e32 v6, s36, v6
	v_add3_u32 v0, v3, v0, v1
	v_mul_hi_u32 v3, s38, v6
	v_add3_u32 v1, v5, v2, v7
	v_mul_lo_u32 v2, v6, s18
	v_add_u32_e32 v3, v6, v3
	v_sub_u32_e32 v2, v4, v2
	v_lshrrev_b32_e32 v4, s39, v3
	s_add_i32 s78, s78, 4
	v_mul_lo_u32 v3, v4, s37
	s_add_u32 s52, s52, 32
	v_sub_u32_e32 v3, v6, v3
	s_addc_u32 s53, s53, 0
	v_mul_lo_u32 v5, v2, s8
	v_mul_lo_u32 v2, v2, s9
	;; [unrolled: 1-line block ×4, first 2 shown]
	s_cmp_eq_u32 s76, s78
	v_add3_u32 v2, v2, v1, v3
	v_add3_u32 v0, v5, v0, v6
	s_cbranch_scc0 .LBB369_814
; %bb.815:
	v_mov_b32_e32 v1, v2
	s_branch .LBB369_819
.LBB369_816:
	s_mov_b64 s[4:5], -1
                                        ; implicit-def: $vgpr2
                                        ; implicit-def: $vgpr0
	s_branch .LBB369_823
.LBB369_817:
	v_mov_b32_e32 v2, 0
	v_mov_b32_e32 v0, 0
	s_branch .LBB369_822
.LBB369_818:
	v_mov_b32_e32 v0, 0
	s_mov_b32 s76, 0
	s_waitcnt vmcnt(0)
	v_mov_b32_e32 v1, v0
                                        ; implicit-def: $vgpr2
	v_mov_b32_e32 v4, v8
.LBB369_819:
	s_and_b32 s8, s77, 3
	s_cmp_eq_u32 s8, 0
	s_cbranch_scc1 .LBB369_822
; %bb.820:
	s_lshl_b32 s4, s76, 3
	s_add_u32 s4, s34, s4
	s_addc_u32 s5, s35, 0
	s_add_u32 s4, s4, 0xc4
	s_addc_u32 s5, s5, 0
	s_mul_i32 s6, s76, 12
	s_add_u32 s6, s34, s6
	s_addc_u32 s7, s35, 0
.LBB369_821:                            ; =>This Inner Loop Header: Depth=1
	s_load_dwordx2 s[10:11], s[6:7], 0x4
	s_load_dword s9, s[6:7], 0xc
	s_load_dwordx2 s[12:13], s[4:5], 0x0
	v_mov_b32_e32 v2, v1
	s_add_u32 s6, s6, 12
	s_waitcnt lgkmcnt(0)
	v_mul_hi_u32 v1, s11, v4
	v_add_u32_e32 v1, v4, v1
	v_lshrrev_b32_e32 v1, s9, v1
	s_addc_u32 s7, s7, 0
	v_mul_lo_u32 v3, v1, s10
	s_add_u32 s4, s4, 8
	v_sub_u32_e32 v5, v4, v3
	s_addc_u32 s5, s5, 0
	s_add_i32 s8, s8, -1
	v_mov_b32_e32 v4, v1
	v_mad_u64_u32 v[2:3], s[10:11], v5, s13, v[2:3]
	v_mad_u64_u32 v[0:1], s[10:11], v5, s12, v[0:1]
	s_cmp_lg_u32 s8, 0
	v_mov_b32_e32 v1, v2
	s_cbranch_scc1 .LBB369_821
.LBB369_822:
	s_mov_b64 s[4:5], 0
.LBB369_823:
	s_andn2_b64 vcc, exec, s[4:5]
	s_cbranch_vccnz .LBB369_826
; %bb.824:
	v_mul_hi_u32 v0, s25, v8
	v_add_u32_e32 v0, v8, v0
	s_waitcnt vmcnt(0)
	v_lshrrev_b32_e32 v1, s26, v0
	v_mul_lo_u32 v0, v1, s24
	v_sub_u32_e32 v0, v8, v0
	v_mul_lo_u32 v2, v0, s29
	s_andn2_b64 vcc, exec, s[50:51]
	v_mul_lo_u32 v0, v0, s28
	s_cbranch_vccnz .LBB369_826
; %bb.825:
	v_mul_hi_u32 v3, s48, v1
	v_add_u32_e32 v3, v1, v3
	v_lshrrev_b32_e32 v3, s49, v3
	v_mul_lo_u32 v3, v3, s27
	v_sub_u32_e32 v3, v1, v3
	v_mad_u64_u32 v[0:1], s[4:5], v3, s30, v[0:1]
	v_mad_u64_u32 v[2:3], s[4:5], v3, s31, v[2:3]
.LBB369_826:
	v_mov_b32_e32 v3, 0
	s_and_b32 s12, 0xffff, s75
	s_cmp_lt_i32 s12, 11
	v_lshl_add_u64 v[2:3], s[22:23], 0, v[2:3]
	s_cbranch_scc1 .LBB369_833
; %bb.827:
	s_cmp_gt_i32 s12, 25
	s_mov_b64 s[6:7], 0
	s_cbranch_scc0 .LBB369_834
; %bb.828:
	s_cmp_gt_i32 s12, 28
	s_cbranch_scc0 .LBB369_835
; %bb.829:
	s_cmp_gt_i32 s12, 43
	;; [unrolled: 3-line block ×3, first 2 shown]
	s_cbranch_scc0 .LBB369_839
; %bb.831:
	s_cmp_eq_u32 s12, 46
	s_mov_b64 s[10:11], 0
	s_cbranch_scc0 .LBB369_842
; %bb.832:
	global_load_dword v1, v[2:3], off
	s_mov_b64 s[4:5], 0
	s_mov_b64 s[8:9], -1
	s_waitcnt vmcnt(0)
	v_lshlrev_b32_e32 v1, 16, v1
	v_cvt_i32_f32_e32 v1, v1
	s_branch .LBB369_843
.LBB369_833:
	s_mov_b64 s[10:11], -1
	s_mov_b64 s[8:9], 0
	s_mov_b64 s[6:7], 0
	;; [unrolled: 1-line block ×3, first 2 shown]
                                        ; implicit-def: $vgpr1
	s_branch .LBB369_902
.LBB369_834:
	s_mov_b64 s[10:11], -1
	s_mov_b64 s[8:9], 0
	s_mov_b64 s[4:5], s[2:3]
                                        ; implicit-def: $vgpr1
	s_branch .LBB369_870
.LBB369_835:
	s_mov_b64 s[10:11], -1
	s_mov_b64 s[8:9], 0
	s_mov_b64 s[4:5], s[2:3]
                                        ; implicit-def: $vgpr1
	s_branch .LBB369_853
.LBB369_836:
	s_mov_b64 s[10:11], -1
	s_mov_b64 s[8:9], 0
	s_mov_b64 s[4:5], s[2:3]
                                        ; implicit-def: $vgpr1
	s_branch .LBB369_848
.LBB369_837:
	s_andn2_saveexec_b64 s[10:11], s[10:11]
	s_cbranch_execz .LBB369_716
.LBB369_838:
	s_mov_b32 s14, 0x46000000
	v_add_f32_e64 v4, |v3|, s14
	v_and_b32_e32 v4, 0xff, v4
	v_cmp_ne_u32_e32 vcc, 0, v4
	s_andn2_b64 s[8:9], s[8:9], exec
	s_and_b64 s[14:15], vcc, exec
	s_or_b64 s[8:9], s[8:9], s[14:15]
	s_or_b64 exec, exec, s[10:11]
	v_mov_b32_e32 v5, 0
	s_and_saveexec_b64 s[10:11], s[8:9]
	s_cbranch_execnz .LBB369_717
	s_branch .LBB369_718
.LBB369_839:
	s_mov_b64 s[10:11], -1
	s_mov_b64 s[8:9], 0
	s_mov_b64 s[4:5], s[2:3]
                                        ; implicit-def: $vgpr1
	s_branch .LBB369_843
.LBB369_840:
	s_andn2_saveexec_b64 s[10:11], s[10:11]
	s_cbranch_execz .LBB369_729
.LBB369_841:
	s_mov_b32 s14, 0x42800000
	v_add_f32_e64 v4, |v3|, s14
	v_and_b32_e32 v4, 0xff, v4
	v_cmp_ne_u32_e32 vcc, 0, v4
	s_andn2_b64 s[8:9], s[8:9], exec
	s_and_b64 s[14:15], vcc, exec
	s_or_b64 s[8:9], s[8:9], s[14:15]
	s_or_b64 exec, exec, s[10:11]
	v_mov_b32_e32 v5, 0
	s_and_saveexec_b64 s[10:11], s[8:9]
	s_cbranch_execnz .LBB369_730
	s_branch .LBB369_731
.LBB369_842:
	s_mov_b64 s[4:5], -1
                                        ; implicit-def: $vgpr1
	s_mov_b64 s[8:9], 0
.LBB369_843:
	s_and_b64 vcc, exec, s[10:11]
	s_cbranch_vccz .LBB369_847
; %bb.844:
	s_cmp_eq_u32 s12, 44
	s_cbranch_scc0 .LBB369_846
; %bb.845:
	global_load_ubyte v1, v[2:3], off
	s_mov_b64 s[4:5], 0
	s_mov_b64 s[8:9], -1
	s_waitcnt vmcnt(0)
	v_lshlrev_b32_e32 v4, 23, v1
	v_cvt_i32_f32_e32 v4, v4
	v_cmp_ne_u32_e32 vcc, 0, v1
	s_nop 1
	v_cndmask_b32_e32 v1, 0, v4, vcc
	s_branch .LBB369_847
.LBB369_846:
	s_mov_b64 s[4:5], -1
                                        ; implicit-def: $vgpr1
.LBB369_847:
	s_mov_b64 s[10:11], 0
.LBB369_848:
	s_and_b64 vcc, exec, s[10:11]
	s_cbranch_vccz .LBB369_852
; %bb.849:
	s_cmp_eq_u32 s12, 29
	s_cbranch_scc0 .LBB369_851
; %bb.850:
	global_load_dword v1, v[2:3], off
	s_mov_b64 s[4:5], 0
	s_mov_b64 s[8:9], -1
	s_branch .LBB369_852
.LBB369_851:
	s_mov_b64 s[4:5], -1
                                        ; implicit-def: $vgpr1
.LBB369_852:
	s_mov_b64 s[10:11], 0
.LBB369_853:
	s_and_b64 vcc, exec, s[10:11]
	s_cbranch_vccz .LBB369_869
; %bb.854:
	s_cmp_lt_i32 s12, 27
	s_cbranch_scc1 .LBB369_857
; %bb.855:
	s_cmp_gt_i32 s12, 27
	s_cbranch_scc0 .LBB369_858
; %bb.856:
	global_load_dword v1, v[2:3], off
	s_mov_b64 s[8:9], 0
	s_branch .LBB369_859
.LBB369_857:
	s_mov_b64 s[8:9], -1
                                        ; implicit-def: $vgpr1
	s_branch .LBB369_862
.LBB369_858:
	s_mov_b64 s[8:9], -1
                                        ; implicit-def: $vgpr1
.LBB369_859:
	s_andn2_b64 vcc, exec, s[8:9]
	s_cbranch_vccnz .LBB369_861
; %bb.860:
	global_load_ushort v1, v[2:3], off
.LBB369_861:
	s_mov_b64 s[8:9], 0
.LBB369_862:
	s_andn2_b64 vcc, exec, s[8:9]
	s_cbranch_vccnz .LBB369_868
; %bb.863:
	global_load_ubyte v4, v[2:3], off
	s_movk_i32 s8, 0x7f
	s_mov_b64 s[10:11], 0
	s_waitcnt vmcnt(0)
	v_cmp_lt_i16_e32 vcc, s8, v4
	s_and_saveexec_b64 s[8:9], vcc
	s_xor_b64 s[8:9], exec, s[8:9]
	s_cbranch_execz .LBB369_880
; %bb.864:
	s_movk_i32 s10, 0x80
	v_cmp_ne_u16_e32 vcc, s10, v4
	s_and_b64 s[10:11], vcc, exec
	s_andn2_saveexec_b64 s[8:9], s[8:9]
	s_cbranch_execnz .LBB369_881
.LBB369_865:
	s_or_b64 exec, exec, s[8:9]
	v_mov_b32_e32 v1, 0
	s_and_saveexec_b64 s[8:9], s[10:11]
	s_cbranch_execz .LBB369_867
.LBB369_866:
	v_lshlrev_b32_e32 v1, 24, v4
	v_and_b32_e32 v4, 0xffff, v4
	v_and_b32_e32 v5, 7, v4
	v_ffbh_u32_e32 v7, v5
	v_min_u32_e32 v7, 32, v7
	v_subrev_u32_e32 v8, 28, v7
	v_bfe_u32 v6, v4, 3, 4
	v_lshlrev_b32_e32 v4, v8, v4
	v_sub_u32_e32 v7, 29, v7
	v_and_b32_e32 v4, 7, v4
	v_cmp_eq_u32_e32 vcc, 0, v6
	v_and_b32_e32 v1, 0x80000000, v1
	s_nop 0
	v_cndmask_b32_e32 v6, v6, v7, vcc
	v_cndmask_b32_e32 v4, v5, v4, vcc
	v_mov_b32_e32 v5, 0x3b800000
	v_lshlrev_b32_e32 v4, 20, v4
	v_lshl_add_u32 v5, v6, 23, v5
	v_or3_b32 v1, v1, v5, v4
	v_cvt_i32_f32_e32 v1, v1
.LBB369_867:
	s_or_b64 exec, exec, s[8:9]
.LBB369_868:
	s_mov_b64 s[8:9], -1
.LBB369_869:
	s_mov_b64 s[10:11], 0
.LBB369_870:
	s_and_b64 vcc, exec, s[10:11]
	s_cbranch_vccz .LBB369_901
; %bb.871:
	s_cmp_gt_i32 s12, 22
	s_cbranch_scc0 .LBB369_879
; %bb.872:
	s_cmp_lt_i32 s12, 24
	s_cbranch_scc1 .LBB369_882
; %bb.873:
	s_cmp_gt_i32 s12, 24
	s_cbranch_scc0 .LBB369_883
; %bb.874:
	global_load_ubyte v4, v[2:3], off
	s_movk_i32 s6, 0x7f
	s_mov_b64 s[8:9], 0
	s_waitcnt vmcnt(0)
	v_cmp_lt_i16_e32 vcc, s6, v4
	s_and_saveexec_b64 s[6:7], vcc
	s_xor_b64 s[6:7], exec, s[6:7]
	s_cbranch_execz .LBB369_895
; %bb.875:
	s_movk_i32 s8, 0x80
	v_cmp_ne_u16_e32 vcc, s8, v4
	s_and_b64 s[8:9], vcc, exec
	s_andn2_saveexec_b64 s[6:7], s[6:7]
	s_cbranch_execnz .LBB369_896
.LBB369_876:
	s_or_b64 exec, exec, s[6:7]
	v_mov_b32_e32 v1, 0
	s_and_saveexec_b64 s[6:7], s[8:9]
	s_cbranch_execz .LBB369_878
.LBB369_877:
	v_lshlrev_b32_e32 v1, 24, v4
	v_and_b32_e32 v4, 0xffff, v4
	v_and_b32_e32 v5, 3, v4
	v_ffbh_u32_e32 v7, v5
	v_min_u32_e32 v7, 32, v7
	v_subrev_u32_e32 v8, 29, v7
	v_bfe_u32 v6, v4, 2, 5
	v_lshlrev_b32_e32 v4, v8, v4
	v_sub_u32_e32 v7, 30, v7
	v_and_b32_e32 v4, 3, v4
	v_cmp_eq_u32_e32 vcc, 0, v6
	v_and_b32_e32 v1, 0x80000000, v1
	s_nop 0
	v_cndmask_b32_e32 v6, v6, v7, vcc
	v_cndmask_b32_e32 v4, v5, v4, vcc
	v_mov_b32_e32 v5, 0x37800000
	v_lshlrev_b32_e32 v4, 21, v4
	v_lshl_add_u32 v5, v6, 23, v5
	v_or3_b32 v1, v1, v5, v4
	v_cvt_i32_f32_e32 v1, v1
.LBB369_878:
	s_or_b64 exec, exec, s[6:7]
	s_mov_b64 s[6:7], 0
	s_branch .LBB369_884
.LBB369_879:
	s_mov_b64 s[6:7], -1
                                        ; implicit-def: $vgpr1
	s_branch .LBB369_890
.LBB369_880:
	s_andn2_saveexec_b64 s[8:9], s[8:9]
	s_cbranch_execz .LBB369_865
.LBB369_881:
	v_cmp_ne_u16_e32 vcc, 0, v4
	s_andn2_b64 s[10:11], s[10:11], exec
	s_and_b64 s[14:15], vcc, exec
	s_or_b64 s[10:11], s[10:11], s[14:15]
	s_or_b64 exec, exec, s[8:9]
	v_mov_b32_e32 v1, 0
	s_and_saveexec_b64 s[8:9], s[10:11]
	s_cbranch_execnz .LBB369_866
	s_branch .LBB369_867
.LBB369_882:
	s_mov_b64 s[6:7], -1
                                        ; implicit-def: $vgpr1
	s_branch .LBB369_887
.LBB369_883:
	s_mov_b64 s[6:7], -1
                                        ; implicit-def: $vgpr1
.LBB369_884:
	s_and_b64 vcc, exec, s[6:7]
	s_cbranch_vccz .LBB369_886
; %bb.885:
	global_load_ubyte v1, v[2:3], off
	s_mov_b32 s6, 0x7f800000
	s_waitcnt vmcnt(0)
	v_lshlrev_b32_e32 v1, 24, v1
	v_and_b32_e32 v4, 0x7f000000, v1
	v_ffbh_u32_e32 v5, v4
	v_min_u32_e32 v5, 32, v5
	v_sub_u32_e64 v5, v5, 4 clamp
	v_lshlrev_b32_e32 v7, v5, v4
	v_lshlrev_b32_e32 v5, 23, v5
	v_lshrrev_b32_e32 v7, 4, v7
	v_add_u32_e32 v6, 0x1000000, v4
	v_sub_u32_e32 v5, v7, v5
	v_ashrrev_i32_e32 v6, 8, v6
	v_add_u32_e32 v5, 0x3c000000, v5
	v_and_or_b32 v5, v6, s6, v5
	v_cmp_ne_u32_e32 vcc, 0, v4
	s_brev_b32 s6, 1
	s_nop 0
	v_cndmask_b32_e32 v4, 0, v5, vcc
	v_and_or_b32 v1, v1, s6, v4
	v_cvt_i32_f32_e32 v1, v1
.LBB369_886:
	s_mov_b64 s[6:7], 0
.LBB369_887:
	s_andn2_b64 vcc, exec, s[6:7]
	s_cbranch_vccnz .LBB369_889
; %bb.888:
	global_load_ubyte v1, v[2:3], off
	s_movk_i32 s6, 0x7f00
	s_brev_b32 s7, 16
	s_waitcnt vmcnt(0)
	v_lshlrev_b16_e32 v4, 8, v1
	v_lshlrev_b32_e32 v1, 25, v1
	v_lshrrev_b32_e32 v5, 4, v1
	v_and_or_b32 v6, v4, s6, 0.5
	v_or_b32_e32 v5, 0x70000000, v5
	v_add_f32_e32 v6, -0.5, v6
	v_mul_f32_e32 v5, 0x7800000, v5
	v_cmp_gt_u32_e32 vcc, s7, v1
	v_bfe_i32 v4, v4, 0, 16
	s_brev_b32 s6, 1
	v_cndmask_b32_e32 v1, v5, v6, vcc
	v_and_or_b32 v1, v4, s6, v1
	v_cvt_i32_f32_e32 v1, v1
.LBB369_889:
	s_mov_b64 s[6:7], 0
	s_mov_b64 s[8:9], -1
.LBB369_890:
	s_andn2_b64 vcc, exec, s[6:7]
	s_mov_b64 s[6:7], 0
	s_cbranch_vccnz .LBB369_901
; %bb.891:
	s_cmp_gt_i32 s12, 14
	s_cbranch_scc0 .LBB369_894
; %bb.892:
	s_cmp_eq_u32 s12, 15
	s_cbranch_scc0 .LBB369_897
; %bb.893:
	global_load_ushort v1, v[2:3], off
	s_mov_b64 s[4:5], 0
	s_mov_b64 s[8:9], -1
	s_waitcnt vmcnt(0)
	v_lshlrev_b32_e32 v1, 16, v1
	v_cvt_i32_f32_e32 v1, v1
	s_branch .LBB369_898
.LBB369_894:
	s_mov_b64 s[10:11], -1
                                        ; implicit-def: $vgpr1
	s_branch .LBB369_899
.LBB369_895:
	s_andn2_saveexec_b64 s[6:7], s[6:7]
	s_cbranch_execz .LBB369_876
.LBB369_896:
	v_cmp_ne_u16_e32 vcc, 0, v4
	s_andn2_b64 s[8:9], s[8:9], exec
	s_and_b64 s[10:11], vcc, exec
	s_or_b64 s[8:9], s[8:9], s[10:11]
	s_or_b64 exec, exec, s[6:7]
	v_mov_b32_e32 v1, 0
	s_and_saveexec_b64 s[6:7], s[8:9]
	s_cbranch_execnz .LBB369_877
	s_branch .LBB369_878
.LBB369_897:
	s_mov_b64 s[4:5], -1
                                        ; implicit-def: $vgpr1
.LBB369_898:
	s_mov_b64 s[10:11], 0
.LBB369_899:
	s_and_b64 vcc, exec, s[10:11]
	s_cbranch_vccz .LBB369_901
; %bb.900:
	s_cmp_lg_u32 s12, 11
	s_cselect_b64 s[10:11], -1, 0
	s_andn2_b64 s[4:5], s[4:5], exec
	s_and_b64 s[10:11], s[10:11], exec
	s_mov_b64 s[6:7], -1
	s_or_b64 s[4:5], s[4:5], s[10:11]
.LBB369_901:
	s_mov_b64 s[10:11], 0
.LBB369_902:
	s_andn2_b64 s[12:13], s[2:3], exec
	s_and_b64 s[4:5], s[4:5], exec
	s_and_b64 s[8:9], s[8:9], exec
	;; [unrolled: 1-line block ×4, first 2 shown]
	s_or_b64 s[12:13], s[12:13], s[4:5]
.LBB369_903:
	s_or_b64 exec, exec, s[72:73]
	s_and_b64 s[4:5], s[6:7], exec
	s_andn2_b64 s[2:3], s[2:3], exec
	s_and_b64 s[6:7], s[12:13], exec
	s_and_b64 s[8:9], s[8:9], exec
	;; [unrolled: 1-line block ×3, first 2 shown]
	s_or_b64 s[2:3], s[2:3], s[6:7]
.LBB369_904:
	s_or_b64 exec, exec, s[68:69]
	s_andn2_b64 s[6:7], s[64:65], exec
	s_and_b64 s[12:13], s[70:71], exec
	s_or_b64 s[64:65], s[6:7], s[12:13]
	s_and_b64 s[6:7], s[10:11], exec
	s_andn2_b64 s[10:11], s[62:63], exec
	s_and_b64 s[2:3], s[2:3], exec
	s_and_b64 s[8:9], s[8:9], exec
	;; [unrolled: 1-line block ×3, first 2 shown]
	s_or_b64 s[62:63], s[10:11], s[2:3]
.LBB369_905:
	s_or_b64 exec, exec, s[66:67]
	s_andn2_b64 s[2:3], s[56:57], exec
	s_and_b64 s[10:11], s[64:65], exec
	s_or_b64 s[56:57], s[2:3], s[10:11]
	s_and_b64 s[2:3], s[8:9], exec
	s_and_b64 s[8:9], s[6:7], exec
	;; [unrolled: 1-line block ×3, first 2 shown]
	s_andn2_b64 s[4:5], s[58:59], exec
	s_and_b64 s[6:7], s[62:63], exec
	s_or_b64 s[58:59], s[4:5], s[6:7]
	s_or_b64 exec, exec, s[60:61]
	s_mov_b64 s[4:5], 0
	s_and_saveexec_b64 s[6:7], s[58:59]
	s_cbranch_execz .LBB369_272
.LBB369_906:
	s_mov_b64 s[4:5], exec
	s_andn2_b64 s[64:65], s[64:65], exec
	s_trap 2
	s_or_b64 exec, exec, s[6:7]
	s_and_saveexec_b64 s[6:7], s[64:65]
	s_xor_b64 s[6:7], exec, s[6:7]
	s_cbranch_execnz .LBB369_273
.LBB369_907:
	s_or_b64 exec, exec, s[6:7]
	s_and_saveexec_b64 s[6:7], s[8:9]
	s_cbranch_execz .LBB369_953
.LBB369_908:
	s_sext_i32_i16 s8, s75
	s_cmp_lt_i32 s8, 5
	s_cbranch_scc1 .LBB369_913
; %bb.909:
	s_cmp_lt_i32 s8, 8
	s_cbranch_scc1 .LBB369_914
; %bb.910:
	;; [unrolled: 3-line block ×3, first 2 shown]
	s_cmp_gt_i32 s8, 9
	s_cbranch_scc0 .LBB369_916
; %bb.912:
	global_load_dwordx2 v[4:5], v[2:3], off
	s_mov_b64 s[8:9], 0
	s_waitcnt vmcnt(0)
	v_cvt_i32_f64_e32 v1, v[4:5]
	s_branch .LBB369_917
.LBB369_913:
                                        ; implicit-def: $vgpr1
	s_branch .LBB369_934
.LBB369_914:
                                        ; implicit-def: $vgpr1
	s_branch .LBB369_923
.LBB369_915:
	s_mov_b64 s[8:9], -1
                                        ; implicit-def: $vgpr1
	s_branch .LBB369_920
.LBB369_916:
	s_mov_b64 s[8:9], -1
                                        ; implicit-def: $vgpr1
.LBB369_917:
	s_andn2_b64 vcc, exec, s[8:9]
	s_cbranch_vccnz .LBB369_919
; %bb.918:
	global_load_dword v1, v[2:3], off
	s_waitcnt vmcnt(0)
	v_cvt_i32_f32_e32 v1, v1
.LBB369_919:
	s_mov_b64 s[8:9], 0
.LBB369_920:
	s_andn2_b64 vcc, exec, s[8:9]
	s_cbranch_vccnz .LBB369_922
; %bb.921:
	global_load_dword v1, v[2:3], off
	s_waitcnt vmcnt(0)
	v_cvt_f32_f16_e32 v1, v1
	v_cvt_i32_f32_e32 v1, v1
.LBB369_922:
	s_cbranch_execnz .LBB369_933
.LBB369_923:
	s_sext_i32_i16 s8, s75
	s_cmp_lt_i32 s8, 6
	s_cbranch_scc1 .LBB369_926
; %bb.924:
	s_cmp_gt_i32 s8, 6
	s_cbranch_scc0 .LBB369_927
; %bb.925:
	global_load_dwordx2 v[4:5], v[2:3], off
	s_mov_b64 s[8:9], 0
	s_waitcnt vmcnt(0)
	v_cvt_i32_f64_e32 v1, v[4:5]
	s_branch .LBB369_928
.LBB369_926:
	s_mov_b64 s[8:9], -1
                                        ; implicit-def: $vgpr1
	s_branch .LBB369_931
.LBB369_927:
	s_mov_b64 s[8:9], -1
                                        ; implicit-def: $vgpr1
.LBB369_928:
	s_andn2_b64 vcc, exec, s[8:9]
	s_cbranch_vccnz .LBB369_930
; %bb.929:
	global_load_dword v1, v[2:3], off
	s_waitcnt vmcnt(0)
	v_cvt_i32_f32_e32 v1, v1
.LBB369_930:
	s_mov_b64 s[8:9], 0
.LBB369_931:
	s_andn2_b64 vcc, exec, s[8:9]
	s_cbranch_vccnz .LBB369_933
; %bb.932:
	global_load_ushort v1, v[2:3], off
	s_waitcnt vmcnt(0)
	v_cvt_f32_f16_e32 v1, v1
	v_cvt_i32_f32_e32 v1, v1
.LBB369_933:
	s_cbranch_execnz .LBB369_952
.LBB369_934:
	s_sext_i32_i16 s8, s75
	s_cmp_lt_i32 s8, 2
	s_cbranch_scc1 .LBB369_938
; %bb.935:
	s_cmp_lt_i32 s8, 3
	s_cbranch_scc1 .LBB369_939
; %bb.936:
	s_cmp_gt_i32 s8, 3
	s_cbranch_scc0 .LBB369_940
; %bb.937:
	global_load_dword v1, v[2:3], off
	s_mov_b64 s[8:9], 0
	s_branch .LBB369_941
.LBB369_938:
                                        ; implicit-def: $vgpr1
	s_branch .LBB369_947
.LBB369_939:
	s_mov_b64 s[8:9], -1
                                        ; implicit-def: $vgpr1
	s_branch .LBB369_944
.LBB369_940:
	s_mov_b64 s[8:9], -1
                                        ; implicit-def: $vgpr1
.LBB369_941:
	s_andn2_b64 vcc, exec, s[8:9]
	s_cbranch_vccnz .LBB369_943
; %bb.942:
	global_load_dword v1, v[2:3], off
.LBB369_943:
	s_mov_b64 s[8:9], 0
.LBB369_944:
	s_andn2_b64 vcc, exec, s[8:9]
	s_cbranch_vccnz .LBB369_946
; %bb.945:
	global_load_sshort v1, v[2:3], off
.LBB369_946:
	s_cbranch_execnz .LBB369_952
.LBB369_947:
	s_sext_i32_i16 s8, s75
	s_cmp_gt_i32 s8, 0
	s_cbranch_scc0 .LBB369_949
; %bb.948:
	global_load_sbyte v1, v[2:3], off
	s_mov_b64 s[8:9], 0
	s_branch .LBB369_950
.LBB369_949:
	s_mov_b64 s[8:9], -1
                                        ; implicit-def: $vgpr1
.LBB369_950:
	s_andn2_b64 vcc, exec, s[8:9]
	s_cbranch_vccnz .LBB369_952
; %bb.951:
	global_load_ubyte v1, v[2:3], off
.LBB369_952:
	s_or_b64 s[2:3], s[2:3], exec
.LBB369_953:
	s_or_b64 exec, exec, s[6:7]
	s_mov_b64 s[10:11], 0
	s_mov_b64 s[8:9], 0
                                        ; implicit-def: $sgpr16
                                        ; implicit-def: $vgpr4_vgpr5
                                        ; implicit-def: $vgpr2
	s_and_saveexec_b64 s[6:7], s[2:3]
	s_cbranch_execz .LBB369_961
; %bb.954:
	s_waitcnt vmcnt(0)
	v_max_i32_e32 v2, s46, v1
	v_mov_b32_e32 v1, 0
	s_and_b32 s16, s47, 0xff
	s_cmp_lt_i32 s16, 11
	v_lshl_add_u64 v[4:5], s[20:21], 0, v[0:1]
	s_cbranch_scc1 .LBB369_964
; %bb.955:
	s_and_b32 s17, 0xffff, s16
	s_mov_b64 s[10:11], -1
	s_cmp_gt_i32 s17, 25
	s_mov_b64 s[2:3], s[56:57]
	s_cbranch_scc0 .LBB369_992
; %bb.956:
	s_mov_b64 s[8:9], -1
	s_cmp_gt_i32 s17, 28
	s_mov_b64 s[2:3], s[56:57]
	s_cbranch_scc0 .LBB369_976
; %bb.957:
	s_cmp_gt_i32 s17, 43
	s_mov_b64 s[2:3], s[56:57]
	s_cbranch_scc0 .LBB369_972
; %bb.958:
	;; [unrolled: 4-line block ×3, first 2 shown]
	s_cmp_eq_u32 s17, 46
	s_mov_b64 s[2:3], -1
	s_cbranch_scc0 .LBB369_965
; %bb.960:
	v_cvt_f32_i32_e32 v0, v2
	s_movk_i32 s2, 0x7fff
	s_mov_b64 s[8:9], 0
	v_bfe_u32 v1, v0, 16, 1
	v_add3_u32 v0, v0, v1, s2
	v_lshrrev_b32_e32 v0, 16, v0
	global_store_dword v[4:5], v0, off
	s_mov_b64 s[2:3], 0
	s_branch .LBB369_966
.LBB369_961:
	s_or_b64 exec, exec, s[6:7]
	s_and_saveexec_b64 s[2:3], s[56:57]
	s_cbranch_execnz .LBB369_1034
.LBB369_962:
	s_or_b64 exec, exec, s[2:3]
	s_and_saveexec_b64 s[2:3], s[10:11]
	s_xor_b64 s[2:3], exec, s[2:3]
	s_cbranch_execz .LBB369_1035
.LBB369_963:
	v_cmp_ne_u32_e32 vcc, 0, v2
	s_nop 1
	v_cndmask_b32_e64 v0, 0, 1, vcc
	global_store_byte v[4:5], v0, off
	s_or_b64 exec, exec, s[2:3]
	s_and_saveexec_b64 s[2:3], s[8:9]
	s_xor_b64 s[2:3], exec, s[2:3]
	s_cbranch_execz .LBB369_1073
	s_branch .LBB369_1036
.LBB369_964:
	s_mov_b64 s[8:9], -1
	s_mov_b64 s[2:3], s[56:57]
	s_branch .LBB369_1033
.LBB369_965:
	s_mov_b64 s[8:9], 0
.LBB369_966:
	s_and_b64 vcc, exec, s[8:9]
	s_cbranch_vccz .LBB369_971
; %bb.967:
	s_cmp_eq_u32 s17, 44
	s_mov_b64 s[2:3], -1
	s_cbranch_scc0 .LBB369_971
; %bb.968:
	v_cvt_f32_i32_e32 v0, v2
	s_movk_i32 s2, 0xff
	v_mov_b32_e32 v3, 0xff
	v_bfe_u32 v1, v0, 23, 8
	v_cmp_ne_u32_e32 vcc, s2, v1
	s_and_saveexec_b64 s[8:9], vcc
; %bb.969:
	s_mov_b32 s2, 0x3fffff
	v_lshrrev_b32_e32 v3, 23, v0
	v_and_b32_e32 v6, 0x400000, v0
	v_and_or_b32 v0, v0, s2, v1
	v_cmp_ne_u32_e32 vcc, 0, v6
	v_cmp_ne_u32_e64 s[2:3], 0, v0
	s_and_b64 s[2:3], vcc, s[2:3]
	s_nop 0
	v_cndmask_b32_e64 v0, 0, 1, s[2:3]
	v_add_u32_e32 v3, v3, v0
; %bb.970:
	s_or_b64 exec, exec, s[8:9]
	s_mov_b64 s[2:3], 0
	global_store_byte v[4:5], v3, off
.LBB369_971:
	s_mov_b64 s[8:9], 0
.LBB369_972:
	s_and_b64 vcc, exec, s[8:9]
	s_cbranch_vccz .LBB369_975
; %bb.973:
	s_cmp_eq_u32 s17, 29
	s_mov_b64 s[2:3], -1
	s_cbranch_scc0 .LBB369_975
; %bb.974:
	v_ashrrev_i32_e32 v3, 31, v2
	global_store_dwordx2 v[4:5], v[2:3], off
	s_mov_b64 s[2:3], 0
.LBB369_975:
	s_mov_b64 s[8:9], 0
.LBB369_976:
	s_and_b64 vcc, exec, s[8:9]
	s_cbranch_vccz .LBB369_991
; %bb.977:
	s_cmp_lt_i32 s17, 27
	s_mov_b64 s[8:9], -1
	s_cbranch_scc1 .LBB369_983
; %bb.978:
	s_cmp_gt_i32 s17, 27
	s_cbranch_scc0 .LBB369_980
; %bb.979:
	s_mov_b64 s[8:9], 0
	global_store_dword v[4:5], v2, off
.LBB369_980:
	s_andn2_b64 vcc, exec, s[8:9]
	s_cbranch_vccnz .LBB369_982
; %bb.981:
	global_store_short v[4:5], v2, off
.LBB369_982:
	s_mov_b64 s[8:9], 0
.LBB369_983:
	s_andn2_b64 vcc, exec, s[8:9]
	s_cbranch_vccnz .LBB369_991
; %bb.984:
	v_cvt_f32_i32_e32 v0, v2
	s_mov_b32 s8, 0x43800000
	v_mov_b32_e32 v3, 0x80
	v_and_b32_e32 v1, 0x7fffffff, v0
	v_cmp_gt_u32_e32 vcc, s8, v1
	s_and_saveexec_b64 s[8:9], vcc
	s_cbranch_execz .LBB369_990
; %bb.985:
	s_mov_b32 s10, 0x3bffffff
	v_cmp_lt_u32_e32 vcc, s10, v1
	s_mov_b64 s[10:11], 0
                                        ; implicit-def: $vgpr1
	s_and_saveexec_b64 s[12:13], vcc
	s_xor_b64 s[12:13], exec, s[12:13]
	s_cbranch_execz .LBB369_1144
; %bb.986:
	v_bfe_u32 v1, v0, 20, 1
	s_mov_b32 s14, 0x487ffff
	v_add3_u32 v1, v0, v1, s14
	s_mov_b64 s[10:11], exec
	v_lshrrev_b32_e32 v1, 20, v1
	s_andn2_saveexec_b64 s[12:13], s[12:13]
	s_cbranch_execnz .LBB369_1145
.LBB369_987:
	s_or_b64 exec, exec, s[12:13]
	v_mov_b32_e32 v3, 0
	s_and_saveexec_b64 s[12:13], s[10:11]
.LBB369_988:
	v_lshrrev_b32_e32 v0, 24, v0
	s_movk_i32 s10, 0x80
	v_and_or_b32 v3, v0, s10, v1
.LBB369_989:
	s_or_b64 exec, exec, s[12:13]
.LBB369_990:
	s_or_b64 exec, exec, s[8:9]
	global_store_byte v[4:5], v3, off
.LBB369_991:
	s_mov_b64 s[10:11], 0
.LBB369_992:
	s_mov_b64 s[8:9], 0
	s_and_b64 vcc, exec, s[10:11]
	s_cbranch_vccz .LBB369_1032
; %bb.993:
	s_cmp_gt_i32 s17, 22
	s_mov_b64 s[10:11], -1
	s_cbranch_scc0 .LBB369_1025
; %bb.994:
	s_cmp_lt_i32 s17, 24
	s_cbranch_scc1 .LBB369_1014
; %bb.995:
	s_cmp_gt_i32 s17, 24
	s_cbranch_scc0 .LBB369_1003
; %bb.996:
	v_cvt_f32_i32_e32 v0, v2
	s_mov_b32 s10, 0x47800000
	v_mov_b32_e32 v3, 0x80
	v_and_b32_e32 v1, 0x7fffffff, v0
	v_cmp_gt_u32_e32 vcc, s10, v1
	s_and_saveexec_b64 s[10:11], vcc
	s_cbranch_execz .LBB369_1002
; %bb.997:
	s_mov_b32 s12, 0x37ffffff
	v_cmp_lt_u32_e32 vcc, s12, v1
	s_mov_b64 s[12:13], 0
                                        ; implicit-def: $vgpr1
	s_and_saveexec_b64 s[14:15], vcc
	s_xor_b64 s[14:15], exec, s[14:15]
	s_cbranch_execz .LBB369_1264
; %bb.998:
	v_bfe_u32 v1, v0, 21, 1
	s_mov_b32 s18, 0x88fffff
	v_add3_u32 v1, v0, v1, s18
	s_mov_b64 s[12:13], exec
	v_lshrrev_b32_e32 v1, 21, v1
	s_andn2_saveexec_b64 s[14:15], s[14:15]
	s_cbranch_execnz .LBB369_1265
.LBB369_999:
	s_or_b64 exec, exec, s[14:15]
	v_mov_b32_e32 v3, 0
	s_and_saveexec_b64 s[14:15], s[12:13]
.LBB369_1000:
	v_lshrrev_b32_e32 v0, 24, v0
	s_movk_i32 s12, 0x80
	v_and_or_b32 v3, v0, s12, v1
.LBB369_1001:
	s_or_b64 exec, exec, s[14:15]
.LBB369_1002:
	s_or_b64 exec, exec, s[10:11]
	s_mov_b64 s[10:11], 0
	global_store_byte v[4:5], v3, off
.LBB369_1003:
	s_and_b64 vcc, exec, s[10:11]
	s_cbranch_vccz .LBB369_1013
; %bb.1004:
	v_cvt_f32_i32_e32 v0, v2
	s_mov_b32 s10, 0x43f00000
                                        ; implicit-def: $vgpr1
	v_and_b32_e32 v3, 0x7fffffff, v0
	v_cmp_gt_u32_e32 vcc, s10, v3
	s_and_saveexec_b64 s[10:11], vcc
	s_xor_b64 s[10:11], exec, s[10:11]
	s_cbranch_execz .LBB369_1010
; %bb.1005:
	s_mov_b32 s12, 0x3c7fffff
	v_cmp_lt_u32_e32 vcc, s12, v3
                                        ; implicit-def: $vgpr1
	s_and_saveexec_b64 s[12:13], vcc
	s_xor_b64 s[12:13], exec, s[12:13]
; %bb.1006:
	v_bfe_u32 v1, v0, 20, 1
	s_mov_b32 s14, 0x407ffff
	v_add3_u32 v1, v0, v1, s14
	v_lshrrev_b32_e32 v3, 20, v1
	v_and_b32_e32 v1, 0xff00000, v1
	s_mov_b32 s14, 0x7f00000
	v_mov_b32_e32 v6, 0x7e
	v_cmp_ne_u32_e32 vcc, s14, v1
	s_nop 1
	v_cndmask_b32_e32 v1, v6, v3, vcc
; %bb.1007:
	s_andn2_saveexec_b64 s[12:13], s[12:13]
; %bb.1008:
	s_mov_b32 s14, 0x46800000
	v_add_f32_e64 v1, |v0|, s14
; %bb.1009:
	s_or_b64 exec, exec, s[12:13]
                                        ; implicit-def: $vgpr3
.LBB369_1010:
	s_andn2_saveexec_b64 s[10:11], s[10:11]
; %bb.1011:
	s_mov_b32 s12, 0x7f800000
	v_mov_b32_e32 v1, 0x7e
	v_mov_b32_e32 v6, 0x7f
	v_cmp_lt_u32_e32 vcc, s12, v3
	s_nop 1
	v_cndmask_b32_e32 v1, v1, v6, vcc
; %bb.1012:
	s_or_b64 exec, exec, s[10:11]
	v_lshrrev_b32_e32 v0, 24, v0
	s_movk_i32 s10, 0x80
	v_and_or_b32 v0, v0, s10, v1
	global_store_byte v[4:5], v0, off
.LBB369_1013:
	s_mov_b64 s[10:11], 0
.LBB369_1014:
	s_andn2_b64 vcc, exec, s[10:11]
	s_cbranch_vccnz .LBB369_1024
; %bb.1015:
	v_cvt_f32_i32_e32 v0, v2
	s_mov_b32 s10, 0x47800000
                                        ; implicit-def: $vgpr1
	v_and_b32_e32 v3, 0x7fffffff, v0
	v_cmp_gt_u32_e32 vcc, s10, v3
	s_and_saveexec_b64 s[10:11], vcc
	s_xor_b64 s[10:11], exec, s[10:11]
	s_cbranch_execz .LBB369_1021
; %bb.1016:
	s_mov_b32 s12, 0x387fffff
	v_cmp_lt_u32_e32 vcc, s12, v3
                                        ; implicit-def: $vgpr1
	s_and_saveexec_b64 s[12:13], vcc
	s_xor_b64 s[12:13], exec, s[12:13]
; %bb.1017:
	v_bfe_u32 v1, v0, 21, 1
	s_mov_b32 s14, 0x80fffff
	v_add3_u32 v1, v0, v1, s14
	v_lshrrev_b32_e32 v1, 21, v1
; %bb.1018:
	s_andn2_saveexec_b64 s[12:13], s[12:13]
; %bb.1019:
	s_mov_b32 s14, 0x43000000
	v_add_f32_e64 v1, |v0|, s14
; %bb.1020:
	s_or_b64 exec, exec, s[12:13]
                                        ; implicit-def: $vgpr3
.LBB369_1021:
	s_andn2_saveexec_b64 s[10:11], s[10:11]
; %bb.1022:
	s_mov_b32 s12, 0x7f800000
	v_mov_b32_e32 v1, 0x7c
	v_mov_b32_e32 v6, 0x7f
	v_cmp_lt_u32_e32 vcc, s12, v3
	s_nop 1
	v_cndmask_b32_e32 v1, v1, v6, vcc
; %bb.1023:
	s_or_b64 exec, exec, s[10:11]
	v_lshrrev_b32_e32 v0, 24, v0
	s_movk_i32 s10, 0x80
	v_and_or_b32 v0, v0, s10, v1
	global_store_byte v[4:5], v0, off
.LBB369_1024:
	s_mov_b64 s[10:11], 0
.LBB369_1025:
	s_andn2_b64 vcc, exec, s[10:11]
	s_mov_b64 s[10:11], 0
	s_cbranch_vccnz .LBB369_1033
; %bb.1026:
	s_cmp_gt_i32 s17, 14
	s_mov_b64 s[12:13], -1
	s_cbranch_scc0 .LBB369_1030
; %bb.1027:
	s_cmp_eq_u32 s17, 15
	s_mov_b64 s[2:3], -1
	s_cbranch_scc0 .LBB369_1029
; %bb.1028:
	v_cvt_f32_i32_e32 v0, v2
	s_movk_i32 s2, 0x7fff
	v_bfe_u32 v1, v0, 16, 1
	v_add3_u32 v0, v0, v1, s2
	global_store_short_d16_hi v[4:5], v0, off
	s_mov_b64 s[2:3], 0
.LBB369_1029:
	s_mov_b64 s[12:13], 0
.LBB369_1030:
	s_and_b64 vcc, exec, s[12:13]
	s_cbranch_vccz .LBB369_1033
; %bb.1031:
	s_cmp_lg_u32 s17, 11
	s_cselect_b64 s[12:13], -1, 0
	s_andn2_b64 s[2:3], s[2:3], exec
	s_and_b64 s[12:13], s[12:13], exec
	s_mov_b64 s[10:11], -1
	s_or_b64 s[2:3], s[2:3], s[12:13]
	s_branch .LBB369_1033
.LBB369_1032:
	s_mov_b64 s[10:11], 0
.LBB369_1033:
	s_andn2_b64 s[12:13], s[56:57], exec
	s_and_b64 s[2:3], s[2:3], exec
	s_and_b64 s[8:9], s[8:9], exec
	;; [unrolled: 1-line block ×3, first 2 shown]
	s_or_b64 s[56:57], s[12:13], s[2:3]
	s_or_b64 exec, exec, s[6:7]
	s_and_saveexec_b64 s[2:3], s[56:57]
	s_cbranch_execz .LBB369_962
.LBB369_1034:
	s_or_b64 s[4:5], s[4:5], exec
	s_andn2_b64 s[10:11], s[10:11], exec
	s_trap 2
	s_or_b64 exec, exec, s[2:3]
	s_and_saveexec_b64 s[2:3], s[10:11]
	s_xor_b64 s[2:3], exec, s[2:3]
	s_cbranch_execnz .LBB369_963
.LBB369_1035:
	s_or_b64 exec, exec, s[2:3]
	s_and_saveexec_b64 s[2:3], s[8:9]
	s_xor_b64 s[2:3], exec, s[2:3]
	s_cbranch_execz .LBB369_1073
.LBB369_1036:
	s_sext_i32_i16 s8, s16
	s_cmp_lt_i32 s8, 5
	s_mov_b64 s[6:7], -1
	s_cbranch_scc1 .LBB369_1057
; %bb.1037:
	s_cmp_lt_i32 s8, 8
	s_cbranch_scc1 .LBB369_1047
; %bb.1038:
	s_cmp_lt_i32 s8, 9
	s_cbranch_scc1 .LBB369_1044
; %bb.1039:
	s_cmp_gt_i32 s8, 9
	s_cbranch_scc0 .LBB369_1041
; %bb.1040:
	v_mov_b32_e32 v8, 0
	v_cvt_f64_i32_e32 v[6:7], v2
	v_mov_b32_e32 v9, v8
	s_mov_b64 s[6:7], 0
	global_store_dwordx4 v[4:5], v[6:9], off
.LBB369_1041:
	s_andn2_b64 vcc, exec, s[6:7]
	s_cbranch_vccnz .LBB369_1043
; %bb.1042:
	v_cvt_f32_i32_e32 v0, v2
	s_waitcnt vmcnt(0)
	v_mov_b32_e32 v1, 0
	global_store_dwordx2 v[4:5], v[0:1], off
.LBB369_1043:
	s_mov_b64 s[6:7], 0
.LBB369_1044:
	s_andn2_b64 vcc, exec, s[6:7]
	s_cbranch_vccnz .LBB369_1046
; %bb.1045:
	v_cvt_f32_i32_e32 v0, v2
	v_cvt_f16_f32_e32 v0, v0
	global_store_dword v[4:5], v0, off
.LBB369_1046:
	s_mov_b64 s[6:7], 0
.LBB369_1047:
	s_andn2_b64 vcc, exec, s[6:7]
	s_cbranch_vccnz .LBB369_1056
; %bb.1048:
	s_sext_i32_i16 s8, s16
	s_cmp_lt_i32 s8, 6
	s_mov_b64 s[6:7], -1
	s_cbranch_scc1 .LBB369_1054
; %bb.1049:
	s_cmp_gt_i32 s8, 6
	s_cbranch_scc0 .LBB369_1051
; %bb.1050:
	s_waitcnt vmcnt(0)
	v_cvt_f64_i32_e32 v[0:1], v2
	s_mov_b64 s[6:7], 0
	global_store_dwordx2 v[4:5], v[0:1], off
.LBB369_1051:
	s_andn2_b64 vcc, exec, s[6:7]
	s_cbranch_vccnz .LBB369_1053
; %bb.1052:
	v_cvt_f32_i32_e32 v0, v2
	global_store_dword v[4:5], v0, off
.LBB369_1053:
	s_mov_b64 s[6:7], 0
.LBB369_1054:
	s_andn2_b64 vcc, exec, s[6:7]
	s_cbranch_vccnz .LBB369_1056
; %bb.1055:
	v_cvt_f32_i32_e32 v0, v2
	v_cvt_f16_f32_e32 v0, v0
	global_store_short v[4:5], v0, off
.LBB369_1056:
	s_mov_b64 s[6:7], 0
.LBB369_1057:
	s_andn2_b64 vcc, exec, s[6:7]
	s_cbranch_vccnz .LBB369_1073
; %bb.1058:
	s_sext_i32_i16 s8, s16
	s_cmp_lt_i32 s8, 2
	s_mov_b64 s[6:7], -1
	s_cbranch_scc1 .LBB369_1068
; %bb.1059:
	s_cmp_lt_i32 s8, 3
	s_cbranch_scc1 .LBB369_1065
; %bb.1060:
	s_cmp_gt_i32 s8, 3
	s_cbranch_scc0 .LBB369_1062
; %bb.1061:
	v_ashrrev_i32_e32 v3, 31, v2
	s_mov_b64 s[6:7], 0
	global_store_dwordx2 v[4:5], v[2:3], off
.LBB369_1062:
	s_andn2_b64 vcc, exec, s[6:7]
	s_cbranch_vccnz .LBB369_1064
; %bb.1063:
	global_store_dword v[4:5], v2, off
.LBB369_1064:
	s_mov_b64 s[6:7], 0
.LBB369_1065:
	s_andn2_b64 vcc, exec, s[6:7]
	s_cbranch_vccnz .LBB369_1067
; %bb.1066:
	global_store_short v[4:5], v2, off
.LBB369_1067:
	s_mov_b64 s[6:7], 0
.LBB369_1068:
	s_andn2_b64 vcc, exec, s[6:7]
	s_cbranch_vccnz .LBB369_1073
; %bb.1069:
	s_sext_i32_i16 s6, s16
	s_cmp_gt_i32 s6, 0
	s_mov_b64 s[6:7], -1
	s_cbranch_scc0 .LBB369_1071
; %bb.1070:
	s_mov_b64 s[6:7], 0
	global_store_byte v[4:5], v2, off
.LBB369_1071:
	s_andn2_b64 vcc, exec, s[6:7]
	s_cbranch_vccnz .LBB369_1073
; %bb.1072:
	global_store_byte v[4:5], v2, off
.LBB369_1073:
	s_or_b64 exec, exec, s[2:3]
	s_and_b64 s[24:25], s[4:5], exec
                                        ; implicit-def: $vgpr16
                                        ; implicit-def: $vgpr8
.LBB369_1074:
	s_or_saveexec_b64 s[26:27], s[44:45]
	s_mov_b64 s[6:7], 0
                                        ; implicit-def: $vgpr0_vgpr1
                                        ; implicit-def: $sgpr16
                                        ; implicit-def: $vgpr2
	s_xor_b64 exec, exec, s[26:27]
	s_cbranch_execz .LBB369_2061
; %bb.1075:
	v_cndmask_b32_e64 v0, 0, 1, s[42:43]
	v_cmp_ne_u32_e64 s[2:3], 1, v0
	s_andn2_b64 vcc, exec, s[42:43]
	s_cbranch_vccnz .LBB369_1081
; %bb.1076:
	s_cmp_lg_u32 s33, 0
	s_mov_b32 s36, 0
	s_cbranch_scc0 .LBB369_1082
; %bb.1077:
	s_min_u32 s37, s74, 15
	s_add_i32 s37, s37, 1
	s_cmp_eq_u32 s74, 2
	s_cbranch_scc1 .LBB369_1083
; %bb.1078:
	s_and_b32 s36, s37, 28
	s_add_u32 s28, s34, 0xc4
	s_addc_u32 s29, s35, 0
	s_mov_b32 s38, 0
	v_mov_b32_e32 v6, 0
	v_mov_b32_e32 v14, 0
	s_mov_b64 s[30:31], s[34:35]
	v_mov_b32_e32 v0, v8
.LBB369_1079:                           ; =>This Inner Loop Header: Depth=1
	s_load_dwordx8 s[12:19], s[30:31], 0x4
	s_load_dwordx4 s[20:23], s[30:31], 0x24
	s_load_dwordx8 s[4:11], s[28:29], 0x0
	s_add_u32 s30, s30, 48
	s_addc_u32 s31, s31, 0
	s_waitcnt vmcnt(0) lgkmcnt(0)
	v_mul_hi_u32 v1, s13, v0
	v_add_u32_e32 v1, v0, v1
	v_lshrrev_b32_e32 v1, s14, v1
	v_mul_lo_u32 v2, v1, s12
	v_mul_hi_u32 v3, s16, v1
	v_sub_u32_e32 v0, v0, v2
	v_add_u32_e32 v2, v1, v3
	v_lshrrev_b32_e32 v2, s17, v2
	v_mul_lo_u32 v4, v2, s15
	v_mul_hi_u32 v5, s19, v2
	v_sub_u32_e32 v1, v1, v4
	v_add_u32_e32 v4, v2, v5
	v_mul_lo_u32 v3, v0, s5
	v_mul_lo_u32 v0, v0, s4
	;; [unrolled: 1-line block ×4, first 2 shown]
	v_lshrrev_b32_e32 v4, s20, v4
	v_add3_u32 v1, v0, v6, v1
	v_add3_u32 v3, v3, v14, v5
	v_mul_lo_u32 v0, v4, s18
	v_mul_hi_u32 v5, s22, v4
	v_sub_u32_e32 v0, v2, v0
	v_add_u32_e32 v2, v4, v5
	v_mul_lo_u32 v5, v0, s8
	v_mul_lo_u32 v6, v0, s9
	v_lshrrev_b32_e32 v0, s23, v2
	s_add_i32 s38, s38, 4
	v_mul_lo_u32 v2, v0, s21
	s_add_u32 s28, s28, 32
	v_sub_u32_e32 v2, v4, v2
	s_addc_u32 s29, s29, 0
	v_mul_lo_u32 v4, v2, s10
	v_mul_lo_u32 v2, v2, s11
	s_cmp_lg_u32 s36, s38
	v_add3_u32 v14, v6, v3, v2
	v_add3_u32 v6, v5, v1, v4
	s_cbranch_scc1 .LBB369_1079
; %bb.1080:
	v_mov_b32_e32 v1, v14
	s_and_b32 s8, s37, 3
	s_cmp_eq_u32 s8, 0
	s_cbranch_scc0 .LBB369_1084
	s_branch .LBB369_1086
.LBB369_1081:
                                        ; implicit-def: $vgpr14
                                        ; implicit-def: $vgpr6
	s_branch .LBB369_1087
.LBB369_1082:
	v_mov_b32_e32 v14, 0
	v_mov_b32_e32 v6, 0
	s_branch .LBB369_1086
.LBB369_1083:
	v_mov_b32_e32 v6, 0
                                        ; implicit-def: $vgpr14
	s_waitcnt vmcnt(0)
	v_mov_b32_e32 v1, v6
	v_mov_b32_e32 v0, v8
	s_and_b32 s8, s37, 3
	s_cmp_eq_u32 s8, 0
	s_cbranch_scc1 .LBB369_1086
.LBB369_1084:
	s_lshl_b32 s4, s36, 3
	s_add_u32 s4, s34, s4
	s_addc_u32 s5, s35, 0
	s_add_u32 s4, s4, 0xc4
	s_addc_u32 s5, s5, 0
	s_mul_i32 s6, s36, 12
	s_add_u32 s6, s34, s6
	s_addc_u32 s7, s35, 0
.LBB369_1085:                           ; =>This Inner Loop Header: Depth=1
	s_load_dwordx2 s[10:11], s[6:7], 0x4
	s_load_dword s9, s[6:7], 0xc
	s_load_dwordx2 s[12:13], s[4:5], 0x0
	v_mov_b32_e32 v2, v1
	s_add_u32 s6, s6, 12
	s_waitcnt lgkmcnt(0)
	v_mul_hi_u32 v1, s11, v0
	v_add_u32_e32 v1, v0, v1
	v_lshrrev_b32_e32 v1, s9, v1
	s_addc_u32 s7, s7, 0
	v_mul_lo_u32 v3, v1, s10
	s_add_u32 s4, s4, 8
	v_sub_u32_e32 v3, v0, v3
	s_addc_u32 s5, s5, 0
	s_add_i32 s8, s8, -1
	v_mad_u64_u32 v[14:15], s[10:11], v3, s13, v[2:3]
	s_cmp_lg_u32 s8, 0
	v_mov_b32_e32 v0, v1
	v_mad_u64_u32 v[6:7], s[10:11], v3, s12, v[6:7]
	v_mov_b32_e32 v1, v14
	s_cbranch_scc1 .LBB369_1085
.LBB369_1086:
	s_cbranch_execnz .LBB369_1089
.LBB369_1087:
	s_load_dwordx4 s[4:7], s[34:35], 0x4
	s_load_dwordx2 s[8:9], s[34:35], 0xc4
	s_cmp_lt_u32 s33, 2
	s_waitcnt lgkmcnt(0)
	v_mul_hi_u32 v0, s5, v8
	v_add_u32_e32 v0, v8, v0
	v_lshrrev_b32_e32 v0, s6, v0
	s_waitcnt vmcnt(0)
	v_mul_lo_u32 v1, v0, s4
	v_sub_u32_e32 v1, v8, v1
	v_mul_lo_u32 v14, v1, s9
	v_mul_lo_u32 v6, v1, s8
	s_cbranch_scc1 .LBB369_1089
; %bb.1088:
	s_load_dwordx4 s[4:7], s[34:35], 0x10
	s_load_dwordx2 s[8:9], s[34:35], 0xcc
	s_waitcnt lgkmcnt(0)
	v_mul_hi_u32 v1, s5, v0
	v_add_u32_e32 v1, v0, v1
	v_lshrrev_b32_e32 v1, s6, v1
	v_mul_lo_u32 v1, v1, s4
	v_sub_u32_e32 v0, v0, v1
	v_mad_u64_u32 v[6:7], s[4:5], v0, s8, v[6:7]
	v_mad_u64_u32 v[14:15], s[4:5], v0, s9, v[14:15]
.LBB369_1089:
	s_and_b64 vcc, exec, s[2:3]
	v_add_u32_e32 v0, 0x80, v8
	s_cbranch_vccnz .LBB369_1095
; %bb.1090:
	s_cmp_lg_u32 s33, 0
	s_mov_b32 s36, 0
	s_cbranch_scc0 .LBB369_1096
; %bb.1091:
	s_min_u32 s37, s74, 15
	s_add_i32 s37, s37, 1
	s_cmp_eq_u32 s74, 2
	s_cbranch_scc1 .LBB369_1097
; %bb.1092:
	s_and_b32 s36, s37, 28
	s_add_u32 s28, s34, 0xc4
	s_addc_u32 s29, s35, 0
	s_mov_b32 s38, 0
	v_mov_b32_e32 v4, 0
	v_mov_b32_e32 v12, 0
	s_mov_b64 s[30:31], s[34:35]
	v_mov_b32_e32 v2, v0
.LBB369_1093:                           ; =>This Inner Loop Header: Depth=1
	s_load_dwordx8 s[12:19], s[30:31], 0x4
	s_load_dwordx4 s[20:23], s[30:31], 0x24
	s_load_dwordx8 s[4:11], s[28:29], 0x0
	s_add_u32 s30, s30, 48
	s_addc_u32 s31, s31, 0
	s_waitcnt vmcnt(0) lgkmcnt(0)
	v_mul_hi_u32 v1, s13, v2
	v_add_u32_e32 v1, v2, v1
	v_lshrrev_b32_e32 v1, s14, v1
	v_mul_lo_u32 v3, v1, s12
	v_mul_hi_u32 v5, s16, v1
	v_sub_u32_e32 v2, v2, v3
	v_add_u32_e32 v3, v1, v5
	v_lshrrev_b32_e32 v3, s17, v3
	v_mul_lo_u32 v7, v3, s15
	v_mul_hi_u32 v9, s19, v3
	v_sub_u32_e32 v1, v1, v7
	v_add_u32_e32 v7, v3, v9
	v_mul_lo_u32 v5, v2, s5
	v_mul_lo_u32 v2, v2, s4
	;; [unrolled: 1-line block ×4, first 2 shown]
	v_lshrrev_b32_e32 v7, s20, v7
	v_add3_u32 v1, v2, v4, v1
	v_add3_u32 v4, v5, v12, v9
	v_mul_lo_u32 v2, v7, s18
	v_mul_hi_u32 v5, s22, v7
	v_sub_u32_e32 v2, v3, v2
	v_add_u32_e32 v3, v7, v5
	v_mul_lo_u32 v5, v2, s8
	v_mul_lo_u32 v9, v2, s9
	v_lshrrev_b32_e32 v2, s23, v3
	s_add_i32 s38, s38, 4
	v_mul_lo_u32 v3, v2, s21
	s_add_u32 s28, s28, 32
	v_sub_u32_e32 v3, v7, v3
	s_addc_u32 s29, s29, 0
	v_mul_lo_u32 v7, v3, s10
	v_mul_lo_u32 v3, v3, s11
	s_cmp_lg_u32 s36, s38
	v_add3_u32 v12, v9, v4, v3
	v_add3_u32 v4, v5, v1, v7
	s_cbranch_scc1 .LBB369_1093
; %bb.1094:
	v_mov_b32_e32 v1, v12
	s_and_b32 s8, s37, 3
	s_cmp_eq_u32 s8, 0
	s_cbranch_scc0 .LBB369_1098
	s_branch .LBB369_1100
.LBB369_1095:
                                        ; implicit-def: $vgpr12
                                        ; implicit-def: $vgpr4
	s_branch .LBB369_1101
.LBB369_1096:
	v_mov_b32_e32 v12, 0
	v_mov_b32_e32 v4, 0
	s_branch .LBB369_1100
.LBB369_1097:
	v_mov_b32_e32 v4, 0
                                        ; implicit-def: $vgpr12
	s_waitcnt vmcnt(0)
	v_mov_b32_e32 v1, v4
	v_mov_b32_e32 v2, v0
	s_and_b32 s8, s37, 3
	s_cmp_eq_u32 s8, 0
	s_cbranch_scc1 .LBB369_1100
.LBB369_1098:
	s_lshl_b32 s4, s36, 3
	s_add_u32 s4, s34, s4
	s_addc_u32 s5, s35, 0
	s_add_u32 s4, s4, 0xc4
	s_addc_u32 s5, s5, 0
	s_mul_i32 s6, s36, 12
	s_add_u32 s6, s34, s6
	s_addc_u32 s7, s35, 0
.LBB369_1099:                           ; =>This Inner Loop Header: Depth=1
	s_load_dwordx2 s[10:11], s[6:7], 0x4
	s_load_dword s9, s[6:7], 0xc
	s_load_dwordx2 s[12:13], s[4:5], 0x0
	v_mov_b32_e32 v10, v1
	s_add_u32 s6, s6, 12
	s_waitcnt lgkmcnt(0)
	v_mul_hi_u32 v1, s11, v2
	v_add_u32_e32 v1, v2, v1
	v_lshrrev_b32_e32 v1, s9, v1
	s_addc_u32 s7, s7, 0
	v_mul_lo_u32 v3, v1, s10
	s_add_u32 s4, s4, 8
	v_sub_u32_e32 v3, v2, v3
	s_addc_u32 s5, s5, 0
	s_add_i32 s8, s8, -1
	v_mad_u64_u32 v[12:13], s[10:11], v3, s13, v[10:11]
	s_cmp_lg_u32 s8, 0
	v_mov_b32_e32 v2, v1
	v_mad_u64_u32 v[4:5], s[10:11], v3, s12, v[4:5]
	v_mov_b32_e32 v1, v12
	s_cbranch_scc1 .LBB369_1099
.LBB369_1100:
	s_cbranch_execnz .LBB369_1103
.LBB369_1101:
	s_load_dwordx4 s[4:7], s[34:35], 0x4
	s_load_dwordx2 s[8:9], s[34:35], 0xc4
	s_cmp_lt_u32 s33, 2
	s_waitcnt vmcnt(0) lgkmcnt(0)
	v_mul_hi_u32 v1, s5, v0
	v_add_u32_e32 v1, v0, v1
	v_lshrrev_b32_e32 v1, s6, v1
	v_mul_lo_u32 v2, v1, s4
	v_sub_u32_e32 v0, v0, v2
	v_mul_lo_u32 v12, v0, s9
	v_mul_lo_u32 v4, v0, s8
	s_cbranch_scc1 .LBB369_1103
; %bb.1102:
	s_load_dwordx4 s[4:7], s[34:35], 0x10
	s_load_dwordx2 s[8:9], s[34:35], 0xcc
	s_waitcnt lgkmcnt(0)
	v_mul_hi_u32 v0, s5, v1
	v_add_u32_e32 v0, v1, v0
	v_lshrrev_b32_e32 v0, s6, v0
	v_mul_lo_u32 v0, v0, s4
	v_sub_u32_e32 v0, v1, v0
	v_mad_u64_u32 v[4:5], s[4:5], v0, s8, v[4:5]
	v_mad_u64_u32 v[12:13], s[4:5], v0, s9, v[12:13]
.LBB369_1103:
	s_and_b64 vcc, exec, s[2:3]
	v_add_u32_e32 v0, 0x100, v8
	s_cbranch_vccnz .LBB369_1109
; %bb.1104:
	s_cmp_lg_u32 s33, 0
	s_mov_b32 s36, 0
	s_cbranch_scc0 .LBB369_1110
; %bb.1105:
	s_min_u32 s37, s74, 15
	s_add_i32 s37, s37, 1
	s_cmp_eq_u32 s74, 2
	s_cbranch_scc1 .LBB369_1111
; %bb.1106:
	s_and_b32 s36, s37, 28
	s_add_u32 s28, s34, 0xc4
	s_addc_u32 s29, s35, 0
	s_mov_b32 s38, 0
	v_mov_b32_e32 v2, 0
	v_mov_b32_e32 v10, 0
	s_mov_b64 s[30:31], s[34:35]
	v_mov_b32_e32 v5, v0
.LBB369_1107:                           ; =>This Inner Loop Header: Depth=1
	s_load_dwordx8 s[12:19], s[30:31], 0x4
	s_load_dwordx4 s[20:23], s[30:31], 0x24
	s_load_dwordx8 s[4:11], s[28:29], 0x0
	s_add_u32 s30, s30, 48
	s_addc_u32 s31, s31, 0
	s_waitcnt vmcnt(0) lgkmcnt(0)
	v_mul_hi_u32 v1, s13, v5
	v_add_u32_e32 v1, v5, v1
	v_lshrrev_b32_e32 v1, s14, v1
	v_mul_lo_u32 v3, v1, s12
	v_mul_hi_u32 v7, s16, v1
	v_sub_u32_e32 v3, v5, v3
	v_add_u32_e32 v5, v1, v7
	v_lshrrev_b32_e32 v5, s17, v5
	v_mul_lo_u32 v8, v5, s15
	v_mul_hi_u32 v9, s19, v5
	v_sub_u32_e32 v1, v1, v8
	v_add_u32_e32 v8, v5, v9
	v_mul_lo_u32 v7, v3, s5
	v_mul_lo_u32 v3, v3, s4
	;; [unrolled: 1-line block ×4, first 2 shown]
	v_lshrrev_b32_e32 v8, s20, v8
	v_add3_u32 v1, v3, v2, v1
	v_add3_u32 v2, v7, v10, v9
	v_mul_lo_u32 v3, v8, s18
	v_mul_hi_u32 v7, s22, v8
	v_sub_u32_e32 v3, v5, v3
	v_add_u32_e32 v5, v8, v7
	v_lshrrev_b32_e32 v5, s23, v5
	s_add_i32 s38, s38, 4
	v_mul_lo_u32 v9, v5, s21
	s_add_u32 s28, s28, 32
	v_sub_u32_e32 v8, v8, v9
	s_addc_u32 s29, s29, 0
	v_mul_lo_u32 v7, v3, s8
	v_mul_lo_u32 v3, v3, s9
	;; [unrolled: 1-line block ×4, first 2 shown]
	s_cmp_lg_u32 s36, s38
	v_add3_u32 v10, v3, v2, v8
	v_add3_u32 v2, v7, v1, v9
	s_cbranch_scc1 .LBB369_1107
; %bb.1108:
	v_mov_b32_e32 v1, v10
	s_and_b32 s8, s37, 3
	s_cmp_eq_u32 s8, 0
	s_cbranch_scc0 .LBB369_1112
	s_branch .LBB369_1114
.LBB369_1109:
                                        ; implicit-def: $vgpr10
                                        ; implicit-def: $vgpr2
	s_branch .LBB369_1115
.LBB369_1110:
	v_mov_b32_e32 v10, 0
	v_mov_b32_e32 v2, 0
	s_branch .LBB369_1114
.LBB369_1111:
	v_mov_b32_e32 v2, 0
                                        ; implicit-def: $vgpr10
	s_waitcnt vmcnt(0)
	v_mov_b32_e32 v1, v2
	v_mov_b32_e32 v5, v0
	s_and_b32 s8, s37, 3
	s_cmp_eq_u32 s8, 0
	s_cbranch_scc1 .LBB369_1114
.LBB369_1112:
	s_lshl_b32 s4, s36, 3
	s_add_u32 s4, s34, s4
	s_addc_u32 s5, s35, 0
	s_add_u32 s4, s4, 0xc4
	s_addc_u32 s5, s5, 0
	s_mul_i32 s6, s36, 12
	s_add_u32 s6, s34, s6
	s_addc_u32 s7, s35, 0
.LBB369_1113:                           ; =>This Inner Loop Header: Depth=1
	s_load_dwordx2 s[10:11], s[6:7], 0x4
	s_load_dword s9, s[6:7], 0xc
	s_load_dwordx2 s[12:13], s[4:5], 0x0
	v_mov_b32_e32 v8, v1
	s_add_u32 s6, s6, 12
	s_waitcnt lgkmcnt(0)
	v_mul_hi_u32 v1, s11, v5
	v_add_u32_e32 v1, v5, v1
	v_lshrrev_b32_e32 v1, s9, v1
	s_addc_u32 s7, s7, 0
	v_mul_lo_u32 v3, v1, s10
	s_add_u32 s4, s4, 8
	v_sub_u32_e32 v3, v5, v3
	s_addc_u32 s5, s5, 0
	s_add_i32 s8, s8, -1
	v_mad_u64_u32 v[10:11], s[10:11], v3, s13, v[8:9]
	s_cmp_lg_u32 s8, 0
	v_mov_b32_e32 v5, v1
	v_mad_u64_u32 v[2:3], s[10:11], v3, s12, v[2:3]
	v_mov_b32_e32 v1, v10
	s_cbranch_scc1 .LBB369_1113
.LBB369_1114:
	s_cbranch_execnz .LBB369_1117
.LBB369_1115:
	s_load_dwordx4 s[4:7], s[34:35], 0x4
	s_load_dwordx2 s[8:9], s[34:35], 0xc4
	s_cmp_lt_u32 s33, 2
	s_waitcnt vmcnt(0) lgkmcnt(0)
	v_mul_hi_u32 v1, s5, v0
	v_add_u32_e32 v1, v0, v1
	v_lshrrev_b32_e32 v1, s6, v1
	v_mul_lo_u32 v2, v1, s4
	v_sub_u32_e32 v0, v0, v2
	v_mul_lo_u32 v10, v0, s9
	v_mul_lo_u32 v2, v0, s8
	s_cbranch_scc1 .LBB369_1117
; %bb.1116:
	s_load_dwordx4 s[4:7], s[34:35], 0x10
	s_load_dwordx2 s[8:9], s[34:35], 0xcc
	s_waitcnt lgkmcnt(0)
	v_mul_hi_u32 v0, s5, v1
	v_add_u32_e32 v0, v1, v0
	v_lshrrev_b32_e32 v0, s6, v0
	v_mul_lo_u32 v0, v0, s4
	v_sub_u32_e32 v0, v1, v0
	v_mad_u64_u32 v[2:3], s[4:5], v0, s8, v[2:3]
	v_mad_u64_u32 v[10:11], s[4:5], v0, s9, v[10:11]
.LBB369_1117:
	s_and_b64 vcc, exec, s[2:3]
	s_cbranch_vccnz .LBB369_1123
; %bb.1118:
	s_cmp_lg_u32 s33, 0
	s_mov_b32 s30, 0
	s_cbranch_scc0 .LBB369_1124
; %bb.1119:
	s_min_u32 s31, s74, 15
	s_add_i32 s31, s31, 1
	s_cmp_eq_u32 s74, 2
	s_cbranch_scc1 .LBB369_1125
; %bb.1120:
	s_and_b32 s30, s31, 28
	s_add_u32 s2, s34, 0xc4
	s_addc_u32 s3, s35, 0
	s_mov_b32 s36, 0
	v_mov_b32_e32 v0, 0
	v_mov_b32_e32 v8, 0
	s_mov_b64 s[28:29], s[34:35]
	v_mov_b32_e32 v3, v16
.LBB369_1121:                           ; =>This Inner Loop Header: Depth=1
	s_load_dwordx8 s[12:19], s[28:29], 0x4
	s_load_dwordx4 s[20:23], s[28:29], 0x24
	s_load_dwordx8 s[4:11], s[2:3], 0x0
	s_add_u32 s28, s28, 48
	s_addc_u32 s29, s29, 0
	s_waitcnt vmcnt(0) lgkmcnt(0)
	v_mul_hi_u32 v1, s13, v3
	v_add_u32_e32 v1, v3, v1
	v_lshrrev_b32_e32 v1, s14, v1
	v_mul_lo_u32 v5, v1, s12
	v_mul_hi_u32 v7, s16, v1
	v_sub_u32_e32 v3, v3, v5
	v_add_u32_e32 v5, v1, v7
	v_lshrrev_b32_e32 v5, s17, v5
	v_mul_lo_u32 v9, v5, s15
	v_mul_hi_u32 v11, s19, v5
	v_sub_u32_e32 v1, v1, v9
	v_add_u32_e32 v9, v5, v11
	v_mul_lo_u32 v7, v3, s5
	v_mul_lo_u32 v3, v3, s4
	v_mul_lo_u32 v11, v1, s7
	v_mul_lo_u32 v1, v1, s6
	v_lshrrev_b32_e32 v9, s20, v9
	v_add3_u32 v0, v3, v0, v1
	v_add3_u32 v1, v7, v8, v11
	v_mul_lo_u32 v3, v9, s18
	v_mul_hi_u32 v7, s22, v9
	v_sub_u32_e32 v3, v5, v3
	v_add_u32_e32 v5, v9, v7
	v_mul_lo_u32 v7, v3, s8
	v_mul_lo_u32 v8, v3, s9
	v_lshrrev_b32_e32 v3, s23, v5
	s_add_i32 s36, s36, 4
	v_mul_lo_u32 v5, v3, s21
	s_add_u32 s2, s2, 32
	v_sub_u32_e32 v5, v9, v5
	s_addc_u32 s3, s3, 0
	v_mul_lo_u32 v9, v5, s10
	v_mul_lo_u32 v5, v5, s11
	s_cmp_lg_u32 s30, s36
	v_add3_u32 v8, v8, v1, v5
	v_add3_u32 v0, v7, v0, v9
	s_cbranch_scc1 .LBB369_1121
; %bb.1122:
	v_mov_b32_e32 v1, v8
	s_and_b32 s6, s31, 3
	s_cmp_eq_u32 s6, 0
	s_cbranch_scc0 .LBB369_1126
	s_branch .LBB369_1128
.LBB369_1123:
                                        ; implicit-def: $vgpr8
                                        ; implicit-def: $vgpr0
	s_branch .LBB369_1129
.LBB369_1124:
	v_mov_b32_e32 v8, 0
	v_mov_b32_e32 v0, 0
	s_branch .LBB369_1128
.LBB369_1125:
	v_mov_b32_e32 v0, 0
                                        ; implicit-def: $vgpr8
	s_waitcnt vmcnt(0)
	v_mov_b32_e32 v1, v0
	v_mov_b32_e32 v3, v16
	s_and_b32 s6, s31, 3
	s_cmp_eq_u32 s6, 0
	s_cbranch_scc1 .LBB369_1128
.LBB369_1126:
	s_lshl_b32 s2, s30, 3
	s_add_u32 s2, s34, s2
	s_addc_u32 s3, s35, 0
	s_add_u32 s2, s2, 0xc4
	s_addc_u32 s3, s3, 0
	s_mul_i32 s4, s30, 12
	s_add_u32 s4, s34, s4
	s_addc_u32 s5, s35, 0
.LBB369_1127:                           ; =>This Inner Loop Header: Depth=1
	s_load_dwordx2 s[8:9], s[4:5], 0x4
	s_load_dword s7, s[4:5], 0xc
	s_load_dwordx2 s[10:11], s[2:3], 0x0
	v_mov_b32_e32 v8, v1
	s_add_u32 s4, s4, 12
	s_waitcnt lgkmcnt(0)
	v_mul_hi_u32 v1, s9, v3
	v_add_u32_e32 v1, v3, v1
	v_lshrrev_b32_e32 v1, s7, v1
	s_addc_u32 s5, s5, 0
	v_mul_lo_u32 v5, v1, s8
	s_add_u32 s2, s2, 8
	v_sub_u32_e32 v5, v3, v5
	s_addc_u32 s3, s3, 0
	s_add_i32 s6, s6, -1
	v_mov_b32_e32 v3, v1
	v_mad_u64_u32 v[8:9], s[8:9], v5, s11, v[8:9]
	v_mad_u64_u32 v[0:1], s[8:9], v5, s10, v[0:1]
	s_cmp_lg_u32 s6, 0
	v_mov_b32_e32 v1, v8
	s_cbranch_scc1 .LBB369_1127
.LBB369_1128:
	s_cbranch_execnz .LBB369_1131
.LBB369_1129:
	s_load_dwordx4 s[4:7], s[34:35], 0x4
	s_load_dwordx2 s[2:3], s[34:35], 0xc4
	s_cmp_lt_u32 s33, 2
	s_waitcnt lgkmcnt(0)
	v_mul_hi_u32 v0, s5, v16
	v_add_u32_e32 v0, v16, v0
	s_waitcnt vmcnt(0)
	v_lshrrev_b32_e32 v1, s6, v0
	v_mul_lo_u32 v0, v1, s4
	v_sub_u32_e32 v0, v16, v0
	v_mul_lo_u32 v8, v0, s3
	v_mul_lo_u32 v0, v0, s2
	s_cbranch_scc1 .LBB369_1131
; %bb.1130:
	s_load_dwordx4 s[4:7], s[34:35], 0x10
	s_load_dwordx2 s[2:3], s[34:35], 0xcc
	s_waitcnt lgkmcnt(0)
	v_mul_hi_u32 v3, s5, v1
	v_add_u32_e32 v3, v1, v3
	v_lshrrev_b32_e32 v3, s6, v3
	v_mul_lo_u32 v3, v3, s4
	v_sub_u32_e32 v3, v1, v3
	v_mad_u64_u32 v[0:1], s[4:5], v3, s2, v[0:1]
	v_mad_u64_u32 v[8:9], s[2:3], v3, s3, v[8:9]
.LBB369_1131:
	s_load_dword s12, s[0:1], 0x164
	s_load_dwordx4 s[4:7], s[34:35], 0x148
	v_mov_b32_e32 v15, 0
	s_waitcnt lgkmcnt(0)
	s_bfe_u32 s13, s12, 0x80008
	s_cmp_lt_i32 s13, 11
	v_lshl_add_u64 v[14:15], s[6:7], 0, v[14:15]
	s_cbranch_scc1 .LBB369_1138
; %bb.1132:
	s_and_b32 s14, 0xffff, s13
	s_cmp_gt_i32 s14, 25
	s_mov_b64 s[8:9], 0
	s_cbranch_scc0 .LBB369_1140
; %bb.1133:
	s_cmp_gt_i32 s14, 28
	s_cbranch_scc0 .LBB369_1141
; %bb.1134:
	s_cmp_gt_i32 s14, 43
	;; [unrolled: 3-line block ×3, first 2 shown]
	s_cbranch_scc0 .LBB369_1143
; %bb.1136:
	s_cmp_eq_u32 s14, 46
	s_mov_b64 s[2:3], 0
	s_cbranch_scc0 .LBB369_1146
; %bb.1137:
	global_load_dword v1, v[14:15], off
	s_mov_b64 s[0:1], 0
	s_mov_b64 s[10:11], -1
	s_waitcnt vmcnt(0)
	v_lshlrev_b32_e32 v1, 16, v1
	v_cvt_i32_f32_e32 v7, v1
	s_branch .LBB369_1147
.LBB369_1138:
	s_mov_b64 s[10:11], 0
                                        ; implicit-def: $vgpr7
	s_mov_b64 s[2:3], s[24:25]
	s_cbranch_execnz .LBB369_1205
.LBB369_1139:
	s_andn2_b64 vcc, exec, s[10:11]
	s_cbranch_vccz .LBB369_1250
	s_branch .LBB369_2059
.LBB369_1140:
	s_mov_b64 s[10:11], 0
	s_mov_b64 s[0:1], 0
                                        ; implicit-def: $vgpr7
	s_cbranch_execnz .LBB369_1172
	s_branch .LBB369_1201
.LBB369_1141:
	s_mov_b64 s[10:11], 0
	s_mov_b64 s[0:1], 0
                                        ; implicit-def: $vgpr7
	s_cbranch_execz .LBB369_1171
	s_branch .LBB369_1156
.LBB369_1142:
	s_mov_b64 s[10:11], 0
	s_mov_b64 s[0:1], 0
                                        ; implicit-def: $vgpr7
	s_cbranch_execnz .LBB369_1152
	s_branch .LBB369_1155
.LBB369_1143:
	s_mov_b64 s[2:3], -1
	s_mov_b64 s[10:11], 0
	s_mov_b64 s[0:1], 0
                                        ; implicit-def: $vgpr7
	s_branch .LBB369_1147
.LBB369_1144:
	s_andn2_saveexec_b64 s[12:13], s[12:13]
	s_cbranch_execz .LBB369_987
.LBB369_1145:
	s_mov_b32 s14, 0x46000000
	v_add_f32_e64 v1, |v0|, s14
	v_and_b32_e32 v1, 0xff, v1
	v_cmp_ne_u32_e32 vcc, 0, v1
	s_andn2_b64 s[10:11], s[10:11], exec
	s_and_b64 s[14:15], vcc, exec
	s_or_b64 s[10:11], s[10:11], s[14:15]
	s_or_b64 exec, exec, s[12:13]
	v_mov_b32_e32 v3, 0
	s_and_saveexec_b64 s[12:13], s[10:11]
	s_cbranch_execnz .LBB369_988
	s_branch .LBB369_989
.LBB369_1146:
	s_mov_b64 s[0:1], -1
                                        ; implicit-def: $vgpr7
	s_mov_b64 s[10:11], 0
.LBB369_1147:
	s_and_b64 vcc, exec, s[2:3]
	s_cbranch_vccz .LBB369_1150
; %bb.1148:
	s_cmp_eq_u32 s14, 44
	s_cbranch_scc0 .LBB369_1151
; %bb.1149:
	global_load_ubyte v1, v[14:15], off
	s_mov_b64 s[0:1], 0
	s_mov_b64 s[10:11], -1
	s_waitcnt vmcnt(0)
	v_lshlrev_b32_e32 v3, 23, v1
	v_cvt_i32_f32_e32 v3, v3
	v_cmp_ne_u32_e32 vcc, 0, v1
	s_nop 1
	v_cndmask_b32_e32 v7, 0, v3, vcc
.LBB369_1150:
	s_branch .LBB369_1155
.LBB369_1151:
	s_mov_b64 s[0:1], -1
                                        ; implicit-def: $vgpr7
	s_branch .LBB369_1155
.LBB369_1152:
	s_cmp_eq_u32 s14, 29
	s_cbranch_scc0 .LBB369_1154
; %bb.1153:
	global_load_dword v7, v[14:15], off
	s_mov_b64 s[0:1], 0
	s_mov_b64 s[10:11], -1
	s_branch .LBB369_1155
.LBB369_1154:
	s_mov_b64 s[0:1], -1
                                        ; implicit-def: $vgpr7
.LBB369_1155:
	s_branch .LBB369_1171
.LBB369_1156:
	s_cmp_lt_i32 s14, 27
	s_cbranch_scc1 .LBB369_1159
; %bb.1157:
	s_cmp_gt_i32 s14, 27
	s_cbranch_scc0 .LBB369_1160
; %bb.1158:
	global_load_dword v7, v[14:15], off
	s_mov_b64 s[2:3], 0
	s_branch .LBB369_1161
.LBB369_1159:
	s_mov_b64 s[2:3], -1
                                        ; implicit-def: $vgpr7
	s_branch .LBB369_1164
.LBB369_1160:
	s_mov_b64 s[2:3], -1
                                        ; implicit-def: $vgpr7
.LBB369_1161:
	s_andn2_b64 vcc, exec, s[2:3]
	s_cbranch_vccnz .LBB369_1163
; %bb.1162:
	global_load_ushort v7, v[14:15], off
.LBB369_1163:
	s_mov_b64 s[2:3], 0
.LBB369_1164:
	s_andn2_b64 vcc, exec, s[2:3]
	s_cbranch_vccnz .LBB369_1170
; %bb.1165:
	global_load_ubyte v1, v[14:15], off
	s_movk_i32 s2, 0x7f
	s_mov_b64 s[10:11], 0
	s_waitcnt vmcnt(0)
	v_cmp_lt_i16_e32 vcc, s2, v1
	s_and_saveexec_b64 s[2:3], vcc
	s_xor_b64 s[2:3], exec, s[2:3]
	s_cbranch_execz .LBB369_1181
; %bb.1166:
	s_movk_i32 s10, 0x80
	v_cmp_ne_u16_e32 vcc, s10, v1
	s_and_b64 s[10:11], vcc, exec
	s_andn2_saveexec_b64 s[2:3], s[2:3]
	s_cbranch_execnz .LBB369_1182
.LBB369_1167:
	s_or_b64 exec, exec, s[2:3]
	v_mov_b32_e32 v7, 0
	s_and_saveexec_b64 s[2:3], s[10:11]
	s_cbranch_execz .LBB369_1169
.LBB369_1168:
	v_lshlrev_b32_e32 v3, 24, v1
	v_and_b32_e32 v1, 0xffff, v1
	v_and_b32_e32 v5, 7, v1
	v_ffbh_u32_e32 v9, v5
	v_min_u32_e32 v9, 32, v9
	v_subrev_u32_e32 v11, 28, v9
	v_bfe_u32 v7, v1, 3, 4
	v_lshlrev_b32_e32 v1, v11, v1
	v_sub_u32_e32 v9, 29, v9
	v_and_b32_e32 v1, 7, v1
	v_cmp_eq_u32_e32 vcc, 0, v7
	v_and_b32_e32 v3, 0x80000000, v3
	s_nop 0
	v_cndmask_b32_e32 v7, v7, v9, vcc
	v_cndmask_b32_e32 v1, v5, v1, vcc
	v_mov_b32_e32 v5, 0x3b800000
	v_lshlrev_b32_e32 v1, 20, v1
	v_lshl_add_u32 v5, v7, 23, v5
	v_or3_b32 v1, v3, v5, v1
	v_cvt_i32_f32_e32 v7, v1
.LBB369_1169:
	s_or_b64 exec, exec, s[2:3]
.LBB369_1170:
	s_mov_b64 s[10:11], -1
.LBB369_1171:
	s_branch .LBB369_1201
.LBB369_1172:
	s_cmp_gt_i32 s14, 22
	s_cbranch_scc0 .LBB369_1180
; %bb.1173:
	s_cmp_lt_i32 s14, 24
	s_cbranch_scc1 .LBB369_1183
; %bb.1174:
	s_cmp_gt_i32 s14, 24
	s_cbranch_scc0 .LBB369_1184
; %bb.1175:
	global_load_ubyte v1, v[14:15], off
	s_movk_i32 s2, 0x7f
	s_waitcnt vmcnt(0)
	v_cmp_lt_i16_e32 vcc, s2, v1
	s_and_saveexec_b64 s[2:3], vcc
	s_xor_b64 s[2:3], exec, s[2:3]
	s_cbranch_execz .LBB369_1195
; %bb.1176:
	s_movk_i32 s8, 0x80
	v_cmp_ne_u16_e32 vcc, s8, v1
	s_and_b64 s[8:9], vcc, exec
	s_andn2_saveexec_b64 s[2:3], s[2:3]
	s_cbranch_execnz .LBB369_1196
.LBB369_1177:
	s_or_b64 exec, exec, s[2:3]
	v_mov_b32_e32 v7, 0
	s_and_saveexec_b64 s[2:3], s[8:9]
	s_cbranch_execz .LBB369_1179
.LBB369_1178:
	v_lshlrev_b32_e32 v3, 24, v1
	v_and_b32_e32 v1, 0xffff, v1
	v_and_b32_e32 v5, 3, v1
	v_ffbh_u32_e32 v9, v5
	v_min_u32_e32 v9, 32, v9
	v_subrev_u32_e32 v11, 29, v9
	v_bfe_u32 v7, v1, 2, 5
	v_lshlrev_b32_e32 v1, v11, v1
	v_sub_u32_e32 v9, 30, v9
	v_and_b32_e32 v1, 3, v1
	v_cmp_eq_u32_e32 vcc, 0, v7
	v_and_b32_e32 v3, 0x80000000, v3
	s_nop 0
	v_cndmask_b32_e32 v7, v7, v9, vcc
	v_cndmask_b32_e32 v1, v5, v1, vcc
	v_mov_b32_e32 v5, 0x37800000
	v_lshlrev_b32_e32 v1, 21, v1
	v_lshl_add_u32 v5, v7, 23, v5
	v_or3_b32 v1, v3, v5, v1
	v_cvt_i32_f32_e32 v7, v1
.LBB369_1179:
	s_or_b64 exec, exec, s[2:3]
	s_mov_b64 s[2:3], 0
	s_branch .LBB369_1185
.LBB369_1180:
                                        ; implicit-def: $vgpr7
	s_mov_b64 s[8:9], 0
	s_branch .LBB369_1191
.LBB369_1181:
	s_andn2_saveexec_b64 s[2:3], s[2:3]
	s_cbranch_execz .LBB369_1167
.LBB369_1182:
	v_cmp_ne_u16_e32 vcc, 0, v1
	s_andn2_b64 s[10:11], s[10:11], exec
	s_and_b64 s[16:17], vcc, exec
	s_or_b64 s[10:11], s[10:11], s[16:17]
	s_or_b64 exec, exec, s[2:3]
	v_mov_b32_e32 v7, 0
	s_and_saveexec_b64 s[2:3], s[10:11]
	s_cbranch_execnz .LBB369_1168
	s_branch .LBB369_1169
.LBB369_1183:
	s_mov_b64 s[2:3], -1
                                        ; implicit-def: $vgpr7
	s_branch .LBB369_1188
.LBB369_1184:
	s_mov_b64 s[2:3], -1
                                        ; implicit-def: $vgpr7
.LBB369_1185:
	s_and_b64 vcc, exec, s[2:3]
	s_cbranch_vccz .LBB369_1187
; %bb.1186:
	global_load_ubyte v1, v[14:15], off
	s_mov_b32 s2, 0x7f800000
	s_waitcnt vmcnt(0)
	v_lshlrev_b32_e32 v1, 24, v1
	v_and_b32_e32 v3, 0x7f000000, v1
	v_ffbh_u32_e32 v5, v3
	v_min_u32_e32 v5, 32, v5
	v_sub_u32_e64 v5, v5, 4 clamp
	v_lshlrev_b32_e32 v9, v5, v3
	v_lshlrev_b32_e32 v5, 23, v5
	v_lshrrev_b32_e32 v9, 4, v9
	v_add_u32_e32 v7, 0x1000000, v3
	v_sub_u32_e32 v5, v9, v5
	v_ashrrev_i32_e32 v7, 8, v7
	v_add_u32_e32 v5, 0x3c000000, v5
	v_and_or_b32 v5, v7, s2, v5
	v_cmp_ne_u32_e32 vcc, 0, v3
	s_brev_b32 s2, 1
	s_nop 0
	v_cndmask_b32_e32 v3, 0, v5, vcc
	v_and_or_b32 v1, v1, s2, v3
	v_cvt_i32_f32_e32 v7, v1
.LBB369_1187:
	s_mov_b64 s[2:3], 0
.LBB369_1188:
	s_andn2_b64 vcc, exec, s[2:3]
	s_cbranch_vccnz .LBB369_1190
; %bb.1189:
	global_load_ubyte v1, v[14:15], off
	s_movk_i32 s2, 0x7f00
	s_brev_b32 s3, 16
	s_waitcnt vmcnt(0)
	v_lshlrev_b16_e32 v3, 8, v1
	v_lshlrev_b32_e32 v1, 25, v1
	v_lshrrev_b32_e32 v5, 4, v1
	v_and_or_b32 v7, v3, s2, 0.5
	v_or_b32_e32 v5, 0x70000000, v5
	v_add_f32_e32 v7, -0.5, v7
	v_mul_f32_e32 v5, 0x7800000, v5
	v_cmp_gt_u32_e32 vcc, s3, v1
	v_bfe_i32 v3, v3, 0, 16
	s_brev_b32 s2, 1
	v_cndmask_b32_e32 v1, v5, v7, vcc
	v_and_or_b32 v1, v3, s2, v1
	v_cvt_i32_f32_e32 v7, v1
.LBB369_1190:
	s_mov_b64 s[10:11], -1
	s_mov_b64 s[8:9], 0
	s_cbranch_execnz .LBB369_1201
.LBB369_1191:
	s_cmp_gt_i32 s14, 14
	s_cbranch_scc0 .LBB369_1194
; %bb.1192:
	s_cmp_eq_u32 s14, 15
	s_cbranch_scc0 .LBB369_1197
; %bb.1193:
	global_load_ushort v1, v[14:15], off
	s_mov_b64 s[0:1], 0
	s_mov_b64 s[10:11], -1
	s_waitcnt vmcnt(0)
	v_lshlrev_b32_e32 v1, 16, v1
	v_cvt_i32_f32_e32 v7, v1
	s_branch .LBB369_1198
.LBB369_1194:
	s_mov_b64 s[2:3], -1
                                        ; implicit-def: $vgpr7
	s_branch .LBB369_1199
.LBB369_1195:
	s_andn2_saveexec_b64 s[2:3], s[2:3]
	s_cbranch_execz .LBB369_1177
.LBB369_1196:
	v_cmp_ne_u16_e32 vcc, 0, v1
	s_andn2_b64 s[8:9], s[8:9], exec
	s_and_b64 s[10:11], vcc, exec
	s_or_b64 s[8:9], s[8:9], s[10:11]
	s_or_b64 exec, exec, s[2:3]
	v_mov_b32_e32 v7, 0
	s_and_saveexec_b64 s[2:3], s[8:9]
	s_cbranch_execnz .LBB369_1178
	s_branch .LBB369_1179
.LBB369_1197:
	s_mov_b64 s[0:1], -1
                                        ; implicit-def: $vgpr7
.LBB369_1198:
	s_mov_b64 s[2:3], 0
.LBB369_1199:
	s_and_b64 vcc, exec, s[2:3]
	s_cbranch_vccz .LBB369_1201
; %bb.1200:
	s_cmp_lg_u32 s14, 11
	s_mov_b64 s[8:9], -1
	s_cselect_b64 s[0:1], -1, 0
.LBB369_1201:
	s_and_b64 vcc, exec, s[0:1]
	s_mov_b64 s[2:3], s[24:25]
	s_cbranch_vccnz .LBB369_1262
; %bb.1202:
	s_andn2_b64 vcc, exec, s[8:9]
	s_cbranch_vccnz .LBB369_1204
.LBB369_1203:
	global_load_ubyte v1, v[14:15], off
	s_mov_b64 s[10:11], -1
	s_waitcnt vmcnt(0)
	v_cmp_ne_u16_e32 vcc, 0, v1
	s_nop 1
	v_cndmask_b32_e64 v7, 0, 1, vcc
.LBB369_1204:
	s_branch .LBB369_1139
.LBB369_1205:
	s_and_b32 s8, 0xffff, s13
	s_cmp_lt_i32 s8, 5
	s_cbranch_scc1 .LBB369_1210
; %bb.1206:
	s_cmp_lt_i32 s8, 8
	s_cbranch_scc1 .LBB369_1211
; %bb.1207:
	;; [unrolled: 3-line block ×3, first 2 shown]
	s_cmp_gt_i32 s8, 9
	s_cbranch_scc0 .LBB369_1213
; %bb.1209:
	global_load_dwordx2 v[16:17], v[14:15], off
	s_mov_b64 s[0:1], 0
	s_waitcnt vmcnt(0)
	v_cvt_i32_f64_e32 v7, v[16:17]
	s_branch .LBB369_1214
.LBB369_1210:
                                        ; implicit-def: $vgpr7
	s_branch .LBB369_1231
.LBB369_1211:
                                        ; implicit-def: $vgpr7
	s_branch .LBB369_1220
.LBB369_1212:
	s_mov_b64 s[0:1], -1
                                        ; implicit-def: $vgpr7
	s_branch .LBB369_1217
.LBB369_1213:
	s_mov_b64 s[0:1], -1
                                        ; implicit-def: $vgpr7
.LBB369_1214:
	s_andn2_b64 vcc, exec, s[0:1]
	s_cbranch_vccnz .LBB369_1216
; %bb.1215:
	global_load_dword v1, v[14:15], off
	s_waitcnt vmcnt(0)
	v_cvt_i32_f32_e32 v7, v1
.LBB369_1216:
	s_mov_b64 s[0:1], 0
.LBB369_1217:
	s_andn2_b64 vcc, exec, s[0:1]
	s_cbranch_vccnz .LBB369_1219
; %bb.1218:
	global_load_dword v1, v[14:15], off
	s_waitcnt vmcnt(0)
	v_cvt_f32_f16_e32 v1, v1
	v_cvt_i32_f32_e32 v7, v1
.LBB369_1219:
	s_cbranch_execnz .LBB369_1230
.LBB369_1220:
	s_cmp_lt_i32 s8, 6
	s_cbranch_scc1 .LBB369_1223
; %bb.1221:
	s_cmp_gt_i32 s8, 6
	s_cbranch_scc0 .LBB369_1224
; %bb.1222:
	global_load_dwordx2 v[16:17], v[14:15], off
	s_mov_b64 s[0:1], 0
	s_waitcnt vmcnt(0)
	v_cvt_i32_f64_e32 v7, v[16:17]
	s_branch .LBB369_1225
.LBB369_1223:
	s_mov_b64 s[0:1], -1
                                        ; implicit-def: $vgpr7
	s_branch .LBB369_1228
.LBB369_1224:
	s_mov_b64 s[0:1], -1
                                        ; implicit-def: $vgpr7
.LBB369_1225:
	s_andn2_b64 vcc, exec, s[0:1]
	s_cbranch_vccnz .LBB369_1227
; %bb.1226:
	global_load_dword v1, v[14:15], off
	s_waitcnt vmcnt(0)
	v_cvt_i32_f32_e32 v7, v1
.LBB369_1227:
	s_mov_b64 s[0:1], 0
.LBB369_1228:
	s_andn2_b64 vcc, exec, s[0:1]
	s_cbranch_vccnz .LBB369_1230
; %bb.1229:
	global_load_ushort v1, v[14:15], off
	s_waitcnt vmcnt(0)
	v_cvt_f32_f16_e32 v1, v1
	v_cvt_i32_f32_e32 v7, v1
.LBB369_1230:
	s_cbranch_execnz .LBB369_1249
.LBB369_1231:
	s_cmp_lt_i32 s8, 2
	s_cbranch_scc1 .LBB369_1235
; %bb.1232:
	s_cmp_lt_i32 s8, 3
	s_cbranch_scc1 .LBB369_1236
; %bb.1233:
	s_cmp_gt_i32 s8, 3
	s_cbranch_scc0 .LBB369_1237
; %bb.1234:
	global_load_dword v7, v[14:15], off
	s_mov_b64 s[0:1], 0
	s_branch .LBB369_1238
.LBB369_1235:
                                        ; implicit-def: $vgpr7
	s_branch .LBB369_1244
.LBB369_1236:
	s_mov_b64 s[0:1], -1
                                        ; implicit-def: $vgpr7
	s_branch .LBB369_1241
.LBB369_1237:
	s_mov_b64 s[0:1], -1
                                        ; implicit-def: $vgpr7
.LBB369_1238:
	s_andn2_b64 vcc, exec, s[0:1]
	s_cbranch_vccnz .LBB369_1240
; %bb.1239:
	global_load_dword v7, v[14:15], off
.LBB369_1240:
	s_mov_b64 s[0:1], 0
.LBB369_1241:
	s_andn2_b64 vcc, exec, s[0:1]
	s_cbranch_vccnz .LBB369_1243
; %bb.1242:
	global_load_sshort v7, v[14:15], off
.LBB369_1243:
	s_cbranch_execnz .LBB369_1249
.LBB369_1244:
	s_cmp_gt_i32 s8, 0
	s_cbranch_scc0 .LBB369_1246
; %bb.1245:
	global_load_sbyte v7, v[14:15], off
	s_mov_b64 s[0:1], 0
	s_branch .LBB369_1247
.LBB369_1246:
	s_mov_b64 s[0:1], -1
                                        ; implicit-def: $vgpr7
.LBB369_1247:
	s_andn2_b64 vcc, exec, s[0:1]
	s_cbranch_vccnz .LBB369_1249
; %bb.1248:
	global_load_ubyte v7, v[14:15], off
.LBB369_1249:
.LBB369_1250:
	s_lshr_b32 s0, s12, 8
	v_mov_b32_e32 v13, 0
	s_and_b32 s14, s0, 0xff
	s_cmp_lt_i32 s14, 11
	v_lshl_add_u64 v[12:13], s[6:7], 0, v[12:13]
	s_cbranch_scc1 .LBB369_1257
; %bb.1251:
	s_and_b32 s15, 0xffff, s14
	s_cmp_gt_i32 s15, 25
	s_mov_b64 s[8:9], 0
	s_cbranch_scc0 .LBB369_1259
; %bb.1252:
	s_cmp_gt_i32 s15, 28
	s_cbranch_scc0 .LBB369_1260
; %bb.1253:
	s_cmp_gt_i32 s15, 43
	s_cbranch_scc0 .LBB369_1261
; %bb.1254:
	s_cmp_gt_i32 s15, 45
	s_cbranch_scc0 .LBB369_1263
; %bb.1255:
	s_cmp_eq_u32 s15, 46
	s_mov_b64 s[12:13], 0
	s_cbranch_scc0 .LBB369_1266
; %bb.1256:
	global_load_dword v1, v[12:13], off
	s_mov_b64 s[0:1], 0
	s_mov_b64 s[10:11], -1
	s_waitcnt vmcnt(0)
	v_lshlrev_b32_e32 v1, 16, v1
	v_cvt_i32_f32_e32 v5, v1
	s_branch .LBB369_1267
.LBB369_1257:
	s_mov_b64 s[10:11], 0
                                        ; implicit-def: $vgpr5
	s_cbranch_execnz .LBB369_1328
.LBB369_1258:
	s_andn2_b64 vcc, exec, s[10:11]
	s_cbranch_vccnz .LBB369_2059
	s_branch .LBB369_1375
.LBB369_1259:
	s_mov_b64 s[10:11], 0
	s_mov_b64 s[0:1], 0
                                        ; implicit-def: $vgpr5
	s_cbranch_execnz .LBB369_1294
	s_branch .LBB369_1324
.LBB369_1260:
	s_mov_b64 s[12:13], -1
	s_mov_b64 s[10:11], 0
	s_mov_b64 s[0:1], 0
                                        ; implicit-def: $vgpr5
	s_branch .LBB369_1277
.LBB369_1261:
	s_mov_b64 s[12:13], -1
	s_mov_b64 s[10:11], 0
	s_mov_b64 s[0:1], 0
                                        ; implicit-def: $vgpr5
	s_branch .LBB369_1272
.LBB369_1262:
	s_or_b64 s[2:3], s[24:25], exec
	s_trap 2
	s_cbranch_execz .LBB369_1203
	s_branch .LBB369_1204
.LBB369_1263:
	s_mov_b64 s[12:13], -1
	s_mov_b64 s[10:11], 0
	s_mov_b64 s[0:1], 0
                                        ; implicit-def: $vgpr5
	s_branch .LBB369_1267
.LBB369_1264:
	s_andn2_saveexec_b64 s[14:15], s[14:15]
	s_cbranch_execz .LBB369_999
.LBB369_1265:
	s_mov_b32 s18, 0x42800000
	v_add_f32_e64 v1, |v0|, s18
	v_and_b32_e32 v1, 0xff, v1
	v_cmp_ne_u32_e32 vcc, 0, v1
	s_andn2_b64 s[12:13], s[12:13], exec
	s_and_b64 s[18:19], vcc, exec
	s_or_b64 s[12:13], s[12:13], s[18:19]
	s_or_b64 exec, exec, s[14:15]
	v_mov_b32_e32 v3, 0
	s_and_saveexec_b64 s[14:15], s[12:13]
	s_cbranch_execnz .LBB369_1000
	s_branch .LBB369_1001
.LBB369_1266:
	s_mov_b64 s[0:1], -1
                                        ; implicit-def: $vgpr5
	s_mov_b64 s[10:11], 0
.LBB369_1267:
	s_and_b64 vcc, exec, s[12:13]
	s_cbranch_vccz .LBB369_1271
; %bb.1268:
	s_cmp_eq_u32 s15, 44
	s_cbranch_scc0 .LBB369_1270
; %bb.1269:
	global_load_ubyte v1, v[12:13], off
	s_mov_b64 s[0:1], 0
	s_mov_b64 s[10:11], -1
	s_waitcnt vmcnt(0)
	v_lshlrev_b32_e32 v3, 23, v1
	v_cvt_i32_f32_e32 v3, v3
	v_cmp_ne_u32_e32 vcc, 0, v1
	s_nop 1
	v_cndmask_b32_e32 v5, 0, v3, vcc
	s_branch .LBB369_1271
.LBB369_1270:
	s_mov_b64 s[0:1], -1
                                        ; implicit-def: $vgpr5
.LBB369_1271:
	s_mov_b64 s[12:13], 0
.LBB369_1272:
	s_and_b64 vcc, exec, s[12:13]
	s_cbranch_vccz .LBB369_1276
; %bb.1273:
	s_cmp_eq_u32 s15, 29
	s_cbranch_scc0 .LBB369_1275
; %bb.1274:
	global_load_dword v5, v[12:13], off
	s_mov_b64 s[0:1], 0
	s_mov_b64 s[10:11], -1
	s_branch .LBB369_1276
.LBB369_1275:
	s_mov_b64 s[0:1], -1
                                        ; implicit-def: $vgpr5
.LBB369_1276:
	s_mov_b64 s[12:13], 0
.LBB369_1277:
	s_and_b64 vcc, exec, s[12:13]
	s_cbranch_vccz .LBB369_1293
; %bb.1278:
	s_cmp_lt_i32 s15, 27
	s_cbranch_scc1 .LBB369_1281
; %bb.1279:
	s_cmp_gt_i32 s15, 27
	s_cbranch_scc0 .LBB369_1282
; %bb.1280:
	global_load_dword v5, v[12:13], off
	s_mov_b64 s[10:11], 0
	s_branch .LBB369_1283
.LBB369_1281:
	s_mov_b64 s[10:11], -1
                                        ; implicit-def: $vgpr5
	s_branch .LBB369_1286
.LBB369_1282:
	s_mov_b64 s[10:11], -1
                                        ; implicit-def: $vgpr5
.LBB369_1283:
	s_andn2_b64 vcc, exec, s[10:11]
	s_cbranch_vccnz .LBB369_1285
; %bb.1284:
	global_load_ushort v5, v[12:13], off
.LBB369_1285:
	s_mov_b64 s[10:11], 0
.LBB369_1286:
	s_andn2_b64 vcc, exec, s[10:11]
	s_cbranch_vccnz .LBB369_1292
; %bb.1287:
	global_load_ubyte v1, v[12:13], off
	s_movk_i32 s10, 0x7f
	s_mov_b64 s[12:13], 0
	s_waitcnt vmcnt(0)
	v_cmp_lt_i16_e32 vcc, s10, v1
	s_and_saveexec_b64 s[10:11], vcc
	s_xor_b64 s[10:11], exec, s[10:11]
	s_cbranch_execz .LBB369_1303
; %bb.1288:
	s_movk_i32 s12, 0x80
	v_cmp_ne_u16_e32 vcc, s12, v1
	s_and_b64 s[12:13], vcc, exec
	s_andn2_saveexec_b64 s[10:11], s[10:11]
	s_cbranch_execnz .LBB369_1304
.LBB369_1289:
	s_or_b64 exec, exec, s[10:11]
	v_mov_b32_e32 v5, 0
	s_and_saveexec_b64 s[10:11], s[12:13]
	s_cbranch_execz .LBB369_1291
.LBB369_1290:
	v_lshlrev_b32_e32 v3, 24, v1
	v_and_b32_e32 v1, 0xffff, v1
	v_and_b32_e32 v5, 7, v1
	v_ffbh_u32_e32 v11, v5
	v_min_u32_e32 v11, 32, v11
	v_subrev_u32_e32 v14, 28, v11
	v_bfe_u32 v9, v1, 3, 4
	v_lshlrev_b32_e32 v1, v14, v1
	v_sub_u32_e32 v11, 29, v11
	v_and_b32_e32 v1, 7, v1
	v_cmp_eq_u32_e32 vcc, 0, v9
	v_and_b32_e32 v3, 0x80000000, v3
	s_nop 0
	v_cndmask_b32_e32 v9, v9, v11, vcc
	v_cndmask_b32_e32 v1, v5, v1, vcc
	v_mov_b32_e32 v5, 0x3b800000
	v_lshlrev_b32_e32 v1, 20, v1
	v_lshl_add_u32 v5, v9, 23, v5
	v_or3_b32 v1, v3, v5, v1
	v_cvt_i32_f32_e32 v5, v1
.LBB369_1291:
	s_or_b64 exec, exec, s[10:11]
.LBB369_1292:
	s_mov_b64 s[10:11], -1
.LBB369_1293:
	s_branch .LBB369_1324
.LBB369_1294:
	s_cmp_gt_i32 s15, 22
	s_cbranch_scc0 .LBB369_1302
; %bb.1295:
	s_cmp_lt_i32 s15, 24
	s_cbranch_scc1 .LBB369_1305
; %bb.1296:
	s_cmp_gt_i32 s15, 24
	s_cbranch_scc0 .LBB369_1306
; %bb.1297:
	global_load_ubyte v1, v[12:13], off
	s_movk_i32 s8, 0x7f
	s_mov_b64 s[10:11], 0
	s_waitcnt vmcnt(0)
	v_cmp_lt_i16_e32 vcc, s8, v1
	s_and_saveexec_b64 s[8:9], vcc
	s_xor_b64 s[8:9], exec, s[8:9]
	s_cbranch_execz .LBB369_1318
; %bb.1298:
	s_movk_i32 s10, 0x80
	v_cmp_ne_u16_e32 vcc, s10, v1
	s_and_b64 s[10:11], vcc, exec
	s_andn2_saveexec_b64 s[8:9], s[8:9]
	s_cbranch_execnz .LBB369_1319
.LBB369_1299:
	s_or_b64 exec, exec, s[8:9]
	v_mov_b32_e32 v5, 0
	s_and_saveexec_b64 s[8:9], s[10:11]
	s_cbranch_execz .LBB369_1301
.LBB369_1300:
	v_lshlrev_b32_e32 v3, 24, v1
	v_and_b32_e32 v1, 0xffff, v1
	v_and_b32_e32 v5, 3, v1
	v_ffbh_u32_e32 v11, v5
	v_min_u32_e32 v11, 32, v11
	v_subrev_u32_e32 v14, 29, v11
	v_bfe_u32 v9, v1, 2, 5
	v_lshlrev_b32_e32 v1, v14, v1
	v_sub_u32_e32 v11, 30, v11
	v_and_b32_e32 v1, 3, v1
	v_cmp_eq_u32_e32 vcc, 0, v9
	v_and_b32_e32 v3, 0x80000000, v3
	s_nop 0
	v_cndmask_b32_e32 v9, v9, v11, vcc
	v_cndmask_b32_e32 v1, v5, v1, vcc
	v_mov_b32_e32 v5, 0x37800000
	v_lshlrev_b32_e32 v1, 21, v1
	v_lshl_add_u32 v5, v9, 23, v5
	v_or3_b32 v1, v3, v5, v1
	v_cvt_i32_f32_e32 v5, v1
.LBB369_1301:
	s_or_b64 exec, exec, s[8:9]
	s_mov_b64 s[8:9], 0
	s_branch .LBB369_1307
.LBB369_1302:
	s_mov_b64 s[8:9], -1
                                        ; implicit-def: $vgpr5
	s_branch .LBB369_1313
.LBB369_1303:
	s_andn2_saveexec_b64 s[10:11], s[10:11]
	s_cbranch_execz .LBB369_1289
.LBB369_1304:
	v_cmp_ne_u16_e32 vcc, 0, v1
	s_andn2_b64 s[12:13], s[12:13], exec
	s_and_b64 s[16:17], vcc, exec
	s_or_b64 s[12:13], s[12:13], s[16:17]
	s_or_b64 exec, exec, s[10:11]
	v_mov_b32_e32 v5, 0
	s_and_saveexec_b64 s[10:11], s[12:13]
	s_cbranch_execnz .LBB369_1290
	s_branch .LBB369_1291
.LBB369_1305:
	s_mov_b64 s[8:9], -1
                                        ; implicit-def: $vgpr5
	s_branch .LBB369_1310
.LBB369_1306:
	s_mov_b64 s[8:9], -1
                                        ; implicit-def: $vgpr5
.LBB369_1307:
	s_and_b64 vcc, exec, s[8:9]
	s_cbranch_vccz .LBB369_1309
; %bb.1308:
	global_load_ubyte v1, v[12:13], off
	s_mov_b32 s8, 0x7f800000
	s_waitcnt vmcnt(0)
	v_lshlrev_b32_e32 v1, 24, v1
	v_and_b32_e32 v3, 0x7f000000, v1
	v_ffbh_u32_e32 v5, v3
	v_min_u32_e32 v5, 32, v5
	v_sub_u32_e64 v5, v5, 4 clamp
	v_lshlrev_b32_e32 v11, v5, v3
	v_lshlrev_b32_e32 v5, 23, v5
	v_lshrrev_b32_e32 v11, 4, v11
	v_add_u32_e32 v9, 0x1000000, v3
	v_sub_u32_e32 v5, v11, v5
	v_ashrrev_i32_e32 v9, 8, v9
	v_add_u32_e32 v5, 0x3c000000, v5
	v_and_or_b32 v5, v9, s8, v5
	v_cmp_ne_u32_e32 vcc, 0, v3
	s_brev_b32 s8, 1
	s_nop 0
	v_cndmask_b32_e32 v3, 0, v5, vcc
	v_and_or_b32 v1, v1, s8, v3
	v_cvt_i32_f32_e32 v5, v1
.LBB369_1309:
	s_mov_b64 s[8:9], 0
.LBB369_1310:
	s_andn2_b64 vcc, exec, s[8:9]
	s_cbranch_vccnz .LBB369_1312
; %bb.1311:
	global_load_ubyte v1, v[12:13], off
	s_movk_i32 s8, 0x7f00
	s_brev_b32 s9, 16
	s_waitcnt vmcnt(0)
	v_lshlrev_b16_e32 v3, 8, v1
	v_lshlrev_b32_e32 v1, 25, v1
	v_lshrrev_b32_e32 v5, 4, v1
	v_and_or_b32 v9, v3, s8, 0.5
	v_or_b32_e32 v5, 0x70000000, v5
	v_add_f32_e32 v9, -0.5, v9
	v_mul_f32_e32 v5, 0x7800000, v5
	v_cmp_gt_u32_e32 vcc, s9, v1
	v_bfe_i32 v3, v3, 0, 16
	s_brev_b32 s8, 1
	v_cndmask_b32_e32 v1, v5, v9, vcc
	v_and_or_b32 v1, v3, s8, v1
	v_cvt_i32_f32_e32 v5, v1
.LBB369_1312:
	s_mov_b64 s[8:9], 0
	s_mov_b64 s[10:11], -1
.LBB369_1313:
	s_andn2_b64 vcc, exec, s[8:9]
	s_mov_b64 s[8:9], 0
	s_cbranch_vccnz .LBB369_1324
; %bb.1314:
	s_cmp_gt_i32 s15, 14
	s_cbranch_scc0 .LBB369_1317
; %bb.1315:
	s_cmp_eq_u32 s15, 15
	s_cbranch_scc0 .LBB369_1320
; %bb.1316:
	global_load_ushort v1, v[12:13], off
	s_mov_b64 s[0:1], 0
	s_mov_b64 s[10:11], -1
	s_waitcnt vmcnt(0)
	v_lshlrev_b32_e32 v1, 16, v1
	v_cvt_i32_f32_e32 v5, v1
	s_branch .LBB369_1321
.LBB369_1317:
	s_mov_b64 s[12:13], -1
                                        ; implicit-def: $vgpr5
	s_branch .LBB369_1322
.LBB369_1318:
	s_andn2_saveexec_b64 s[8:9], s[8:9]
	s_cbranch_execz .LBB369_1299
.LBB369_1319:
	v_cmp_ne_u16_e32 vcc, 0, v1
	s_andn2_b64 s[10:11], s[10:11], exec
	s_and_b64 s[12:13], vcc, exec
	s_or_b64 s[10:11], s[10:11], s[12:13]
	s_or_b64 exec, exec, s[8:9]
	v_mov_b32_e32 v5, 0
	s_and_saveexec_b64 s[8:9], s[10:11]
	s_cbranch_execnz .LBB369_1300
	s_branch .LBB369_1301
.LBB369_1320:
	s_mov_b64 s[0:1], -1
                                        ; implicit-def: $vgpr5
.LBB369_1321:
	s_mov_b64 s[12:13], 0
.LBB369_1322:
	s_and_b64 vcc, exec, s[12:13]
	s_cbranch_vccz .LBB369_1324
; %bb.1323:
	s_cmp_lg_u32 s15, 11
	s_mov_b64 s[8:9], -1
	s_cselect_b64 s[0:1], -1, 0
.LBB369_1324:
	s_and_b64 vcc, exec, s[0:1]
	s_cbranch_vccnz .LBB369_1387
; %bb.1325:
	s_andn2_b64 vcc, exec, s[8:9]
	s_cbranch_vccnz .LBB369_1327
.LBB369_1326:
	global_load_ubyte v1, v[12:13], off
	s_mov_b64 s[10:11], -1
	s_waitcnt vmcnt(0)
	v_cmp_ne_u16_e32 vcc, 0, v1
	s_nop 1
	v_cndmask_b32_e64 v5, 0, 1, vcc
.LBB369_1327:
	s_branch .LBB369_1258
.LBB369_1328:
	s_and_b32 s8, 0xffff, s14
	s_cmp_lt_i32 s8, 5
	s_cbranch_scc1 .LBB369_1333
; %bb.1329:
	s_cmp_lt_i32 s8, 8
	s_cbranch_scc1 .LBB369_1334
; %bb.1330:
	;; [unrolled: 3-line block ×3, first 2 shown]
	s_cmp_gt_i32 s8, 9
	s_cbranch_scc0 .LBB369_1336
; %bb.1332:
	global_load_dwordx2 v[14:15], v[12:13], off
	s_mov_b64 s[0:1], 0
	s_waitcnt vmcnt(0)
	v_cvt_i32_f64_e32 v5, v[14:15]
	s_branch .LBB369_1337
.LBB369_1333:
                                        ; implicit-def: $vgpr5
	s_branch .LBB369_1355
.LBB369_1334:
	s_mov_b64 s[0:1], -1
                                        ; implicit-def: $vgpr5
	s_branch .LBB369_1343
.LBB369_1335:
	s_mov_b64 s[0:1], -1
                                        ; implicit-def: $vgpr5
	s_branch .LBB369_1340
.LBB369_1336:
	s_mov_b64 s[0:1], -1
                                        ; implicit-def: $vgpr5
.LBB369_1337:
	s_andn2_b64 vcc, exec, s[0:1]
	s_cbranch_vccnz .LBB369_1339
; %bb.1338:
	global_load_dword v1, v[12:13], off
	s_waitcnt vmcnt(0)
	v_cvt_i32_f32_e32 v5, v1
.LBB369_1339:
	s_mov_b64 s[0:1], 0
.LBB369_1340:
	s_andn2_b64 vcc, exec, s[0:1]
	s_cbranch_vccnz .LBB369_1342
; %bb.1341:
	global_load_dword v1, v[12:13], off
	s_waitcnt vmcnt(0)
	v_cvt_f32_f16_e32 v1, v1
	v_cvt_i32_f32_e32 v5, v1
.LBB369_1342:
	s_mov_b64 s[0:1], 0
.LBB369_1343:
	s_andn2_b64 vcc, exec, s[0:1]
	s_cbranch_vccnz .LBB369_1354
; %bb.1344:
	s_cmp_lt_i32 s8, 6
	s_cbranch_scc1 .LBB369_1347
; %bb.1345:
	s_cmp_gt_i32 s8, 6
	s_cbranch_scc0 .LBB369_1348
; %bb.1346:
	global_load_dwordx2 v[14:15], v[12:13], off
	s_mov_b64 s[0:1], 0
	s_waitcnt vmcnt(0)
	v_cvt_i32_f64_e32 v5, v[14:15]
	s_branch .LBB369_1349
.LBB369_1347:
	s_mov_b64 s[0:1], -1
                                        ; implicit-def: $vgpr5
	s_branch .LBB369_1352
.LBB369_1348:
	s_mov_b64 s[0:1], -1
                                        ; implicit-def: $vgpr5
.LBB369_1349:
	s_andn2_b64 vcc, exec, s[0:1]
	s_cbranch_vccnz .LBB369_1351
; %bb.1350:
	global_load_dword v1, v[12:13], off
	s_waitcnt vmcnt(0)
	v_cvt_i32_f32_e32 v5, v1
.LBB369_1351:
	s_mov_b64 s[0:1], 0
.LBB369_1352:
	s_andn2_b64 vcc, exec, s[0:1]
	s_cbranch_vccnz .LBB369_1354
; %bb.1353:
	global_load_ushort v1, v[12:13], off
	s_waitcnt vmcnt(0)
	v_cvt_f32_f16_e32 v1, v1
	v_cvt_i32_f32_e32 v5, v1
.LBB369_1354:
	s_cbranch_execnz .LBB369_1374
.LBB369_1355:
	s_cmp_lt_i32 s8, 2
	s_cbranch_scc1 .LBB369_1359
; %bb.1356:
	s_cmp_lt_i32 s8, 3
	s_cbranch_scc1 .LBB369_1360
; %bb.1357:
	s_cmp_gt_i32 s8, 3
	s_cbranch_scc0 .LBB369_1361
; %bb.1358:
	global_load_dword v5, v[12:13], off
	s_mov_b64 s[0:1], 0
	s_branch .LBB369_1362
.LBB369_1359:
	s_mov_b64 s[0:1], -1
                                        ; implicit-def: $vgpr5
	s_branch .LBB369_1368
.LBB369_1360:
	s_mov_b64 s[0:1], -1
                                        ; implicit-def: $vgpr5
	s_branch .LBB369_1365
.LBB369_1361:
	s_mov_b64 s[0:1], -1
                                        ; implicit-def: $vgpr5
.LBB369_1362:
	s_andn2_b64 vcc, exec, s[0:1]
	s_cbranch_vccnz .LBB369_1364
; %bb.1363:
	global_load_dword v5, v[12:13], off
.LBB369_1364:
	s_mov_b64 s[0:1], 0
.LBB369_1365:
	s_andn2_b64 vcc, exec, s[0:1]
	s_cbranch_vccnz .LBB369_1367
; %bb.1366:
	global_load_sshort v5, v[12:13], off
.LBB369_1367:
	s_mov_b64 s[0:1], 0
.LBB369_1368:
	s_andn2_b64 vcc, exec, s[0:1]
	s_cbranch_vccnz .LBB369_1374
; %bb.1369:
	s_cmp_gt_i32 s8, 0
	s_cbranch_scc0 .LBB369_1371
; %bb.1370:
	global_load_sbyte v5, v[12:13], off
	s_mov_b64 s[0:1], 0
	s_branch .LBB369_1372
.LBB369_1371:
	s_mov_b64 s[0:1], -1
                                        ; implicit-def: $vgpr5
.LBB369_1372:
	s_andn2_b64 vcc, exec, s[0:1]
	s_cbranch_vccnz .LBB369_1374
; %bb.1373:
	global_load_ubyte v5, v[12:13], off
.LBB369_1374:
.LBB369_1375:
	v_mov_b32_e32 v11, 0
	s_cmp_lt_i32 s14, 11
	v_lshl_add_u64 v[10:11], s[6:7], 0, v[10:11]
	s_cbranch_scc1 .LBB369_1382
; %bb.1376:
	s_and_b32 s15, 0xffff, s14
	s_cmp_gt_i32 s15, 25
	s_mov_b64 s[8:9], 0
	s_cbranch_scc0 .LBB369_1384
; %bb.1377:
	s_cmp_gt_i32 s15, 28
	s_cbranch_scc0 .LBB369_1385
; %bb.1378:
	s_cmp_gt_i32 s15, 43
	;; [unrolled: 3-line block ×3, first 2 shown]
	s_cbranch_scc0 .LBB369_1388
; %bb.1380:
	s_cmp_eq_u32 s15, 46
	s_mov_b64 s[12:13], 0
	s_cbranch_scc0 .LBB369_1389
; %bb.1381:
	global_load_dword v1, v[10:11], off
	s_mov_b64 s[0:1], 0
	s_mov_b64 s[10:11], -1
	s_waitcnt vmcnt(0)
	v_lshlrev_b32_e32 v1, 16, v1
	v_cvt_i32_f32_e32 v3, v1
	s_branch .LBB369_1390
.LBB369_1382:
	s_mov_b64 s[10:11], 0
                                        ; implicit-def: $vgpr3
	s_cbranch_execnz .LBB369_1452
.LBB369_1383:
	s_andn2_b64 vcc, exec, s[10:11]
	s_cbranch_vccnz .LBB369_2059
	s_branch .LBB369_1500
.LBB369_1384:
	s_mov_b64 s[12:13], -1
	s_mov_b64 s[10:11], 0
	s_mov_b64 s[0:1], 0
                                        ; implicit-def: $vgpr3
	s_branch .LBB369_1417
.LBB369_1385:
	s_mov_b64 s[12:13], -1
	s_mov_b64 s[10:11], 0
	s_mov_b64 s[0:1], 0
                                        ; implicit-def: $vgpr3
	s_branch .LBB369_1400
.LBB369_1386:
	s_mov_b64 s[12:13], -1
	s_mov_b64 s[10:11], 0
	s_mov_b64 s[0:1], 0
                                        ; implicit-def: $vgpr3
	s_branch .LBB369_1395
.LBB369_1387:
	s_trap 2
	s_or_b64 s[2:3], s[2:3], exec
	s_cbranch_execz .LBB369_1326
	s_branch .LBB369_1327
.LBB369_1388:
	s_mov_b64 s[12:13], -1
	s_mov_b64 s[10:11], 0
	s_mov_b64 s[0:1], 0
                                        ; implicit-def: $vgpr3
	s_branch .LBB369_1390
.LBB369_1389:
	s_mov_b64 s[0:1], -1
                                        ; implicit-def: $vgpr3
	s_mov_b64 s[10:11], 0
.LBB369_1390:
	s_and_b64 vcc, exec, s[12:13]
	s_cbranch_vccz .LBB369_1394
; %bb.1391:
	s_cmp_eq_u32 s15, 44
	s_cbranch_scc0 .LBB369_1393
; %bb.1392:
	global_load_ubyte v1, v[10:11], off
	s_mov_b64 s[0:1], 0
	s_mov_b64 s[10:11], -1
	s_waitcnt vmcnt(0)
	v_lshlrev_b32_e32 v3, 23, v1
	v_cvt_i32_f32_e32 v3, v3
	v_cmp_ne_u32_e32 vcc, 0, v1
	s_nop 1
	v_cndmask_b32_e32 v3, 0, v3, vcc
	s_branch .LBB369_1394
.LBB369_1393:
	s_mov_b64 s[0:1], -1
                                        ; implicit-def: $vgpr3
.LBB369_1394:
	s_mov_b64 s[12:13], 0
.LBB369_1395:
	s_and_b64 vcc, exec, s[12:13]
	s_cbranch_vccz .LBB369_1399
; %bb.1396:
	s_cmp_eq_u32 s15, 29
	s_cbranch_scc0 .LBB369_1398
; %bb.1397:
	global_load_dword v3, v[10:11], off
	s_mov_b64 s[0:1], 0
	s_mov_b64 s[10:11], -1
	s_branch .LBB369_1399
.LBB369_1398:
	s_mov_b64 s[0:1], -1
                                        ; implicit-def: $vgpr3
.LBB369_1399:
	s_mov_b64 s[12:13], 0
.LBB369_1400:
	s_and_b64 vcc, exec, s[12:13]
	s_cbranch_vccz .LBB369_1416
; %bb.1401:
	s_cmp_lt_i32 s15, 27
	s_cbranch_scc1 .LBB369_1404
; %bb.1402:
	s_cmp_gt_i32 s15, 27
	s_cbranch_scc0 .LBB369_1405
; %bb.1403:
	global_load_dword v3, v[10:11], off
	s_mov_b64 s[10:11], 0
	s_branch .LBB369_1406
.LBB369_1404:
	s_mov_b64 s[10:11], -1
                                        ; implicit-def: $vgpr3
	s_branch .LBB369_1409
.LBB369_1405:
	s_mov_b64 s[10:11], -1
                                        ; implicit-def: $vgpr3
.LBB369_1406:
	s_andn2_b64 vcc, exec, s[10:11]
	s_cbranch_vccnz .LBB369_1408
; %bb.1407:
	global_load_ushort v3, v[10:11], off
.LBB369_1408:
	s_mov_b64 s[10:11], 0
.LBB369_1409:
	s_andn2_b64 vcc, exec, s[10:11]
	s_cbranch_vccnz .LBB369_1415
; %bb.1410:
	global_load_ubyte v1, v[10:11], off
	s_movk_i32 s10, 0x7f
	s_mov_b64 s[12:13], 0
	s_waitcnt vmcnt(0)
	v_cmp_lt_i16_e32 vcc, s10, v1
	s_and_saveexec_b64 s[10:11], vcc
	s_xor_b64 s[10:11], exec, s[10:11]
	s_cbranch_execz .LBB369_1427
; %bb.1411:
	s_movk_i32 s12, 0x80
	v_cmp_ne_u16_e32 vcc, s12, v1
	s_and_b64 s[12:13], vcc, exec
	s_andn2_saveexec_b64 s[10:11], s[10:11]
	s_cbranch_execnz .LBB369_1428
.LBB369_1412:
	s_or_b64 exec, exec, s[10:11]
	v_mov_b32_e32 v3, 0
	s_and_saveexec_b64 s[10:11], s[12:13]
	s_cbranch_execz .LBB369_1414
.LBB369_1413:
	v_lshlrev_b32_e32 v3, 24, v1
	v_and_b32_e32 v1, 0xffff, v1
	v_and_b32_e32 v9, 7, v1
	v_ffbh_u32_e32 v13, v9
	v_min_u32_e32 v13, 32, v13
	v_subrev_u32_e32 v14, 28, v13
	v_bfe_u32 v12, v1, 3, 4
	v_lshlrev_b32_e32 v1, v14, v1
	v_sub_u32_e32 v13, 29, v13
	v_and_b32_e32 v1, 7, v1
	v_cmp_eq_u32_e32 vcc, 0, v12
	v_and_b32_e32 v3, 0x80000000, v3
	s_nop 0
	v_cndmask_b32_e32 v12, v12, v13, vcc
	v_cndmask_b32_e32 v1, v9, v1, vcc
	v_mov_b32_e32 v9, 0x3b800000
	v_lshlrev_b32_e32 v1, 20, v1
	v_lshl_add_u32 v9, v12, 23, v9
	v_or3_b32 v1, v3, v9, v1
	v_cvt_i32_f32_e32 v3, v1
.LBB369_1414:
	s_or_b64 exec, exec, s[10:11]
.LBB369_1415:
	s_mov_b64 s[10:11], -1
.LBB369_1416:
	s_mov_b64 s[12:13], 0
.LBB369_1417:
	s_and_b64 vcc, exec, s[12:13]
	s_cbranch_vccz .LBB369_1448
; %bb.1418:
	s_cmp_gt_i32 s15, 22
	s_cbranch_scc0 .LBB369_1426
; %bb.1419:
	s_cmp_lt_i32 s15, 24
	s_cbranch_scc1 .LBB369_1429
; %bb.1420:
	s_cmp_gt_i32 s15, 24
	s_cbranch_scc0 .LBB369_1430
; %bb.1421:
	global_load_ubyte v1, v[10:11], off
	s_movk_i32 s8, 0x7f
	s_mov_b64 s[10:11], 0
	s_waitcnt vmcnt(0)
	v_cmp_lt_i16_e32 vcc, s8, v1
	s_and_saveexec_b64 s[8:9], vcc
	s_xor_b64 s[8:9], exec, s[8:9]
	s_cbranch_execz .LBB369_1442
; %bb.1422:
	s_movk_i32 s10, 0x80
	v_cmp_ne_u16_e32 vcc, s10, v1
	s_and_b64 s[10:11], vcc, exec
	s_andn2_saveexec_b64 s[8:9], s[8:9]
	s_cbranch_execnz .LBB369_1443
.LBB369_1423:
	s_or_b64 exec, exec, s[8:9]
	v_mov_b32_e32 v3, 0
	s_and_saveexec_b64 s[8:9], s[10:11]
	s_cbranch_execz .LBB369_1425
.LBB369_1424:
	v_lshlrev_b32_e32 v3, 24, v1
	v_and_b32_e32 v1, 0xffff, v1
	v_and_b32_e32 v9, 3, v1
	v_ffbh_u32_e32 v13, v9
	v_min_u32_e32 v13, 32, v13
	v_subrev_u32_e32 v14, 29, v13
	v_bfe_u32 v12, v1, 2, 5
	v_lshlrev_b32_e32 v1, v14, v1
	v_sub_u32_e32 v13, 30, v13
	v_and_b32_e32 v1, 3, v1
	v_cmp_eq_u32_e32 vcc, 0, v12
	v_and_b32_e32 v3, 0x80000000, v3
	s_nop 0
	v_cndmask_b32_e32 v12, v12, v13, vcc
	v_cndmask_b32_e32 v1, v9, v1, vcc
	v_mov_b32_e32 v9, 0x37800000
	v_lshlrev_b32_e32 v1, 21, v1
	v_lshl_add_u32 v9, v12, 23, v9
	v_or3_b32 v1, v3, v9, v1
	v_cvt_i32_f32_e32 v3, v1
.LBB369_1425:
	s_or_b64 exec, exec, s[8:9]
	s_mov_b64 s[8:9], 0
	s_branch .LBB369_1431
.LBB369_1426:
	s_mov_b64 s[8:9], -1
                                        ; implicit-def: $vgpr3
	s_branch .LBB369_1437
.LBB369_1427:
	s_andn2_saveexec_b64 s[10:11], s[10:11]
	s_cbranch_execz .LBB369_1412
.LBB369_1428:
	v_cmp_ne_u16_e32 vcc, 0, v1
	s_andn2_b64 s[12:13], s[12:13], exec
	s_and_b64 s[16:17], vcc, exec
	s_or_b64 s[12:13], s[12:13], s[16:17]
	s_or_b64 exec, exec, s[10:11]
	v_mov_b32_e32 v3, 0
	s_and_saveexec_b64 s[10:11], s[12:13]
	s_cbranch_execnz .LBB369_1413
	s_branch .LBB369_1414
.LBB369_1429:
	s_mov_b64 s[8:9], -1
                                        ; implicit-def: $vgpr3
	s_branch .LBB369_1434
.LBB369_1430:
	s_mov_b64 s[8:9], -1
                                        ; implicit-def: $vgpr3
.LBB369_1431:
	s_and_b64 vcc, exec, s[8:9]
	s_cbranch_vccz .LBB369_1433
; %bb.1432:
	global_load_ubyte v1, v[10:11], off
	s_mov_b32 s8, 0x7f800000
	s_waitcnt vmcnt(0)
	v_lshlrev_b32_e32 v1, 24, v1
	v_and_b32_e32 v3, 0x7f000000, v1
	v_ffbh_u32_e32 v9, v3
	v_min_u32_e32 v9, 32, v9
	v_sub_u32_e64 v9, v9, 4 clamp
	v_lshlrev_b32_e32 v13, v9, v3
	v_lshlrev_b32_e32 v9, 23, v9
	v_lshrrev_b32_e32 v13, 4, v13
	v_add_u32_e32 v12, 0x1000000, v3
	v_sub_u32_e32 v9, v13, v9
	v_ashrrev_i32_e32 v12, 8, v12
	v_add_u32_e32 v9, 0x3c000000, v9
	v_and_or_b32 v9, v12, s8, v9
	v_cmp_ne_u32_e32 vcc, 0, v3
	s_brev_b32 s8, 1
	s_nop 0
	v_cndmask_b32_e32 v3, 0, v9, vcc
	v_and_or_b32 v1, v1, s8, v3
	v_cvt_i32_f32_e32 v3, v1
.LBB369_1433:
	s_mov_b64 s[8:9], 0
.LBB369_1434:
	s_andn2_b64 vcc, exec, s[8:9]
	s_cbranch_vccnz .LBB369_1436
; %bb.1435:
	global_load_ubyte v1, v[10:11], off
	s_movk_i32 s8, 0x7f00
	s_brev_b32 s9, 16
	s_waitcnt vmcnt(0)
	v_lshlrev_b16_e32 v3, 8, v1
	v_lshlrev_b32_e32 v1, 25, v1
	v_lshrrev_b32_e32 v9, 4, v1
	v_and_or_b32 v12, v3, s8, 0.5
	v_or_b32_e32 v9, 0x70000000, v9
	v_add_f32_e32 v12, -0.5, v12
	v_mul_f32_e32 v9, 0x7800000, v9
	v_cmp_gt_u32_e32 vcc, s9, v1
	v_bfe_i32 v3, v3, 0, 16
	s_brev_b32 s8, 1
	v_cndmask_b32_e32 v1, v9, v12, vcc
	v_and_or_b32 v1, v3, s8, v1
	v_cvt_i32_f32_e32 v3, v1
.LBB369_1436:
	s_mov_b64 s[8:9], 0
	s_mov_b64 s[10:11], -1
.LBB369_1437:
	s_andn2_b64 vcc, exec, s[8:9]
	s_mov_b64 s[8:9], 0
	s_cbranch_vccnz .LBB369_1448
; %bb.1438:
	s_cmp_gt_i32 s15, 14
	s_cbranch_scc0 .LBB369_1441
; %bb.1439:
	s_cmp_eq_u32 s15, 15
	s_cbranch_scc0 .LBB369_1444
; %bb.1440:
	global_load_ushort v1, v[10:11], off
	s_mov_b64 s[0:1], 0
	s_mov_b64 s[10:11], -1
	s_waitcnt vmcnt(0)
	v_lshlrev_b32_e32 v1, 16, v1
	v_cvt_i32_f32_e32 v3, v1
	s_branch .LBB369_1445
.LBB369_1441:
	s_mov_b64 s[12:13], -1
                                        ; implicit-def: $vgpr3
	s_branch .LBB369_1446
.LBB369_1442:
	s_andn2_saveexec_b64 s[8:9], s[8:9]
	s_cbranch_execz .LBB369_1423
.LBB369_1443:
	v_cmp_ne_u16_e32 vcc, 0, v1
	s_andn2_b64 s[10:11], s[10:11], exec
	s_and_b64 s[12:13], vcc, exec
	s_or_b64 s[10:11], s[10:11], s[12:13]
	s_or_b64 exec, exec, s[8:9]
	v_mov_b32_e32 v3, 0
	s_and_saveexec_b64 s[8:9], s[10:11]
	s_cbranch_execnz .LBB369_1424
	s_branch .LBB369_1425
.LBB369_1444:
	s_mov_b64 s[0:1], -1
                                        ; implicit-def: $vgpr3
.LBB369_1445:
	s_mov_b64 s[12:13], 0
.LBB369_1446:
	s_and_b64 vcc, exec, s[12:13]
	s_cbranch_vccz .LBB369_1448
; %bb.1447:
	s_cmp_lg_u32 s15, 11
	s_mov_b64 s[8:9], -1
	s_cselect_b64 s[0:1], -1, 0
.LBB369_1448:
	s_and_b64 vcc, exec, s[0:1]
	s_cbranch_vccnz .LBB369_1511
; %bb.1449:
	s_andn2_b64 vcc, exec, s[8:9]
	s_cbranch_vccnz .LBB369_1451
.LBB369_1450:
	global_load_ubyte v1, v[10:11], off
	s_mov_b64 s[10:11], -1
	s_waitcnt vmcnt(0)
	v_cmp_ne_u16_e32 vcc, 0, v1
	s_nop 1
	v_cndmask_b32_e64 v3, 0, 1, vcc
.LBB369_1451:
	s_branch .LBB369_1383
.LBB369_1452:
	s_and_b32 s8, 0xffff, s14
	s_cmp_lt_i32 s8, 5
	s_cbranch_scc1 .LBB369_1457
; %bb.1453:
	s_cmp_lt_i32 s8, 8
	s_cbranch_scc1 .LBB369_1458
; %bb.1454:
	;; [unrolled: 3-line block ×3, first 2 shown]
	s_cmp_gt_i32 s8, 9
	s_cbranch_scc0 .LBB369_1460
; %bb.1456:
	global_load_dwordx2 v[12:13], v[10:11], off
	s_mov_b64 s[0:1], 0
	s_waitcnt vmcnt(0)
	v_cvt_i32_f64_e32 v3, v[12:13]
	s_branch .LBB369_1461
.LBB369_1457:
	s_mov_b64 s[0:1], -1
                                        ; implicit-def: $vgpr3
	s_branch .LBB369_1479
.LBB369_1458:
	s_mov_b64 s[0:1], -1
                                        ; implicit-def: $vgpr3
	s_branch .LBB369_1467
.LBB369_1459:
	s_mov_b64 s[0:1], -1
                                        ; implicit-def: $vgpr3
	s_branch .LBB369_1464
.LBB369_1460:
	s_mov_b64 s[0:1], -1
                                        ; implicit-def: $vgpr3
.LBB369_1461:
	s_andn2_b64 vcc, exec, s[0:1]
	s_cbranch_vccnz .LBB369_1463
; %bb.1462:
	global_load_dword v1, v[10:11], off
	s_waitcnt vmcnt(0)
	v_cvt_i32_f32_e32 v3, v1
.LBB369_1463:
	s_mov_b64 s[0:1], 0
.LBB369_1464:
	s_andn2_b64 vcc, exec, s[0:1]
	s_cbranch_vccnz .LBB369_1466
; %bb.1465:
	global_load_dword v1, v[10:11], off
	s_waitcnt vmcnt(0)
	v_cvt_f32_f16_e32 v1, v1
	v_cvt_i32_f32_e32 v3, v1
.LBB369_1466:
	s_mov_b64 s[0:1], 0
.LBB369_1467:
	s_andn2_b64 vcc, exec, s[0:1]
	s_cbranch_vccnz .LBB369_1478
; %bb.1468:
	s_cmp_lt_i32 s8, 6
	s_cbranch_scc1 .LBB369_1471
; %bb.1469:
	s_cmp_gt_i32 s8, 6
	s_cbranch_scc0 .LBB369_1472
; %bb.1470:
	global_load_dwordx2 v[12:13], v[10:11], off
	s_mov_b64 s[0:1], 0
	s_waitcnt vmcnt(0)
	v_cvt_i32_f64_e32 v3, v[12:13]
	s_branch .LBB369_1473
.LBB369_1471:
	s_mov_b64 s[0:1], -1
                                        ; implicit-def: $vgpr3
	s_branch .LBB369_1476
.LBB369_1472:
	s_mov_b64 s[0:1], -1
                                        ; implicit-def: $vgpr3
.LBB369_1473:
	s_andn2_b64 vcc, exec, s[0:1]
	s_cbranch_vccnz .LBB369_1475
; %bb.1474:
	global_load_dword v1, v[10:11], off
	s_waitcnt vmcnt(0)
	v_cvt_i32_f32_e32 v3, v1
.LBB369_1475:
	s_mov_b64 s[0:1], 0
.LBB369_1476:
	s_andn2_b64 vcc, exec, s[0:1]
	s_cbranch_vccnz .LBB369_1478
; %bb.1477:
	global_load_ushort v1, v[10:11], off
	s_waitcnt vmcnt(0)
	v_cvt_f32_f16_e32 v1, v1
	v_cvt_i32_f32_e32 v3, v1
.LBB369_1478:
	s_mov_b64 s[0:1], 0
.LBB369_1479:
	s_andn2_b64 vcc, exec, s[0:1]
	s_cbranch_vccnz .LBB369_1499
; %bb.1480:
	s_cmp_lt_i32 s8, 2
	s_cbranch_scc1 .LBB369_1484
; %bb.1481:
	s_cmp_lt_i32 s8, 3
	s_cbranch_scc1 .LBB369_1485
; %bb.1482:
	s_cmp_gt_i32 s8, 3
	s_cbranch_scc0 .LBB369_1486
; %bb.1483:
	global_load_dword v3, v[10:11], off
	s_mov_b64 s[0:1], 0
	s_branch .LBB369_1487
.LBB369_1484:
	s_mov_b64 s[0:1], -1
                                        ; implicit-def: $vgpr3
	s_branch .LBB369_1493
.LBB369_1485:
	s_mov_b64 s[0:1], -1
                                        ; implicit-def: $vgpr3
	s_branch .LBB369_1490
.LBB369_1486:
	s_mov_b64 s[0:1], -1
                                        ; implicit-def: $vgpr3
.LBB369_1487:
	s_andn2_b64 vcc, exec, s[0:1]
	s_cbranch_vccnz .LBB369_1489
; %bb.1488:
	global_load_dword v3, v[10:11], off
.LBB369_1489:
	s_mov_b64 s[0:1], 0
.LBB369_1490:
	s_andn2_b64 vcc, exec, s[0:1]
	s_cbranch_vccnz .LBB369_1492
; %bb.1491:
	global_load_sshort v3, v[10:11], off
.LBB369_1492:
	s_mov_b64 s[0:1], 0
.LBB369_1493:
	s_andn2_b64 vcc, exec, s[0:1]
	s_cbranch_vccnz .LBB369_1499
; %bb.1494:
	s_cmp_gt_i32 s8, 0
	s_cbranch_scc0 .LBB369_1496
; %bb.1495:
	global_load_sbyte v3, v[10:11], off
	s_mov_b64 s[0:1], 0
	s_branch .LBB369_1497
.LBB369_1496:
	s_mov_b64 s[0:1], -1
                                        ; implicit-def: $vgpr3
.LBB369_1497:
	s_andn2_b64 vcc, exec, s[0:1]
	s_cbranch_vccnz .LBB369_1499
; %bb.1498:
	global_load_ubyte v3, v[10:11], off
.LBB369_1499:
.LBB369_1500:
	v_mov_b32_e32 v9, 0
	s_cmp_lt_i32 s14, 11
	v_lshl_add_u64 v[8:9], s[6:7], 0, v[8:9]
	s_cbranch_scc1 .LBB369_1507
; %bb.1501:
	s_and_b32 s12, 0xffff, s14
	s_cmp_gt_i32 s12, 25
	s_mov_b64 s[6:7], 0
	s_cbranch_scc0 .LBB369_1508
; %bb.1502:
	s_cmp_gt_i32 s12, 28
	s_cbranch_scc0 .LBB369_1509
; %bb.1503:
	s_cmp_gt_i32 s12, 43
	;; [unrolled: 3-line block ×3, first 2 shown]
	s_cbranch_scc0 .LBB369_1512
; %bb.1505:
	s_cmp_eq_u32 s12, 46
	s_mov_b64 s[10:11], 0
	s_cbranch_scc0 .LBB369_1513
; %bb.1506:
	global_load_dword v1, v[8:9], off
	s_mov_b64 s[0:1], 0
	s_mov_b64 s[8:9], -1
	s_waitcnt vmcnt(0)
	v_lshlrev_b32_e32 v1, 16, v1
	v_cvt_i32_f32_e32 v1, v1
	s_branch .LBB369_1514
.LBB369_1507:
	s_mov_b64 s[0:1], -1
	s_mov_b64 s[8:9], 0
                                        ; implicit-def: $vgpr1
	s_branch .LBB369_1576
.LBB369_1508:
	s_mov_b64 s[10:11], -1
	s_mov_b64 s[8:9], 0
	s_mov_b64 s[0:1], 0
                                        ; implicit-def: $vgpr1
	s_branch .LBB369_1541
.LBB369_1509:
	s_mov_b64 s[10:11], -1
	s_mov_b64 s[8:9], 0
	s_mov_b64 s[0:1], 0
                                        ; implicit-def: $vgpr1
	s_branch .LBB369_1524
.LBB369_1510:
	s_mov_b64 s[10:11], -1
	s_mov_b64 s[8:9], 0
	s_mov_b64 s[0:1], 0
                                        ; implicit-def: $vgpr1
	s_branch .LBB369_1519
.LBB369_1511:
	s_trap 2
	s_or_b64 s[2:3], s[2:3], exec
	s_cbranch_execz .LBB369_1450
	s_branch .LBB369_1451
.LBB369_1512:
	s_mov_b64 s[10:11], -1
	s_mov_b64 s[8:9], 0
	s_mov_b64 s[0:1], 0
                                        ; implicit-def: $vgpr1
	s_branch .LBB369_1514
.LBB369_1513:
	s_mov_b64 s[0:1], -1
                                        ; implicit-def: $vgpr1
	s_mov_b64 s[8:9], 0
.LBB369_1514:
	s_and_b64 vcc, exec, s[10:11]
	s_cbranch_vccz .LBB369_1518
; %bb.1515:
	s_cmp_eq_u32 s12, 44
	s_cbranch_scc0 .LBB369_1517
; %bb.1516:
	global_load_ubyte v1, v[8:9], off
	s_mov_b64 s[0:1], 0
	s_mov_b64 s[8:9], -1
	s_waitcnt vmcnt(0)
	v_lshlrev_b32_e32 v10, 23, v1
	v_cvt_i32_f32_e32 v10, v10
	v_cmp_ne_u32_e32 vcc, 0, v1
	s_nop 1
	v_cndmask_b32_e32 v1, 0, v10, vcc
	s_branch .LBB369_1518
.LBB369_1517:
	s_mov_b64 s[0:1], -1
                                        ; implicit-def: $vgpr1
.LBB369_1518:
	s_mov_b64 s[10:11], 0
.LBB369_1519:
	s_and_b64 vcc, exec, s[10:11]
	s_cbranch_vccz .LBB369_1523
; %bb.1520:
	s_cmp_eq_u32 s12, 29
	s_cbranch_scc0 .LBB369_1522
; %bb.1521:
	global_load_dword v1, v[8:9], off
	s_mov_b64 s[0:1], 0
	s_mov_b64 s[8:9], -1
	s_branch .LBB369_1523
.LBB369_1522:
	s_mov_b64 s[0:1], -1
                                        ; implicit-def: $vgpr1
.LBB369_1523:
	s_mov_b64 s[10:11], 0
.LBB369_1524:
	s_and_b64 vcc, exec, s[10:11]
	s_cbranch_vccz .LBB369_1540
; %bb.1525:
	s_cmp_lt_i32 s12, 27
	s_cbranch_scc1 .LBB369_1528
; %bb.1526:
	s_cmp_gt_i32 s12, 27
	s_cbranch_scc0 .LBB369_1529
; %bb.1527:
	global_load_dword v1, v[8:9], off
	s_mov_b64 s[8:9], 0
	s_branch .LBB369_1530
.LBB369_1528:
	s_mov_b64 s[8:9], -1
                                        ; implicit-def: $vgpr1
	s_branch .LBB369_1533
.LBB369_1529:
	s_mov_b64 s[8:9], -1
                                        ; implicit-def: $vgpr1
.LBB369_1530:
	s_andn2_b64 vcc, exec, s[8:9]
	s_cbranch_vccnz .LBB369_1532
; %bb.1531:
	global_load_ushort v1, v[8:9], off
.LBB369_1532:
	s_mov_b64 s[8:9], 0
.LBB369_1533:
	s_andn2_b64 vcc, exec, s[8:9]
	s_cbranch_vccnz .LBB369_1539
; %bb.1534:
	global_load_ubyte v10, v[8:9], off
	s_movk_i32 s8, 0x7f
	s_mov_b64 s[10:11], 0
	s_waitcnt vmcnt(0)
	v_cmp_lt_i16_e32 vcc, s8, v10
	s_and_saveexec_b64 s[8:9], vcc
	s_xor_b64 s[8:9], exec, s[8:9]
	s_cbranch_execz .LBB369_1551
; %bb.1535:
	s_movk_i32 s10, 0x80
	v_cmp_ne_u16_e32 vcc, s10, v10
	s_and_b64 s[10:11], vcc, exec
	s_andn2_saveexec_b64 s[8:9], s[8:9]
	s_cbranch_execnz .LBB369_1552
.LBB369_1536:
	s_or_b64 exec, exec, s[8:9]
	v_mov_b32_e32 v1, 0
	s_and_saveexec_b64 s[8:9], s[10:11]
	s_cbranch_execz .LBB369_1538
.LBB369_1537:
	v_lshlrev_b32_e32 v1, 24, v10
	v_and_b32_e32 v10, 0xffff, v10
	v_and_b32_e32 v11, 7, v10
	v_ffbh_u32_e32 v13, v11
	v_min_u32_e32 v13, 32, v13
	v_subrev_u32_e32 v14, 28, v13
	v_bfe_u32 v12, v10, 3, 4
	v_lshlrev_b32_e32 v10, v14, v10
	v_sub_u32_e32 v13, 29, v13
	v_and_b32_e32 v10, 7, v10
	v_cmp_eq_u32_e32 vcc, 0, v12
	v_and_b32_e32 v1, 0x80000000, v1
	s_nop 0
	v_cndmask_b32_e32 v12, v12, v13, vcc
	v_cndmask_b32_e32 v10, v11, v10, vcc
	v_mov_b32_e32 v11, 0x3b800000
	v_lshlrev_b32_e32 v10, 20, v10
	v_lshl_add_u32 v11, v12, 23, v11
	v_or3_b32 v1, v1, v11, v10
	v_cvt_i32_f32_e32 v1, v1
.LBB369_1538:
	s_or_b64 exec, exec, s[8:9]
.LBB369_1539:
	s_mov_b64 s[8:9], -1
.LBB369_1540:
	s_mov_b64 s[10:11], 0
.LBB369_1541:
	s_and_b64 vcc, exec, s[10:11]
	s_cbranch_vccz .LBB369_1572
; %bb.1542:
	s_cmp_gt_i32 s12, 22
	s_cbranch_scc0 .LBB369_1550
; %bb.1543:
	s_cmp_lt_i32 s12, 24
	s_cbranch_scc1 .LBB369_1553
; %bb.1544:
	s_cmp_gt_i32 s12, 24
	s_cbranch_scc0 .LBB369_1554
; %bb.1545:
	global_load_ubyte v10, v[8:9], off
	s_movk_i32 s6, 0x7f
	s_mov_b64 s[8:9], 0
	s_waitcnt vmcnt(0)
	v_cmp_lt_i16_e32 vcc, s6, v10
	s_and_saveexec_b64 s[6:7], vcc
	s_xor_b64 s[6:7], exec, s[6:7]
	s_cbranch_execz .LBB369_1566
; %bb.1546:
	s_movk_i32 s8, 0x80
	v_cmp_ne_u16_e32 vcc, s8, v10
	s_and_b64 s[8:9], vcc, exec
	s_andn2_saveexec_b64 s[6:7], s[6:7]
	s_cbranch_execnz .LBB369_1567
.LBB369_1547:
	s_or_b64 exec, exec, s[6:7]
	v_mov_b32_e32 v1, 0
	s_and_saveexec_b64 s[6:7], s[8:9]
	s_cbranch_execz .LBB369_1549
.LBB369_1548:
	v_lshlrev_b32_e32 v1, 24, v10
	v_and_b32_e32 v10, 0xffff, v10
	v_and_b32_e32 v11, 3, v10
	v_ffbh_u32_e32 v13, v11
	v_min_u32_e32 v13, 32, v13
	v_subrev_u32_e32 v14, 29, v13
	v_bfe_u32 v12, v10, 2, 5
	v_lshlrev_b32_e32 v10, v14, v10
	v_sub_u32_e32 v13, 30, v13
	v_and_b32_e32 v10, 3, v10
	v_cmp_eq_u32_e32 vcc, 0, v12
	v_and_b32_e32 v1, 0x80000000, v1
	s_nop 0
	v_cndmask_b32_e32 v12, v12, v13, vcc
	v_cndmask_b32_e32 v10, v11, v10, vcc
	v_mov_b32_e32 v11, 0x37800000
	v_lshlrev_b32_e32 v10, 21, v10
	v_lshl_add_u32 v11, v12, 23, v11
	v_or3_b32 v1, v1, v11, v10
	v_cvt_i32_f32_e32 v1, v1
.LBB369_1549:
	s_or_b64 exec, exec, s[6:7]
	s_mov_b64 s[6:7], 0
	s_branch .LBB369_1555
.LBB369_1550:
	s_mov_b64 s[6:7], -1
                                        ; implicit-def: $vgpr1
	s_branch .LBB369_1561
.LBB369_1551:
	s_andn2_saveexec_b64 s[8:9], s[8:9]
	s_cbranch_execz .LBB369_1536
.LBB369_1552:
	v_cmp_ne_u16_e32 vcc, 0, v10
	s_andn2_b64 s[10:11], s[10:11], exec
	s_and_b64 s[16:17], vcc, exec
	s_or_b64 s[10:11], s[10:11], s[16:17]
	s_or_b64 exec, exec, s[8:9]
	v_mov_b32_e32 v1, 0
	s_and_saveexec_b64 s[8:9], s[10:11]
	s_cbranch_execnz .LBB369_1537
	s_branch .LBB369_1538
.LBB369_1553:
	s_mov_b64 s[6:7], -1
                                        ; implicit-def: $vgpr1
	s_branch .LBB369_1558
.LBB369_1554:
	s_mov_b64 s[6:7], -1
                                        ; implicit-def: $vgpr1
.LBB369_1555:
	s_and_b64 vcc, exec, s[6:7]
	s_cbranch_vccz .LBB369_1557
; %bb.1556:
	global_load_ubyte v1, v[8:9], off
	s_mov_b32 s6, 0x7f800000
	s_waitcnt vmcnt(0)
	v_lshlrev_b32_e32 v1, 24, v1
	v_and_b32_e32 v10, 0x7f000000, v1
	v_ffbh_u32_e32 v11, v10
	v_min_u32_e32 v11, 32, v11
	v_sub_u32_e64 v11, v11, 4 clamp
	v_lshlrev_b32_e32 v13, v11, v10
	v_lshlrev_b32_e32 v11, 23, v11
	v_lshrrev_b32_e32 v13, 4, v13
	v_add_u32_e32 v12, 0x1000000, v10
	v_sub_u32_e32 v11, v13, v11
	v_ashrrev_i32_e32 v12, 8, v12
	v_add_u32_e32 v11, 0x3c000000, v11
	v_and_or_b32 v11, v12, s6, v11
	v_cmp_ne_u32_e32 vcc, 0, v10
	s_brev_b32 s6, 1
	s_nop 0
	v_cndmask_b32_e32 v10, 0, v11, vcc
	v_and_or_b32 v1, v1, s6, v10
	v_cvt_i32_f32_e32 v1, v1
.LBB369_1557:
	s_mov_b64 s[6:7], 0
.LBB369_1558:
	s_andn2_b64 vcc, exec, s[6:7]
	s_cbranch_vccnz .LBB369_1560
; %bb.1559:
	global_load_ubyte v1, v[8:9], off
	s_movk_i32 s6, 0x7f00
	s_brev_b32 s7, 16
	s_waitcnt vmcnt(0)
	v_lshlrev_b16_e32 v10, 8, v1
	v_lshlrev_b32_e32 v1, 25, v1
	v_lshrrev_b32_e32 v11, 4, v1
	v_and_or_b32 v12, v10, s6, 0.5
	v_or_b32_e32 v11, 0x70000000, v11
	v_add_f32_e32 v12, -0.5, v12
	v_mul_f32_e32 v11, 0x7800000, v11
	v_cmp_gt_u32_e32 vcc, s7, v1
	v_bfe_i32 v10, v10, 0, 16
	s_brev_b32 s6, 1
	v_cndmask_b32_e32 v1, v11, v12, vcc
	v_and_or_b32 v1, v10, s6, v1
	v_cvt_i32_f32_e32 v1, v1
.LBB369_1560:
	s_mov_b64 s[6:7], 0
	s_mov_b64 s[8:9], -1
.LBB369_1561:
	s_andn2_b64 vcc, exec, s[6:7]
	s_mov_b64 s[6:7], 0
	s_cbranch_vccnz .LBB369_1572
; %bb.1562:
	s_cmp_gt_i32 s12, 14
	s_cbranch_scc0 .LBB369_1565
; %bb.1563:
	s_cmp_eq_u32 s12, 15
	s_cbranch_scc0 .LBB369_1568
; %bb.1564:
	global_load_ushort v1, v[8:9], off
	s_mov_b64 s[0:1], 0
	s_mov_b64 s[8:9], -1
	s_waitcnt vmcnt(0)
	v_lshlrev_b32_e32 v1, 16, v1
	v_cvt_i32_f32_e32 v1, v1
	s_branch .LBB369_1569
.LBB369_1565:
	s_mov_b64 s[10:11], -1
                                        ; implicit-def: $vgpr1
	s_branch .LBB369_1570
.LBB369_1566:
	s_andn2_saveexec_b64 s[6:7], s[6:7]
	s_cbranch_execz .LBB369_1547
.LBB369_1567:
	v_cmp_ne_u16_e32 vcc, 0, v10
	s_andn2_b64 s[8:9], s[8:9], exec
	s_and_b64 s[10:11], vcc, exec
	s_or_b64 s[8:9], s[8:9], s[10:11]
	s_or_b64 exec, exec, s[6:7]
	v_mov_b32_e32 v1, 0
	s_and_saveexec_b64 s[6:7], s[8:9]
	s_cbranch_execnz .LBB369_1548
	s_branch .LBB369_1549
.LBB369_1568:
	s_mov_b64 s[0:1], -1
                                        ; implicit-def: $vgpr1
.LBB369_1569:
	s_mov_b64 s[10:11], 0
.LBB369_1570:
	s_and_b64 vcc, exec, s[10:11]
	s_cbranch_vccz .LBB369_1572
; %bb.1571:
	s_cmp_lg_u32 s12, 11
	s_mov_b64 s[6:7], -1
	s_cselect_b64 s[0:1], -1, 0
.LBB369_1572:
	s_and_b64 vcc, exec, s[0:1]
	s_cbranch_vccnz .LBB369_2105
; %bb.1573:
	s_andn2_b64 vcc, exec, s[6:7]
	s_cbranch_vccnz .LBB369_1575
.LBB369_1574:
	global_load_ubyte v1, v[8:9], off
	s_mov_b64 s[8:9], -1
	s_waitcnt vmcnt(0)
	v_cmp_ne_u16_e32 vcc, 0, v1
	s_nop 1
	v_cndmask_b32_e64 v1, 0, 1, vcc
.LBB369_1575:
	s_mov_b64 s[0:1], 0
.LBB369_1576:
	s_and_b64 vcc, exec, s[0:1]
	s_cbranch_vccz .LBB369_1625
; %bb.1577:
	s_and_b32 s6, 0xffff, s14
	s_cmp_lt_i32 s6, 5
	s_cbranch_scc1 .LBB369_1582
; %bb.1578:
	s_cmp_lt_i32 s6, 8
	s_cbranch_scc1 .LBB369_1583
; %bb.1579:
	;; [unrolled: 3-line block ×3, first 2 shown]
	s_cmp_gt_i32 s6, 9
	s_cbranch_scc0 .LBB369_1585
; %bb.1581:
	global_load_dwordx2 v[10:11], v[8:9], off
	s_mov_b64 s[0:1], 0
	s_waitcnt vmcnt(0)
	v_cvt_i32_f64_e32 v1, v[10:11]
	s_branch .LBB369_1586
.LBB369_1582:
	s_mov_b64 s[0:1], -1
                                        ; implicit-def: $vgpr1
	s_branch .LBB369_1604
.LBB369_1583:
	s_mov_b64 s[0:1], -1
                                        ; implicit-def: $vgpr1
	s_branch .LBB369_1592
.LBB369_1584:
	s_mov_b64 s[0:1], -1
                                        ; implicit-def: $vgpr1
	s_branch .LBB369_1589
.LBB369_1585:
	s_mov_b64 s[0:1], -1
                                        ; implicit-def: $vgpr1
.LBB369_1586:
	s_andn2_b64 vcc, exec, s[0:1]
	s_cbranch_vccnz .LBB369_1588
; %bb.1587:
	global_load_dword v1, v[8:9], off
	s_waitcnt vmcnt(0)
	v_cvt_i32_f32_e32 v1, v1
.LBB369_1588:
	s_mov_b64 s[0:1], 0
.LBB369_1589:
	s_andn2_b64 vcc, exec, s[0:1]
	s_cbranch_vccnz .LBB369_1591
; %bb.1590:
	global_load_dword v1, v[8:9], off
	s_waitcnt vmcnt(0)
	v_cvt_f32_f16_e32 v1, v1
	v_cvt_i32_f32_e32 v1, v1
.LBB369_1591:
	s_mov_b64 s[0:1], 0
.LBB369_1592:
	s_andn2_b64 vcc, exec, s[0:1]
	s_cbranch_vccnz .LBB369_1603
; %bb.1593:
	s_cmp_lt_i32 s6, 6
	s_cbranch_scc1 .LBB369_1596
; %bb.1594:
	s_cmp_gt_i32 s6, 6
	s_cbranch_scc0 .LBB369_1597
; %bb.1595:
	global_load_dwordx2 v[10:11], v[8:9], off
	s_mov_b64 s[0:1], 0
	s_waitcnt vmcnt(0)
	v_cvt_i32_f64_e32 v1, v[10:11]
	s_branch .LBB369_1598
.LBB369_1596:
	s_mov_b64 s[0:1], -1
                                        ; implicit-def: $vgpr1
	s_branch .LBB369_1601
.LBB369_1597:
	s_mov_b64 s[0:1], -1
                                        ; implicit-def: $vgpr1
.LBB369_1598:
	s_andn2_b64 vcc, exec, s[0:1]
	s_cbranch_vccnz .LBB369_1600
; %bb.1599:
	global_load_dword v1, v[8:9], off
	s_waitcnt vmcnt(0)
	v_cvt_i32_f32_e32 v1, v1
.LBB369_1600:
	s_mov_b64 s[0:1], 0
.LBB369_1601:
	s_andn2_b64 vcc, exec, s[0:1]
	s_cbranch_vccnz .LBB369_1603
; %bb.1602:
	global_load_ushort v1, v[8:9], off
	s_waitcnt vmcnt(0)
	v_cvt_f32_f16_e32 v1, v1
	v_cvt_i32_f32_e32 v1, v1
.LBB369_1603:
	s_mov_b64 s[0:1], 0
.LBB369_1604:
	s_andn2_b64 vcc, exec, s[0:1]
	s_cbranch_vccnz .LBB369_1624
; %bb.1605:
	s_cmp_lt_i32 s6, 2
	s_cbranch_scc1 .LBB369_1609
; %bb.1606:
	s_cmp_lt_i32 s6, 3
	s_cbranch_scc1 .LBB369_1610
; %bb.1607:
	s_cmp_gt_i32 s6, 3
	s_cbranch_scc0 .LBB369_1611
; %bb.1608:
	global_load_dword v1, v[8:9], off
	s_mov_b64 s[0:1], 0
	s_branch .LBB369_1612
.LBB369_1609:
	s_mov_b64 s[0:1], -1
                                        ; implicit-def: $vgpr1
	s_branch .LBB369_1618
.LBB369_1610:
	s_mov_b64 s[0:1], -1
                                        ; implicit-def: $vgpr1
	s_branch .LBB369_1615
.LBB369_1611:
	s_mov_b64 s[0:1], -1
                                        ; implicit-def: $vgpr1
.LBB369_1612:
	s_andn2_b64 vcc, exec, s[0:1]
	s_cbranch_vccnz .LBB369_1614
; %bb.1613:
	global_load_dword v1, v[8:9], off
.LBB369_1614:
	s_mov_b64 s[0:1], 0
.LBB369_1615:
	s_andn2_b64 vcc, exec, s[0:1]
	s_cbranch_vccnz .LBB369_1617
; %bb.1616:
	global_load_sshort v1, v[8:9], off
.LBB369_1617:
	s_mov_b64 s[0:1], 0
.LBB369_1618:
	s_andn2_b64 vcc, exec, s[0:1]
	s_cbranch_vccnz .LBB369_1624
; %bb.1619:
	s_cmp_gt_i32 s6, 0
	s_cbranch_scc0 .LBB369_1621
; %bb.1620:
	global_load_sbyte v1, v[8:9], off
	s_mov_b64 s[0:1], 0
	s_branch .LBB369_1622
.LBB369_1621:
	s_mov_b64 s[0:1], -1
                                        ; implicit-def: $vgpr1
.LBB369_1622:
	s_andn2_b64 vcc, exec, s[0:1]
	s_cbranch_vccnz .LBB369_1624
; %bb.1623:
	global_load_ubyte v1, v[8:9], off
.LBB369_1624:
	s_mov_b64 s[8:9], -1
.LBB369_1625:
	s_andn2_b64 vcc, exec, s[8:9]
	s_cbranch_vccnz .LBB369_2059
; %bb.1626:
	s_load_dwordx2 s[6:7], s[34:35], 0x158
	s_waitcnt lgkmcnt(0)
	s_and_b32 s16, s7, 0xff
	s_waitcnt vmcnt(0)
	v_max_i32_e32 v8, s6, v7
	v_mov_b32_e32 v7, 0
	s_cmp_lt_i32 s16, 11
	v_lshl_add_u64 v[6:7], s[4:5], 0, v[6:7]
	s_cbranch_scc1 .LBB369_1704
; %bb.1627:
	s_and_b32 s7, 0xffff, s16
	s_mov_b64 s[12:13], -1
	s_mov_b64 s[8:9], 0
	s_cmp_gt_i32 s7, 25
	s_mov_b64 s[10:11], 0
	s_mov_b64 s[0:1], 0
	s_cbranch_scc0 .LBB369_1660
; %bb.1628:
	s_cmp_gt_i32 s7, 28
	s_cbranch_scc0 .LBB369_1643
; %bb.1629:
	s_cmp_gt_i32 s7, 43
	;; [unrolled: 3-line block ×3, first 2 shown]
	s_cbranch_scc0 .LBB369_1633
; %bb.1631:
	s_mov_b64 s[0:1], -1
	s_mov_b64 s[12:13], 0
	s_cmp_eq_u32 s7, 46
	s_cbranch_scc0 .LBB369_1633
; %bb.1632:
	v_cvt_f32_i32_e32 v9, v8
	s_movk_i32 s10, 0x7fff
	s_mov_b64 s[0:1], 0
	v_bfe_u32 v10, v9, 16, 1
	v_add3_u32 v9, v9, v10, s10
	v_lshrrev_b32_e32 v9, 16, v9
	global_store_dword v[6:7], v9, off
	s_mov_b64 s[10:11], -1
.LBB369_1633:
	s_and_b64 vcc, exec, s[12:13]
	s_cbranch_vccz .LBB369_1638
; %bb.1634:
	s_cmp_eq_u32 s7, 44
	s_mov_b64 s[0:1], -1
	s_cbranch_scc0 .LBB369_1638
; %bb.1635:
	v_cvt_f32_i32_e32 v9, v8
	s_movk_i32 s0, 0xff
	v_mov_b32_e32 v11, 0xff
	v_bfe_u32 v10, v9, 23, 8
	v_cmp_ne_u32_e32 vcc, s0, v10
	s_and_saveexec_b64 s[10:11], vcc
; %bb.1636:
	s_mov_b32 s0, 0x3fffff
	v_lshrrev_b32_e32 v11, 23, v9
	v_and_b32_e32 v12, 0x400000, v9
	v_and_or_b32 v9, v9, s0, v10
	v_cmp_ne_u32_e32 vcc, 0, v12
	v_cmp_ne_u32_e64 s[0:1], 0, v9
	s_and_b64 s[0:1], vcc, s[0:1]
	s_nop 0
	v_cndmask_b32_e64 v9, 0, 1, s[0:1]
	v_add_u32_e32 v11, v11, v9
; %bb.1637:
	s_or_b64 exec, exec, s[10:11]
	s_mov_b64 s[0:1], 0
	s_mov_b64 s[10:11], -1
	global_store_byte v[6:7], v11, off
.LBB369_1638:
	s_mov_b64 s[12:13], 0
.LBB369_1639:
	s_and_b64 vcc, exec, s[12:13]
	s_cbranch_vccz .LBB369_1642
; %bb.1640:
	s_cmp_eq_u32 s7, 29
	s_mov_b64 s[0:1], -1
	s_cbranch_scc0 .LBB369_1642
; %bb.1641:
	v_ashrrev_i32_e32 v9, 31, v8
	global_store_dwordx2 v[6:7], v[8:9], off
	s_mov_b64 s[0:1], 0
	s_mov_b64 s[10:11], -1
.LBB369_1642:
	s_mov_b64 s[12:13], 0
.LBB369_1643:
	s_and_b64 vcc, exec, s[12:13]
	s_cbranch_vccz .LBB369_1659
; %bb.1644:
	s_cmp_lt_i32 s7, 27
	s_mov_b64 s[10:11], -1
	s_cbranch_scc1 .LBB369_1650
; %bb.1645:
	s_cmp_gt_i32 s7, 27
	s_cbranch_scc0 .LBB369_1647
; %bb.1646:
	s_mov_b64 s[10:11], 0
	global_store_dword v[6:7], v8, off
.LBB369_1647:
	s_andn2_b64 vcc, exec, s[10:11]
	s_cbranch_vccnz .LBB369_1649
; %bb.1648:
	global_store_short v[6:7], v8, off
.LBB369_1649:
	s_mov_b64 s[10:11], 0
.LBB369_1650:
	s_andn2_b64 vcc, exec, s[10:11]
	s_cbranch_vccnz .LBB369_1658
; %bb.1651:
	v_cvt_f32_i32_e32 v9, v8
	s_mov_b32 s10, 0x43800000
	v_mov_b32_e32 v11, 0x80
	v_and_b32_e32 v10, 0x7fffffff, v9
	v_cmp_gt_u32_e32 vcc, s10, v10
	s_and_saveexec_b64 s[10:11], vcc
	s_cbranch_execz .LBB369_1657
; %bb.1652:
	s_mov_b32 s12, 0x3bffffff
	v_cmp_lt_u32_e32 vcc, s12, v10
	s_mov_b64 s[12:13], 0
                                        ; implicit-def: $vgpr10
	s_and_saveexec_b64 s[14:15], vcc
	s_xor_b64 s[14:15], exec, s[14:15]
	s_cbranch_execz .LBB369_2106
; %bb.1653:
	v_bfe_u32 v10, v9, 20, 1
	s_mov_b32 s17, 0x487ffff
	v_add3_u32 v10, v9, v10, s17
	s_mov_b64 s[12:13], exec
	v_lshrrev_b32_e32 v10, 20, v10
	s_andn2_saveexec_b64 s[14:15], s[14:15]
	s_cbranch_execnz .LBB369_2107
.LBB369_1654:
	s_or_b64 exec, exec, s[14:15]
	v_mov_b32_e32 v11, 0
	s_and_saveexec_b64 s[14:15], s[12:13]
.LBB369_1655:
	v_lshrrev_b32_e32 v9, 24, v9
	s_movk_i32 s12, 0x80
	v_and_or_b32 v11, v9, s12, v10
.LBB369_1656:
	s_or_b64 exec, exec, s[14:15]
.LBB369_1657:
	s_or_b64 exec, exec, s[10:11]
	global_store_byte v[6:7], v11, off
.LBB369_1658:
	s_mov_b64 s[10:11], -1
.LBB369_1659:
	s_mov_b64 s[12:13], 0
.LBB369_1660:
	s_and_b64 vcc, exec, s[12:13]
	s_cbranch_vccz .LBB369_1700
; %bb.1661:
	s_cmp_gt_i32 s7, 22
	s_mov_b64 s[8:9], -1
	s_cbranch_scc0 .LBB369_1693
; %bb.1662:
	s_cmp_lt_i32 s7, 24
	s_cbranch_scc1 .LBB369_1682
; %bb.1663:
	s_cmp_gt_i32 s7, 24
	s_cbranch_scc0 .LBB369_1671
; %bb.1664:
	v_cvt_f32_i32_e32 v9, v8
	s_mov_b32 s8, 0x47800000
	v_mov_b32_e32 v11, 0x80
	v_and_b32_e32 v10, 0x7fffffff, v9
	v_cmp_gt_u32_e32 vcc, s8, v10
	s_and_saveexec_b64 s[8:9], vcc
	s_cbranch_execz .LBB369_1670
; %bb.1665:
	s_mov_b32 s10, 0x37ffffff
	v_cmp_lt_u32_e32 vcc, s10, v10
	s_mov_b64 s[10:11], 0
                                        ; implicit-def: $vgpr10
	s_and_saveexec_b64 s[12:13], vcc
	s_xor_b64 s[12:13], exec, s[12:13]
	s_cbranch_execz .LBB369_2109
; %bb.1666:
	v_bfe_u32 v10, v9, 21, 1
	s_mov_b32 s14, 0x88fffff
	v_add3_u32 v10, v9, v10, s14
	s_mov_b64 s[10:11], exec
	v_lshrrev_b32_e32 v10, 21, v10
	s_andn2_saveexec_b64 s[12:13], s[12:13]
	s_cbranch_execnz .LBB369_2110
.LBB369_1667:
	s_or_b64 exec, exec, s[12:13]
	v_mov_b32_e32 v11, 0
	s_and_saveexec_b64 s[12:13], s[10:11]
.LBB369_1668:
	v_lshrrev_b32_e32 v9, 24, v9
	s_movk_i32 s10, 0x80
	v_and_or_b32 v11, v9, s10, v10
.LBB369_1669:
	s_or_b64 exec, exec, s[12:13]
.LBB369_1670:
	s_or_b64 exec, exec, s[8:9]
	s_mov_b64 s[8:9], 0
	global_store_byte v[6:7], v11, off
.LBB369_1671:
	s_and_b64 vcc, exec, s[8:9]
	s_cbranch_vccz .LBB369_1681
; %bb.1672:
	v_cvt_f32_i32_e32 v9, v8
	s_mov_b32 s8, 0x43f00000
                                        ; implicit-def: $vgpr10
	v_and_b32_e32 v11, 0x7fffffff, v9
	v_cmp_gt_u32_e32 vcc, s8, v11
	s_and_saveexec_b64 s[8:9], vcc
	s_xor_b64 s[8:9], exec, s[8:9]
	s_cbranch_execz .LBB369_1678
; %bb.1673:
	s_mov_b32 s10, 0x3c7fffff
	v_cmp_lt_u32_e32 vcc, s10, v11
                                        ; implicit-def: $vgpr10
	s_and_saveexec_b64 s[10:11], vcc
	s_xor_b64 s[10:11], exec, s[10:11]
; %bb.1674:
	v_bfe_u32 v10, v9, 20, 1
	s_mov_b32 s12, 0x407ffff
	v_add3_u32 v10, v9, v10, s12
	v_lshrrev_b32_e32 v11, 20, v10
	v_and_b32_e32 v10, 0xff00000, v10
	s_mov_b32 s12, 0x7f00000
	v_mov_b32_e32 v12, 0x7e
	v_cmp_ne_u32_e32 vcc, s12, v10
	s_nop 1
	v_cndmask_b32_e32 v10, v12, v11, vcc
; %bb.1675:
	s_andn2_saveexec_b64 s[10:11], s[10:11]
; %bb.1676:
	s_mov_b32 s12, 0x46800000
	v_add_f32_e64 v10, |v9|, s12
; %bb.1677:
	s_or_b64 exec, exec, s[10:11]
                                        ; implicit-def: $vgpr11
.LBB369_1678:
	s_andn2_saveexec_b64 s[8:9], s[8:9]
; %bb.1679:
	s_mov_b32 s10, 0x7f800000
	v_mov_b32_e32 v10, 0x7e
	v_mov_b32_e32 v12, 0x7f
	v_cmp_lt_u32_e32 vcc, s10, v11
	s_nop 1
	v_cndmask_b32_e32 v10, v10, v12, vcc
; %bb.1680:
	s_or_b64 exec, exec, s[8:9]
	v_lshrrev_b32_e32 v9, 24, v9
	s_movk_i32 s8, 0x80
	v_and_or_b32 v9, v9, s8, v10
	global_store_byte v[6:7], v9, off
.LBB369_1681:
	s_mov_b64 s[8:9], 0
.LBB369_1682:
	s_andn2_b64 vcc, exec, s[8:9]
	s_cbranch_vccnz .LBB369_1692
; %bb.1683:
	v_cvt_f32_i32_e32 v9, v8
	s_mov_b32 s8, 0x47800000
                                        ; implicit-def: $vgpr10
	v_and_b32_e32 v11, 0x7fffffff, v9
	v_cmp_gt_u32_e32 vcc, s8, v11
	s_and_saveexec_b64 s[8:9], vcc
	s_xor_b64 s[8:9], exec, s[8:9]
	s_cbranch_execz .LBB369_1689
; %bb.1684:
	s_mov_b32 s10, 0x387fffff
	v_cmp_lt_u32_e32 vcc, s10, v11
                                        ; implicit-def: $vgpr10
	s_and_saveexec_b64 s[10:11], vcc
	s_xor_b64 s[10:11], exec, s[10:11]
; %bb.1685:
	v_bfe_u32 v10, v9, 21, 1
	s_mov_b32 s12, 0x80fffff
	v_add3_u32 v10, v9, v10, s12
	v_lshrrev_b32_e32 v10, 21, v10
; %bb.1686:
	s_andn2_saveexec_b64 s[10:11], s[10:11]
; %bb.1687:
	s_mov_b32 s12, 0x43000000
	v_add_f32_e64 v10, |v9|, s12
; %bb.1688:
	s_or_b64 exec, exec, s[10:11]
                                        ; implicit-def: $vgpr11
.LBB369_1689:
	s_andn2_saveexec_b64 s[8:9], s[8:9]
; %bb.1690:
	s_mov_b32 s10, 0x7f800000
	v_mov_b32_e32 v10, 0x7c
	v_mov_b32_e32 v12, 0x7f
	v_cmp_lt_u32_e32 vcc, s10, v11
	s_nop 1
	v_cndmask_b32_e32 v10, v10, v12, vcc
; %bb.1691:
	s_or_b64 exec, exec, s[8:9]
	v_lshrrev_b32_e32 v9, 24, v9
	s_movk_i32 s8, 0x80
	v_and_or_b32 v9, v9, s8, v10
	global_store_byte v[6:7], v9, off
.LBB369_1692:
	s_mov_b64 s[8:9], 0
	s_mov_b64 s[10:11], -1
.LBB369_1693:
	s_andn2_b64 vcc, exec, s[8:9]
	s_mov_b64 s[8:9], 0
	s_cbranch_vccnz .LBB369_1700
; %bb.1694:
	s_cmp_gt_i32 s7, 14
	s_mov_b64 s[12:13], -1
	s_cbranch_scc0 .LBB369_1698
; %bb.1695:
	s_cmp_eq_u32 s7, 15
	s_mov_b64 s[0:1], -1
	s_cbranch_scc0 .LBB369_1697
; %bb.1696:
	v_cvt_f32_i32_e32 v9, v8
	s_movk_i32 s8, 0x7fff
	s_mov_b64 s[0:1], 0
	s_mov_b64 s[10:11], -1
	v_bfe_u32 v10, v9, 16, 1
	v_add3_u32 v9, v9, v10, s8
	global_store_short_d16_hi v[6:7], v9, off
.LBB369_1697:
	s_mov_b64 s[12:13], 0
.LBB369_1698:
	s_mov_b64 s[8:9], 0
	s_and_b64 vcc, exec, s[12:13]
	s_cbranch_vccz .LBB369_1700
; %bb.1699:
	s_cmp_lg_u32 s7, 11
	s_mov_b64 s[8:9], -1
	s_cselect_b64 s[0:1], -1, 0
.LBB369_1700:
	s_and_b64 vcc, exec, s[0:1]
	s_cbranch_vccnz .LBB369_2108
; %bb.1701:
	s_andn2_b64 vcc, exec, s[8:9]
	s_cbranch_vccnz .LBB369_1703
.LBB369_1702:
	v_cmp_ne_u32_e32 vcc, 0, v8
	s_mov_b64 s[10:11], -1
	s_nop 0
	v_cndmask_b32_e64 v9, 0, 1, vcc
	global_store_byte v[6:7], v9, off
.LBB369_1703:
	s_mov_b64 s[0:1], 0
	s_branch .LBB369_1705
.LBB369_1704:
	s_mov_b64 s[0:1], -1
	s_mov_b64 s[10:11], 0
.LBB369_1705:
	s_and_b64 vcc, exec, s[0:1]
	s_cbranch_vccz .LBB369_1744
; %bb.1706:
	s_and_b32 s7, 0xffff, s16
	s_cmp_lt_i32 s7, 5
	s_mov_b64 s[0:1], -1
	s_cbranch_scc1 .LBB369_1727
; %bb.1707:
	s_cmp_lt_i32 s7, 8
	s_cbranch_scc1 .LBB369_1717
; %bb.1708:
	s_cmp_lt_i32 s7, 9
	s_cbranch_scc1 .LBB369_1714
; %bb.1709:
	s_cmp_gt_i32 s7, 9
	s_cbranch_scc0 .LBB369_1711
; %bb.1710:
	v_mov_b32_e32 v12, 0
	v_cvt_f64_i32_e32 v[10:11], v8
	v_mov_b32_e32 v13, v12
	global_store_dwordx4 v[6:7], v[10:13], off
	s_mov_b64 s[0:1], 0
.LBB369_1711:
	s_andn2_b64 vcc, exec, s[0:1]
	s_cbranch_vccnz .LBB369_1713
; %bb.1712:
	v_cvt_f32_i32_e32 v10, v8
	v_mov_b32_e32 v11, 0
	global_store_dwordx2 v[6:7], v[10:11], off
.LBB369_1713:
	s_mov_b64 s[0:1], 0
.LBB369_1714:
	s_andn2_b64 vcc, exec, s[0:1]
	s_cbranch_vccnz .LBB369_1716
; %bb.1715:
	v_cvt_f32_i32_e32 v9, v8
	v_cvt_f16_f32_e32 v9, v9
	global_store_dword v[6:7], v9, off
.LBB369_1716:
	s_mov_b64 s[0:1], 0
.LBB369_1717:
	s_andn2_b64 vcc, exec, s[0:1]
	s_cbranch_vccnz .LBB369_1726
; %bb.1718:
	s_cmp_lt_i32 s7, 6
	s_mov_b64 s[0:1], -1
	s_cbranch_scc1 .LBB369_1724
; %bb.1719:
	s_cmp_gt_i32 s7, 6
	s_cbranch_scc0 .LBB369_1721
; %bb.1720:
	v_cvt_f64_i32_e32 v[10:11], v8
	global_store_dwordx2 v[6:7], v[10:11], off
	s_mov_b64 s[0:1], 0
.LBB369_1721:
	s_andn2_b64 vcc, exec, s[0:1]
	s_cbranch_vccnz .LBB369_1723
; %bb.1722:
	v_cvt_f32_i32_e32 v9, v8
	global_store_dword v[6:7], v9, off
.LBB369_1723:
	s_mov_b64 s[0:1], 0
.LBB369_1724:
	s_andn2_b64 vcc, exec, s[0:1]
	s_cbranch_vccnz .LBB369_1726
; %bb.1725:
	v_cvt_f32_i32_e32 v9, v8
	v_cvt_f16_f32_e32 v9, v9
	global_store_short v[6:7], v9, off
.LBB369_1726:
	s_mov_b64 s[0:1], 0
.LBB369_1727:
	s_andn2_b64 vcc, exec, s[0:1]
	s_cbranch_vccnz .LBB369_1743
; %bb.1728:
	s_cmp_lt_i32 s7, 2
	s_mov_b64 s[0:1], -1
	s_cbranch_scc1 .LBB369_1738
; %bb.1729:
	s_cmp_lt_i32 s7, 3
	s_cbranch_scc1 .LBB369_1735
; %bb.1730:
	s_cmp_gt_i32 s7, 3
	s_cbranch_scc0 .LBB369_1732
; %bb.1731:
	v_ashrrev_i32_e32 v9, 31, v8
	global_store_dwordx2 v[6:7], v[8:9], off
	s_mov_b64 s[0:1], 0
.LBB369_1732:
	s_andn2_b64 vcc, exec, s[0:1]
	s_cbranch_vccnz .LBB369_1734
; %bb.1733:
	global_store_dword v[6:7], v8, off
.LBB369_1734:
	s_mov_b64 s[0:1], 0
.LBB369_1735:
	s_andn2_b64 vcc, exec, s[0:1]
	s_cbranch_vccnz .LBB369_1737
; %bb.1736:
	global_store_short v[6:7], v8, off
.LBB369_1737:
	s_mov_b64 s[0:1], 0
.LBB369_1738:
	s_andn2_b64 vcc, exec, s[0:1]
	s_cbranch_vccnz .LBB369_1743
; %bb.1739:
	s_cmp_gt_i32 s7, 0
	s_mov_b64 s[0:1], -1
	s_cbranch_scc0 .LBB369_1741
; %bb.1740:
	global_store_byte v[6:7], v8, off
	s_mov_b64 s[0:1], 0
.LBB369_1741:
	s_andn2_b64 vcc, exec, s[0:1]
	s_cbranch_vccnz .LBB369_1743
; %bb.1742:
	global_store_byte v[6:7], v8, off
.LBB369_1743:
	s_mov_b64 s[10:11], -1
.LBB369_1744:
	s_andn2_b64 vcc, exec, s[10:11]
	s_cbranch_vccnz .LBB369_2059
; %bb.1745:
	v_max_i32_e32 v6, s6, v5
	v_mov_b32_e32 v5, 0
	s_and_b32 s17, 0xffff, s16
	s_cmp_lt_i32 s17, 11
	v_lshl_add_u64 v[4:5], s[4:5], 0, v[4:5]
	s_cbranch_scc1 .LBB369_1823
; %bb.1746:
	s_mov_b64 s[12:13], -1
	s_mov_b64 s[8:9], 0
	s_cmp_gt_i32 s17, 25
	s_mov_b64 s[10:11], 0
	s_mov_b64 s[0:1], 0
	s_cbranch_scc0 .LBB369_1779
; %bb.1747:
	s_cmp_gt_i32 s17, 28
	s_cbranch_scc0 .LBB369_1762
; %bb.1748:
	s_cmp_gt_i32 s17, 43
	;; [unrolled: 3-line block ×3, first 2 shown]
	s_cbranch_scc0 .LBB369_1752
; %bb.1750:
	s_mov_b64 s[0:1], -1
	s_mov_b64 s[12:13], 0
	s_cmp_eq_u32 s17, 46
	s_cbranch_scc0 .LBB369_1752
; %bb.1751:
	v_cvt_f32_i32_e32 v7, v6
	s_movk_i32 s7, 0x7fff
	s_mov_b64 s[0:1], 0
	s_mov_b64 s[10:11], -1
	v_bfe_u32 v8, v7, 16, 1
	v_add3_u32 v7, v7, v8, s7
	v_lshrrev_b32_e32 v7, 16, v7
	global_store_dword v[4:5], v7, off
.LBB369_1752:
	s_and_b64 vcc, exec, s[12:13]
	s_cbranch_vccz .LBB369_1757
; %bb.1753:
	s_cmp_eq_u32 s17, 44
	s_mov_b64 s[0:1], -1
	s_cbranch_scc0 .LBB369_1757
; %bb.1754:
	v_cvt_f32_i32_e32 v7, v6
	s_movk_i32 s0, 0xff
	v_mov_b32_e32 v9, 0xff
	v_bfe_u32 v8, v7, 23, 8
	v_cmp_ne_u32_e32 vcc, s0, v8
	s_and_saveexec_b64 s[10:11], vcc
; %bb.1755:
	s_mov_b32 s0, 0x3fffff
	v_lshrrev_b32_e32 v9, 23, v7
	v_and_b32_e32 v10, 0x400000, v7
	v_and_or_b32 v7, v7, s0, v8
	v_cmp_ne_u32_e32 vcc, 0, v10
	v_cmp_ne_u32_e64 s[0:1], 0, v7
	s_and_b64 s[0:1], vcc, s[0:1]
	s_nop 0
	v_cndmask_b32_e64 v7, 0, 1, s[0:1]
	v_add_u32_e32 v9, v9, v7
; %bb.1756:
	s_or_b64 exec, exec, s[10:11]
	s_mov_b64 s[0:1], 0
	s_mov_b64 s[10:11], -1
	global_store_byte v[4:5], v9, off
.LBB369_1757:
	s_mov_b64 s[12:13], 0
.LBB369_1758:
	s_and_b64 vcc, exec, s[12:13]
	s_cbranch_vccz .LBB369_1761
; %bb.1759:
	s_cmp_eq_u32 s17, 29
	s_mov_b64 s[0:1], -1
	s_cbranch_scc0 .LBB369_1761
; %bb.1760:
	v_ashrrev_i32_e32 v7, 31, v6
	global_store_dwordx2 v[4:5], v[6:7], off
	s_mov_b64 s[0:1], 0
	s_mov_b64 s[10:11], -1
.LBB369_1761:
	s_mov_b64 s[12:13], 0
.LBB369_1762:
	s_and_b64 vcc, exec, s[12:13]
	s_cbranch_vccz .LBB369_1778
; %bb.1763:
	s_cmp_lt_i32 s17, 27
	s_mov_b64 s[10:11], -1
	s_cbranch_scc1 .LBB369_1769
; %bb.1764:
	s_cmp_gt_i32 s17, 27
	s_cbranch_scc0 .LBB369_1766
; %bb.1765:
	s_mov_b64 s[10:11], 0
	global_store_dword v[4:5], v6, off
.LBB369_1766:
	s_andn2_b64 vcc, exec, s[10:11]
	s_cbranch_vccnz .LBB369_1768
; %bb.1767:
	global_store_short v[4:5], v6, off
.LBB369_1768:
	s_mov_b64 s[10:11], 0
.LBB369_1769:
	s_andn2_b64 vcc, exec, s[10:11]
	s_cbranch_vccnz .LBB369_1777
; %bb.1770:
	v_cvt_f32_i32_e32 v7, v6
	s_mov_b32 s7, 0x43800000
	v_mov_b32_e32 v9, 0x80
	v_and_b32_e32 v8, 0x7fffffff, v7
	v_cmp_gt_u32_e32 vcc, s7, v8
	s_and_saveexec_b64 s[10:11], vcc
	s_cbranch_execz .LBB369_1776
; %bb.1771:
	s_mov_b32 s7, 0x3bffffff
	v_cmp_lt_u32_e32 vcc, s7, v8
	s_mov_b64 s[12:13], 0
                                        ; implicit-def: $vgpr8
	s_and_saveexec_b64 s[14:15], vcc
	s_xor_b64 s[14:15], exec, s[14:15]
	s_cbranch_execz .LBB369_2111
; %bb.1772:
	v_bfe_u32 v8, v7, 20, 1
	s_mov_b32 s7, 0x487ffff
	v_add3_u32 v8, v7, v8, s7
	s_mov_b64 s[12:13], exec
	v_lshrrev_b32_e32 v8, 20, v8
	s_andn2_saveexec_b64 s[14:15], s[14:15]
	s_cbranch_execnz .LBB369_2112
.LBB369_1773:
	s_or_b64 exec, exec, s[14:15]
	v_mov_b32_e32 v9, 0
	s_and_saveexec_b64 s[14:15], s[12:13]
.LBB369_1774:
	v_lshrrev_b32_e32 v7, 24, v7
	s_movk_i32 s7, 0x80
	v_and_or_b32 v9, v7, s7, v8
.LBB369_1775:
	s_or_b64 exec, exec, s[14:15]
.LBB369_1776:
	s_or_b64 exec, exec, s[10:11]
	global_store_byte v[4:5], v9, off
.LBB369_1777:
	s_mov_b64 s[10:11], -1
.LBB369_1778:
	s_mov_b64 s[12:13], 0
.LBB369_1779:
	s_and_b64 vcc, exec, s[12:13]
	s_cbranch_vccz .LBB369_1819
; %bb.1780:
	s_cmp_gt_i32 s17, 22
	s_mov_b64 s[8:9], -1
	s_cbranch_scc0 .LBB369_1812
; %bb.1781:
	s_cmp_lt_i32 s17, 24
	s_cbranch_scc1 .LBB369_1801
; %bb.1782:
	s_cmp_gt_i32 s17, 24
	s_cbranch_scc0 .LBB369_1790
; %bb.1783:
	v_cvt_f32_i32_e32 v7, v6
	s_mov_b32 s7, 0x47800000
	v_mov_b32_e32 v9, 0x80
	v_and_b32_e32 v8, 0x7fffffff, v7
	v_cmp_gt_u32_e32 vcc, s7, v8
	s_and_saveexec_b64 s[8:9], vcc
	s_cbranch_execz .LBB369_1789
; %bb.1784:
	s_mov_b32 s7, 0x37ffffff
	v_cmp_lt_u32_e32 vcc, s7, v8
	s_mov_b64 s[10:11], 0
                                        ; implicit-def: $vgpr8
	s_and_saveexec_b64 s[12:13], vcc
	s_xor_b64 s[12:13], exec, s[12:13]
	s_cbranch_execz .LBB369_2114
; %bb.1785:
	v_bfe_u32 v8, v7, 21, 1
	s_mov_b32 s7, 0x88fffff
	v_add3_u32 v8, v7, v8, s7
	s_mov_b64 s[10:11], exec
	v_lshrrev_b32_e32 v8, 21, v8
	s_andn2_saveexec_b64 s[12:13], s[12:13]
	s_cbranch_execnz .LBB369_2115
.LBB369_1786:
	s_or_b64 exec, exec, s[12:13]
	v_mov_b32_e32 v9, 0
	s_and_saveexec_b64 s[12:13], s[10:11]
.LBB369_1787:
	v_lshrrev_b32_e32 v7, 24, v7
	s_movk_i32 s7, 0x80
	v_and_or_b32 v9, v7, s7, v8
.LBB369_1788:
	s_or_b64 exec, exec, s[12:13]
.LBB369_1789:
	s_or_b64 exec, exec, s[8:9]
	s_mov_b64 s[8:9], 0
	global_store_byte v[4:5], v9, off
.LBB369_1790:
	s_and_b64 vcc, exec, s[8:9]
	s_cbranch_vccz .LBB369_1800
; %bb.1791:
	v_cvt_f32_i32_e32 v7, v6
	s_mov_b32 s7, 0x43f00000
                                        ; implicit-def: $vgpr8
	v_and_b32_e32 v9, 0x7fffffff, v7
	v_cmp_gt_u32_e32 vcc, s7, v9
	s_and_saveexec_b64 s[8:9], vcc
	s_xor_b64 s[8:9], exec, s[8:9]
	s_cbranch_execz .LBB369_1797
; %bb.1792:
	s_mov_b32 s7, 0x3c7fffff
	v_cmp_lt_u32_e32 vcc, s7, v9
                                        ; implicit-def: $vgpr8
	s_and_saveexec_b64 s[10:11], vcc
	s_xor_b64 s[10:11], exec, s[10:11]
; %bb.1793:
	v_bfe_u32 v8, v7, 20, 1
	s_mov_b32 s7, 0x407ffff
	v_add3_u32 v8, v7, v8, s7
	v_lshrrev_b32_e32 v9, 20, v8
	v_and_b32_e32 v8, 0xff00000, v8
	s_mov_b32 s7, 0x7f00000
	v_mov_b32_e32 v10, 0x7e
	v_cmp_ne_u32_e32 vcc, s7, v8
	s_nop 1
	v_cndmask_b32_e32 v8, v10, v9, vcc
; %bb.1794:
	s_andn2_saveexec_b64 s[10:11], s[10:11]
; %bb.1795:
	s_mov_b32 s7, 0x46800000
	v_add_f32_e64 v8, |v7|, s7
; %bb.1796:
	s_or_b64 exec, exec, s[10:11]
                                        ; implicit-def: $vgpr9
.LBB369_1797:
	s_andn2_saveexec_b64 s[8:9], s[8:9]
; %bb.1798:
	s_mov_b32 s7, 0x7f800000
	v_mov_b32_e32 v8, 0x7e
	v_mov_b32_e32 v10, 0x7f
	v_cmp_lt_u32_e32 vcc, s7, v9
	s_nop 1
	v_cndmask_b32_e32 v8, v8, v10, vcc
; %bb.1799:
	s_or_b64 exec, exec, s[8:9]
	v_lshrrev_b32_e32 v7, 24, v7
	s_movk_i32 s7, 0x80
	v_and_or_b32 v7, v7, s7, v8
	global_store_byte v[4:5], v7, off
.LBB369_1800:
	s_mov_b64 s[8:9], 0
.LBB369_1801:
	s_andn2_b64 vcc, exec, s[8:9]
	s_cbranch_vccnz .LBB369_1811
; %bb.1802:
	v_cvt_f32_i32_e32 v7, v6
	s_mov_b32 s7, 0x47800000
                                        ; implicit-def: $vgpr8
	v_and_b32_e32 v9, 0x7fffffff, v7
	v_cmp_gt_u32_e32 vcc, s7, v9
	s_and_saveexec_b64 s[8:9], vcc
	s_xor_b64 s[8:9], exec, s[8:9]
	s_cbranch_execz .LBB369_1808
; %bb.1803:
	s_mov_b32 s7, 0x387fffff
	v_cmp_lt_u32_e32 vcc, s7, v9
                                        ; implicit-def: $vgpr8
	s_and_saveexec_b64 s[10:11], vcc
	s_xor_b64 s[10:11], exec, s[10:11]
; %bb.1804:
	v_bfe_u32 v8, v7, 21, 1
	s_mov_b32 s7, 0x80fffff
	v_add3_u32 v8, v7, v8, s7
	v_lshrrev_b32_e32 v8, 21, v8
; %bb.1805:
	s_andn2_saveexec_b64 s[10:11], s[10:11]
; %bb.1806:
	s_mov_b32 s7, 0x43000000
	v_add_f32_e64 v8, |v7|, s7
; %bb.1807:
	s_or_b64 exec, exec, s[10:11]
                                        ; implicit-def: $vgpr9
.LBB369_1808:
	s_andn2_saveexec_b64 s[8:9], s[8:9]
; %bb.1809:
	s_mov_b32 s7, 0x7f800000
	v_mov_b32_e32 v8, 0x7c
	v_mov_b32_e32 v10, 0x7f
	v_cmp_lt_u32_e32 vcc, s7, v9
	s_nop 1
	v_cndmask_b32_e32 v8, v8, v10, vcc
; %bb.1810:
	s_or_b64 exec, exec, s[8:9]
	v_lshrrev_b32_e32 v7, 24, v7
	s_movk_i32 s7, 0x80
	v_and_or_b32 v7, v7, s7, v8
	global_store_byte v[4:5], v7, off
.LBB369_1811:
	s_mov_b64 s[8:9], 0
	s_mov_b64 s[10:11], -1
.LBB369_1812:
	s_andn2_b64 vcc, exec, s[8:9]
	s_mov_b64 s[8:9], 0
	s_cbranch_vccnz .LBB369_1819
; %bb.1813:
	s_cmp_gt_i32 s17, 14
	s_mov_b64 s[12:13], -1
	s_cbranch_scc0 .LBB369_1817
; %bb.1814:
	s_cmp_eq_u32 s17, 15
	s_mov_b64 s[0:1], -1
	s_cbranch_scc0 .LBB369_1816
; %bb.1815:
	v_cvt_f32_i32_e32 v7, v6
	s_movk_i32 s7, 0x7fff
	s_mov_b64 s[0:1], 0
	s_mov_b64 s[10:11], -1
	v_bfe_u32 v8, v7, 16, 1
	v_add3_u32 v7, v7, v8, s7
	global_store_short_d16_hi v[4:5], v7, off
.LBB369_1816:
	s_mov_b64 s[12:13], 0
.LBB369_1817:
	s_and_b64 vcc, exec, s[12:13]
	s_cbranch_vccz .LBB369_1819
; %bb.1818:
	s_cmp_lg_u32 s17, 11
	s_mov_b64 s[8:9], -1
	s_cselect_b64 s[0:1], -1, 0
.LBB369_1819:
	s_and_b64 vcc, exec, s[0:1]
	s_cbranch_vccnz .LBB369_2113
; %bb.1820:
	s_andn2_b64 vcc, exec, s[8:9]
	s_cbranch_vccnz .LBB369_1822
.LBB369_1821:
	v_cmp_ne_u32_e32 vcc, 0, v6
	s_mov_b64 s[10:11], -1
	s_nop 0
	v_cndmask_b32_e64 v7, 0, 1, vcc
	global_store_byte v[4:5], v7, off
.LBB369_1822:
	s_mov_b64 s[0:1], 0
	s_branch .LBB369_1824
.LBB369_1823:
	s_mov_b64 s[0:1], -1
	s_mov_b64 s[10:11], 0
.LBB369_1824:
	s_and_b64 vcc, exec, s[0:1]
	s_cbranch_vccz .LBB369_1863
; %bb.1825:
	s_cmp_lt_i32 s17, 5
	s_mov_b64 s[0:1], -1
	s_cbranch_scc1 .LBB369_1846
; %bb.1826:
	s_cmp_lt_i32 s17, 8
	s_cbranch_scc1 .LBB369_1836
; %bb.1827:
	s_cmp_lt_i32 s17, 9
	s_cbranch_scc1 .LBB369_1833
; %bb.1828:
	s_cmp_gt_i32 s17, 9
	s_cbranch_scc0 .LBB369_1830
; %bb.1829:
	v_mov_b32_e32 v10, 0
	v_cvt_f64_i32_e32 v[8:9], v6
	v_mov_b32_e32 v11, v10
	global_store_dwordx4 v[4:5], v[8:11], off
	s_mov_b64 s[0:1], 0
.LBB369_1830:
	s_andn2_b64 vcc, exec, s[0:1]
	s_cbranch_vccnz .LBB369_1832
; %bb.1831:
	v_cvt_f32_i32_e32 v8, v6
	v_mov_b32_e32 v9, 0
	global_store_dwordx2 v[4:5], v[8:9], off
.LBB369_1832:
	s_mov_b64 s[0:1], 0
.LBB369_1833:
	s_andn2_b64 vcc, exec, s[0:1]
	s_cbranch_vccnz .LBB369_1835
; %bb.1834:
	v_cvt_f32_i32_e32 v7, v6
	v_cvt_f16_f32_e32 v7, v7
	global_store_dword v[4:5], v7, off
.LBB369_1835:
	s_mov_b64 s[0:1], 0
.LBB369_1836:
	s_andn2_b64 vcc, exec, s[0:1]
	s_cbranch_vccnz .LBB369_1845
; %bb.1837:
	s_cmp_lt_i32 s17, 6
	s_mov_b64 s[0:1], -1
	s_cbranch_scc1 .LBB369_1843
; %bb.1838:
	s_cmp_gt_i32 s17, 6
	s_cbranch_scc0 .LBB369_1840
; %bb.1839:
	v_cvt_f64_i32_e32 v[8:9], v6
	global_store_dwordx2 v[4:5], v[8:9], off
	s_mov_b64 s[0:1], 0
.LBB369_1840:
	s_andn2_b64 vcc, exec, s[0:1]
	s_cbranch_vccnz .LBB369_1842
; %bb.1841:
	v_cvt_f32_i32_e32 v7, v6
	global_store_dword v[4:5], v7, off
.LBB369_1842:
	s_mov_b64 s[0:1], 0
.LBB369_1843:
	s_andn2_b64 vcc, exec, s[0:1]
	s_cbranch_vccnz .LBB369_1845
; %bb.1844:
	v_cvt_f32_i32_e32 v7, v6
	v_cvt_f16_f32_e32 v7, v7
	global_store_short v[4:5], v7, off
.LBB369_1845:
	s_mov_b64 s[0:1], 0
.LBB369_1846:
	s_andn2_b64 vcc, exec, s[0:1]
	s_cbranch_vccnz .LBB369_1862
; %bb.1847:
	s_cmp_lt_i32 s17, 2
	s_mov_b64 s[0:1], -1
	s_cbranch_scc1 .LBB369_1857
; %bb.1848:
	s_cmp_lt_i32 s17, 3
	s_cbranch_scc1 .LBB369_1854
; %bb.1849:
	s_cmp_gt_i32 s17, 3
	s_cbranch_scc0 .LBB369_1851
; %bb.1850:
	v_ashrrev_i32_e32 v7, 31, v6
	global_store_dwordx2 v[4:5], v[6:7], off
	s_mov_b64 s[0:1], 0
.LBB369_1851:
	s_andn2_b64 vcc, exec, s[0:1]
	s_cbranch_vccnz .LBB369_1853
; %bb.1852:
	global_store_dword v[4:5], v6, off
.LBB369_1853:
	s_mov_b64 s[0:1], 0
.LBB369_1854:
	s_andn2_b64 vcc, exec, s[0:1]
	s_cbranch_vccnz .LBB369_1856
; %bb.1855:
	global_store_short v[4:5], v6, off
.LBB369_1856:
	s_mov_b64 s[0:1], 0
.LBB369_1857:
	s_andn2_b64 vcc, exec, s[0:1]
	s_cbranch_vccnz .LBB369_1862
; %bb.1858:
	s_cmp_gt_i32 s17, 0
	s_mov_b64 s[0:1], -1
	s_cbranch_scc0 .LBB369_1860
; %bb.1859:
	global_store_byte v[4:5], v6, off
	s_mov_b64 s[0:1], 0
.LBB369_1860:
	s_andn2_b64 vcc, exec, s[0:1]
	s_cbranch_vccnz .LBB369_1862
; %bb.1861:
	global_store_byte v[4:5], v6, off
.LBB369_1862:
	s_mov_b64 s[10:11], -1
.LBB369_1863:
	s_andn2_b64 vcc, exec, s[10:11]
	s_cbranch_vccnz .LBB369_2059
; %bb.1864:
	v_max_i32_e32 v4, s6, v3
	v_mov_b32_e32 v3, 0
	s_cmp_lt_i32 s17, 11
	v_lshl_add_u64 v[2:3], s[4:5], 0, v[2:3]
	s_cbranch_scc1 .LBB369_1942
; %bb.1865:
	s_mov_b64 s[12:13], -1
	s_mov_b64 s[8:9], 0
	s_cmp_gt_i32 s17, 25
	s_mov_b64 s[10:11], 0
	s_mov_b64 s[0:1], 0
	s_cbranch_scc0 .LBB369_1898
; %bb.1866:
	s_cmp_gt_i32 s17, 28
	s_cbranch_scc0 .LBB369_1881
; %bb.1867:
	s_cmp_gt_i32 s17, 43
	s_cbranch_scc0 .LBB369_1877
; %bb.1868:
	s_cmp_gt_i32 s17, 45
	s_cbranch_scc0 .LBB369_1871
; %bb.1869:
	s_mov_b64 s[0:1], -1
	s_mov_b64 s[12:13], 0
	s_cmp_eq_u32 s17, 46
	s_cbranch_scc0 .LBB369_1871
; %bb.1870:
	v_cvt_f32_i32_e32 v5, v4
	s_movk_i32 s7, 0x7fff
	s_mov_b64 s[0:1], 0
	s_mov_b64 s[10:11], -1
	v_bfe_u32 v6, v5, 16, 1
	v_add3_u32 v5, v5, v6, s7
	v_lshrrev_b32_e32 v5, 16, v5
	global_store_dword v[2:3], v5, off
.LBB369_1871:
	s_and_b64 vcc, exec, s[12:13]
	s_cbranch_vccz .LBB369_1876
; %bb.1872:
	s_cmp_eq_u32 s17, 44
	s_mov_b64 s[0:1], -1
	s_cbranch_scc0 .LBB369_1876
; %bb.1873:
	v_cvt_f32_i32_e32 v5, v4
	s_movk_i32 s0, 0xff
	v_mov_b32_e32 v7, 0xff
	v_bfe_u32 v6, v5, 23, 8
	v_cmp_ne_u32_e32 vcc, s0, v6
	s_and_saveexec_b64 s[10:11], vcc
; %bb.1874:
	s_mov_b32 s0, 0x3fffff
	v_lshrrev_b32_e32 v7, 23, v5
	v_and_b32_e32 v8, 0x400000, v5
	v_and_or_b32 v5, v5, s0, v6
	v_cmp_ne_u32_e32 vcc, 0, v8
	v_cmp_ne_u32_e64 s[0:1], 0, v5
	s_and_b64 s[0:1], vcc, s[0:1]
	s_nop 0
	v_cndmask_b32_e64 v5, 0, 1, s[0:1]
	v_add_u32_e32 v7, v7, v5
; %bb.1875:
	s_or_b64 exec, exec, s[10:11]
	s_mov_b64 s[0:1], 0
	s_mov_b64 s[10:11], -1
	global_store_byte v[2:3], v7, off
.LBB369_1876:
	s_mov_b64 s[12:13], 0
.LBB369_1877:
	s_and_b64 vcc, exec, s[12:13]
	s_cbranch_vccz .LBB369_1880
; %bb.1878:
	s_cmp_eq_u32 s17, 29
	s_mov_b64 s[0:1], -1
	s_cbranch_scc0 .LBB369_1880
; %bb.1879:
	v_ashrrev_i32_e32 v5, 31, v4
	global_store_dwordx2 v[2:3], v[4:5], off
	s_mov_b64 s[0:1], 0
	s_mov_b64 s[10:11], -1
.LBB369_1880:
	s_mov_b64 s[12:13], 0
.LBB369_1881:
	s_and_b64 vcc, exec, s[12:13]
	s_cbranch_vccz .LBB369_1897
; %bb.1882:
	s_cmp_lt_i32 s17, 27
	s_mov_b64 s[10:11], -1
	s_cbranch_scc1 .LBB369_1888
; %bb.1883:
	s_cmp_gt_i32 s17, 27
	s_cbranch_scc0 .LBB369_1885
; %bb.1884:
	s_mov_b64 s[10:11], 0
	global_store_dword v[2:3], v4, off
.LBB369_1885:
	s_andn2_b64 vcc, exec, s[10:11]
	s_cbranch_vccnz .LBB369_1887
; %bb.1886:
	global_store_short v[2:3], v4, off
.LBB369_1887:
	s_mov_b64 s[10:11], 0
.LBB369_1888:
	s_andn2_b64 vcc, exec, s[10:11]
	s_cbranch_vccnz .LBB369_1896
; %bb.1889:
	v_cvt_f32_i32_e32 v5, v4
	s_mov_b32 s7, 0x43800000
	v_mov_b32_e32 v7, 0x80
	v_and_b32_e32 v6, 0x7fffffff, v5
	v_cmp_gt_u32_e32 vcc, s7, v6
	s_and_saveexec_b64 s[10:11], vcc
	s_cbranch_execz .LBB369_1895
; %bb.1890:
	s_mov_b32 s7, 0x3bffffff
	v_cmp_lt_u32_e32 vcc, s7, v6
	s_mov_b64 s[12:13], 0
                                        ; implicit-def: $vgpr6
	s_and_saveexec_b64 s[14:15], vcc
	s_xor_b64 s[14:15], exec, s[14:15]
	s_cbranch_execz .LBB369_2116
; %bb.1891:
	v_bfe_u32 v6, v5, 20, 1
	s_mov_b32 s7, 0x487ffff
	v_add3_u32 v6, v5, v6, s7
	s_mov_b64 s[12:13], exec
	v_lshrrev_b32_e32 v6, 20, v6
	s_andn2_saveexec_b64 s[14:15], s[14:15]
	s_cbranch_execnz .LBB369_2117
.LBB369_1892:
	s_or_b64 exec, exec, s[14:15]
	v_mov_b32_e32 v7, 0
	s_and_saveexec_b64 s[14:15], s[12:13]
.LBB369_1893:
	v_lshrrev_b32_e32 v5, 24, v5
	s_movk_i32 s7, 0x80
	v_and_or_b32 v7, v5, s7, v6
.LBB369_1894:
	s_or_b64 exec, exec, s[14:15]
.LBB369_1895:
	s_or_b64 exec, exec, s[10:11]
	global_store_byte v[2:3], v7, off
.LBB369_1896:
	s_mov_b64 s[10:11], -1
.LBB369_1897:
	s_mov_b64 s[12:13], 0
.LBB369_1898:
	s_and_b64 vcc, exec, s[12:13]
	s_cbranch_vccz .LBB369_1938
; %bb.1899:
	s_cmp_gt_i32 s17, 22
	s_mov_b64 s[8:9], -1
	s_cbranch_scc0 .LBB369_1931
; %bb.1900:
	s_cmp_lt_i32 s17, 24
	s_cbranch_scc1 .LBB369_1920
; %bb.1901:
	s_cmp_gt_i32 s17, 24
	s_cbranch_scc0 .LBB369_1909
; %bb.1902:
	v_cvt_f32_i32_e32 v5, v4
	s_mov_b32 s7, 0x47800000
	v_mov_b32_e32 v7, 0x80
	v_and_b32_e32 v6, 0x7fffffff, v5
	v_cmp_gt_u32_e32 vcc, s7, v6
	s_and_saveexec_b64 s[8:9], vcc
	s_cbranch_execz .LBB369_1908
; %bb.1903:
	s_mov_b32 s7, 0x37ffffff
	v_cmp_lt_u32_e32 vcc, s7, v6
	s_mov_b64 s[10:11], 0
                                        ; implicit-def: $vgpr6
	s_and_saveexec_b64 s[12:13], vcc
	s_xor_b64 s[12:13], exec, s[12:13]
	s_cbranch_execz .LBB369_2119
; %bb.1904:
	v_bfe_u32 v6, v5, 21, 1
	s_mov_b32 s7, 0x88fffff
	v_add3_u32 v6, v5, v6, s7
	s_mov_b64 s[10:11], exec
	v_lshrrev_b32_e32 v6, 21, v6
	s_andn2_saveexec_b64 s[12:13], s[12:13]
	s_cbranch_execnz .LBB369_2120
.LBB369_1905:
	s_or_b64 exec, exec, s[12:13]
	v_mov_b32_e32 v7, 0
	s_and_saveexec_b64 s[12:13], s[10:11]
.LBB369_1906:
	v_lshrrev_b32_e32 v5, 24, v5
	s_movk_i32 s7, 0x80
	v_and_or_b32 v7, v5, s7, v6
.LBB369_1907:
	s_or_b64 exec, exec, s[12:13]
.LBB369_1908:
	s_or_b64 exec, exec, s[8:9]
	s_mov_b64 s[8:9], 0
	global_store_byte v[2:3], v7, off
.LBB369_1909:
	s_and_b64 vcc, exec, s[8:9]
	s_cbranch_vccz .LBB369_1919
; %bb.1910:
	v_cvt_f32_i32_e32 v5, v4
	s_mov_b32 s7, 0x43f00000
                                        ; implicit-def: $vgpr6
	v_and_b32_e32 v7, 0x7fffffff, v5
	v_cmp_gt_u32_e32 vcc, s7, v7
	s_and_saveexec_b64 s[8:9], vcc
	s_xor_b64 s[8:9], exec, s[8:9]
	s_cbranch_execz .LBB369_1916
; %bb.1911:
	s_mov_b32 s7, 0x3c7fffff
	v_cmp_lt_u32_e32 vcc, s7, v7
                                        ; implicit-def: $vgpr6
	s_and_saveexec_b64 s[10:11], vcc
	s_xor_b64 s[10:11], exec, s[10:11]
; %bb.1912:
	v_bfe_u32 v6, v5, 20, 1
	s_mov_b32 s7, 0x407ffff
	v_add3_u32 v6, v5, v6, s7
	v_lshrrev_b32_e32 v7, 20, v6
	v_and_b32_e32 v6, 0xff00000, v6
	s_mov_b32 s7, 0x7f00000
	v_mov_b32_e32 v8, 0x7e
	v_cmp_ne_u32_e32 vcc, s7, v6
	s_nop 1
	v_cndmask_b32_e32 v6, v8, v7, vcc
; %bb.1913:
	s_andn2_saveexec_b64 s[10:11], s[10:11]
; %bb.1914:
	s_mov_b32 s7, 0x46800000
	v_add_f32_e64 v6, |v5|, s7
; %bb.1915:
	s_or_b64 exec, exec, s[10:11]
                                        ; implicit-def: $vgpr7
.LBB369_1916:
	s_andn2_saveexec_b64 s[8:9], s[8:9]
; %bb.1917:
	s_mov_b32 s7, 0x7f800000
	v_mov_b32_e32 v6, 0x7e
	v_mov_b32_e32 v8, 0x7f
	v_cmp_lt_u32_e32 vcc, s7, v7
	s_nop 1
	v_cndmask_b32_e32 v6, v6, v8, vcc
; %bb.1918:
	s_or_b64 exec, exec, s[8:9]
	v_lshrrev_b32_e32 v5, 24, v5
	s_movk_i32 s7, 0x80
	v_and_or_b32 v5, v5, s7, v6
	global_store_byte v[2:3], v5, off
.LBB369_1919:
	s_mov_b64 s[8:9], 0
.LBB369_1920:
	s_andn2_b64 vcc, exec, s[8:9]
	s_cbranch_vccnz .LBB369_1930
; %bb.1921:
	v_cvt_f32_i32_e32 v5, v4
	s_mov_b32 s7, 0x47800000
                                        ; implicit-def: $vgpr6
	v_and_b32_e32 v7, 0x7fffffff, v5
	v_cmp_gt_u32_e32 vcc, s7, v7
	s_and_saveexec_b64 s[8:9], vcc
	s_xor_b64 s[8:9], exec, s[8:9]
	s_cbranch_execz .LBB369_1927
; %bb.1922:
	s_mov_b32 s7, 0x387fffff
	v_cmp_lt_u32_e32 vcc, s7, v7
                                        ; implicit-def: $vgpr6
	s_and_saveexec_b64 s[10:11], vcc
	s_xor_b64 s[10:11], exec, s[10:11]
; %bb.1923:
	v_bfe_u32 v6, v5, 21, 1
	s_mov_b32 s7, 0x80fffff
	v_add3_u32 v6, v5, v6, s7
	v_lshrrev_b32_e32 v6, 21, v6
; %bb.1924:
	s_andn2_saveexec_b64 s[10:11], s[10:11]
; %bb.1925:
	s_mov_b32 s7, 0x43000000
	v_add_f32_e64 v6, |v5|, s7
; %bb.1926:
	s_or_b64 exec, exec, s[10:11]
                                        ; implicit-def: $vgpr7
.LBB369_1927:
	s_andn2_saveexec_b64 s[8:9], s[8:9]
; %bb.1928:
	s_mov_b32 s7, 0x7f800000
	v_mov_b32_e32 v6, 0x7c
	v_mov_b32_e32 v8, 0x7f
	v_cmp_lt_u32_e32 vcc, s7, v7
	s_nop 1
	v_cndmask_b32_e32 v6, v6, v8, vcc
; %bb.1929:
	s_or_b64 exec, exec, s[8:9]
	v_lshrrev_b32_e32 v5, 24, v5
	s_movk_i32 s7, 0x80
	v_and_or_b32 v5, v5, s7, v6
	global_store_byte v[2:3], v5, off
.LBB369_1930:
	s_mov_b64 s[8:9], 0
	s_mov_b64 s[10:11], -1
.LBB369_1931:
	s_andn2_b64 vcc, exec, s[8:9]
	s_mov_b64 s[8:9], 0
	s_cbranch_vccnz .LBB369_1938
; %bb.1932:
	s_cmp_gt_i32 s17, 14
	s_mov_b64 s[12:13], -1
	s_cbranch_scc0 .LBB369_1936
; %bb.1933:
	s_cmp_eq_u32 s17, 15
	s_mov_b64 s[0:1], -1
	s_cbranch_scc0 .LBB369_1935
; %bb.1934:
	v_cvt_f32_i32_e32 v5, v4
	s_movk_i32 s7, 0x7fff
	s_mov_b64 s[0:1], 0
	s_mov_b64 s[10:11], -1
	v_bfe_u32 v6, v5, 16, 1
	v_add3_u32 v5, v5, v6, s7
	global_store_short_d16_hi v[2:3], v5, off
.LBB369_1935:
	s_mov_b64 s[12:13], 0
.LBB369_1936:
	s_and_b64 vcc, exec, s[12:13]
	s_cbranch_vccz .LBB369_1938
; %bb.1937:
	s_cmp_lg_u32 s17, 11
	s_mov_b64 s[8:9], -1
	s_cselect_b64 s[0:1], -1, 0
.LBB369_1938:
	s_and_b64 vcc, exec, s[0:1]
	s_cbranch_vccnz .LBB369_2118
; %bb.1939:
	s_andn2_b64 vcc, exec, s[8:9]
	s_cbranch_vccnz .LBB369_1941
.LBB369_1940:
	v_cmp_ne_u32_e32 vcc, 0, v4
	s_mov_b64 s[10:11], -1
	s_nop 0
	v_cndmask_b32_e64 v5, 0, 1, vcc
	global_store_byte v[2:3], v5, off
.LBB369_1941:
	s_mov_b64 s[0:1], 0
	s_branch .LBB369_1943
.LBB369_1942:
	s_mov_b64 s[0:1], -1
	s_mov_b64 s[10:11], 0
.LBB369_1943:
	s_and_b64 vcc, exec, s[0:1]
	s_cbranch_vccz .LBB369_1982
; %bb.1944:
	s_cmp_lt_i32 s17, 5
	s_mov_b64 s[0:1], -1
	s_cbranch_scc1 .LBB369_1965
; %bb.1945:
	s_cmp_lt_i32 s17, 8
	s_cbranch_scc1 .LBB369_1955
; %bb.1946:
	s_cmp_lt_i32 s17, 9
	s_cbranch_scc1 .LBB369_1952
; %bb.1947:
	s_cmp_gt_i32 s17, 9
	s_cbranch_scc0 .LBB369_1949
; %bb.1948:
	v_mov_b32_e32 v8, 0
	v_cvt_f64_i32_e32 v[6:7], v4
	v_mov_b32_e32 v9, v8
	global_store_dwordx4 v[2:3], v[6:9], off
	s_mov_b64 s[0:1], 0
.LBB369_1949:
	s_andn2_b64 vcc, exec, s[0:1]
	s_cbranch_vccnz .LBB369_1951
; %bb.1950:
	v_cvt_f32_i32_e32 v6, v4
	v_mov_b32_e32 v7, 0
	global_store_dwordx2 v[2:3], v[6:7], off
.LBB369_1951:
	s_mov_b64 s[0:1], 0
.LBB369_1952:
	s_andn2_b64 vcc, exec, s[0:1]
	s_cbranch_vccnz .LBB369_1954
; %bb.1953:
	v_cvt_f32_i32_e32 v5, v4
	v_cvt_f16_f32_e32 v5, v5
	global_store_dword v[2:3], v5, off
.LBB369_1954:
	s_mov_b64 s[0:1], 0
.LBB369_1955:
	s_andn2_b64 vcc, exec, s[0:1]
	s_cbranch_vccnz .LBB369_1964
; %bb.1956:
	s_cmp_lt_i32 s17, 6
	s_mov_b64 s[0:1], -1
	s_cbranch_scc1 .LBB369_1962
; %bb.1957:
	s_cmp_gt_i32 s17, 6
	s_cbranch_scc0 .LBB369_1959
; %bb.1958:
	v_cvt_f64_i32_e32 v[6:7], v4
	global_store_dwordx2 v[2:3], v[6:7], off
	s_mov_b64 s[0:1], 0
.LBB369_1959:
	s_andn2_b64 vcc, exec, s[0:1]
	s_cbranch_vccnz .LBB369_1961
; %bb.1960:
	v_cvt_f32_i32_e32 v5, v4
	global_store_dword v[2:3], v5, off
.LBB369_1961:
	s_mov_b64 s[0:1], 0
.LBB369_1962:
	s_andn2_b64 vcc, exec, s[0:1]
	s_cbranch_vccnz .LBB369_1964
; %bb.1963:
	v_cvt_f32_i32_e32 v5, v4
	v_cvt_f16_f32_e32 v5, v5
	global_store_short v[2:3], v5, off
.LBB369_1964:
	s_mov_b64 s[0:1], 0
.LBB369_1965:
	s_andn2_b64 vcc, exec, s[0:1]
	s_cbranch_vccnz .LBB369_1981
; %bb.1966:
	s_cmp_lt_i32 s17, 2
	s_mov_b64 s[0:1], -1
	s_cbranch_scc1 .LBB369_1976
; %bb.1967:
	s_cmp_lt_i32 s17, 3
	s_cbranch_scc1 .LBB369_1973
; %bb.1968:
	s_cmp_gt_i32 s17, 3
	s_cbranch_scc0 .LBB369_1970
; %bb.1969:
	v_ashrrev_i32_e32 v5, 31, v4
	global_store_dwordx2 v[2:3], v[4:5], off
	s_mov_b64 s[0:1], 0
.LBB369_1970:
	s_andn2_b64 vcc, exec, s[0:1]
	s_cbranch_vccnz .LBB369_1972
; %bb.1971:
	global_store_dword v[2:3], v4, off
.LBB369_1972:
	s_mov_b64 s[0:1], 0
.LBB369_1973:
	s_andn2_b64 vcc, exec, s[0:1]
	s_cbranch_vccnz .LBB369_1975
; %bb.1974:
	global_store_short v[2:3], v4, off
.LBB369_1975:
	s_mov_b64 s[0:1], 0
.LBB369_1976:
	s_andn2_b64 vcc, exec, s[0:1]
	s_cbranch_vccnz .LBB369_1981
; %bb.1977:
	s_cmp_gt_i32 s17, 0
	s_mov_b64 s[0:1], -1
	s_cbranch_scc0 .LBB369_1979
; %bb.1978:
	global_store_byte v[2:3], v4, off
	s_mov_b64 s[0:1], 0
.LBB369_1979:
	s_andn2_b64 vcc, exec, s[0:1]
	s_cbranch_vccnz .LBB369_1981
; %bb.1980:
	global_store_byte v[2:3], v4, off
.LBB369_1981:
	s_mov_b64 s[10:11], -1
.LBB369_1982:
	s_andn2_b64 vcc, exec, s[10:11]
	s_cbranch_vccnz .LBB369_2059
; %bb.1983:
	v_max_i32_e32 v2, s6, v1
	v_mov_b32_e32 v1, 0
	s_cmp_lt_i32 s17, 11
	v_lshl_add_u64 v[0:1], s[4:5], 0, v[0:1]
	s_cbranch_scc1 .LBB369_2104
; %bb.1984:
	s_mov_b64 s[6:7], -1
	s_mov_b64 s[4:5], 0
	s_cmp_gt_i32 s17, 25
	s_mov_b64 s[0:1], 0
	s_cbranch_scc0 .LBB369_2017
; %bb.1985:
	s_cmp_gt_i32 s17, 28
	s_cbranch_scc0 .LBB369_2001
; %bb.1986:
	s_cmp_gt_i32 s17, 43
	;; [unrolled: 3-line block ×3, first 2 shown]
	s_cbranch_scc0 .LBB369_1991
; %bb.1988:
	s_cmp_eq_u32 s17, 46
	s_mov_b64 s[0:1], -1
	s_cbranch_scc0 .LBB369_1990
; %bb.1989:
	v_cvt_f32_i32_e32 v3, v2
	s_movk_i32 s0, 0x7fff
	v_bfe_u32 v4, v3, 16, 1
	v_add3_u32 v3, v3, v4, s0
	v_lshrrev_b32_e32 v3, 16, v3
	global_store_dword v[0:1], v3, off
	s_mov_b64 s[0:1], 0
.LBB369_1990:
	s_mov_b64 s[6:7], 0
.LBB369_1991:
	s_and_b64 vcc, exec, s[6:7]
	s_cbranch_vccz .LBB369_1996
; %bb.1992:
	s_cmp_eq_u32 s17, 44
	s_mov_b64 s[0:1], -1
	s_cbranch_scc0 .LBB369_1996
; %bb.1993:
	v_cvt_f32_i32_e32 v3, v2
	s_movk_i32 s0, 0xff
	v_mov_b32_e32 v5, 0xff
	v_bfe_u32 v4, v3, 23, 8
	v_cmp_ne_u32_e32 vcc, s0, v4
	s_and_saveexec_b64 s[6:7], vcc
; %bb.1994:
	s_mov_b32 s0, 0x3fffff
	v_lshrrev_b32_e32 v5, 23, v3
	v_and_b32_e32 v6, 0x400000, v3
	v_and_or_b32 v3, v3, s0, v4
	v_cmp_ne_u32_e32 vcc, 0, v6
	v_cmp_ne_u32_e64 s[0:1], 0, v3
	s_and_b64 s[0:1], vcc, s[0:1]
	s_nop 0
	v_cndmask_b32_e64 v3, 0, 1, s[0:1]
	v_add_u32_e32 v5, v5, v3
; %bb.1995:
	s_or_b64 exec, exec, s[6:7]
	s_mov_b64 s[0:1], 0
	global_store_byte v[0:1], v5, off
.LBB369_1996:
	s_mov_b64 s[6:7], 0
.LBB369_1997:
	s_and_b64 vcc, exec, s[6:7]
	s_cbranch_vccz .LBB369_2000
; %bb.1998:
	s_cmp_eq_u32 s17, 29
	s_mov_b64 s[0:1], -1
	s_cbranch_scc0 .LBB369_2000
; %bb.1999:
	v_ashrrev_i32_e32 v3, 31, v2
	global_store_dwordx2 v[0:1], v[2:3], off
	s_mov_b64 s[0:1], 0
.LBB369_2000:
	s_mov_b64 s[6:7], 0
.LBB369_2001:
	s_and_b64 vcc, exec, s[6:7]
	s_cbranch_vccz .LBB369_2016
; %bb.2002:
	s_cmp_lt_i32 s17, 27
	s_mov_b64 s[6:7], -1
	s_cbranch_scc1 .LBB369_2008
; %bb.2003:
	s_cmp_gt_i32 s17, 27
	s_cbranch_scc0 .LBB369_2005
; %bb.2004:
	global_store_dword v[0:1], v2, off
	s_mov_b64 s[6:7], 0
.LBB369_2005:
	s_andn2_b64 vcc, exec, s[6:7]
	s_cbranch_vccnz .LBB369_2007
; %bb.2006:
	global_store_short v[0:1], v2, off
.LBB369_2007:
	s_mov_b64 s[6:7], 0
.LBB369_2008:
	s_andn2_b64 vcc, exec, s[6:7]
	s_cbranch_vccnz .LBB369_2016
; %bb.2009:
	v_cvt_f32_i32_e32 v3, v2
	s_mov_b32 s6, 0x43800000
	v_mov_b32_e32 v5, 0x80
	v_and_b32_e32 v4, 0x7fffffff, v3
	v_cmp_gt_u32_e32 vcc, s6, v4
	s_and_saveexec_b64 s[6:7], vcc
	s_cbranch_execz .LBB369_2015
; %bb.2010:
	s_mov_b32 s8, 0x3bffffff
	v_cmp_lt_u32_e32 vcc, s8, v4
	s_mov_b64 s[8:9], 0
                                        ; implicit-def: $vgpr4
	s_and_saveexec_b64 s[10:11], vcc
	s_xor_b64 s[10:11], exec, s[10:11]
	s_cbranch_execz .LBB369_2121
; %bb.2011:
	v_bfe_u32 v4, v3, 20, 1
	s_mov_b32 s12, 0x487ffff
	v_add3_u32 v4, v3, v4, s12
	s_mov_b64 s[8:9], exec
	v_lshrrev_b32_e32 v4, 20, v4
	s_andn2_saveexec_b64 s[10:11], s[10:11]
	s_cbranch_execnz .LBB369_2122
.LBB369_2012:
	s_or_b64 exec, exec, s[10:11]
	v_mov_b32_e32 v5, 0
	s_and_saveexec_b64 s[10:11], s[8:9]
.LBB369_2013:
	v_lshrrev_b32_e32 v3, 24, v3
	s_movk_i32 s8, 0x80
	v_and_or_b32 v5, v3, s8, v4
.LBB369_2014:
	s_or_b64 exec, exec, s[10:11]
.LBB369_2015:
	s_or_b64 exec, exec, s[6:7]
	global_store_byte v[0:1], v5, off
.LBB369_2016:
	s_mov_b64 s[6:7], 0
.LBB369_2017:
	s_and_b64 vcc, exec, s[6:7]
	s_cbranch_vccz .LBB369_2057
; %bb.2018:
	s_cmp_gt_i32 s17, 22
	s_mov_b64 s[4:5], -1
	s_cbranch_scc0 .LBB369_2050
; %bb.2019:
	s_cmp_lt_i32 s17, 24
	s_cbranch_scc1 .LBB369_2039
; %bb.2020:
	s_cmp_gt_i32 s17, 24
	s_cbranch_scc0 .LBB369_2028
; %bb.2021:
	v_cvt_f32_i32_e32 v3, v2
	s_mov_b32 s4, 0x47800000
	v_mov_b32_e32 v5, 0x80
	v_and_b32_e32 v4, 0x7fffffff, v3
	v_cmp_gt_u32_e32 vcc, s4, v4
	s_and_saveexec_b64 s[4:5], vcc
	s_cbranch_execz .LBB369_2027
; %bb.2022:
	s_mov_b32 s6, 0x37ffffff
	v_cmp_lt_u32_e32 vcc, s6, v4
	s_mov_b64 s[6:7], 0
                                        ; implicit-def: $vgpr4
	s_and_saveexec_b64 s[8:9], vcc
	s_xor_b64 s[8:9], exec, s[8:9]
	s_cbranch_execz .LBB369_2124
; %bb.2023:
	v_bfe_u32 v4, v3, 21, 1
	s_mov_b32 s10, 0x88fffff
	v_add3_u32 v4, v3, v4, s10
	s_mov_b64 s[6:7], exec
	v_lshrrev_b32_e32 v4, 21, v4
	s_andn2_saveexec_b64 s[8:9], s[8:9]
	s_cbranch_execnz .LBB369_2125
.LBB369_2024:
	s_or_b64 exec, exec, s[8:9]
	v_mov_b32_e32 v5, 0
	s_and_saveexec_b64 s[8:9], s[6:7]
.LBB369_2025:
	v_lshrrev_b32_e32 v3, 24, v3
	s_movk_i32 s6, 0x80
	v_and_or_b32 v5, v3, s6, v4
.LBB369_2026:
	s_or_b64 exec, exec, s[8:9]
.LBB369_2027:
	s_or_b64 exec, exec, s[4:5]
	s_mov_b64 s[4:5], 0
	global_store_byte v[0:1], v5, off
.LBB369_2028:
	s_and_b64 vcc, exec, s[4:5]
	s_cbranch_vccz .LBB369_2038
; %bb.2029:
	v_cvt_f32_i32_e32 v3, v2
	s_mov_b32 s4, 0x43f00000
                                        ; implicit-def: $vgpr4
	v_and_b32_e32 v5, 0x7fffffff, v3
	v_cmp_gt_u32_e32 vcc, s4, v5
	s_and_saveexec_b64 s[4:5], vcc
	s_xor_b64 s[4:5], exec, s[4:5]
	s_cbranch_execz .LBB369_2035
; %bb.2030:
	s_mov_b32 s6, 0x3c7fffff
	v_cmp_lt_u32_e32 vcc, s6, v5
                                        ; implicit-def: $vgpr4
	s_and_saveexec_b64 s[6:7], vcc
	s_xor_b64 s[6:7], exec, s[6:7]
; %bb.2031:
	v_bfe_u32 v4, v3, 20, 1
	s_mov_b32 s8, 0x407ffff
	v_add3_u32 v4, v3, v4, s8
	v_lshrrev_b32_e32 v5, 20, v4
	v_and_b32_e32 v4, 0xff00000, v4
	s_mov_b32 s8, 0x7f00000
	v_mov_b32_e32 v6, 0x7e
	v_cmp_ne_u32_e32 vcc, s8, v4
	s_nop 1
	v_cndmask_b32_e32 v4, v6, v5, vcc
; %bb.2032:
	s_andn2_saveexec_b64 s[6:7], s[6:7]
; %bb.2033:
	s_mov_b32 s8, 0x46800000
	v_add_f32_e64 v4, |v3|, s8
; %bb.2034:
	s_or_b64 exec, exec, s[6:7]
                                        ; implicit-def: $vgpr5
.LBB369_2035:
	s_andn2_saveexec_b64 s[4:5], s[4:5]
; %bb.2036:
	s_mov_b32 s6, 0x7f800000
	v_mov_b32_e32 v4, 0x7e
	v_mov_b32_e32 v6, 0x7f
	v_cmp_lt_u32_e32 vcc, s6, v5
	s_nop 1
	v_cndmask_b32_e32 v4, v4, v6, vcc
; %bb.2037:
	s_or_b64 exec, exec, s[4:5]
	v_lshrrev_b32_e32 v3, 24, v3
	s_movk_i32 s4, 0x80
	v_and_or_b32 v3, v3, s4, v4
	global_store_byte v[0:1], v3, off
.LBB369_2038:
	s_mov_b64 s[4:5], 0
.LBB369_2039:
	s_andn2_b64 vcc, exec, s[4:5]
	s_cbranch_vccnz .LBB369_2049
; %bb.2040:
	v_cvt_f32_i32_e32 v3, v2
	s_mov_b32 s4, 0x47800000
                                        ; implicit-def: $vgpr4
	v_and_b32_e32 v5, 0x7fffffff, v3
	v_cmp_gt_u32_e32 vcc, s4, v5
	s_and_saveexec_b64 s[4:5], vcc
	s_xor_b64 s[4:5], exec, s[4:5]
	s_cbranch_execz .LBB369_2046
; %bb.2041:
	s_mov_b32 s6, 0x387fffff
	v_cmp_lt_u32_e32 vcc, s6, v5
                                        ; implicit-def: $vgpr4
	s_and_saveexec_b64 s[6:7], vcc
	s_xor_b64 s[6:7], exec, s[6:7]
; %bb.2042:
	v_bfe_u32 v4, v3, 21, 1
	s_mov_b32 s8, 0x80fffff
	v_add3_u32 v4, v3, v4, s8
	v_lshrrev_b32_e32 v4, 21, v4
; %bb.2043:
	s_andn2_saveexec_b64 s[6:7], s[6:7]
; %bb.2044:
	s_mov_b32 s8, 0x43000000
	v_add_f32_e64 v4, |v3|, s8
; %bb.2045:
	s_or_b64 exec, exec, s[6:7]
                                        ; implicit-def: $vgpr5
.LBB369_2046:
	s_andn2_saveexec_b64 s[4:5], s[4:5]
; %bb.2047:
	s_mov_b32 s6, 0x7f800000
	v_mov_b32_e32 v4, 0x7c
	v_mov_b32_e32 v6, 0x7f
	v_cmp_lt_u32_e32 vcc, s6, v5
	s_nop 1
	v_cndmask_b32_e32 v4, v4, v6, vcc
; %bb.2048:
	s_or_b64 exec, exec, s[4:5]
	v_lshrrev_b32_e32 v3, 24, v3
	s_movk_i32 s4, 0x80
	v_and_or_b32 v3, v3, s4, v4
	global_store_byte v[0:1], v3, off
.LBB369_2049:
	s_mov_b64 s[4:5], 0
.LBB369_2050:
	s_andn2_b64 vcc, exec, s[4:5]
	s_mov_b64 s[4:5], 0
	s_cbranch_vccnz .LBB369_2057
; %bb.2051:
	s_cmp_gt_i32 s17, 14
	s_mov_b64 s[6:7], -1
	s_cbranch_scc0 .LBB369_2055
; %bb.2052:
	s_cmp_eq_u32 s17, 15
	s_mov_b64 s[0:1], -1
	s_cbranch_scc0 .LBB369_2054
; %bb.2053:
	v_cvt_f32_i32_e32 v3, v2
	s_movk_i32 s0, 0x7fff
	v_bfe_u32 v4, v3, 16, 1
	v_add3_u32 v3, v3, v4, s0
	global_store_short_d16_hi v[0:1], v3, off
	s_mov_b64 s[0:1], 0
.LBB369_2054:
	s_mov_b64 s[6:7], 0
.LBB369_2055:
	s_and_b64 vcc, exec, s[6:7]
	s_cbranch_vccz .LBB369_2057
; %bb.2056:
	s_cmp_lg_u32 s17, 11
	s_mov_b64 s[4:5], -1
	s_cselect_b64 s[0:1], -1, 0
.LBB369_2057:
	s_and_b64 vcc, exec, s[0:1]
	s_cbranch_vccnz .LBB369_2123
.LBB369_2058:
	s_mov_b64 s[0:1], 0
	s_branch .LBB369_2060
.LBB369_2059:
	s_mov_b64 s[0:1], 0
	s_mov_b64 s[4:5], 0
                                        ; implicit-def: $vgpr0_vgpr1
                                        ; implicit-def: $sgpr16
                                        ; implicit-def: $vgpr2
.LBB369_2060:
	s_and_b64 s[6:7], s[0:1], exec
	s_andn2_b64 s[0:1], s[24:25], exec
	s_and_b64 s[2:3], s[2:3], exec
	s_and_b64 s[40:41], s[4:5], exec
	s_or_b64 s[24:25], s[0:1], s[2:3]
.LBB369_2061:
	s_or_b64 exec, exec, s[26:27]
	s_and_saveexec_b64 s[0:1], s[24:25]
	s_cbranch_execz .LBB369_2064
; %bb.2062:
	; divergent unreachable
	s_or_b64 exec, exec, s[0:1]
	s_and_saveexec_b64 s[0:1], s[40:41]
	s_xor_b64 s[0:1], exec, s[0:1]
	s_cbranch_execnz .LBB369_2065
.LBB369_2063:
	s_or_b64 exec, exec, s[0:1]
	s_and_saveexec_b64 s[0:1], s[6:7]
	s_cbranch_execnz .LBB369_2066
	s_branch .LBB369_2103
.LBB369_2064:
	s_or_b64 exec, exec, s[0:1]
	s_and_saveexec_b64 s[0:1], s[40:41]
	s_xor_b64 s[0:1], exec, s[0:1]
	s_cbranch_execz .LBB369_2063
.LBB369_2065:
	v_cmp_ne_u32_e32 vcc, 0, v2
	s_waitcnt vmcnt(0)
	s_nop 0
	v_cndmask_b32_e64 v3, 0, 1, vcc
	global_store_byte v[0:1], v3, off
	s_or_b64 exec, exec, s[0:1]
	s_and_saveexec_b64 s[0:1], s[6:7]
	s_cbranch_execz .LBB369_2103
.LBB369_2066:
	s_sext_i32_i16 s2, s16
	s_cmp_lt_i32 s2, 5
	s_mov_b64 s[0:1], -1
	s_cbranch_scc1 .LBB369_2087
; %bb.2067:
	s_cmp_lt_i32 s2, 8
	s_cbranch_scc1 .LBB369_2077
; %bb.2068:
	s_cmp_lt_i32 s2, 9
	s_cbranch_scc1 .LBB369_2074
; %bb.2069:
	s_cmp_gt_i32 s2, 9
	s_cbranch_scc0 .LBB369_2071
; %bb.2070:
	v_mov_b32_e32 v6, 0
	s_waitcnt vmcnt(0)
	v_cvt_f64_i32_e32 v[4:5], v2
	v_mov_b32_e32 v7, v6
	global_store_dwordx4 v[0:1], v[4:7], off
	s_mov_b64 s[0:1], 0
.LBB369_2071:
	s_andn2_b64 vcc, exec, s[0:1]
	s_cbranch_vccnz .LBB369_2073
; %bb.2072:
	v_cvt_f32_i32_e32 v4, v2
	s_waitcnt vmcnt(0)
	v_mov_b32_e32 v5, 0
	global_store_dwordx2 v[0:1], v[4:5], off
.LBB369_2073:
	s_mov_b64 s[0:1], 0
.LBB369_2074:
	s_andn2_b64 vcc, exec, s[0:1]
	s_cbranch_vccnz .LBB369_2076
; %bb.2075:
	s_waitcnt vmcnt(0)
	v_cvt_f32_i32_e32 v3, v2
	v_cvt_f16_f32_e32 v3, v3
	global_store_dword v[0:1], v3, off
.LBB369_2076:
	s_mov_b64 s[0:1], 0
.LBB369_2077:
	s_andn2_b64 vcc, exec, s[0:1]
	s_cbranch_vccnz .LBB369_2086
; %bb.2078:
	s_sext_i32_i16 s2, s16
	s_cmp_lt_i32 s2, 6
	s_mov_b64 s[0:1], -1
	s_cbranch_scc1 .LBB369_2084
; %bb.2079:
	s_cmp_gt_i32 s2, 6
	s_cbranch_scc0 .LBB369_2081
; %bb.2080:
	s_waitcnt vmcnt(0)
	v_cvt_f64_i32_e32 v[4:5], v2
	global_store_dwordx2 v[0:1], v[4:5], off
	s_mov_b64 s[0:1], 0
.LBB369_2081:
	s_andn2_b64 vcc, exec, s[0:1]
	s_cbranch_vccnz .LBB369_2083
; %bb.2082:
	s_waitcnt vmcnt(0)
	v_cvt_f32_i32_e32 v3, v2
	global_store_dword v[0:1], v3, off
.LBB369_2083:
	s_mov_b64 s[0:1], 0
.LBB369_2084:
	s_andn2_b64 vcc, exec, s[0:1]
	s_cbranch_vccnz .LBB369_2086
; %bb.2085:
	s_waitcnt vmcnt(0)
	v_cvt_f32_i32_e32 v3, v2
	v_cvt_f16_f32_e32 v3, v3
	global_store_short v[0:1], v3, off
.LBB369_2086:
	s_mov_b64 s[0:1], 0
.LBB369_2087:
	s_andn2_b64 vcc, exec, s[0:1]
	s_cbranch_vccnz .LBB369_2103
; %bb.2088:
	s_sext_i32_i16 s2, s16
	s_cmp_lt_i32 s2, 2
	s_mov_b64 s[0:1], -1
	s_cbranch_scc1 .LBB369_2098
; %bb.2089:
	s_cmp_lt_i32 s2, 3
	s_cbranch_scc1 .LBB369_2095
; %bb.2090:
	s_cmp_gt_i32 s2, 3
	s_cbranch_scc0 .LBB369_2092
; %bb.2091:
	s_waitcnt vmcnt(0)
	v_ashrrev_i32_e32 v3, 31, v2
	global_store_dwordx2 v[0:1], v[2:3], off
	s_mov_b64 s[0:1], 0
.LBB369_2092:
	s_andn2_b64 vcc, exec, s[0:1]
	s_cbranch_vccnz .LBB369_2094
; %bb.2093:
	s_waitcnt vmcnt(0)
	global_store_dword v[0:1], v2, off
.LBB369_2094:
	s_mov_b64 s[0:1], 0
.LBB369_2095:
	s_andn2_b64 vcc, exec, s[0:1]
	s_cbranch_vccnz .LBB369_2097
; %bb.2096:
	s_waitcnt vmcnt(0)
	global_store_short v[0:1], v2, off
.LBB369_2097:
	s_mov_b64 s[0:1], 0
.LBB369_2098:
	s_andn2_b64 vcc, exec, s[0:1]
	s_cbranch_vccnz .LBB369_2103
; %bb.2099:
	s_sext_i32_i16 s0, s16
	s_cmp_gt_i32 s0, 0
	s_mov_b64 s[0:1], -1
	s_cbranch_scc0 .LBB369_2101
; %bb.2100:
	s_waitcnt vmcnt(0)
	global_store_byte v[0:1], v2, off
	s_mov_b64 s[0:1], 0
.LBB369_2101:
	s_andn2_b64 vcc, exec, s[0:1]
	s_cbranch_vccnz .LBB369_2103
; %bb.2102:
	s_waitcnt vmcnt(0)
	global_store_byte v[0:1], v2, off
	s_endpgm
.LBB369_2103:
	s_endpgm
.LBB369_2104:
	s_mov_b64 s[4:5], 0
	s_mov_b64 s[0:1], -1
	s_branch .LBB369_2060
.LBB369_2105:
	s_trap 2
	s_or_b64 s[2:3], s[2:3], exec
	s_cbranch_execz .LBB369_1574
	s_branch .LBB369_1575
.LBB369_2106:
	s_andn2_saveexec_b64 s[14:15], s[14:15]
	s_cbranch_execz .LBB369_1654
.LBB369_2107:
	s_mov_b32 s17, 0x46000000
	v_add_f32_e64 v10, |v9|, s17
	v_and_b32_e32 v10, 0xff, v10
	v_cmp_ne_u32_e32 vcc, 0, v10
	s_andn2_b64 s[12:13], s[12:13], exec
	s_and_b64 s[18:19], vcc, exec
	s_or_b64 s[12:13], s[12:13], s[18:19]
	s_or_b64 exec, exec, s[14:15]
	v_mov_b32_e32 v11, 0
	s_and_saveexec_b64 s[14:15], s[12:13]
	s_cbranch_execnz .LBB369_1655
	s_branch .LBB369_1656
.LBB369_2108:
	s_trap 2
	s_or_b64 s[2:3], s[2:3], exec
	s_cbranch_execz .LBB369_1702
	s_branch .LBB369_1703
.LBB369_2109:
	s_andn2_saveexec_b64 s[12:13], s[12:13]
	s_cbranch_execz .LBB369_1667
.LBB369_2110:
	s_mov_b32 s14, 0x42800000
	v_add_f32_e64 v10, |v9|, s14
	v_and_b32_e32 v10, 0xff, v10
	v_cmp_ne_u32_e32 vcc, 0, v10
	s_andn2_b64 s[10:11], s[10:11], exec
	s_and_b64 s[14:15], vcc, exec
	s_or_b64 s[10:11], s[10:11], s[14:15]
	s_or_b64 exec, exec, s[12:13]
	v_mov_b32_e32 v11, 0
	s_and_saveexec_b64 s[12:13], s[10:11]
	s_cbranch_execnz .LBB369_1668
	s_branch .LBB369_1669
.LBB369_2111:
	s_andn2_saveexec_b64 s[14:15], s[14:15]
	s_cbranch_execz .LBB369_1773
.LBB369_2112:
	s_mov_b32 s7, 0x46000000
	v_add_f32_e64 v8, |v7|, s7
	v_and_b32_e32 v8, 0xff, v8
	v_cmp_ne_u32_e32 vcc, 0, v8
	s_andn2_b64 s[12:13], s[12:13], exec
	s_and_b64 s[18:19], vcc, exec
	s_or_b64 s[12:13], s[12:13], s[18:19]
	s_or_b64 exec, exec, s[14:15]
	v_mov_b32_e32 v9, 0
	s_and_saveexec_b64 s[14:15], s[12:13]
	s_cbranch_execnz .LBB369_1774
	s_branch .LBB369_1775
.LBB369_2113:
	s_trap 2
	s_or_b64 s[2:3], s[2:3], exec
	s_cbranch_execz .LBB369_1821
	s_branch .LBB369_1822
.LBB369_2114:
	s_andn2_saveexec_b64 s[12:13], s[12:13]
	s_cbranch_execz .LBB369_1786
.LBB369_2115:
	s_mov_b32 s7, 0x42800000
	v_add_f32_e64 v8, |v7|, s7
	v_and_b32_e32 v8, 0xff, v8
	v_cmp_ne_u32_e32 vcc, 0, v8
	s_andn2_b64 s[10:11], s[10:11], exec
	s_and_b64 s[14:15], vcc, exec
	s_or_b64 s[10:11], s[10:11], s[14:15]
	s_or_b64 exec, exec, s[12:13]
	v_mov_b32_e32 v9, 0
	s_and_saveexec_b64 s[12:13], s[10:11]
	s_cbranch_execnz .LBB369_1787
	s_branch .LBB369_1788
.LBB369_2116:
	s_andn2_saveexec_b64 s[14:15], s[14:15]
	s_cbranch_execz .LBB369_1892
.LBB369_2117:
	s_mov_b32 s7, 0x46000000
	v_add_f32_e64 v6, |v5|, s7
	v_and_b32_e32 v6, 0xff, v6
	v_cmp_ne_u32_e32 vcc, 0, v6
	s_andn2_b64 s[12:13], s[12:13], exec
	s_and_b64 s[18:19], vcc, exec
	s_or_b64 s[12:13], s[12:13], s[18:19]
	s_or_b64 exec, exec, s[14:15]
	v_mov_b32_e32 v7, 0
	s_and_saveexec_b64 s[14:15], s[12:13]
	s_cbranch_execnz .LBB369_1893
	s_branch .LBB369_1894
.LBB369_2118:
	s_trap 2
	s_or_b64 s[2:3], s[2:3], exec
	s_cbranch_execz .LBB369_1940
	s_branch .LBB369_1941
.LBB369_2119:
	s_andn2_saveexec_b64 s[12:13], s[12:13]
	s_cbranch_execz .LBB369_1905
.LBB369_2120:
	s_mov_b32 s7, 0x42800000
	v_add_f32_e64 v6, |v5|, s7
	v_and_b32_e32 v6, 0xff, v6
	v_cmp_ne_u32_e32 vcc, 0, v6
	s_andn2_b64 s[10:11], s[10:11], exec
	s_and_b64 s[14:15], vcc, exec
	s_or_b64 s[10:11], s[10:11], s[14:15]
	s_or_b64 exec, exec, s[12:13]
	v_mov_b32_e32 v7, 0
	s_and_saveexec_b64 s[12:13], s[10:11]
	s_cbranch_execnz .LBB369_1906
	s_branch .LBB369_1907
.LBB369_2121:
	s_andn2_saveexec_b64 s[10:11], s[10:11]
	s_cbranch_execz .LBB369_2012
.LBB369_2122:
	s_mov_b32 s12, 0x46000000
	v_add_f32_e64 v4, |v3|, s12
	v_and_b32_e32 v4, 0xff, v4
	v_cmp_ne_u32_e32 vcc, 0, v4
	s_andn2_b64 s[8:9], s[8:9], exec
	s_and_b64 s[12:13], vcc, exec
	s_or_b64 s[8:9], s[8:9], s[12:13]
	s_or_b64 exec, exec, s[10:11]
	v_mov_b32_e32 v5, 0
	s_and_saveexec_b64 s[10:11], s[8:9]
	s_cbranch_execnz .LBB369_2013
	s_branch .LBB369_2014
.LBB369_2123:
	s_mov_b64 s[4:5], 0
	s_or_b64 s[2:3], s[2:3], exec
	s_trap 2
	s_branch .LBB369_2058
.LBB369_2124:
	s_andn2_saveexec_b64 s[8:9], s[8:9]
	s_cbranch_execz .LBB369_2024
.LBB369_2125:
	s_mov_b32 s10, 0x42800000
	v_add_f32_e64 v4, |v3|, s10
	v_and_b32_e32 v4, 0xff, v4
	v_cmp_ne_u32_e32 vcc, 0, v4
	s_andn2_b64 s[6:7], s[6:7], exec
	s_and_b64 s[10:11], vcc, exec
	s_or_b64 s[6:7], s[6:7], s[10:11]
	s_or_b64 exec, exec, s[8:9]
	v_mov_b32_e32 v5, 0
	s_and_saveexec_b64 s[8:9], s[6:7]
	s_cbranch_execnz .LBB369_2025
	s_branch .LBB369_2026
	.section	.rodata,"a",@progbits
	.p2align	6, 0x0
	.amdhsa_kernel _ZN2at6native32elementwise_kernel_manual_unrollILi128ELi4EZNS0_15gpu_kernel_implIZZZNS0_21clamp_min_kernel_cudaERNS_18TensorIteratorBaseERKN3c106ScalarEENKUlvE_clEvENKUlvE1_clEvEUliE_EEvS4_RKT_EUlibE0_EEviT1_
		.amdhsa_group_segment_fixed_size 0
		.amdhsa_private_segment_fixed_size 0
		.amdhsa_kernarg_size 360
		.amdhsa_user_sgpr_count 2
		.amdhsa_user_sgpr_dispatch_ptr 0
		.amdhsa_user_sgpr_queue_ptr 0
		.amdhsa_user_sgpr_kernarg_segment_ptr 1
		.amdhsa_user_sgpr_dispatch_id 0
		.amdhsa_user_sgpr_kernarg_preload_length 0
		.amdhsa_user_sgpr_kernarg_preload_offset 0
		.amdhsa_user_sgpr_private_segment_size 0
		.amdhsa_uses_dynamic_stack 0
		.amdhsa_enable_private_segment 0
		.amdhsa_system_sgpr_workgroup_id_x 1
		.amdhsa_system_sgpr_workgroup_id_y 0
		.amdhsa_system_sgpr_workgroup_id_z 0
		.amdhsa_system_sgpr_workgroup_info 0
		.amdhsa_system_vgpr_workitem_id 0
		.amdhsa_next_free_vgpr 18
		.amdhsa_next_free_sgpr 79
		.amdhsa_accum_offset 20
		.amdhsa_reserve_vcc 1
		.amdhsa_float_round_mode_32 0
		.amdhsa_float_round_mode_16_64 0
		.amdhsa_float_denorm_mode_32 3
		.amdhsa_float_denorm_mode_16_64 3
		.amdhsa_dx10_clamp 1
		.amdhsa_ieee_mode 1
		.amdhsa_fp16_overflow 0
		.amdhsa_tg_split 0
		.amdhsa_exception_fp_ieee_invalid_op 0
		.amdhsa_exception_fp_denorm_src 0
		.amdhsa_exception_fp_ieee_div_zero 0
		.amdhsa_exception_fp_ieee_overflow 0
		.amdhsa_exception_fp_ieee_underflow 0
		.amdhsa_exception_fp_ieee_inexact 0
		.amdhsa_exception_int_div_zero 0
	.end_amdhsa_kernel
	.section	.text._ZN2at6native32elementwise_kernel_manual_unrollILi128ELi4EZNS0_15gpu_kernel_implIZZZNS0_21clamp_min_kernel_cudaERNS_18TensorIteratorBaseERKN3c106ScalarEENKUlvE_clEvENKUlvE1_clEvEUliE_EEvS4_RKT_EUlibE0_EEviT1_,"axG",@progbits,_ZN2at6native32elementwise_kernel_manual_unrollILi128ELi4EZNS0_15gpu_kernel_implIZZZNS0_21clamp_min_kernel_cudaERNS_18TensorIteratorBaseERKN3c106ScalarEENKUlvE_clEvENKUlvE1_clEvEUliE_EEvS4_RKT_EUlibE0_EEviT1_,comdat
.Lfunc_end369:
	.size	_ZN2at6native32elementwise_kernel_manual_unrollILi128ELi4EZNS0_15gpu_kernel_implIZZZNS0_21clamp_min_kernel_cudaERNS_18TensorIteratorBaseERKN3c106ScalarEENKUlvE_clEvENKUlvE1_clEvEUliE_EEvS4_RKT_EUlibE0_EEviT1_, .Lfunc_end369-_ZN2at6native32elementwise_kernel_manual_unrollILi128ELi4EZNS0_15gpu_kernel_implIZZZNS0_21clamp_min_kernel_cudaERNS_18TensorIteratorBaseERKN3c106ScalarEENKUlvE_clEvENKUlvE1_clEvEUliE_EEvS4_RKT_EUlibE0_EEviT1_
                                        ; -- End function
	.set _ZN2at6native32elementwise_kernel_manual_unrollILi128ELi4EZNS0_15gpu_kernel_implIZZZNS0_21clamp_min_kernel_cudaERNS_18TensorIteratorBaseERKN3c106ScalarEENKUlvE_clEvENKUlvE1_clEvEUliE_EEvS4_RKT_EUlibE0_EEviT1_.num_vgpr, 18
	.set _ZN2at6native32elementwise_kernel_manual_unrollILi128ELi4EZNS0_15gpu_kernel_implIZZZNS0_21clamp_min_kernel_cudaERNS_18TensorIteratorBaseERKN3c106ScalarEENKUlvE_clEvENKUlvE1_clEvEUliE_EEvS4_RKT_EUlibE0_EEviT1_.num_agpr, 0
	.set _ZN2at6native32elementwise_kernel_manual_unrollILi128ELi4EZNS0_15gpu_kernel_implIZZZNS0_21clamp_min_kernel_cudaERNS_18TensorIteratorBaseERKN3c106ScalarEENKUlvE_clEvENKUlvE1_clEvEUliE_EEvS4_RKT_EUlibE0_EEviT1_.numbered_sgpr, 79
	.set _ZN2at6native32elementwise_kernel_manual_unrollILi128ELi4EZNS0_15gpu_kernel_implIZZZNS0_21clamp_min_kernel_cudaERNS_18TensorIteratorBaseERKN3c106ScalarEENKUlvE_clEvENKUlvE1_clEvEUliE_EEvS4_RKT_EUlibE0_EEviT1_.num_named_barrier, 0
	.set _ZN2at6native32elementwise_kernel_manual_unrollILi128ELi4EZNS0_15gpu_kernel_implIZZZNS0_21clamp_min_kernel_cudaERNS_18TensorIteratorBaseERKN3c106ScalarEENKUlvE_clEvENKUlvE1_clEvEUliE_EEvS4_RKT_EUlibE0_EEviT1_.private_seg_size, 0
	.set _ZN2at6native32elementwise_kernel_manual_unrollILi128ELi4EZNS0_15gpu_kernel_implIZZZNS0_21clamp_min_kernel_cudaERNS_18TensorIteratorBaseERKN3c106ScalarEENKUlvE_clEvENKUlvE1_clEvEUliE_EEvS4_RKT_EUlibE0_EEviT1_.uses_vcc, 1
	.set _ZN2at6native32elementwise_kernel_manual_unrollILi128ELi4EZNS0_15gpu_kernel_implIZZZNS0_21clamp_min_kernel_cudaERNS_18TensorIteratorBaseERKN3c106ScalarEENKUlvE_clEvENKUlvE1_clEvEUliE_EEvS4_RKT_EUlibE0_EEviT1_.uses_flat_scratch, 0
	.set _ZN2at6native32elementwise_kernel_manual_unrollILi128ELi4EZNS0_15gpu_kernel_implIZZZNS0_21clamp_min_kernel_cudaERNS_18TensorIteratorBaseERKN3c106ScalarEENKUlvE_clEvENKUlvE1_clEvEUliE_EEvS4_RKT_EUlibE0_EEviT1_.has_dyn_sized_stack, 0
	.set _ZN2at6native32elementwise_kernel_manual_unrollILi128ELi4EZNS0_15gpu_kernel_implIZZZNS0_21clamp_min_kernel_cudaERNS_18TensorIteratorBaseERKN3c106ScalarEENKUlvE_clEvENKUlvE1_clEvEUliE_EEvS4_RKT_EUlibE0_EEviT1_.has_recursion, 0
	.set _ZN2at6native32elementwise_kernel_manual_unrollILi128ELi4EZNS0_15gpu_kernel_implIZZZNS0_21clamp_min_kernel_cudaERNS_18TensorIteratorBaseERKN3c106ScalarEENKUlvE_clEvENKUlvE1_clEvEUliE_EEvS4_RKT_EUlibE0_EEviT1_.has_indirect_call, 0
	.section	.AMDGPU.csdata,"",@progbits
; Kernel info:
; codeLenInByte = 34936
; TotalNumSgprs: 85
; NumVgprs: 18
; NumAgprs: 0
; TotalNumVgprs: 18
; ScratchSize: 0
; MemoryBound: 1
; FloatMode: 240
; IeeeMode: 1
; LDSByteSize: 0 bytes/workgroup (compile time only)
; SGPRBlocks: 10
; VGPRBlocks: 2
; NumSGPRsForWavesPerEU: 85
; NumVGPRsForWavesPerEU: 18
; AccumOffset: 20
; Occupancy: 8
; WaveLimiterHint : 1
; COMPUTE_PGM_RSRC2:SCRATCH_EN: 0
; COMPUTE_PGM_RSRC2:USER_SGPR: 2
; COMPUTE_PGM_RSRC2:TRAP_HANDLER: 0
; COMPUTE_PGM_RSRC2:TGID_X_EN: 1
; COMPUTE_PGM_RSRC2:TGID_Y_EN: 0
; COMPUTE_PGM_RSRC2:TGID_Z_EN: 0
; COMPUTE_PGM_RSRC2:TIDIG_COMP_CNT: 0
; COMPUTE_PGM_RSRC3_GFX90A:ACCUM_OFFSET: 4
; COMPUTE_PGM_RSRC3_GFX90A:TG_SPLIT: 0
	.section	.text._ZN2at6native29vectorized_elementwise_kernelILi16EZZZNS0_21clamp_min_kernel_cudaERNS_18TensorIteratorBaseERKN3c106ScalarEENKUlvE_clEvENKUlvE2_clEvEUllE_St5arrayIPcLm2EEEEviT0_T1_,"axG",@progbits,_ZN2at6native29vectorized_elementwise_kernelILi16EZZZNS0_21clamp_min_kernel_cudaERNS_18TensorIteratorBaseERKN3c106ScalarEENKUlvE_clEvENKUlvE2_clEvEUllE_St5arrayIPcLm2EEEEviT0_T1_,comdat
	.globl	_ZN2at6native29vectorized_elementwise_kernelILi16EZZZNS0_21clamp_min_kernel_cudaERNS_18TensorIteratorBaseERKN3c106ScalarEENKUlvE_clEvENKUlvE2_clEvEUllE_St5arrayIPcLm2EEEEviT0_T1_ ; -- Begin function _ZN2at6native29vectorized_elementwise_kernelILi16EZZZNS0_21clamp_min_kernel_cudaERNS_18TensorIteratorBaseERKN3c106ScalarEENKUlvE_clEvENKUlvE2_clEvEUllE_St5arrayIPcLm2EEEEviT0_T1_
	.p2align	8
	.type	_ZN2at6native29vectorized_elementwise_kernelILi16EZZZNS0_21clamp_min_kernel_cudaERNS_18TensorIteratorBaseERKN3c106ScalarEENKUlvE_clEvENKUlvE2_clEvEUllE_St5arrayIPcLm2EEEEviT0_T1_,@function
_ZN2at6native29vectorized_elementwise_kernelILi16EZZZNS0_21clamp_min_kernel_cudaERNS_18TensorIteratorBaseERKN3c106ScalarEENKUlvE_clEvENKUlvE2_clEvEUllE_St5arrayIPcLm2EEEEviT0_T1_: ; @_ZN2at6native29vectorized_elementwise_kernelILi16EZZZNS0_21clamp_min_kernel_cudaERNS_18TensorIteratorBaseERKN3c106ScalarEENKUlvE_clEvENKUlvE2_clEvEUllE_St5arrayIPcLm2EEEEviT0_T1_
; %bb.0:
	s_load_dword s3, s[0:1], 0x0
	s_load_dwordx4 s[8:11], s[0:1], 0x8
	s_load_dwordx2 s[12:13], s[0:1], 0x18
	s_lshl_b32 s6, s2, 10
	s_mov_b64 s[0:1], -1
	s_waitcnt lgkmcnt(0)
	s_sub_i32 s14, s3, s6
	s_cmpk_gt_i32 s14, 0x3ff
	s_cbranch_scc0 .LBB370_2
; %bb.1:
	s_ashr_i32 s7, s6, 31
	s_lshl_b64 s[0:1], s[6:7], 3
	s_add_u32 s2, s12, s0
	s_addc_u32 s3, s13, s1
	v_lshlrev_b32_e32 v1, 5, v0
	global_load_dwordx4 v[2:5], v1, s[2:3]
	global_load_dwordx4 v[6:9], v1, s[2:3] offset:16
	s_add_u32 s16, s10, s0
	v_mov_b32_e32 v10, s9
	v_mov_b32_e32 v11, s8
	s_addc_u32 s17, s11, s1
	s_waitcnt vmcnt(1)
	v_cmp_lt_i64_e32 vcc, s[8:9], v[2:3]
	v_cmp_lt_i64_e64 s[0:1], s[8:9], v[4:5]
	s_nop 0
	v_cndmask_b32_e32 v3, v10, v3, vcc
	s_waitcnt vmcnt(0)
	v_cmp_lt_i64_e64 s[2:3], s[8:9], v[6:7]
	v_cndmask_b32_e64 v5, v10, v5, s[0:1]
	v_cmp_lt_i64_e64 s[4:5], s[8:9], v[8:9]
	v_cndmask_b32_e32 v2, v11, v2, vcc
	v_cndmask_b32_e64 v4, v11, v4, s[0:1]
	v_cndmask_b32_e64 v7, v10, v7, s[2:3]
	;; [unrolled: 1-line block ×5, first 2 shown]
	global_store_dwordx4 v1, v[2:5], s[16:17]
	global_store_dwordx4 v1, v[6:9], s[16:17] offset:16
	s_mov_b64 s[0:1], 0
.LBB370_2:
	s_andn2_b64 vcc, exec, s[0:1]
	s_cbranch_vccnz .LBB370_16
; %bb.3:
	v_cmp_gt_i32_e32 vcc, s14, v0
	v_mov_b64_e32 v[4:5], 0
	v_or_b32_e32 v2, s6, v0
	v_mov_b64_e32 v[6:7], 0
	v_mov_b32_e32 v1, v0
	s_and_saveexec_b64 s[0:1], vcc
	s_cbranch_execz .LBB370_5
; %bb.4:
	v_mov_b32_e32 v3, 0
	v_lshl_add_u64 v[6:7], v[2:3], 3, s[12:13]
	global_load_dwordx2 v[6:7], v[6:7], off
	v_or_b32_e32 v1, 0x100, v0
.LBB370_5:
	s_or_b64 exec, exec, s[0:1]
	v_cmp_gt_i32_e64 s[0:1], s14, v1
	s_and_saveexec_b64 s[2:3], s[0:1]
	s_cbranch_execz .LBB370_7
; %bb.6:
	v_add_u32_e32 v4, s6, v1
	v_mov_b32_e32 v5, 0
	v_lshl_add_u64 v[4:5], v[4:5], 3, s[12:13]
	global_load_dwordx2 v[4:5], v[4:5], off
	v_add_u32_e32 v1, 0x100, v1
.LBB370_7:
	s_or_b64 exec, exec, s[2:3]
	v_cmp_gt_i32_e64 s[0:1], s14, v1
	v_mov_b64_e32 v[8:9], 0
	v_mov_b64_e32 v[10:11], 0
	s_and_saveexec_b64 s[2:3], s[0:1]
	s_cbranch_execz .LBB370_9
; %bb.8:
	v_add_u32_e32 v10, s6, v1
	v_mov_b32_e32 v11, 0
	v_lshl_add_u64 v[10:11], v[10:11], 3, s[12:13]
	global_load_dwordx2 v[10:11], v[10:11], off
	v_add_u32_e32 v1, 0x100, v1
.LBB370_9:
	s_or_b64 exec, exec, s[2:3]
	v_cmp_gt_i32_e64 s[0:1], s14, v1
	s_and_saveexec_b64 s[2:3], s[0:1]
	s_cbranch_execz .LBB370_11
; %bb.10:
	v_add_u32_e32 v8, s6, v1
	v_mov_b32_e32 v9, 0
	v_lshl_add_u64 v[8:9], v[8:9], 3, s[12:13]
	global_load_dwordx2 v[8:9], v[8:9], off
.LBB370_11:
	s_or_b64 exec, exec, s[2:3]
	v_mov_b32_e32 v3, s8
	s_waitcnt vmcnt(0)
	v_cmp_lt_i64_e64 s[0:1], s[8:9], v[6:7]
	v_mov_b32_e32 v16, s9
	s_nop 0
	v_cndmask_b32_e64 v1, v3, v6, s[0:1]
	v_cndmask_b32_e64 v6, v16, v7, s[0:1]
	v_cndmask_b32_e32 v14, 0, v1, vcc
	v_or_b32_e32 v1, 0x100, v0
	v_cmp_lt_i64_e64 s[0:1], s[8:9], v[4:5]
	v_cndmask_b32_e32 v15, 0, v6, vcc
	s_nop 0
	v_cndmask_b32_e64 v4, v3, v4, s[0:1]
	v_cndmask_b32_e64 v5, v16, v5, s[0:1]
	v_cmp_gt_i32_e64 s[0:1], s14, v1
	s_nop 1
	v_cndmask_b32_e64 v13, 0, v5, s[0:1]
	v_cndmask_b32_e64 v12, 0, v4, s[0:1]
	v_or_b32_e32 v4, 0x200, v0
	v_cmp_lt_i64_e64 s[0:1], s[8:9], v[10:11]
	s_nop 1
	v_cndmask_b32_e64 v5, v3, v10, s[0:1]
	v_cndmask_b32_e64 v6, v16, v11, s[0:1]
	v_cmp_gt_i32_e64 s[0:1], s14, v4
	v_or_b32_e32 v4, 0x300, v0
	s_nop 0
	v_cndmask_b32_e64 v7, 0, v6, s[0:1]
	v_cndmask_b32_e64 v6, 0, v5, s[0:1]
	v_cmp_lt_i64_e64 s[0:1], s[8:9], v[8:9]
	s_nop 1
	v_cndmask_b32_e64 v3, v3, v8, s[0:1]
	v_cndmask_b32_e64 v5, v16, v9, s[0:1]
	v_cmp_gt_i32_e64 s[0:1], s14, v4
	s_nop 1
	v_cndmask_b32_e64 v5, 0, v5, s[0:1]
	v_cndmask_b32_e64 v4, 0, v3, s[0:1]
	s_and_saveexec_b64 s[0:1], vcc
	s_cbranch_execnz .LBB370_17
; %bb.12:
	s_or_b64 exec, exec, s[0:1]
	v_cmp_gt_i32_e32 vcc, s14, v0
	s_and_saveexec_b64 s[0:1], vcc
	s_cbranch_execnz .LBB370_18
.LBB370_13:
	s_or_b64 exec, exec, s[0:1]
	v_cmp_gt_i32_e32 vcc, s14, v0
	s_and_saveexec_b64 s[0:1], vcc
	s_cbranch_execnz .LBB370_19
.LBB370_14:
	s_or_b64 exec, exec, s[0:1]
	v_cmp_gt_i32_e32 vcc, s14, v0
	s_and_saveexec_b64 s[0:1], vcc
	s_cbranch_execz .LBB370_16
.LBB370_15:
	v_add_u32_e32 v0, s6, v0
	v_mov_b32_e32 v1, 0
	v_lshl_add_u64 v[0:1], v[0:1], 3, s[10:11]
	global_store_dwordx2 v[0:1], v[4:5], off
.LBB370_16:
	s_endpgm
.LBB370_17:
	v_mov_b32_e32 v3, 0
	v_lshl_add_u64 v[2:3], v[2:3], 3, s[10:11]
	v_mov_b32_e32 v0, v1
	global_store_dwordx2 v[2:3], v[14:15], off
	s_or_b64 exec, exec, s[0:1]
	v_cmp_gt_i32_e32 vcc, s14, v0
	s_and_saveexec_b64 s[0:1], vcc
	s_cbranch_execz .LBB370_13
.LBB370_18:
	v_add_u32_e32 v2, s6, v0
	v_mov_b32_e32 v3, 0
	v_lshl_add_u64 v[2:3], v[2:3], 3, s[10:11]
	v_add_u32_e32 v0, 0x100, v0
	global_store_dwordx2 v[2:3], v[12:13], off
	s_or_b64 exec, exec, s[0:1]
	v_cmp_gt_i32_e32 vcc, s14, v0
	s_and_saveexec_b64 s[0:1], vcc
	s_cbranch_execz .LBB370_14
.LBB370_19:
	v_add_u32_e32 v2, s6, v0
	v_mov_b32_e32 v3, 0
	v_lshl_add_u64 v[2:3], v[2:3], 3, s[10:11]
	v_add_u32_e32 v0, 0x100, v0
	global_store_dwordx2 v[2:3], v[6:7], off
	s_or_b64 exec, exec, s[0:1]
	v_cmp_gt_i32_e32 vcc, s14, v0
	s_and_saveexec_b64 s[0:1], vcc
	s_cbranch_execnz .LBB370_15
	s_branch .LBB370_16
	.section	.rodata,"a",@progbits
	.p2align	6, 0x0
	.amdhsa_kernel _ZN2at6native29vectorized_elementwise_kernelILi16EZZZNS0_21clamp_min_kernel_cudaERNS_18TensorIteratorBaseERKN3c106ScalarEENKUlvE_clEvENKUlvE2_clEvEUllE_St5arrayIPcLm2EEEEviT0_T1_
		.amdhsa_group_segment_fixed_size 0
		.amdhsa_private_segment_fixed_size 0
		.amdhsa_kernarg_size 32
		.amdhsa_user_sgpr_count 2
		.amdhsa_user_sgpr_dispatch_ptr 0
		.amdhsa_user_sgpr_queue_ptr 0
		.amdhsa_user_sgpr_kernarg_segment_ptr 1
		.amdhsa_user_sgpr_dispatch_id 0
		.amdhsa_user_sgpr_kernarg_preload_length 0
		.amdhsa_user_sgpr_kernarg_preload_offset 0
		.amdhsa_user_sgpr_private_segment_size 0
		.amdhsa_uses_dynamic_stack 0
		.amdhsa_enable_private_segment 0
		.amdhsa_system_sgpr_workgroup_id_x 1
		.amdhsa_system_sgpr_workgroup_id_y 0
		.amdhsa_system_sgpr_workgroup_id_z 0
		.amdhsa_system_sgpr_workgroup_info 0
		.amdhsa_system_vgpr_workitem_id 0
		.amdhsa_next_free_vgpr 17
		.amdhsa_next_free_sgpr 18
		.amdhsa_accum_offset 20
		.amdhsa_reserve_vcc 1
		.amdhsa_float_round_mode_32 0
		.amdhsa_float_round_mode_16_64 0
		.amdhsa_float_denorm_mode_32 3
		.amdhsa_float_denorm_mode_16_64 3
		.amdhsa_dx10_clamp 1
		.amdhsa_ieee_mode 1
		.amdhsa_fp16_overflow 0
		.amdhsa_tg_split 0
		.amdhsa_exception_fp_ieee_invalid_op 0
		.amdhsa_exception_fp_denorm_src 0
		.amdhsa_exception_fp_ieee_div_zero 0
		.amdhsa_exception_fp_ieee_overflow 0
		.amdhsa_exception_fp_ieee_underflow 0
		.amdhsa_exception_fp_ieee_inexact 0
		.amdhsa_exception_int_div_zero 0
	.end_amdhsa_kernel
	.section	.text._ZN2at6native29vectorized_elementwise_kernelILi16EZZZNS0_21clamp_min_kernel_cudaERNS_18TensorIteratorBaseERKN3c106ScalarEENKUlvE_clEvENKUlvE2_clEvEUllE_St5arrayIPcLm2EEEEviT0_T1_,"axG",@progbits,_ZN2at6native29vectorized_elementwise_kernelILi16EZZZNS0_21clamp_min_kernel_cudaERNS_18TensorIteratorBaseERKN3c106ScalarEENKUlvE_clEvENKUlvE2_clEvEUllE_St5arrayIPcLm2EEEEviT0_T1_,comdat
.Lfunc_end370:
	.size	_ZN2at6native29vectorized_elementwise_kernelILi16EZZZNS0_21clamp_min_kernel_cudaERNS_18TensorIteratorBaseERKN3c106ScalarEENKUlvE_clEvENKUlvE2_clEvEUllE_St5arrayIPcLm2EEEEviT0_T1_, .Lfunc_end370-_ZN2at6native29vectorized_elementwise_kernelILi16EZZZNS0_21clamp_min_kernel_cudaERNS_18TensorIteratorBaseERKN3c106ScalarEENKUlvE_clEvENKUlvE2_clEvEUllE_St5arrayIPcLm2EEEEviT0_T1_
                                        ; -- End function
	.set _ZN2at6native29vectorized_elementwise_kernelILi16EZZZNS0_21clamp_min_kernel_cudaERNS_18TensorIteratorBaseERKN3c106ScalarEENKUlvE_clEvENKUlvE2_clEvEUllE_St5arrayIPcLm2EEEEviT0_T1_.num_vgpr, 17
	.set _ZN2at6native29vectorized_elementwise_kernelILi16EZZZNS0_21clamp_min_kernel_cudaERNS_18TensorIteratorBaseERKN3c106ScalarEENKUlvE_clEvENKUlvE2_clEvEUllE_St5arrayIPcLm2EEEEviT0_T1_.num_agpr, 0
	.set _ZN2at6native29vectorized_elementwise_kernelILi16EZZZNS0_21clamp_min_kernel_cudaERNS_18TensorIteratorBaseERKN3c106ScalarEENKUlvE_clEvENKUlvE2_clEvEUllE_St5arrayIPcLm2EEEEviT0_T1_.numbered_sgpr, 18
	.set _ZN2at6native29vectorized_elementwise_kernelILi16EZZZNS0_21clamp_min_kernel_cudaERNS_18TensorIteratorBaseERKN3c106ScalarEENKUlvE_clEvENKUlvE2_clEvEUllE_St5arrayIPcLm2EEEEviT0_T1_.num_named_barrier, 0
	.set _ZN2at6native29vectorized_elementwise_kernelILi16EZZZNS0_21clamp_min_kernel_cudaERNS_18TensorIteratorBaseERKN3c106ScalarEENKUlvE_clEvENKUlvE2_clEvEUllE_St5arrayIPcLm2EEEEviT0_T1_.private_seg_size, 0
	.set _ZN2at6native29vectorized_elementwise_kernelILi16EZZZNS0_21clamp_min_kernel_cudaERNS_18TensorIteratorBaseERKN3c106ScalarEENKUlvE_clEvENKUlvE2_clEvEUllE_St5arrayIPcLm2EEEEviT0_T1_.uses_vcc, 1
	.set _ZN2at6native29vectorized_elementwise_kernelILi16EZZZNS0_21clamp_min_kernel_cudaERNS_18TensorIteratorBaseERKN3c106ScalarEENKUlvE_clEvENKUlvE2_clEvEUllE_St5arrayIPcLm2EEEEviT0_T1_.uses_flat_scratch, 0
	.set _ZN2at6native29vectorized_elementwise_kernelILi16EZZZNS0_21clamp_min_kernel_cudaERNS_18TensorIteratorBaseERKN3c106ScalarEENKUlvE_clEvENKUlvE2_clEvEUllE_St5arrayIPcLm2EEEEviT0_T1_.has_dyn_sized_stack, 0
	.set _ZN2at6native29vectorized_elementwise_kernelILi16EZZZNS0_21clamp_min_kernel_cudaERNS_18TensorIteratorBaseERKN3c106ScalarEENKUlvE_clEvENKUlvE2_clEvEUllE_St5arrayIPcLm2EEEEviT0_T1_.has_recursion, 0
	.set _ZN2at6native29vectorized_elementwise_kernelILi16EZZZNS0_21clamp_min_kernel_cudaERNS_18TensorIteratorBaseERKN3c106ScalarEENKUlvE_clEvENKUlvE2_clEvEUllE_St5arrayIPcLm2EEEEviT0_T1_.has_indirect_call, 0
	.section	.AMDGPU.csdata,"",@progbits
; Kernel info:
; codeLenInByte = 904
; TotalNumSgprs: 24
; NumVgprs: 17
; NumAgprs: 0
; TotalNumVgprs: 17
; ScratchSize: 0
; MemoryBound: 0
; FloatMode: 240
; IeeeMode: 1
; LDSByteSize: 0 bytes/workgroup (compile time only)
; SGPRBlocks: 2
; VGPRBlocks: 2
; NumSGPRsForWavesPerEU: 24
; NumVGPRsForWavesPerEU: 17
; AccumOffset: 20
; Occupancy: 8
; WaveLimiterHint : 0
; COMPUTE_PGM_RSRC2:SCRATCH_EN: 0
; COMPUTE_PGM_RSRC2:USER_SGPR: 2
; COMPUTE_PGM_RSRC2:TRAP_HANDLER: 0
; COMPUTE_PGM_RSRC2:TGID_X_EN: 1
; COMPUTE_PGM_RSRC2:TGID_Y_EN: 0
; COMPUTE_PGM_RSRC2:TGID_Z_EN: 0
; COMPUTE_PGM_RSRC2:TIDIG_COMP_CNT: 0
; COMPUTE_PGM_RSRC3_GFX90A:ACCUM_OFFSET: 4
; COMPUTE_PGM_RSRC3_GFX90A:TG_SPLIT: 0
	.section	.text._ZN2at6native29vectorized_elementwise_kernelILi8EZZZNS0_21clamp_min_kernel_cudaERNS_18TensorIteratorBaseERKN3c106ScalarEENKUlvE_clEvENKUlvE2_clEvEUllE_St5arrayIPcLm2EEEEviT0_T1_,"axG",@progbits,_ZN2at6native29vectorized_elementwise_kernelILi8EZZZNS0_21clamp_min_kernel_cudaERNS_18TensorIteratorBaseERKN3c106ScalarEENKUlvE_clEvENKUlvE2_clEvEUllE_St5arrayIPcLm2EEEEviT0_T1_,comdat
	.globl	_ZN2at6native29vectorized_elementwise_kernelILi8EZZZNS0_21clamp_min_kernel_cudaERNS_18TensorIteratorBaseERKN3c106ScalarEENKUlvE_clEvENKUlvE2_clEvEUllE_St5arrayIPcLm2EEEEviT0_T1_ ; -- Begin function _ZN2at6native29vectorized_elementwise_kernelILi8EZZZNS0_21clamp_min_kernel_cudaERNS_18TensorIteratorBaseERKN3c106ScalarEENKUlvE_clEvENKUlvE2_clEvEUllE_St5arrayIPcLm2EEEEviT0_T1_
	.p2align	8
	.type	_ZN2at6native29vectorized_elementwise_kernelILi8EZZZNS0_21clamp_min_kernel_cudaERNS_18TensorIteratorBaseERKN3c106ScalarEENKUlvE_clEvENKUlvE2_clEvEUllE_St5arrayIPcLm2EEEEviT0_T1_,@function
_ZN2at6native29vectorized_elementwise_kernelILi8EZZZNS0_21clamp_min_kernel_cudaERNS_18TensorIteratorBaseERKN3c106ScalarEENKUlvE_clEvENKUlvE2_clEvEUllE_St5arrayIPcLm2EEEEviT0_T1_: ; @_ZN2at6native29vectorized_elementwise_kernelILi8EZZZNS0_21clamp_min_kernel_cudaERNS_18TensorIteratorBaseERKN3c106ScalarEENKUlvE_clEvENKUlvE2_clEvEUllE_St5arrayIPcLm2EEEEviT0_T1_
; %bb.0:
	s_load_dword s3, s[0:1], 0x0
	s_load_dwordx4 s[8:11], s[0:1], 0x8
	s_load_dwordx2 s[12:13], s[0:1], 0x18
	s_lshl_b32 s6, s2, 10
	s_mov_b64 s[0:1], -1
	s_waitcnt lgkmcnt(0)
	s_sub_i32 s14, s3, s6
	s_cmpk_gt_i32 s14, 0x3ff
	s_cbranch_scc0 .LBB371_2
; %bb.1:
	s_ashr_i32 s7, s6, 31
	s_lshl_b64 s[0:1], s[6:7], 3
	s_add_u32 s2, s12, s0
	s_addc_u32 s3, s13, s1
	v_lshlrev_b32_e32 v1, 5, v0
	global_load_dwordx4 v[2:5], v1, s[2:3]
	global_load_dwordx4 v[6:9], v1, s[2:3] offset:16
	s_add_u32 s16, s10, s0
	v_mov_b32_e32 v10, s9
	v_mov_b32_e32 v11, s8
	s_addc_u32 s17, s11, s1
	s_waitcnt vmcnt(1)
	v_cmp_lt_i64_e32 vcc, s[8:9], v[2:3]
	v_cmp_lt_i64_e64 s[0:1], s[8:9], v[4:5]
	s_nop 0
	v_cndmask_b32_e32 v3, v10, v3, vcc
	s_waitcnt vmcnt(0)
	v_cmp_lt_i64_e64 s[2:3], s[8:9], v[6:7]
	v_cndmask_b32_e64 v5, v10, v5, s[0:1]
	v_cmp_lt_i64_e64 s[4:5], s[8:9], v[8:9]
	v_cndmask_b32_e32 v2, v11, v2, vcc
	v_cndmask_b32_e64 v4, v11, v4, s[0:1]
	v_cndmask_b32_e64 v7, v10, v7, s[2:3]
	;; [unrolled: 1-line block ×5, first 2 shown]
	global_store_dwordx4 v1, v[2:5], s[16:17]
	global_store_dwordx4 v1, v[6:9], s[16:17] offset:16
	s_mov_b64 s[0:1], 0
.LBB371_2:
	s_andn2_b64 vcc, exec, s[0:1]
	s_cbranch_vccnz .LBB371_16
; %bb.3:
	v_cmp_gt_i32_e32 vcc, s14, v0
	v_mov_b64_e32 v[4:5], 0
	v_or_b32_e32 v2, s6, v0
	v_mov_b64_e32 v[6:7], 0
	v_mov_b32_e32 v1, v0
	s_and_saveexec_b64 s[0:1], vcc
	s_cbranch_execz .LBB371_5
; %bb.4:
	v_mov_b32_e32 v3, 0
	v_lshl_add_u64 v[6:7], v[2:3], 3, s[12:13]
	global_load_dwordx2 v[6:7], v[6:7], off
	v_or_b32_e32 v1, 0x100, v0
.LBB371_5:
	s_or_b64 exec, exec, s[0:1]
	v_cmp_gt_i32_e64 s[0:1], s14, v1
	s_and_saveexec_b64 s[2:3], s[0:1]
	s_cbranch_execz .LBB371_7
; %bb.6:
	v_add_u32_e32 v4, s6, v1
	v_mov_b32_e32 v5, 0
	v_lshl_add_u64 v[4:5], v[4:5], 3, s[12:13]
	global_load_dwordx2 v[4:5], v[4:5], off
	v_add_u32_e32 v1, 0x100, v1
.LBB371_7:
	s_or_b64 exec, exec, s[2:3]
	v_cmp_gt_i32_e64 s[0:1], s14, v1
	v_mov_b64_e32 v[8:9], 0
	v_mov_b64_e32 v[10:11], 0
	s_and_saveexec_b64 s[2:3], s[0:1]
	s_cbranch_execz .LBB371_9
; %bb.8:
	v_add_u32_e32 v10, s6, v1
	v_mov_b32_e32 v11, 0
	v_lshl_add_u64 v[10:11], v[10:11], 3, s[12:13]
	global_load_dwordx2 v[10:11], v[10:11], off
	v_add_u32_e32 v1, 0x100, v1
.LBB371_9:
	s_or_b64 exec, exec, s[2:3]
	v_cmp_gt_i32_e64 s[0:1], s14, v1
	s_and_saveexec_b64 s[2:3], s[0:1]
	s_cbranch_execz .LBB371_11
; %bb.10:
	v_add_u32_e32 v8, s6, v1
	v_mov_b32_e32 v9, 0
	v_lshl_add_u64 v[8:9], v[8:9], 3, s[12:13]
	global_load_dwordx2 v[8:9], v[8:9], off
.LBB371_11:
	s_or_b64 exec, exec, s[2:3]
	v_mov_b32_e32 v3, s8
	s_waitcnt vmcnt(0)
	v_cmp_lt_i64_e64 s[0:1], s[8:9], v[6:7]
	v_mov_b32_e32 v16, s9
	s_nop 0
	v_cndmask_b32_e64 v1, v3, v6, s[0:1]
	v_cndmask_b32_e64 v6, v16, v7, s[0:1]
	v_cndmask_b32_e32 v14, 0, v1, vcc
	v_or_b32_e32 v1, 0x100, v0
	v_cmp_lt_i64_e64 s[0:1], s[8:9], v[4:5]
	v_cndmask_b32_e32 v15, 0, v6, vcc
	s_nop 0
	v_cndmask_b32_e64 v4, v3, v4, s[0:1]
	v_cndmask_b32_e64 v5, v16, v5, s[0:1]
	v_cmp_gt_i32_e64 s[0:1], s14, v1
	s_nop 1
	v_cndmask_b32_e64 v13, 0, v5, s[0:1]
	v_cndmask_b32_e64 v12, 0, v4, s[0:1]
	v_or_b32_e32 v4, 0x200, v0
	v_cmp_lt_i64_e64 s[0:1], s[8:9], v[10:11]
	s_nop 1
	v_cndmask_b32_e64 v5, v3, v10, s[0:1]
	v_cndmask_b32_e64 v6, v16, v11, s[0:1]
	v_cmp_gt_i32_e64 s[0:1], s14, v4
	v_or_b32_e32 v4, 0x300, v0
	s_nop 0
	v_cndmask_b32_e64 v7, 0, v6, s[0:1]
	v_cndmask_b32_e64 v6, 0, v5, s[0:1]
	v_cmp_lt_i64_e64 s[0:1], s[8:9], v[8:9]
	s_nop 1
	v_cndmask_b32_e64 v3, v3, v8, s[0:1]
	v_cndmask_b32_e64 v5, v16, v9, s[0:1]
	v_cmp_gt_i32_e64 s[0:1], s14, v4
	s_nop 1
	v_cndmask_b32_e64 v5, 0, v5, s[0:1]
	v_cndmask_b32_e64 v4, 0, v3, s[0:1]
	s_and_saveexec_b64 s[0:1], vcc
	s_cbranch_execnz .LBB371_17
; %bb.12:
	s_or_b64 exec, exec, s[0:1]
	v_cmp_gt_i32_e32 vcc, s14, v0
	s_and_saveexec_b64 s[0:1], vcc
	s_cbranch_execnz .LBB371_18
.LBB371_13:
	s_or_b64 exec, exec, s[0:1]
	v_cmp_gt_i32_e32 vcc, s14, v0
	s_and_saveexec_b64 s[0:1], vcc
	s_cbranch_execnz .LBB371_19
.LBB371_14:
	s_or_b64 exec, exec, s[0:1]
	v_cmp_gt_i32_e32 vcc, s14, v0
	s_and_saveexec_b64 s[0:1], vcc
	s_cbranch_execz .LBB371_16
.LBB371_15:
	v_add_u32_e32 v0, s6, v0
	v_mov_b32_e32 v1, 0
	v_lshl_add_u64 v[0:1], v[0:1], 3, s[10:11]
	global_store_dwordx2 v[0:1], v[4:5], off
.LBB371_16:
	s_endpgm
.LBB371_17:
	v_mov_b32_e32 v3, 0
	v_lshl_add_u64 v[2:3], v[2:3], 3, s[10:11]
	v_mov_b32_e32 v0, v1
	global_store_dwordx2 v[2:3], v[14:15], off
	s_or_b64 exec, exec, s[0:1]
	v_cmp_gt_i32_e32 vcc, s14, v0
	s_and_saveexec_b64 s[0:1], vcc
	s_cbranch_execz .LBB371_13
.LBB371_18:
	v_add_u32_e32 v2, s6, v0
	v_mov_b32_e32 v3, 0
	v_lshl_add_u64 v[2:3], v[2:3], 3, s[10:11]
	v_add_u32_e32 v0, 0x100, v0
	global_store_dwordx2 v[2:3], v[12:13], off
	s_or_b64 exec, exec, s[0:1]
	v_cmp_gt_i32_e32 vcc, s14, v0
	s_and_saveexec_b64 s[0:1], vcc
	s_cbranch_execz .LBB371_14
.LBB371_19:
	v_add_u32_e32 v2, s6, v0
	v_mov_b32_e32 v3, 0
	v_lshl_add_u64 v[2:3], v[2:3], 3, s[10:11]
	v_add_u32_e32 v0, 0x100, v0
	global_store_dwordx2 v[2:3], v[6:7], off
	s_or_b64 exec, exec, s[0:1]
	v_cmp_gt_i32_e32 vcc, s14, v0
	s_and_saveexec_b64 s[0:1], vcc
	s_cbranch_execnz .LBB371_15
	s_branch .LBB371_16
	.section	.rodata,"a",@progbits
	.p2align	6, 0x0
	.amdhsa_kernel _ZN2at6native29vectorized_elementwise_kernelILi8EZZZNS0_21clamp_min_kernel_cudaERNS_18TensorIteratorBaseERKN3c106ScalarEENKUlvE_clEvENKUlvE2_clEvEUllE_St5arrayIPcLm2EEEEviT0_T1_
		.amdhsa_group_segment_fixed_size 0
		.amdhsa_private_segment_fixed_size 0
		.amdhsa_kernarg_size 32
		.amdhsa_user_sgpr_count 2
		.amdhsa_user_sgpr_dispatch_ptr 0
		.amdhsa_user_sgpr_queue_ptr 0
		.amdhsa_user_sgpr_kernarg_segment_ptr 1
		.amdhsa_user_sgpr_dispatch_id 0
		.amdhsa_user_sgpr_kernarg_preload_length 0
		.amdhsa_user_sgpr_kernarg_preload_offset 0
		.amdhsa_user_sgpr_private_segment_size 0
		.amdhsa_uses_dynamic_stack 0
		.amdhsa_enable_private_segment 0
		.amdhsa_system_sgpr_workgroup_id_x 1
		.amdhsa_system_sgpr_workgroup_id_y 0
		.amdhsa_system_sgpr_workgroup_id_z 0
		.amdhsa_system_sgpr_workgroup_info 0
		.amdhsa_system_vgpr_workitem_id 0
		.amdhsa_next_free_vgpr 17
		.amdhsa_next_free_sgpr 18
		.amdhsa_accum_offset 20
		.amdhsa_reserve_vcc 1
		.amdhsa_float_round_mode_32 0
		.amdhsa_float_round_mode_16_64 0
		.amdhsa_float_denorm_mode_32 3
		.amdhsa_float_denorm_mode_16_64 3
		.amdhsa_dx10_clamp 1
		.amdhsa_ieee_mode 1
		.amdhsa_fp16_overflow 0
		.amdhsa_tg_split 0
		.amdhsa_exception_fp_ieee_invalid_op 0
		.amdhsa_exception_fp_denorm_src 0
		.amdhsa_exception_fp_ieee_div_zero 0
		.amdhsa_exception_fp_ieee_overflow 0
		.amdhsa_exception_fp_ieee_underflow 0
		.amdhsa_exception_fp_ieee_inexact 0
		.amdhsa_exception_int_div_zero 0
	.end_amdhsa_kernel
	.section	.text._ZN2at6native29vectorized_elementwise_kernelILi8EZZZNS0_21clamp_min_kernel_cudaERNS_18TensorIteratorBaseERKN3c106ScalarEENKUlvE_clEvENKUlvE2_clEvEUllE_St5arrayIPcLm2EEEEviT0_T1_,"axG",@progbits,_ZN2at6native29vectorized_elementwise_kernelILi8EZZZNS0_21clamp_min_kernel_cudaERNS_18TensorIteratorBaseERKN3c106ScalarEENKUlvE_clEvENKUlvE2_clEvEUllE_St5arrayIPcLm2EEEEviT0_T1_,comdat
.Lfunc_end371:
	.size	_ZN2at6native29vectorized_elementwise_kernelILi8EZZZNS0_21clamp_min_kernel_cudaERNS_18TensorIteratorBaseERKN3c106ScalarEENKUlvE_clEvENKUlvE2_clEvEUllE_St5arrayIPcLm2EEEEviT0_T1_, .Lfunc_end371-_ZN2at6native29vectorized_elementwise_kernelILi8EZZZNS0_21clamp_min_kernel_cudaERNS_18TensorIteratorBaseERKN3c106ScalarEENKUlvE_clEvENKUlvE2_clEvEUllE_St5arrayIPcLm2EEEEviT0_T1_
                                        ; -- End function
	.set _ZN2at6native29vectorized_elementwise_kernelILi8EZZZNS0_21clamp_min_kernel_cudaERNS_18TensorIteratorBaseERKN3c106ScalarEENKUlvE_clEvENKUlvE2_clEvEUllE_St5arrayIPcLm2EEEEviT0_T1_.num_vgpr, 17
	.set _ZN2at6native29vectorized_elementwise_kernelILi8EZZZNS0_21clamp_min_kernel_cudaERNS_18TensorIteratorBaseERKN3c106ScalarEENKUlvE_clEvENKUlvE2_clEvEUllE_St5arrayIPcLm2EEEEviT0_T1_.num_agpr, 0
	.set _ZN2at6native29vectorized_elementwise_kernelILi8EZZZNS0_21clamp_min_kernel_cudaERNS_18TensorIteratorBaseERKN3c106ScalarEENKUlvE_clEvENKUlvE2_clEvEUllE_St5arrayIPcLm2EEEEviT0_T1_.numbered_sgpr, 18
	.set _ZN2at6native29vectorized_elementwise_kernelILi8EZZZNS0_21clamp_min_kernel_cudaERNS_18TensorIteratorBaseERKN3c106ScalarEENKUlvE_clEvENKUlvE2_clEvEUllE_St5arrayIPcLm2EEEEviT0_T1_.num_named_barrier, 0
	.set _ZN2at6native29vectorized_elementwise_kernelILi8EZZZNS0_21clamp_min_kernel_cudaERNS_18TensorIteratorBaseERKN3c106ScalarEENKUlvE_clEvENKUlvE2_clEvEUllE_St5arrayIPcLm2EEEEviT0_T1_.private_seg_size, 0
	.set _ZN2at6native29vectorized_elementwise_kernelILi8EZZZNS0_21clamp_min_kernel_cudaERNS_18TensorIteratorBaseERKN3c106ScalarEENKUlvE_clEvENKUlvE2_clEvEUllE_St5arrayIPcLm2EEEEviT0_T1_.uses_vcc, 1
	.set _ZN2at6native29vectorized_elementwise_kernelILi8EZZZNS0_21clamp_min_kernel_cudaERNS_18TensorIteratorBaseERKN3c106ScalarEENKUlvE_clEvENKUlvE2_clEvEUllE_St5arrayIPcLm2EEEEviT0_T1_.uses_flat_scratch, 0
	.set _ZN2at6native29vectorized_elementwise_kernelILi8EZZZNS0_21clamp_min_kernel_cudaERNS_18TensorIteratorBaseERKN3c106ScalarEENKUlvE_clEvENKUlvE2_clEvEUllE_St5arrayIPcLm2EEEEviT0_T1_.has_dyn_sized_stack, 0
	.set _ZN2at6native29vectorized_elementwise_kernelILi8EZZZNS0_21clamp_min_kernel_cudaERNS_18TensorIteratorBaseERKN3c106ScalarEENKUlvE_clEvENKUlvE2_clEvEUllE_St5arrayIPcLm2EEEEviT0_T1_.has_recursion, 0
	.set _ZN2at6native29vectorized_elementwise_kernelILi8EZZZNS0_21clamp_min_kernel_cudaERNS_18TensorIteratorBaseERKN3c106ScalarEENKUlvE_clEvENKUlvE2_clEvEUllE_St5arrayIPcLm2EEEEviT0_T1_.has_indirect_call, 0
	.section	.AMDGPU.csdata,"",@progbits
; Kernel info:
; codeLenInByte = 904
; TotalNumSgprs: 24
; NumVgprs: 17
; NumAgprs: 0
; TotalNumVgprs: 17
; ScratchSize: 0
; MemoryBound: 0
; FloatMode: 240
; IeeeMode: 1
; LDSByteSize: 0 bytes/workgroup (compile time only)
; SGPRBlocks: 2
; VGPRBlocks: 2
; NumSGPRsForWavesPerEU: 24
; NumVGPRsForWavesPerEU: 17
; AccumOffset: 20
; Occupancy: 8
; WaveLimiterHint : 0
; COMPUTE_PGM_RSRC2:SCRATCH_EN: 0
; COMPUTE_PGM_RSRC2:USER_SGPR: 2
; COMPUTE_PGM_RSRC2:TRAP_HANDLER: 0
; COMPUTE_PGM_RSRC2:TGID_X_EN: 1
; COMPUTE_PGM_RSRC2:TGID_Y_EN: 0
; COMPUTE_PGM_RSRC2:TGID_Z_EN: 0
; COMPUTE_PGM_RSRC2:TIDIG_COMP_CNT: 0
; COMPUTE_PGM_RSRC3_GFX90A:ACCUM_OFFSET: 4
; COMPUTE_PGM_RSRC3_GFX90A:TG_SPLIT: 0
	.section	.text._ZN2at6native29vectorized_elementwise_kernelILi4EZZZNS0_21clamp_min_kernel_cudaERNS_18TensorIteratorBaseERKN3c106ScalarEENKUlvE_clEvENKUlvE2_clEvEUllE_St5arrayIPcLm2EEEEviT0_T1_,"axG",@progbits,_ZN2at6native29vectorized_elementwise_kernelILi4EZZZNS0_21clamp_min_kernel_cudaERNS_18TensorIteratorBaseERKN3c106ScalarEENKUlvE_clEvENKUlvE2_clEvEUllE_St5arrayIPcLm2EEEEviT0_T1_,comdat
	.globl	_ZN2at6native29vectorized_elementwise_kernelILi4EZZZNS0_21clamp_min_kernel_cudaERNS_18TensorIteratorBaseERKN3c106ScalarEENKUlvE_clEvENKUlvE2_clEvEUllE_St5arrayIPcLm2EEEEviT0_T1_ ; -- Begin function _ZN2at6native29vectorized_elementwise_kernelILi4EZZZNS0_21clamp_min_kernel_cudaERNS_18TensorIteratorBaseERKN3c106ScalarEENKUlvE_clEvENKUlvE2_clEvEUllE_St5arrayIPcLm2EEEEviT0_T1_
	.p2align	8
	.type	_ZN2at6native29vectorized_elementwise_kernelILi4EZZZNS0_21clamp_min_kernel_cudaERNS_18TensorIteratorBaseERKN3c106ScalarEENKUlvE_clEvENKUlvE2_clEvEUllE_St5arrayIPcLm2EEEEviT0_T1_,@function
_ZN2at6native29vectorized_elementwise_kernelILi4EZZZNS0_21clamp_min_kernel_cudaERNS_18TensorIteratorBaseERKN3c106ScalarEENKUlvE_clEvENKUlvE2_clEvEUllE_St5arrayIPcLm2EEEEviT0_T1_: ; @_ZN2at6native29vectorized_elementwise_kernelILi4EZZZNS0_21clamp_min_kernel_cudaERNS_18TensorIteratorBaseERKN3c106ScalarEENKUlvE_clEvENKUlvE2_clEvEUllE_St5arrayIPcLm2EEEEviT0_T1_
; %bb.0:
	s_load_dword s3, s[0:1], 0x0
	s_load_dwordx4 s[8:11], s[0:1], 0x8
	s_load_dwordx2 s[12:13], s[0:1], 0x18
	s_lshl_b32 s6, s2, 10
	s_mov_b64 s[0:1], -1
	s_waitcnt lgkmcnt(0)
	s_sub_i32 s14, s3, s6
	s_cmpk_gt_i32 s14, 0x3ff
	s_cbranch_scc0 .LBB372_2
; %bb.1:
	s_ashr_i32 s7, s6, 31
	s_lshl_b64 s[0:1], s[6:7], 3
	s_add_u32 s2, s12, s0
	s_addc_u32 s3, s13, s1
	v_lshlrev_b32_e32 v1, 5, v0
	global_load_dwordx4 v[2:5], v1, s[2:3]
	global_load_dwordx4 v[6:9], v1, s[2:3] offset:16
	s_add_u32 s16, s10, s0
	v_mov_b32_e32 v10, s9
	v_mov_b32_e32 v11, s8
	s_addc_u32 s17, s11, s1
	s_waitcnt vmcnt(1)
	v_cmp_lt_i64_e32 vcc, s[8:9], v[2:3]
	v_cmp_lt_i64_e64 s[0:1], s[8:9], v[4:5]
	s_nop 0
	v_cndmask_b32_e32 v3, v10, v3, vcc
	s_waitcnt vmcnt(0)
	v_cmp_lt_i64_e64 s[2:3], s[8:9], v[6:7]
	v_cndmask_b32_e64 v5, v10, v5, s[0:1]
	v_cmp_lt_i64_e64 s[4:5], s[8:9], v[8:9]
	v_cndmask_b32_e32 v2, v11, v2, vcc
	v_cndmask_b32_e64 v4, v11, v4, s[0:1]
	v_cndmask_b32_e64 v7, v10, v7, s[2:3]
	;; [unrolled: 1-line block ×5, first 2 shown]
	global_store_dwordx4 v1, v[2:5], s[16:17]
	global_store_dwordx4 v1, v[6:9], s[16:17] offset:16
	s_mov_b64 s[0:1], 0
.LBB372_2:
	s_andn2_b64 vcc, exec, s[0:1]
	s_cbranch_vccnz .LBB372_16
; %bb.3:
	v_cmp_gt_i32_e32 vcc, s14, v0
	v_mov_b64_e32 v[4:5], 0
	v_or_b32_e32 v2, s6, v0
	v_mov_b64_e32 v[6:7], 0
	v_mov_b32_e32 v1, v0
	s_and_saveexec_b64 s[0:1], vcc
	s_cbranch_execz .LBB372_5
; %bb.4:
	v_mov_b32_e32 v3, 0
	v_lshl_add_u64 v[6:7], v[2:3], 3, s[12:13]
	global_load_dwordx2 v[6:7], v[6:7], off
	v_or_b32_e32 v1, 0x100, v0
.LBB372_5:
	s_or_b64 exec, exec, s[0:1]
	v_cmp_gt_i32_e64 s[0:1], s14, v1
	s_and_saveexec_b64 s[2:3], s[0:1]
	s_cbranch_execz .LBB372_7
; %bb.6:
	v_add_u32_e32 v4, s6, v1
	v_mov_b32_e32 v5, 0
	v_lshl_add_u64 v[4:5], v[4:5], 3, s[12:13]
	global_load_dwordx2 v[4:5], v[4:5], off
	v_add_u32_e32 v1, 0x100, v1
.LBB372_7:
	s_or_b64 exec, exec, s[2:3]
	v_cmp_gt_i32_e64 s[0:1], s14, v1
	v_mov_b64_e32 v[8:9], 0
	v_mov_b64_e32 v[10:11], 0
	s_and_saveexec_b64 s[2:3], s[0:1]
	s_cbranch_execz .LBB372_9
; %bb.8:
	v_add_u32_e32 v10, s6, v1
	v_mov_b32_e32 v11, 0
	v_lshl_add_u64 v[10:11], v[10:11], 3, s[12:13]
	global_load_dwordx2 v[10:11], v[10:11], off
	v_add_u32_e32 v1, 0x100, v1
.LBB372_9:
	s_or_b64 exec, exec, s[2:3]
	v_cmp_gt_i32_e64 s[0:1], s14, v1
	s_and_saveexec_b64 s[2:3], s[0:1]
	s_cbranch_execz .LBB372_11
; %bb.10:
	v_add_u32_e32 v8, s6, v1
	v_mov_b32_e32 v9, 0
	v_lshl_add_u64 v[8:9], v[8:9], 3, s[12:13]
	global_load_dwordx2 v[8:9], v[8:9], off
.LBB372_11:
	s_or_b64 exec, exec, s[2:3]
	v_mov_b32_e32 v3, s8
	s_waitcnt vmcnt(0)
	v_cmp_lt_i64_e64 s[0:1], s[8:9], v[6:7]
	v_mov_b32_e32 v16, s9
	s_nop 0
	v_cndmask_b32_e64 v1, v3, v6, s[0:1]
	v_cndmask_b32_e64 v6, v16, v7, s[0:1]
	v_cndmask_b32_e32 v14, 0, v1, vcc
	v_or_b32_e32 v1, 0x100, v0
	v_cmp_lt_i64_e64 s[0:1], s[8:9], v[4:5]
	v_cndmask_b32_e32 v15, 0, v6, vcc
	s_nop 0
	v_cndmask_b32_e64 v4, v3, v4, s[0:1]
	v_cndmask_b32_e64 v5, v16, v5, s[0:1]
	v_cmp_gt_i32_e64 s[0:1], s14, v1
	s_nop 1
	v_cndmask_b32_e64 v13, 0, v5, s[0:1]
	v_cndmask_b32_e64 v12, 0, v4, s[0:1]
	v_or_b32_e32 v4, 0x200, v0
	v_cmp_lt_i64_e64 s[0:1], s[8:9], v[10:11]
	s_nop 1
	v_cndmask_b32_e64 v5, v3, v10, s[0:1]
	v_cndmask_b32_e64 v6, v16, v11, s[0:1]
	v_cmp_gt_i32_e64 s[0:1], s14, v4
	v_or_b32_e32 v4, 0x300, v0
	s_nop 0
	v_cndmask_b32_e64 v7, 0, v6, s[0:1]
	v_cndmask_b32_e64 v6, 0, v5, s[0:1]
	v_cmp_lt_i64_e64 s[0:1], s[8:9], v[8:9]
	s_nop 1
	v_cndmask_b32_e64 v3, v3, v8, s[0:1]
	v_cndmask_b32_e64 v5, v16, v9, s[0:1]
	v_cmp_gt_i32_e64 s[0:1], s14, v4
	s_nop 1
	v_cndmask_b32_e64 v5, 0, v5, s[0:1]
	v_cndmask_b32_e64 v4, 0, v3, s[0:1]
	s_and_saveexec_b64 s[0:1], vcc
	s_cbranch_execnz .LBB372_17
; %bb.12:
	s_or_b64 exec, exec, s[0:1]
	v_cmp_gt_i32_e32 vcc, s14, v0
	s_and_saveexec_b64 s[0:1], vcc
	s_cbranch_execnz .LBB372_18
.LBB372_13:
	s_or_b64 exec, exec, s[0:1]
	v_cmp_gt_i32_e32 vcc, s14, v0
	s_and_saveexec_b64 s[0:1], vcc
	s_cbranch_execnz .LBB372_19
.LBB372_14:
	s_or_b64 exec, exec, s[0:1]
	v_cmp_gt_i32_e32 vcc, s14, v0
	s_and_saveexec_b64 s[0:1], vcc
	s_cbranch_execz .LBB372_16
.LBB372_15:
	v_add_u32_e32 v0, s6, v0
	v_mov_b32_e32 v1, 0
	v_lshl_add_u64 v[0:1], v[0:1], 3, s[10:11]
	global_store_dwordx2 v[0:1], v[4:5], off
.LBB372_16:
	s_endpgm
.LBB372_17:
	v_mov_b32_e32 v3, 0
	v_lshl_add_u64 v[2:3], v[2:3], 3, s[10:11]
	v_mov_b32_e32 v0, v1
	global_store_dwordx2 v[2:3], v[14:15], off
	s_or_b64 exec, exec, s[0:1]
	v_cmp_gt_i32_e32 vcc, s14, v0
	s_and_saveexec_b64 s[0:1], vcc
	s_cbranch_execz .LBB372_13
.LBB372_18:
	v_add_u32_e32 v2, s6, v0
	v_mov_b32_e32 v3, 0
	v_lshl_add_u64 v[2:3], v[2:3], 3, s[10:11]
	v_add_u32_e32 v0, 0x100, v0
	global_store_dwordx2 v[2:3], v[12:13], off
	s_or_b64 exec, exec, s[0:1]
	v_cmp_gt_i32_e32 vcc, s14, v0
	s_and_saveexec_b64 s[0:1], vcc
	s_cbranch_execz .LBB372_14
.LBB372_19:
	v_add_u32_e32 v2, s6, v0
	v_mov_b32_e32 v3, 0
	v_lshl_add_u64 v[2:3], v[2:3], 3, s[10:11]
	v_add_u32_e32 v0, 0x100, v0
	global_store_dwordx2 v[2:3], v[6:7], off
	s_or_b64 exec, exec, s[0:1]
	v_cmp_gt_i32_e32 vcc, s14, v0
	s_and_saveexec_b64 s[0:1], vcc
	s_cbranch_execnz .LBB372_15
	s_branch .LBB372_16
	.section	.rodata,"a",@progbits
	.p2align	6, 0x0
	.amdhsa_kernel _ZN2at6native29vectorized_elementwise_kernelILi4EZZZNS0_21clamp_min_kernel_cudaERNS_18TensorIteratorBaseERKN3c106ScalarEENKUlvE_clEvENKUlvE2_clEvEUllE_St5arrayIPcLm2EEEEviT0_T1_
		.amdhsa_group_segment_fixed_size 0
		.amdhsa_private_segment_fixed_size 0
		.amdhsa_kernarg_size 32
		.amdhsa_user_sgpr_count 2
		.amdhsa_user_sgpr_dispatch_ptr 0
		.amdhsa_user_sgpr_queue_ptr 0
		.amdhsa_user_sgpr_kernarg_segment_ptr 1
		.amdhsa_user_sgpr_dispatch_id 0
		.amdhsa_user_sgpr_kernarg_preload_length 0
		.amdhsa_user_sgpr_kernarg_preload_offset 0
		.amdhsa_user_sgpr_private_segment_size 0
		.amdhsa_uses_dynamic_stack 0
		.amdhsa_enable_private_segment 0
		.amdhsa_system_sgpr_workgroup_id_x 1
		.amdhsa_system_sgpr_workgroup_id_y 0
		.amdhsa_system_sgpr_workgroup_id_z 0
		.amdhsa_system_sgpr_workgroup_info 0
		.amdhsa_system_vgpr_workitem_id 0
		.amdhsa_next_free_vgpr 17
		.amdhsa_next_free_sgpr 18
		.amdhsa_accum_offset 20
		.amdhsa_reserve_vcc 1
		.amdhsa_float_round_mode_32 0
		.amdhsa_float_round_mode_16_64 0
		.amdhsa_float_denorm_mode_32 3
		.amdhsa_float_denorm_mode_16_64 3
		.amdhsa_dx10_clamp 1
		.amdhsa_ieee_mode 1
		.amdhsa_fp16_overflow 0
		.amdhsa_tg_split 0
		.amdhsa_exception_fp_ieee_invalid_op 0
		.amdhsa_exception_fp_denorm_src 0
		.amdhsa_exception_fp_ieee_div_zero 0
		.amdhsa_exception_fp_ieee_overflow 0
		.amdhsa_exception_fp_ieee_underflow 0
		.amdhsa_exception_fp_ieee_inexact 0
		.amdhsa_exception_int_div_zero 0
	.end_amdhsa_kernel
	.section	.text._ZN2at6native29vectorized_elementwise_kernelILi4EZZZNS0_21clamp_min_kernel_cudaERNS_18TensorIteratorBaseERKN3c106ScalarEENKUlvE_clEvENKUlvE2_clEvEUllE_St5arrayIPcLm2EEEEviT0_T1_,"axG",@progbits,_ZN2at6native29vectorized_elementwise_kernelILi4EZZZNS0_21clamp_min_kernel_cudaERNS_18TensorIteratorBaseERKN3c106ScalarEENKUlvE_clEvENKUlvE2_clEvEUllE_St5arrayIPcLm2EEEEviT0_T1_,comdat
.Lfunc_end372:
	.size	_ZN2at6native29vectorized_elementwise_kernelILi4EZZZNS0_21clamp_min_kernel_cudaERNS_18TensorIteratorBaseERKN3c106ScalarEENKUlvE_clEvENKUlvE2_clEvEUllE_St5arrayIPcLm2EEEEviT0_T1_, .Lfunc_end372-_ZN2at6native29vectorized_elementwise_kernelILi4EZZZNS0_21clamp_min_kernel_cudaERNS_18TensorIteratorBaseERKN3c106ScalarEENKUlvE_clEvENKUlvE2_clEvEUllE_St5arrayIPcLm2EEEEviT0_T1_
                                        ; -- End function
	.set _ZN2at6native29vectorized_elementwise_kernelILi4EZZZNS0_21clamp_min_kernel_cudaERNS_18TensorIteratorBaseERKN3c106ScalarEENKUlvE_clEvENKUlvE2_clEvEUllE_St5arrayIPcLm2EEEEviT0_T1_.num_vgpr, 17
	.set _ZN2at6native29vectorized_elementwise_kernelILi4EZZZNS0_21clamp_min_kernel_cudaERNS_18TensorIteratorBaseERKN3c106ScalarEENKUlvE_clEvENKUlvE2_clEvEUllE_St5arrayIPcLm2EEEEviT0_T1_.num_agpr, 0
	.set _ZN2at6native29vectorized_elementwise_kernelILi4EZZZNS0_21clamp_min_kernel_cudaERNS_18TensorIteratorBaseERKN3c106ScalarEENKUlvE_clEvENKUlvE2_clEvEUllE_St5arrayIPcLm2EEEEviT0_T1_.numbered_sgpr, 18
	.set _ZN2at6native29vectorized_elementwise_kernelILi4EZZZNS0_21clamp_min_kernel_cudaERNS_18TensorIteratorBaseERKN3c106ScalarEENKUlvE_clEvENKUlvE2_clEvEUllE_St5arrayIPcLm2EEEEviT0_T1_.num_named_barrier, 0
	.set _ZN2at6native29vectorized_elementwise_kernelILi4EZZZNS0_21clamp_min_kernel_cudaERNS_18TensorIteratorBaseERKN3c106ScalarEENKUlvE_clEvENKUlvE2_clEvEUllE_St5arrayIPcLm2EEEEviT0_T1_.private_seg_size, 0
	.set _ZN2at6native29vectorized_elementwise_kernelILi4EZZZNS0_21clamp_min_kernel_cudaERNS_18TensorIteratorBaseERKN3c106ScalarEENKUlvE_clEvENKUlvE2_clEvEUllE_St5arrayIPcLm2EEEEviT0_T1_.uses_vcc, 1
	.set _ZN2at6native29vectorized_elementwise_kernelILi4EZZZNS0_21clamp_min_kernel_cudaERNS_18TensorIteratorBaseERKN3c106ScalarEENKUlvE_clEvENKUlvE2_clEvEUllE_St5arrayIPcLm2EEEEviT0_T1_.uses_flat_scratch, 0
	.set _ZN2at6native29vectorized_elementwise_kernelILi4EZZZNS0_21clamp_min_kernel_cudaERNS_18TensorIteratorBaseERKN3c106ScalarEENKUlvE_clEvENKUlvE2_clEvEUllE_St5arrayIPcLm2EEEEviT0_T1_.has_dyn_sized_stack, 0
	.set _ZN2at6native29vectorized_elementwise_kernelILi4EZZZNS0_21clamp_min_kernel_cudaERNS_18TensorIteratorBaseERKN3c106ScalarEENKUlvE_clEvENKUlvE2_clEvEUllE_St5arrayIPcLm2EEEEviT0_T1_.has_recursion, 0
	.set _ZN2at6native29vectorized_elementwise_kernelILi4EZZZNS0_21clamp_min_kernel_cudaERNS_18TensorIteratorBaseERKN3c106ScalarEENKUlvE_clEvENKUlvE2_clEvEUllE_St5arrayIPcLm2EEEEviT0_T1_.has_indirect_call, 0
	.section	.AMDGPU.csdata,"",@progbits
; Kernel info:
; codeLenInByte = 904
; TotalNumSgprs: 24
; NumVgprs: 17
; NumAgprs: 0
; TotalNumVgprs: 17
; ScratchSize: 0
; MemoryBound: 0
; FloatMode: 240
; IeeeMode: 1
; LDSByteSize: 0 bytes/workgroup (compile time only)
; SGPRBlocks: 2
; VGPRBlocks: 2
; NumSGPRsForWavesPerEU: 24
; NumVGPRsForWavesPerEU: 17
; AccumOffset: 20
; Occupancy: 8
; WaveLimiterHint : 0
; COMPUTE_PGM_RSRC2:SCRATCH_EN: 0
; COMPUTE_PGM_RSRC2:USER_SGPR: 2
; COMPUTE_PGM_RSRC2:TRAP_HANDLER: 0
; COMPUTE_PGM_RSRC2:TGID_X_EN: 1
; COMPUTE_PGM_RSRC2:TGID_Y_EN: 0
; COMPUTE_PGM_RSRC2:TGID_Z_EN: 0
; COMPUTE_PGM_RSRC2:TIDIG_COMP_CNT: 0
; COMPUTE_PGM_RSRC3_GFX90A:ACCUM_OFFSET: 4
; COMPUTE_PGM_RSRC3_GFX90A:TG_SPLIT: 0
	.section	.text._ZN2at6native29vectorized_elementwise_kernelILi2EZZZNS0_21clamp_min_kernel_cudaERNS_18TensorIteratorBaseERKN3c106ScalarEENKUlvE_clEvENKUlvE2_clEvEUllE_St5arrayIPcLm2EEEEviT0_T1_,"axG",@progbits,_ZN2at6native29vectorized_elementwise_kernelILi2EZZZNS0_21clamp_min_kernel_cudaERNS_18TensorIteratorBaseERKN3c106ScalarEENKUlvE_clEvENKUlvE2_clEvEUllE_St5arrayIPcLm2EEEEviT0_T1_,comdat
	.globl	_ZN2at6native29vectorized_elementwise_kernelILi2EZZZNS0_21clamp_min_kernel_cudaERNS_18TensorIteratorBaseERKN3c106ScalarEENKUlvE_clEvENKUlvE2_clEvEUllE_St5arrayIPcLm2EEEEviT0_T1_ ; -- Begin function _ZN2at6native29vectorized_elementwise_kernelILi2EZZZNS0_21clamp_min_kernel_cudaERNS_18TensorIteratorBaseERKN3c106ScalarEENKUlvE_clEvENKUlvE2_clEvEUllE_St5arrayIPcLm2EEEEviT0_T1_
	.p2align	8
	.type	_ZN2at6native29vectorized_elementwise_kernelILi2EZZZNS0_21clamp_min_kernel_cudaERNS_18TensorIteratorBaseERKN3c106ScalarEENKUlvE_clEvENKUlvE2_clEvEUllE_St5arrayIPcLm2EEEEviT0_T1_,@function
_ZN2at6native29vectorized_elementwise_kernelILi2EZZZNS0_21clamp_min_kernel_cudaERNS_18TensorIteratorBaseERKN3c106ScalarEENKUlvE_clEvENKUlvE2_clEvEUllE_St5arrayIPcLm2EEEEviT0_T1_: ; @_ZN2at6native29vectorized_elementwise_kernelILi2EZZZNS0_21clamp_min_kernel_cudaERNS_18TensorIteratorBaseERKN3c106ScalarEENKUlvE_clEvENKUlvE2_clEvEUllE_St5arrayIPcLm2EEEEviT0_T1_
; %bb.0:
	s_load_dword s3, s[0:1], 0x0
	s_load_dwordx4 s[4:7], s[0:1], 0x8
	s_load_dwordx2 s[8:9], s[0:1], 0x18
	s_lshl_b32 s2, s2, 10
	s_mov_b64 s[0:1], -1
	s_waitcnt lgkmcnt(0)
	s_sub_i32 s12, s3, s2
	s_cmpk_gt_i32 s12, 0x3ff
	s_cbranch_scc0 .LBB373_2
; %bb.1:
	s_ashr_i32 s3, s2, 31
	s_lshl_b64 s[0:1], s[2:3], 3
	s_add_u32 s10, s8, s0
	s_addc_u32 s11, s9, s1
	v_lshlrev_b32_e32 v10, 4, v0
	v_mov_b32_e32 v11, 0
	v_lshl_add_u64 v[6:7], s[10:11], 0, v[10:11]
	v_add_co_u32_e32 v6, vcc, 0x1000, v6
	global_load_dwordx4 v[2:5], v10, s[10:11]
	s_nop 0
	v_addc_co_u32_e32 v7, vcc, 0, v7, vcc
	global_load_dwordx4 v[6:9], v[6:7], off
	s_add_u32 s10, s6, s0
	s_addc_u32 s11, s7, s1
	v_lshl_add_u64 v[12:13], s[10:11], 0, v[10:11]
	v_add_co_u32_e32 v12, vcc, 0x1000, v12
	v_mov_b32_e32 v1, s5
	s_nop 0
	v_addc_co_u32_e32 v13, vcc, 0, v13, vcc
	v_mov_b32_e32 v14, s4
	s_waitcnt vmcnt(1)
	v_cmp_lt_i64_e32 vcc, s[4:5], v[2:3]
	v_cmp_lt_i64_e64 s[0:1], s[4:5], v[4:5]
	s_nop 0
	v_cndmask_b32_e32 v3, v1, v3, vcc
	v_cndmask_b32_e32 v2, v14, v2, vcc
	v_cndmask_b32_e64 v5, v1, v5, s[0:1]
	v_cndmask_b32_e64 v4, v14, v4, s[0:1]
	s_waitcnt vmcnt(0)
	v_cmp_lt_i64_e32 vcc, s[4:5], v[6:7]
	v_cmp_lt_i64_e64 s[0:1], s[4:5], v[8:9]
	global_store_dwordx4 v10, v[2:5], s[10:11]
	s_nop 1
	v_cndmask_b32_e32 v3, v1, v7, vcc
	v_cndmask_b32_e64 v5, v1, v9, s[0:1]
	v_cndmask_b32_e32 v2, v14, v6, vcc
	v_cndmask_b32_e64 v4, v14, v8, s[0:1]
	global_store_dwordx4 v[12:13], v[2:5], off
	s_mov_b64 s[0:1], 0
.LBB373_2:
	s_andn2_b64 vcc, exec, s[0:1]
	s_cbranch_vccnz .LBB373_16
; %bb.3:
	v_cmp_gt_i32_e32 vcc, s12, v0
	v_mov_b64_e32 v[4:5], 0
	v_or_b32_e32 v2, s2, v0
	v_mov_b64_e32 v[6:7], 0
	v_mov_b32_e32 v1, v0
	s_and_saveexec_b64 s[0:1], vcc
	s_cbranch_execz .LBB373_5
; %bb.4:
	v_mov_b32_e32 v3, 0
	v_lshl_add_u64 v[6:7], v[2:3], 3, s[8:9]
	global_load_dwordx2 v[6:7], v[6:7], off
	v_or_b32_e32 v1, 0x100, v0
.LBB373_5:
	s_or_b64 exec, exec, s[0:1]
	v_cmp_gt_i32_e64 s[0:1], s12, v1
	s_and_saveexec_b64 s[10:11], s[0:1]
	s_cbranch_execz .LBB373_7
; %bb.6:
	v_add_u32_e32 v4, s2, v1
	v_mov_b32_e32 v5, 0
	v_lshl_add_u64 v[4:5], v[4:5], 3, s[8:9]
	global_load_dwordx2 v[4:5], v[4:5], off
	v_add_u32_e32 v1, 0x100, v1
.LBB373_7:
	s_or_b64 exec, exec, s[10:11]
	v_cmp_gt_i32_e64 s[0:1], s12, v1
	v_mov_b64_e32 v[8:9], 0
	v_mov_b64_e32 v[10:11], 0
	s_and_saveexec_b64 s[10:11], s[0:1]
	s_cbranch_execz .LBB373_9
; %bb.8:
	v_add_u32_e32 v10, s2, v1
	v_mov_b32_e32 v11, 0
	v_lshl_add_u64 v[10:11], v[10:11], 3, s[8:9]
	global_load_dwordx2 v[10:11], v[10:11], off
	v_add_u32_e32 v1, 0x100, v1
.LBB373_9:
	s_or_b64 exec, exec, s[10:11]
	v_cmp_gt_i32_e64 s[0:1], s12, v1
	s_and_saveexec_b64 s[10:11], s[0:1]
	s_cbranch_execz .LBB373_11
; %bb.10:
	v_add_u32_e32 v8, s2, v1
	v_mov_b32_e32 v9, 0
	v_lshl_add_u64 v[8:9], v[8:9], 3, s[8:9]
	global_load_dwordx2 v[8:9], v[8:9], off
.LBB373_11:
	s_or_b64 exec, exec, s[10:11]
	v_mov_b32_e32 v3, s4
	s_waitcnt vmcnt(0)
	v_cmp_lt_i64_e64 s[0:1], s[4:5], v[6:7]
	v_mov_b32_e32 v16, s5
	s_nop 0
	v_cndmask_b32_e64 v1, v3, v6, s[0:1]
	v_cndmask_b32_e64 v6, v16, v7, s[0:1]
	v_cndmask_b32_e32 v14, 0, v1, vcc
	v_or_b32_e32 v1, 0x100, v0
	v_cmp_lt_i64_e64 s[0:1], s[4:5], v[4:5]
	v_cndmask_b32_e32 v15, 0, v6, vcc
	s_nop 0
	v_cndmask_b32_e64 v4, v3, v4, s[0:1]
	v_cndmask_b32_e64 v5, v16, v5, s[0:1]
	v_cmp_gt_i32_e64 s[0:1], s12, v1
	s_nop 1
	v_cndmask_b32_e64 v13, 0, v5, s[0:1]
	v_cndmask_b32_e64 v12, 0, v4, s[0:1]
	v_or_b32_e32 v4, 0x200, v0
	v_cmp_lt_i64_e64 s[0:1], s[4:5], v[10:11]
	s_nop 1
	v_cndmask_b32_e64 v5, v3, v10, s[0:1]
	v_cndmask_b32_e64 v6, v16, v11, s[0:1]
	v_cmp_gt_i32_e64 s[0:1], s12, v4
	v_or_b32_e32 v4, 0x300, v0
	s_nop 0
	v_cndmask_b32_e64 v7, 0, v6, s[0:1]
	v_cndmask_b32_e64 v6, 0, v5, s[0:1]
	v_cmp_lt_i64_e64 s[0:1], s[4:5], v[8:9]
	s_nop 1
	v_cndmask_b32_e64 v3, v3, v8, s[0:1]
	v_cndmask_b32_e64 v5, v16, v9, s[0:1]
	v_cmp_gt_i32_e64 s[0:1], s12, v4
	s_nop 1
	v_cndmask_b32_e64 v5, 0, v5, s[0:1]
	v_cndmask_b32_e64 v4, 0, v3, s[0:1]
	s_and_saveexec_b64 s[0:1], vcc
	s_cbranch_execnz .LBB373_17
; %bb.12:
	s_or_b64 exec, exec, s[0:1]
	v_cmp_gt_i32_e32 vcc, s12, v0
	s_and_saveexec_b64 s[0:1], vcc
	s_cbranch_execnz .LBB373_18
.LBB373_13:
	s_or_b64 exec, exec, s[0:1]
	v_cmp_gt_i32_e32 vcc, s12, v0
	s_and_saveexec_b64 s[0:1], vcc
	s_cbranch_execnz .LBB373_19
.LBB373_14:
	s_or_b64 exec, exec, s[0:1]
	v_cmp_gt_i32_e32 vcc, s12, v0
	s_and_saveexec_b64 s[0:1], vcc
	s_cbranch_execz .LBB373_16
.LBB373_15:
	v_add_u32_e32 v0, s2, v0
	v_mov_b32_e32 v1, 0
	v_lshl_add_u64 v[0:1], v[0:1], 3, s[6:7]
	global_store_dwordx2 v[0:1], v[4:5], off
.LBB373_16:
	s_endpgm
.LBB373_17:
	v_mov_b32_e32 v3, 0
	v_lshl_add_u64 v[2:3], v[2:3], 3, s[6:7]
	v_mov_b32_e32 v0, v1
	global_store_dwordx2 v[2:3], v[14:15], off
	s_or_b64 exec, exec, s[0:1]
	v_cmp_gt_i32_e32 vcc, s12, v0
	s_and_saveexec_b64 s[0:1], vcc
	s_cbranch_execz .LBB373_13
.LBB373_18:
	v_add_u32_e32 v2, s2, v0
	v_mov_b32_e32 v3, 0
	v_lshl_add_u64 v[2:3], v[2:3], 3, s[6:7]
	v_add_u32_e32 v0, 0x100, v0
	global_store_dwordx2 v[2:3], v[12:13], off
	s_or_b64 exec, exec, s[0:1]
	v_cmp_gt_i32_e32 vcc, s12, v0
	s_and_saveexec_b64 s[0:1], vcc
	s_cbranch_execz .LBB373_14
.LBB373_19:
	v_add_u32_e32 v2, s2, v0
	v_mov_b32_e32 v3, 0
	v_lshl_add_u64 v[2:3], v[2:3], 3, s[6:7]
	v_add_u32_e32 v0, 0x100, v0
	global_store_dwordx2 v[2:3], v[6:7], off
	s_or_b64 exec, exec, s[0:1]
	v_cmp_gt_i32_e32 vcc, s12, v0
	s_and_saveexec_b64 s[0:1], vcc
	s_cbranch_execnz .LBB373_15
	s_branch .LBB373_16
	.section	.rodata,"a",@progbits
	.p2align	6, 0x0
	.amdhsa_kernel _ZN2at6native29vectorized_elementwise_kernelILi2EZZZNS0_21clamp_min_kernel_cudaERNS_18TensorIteratorBaseERKN3c106ScalarEENKUlvE_clEvENKUlvE2_clEvEUllE_St5arrayIPcLm2EEEEviT0_T1_
		.amdhsa_group_segment_fixed_size 0
		.amdhsa_private_segment_fixed_size 0
		.amdhsa_kernarg_size 32
		.amdhsa_user_sgpr_count 2
		.amdhsa_user_sgpr_dispatch_ptr 0
		.amdhsa_user_sgpr_queue_ptr 0
		.amdhsa_user_sgpr_kernarg_segment_ptr 1
		.amdhsa_user_sgpr_dispatch_id 0
		.amdhsa_user_sgpr_kernarg_preload_length 0
		.amdhsa_user_sgpr_kernarg_preload_offset 0
		.amdhsa_user_sgpr_private_segment_size 0
		.amdhsa_uses_dynamic_stack 0
		.amdhsa_enable_private_segment 0
		.amdhsa_system_sgpr_workgroup_id_x 1
		.amdhsa_system_sgpr_workgroup_id_y 0
		.amdhsa_system_sgpr_workgroup_id_z 0
		.amdhsa_system_sgpr_workgroup_info 0
		.amdhsa_system_vgpr_workitem_id 0
		.amdhsa_next_free_vgpr 17
		.amdhsa_next_free_sgpr 13
		.amdhsa_accum_offset 20
		.amdhsa_reserve_vcc 1
		.amdhsa_float_round_mode_32 0
		.amdhsa_float_round_mode_16_64 0
		.amdhsa_float_denorm_mode_32 3
		.amdhsa_float_denorm_mode_16_64 3
		.amdhsa_dx10_clamp 1
		.amdhsa_ieee_mode 1
		.amdhsa_fp16_overflow 0
		.amdhsa_tg_split 0
		.amdhsa_exception_fp_ieee_invalid_op 0
		.amdhsa_exception_fp_denorm_src 0
		.amdhsa_exception_fp_ieee_div_zero 0
		.amdhsa_exception_fp_ieee_overflow 0
		.amdhsa_exception_fp_ieee_underflow 0
		.amdhsa_exception_fp_ieee_inexact 0
		.amdhsa_exception_int_div_zero 0
	.end_amdhsa_kernel
	.section	.text._ZN2at6native29vectorized_elementwise_kernelILi2EZZZNS0_21clamp_min_kernel_cudaERNS_18TensorIteratorBaseERKN3c106ScalarEENKUlvE_clEvENKUlvE2_clEvEUllE_St5arrayIPcLm2EEEEviT0_T1_,"axG",@progbits,_ZN2at6native29vectorized_elementwise_kernelILi2EZZZNS0_21clamp_min_kernel_cudaERNS_18TensorIteratorBaseERKN3c106ScalarEENKUlvE_clEvENKUlvE2_clEvEUllE_St5arrayIPcLm2EEEEviT0_T1_,comdat
.Lfunc_end373:
	.size	_ZN2at6native29vectorized_elementwise_kernelILi2EZZZNS0_21clamp_min_kernel_cudaERNS_18TensorIteratorBaseERKN3c106ScalarEENKUlvE_clEvENKUlvE2_clEvEUllE_St5arrayIPcLm2EEEEviT0_T1_, .Lfunc_end373-_ZN2at6native29vectorized_elementwise_kernelILi2EZZZNS0_21clamp_min_kernel_cudaERNS_18TensorIteratorBaseERKN3c106ScalarEENKUlvE_clEvENKUlvE2_clEvEUllE_St5arrayIPcLm2EEEEviT0_T1_
                                        ; -- End function
	.set _ZN2at6native29vectorized_elementwise_kernelILi2EZZZNS0_21clamp_min_kernel_cudaERNS_18TensorIteratorBaseERKN3c106ScalarEENKUlvE_clEvENKUlvE2_clEvEUllE_St5arrayIPcLm2EEEEviT0_T1_.num_vgpr, 17
	.set _ZN2at6native29vectorized_elementwise_kernelILi2EZZZNS0_21clamp_min_kernel_cudaERNS_18TensorIteratorBaseERKN3c106ScalarEENKUlvE_clEvENKUlvE2_clEvEUllE_St5arrayIPcLm2EEEEviT0_T1_.num_agpr, 0
	.set _ZN2at6native29vectorized_elementwise_kernelILi2EZZZNS0_21clamp_min_kernel_cudaERNS_18TensorIteratorBaseERKN3c106ScalarEENKUlvE_clEvENKUlvE2_clEvEUllE_St5arrayIPcLm2EEEEviT0_T1_.numbered_sgpr, 13
	.set _ZN2at6native29vectorized_elementwise_kernelILi2EZZZNS0_21clamp_min_kernel_cudaERNS_18TensorIteratorBaseERKN3c106ScalarEENKUlvE_clEvENKUlvE2_clEvEUllE_St5arrayIPcLm2EEEEviT0_T1_.num_named_barrier, 0
	.set _ZN2at6native29vectorized_elementwise_kernelILi2EZZZNS0_21clamp_min_kernel_cudaERNS_18TensorIteratorBaseERKN3c106ScalarEENKUlvE_clEvENKUlvE2_clEvEUllE_St5arrayIPcLm2EEEEviT0_T1_.private_seg_size, 0
	.set _ZN2at6native29vectorized_elementwise_kernelILi2EZZZNS0_21clamp_min_kernel_cudaERNS_18TensorIteratorBaseERKN3c106ScalarEENKUlvE_clEvENKUlvE2_clEvEUllE_St5arrayIPcLm2EEEEviT0_T1_.uses_vcc, 1
	.set _ZN2at6native29vectorized_elementwise_kernelILi2EZZZNS0_21clamp_min_kernel_cudaERNS_18TensorIteratorBaseERKN3c106ScalarEENKUlvE_clEvENKUlvE2_clEvEUllE_St5arrayIPcLm2EEEEviT0_T1_.uses_flat_scratch, 0
	.set _ZN2at6native29vectorized_elementwise_kernelILi2EZZZNS0_21clamp_min_kernel_cudaERNS_18TensorIteratorBaseERKN3c106ScalarEENKUlvE_clEvENKUlvE2_clEvEUllE_St5arrayIPcLm2EEEEviT0_T1_.has_dyn_sized_stack, 0
	.set _ZN2at6native29vectorized_elementwise_kernelILi2EZZZNS0_21clamp_min_kernel_cudaERNS_18TensorIteratorBaseERKN3c106ScalarEENKUlvE_clEvENKUlvE2_clEvEUllE_St5arrayIPcLm2EEEEviT0_T1_.has_recursion, 0
	.set _ZN2at6native29vectorized_elementwise_kernelILi2EZZZNS0_21clamp_min_kernel_cudaERNS_18TensorIteratorBaseERKN3c106ScalarEENKUlvE_clEvENKUlvE2_clEvEUllE_St5arrayIPcLm2EEEEviT0_T1_.has_indirect_call, 0
	.section	.AMDGPU.csdata,"",@progbits
; Kernel info:
; codeLenInByte = 948
; TotalNumSgprs: 19
; NumVgprs: 17
; NumAgprs: 0
; TotalNumVgprs: 17
; ScratchSize: 0
; MemoryBound: 0
; FloatMode: 240
; IeeeMode: 1
; LDSByteSize: 0 bytes/workgroup (compile time only)
; SGPRBlocks: 2
; VGPRBlocks: 2
; NumSGPRsForWavesPerEU: 19
; NumVGPRsForWavesPerEU: 17
; AccumOffset: 20
; Occupancy: 8
; WaveLimiterHint : 1
; COMPUTE_PGM_RSRC2:SCRATCH_EN: 0
; COMPUTE_PGM_RSRC2:USER_SGPR: 2
; COMPUTE_PGM_RSRC2:TRAP_HANDLER: 0
; COMPUTE_PGM_RSRC2:TGID_X_EN: 1
; COMPUTE_PGM_RSRC2:TGID_Y_EN: 0
; COMPUTE_PGM_RSRC2:TGID_Z_EN: 0
; COMPUTE_PGM_RSRC2:TIDIG_COMP_CNT: 0
; COMPUTE_PGM_RSRC3_GFX90A:ACCUM_OFFSET: 4
; COMPUTE_PGM_RSRC3_GFX90A:TG_SPLIT: 0
	.section	.text._ZN2at6native27unrolled_elementwise_kernelIZZZNS0_21clamp_min_kernel_cudaERNS_18TensorIteratorBaseERKN3c106ScalarEENKUlvE_clEvENKUlvE2_clEvEUllE_St5arrayIPcLm2EELi4E23TrivialOffsetCalculatorILi1EjESF_NS0_6memory15LoadWithoutCastENSG_16StoreWithoutCastEEEviT_T0_T2_T3_T4_T5_,"axG",@progbits,_ZN2at6native27unrolled_elementwise_kernelIZZZNS0_21clamp_min_kernel_cudaERNS_18TensorIteratorBaseERKN3c106ScalarEENKUlvE_clEvENKUlvE2_clEvEUllE_St5arrayIPcLm2EELi4E23TrivialOffsetCalculatorILi1EjESF_NS0_6memory15LoadWithoutCastENSG_16StoreWithoutCastEEEviT_T0_T2_T3_T4_T5_,comdat
	.globl	_ZN2at6native27unrolled_elementwise_kernelIZZZNS0_21clamp_min_kernel_cudaERNS_18TensorIteratorBaseERKN3c106ScalarEENKUlvE_clEvENKUlvE2_clEvEUllE_St5arrayIPcLm2EELi4E23TrivialOffsetCalculatorILi1EjESF_NS0_6memory15LoadWithoutCastENSG_16StoreWithoutCastEEEviT_T0_T2_T3_T4_T5_ ; -- Begin function _ZN2at6native27unrolled_elementwise_kernelIZZZNS0_21clamp_min_kernel_cudaERNS_18TensorIteratorBaseERKN3c106ScalarEENKUlvE_clEvENKUlvE2_clEvEUllE_St5arrayIPcLm2EELi4E23TrivialOffsetCalculatorILi1EjESF_NS0_6memory15LoadWithoutCastENSG_16StoreWithoutCastEEEviT_T0_T2_T3_T4_T5_
	.p2align	8
	.type	_ZN2at6native27unrolled_elementwise_kernelIZZZNS0_21clamp_min_kernel_cudaERNS_18TensorIteratorBaseERKN3c106ScalarEENKUlvE_clEvENKUlvE2_clEvEUllE_St5arrayIPcLm2EELi4E23TrivialOffsetCalculatorILi1EjESF_NS0_6memory15LoadWithoutCastENSG_16StoreWithoutCastEEEviT_T0_T2_T3_T4_T5_,@function
_ZN2at6native27unrolled_elementwise_kernelIZZZNS0_21clamp_min_kernel_cudaERNS_18TensorIteratorBaseERKN3c106ScalarEENKUlvE_clEvENKUlvE2_clEvEUllE_St5arrayIPcLm2EELi4E23TrivialOffsetCalculatorILi1EjESF_NS0_6memory15LoadWithoutCastENSG_16StoreWithoutCastEEEviT_T0_T2_T3_T4_T5_: ; @_ZN2at6native27unrolled_elementwise_kernelIZZZNS0_21clamp_min_kernel_cudaERNS_18TensorIteratorBaseERKN3c106ScalarEENKUlvE_clEvENKUlvE2_clEvEUllE_St5arrayIPcLm2EELi4E23TrivialOffsetCalculatorILi1EjESF_NS0_6memory15LoadWithoutCastENSG_16StoreWithoutCastEEEviT_T0_T2_T3_T4_T5_
; %bb.0:
	s_load_dword s3, s[0:1], 0x0
	s_load_dwordx2 s[8:9], s[0:1], 0x18
	s_lshl_b32 s10, s2, 10
	v_mov_b64_e32 v[4:5], 0
	v_or_b32_e32 v2, s10, v0
	s_waitcnt lgkmcnt(0)
	s_sub_i32 s11, s3, s10
	v_cmp_gt_i32_e32 vcc, s11, v0
	v_mov_b64_e32 v[6:7], 0
	v_mov_b32_e32 v1, v0
	s_and_saveexec_b64 s[2:3], vcc
	s_cbranch_execz .LBB374_2
; %bb.1:
	v_mov_b32_e32 v3, 0
	v_lshl_add_u64 v[6:7], v[2:3], 3, s[8:9]
	global_load_dwordx2 v[6:7], v[6:7], off
	v_or_b32_e32 v1, 0x100, v0
.LBB374_2:
	s_or_b64 exec, exec, s[2:3]
	s_load_dwordx4 s[4:7], s[0:1], 0x8
	v_cmp_gt_i32_e64 s[0:1], s11, v1
	s_and_saveexec_b64 s[2:3], s[0:1]
	s_cbranch_execz .LBB374_4
; %bb.3:
	v_add_u32_e32 v4, s10, v1
	v_mov_b32_e32 v5, 0
	v_lshl_add_u64 v[4:5], v[4:5], 3, s[8:9]
	global_load_dwordx2 v[4:5], v[4:5], off
	v_add_u32_e32 v1, 0x100, v1
.LBB374_4:
	s_or_b64 exec, exec, s[2:3]
	v_cmp_gt_i32_e64 s[0:1], s11, v1
	v_mov_b64_e32 v[8:9], 0
	v_mov_b64_e32 v[10:11], 0
	s_and_saveexec_b64 s[2:3], s[0:1]
	s_cbranch_execz .LBB374_6
; %bb.5:
	v_add_u32_e32 v10, s10, v1
	v_mov_b32_e32 v11, 0
	v_lshl_add_u64 v[10:11], v[10:11], 3, s[8:9]
	global_load_dwordx2 v[10:11], v[10:11], off
	v_add_u32_e32 v1, 0x100, v1
.LBB374_6:
	s_or_b64 exec, exec, s[2:3]
	v_cmp_gt_i32_e64 s[0:1], s11, v1
	s_and_saveexec_b64 s[2:3], s[0:1]
	s_cbranch_execz .LBB374_8
; %bb.7:
	v_add_u32_e32 v8, s10, v1
	v_mov_b32_e32 v9, 0
	v_lshl_add_u64 v[8:9], v[8:9], 3, s[8:9]
	global_load_dwordx2 v[8:9], v[8:9], off
.LBB374_8:
	s_or_b64 exec, exec, s[2:3]
	s_waitcnt lgkmcnt(0)
	v_mov_b32_e32 v3, s4
	s_waitcnt vmcnt(0)
	v_cmp_lt_i64_e64 s[0:1], s[4:5], v[6:7]
	v_mov_b32_e32 v16, s5
	s_nop 0
	v_cndmask_b32_e64 v1, v3, v6, s[0:1]
	v_cndmask_b32_e64 v6, v16, v7, s[0:1]
	v_cndmask_b32_e32 v14, 0, v1, vcc
	v_or_b32_e32 v1, 0x100, v0
	v_cmp_lt_i64_e64 s[0:1], s[4:5], v[4:5]
	v_cndmask_b32_e32 v15, 0, v6, vcc
	s_nop 0
	v_cndmask_b32_e64 v4, v3, v4, s[0:1]
	v_cndmask_b32_e64 v5, v16, v5, s[0:1]
	v_cmp_gt_i32_e64 s[0:1], s11, v1
	s_nop 1
	v_cndmask_b32_e64 v13, 0, v5, s[0:1]
	v_cndmask_b32_e64 v12, 0, v4, s[0:1]
	v_or_b32_e32 v4, 0x200, v0
	v_cmp_lt_i64_e64 s[0:1], s[4:5], v[10:11]
	s_nop 1
	v_cndmask_b32_e64 v5, v3, v10, s[0:1]
	v_cndmask_b32_e64 v6, v16, v11, s[0:1]
	v_cmp_gt_i32_e64 s[0:1], s11, v4
	v_or_b32_e32 v4, 0x300, v0
	s_nop 0
	v_cndmask_b32_e64 v7, 0, v6, s[0:1]
	v_cndmask_b32_e64 v6, 0, v5, s[0:1]
	v_cmp_lt_i64_e64 s[0:1], s[4:5], v[8:9]
	s_nop 1
	v_cndmask_b32_e64 v3, v3, v8, s[0:1]
	v_cndmask_b32_e64 v5, v16, v9, s[0:1]
	v_cmp_gt_i32_e64 s[0:1], s11, v4
	s_nop 1
	v_cndmask_b32_e64 v5, 0, v5, s[0:1]
	v_cndmask_b32_e64 v4, 0, v3, s[0:1]
	s_and_saveexec_b64 s[0:1], vcc
	s_cbranch_execnz .LBB374_13
; %bb.9:
	s_or_b64 exec, exec, s[0:1]
	v_cmp_gt_i32_e32 vcc, s11, v0
	s_and_saveexec_b64 s[0:1], vcc
	s_cbranch_execnz .LBB374_14
.LBB374_10:
	s_or_b64 exec, exec, s[0:1]
	v_cmp_gt_i32_e32 vcc, s11, v0
	s_and_saveexec_b64 s[0:1], vcc
	s_cbranch_execnz .LBB374_15
.LBB374_11:
	s_or_b64 exec, exec, s[0:1]
	v_cmp_gt_i32_e32 vcc, s11, v0
	s_and_saveexec_b64 s[0:1], vcc
	s_cbranch_execnz .LBB374_16
.LBB374_12:
	s_endpgm
.LBB374_13:
	v_mov_b32_e32 v3, 0
	v_lshl_add_u64 v[2:3], v[2:3], 3, s[6:7]
	v_mov_b32_e32 v0, v1
	global_store_dwordx2 v[2:3], v[14:15], off
	s_or_b64 exec, exec, s[0:1]
	v_cmp_gt_i32_e32 vcc, s11, v0
	s_and_saveexec_b64 s[0:1], vcc
	s_cbranch_execz .LBB374_10
.LBB374_14:
	v_add_u32_e32 v2, 0x100, v0
	v_add_u32_e32 v0, s10, v0
	v_mov_b32_e32 v1, 0
	v_lshl_add_u64 v[0:1], v[0:1], 3, s[6:7]
	global_store_dwordx2 v[0:1], v[12:13], off
	v_mov_b32_e32 v0, v2
	s_or_b64 exec, exec, s[0:1]
	v_cmp_gt_i32_e32 vcc, s11, v0
	s_and_saveexec_b64 s[0:1], vcc
	s_cbranch_execz .LBB374_11
.LBB374_15:
	v_add_u32_e32 v2, 0x100, v0
	v_add_u32_e32 v0, s10, v0
	v_mov_b32_e32 v1, 0
	v_lshl_add_u64 v[0:1], v[0:1], 3, s[6:7]
	global_store_dwordx2 v[0:1], v[6:7], off
	v_mov_b32_e32 v0, v2
	s_or_b64 exec, exec, s[0:1]
	v_cmp_gt_i32_e32 vcc, s11, v0
	s_and_saveexec_b64 s[0:1], vcc
	s_cbranch_execz .LBB374_12
.LBB374_16:
	v_add_u32_e32 v0, s10, v0
	v_mov_b32_e32 v1, 0
	v_lshl_add_u64 v[0:1], v[0:1], 3, s[6:7]
	global_store_dwordx2 v[0:1], v[4:5], off
	s_endpgm
	.section	.rodata,"a",@progbits
	.p2align	6, 0x0
	.amdhsa_kernel _ZN2at6native27unrolled_elementwise_kernelIZZZNS0_21clamp_min_kernel_cudaERNS_18TensorIteratorBaseERKN3c106ScalarEENKUlvE_clEvENKUlvE2_clEvEUllE_St5arrayIPcLm2EELi4E23TrivialOffsetCalculatorILi1EjESF_NS0_6memory15LoadWithoutCastENSG_16StoreWithoutCastEEEviT_T0_T2_T3_T4_T5_
		.amdhsa_group_segment_fixed_size 0
		.amdhsa_private_segment_fixed_size 0
		.amdhsa_kernarg_size 36
		.amdhsa_user_sgpr_count 2
		.amdhsa_user_sgpr_dispatch_ptr 0
		.amdhsa_user_sgpr_queue_ptr 0
		.amdhsa_user_sgpr_kernarg_segment_ptr 1
		.amdhsa_user_sgpr_dispatch_id 0
		.amdhsa_user_sgpr_kernarg_preload_length 0
		.amdhsa_user_sgpr_kernarg_preload_offset 0
		.amdhsa_user_sgpr_private_segment_size 0
		.amdhsa_uses_dynamic_stack 0
		.amdhsa_enable_private_segment 0
		.amdhsa_system_sgpr_workgroup_id_x 1
		.amdhsa_system_sgpr_workgroup_id_y 0
		.amdhsa_system_sgpr_workgroup_id_z 0
		.amdhsa_system_sgpr_workgroup_info 0
		.amdhsa_system_vgpr_workitem_id 0
		.amdhsa_next_free_vgpr 17
		.amdhsa_next_free_sgpr 12
		.amdhsa_accum_offset 20
		.amdhsa_reserve_vcc 1
		.amdhsa_float_round_mode_32 0
		.amdhsa_float_round_mode_16_64 0
		.amdhsa_float_denorm_mode_32 3
		.amdhsa_float_denorm_mode_16_64 3
		.amdhsa_dx10_clamp 1
		.amdhsa_ieee_mode 1
		.amdhsa_fp16_overflow 0
		.amdhsa_tg_split 0
		.amdhsa_exception_fp_ieee_invalid_op 0
		.amdhsa_exception_fp_denorm_src 0
		.amdhsa_exception_fp_ieee_div_zero 0
		.amdhsa_exception_fp_ieee_overflow 0
		.amdhsa_exception_fp_ieee_underflow 0
		.amdhsa_exception_fp_ieee_inexact 0
		.amdhsa_exception_int_div_zero 0
	.end_amdhsa_kernel
	.section	.text._ZN2at6native27unrolled_elementwise_kernelIZZZNS0_21clamp_min_kernel_cudaERNS_18TensorIteratorBaseERKN3c106ScalarEENKUlvE_clEvENKUlvE2_clEvEUllE_St5arrayIPcLm2EELi4E23TrivialOffsetCalculatorILi1EjESF_NS0_6memory15LoadWithoutCastENSG_16StoreWithoutCastEEEviT_T0_T2_T3_T4_T5_,"axG",@progbits,_ZN2at6native27unrolled_elementwise_kernelIZZZNS0_21clamp_min_kernel_cudaERNS_18TensorIteratorBaseERKN3c106ScalarEENKUlvE_clEvENKUlvE2_clEvEUllE_St5arrayIPcLm2EELi4E23TrivialOffsetCalculatorILi1EjESF_NS0_6memory15LoadWithoutCastENSG_16StoreWithoutCastEEEviT_T0_T2_T3_T4_T5_,comdat
.Lfunc_end374:
	.size	_ZN2at6native27unrolled_elementwise_kernelIZZZNS0_21clamp_min_kernel_cudaERNS_18TensorIteratorBaseERKN3c106ScalarEENKUlvE_clEvENKUlvE2_clEvEUllE_St5arrayIPcLm2EELi4E23TrivialOffsetCalculatorILi1EjESF_NS0_6memory15LoadWithoutCastENSG_16StoreWithoutCastEEEviT_T0_T2_T3_T4_T5_, .Lfunc_end374-_ZN2at6native27unrolled_elementwise_kernelIZZZNS0_21clamp_min_kernel_cudaERNS_18TensorIteratorBaseERKN3c106ScalarEENKUlvE_clEvENKUlvE2_clEvEUllE_St5arrayIPcLm2EELi4E23TrivialOffsetCalculatorILi1EjESF_NS0_6memory15LoadWithoutCastENSG_16StoreWithoutCastEEEviT_T0_T2_T3_T4_T5_
                                        ; -- End function
	.set _ZN2at6native27unrolled_elementwise_kernelIZZZNS0_21clamp_min_kernel_cudaERNS_18TensorIteratorBaseERKN3c106ScalarEENKUlvE_clEvENKUlvE2_clEvEUllE_St5arrayIPcLm2EELi4E23TrivialOffsetCalculatorILi1EjESF_NS0_6memory15LoadWithoutCastENSG_16StoreWithoutCastEEEviT_T0_T2_T3_T4_T5_.num_vgpr, 17
	.set _ZN2at6native27unrolled_elementwise_kernelIZZZNS0_21clamp_min_kernel_cudaERNS_18TensorIteratorBaseERKN3c106ScalarEENKUlvE_clEvENKUlvE2_clEvEUllE_St5arrayIPcLm2EELi4E23TrivialOffsetCalculatorILi1EjESF_NS0_6memory15LoadWithoutCastENSG_16StoreWithoutCastEEEviT_T0_T2_T3_T4_T5_.num_agpr, 0
	.set _ZN2at6native27unrolled_elementwise_kernelIZZZNS0_21clamp_min_kernel_cudaERNS_18TensorIteratorBaseERKN3c106ScalarEENKUlvE_clEvENKUlvE2_clEvEUllE_St5arrayIPcLm2EELi4E23TrivialOffsetCalculatorILi1EjESF_NS0_6memory15LoadWithoutCastENSG_16StoreWithoutCastEEEviT_T0_T2_T3_T4_T5_.numbered_sgpr, 12
	.set _ZN2at6native27unrolled_elementwise_kernelIZZZNS0_21clamp_min_kernel_cudaERNS_18TensorIteratorBaseERKN3c106ScalarEENKUlvE_clEvENKUlvE2_clEvEUllE_St5arrayIPcLm2EELi4E23TrivialOffsetCalculatorILi1EjESF_NS0_6memory15LoadWithoutCastENSG_16StoreWithoutCastEEEviT_T0_T2_T3_T4_T5_.num_named_barrier, 0
	.set _ZN2at6native27unrolled_elementwise_kernelIZZZNS0_21clamp_min_kernel_cudaERNS_18TensorIteratorBaseERKN3c106ScalarEENKUlvE_clEvENKUlvE2_clEvEUllE_St5arrayIPcLm2EELi4E23TrivialOffsetCalculatorILi1EjESF_NS0_6memory15LoadWithoutCastENSG_16StoreWithoutCastEEEviT_T0_T2_T3_T4_T5_.private_seg_size, 0
	.set _ZN2at6native27unrolled_elementwise_kernelIZZZNS0_21clamp_min_kernel_cudaERNS_18TensorIteratorBaseERKN3c106ScalarEENKUlvE_clEvENKUlvE2_clEvEUllE_St5arrayIPcLm2EELi4E23TrivialOffsetCalculatorILi1EjESF_NS0_6memory15LoadWithoutCastENSG_16StoreWithoutCastEEEviT_T0_T2_T3_T4_T5_.uses_vcc, 1
	.set _ZN2at6native27unrolled_elementwise_kernelIZZZNS0_21clamp_min_kernel_cudaERNS_18TensorIteratorBaseERKN3c106ScalarEENKUlvE_clEvENKUlvE2_clEvEUllE_St5arrayIPcLm2EELi4E23TrivialOffsetCalculatorILi1EjESF_NS0_6memory15LoadWithoutCastENSG_16StoreWithoutCastEEEviT_T0_T2_T3_T4_T5_.uses_flat_scratch, 0
	.set _ZN2at6native27unrolled_elementwise_kernelIZZZNS0_21clamp_min_kernel_cudaERNS_18TensorIteratorBaseERKN3c106ScalarEENKUlvE_clEvENKUlvE2_clEvEUllE_St5arrayIPcLm2EELi4E23TrivialOffsetCalculatorILi1EjESF_NS0_6memory15LoadWithoutCastENSG_16StoreWithoutCastEEEviT_T0_T2_T3_T4_T5_.has_dyn_sized_stack, 0
	.set _ZN2at6native27unrolled_elementwise_kernelIZZZNS0_21clamp_min_kernel_cudaERNS_18TensorIteratorBaseERKN3c106ScalarEENKUlvE_clEvENKUlvE2_clEvEUllE_St5arrayIPcLm2EELi4E23TrivialOffsetCalculatorILi1EjESF_NS0_6memory15LoadWithoutCastENSG_16StoreWithoutCastEEEviT_T0_T2_T3_T4_T5_.has_recursion, 0
	.set _ZN2at6native27unrolled_elementwise_kernelIZZZNS0_21clamp_min_kernel_cudaERNS_18TensorIteratorBaseERKN3c106ScalarEENKUlvE_clEvENKUlvE2_clEvEUllE_St5arrayIPcLm2EELi4E23TrivialOffsetCalculatorILi1EjESF_NS0_6memory15LoadWithoutCastENSG_16StoreWithoutCastEEEviT_T0_T2_T3_T4_T5_.has_indirect_call, 0
	.section	.AMDGPU.csdata,"",@progbits
; Kernel info:
; codeLenInByte = 728
; TotalNumSgprs: 18
; NumVgprs: 17
; NumAgprs: 0
; TotalNumVgprs: 17
; ScratchSize: 0
; MemoryBound: 0
; FloatMode: 240
; IeeeMode: 1
; LDSByteSize: 0 bytes/workgroup (compile time only)
; SGPRBlocks: 2
; VGPRBlocks: 2
; NumSGPRsForWavesPerEU: 18
; NumVGPRsForWavesPerEU: 17
; AccumOffset: 20
; Occupancy: 8
; WaveLimiterHint : 0
; COMPUTE_PGM_RSRC2:SCRATCH_EN: 0
; COMPUTE_PGM_RSRC2:USER_SGPR: 2
; COMPUTE_PGM_RSRC2:TRAP_HANDLER: 0
; COMPUTE_PGM_RSRC2:TGID_X_EN: 1
; COMPUTE_PGM_RSRC2:TGID_Y_EN: 0
; COMPUTE_PGM_RSRC2:TGID_Z_EN: 0
; COMPUTE_PGM_RSRC2:TIDIG_COMP_CNT: 0
; COMPUTE_PGM_RSRC3_GFX90A:ACCUM_OFFSET: 4
; COMPUTE_PGM_RSRC3_GFX90A:TG_SPLIT: 0
	.section	.text._ZN2at6native32elementwise_kernel_manual_unrollILi128ELi4EZNS0_22gpu_kernel_impl_nocastIZZZNS0_21clamp_min_kernel_cudaERNS_18TensorIteratorBaseERKN3c106ScalarEENKUlvE_clEvENKUlvE2_clEvEUllE_EEvS4_RKT_EUlibE_EEviT1_,"axG",@progbits,_ZN2at6native32elementwise_kernel_manual_unrollILi128ELi4EZNS0_22gpu_kernel_impl_nocastIZZZNS0_21clamp_min_kernel_cudaERNS_18TensorIteratorBaseERKN3c106ScalarEENKUlvE_clEvENKUlvE2_clEvEUllE_EEvS4_RKT_EUlibE_EEviT1_,comdat
	.globl	_ZN2at6native32elementwise_kernel_manual_unrollILi128ELi4EZNS0_22gpu_kernel_impl_nocastIZZZNS0_21clamp_min_kernel_cudaERNS_18TensorIteratorBaseERKN3c106ScalarEENKUlvE_clEvENKUlvE2_clEvEUllE_EEvS4_RKT_EUlibE_EEviT1_ ; -- Begin function _ZN2at6native32elementwise_kernel_manual_unrollILi128ELi4EZNS0_22gpu_kernel_impl_nocastIZZZNS0_21clamp_min_kernel_cudaERNS_18TensorIteratorBaseERKN3c106ScalarEENKUlvE_clEvENKUlvE2_clEvEUllE_EEvS4_RKT_EUlibE_EEviT1_
	.p2align	8
	.type	_ZN2at6native32elementwise_kernel_manual_unrollILi128ELi4EZNS0_22gpu_kernel_impl_nocastIZZZNS0_21clamp_min_kernel_cudaERNS_18TensorIteratorBaseERKN3c106ScalarEENKUlvE_clEvENKUlvE2_clEvEUllE_EEvS4_RKT_EUlibE_EEviT1_,@function
_ZN2at6native32elementwise_kernel_manual_unrollILi128ELi4EZNS0_22gpu_kernel_impl_nocastIZZZNS0_21clamp_min_kernel_cudaERNS_18TensorIteratorBaseERKN3c106ScalarEENKUlvE_clEvENKUlvE2_clEvEUllE_EEvS4_RKT_EUlibE_EEviT1_: ; @_ZN2at6native32elementwise_kernel_manual_unrollILi128ELi4EZNS0_22gpu_kernel_impl_nocastIZZZNS0_21clamp_min_kernel_cudaERNS_18TensorIteratorBaseERKN3c106ScalarEENKUlvE_clEvENKUlvE2_clEvEUllE_EEvS4_RKT_EUlibE_EEviT1_
; %bb.0:
	s_load_dword s57, s[0:1], 0x0
	s_load_dword s33, s[0:1], 0x8
	s_add_u32 s34, s0, 8
	s_addc_u32 s35, s1, 0
	v_lshl_or_b32 v8, s2, 9, v0
	v_or_b32_e32 v16, 0x180, v8
	s_waitcnt lgkmcnt(0)
	s_add_i32 s56, s33, -1
	s_cmp_gt_u32 s56, 1
	v_cmp_le_i32_e32 vcc, s57, v16
	s_cselect_b64 s[36:37], -1, 0
	s_and_saveexec_b64 s[0:1], vcc
	s_xor_b64 s[38:39], exec, s[0:1]
	s_cbranch_execz .LBB375_8
; %bb.1:
	s_load_dwordx4 s[20:23], s[34:35], 0x4
	s_load_dwordx2 s[42:43], s[34:35], 0x14
	s_load_dwordx2 s[40:41], s[34:35], 0x158
	s_load_dwordx4 s[24:27], s[34:35], 0xc4
	s_load_dwordx4 s[16:19], s[34:35], 0x148
	s_cmp_lg_u32 s33, 0
	s_cselect_b64 s[48:49], -1, 0
	s_add_u32 s46, s34, 0xc4
	s_addc_u32 s47, s35, 0
	s_min_u32 s58, s56, 15
	s_cmp_gt_u32 s33, 1
	s_cselect_b64 s[44:45], -1, 0
	v_cmp_gt_i32_e32 vcc, s57, v8
	s_and_saveexec_b64 s[50:51], vcc
	s_cbranch_execz .LBB375_15
; %bb.2:
	s_andn2_b64 vcc, exec, s[36:37]
	s_cbranch_vccnz .LBB375_23
; %bb.3:
	s_andn2_b64 vcc, exec, s[48:49]
	s_cbranch_vccnz .LBB375_75
; %bb.4:
	s_add_i32 s60, s58, 1
	s_cmp_eq_u32 s56, 2
	s_cbranch_scc1 .LBB375_77
; %bb.5:
	s_and_b32 s59, s60, 28
	s_mov_b32 s61, 0
	v_mov_b32_e32 v0, 0
	v_mov_b32_e32 v2, 0
	s_mov_b64 s[52:53], s[34:35]
	s_mov_b64 s[54:55], s[46:47]
	v_mov_b32_e32 v4, v8
.LBB375_6:                              ; =>This Inner Loop Header: Depth=1
	s_load_dwordx8 s[8:15], s[52:53], 0x4
	s_load_dwordx4 s[28:31], s[52:53], 0x24
	s_load_dwordx8 s[0:7], s[54:55], 0x0
	s_add_u32 s52, s52, 48
	s_addc_u32 s53, s53, 0
	s_waitcnt lgkmcnt(0)
	v_mul_hi_u32 v1, s9, v4
	v_add_u32_e32 v1, v4, v1
	v_lshrrev_b32_e32 v1, s10, v1
	v_mul_lo_u32 v3, v1, s8
	v_mul_hi_u32 v5, s12, v1
	v_sub_u32_e32 v3, v4, v3
	v_add_u32_e32 v4, v1, v5
	v_lshrrev_b32_e32 v4, s13, v4
	v_mul_lo_u32 v6, v4, s11
	v_mul_hi_u32 v7, s15, v4
	v_sub_u32_e32 v1, v1, v6
	v_add_u32_e32 v6, v4, v7
	v_mul_lo_u32 v5, v3, s1
	v_mul_lo_u32 v3, v3, s0
	;; [unrolled: 1-line block ×4, first 2 shown]
	v_lshrrev_b32_e32 v6, s28, v6
	v_add3_u32 v0, v3, v0, v1
	v_mul_hi_u32 v3, s30, v6
	v_add3_u32 v1, v5, v2, v7
	v_mul_lo_u32 v2, v6, s14
	v_add_u32_e32 v3, v6, v3
	v_sub_u32_e32 v2, v4, v2
	v_lshrrev_b32_e32 v4, s31, v3
	s_add_i32 s61, s61, 4
	v_mul_lo_u32 v3, v4, s29
	s_add_u32 s54, s54, 32
	v_sub_u32_e32 v3, v6, v3
	s_addc_u32 s55, s55, 0
	v_mul_lo_u32 v5, v2, s4
	v_mul_lo_u32 v2, v2, s5
	;; [unrolled: 1-line block ×4, first 2 shown]
	s_cmp_lg_u32 s59, s61
	v_add3_u32 v2, v2, v1, v3
	v_add3_u32 v0, v5, v0, v6
	s_cbranch_scc1 .LBB375_6
; %bb.7:
	v_mov_b32_e32 v1, v2
	s_branch .LBB375_78
.LBB375_8:
	s_andn2_saveexec_b64 s[0:1], s[38:39]
	s_cbranch_execz .LBB375_104
.LBB375_9:
	v_cndmask_b32_e64 v0, 0, 1, s[36:37]
	v_cmp_ne_u32_e64 s[0:1], 1, v0
	s_andn2_b64 vcc, exec, s[36:37]
	s_cbranch_vccnz .LBB375_22
; %bb.10:
	s_cmp_lg_u32 s33, 0
	s_waitcnt lgkmcnt(0)
	s_mov_b32 s26, 0
	s_cbranch_scc0 .LBB375_25
; %bb.11:
	s_min_u32 s27, s56, 15
	s_add_i32 s27, s27, 1
	s_cmp_eq_u32 s56, 2
	s_cbranch_scc1 .LBB375_26
; %bb.12:
	s_and_b32 s26, s27, 28
	s_add_u32 s2, s34, 0xc4
	s_addc_u32 s3, s35, 0
	s_mov_b32 s28, 0
	v_mov_b32_e32 v0, 0
	v_mov_b32_e32 v2, 0
	s_mov_b64 s[24:25], s[34:35]
	v_mov_b32_e32 v4, v8
.LBB375_13:                             ; =>This Inner Loop Header: Depth=1
	s_load_dwordx8 s[12:19], s[24:25], 0x4
	s_load_dwordx4 s[20:23], s[24:25], 0x24
	s_load_dwordx8 s[4:11], s[2:3], 0x0
	s_add_u32 s24, s24, 48
	s_addc_u32 s25, s25, 0
	s_waitcnt lgkmcnt(0)
	v_mul_hi_u32 v1, s13, v4
	v_add_u32_e32 v1, v4, v1
	v_lshrrev_b32_e32 v1, s14, v1
	v_mul_lo_u32 v3, v1, s12
	v_mul_hi_u32 v5, s16, v1
	v_sub_u32_e32 v3, v4, v3
	v_add_u32_e32 v4, v1, v5
	v_lshrrev_b32_e32 v4, s17, v4
	v_mul_lo_u32 v6, v4, s15
	v_mul_hi_u32 v7, s19, v4
	v_sub_u32_e32 v1, v1, v6
	v_add_u32_e32 v6, v4, v7
	v_mul_lo_u32 v5, v3, s5
	v_mul_lo_u32 v3, v3, s4
	;; [unrolled: 1-line block ×4, first 2 shown]
	v_lshrrev_b32_e32 v6, s20, v6
	v_add3_u32 v0, v3, v0, v1
	v_mul_hi_u32 v3, s22, v6
	v_add3_u32 v1, v5, v2, v7
	v_mul_lo_u32 v2, v6, s18
	v_add_u32_e32 v3, v6, v3
	v_sub_u32_e32 v2, v4, v2
	v_lshrrev_b32_e32 v4, s23, v3
	s_add_i32 s28, s28, 4
	v_mul_lo_u32 v3, v4, s21
	s_add_u32 s2, s2, 32
	v_sub_u32_e32 v3, v6, v3
	s_addc_u32 s3, s3, 0
	v_mul_lo_u32 v5, v2, s8
	v_mul_lo_u32 v2, v2, s9
	;; [unrolled: 1-line block ×4, first 2 shown]
	s_cmp_lg_u32 s26, s28
	v_add3_u32 v2, v2, v1, v3
	v_add3_u32 v0, v5, v0, v6
	s_cbranch_scc1 .LBB375_13
; %bb.14:
	v_mov_b32_e32 v1, v2
	s_and_b32 s6, s27, 3
	s_cmp_eq_u32 s6, 0
	s_cbranch_scc0 .LBB375_27
	s_branch .LBB375_29
.LBB375_15:
	s_or_b64 exec, exec, s[50:51]
	v_cmp_gt_i32_e32 vcc, s57, v8
	s_and_saveexec_b64 s[50:51], vcc
	s_cbranch_execz .LBB375_85
.LBB375_16:
	s_andn2_b64 vcc, exec, s[36:37]
	s_cbranch_vccnz .LBB375_24
; %bb.17:
	s_andn2_b64 vcc, exec, s[48:49]
	s_cbranch_vccnz .LBB375_76
; %bb.18:
	s_add_i32 s60, s58, 1
	s_cmp_eq_u32 s56, 2
	s_cbranch_scc1 .LBB375_94
; %bb.19:
	s_and_b32 s59, s60, 28
	s_mov_b32 s61, 0
	v_mov_b32_e32 v0, 0
	v_mov_b32_e32 v2, 0
	s_mov_b64 s[52:53], s[34:35]
	s_mov_b64 s[54:55], s[46:47]
	v_mov_b32_e32 v4, v8
.LBB375_20:                             ; =>This Inner Loop Header: Depth=1
	s_load_dwordx8 s[8:15], s[52:53], 0x4
	s_load_dwordx4 s[28:31], s[52:53], 0x24
	s_load_dwordx8 s[0:7], s[54:55], 0x0
	s_add_u32 s52, s52, 48
	s_addc_u32 s53, s53, 0
	s_waitcnt lgkmcnt(0)
	v_mul_hi_u32 v1, s9, v4
	v_add_u32_e32 v1, v4, v1
	v_lshrrev_b32_e32 v1, s10, v1
	v_mul_lo_u32 v3, v1, s8
	v_mul_hi_u32 v5, s12, v1
	v_sub_u32_e32 v3, v4, v3
	v_add_u32_e32 v4, v1, v5
	v_lshrrev_b32_e32 v4, s13, v4
	v_mul_lo_u32 v6, v4, s11
	v_mul_hi_u32 v7, s15, v4
	v_sub_u32_e32 v1, v1, v6
	v_add_u32_e32 v6, v4, v7
	v_mul_lo_u32 v5, v3, s1
	v_mul_lo_u32 v3, v3, s0
	;; [unrolled: 1-line block ×4, first 2 shown]
	v_lshrrev_b32_e32 v6, s28, v6
	v_add3_u32 v0, v3, v0, v1
	v_mul_hi_u32 v3, s30, v6
	v_add3_u32 v1, v5, v2, v7
	v_mul_lo_u32 v2, v6, s14
	v_add_u32_e32 v3, v6, v3
	v_sub_u32_e32 v2, v4, v2
	v_lshrrev_b32_e32 v4, s31, v3
	s_add_i32 s61, s61, 4
	v_mul_lo_u32 v3, v4, s29
	s_add_u32 s54, s54, 32
	v_sub_u32_e32 v3, v6, v3
	s_addc_u32 s55, s55, 0
	v_mul_lo_u32 v5, v2, s4
	v_mul_lo_u32 v2, v2, s5
	;; [unrolled: 1-line block ×4, first 2 shown]
	s_cmp_eq_u32 s59, s61
	v_add3_u32 v2, v2, v1, v3
	v_add3_u32 v0, v5, v0, v6
	s_cbranch_scc0 .LBB375_20
; %bb.21:
	v_mov_b32_e32 v1, v2
	s_branch .LBB375_95
.LBB375_22:
                                        ; implicit-def: $vgpr2
                                        ; implicit-def: $vgpr0
	s_branch .LBB375_30
.LBB375_23:
                                        ; implicit-def: $vgpr2
                                        ; implicit-def: $vgpr0
	s_branch .LBB375_82
.LBB375_24:
                                        ; implicit-def: $vgpr2
                                        ; implicit-def: $vgpr0
	s_branch .LBB375_99
.LBB375_25:
	v_mov_b32_e32 v2, 0
	v_mov_b32_e32 v0, 0
	s_branch .LBB375_29
.LBB375_26:
	v_mov_b32_e32 v0, 0
                                        ; implicit-def: $vgpr2
	v_mov_b32_e32 v1, v0
	v_mov_b32_e32 v4, v8
	s_and_b32 s6, s27, 3
	s_cmp_eq_u32 s6, 0
	s_cbranch_scc1 .LBB375_29
.LBB375_27:
	s_lshl_b32 s2, s26, 3
	s_add_u32 s2, s34, s2
	s_addc_u32 s3, s35, 0
	s_add_u32 s2, s2, 0xc4
	s_addc_u32 s3, s3, 0
	s_mul_i32 s4, s26, 12
	s_add_u32 s4, s34, s4
	s_addc_u32 s5, s35, 0
.LBB375_28:                             ; =>This Inner Loop Header: Depth=1
	s_load_dwordx2 s[8:9], s[4:5], 0x4
	s_load_dword s7, s[4:5], 0xc
	s_load_dwordx2 s[10:11], s[2:3], 0x0
	v_mov_b32_e32 v2, v1
	s_add_u32 s4, s4, 12
	s_waitcnt lgkmcnt(0)
	v_mul_hi_u32 v1, s9, v4
	v_add_u32_e32 v1, v4, v1
	v_lshrrev_b32_e32 v1, s7, v1
	s_addc_u32 s5, s5, 0
	v_mul_lo_u32 v3, v1, s8
	s_add_u32 s2, s2, 8
	v_sub_u32_e32 v5, v4, v3
	s_addc_u32 s3, s3, 0
	s_add_i32 s6, s6, -1
	v_mov_b32_e32 v4, v1
	v_mad_u64_u32 v[2:3], s[8:9], v5, s11, v[2:3]
	v_mad_u64_u32 v[0:1], s[8:9], v5, s10, v[0:1]
	s_cmp_lg_u32 s6, 0
	v_mov_b32_e32 v1, v2
	s_cbranch_scc1 .LBB375_28
.LBB375_29:
	s_cbranch_execnz .LBB375_32
.LBB375_30:
	s_load_dwordx4 s[4:7], s[34:35], 0x4
	s_load_dwordx2 s[2:3], s[34:35], 0xc4
	s_cmp_lt_u32 s33, 2
	s_waitcnt lgkmcnt(0)
	v_mul_hi_u32 v0, s5, v8
	v_add_u32_e32 v0, v8, v0
	v_lshrrev_b32_e32 v1, s6, v0
	v_mul_lo_u32 v0, v1, s4
	v_sub_u32_e32 v0, v8, v0
	v_mul_lo_u32 v2, v0, s3
	v_mul_lo_u32 v0, v0, s2
	s_cbranch_scc1 .LBB375_32
; %bb.31:
	s_load_dwordx4 s[4:7], s[34:35], 0x10
	s_load_dwordx2 s[2:3], s[34:35], 0xcc
	s_waitcnt lgkmcnt(0)
	v_mul_hi_u32 v3, s5, v1
	v_add_u32_e32 v3, v1, v3
	v_lshrrev_b32_e32 v3, s6, v3
	v_mul_lo_u32 v3, v3, s4
	v_sub_u32_e32 v3, v1, v3
	v_mad_u64_u32 v[0:1], s[4:5], v3, s2, v[0:1]
	v_mad_u64_u32 v[2:3], s[2:3], v3, s3, v[2:3]
.LBB375_32:
	s_and_b64 vcc, exec, s[0:1]
	v_add_u32_e32 v3, 0x80, v8
	s_cbranch_vccnz .LBB375_38
; %bb.33:
	s_cmp_lg_u32 s33, 0
	s_waitcnt lgkmcnt(0)
	s_mov_b32 s26, 0
	s_cbranch_scc0 .LBB375_39
; %bb.34:
	s_min_u32 s27, s56, 15
	s_add_i32 s27, s27, 1
	s_cmp_eq_u32 s56, 2
	s_cbranch_scc1 .LBB375_40
; %bb.35:
	s_and_b32 s26, s27, 28
	s_add_u32 s2, s34, 0xc4
	s_addc_u32 s3, s35, 0
	s_mov_b32 s28, 0
	v_mov_b32_e32 v4, 0
	v_mov_b32_e32 v6, 0
	s_mov_b64 s[24:25], s[34:35]
	v_mov_b32_e32 v9, v3
.LBB375_36:                             ; =>This Inner Loop Header: Depth=1
	s_load_dwordx8 s[12:19], s[24:25], 0x4
	s_load_dwordx4 s[20:23], s[24:25], 0x24
	s_load_dwordx8 s[4:11], s[2:3], 0x0
	s_add_u32 s24, s24, 48
	s_addc_u32 s25, s25, 0
	s_waitcnt lgkmcnt(0)
	v_mul_hi_u32 v1, s13, v9
	v_add_u32_e32 v1, v9, v1
	v_lshrrev_b32_e32 v1, s14, v1
	v_mul_hi_u32 v7, s16, v1
	v_add_u32_e32 v7, v1, v7
	v_lshrrev_b32_e32 v7, s17, v7
	v_mul_lo_u32 v5, v1, s12
	v_mul_lo_u32 v10, v7, s15
	v_mul_hi_u32 v11, s19, v7
	v_sub_u32_e32 v5, v9, v5
	v_sub_u32_e32 v1, v1, v10
	v_add_u32_e32 v10, v7, v11
	v_mul_lo_u32 v9, v5, s5
	v_mul_lo_u32 v5, v5, s4
	;; [unrolled: 1-line block ×4, first 2 shown]
	v_lshrrev_b32_e32 v10, s20, v10
	v_add3_u32 v1, v5, v4, v1
	v_add3_u32 v4, v9, v6, v11
	v_mul_hi_u32 v6, s22, v10
	v_add_u32_e32 v6, v10, v6
	v_lshrrev_b32_e32 v9, s23, v6
	s_add_i32 s28, s28, 4
	v_mul_lo_u32 v5, v10, s18
	v_mul_lo_u32 v6, v9, s21
	s_add_u32 s2, s2, 32
	v_sub_u32_e32 v5, v7, v5
	v_sub_u32_e32 v6, v10, v6
	s_addc_u32 s3, s3, 0
	v_mul_lo_u32 v7, v5, s8
	v_mul_lo_u32 v5, v5, s9
	;; [unrolled: 1-line block ×4, first 2 shown]
	s_cmp_lg_u32 s26, s28
	v_add3_u32 v6, v5, v4, v6
	v_add3_u32 v4, v7, v1, v10
	s_cbranch_scc1 .LBB375_36
; %bb.37:
	v_mov_b32_e32 v1, v6
	s_and_b32 s6, s27, 3
	s_cmp_eq_u32 s6, 0
	s_cbranch_scc0 .LBB375_41
	s_branch .LBB375_43
.LBB375_38:
                                        ; implicit-def: $vgpr6
                                        ; implicit-def: $vgpr4
	s_branch .LBB375_44
.LBB375_39:
	v_mov_b32_e32 v6, 0
	v_mov_b32_e32 v4, 0
	s_branch .LBB375_43
.LBB375_40:
	v_mov_b32_e32 v4, 0
                                        ; implicit-def: $vgpr6
	v_mov_b32_e32 v1, v4
	v_mov_b32_e32 v9, v3
	s_and_b32 s6, s27, 3
	s_cmp_eq_u32 s6, 0
	s_cbranch_scc1 .LBB375_43
.LBB375_41:
	s_lshl_b32 s2, s26, 3
	s_add_u32 s2, s34, s2
	s_addc_u32 s3, s35, 0
	s_add_u32 s2, s2, 0xc4
	s_addc_u32 s3, s3, 0
	s_mul_i32 s4, s26, 12
	s_add_u32 s4, s34, s4
	s_addc_u32 s5, s35, 0
.LBB375_42:                             ; =>This Inner Loop Header: Depth=1
	s_load_dwordx2 s[8:9], s[4:5], 0x4
	s_load_dword s7, s[4:5], 0xc
	s_load_dwordx2 s[10:11], s[2:3], 0x0
	v_mov_b32_e32 v6, v1
	s_add_u32 s4, s4, 12
	s_waitcnt lgkmcnt(0)
	v_mul_hi_u32 v1, s9, v9
	v_add_u32_e32 v1, v9, v1
	v_lshrrev_b32_e32 v1, s7, v1
	s_addc_u32 s5, s5, 0
	v_mul_lo_u32 v5, v1, s8
	s_add_u32 s2, s2, 8
	v_sub_u32_e32 v5, v9, v5
	s_addc_u32 s3, s3, 0
	s_add_i32 s6, s6, -1
	v_mad_u64_u32 v[6:7], s[8:9], v5, s11, v[6:7]
	s_cmp_lg_u32 s6, 0
	v_mov_b32_e32 v9, v1
	v_mad_u64_u32 v[4:5], s[8:9], v5, s10, v[4:5]
	v_mov_b32_e32 v1, v6
	s_cbranch_scc1 .LBB375_42
.LBB375_43:
	s_cbranch_execnz .LBB375_46
.LBB375_44:
	s_load_dwordx4 s[4:7], s[34:35], 0x4
	s_load_dwordx2 s[2:3], s[34:35], 0xc4
	s_cmp_lt_u32 s33, 2
	s_waitcnt lgkmcnt(0)
	v_mul_hi_u32 v1, s5, v3
	v_add_u32_e32 v1, v3, v1
	v_lshrrev_b32_e32 v1, s6, v1
	v_mul_lo_u32 v4, v1, s4
	v_sub_u32_e32 v3, v3, v4
	v_mul_lo_u32 v6, v3, s3
	v_mul_lo_u32 v4, v3, s2
	s_cbranch_scc1 .LBB375_46
; %bb.45:
	s_load_dwordx4 s[4:7], s[34:35], 0x10
	s_load_dwordx2 s[2:3], s[34:35], 0xcc
	s_waitcnt lgkmcnt(0)
	v_mul_hi_u32 v3, s5, v1
	v_add_u32_e32 v3, v1, v3
	v_lshrrev_b32_e32 v3, s6, v3
	v_mul_lo_u32 v3, v3, s4
	v_sub_u32_e32 v1, v1, v3
	v_mad_u64_u32 v[4:5], s[4:5], v1, s2, v[4:5]
	v_mad_u64_u32 v[6:7], s[2:3], v1, s3, v[6:7]
.LBB375_46:
	s_and_b64 vcc, exec, s[0:1]
	v_add_u32_e32 v3, 0x100, v8
	s_cbranch_vccnz .LBB375_52
; %bb.47:
	s_cmp_lg_u32 s33, 0
	s_waitcnt lgkmcnt(0)
	s_mov_b32 s26, 0
	s_cbranch_scc0 .LBB375_53
; %bb.48:
	s_min_u32 s27, s56, 15
	s_add_i32 s27, s27, 1
	s_cmp_eq_u32 s56, 2
	s_cbranch_scc1 .LBB375_54
; %bb.49:
	s_and_b32 s26, s27, 28
	s_add_u32 s2, s34, 0xc4
	s_addc_u32 s3, s35, 0
	s_mov_b32 s28, 0
	v_mov_b32_e32 v8, 0
	v_mov_b32_e32 v10, 0
	s_mov_b64 s[24:25], s[34:35]
	v_mov_b32_e32 v5, v3
.LBB375_50:                             ; =>This Inner Loop Header: Depth=1
	s_load_dwordx8 s[12:19], s[24:25], 0x4
	s_load_dwordx4 s[20:23], s[24:25], 0x24
	s_load_dwordx8 s[4:11], s[2:3], 0x0
	s_add_u32 s24, s24, 48
	s_addc_u32 s25, s25, 0
	s_waitcnt lgkmcnt(0)
	v_mul_hi_u32 v1, s13, v5
	v_add_u32_e32 v1, v5, v1
	v_lshrrev_b32_e32 v1, s14, v1
	v_mul_lo_u32 v7, v1, s12
	v_mul_hi_u32 v9, s16, v1
	v_sub_u32_e32 v5, v5, v7
	v_add_u32_e32 v7, v1, v9
	v_lshrrev_b32_e32 v7, s17, v7
	v_mul_lo_u32 v11, v7, s15
	v_mul_hi_u32 v12, s19, v7
	v_sub_u32_e32 v1, v1, v11
	v_add_u32_e32 v11, v7, v12
	v_mul_lo_u32 v9, v5, s5
	v_mul_lo_u32 v5, v5, s4
	;; [unrolled: 1-line block ×4, first 2 shown]
	v_lshrrev_b32_e32 v11, s20, v11
	v_add3_u32 v1, v5, v8, v1
	v_add3_u32 v8, v9, v10, v12
	v_mul_lo_u32 v5, v11, s18
	v_mul_hi_u32 v9, s22, v11
	v_sub_u32_e32 v5, v7, v5
	v_add_u32_e32 v7, v11, v9
	v_mul_lo_u32 v9, v5, s8
	v_mul_lo_u32 v10, v5, s9
	v_lshrrev_b32_e32 v5, s23, v7
	s_add_i32 s28, s28, 4
	v_mul_lo_u32 v7, v5, s21
	s_add_u32 s2, s2, 32
	v_sub_u32_e32 v7, v11, v7
	s_addc_u32 s3, s3, 0
	v_mul_lo_u32 v11, v7, s10
	v_mul_lo_u32 v7, v7, s11
	s_cmp_lg_u32 s26, s28
	v_add3_u32 v10, v10, v8, v7
	v_add3_u32 v8, v9, v1, v11
	s_cbranch_scc1 .LBB375_50
; %bb.51:
	v_mov_b32_e32 v1, v10
	s_and_b32 s6, s27, 3
	s_cmp_eq_u32 s6, 0
	s_cbranch_scc0 .LBB375_55
	s_branch .LBB375_57
.LBB375_52:
                                        ; implicit-def: $vgpr10
                                        ; implicit-def: $vgpr8
	s_branch .LBB375_58
.LBB375_53:
	v_mov_b32_e32 v10, 0
	v_mov_b32_e32 v8, 0
	s_branch .LBB375_57
.LBB375_54:
	v_mov_b32_e32 v8, 0
                                        ; implicit-def: $vgpr10
	v_mov_b32_e32 v1, v8
	v_mov_b32_e32 v5, v3
	s_and_b32 s6, s27, 3
	s_cmp_eq_u32 s6, 0
	s_cbranch_scc1 .LBB375_57
.LBB375_55:
	s_lshl_b32 s2, s26, 3
	s_add_u32 s2, s34, s2
	s_addc_u32 s3, s35, 0
	s_add_u32 s2, s2, 0xc4
	s_addc_u32 s3, s3, 0
	s_mul_i32 s4, s26, 12
	s_add_u32 s4, s34, s4
	s_addc_u32 s5, s35, 0
.LBB375_56:                             ; =>This Inner Loop Header: Depth=1
	s_load_dwordx2 s[8:9], s[4:5], 0x4
	s_load_dword s7, s[4:5], 0xc
	s_load_dwordx2 s[10:11], s[2:3], 0x0
	v_mov_b32_e32 v10, v1
	s_add_u32 s4, s4, 12
	s_waitcnt lgkmcnt(0)
	v_mul_hi_u32 v1, s9, v5
	v_add_u32_e32 v1, v5, v1
	v_lshrrev_b32_e32 v1, s7, v1
	s_addc_u32 s5, s5, 0
	v_mul_lo_u32 v7, v1, s8
	s_add_u32 s2, s2, 8
	v_sub_u32_e32 v7, v5, v7
	s_addc_u32 s3, s3, 0
	s_add_i32 s6, s6, -1
	v_mad_u64_u32 v[10:11], s[8:9], v7, s11, v[10:11]
	s_cmp_lg_u32 s6, 0
	v_mov_b32_e32 v5, v1
	v_mad_u64_u32 v[8:9], s[8:9], v7, s10, v[8:9]
	v_mov_b32_e32 v1, v10
	s_cbranch_scc1 .LBB375_56
.LBB375_57:
	s_cbranch_execnz .LBB375_60
.LBB375_58:
	s_load_dwordx4 s[4:7], s[34:35], 0x4
	s_load_dwordx2 s[2:3], s[34:35], 0xc4
	s_cmp_lt_u32 s33, 2
	s_waitcnt lgkmcnt(0)
	v_mul_hi_u32 v1, s5, v3
	v_add_u32_e32 v1, v3, v1
	v_lshrrev_b32_e32 v1, s6, v1
	v_mul_lo_u32 v5, v1, s4
	v_sub_u32_e32 v3, v3, v5
	v_mul_lo_u32 v10, v3, s3
	v_mul_lo_u32 v8, v3, s2
	s_cbranch_scc1 .LBB375_60
; %bb.59:
	s_load_dwordx4 s[4:7], s[34:35], 0x10
	s_load_dwordx2 s[2:3], s[34:35], 0xcc
	s_waitcnt lgkmcnt(0)
	v_mul_hi_u32 v3, s5, v1
	v_add_u32_e32 v3, v1, v3
	v_lshrrev_b32_e32 v3, s6, v3
	v_mul_lo_u32 v3, v3, s4
	v_sub_u32_e32 v1, v1, v3
	v_mad_u64_u32 v[8:9], s[4:5], v1, s2, v[8:9]
	v_mad_u64_u32 v[10:11], s[2:3], v1, s3, v[10:11]
.LBB375_60:
	s_and_b64 vcc, exec, s[0:1]
	s_cbranch_vccnz .LBB375_66
; %bb.61:
	s_cmp_lg_u32 s33, 0
	s_waitcnt lgkmcnt(0)
	s_mov_b32 s24, 0
	s_cbranch_scc0 .LBB375_67
; %bb.62:
	s_min_u32 s25, s56, 15
	s_add_i32 s25, s25, 1
	s_cmp_eq_u32 s56, 2
	s_cbranch_scc1 .LBB375_68
; %bb.63:
	s_and_b32 s24, s25, 28
	s_add_u32 s20, s34, 0xc4
	s_addc_u32 s21, s35, 0
	s_mov_b32 s26, 0
	v_mov_b32_e32 v12, 0
	v_mov_b32_e32 v14, 0
	s_mov_b64 s[22:23], s[34:35]
	v_mov_b32_e32 v3, v16
.LBB375_64:                             ; =>This Inner Loop Header: Depth=1
	s_load_dwordx8 s[8:15], s[22:23], 0x4
	s_load_dwordx4 s[16:19], s[22:23], 0x24
	s_load_dwordx8 s[0:7], s[20:21], 0x0
	s_add_u32 s22, s22, 48
	s_addc_u32 s23, s23, 0
	s_waitcnt lgkmcnt(0)
	v_mul_hi_u32 v1, s9, v3
	v_add_u32_e32 v1, v3, v1
	v_lshrrev_b32_e32 v1, s10, v1
	v_mul_lo_u32 v5, v1, s8
	v_mul_hi_u32 v7, s12, v1
	v_sub_u32_e32 v3, v3, v5
	v_add_u32_e32 v5, v1, v7
	v_lshrrev_b32_e32 v5, s13, v5
	v_mul_lo_u32 v9, v5, s11
	v_mul_hi_u32 v11, s15, v5
	v_sub_u32_e32 v1, v1, v9
	v_add_u32_e32 v9, v5, v11
	v_mul_lo_u32 v7, v3, s1
	v_mul_lo_u32 v3, v3, s0
	;; [unrolled: 1-line block ×4, first 2 shown]
	v_lshrrev_b32_e32 v9, s16, v9
	v_add3_u32 v1, v3, v12, v1
	v_add3_u32 v7, v7, v14, v11
	v_mul_lo_u32 v3, v9, s14
	v_mul_hi_u32 v11, s18, v9
	v_sub_u32_e32 v3, v5, v3
	v_add_u32_e32 v5, v9, v11
	v_mul_lo_u32 v11, v3, s4
	v_mul_lo_u32 v12, v3, s5
	v_lshrrev_b32_e32 v3, s19, v5
	s_add_i32 s26, s26, 4
	v_mul_lo_u32 v5, v3, s17
	s_add_u32 s20, s20, 32
	v_sub_u32_e32 v5, v9, v5
	s_addc_u32 s21, s21, 0
	v_mul_lo_u32 v9, v5, s6
	v_mul_lo_u32 v5, v5, s7
	s_cmp_lg_u32 s24, s26
	v_add3_u32 v14, v12, v7, v5
	v_add3_u32 v12, v11, v1, v9
	s_cbranch_scc1 .LBB375_64
; %bb.65:
	v_mov_b32_e32 v1, v14
	s_and_b32 s4, s25, 3
	s_cmp_eq_u32 s4, 0
	s_cbranch_scc0 .LBB375_69
	s_branch .LBB375_71
.LBB375_66:
                                        ; implicit-def: $vgpr14
                                        ; implicit-def: $vgpr12
	s_branch .LBB375_72
.LBB375_67:
	v_mov_b32_e32 v14, 0
	v_mov_b32_e32 v12, 0
	s_branch .LBB375_71
.LBB375_68:
	v_mov_b32_e32 v12, 0
                                        ; implicit-def: $vgpr14
	v_mov_b32_e32 v1, v12
	v_mov_b32_e32 v3, v16
	s_and_b32 s4, s25, 3
	s_cmp_eq_u32 s4, 0
	s_cbranch_scc1 .LBB375_71
.LBB375_69:
	s_lshl_b32 s0, s24, 3
	s_add_u32 s0, s34, s0
	s_addc_u32 s1, s35, 0
	s_add_u32 s0, s0, 0xc4
	s_addc_u32 s1, s1, 0
	s_mul_i32 s2, s24, 12
	s_add_u32 s2, s34, s2
	s_addc_u32 s3, s35, 0
.LBB375_70:                             ; =>This Inner Loop Header: Depth=1
	s_load_dwordx2 s[6:7], s[2:3], 0x4
	s_load_dword s5, s[2:3], 0xc
	s_load_dwordx2 s[8:9], s[0:1], 0x0
	v_mov_b32_e32 v14, v1
	s_add_u32 s2, s2, 12
	s_waitcnt lgkmcnt(0)
	v_mul_hi_u32 v1, s7, v3
	v_add_u32_e32 v1, v3, v1
	v_lshrrev_b32_e32 v1, s5, v1
	s_addc_u32 s3, s3, 0
	v_mul_lo_u32 v5, v1, s6
	s_add_u32 s0, s0, 8
	v_sub_u32_e32 v5, v3, v5
	s_addc_u32 s1, s1, 0
	s_add_i32 s4, s4, -1
	v_mad_u64_u32 v[14:15], s[6:7], v5, s9, v[14:15]
	s_cmp_lg_u32 s4, 0
	v_mov_b32_e32 v3, v1
	v_mad_u64_u32 v[12:13], s[6:7], v5, s8, v[12:13]
	v_mov_b32_e32 v1, v14
	s_cbranch_scc1 .LBB375_70
.LBB375_71:
	s_cbranch_execnz .LBB375_74
.LBB375_72:
	s_load_dwordx4 s[0:3], s[34:35], 0x4
	s_load_dwordx2 s[4:5], s[34:35], 0xc4
	s_cmp_lt_u32 s33, 2
	s_waitcnt lgkmcnt(0)
	v_mul_hi_u32 v1, s1, v16
	v_add_u32_e32 v1, v16, v1
	v_lshrrev_b32_e32 v1, s2, v1
	v_mul_lo_u32 v3, v1, s0
	v_sub_u32_e32 v3, v16, v3
	v_mul_lo_u32 v14, v3, s5
	v_mul_lo_u32 v12, v3, s4
	s_cbranch_scc1 .LBB375_74
; %bb.73:
	s_load_dwordx4 s[0:3], s[34:35], 0x10
	s_load_dwordx2 s[4:5], s[34:35], 0xcc
	s_waitcnt lgkmcnt(0)
	v_mul_hi_u32 v3, s1, v1
	v_add_u32_e32 v3, v1, v3
	v_lshrrev_b32_e32 v3, s2, v3
	v_mul_lo_u32 v3, v3, s0
	v_sub_u32_e32 v1, v1, v3
	v_mad_u64_u32 v[12:13], s[0:1], v1, s4, v[12:13]
	v_mad_u64_u32 v[14:15], s[0:1], v1, s5, v[14:15]
.LBB375_74:
	s_load_dwordx4 s[8:11], s[34:35], 0x148
	s_load_dwordx2 s[4:5], s[34:35], 0x158
	s_waitcnt lgkmcnt(0)
	global_load_dwordx2 v[16:17], v2, s[10:11]
	global_load_dwordx2 v[18:19], v6, s[10:11]
	;; [unrolled: 1-line block ×4, first 2 shown]
	v_mov_b32_e32 v1, s5
	v_mov_b32_e32 v5, s4
	s_waitcnt vmcnt(3)
	v_cmp_lt_i64_e32 vcc, s[4:5], v[16:17]
	s_nop 1
	v_cndmask_b32_e32 v3, v1, v17, vcc
	s_waitcnt vmcnt(2)
	v_cmp_lt_i64_e64 s[0:1], s[4:5], v[18:19]
	s_waitcnt vmcnt(1)
	v_cmp_lt_i64_e64 s[2:3], s[4:5], v[20:21]
	;; [unrolled: 2-line block ×3, first 2 shown]
	v_cndmask_b32_e32 v2, v5, v16, vcc
	v_cndmask_b32_e64 v7, v1, v19, s[0:1]
	v_cndmask_b32_e64 v11, v1, v21, s[2:3]
	;; [unrolled: 1-line block ×6, first 2 shown]
	global_store_dwordx2 v0, v[2:3], s[8:9]
	global_store_dwordx2 v4, v[6:7], s[8:9]
	;; [unrolled: 1-line block ×4, first 2 shown]
	s_endpgm
.LBB375_75:
	v_mov_b32_e32 v2, 0
	v_mov_b32_e32 v0, 0
	s_branch .LBB375_81
.LBB375_76:
	v_mov_b32_e32 v2, 0
	v_mov_b32_e32 v0, 0
	s_branch .LBB375_98
.LBB375_77:
	v_mov_b32_e32 v0, 0
	s_mov_b32 s59, 0
	v_mov_b32_e32 v1, v0
                                        ; implicit-def: $vgpr2
	v_mov_b32_e32 v4, v8
.LBB375_78:
	s_and_b32 s4, s60, 3
	s_cmp_eq_u32 s4, 0
	s_cbranch_scc1 .LBB375_81
; %bb.79:
	s_lshl_b32 s0, s59, 3
	s_add_u32 s0, s34, s0
	s_addc_u32 s1, s35, 0
	s_add_u32 s0, s0, 0xc4
	s_addc_u32 s1, s1, 0
	s_mul_i32 s2, s59, 12
	s_add_u32 s2, s34, s2
	s_addc_u32 s3, s35, 0
.LBB375_80:                             ; =>This Inner Loop Header: Depth=1
	s_load_dwordx2 s[6:7], s[2:3], 0x4
	s_load_dword s5, s[2:3], 0xc
	s_load_dwordx2 s[8:9], s[0:1], 0x0
	v_mov_b32_e32 v2, v1
	s_add_u32 s2, s2, 12
	s_waitcnt lgkmcnt(0)
	v_mul_hi_u32 v1, s7, v4
	v_add_u32_e32 v1, v4, v1
	v_lshrrev_b32_e32 v1, s5, v1
	s_addc_u32 s3, s3, 0
	v_mul_lo_u32 v3, v1, s6
	s_add_u32 s0, s0, 8
	v_sub_u32_e32 v5, v4, v3
	s_addc_u32 s1, s1, 0
	s_add_i32 s4, s4, -1
	v_mov_b32_e32 v4, v1
	v_mad_u64_u32 v[2:3], s[6:7], v5, s9, v[2:3]
	v_mad_u64_u32 v[0:1], s[6:7], v5, s8, v[0:1]
	s_cmp_lg_u32 s4, 0
	v_mov_b32_e32 v1, v2
	s_cbranch_scc1 .LBB375_80
.LBB375_81:
	s_cbranch_execnz .LBB375_84
.LBB375_82:
	s_waitcnt lgkmcnt(0)
	v_mul_hi_u32 v0, s21, v8
	v_add_u32_e32 v0, v8, v0
	v_lshrrev_b32_e32 v1, s22, v0
	v_mul_lo_u32 v0, v1, s20
	v_sub_u32_e32 v0, v8, v0
	v_mul_lo_u32 v2, v0, s25
	s_andn2_b64 vcc, exec, s[44:45]
	v_mul_lo_u32 v0, v0, s24
	s_cbranch_vccnz .LBB375_84
; %bb.83:
	v_mul_hi_u32 v3, s42, v1
	v_add_u32_e32 v3, v1, v3
	v_lshrrev_b32_e32 v3, s43, v3
	v_mul_lo_u32 v3, v3, s23
	v_sub_u32_e32 v3, v1, v3
	v_mad_u64_u32 v[0:1], s[0:1], v3, s26, v[0:1]
	v_mad_u64_u32 v[2:3], s[0:1], v3, s27, v[2:3]
.LBB375_84:
	s_waitcnt lgkmcnt(0)
	global_load_dwordx2 v[2:3], v2, s[18:19]
	v_mov_b32_e32 v1, s41
	v_mov_b32_e32 v4, s40
	v_add_u32_e32 v8, 0x80, v8
	s_waitcnt vmcnt(0)
	v_cmp_lt_i64_e32 vcc, s[40:41], v[2:3]
	s_nop 1
	v_cndmask_b32_e32 v3, v1, v3, vcc
	v_cndmask_b32_e32 v2, v4, v2, vcc
	global_store_dwordx2 v0, v[2:3], s[16:17]
	s_or_b64 exec, exec, s[50:51]
	v_cmp_gt_i32_e32 vcc, s57, v8
	s_and_saveexec_b64 s[50:51], vcc
	s_cbranch_execnz .LBB375_16
.LBB375_85:
	s_or_b64 exec, exec, s[50:51]
	v_cmp_gt_i32_e32 vcc, s57, v8
	s_and_saveexec_b64 s[50:51], vcc
	s_cbranch_execz .LBB375_102
.LBB375_86:
	s_andn2_b64 vcc, exec, s[36:37]
	s_cbranch_vccnz .LBB375_92
; %bb.87:
	s_andn2_b64 vcc, exec, s[48:49]
	s_cbranch_vccnz .LBB375_93
; %bb.88:
	s_add_i32 s60, s58, 1
	s_cmp_eq_u32 s56, 2
	s_cbranch_scc1 .LBB375_105
; %bb.89:
	s_and_b32 s59, s60, 28
	s_mov_b32 s61, 0
	v_mov_b32_e32 v0, 0
	v_mov_b32_e32 v2, 0
	s_mov_b64 s[52:53], s[34:35]
	s_mov_b64 s[54:55], s[46:47]
	v_mov_b32_e32 v4, v8
.LBB375_90:                             ; =>This Inner Loop Header: Depth=1
	s_load_dwordx8 s[8:15], s[52:53], 0x4
	s_load_dwordx4 s[28:31], s[52:53], 0x24
	s_load_dwordx8 s[0:7], s[54:55], 0x0
	s_add_u32 s52, s52, 48
	s_addc_u32 s53, s53, 0
	s_waitcnt lgkmcnt(0)
	v_mul_hi_u32 v1, s9, v4
	v_add_u32_e32 v1, v4, v1
	v_lshrrev_b32_e32 v1, s10, v1
	v_mul_lo_u32 v3, v1, s8
	v_mul_hi_u32 v5, s12, v1
	v_sub_u32_e32 v3, v4, v3
	v_add_u32_e32 v4, v1, v5
	v_lshrrev_b32_e32 v4, s13, v4
	v_mul_lo_u32 v6, v4, s11
	v_mul_hi_u32 v7, s15, v4
	v_sub_u32_e32 v1, v1, v6
	v_add_u32_e32 v6, v4, v7
	v_mul_lo_u32 v5, v3, s1
	v_mul_lo_u32 v3, v3, s0
	;; [unrolled: 1-line block ×4, first 2 shown]
	v_lshrrev_b32_e32 v6, s28, v6
	v_add3_u32 v0, v3, v0, v1
	v_mul_hi_u32 v3, s30, v6
	v_add3_u32 v1, v5, v2, v7
	v_mul_lo_u32 v2, v6, s14
	v_add_u32_e32 v3, v6, v3
	v_sub_u32_e32 v2, v4, v2
	v_lshrrev_b32_e32 v4, s31, v3
	s_add_i32 s61, s61, 4
	v_mul_lo_u32 v3, v4, s29
	s_add_u32 s54, s54, 32
	v_sub_u32_e32 v3, v6, v3
	s_addc_u32 s55, s55, 0
	v_mul_lo_u32 v5, v2, s4
	v_mul_lo_u32 v2, v2, s5
	;; [unrolled: 1-line block ×4, first 2 shown]
	s_cmp_eq_u32 s59, s61
	v_add3_u32 v2, v2, v1, v3
	v_add3_u32 v0, v5, v0, v6
	s_cbranch_scc0 .LBB375_90
; %bb.91:
	v_mov_b32_e32 v1, v2
	s_branch .LBB375_106
.LBB375_92:
                                        ; implicit-def: $vgpr2
                                        ; implicit-def: $vgpr0
	s_branch .LBB375_110
.LBB375_93:
	v_mov_b32_e32 v2, 0
	v_mov_b32_e32 v0, 0
	s_branch .LBB375_109
.LBB375_94:
	v_mov_b32_e32 v0, 0
	s_mov_b32 s59, 0
	v_mov_b32_e32 v1, v0
                                        ; implicit-def: $vgpr2
	v_mov_b32_e32 v4, v8
.LBB375_95:
	s_and_b32 s4, s60, 3
	s_cmp_eq_u32 s4, 0
	s_cbranch_scc1 .LBB375_98
; %bb.96:
	s_lshl_b32 s0, s59, 3
	s_add_u32 s0, s34, s0
	s_addc_u32 s1, s35, 0
	s_add_u32 s0, s0, 0xc4
	s_addc_u32 s1, s1, 0
	s_mul_i32 s2, s59, 12
	s_add_u32 s2, s34, s2
	s_addc_u32 s3, s35, 0
.LBB375_97:                             ; =>This Inner Loop Header: Depth=1
	s_load_dwordx2 s[6:7], s[2:3], 0x4
	s_load_dword s5, s[2:3], 0xc
	s_load_dwordx2 s[8:9], s[0:1], 0x0
	v_mov_b32_e32 v2, v1
	s_add_u32 s2, s2, 12
	s_waitcnt lgkmcnt(0)
	v_mul_hi_u32 v1, s7, v4
	v_add_u32_e32 v1, v4, v1
	v_lshrrev_b32_e32 v1, s5, v1
	s_addc_u32 s3, s3, 0
	v_mul_lo_u32 v3, v1, s6
	s_add_u32 s0, s0, 8
	v_sub_u32_e32 v5, v4, v3
	s_addc_u32 s1, s1, 0
	s_add_i32 s4, s4, -1
	v_mov_b32_e32 v4, v1
	v_mad_u64_u32 v[2:3], s[6:7], v5, s9, v[2:3]
	v_mad_u64_u32 v[0:1], s[6:7], v5, s8, v[0:1]
	s_cmp_lg_u32 s4, 0
	v_mov_b32_e32 v1, v2
	s_cbranch_scc1 .LBB375_97
.LBB375_98:
	s_cbranch_execnz .LBB375_101
.LBB375_99:
	s_waitcnt lgkmcnt(0)
	v_mul_hi_u32 v0, s21, v8
	v_add_u32_e32 v0, v8, v0
	v_lshrrev_b32_e32 v1, s22, v0
	v_mul_lo_u32 v0, v1, s20
	v_sub_u32_e32 v0, v8, v0
	v_mul_lo_u32 v2, v0, s25
	s_andn2_b64 vcc, exec, s[44:45]
	v_mul_lo_u32 v0, v0, s24
	s_cbranch_vccnz .LBB375_101
; %bb.100:
	v_mul_hi_u32 v3, s42, v1
	v_add_u32_e32 v3, v1, v3
	v_lshrrev_b32_e32 v3, s43, v3
	v_mul_lo_u32 v3, v3, s23
	v_sub_u32_e32 v3, v1, v3
	v_mad_u64_u32 v[0:1], s[0:1], v3, s26, v[0:1]
	v_mad_u64_u32 v[2:3], s[0:1], v3, s27, v[2:3]
.LBB375_101:
	s_waitcnt lgkmcnt(0)
	global_load_dwordx2 v[2:3], v2, s[18:19]
	v_mov_b32_e32 v1, s41
	v_mov_b32_e32 v4, s40
	v_add_u32_e32 v8, 0x80, v8
	s_waitcnt vmcnt(0)
	v_cmp_lt_i64_e32 vcc, s[40:41], v[2:3]
	s_nop 1
	v_cndmask_b32_e32 v3, v1, v3, vcc
	v_cndmask_b32_e32 v2, v4, v2, vcc
	global_store_dwordx2 v0, v[2:3], s[16:17]
	s_or_b64 exec, exec, s[50:51]
	v_cmp_gt_i32_e32 vcc, s57, v8
	s_and_saveexec_b64 s[50:51], vcc
	s_cbranch_execnz .LBB375_86
.LBB375_102:
	s_or_b64 exec, exec, s[50:51]
	v_cmp_gt_i32_e32 vcc, s57, v8
	s_and_saveexec_b64 s[50:51], vcc
	s_cbranch_execnz .LBB375_113
.LBB375_103:
	s_or_b64 exec, exec, s[50:51]
                                        ; implicit-def: $vgpr16
                                        ; implicit-def: $vgpr8
	s_andn2_saveexec_b64 s[0:1], s[38:39]
	s_cbranch_execnz .LBB375_9
.LBB375_104:
	s_endpgm
.LBB375_105:
	v_mov_b32_e32 v0, 0
	s_mov_b32 s59, 0
	v_mov_b32_e32 v1, v0
                                        ; implicit-def: $vgpr2
	v_mov_b32_e32 v4, v8
.LBB375_106:
	s_and_b32 s4, s60, 3
	s_cmp_eq_u32 s4, 0
	s_cbranch_scc1 .LBB375_109
; %bb.107:
	s_lshl_b32 s0, s59, 3
	s_add_u32 s0, s34, s0
	s_addc_u32 s1, s35, 0
	s_add_u32 s0, s0, 0xc4
	s_addc_u32 s1, s1, 0
	s_mul_i32 s2, s59, 12
	s_add_u32 s2, s34, s2
	s_addc_u32 s3, s35, 0
.LBB375_108:                            ; =>This Inner Loop Header: Depth=1
	s_load_dwordx2 s[6:7], s[2:3], 0x4
	s_load_dword s5, s[2:3], 0xc
	s_load_dwordx2 s[8:9], s[0:1], 0x0
	v_mov_b32_e32 v2, v1
	s_add_u32 s2, s2, 12
	s_waitcnt lgkmcnt(0)
	v_mul_hi_u32 v1, s7, v4
	v_add_u32_e32 v1, v4, v1
	v_lshrrev_b32_e32 v1, s5, v1
	s_addc_u32 s3, s3, 0
	v_mul_lo_u32 v3, v1, s6
	s_add_u32 s0, s0, 8
	v_sub_u32_e32 v5, v4, v3
	s_addc_u32 s1, s1, 0
	s_add_i32 s4, s4, -1
	v_mov_b32_e32 v4, v1
	v_mad_u64_u32 v[2:3], s[6:7], v5, s9, v[2:3]
	v_mad_u64_u32 v[0:1], s[6:7], v5, s8, v[0:1]
	s_cmp_lg_u32 s4, 0
	v_mov_b32_e32 v1, v2
	s_cbranch_scc1 .LBB375_108
.LBB375_109:
	s_cbranch_execnz .LBB375_112
.LBB375_110:
	s_waitcnt lgkmcnt(0)
	v_mul_hi_u32 v0, s21, v8
	v_add_u32_e32 v0, v8, v0
	v_lshrrev_b32_e32 v1, s22, v0
	v_mul_lo_u32 v0, v1, s20
	v_sub_u32_e32 v0, v8, v0
	v_mul_lo_u32 v2, v0, s25
	s_andn2_b64 vcc, exec, s[44:45]
	v_mul_lo_u32 v0, v0, s24
	s_cbranch_vccnz .LBB375_112
; %bb.111:
	v_mul_hi_u32 v3, s42, v1
	v_add_u32_e32 v3, v1, v3
	v_lshrrev_b32_e32 v3, s43, v3
	v_mul_lo_u32 v3, v3, s23
	v_sub_u32_e32 v3, v1, v3
	v_mad_u64_u32 v[0:1], s[0:1], v3, s26, v[0:1]
	v_mad_u64_u32 v[2:3], s[0:1], v3, s27, v[2:3]
.LBB375_112:
	s_waitcnt lgkmcnt(0)
	global_load_dwordx2 v[2:3], v2, s[18:19]
	v_mov_b32_e32 v1, s41
	v_mov_b32_e32 v4, s40
	v_add_u32_e32 v8, 0x80, v8
	s_waitcnt vmcnt(0)
	v_cmp_lt_i64_e32 vcc, s[40:41], v[2:3]
	s_nop 1
	v_cndmask_b32_e32 v3, v1, v3, vcc
	v_cndmask_b32_e32 v2, v4, v2, vcc
	global_store_dwordx2 v0, v[2:3], s[16:17]
	s_or_b64 exec, exec, s[50:51]
	v_cmp_gt_i32_e32 vcc, s57, v8
	s_and_saveexec_b64 s[50:51], vcc
	s_cbranch_execz .LBB375_103
.LBB375_113:
	s_andn2_b64 vcc, exec, s[36:37]
	s_cbranch_vccnz .LBB375_119
; %bb.114:
	s_andn2_b64 vcc, exec, s[48:49]
	s_cbranch_vccnz .LBB375_120
; %bb.115:
	s_add_i32 s58, s58, 1
	s_cmp_eq_u32 s56, 2
	s_cbranch_scc1 .LBB375_121
; %bb.116:
	s_and_b32 s52, s58, 28
	s_mov_b32 s53, 0
	v_mov_b32_e32 v0, 0
	v_mov_b32_e32 v2, 0
	s_mov_b64 s[48:49], s[34:35]
	v_mov_b32_e32 v4, v8
.LBB375_117:                            ; =>This Inner Loop Header: Depth=1
	s_load_dwordx8 s[8:15], s[48:49], 0x4
	s_load_dwordx4 s[28:31], s[48:49], 0x24
	s_load_dwordx8 s[0:7], s[46:47], 0x0
	s_add_u32 s48, s48, 48
	s_addc_u32 s49, s49, 0
	s_waitcnt lgkmcnt(0)
	v_mul_hi_u32 v1, s9, v4
	v_add_u32_e32 v1, v4, v1
	v_lshrrev_b32_e32 v1, s10, v1
	v_mul_lo_u32 v3, v1, s8
	v_mul_hi_u32 v5, s12, v1
	v_sub_u32_e32 v3, v4, v3
	v_add_u32_e32 v4, v1, v5
	v_lshrrev_b32_e32 v4, s13, v4
	v_mul_lo_u32 v6, v4, s11
	v_mul_hi_u32 v7, s15, v4
	v_sub_u32_e32 v1, v1, v6
	v_add_u32_e32 v6, v4, v7
	v_mul_lo_u32 v5, v3, s1
	v_mul_lo_u32 v3, v3, s0
	;; [unrolled: 1-line block ×4, first 2 shown]
	v_lshrrev_b32_e32 v6, s28, v6
	v_add3_u32 v0, v3, v0, v1
	v_mul_hi_u32 v3, s30, v6
	v_add3_u32 v1, v5, v2, v7
	v_mul_lo_u32 v2, v6, s14
	v_add_u32_e32 v3, v6, v3
	v_sub_u32_e32 v2, v4, v2
	v_lshrrev_b32_e32 v4, s31, v3
	s_add_i32 s53, s53, 4
	v_mul_lo_u32 v3, v4, s29
	s_add_u32 s46, s46, 32
	v_sub_u32_e32 v3, v6, v3
	s_addc_u32 s47, s47, 0
	v_mul_lo_u32 v5, v2, s4
	v_mul_lo_u32 v2, v2, s5
	;; [unrolled: 1-line block ×4, first 2 shown]
	s_cmp_eq_u32 s52, s53
	v_add3_u32 v2, v2, v1, v3
	v_add3_u32 v0, v5, v0, v6
	s_cbranch_scc0 .LBB375_117
; %bb.118:
	v_mov_b32_e32 v1, v2
	s_branch .LBB375_122
.LBB375_119:
                                        ; implicit-def: $vgpr2
                                        ; implicit-def: $vgpr0
	s_branch .LBB375_126
.LBB375_120:
	v_mov_b32_e32 v2, 0
	v_mov_b32_e32 v0, 0
	s_branch .LBB375_125
.LBB375_121:
	v_mov_b32_e32 v0, 0
	s_mov_b32 s52, 0
	v_mov_b32_e32 v1, v0
                                        ; implicit-def: $vgpr2
	v_mov_b32_e32 v4, v8
.LBB375_122:
	s_and_b32 s4, s58, 3
	s_cmp_eq_u32 s4, 0
	s_cbranch_scc1 .LBB375_125
; %bb.123:
	s_lshl_b32 s0, s52, 3
	s_add_u32 s0, s34, s0
	s_addc_u32 s1, s35, 0
	s_add_u32 s0, s0, 0xc4
	s_addc_u32 s1, s1, 0
	s_mul_i32 s2, s52, 12
	s_add_u32 s2, s34, s2
	s_addc_u32 s3, s35, 0
.LBB375_124:                            ; =>This Inner Loop Header: Depth=1
	s_load_dwordx2 s[6:7], s[2:3], 0x4
	s_load_dword s5, s[2:3], 0xc
	s_load_dwordx2 s[8:9], s[0:1], 0x0
	v_mov_b32_e32 v2, v1
	s_add_u32 s2, s2, 12
	s_waitcnt lgkmcnt(0)
	v_mul_hi_u32 v1, s7, v4
	v_add_u32_e32 v1, v4, v1
	v_lshrrev_b32_e32 v1, s5, v1
	s_addc_u32 s3, s3, 0
	v_mul_lo_u32 v3, v1, s6
	s_add_u32 s0, s0, 8
	v_sub_u32_e32 v5, v4, v3
	s_addc_u32 s1, s1, 0
	s_add_i32 s4, s4, -1
	v_mov_b32_e32 v4, v1
	v_mad_u64_u32 v[2:3], s[6:7], v5, s9, v[2:3]
	v_mad_u64_u32 v[0:1], s[6:7], v5, s8, v[0:1]
	s_cmp_lg_u32 s4, 0
	v_mov_b32_e32 v1, v2
	s_cbranch_scc1 .LBB375_124
.LBB375_125:
	s_cbranch_execnz .LBB375_128
.LBB375_126:
	s_waitcnt lgkmcnt(0)
	v_mul_hi_u32 v0, s21, v8
	v_add_u32_e32 v0, v8, v0
	v_lshrrev_b32_e32 v1, s22, v0
	v_mul_lo_u32 v0, v1, s20
	v_sub_u32_e32 v0, v8, v0
	v_mul_lo_u32 v2, v0, s25
	s_andn2_b64 vcc, exec, s[44:45]
	v_mul_lo_u32 v0, v0, s24
	s_cbranch_vccnz .LBB375_128
; %bb.127:
	v_mul_hi_u32 v3, s42, v1
	v_add_u32_e32 v3, v1, v3
	v_lshrrev_b32_e32 v3, s43, v3
	v_mul_lo_u32 v3, v3, s23
	v_sub_u32_e32 v3, v1, v3
	v_mad_u64_u32 v[0:1], s[0:1], v3, s26, v[0:1]
	v_mad_u64_u32 v[2:3], s[0:1], v3, s27, v[2:3]
.LBB375_128:
	s_waitcnt lgkmcnt(0)
	global_load_dwordx2 v[2:3], v2, s[18:19]
	v_mov_b32_e32 v1, s41
	s_waitcnt vmcnt(0)
	v_cmp_lt_i64_e32 vcc, s[40:41], v[2:3]
	s_nop 1
	v_cndmask_b32_e32 v3, v1, v3, vcc
	v_mov_b32_e32 v1, s40
	v_cndmask_b32_e32 v2, v1, v2, vcc
	global_store_dwordx2 v0, v[2:3], s[16:17]
	s_or_b64 exec, exec, s[50:51]
                                        ; implicit-def: $vgpr16
                                        ; implicit-def: $vgpr8
	s_andn2_saveexec_b64 s[0:1], s[38:39]
	s_cbranch_execz .LBB375_104
	s_branch .LBB375_9
	.section	.rodata,"a",@progbits
	.p2align	6, 0x0
	.amdhsa_kernel _ZN2at6native32elementwise_kernel_manual_unrollILi128ELi4EZNS0_22gpu_kernel_impl_nocastIZZZNS0_21clamp_min_kernel_cudaERNS_18TensorIteratorBaseERKN3c106ScalarEENKUlvE_clEvENKUlvE2_clEvEUllE_EEvS4_RKT_EUlibE_EEviT1_
		.amdhsa_group_segment_fixed_size 0
		.amdhsa_private_segment_fixed_size 0
		.amdhsa_kernarg_size 360
		.amdhsa_user_sgpr_count 2
		.amdhsa_user_sgpr_dispatch_ptr 0
		.amdhsa_user_sgpr_queue_ptr 0
		.amdhsa_user_sgpr_kernarg_segment_ptr 1
		.amdhsa_user_sgpr_dispatch_id 0
		.amdhsa_user_sgpr_kernarg_preload_length 0
		.amdhsa_user_sgpr_kernarg_preload_offset 0
		.amdhsa_user_sgpr_private_segment_size 0
		.amdhsa_uses_dynamic_stack 0
		.amdhsa_enable_private_segment 0
		.amdhsa_system_sgpr_workgroup_id_x 1
		.amdhsa_system_sgpr_workgroup_id_y 0
		.amdhsa_system_sgpr_workgroup_id_z 0
		.amdhsa_system_sgpr_workgroup_info 0
		.amdhsa_system_vgpr_workitem_id 0
		.amdhsa_next_free_vgpr 24
		.amdhsa_next_free_sgpr 62
		.amdhsa_accum_offset 24
		.amdhsa_reserve_vcc 1
		.amdhsa_float_round_mode_32 0
		.amdhsa_float_round_mode_16_64 0
		.amdhsa_float_denorm_mode_32 3
		.amdhsa_float_denorm_mode_16_64 3
		.amdhsa_dx10_clamp 1
		.amdhsa_ieee_mode 1
		.amdhsa_fp16_overflow 0
		.amdhsa_tg_split 0
		.amdhsa_exception_fp_ieee_invalid_op 0
		.amdhsa_exception_fp_denorm_src 0
		.amdhsa_exception_fp_ieee_div_zero 0
		.amdhsa_exception_fp_ieee_overflow 0
		.amdhsa_exception_fp_ieee_underflow 0
		.amdhsa_exception_fp_ieee_inexact 0
		.amdhsa_exception_int_div_zero 0
	.end_amdhsa_kernel
	.section	.text._ZN2at6native32elementwise_kernel_manual_unrollILi128ELi4EZNS0_22gpu_kernel_impl_nocastIZZZNS0_21clamp_min_kernel_cudaERNS_18TensorIteratorBaseERKN3c106ScalarEENKUlvE_clEvENKUlvE2_clEvEUllE_EEvS4_RKT_EUlibE_EEviT1_,"axG",@progbits,_ZN2at6native32elementwise_kernel_manual_unrollILi128ELi4EZNS0_22gpu_kernel_impl_nocastIZZZNS0_21clamp_min_kernel_cudaERNS_18TensorIteratorBaseERKN3c106ScalarEENKUlvE_clEvENKUlvE2_clEvEUllE_EEvS4_RKT_EUlibE_EEviT1_,comdat
.Lfunc_end375:
	.size	_ZN2at6native32elementwise_kernel_manual_unrollILi128ELi4EZNS0_22gpu_kernel_impl_nocastIZZZNS0_21clamp_min_kernel_cudaERNS_18TensorIteratorBaseERKN3c106ScalarEENKUlvE_clEvENKUlvE2_clEvEUllE_EEvS4_RKT_EUlibE_EEviT1_, .Lfunc_end375-_ZN2at6native32elementwise_kernel_manual_unrollILi128ELi4EZNS0_22gpu_kernel_impl_nocastIZZZNS0_21clamp_min_kernel_cudaERNS_18TensorIteratorBaseERKN3c106ScalarEENKUlvE_clEvENKUlvE2_clEvEUllE_EEvS4_RKT_EUlibE_EEviT1_
                                        ; -- End function
	.set _ZN2at6native32elementwise_kernel_manual_unrollILi128ELi4EZNS0_22gpu_kernel_impl_nocastIZZZNS0_21clamp_min_kernel_cudaERNS_18TensorIteratorBaseERKN3c106ScalarEENKUlvE_clEvENKUlvE2_clEvEUllE_EEvS4_RKT_EUlibE_EEviT1_.num_vgpr, 24
	.set _ZN2at6native32elementwise_kernel_manual_unrollILi128ELi4EZNS0_22gpu_kernel_impl_nocastIZZZNS0_21clamp_min_kernel_cudaERNS_18TensorIteratorBaseERKN3c106ScalarEENKUlvE_clEvENKUlvE2_clEvEUllE_EEvS4_RKT_EUlibE_EEviT1_.num_agpr, 0
	.set _ZN2at6native32elementwise_kernel_manual_unrollILi128ELi4EZNS0_22gpu_kernel_impl_nocastIZZZNS0_21clamp_min_kernel_cudaERNS_18TensorIteratorBaseERKN3c106ScalarEENKUlvE_clEvENKUlvE2_clEvEUllE_EEvS4_RKT_EUlibE_EEviT1_.numbered_sgpr, 62
	.set _ZN2at6native32elementwise_kernel_manual_unrollILi128ELi4EZNS0_22gpu_kernel_impl_nocastIZZZNS0_21clamp_min_kernel_cudaERNS_18TensorIteratorBaseERKN3c106ScalarEENKUlvE_clEvENKUlvE2_clEvEUllE_EEvS4_RKT_EUlibE_EEviT1_.num_named_barrier, 0
	.set _ZN2at6native32elementwise_kernel_manual_unrollILi128ELi4EZNS0_22gpu_kernel_impl_nocastIZZZNS0_21clamp_min_kernel_cudaERNS_18TensorIteratorBaseERKN3c106ScalarEENKUlvE_clEvENKUlvE2_clEvEUllE_EEvS4_RKT_EUlibE_EEviT1_.private_seg_size, 0
	.set _ZN2at6native32elementwise_kernel_manual_unrollILi128ELi4EZNS0_22gpu_kernel_impl_nocastIZZZNS0_21clamp_min_kernel_cudaERNS_18TensorIteratorBaseERKN3c106ScalarEENKUlvE_clEvENKUlvE2_clEvEUllE_EEvS4_RKT_EUlibE_EEviT1_.uses_vcc, 1
	.set _ZN2at6native32elementwise_kernel_manual_unrollILi128ELi4EZNS0_22gpu_kernel_impl_nocastIZZZNS0_21clamp_min_kernel_cudaERNS_18TensorIteratorBaseERKN3c106ScalarEENKUlvE_clEvENKUlvE2_clEvEUllE_EEvS4_RKT_EUlibE_EEviT1_.uses_flat_scratch, 0
	.set _ZN2at6native32elementwise_kernel_manual_unrollILi128ELi4EZNS0_22gpu_kernel_impl_nocastIZZZNS0_21clamp_min_kernel_cudaERNS_18TensorIteratorBaseERKN3c106ScalarEENKUlvE_clEvENKUlvE2_clEvEUllE_EEvS4_RKT_EUlibE_EEviT1_.has_dyn_sized_stack, 0
	.set _ZN2at6native32elementwise_kernel_manual_unrollILi128ELi4EZNS0_22gpu_kernel_impl_nocastIZZZNS0_21clamp_min_kernel_cudaERNS_18TensorIteratorBaseERKN3c106ScalarEENKUlvE_clEvENKUlvE2_clEvEUllE_EEvS4_RKT_EUlibE_EEviT1_.has_recursion, 0
	.set _ZN2at6native32elementwise_kernel_manual_unrollILi128ELi4EZNS0_22gpu_kernel_impl_nocastIZZZNS0_21clamp_min_kernel_cudaERNS_18TensorIteratorBaseERKN3c106ScalarEENKUlvE_clEvENKUlvE2_clEvEUllE_EEvS4_RKT_EUlibE_EEviT1_.has_indirect_call, 0
	.section	.AMDGPU.csdata,"",@progbits
; Kernel info:
; codeLenInByte = 5984
; TotalNumSgprs: 68
; NumVgprs: 24
; NumAgprs: 0
; TotalNumVgprs: 24
; ScratchSize: 0
; MemoryBound: 0
; FloatMode: 240
; IeeeMode: 1
; LDSByteSize: 0 bytes/workgroup (compile time only)
; SGPRBlocks: 8
; VGPRBlocks: 2
; NumSGPRsForWavesPerEU: 68
; NumVGPRsForWavesPerEU: 24
; AccumOffset: 24
; Occupancy: 8
; WaveLimiterHint : 1
; COMPUTE_PGM_RSRC2:SCRATCH_EN: 0
; COMPUTE_PGM_RSRC2:USER_SGPR: 2
; COMPUTE_PGM_RSRC2:TRAP_HANDLER: 0
; COMPUTE_PGM_RSRC2:TGID_X_EN: 1
; COMPUTE_PGM_RSRC2:TGID_Y_EN: 0
; COMPUTE_PGM_RSRC2:TGID_Z_EN: 0
; COMPUTE_PGM_RSRC2:TIDIG_COMP_CNT: 0
; COMPUTE_PGM_RSRC3_GFX90A:ACCUM_OFFSET: 5
; COMPUTE_PGM_RSRC3_GFX90A:TG_SPLIT: 0
	.section	.text._ZN2at6native32elementwise_kernel_manual_unrollILi128ELi4EZNS0_15gpu_kernel_implIZZZNS0_21clamp_min_kernel_cudaERNS_18TensorIteratorBaseERKN3c106ScalarEENKUlvE_clEvENKUlvE2_clEvEUllE_EEvS4_RKT_EUlibE_EEviT1_,"axG",@progbits,_ZN2at6native32elementwise_kernel_manual_unrollILi128ELi4EZNS0_15gpu_kernel_implIZZZNS0_21clamp_min_kernel_cudaERNS_18TensorIteratorBaseERKN3c106ScalarEENKUlvE_clEvENKUlvE2_clEvEUllE_EEvS4_RKT_EUlibE_EEviT1_,comdat
	.globl	_ZN2at6native32elementwise_kernel_manual_unrollILi128ELi4EZNS0_15gpu_kernel_implIZZZNS0_21clamp_min_kernel_cudaERNS_18TensorIteratorBaseERKN3c106ScalarEENKUlvE_clEvENKUlvE2_clEvEUllE_EEvS4_RKT_EUlibE_EEviT1_ ; -- Begin function _ZN2at6native32elementwise_kernel_manual_unrollILi128ELi4EZNS0_15gpu_kernel_implIZZZNS0_21clamp_min_kernel_cudaERNS_18TensorIteratorBaseERKN3c106ScalarEENKUlvE_clEvENKUlvE2_clEvEUllE_EEvS4_RKT_EUlibE_EEviT1_
	.p2align	8
	.type	_ZN2at6native32elementwise_kernel_manual_unrollILi128ELi4EZNS0_15gpu_kernel_implIZZZNS0_21clamp_min_kernel_cudaERNS_18TensorIteratorBaseERKN3c106ScalarEENKUlvE_clEvENKUlvE2_clEvEUllE_EEvS4_RKT_EUlibE_EEviT1_,@function
_ZN2at6native32elementwise_kernel_manual_unrollILi128ELi4EZNS0_15gpu_kernel_implIZZZNS0_21clamp_min_kernel_cudaERNS_18TensorIteratorBaseERKN3c106ScalarEENKUlvE_clEvENKUlvE2_clEvEUllE_EEvS4_RKT_EUlibE_EEviT1_: ; @_ZN2at6native32elementwise_kernel_manual_unrollILi128ELi4EZNS0_15gpu_kernel_implIZZZNS0_21clamp_min_kernel_cudaERNS_18TensorIteratorBaseERKN3c106ScalarEENKUlvE_clEvENKUlvE2_clEvEUllE_EEvS4_RKT_EUlibE_EEviT1_
; %bb.0:
	s_load_dword s33, s[0:1], 0x28
	s_load_dword s40, s[0:1], 0x0
	s_load_dwordx8 s[4:11], s[0:1], 0x8
	v_lshl_or_b32 v10, s2, 9, v0
	v_or_b32_e32 v0, 0x180, v10
	s_waitcnt lgkmcnt(0)
	s_bfe_u32 s44, s33, 0x80008
	v_cmp_le_i32_e32 vcc, s40, v0
	s_mov_b64 s[2:3], 0
	s_mov_b64 s[14:15], 0
	s_and_saveexec_b64 s[0:1], vcc
	s_xor_b64 s[12:13], exec, s[0:1]
	s_cbranch_execz .LBB376_1011
; %bb.1:
	v_cmp_gt_i32_e32 vcc, s40, v10
	s_mov_b64 s[20:21], -1
	s_mov_b64 s[22:23], 0
	s_mov_b64 s[16:17], 0
	s_and_saveexec_b64 s[18:19], vcc
	s_cbranch_execz .LBB376_248
; %bb.2:
	v_mul_lo_u32 v0, v10, s9
	v_ashrrev_i32_e32 v1, 31, v0
	s_and_b32 s20, 0xffff, s44
	s_cmp_lt_i32 s20, 11
	v_lshl_add_u64 v[0:1], s[6:7], 0, v[0:1]
	s_cbranch_scc1 .LBB376_9
; %bb.3:
	s_cmp_gt_i32 s20, 25
	s_cbranch_scc0 .LBB376_18
; %bb.4:
	s_cmp_gt_i32 s20, 28
	s_cbranch_scc0 .LBB376_22
	;; [unrolled: 3-line block ×4, first 2 shown]
; %bb.7:
	s_cmp_eq_u32 s20, 46
	s_cbranch_scc0 .LBB376_28
; %bb.8:
	global_load_dword v2, v[0:1], off
	s_mov_b32 s0, 0x2f800000
	s_mov_b32 s1, 0xcf800000
	s_waitcnt vmcnt(0)
	v_lshlrev_b32_e32 v2, 16, v2
	v_trunc_f32_e32 v2, v2
	v_mul_f32_e64 v3, |v2|, s0
	v_floor_f32_e32 v3, v3
	v_fma_f32 v4, v3, s1, |v2|
	v_cvt_u32_f32_e32 v4, v4
	v_cvt_u32_f32_e32 v3, v3
	v_ashrrev_i32_e32 v5, 31, v2
	s_mov_b64 s[0:1], -1
	v_xor_b32_e32 v2, v4, v5
	v_xor_b32_e32 v3, v3, v5
	v_sub_co_u32_e32 v2, vcc, v2, v5
	s_nop 1
	v_subb_co_u32_e32 v3, vcc, v3, v5, vcc
	s_branch .LBB376_30
.LBB376_9:
                                        ; implicit-def: $vgpr2_vgpr3
	s_mov_b64 s[0:1], 0
	s_cbranch_execnz .LBB376_199
.LBB376_10:
	s_andn2_b64 vcc, exec, s[0:1]
	s_cbranch_vccnz .LBB376_246
.LBB376_11:
	v_mov_b32_e32 v0, s11
	s_waitcnt vmcnt(0)
	v_cmp_lt_i64_e32 vcc, s[10:11], v[2:3]
	s_and_b32 s26, s33, 0xff
	s_cmp_lt_i32 s26, 11
	v_cndmask_b32_e32 v1, v0, v3, vcc
	v_mov_b32_e32 v0, s10
	v_cndmask_b32_e32 v0, v0, v2, vcc
	v_mul_lo_u32 v2, v10, s8
	v_ashrrev_i32_e32 v3, 31, v2
	v_lshl_add_u64 v[2:3], s[4:5], 0, v[2:3]
	s_cbranch_scc1 .LBB376_19
; %bb.12:
	s_and_b32 s27, 0xffff, s26
	s_cmp_gt_i32 s27, 25
	s_cbranch_scc0 .LBB376_23
; %bb.13:
	s_cmp_gt_i32 s27, 28
	s_cbranch_scc0 .LBB376_25
; %bb.14:
	;; [unrolled: 3-line block ×4, first 2 shown]
	s_mov_b64 s[20:21], 0
	s_mov_b64 s[0:1], -1
	s_cmp_eq_u32 s27, 46
	s_mov_b64 s[14:15], 0
	s_cbranch_scc0 .LBB376_34
; %bb.17:
	v_xor_b32_e32 v5, v0, v1
	v_ffbh_i32_e32 v4, v1
	v_ashrrev_i32_e32 v5, 31, v5
	v_add_u32_e32 v4, -1, v4
	v_add_u32_e32 v5, 32, v5
	v_min_u32_e32 v6, v4, v5
	v_lshlrev_b64 v[4:5], v6, v[0:1]
	v_min_u32_e32 v4, 1, v4
	v_or_b32_e32 v4, v5, v4
	v_cvt_f32_i32_e32 v4, v4
	v_sub_u32_e32 v5, 32, v6
	s_movk_i32 s0, 0x7fff
	s_mov_b64 s[14:15], -1
	v_ldexp_f32 v4, v4, v5
	v_bfe_u32 v5, v4, 16, 1
	v_add3_u32 v4, v4, v5, s0
	v_lshrrev_b32_e32 v4, 16, v4
	global_store_dword v[2:3], v4, off
	s_mov_b64 s[0:1], 0
	s_branch .LBB376_34
.LBB376_18:
	s_mov_b64 s[0:1], 0
                                        ; implicit-def: $vgpr2_vgpr3
	s_cbranch_execnz .LBB376_166
	s_branch .LBB376_198
.LBB376_19:
	s_mov_b64 s[0:1], 0
	s_mov_b64 s[14:15], 0
	s_cbranch_execnz .LBB376_103
.LBB376_20:
	s_andn2_b64 vcc, exec, s[14:15]
	s_cbranch_vccnz .LBB376_141
.LBB376_21:
	v_add_u32_e32 v10, 0x80, v10
	s_mov_b64 s[20:21], -1
	s_branch .LBB376_247
.LBB376_22:
	s_mov_b64 s[14:15], -1
	s_mov_b64 s[0:1], 0
                                        ; implicit-def: $vgpr2_vgpr3
	s_branch .LBB376_149
.LBB376_23:
	s_mov_b64 s[20:21], -1
	s_mov_b64 s[0:1], 0
	s_mov_b64 s[14:15], 0
	s_branch .LBB376_61
.LBB376_24:
	s_mov_b64 s[14:15], -1
	s_mov_b64 s[0:1], 0
                                        ; implicit-def: $vgpr2_vgpr3
	s_branch .LBB376_144
.LBB376_25:
	s_mov_b64 s[20:21], -1
	s_mov_b64 s[0:1], 0
	s_mov_b64 s[14:15], 0
	s_branch .LBB376_44
.LBB376_26:
	s_mov_b64 s[14:15], -1
	s_branch .LBB376_29
.LBB376_27:
	s_mov_b64 s[20:21], -1
	s_mov_b64 s[0:1], 0
	s_mov_b64 s[14:15], 0
	s_branch .LBB376_40
.LBB376_28:
	s_mov_b64 s[16:17], -1
.LBB376_29:
	s_mov_b64 s[0:1], 0
                                        ; implicit-def: $vgpr2_vgpr3
.LBB376_30:
	s_and_b64 vcc, exec, s[14:15]
	s_cbranch_vccz .LBB376_143
; %bb.31:
	s_cmp_eq_u32 s20, 44
	s_cbranch_scc0 .LBB376_142
; %bb.32:
	global_load_ubyte v2, v[0:1], off
	s_mov_b32 s0, 0x2f800000
	s_mov_b32 s1, 0xcf800000
	s_mov_b64 s[16:17], 0
	s_waitcnt vmcnt(0)
	v_lshlrev_b32_e32 v3, 23, v2
	v_trunc_f32_e32 v3, v3
	v_mul_f32_e64 v4, |v3|, s0
	v_floor_f32_e32 v4, v4
	v_fma_f32 v5, v4, s1, |v3|
	v_cvt_u32_f32_e32 v5, v5
	v_cvt_u32_f32_e32 v4, v4
	v_ashrrev_i32_e32 v3, 31, v3
	s_mov_b64 s[0:1], -1
	v_xor_b32_e32 v5, v5, v3
	v_xor_b32_e32 v4, v4, v3
	v_sub_co_u32_e32 v5, vcc, v5, v3
	s_nop 1
	v_subb_co_u32_e32 v3, vcc, v4, v3, vcc
	v_cmp_ne_u32_e32 vcc, 0, v2
	s_nop 1
	v_cndmask_b32_e32 v3, 0, v3, vcc
	v_cndmask_b32_e32 v2, 0, v5, vcc
	s_branch .LBB376_143
.LBB376_33:
	s_mov_b64 s[20:21], -1
	s_mov_b64 s[0:1], 0
	s_mov_b64 s[14:15], 0
.LBB376_34:
	s_and_b64 vcc, exec, s[20:21]
	s_cbranch_vccz .LBB376_39
; %bb.35:
	s_cmp_eq_u32 s27, 44
	s_mov_b64 s[0:1], -1
	s_cbranch_scc0 .LBB376_39
; %bb.36:
	v_xor_b32_e32 v5, v0, v1
	v_ffbh_i32_e32 v4, v1
	v_ashrrev_i32_e32 v5, 31, v5
	v_add_u32_e32 v4, -1, v4
	v_add_u32_e32 v5, 32, v5
	v_min_u32_e32 v6, v4, v5
	v_lshlrev_b64 v[4:5], v6, v[0:1]
	v_min_u32_e32 v4, 1, v4
	v_or_b32_e32 v4, v5, v4
	v_cvt_f32_i32_e32 v4, v4
	v_sub_u32_e32 v5, 32, v6
	s_movk_i32 s0, 0xff
	v_mov_b32_e32 v6, 0xff
	v_ldexp_f32 v4, v4, v5
	v_bfe_u32 v5, v4, 23, 8
	v_cmp_ne_u32_e32 vcc, s0, v5
	s_and_saveexec_b64 s[14:15], vcc
; %bb.37:
	s_mov_b32 s0, 0x3fffff
	v_lshrrev_b32_e32 v6, 23, v4
	v_and_b32_e32 v7, 0x400000, v4
	v_and_or_b32 v4, v4, s0, v5
	v_cmp_ne_u32_e32 vcc, 0, v7
	v_cmp_ne_u32_e64 s[0:1], 0, v4
	s_and_b64 s[0:1], vcc, s[0:1]
	s_nop 0
	v_cndmask_b32_e64 v4, 0, 1, s[0:1]
	v_add_u32_e32 v6, v6, v4
; %bb.38:
	s_or_b64 exec, exec, s[14:15]
	s_mov_b64 s[14:15], -1
	s_mov_b64 s[0:1], 0
	global_store_byte v[2:3], v6, off
.LBB376_39:
	s_mov_b64 s[20:21], 0
.LBB376_40:
	s_and_b64 vcc, exec, s[20:21]
	s_cbranch_vccz .LBB376_43
; %bb.41:
	s_cmp_eq_u32 s27, 29
	s_mov_b64 s[0:1], -1
	s_cbranch_scc0 .LBB376_43
; %bb.42:
	global_store_dwordx2 v[2:3], v[0:1], off
	s_mov_b64 s[14:15], -1
	s_mov_b64 s[0:1], 0
.LBB376_43:
	s_mov_b64 s[20:21], 0
.LBB376_44:
	s_and_b64 vcc, exec, s[20:21]
	s_cbranch_vccz .LBB376_60
; %bb.45:
	s_cmp_lt_i32 s27, 27
	s_mov_b64 s[14:15], -1
	s_cbranch_scc1 .LBB376_51
; %bb.46:
	s_cmp_gt_i32 s27, 27
	s_cbranch_scc0 .LBB376_48
; %bb.47:
	s_mov_b64 s[14:15], 0
	global_store_dword v[2:3], v0, off
.LBB376_48:
	s_andn2_b64 vcc, exec, s[14:15]
	s_cbranch_vccnz .LBB376_50
; %bb.49:
	global_store_short v[2:3], v0, off
.LBB376_50:
	s_mov_b64 s[14:15], 0
.LBB376_51:
	s_andn2_b64 vcc, exec, s[14:15]
	s_cbranch_vccnz .LBB376_59
; %bb.52:
	v_xor_b32_e32 v5, v0, v1
	v_ffbh_i32_e32 v4, v1
	v_ashrrev_i32_e32 v5, 31, v5
	v_add_u32_e32 v4, -1, v4
	v_add_u32_e32 v5, 32, v5
	v_min_u32_e32 v6, v4, v5
	v_lshlrev_b64 v[4:5], v6, v[0:1]
	v_min_u32_e32 v4, 1, v4
	v_or_b32_e32 v4, v5, v4
	v_cvt_f32_i32_e32 v4, v4
	v_sub_u32_e32 v5, 32, v6
	s_mov_b32 s14, 0x43800000
	v_mov_b32_e32 v6, 0x80
	v_ldexp_f32 v4, v4, v5
	v_and_b32_e32 v5, 0x7fffffff, v4
	v_cmp_gt_u32_e32 vcc, s14, v5
	s_and_saveexec_b64 s[14:15], vcc
	s_cbranch_execz .LBB376_58
; %bb.53:
	s_mov_b32 s20, 0x3bffffff
	v_cmp_lt_u32_e32 vcc, s20, v5
	s_mov_b64 s[20:21], 0
                                        ; implicit-def: $vgpr5
	s_and_saveexec_b64 s[24:25], vcc
	s_xor_b64 s[24:25], exec, s[24:25]
	s_cbranch_execz .LBB376_275
; %bb.54:
	v_bfe_u32 v5, v4, 20, 1
	s_mov_b32 s28, 0x487ffff
	v_add3_u32 v5, v4, v5, s28
	s_mov_b64 s[20:21], exec
	v_lshrrev_b32_e32 v5, 20, v5
	s_andn2_saveexec_b64 s[24:25], s[24:25]
	s_cbranch_execnz .LBB376_276
.LBB376_55:
	s_or_b64 exec, exec, s[24:25]
	v_mov_b32_e32 v6, 0
	s_and_saveexec_b64 s[24:25], s[20:21]
.LBB376_56:
	v_lshrrev_b32_e32 v4, 24, v4
	s_movk_i32 s20, 0x80
	v_and_or_b32 v6, v4, s20, v5
.LBB376_57:
	s_or_b64 exec, exec, s[24:25]
.LBB376_58:
	s_or_b64 exec, exec, s[14:15]
	global_store_byte v[2:3], v6, off
.LBB376_59:
	s_mov_b64 s[14:15], -1
.LBB376_60:
	s_mov_b64 s[20:21], 0
.LBB376_61:
	s_and_b64 vcc, exec, s[20:21]
	s_cbranch_vccz .LBB376_102
; %bb.62:
	s_cmp_gt_i32 s27, 22
	s_mov_b64 s[20:21], -1
	s_cbranch_scc0 .LBB376_94
; %bb.63:
	s_cmp_lt_i32 s27, 24
	s_mov_b64 s[14:15], -1
	s_cbranch_scc1 .LBB376_83
; %bb.64:
	s_cmp_gt_i32 s27, 24
	s_cbranch_scc0 .LBB376_72
; %bb.65:
	v_xor_b32_e32 v5, v0, v1
	v_ffbh_i32_e32 v4, v1
	v_ashrrev_i32_e32 v5, 31, v5
	v_add_u32_e32 v4, -1, v4
	v_add_u32_e32 v5, 32, v5
	v_min_u32_e32 v6, v4, v5
	v_lshlrev_b64 v[4:5], v6, v[0:1]
	v_min_u32_e32 v4, 1, v4
	v_or_b32_e32 v4, v5, v4
	v_cvt_f32_i32_e32 v4, v4
	v_sub_u32_e32 v5, 32, v6
	s_mov_b32 s14, 0x47800000
	v_mov_b32_e32 v6, 0x80
	v_ldexp_f32 v4, v4, v5
	v_and_b32_e32 v5, 0x7fffffff, v4
	v_cmp_gt_u32_e32 vcc, s14, v5
	s_and_saveexec_b64 s[14:15], vcc
	s_cbranch_execz .LBB376_71
; %bb.66:
	s_mov_b32 s20, 0x37ffffff
	v_cmp_lt_u32_e32 vcc, s20, v5
	s_mov_b64 s[20:21], 0
                                        ; implicit-def: $vgpr5
	s_and_saveexec_b64 s[24:25], vcc
	s_xor_b64 s[24:25], exec, s[24:25]
	s_cbranch_execz .LBB376_279
; %bb.67:
	v_bfe_u32 v5, v4, 21, 1
	s_mov_b32 s28, 0x88fffff
	v_add3_u32 v5, v4, v5, s28
	s_mov_b64 s[20:21], exec
	v_lshrrev_b32_e32 v5, 21, v5
	s_andn2_saveexec_b64 s[24:25], s[24:25]
	s_cbranch_execnz .LBB376_280
.LBB376_68:
	s_or_b64 exec, exec, s[24:25]
	v_mov_b32_e32 v6, 0
	s_and_saveexec_b64 s[24:25], s[20:21]
.LBB376_69:
	v_lshrrev_b32_e32 v4, 24, v4
	s_movk_i32 s20, 0x80
	v_and_or_b32 v6, v4, s20, v5
.LBB376_70:
	s_or_b64 exec, exec, s[24:25]
.LBB376_71:
	s_or_b64 exec, exec, s[14:15]
	s_mov_b64 s[14:15], 0
	global_store_byte v[2:3], v6, off
.LBB376_72:
	s_and_b64 vcc, exec, s[14:15]
	s_cbranch_vccz .LBB376_82
; %bb.73:
	v_xor_b32_e32 v5, v0, v1
	v_ffbh_i32_e32 v4, v1
	v_ashrrev_i32_e32 v5, 31, v5
	v_add_u32_e32 v4, -1, v4
	v_add_u32_e32 v5, 32, v5
	v_min_u32_e32 v6, v4, v5
	v_lshlrev_b64 v[4:5], v6, v[0:1]
	v_min_u32_e32 v4, 1, v4
	v_or_b32_e32 v4, v5, v4
	v_cvt_f32_i32_e32 v4, v4
	v_sub_u32_e32 v5, 32, v6
	s_mov_b32 s14, 0x43f00000
	v_ldexp_f32 v4, v4, v5
	v_and_b32_e32 v6, 0x7fffffff, v4
	v_cmp_gt_u32_e32 vcc, s14, v6
                                        ; implicit-def: $vgpr5
	s_and_saveexec_b64 s[14:15], vcc
	s_xor_b64 s[14:15], exec, s[14:15]
	s_cbranch_execz .LBB376_79
; %bb.74:
	s_mov_b32 s20, 0x3c7fffff
	v_cmp_lt_u32_e32 vcc, s20, v6
                                        ; implicit-def: $vgpr5
	s_and_saveexec_b64 s[20:21], vcc
	s_xor_b64 s[20:21], exec, s[20:21]
; %bb.75:
	v_bfe_u32 v5, v4, 20, 1
	s_mov_b32 s24, 0x407ffff
	v_add3_u32 v5, v4, v5, s24
	v_lshrrev_b32_e32 v6, 20, v5
	v_and_b32_e32 v5, 0xff00000, v5
	s_mov_b32 s24, 0x7f00000
	v_mov_b32_e32 v7, 0x7e
	v_cmp_ne_u32_e32 vcc, s24, v5
	s_nop 1
	v_cndmask_b32_e32 v5, v7, v6, vcc
; %bb.76:
	s_andn2_saveexec_b64 s[20:21], s[20:21]
; %bb.77:
	s_mov_b32 s24, 0x46800000
	v_add_f32_e64 v5, |v4|, s24
; %bb.78:
	s_or_b64 exec, exec, s[20:21]
                                        ; implicit-def: $vgpr6
.LBB376_79:
	s_andn2_saveexec_b64 s[14:15], s[14:15]
; %bb.80:
	s_mov_b32 s20, 0x7f800000
	v_mov_b32_e32 v5, 0x7e
	v_mov_b32_e32 v7, 0x7f
	v_cmp_lt_u32_e32 vcc, s20, v6
	s_nop 1
	v_cndmask_b32_e32 v5, v5, v7, vcc
; %bb.81:
	s_or_b64 exec, exec, s[14:15]
	v_lshrrev_b32_e32 v4, 24, v4
	s_movk_i32 s14, 0x80
	v_and_or_b32 v4, v4, s14, v5
	global_store_byte v[2:3], v4, off
.LBB376_82:
	s_mov_b64 s[14:15], 0
.LBB376_83:
	s_andn2_b64 vcc, exec, s[14:15]
	s_cbranch_vccnz .LBB376_93
; %bb.84:
	v_xor_b32_e32 v5, v0, v1
	v_ffbh_i32_e32 v4, v1
	v_ashrrev_i32_e32 v5, 31, v5
	v_add_u32_e32 v4, -1, v4
	v_add_u32_e32 v5, 32, v5
	v_min_u32_e32 v6, v4, v5
	v_lshlrev_b64 v[4:5], v6, v[0:1]
	v_min_u32_e32 v4, 1, v4
	v_or_b32_e32 v4, v5, v4
	v_cvt_f32_i32_e32 v4, v4
	v_sub_u32_e32 v5, 32, v6
	s_mov_b32 s14, 0x47800000
	v_ldexp_f32 v4, v4, v5
	v_and_b32_e32 v6, 0x7fffffff, v4
	v_cmp_gt_u32_e32 vcc, s14, v6
                                        ; implicit-def: $vgpr5
	s_and_saveexec_b64 s[14:15], vcc
	s_xor_b64 s[14:15], exec, s[14:15]
	s_cbranch_execz .LBB376_90
; %bb.85:
	s_mov_b32 s20, 0x387fffff
	v_cmp_lt_u32_e32 vcc, s20, v6
                                        ; implicit-def: $vgpr5
	s_and_saveexec_b64 s[20:21], vcc
	s_xor_b64 s[20:21], exec, s[20:21]
; %bb.86:
	v_bfe_u32 v5, v4, 21, 1
	s_mov_b32 s24, 0x80fffff
	v_add3_u32 v5, v4, v5, s24
	v_lshrrev_b32_e32 v5, 21, v5
; %bb.87:
	s_andn2_saveexec_b64 s[20:21], s[20:21]
; %bb.88:
	s_mov_b32 s24, 0x43000000
	v_add_f32_e64 v5, |v4|, s24
; %bb.89:
	s_or_b64 exec, exec, s[20:21]
                                        ; implicit-def: $vgpr6
.LBB376_90:
	s_andn2_saveexec_b64 s[14:15], s[14:15]
; %bb.91:
	s_mov_b32 s20, 0x7f800000
	v_mov_b32_e32 v5, 0x7c
	v_mov_b32_e32 v7, 0x7f
	v_cmp_lt_u32_e32 vcc, s20, v6
	s_nop 1
	v_cndmask_b32_e32 v5, v5, v7, vcc
; %bb.92:
	s_or_b64 exec, exec, s[14:15]
	v_lshrrev_b32_e32 v4, 24, v4
	s_movk_i32 s14, 0x80
	v_and_or_b32 v4, v4, s14, v5
	global_store_byte v[2:3], v4, off
.LBB376_93:
	s_mov_b64 s[20:21], 0
	s_mov_b64 s[14:15], -1
.LBB376_94:
	s_andn2_b64 vcc, exec, s[20:21]
	s_cbranch_vccnz .LBB376_102
; %bb.95:
	s_cmp_gt_i32 s27, 14
	s_mov_b64 s[20:21], -1
	s_cbranch_scc0 .LBB376_99
; %bb.96:
	s_cmp_eq_u32 s27, 15
	s_mov_b64 s[0:1], -1
	s_cbranch_scc0 .LBB376_98
; %bb.97:
	v_xor_b32_e32 v5, v0, v1
	v_ffbh_i32_e32 v4, v1
	v_ashrrev_i32_e32 v5, 31, v5
	v_add_u32_e32 v4, -1, v4
	v_add_u32_e32 v5, 32, v5
	v_min_u32_e32 v6, v4, v5
	v_lshlrev_b64 v[4:5], v6, v[0:1]
	v_min_u32_e32 v4, 1, v4
	v_or_b32_e32 v4, v5, v4
	v_cvt_f32_i32_e32 v4, v4
	v_sub_u32_e32 v5, 32, v6
	s_movk_i32 s0, 0x7fff
	s_mov_b64 s[14:15], -1
	v_ldexp_f32 v4, v4, v5
	v_bfe_u32 v5, v4, 16, 1
	v_add3_u32 v4, v4, v5, s0
	global_store_short_d16_hi v[2:3], v4, off
	s_mov_b64 s[0:1], 0
.LBB376_98:
	s_mov_b64 s[20:21], 0
.LBB376_99:
	s_and_b64 vcc, exec, s[20:21]
	s_cbranch_vccz .LBB376_102
; %bb.100:
	s_cmp_eq_u32 s27, 11
	s_mov_b64 s[0:1], -1
	s_cbranch_scc0 .LBB376_102
; %bb.101:
	v_cmp_ne_u64_e32 vcc, 0, v[0:1]
	s_mov_b64 s[0:1], 0
	s_mov_b64 s[14:15], -1
	v_cndmask_b32_e64 v4, 0, 1, vcc
	global_store_byte v[2:3], v4, off
.LBB376_102:
	s_branch .LBB376_20
.LBB376_103:
	s_and_b32 s20, 0xffff, s26
	s_cmp_lt_i32 s20, 5
	s_mov_b64 s[14:15], -1
	s_cbranch_scc1 .LBB376_124
; %bb.104:
	s_cmp_lt_i32 s20, 8
	s_cbranch_scc1 .LBB376_114
; %bb.105:
	s_cmp_lt_i32 s20, 9
	s_cbranch_scc1 .LBB376_111
; %bb.106:
	s_cmp_gt_i32 s20, 9
	s_cbranch_scc0 .LBB376_108
; %bb.107:
	v_cvt_f64_i32_e32 v[4:5], v1
	v_ldexp_f64 v[4:5], v[4:5], 32
	v_cvt_f64_u32_e32 v[6:7], v0
	v_add_f64 v[4:5], v[4:5], v[6:7]
	v_mov_b32_e32 v6, 0
	v_mov_b32_e32 v7, v6
	global_store_dwordx4 v[2:3], v[4:7], off
	s_mov_b64 s[14:15], 0
.LBB376_108:
	s_andn2_b64 vcc, exec, s[14:15]
	s_cbranch_vccnz .LBB376_110
; %bb.109:
	v_xor_b32_e32 v5, v0, v1
	v_ffbh_i32_e32 v4, v1
	v_ashrrev_i32_e32 v5, 31, v5
	v_add_u32_e32 v4, -1, v4
	v_add_u32_e32 v5, 32, v5
	v_min_u32_e32 v6, v4, v5
	v_lshlrev_b64 v[4:5], v6, v[0:1]
	v_min_u32_e32 v4, 1, v4
	v_or_b32_e32 v4, v5, v4
	v_cvt_f32_i32_e32 v4, v4
	v_sub_u32_e32 v5, 32, v6
	v_ldexp_f32 v4, v4, v5
	v_mov_b32_e32 v5, 0
	global_store_dwordx2 v[2:3], v[4:5], off
.LBB376_110:
	s_mov_b64 s[14:15], 0
.LBB376_111:
	s_andn2_b64 vcc, exec, s[14:15]
	s_cbranch_vccnz .LBB376_113
; %bb.112:
	v_xor_b32_e32 v5, v0, v1
	v_ffbh_i32_e32 v4, v1
	v_ashrrev_i32_e32 v5, 31, v5
	v_add_u32_e32 v4, -1, v4
	v_add_u32_e32 v5, 32, v5
	v_min_u32_e32 v6, v4, v5
	v_lshlrev_b64 v[4:5], v6, v[0:1]
	v_min_u32_e32 v4, 1, v4
	v_or_b32_e32 v4, v5, v4
	v_cvt_f32_i32_e32 v4, v4
	v_sub_u32_e32 v5, 32, v6
	v_ldexp_f32 v4, v4, v5
	v_cvt_f16_f32_e32 v4, v4
	global_store_dword v[2:3], v4, off
.LBB376_113:
	s_mov_b64 s[14:15], 0
.LBB376_114:
	s_andn2_b64 vcc, exec, s[14:15]
	s_cbranch_vccnz .LBB376_123
; %bb.115:
	s_cmp_lt_i32 s20, 6
	s_mov_b64 s[14:15], -1
	s_cbranch_scc1 .LBB376_121
; %bb.116:
	s_cmp_gt_i32 s20, 6
	s_cbranch_scc0 .LBB376_118
; %bb.117:
	v_cvt_f64_i32_e32 v[4:5], v1
	v_ldexp_f64 v[4:5], v[4:5], 32
	v_cvt_f64_u32_e32 v[6:7], v0
	v_add_f64 v[4:5], v[4:5], v[6:7]
	global_store_dwordx2 v[2:3], v[4:5], off
	s_mov_b64 s[14:15], 0
.LBB376_118:
	s_andn2_b64 vcc, exec, s[14:15]
	s_cbranch_vccnz .LBB376_120
; %bb.119:
	v_xor_b32_e32 v5, v0, v1
	v_ffbh_i32_e32 v4, v1
	v_ashrrev_i32_e32 v5, 31, v5
	v_add_u32_e32 v4, -1, v4
	v_add_u32_e32 v5, 32, v5
	v_min_u32_e32 v6, v4, v5
	v_lshlrev_b64 v[4:5], v6, v[0:1]
	v_min_u32_e32 v4, 1, v4
	v_or_b32_e32 v4, v5, v4
	v_cvt_f32_i32_e32 v4, v4
	v_sub_u32_e32 v5, 32, v6
	v_ldexp_f32 v4, v4, v5
	global_store_dword v[2:3], v4, off
.LBB376_120:
	s_mov_b64 s[14:15], 0
.LBB376_121:
	s_andn2_b64 vcc, exec, s[14:15]
	s_cbranch_vccnz .LBB376_123
; %bb.122:
	v_xor_b32_e32 v5, v0, v1
	v_ffbh_i32_e32 v4, v1
	v_ashrrev_i32_e32 v5, 31, v5
	v_add_u32_e32 v4, -1, v4
	v_add_u32_e32 v5, 32, v5
	v_min_u32_e32 v6, v4, v5
	v_lshlrev_b64 v[4:5], v6, v[0:1]
	v_min_u32_e32 v4, 1, v4
	v_or_b32_e32 v4, v5, v4
	v_cvt_f32_i32_e32 v4, v4
	v_sub_u32_e32 v5, 32, v6
	v_ldexp_f32 v4, v4, v5
	v_cvt_f16_f32_e32 v4, v4
	global_store_short v[2:3], v4, off
.LBB376_123:
	s_mov_b64 s[14:15], 0
.LBB376_124:
	s_andn2_b64 vcc, exec, s[14:15]
	s_cbranch_vccnz .LBB376_140
; %bb.125:
	s_cmp_lt_i32 s20, 2
	s_mov_b64 s[14:15], -1
	s_cbranch_scc1 .LBB376_135
; %bb.126:
	s_cmp_lt_i32 s20, 3
	s_cbranch_scc1 .LBB376_132
; %bb.127:
	s_cmp_gt_i32 s20, 3
	s_cbranch_scc0 .LBB376_129
; %bb.128:
	global_store_dwordx2 v[2:3], v[0:1], off
	s_mov_b64 s[14:15], 0
.LBB376_129:
	s_andn2_b64 vcc, exec, s[14:15]
	s_cbranch_vccnz .LBB376_131
; %bb.130:
	global_store_dword v[2:3], v0, off
.LBB376_131:
	s_mov_b64 s[14:15], 0
.LBB376_132:
	s_andn2_b64 vcc, exec, s[14:15]
	s_cbranch_vccnz .LBB376_134
; %bb.133:
	global_store_short v[2:3], v0, off
.LBB376_134:
	s_mov_b64 s[14:15], 0
.LBB376_135:
	s_andn2_b64 vcc, exec, s[14:15]
	s_cbranch_vccnz .LBB376_140
; %bb.136:
	s_cmp_gt_i32 s20, 0
	s_mov_b64 s[14:15], -1
	s_cbranch_scc0 .LBB376_138
; %bb.137:
	global_store_byte v[2:3], v0, off
	s_mov_b64 s[14:15], 0
.LBB376_138:
	s_andn2_b64 vcc, exec, s[14:15]
	s_cbranch_vccnz .LBB376_140
; %bb.139:
	global_store_byte v[2:3], v0, off
.LBB376_140:
	s_branch .LBB376_21
.LBB376_141:
	s_mov_b64 s[20:21], 0
                                        ; implicit-def: $vgpr10
	s_branch .LBB376_247
.LBB376_142:
	s_mov_b64 s[16:17], -1
                                        ; implicit-def: $vgpr2_vgpr3
.LBB376_143:
	s_mov_b64 s[14:15], 0
.LBB376_144:
	s_and_b64 vcc, exec, s[14:15]
	s_cbranch_vccz .LBB376_148
; %bb.145:
	s_cmp_eq_u32 s20, 29
	s_cbranch_scc0 .LBB376_147
; %bb.146:
	global_load_dwordx2 v[2:3], v[0:1], off
	s_mov_b64 s[0:1], -1
	s_mov_b64 s[16:17], 0
	s_branch .LBB376_148
.LBB376_147:
	s_mov_b64 s[16:17], -1
                                        ; implicit-def: $vgpr2_vgpr3
.LBB376_148:
	s_mov_b64 s[14:15], 0
.LBB376_149:
	s_and_b64 vcc, exec, s[14:15]
	s_cbranch_vccz .LBB376_165
; %bb.150:
	s_cmp_lt_i32 s20, 27
	s_cbranch_scc1 .LBB376_153
; %bb.151:
	s_cmp_gt_i32 s20, 27
	s_cbranch_scc0 .LBB376_154
; %bb.152:
	global_load_dword v2, v[0:1], off
	s_waitcnt vmcnt(1)
	v_mov_b32_e32 v3, 0
	s_mov_b64 s[0:1], 0
	s_branch .LBB376_155
.LBB376_153:
	s_mov_b64 s[0:1], -1
                                        ; implicit-def: $vgpr2_vgpr3
	s_branch .LBB376_158
.LBB376_154:
	s_mov_b64 s[0:1], -1
                                        ; implicit-def: $vgpr2_vgpr3
.LBB376_155:
	s_andn2_b64 vcc, exec, s[0:1]
	s_cbranch_vccnz .LBB376_157
; %bb.156:
	global_load_ushort v2, v[0:1], off
	s_mov_b32 s0, 0
	s_waitcnt vmcnt(1)
	v_mov_b32_e32 v3, s0
	s_waitcnt vmcnt(0)
	v_and_b32_e32 v2, 0xffff, v2
.LBB376_157:
	s_mov_b64 s[0:1], 0
.LBB376_158:
	s_andn2_b64 vcc, exec, s[0:1]
	s_cbranch_vccnz .LBB376_164
; %bb.159:
	global_load_ubyte v4, v[0:1], off
	s_movk_i32 s0, 0x7f
	s_mov_b64 s[14:15], 0
	s_waitcnt vmcnt(0)
	v_cmp_lt_i16_e32 vcc, s0, v4
	s_and_saveexec_b64 s[0:1], vcc
	s_xor_b64 s[0:1], exec, s[0:1]
	s_cbranch_execz .LBB376_175
; %bb.160:
	s_movk_i32 s14, 0x80
	v_cmp_ne_u16_e32 vcc, s14, v4
	s_and_b64 s[14:15], vcc, exec
	s_andn2_saveexec_b64 s[0:1], s[0:1]
	s_cbranch_execnz .LBB376_176
.LBB376_161:
	s_or_b64 exec, exec, s[0:1]
	v_mov_b64_e32 v[2:3], 0
	s_and_saveexec_b64 s[0:1], s[14:15]
	s_cbranch_execz .LBB376_163
.LBB376_162:
	v_and_b32_e32 v3, 0xffff, v4
	v_lshlrev_b32_e32 v2, 24, v4
	v_and_b32_e32 v4, 7, v3
	v_ffbh_u32_e32 v6, v4
	v_min_u32_e32 v6, 32, v6
	v_subrev_u32_e32 v7, 28, v6
	v_bfe_u32 v5, v3, 3, 4
	v_lshlrev_b32_e32 v3, v7, v3
	v_sub_u32_e32 v6, 29, v6
	v_and_b32_e32 v3, 7, v3
	v_cmp_eq_u32_e32 vcc, 0, v5
	v_and_b32_e32 v2, 0x80000000, v2
	s_mov_b32 s14, 0x2f800000
	v_cndmask_b32_e32 v5, v5, v6, vcc
	v_cndmask_b32_e32 v3, v4, v3, vcc
	v_mov_b32_e32 v4, 0x3b800000
	v_lshlrev_b32_e32 v3, 20, v3
	v_lshl_add_u32 v4, v5, 23, v4
	v_or3_b32 v2, v2, v4, v3
	v_trunc_f32_e32 v2, v2
	v_mul_f32_e64 v3, |v2|, s14
	v_floor_f32_e32 v3, v3
	s_mov_b32 s14, 0xcf800000
	v_fma_f32 v4, v3, s14, |v2|
	v_cvt_u32_f32_e32 v4, v4
	v_cvt_u32_f32_e32 v3, v3
	v_ashrrev_i32_e32 v5, 31, v2
	v_xor_b32_e32 v2, v4, v5
	v_xor_b32_e32 v3, v3, v5
	v_sub_co_u32_e32 v2, vcc, v2, v5
	s_nop 1
	v_subb_co_u32_e32 v3, vcc, v3, v5, vcc
.LBB376_163:
	s_or_b64 exec, exec, s[0:1]
.LBB376_164:
	s_mov_b64 s[0:1], -1
.LBB376_165:
	s_branch .LBB376_198
.LBB376_166:
	s_cmp_gt_i32 s20, 22
	s_cbranch_scc0 .LBB376_174
; %bb.167:
	s_cmp_lt_i32 s20, 24
	s_cbranch_scc1 .LBB376_177
; %bb.168:
	s_cmp_gt_i32 s20, 24
	s_cbranch_scc0 .LBB376_178
; %bb.169:
	global_load_ubyte v4, v[0:1], off
	s_movk_i32 s0, 0x7f
	s_mov_b64 s[14:15], 0
	s_waitcnt vmcnt(0)
	v_cmp_lt_i16_e32 vcc, s0, v4
	s_and_saveexec_b64 s[0:1], vcc
	s_xor_b64 s[0:1], exec, s[0:1]
	s_cbranch_execz .LBB376_190
; %bb.170:
	s_movk_i32 s14, 0x80
	v_cmp_ne_u16_e32 vcc, s14, v4
	s_and_b64 s[14:15], vcc, exec
	s_andn2_saveexec_b64 s[0:1], s[0:1]
	s_cbranch_execnz .LBB376_191
.LBB376_171:
	s_or_b64 exec, exec, s[0:1]
	v_mov_b64_e32 v[2:3], 0
	s_and_saveexec_b64 s[0:1], s[14:15]
	s_cbranch_execz .LBB376_173
.LBB376_172:
	v_and_b32_e32 v3, 0xffff, v4
	v_lshlrev_b32_e32 v2, 24, v4
	v_and_b32_e32 v4, 3, v3
	v_ffbh_u32_e32 v6, v4
	v_min_u32_e32 v6, 32, v6
	v_subrev_u32_e32 v7, 29, v6
	v_bfe_u32 v5, v3, 2, 5
	v_lshlrev_b32_e32 v3, v7, v3
	v_sub_u32_e32 v6, 30, v6
	v_and_b32_e32 v3, 3, v3
	v_cmp_eq_u32_e32 vcc, 0, v5
	v_and_b32_e32 v2, 0x80000000, v2
	s_mov_b32 s14, 0x2f800000
	v_cndmask_b32_e32 v5, v5, v6, vcc
	v_cndmask_b32_e32 v3, v4, v3, vcc
	v_mov_b32_e32 v4, 0x37800000
	v_lshlrev_b32_e32 v3, 21, v3
	v_lshl_add_u32 v4, v5, 23, v4
	v_or3_b32 v2, v2, v4, v3
	v_trunc_f32_e32 v2, v2
	v_mul_f32_e64 v3, |v2|, s14
	v_floor_f32_e32 v3, v3
	s_mov_b32 s14, 0xcf800000
	v_fma_f32 v4, v3, s14, |v2|
	v_cvt_u32_f32_e32 v4, v4
	v_cvt_u32_f32_e32 v3, v3
	v_ashrrev_i32_e32 v5, 31, v2
	v_xor_b32_e32 v2, v4, v5
	v_xor_b32_e32 v3, v3, v5
	v_sub_co_u32_e32 v2, vcc, v2, v5
	s_nop 1
	v_subb_co_u32_e32 v3, vcc, v3, v5, vcc
.LBB376_173:
	s_or_b64 exec, exec, s[0:1]
	s_mov_b64 s[0:1], 0
	s_branch .LBB376_179
.LBB376_174:
	s_mov_b64 s[14:15], -1
                                        ; implicit-def: $vgpr2_vgpr3
	s_branch .LBB376_185
.LBB376_175:
	s_andn2_saveexec_b64 s[0:1], s[0:1]
	s_cbranch_execz .LBB376_161
.LBB376_176:
	v_cmp_ne_u16_e32 vcc, 0, v4
	s_andn2_b64 s[14:15], s[14:15], exec
	s_and_b64 s[24:25], vcc, exec
	s_or_b64 s[14:15], s[14:15], s[24:25]
	s_or_b64 exec, exec, s[0:1]
	v_mov_b64_e32 v[2:3], 0
	s_and_saveexec_b64 s[0:1], s[14:15]
	s_cbranch_execnz .LBB376_162
	s_branch .LBB376_163
.LBB376_177:
	s_mov_b64 s[0:1], -1
                                        ; implicit-def: $vgpr2_vgpr3
	s_branch .LBB376_182
.LBB376_178:
	s_mov_b64 s[0:1], -1
                                        ; implicit-def: $vgpr2_vgpr3
.LBB376_179:
	s_and_b64 vcc, exec, s[0:1]
	s_cbranch_vccz .LBB376_181
; %bb.180:
	global_load_ubyte v2, v[0:1], off
	s_mov_b32 s0, 0x7f800000
	s_brev_b32 s1, 1
	s_mov_b32 s14, 0x2f800000
	s_mov_b32 s15, 0xcf800000
	s_waitcnt vmcnt(0)
	v_lshlrev_b32_e32 v2, 24, v2
	v_and_b32_e32 v3, 0x7f000000, v2
	v_ffbh_u32_e32 v4, v3
	v_min_u32_e32 v4, 32, v4
	v_sub_u32_e64 v4, v4, 4 clamp
	v_lshlrev_b32_e32 v6, v4, v3
	v_lshlrev_b32_e32 v4, 23, v4
	v_lshrrev_b32_e32 v6, 4, v6
	v_add_u32_e32 v5, 0x1000000, v3
	v_sub_u32_e32 v4, v6, v4
	v_ashrrev_i32_e32 v5, 8, v5
	v_add_u32_e32 v4, 0x3c000000, v4
	v_and_or_b32 v4, v5, s0, v4
	v_cmp_ne_u32_e32 vcc, 0, v3
	s_nop 1
	v_cndmask_b32_e32 v3, 0, v4, vcc
	v_and_or_b32 v2, v2, s1, v3
	v_trunc_f32_e32 v2, v2
	v_mul_f32_e64 v3, |v2|, s14
	v_floor_f32_e32 v3, v3
	v_fma_f32 v4, v3, s15, |v2|
	v_cvt_u32_f32_e32 v4, v4
	v_cvt_u32_f32_e32 v3, v3
	v_ashrrev_i32_e32 v5, 31, v2
	v_xor_b32_e32 v2, v4, v5
	v_xor_b32_e32 v3, v3, v5
	v_sub_co_u32_e32 v2, vcc, v2, v5
	s_nop 1
	v_subb_co_u32_e32 v3, vcc, v3, v5, vcc
.LBB376_181:
	s_mov_b64 s[0:1], 0
.LBB376_182:
	s_andn2_b64 vcc, exec, s[0:1]
	s_cbranch_vccnz .LBB376_184
; %bb.183:
	global_load_ubyte v2, v[0:1], off
	s_movk_i32 s0, 0x7f00
	s_brev_b32 s1, 16
	s_brev_b32 s14, 1
	s_mov_b32 s15, 0x2f800000
	s_mov_b32 s21, 0xcf800000
	s_waitcnt vmcnt(0)
	v_lshlrev_b16_e32 v3, 8, v2
	v_lshlrev_b32_e32 v2, 25, v2
	v_lshrrev_b32_e32 v4, 4, v2
	v_and_or_b32 v5, v3, s0, 0.5
	v_or_b32_e32 v4, 0x70000000, v4
	v_add_f32_e32 v5, -0.5, v5
	v_mul_f32_e32 v4, 0x7800000, v4
	v_cmp_gt_u32_e32 vcc, s1, v2
	v_bfe_i32 v3, v3, 0, 16
	s_nop 0
	v_cndmask_b32_e32 v2, v4, v5, vcc
	v_and_or_b32 v2, v3, s14, v2
	v_trunc_f32_e32 v2, v2
	v_mul_f32_e64 v3, |v2|, s15
	v_floor_f32_e32 v3, v3
	v_fma_f32 v4, v3, s21, |v2|
	v_cvt_u32_f32_e32 v4, v4
	v_cvt_u32_f32_e32 v3, v3
	v_ashrrev_i32_e32 v5, 31, v2
	v_xor_b32_e32 v2, v4, v5
	v_xor_b32_e32 v3, v3, v5
	v_sub_co_u32_e32 v2, vcc, v2, v5
	s_nop 1
	v_subb_co_u32_e32 v3, vcc, v3, v5, vcc
.LBB376_184:
	s_mov_b64 s[14:15], 0
	s_mov_b64 s[0:1], -1
.LBB376_185:
	s_andn2_b64 vcc, exec, s[14:15]
	s_cbranch_vccnz .LBB376_198
; %bb.186:
	s_cmp_gt_i32 s20, 14
	s_cbranch_scc0 .LBB376_189
; %bb.187:
	s_cmp_eq_u32 s20, 15
	s_cbranch_scc0 .LBB376_192
; %bb.188:
	global_load_ushort v2, v[0:1], off
	s_mov_b32 s0, 0x2f800000
	s_mov_b32 s1, 0xcf800000
	s_mov_b64 s[16:17], 0
	s_waitcnt vmcnt(0)
	v_lshlrev_b32_e32 v2, 16, v2
	v_trunc_f32_e32 v2, v2
	v_mul_f32_e64 v3, |v2|, s0
	v_floor_f32_e32 v3, v3
	v_fma_f32 v4, v3, s1, |v2|
	v_cvt_u32_f32_e32 v4, v4
	v_cvt_u32_f32_e32 v3, v3
	v_ashrrev_i32_e32 v5, 31, v2
	s_mov_b64 s[0:1], -1
	v_xor_b32_e32 v2, v4, v5
	v_xor_b32_e32 v3, v3, v5
	v_sub_co_u32_e32 v2, vcc, v2, v5
	s_nop 1
	v_subb_co_u32_e32 v3, vcc, v3, v5, vcc
	s_branch .LBB376_193
.LBB376_189:
	s_mov_b64 s[14:15], -1
                                        ; implicit-def: $vgpr2_vgpr3
	s_branch .LBB376_194
.LBB376_190:
	s_andn2_saveexec_b64 s[0:1], s[0:1]
	s_cbranch_execz .LBB376_171
.LBB376_191:
	v_cmp_ne_u16_e32 vcc, 0, v4
	s_andn2_b64 s[14:15], s[14:15], exec
	s_and_b64 s[24:25], vcc, exec
	s_or_b64 s[14:15], s[14:15], s[24:25]
	s_or_b64 exec, exec, s[0:1]
	v_mov_b64_e32 v[2:3], 0
	s_and_saveexec_b64 s[0:1], s[14:15]
	s_cbranch_execnz .LBB376_172
	s_branch .LBB376_173
.LBB376_192:
	s_mov_b64 s[16:17], -1
                                        ; implicit-def: $vgpr2_vgpr3
.LBB376_193:
	s_mov_b64 s[14:15], 0
.LBB376_194:
	s_and_b64 vcc, exec, s[14:15]
	s_cbranch_vccz .LBB376_198
; %bb.195:
	s_cmp_eq_u32 s20, 11
	s_cbranch_scc0 .LBB376_197
; %bb.196:
	global_load_ubyte v2, v[0:1], off
	s_mov_b32 s14, 0
	s_mov_b64 s[0:1], -1
	s_waitcnt vmcnt(1)
	v_mov_b32_e32 v3, s14
	s_mov_b64 s[16:17], 0
	s_waitcnt vmcnt(0)
	v_cmp_ne_u16_e32 vcc, 0, v2
	s_nop 1
	v_cndmask_b32_e64 v2, 0, 1, vcc
	s_branch .LBB376_198
.LBB376_197:
	s_mov_b64 s[16:17], -1
                                        ; implicit-def: $vgpr2_vgpr3
.LBB376_198:
	s_branch .LBB376_10
.LBB376_199:
	s_cmp_lt_i32 s20, 5
	s_cbranch_scc1 .LBB376_204
; %bb.200:
	s_cmp_lt_i32 s20, 8
	s_cbranch_scc1 .LBB376_205
; %bb.201:
	;; [unrolled: 3-line block ×3, first 2 shown]
	s_cmp_gt_i32 s20, 9
	s_cbranch_scc0 .LBB376_207
; %bb.203:
	global_load_dwordx2 v[2:3], v[0:1], off
	s_movk_i32 s0, 0xffe0
	s_waitcnt vmcnt(0)
	v_trunc_f64_e32 v[4:5], v[2:3]
	v_ldexp_f64 v[2:3], v[4:5], s0
	v_floor_f64_e32 v[6:7], v[2:3]
	v_fmac_f64_e32 v[4:5], 0xc1f00000, v[6:7]
	v_cvt_i32_f64_e32 v3, v[6:7]
	v_cvt_u32_f64_e32 v2, v[4:5]
	s_mov_b64 s[0:1], 0
	s_branch .LBB376_208
.LBB376_204:
                                        ; implicit-def: $vgpr2_vgpr3
	s_branch .LBB376_226
.LBB376_205:
	s_mov_b64 s[0:1], -1
                                        ; implicit-def: $vgpr2_vgpr3
	s_branch .LBB376_214
.LBB376_206:
	s_mov_b64 s[0:1], -1
                                        ; implicit-def: $vgpr2_vgpr3
	s_branch .LBB376_211
.LBB376_207:
	s_mov_b64 s[0:1], -1
                                        ; implicit-def: $vgpr2_vgpr3
.LBB376_208:
	s_andn2_b64 vcc, exec, s[0:1]
	s_cbranch_vccnz .LBB376_210
; %bb.209:
	global_load_dword v2, v[0:1], off
	s_mov_b32 s0, 0x2f800000
	s_mov_b32 s1, 0xcf800000
	s_waitcnt vmcnt(0)
	v_trunc_f32_e32 v2, v2
	v_mul_f32_e64 v3, |v2|, s0
	v_floor_f32_e32 v3, v3
	v_cvt_u32_f32_e32 v4, v3
	v_fma_f32 v3, v3, s1, |v2|
	v_cvt_u32_f32_e32 v3, v3
	v_ashrrev_i32_e32 v5, 31, v2
	v_xor_b32_e32 v4, v4, v5
	v_xor_b32_e32 v2, v3, v5
	v_sub_co_u32_e32 v2, vcc, v2, v5
	s_nop 1
	v_subb_co_u32_e32 v3, vcc, v4, v5, vcc
.LBB376_210:
	s_mov_b64 s[0:1], 0
.LBB376_211:
	s_andn2_b64 vcc, exec, s[0:1]
	s_cbranch_vccnz .LBB376_213
; %bb.212:
	global_load_dword v2, v[0:1], off
	s_waitcnt vmcnt(0)
	v_cvt_f32_f16_e32 v2, v2
	v_cvt_i32_f32_e32 v2, v2
	v_ashrrev_i32_e32 v3, 31, v2
.LBB376_213:
	s_mov_b64 s[0:1], 0
.LBB376_214:
	s_andn2_b64 vcc, exec, s[0:1]
	s_cbranch_vccnz .LBB376_225
; %bb.215:
	s_cmp_lt_i32 s20, 6
	s_cbranch_scc1 .LBB376_218
; %bb.216:
	s_cmp_gt_i32 s20, 6
	s_cbranch_scc0 .LBB376_219
; %bb.217:
	global_load_dwordx2 v[2:3], v[0:1], off
	s_movk_i32 s0, 0xffe0
	s_waitcnt vmcnt(0)
	v_trunc_f64_e32 v[4:5], v[2:3]
	v_ldexp_f64 v[2:3], v[4:5], s0
	v_floor_f64_e32 v[6:7], v[2:3]
	v_fmac_f64_e32 v[4:5], 0xc1f00000, v[6:7]
	v_cvt_i32_f64_e32 v3, v[6:7]
	v_cvt_u32_f64_e32 v2, v[4:5]
	s_mov_b64 s[0:1], 0
	s_branch .LBB376_220
.LBB376_218:
	s_mov_b64 s[0:1], -1
                                        ; implicit-def: $vgpr2_vgpr3
	s_branch .LBB376_223
.LBB376_219:
	s_mov_b64 s[0:1], -1
                                        ; implicit-def: $vgpr2_vgpr3
.LBB376_220:
	s_andn2_b64 vcc, exec, s[0:1]
	s_cbranch_vccnz .LBB376_222
; %bb.221:
	global_load_dword v2, v[0:1], off
	s_mov_b32 s0, 0x2f800000
	s_mov_b32 s1, 0xcf800000
	s_waitcnt vmcnt(0)
	v_trunc_f32_e32 v2, v2
	v_mul_f32_e64 v3, |v2|, s0
	v_floor_f32_e32 v3, v3
	v_cvt_u32_f32_e32 v4, v3
	v_fma_f32 v3, v3, s1, |v2|
	v_cvt_u32_f32_e32 v3, v3
	v_ashrrev_i32_e32 v5, 31, v2
	v_xor_b32_e32 v4, v4, v5
	v_xor_b32_e32 v2, v3, v5
	v_sub_co_u32_e32 v2, vcc, v2, v5
	s_nop 1
	v_subb_co_u32_e32 v3, vcc, v4, v5, vcc
.LBB376_222:
	s_mov_b64 s[0:1], 0
.LBB376_223:
	s_andn2_b64 vcc, exec, s[0:1]
	s_cbranch_vccnz .LBB376_225
; %bb.224:
	global_load_ushort v2, v[0:1], off
	s_waitcnt vmcnt(0)
	v_cvt_f32_f16_e32 v2, v2
	v_cvt_i32_f32_e32 v2, v2
	v_ashrrev_i32_e32 v3, 31, v2
.LBB376_225:
	s_cbranch_execnz .LBB376_245
.LBB376_226:
	s_cmp_lt_i32 s20, 2
	s_cbranch_scc1 .LBB376_230
; %bb.227:
	s_cmp_lt_i32 s20, 3
	s_cbranch_scc1 .LBB376_231
; %bb.228:
	s_cmp_gt_i32 s20, 3
	s_cbranch_scc0 .LBB376_232
; %bb.229:
	global_load_dwordx2 v[2:3], v[0:1], off
	s_mov_b64 s[0:1], 0
	s_branch .LBB376_233
.LBB376_230:
	s_mov_b64 s[0:1], -1
                                        ; implicit-def: $vgpr2_vgpr3
	s_branch .LBB376_239
.LBB376_231:
	s_mov_b64 s[0:1], -1
                                        ; implicit-def: $vgpr2_vgpr3
	s_branch .LBB376_236
.LBB376_232:
	s_mov_b64 s[0:1], -1
                                        ; implicit-def: $vgpr2_vgpr3
.LBB376_233:
	s_andn2_b64 vcc, exec, s[0:1]
	s_cbranch_vccnz .LBB376_235
; %bb.234:
	global_load_dword v2, v[0:1], off
	s_waitcnt vmcnt(0)
	v_ashrrev_i32_e32 v3, 31, v2
.LBB376_235:
	s_mov_b64 s[0:1], 0
.LBB376_236:
	s_andn2_b64 vcc, exec, s[0:1]
	s_cbranch_vccnz .LBB376_238
; %bb.237:
	global_load_ushort v2, v[0:1], off
	s_waitcnt vmcnt(0)
	v_bfe_i32 v2, v2, 0, 16
	v_ashrrev_i32_e32 v3, 31, v2
.LBB376_238:
	s_mov_b64 s[0:1], 0
.LBB376_239:
	s_andn2_b64 vcc, exec, s[0:1]
	s_cbranch_vccnz .LBB376_245
; %bb.240:
	s_cmp_gt_i32 s20, 0
	s_cbranch_scc0 .LBB376_242
; %bb.241:
	global_load_sbyte v2, v[0:1], off
	s_mov_b64 s[0:1], 0
	s_waitcnt vmcnt(0)
	v_bfe_i32 v2, v2, 0, 16
	v_ashrrev_i32_e32 v3, 31, v2
	s_branch .LBB376_243
.LBB376_242:
	s_mov_b64 s[0:1], -1
                                        ; implicit-def: $vgpr2_vgpr3
.LBB376_243:
	s_andn2_b64 vcc, exec, s[0:1]
	s_cbranch_vccnz .LBB376_245
; %bb.244:
	global_load_ubyte v0, v[0:1], off
	s_mov_b32 s0, 0
	s_waitcnt vmcnt(1)
	v_mov_b32_e32 v3, s0
	s_waitcnt vmcnt(0)
	v_and_b32_e32 v2, 0xffff, v0
.LBB376_245:
	s_branch .LBB376_11
.LBB376_246:
	s_mov_b64 s[0:1], 0
                                        ; implicit-def: $vgpr10
	s_mov_b64 s[20:21], 0
.LBB376_247:
	s_and_b64 s[14:15], s[0:1], exec
	s_and_b64 s[16:17], s[16:17], exec
	s_orn2_b64 s[20:21], s[20:21], exec
.LBB376_248:
	s_or_b64 exec, exec, s[18:19]
	s_mov_b64 s[24:25], 0
	s_mov_b64 s[0:1], 0
                                        ; implicit-def: $vgpr0_vgpr1
                                        ; implicit-def: $vgpr4_vgpr5
	s_and_saveexec_b64 s[18:19], s[20:21]
	s_cbranch_execz .LBB376_257
; %bb.249:
	v_cmp_gt_i32_e32 vcc, s40, v10
	s_mov_b64 s[0:1], -1
	s_mov_b64 s[20:21], s[16:17]
	s_mov_b64 s[22:23], s[14:15]
	s_and_saveexec_b64 s[24:25], vcc
	s_cbranch_execz .LBB376_505
; %bb.250:
	v_mul_lo_u32 v0, v10, s9
	v_ashrrev_i32_e32 v1, 31, v0
	s_and_b32 s26, 0xffff, s44
	s_cmp_lt_i32 s26, 11
	v_lshl_add_u64 v[0:1], s[6:7], 0, v[0:1]
	s_cbranch_scc1 .LBB376_260
; %bb.251:
	s_cmp_gt_i32 s26, 25
	s_cbranch_scc0 .LBB376_269
; %bb.252:
	s_cmp_gt_i32 s26, 28
	s_cbranch_scc0 .LBB376_271
	;; [unrolled: 3-line block ×4, first 2 shown]
; %bb.255:
	s_cmp_eq_u32 s26, 46
	s_mov_b64 s[22:23], 0
	s_cbranch_scc0 .LBB376_281
; %bb.256:
	global_load_dword v2, v[0:1], off
	s_mov_b32 s0, 0x2f800000
	s_mov_b32 s1, 0xcf800000
	s_mov_b64 s[20:21], 0
	s_waitcnt vmcnt(0)
	v_lshlrev_b32_e32 v2, 16, v2
	v_trunc_f32_e32 v2, v2
	v_mul_f32_e64 v3, |v2|, s0
	v_floor_f32_e32 v3, v3
	v_fma_f32 v4, v3, s1, |v2|
	v_cvt_u32_f32_e32 v4, v4
	v_cvt_u32_f32_e32 v3, v3
	v_ashrrev_i32_e32 v5, 31, v2
	s_mov_b64 s[0:1], -1
	v_xor_b32_e32 v2, v4, v5
	v_xor_b32_e32 v3, v3, v5
	v_sub_co_u32_e32 v2, vcc, v2, v5
	s_nop 1
	v_subb_co_u32_e32 v3, vcc, v3, v5, vcc
	s_branch .LBB376_282
.LBB376_257:
	s_or_b64 exec, exec, s[18:19]
	s_mov_b64 s[18:19], 0
	s_and_saveexec_b64 s[20:21], s[16:17]
	s_cbranch_execnz .LBB376_843
.LBB376_258:
	s_or_b64 exec, exec, s[20:21]
	s_and_saveexec_b64 s[16:17], s[22:23]
	s_xor_b64 s[16:17], exec, s[16:17]
	s_cbranch_execz .LBB376_844
.LBB376_259:
	global_load_ubyte v2, v[0:1], off
	s_mov_b32 s20, 0
	s_waitcnt vmcnt(1)
	v_mov_b32_e32 v5, s20
	s_or_b64 s[0:1], s[0:1], exec
	s_waitcnt vmcnt(0)
	v_cmp_ne_u16_e32 vcc, 0, v2
	s_nop 1
	v_cndmask_b32_e64 v4, 0, 1, vcc
	s_or_b64 exec, exec, s[16:17]
	s_and_saveexec_b64 s[16:17], s[24:25]
	s_cbranch_execz .LBB376_890
	s_branch .LBB376_845
.LBB376_260:
	s_mov_b64 s[0:1], 0
                                        ; implicit-def: $vgpr2_vgpr3
	s_mov_b64 s[20:21], s[16:17]
	s_cbranch_execnz .LBB376_455
.LBB376_261:
	s_andn2_b64 vcc, exec, s[0:1]
	s_cbranch_vccnz .LBB376_503
.LBB376_262:
	v_mov_b32_e32 v0, s11
	s_waitcnt vmcnt(0)
	v_cmp_lt_i64_e32 vcc, s[10:11], v[2:3]
	s_and_b32 s30, s33, 0xff
	s_cmp_lt_i32 s30, 11
	v_cndmask_b32_e32 v1, v0, v3, vcc
	v_mov_b32_e32 v0, s10
	v_cndmask_b32_e32 v0, v0, v2, vcc
	v_mul_lo_u32 v2, v10, s8
	v_ashrrev_i32_e32 v3, 31, v2
	v_lshl_add_u64 v[2:3], s[4:5], 0, v[2:3]
	s_cbranch_scc1 .LBB376_270
; %bb.263:
	s_and_b32 s31, 0xffff, s30
	s_cmp_gt_i32 s31, 25
	s_cbranch_scc0 .LBB376_272
; %bb.264:
	s_cmp_gt_i32 s31, 28
	s_cbranch_scc0 .LBB376_274
; %bb.265:
	;; [unrolled: 3-line block ×4, first 2 shown]
	s_mov_b64 s[26:27], 0
	s_mov_b64 s[0:1], -1
	s_cmp_eq_u32 s31, 46
	s_mov_b64 s[22:23], 0
	s_cbranch_scc0 .LBB376_286
; %bb.268:
	v_xor_b32_e32 v5, v0, v1
	v_ffbh_i32_e32 v4, v1
	v_ashrrev_i32_e32 v5, 31, v5
	v_add_u32_e32 v4, -1, v4
	v_add_u32_e32 v5, 32, v5
	v_min_u32_e32 v6, v4, v5
	v_lshlrev_b64 v[4:5], v6, v[0:1]
	v_min_u32_e32 v4, 1, v4
	v_or_b32_e32 v4, v5, v4
	v_cvt_f32_i32_e32 v4, v4
	v_sub_u32_e32 v5, 32, v6
	s_movk_i32 s0, 0x7fff
	s_mov_b64 s[22:23], -1
	v_ldexp_f32 v4, v4, v5
	v_bfe_u32 v5, v4, 16, 1
	v_add3_u32 v4, v4, v5, s0
	v_lshrrev_b32_e32 v4, 16, v4
	global_store_dword v[2:3], v4, off
	s_mov_b64 s[0:1], 0
	s_branch .LBB376_286
.LBB376_269:
	s_mov_b64 s[22:23], -1
	s_mov_b64 s[0:1], 0
	s_mov_b64 s[20:21], s[16:17]
                                        ; implicit-def: $vgpr2_vgpr3
	s_branch .LBB376_421
.LBB376_270:
	s_mov_b64 s[26:27], -1
	s_mov_b64 s[22:23], 0
	s_mov_b64 s[0:1], s[14:15]
	s_branch .LBB376_355
.LBB376_271:
	s_mov_b64 s[22:23], -1
	s_mov_b64 s[0:1], 0
	s_mov_b64 s[20:21], s[16:17]
                                        ; implicit-def: $vgpr2_vgpr3
	s_branch .LBB376_404
.LBB376_272:
	s_mov_b64 s[26:27], -1
	s_mov_b64 s[22:23], 0
	s_mov_b64 s[0:1], s[14:15]
	s_branch .LBB376_313
.LBB376_273:
	s_mov_b64 s[22:23], -1
	s_mov_b64 s[0:1], 0
	s_mov_b64 s[20:21], s[16:17]
                                        ; implicit-def: $vgpr2_vgpr3
	s_branch .LBB376_399
.LBB376_274:
	s_mov_b64 s[26:27], -1
	s_mov_b64 s[22:23], 0
	s_mov_b64 s[0:1], s[14:15]
	s_branch .LBB376_296
.LBB376_275:
	s_andn2_saveexec_b64 s[24:25], s[24:25]
	s_cbranch_execz .LBB376_55
.LBB376_276:
	s_mov_b32 s28, 0x46000000
	v_add_f32_e64 v5, |v4|, s28
	v_and_b32_e32 v5, 0xff, v5
	v_cmp_ne_u32_e32 vcc, 0, v5
	s_andn2_b64 s[20:21], s[20:21], exec
	s_and_b64 s[28:29], vcc, exec
	s_or_b64 s[20:21], s[20:21], s[28:29]
	s_or_b64 exec, exec, s[24:25]
	v_mov_b32_e32 v6, 0
	s_and_saveexec_b64 s[24:25], s[20:21]
	s_cbranch_execnz .LBB376_56
	s_branch .LBB376_57
.LBB376_277:
	s_mov_b64 s[22:23], -1
	s_mov_b64 s[0:1], 0
	s_mov_b64 s[20:21], s[16:17]
                                        ; implicit-def: $vgpr2_vgpr3
	s_branch .LBB376_282
.LBB376_278:
	s_mov_b64 s[26:27], -1
	s_mov_b64 s[22:23], 0
	s_mov_b64 s[0:1], s[14:15]
	s_branch .LBB376_292
.LBB376_279:
	s_andn2_saveexec_b64 s[24:25], s[24:25]
	s_cbranch_execz .LBB376_68
.LBB376_280:
	s_mov_b32 s28, 0x42800000
	v_add_f32_e64 v5, |v4|, s28
	v_and_b32_e32 v5, 0xff, v5
	v_cmp_ne_u32_e32 vcc, 0, v5
	s_andn2_b64 s[20:21], s[20:21], exec
	s_and_b64 s[28:29], vcc, exec
	s_or_b64 s[20:21], s[20:21], s[28:29]
	s_or_b64 exec, exec, s[24:25]
	v_mov_b32_e32 v6, 0
	s_and_saveexec_b64 s[24:25], s[20:21]
	s_cbranch_execnz .LBB376_69
	s_branch .LBB376_70
.LBB376_281:
	s_mov_b64 s[20:21], -1
                                        ; implicit-def: $vgpr2_vgpr3
	s_mov_b64 s[0:1], 0
.LBB376_282:
	s_and_b64 vcc, exec, s[22:23]
	s_cbranch_vccz .LBB376_398
; %bb.283:
	s_cmp_eq_u32 s26, 44
	s_cbranch_scc0 .LBB376_397
; %bb.284:
	global_load_ubyte v2, v[0:1], off
	s_mov_b32 s0, 0x2f800000
	s_mov_b32 s1, 0xcf800000
	s_mov_b64 s[20:21], 0
	s_waitcnt vmcnt(0)
	v_lshlrev_b32_e32 v3, 23, v2
	v_trunc_f32_e32 v3, v3
	v_mul_f32_e64 v4, |v3|, s0
	v_floor_f32_e32 v4, v4
	v_fma_f32 v5, v4, s1, |v3|
	v_cvt_u32_f32_e32 v5, v5
	v_cvt_u32_f32_e32 v4, v4
	v_ashrrev_i32_e32 v3, 31, v3
	s_mov_b64 s[0:1], -1
	v_xor_b32_e32 v5, v5, v3
	v_xor_b32_e32 v4, v4, v3
	v_sub_co_u32_e32 v5, vcc, v5, v3
	s_nop 1
	v_subb_co_u32_e32 v3, vcc, v4, v3, vcc
	v_cmp_ne_u32_e32 vcc, 0, v2
	s_nop 1
	v_cndmask_b32_e32 v3, 0, v3, vcc
	v_cndmask_b32_e32 v2, 0, v5, vcc
	s_branch .LBB376_398
.LBB376_285:
	s_mov_b64 s[26:27], -1
	s_mov_b64 s[22:23], 0
	s_mov_b64 s[0:1], s[14:15]
.LBB376_286:
	s_and_b64 vcc, exec, s[26:27]
	s_cbranch_vccz .LBB376_291
; %bb.287:
	s_cmp_eq_u32 s31, 44
	s_mov_b64 s[0:1], -1
	s_cbranch_scc0 .LBB376_291
; %bb.288:
	v_xor_b32_e32 v5, v0, v1
	v_ffbh_i32_e32 v4, v1
	v_ashrrev_i32_e32 v5, 31, v5
	v_add_u32_e32 v4, -1, v4
	v_add_u32_e32 v5, 32, v5
	v_min_u32_e32 v6, v4, v5
	v_lshlrev_b64 v[4:5], v6, v[0:1]
	v_min_u32_e32 v4, 1, v4
	v_or_b32_e32 v4, v5, v4
	v_cvt_f32_i32_e32 v4, v4
	v_sub_u32_e32 v5, 32, v6
	s_movk_i32 s0, 0xff
	v_mov_b32_e32 v6, 0xff
	v_ldexp_f32 v4, v4, v5
	v_bfe_u32 v5, v4, 23, 8
	v_cmp_ne_u32_e32 vcc, s0, v5
	s_and_saveexec_b64 s[22:23], vcc
; %bb.289:
	s_mov_b32 s0, 0x3fffff
	v_lshrrev_b32_e32 v6, 23, v4
	v_and_b32_e32 v7, 0x400000, v4
	v_and_or_b32 v4, v4, s0, v5
	v_cmp_ne_u32_e32 vcc, 0, v7
	v_cmp_ne_u32_e64 s[0:1], 0, v4
	s_and_b64 s[0:1], vcc, s[0:1]
	s_nop 0
	v_cndmask_b32_e64 v4, 0, 1, s[0:1]
	v_add_u32_e32 v6, v6, v4
; %bb.290:
	s_or_b64 exec, exec, s[22:23]
	s_mov_b64 s[22:23], -1
	s_mov_b64 s[0:1], 0
	global_store_byte v[2:3], v6, off
.LBB376_291:
	s_mov_b64 s[26:27], 0
.LBB376_292:
	s_and_b64 vcc, exec, s[26:27]
	s_cbranch_vccz .LBB376_295
; %bb.293:
	s_cmp_eq_u32 s31, 29
	s_mov_b64 s[0:1], -1
	s_cbranch_scc0 .LBB376_295
; %bb.294:
	global_store_dwordx2 v[2:3], v[0:1], off
	s_mov_b64 s[22:23], -1
	s_mov_b64 s[0:1], 0
.LBB376_295:
	s_mov_b64 s[26:27], 0
.LBB376_296:
	s_and_b64 vcc, exec, s[26:27]
	s_cbranch_vccz .LBB376_312
; %bb.297:
	s_cmp_lt_i32 s31, 27
	s_mov_b64 s[22:23], -1
	s_cbranch_scc1 .LBB376_303
; %bb.298:
	s_cmp_gt_i32 s31, 27
	s_cbranch_scc0 .LBB376_300
; %bb.299:
	s_mov_b64 s[22:23], 0
	global_store_dword v[2:3], v0, off
.LBB376_300:
	s_andn2_b64 vcc, exec, s[22:23]
	s_cbranch_vccnz .LBB376_302
; %bb.301:
	global_store_short v[2:3], v0, off
.LBB376_302:
	s_mov_b64 s[22:23], 0
.LBB376_303:
	s_andn2_b64 vcc, exec, s[22:23]
	s_cbranch_vccnz .LBB376_311
; %bb.304:
	v_xor_b32_e32 v5, v0, v1
	v_ffbh_i32_e32 v4, v1
	v_ashrrev_i32_e32 v5, 31, v5
	v_add_u32_e32 v4, -1, v4
	v_add_u32_e32 v5, 32, v5
	v_min_u32_e32 v6, v4, v5
	v_lshlrev_b64 v[4:5], v6, v[0:1]
	v_min_u32_e32 v4, 1, v4
	v_or_b32_e32 v4, v5, v4
	v_cvt_f32_i32_e32 v4, v4
	v_sub_u32_e32 v5, 32, v6
	s_mov_b32 s22, 0x43800000
	v_mov_b32_e32 v6, 0x80
	v_ldexp_f32 v4, v4, v5
	v_and_b32_e32 v5, 0x7fffffff, v4
	v_cmp_gt_u32_e32 vcc, s22, v5
	s_and_saveexec_b64 s[22:23], vcc
	s_cbranch_execz .LBB376_310
; %bb.305:
	s_mov_b32 s26, 0x3bffffff
	v_cmp_lt_u32_e32 vcc, s26, v5
	s_mov_b64 s[26:27], 0
                                        ; implicit-def: $vgpr5
	s_and_saveexec_b64 s[28:29], vcc
	s_xor_b64 s[28:29], exec, s[28:29]
	s_cbranch_execz .LBB376_518
; %bb.306:
	v_bfe_u32 v5, v4, 20, 1
	s_mov_b32 s34, 0x487ffff
	v_add3_u32 v5, v4, v5, s34
	s_mov_b64 s[26:27], exec
	v_lshrrev_b32_e32 v5, 20, v5
	s_andn2_saveexec_b64 s[28:29], s[28:29]
	s_cbranch_execnz .LBB376_519
.LBB376_307:
	s_or_b64 exec, exec, s[28:29]
	v_mov_b32_e32 v6, 0
	s_and_saveexec_b64 s[28:29], s[26:27]
.LBB376_308:
	v_lshrrev_b32_e32 v4, 24, v4
	s_movk_i32 s26, 0x80
	v_and_or_b32 v6, v4, s26, v5
.LBB376_309:
	s_or_b64 exec, exec, s[28:29]
.LBB376_310:
	s_or_b64 exec, exec, s[22:23]
	global_store_byte v[2:3], v6, off
.LBB376_311:
	s_mov_b64 s[22:23], -1
.LBB376_312:
	s_mov_b64 s[26:27], 0
.LBB376_313:
	s_and_b64 vcc, exec, s[26:27]
	s_cbranch_vccz .LBB376_354
; %bb.314:
	s_cmp_gt_i32 s31, 22
	s_mov_b64 s[26:27], -1
	s_cbranch_scc0 .LBB376_346
; %bb.315:
	s_cmp_lt_i32 s31, 24
	s_mov_b64 s[22:23], -1
	s_cbranch_scc1 .LBB376_335
; %bb.316:
	s_cmp_gt_i32 s31, 24
	s_cbranch_scc0 .LBB376_324
; %bb.317:
	v_xor_b32_e32 v5, v0, v1
	v_ffbh_i32_e32 v4, v1
	v_ashrrev_i32_e32 v5, 31, v5
	v_add_u32_e32 v4, -1, v4
	v_add_u32_e32 v5, 32, v5
	v_min_u32_e32 v6, v4, v5
	v_lshlrev_b64 v[4:5], v6, v[0:1]
	v_min_u32_e32 v4, 1, v4
	v_or_b32_e32 v4, v5, v4
	v_cvt_f32_i32_e32 v4, v4
	v_sub_u32_e32 v5, 32, v6
	s_mov_b32 s22, 0x47800000
	v_mov_b32_e32 v6, 0x80
	v_ldexp_f32 v4, v4, v5
	v_and_b32_e32 v5, 0x7fffffff, v4
	v_cmp_gt_u32_e32 vcc, s22, v5
	s_and_saveexec_b64 s[22:23], vcc
	s_cbranch_execz .LBB376_323
; %bb.318:
	s_mov_b32 s26, 0x37ffffff
	v_cmp_lt_u32_e32 vcc, s26, v5
	s_mov_b64 s[26:27], 0
                                        ; implicit-def: $vgpr5
	s_and_saveexec_b64 s[28:29], vcc
	s_xor_b64 s[28:29], exec, s[28:29]
	s_cbranch_execz .LBB376_521
; %bb.319:
	v_bfe_u32 v5, v4, 21, 1
	s_mov_b32 s34, 0x88fffff
	v_add3_u32 v5, v4, v5, s34
	s_mov_b64 s[26:27], exec
	v_lshrrev_b32_e32 v5, 21, v5
	s_andn2_saveexec_b64 s[28:29], s[28:29]
	s_cbranch_execnz .LBB376_522
.LBB376_320:
	s_or_b64 exec, exec, s[28:29]
	v_mov_b32_e32 v6, 0
	s_and_saveexec_b64 s[28:29], s[26:27]
.LBB376_321:
	v_lshrrev_b32_e32 v4, 24, v4
	s_movk_i32 s26, 0x80
	v_and_or_b32 v6, v4, s26, v5
.LBB376_322:
	s_or_b64 exec, exec, s[28:29]
.LBB376_323:
	s_or_b64 exec, exec, s[22:23]
	s_mov_b64 s[22:23], 0
	global_store_byte v[2:3], v6, off
.LBB376_324:
	s_and_b64 vcc, exec, s[22:23]
	s_cbranch_vccz .LBB376_334
; %bb.325:
	v_xor_b32_e32 v5, v0, v1
	v_ffbh_i32_e32 v4, v1
	v_ashrrev_i32_e32 v5, 31, v5
	v_add_u32_e32 v4, -1, v4
	v_add_u32_e32 v5, 32, v5
	v_min_u32_e32 v6, v4, v5
	v_lshlrev_b64 v[4:5], v6, v[0:1]
	v_min_u32_e32 v4, 1, v4
	v_or_b32_e32 v4, v5, v4
	v_cvt_f32_i32_e32 v4, v4
	v_sub_u32_e32 v5, 32, v6
	s_mov_b32 s22, 0x43f00000
	v_ldexp_f32 v4, v4, v5
	v_and_b32_e32 v6, 0x7fffffff, v4
	v_cmp_gt_u32_e32 vcc, s22, v6
                                        ; implicit-def: $vgpr5
	s_and_saveexec_b64 s[22:23], vcc
	s_xor_b64 s[22:23], exec, s[22:23]
	s_cbranch_execz .LBB376_331
; %bb.326:
	s_mov_b32 s26, 0x3c7fffff
	v_cmp_lt_u32_e32 vcc, s26, v6
                                        ; implicit-def: $vgpr5
	s_and_saveexec_b64 s[26:27], vcc
	s_xor_b64 s[26:27], exec, s[26:27]
; %bb.327:
	v_bfe_u32 v5, v4, 20, 1
	s_mov_b32 s28, 0x407ffff
	v_add3_u32 v5, v4, v5, s28
	v_lshrrev_b32_e32 v6, 20, v5
	v_and_b32_e32 v5, 0xff00000, v5
	s_mov_b32 s28, 0x7f00000
	v_mov_b32_e32 v7, 0x7e
	v_cmp_ne_u32_e32 vcc, s28, v5
	s_nop 1
	v_cndmask_b32_e32 v5, v7, v6, vcc
; %bb.328:
	s_andn2_saveexec_b64 s[26:27], s[26:27]
; %bb.329:
	s_mov_b32 s28, 0x46800000
	v_add_f32_e64 v5, |v4|, s28
; %bb.330:
	s_or_b64 exec, exec, s[26:27]
                                        ; implicit-def: $vgpr6
.LBB376_331:
	s_andn2_saveexec_b64 s[22:23], s[22:23]
; %bb.332:
	s_mov_b32 s26, 0x7f800000
	v_mov_b32_e32 v5, 0x7e
	v_mov_b32_e32 v7, 0x7f
	v_cmp_lt_u32_e32 vcc, s26, v6
	s_nop 1
	v_cndmask_b32_e32 v5, v5, v7, vcc
; %bb.333:
	s_or_b64 exec, exec, s[22:23]
	v_lshrrev_b32_e32 v4, 24, v4
	s_movk_i32 s22, 0x80
	v_and_or_b32 v4, v4, s22, v5
	global_store_byte v[2:3], v4, off
.LBB376_334:
	s_mov_b64 s[22:23], 0
.LBB376_335:
	s_andn2_b64 vcc, exec, s[22:23]
	s_cbranch_vccnz .LBB376_345
; %bb.336:
	v_xor_b32_e32 v5, v0, v1
	v_ffbh_i32_e32 v4, v1
	v_ashrrev_i32_e32 v5, 31, v5
	v_add_u32_e32 v4, -1, v4
	v_add_u32_e32 v5, 32, v5
	v_min_u32_e32 v6, v4, v5
	v_lshlrev_b64 v[4:5], v6, v[0:1]
	v_min_u32_e32 v4, 1, v4
	v_or_b32_e32 v4, v5, v4
	v_cvt_f32_i32_e32 v4, v4
	v_sub_u32_e32 v5, 32, v6
	s_mov_b32 s22, 0x47800000
	v_ldexp_f32 v4, v4, v5
	v_and_b32_e32 v6, 0x7fffffff, v4
	v_cmp_gt_u32_e32 vcc, s22, v6
                                        ; implicit-def: $vgpr5
	s_and_saveexec_b64 s[22:23], vcc
	s_xor_b64 s[22:23], exec, s[22:23]
	s_cbranch_execz .LBB376_342
; %bb.337:
	s_mov_b32 s26, 0x387fffff
	v_cmp_lt_u32_e32 vcc, s26, v6
                                        ; implicit-def: $vgpr5
	s_and_saveexec_b64 s[26:27], vcc
	s_xor_b64 s[26:27], exec, s[26:27]
; %bb.338:
	v_bfe_u32 v5, v4, 21, 1
	s_mov_b32 s28, 0x80fffff
	v_add3_u32 v5, v4, v5, s28
	v_lshrrev_b32_e32 v5, 21, v5
; %bb.339:
	s_andn2_saveexec_b64 s[26:27], s[26:27]
; %bb.340:
	s_mov_b32 s28, 0x43000000
	v_add_f32_e64 v5, |v4|, s28
; %bb.341:
	s_or_b64 exec, exec, s[26:27]
                                        ; implicit-def: $vgpr6
.LBB376_342:
	s_andn2_saveexec_b64 s[22:23], s[22:23]
; %bb.343:
	s_mov_b32 s26, 0x7f800000
	v_mov_b32_e32 v5, 0x7c
	v_mov_b32_e32 v7, 0x7f
	v_cmp_lt_u32_e32 vcc, s26, v6
	s_nop 1
	v_cndmask_b32_e32 v5, v5, v7, vcc
; %bb.344:
	s_or_b64 exec, exec, s[22:23]
	v_lshrrev_b32_e32 v4, 24, v4
	s_movk_i32 s22, 0x80
	v_and_or_b32 v4, v4, s22, v5
	global_store_byte v[2:3], v4, off
.LBB376_345:
	s_mov_b64 s[26:27], 0
	s_mov_b64 s[22:23], -1
.LBB376_346:
	s_andn2_b64 vcc, exec, s[26:27]
	s_cbranch_vccnz .LBB376_354
; %bb.347:
	s_cmp_gt_i32 s31, 14
	s_mov_b64 s[26:27], -1
	s_cbranch_scc0 .LBB376_351
; %bb.348:
	s_cmp_eq_u32 s31, 15
	s_mov_b64 s[0:1], -1
	s_cbranch_scc0 .LBB376_350
; %bb.349:
	v_xor_b32_e32 v5, v0, v1
	v_ffbh_i32_e32 v4, v1
	v_ashrrev_i32_e32 v5, 31, v5
	v_add_u32_e32 v4, -1, v4
	v_add_u32_e32 v5, 32, v5
	v_min_u32_e32 v6, v4, v5
	v_lshlrev_b64 v[4:5], v6, v[0:1]
	v_min_u32_e32 v4, 1, v4
	v_or_b32_e32 v4, v5, v4
	v_cvt_f32_i32_e32 v4, v4
	v_sub_u32_e32 v5, 32, v6
	s_movk_i32 s0, 0x7fff
	s_mov_b64 s[22:23], -1
	v_ldexp_f32 v4, v4, v5
	v_bfe_u32 v5, v4, 16, 1
	v_add3_u32 v4, v4, v5, s0
	global_store_short_d16_hi v[2:3], v4, off
	s_mov_b64 s[0:1], 0
.LBB376_350:
	s_mov_b64 s[26:27], 0
.LBB376_351:
	s_and_b64 vcc, exec, s[26:27]
	s_cbranch_vccz .LBB376_354
; %bb.352:
	s_cmp_eq_u32 s31, 11
	s_mov_b64 s[0:1], -1
	s_cbranch_scc0 .LBB376_354
; %bb.353:
	v_cmp_ne_u64_e32 vcc, 0, v[0:1]
	s_mov_b64 s[0:1], 0
	s_mov_b64 s[22:23], -1
	v_cndmask_b32_e64 v4, 0, 1, vcc
	global_store_byte v[2:3], v4, off
.LBB376_354:
	s_mov_b64 s[26:27], 0
.LBB376_355:
	s_and_b64 vcc, exec, s[26:27]
	s_cbranch_vccz .LBB376_394
; %bb.356:
	s_and_b32 s26, 0xffff, s30
	s_cmp_lt_i32 s26, 5
	s_mov_b64 s[22:23], -1
	s_cbranch_scc1 .LBB376_377
; %bb.357:
	s_cmp_lt_i32 s26, 8
	s_cbranch_scc1 .LBB376_367
; %bb.358:
	s_cmp_lt_i32 s26, 9
	s_cbranch_scc1 .LBB376_364
; %bb.359:
	s_cmp_gt_i32 s26, 9
	s_cbranch_scc0 .LBB376_361
; %bb.360:
	v_cvt_f64_i32_e32 v[4:5], v1
	v_ldexp_f64 v[4:5], v[4:5], 32
	v_cvt_f64_u32_e32 v[6:7], v0
	v_add_f64 v[4:5], v[4:5], v[6:7]
	v_mov_b32_e32 v6, 0
	v_mov_b32_e32 v7, v6
	s_mov_b64 s[22:23], 0
	global_store_dwordx4 v[2:3], v[4:7], off
.LBB376_361:
	s_andn2_b64 vcc, exec, s[22:23]
	s_cbranch_vccnz .LBB376_363
; %bb.362:
	v_xor_b32_e32 v5, v0, v1
	v_ffbh_i32_e32 v4, v1
	v_ashrrev_i32_e32 v5, 31, v5
	v_add_u32_e32 v4, -1, v4
	v_add_u32_e32 v5, 32, v5
	v_min_u32_e32 v6, v4, v5
	v_lshlrev_b64 v[4:5], v6, v[0:1]
	v_min_u32_e32 v4, 1, v4
	v_or_b32_e32 v4, v5, v4
	v_cvt_f32_i32_e32 v4, v4
	v_sub_u32_e32 v5, 32, v6
	v_ldexp_f32 v4, v4, v5
	v_mov_b32_e32 v5, 0
	global_store_dwordx2 v[2:3], v[4:5], off
.LBB376_363:
	s_mov_b64 s[22:23], 0
.LBB376_364:
	s_andn2_b64 vcc, exec, s[22:23]
	s_cbranch_vccnz .LBB376_366
; %bb.365:
	v_xor_b32_e32 v5, v0, v1
	v_ffbh_i32_e32 v4, v1
	v_ashrrev_i32_e32 v5, 31, v5
	v_add_u32_e32 v4, -1, v4
	v_add_u32_e32 v5, 32, v5
	v_min_u32_e32 v6, v4, v5
	v_lshlrev_b64 v[4:5], v6, v[0:1]
	v_min_u32_e32 v4, 1, v4
	v_or_b32_e32 v4, v5, v4
	v_cvt_f32_i32_e32 v4, v4
	v_sub_u32_e32 v5, 32, v6
	v_ldexp_f32 v4, v4, v5
	v_cvt_f16_f32_e32 v4, v4
	global_store_dword v[2:3], v4, off
.LBB376_366:
	s_mov_b64 s[22:23], 0
.LBB376_367:
	s_andn2_b64 vcc, exec, s[22:23]
	s_cbranch_vccnz .LBB376_376
; %bb.368:
	s_cmp_lt_i32 s26, 6
	s_mov_b64 s[22:23], -1
	s_cbranch_scc1 .LBB376_374
; %bb.369:
	s_cmp_gt_i32 s26, 6
	s_cbranch_scc0 .LBB376_371
; %bb.370:
	v_cvt_f64_i32_e32 v[4:5], v1
	v_ldexp_f64 v[4:5], v[4:5], 32
	v_cvt_f64_u32_e32 v[6:7], v0
	v_add_f64 v[4:5], v[4:5], v[6:7]
	s_mov_b64 s[22:23], 0
	global_store_dwordx2 v[2:3], v[4:5], off
.LBB376_371:
	s_andn2_b64 vcc, exec, s[22:23]
	s_cbranch_vccnz .LBB376_373
; %bb.372:
	v_xor_b32_e32 v5, v0, v1
	v_ffbh_i32_e32 v4, v1
	v_ashrrev_i32_e32 v5, 31, v5
	v_add_u32_e32 v4, -1, v4
	v_add_u32_e32 v5, 32, v5
	v_min_u32_e32 v6, v4, v5
	v_lshlrev_b64 v[4:5], v6, v[0:1]
	v_min_u32_e32 v4, 1, v4
	v_or_b32_e32 v4, v5, v4
	v_cvt_f32_i32_e32 v4, v4
	v_sub_u32_e32 v5, 32, v6
	v_ldexp_f32 v4, v4, v5
	global_store_dword v[2:3], v4, off
.LBB376_373:
	s_mov_b64 s[22:23], 0
.LBB376_374:
	s_andn2_b64 vcc, exec, s[22:23]
	s_cbranch_vccnz .LBB376_376
; %bb.375:
	v_xor_b32_e32 v5, v0, v1
	v_ffbh_i32_e32 v4, v1
	v_ashrrev_i32_e32 v5, 31, v5
	v_add_u32_e32 v4, -1, v4
	v_add_u32_e32 v5, 32, v5
	v_min_u32_e32 v6, v4, v5
	v_lshlrev_b64 v[4:5], v6, v[0:1]
	v_min_u32_e32 v4, 1, v4
	v_or_b32_e32 v4, v5, v4
	v_cvt_f32_i32_e32 v4, v4
	v_sub_u32_e32 v5, 32, v6
	v_ldexp_f32 v4, v4, v5
	v_cvt_f16_f32_e32 v4, v4
	global_store_short v[2:3], v4, off
.LBB376_376:
	s_mov_b64 s[22:23], 0
.LBB376_377:
	s_andn2_b64 vcc, exec, s[22:23]
	s_cbranch_vccnz .LBB376_393
; %bb.378:
	s_cmp_lt_i32 s26, 2
	s_mov_b64 s[22:23], -1
	s_cbranch_scc1 .LBB376_388
; %bb.379:
	s_cmp_lt_i32 s26, 3
	s_cbranch_scc1 .LBB376_385
; %bb.380:
	s_cmp_gt_i32 s26, 3
	s_cbranch_scc0 .LBB376_382
; %bb.381:
	s_mov_b64 s[22:23], 0
	global_store_dwordx2 v[2:3], v[0:1], off
.LBB376_382:
	s_andn2_b64 vcc, exec, s[22:23]
	s_cbranch_vccnz .LBB376_384
; %bb.383:
	global_store_dword v[2:3], v0, off
.LBB376_384:
	s_mov_b64 s[22:23], 0
.LBB376_385:
	s_andn2_b64 vcc, exec, s[22:23]
	s_cbranch_vccnz .LBB376_387
; %bb.386:
	global_store_short v[2:3], v0, off
.LBB376_387:
	s_mov_b64 s[22:23], 0
.LBB376_388:
	s_andn2_b64 vcc, exec, s[22:23]
	s_cbranch_vccnz .LBB376_393
; %bb.389:
	s_cmp_gt_i32 s26, 0
	s_mov_b64 s[22:23], -1
	s_cbranch_scc0 .LBB376_391
; %bb.390:
	s_mov_b64 s[22:23], 0
	global_store_byte v[2:3], v0, off
.LBB376_391:
	s_andn2_b64 vcc, exec, s[22:23]
	s_cbranch_vccnz .LBB376_393
; %bb.392:
	global_store_byte v[2:3], v0, off
.LBB376_393:
	s_mov_b64 s[22:23], -1
.LBB376_394:
	s_andn2_b64 vcc, exec, s[22:23]
	s_cbranch_vccnz .LBB376_396
; %bb.395:
	v_add_u32_e32 v10, 0x80, v10
	s_mov_b64 s[26:27], -1
	s_branch .LBB376_504
.LBB376_396:
	s_mov_b64 s[26:27], 0
                                        ; implicit-def: $vgpr10
	s_branch .LBB376_504
.LBB376_397:
	s_mov_b64 s[20:21], -1
                                        ; implicit-def: $vgpr2_vgpr3
.LBB376_398:
	s_mov_b64 s[22:23], 0
.LBB376_399:
	s_and_b64 vcc, exec, s[22:23]
	s_cbranch_vccz .LBB376_403
; %bb.400:
	s_cmp_eq_u32 s26, 29
	s_cbranch_scc0 .LBB376_402
; %bb.401:
	global_load_dwordx2 v[2:3], v[0:1], off
	s_mov_b64 s[0:1], -1
	s_mov_b64 s[20:21], 0
	s_branch .LBB376_403
.LBB376_402:
	s_mov_b64 s[20:21], -1
                                        ; implicit-def: $vgpr2_vgpr3
.LBB376_403:
	s_mov_b64 s[22:23], 0
.LBB376_404:
	s_and_b64 vcc, exec, s[22:23]
	s_cbranch_vccz .LBB376_420
; %bb.405:
	s_cmp_lt_i32 s26, 27
	s_cbranch_scc1 .LBB376_408
; %bb.406:
	s_cmp_gt_i32 s26, 27
	s_cbranch_scc0 .LBB376_409
; %bb.407:
	global_load_dword v2, v[0:1], off
	s_waitcnt vmcnt(1)
	v_mov_b32_e32 v3, 0
	s_mov_b64 s[0:1], 0
	s_branch .LBB376_410
.LBB376_408:
	s_mov_b64 s[0:1], -1
                                        ; implicit-def: $vgpr2_vgpr3
	s_branch .LBB376_413
.LBB376_409:
	s_mov_b64 s[0:1], -1
                                        ; implicit-def: $vgpr2_vgpr3
.LBB376_410:
	s_andn2_b64 vcc, exec, s[0:1]
	s_cbranch_vccnz .LBB376_412
; %bb.411:
	global_load_ushort v2, v[0:1], off
	s_mov_b32 s0, 0
	s_waitcnt vmcnt(1)
	v_mov_b32_e32 v3, s0
	s_waitcnt vmcnt(0)
	v_and_b32_e32 v2, 0xffff, v2
.LBB376_412:
	s_mov_b64 s[0:1], 0
.LBB376_413:
	s_andn2_b64 vcc, exec, s[0:1]
	s_cbranch_vccnz .LBB376_419
; %bb.414:
	global_load_ubyte v4, v[0:1], off
	s_movk_i32 s0, 0x7f
	s_mov_b64 s[22:23], 0
	s_waitcnt vmcnt(0)
	v_cmp_lt_i16_e32 vcc, s0, v4
	s_and_saveexec_b64 s[0:1], vcc
	s_xor_b64 s[0:1], exec, s[0:1]
	s_cbranch_execz .LBB376_431
; %bb.415:
	s_movk_i32 s22, 0x80
	v_cmp_ne_u16_e32 vcc, s22, v4
	s_and_b64 s[22:23], vcc, exec
	s_andn2_saveexec_b64 s[0:1], s[0:1]
	s_cbranch_execnz .LBB376_432
.LBB376_416:
	s_or_b64 exec, exec, s[0:1]
	v_mov_b64_e32 v[2:3], 0
	s_and_saveexec_b64 s[0:1], s[22:23]
	s_cbranch_execz .LBB376_418
.LBB376_417:
	v_and_b32_e32 v3, 0xffff, v4
	v_lshlrev_b32_e32 v2, 24, v4
	v_and_b32_e32 v4, 7, v3
	v_ffbh_u32_e32 v6, v4
	v_min_u32_e32 v6, 32, v6
	v_subrev_u32_e32 v7, 28, v6
	v_bfe_u32 v5, v3, 3, 4
	v_lshlrev_b32_e32 v3, v7, v3
	v_sub_u32_e32 v6, 29, v6
	v_and_b32_e32 v3, 7, v3
	v_cmp_eq_u32_e32 vcc, 0, v5
	v_and_b32_e32 v2, 0x80000000, v2
	s_mov_b32 s22, 0x2f800000
	v_cndmask_b32_e32 v5, v5, v6, vcc
	v_cndmask_b32_e32 v3, v4, v3, vcc
	v_mov_b32_e32 v4, 0x3b800000
	v_lshlrev_b32_e32 v3, 20, v3
	v_lshl_add_u32 v4, v5, 23, v4
	v_or3_b32 v2, v2, v4, v3
	v_trunc_f32_e32 v2, v2
	v_mul_f32_e64 v3, |v2|, s22
	v_floor_f32_e32 v3, v3
	s_mov_b32 s22, 0xcf800000
	v_fma_f32 v4, v3, s22, |v2|
	v_cvt_u32_f32_e32 v4, v4
	v_cvt_u32_f32_e32 v3, v3
	v_ashrrev_i32_e32 v5, 31, v2
	v_xor_b32_e32 v2, v4, v5
	v_xor_b32_e32 v3, v3, v5
	v_sub_co_u32_e32 v2, vcc, v2, v5
	s_nop 1
	v_subb_co_u32_e32 v3, vcc, v3, v5, vcc
.LBB376_418:
	s_or_b64 exec, exec, s[0:1]
.LBB376_419:
	s_mov_b64 s[0:1], -1
.LBB376_420:
	s_mov_b64 s[22:23], 0
.LBB376_421:
	s_and_b64 vcc, exec, s[22:23]
	s_cbranch_vccz .LBB376_454
; %bb.422:
	s_cmp_gt_i32 s26, 22
	s_cbranch_scc0 .LBB376_430
; %bb.423:
	s_cmp_lt_i32 s26, 24
	s_cbranch_scc1 .LBB376_433
; %bb.424:
	s_cmp_gt_i32 s26, 24
	s_cbranch_scc0 .LBB376_434
; %bb.425:
	global_load_ubyte v4, v[0:1], off
	s_movk_i32 s0, 0x7f
	s_mov_b64 s[22:23], 0
	s_waitcnt vmcnt(0)
	v_cmp_lt_i16_e32 vcc, s0, v4
	s_and_saveexec_b64 s[0:1], vcc
	s_xor_b64 s[0:1], exec, s[0:1]
	s_cbranch_execz .LBB376_446
; %bb.426:
	s_movk_i32 s22, 0x80
	v_cmp_ne_u16_e32 vcc, s22, v4
	s_and_b64 s[22:23], vcc, exec
	s_andn2_saveexec_b64 s[0:1], s[0:1]
	s_cbranch_execnz .LBB376_447
.LBB376_427:
	s_or_b64 exec, exec, s[0:1]
	v_mov_b64_e32 v[2:3], 0
	s_and_saveexec_b64 s[0:1], s[22:23]
	s_cbranch_execz .LBB376_429
.LBB376_428:
	v_and_b32_e32 v3, 0xffff, v4
	v_lshlrev_b32_e32 v2, 24, v4
	v_and_b32_e32 v4, 3, v3
	v_ffbh_u32_e32 v6, v4
	v_min_u32_e32 v6, 32, v6
	v_subrev_u32_e32 v7, 29, v6
	v_bfe_u32 v5, v3, 2, 5
	v_lshlrev_b32_e32 v3, v7, v3
	v_sub_u32_e32 v6, 30, v6
	v_and_b32_e32 v3, 3, v3
	v_cmp_eq_u32_e32 vcc, 0, v5
	v_and_b32_e32 v2, 0x80000000, v2
	s_mov_b32 s22, 0x2f800000
	v_cndmask_b32_e32 v5, v5, v6, vcc
	v_cndmask_b32_e32 v3, v4, v3, vcc
	v_mov_b32_e32 v4, 0x37800000
	v_lshlrev_b32_e32 v3, 21, v3
	v_lshl_add_u32 v4, v5, 23, v4
	v_or3_b32 v2, v2, v4, v3
	v_trunc_f32_e32 v2, v2
	v_mul_f32_e64 v3, |v2|, s22
	v_floor_f32_e32 v3, v3
	s_mov_b32 s22, 0xcf800000
	v_fma_f32 v4, v3, s22, |v2|
	v_cvt_u32_f32_e32 v4, v4
	v_cvt_u32_f32_e32 v3, v3
	v_ashrrev_i32_e32 v5, 31, v2
	v_xor_b32_e32 v2, v4, v5
	v_xor_b32_e32 v3, v3, v5
	v_sub_co_u32_e32 v2, vcc, v2, v5
	s_nop 1
	v_subb_co_u32_e32 v3, vcc, v3, v5, vcc
.LBB376_429:
	s_or_b64 exec, exec, s[0:1]
	s_mov_b64 s[0:1], 0
	s_branch .LBB376_435
.LBB376_430:
	s_mov_b64 s[22:23], -1
                                        ; implicit-def: $vgpr2_vgpr3
	s_branch .LBB376_441
.LBB376_431:
	s_andn2_saveexec_b64 s[0:1], s[0:1]
	s_cbranch_execz .LBB376_416
.LBB376_432:
	v_cmp_ne_u16_e32 vcc, 0, v4
	s_andn2_b64 s[22:23], s[22:23], exec
	s_and_b64 s[28:29], vcc, exec
	s_or_b64 s[22:23], s[22:23], s[28:29]
	s_or_b64 exec, exec, s[0:1]
	v_mov_b64_e32 v[2:3], 0
	s_and_saveexec_b64 s[0:1], s[22:23]
	s_cbranch_execnz .LBB376_417
	s_branch .LBB376_418
.LBB376_433:
	s_mov_b64 s[0:1], -1
                                        ; implicit-def: $vgpr2_vgpr3
	s_branch .LBB376_438
.LBB376_434:
	s_mov_b64 s[0:1], -1
                                        ; implicit-def: $vgpr2_vgpr3
.LBB376_435:
	s_and_b64 vcc, exec, s[0:1]
	s_cbranch_vccz .LBB376_437
; %bb.436:
	global_load_ubyte v2, v[0:1], off
	s_mov_b32 s0, 0x7f800000
	s_brev_b32 s1, 1
	s_mov_b32 s22, 0x2f800000
	s_mov_b32 s23, 0xcf800000
	s_waitcnt vmcnt(0)
	v_lshlrev_b32_e32 v2, 24, v2
	v_and_b32_e32 v3, 0x7f000000, v2
	v_ffbh_u32_e32 v4, v3
	v_min_u32_e32 v4, 32, v4
	v_sub_u32_e64 v4, v4, 4 clamp
	v_lshlrev_b32_e32 v6, v4, v3
	v_lshlrev_b32_e32 v4, 23, v4
	v_lshrrev_b32_e32 v6, 4, v6
	v_add_u32_e32 v5, 0x1000000, v3
	v_sub_u32_e32 v4, v6, v4
	v_ashrrev_i32_e32 v5, 8, v5
	v_add_u32_e32 v4, 0x3c000000, v4
	v_and_or_b32 v4, v5, s0, v4
	v_cmp_ne_u32_e32 vcc, 0, v3
	s_nop 1
	v_cndmask_b32_e32 v3, 0, v4, vcc
	v_and_or_b32 v2, v2, s1, v3
	v_trunc_f32_e32 v2, v2
	v_mul_f32_e64 v3, |v2|, s22
	v_floor_f32_e32 v3, v3
	v_fma_f32 v4, v3, s23, |v2|
	v_cvt_u32_f32_e32 v4, v4
	v_cvt_u32_f32_e32 v3, v3
	v_ashrrev_i32_e32 v5, 31, v2
	v_xor_b32_e32 v2, v4, v5
	v_xor_b32_e32 v3, v3, v5
	v_sub_co_u32_e32 v2, vcc, v2, v5
	s_nop 1
	v_subb_co_u32_e32 v3, vcc, v3, v5, vcc
.LBB376_437:
	s_mov_b64 s[0:1], 0
.LBB376_438:
	s_andn2_b64 vcc, exec, s[0:1]
	s_cbranch_vccnz .LBB376_440
; %bb.439:
	global_load_ubyte v2, v[0:1], off
	s_movk_i32 s0, 0x7f00
	s_brev_b32 s1, 16
	s_brev_b32 s22, 1
	s_mov_b32 s23, 0x2f800000
	s_mov_b32 s27, 0xcf800000
	s_waitcnt vmcnt(0)
	v_lshlrev_b16_e32 v3, 8, v2
	v_lshlrev_b32_e32 v2, 25, v2
	v_lshrrev_b32_e32 v4, 4, v2
	v_and_or_b32 v5, v3, s0, 0.5
	v_or_b32_e32 v4, 0x70000000, v4
	v_add_f32_e32 v5, -0.5, v5
	v_mul_f32_e32 v4, 0x7800000, v4
	v_cmp_gt_u32_e32 vcc, s1, v2
	v_bfe_i32 v3, v3, 0, 16
	s_nop 0
	v_cndmask_b32_e32 v2, v4, v5, vcc
	v_and_or_b32 v2, v3, s22, v2
	v_trunc_f32_e32 v2, v2
	v_mul_f32_e64 v3, |v2|, s23
	v_floor_f32_e32 v3, v3
	v_fma_f32 v4, v3, s27, |v2|
	v_cvt_u32_f32_e32 v4, v4
	v_cvt_u32_f32_e32 v3, v3
	v_ashrrev_i32_e32 v5, 31, v2
	v_xor_b32_e32 v2, v4, v5
	v_xor_b32_e32 v3, v3, v5
	v_sub_co_u32_e32 v2, vcc, v2, v5
	s_nop 1
	v_subb_co_u32_e32 v3, vcc, v3, v5, vcc
.LBB376_440:
	s_mov_b64 s[22:23], 0
	s_mov_b64 s[0:1], -1
.LBB376_441:
	s_andn2_b64 vcc, exec, s[22:23]
	s_cbranch_vccnz .LBB376_454
; %bb.442:
	s_cmp_gt_i32 s26, 14
	s_cbranch_scc0 .LBB376_445
; %bb.443:
	s_cmp_eq_u32 s26, 15
	s_cbranch_scc0 .LBB376_448
; %bb.444:
	global_load_ushort v2, v[0:1], off
	s_mov_b32 s0, 0x2f800000
	s_mov_b32 s1, 0xcf800000
	s_mov_b64 s[20:21], 0
	s_waitcnt vmcnt(0)
	v_lshlrev_b32_e32 v2, 16, v2
	v_trunc_f32_e32 v2, v2
	v_mul_f32_e64 v3, |v2|, s0
	v_floor_f32_e32 v3, v3
	v_fma_f32 v4, v3, s1, |v2|
	v_cvt_u32_f32_e32 v4, v4
	v_cvt_u32_f32_e32 v3, v3
	v_ashrrev_i32_e32 v5, 31, v2
	s_mov_b64 s[0:1], -1
	v_xor_b32_e32 v2, v4, v5
	v_xor_b32_e32 v3, v3, v5
	v_sub_co_u32_e32 v2, vcc, v2, v5
	s_nop 1
	v_subb_co_u32_e32 v3, vcc, v3, v5, vcc
	s_branch .LBB376_449
.LBB376_445:
	s_mov_b64 s[22:23], -1
                                        ; implicit-def: $vgpr2_vgpr3
	s_branch .LBB376_450
.LBB376_446:
	s_andn2_saveexec_b64 s[0:1], s[0:1]
	s_cbranch_execz .LBB376_427
.LBB376_447:
	v_cmp_ne_u16_e32 vcc, 0, v4
	s_andn2_b64 s[22:23], s[22:23], exec
	s_and_b64 s[28:29], vcc, exec
	s_or_b64 s[22:23], s[22:23], s[28:29]
	s_or_b64 exec, exec, s[0:1]
	v_mov_b64_e32 v[2:3], 0
	s_and_saveexec_b64 s[0:1], s[22:23]
	s_cbranch_execnz .LBB376_428
	s_branch .LBB376_429
.LBB376_448:
	s_mov_b64 s[20:21], -1
                                        ; implicit-def: $vgpr2_vgpr3
.LBB376_449:
	s_mov_b64 s[22:23], 0
.LBB376_450:
	s_and_b64 vcc, exec, s[22:23]
	s_cbranch_vccz .LBB376_454
; %bb.451:
	s_cmp_eq_u32 s26, 11
	s_cbranch_scc0 .LBB376_453
; %bb.452:
	global_load_ubyte v2, v[0:1], off
	s_mov_b32 s20, 0
	s_mov_b64 s[0:1], -1
	s_waitcnt vmcnt(1)
	v_mov_b32_e32 v3, s20
	s_mov_b64 s[20:21], 0
	s_waitcnt vmcnt(0)
	v_cmp_ne_u16_e32 vcc, 0, v2
	s_nop 1
	v_cndmask_b32_e64 v2, 0, 1, vcc
	s_branch .LBB376_454
.LBB376_453:
	s_mov_b64 s[20:21], -1
                                        ; implicit-def: $vgpr2_vgpr3
.LBB376_454:
	s_branch .LBB376_261
.LBB376_455:
	s_cmp_lt_i32 s26, 5
	s_cbranch_scc1 .LBB376_460
; %bb.456:
	s_cmp_lt_i32 s26, 8
	s_cbranch_scc1 .LBB376_461
; %bb.457:
	;; [unrolled: 3-line block ×3, first 2 shown]
	s_cmp_gt_i32 s26, 9
	s_cbranch_scc0 .LBB376_463
; %bb.459:
	global_load_dwordx2 v[2:3], v[0:1], off
	s_movk_i32 s0, 0xffe0
	s_waitcnt vmcnt(0)
	v_trunc_f64_e32 v[4:5], v[2:3]
	v_ldexp_f64 v[2:3], v[4:5], s0
	v_floor_f64_e32 v[6:7], v[2:3]
	v_fmac_f64_e32 v[4:5], 0xc1f00000, v[6:7]
	v_cvt_i32_f64_e32 v3, v[6:7]
	v_cvt_u32_f64_e32 v2, v[4:5]
	s_mov_b64 s[0:1], 0
	s_branch .LBB376_464
.LBB376_460:
	s_mov_b64 s[0:1], -1
                                        ; implicit-def: $vgpr2_vgpr3
	s_branch .LBB376_482
.LBB376_461:
	s_mov_b64 s[0:1], -1
                                        ; implicit-def: $vgpr2_vgpr3
	s_branch .LBB376_470
.LBB376_462:
	s_mov_b64 s[0:1], -1
                                        ; implicit-def: $vgpr2_vgpr3
	s_branch .LBB376_467
.LBB376_463:
	s_mov_b64 s[0:1], -1
                                        ; implicit-def: $vgpr2_vgpr3
.LBB376_464:
	s_andn2_b64 vcc, exec, s[0:1]
	s_cbranch_vccnz .LBB376_466
; %bb.465:
	global_load_dword v2, v[0:1], off
	s_mov_b32 s0, 0x2f800000
	s_mov_b32 s1, 0xcf800000
	s_waitcnt vmcnt(0)
	v_trunc_f32_e32 v2, v2
	v_mul_f32_e64 v3, |v2|, s0
	v_floor_f32_e32 v3, v3
	v_cvt_u32_f32_e32 v4, v3
	v_fma_f32 v3, v3, s1, |v2|
	v_cvt_u32_f32_e32 v3, v3
	v_ashrrev_i32_e32 v5, 31, v2
	v_xor_b32_e32 v4, v4, v5
	v_xor_b32_e32 v2, v3, v5
	v_sub_co_u32_e32 v2, vcc, v2, v5
	s_nop 1
	v_subb_co_u32_e32 v3, vcc, v4, v5, vcc
.LBB376_466:
	s_mov_b64 s[0:1], 0
.LBB376_467:
	s_andn2_b64 vcc, exec, s[0:1]
	s_cbranch_vccnz .LBB376_469
; %bb.468:
	global_load_dword v2, v[0:1], off
	s_waitcnt vmcnt(0)
	v_cvt_f32_f16_e32 v2, v2
	v_cvt_i32_f32_e32 v2, v2
	v_ashrrev_i32_e32 v3, 31, v2
.LBB376_469:
	s_mov_b64 s[0:1], 0
.LBB376_470:
	s_andn2_b64 vcc, exec, s[0:1]
	s_cbranch_vccnz .LBB376_481
; %bb.471:
	s_cmp_lt_i32 s26, 6
	s_cbranch_scc1 .LBB376_474
; %bb.472:
	s_cmp_gt_i32 s26, 6
	s_cbranch_scc0 .LBB376_475
; %bb.473:
	global_load_dwordx2 v[2:3], v[0:1], off
	s_movk_i32 s0, 0xffe0
	s_waitcnt vmcnt(0)
	v_trunc_f64_e32 v[4:5], v[2:3]
	v_ldexp_f64 v[2:3], v[4:5], s0
	v_floor_f64_e32 v[6:7], v[2:3]
	v_fmac_f64_e32 v[4:5], 0xc1f00000, v[6:7]
	v_cvt_i32_f64_e32 v3, v[6:7]
	v_cvt_u32_f64_e32 v2, v[4:5]
	s_mov_b64 s[0:1], 0
	s_branch .LBB376_476
.LBB376_474:
	s_mov_b64 s[0:1], -1
                                        ; implicit-def: $vgpr2_vgpr3
	s_branch .LBB376_479
.LBB376_475:
	s_mov_b64 s[0:1], -1
                                        ; implicit-def: $vgpr2_vgpr3
.LBB376_476:
	s_andn2_b64 vcc, exec, s[0:1]
	s_cbranch_vccnz .LBB376_478
; %bb.477:
	global_load_dword v2, v[0:1], off
	s_mov_b32 s0, 0x2f800000
	s_mov_b32 s1, 0xcf800000
	s_waitcnt vmcnt(0)
	v_trunc_f32_e32 v2, v2
	v_mul_f32_e64 v3, |v2|, s0
	v_floor_f32_e32 v3, v3
	v_cvt_u32_f32_e32 v4, v3
	v_fma_f32 v3, v3, s1, |v2|
	v_cvt_u32_f32_e32 v3, v3
	v_ashrrev_i32_e32 v5, 31, v2
	v_xor_b32_e32 v4, v4, v5
	v_xor_b32_e32 v2, v3, v5
	v_sub_co_u32_e32 v2, vcc, v2, v5
	s_nop 1
	v_subb_co_u32_e32 v3, vcc, v4, v5, vcc
.LBB376_478:
	s_mov_b64 s[0:1], 0
.LBB376_479:
	s_andn2_b64 vcc, exec, s[0:1]
	s_cbranch_vccnz .LBB376_481
; %bb.480:
	global_load_ushort v2, v[0:1], off
	s_waitcnt vmcnt(0)
	v_cvt_f32_f16_e32 v2, v2
	v_cvt_i32_f32_e32 v2, v2
	v_ashrrev_i32_e32 v3, 31, v2
.LBB376_481:
	s_mov_b64 s[0:1], 0
.LBB376_482:
	s_andn2_b64 vcc, exec, s[0:1]
	s_cbranch_vccnz .LBB376_502
; %bb.483:
	s_cmp_lt_i32 s26, 2
	s_cbranch_scc1 .LBB376_487
; %bb.484:
	s_cmp_lt_i32 s26, 3
	s_cbranch_scc1 .LBB376_488
; %bb.485:
	s_cmp_gt_i32 s26, 3
	s_cbranch_scc0 .LBB376_489
; %bb.486:
	global_load_dwordx2 v[2:3], v[0:1], off
	s_mov_b64 s[0:1], 0
	s_branch .LBB376_490
.LBB376_487:
	s_mov_b64 s[0:1], -1
                                        ; implicit-def: $vgpr2_vgpr3
	s_branch .LBB376_496
.LBB376_488:
	s_mov_b64 s[0:1], -1
                                        ; implicit-def: $vgpr2_vgpr3
	s_branch .LBB376_493
.LBB376_489:
	s_mov_b64 s[0:1], -1
                                        ; implicit-def: $vgpr2_vgpr3
.LBB376_490:
	s_andn2_b64 vcc, exec, s[0:1]
	s_cbranch_vccnz .LBB376_492
; %bb.491:
	global_load_dword v2, v[0:1], off
	s_waitcnt vmcnt(0)
	v_ashrrev_i32_e32 v3, 31, v2
.LBB376_492:
	s_mov_b64 s[0:1], 0
.LBB376_493:
	s_andn2_b64 vcc, exec, s[0:1]
	s_cbranch_vccnz .LBB376_495
; %bb.494:
	global_load_ushort v2, v[0:1], off
	s_waitcnt vmcnt(0)
	v_bfe_i32 v2, v2, 0, 16
	v_ashrrev_i32_e32 v3, 31, v2
.LBB376_495:
	s_mov_b64 s[0:1], 0
.LBB376_496:
	s_andn2_b64 vcc, exec, s[0:1]
	s_cbranch_vccnz .LBB376_502
; %bb.497:
	s_cmp_gt_i32 s26, 0
	s_cbranch_scc0 .LBB376_499
; %bb.498:
	global_load_sbyte v2, v[0:1], off
	s_mov_b64 s[0:1], 0
	s_waitcnt vmcnt(0)
	v_bfe_i32 v2, v2, 0, 16
	v_ashrrev_i32_e32 v3, 31, v2
	s_branch .LBB376_500
.LBB376_499:
	s_mov_b64 s[0:1], -1
                                        ; implicit-def: $vgpr2_vgpr3
.LBB376_500:
	s_andn2_b64 vcc, exec, s[0:1]
	s_cbranch_vccnz .LBB376_502
; %bb.501:
	global_load_ubyte v0, v[0:1], off
	s_mov_b32 s0, 0
	s_waitcnt vmcnt(1)
	v_mov_b32_e32 v3, s0
	s_waitcnt vmcnt(0)
	v_and_b32_e32 v2, 0xffff, v0
.LBB376_502:
	s_branch .LBB376_262
.LBB376_503:
	s_mov_b64 s[26:27], 0
                                        ; implicit-def: $vgpr10
	s_mov_b64 s[0:1], s[14:15]
.LBB376_504:
	s_andn2_b64 s[22:23], s[14:15], exec
	s_and_b64 s[0:1], s[0:1], exec
	s_or_b64 s[22:23], s[22:23], s[0:1]
	s_andn2_b64 s[0:1], s[16:17], exec
	s_and_b64 s[20:21], s[20:21], exec
	s_or_b64 s[20:21], s[0:1], s[20:21]
	s_orn2_b64 s[0:1], s[26:27], exec
.LBB376_505:
	s_or_b64 exec, exec, s[24:25]
	s_mov_b64 s[26:27], 0
	s_mov_b64 s[28:29], 0
	;; [unrolled: 1-line block ×3, first 2 shown]
                                        ; implicit-def: $vgpr0_vgpr1
                                        ; implicit-def: $vgpr4_vgpr5
	s_and_saveexec_b64 s[24:25], s[0:1]
	s_cbranch_execz .LBB376_842
; %bb.506:
	v_cmp_gt_i32_e32 vcc, s40, v10
	s_mov_b64 s[36:37], -1
	s_mov_b64 s[0:1], s[20:21]
	s_mov_b64 s[30:31], s[22:23]
	s_and_saveexec_b64 s[26:27], vcc
	s_cbranch_execz .LBB376_760
; %bb.507:
	v_mul_lo_u32 v0, v10, s9
	v_ashrrev_i32_e32 v1, 31, v0
	s_and_b32 s34, 0xffff, s44
	s_cmp_lt_i32 s34, 11
	v_lshl_add_u64 v[0:1], s[6:7], 0, v[0:1]
	s_cbranch_scc1 .LBB376_514
; %bb.508:
	s_cmp_gt_i32 s34, 25
	s_cbranch_scc0 .LBB376_515
; %bb.509:
	s_cmp_gt_i32 s34, 28
	s_cbranch_scc0 .LBB376_516
; %bb.510:
	s_cmp_gt_i32 s34, 43
	s_cbranch_scc0 .LBB376_517
; %bb.511:
	s_cmp_gt_i32 s34, 45
	s_cbranch_scc0 .LBB376_520
; %bb.512:
	s_cmp_eq_u32 s34, 46
	s_mov_b64 s[30:31], 0
	s_cbranch_scc0 .LBB376_523
; %bb.513:
	global_load_dword v2, v[0:1], off
	s_mov_b32 s0, 0x2f800000
	s_mov_b32 s1, 0xcf800000
	s_waitcnt vmcnt(0)
	v_lshlrev_b32_e32 v2, 16, v2
	v_trunc_f32_e32 v2, v2
	v_mul_f32_e64 v3, |v2|, s0
	v_floor_f32_e32 v3, v3
	v_fma_f32 v4, v3, s1, |v2|
	v_cvt_u32_f32_e32 v4, v4
	v_cvt_u32_f32_e32 v3, v3
	v_ashrrev_i32_e32 v5, 31, v2
	s_mov_b64 s[0:1], -1
	v_xor_b32_e32 v2, v4, v5
	v_xor_b32_e32 v3, v3, v5
	v_sub_co_u32_e32 v2, vcc, v2, v5
	s_nop 1
	v_subb_co_u32_e32 v3, vcc, v3, v5, vcc
	s_branch .LBB376_524
.LBB376_514:
	s_mov_b64 s[30:31], -1
	s_mov_b64 s[0:1], 0
                                        ; implicit-def: $vgpr2_vgpr3
	s_mov_b64 s[28:29], s[20:21]
	s_branch .LBB376_585
.LBB376_515:
	s_mov_b64 s[30:31], -1
	s_mov_b64 s[0:1], 0
	s_mov_b64 s[28:29], s[20:21]
                                        ; implicit-def: $vgpr2_vgpr3
	s_branch .LBB376_551
.LBB376_516:
	s_mov_b64 s[30:31], -1
	s_mov_b64 s[0:1], 0
	s_mov_b64 s[28:29], s[20:21]
                                        ; implicit-def: $vgpr2_vgpr3
	s_branch .LBB376_534
.LBB376_517:
	s_mov_b64 s[30:31], -1
	s_mov_b64 s[0:1], 0
	s_mov_b64 s[28:29], s[20:21]
                                        ; implicit-def: $vgpr2_vgpr3
	s_branch .LBB376_529
.LBB376_518:
	s_andn2_saveexec_b64 s[28:29], s[28:29]
	s_cbranch_execz .LBB376_307
.LBB376_519:
	s_mov_b32 s34, 0x46000000
	v_add_f32_e64 v5, |v4|, s34
	v_and_b32_e32 v5, 0xff, v5
	v_cmp_ne_u32_e32 vcc, 0, v5
	s_andn2_b64 s[26:27], s[26:27], exec
	s_and_b64 s[34:35], vcc, exec
	s_or_b64 s[26:27], s[26:27], s[34:35]
	s_or_b64 exec, exec, s[28:29]
	v_mov_b32_e32 v6, 0
	s_and_saveexec_b64 s[28:29], s[26:27]
	s_cbranch_execnz .LBB376_308
	s_branch .LBB376_309
.LBB376_520:
	s_mov_b64 s[30:31], -1
	s_mov_b64 s[0:1], 0
	s_mov_b64 s[28:29], s[20:21]
                                        ; implicit-def: $vgpr2_vgpr3
	s_branch .LBB376_524
.LBB376_521:
	s_andn2_saveexec_b64 s[28:29], s[28:29]
	s_cbranch_execz .LBB376_320
.LBB376_522:
	s_mov_b32 s34, 0x42800000
	v_add_f32_e64 v5, |v4|, s34
	v_and_b32_e32 v5, 0xff, v5
	v_cmp_ne_u32_e32 vcc, 0, v5
	s_andn2_b64 s[26:27], s[26:27], exec
	s_and_b64 s[34:35], vcc, exec
	s_or_b64 s[26:27], s[26:27], s[34:35]
	s_or_b64 exec, exec, s[28:29]
	v_mov_b32_e32 v6, 0
	s_and_saveexec_b64 s[28:29], s[26:27]
	s_cbranch_execnz .LBB376_321
	s_branch .LBB376_322
.LBB376_523:
	s_mov_b64 s[28:29], -1
                                        ; implicit-def: $vgpr2_vgpr3
	s_mov_b64 s[0:1], 0
.LBB376_524:
	s_and_b64 vcc, exec, s[30:31]
	s_cbranch_vccz .LBB376_528
; %bb.525:
	s_cmp_eq_u32 s34, 44
	s_cbranch_scc0 .LBB376_527
; %bb.526:
	global_load_ubyte v2, v[0:1], off
	s_mov_b32 s0, 0x2f800000
	s_mov_b32 s1, 0xcf800000
	s_mov_b64 s[28:29], 0
	s_waitcnt vmcnt(0)
	v_lshlrev_b32_e32 v3, 23, v2
	v_trunc_f32_e32 v3, v3
	v_mul_f32_e64 v4, |v3|, s0
	v_floor_f32_e32 v4, v4
	v_fma_f32 v5, v4, s1, |v3|
	v_cvt_u32_f32_e32 v5, v5
	v_cvt_u32_f32_e32 v4, v4
	v_ashrrev_i32_e32 v3, 31, v3
	s_mov_b64 s[0:1], -1
	v_xor_b32_e32 v5, v5, v3
	v_xor_b32_e32 v4, v4, v3
	v_sub_co_u32_e32 v5, vcc, v5, v3
	s_nop 1
	v_subb_co_u32_e32 v3, vcc, v4, v3, vcc
	v_cmp_ne_u32_e32 vcc, 0, v2
	s_nop 1
	v_cndmask_b32_e32 v3, 0, v3, vcc
	v_cndmask_b32_e32 v2, 0, v5, vcc
	s_branch .LBB376_528
.LBB376_527:
	s_mov_b64 s[28:29], -1
                                        ; implicit-def: $vgpr2_vgpr3
.LBB376_528:
	s_mov_b64 s[30:31], 0
.LBB376_529:
	s_and_b64 vcc, exec, s[30:31]
	s_cbranch_vccz .LBB376_533
; %bb.530:
	s_cmp_eq_u32 s34, 29
	s_cbranch_scc0 .LBB376_532
; %bb.531:
	global_load_dwordx2 v[2:3], v[0:1], off
	s_mov_b64 s[0:1], -1
	s_mov_b64 s[28:29], 0
	s_branch .LBB376_533
.LBB376_532:
	s_mov_b64 s[28:29], -1
                                        ; implicit-def: $vgpr2_vgpr3
.LBB376_533:
	s_mov_b64 s[30:31], 0
.LBB376_534:
	s_and_b64 vcc, exec, s[30:31]
	s_cbranch_vccz .LBB376_550
; %bb.535:
	s_cmp_lt_i32 s34, 27
	s_cbranch_scc1 .LBB376_538
; %bb.536:
	s_cmp_gt_i32 s34, 27
	s_cbranch_scc0 .LBB376_539
; %bb.537:
	global_load_dword v2, v[0:1], off
	s_waitcnt vmcnt(1)
	v_mov_b32_e32 v3, 0
	s_mov_b64 s[0:1], 0
	s_branch .LBB376_540
.LBB376_538:
	s_mov_b64 s[0:1], -1
                                        ; implicit-def: $vgpr2_vgpr3
	s_branch .LBB376_543
.LBB376_539:
	s_mov_b64 s[0:1], -1
                                        ; implicit-def: $vgpr2_vgpr3
.LBB376_540:
	s_andn2_b64 vcc, exec, s[0:1]
	s_cbranch_vccnz .LBB376_542
; %bb.541:
	global_load_ushort v2, v[0:1], off
	s_mov_b32 s0, 0
	s_waitcnt vmcnt(1)
	v_mov_b32_e32 v3, s0
	s_waitcnt vmcnt(0)
	v_and_b32_e32 v2, 0xffff, v2
.LBB376_542:
	s_mov_b64 s[0:1], 0
.LBB376_543:
	s_andn2_b64 vcc, exec, s[0:1]
	s_cbranch_vccnz .LBB376_549
; %bb.544:
	global_load_ubyte v4, v[0:1], off
	s_movk_i32 s0, 0x7f
	s_mov_b64 s[30:31], 0
	s_waitcnt vmcnt(0)
	v_cmp_lt_i16_e32 vcc, s0, v4
	s_and_saveexec_b64 s[0:1], vcc
	s_xor_b64 s[0:1], exec, s[0:1]
	s_cbranch_execz .LBB376_561
; %bb.545:
	s_movk_i32 s30, 0x80
	v_cmp_ne_u16_e32 vcc, s30, v4
	s_and_b64 s[30:31], vcc, exec
	s_andn2_saveexec_b64 s[0:1], s[0:1]
	s_cbranch_execnz .LBB376_562
.LBB376_546:
	s_or_b64 exec, exec, s[0:1]
	v_mov_b64_e32 v[2:3], 0
	s_and_saveexec_b64 s[0:1], s[30:31]
	s_cbranch_execz .LBB376_548
.LBB376_547:
	v_and_b32_e32 v3, 0xffff, v4
	v_lshlrev_b32_e32 v2, 24, v4
	v_and_b32_e32 v4, 7, v3
	v_ffbh_u32_e32 v6, v4
	v_min_u32_e32 v6, 32, v6
	v_subrev_u32_e32 v7, 28, v6
	v_bfe_u32 v5, v3, 3, 4
	v_lshlrev_b32_e32 v3, v7, v3
	v_sub_u32_e32 v6, 29, v6
	v_and_b32_e32 v3, 7, v3
	v_cmp_eq_u32_e32 vcc, 0, v5
	v_and_b32_e32 v2, 0x80000000, v2
	s_mov_b32 s30, 0x2f800000
	v_cndmask_b32_e32 v5, v5, v6, vcc
	v_cndmask_b32_e32 v3, v4, v3, vcc
	v_mov_b32_e32 v4, 0x3b800000
	v_lshlrev_b32_e32 v3, 20, v3
	v_lshl_add_u32 v4, v5, 23, v4
	v_or3_b32 v2, v2, v4, v3
	v_trunc_f32_e32 v2, v2
	v_mul_f32_e64 v3, |v2|, s30
	v_floor_f32_e32 v3, v3
	s_mov_b32 s30, 0xcf800000
	v_fma_f32 v4, v3, s30, |v2|
	v_cvt_u32_f32_e32 v4, v4
	v_cvt_u32_f32_e32 v3, v3
	v_ashrrev_i32_e32 v5, 31, v2
	v_xor_b32_e32 v2, v4, v5
	v_xor_b32_e32 v3, v3, v5
	v_sub_co_u32_e32 v2, vcc, v2, v5
	s_nop 1
	v_subb_co_u32_e32 v3, vcc, v3, v5, vcc
.LBB376_548:
	s_or_b64 exec, exec, s[0:1]
.LBB376_549:
	s_mov_b64 s[0:1], -1
.LBB376_550:
	s_mov_b64 s[30:31], 0
.LBB376_551:
	s_and_b64 vcc, exec, s[30:31]
	s_cbranch_vccz .LBB376_584
; %bb.552:
	s_cmp_gt_i32 s34, 22
	s_cbranch_scc0 .LBB376_560
; %bb.553:
	s_cmp_lt_i32 s34, 24
	s_cbranch_scc1 .LBB376_563
; %bb.554:
	s_cmp_gt_i32 s34, 24
	s_cbranch_scc0 .LBB376_564
; %bb.555:
	global_load_ubyte v4, v[0:1], off
	s_movk_i32 s0, 0x7f
	s_mov_b64 s[30:31], 0
	s_waitcnt vmcnt(0)
	v_cmp_lt_i16_e32 vcc, s0, v4
	s_and_saveexec_b64 s[0:1], vcc
	s_xor_b64 s[0:1], exec, s[0:1]
	s_cbranch_execz .LBB376_576
; %bb.556:
	s_movk_i32 s30, 0x80
	v_cmp_ne_u16_e32 vcc, s30, v4
	s_and_b64 s[30:31], vcc, exec
	s_andn2_saveexec_b64 s[0:1], s[0:1]
	s_cbranch_execnz .LBB376_577
.LBB376_557:
	s_or_b64 exec, exec, s[0:1]
	v_mov_b64_e32 v[2:3], 0
	s_and_saveexec_b64 s[0:1], s[30:31]
	s_cbranch_execz .LBB376_559
.LBB376_558:
	v_and_b32_e32 v3, 0xffff, v4
	v_lshlrev_b32_e32 v2, 24, v4
	v_and_b32_e32 v4, 3, v3
	v_ffbh_u32_e32 v6, v4
	v_min_u32_e32 v6, 32, v6
	v_subrev_u32_e32 v7, 29, v6
	v_bfe_u32 v5, v3, 2, 5
	v_lshlrev_b32_e32 v3, v7, v3
	v_sub_u32_e32 v6, 30, v6
	v_and_b32_e32 v3, 3, v3
	v_cmp_eq_u32_e32 vcc, 0, v5
	v_and_b32_e32 v2, 0x80000000, v2
	s_mov_b32 s30, 0x2f800000
	v_cndmask_b32_e32 v5, v5, v6, vcc
	v_cndmask_b32_e32 v3, v4, v3, vcc
	v_mov_b32_e32 v4, 0x37800000
	v_lshlrev_b32_e32 v3, 21, v3
	v_lshl_add_u32 v4, v5, 23, v4
	v_or3_b32 v2, v2, v4, v3
	v_trunc_f32_e32 v2, v2
	v_mul_f32_e64 v3, |v2|, s30
	v_floor_f32_e32 v3, v3
	s_mov_b32 s30, 0xcf800000
	v_fma_f32 v4, v3, s30, |v2|
	v_cvt_u32_f32_e32 v4, v4
	v_cvt_u32_f32_e32 v3, v3
	v_ashrrev_i32_e32 v5, 31, v2
	v_xor_b32_e32 v2, v4, v5
	v_xor_b32_e32 v3, v3, v5
	v_sub_co_u32_e32 v2, vcc, v2, v5
	s_nop 1
	v_subb_co_u32_e32 v3, vcc, v3, v5, vcc
.LBB376_559:
	s_or_b64 exec, exec, s[0:1]
	s_mov_b64 s[0:1], 0
	s_branch .LBB376_565
.LBB376_560:
	s_mov_b64 s[30:31], -1
                                        ; implicit-def: $vgpr2_vgpr3
	s_branch .LBB376_571
.LBB376_561:
	s_andn2_saveexec_b64 s[0:1], s[0:1]
	s_cbranch_execz .LBB376_546
.LBB376_562:
	v_cmp_ne_u16_e32 vcc, 0, v4
	s_andn2_b64 s[30:31], s[30:31], exec
	s_and_b64 s[36:37], vcc, exec
	s_or_b64 s[30:31], s[30:31], s[36:37]
	s_or_b64 exec, exec, s[0:1]
	v_mov_b64_e32 v[2:3], 0
	s_and_saveexec_b64 s[0:1], s[30:31]
	s_cbranch_execnz .LBB376_547
	s_branch .LBB376_548
.LBB376_563:
	s_mov_b64 s[0:1], -1
                                        ; implicit-def: $vgpr2_vgpr3
	s_branch .LBB376_568
.LBB376_564:
	s_mov_b64 s[0:1], -1
                                        ; implicit-def: $vgpr2_vgpr3
.LBB376_565:
	s_and_b64 vcc, exec, s[0:1]
	s_cbranch_vccz .LBB376_567
; %bb.566:
	global_load_ubyte v2, v[0:1], off
	s_mov_b32 s0, 0x7f800000
	s_brev_b32 s1, 1
	s_mov_b32 s30, 0x2f800000
	s_mov_b32 s31, 0xcf800000
	s_waitcnt vmcnt(0)
	v_lshlrev_b32_e32 v2, 24, v2
	v_and_b32_e32 v3, 0x7f000000, v2
	v_ffbh_u32_e32 v4, v3
	v_min_u32_e32 v4, 32, v4
	v_sub_u32_e64 v4, v4, 4 clamp
	v_lshlrev_b32_e32 v6, v4, v3
	v_lshlrev_b32_e32 v4, 23, v4
	v_lshrrev_b32_e32 v6, 4, v6
	v_add_u32_e32 v5, 0x1000000, v3
	v_sub_u32_e32 v4, v6, v4
	v_ashrrev_i32_e32 v5, 8, v5
	v_add_u32_e32 v4, 0x3c000000, v4
	v_and_or_b32 v4, v5, s0, v4
	v_cmp_ne_u32_e32 vcc, 0, v3
	s_nop 1
	v_cndmask_b32_e32 v3, 0, v4, vcc
	v_and_or_b32 v2, v2, s1, v3
	v_trunc_f32_e32 v2, v2
	v_mul_f32_e64 v3, |v2|, s30
	v_floor_f32_e32 v3, v3
	v_fma_f32 v4, v3, s31, |v2|
	v_cvt_u32_f32_e32 v4, v4
	v_cvt_u32_f32_e32 v3, v3
	v_ashrrev_i32_e32 v5, 31, v2
	v_xor_b32_e32 v2, v4, v5
	v_xor_b32_e32 v3, v3, v5
	v_sub_co_u32_e32 v2, vcc, v2, v5
	s_nop 1
	v_subb_co_u32_e32 v3, vcc, v3, v5, vcc
.LBB376_567:
	s_mov_b64 s[0:1], 0
.LBB376_568:
	s_andn2_b64 vcc, exec, s[0:1]
	s_cbranch_vccnz .LBB376_570
; %bb.569:
	global_load_ubyte v2, v[0:1], off
	s_movk_i32 s0, 0x7f00
	s_brev_b32 s1, 16
	s_brev_b32 s30, 1
	s_mov_b32 s31, 0x2f800000
	s_mov_b32 s35, 0xcf800000
	s_waitcnt vmcnt(0)
	v_lshlrev_b16_e32 v3, 8, v2
	v_lshlrev_b32_e32 v2, 25, v2
	v_lshrrev_b32_e32 v4, 4, v2
	v_and_or_b32 v5, v3, s0, 0.5
	v_or_b32_e32 v4, 0x70000000, v4
	v_add_f32_e32 v5, -0.5, v5
	v_mul_f32_e32 v4, 0x7800000, v4
	v_cmp_gt_u32_e32 vcc, s1, v2
	v_bfe_i32 v3, v3, 0, 16
	s_nop 0
	v_cndmask_b32_e32 v2, v4, v5, vcc
	v_and_or_b32 v2, v3, s30, v2
	v_trunc_f32_e32 v2, v2
	v_mul_f32_e64 v3, |v2|, s31
	v_floor_f32_e32 v3, v3
	v_fma_f32 v4, v3, s35, |v2|
	v_cvt_u32_f32_e32 v4, v4
	v_cvt_u32_f32_e32 v3, v3
	v_ashrrev_i32_e32 v5, 31, v2
	v_xor_b32_e32 v2, v4, v5
	v_xor_b32_e32 v3, v3, v5
	v_sub_co_u32_e32 v2, vcc, v2, v5
	s_nop 1
	v_subb_co_u32_e32 v3, vcc, v3, v5, vcc
.LBB376_570:
	s_mov_b64 s[30:31], 0
	s_mov_b64 s[0:1], -1
.LBB376_571:
	s_andn2_b64 vcc, exec, s[30:31]
	s_cbranch_vccnz .LBB376_584
; %bb.572:
	s_cmp_gt_i32 s34, 14
	s_cbranch_scc0 .LBB376_575
; %bb.573:
	s_cmp_eq_u32 s34, 15
	s_cbranch_scc0 .LBB376_578
; %bb.574:
	global_load_ushort v2, v[0:1], off
	s_mov_b32 s0, 0x2f800000
	s_mov_b32 s1, 0xcf800000
	s_mov_b64 s[28:29], 0
	s_waitcnt vmcnt(0)
	v_lshlrev_b32_e32 v2, 16, v2
	v_trunc_f32_e32 v2, v2
	v_mul_f32_e64 v3, |v2|, s0
	v_floor_f32_e32 v3, v3
	v_fma_f32 v4, v3, s1, |v2|
	v_cvt_u32_f32_e32 v4, v4
	v_cvt_u32_f32_e32 v3, v3
	v_ashrrev_i32_e32 v5, 31, v2
	s_mov_b64 s[0:1], -1
	v_xor_b32_e32 v2, v4, v5
	v_xor_b32_e32 v3, v3, v5
	v_sub_co_u32_e32 v2, vcc, v2, v5
	s_nop 1
	v_subb_co_u32_e32 v3, vcc, v3, v5, vcc
	s_branch .LBB376_579
.LBB376_575:
	s_mov_b64 s[30:31], -1
                                        ; implicit-def: $vgpr2_vgpr3
	s_branch .LBB376_580
.LBB376_576:
	s_andn2_saveexec_b64 s[0:1], s[0:1]
	s_cbranch_execz .LBB376_557
.LBB376_577:
	v_cmp_ne_u16_e32 vcc, 0, v4
	s_andn2_b64 s[30:31], s[30:31], exec
	s_and_b64 s[36:37], vcc, exec
	s_or_b64 s[30:31], s[30:31], s[36:37]
	s_or_b64 exec, exec, s[0:1]
	v_mov_b64_e32 v[2:3], 0
	s_and_saveexec_b64 s[0:1], s[30:31]
	s_cbranch_execnz .LBB376_558
	s_branch .LBB376_559
.LBB376_578:
	s_mov_b64 s[28:29], -1
                                        ; implicit-def: $vgpr2_vgpr3
.LBB376_579:
	s_mov_b64 s[30:31], 0
.LBB376_580:
	s_and_b64 vcc, exec, s[30:31]
	s_cbranch_vccz .LBB376_584
; %bb.581:
	s_cmp_eq_u32 s34, 11
	s_cbranch_scc0 .LBB376_583
; %bb.582:
	global_load_ubyte v2, v[0:1], off
	s_mov_b32 s28, 0
	s_mov_b64 s[0:1], -1
	s_waitcnt vmcnt(1)
	v_mov_b32_e32 v3, s28
	s_mov_b64 s[28:29], 0
	s_waitcnt vmcnt(0)
	v_cmp_ne_u16_e32 vcc, 0, v2
	s_nop 1
	v_cndmask_b32_e64 v2, 0, 1, vcc
	s_branch .LBB376_584
.LBB376_583:
	s_mov_b64 s[28:29], -1
                                        ; implicit-def: $vgpr2_vgpr3
.LBB376_584:
	s_mov_b64 s[30:31], 0
.LBB376_585:
	s_and_b64 vcc, exec, s[30:31]
	s_cbranch_vccz .LBB376_634
; %bb.586:
	s_cmp_lt_i32 s34, 5
	s_cbranch_scc1 .LBB376_591
; %bb.587:
	s_cmp_lt_i32 s34, 8
	s_cbranch_scc1 .LBB376_592
	;; [unrolled: 3-line block ×3, first 2 shown]
; %bb.589:
	s_cmp_gt_i32 s34, 9
	s_cbranch_scc0 .LBB376_594
; %bb.590:
	global_load_dwordx2 v[2:3], v[0:1], off
	s_movk_i32 s0, 0xffe0
	s_waitcnt vmcnt(0)
	v_trunc_f64_e32 v[4:5], v[2:3]
	v_ldexp_f64 v[2:3], v[4:5], s0
	v_floor_f64_e32 v[6:7], v[2:3]
	v_fmac_f64_e32 v[4:5], 0xc1f00000, v[6:7]
	v_cvt_i32_f64_e32 v3, v[6:7]
	v_cvt_u32_f64_e32 v2, v[4:5]
	s_mov_b64 s[0:1], 0
	s_branch .LBB376_595
.LBB376_591:
	s_mov_b64 s[0:1], -1
                                        ; implicit-def: $vgpr2_vgpr3
	s_branch .LBB376_613
.LBB376_592:
	s_mov_b64 s[0:1], -1
                                        ; implicit-def: $vgpr2_vgpr3
	s_branch .LBB376_601
.LBB376_593:
	s_mov_b64 s[0:1], -1
                                        ; implicit-def: $vgpr2_vgpr3
	s_branch .LBB376_598
.LBB376_594:
	s_mov_b64 s[0:1], -1
                                        ; implicit-def: $vgpr2_vgpr3
.LBB376_595:
	s_andn2_b64 vcc, exec, s[0:1]
	s_cbranch_vccnz .LBB376_597
; %bb.596:
	global_load_dword v2, v[0:1], off
	s_mov_b32 s0, 0x2f800000
	s_mov_b32 s1, 0xcf800000
	s_waitcnt vmcnt(0)
	v_trunc_f32_e32 v2, v2
	v_mul_f32_e64 v3, |v2|, s0
	v_floor_f32_e32 v3, v3
	v_cvt_u32_f32_e32 v4, v3
	v_fma_f32 v3, v3, s1, |v2|
	v_cvt_u32_f32_e32 v3, v3
	v_ashrrev_i32_e32 v5, 31, v2
	v_xor_b32_e32 v4, v4, v5
	v_xor_b32_e32 v2, v3, v5
	v_sub_co_u32_e32 v2, vcc, v2, v5
	s_nop 1
	v_subb_co_u32_e32 v3, vcc, v4, v5, vcc
.LBB376_597:
	s_mov_b64 s[0:1], 0
.LBB376_598:
	s_andn2_b64 vcc, exec, s[0:1]
	s_cbranch_vccnz .LBB376_600
; %bb.599:
	global_load_dword v2, v[0:1], off
	s_waitcnt vmcnt(0)
	v_cvt_f32_f16_e32 v2, v2
	v_cvt_i32_f32_e32 v2, v2
	v_ashrrev_i32_e32 v3, 31, v2
.LBB376_600:
	s_mov_b64 s[0:1], 0
.LBB376_601:
	s_andn2_b64 vcc, exec, s[0:1]
	s_cbranch_vccnz .LBB376_612
; %bb.602:
	s_cmp_lt_i32 s34, 6
	s_cbranch_scc1 .LBB376_605
; %bb.603:
	s_cmp_gt_i32 s34, 6
	s_cbranch_scc0 .LBB376_606
; %bb.604:
	global_load_dwordx2 v[2:3], v[0:1], off
	s_movk_i32 s0, 0xffe0
	s_waitcnt vmcnt(0)
	v_trunc_f64_e32 v[4:5], v[2:3]
	v_ldexp_f64 v[2:3], v[4:5], s0
	v_floor_f64_e32 v[6:7], v[2:3]
	v_fmac_f64_e32 v[4:5], 0xc1f00000, v[6:7]
	v_cvt_i32_f64_e32 v3, v[6:7]
	v_cvt_u32_f64_e32 v2, v[4:5]
	s_mov_b64 s[0:1], 0
	s_branch .LBB376_607
.LBB376_605:
	s_mov_b64 s[0:1], -1
                                        ; implicit-def: $vgpr2_vgpr3
	s_branch .LBB376_610
.LBB376_606:
	s_mov_b64 s[0:1], -1
                                        ; implicit-def: $vgpr2_vgpr3
.LBB376_607:
	s_andn2_b64 vcc, exec, s[0:1]
	s_cbranch_vccnz .LBB376_609
; %bb.608:
	global_load_dword v2, v[0:1], off
	s_mov_b32 s0, 0x2f800000
	s_mov_b32 s1, 0xcf800000
	s_waitcnt vmcnt(0)
	v_trunc_f32_e32 v2, v2
	v_mul_f32_e64 v3, |v2|, s0
	v_floor_f32_e32 v3, v3
	v_cvt_u32_f32_e32 v4, v3
	v_fma_f32 v3, v3, s1, |v2|
	v_cvt_u32_f32_e32 v3, v3
	v_ashrrev_i32_e32 v5, 31, v2
	v_xor_b32_e32 v4, v4, v5
	v_xor_b32_e32 v2, v3, v5
	v_sub_co_u32_e32 v2, vcc, v2, v5
	s_nop 1
	v_subb_co_u32_e32 v3, vcc, v4, v5, vcc
.LBB376_609:
	s_mov_b64 s[0:1], 0
.LBB376_610:
	s_andn2_b64 vcc, exec, s[0:1]
	s_cbranch_vccnz .LBB376_612
; %bb.611:
	global_load_ushort v2, v[0:1], off
	s_waitcnt vmcnt(0)
	v_cvt_f32_f16_e32 v2, v2
	v_cvt_i32_f32_e32 v2, v2
	v_ashrrev_i32_e32 v3, 31, v2
.LBB376_612:
	s_mov_b64 s[0:1], 0
.LBB376_613:
	s_andn2_b64 vcc, exec, s[0:1]
	s_cbranch_vccnz .LBB376_633
; %bb.614:
	s_cmp_lt_i32 s34, 2
	s_cbranch_scc1 .LBB376_618
; %bb.615:
	s_cmp_lt_i32 s34, 3
	s_cbranch_scc1 .LBB376_619
; %bb.616:
	s_cmp_gt_i32 s34, 3
	s_cbranch_scc0 .LBB376_620
; %bb.617:
	global_load_dwordx2 v[2:3], v[0:1], off
	s_mov_b64 s[0:1], 0
	s_branch .LBB376_621
.LBB376_618:
	s_mov_b64 s[0:1], -1
                                        ; implicit-def: $vgpr2_vgpr3
	s_branch .LBB376_627
.LBB376_619:
	s_mov_b64 s[0:1], -1
                                        ; implicit-def: $vgpr2_vgpr3
	s_branch .LBB376_624
.LBB376_620:
	s_mov_b64 s[0:1], -1
                                        ; implicit-def: $vgpr2_vgpr3
.LBB376_621:
	s_andn2_b64 vcc, exec, s[0:1]
	s_cbranch_vccnz .LBB376_623
; %bb.622:
	global_load_dword v2, v[0:1], off
	s_waitcnt vmcnt(0)
	v_ashrrev_i32_e32 v3, 31, v2
.LBB376_623:
	s_mov_b64 s[0:1], 0
.LBB376_624:
	s_andn2_b64 vcc, exec, s[0:1]
	s_cbranch_vccnz .LBB376_626
; %bb.625:
	global_load_ushort v2, v[0:1], off
	s_waitcnt vmcnt(0)
	v_bfe_i32 v2, v2, 0, 16
	v_ashrrev_i32_e32 v3, 31, v2
.LBB376_626:
	s_mov_b64 s[0:1], 0
.LBB376_627:
	s_andn2_b64 vcc, exec, s[0:1]
	s_cbranch_vccnz .LBB376_633
; %bb.628:
	s_cmp_gt_i32 s34, 0
	s_cbranch_scc0 .LBB376_630
; %bb.629:
	global_load_sbyte v2, v[0:1], off
	s_mov_b64 s[0:1], 0
	s_waitcnt vmcnt(0)
	v_bfe_i32 v2, v2, 0, 16
	v_ashrrev_i32_e32 v3, 31, v2
	s_branch .LBB376_631
.LBB376_630:
	s_mov_b64 s[0:1], -1
                                        ; implicit-def: $vgpr2_vgpr3
.LBB376_631:
	s_andn2_b64 vcc, exec, s[0:1]
	s_cbranch_vccnz .LBB376_633
; %bb.632:
	global_load_ubyte v0, v[0:1], off
	s_mov_b32 s0, 0
	s_waitcnt vmcnt(1)
	v_mov_b32_e32 v3, s0
	s_waitcnt vmcnt(0)
	v_and_b32_e32 v2, 0xffff, v0
.LBB376_633:
	s_mov_b64 s[0:1], -1
.LBB376_634:
	s_andn2_b64 vcc, exec, s[0:1]
	s_cbranch_vccnz .LBB376_642
; %bb.635:
	v_mov_b32_e32 v0, s11
	s_waitcnt vmcnt(0)
	v_cmp_lt_i64_e32 vcc, s[10:11], v[2:3]
	s_and_b32 s38, s33, 0xff
	s_cmp_lt_i32 s38, 11
	v_cndmask_b32_e32 v1, v0, v3, vcc
	v_mov_b32_e32 v0, s10
	v_cndmask_b32_e32 v0, v0, v2, vcc
	v_mul_lo_u32 v2, v10, s8
	v_ashrrev_i32_e32 v3, 31, v2
	v_lshl_add_u64 v[2:3], s[4:5], 0, v[2:3]
	s_cbranch_scc1 .LBB376_643
; %bb.636:
	s_and_b32 s39, 0xffff, s38
	s_cmp_gt_i32 s39, 25
	s_cbranch_scc0 .LBB376_644
; %bb.637:
	s_cmp_gt_i32 s39, 28
	s_cbranch_scc0 .LBB376_645
; %bb.638:
	s_cmp_gt_i32 s39, 43
	s_cbranch_scc0 .LBB376_646
; %bb.639:
	s_cmp_gt_i32 s39, 45
	s_cbranch_scc0 .LBB376_647
; %bb.640:
	s_mov_b64 s[34:35], 0
	s_mov_b64 s[0:1], -1
	s_cmp_eq_u32 s39, 46
	s_mov_b64 s[30:31], 0
	s_cbranch_scc0 .LBB376_648
; %bb.641:
	v_xor_b32_e32 v5, v0, v1
	v_ffbh_i32_e32 v4, v1
	v_ashrrev_i32_e32 v5, 31, v5
	v_add_u32_e32 v4, -1, v4
	v_add_u32_e32 v5, 32, v5
	v_min_u32_e32 v6, v4, v5
	v_lshlrev_b64 v[4:5], v6, v[0:1]
	v_min_u32_e32 v4, 1, v4
	v_or_b32_e32 v4, v5, v4
	v_cvt_f32_i32_e32 v4, v4
	v_sub_u32_e32 v5, 32, v6
	s_movk_i32 s0, 0x7fff
	s_mov_b64 s[30:31], -1
	v_ldexp_f32 v4, v4, v5
	v_bfe_u32 v5, v4, 16, 1
	v_add3_u32 v4, v4, v5, s0
	v_lshrrev_b32_e32 v4, 16, v4
	global_store_dword v[2:3], v4, off
	s_mov_b64 s[0:1], 0
	s_branch .LBB376_648
.LBB376_642:
	s_mov_b64 s[34:35], 0
                                        ; implicit-def: $vgpr10
	s_mov_b64 s[0:1], s[22:23]
	s_branch .LBB376_759
.LBB376_643:
	s_mov_b64 s[34:35], -1
	s_mov_b64 s[30:31], 0
	s_mov_b64 s[0:1], s[22:23]
	s_branch .LBB376_717
.LBB376_644:
	s_mov_b64 s[34:35], -1
	s_mov_b64 s[30:31], 0
	s_mov_b64 s[0:1], s[22:23]
	s_branch .LBB376_675
.LBB376_645:
	s_mov_b64 s[34:35], -1
	s_mov_b64 s[30:31], 0
	s_mov_b64 s[0:1], s[22:23]
	s_branch .LBB376_658
.LBB376_646:
	s_mov_b64 s[34:35], -1
	s_mov_b64 s[30:31], 0
	s_mov_b64 s[0:1], s[22:23]
	s_branch .LBB376_654
.LBB376_647:
	s_mov_b64 s[34:35], -1
	s_mov_b64 s[30:31], 0
	s_mov_b64 s[0:1], s[22:23]
.LBB376_648:
	s_and_b64 vcc, exec, s[34:35]
	s_cbranch_vccz .LBB376_653
; %bb.649:
	s_cmp_eq_u32 s39, 44
	s_mov_b64 s[0:1], -1
	s_cbranch_scc0 .LBB376_653
; %bb.650:
	v_xor_b32_e32 v5, v0, v1
	v_ffbh_i32_e32 v4, v1
	v_ashrrev_i32_e32 v5, 31, v5
	v_add_u32_e32 v4, -1, v4
	v_add_u32_e32 v5, 32, v5
	v_min_u32_e32 v6, v4, v5
	v_lshlrev_b64 v[4:5], v6, v[0:1]
	v_min_u32_e32 v4, 1, v4
	v_or_b32_e32 v4, v5, v4
	v_cvt_f32_i32_e32 v4, v4
	v_sub_u32_e32 v5, 32, v6
	s_movk_i32 s0, 0xff
	v_mov_b32_e32 v6, 0xff
	v_ldexp_f32 v4, v4, v5
	v_bfe_u32 v5, v4, 23, 8
	v_cmp_ne_u32_e32 vcc, s0, v5
	s_and_saveexec_b64 s[30:31], vcc
; %bb.651:
	s_mov_b32 s0, 0x3fffff
	v_lshrrev_b32_e32 v6, 23, v4
	v_and_b32_e32 v7, 0x400000, v4
	v_and_or_b32 v4, v4, s0, v5
	v_cmp_ne_u32_e32 vcc, 0, v7
	v_cmp_ne_u32_e64 s[0:1], 0, v4
	s_and_b64 s[0:1], vcc, s[0:1]
	s_nop 0
	v_cndmask_b32_e64 v4, 0, 1, s[0:1]
	v_add_u32_e32 v6, v6, v4
; %bb.652:
	s_or_b64 exec, exec, s[30:31]
	s_mov_b64 s[30:31], -1
	s_mov_b64 s[0:1], 0
	global_store_byte v[2:3], v6, off
.LBB376_653:
	s_mov_b64 s[34:35], 0
.LBB376_654:
	s_and_b64 vcc, exec, s[34:35]
	s_cbranch_vccz .LBB376_657
; %bb.655:
	s_cmp_eq_u32 s39, 29
	s_mov_b64 s[0:1], -1
	s_cbranch_scc0 .LBB376_657
; %bb.656:
	global_store_dwordx2 v[2:3], v[0:1], off
	s_mov_b64 s[30:31], -1
	s_mov_b64 s[0:1], 0
.LBB376_657:
	s_mov_b64 s[34:35], 0
.LBB376_658:
	s_and_b64 vcc, exec, s[34:35]
	s_cbranch_vccz .LBB376_674
; %bb.659:
	s_cmp_lt_i32 s39, 27
	s_mov_b64 s[30:31], -1
	s_cbranch_scc1 .LBB376_665
; %bb.660:
	s_cmp_gt_i32 s39, 27
	s_cbranch_scc0 .LBB376_662
; %bb.661:
	s_mov_b64 s[30:31], 0
	global_store_dword v[2:3], v0, off
.LBB376_662:
	s_andn2_b64 vcc, exec, s[30:31]
	s_cbranch_vccnz .LBB376_664
; %bb.663:
	global_store_short v[2:3], v0, off
.LBB376_664:
	s_mov_b64 s[30:31], 0
.LBB376_665:
	s_andn2_b64 vcc, exec, s[30:31]
	s_cbranch_vccnz .LBB376_673
; %bb.666:
	v_xor_b32_e32 v5, v0, v1
	v_ffbh_i32_e32 v4, v1
	v_ashrrev_i32_e32 v5, 31, v5
	v_add_u32_e32 v4, -1, v4
	v_add_u32_e32 v5, 32, v5
	v_min_u32_e32 v6, v4, v5
	v_lshlrev_b64 v[4:5], v6, v[0:1]
	v_min_u32_e32 v4, 1, v4
	v_or_b32_e32 v4, v5, v4
	v_cvt_f32_i32_e32 v4, v4
	v_sub_u32_e32 v5, 32, v6
	s_mov_b32 s30, 0x43800000
	v_mov_b32_e32 v6, 0x80
	v_ldexp_f32 v4, v4, v5
	v_and_b32_e32 v5, 0x7fffffff, v4
	v_cmp_gt_u32_e32 vcc, s30, v5
	s_and_saveexec_b64 s[30:31], vcc
	s_cbranch_execz .LBB376_672
; %bb.667:
	s_mov_b32 s34, 0x3bffffff
	v_cmp_lt_u32_e32 vcc, s34, v5
	s_mov_b64 s[34:35], 0
                                        ; implicit-def: $vgpr5
	s_and_saveexec_b64 s[36:37], vcc
	s_xor_b64 s[36:37], exec, s[36:37]
	s_cbranch_execz .LBB376_773
; %bb.668:
	v_bfe_u32 v5, v4, 20, 1
	s_mov_b32 s41, 0x487ffff
	v_add3_u32 v5, v4, v5, s41
	s_mov_b64 s[34:35], exec
	v_lshrrev_b32_e32 v5, 20, v5
	s_andn2_saveexec_b64 s[36:37], s[36:37]
	s_cbranch_execnz .LBB376_774
.LBB376_669:
	s_or_b64 exec, exec, s[36:37]
	v_mov_b32_e32 v6, 0
	s_and_saveexec_b64 s[36:37], s[34:35]
.LBB376_670:
	v_lshrrev_b32_e32 v4, 24, v4
	s_movk_i32 s34, 0x80
	v_and_or_b32 v6, v4, s34, v5
.LBB376_671:
	s_or_b64 exec, exec, s[36:37]
.LBB376_672:
	s_or_b64 exec, exec, s[30:31]
	global_store_byte v[2:3], v6, off
.LBB376_673:
	s_mov_b64 s[30:31], -1
.LBB376_674:
	s_mov_b64 s[34:35], 0
.LBB376_675:
	s_and_b64 vcc, exec, s[34:35]
	s_cbranch_vccz .LBB376_716
; %bb.676:
	s_cmp_gt_i32 s39, 22
	s_mov_b64 s[34:35], -1
	s_cbranch_scc0 .LBB376_708
; %bb.677:
	s_cmp_lt_i32 s39, 24
	s_mov_b64 s[30:31], -1
	s_cbranch_scc1 .LBB376_697
; %bb.678:
	s_cmp_gt_i32 s39, 24
	s_cbranch_scc0 .LBB376_686
; %bb.679:
	v_xor_b32_e32 v5, v0, v1
	v_ffbh_i32_e32 v4, v1
	v_ashrrev_i32_e32 v5, 31, v5
	v_add_u32_e32 v4, -1, v4
	v_add_u32_e32 v5, 32, v5
	v_min_u32_e32 v6, v4, v5
	v_lshlrev_b64 v[4:5], v6, v[0:1]
	v_min_u32_e32 v4, 1, v4
	v_or_b32_e32 v4, v5, v4
	v_cvt_f32_i32_e32 v4, v4
	v_sub_u32_e32 v5, 32, v6
	s_mov_b32 s30, 0x47800000
	v_mov_b32_e32 v6, 0x80
	v_ldexp_f32 v4, v4, v5
	v_and_b32_e32 v5, 0x7fffffff, v4
	v_cmp_gt_u32_e32 vcc, s30, v5
	s_and_saveexec_b64 s[30:31], vcc
	s_cbranch_execz .LBB376_685
; %bb.680:
	s_mov_b32 s34, 0x37ffffff
	v_cmp_lt_u32_e32 vcc, s34, v5
	s_mov_b64 s[34:35], 0
                                        ; implicit-def: $vgpr5
	s_and_saveexec_b64 s[36:37], vcc
	s_xor_b64 s[36:37], exec, s[36:37]
	s_cbranch_execz .LBB376_776
; %bb.681:
	v_bfe_u32 v5, v4, 21, 1
	s_mov_b32 s41, 0x88fffff
	v_add3_u32 v5, v4, v5, s41
	s_mov_b64 s[34:35], exec
	v_lshrrev_b32_e32 v5, 21, v5
	s_andn2_saveexec_b64 s[36:37], s[36:37]
	s_cbranch_execnz .LBB376_777
.LBB376_682:
	s_or_b64 exec, exec, s[36:37]
	v_mov_b32_e32 v6, 0
	s_and_saveexec_b64 s[36:37], s[34:35]
.LBB376_683:
	v_lshrrev_b32_e32 v4, 24, v4
	s_movk_i32 s34, 0x80
	v_and_or_b32 v6, v4, s34, v5
.LBB376_684:
	s_or_b64 exec, exec, s[36:37]
.LBB376_685:
	s_or_b64 exec, exec, s[30:31]
	s_mov_b64 s[30:31], 0
	global_store_byte v[2:3], v6, off
.LBB376_686:
	s_and_b64 vcc, exec, s[30:31]
	s_cbranch_vccz .LBB376_696
; %bb.687:
	v_xor_b32_e32 v5, v0, v1
	v_ffbh_i32_e32 v4, v1
	v_ashrrev_i32_e32 v5, 31, v5
	v_add_u32_e32 v4, -1, v4
	v_add_u32_e32 v5, 32, v5
	v_min_u32_e32 v6, v4, v5
	v_lshlrev_b64 v[4:5], v6, v[0:1]
	v_min_u32_e32 v4, 1, v4
	v_or_b32_e32 v4, v5, v4
	v_cvt_f32_i32_e32 v4, v4
	v_sub_u32_e32 v5, 32, v6
	s_mov_b32 s30, 0x43f00000
	v_ldexp_f32 v4, v4, v5
	v_and_b32_e32 v6, 0x7fffffff, v4
	v_cmp_gt_u32_e32 vcc, s30, v6
                                        ; implicit-def: $vgpr5
	s_and_saveexec_b64 s[30:31], vcc
	s_xor_b64 s[30:31], exec, s[30:31]
	s_cbranch_execz .LBB376_693
; %bb.688:
	s_mov_b32 s34, 0x3c7fffff
	v_cmp_lt_u32_e32 vcc, s34, v6
                                        ; implicit-def: $vgpr5
	s_and_saveexec_b64 s[34:35], vcc
	s_xor_b64 s[34:35], exec, s[34:35]
; %bb.689:
	v_bfe_u32 v5, v4, 20, 1
	s_mov_b32 s36, 0x407ffff
	v_add3_u32 v5, v4, v5, s36
	v_lshrrev_b32_e32 v6, 20, v5
	v_and_b32_e32 v5, 0xff00000, v5
	s_mov_b32 s36, 0x7f00000
	v_mov_b32_e32 v7, 0x7e
	v_cmp_ne_u32_e32 vcc, s36, v5
	s_nop 1
	v_cndmask_b32_e32 v5, v7, v6, vcc
; %bb.690:
	s_andn2_saveexec_b64 s[34:35], s[34:35]
; %bb.691:
	s_mov_b32 s36, 0x46800000
	v_add_f32_e64 v5, |v4|, s36
; %bb.692:
	s_or_b64 exec, exec, s[34:35]
                                        ; implicit-def: $vgpr6
.LBB376_693:
	s_andn2_saveexec_b64 s[30:31], s[30:31]
; %bb.694:
	s_mov_b32 s34, 0x7f800000
	v_mov_b32_e32 v5, 0x7e
	v_mov_b32_e32 v7, 0x7f
	v_cmp_lt_u32_e32 vcc, s34, v6
	s_nop 1
	v_cndmask_b32_e32 v5, v5, v7, vcc
; %bb.695:
	s_or_b64 exec, exec, s[30:31]
	v_lshrrev_b32_e32 v4, 24, v4
	s_movk_i32 s30, 0x80
	v_and_or_b32 v4, v4, s30, v5
	global_store_byte v[2:3], v4, off
.LBB376_696:
	s_mov_b64 s[30:31], 0
.LBB376_697:
	s_andn2_b64 vcc, exec, s[30:31]
	s_cbranch_vccnz .LBB376_707
; %bb.698:
	v_xor_b32_e32 v5, v0, v1
	v_ffbh_i32_e32 v4, v1
	v_ashrrev_i32_e32 v5, 31, v5
	v_add_u32_e32 v4, -1, v4
	v_add_u32_e32 v5, 32, v5
	v_min_u32_e32 v6, v4, v5
	v_lshlrev_b64 v[4:5], v6, v[0:1]
	v_min_u32_e32 v4, 1, v4
	v_or_b32_e32 v4, v5, v4
	v_cvt_f32_i32_e32 v4, v4
	v_sub_u32_e32 v5, 32, v6
	s_mov_b32 s30, 0x47800000
	v_ldexp_f32 v4, v4, v5
	v_and_b32_e32 v6, 0x7fffffff, v4
	v_cmp_gt_u32_e32 vcc, s30, v6
                                        ; implicit-def: $vgpr5
	s_and_saveexec_b64 s[30:31], vcc
	s_xor_b64 s[30:31], exec, s[30:31]
	s_cbranch_execz .LBB376_704
; %bb.699:
	s_mov_b32 s34, 0x387fffff
	v_cmp_lt_u32_e32 vcc, s34, v6
                                        ; implicit-def: $vgpr5
	s_and_saveexec_b64 s[34:35], vcc
	s_xor_b64 s[34:35], exec, s[34:35]
; %bb.700:
	v_bfe_u32 v5, v4, 21, 1
	s_mov_b32 s36, 0x80fffff
	v_add3_u32 v5, v4, v5, s36
	v_lshrrev_b32_e32 v5, 21, v5
; %bb.701:
	s_andn2_saveexec_b64 s[34:35], s[34:35]
; %bb.702:
	s_mov_b32 s36, 0x43000000
	v_add_f32_e64 v5, |v4|, s36
; %bb.703:
	s_or_b64 exec, exec, s[34:35]
                                        ; implicit-def: $vgpr6
.LBB376_704:
	s_andn2_saveexec_b64 s[30:31], s[30:31]
; %bb.705:
	s_mov_b32 s34, 0x7f800000
	v_mov_b32_e32 v5, 0x7c
	v_mov_b32_e32 v7, 0x7f
	v_cmp_lt_u32_e32 vcc, s34, v6
	s_nop 1
	v_cndmask_b32_e32 v5, v5, v7, vcc
; %bb.706:
	s_or_b64 exec, exec, s[30:31]
	v_lshrrev_b32_e32 v4, 24, v4
	s_movk_i32 s30, 0x80
	v_and_or_b32 v4, v4, s30, v5
	global_store_byte v[2:3], v4, off
.LBB376_707:
	s_mov_b64 s[34:35], 0
	s_mov_b64 s[30:31], -1
.LBB376_708:
	s_andn2_b64 vcc, exec, s[34:35]
	s_cbranch_vccnz .LBB376_716
; %bb.709:
	s_cmp_gt_i32 s39, 14
	s_mov_b64 s[34:35], -1
	s_cbranch_scc0 .LBB376_713
; %bb.710:
	s_cmp_eq_u32 s39, 15
	s_mov_b64 s[0:1], -1
	s_cbranch_scc0 .LBB376_712
; %bb.711:
	v_xor_b32_e32 v5, v0, v1
	v_ffbh_i32_e32 v4, v1
	v_ashrrev_i32_e32 v5, 31, v5
	v_add_u32_e32 v4, -1, v4
	v_add_u32_e32 v5, 32, v5
	v_min_u32_e32 v6, v4, v5
	v_lshlrev_b64 v[4:5], v6, v[0:1]
	v_min_u32_e32 v4, 1, v4
	v_or_b32_e32 v4, v5, v4
	v_cvt_f32_i32_e32 v4, v4
	v_sub_u32_e32 v5, 32, v6
	s_movk_i32 s0, 0x7fff
	s_mov_b64 s[30:31], -1
	v_ldexp_f32 v4, v4, v5
	v_bfe_u32 v5, v4, 16, 1
	v_add3_u32 v4, v4, v5, s0
	global_store_short_d16_hi v[2:3], v4, off
	s_mov_b64 s[0:1], 0
.LBB376_712:
	s_mov_b64 s[34:35], 0
.LBB376_713:
	s_and_b64 vcc, exec, s[34:35]
	s_cbranch_vccz .LBB376_716
; %bb.714:
	s_cmp_eq_u32 s39, 11
	s_mov_b64 s[0:1], -1
	s_cbranch_scc0 .LBB376_716
; %bb.715:
	v_cmp_ne_u64_e32 vcc, 0, v[0:1]
	s_mov_b64 s[0:1], 0
	s_mov_b64 s[30:31], -1
	v_cndmask_b32_e64 v4, 0, 1, vcc
	global_store_byte v[2:3], v4, off
.LBB376_716:
	s_mov_b64 s[34:35], 0
.LBB376_717:
	s_and_b64 vcc, exec, s[34:35]
	s_cbranch_vccz .LBB376_756
; %bb.718:
	s_and_b32 s34, 0xffff, s38
	s_cmp_lt_i32 s34, 5
	s_mov_b64 s[30:31], -1
	s_cbranch_scc1 .LBB376_739
; %bb.719:
	s_cmp_lt_i32 s34, 8
	s_cbranch_scc1 .LBB376_729
; %bb.720:
	s_cmp_lt_i32 s34, 9
	s_cbranch_scc1 .LBB376_726
; %bb.721:
	s_cmp_gt_i32 s34, 9
	s_cbranch_scc0 .LBB376_723
; %bb.722:
	v_cvt_f64_i32_e32 v[4:5], v1
	v_ldexp_f64 v[4:5], v[4:5], 32
	v_cvt_f64_u32_e32 v[6:7], v0
	v_add_f64 v[4:5], v[4:5], v[6:7]
	v_mov_b32_e32 v6, 0
	v_mov_b32_e32 v7, v6
	s_mov_b64 s[30:31], 0
	global_store_dwordx4 v[2:3], v[4:7], off
.LBB376_723:
	s_andn2_b64 vcc, exec, s[30:31]
	s_cbranch_vccnz .LBB376_725
; %bb.724:
	v_xor_b32_e32 v5, v0, v1
	v_ffbh_i32_e32 v4, v1
	v_ashrrev_i32_e32 v5, 31, v5
	v_add_u32_e32 v4, -1, v4
	v_add_u32_e32 v5, 32, v5
	v_min_u32_e32 v6, v4, v5
	v_lshlrev_b64 v[4:5], v6, v[0:1]
	v_min_u32_e32 v4, 1, v4
	v_or_b32_e32 v4, v5, v4
	v_cvt_f32_i32_e32 v4, v4
	v_sub_u32_e32 v5, 32, v6
	v_ldexp_f32 v4, v4, v5
	v_mov_b32_e32 v5, 0
	global_store_dwordx2 v[2:3], v[4:5], off
.LBB376_725:
	s_mov_b64 s[30:31], 0
.LBB376_726:
	s_andn2_b64 vcc, exec, s[30:31]
	s_cbranch_vccnz .LBB376_728
; %bb.727:
	v_xor_b32_e32 v5, v0, v1
	v_ffbh_i32_e32 v4, v1
	v_ashrrev_i32_e32 v5, 31, v5
	v_add_u32_e32 v4, -1, v4
	v_add_u32_e32 v5, 32, v5
	v_min_u32_e32 v6, v4, v5
	v_lshlrev_b64 v[4:5], v6, v[0:1]
	v_min_u32_e32 v4, 1, v4
	v_or_b32_e32 v4, v5, v4
	v_cvt_f32_i32_e32 v4, v4
	v_sub_u32_e32 v5, 32, v6
	v_ldexp_f32 v4, v4, v5
	v_cvt_f16_f32_e32 v4, v4
	global_store_dword v[2:3], v4, off
.LBB376_728:
	s_mov_b64 s[30:31], 0
.LBB376_729:
	s_andn2_b64 vcc, exec, s[30:31]
	s_cbranch_vccnz .LBB376_738
; %bb.730:
	s_cmp_lt_i32 s34, 6
	s_mov_b64 s[30:31], -1
	s_cbranch_scc1 .LBB376_736
; %bb.731:
	s_cmp_gt_i32 s34, 6
	s_cbranch_scc0 .LBB376_733
; %bb.732:
	v_cvt_f64_i32_e32 v[4:5], v1
	v_ldexp_f64 v[4:5], v[4:5], 32
	v_cvt_f64_u32_e32 v[6:7], v0
	v_add_f64 v[4:5], v[4:5], v[6:7]
	s_mov_b64 s[30:31], 0
	global_store_dwordx2 v[2:3], v[4:5], off
.LBB376_733:
	s_andn2_b64 vcc, exec, s[30:31]
	s_cbranch_vccnz .LBB376_735
; %bb.734:
	v_xor_b32_e32 v5, v0, v1
	v_ffbh_i32_e32 v4, v1
	v_ashrrev_i32_e32 v5, 31, v5
	v_add_u32_e32 v4, -1, v4
	v_add_u32_e32 v5, 32, v5
	v_min_u32_e32 v6, v4, v5
	v_lshlrev_b64 v[4:5], v6, v[0:1]
	v_min_u32_e32 v4, 1, v4
	v_or_b32_e32 v4, v5, v4
	v_cvt_f32_i32_e32 v4, v4
	v_sub_u32_e32 v5, 32, v6
	v_ldexp_f32 v4, v4, v5
	global_store_dword v[2:3], v4, off
.LBB376_735:
	s_mov_b64 s[30:31], 0
.LBB376_736:
	s_andn2_b64 vcc, exec, s[30:31]
	s_cbranch_vccnz .LBB376_738
; %bb.737:
	v_xor_b32_e32 v5, v0, v1
	v_ffbh_i32_e32 v4, v1
	v_ashrrev_i32_e32 v5, 31, v5
	v_add_u32_e32 v4, -1, v4
	v_add_u32_e32 v5, 32, v5
	v_min_u32_e32 v6, v4, v5
	v_lshlrev_b64 v[4:5], v6, v[0:1]
	v_min_u32_e32 v4, 1, v4
	v_or_b32_e32 v4, v5, v4
	v_cvt_f32_i32_e32 v4, v4
	v_sub_u32_e32 v5, 32, v6
	v_ldexp_f32 v4, v4, v5
	v_cvt_f16_f32_e32 v4, v4
	global_store_short v[2:3], v4, off
.LBB376_738:
	s_mov_b64 s[30:31], 0
.LBB376_739:
	s_andn2_b64 vcc, exec, s[30:31]
	s_cbranch_vccnz .LBB376_755
; %bb.740:
	s_cmp_lt_i32 s34, 2
	s_mov_b64 s[30:31], -1
	s_cbranch_scc1 .LBB376_750
; %bb.741:
	s_cmp_lt_i32 s34, 3
	s_cbranch_scc1 .LBB376_747
; %bb.742:
	s_cmp_gt_i32 s34, 3
	s_cbranch_scc0 .LBB376_744
; %bb.743:
	s_mov_b64 s[30:31], 0
	global_store_dwordx2 v[2:3], v[0:1], off
.LBB376_744:
	s_andn2_b64 vcc, exec, s[30:31]
	s_cbranch_vccnz .LBB376_746
; %bb.745:
	global_store_dword v[2:3], v0, off
.LBB376_746:
	s_mov_b64 s[30:31], 0
.LBB376_747:
	s_andn2_b64 vcc, exec, s[30:31]
	s_cbranch_vccnz .LBB376_749
; %bb.748:
	global_store_short v[2:3], v0, off
.LBB376_749:
	s_mov_b64 s[30:31], 0
.LBB376_750:
	s_andn2_b64 vcc, exec, s[30:31]
	s_cbranch_vccnz .LBB376_755
; %bb.751:
	s_cmp_gt_i32 s34, 0
	s_mov_b64 s[30:31], -1
	s_cbranch_scc0 .LBB376_753
; %bb.752:
	s_mov_b64 s[30:31], 0
	global_store_byte v[2:3], v0, off
.LBB376_753:
	s_andn2_b64 vcc, exec, s[30:31]
	s_cbranch_vccnz .LBB376_755
; %bb.754:
	global_store_byte v[2:3], v0, off
.LBB376_755:
	s_mov_b64 s[30:31], -1
.LBB376_756:
	s_andn2_b64 vcc, exec, s[30:31]
	s_cbranch_vccnz .LBB376_758
; %bb.757:
	v_add_u32_e32 v10, 0x80, v10
	s_mov_b64 s[34:35], -1
	s_branch .LBB376_759
.LBB376_758:
	s_mov_b64 s[34:35], 0
                                        ; implicit-def: $vgpr10
.LBB376_759:
	s_andn2_b64 s[30:31], s[22:23], exec
	s_and_b64 s[0:1], s[0:1], exec
	s_or_b64 s[30:31], s[30:31], s[0:1]
	s_andn2_b64 s[0:1], s[20:21], exec
	s_and_b64 s[28:29], s[28:29], exec
	s_or_b64 s[0:1], s[0:1], s[28:29]
	s_orn2_b64 s[36:37], s[34:35], exec
.LBB376_760:
	s_or_b64 exec, exec, s[26:27]
	s_mov_b64 s[34:35], 0
	s_mov_b64 s[28:29], 0
	;; [unrolled: 1-line block ×3, first 2 shown]
                                        ; implicit-def: $vgpr0_vgpr1
                                        ; implicit-def: $vgpr4_vgpr5
	s_and_saveexec_b64 s[26:27], s[36:37]
	s_cbranch_execz .LBB376_841
; %bb.761:
	v_cmp_gt_i32_e32 vcc, s40, v10
	s_mov_b64 s[36:37], 0
	s_mov_b64 s[40:41], s[0:1]
	;; [unrolled: 1-line block ×3, first 2 shown]
                                        ; implicit-def: $vgpr0_vgpr1
                                        ; implicit-def: $vgpr4_vgpr5
	s_and_saveexec_b64 s[28:29], vcc
	s_cbranch_execz .LBB376_840
; %bb.762:
	v_mul_lo_u32 v0, v10, s9
	v_ashrrev_i32_e32 v1, 31, v0
	s_and_b32 s42, 0xffff, s44
	s_cmp_lt_i32 s42, 11
	v_lshl_add_u64 v[0:1], s[6:7], 0, v[0:1]
	s_cbranch_scc1 .LBB376_769
; %bb.763:
	s_cmp_gt_i32 s42, 25
	s_cbranch_scc0 .LBB376_770
; %bb.764:
	s_cmp_gt_i32 s42, 28
	s_cbranch_scc0 .LBB376_771
	;; [unrolled: 3-line block ×4, first 2 shown]
; %bb.767:
	s_cmp_eq_u32 s42, 46
	s_mov_b64 s[40:41], 0
	s_cbranch_scc0 .LBB376_778
; %bb.768:
	global_load_dword v2, v[0:1], off
	s_mov_b32 s34, 0x2f800000
	s_mov_b32 s35, 0xcf800000
	s_mov_b64 s[38:39], -1
	s_waitcnt vmcnt(0)
	v_lshlrev_b32_e32 v2, 16, v2
	v_trunc_f32_e32 v2, v2
	v_mul_f32_e64 v3, |v2|, s34
	v_floor_f32_e32 v3, v3
	v_fma_f32 v4, v3, s35, |v2|
	v_cvt_u32_f32_e32 v4, v4
	v_cvt_u32_f32_e32 v3, v3
	v_ashrrev_i32_e32 v2, 31, v2
	s_mov_b64 s[34:35], 0
	v_xor_b32_e32 v4, v4, v2
	v_xor_b32_e32 v3, v3, v2
	v_sub_co_u32_e32 v4, vcc, v4, v2
	s_nop 1
	v_subb_co_u32_e32 v5, vcc, v3, v2, vcc
	s_branch .LBB376_780
.LBB376_769:
	s_mov_b64 s[40:41], -1
                                        ; implicit-def: $vgpr4_vgpr5
	s_mov_b64 s[34:35], s[0:1]
	s_branch .LBB376_839
.LBB376_770:
	s_mov_b64 s[40:41], -1
	s_mov_b64 s[34:35], s[0:1]
                                        ; implicit-def: $vgpr4_vgpr5
	s_branch .LBB376_807
.LBB376_771:
	s_mov_b64 s[40:41], -1
	s_mov_b64 s[34:35], s[0:1]
                                        ; implicit-def: $vgpr4_vgpr5
	s_branch .LBB376_790
.LBB376_772:
	s_mov_b64 s[40:41], -1
	s_mov_b64 s[34:35], s[0:1]
                                        ; implicit-def: $vgpr4_vgpr5
	s_branch .LBB376_785
.LBB376_773:
	s_andn2_saveexec_b64 s[36:37], s[36:37]
	s_cbranch_execz .LBB376_669
.LBB376_774:
	s_mov_b32 s41, 0x46000000
	v_add_f32_e64 v5, |v4|, s41
	v_and_b32_e32 v5, 0xff, v5
	v_cmp_ne_u32_e32 vcc, 0, v5
	s_andn2_b64 s[34:35], s[34:35], exec
	s_and_b64 s[42:43], vcc, exec
	s_or_b64 s[34:35], s[34:35], s[42:43]
	s_or_b64 exec, exec, s[36:37]
	v_mov_b32_e32 v6, 0
	s_and_saveexec_b64 s[36:37], s[34:35]
	s_cbranch_execnz .LBB376_670
	s_branch .LBB376_671
.LBB376_775:
	s_mov_b64 s[40:41], -1
	s_mov_b64 s[34:35], s[0:1]
	s_branch .LBB376_779
.LBB376_776:
	s_andn2_saveexec_b64 s[36:37], s[36:37]
	s_cbranch_execz .LBB376_682
.LBB376_777:
	s_mov_b32 s41, 0x42800000
	v_add_f32_e64 v5, |v4|, s41
	v_and_b32_e32 v5, 0xff, v5
	v_cmp_ne_u32_e32 vcc, 0, v5
	s_andn2_b64 s[34:35], s[34:35], exec
	s_and_b64 s[42:43], vcc, exec
	s_or_b64 s[34:35], s[34:35], s[42:43]
	s_or_b64 exec, exec, s[36:37]
	v_mov_b32_e32 v6, 0
	s_and_saveexec_b64 s[36:37], s[34:35]
	s_cbranch_execnz .LBB376_683
	s_branch .LBB376_684
.LBB376_778:
	s_mov_b64 s[34:35], -1
.LBB376_779:
                                        ; implicit-def: $vgpr4_vgpr5
.LBB376_780:
	s_and_b64 vcc, exec, s[40:41]
	s_cbranch_vccz .LBB376_784
; %bb.781:
	s_cmp_eq_u32 s42, 44
	s_cbranch_scc0 .LBB376_783
; %bb.782:
	global_load_ubyte v2, v[0:1], off
	s_mov_b32 s34, 0x2f800000
	s_mov_b32 s35, 0xcf800000
	s_mov_b64 s[38:39], -1
	s_waitcnt vmcnt(0)
	v_lshlrev_b32_e32 v3, 23, v2
	v_trunc_f32_e32 v3, v3
	v_mul_f32_e64 v4, |v3|, s34
	v_floor_f32_e32 v4, v4
	v_fma_f32 v5, v4, s35, |v3|
	v_cvt_u32_f32_e32 v5, v5
	v_cvt_u32_f32_e32 v4, v4
	v_ashrrev_i32_e32 v3, 31, v3
	s_mov_b64 s[34:35], 0
	v_xor_b32_e32 v5, v5, v3
	v_xor_b32_e32 v4, v4, v3
	v_sub_co_u32_e32 v6, vcc, v5, v3
	s_nop 1
	v_subb_co_u32_e32 v3, vcc, v4, v3, vcc
	v_cmp_ne_u32_e32 vcc, 0, v2
	s_nop 1
	v_cndmask_b32_e32 v5, 0, v3, vcc
	v_cndmask_b32_e32 v4, 0, v6, vcc
	s_branch .LBB376_784
.LBB376_783:
	s_mov_b64 s[34:35], -1
                                        ; implicit-def: $vgpr4_vgpr5
.LBB376_784:
	s_mov_b64 s[40:41], 0
.LBB376_785:
	s_and_b64 vcc, exec, s[40:41]
	s_cbranch_vccz .LBB376_789
; %bb.786:
	s_cmp_eq_u32 s42, 29
	s_cbranch_scc0 .LBB376_788
; %bb.787:
	global_load_dwordx2 v[4:5], v[0:1], off
	s_mov_b64 s[34:35], 0
	s_mov_b64 s[38:39], -1
	s_branch .LBB376_789
.LBB376_788:
	s_mov_b64 s[34:35], -1
                                        ; implicit-def: $vgpr4_vgpr5
.LBB376_789:
	s_mov_b64 s[40:41], 0
.LBB376_790:
	s_and_b64 vcc, exec, s[40:41]
	s_cbranch_vccz .LBB376_806
; %bb.791:
	s_cmp_lt_i32 s42, 27
	s_cbranch_scc1 .LBB376_794
; %bb.792:
	s_cmp_gt_i32 s42, 27
	s_cbranch_scc0 .LBB376_795
; %bb.793:
	global_load_dword v4, v[0:1], off
	s_waitcnt vmcnt(1)
	v_mov_b32_e32 v5, 0
	s_mov_b64 s[38:39], 0
	s_branch .LBB376_796
.LBB376_794:
	s_mov_b64 s[38:39], -1
                                        ; implicit-def: $vgpr4_vgpr5
	s_branch .LBB376_799
.LBB376_795:
	s_mov_b64 s[38:39], -1
                                        ; implicit-def: $vgpr4_vgpr5
.LBB376_796:
	s_andn2_b64 vcc, exec, s[38:39]
	s_cbranch_vccnz .LBB376_798
; %bb.797:
	global_load_ushort v2, v[0:1], off
	s_mov_b32 s38, 0
	s_waitcnt vmcnt(1)
	v_mov_b32_e32 v5, s38
	s_waitcnt vmcnt(0)
	v_and_b32_e32 v4, 0xffff, v2
.LBB376_798:
	s_mov_b64 s[38:39], 0
.LBB376_799:
	s_andn2_b64 vcc, exec, s[38:39]
	s_cbranch_vccnz .LBB376_805
; %bb.800:
	global_load_ubyte v2, v[0:1], off
	s_movk_i32 s38, 0x7f
	s_mov_b64 s[40:41], 0
	s_waitcnt vmcnt(0)
	v_cmp_lt_i16_e32 vcc, s38, v2
	s_and_saveexec_b64 s[38:39], vcc
	s_xor_b64 s[38:39], exec, s[38:39]
	s_cbranch_execz .LBB376_817
; %bb.801:
	s_movk_i32 s40, 0x80
	v_cmp_ne_u16_e32 vcc, s40, v2
	s_and_b64 s[40:41], vcc, exec
	s_andn2_saveexec_b64 s[38:39], s[38:39]
	s_cbranch_execnz .LBB376_818
.LBB376_802:
	s_or_b64 exec, exec, s[38:39]
	v_mov_b64_e32 v[4:5], 0
	s_and_saveexec_b64 s[38:39], s[40:41]
	s_cbranch_execz .LBB376_804
.LBB376_803:
	v_lshlrev_b32_e32 v3, 24, v2
	v_and_b32_e32 v2, 0xffff, v2
	v_and_b32_e32 v4, 7, v2
	v_ffbh_u32_e32 v6, v4
	v_min_u32_e32 v6, 32, v6
	v_subrev_u32_e32 v7, 28, v6
	v_bfe_u32 v5, v2, 3, 4
	v_lshlrev_b32_e32 v2, v7, v2
	v_sub_u32_e32 v6, 29, v6
	v_and_b32_e32 v2, 7, v2
	v_cmp_eq_u32_e32 vcc, 0, v5
	v_and_b32_e32 v3, 0x80000000, v3
	s_mov_b32 s40, 0x2f800000
	v_cndmask_b32_e32 v5, v5, v6, vcc
	v_cndmask_b32_e32 v2, v4, v2, vcc
	v_mov_b32_e32 v4, 0x3b800000
	v_lshlrev_b32_e32 v2, 20, v2
	v_lshl_add_u32 v4, v5, 23, v4
	v_or3_b32 v2, v3, v4, v2
	v_trunc_f32_e32 v2, v2
	v_mul_f32_e64 v3, |v2|, s40
	v_floor_f32_e32 v3, v3
	s_mov_b32 s40, 0xcf800000
	v_fma_f32 v4, v3, s40, |v2|
	v_cvt_u32_f32_e32 v4, v4
	v_cvt_u32_f32_e32 v3, v3
	v_ashrrev_i32_e32 v2, 31, v2
	v_xor_b32_e32 v4, v4, v2
	v_xor_b32_e32 v3, v3, v2
	v_sub_co_u32_e32 v4, vcc, v4, v2
	s_nop 1
	v_subb_co_u32_e32 v5, vcc, v3, v2, vcc
.LBB376_804:
	s_or_b64 exec, exec, s[38:39]
.LBB376_805:
	s_mov_b64 s[38:39], -1
.LBB376_806:
	s_mov_b64 s[40:41], 0
.LBB376_807:
	s_and_b64 vcc, exec, s[40:41]
	s_cbranch_vccz .LBB376_838
; %bb.808:
	s_cmp_gt_i32 s42, 22
	s_cbranch_scc0 .LBB376_816
; %bb.809:
	s_cmp_lt_i32 s42, 24
	s_cbranch_scc1 .LBB376_819
; %bb.810:
	s_cmp_gt_i32 s42, 24
	s_cbranch_scc0 .LBB376_820
; %bb.811:
	global_load_ubyte v2, v[0:1], off
	s_movk_i32 s36, 0x7f
	s_mov_b64 s[38:39], 0
	s_waitcnt vmcnt(0)
	v_cmp_lt_i16_e32 vcc, s36, v2
	s_and_saveexec_b64 s[36:37], vcc
	s_xor_b64 s[36:37], exec, s[36:37]
	s_cbranch_execz .LBB376_832
; %bb.812:
	s_movk_i32 s38, 0x80
	v_cmp_ne_u16_e32 vcc, s38, v2
	s_and_b64 s[38:39], vcc, exec
	s_andn2_saveexec_b64 s[36:37], s[36:37]
	s_cbranch_execnz .LBB376_833
.LBB376_813:
	s_or_b64 exec, exec, s[36:37]
	v_mov_b64_e32 v[4:5], 0
	s_and_saveexec_b64 s[36:37], s[38:39]
	s_cbranch_execz .LBB376_815
.LBB376_814:
	v_lshlrev_b32_e32 v3, 24, v2
	v_and_b32_e32 v2, 0xffff, v2
	v_and_b32_e32 v4, 3, v2
	v_ffbh_u32_e32 v6, v4
	v_min_u32_e32 v6, 32, v6
	v_subrev_u32_e32 v7, 29, v6
	v_bfe_u32 v5, v2, 2, 5
	v_lshlrev_b32_e32 v2, v7, v2
	v_sub_u32_e32 v6, 30, v6
	v_and_b32_e32 v2, 3, v2
	v_cmp_eq_u32_e32 vcc, 0, v5
	v_and_b32_e32 v3, 0x80000000, v3
	s_mov_b32 s38, 0x2f800000
	v_cndmask_b32_e32 v5, v5, v6, vcc
	v_cndmask_b32_e32 v2, v4, v2, vcc
	v_mov_b32_e32 v4, 0x37800000
	v_lshlrev_b32_e32 v2, 21, v2
	v_lshl_add_u32 v4, v5, 23, v4
	v_or3_b32 v2, v3, v4, v2
	v_trunc_f32_e32 v2, v2
	v_mul_f32_e64 v3, |v2|, s38
	v_floor_f32_e32 v3, v3
	s_mov_b32 s38, 0xcf800000
	v_fma_f32 v4, v3, s38, |v2|
	v_cvt_u32_f32_e32 v4, v4
	v_cvt_u32_f32_e32 v3, v3
	v_ashrrev_i32_e32 v2, 31, v2
	v_xor_b32_e32 v4, v4, v2
	v_xor_b32_e32 v3, v3, v2
	v_sub_co_u32_e32 v4, vcc, v4, v2
	s_nop 1
	v_subb_co_u32_e32 v5, vcc, v3, v2, vcc
.LBB376_815:
	s_or_b64 exec, exec, s[36:37]
	s_mov_b64 s[36:37], 0
	s_branch .LBB376_821
.LBB376_816:
	s_mov_b64 s[36:37], -1
                                        ; implicit-def: $vgpr4_vgpr5
	s_branch .LBB376_827
.LBB376_817:
	s_andn2_saveexec_b64 s[38:39], s[38:39]
	s_cbranch_execz .LBB376_802
.LBB376_818:
	v_cmp_ne_u16_e32 vcc, 0, v2
	s_andn2_b64 s[40:41], s[40:41], exec
	s_and_b64 s[46:47], vcc, exec
	s_or_b64 s[40:41], s[40:41], s[46:47]
	s_or_b64 exec, exec, s[38:39]
	v_mov_b64_e32 v[4:5], 0
	s_and_saveexec_b64 s[38:39], s[40:41]
	s_cbranch_execnz .LBB376_803
	s_branch .LBB376_804
.LBB376_819:
	s_mov_b64 s[36:37], -1
                                        ; implicit-def: $vgpr4_vgpr5
	s_branch .LBB376_824
.LBB376_820:
	s_mov_b64 s[36:37], -1
                                        ; implicit-def: $vgpr4_vgpr5
.LBB376_821:
	s_and_b64 vcc, exec, s[36:37]
	s_cbranch_vccz .LBB376_823
; %bb.822:
	global_load_ubyte v2, v[0:1], off
	s_mov_b32 s36, 0x7f800000
	s_brev_b32 s37, 1
	s_mov_b32 s38, 0x2f800000
	s_mov_b32 s39, 0xcf800000
	s_waitcnt vmcnt(0)
	v_lshlrev_b32_e32 v2, 24, v2
	v_and_b32_e32 v3, 0x7f000000, v2
	v_ffbh_u32_e32 v4, v3
	v_min_u32_e32 v4, 32, v4
	v_sub_u32_e64 v4, v4, 4 clamp
	v_lshlrev_b32_e32 v6, v4, v3
	v_lshlrev_b32_e32 v4, 23, v4
	v_lshrrev_b32_e32 v6, 4, v6
	v_add_u32_e32 v5, 0x1000000, v3
	v_sub_u32_e32 v4, v6, v4
	v_ashrrev_i32_e32 v5, 8, v5
	v_add_u32_e32 v4, 0x3c000000, v4
	v_and_or_b32 v4, v5, s36, v4
	v_cmp_ne_u32_e32 vcc, 0, v3
	s_nop 1
	v_cndmask_b32_e32 v3, 0, v4, vcc
	v_and_or_b32 v2, v2, s37, v3
	v_trunc_f32_e32 v2, v2
	v_mul_f32_e64 v3, |v2|, s38
	v_floor_f32_e32 v3, v3
	v_fma_f32 v4, v3, s39, |v2|
	v_cvt_u32_f32_e32 v4, v4
	v_cvt_u32_f32_e32 v3, v3
	v_ashrrev_i32_e32 v2, 31, v2
	v_xor_b32_e32 v4, v4, v2
	v_xor_b32_e32 v3, v3, v2
	v_sub_co_u32_e32 v4, vcc, v4, v2
	s_nop 1
	v_subb_co_u32_e32 v5, vcc, v3, v2, vcc
.LBB376_823:
	s_mov_b64 s[36:37], 0
.LBB376_824:
	s_andn2_b64 vcc, exec, s[36:37]
	s_cbranch_vccnz .LBB376_826
; %bb.825:
	global_load_ubyte v2, v[0:1], off
	s_movk_i32 s36, 0x7f00
	s_brev_b32 s37, 16
	s_brev_b32 s38, 1
	s_mov_b32 s39, 0x2f800000
	s_mov_b32 s40, 0xcf800000
	s_waitcnt vmcnt(0)
	v_lshlrev_b16_e32 v3, 8, v2
	v_lshlrev_b32_e32 v2, 25, v2
	v_lshrrev_b32_e32 v4, 4, v2
	v_and_or_b32 v5, v3, s36, 0.5
	v_or_b32_e32 v4, 0x70000000, v4
	v_add_f32_e32 v5, -0.5, v5
	v_mul_f32_e32 v4, 0x7800000, v4
	v_cmp_gt_u32_e32 vcc, s37, v2
	v_bfe_i32 v3, v3, 0, 16
	s_nop 0
	v_cndmask_b32_e32 v2, v4, v5, vcc
	v_and_or_b32 v2, v3, s38, v2
	v_trunc_f32_e32 v2, v2
	v_mul_f32_e64 v3, |v2|, s39
	v_floor_f32_e32 v3, v3
	v_fma_f32 v4, v3, s40, |v2|
	v_cvt_u32_f32_e32 v4, v4
	v_cvt_u32_f32_e32 v3, v3
	v_ashrrev_i32_e32 v2, 31, v2
	v_xor_b32_e32 v4, v4, v2
	v_xor_b32_e32 v3, v3, v2
	v_sub_co_u32_e32 v4, vcc, v4, v2
	s_nop 1
	v_subb_co_u32_e32 v5, vcc, v3, v2, vcc
.LBB376_826:
	s_mov_b64 s[36:37], 0
	s_mov_b64 s[38:39], -1
.LBB376_827:
	s_andn2_b64 vcc, exec, s[36:37]
	s_mov_b64 s[36:37], 0
	s_cbranch_vccnz .LBB376_838
; %bb.828:
	s_cmp_gt_i32 s42, 14
	s_cbranch_scc0 .LBB376_831
; %bb.829:
	s_cmp_eq_u32 s42, 15
	s_cbranch_scc0 .LBB376_834
; %bb.830:
	global_load_ushort v2, v[0:1], off
	s_mov_b32 s34, 0x2f800000
	s_mov_b32 s35, 0xcf800000
	s_mov_b64 s[38:39], -1
	s_waitcnt vmcnt(0)
	v_lshlrev_b32_e32 v2, 16, v2
	v_trunc_f32_e32 v2, v2
	v_mul_f32_e64 v3, |v2|, s34
	v_floor_f32_e32 v3, v3
	v_fma_f32 v4, v3, s35, |v2|
	v_cvt_u32_f32_e32 v4, v4
	v_cvt_u32_f32_e32 v3, v3
	v_ashrrev_i32_e32 v2, 31, v2
	s_mov_b64 s[34:35], 0
	v_xor_b32_e32 v4, v4, v2
	v_xor_b32_e32 v3, v3, v2
	v_sub_co_u32_e32 v4, vcc, v4, v2
	s_nop 1
	v_subb_co_u32_e32 v5, vcc, v3, v2, vcc
	s_branch .LBB376_835
.LBB376_831:
	s_mov_b64 s[40:41], -1
                                        ; implicit-def: $vgpr4_vgpr5
	s_branch .LBB376_836
.LBB376_832:
	s_andn2_saveexec_b64 s[36:37], s[36:37]
	s_cbranch_execz .LBB376_813
.LBB376_833:
	v_cmp_ne_u16_e32 vcc, 0, v2
	s_andn2_b64 s[38:39], s[38:39], exec
	s_and_b64 s[40:41], vcc, exec
	s_or_b64 s[38:39], s[38:39], s[40:41]
	s_or_b64 exec, exec, s[36:37]
	v_mov_b64_e32 v[4:5], 0
	s_and_saveexec_b64 s[36:37], s[38:39]
	s_cbranch_execnz .LBB376_814
	s_branch .LBB376_815
.LBB376_834:
	s_mov_b64 s[34:35], -1
                                        ; implicit-def: $vgpr4_vgpr5
.LBB376_835:
	s_mov_b64 s[40:41], 0
.LBB376_836:
	s_and_b64 vcc, exec, s[40:41]
	s_cbranch_vccz .LBB376_838
; %bb.837:
	s_cmp_lg_u32 s42, 11
	s_cselect_b64 s[40:41], -1, 0
	s_andn2_b64 s[34:35], s[34:35], exec
	s_and_b64 s[40:41], s[40:41], exec
	s_mov_b64 s[36:37], -1
	s_or_b64 s[34:35], s[34:35], s[40:41]
.LBB376_838:
	s_mov_b64 s[40:41], 0
.LBB376_839:
	s_and_b64 s[42:43], s[40:41], exec
	s_andn2_b64 s[40:41], s[0:1], exec
	s_and_b64 s[34:35], s[34:35], exec
	s_and_b64 s[38:39], s[38:39], exec
	;; [unrolled: 1-line block ×3, first 2 shown]
	s_or_b64 s[40:41], s[40:41], s[34:35]
.LBB376_840:
	s_or_b64 exec, exec, s[28:29]
	s_and_b64 s[34:35], s[36:37], exec
	s_andn2_b64 s[0:1], s[0:1], exec
	s_and_b64 s[36:37], s[40:41], exec
	s_and_b64 s[38:39], s[38:39], exec
	;; [unrolled: 1-line block ×3, first 2 shown]
	s_or_b64 s[0:1], s[0:1], s[36:37]
.LBB376_841:
	s_or_b64 exec, exec, s[26:27]
	s_andn2_b64 s[22:23], s[22:23], exec
	s_and_b64 s[26:27], s[30:31], exec
	s_andn2_b64 s[20:21], s[20:21], exec
	s_and_b64 s[0:1], s[0:1], exec
	s_or_b64 s[22:23], s[22:23], s[26:27]
	s_and_b64 s[30:31], s[38:39], exec
	s_and_b64 s[28:29], s[28:29], exec
	s_and_b64 s[26:27], s[34:35], exec
	s_or_b64 s[20:21], s[20:21], s[0:1]
.LBB376_842:
	s_or_b64 exec, exec, s[24:25]
	s_andn2_b64 s[0:1], s[14:15], exec
	s_and_b64 s[14:15], s[22:23], exec
	s_andn2_b64 s[16:17], s[16:17], exec
	s_and_b64 s[20:21], s[20:21], exec
	s_or_b64 s[14:15], s[0:1], s[14:15]
	s_and_b64 s[0:1], s[30:31], exec
	s_and_b64 s[24:25], s[28:29], exec
	s_and_b64 s[22:23], s[26:27], exec
	s_or_b64 s[16:17], s[16:17], s[20:21]
	s_or_b64 exec, exec, s[18:19]
	s_mov_b64 s[18:19], 0
	s_and_saveexec_b64 s[20:21], s[16:17]
	s_cbranch_execz .LBB376_258
.LBB376_843:
	s_mov_b64 s[18:19], exec
	s_andn2_b64 s[22:23], s[22:23], exec
	s_trap 2
	s_or_b64 exec, exec, s[20:21]
	s_and_saveexec_b64 s[16:17], s[22:23]
	s_xor_b64 s[16:17], exec, s[16:17]
	s_cbranch_execnz .LBB376_259
.LBB376_844:
	s_or_b64 exec, exec, s[16:17]
	s_and_saveexec_b64 s[16:17], s[24:25]
	s_cbranch_execz .LBB376_890
.LBB376_845:
	s_sext_i32_i16 s20, s44
	s_cmp_lt_i32 s20, 5
	s_cbranch_scc1 .LBB376_850
; %bb.846:
	s_cmp_lt_i32 s20, 8
	s_cbranch_scc1 .LBB376_851
; %bb.847:
	;; [unrolled: 3-line block ×3, first 2 shown]
	s_cmp_gt_i32 s20, 9
	s_cbranch_scc0 .LBB376_853
; %bb.849:
	global_load_dwordx2 v[2:3], v[0:1], off
	s_movk_i32 s20, 0xffe0
	s_waitcnt vmcnt(0)
	v_trunc_f64_e32 v[2:3], v[2:3]
	v_ldexp_f64 v[4:5], v[2:3], s20
	v_floor_f64_e32 v[6:7], v[4:5]
	v_fmac_f64_e32 v[2:3], 0xc1f00000, v[6:7]
	v_cvt_i32_f64_e32 v5, v[6:7]
	v_cvt_u32_f64_e32 v4, v[2:3]
	s_mov_b64 s[20:21], 0
	s_branch .LBB376_854
.LBB376_850:
                                        ; implicit-def: $vgpr4_vgpr5
	s_branch .LBB376_871
.LBB376_851:
                                        ; implicit-def: $vgpr4_vgpr5
	s_branch .LBB376_860
.LBB376_852:
	s_mov_b64 s[20:21], -1
                                        ; implicit-def: $vgpr4_vgpr5
	s_branch .LBB376_857
.LBB376_853:
	s_mov_b64 s[20:21], -1
                                        ; implicit-def: $vgpr4_vgpr5
.LBB376_854:
	s_andn2_b64 vcc, exec, s[20:21]
	s_cbranch_vccnz .LBB376_856
; %bb.855:
	global_load_dword v2, v[0:1], off
	s_mov_b32 s20, 0x2f800000
	s_mov_b32 s21, 0xcf800000
	s_waitcnt vmcnt(0)
	v_trunc_f32_e32 v2, v2
	v_mul_f32_e64 v3, |v2|, s20
	v_floor_f32_e32 v3, v3
	v_cvt_u32_f32_e32 v4, v3
	v_fma_f32 v3, v3, s21, |v2|
	v_cvt_u32_f32_e32 v3, v3
	v_ashrrev_i32_e32 v2, 31, v2
	v_xor_b32_e32 v5, v4, v2
	v_xor_b32_e32 v3, v3, v2
	v_sub_co_u32_e32 v4, vcc, v3, v2
	s_nop 1
	v_subb_co_u32_e32 v5, vcc, v5, v2, vcc
.LBB376_856:
	s_mov_b64 s[20:21], 0
.LBB376_857:
	s_andn2_b64 vcc, exec, s[20:21]
	s_cbranch_vccnz .LBB376_859
; %bb.858:
	global_load_dword v2, v[0:1], off
	s_waitcnt vmcnt(0)
	v_cvt_f32_f16_e32 v2, v2
	v_cvt_i32_f32_e32 v4, v2
	v_ashrrev_i32_e32 v5, 31, v4
.LBB376_859:
	s_cbranch_execnz .LBB376_870
.LBB376_860:
	s_sext_i32_i16 s20, s44
	s_cmp_lt_i32 s20, 6
	s_cbranch_scc1 .LBB376_863
; %bb.861:
	s_cmp_gt_i32 s20, 6
	s_cbranch_scc0 .LBB376_864
; %bb.862:
	global_load_dwordx2 v[2:3], v[0:1], off
	s_movk_i32 s20, 0xffe0
	s_waitcnt vmcnt(0)
	v_trunc_f64_e32 v[2:3], v[2:3]
	v_ldexp_f64 v[4:5], v[2:3], s20
	v_floor_f64_e32 v[6:7], v[4:5]
	v_fmac_f64_e32 v[2:3], 0xc1f00000, v[6:7]
	v_cvt_i32_f64_e32 v5, v[6:7]
	v_cvt_u32_f64_e32 v4, v[2:3]
	s_mov_b64 s[20:21], 0
	s_branch .LBB376_865
.LBB376_863:
	s_mov_b64 s[20:21], -1
                                        ; implicit-def: $vgpr4_vgpr5
	s_branch .LBB376_868
.LBB376_864:
	s_mov_b64 s[20:21], -1
                                        ; implicit-def: $vgpr4_vgpr5
.LBB376_865:
	s_andn2_b64 vcc, exec, s[20:21]
	s_cbranch_vccnz .LBB376_867
; %bb.866:
	global_load_dword v2, v[0:1], off
	s_mov_b32 s20, 0x2f800000
	s_mov_b32 s21, 0xcf800000
	s_waitcnt vmcnt(0)
	v_trunc_f32_e32 v2, v2
	v_mul_f32_e64 v3, |v2|, s20
	v_floor_f32_e32 v3, v3
	v_cvt_u32_f32_e32 v4, v3
	v_fma_f32 v3, v3, s21, |v2|
	v_cvt_u32_f32_e32 v3, v3
	v_ashrrev_i32_e32 v2, 31, v2
	v_xor_b32_e32 v5, v4, v2
	v_xor_b32_e32 v3, v3, v2
	v_sub_co_u32_e32 v4, vcc, v3, v2
	s_nop 1
	v_subb_co_u32_e32 v5, vcc, v5, v2, vcc
.LBB376_867:
	s_mov_b64 s[20:21], 0
.LBB376_868:
	s_andn2_b64 vcc, exec, s[20:21]
	s_cbranch_vccnz .LBB376_870
; %bb.869:
	global_load_ushort v2, v[0:1], off
	s_waitcnt vmcnt(0)
	v_cvt_f32_f16_e32 v2, v2
	v_cvt_i32_f32_e32 v4, v2
	v_ashrrev_i32_e32 v5, 31, v4
.LBB376_870:
	s_cbranch_execnz .LBB376_889
.LBB376_871:
	s_sext_i32_i16 s20, s44
	s_cmp_lt_i32 s20, 2
	s_cbranch_scc1 .LBB376_875
; %bb.872:
	s_cmp_lt_i32 s20, 3
	s_cbranch_scc1 .LBB376_876
; %bb.873:
	s_cmp_gt_i32 s20, 3
	s_cbranch_scc0 .LBB376_877
; %bb.874:
	global_load_dwordx2 v[4:5], v[0:1], off
	s_mov_b64 s[20:21], 0
	s_branch .LBB376_878
.LBB376_875:
                                        ; implicit-def: $vgpr4_vgpr5
	s_branch .LBB376_884
.LBB376_876:
	s_mov_b64 s[20:21], -1
                                        ; implicit-def: $vgpr4_vgpr5
	s_branch .LBB376_881
.LBB376_877:
	s_mov_b64 s[20:21], -1
                                        ; implicit-def: $vgpr4_vgpr5
.LBB376_878:
	s_andn2_b64 vcc, exec, s[20:21]
	s_cbranch_vccnz .LBB376_880
; %bb.879:
	global_load_dword v4, v[0:1], off
	s_waitcnt vmcnt(0)
	v_ashrrev_i32_e32 v5, 31, v4
.LBB376_880:
	s_mov_b64 s[20:21], 0
.LBB376_881:
	s_andn2_b64 vcc, exec, s[20:21]
	s_cbranch_vccnz .LBB376_883
; %bb.882:
	global_load_ushort v2, v[0:1], off
	s_waitcnt vmcnt(0)
	v_bfe_i32 v4, v2, 0, 16
	v_ashrrev_i32_e32 v5, 31, v4
.LBB376_883:
	s_cbranch_execnz .LBB376_889
.LBB376_884:
	s_sext_i32_i16 s20, s44
	s_cmp_gt_i32 s20, 0
	s_cbranch_scc0 .LBB376_886
; %bb.885:
	global_load_sbyte v2, v[0:1], off
	s_mov_b64 s[20:21], 0
	s_waitcnt vmcnt(0)
	v_bfe_i32 v4, v2, 0, 16
	v_ashrrev_i32_e32 v5, 31, v4
	s_branch .LBB376_887
.LBB376_886:
	s_mov_b64 s[20:21], -1
                                        ; implicit-def: $vgpr4_vgpr5
.LBB376_887:
	s_andn2_b64 vcc, exec, s[20:21]
	s_cbranch_vccnz .LBB376_889
; %bb.888:
	global_load_ubyte v0, v[0:1], off
	s_mov_b32 s20, 0
	s_waitcnt vmcnt(1)
	v_mov_b32_e32 v5, s20
	s_waitcnt vmcnt(0)
	v_and_b32_e32 v4, 0xffff, v0
.LBB376_889:
	s_or_b64 s[0:1], s[0:1], exec
.LBB376_890:
	s_or_b64 exec, exec, s[16:17]
	s_mov_b64 s[22:23], 0
	s_mov_b64 s[20:21], 0
                                        ; implicit-def: $sgpr28
                                        ; implicit-def: $vgpr2_vgpr3
                                        ; implicit-def: $vgpr0_vgpr1
	s_and_saveexec_b64 s[16:17], s[0:1]
	s_cbranch_execz .LBB376_898
; %bb.891:
	v_mov_b32_e32 v0, s11
	s_waitcnt vmcnt(0)
	v_cmp_lt_i64_e32 vcc, s[10:11], v[4:5]
	v_mul_lo_u32 v2, v10, s8
	v_ashrrev_i32_e32 v3, 31, v2
	v_cndmask_b32_e32 v1, v0, v5, vcc
	v_mov_b32_e32 v0, s10
	s_and_b32 s28, s33, 0xff
	v_cndmask_b32_e32 v0, v0, v4, vcc
	s_cmp_lt_i32 s28, 11
	v_lshl_add_u64 v[2:3], s[4:5], 0, v[2:3]
	s_cbranch_scc1 .LBB376_901
; %bb.892:
	s_and_b32 s29, 0xffff, s28
	s_mov_b64 s[22:23], -1
	s_cmp_gt_i32 s29, 25
	s_mov_b64 s[0:1], s[14:15]
	s_cbranch_scc0 .LBB376_929
; %bb.893:
	s_mov_b64 s[20:21], -1
	s_cmp_gt_i32 s29, 28
	s_mov_b64 s[0:1], s[14:15]
	s_cbranch_scc0 .LBB376_913
; %bb.894:
	s_cmp_gt_i32 s29, 43
	s_mov_b64 s[0:1], s[14:15]
	s_cbranch_scc0 .LBB376_909
; %bb.895:
	;; [unrolled: 4-line block ×3, first 2 shown]
	s_cmp_eq_u32 s29, 46
	s_mov_b64 s[0:1], -1
	s_cbranch_scc0 .LBB376_902
; %bb.897:
	v_xor_b32_e32 v5, v0, v1
	v_ffbh_i32_e32 v4, v1
	v_ashrrev_i32_e32 v5, 31, v5
	v_add_u32_e32 v4, -1, v4
	v_add_u32_e32 v5, 32, v5
	v_min_u32_e32 v6, v4, v5
	v_lshlrev_b64 v[4:5], v6, v[0:1]
	v_min_u32_e32 v4, 1, v4
	v_or_b32_e32 v4, v5, v4
	v_cvt_f32_i32_e32 v4, v4
	v_sub_u32_e32 v5, 32, v6
	s_movk_i32 s0, 0x7fff
	s_mov_b64 s[20:21], 0
	v_ldexp_f32 v4, v4, v5
	v_bfe_u32 v5, v4, 16, 1
	v_add3_u32 v4, v4, v5, s0
	v_lshrrev_b32_e32 v4, 16, v4
	global_store_dword v[2:3], v4, off
	s_mov_b64 s[0:1], 0
	s_branch .LBB376_903
.LBB376_898:
	s_or_b64 exec, exec, s[16:17]
	s_and_saveexec_b64 s[0:1], s[14:15]
	s_cbranch_execnz .LBB376_971
.LBB376_899:
	s_or_b64 exec, exec, s[0:1]
	s_and_saveexec_b64 s[0:1], s[22:23]
	s_xor_b64 s[0:1], exec, s[0:1]
	s_cbranch_execz .LBB376_972
.LBB376_900:
	v_cmp_ne_u64_e32 vcc, 0, v[0:1]
	s_waitcnt vmcnt(0)
	s_nop 0
	v_cndmask_b32_e64 v4, 0, 1, vcc
	global_store_byte v[2:3], v4, off
	s_or_b64 exec, exec, s[0:1]
	s_and_saveexec_b64 s[0:1], s[20:21]
	s_xor_b64 s[0:1], exec, s[0:1]
	s_cbranch_execz .LBB376_1010
	s_branch .LBB376_973
.LBB376_901:
	s_mov_b64 s[20:21], -1
	s_mov_b64 s[0:1], s[14:15]
	s_branch .LBB376_970
.LBB376_902:
	s_mov_b64 s[20:21], 0
.LBB376_903:
	s_and_b64 vcc, exec, s[20:21]
	s_cbranch_vccz .LBB376_908
; %bb.904:
	s_cmp_eq_u32 s29, 44
	s_mov_b64 s[0:1], -1
	s_cbranch_scc0 .LBB376_908
; %bb.905:
	v_xor_b32_e32 v5, v0, v1
	v_ffbh_i32_e32 v4, v1
	v_ashrrev_i32_e32 v5, 31, v5
	v_add_u32_e32 v4, -1, v4
	v_add_u32_e32 v5, 32, v5
	v_min_u32_e32 v6, v4, v5
	v_lshlrev_b64 v[4:5], v6, v[0:1]
	v_min_u32_e32 v4, 1, v4
	v_or_b32_e32 v4, v5, v4
	v_cvt_f32_i32_e32 v4, v4
	v_sub_u32_e32 v5, 32, v6
	s_movk_i32 s0, 0xff
	v_mov_b32_e32 v6, 0xff
	v_ldexp_f32 v4, v4, v5
	v_bfe_u32 v5, v4, 23, 8
	v_cmp_ne_u32_e32 vcc, s0, v5
	s_and_saveexec_b64 s[20:21], vcc
; %bb.906:
	s_mov_b32 s0, 0x3fffff
	v_lshrrev_b32_e32 v6, 23, v4
	v_and_b32_e32 v7, 0x400000, v4
	v_and_or_b32 v4, v4, s0, v5
	v_cmp_ne_u32_e32 vcc, 0, v7
	v_cmp_ne_u32_e64 s[0:1], 0, v4
	s_and_b64 s[0:1], vcc, s[0:1]
	s_nop 0
	v_cndmask_b32_e64 v4, 0, 1, s[0:1]
	v_add_u32_e32 v6, v6, v4
; %bb.907:
	s_or_b64 exec, exec, s[20:21]
	s_mov_b64 s[0:1], 0
	global_store_byte v[2:3], v6, off
.LBB376_908:
	s_mov_b64 s[20:21], 0
.LBB376_909:
	s_and_b64 vcc, exec, s[20:21]
	s_cbranch_vccz .LBB376_912
; %bb.910:
	s_cmp_eq_u32 s29, 29
	s_mov_b64 s[0:1], -1
	s_cbranch_scc0 .LBB376_912
; %bb.911:
	global_store_dwordx2 v[2:3], v[0:1], off
	s_mov_b64 s[0:1], 0
.LBB376_912:
	s_mov_b64 s[20:21], 0
.LBB376_913:
	s_and_b64 vcc, exec, s[20:21]
	s_cbranch_vccz .LBB376_928
; %bb.914:
	s_cmp_lt_i32 s29, 27
	s_mov_b64 s[20:21], -1
	s_cbranch_scc1 .LBB376_920
; %bb.915:
	s_cmp_gt_i32 s29, 27
	s_cbranch_scc0 .LBB376_917
; %bb.916:
	s_mov_b64 s[20:21], 0
	global_store_dword v[2:3], v0, off
.LBB376_917:
	s_andn2_b64 vcc, exec, s[20:21]
	s_cbranch_vccnz .LBB376_919
; %bb.918:
	global_store_short v[2:3], v0, off
.LBB376_919:
	s_mov_b64 s[20:21], 0
.LBB376_920:
	s_andn2_b64 vcc, exec, s[20:21]
	s_cbranch_vccnz .LBB376_928
; %bb.921:
	v_xor_b32_e32 v5, v0, v1
	v_ffbh_i32_e32 v4, v1
	v_ashrrev_i32_e32 v5, 31, v5
	v_add_u32_e32 v4, -1, v4
	v_add_u32_e32 v5, 32, v5
	v_min_u32_e32 v6, v4, v5
	v_lshlrev_b64 v[4:5], v6, v[0:1]
	v_min_u32_e32 v4, 1, v4
	v_or_b32_e32 v4, v5, v4
	v_cvt_f32_i32_e32 v4, v4
	v_sub_u32_e32 v5, 32, v6
	s_mov_b32 s20, 0x43800000
	v_mov_b32_e32 v6, 0x80
	v_ldexp_f32 v4, v4, v5
	v_and_b32_e32 v5, 0x7fffffff, v4
	v_cmp_gt_u32_e32 vcc, s20, v5
	s_and_saveexec_b64 s[20:21], vcc
	s_cbranch_execz .LBB376_927
; %bb.922:
	s_mov_b32 s22, 0x3bffffff
	v_cmp_lt_u32_e32 vcc, s22, v5
	s_mov_b64 s[22:23], 0
                                        ; implicit-def: $vgpr5
	s_and_saveexec_b64 s[24:25], vcc
	s_xor_b64 s[24:25], exec, s[24:25]
	s_cbranch_execz .LBB376_1025
; %bb.923:
	v_bfe_u32 v5, v4, 20, 1
	s_mov_b32 s26, 0x487ffff
	v_add3_u32 v5, v4, v5, s26
	s_mov_b64 s[22:23], exec
	v_lshrrev_b32_e32 v5, 20, v5
	s_andn2_saveexec_b64 s[24:25], s[24:25]
	s_cbranch_execnz .LBB376_1026
.LBB376_924:
	s_or_b64 exec, exec, s[24:25]
	v_mov_b32_e32 v6, 0
	s_and_saveexec_b64 s[24:25], s[22:23]
.LBB376_925:
	v_lshrrev_b32_e32 v4, 24, v4
	s_movk_i32 s22, 0x80
	v_and_or_b32 v6, v4, s22, v5
.LBB376_926:
	s_or_b64 exec, exec, s[24:25]
.LBB376_927:
	s_or_b64 exec, exec, s[20:21]
	global_store_byte v[2:3], v6, off
.LBB376_928:
	s_mov_b64 s[22:23], 0
.LBB376_929:
	s_mov_b64 s[20:21], 0
	s_and_b64 vcc, exec, s[22:23]
	s_cbranch_vccz .LBB376_969
; %bb.930:
	s_cmp_gt_i32 s29, 22
	s_mov_b64 s[22:23], -1
	s_cbranch_scc0 .LBB376_962
; %bb.931:
	s_cmp_lt_i32 s29, 24
	s_cbranch_scc1 .LBB376_951
; %bb.932:
	s_cmp_gt_i32 s29, 24
	s_cbranch_scc0 .LBB376_940
; %bb.933:
	v_xor_b32_e32 v5, v0, v1
	v_ffbh_i32_e32 v4, v1
	v_ashrrev_i32_e32 v5, 31, v5
	v_add_u32_e32 v4, -1, v4
	v_add_u32_e32 v5, 32, v5
	v_min_u32_e32 v6, v4, v5
	v_lshlrev_b64 v[4:5], v6, v[0:1]
	v_min_u32_e32 v4, 1, v4
	v_or_b32_e32 v4, v5, v4
	v_cvt_f32_i32_e32 v4, v4
	v_sub_u32_e32 v5, 32, v6
	s_mov_b32 s22, 0x47800000
	v_mov_b32_e32 v6, 0x80
	v_ldexp_f32 v4, v4, v5
	v_and_b32_e32 v5, 0x7fffffff, v4
	v_cmp_gt_u32_e32 vcc, s22, v5
	s_and_saveexec_b64 s[22:23], vcc
	s_cbranch_execz .LBB376_939
; %bb.934:
	s_mov_b32 s24, 0x37ffffff
	v_cmp_lt_u32_e32 vcc, s24, v5
	s_mov_b64 s[24:25], 0
                                        ; implicit-def: $vgpr5
	s_and_saveexec_b64 s[26:27], vcc
	s_xor_b64 s[26:27], exec, s[26:27]
	s_cbranch_execz .LBB376_1145
; %bb.935:
	v_bfe_u32 v5, v4, 21, 1
	s_mov_b32 s30, 0x88fffff
	v_add3_u32 v5, v4, v5, s30
	s_mov_b64 s[24:25], exec
	v_lshrrev_b32_e32 v5, 21, v5
	s_andn2_saveexec_b64 s[26:27], s[26:27]
	s_cbranch_execnz .LBB376_1146
.LBB376_936:
	s_or_b64 exec, exec, s[26:27]
	v_mov_b32_e32 v6, 0
	s_and_saveexec_b64 s[26:27], s[24:25]
.LBB376_937:
	v_lshrrev_b32_e32 v4, 24, v4
	s_movk_i32 s24, 0x80
	v_and_or_b32 v6, v4, s24, v5
.LBB376_938:
	s_or_b64 exec, exec, s[26:27]
.LBB376_939:
	s_or_b64 exec, exec, s[22:23]
	s_mov_b64 s[22:23], 0
	global_store_byte v[2:3], v6, off
.LBB376_940:
	s_and_b64 vcc, exec, s[22:23]
	s_cbranch_vccz .LBB376_950
; %bb.941:
	v_xor_b32_e32 v5, v0, v1
	v_ffbh_i32_e32 v4, v1
	v_ashrrev_i32_e32 v5, 31, v5
	v_add_u32_e32 v4, -1, v4
	v_add_u32_e32 v5, 32, v5
	v_min_u32_e32 v6, v4, v5
	v_lshlrev_b64 v[4:5], v6, v[0:1]
	v_min_u32_e32 v4, 1, v4
	v_or_b32_e32 v4, v5, v4
	v_cvt_f32_i32_e32 v4, v4
	v_sub_u32_e32 v5, 32, v6
	s_mov_b32 s22, 0x43f00000
	v_ldexp_f32 v4, v4, v5
	v_and_b32_e32 v6, 0x7fffffff, v4
	v_cmp_gt_u32_e32 vcc, s22, v6
                                        ; implicit-def: $vgpr5
	s_and_saveexec_b64 s[22:23], vcc
	s_xor_b64 s[22:23], exec, s[22:23]
	s_cbranch_execz .LBB376_947
; %bb.942:
	s_mov_b32 s24, 0x3c7fffff
	v_cmp_lt_u32_e32 vcc, s24, v6
                                        ; implicit-def: $vgpr5
	s_and_saveexec_b64 s[24:25], vcc
	s_xor_b64 s[24:25], exec, s[24:25]
; %bb.943:
	v_bfe_u32 v5, v4, 20, 1
	s_mov_b32 s26, 0x407ffff
	v_add3_u32 v5, v4, v5, s26
	v_lshrrev_b32_e32 v6, 20, v5
	v_and_b32_e32 v5, 0xff00000, v5
	s_mov_b32 s26, 0x7f00000
	v_mov_b32_e32 v7, 0x7e
	v_cmp_ne_u32_e32 vcc, s26, v5
	s_nop 1
	v_cndmask_b32_e32 v5, v7, v6, vcc
; %bb.944:
	s_andn2_saveexec_b64 s[24:25], s[24:25]
; %bb.945:
	s_mov_b32 s26, 0x46800000
	v_add_f32_e64 v5, |v4|, s26
; %bb.946:
	s_or_b64 exec, exec, s[24:25]
                                        ; implicit-def: $vgpr6
.LBB376_947:
	s_andn2_saveexec_b64 s[22:23], s[22:23]
; %bb.948:
	s_mov_b32 s24, 0x7f800000
	v_mov_b32_e32 v5, 0x7e
	v_mov_b32_e32 v7, 0x7f
	v_cmp_lt_u32_e32 vcc, s24, v6
	s_nop 1
	v_cndmask_b32_e32 v5, v5, v7, vcc
; %bb.949:
	s_or_b64 exec, exec, s[22:23]
	v_lshrrev_b32_e32 v4, 24, v4
	s_movk_i32 s22, 0x80
	v_and_or_b32 v4, v4, s22, v5
	global_store_byte v[2:3], v4, off
.LBB376_950:
	s_mov_b64 s[22:23], 0
.LBB376_951:
	s_andn2_b64 vcc, exec, s[22:23]
	s_cbranch_vccnz .LBB376_961
; %bb.952:
	v_xor_b32_e32 v5, v0, v1
	v_ffbh_i32_e32 v4, v1
	v_ashrrev_i32_e32 v5, 31, v5
	v_add_u32_e32 v4, -1, v4
	v_add_u32_e32 v5, 32, v5
	v_min_u32_e32 v6, v4, v5
	v_lshlrev_b64 v[4:5], v6, v[0:1]
	v_min_u32_e32 v4, 1, v4
	v_or_b32_e32 v4, v5, v4
	v_cvt_f32_i32_e32 v4, v4
	v_sub_u32_e32 v5, 32, v6
	s_mov_b32 s22, 0x47800000
	v_ldexp_f32 v4, v4, v5
	v_and_b32_e32 v6, 0x7fffffff, v4
	v_cmp_gt_u32_e32 vcc, s22, v6
                                        ; implicit-def: $vgpr5
	s_and_saveexec_b64 s[22:23], vcc
	s_xor_b64 s[22:23], exec, s[22:23]
	s_cbranch_execz .LBB376_958
; %bb.953:
	s_mov_b32 s24, 0x387fffff
	v_cmp_lt_u32_e32 vcc, s24, v6
                                        ; implicit-def: $vgpr5
	s_and_saveexec_b64 s[24:25], vcc
	s_xor_b64 s[24:25], exec, s[24:25]
; %bb.954:
	v_bfe_u32 v5, v4, 21, 1
	s_mov_b32 s26, 0x80fffff
	v_add3_u32 v5, v4, v5, s26
	v_lshrrev_b32_e32 v5, 21, v5
; %bb.955:
	s_andn2_saveexec_b64 s[24:25], s[24:25]
; %bb.956:
	s_mov_b32 s26, 0x43000000
	v_add_f32_e64 v5, |v4|, s26
; %bb.957:
	s_or_b64 exec, exec, s[24:25]
                                        ; implicit-def: $vgpr6
.LBB376_958:
	s_andn2_saveexec_b64 s[22:23], s[22:23]
; %bb.959:
	s_mov_b32 s24, 0x7f800000
	v_mov_b32_e32 v5, 0x7c
	v_mov_b32_e32 v7, 0x7f
	v_cmp_lt_u32_e32 vcc, s24, v6
	s_nop 1
	v_cndmask_b32_e32 v5, v5, v7, vcc
; %bb.960:
	s_or_b64 exec, exec, s[22:23]
	v_lshrrev_b32_e32 v4, 24, v4
	s_movk_i32 s22, 0x80
	v_and_or_b32 v4, v4, s22, v5
	global_store_byte v[2:3], v4, off
.LBB376_961:
	s_mov_b64 s[22:23], 0
.LBB376_962:
	s_andn2_b64 vcc, exec, s[22:23]
	s_mov_b64 s[22:23], 0
	s_cbranch_vccnz .LBB376_970
; %bb.963:
	s_cmp_gt_i32 s29, 14
	s_mov_b64 s[24:25], -1
	s_cbranch_scc0 .LBB376_967
; %bb.964:
	s_cmp_eq_u32 s29, 15
	s_mov_b64 s[0:1], -1
	s_cbranch_scc0 .LBB376_966
; %bb.965:
	v_xor_b32_e32 v5, v0, v1
	v_ffbh_i32_e32 v4, v1
	v_ashrrev_i32_e32 v5, 31, v5
	v_add_u32_e32 v4, -1, v4
	v_add_u32_e32 v5, 32, v5
	v_min_u32_e32 v6, v4, v5
	v_lshlrev_b64 v[4:5], v6, v[0:1]
	v_min_u32_e32 v4, 1, v4
	v_or_b32_e32 v4, v5, v4
	v_cvt_f32_i32_e32 v4, v4
	v_sub_u32_e32 v5, 32, v6
	s_movk_i32 s0, 0x7fff
	v_ldexp_f32 v4, v4, v5
	v_bfe_u32 v5, v4, 16, 1
	v_add3_u32 v4, v4, v5, s0
	global_store_short_d16_hi v[2:3], v4, off
	s_mov_b64 s[0:1], 0
.LBB376_966:
	s_mov_b64 s[24:25], 0
.LBB376_967:
	s_and_b64 vcc, exec, s[24:25]
	s_cbranch_vccz .LBB376_970
; %bb.968:
	s_cmp_lg_u32 s29, 11
	s_cselect_b64 s[24:25], -1, 0
	s_andn2_b64 s[0:1], s[0:1], exec
	s_and_b64 s[24:25], s[24:25], exec
	s_mov_b64 s[22:23], -1
	s_or_b64 s[0:1], s[0:1], s[24:25]
	s_branch .LBB376_970
.LBB376_969:
	s_mov_b64 s[22:23], 0
.LBB376_970:
	s_andn2_b64 s[14:15], s[14:15], exec
	s_and_b64 s[0:1], s[0:1], exec
	s_and_b64 s[20:21], s[20:21], exec
	;; [unrolled: 1-line block ×3, first 2 shown]
	s_or_b64 s[14:15], s[14:15], s[0:1]
	s_or_b64 exec, exec, s[16:17]
	s_and_saveexec_b64 s[0:1], s[14:15]
	s_cbranch_execz .LBB376_899
.LBB376_971:
	s_or_b64 s[18:19], s[18:19], exec
	s_andn2_b64 s[22:23], s[22:23], exec
	s_trap 2
	s_or_b64 exec, exec, s[0:1]
	s_and_saveexec_b64 s[0:1], s[22:23]
	s_xor_b64 s[0:1], exec, s[0:1]
	s_cbranch_execnz .LBB376_900
.LBB376_972:
	s_or_b64 exec, exec, s[0:1]
	s_and_saveexec_b64 s[0:1], s[20:21]
	s_xor_b64 s[0:1], exec, s[0:1]
	s_cbranch_execz .LBB376_1010
.LBB376_973:
	s_sext_i32_i16 s16, s28
	s_cmp_lt_i32 s16, 5
	s_mov_b64 s[14:15], -1
	s_cbranch_scc1 .LBB376_994
; %bb.974:
	s_cmp_lt_i32 s16, 8
	s_cbranch_scc1 .LBB376_984
; %bb.975:
	s_cmp_lt_i32 s16, 9
	s_cbranch_scc1 .LBB376_981
; %bb.976:
	s_cmp_gt_i32 s16, 9
	s_cbranch_scc0 .LBB376_978
; %bb.977:
	s_waitcnt vmcnt(0)
	v_cvt_f64_i32_e32 v[4:5], v1
	v_ldexp_f64 v[4:5], v[4:5], 32
	v_cvt_f64_u32_e32 v[6:7], v0
	v_add_f64 v[4:5], v[4:5], v[6:7]
	v_mov_b32_e32 v6, 0
	v_mov_b32_e32 v7, v6
	s_mov_b64 s[14:15], 0
	global_store_dwordx4 v[2:3], v[4:7], off
.LBB376_978:
	s_andn2_b64 vcc, exec, s[14:15]
	s_cbranch_vccnz .LBB376_980
; %bb.979:
	s_waitcnt vmcnt(0)
	v_xor_b32_e32 v5, v0, v1
	v_ffbh_i32_e32 v4, v1
	v_ashrrev_i32_e32 v5, 31, v5
	v_add_u32_e32 v4, -1, v4
	v_add_u32_e32 v5, 32, v5
	v_min_u32_e32 v6, v4, v5
	v_lshlrev_b64 v[4:5], v6, v[0:1]
	v_min_u32_e32 v4, 1, v4
	v_or_b32_e32 v4, v5, v4
	v_cvt_f32_i32_e32 v4, v4
	v_sub_u32_e32 v5, 32, v6
	v_ldexp_f32 v4, v4, v5
	v_mov_b32_e32 v5, 0
	global_store_dwordx2 v[2:3], v[4:5], off
.LBB376_980:
	s_mov_b64 s[14:15], 0
.LBB376_981:
	s_andn2_b64 vcc, exec, s[14:15]
	s_cbranch_vccnz .LBB376_983
; %bb.982:
	s_waitcnt vmcnt(0)
	v_xor_b32_e32 v5, v0, v1
	v_ffbh_i32_e32 v4, v1
	v_ashrrev_i32_e32 v5, 31, v5
	v_add_u32_e32 v4, -1, v4
	v_add_u32_e32 v5, 32, v5
	v_min_u32_e32 v6, v4, v5
	v_lshlrev_b64 v[4:5], v6, v[0:1]
	v_min_u32_e32 v4, 1, v4
	v_or_b32_e32 v4, v5, v4
	v_cvt_f32_i32_e32 v4, v4
	v_sub_u32_e32 v5, 32, v6
	v_ldexp_f32 v4, v4, v5
	v_cvt_f16_f32_e32 v4, v4
	global_store_dword v[2:3], v4, off
.LBB376_983:
	s_mov_b64 s[14:15], 0
.LBB376_984:
	s_andn2_b64 vcc, exec, s[14:15]
	s_cbranch_vccnz .LBB376_993
; %bb.985:
	s_sext_i32_i16 s16, s28
	s_cmp_lt_i32 s16, 6
	s_mov_b64 s[14:15], -1
	s_cbranch_scc1 .LBB376_991
; %bb.986:
	s_cmp_gt_i32 s16, 6
	s_cbranch_scc0 .LBB376_988
; %bb.987:
	s_waitcnt vmcnt(0)
	v_cvt_f64_i32_e32 v[4:5], v1
	v_ldexp_f64 v[4:5], v[4:5], 32
	v_cvt_f64_u32_e32 v[6:7], v0
	v_add_f64 v[4:5], v[4:5], v[6:7]
	s_mov_b64 s[14:15], 0
	global_store_dwordx2 v[2:3], v[4:5], off
.LBB376_988:
	s_andn2_b64 vcc, exec, s[14:15]
	s_cbranch_vccnz .LBB376_990
; %bb.989:
	s_waitcnt vmcnt(0)
	v_xor_b32_e32 v5, v0, v1
	v_ffbh_i32_e32 v4, v1
	v_ashrrev_i32_e32 v5, 31, v5
	v_add_u32_e32 v4, -1, v4
	v_add_u32_e32 v5, 32, v5
	v_min_u32_e32 v6, v4, v5
	v_lshlrev_b64 v[4:5], v6, v[0:1]
	v_min_u32_e32 v4, 1, v4
	v_or_b32_e32 v4, v5, v4
	v_cvt_f32_i32_e32 v4, v4
	v_sub_u32_e32 v5, 32, v6
	v_ldexp_f32 v4, v4, v5
	global_store_dword v[2:3], v4, off
.LBB376_990:
	s_mov_b64 s[14:15], 0
.LBB376_991:
	s_andn2_b64 vcc, exec, s[14:15]
	s_cbranch_vccnz .LBB376_993
; %bb.992:
	s_waitcnt vmcnt(0)
	v_xor_b32_e32 v5, v0, v1
	v_ffbh_i32_e32 v4, v1
	v_ashrrev_i32_e32 v5, 31, v5
	v_add_u32_e32 v4, -1, v4
	v_add_u32_e32 v5, 32, v5
	v_min_u32_e32 v6, v4, v5
	v_lshlrev_b64 v[4:5], v6, v[0:1]
	v_min_u32_e32 v4, 1, v4
	v_or_b32_e32 v4, v5, v4
	v_cvt_f32_i32_e32 v4, v4
	v_sub_u32_e32 v5, 32, v6
	v_ldexp_f32 v4, v4, v5
	v_cvt_f16_f32_e32 v4, v4
	global_store_short v[2:3], v4, off
.LBB376_993:
	s_mov_b64 s[14:15], 0
.LBB376_994:
	s_andn2_b64 vcc, exec, s[14:15]
	s_cbranch_vccnz .LBB376_1010
; %bb.995:
	s_sext_i32_i16 s16, s28
	s_cmp_lt_i32 s16, 2
	s_mov_b64 s[14:15], -1
	s_cbranch_scc1 .LBB376_1005
; %bb.996:
	s_cmp_lt_i32 s16, 3
	s_cbranch_scc1 .LBB376_1002
; %bb.997:
	s_cmp_gt_i32 s16, 3
	s_cbranch_scc0 .LBB376_999
; %bb.998:
	s_mov_b64 s[14:15], 0
	s_waitcnt vmcnt(0)
	global_store_dwordx2 v[2:3], v[0:1], off
.LBB376_999:
	s_andn2_b64 vcc, exec, s[14:15]
	s_cbranch_vccnz .LBB376_1001
; %bb.1000:
	s_waitcnt vmcnt(0)
	global_store_dword v[2:3], v0, off
.LBB376_1001:
	s_mov_b64 s[14:15], 0
.LBB376_1002:
	s_andn2_b64 vcc, exec, s[14:15]
	s_cbranch_vccnz .LBB376_1004
; %bb.1003:
	s_waitcnt vmcnt(0)
	global_store_short v[2:3], v0, off
.LBB376_1004:
	s_mov_b64 s[14:15], 0
.LBB376_1005:
	s_andn2_b64 vcc, exec, s[14:15]
	s_cbranch_vccnz .LBB376_1010
; %bb.1006:
	s_sext_i32_i16 s14, s28
	s_cmp_gt_i32 s14, 0
	s_mov_b64 s[14:15], -1
	s_cbranch_scc0 .LBB376_1008
; %bb.1007:
	s_mov_b64 s[14:15], 0
	s_waitcnt vmcnt(0)
	global_store_byte v[2:3], v0, off
.LBB376_1008:
	s_andn2_b64 vcc, exec, s[14:15]
	s_cbranch_vccnz .LBB376_1010
; %bb.1009:
	s_waitcnt vmcnt(0)
	global_store_byte v[2:3], v0, off
.LBB376_1010:
	s_or_b64 exec, exec, s[0:1]
	s_and_b64 s[14:15], s[18:19], exec
                                        ; implicit-def: $vgpr10
.LBB376_1011:
	s_or_saveexec_b64 s[12:13], s[12:13]
	s_mov_b64 s[0:1], 0
                                        ; implicit-def: $sgpr22
                                        ; implicit-def: $vgpr2_vgpr3
                                        ; implicit-def: $vgpr0_vgpr1
	s_xor_b64 exec, exec, s[12:13]
	s_cbranch_execz .LBB376_1942
; %bb.1012:
	s_waitcnt vmcnt(0)
	v_mul_lo_u32 v2, s9, v10
	v_ashrrev_i32_e32 v3, 31, v2
	s_and_b32 s22, 0xffff, s44
	s_cmp_lt_i32 s22, 11
	v_lshl_add_u64 v[4:5], s[6:7], 0, v[2:3]
	s_cbranch_scc1 .LBB376_1019
; %bb.1013:
	s_cmp_gt_i32 s22, 25
	s_cbranch_scc0 .LBB376_1021
; %bb.1014:
	s_cmp_gt_i32 s22, 28
	s_cbranch_scc0 .LBB376_1022
	;; [unrolled: 3-line block ×4, first 2 shown]
; %bb.1017:
	s_cmp_eq_u32 s22, 46
	s_mov_b64 s[16:17], 0
	s_cbranch_scc0 .LBB376_1027
; %bb.1018:
	global_load_dword v0, v[4:5], off
	s_mov_b32 s0, 0x2f800000
	s_mov_b32 s1, 0xcf800000
	s_mov_b64 s[18:19], -1
	s_waitcnt vmcnt(0)
	v_lshlrev_b32_e32 v0, 16, v0
	v_trunc_f32_e32 v0, v0
	v_mul_f32_e64 v1, |v0|, s0
	v_floor_f32_e32 v1, v1
	v_fma_f32 v3, v1, s1, |v0|
	v_cvt_u32_f32_e32 v3, v3
	v_cvt_u32_f32_e32 v1, v1
	v_ashrrev_i32_e32 v6, 31, v0
	s_mov_b64 s[0:1], 0
	v_xor_b32_e32 v0, v3, v6
	v_xor_b32_e32 v1, v1, v6
	v_sub_co_u32_e32 v0, vcc, v0, v6
	s_nop 1
	v_subb_co_u32_e32 v1, vcc, v1, v6, vcc
	s_branch .LBB376_1028
.LBB376_1019:
	s_mov_b64 s[18:19], 0
                                        ; implicit-def: $vgpr0_vgpr1
	s_mov_b64 s[16:17], s[14:15]
	s_cbranch_execnz .LBB376_1086
.LBB376_1020:
	s_andn2_b64 vcc, exec, s[18:19]
	s_cbranch_vccz .LBB376_1131
	s_branch .LBB376_1940
.LBB376_1021:
	s_mov_b64 s[18:19], 0
                                        ; implicit-def: $vgpr0_vgpr1
	s_cbranch_execnz .LBB376_1053
	s_branch .LBB376_1082
.LBB376_1022:
	s_mov_b64 s[18:19], 0
                                        ; implicit-def: $vgpr0_vgpr1
	s_cbranch_execz .LBB376_1052
	s_branch .LBB376_1037
.LBB376_1023:
	s_mov_b64 s[18:19], 0
                                        ; implicit-def: $vgpr0_vgpr1
	s_cbranch_execnz .LBB376_1033
	s_branch .LBB376_1036
.LBB376_1024:
	s_mov_b64 s[16:17], -1
	s_mov_b64 s[18:19], 0
                                        ; implicit-def: $vgpr0_vgpr1
	s_branch .LBB376_1028
.LBB376_1025:
	s_andn2_saveexec_b64 s[24:25], s[24:25]
	s_cbranch_execz .LBB376_924
.LBB376_1026:
	s_mov_b32 s26, 0x46000000
	v_add_f32_e64 v5, |v4|, s26
	v_and_b32_e32 v5, 0xff, v5
	v_cmp_ne_u32_e32 vcc, 0, v5
	s_andn2_b64 s[22:23], s[22:23], exec
	s_and_b64 s[26:27], vcc, exec
	s_or_b64 s[22:23], s[22:23], s[26:27]
	s_or_b64 exec, exec, s[24:25]
	v_mov_b32_e32 v6, 0
	s_and_saveexec_b64 s[24:25], s[22:23]
	s_cbranch_execnz .LBB376_925
	s_branch .LBB376_926
.LBB376_1027:
	s_mov_b64 s[0:1], -1
                                        ; implicit-def: $vgpr0_vgpr1
	s_mov_b64 s[18:19], 0
.LBB376_1028:
	s_and_b64 vcc, exec, s[16:17]
	s_cbranch_vccz .LBB376_1031
; %bb.1029:
	s_cmp_eq_u32 s22, 44
	s_cbranch_scc0 .LBB376_1032
; %bb.1030:
	global_load_ubyte v0, v[4:5], off
	s_mov_b32 s0, 0x2f800000
	s_mov_b32 s1, 0xcf800000
	s_mov_b64 s[18:19], -1
	s_waitcnt vmcnt(0)
	v_lshlrev_b32_e32 v1, 23, v0
	v_trunc_f32_e32 v1, v1
	v_mul_f32_e64 v3, |v1|, s0
	v_floor_f32_e32 v3, v3
	v_fma_f32 v6, v3, s1, |v1|
	v_cvt_u32_f32_e32 v6, v6
	v_cvt_u32_f32_e32 v3, v3
	v_ashrrev_i32_e32 v1, 31, v1
	s_mov_b64 s[0:1], 0
	v_xor_b32_e32 v6, v6, v1
	v_xor_b32_e32 v3, v3, v1
	v_sub_co_u32_e32 v6, vcc, v6, v1
	s_nop 1
	v_subb_co_u32_e32 v1, vcc, v3, v1, vcc
	v_cmp_ne_u32_e32 vcc, 0, v0
	s_nop 1
	v_cndmask_b32_e32 v1, 0, v1, vcc
	v_cndmask_b32_e32 v0, 0, v6, vcc
.LBB376_1031:
	s_branch .LBB376_1036
.LBB376_1032:
	s_mov_b64 s[0:1], -1
                                        ; implicit-def: $vgpr0_vgpr1
	s_branch .LBB376_1036
.LBB376_1033:
	s_cmp_eq_u32 s22, 29
	s_cbranch_scc0 .LBB376_1035
; %bb.1034:
	global_load_dwordx2 v[0:1], v[4:5], off
	s_mov_b64 s[0:1], 0
	s_mov_b64 s[18:19], -1
	s_branch .LBB376_1036
.LBB376_1035:
	s_mov_b64 s[0:1], -1
                                        ; implicit-def: $vgpr0_vgpr1
.LBB376_1036:
	s_branch .LBB376_1052
.LBB376_1037:
	s_cmp_lt_i32 s22, 27
	s_cbranch_scc1 .LBB376_1040
; %bb.1038:
	s_cmp_gt_i32 s22, 27
	s_cbranch_scc0 .LBB376_1041
; %bb.1039:
	global_load_dword v0, v[4:5], off
	s_waitcnt vmcnt(1)
	v_mov_b32_e32 v1, 0
	s_mov_b64 s[16:17], 0
	s_branch .LBB376_1042
.LBB376_1040:
	s_mov_b64 s[16:17], -1
                                        ; implicit-def: $vgpr0_vgpr1
	s_branch .LBB376_1045
.LBB376_1041:
	s_mov_b64 s[16:17], -1
                                        ; implicit-def: $vgpr0_vgpr1
.LBB376_1042:
	s_andn2_b64 vcc, exec, s[16:17]
	s_cbranch_vccnz .LBB376_1044
; %bb.1043:
	global_load_ushort v0, v[4:5], off
	s_mov_b32 s16, 0
	s_waitcnt vmcnt(1)
	v_mov_b32_e32 v1, s16
	s_waitcnt vmcnt(0)
	v_and_b32_e32 v0, 0xffff, v0
.LBB376_1044:
	s_mov_b64 s[16:17], 0
.LBB376_1045:
	s_andn2_b64 vcc, exec, s[16:17]
	s_cbranch_vccnz .LBB376_1051
; %bb.1046:
	global_load_ubyte v3, v[4:5], off
	s_movk_i32 s16, 0x7f
	s_mov_b64 s[18:19], 0
	s_waitcnt vmcnt(0)
	v_cmp_lt_i16_e32 vcc, s16, v3
	s_and_saveexec_b64 s[16:17], vcc
	s_xor_b64 s[16:17], exec, s[16:17]
	s_cbranch_execz .LBB376_1062
; %bb.1047:
	s_movk_i32 s18, 0x80
	v_cmp_ne_u16_e32 vcc, s18, v3
	s_and_b64 s[18:19], vcc, exec
	s_andn2_saveexec_b64 s[16:17], s[16:17]
	s_cbranch_execnz .LBB376_1063
.LBB376_1048:
	s_or_b64 exec, exec, s[16:17]
	v_mov_b64_e32 v[0:1], 0
	s_and_saveexec_b64 s[16:17], s[18:19]
	s_cbranch_execz .LBB376_1050
.LBB376_1049:
	v_and_b32_e32 v1, 0xffff, v3
	v_lshlrev_b32_e32 v0, 24, v3
	v_and_b32_e32 v3, 7, v1
	v_ffbh_u32_e32 v7, v3
	v_min_u32_e32 v7, 32, v7
	v_subrev_u32_e32 v8, 28, v7
	v_bfe_u32 v6, v1, 3, 4
	v_lshlrev_b32_e32 v1, v8, v1
	v_sub_u32_e32 v7, 29, v7
	v_and_b32_e32 v1, 7, v1
	v_cmp_eq_u32_e32 vcc, 0, v6
	v_and_b32_e32 v0, 0x80000000, v0
	s_mov_b32 s18, 0x2f800000
	v_cndmask_b32_e32 v6, v6, v7, vcc
	v_cndmask_b32_e32 v1, v3, v1, vcc
	v_mov_b32_e32 v3, 0x3b800000
	v_lshlrev_b32_e32 v1, 20, v1
	v_lshl_add_u32 v3, v6, 23, v3
	v_or3_b32 v0, v0, v3, v1
	v_trunc_f32_e32 v0, v0
	v_mul_f32_e64 v1, |v0|, s18
	v_floor_f32_e32 v1, v1
	s_mov_b32 s18, 0xcf800000
	v_fma_f32 v3, v1, s18, |v0|
	v_cvt_u32_f32_e32 v3, v3
	v_cvt_u32_f32_e32 v1, v1
	v_ashrrev_i32_e32 v6, 31, v0
	v_xor_b32_e32 v0, v3, v6
	v_xor_b32_e32 v1, v1, v6
	v_sub_co_u32_e32 v0, vcc, v0, v6
	s_nop 1
	v_subb_co_u32_e32 v1, vcc, v1, v6, vcc
.LBB376_1050:
	s_or_b64 exec, exec, s[16:17]
.LBB376_1051:
	s_mov_b64 s[18:19], -1
.LBB376_1052:
	s_branch .LBB376_1082
.LBB376_1053:
	s_cmp_gt_i32 s22, 22
	s_cbranch_scc0 .LBB376_1061
; %bb.1054:
	s_cmp_lt_i32 s22, 24
	s_cbranch_scc1 .LBB376_1064
; %bb.1055:
	s_cmp_gt_i32 s22, 24
	s_cbranch_scc0 .LBB376_1065
; %bb.1056:
	global_load_ubyte v3, v[4:5], off
	s_movk_i32 s2, 0x7f
	s_mov_b64 s[16:17], 0
	s_waitcnt vmcnt(0)
	v_cmp_lt_i16_e32 vcc, s2, v3
	s_and_saveexec_b64 s[2:3], vcc
	s_xor_b64 s[2:3], exec, s[2:3]
	s_cbranch_execz .LBB376_1076
; %bb.1057:
	s_movk_i32 s16, 0x80
	v_cmp_ne_u16_e32 vcc, s16, v3
	s_and_b64 s[16:17], vcc, exec
	s_andn2_saveexec_b64 s[2:3], s[2:3]
	s_cbranch_execnz .LBB376_1077
.LBB376_1058:
	s_or_b64 exec, exec, s[2:3]
	v_mov_b64_e32 v[0:1], 0
	s_and_saveexec_b64 s[2:3], s[16:17]
	s_cbranch_execz .LBB376_1060
.LBB376_1059:
	v_and_b32_e32 v1, 0xffff, v3
	v_lshlrev_b32_e32 v0, 24, v3
	v_and_b32_e32 v3, 3, v1
	v_ffbh_u32_e32 v7, v3
	v_min_u32_e32 v7, 32, v7
	v_subrev_u32_e32 v8, 29, v7
	v_bfe_u32 v6, v1, 2, 5
	v_lshlrev_b32_e32 v1, v8, v1
	v_sub_u32_e32 v7, 30, v7
	v_and_b32_e32 v1, 3, v1
	v_cmp_eq_u32_e32 vcc, 0, v6
	v_and_b32_e32 v0, 0x80000000, v0
	s_mov_b32 s16, 0x2f800000
	v_cndmask_b32_e32 v6, v6, v7, vcc
	v_cndmask_b32_e32 v1, v3, v1, vcc
	v_mov_b32_e32 v3, 0x37800000
	v_lshlrev_b32_e32 v1, 21, v1
	v_lshl_add_u32 v3, v6, 23, v3
	v_or3_b32 v0, v0, v3, v1
	v_trunc_f32_e32 v0, v0
	v_mul_f32_e64 v1, |v0|, s16
	v_floor_f32_e32 v1, v1
	s_mov_b32 s16, 0xcf800000
	v_fma_f32 v3, v1, s16, |v0|
	v_cvt_u32_f32_e32 v3, v3
	v_cvt_u32_f32_e32 v1, v1
	v_ashrrev_i32_e32 v6, 31, v0
	v_xor_b32_e32 v0, v3, v6
	v_xor_b32_e32 v1, v1, v6
	v_sub_co_u32_e32 v0, vcc, v0, v6
	s_nop 1
	v_subb_co_u32_e32 v1, vcc, v1, v6, vcc
.LBB376_1060:
	s_or_b64 exec, exec, s[2:3]
	s_mov_b64 s[2:3], 0
	s_branch .LBB376_1066
.LBB376_1061:
                                        ; implicit-def: $vgpr0_vgpr1
	s_mov_b64 s[2:3], 0
	s_branch .LBB376_1072
.LBB376_1062:
	s_andn2_saveexec_b64 s[16:17], s[16:17]
	s_cbranch_execz .LBB376_1048
.LBB376_1063:
	v_cmp_ne_u16_e32 vcc, 0, v3
	s_andn2_b64 s[18:19], s[18:19], exec
	s_and_b64 s[20:21], vcc, exec
	s_or_b64 s[18:19], s[18:19], s[20:21]
	s_or_b64 exec, exec, s[16:17]
	v_mov_b64_e32 v[0:1], 0
	s_and_saveexec_b64 s[16:17], s[18:19]
	s_cbranch_execnz .LBB376_1049
	s_branch .LBB376_1050
.LBB376_1064:
	s_mov_b64 s[2:3], -1
                                        ; implicit-def: $vgpr0_vgpr1
	s_branch .LBB376_1069
.LBB376_1065:
	s_mov_b64 s[2:3], -1
                                        ; implicit-def: $vgpr0_vgpr1
.LBB376_1066:
	s_and_b64 vcc, exec, s[2:3]
	s_cbranch_vccz .LBB376_1068
; %bb.1067:
	global_load_ubyte v0, v[4:5], off
	s_mov_b32 s2, 0x7f800000
	s_brev_b32 s3, 1
	s_mov_b32 s16, 0x2f800000
	s_mov_b32 s17, 0xcf800000
	s_waitcnt vmcnt(0)
	v_lshlrev_b32_e32 v0, 24, v0
	v_and_b32_e32 v1, 0x7f000000, v0
	v_ffbh_u32_e32 v3, v1
	v_min_u32_e32 v3, 32, v3
	v_sub_u32_e64 v3, v3, 4 clamp
	v_lshlrev_b32_e32 v7, v3, v1
	v_lshlrev_b32_e32 v3, 23, v3
	v_lshrrev_b32_e32 v7, 4, v7
	v_add_u32_e32 v6, 0x1000000, v1
	v_sub_u32_e32 v3, v7, v3
	v_ashrrev_i32_e32 v6, 8, v6
	v_add_u32_e32 v3, 0x3c000000, v3
	v_and_or_b32 v3, v6, s2, v3
	v_cmp_ne_u32_e32 vcc, 0, v1
	s_nop 1
	v_cndmask_b32_e32 v1, 0, v3, vcc
	v_and_or_b32 v0, v0, s3, v1
	v_trunc_f32_e32 v0, v0
	v_mul_f32_e64 v1, |v0|, s16
	v_floor_f32_e32 v1, v1
	v_fma_f32 v3, v1, s17, |v0|
	v_cvt_u32_f32_e32 v3, v3
	v_cvt_u32_f32_e32 v1, v1
	v_ashrrev_i32_e32 v6, 31, v0
	v_xor_b32_e32 v0, v3, v6
	v_xor_b32_e32 v1, v1, v6
	v_sub_co_u32_e32 v0, vcc, v0, v6
	s_nop 1
	v_subb_co_u32_e32 v1, vcc, v1, v6, vcc
.LBB376_1068:
	s_mov_b64 s[2:3], 0
.LBB376_1069:
	s_andn2_b64 vcc, exec, s[2:3]
	s_cbranch_vccnz .LBB376_1071
; %bb.1070:
	global_load_ubyte v0, v[4:5], off
	s_movk_i32 s2, 0x7f00
	s_brev_b32 s3, 16
	s_brev_b32 s16, 1
	s_mov_b32 s17, 0x2f800000
	s_mov_b32 s18, 0xcf800000
	s_waitcnt vmcnt(0)
	v_lshlrev_b16_e32 v1, 8, v0
	v_lshlrev_b32_e32 v0, 25, v0
	v_lshrrev_b32_e32 v3, 4, v0
	v_and_or_b32 v6, v1, s2, 0.5
	v_or_b32_e32 v3, 0x70000000, v3
	v_add_f32_e32 v6, -0.5, v6
	v_mul_f32_e32 v3, 0x7800000, v3
	v_cmp_gt_u32_e32 vcc, s3, v0
	v_bfe_i32 v1, v1, 0, 16
	s_nop 0
	v_cndmask_b32_e32 v0, v3, v6, vcc
	v_and_or_b32 v0, v1, s16, v0
	v_trunc_f32_e32 v0, v0
	v_mul_f32_e64 v1, |v0|, s17
	v_floor_f32_e32 v1, v1
	v_fma_f32 v3, v1, s18, |v0|
	v_cvt_u32_f32_e32 v3, v3
	v_cvt_u32_f32_e32 v1, v1
	v_ashrrev_i32_e32 v6, 31, v0
	v_xor_b32_e32 v0, v3, v6
	v_xor_b32_e32 v1, v1, v6
	v_sub_co_u32_e32 v0, vcc, v0, v6
	s_nop 1
	v_subb_co_u32_e32 v1, vcc, v1, v6, vcc
.LBB376_1071:
	s_mov_b64 s[18:19], -1
	s_mov_b64 s[2:3], 0
	s_cbranch_execnz .LBB376_1082
.LBB376_1072:
	s_cmp_gt_i32 s22, 14
	s_cbranch_scc0 .LBB376_1075
; %bb.1073:
	s_cmp_eq_u32 s22, 15
	s_cbranch_scc0 .LBB376_1078
; %bb.1074:
	global_load_ushort v0, v[4:5], off
	s_mov_b32 s0, 0x2f800000
	s_mov_b32 s1, 0xcf800000
	s_mov_b64 s[18:19], -1
	s_waitcnt vmcnt(0)
	v_lshlrev_b32_e32 v0, 16, v0
	v_trunc_f32_e32 v0, v0
	v_mul_f32_e64 v1, |v0|, s0
	v_floor_f32_e32 v1, v1
	v_fma_f32 v3, v1, s1, |v0|
	v_cvt_u32_f32_e32 v3, v3
	v_cvt_u32_f32_e32 v1, v1
	v_ashrrev_i32_e32 v6, 31, v0
	s_mov_b64 s[0:1], 0
	v_xor_b32_e32 v0, v3, v6
	v_xor_b32_e32 v1, v1, v6
	v_sub_co_u32_e32 v0, vcc, v0, v6
	s_nop 1
	v_subb_co_u32_e32 v1, vcc, v1, v6, vcc
	s_branch .LBB376_1079
.LBB376_1075:
	s_mov_b64 s[16:17], -1
                                        ; implicit-def: $vgpr0_vgpr1
	s_branch .LBB376_1080
.LBB376_1076:
	s_andn2_saveexec_b64 s[2:3], s[2:3]
	s_cbranch_execz .LBB376_1058
.LBB376_1077:
	v_cmp_ne_u16_e32 vcc, 0, v3
	s_andn2_b64 s[16:17], s[16:17], exec
	s_and_b64 s[18:19], vcc, exec
	s_or_b64 s[16:17], s[16:17], s[18:19]
	s_or_b64 exec, exec, s[2:3]
	v_mov_b64_e32 v[0:1], 0
	s_and_saveexec_b64 s[2:3], s[16:17]
	s_cbranch_execnz .LBB376_1059
	s_branch .LBB376_1060
.LBB376_1078:
	s_mov_b64 s[0:1], -1
                                        ; implicit-def: $vgpr0_vgpr1
.LBB376_1079:
	s_mov_b64 s[16:17], 0
.LBB376_1080:
	s_and_b64 vcc, exec, s[16:17]
	s_cbranch_vccz .LBB376_1082
; %bb.1081:
	s_cmp_lg_u32 s22, 11
	s_mov_b64 s[2:3], -1
	s_cselect_b64 s[0:1], -1, 0
.LBB376_1082:
	s_and_b64 vcc, exec, s[0:1]
	s_mov_b64 s[16:17], s[14:15]
	s_cbranch_vccnz .LBB376_1143
; %bb.1083:
	s_andn2_b64 vcc, exec, s[2:3]
	s_cbranch_vccnz .LBB376_1085
.LBB376_1084:
	global_load_ubyte v0, v[4:5], off
	s_mov_b32 s0, 0
	s_waitcnt vmcnt(1)
	v_mov_b32_e32 v1, s0
	s_mov_b64 s[18:19], -1
	s_waitcnt vmcnt(0)
	v_cmp_ne_u16_e32 vcc, 0, v0
	s_nop 1
	v_cndmask_b32_e64 v0, 0, 1, vcc
.LBB376_1085:
	s_branch .LBB376_1020
.LBB376_1086:
	s_cmp_lt_i32 s22, 5
	s_cbranch_scc1 .LBB376_1091
; %bb.1087:
	s_cmp_lt_i32 s22, 8
	s_cbranch_scc1 .LBB376_1092
; %bb.1088:
	s_cmp_lt_i32 s22, 9
	s_cbranch_scc1 .LBB376_1093
; %bb.1089:
	s_cmp_gt_i32 s22, 9
	s_cbranch_scc0 .LBB376_1094
; %bb.1090:
	global_load_dwordx2 v[0:1], v[4:5], off
	s_movk_i32 s0, 0xffe0
	s_waitcnt vmcnt(0)
	v_trunc_f64_e32 v[6:7], v[0:1]
	v_ldexp_f64 v[0:1], v[6:7], s0
	v_floor_f64_e32 v[8:9], v[0:1]
	v_fmac_f64_e32 v[6:7], 0xc1f00000, v[8:9]
	v_cvt_i32_f64_e32 v1, v[8:9]
	v_cvt_u32_f64_e32 v0, v[6:7]
	s_mov_b64 s[0:1], 0
	s_branch .LBB376_1095
.LBB376_1091:
                                        ; implicit-def: $vgpr0_vgpr1
	s_branch .LBB376_1112
.LBB376_1092:
                                        ; implicit-def: $vgpr0_vgpr1
	s_branch .LBB376_1101
.LBB376_1093:
	s_mov_b64 s[0:1], -1
                                        ; implicit-def: $vgpr0_vgpr1
	s_branch .LBB376_1098
.LBB376_1094:
	s_mov_b64 s[0:1], -1
                                        ; implicit-def: $vgpr0_vgpr1
.LBB376_1095:
	s_andn2_b64 vcc, exec, s[0:1]
	s_cbranch_vccnz .LBB376_1097
; %bb.1096:
	global_load_dword v0, v[4:5], off
	s_mov_b32 s0, 0x2f800000
	s_mov_b32 s1, 0xcf800000
	s_waitcnt vmcnt(0)
	v_trunc_f32_e32 v0, v0
	v_mul_f32_e64 v1, |v0|, s0
	v_floor_f32_e32 v1, v1
	v_cvt_u32_f32_e32 v3, v1
	v_fma_f32 v1, v1, s1, |v0|
	v_cvt_u32_f32_e32 v1, v1
	v_ashrrev_i32_e32 v6, 31, v0
	v_xor_b32_e32 v3, v3, v6
	v_xor_b32_e32 v0, v1, v6
	v_sub_co_u32_e32 v0, vcc, v0, v6
	s_nop 1
	v_subb_co_u32_e32 v1, vcc, v3, v6, vcc
.LBB376_1097:
	s_mov_b64 s[0:1], 0
.LBB376_1098:
	s_andn2_b64 vcc, exec, s[0:1]
	s_cbranch_vccnz .LBB376_1100
; %bb.1099:
	global_load_dword v0, v[4:5], off
	s_waitcnt vmcnt(0)
	v_cvt_f32_f16_e32 v0, v0
	v_cvt_i32_f32_e32 v0, v0
	v_ashrrev_i32_e32 v1, 31, v0
.LBB376_1100:
	s_cbranch_execnz .LBB376_1111
.LBB376_1101:
	s_cmp_lt_i32 s22, 6
	s_cbranch_scc1 .LBB376_1104
; %bb.1102:
	s_cmp_gt_i32 s22, 6
	s_cbranch_scc0 .LBB376_1105
; %bb.1103:
	global_load_dwordx2 v[0:1], v[4:5], off
	s_movk_i32 s0, 0xffe0
	s_waitcnt vmcnt(0)
	v_trunc_f64_e32 v[6:7], v[0:1]
	v_ldexp_f64 v[0:1], v[6:7], s0
	v_floor_f64_e32 v[8:9], v[0:1]
	v_fmac_f64_e32 v[6:7], 0xc1f00000, v[8:9]
	v_cvt_i32_f64_e32 v1, v[8:9]
	v_cvt_u32_f64_e32 v0, v[6:7]
	s_mov_b64 s[0:1], 0
	s_branch .LBB376_1106
.LBB376_1104:
	s_mov_b64 s[0:1], -1
                                        ; implicit-def: $vgpr0_vgpr1
	s_branch .LBB376_1109
.LBB376_1105:
	s_mov_b64 s[0:1], -1
                                        ; implicit-def: $vgpr0_vgpr1
.LBB376_1106:
	s_andn2_b64 vcc, exec, s[0:1]
	s_cbranch_vccnz .LBB376_1108
; %bb.1107:
	global_load_dword v0, v[4:5], off
	s_mov_b32 s0, 0x2f800000
	s_mov_b32 s1, 0xcf800000
	s_waitcnt vmcnt(0)
	v_trunc_f32_e32 v0, v0
	v_mul_f32_e64 v1, |v0|, s0
	v_floor_f32_e32 v1, v1
	v_cvt_u32_f32_e32 v3, v1
	v_fma_f32 v1, v1, s1, |v0|
	v_cvt_u32_f32_e32 v1, v1
	v_ashrrev_i32_e32 v6, 31, v0
	v_xor_b32_e32 v3, v3, v6
	v_xor_b32_e32 v0, v1, v6
	v_sub_co_u32_e32 v0, vcc, v0, v6
	s_nop 1
	v_subb_co_u32_e32 v1, vcc, v3, v6, vcc
.LBB376_1108:
	s_mov_b64 s[0:1], 0
.LBB376_1109:
	s_andn2_b64 vcc, exec, s[0:1]
	s_cbranch_vccnz .LBB376_1111
; %bb.1110:
	global_load_ushort v0, v[4:5], off
	s_waitcnt vmcnt(0)
	v_cvt_f32_f16_e32 v0, v0
	v_cvt_i32_f32_e32 v0, v0
	v_ashrrev_i32_e32 v1, 31, v0
.LBB376_1111:
	s_cbranch_execnz .LBB376_1130
.LBB376_1112:
	s_cmp_lt_i32 s22, 2
	s_cbranch_scc1 .LBB376_1116
; %bb.1113:
	s_cmp_lt_i32 s22, 3
	s_cbranch_scc1 .LBB376_1117
; %bb.1114:
	s_cmp_gt_i32 s22, 3
	s_cbranch_scc0 .LBB376_1118
; %bb.1115:
	global_load_dwordx2 v[0:1], v[4:5], off
	s_mov_b64 s[0:1], 0
	s_branch .LBB376_1119
.LBB376_1116:
                                        ; implicit-def: $vgpr0_vgpr1
	s_branch .LBB376_1125
.LBB376_1117:
	s_mov_b64 s[0:1], -1
                                        ; implicit-def: $vgpr0_vgpr1
	s_branch .LBB376_1122
.LBB376_1118:
	s_mov_b64 s[0:1], -1
                                        ; implicit-def: $vgpr0_vgpr1
.LBB376_1119:
	s_andn2_b64 vcc, exec, s[0:1]
	s_cbranch_vccnz .LBB376_1121
; %bb.1120:
	global_load_dword v0, v[4:5], off
	s_waitcnt vmcnt(0)
	v_ashrrev_i32_e32 v1, 31, v0
.LBB376_1121:
	s_mov_b64 s[0:1], 0
.LBB376_1122:
	s_andn2_b64 vcc, exec, s[0:1]
	s_cbranch_vccnz .LBB376_1124
; %bb.1123:
	global_load_ushort v0, v[4:5], off
	s_waitcnt vmcnt(0)
	v_bfe_i32 v0, v0, 0, 16
	v_ashrrev_i32_e32 v1, 31, v0
.LBB376_1124:
	s_cbranch_execnz .LBB376_1130
.LBB376_1125:
	s_cmp_gt_i32 s22, 0
	s_cbranch_scc0 .LBB376_1127
; %bb.1126:
	global_load_sbyte v0, v[4:5], off
	s_mov_b64 s[0:1], 0
	s_waitcnt vmcnt(0)
	v_bfe_i32 v0, v0, 0, 16
	v_ashrrev_i32_e32 v1, 31, v0
	s_branch .LBB376_1128
.LBB376_1127:
	s_mov_b64 s[0:1], -1
                                        ; implicit-def: $vgpr0_vgpr1
.LBB376_1128:
	s_andn2_b64 vcc, exec, s[0:1]
	s_cbranch_vccnz .LBB376_1130
; %bb.1129:
	global_load_ubyte v0, v[4:5], off
	s_mov_b32 s0, 0
	s_waitcnt vmcnt(1)
	v_mov_b32_e32 v1, s0
	s_waitcnt vmcnt(0)
	v_and_b32_e32 v0, 0xffff, v0
.LBB376_1130:
.LBB376_1131:
	s_lshl_b32 s9, s9, 7
	v_add_u32_e32 v4, s9, v2
	v_ashrrev_i32_e32 v5, 31, v4
	s_cmp_lt_i32 s22, 11
	v_lshl_add_u64 v[6:7], s[6:7], 0, v[4:5]
	s_cbranch_scc1 .LBB376_1138
; %bb.1132:
	s_cmp_gt_i32 s22, 25
	s_mov_b64 s[2:3], 0
	s_cbranch_scc0 .LBB376_1140
; %bb.1133:
	s_cmp_gt_i32 s22, 28
	s_cbranch_scc0 .LBB376_1141
; %bb.1134:
	s_cmp_gt_i32 s22, 43
	;; [unrolled: 3-line block ×3, first 2 shown]
	s_cbranch_scc0 .LBB376_1144
; %bb.1136:
	s_cmp_eq_u32 s22, 46
	s_mov_b64 s[20:21], 0
	s_cbranch_scc0 .LBB376_1147
; %bb.1137:
	global_load_dword v2, v[6:7], off
	s_mov_b32 s0, 0x2f800000
	s_mov_b32 s1, 0xcf800000
	s_mov_b64 s[18:19], -1
	s_waitcnt vmcnt(0)
	v_lshlrev_b32_e32 v2, 16, v2
	v_trunc_f32_e32 v2, v2
	v_mul_f32_e64 v3, |v2|, s0
	v_floor_f32_e32 v3, v3
	v_fma_f32 v5, v3, s1, |v2|
	v_cvt_u32_f32_e32 v5, v5
	v_cvt_u32_f32_e32 v3, v3
	v_ashrrev_i32_e32 v8, 31, v2
	s_mov_b64 s[0:1], 0
	v_xor_b32_e32 v2, v5, v8
	v_xor_b32_e32 v3, v3, v8
	v_sub_co_u32_e32 v2, vcc, v2, v8
	s_nop 1
	v_subb_co_u32_e32 v3, vcc, v3, v8, vcc
	s_branch .LBB376_1148
.LBB376_1138:
	s_mov_b64 s[18:19], 0
                                        ; implicit-def: $vgpr2_vgpr3
	s_cbranch_execnz .LBB376_1209
.LBB376_1139:
	s_andn2_b64 vcc, exec, s[18:19]
	s_cbranch_vccnz .LBB376_1940
	s_branch .LBB376_1256
.LBB376_1140:
	s_mov_b64 s[18:19], 0
	s_mov_b64 s[0:1], 0
                                        ; implicit-def: $vgpr2_vgpr3
	s_cbranch_execnz .LBB376_1175
	s_branch .LBB376_1205
.LBB376_1141:
	s_mov_b64 s[20:21], -1
	s_mov_b64 s[18:19], 0
	s_mov_b64 s[0:1], 0
                                        ; implicit-def: $vgpr2_vgpr3
	s_branch .LBB376_1158
.LBB376_1142:
	s_mov_b64 s[20:21], -1
	s_mov_b64 s[18:19], 0
	s_mov_b64 s[0:1], 0
                                        ; implicit-def: $vgpr2_vgpr3
	s_branch .LBB376_1153
.LBB376_1143:
	s_or_b64 s[16:17], s[14:15], exec
	s_trap 2
	s_cbranch_execz .LBB376_1084
	s_branch .LBB376_1085
.LBB376_1144:
	s_mov_b64 s[20:21], -1
	s_mov_b64 s[18:19], 0
	s_mov_b64 s[0:1], 0
                                        ; implicit-def: $vgpr2_vgpr3
	s_branch .LBB376_1148
.LBB376_1145:
	s_andn2_saveexec_b64 s[26:27], s[26:27]
	s_cbranch_execz .LBB376_936
.LBB376_1146:
	s_mov_b32 s30, 0x42800000
	v_add_f32_e64 v5, |v4|, s30
	v_and_b32_e32 v5, 0xff, v5
	v_cmp_ne_u32_e32 vcc, 0, v5
	s_andn2_b64 s[24:25], s[24:25], exec
	s_and_b64 s[30:31], vcc, exec
	s_or_b64 s[24:25], s[24:25], s[30:31]
	s_or_b64 exec, exec, s[26:27]
	v_mov_b32_e32 v6, 0
	s_and_saveexec_b64 s[26:27], s[24:25]
	s_cbranch_execnz .LBB376_937
	s_branch .LBB376_938
.LBB376_1147:
	s_mov_b64 s[0:1], -1
                                        ; implicit-def: $vgpr2_vgpr3
	s_mov_b64 s[18:19], 0
.LBB376_1148:
	s_and_b64 vcc, exec, s[20:21]
	s_cbranch_vccz .LBB376_1152
; %bb.1149:
	s_cmp_eq_u32 s22, 44
	s_cbranch_scc0 .LBB376_1151
; %bb.1150:
	global_load_ubyte v2, v[6:7], off
	s_mov_b32 s0, 0x2f800000
	s_mov_b32 s1, 0xcf800000
	s_mov_b64 s[18:19], -1
	s_waitcnt vmcnt(0)
	v_lshlrev_b32_e32 v3, 23, v2
	v_trunc_f32_e32 v3, v3
	v_mul_f32_e64 v5, |v3|, s0
	v_floor_f32_e32 v5, v5
	v_fma_f32 v8, v5, s1, |v3|
	v_cvt_u32_f32_e32 v8, v8
	v_cvt_u32_f32_e32 v5, v5
	v_ashrrev_i32_e32 v3, 31, v3
	s_mov_b64 s[0:1], 0
	v_xor_b32_e32 v8, v8, v3
	v_xor_b32_e32 v5, v5, v3
	v_sub_co_u32_e32 v8, vcc, v8, v3
	s_nop 1
	v_subb_co_u32_e32 v3, vcc, v5, v3, vcc
	v_cmp_ne_u32_e32 vcc, 0, v2
	s_nop 1
	v_cndmask_b32_e32 v3, 0, v3, vcc
	v_cndmask_b32_e32 v2, 0, v8, vcc
	s_branch .LBB376_1152
.LBB376_1151:
	s_mov_b64 s[0:1], -1
                                        ; implicit-def: $vgpr2_vgpr3
.LBB376_1152:
	s_mov_b64 s[20:21], 0
.LBB376_1153:
	s_and_b64 vcc, exec, s[20:21]
	s_cbranch_vccz .LBB376_1157
; %bb.1154:
	s_cmp_eq_u32 s22, 29
	s_cbranch_scc0 .LBB376_1156
; %bb.1155:
	global_load_dwordx2 v[2:3], v[6:7], off
	s_mov_b64 s[0:1], 0
	s_mov_b64 s[18:19], -1
	s_branch .LBB376_1157
.LBB376_1156:
	s_mov_b64 s[0:1], -1
                                        ; implicit-def: $vgpr2_vgpr3
.LBB376_1157:
	s_mov_b64 s[20:21], 0
.LBB376_1158:
	s_and_b64 vcc, exec, s[20:21]
	s_cbranch_vccz .LBB376_1174
; %bb.1159:
	s_cmp_lt_i32 s22, 27
	s_cbranch_scc1 .LBB376_1162
; %bb.1160:
	s_cmp_gt_i32 s22, 27
	s_cbranch_scc0 .LBB376_1163
; %bb.1161:
	global_load_dword v2, v[6:7], off
	s_waitcnt vmcnt(1)
	v_mov_b32_e32 v3, 0
	s_mov_b64 s[18:19], 0
	s_branch .LBB376_1164
.LBB376_1162:
	s_mov_b64 s[18:19], -1
                                        ; implicit-def: $vgpr2_vgpr3
	s_branch .LBB376_1167
.LBB376_1163:
	s_mov_b64 s[18:19], -1
                                        ; implicit-def: $vgpr2_vgpr3
.LBB376_1164:
	s_andn2_b64 vcc, exec, s[18:19]
	s_cbranch_vccnz .LBB376_1166
; %bb.1165:
	global_load_ushort v2, v[6:7], off
	s_mov_b32 s18, 0
	s_waitcnt vmcnt(1)
	v_mov_b32_e32 v3, s18
	s_waitcnt vmcnt(0)
	v_and_b32_e32 v2, 0xffff, v2
.LBB376_1166:
	s_mov_b64 s[18:19], 0
.LBB376_1167:
	s_andn2_b64 vcc, exec, s[18:19]
	s_cbranch_vccnz .LBB376_1173
; %bb.1168:
	global_load_ubyte v5, v[6:7], off
	s_movk_i32 s18, 0x7f
	s_mov_b64 s[20:21], 0
	s_waitcnt vmcnt(0)
	v_cmp_lt_i16_e32 vcc, s18, v5
	s_and_saveexec_b64 s[18:19], vcc
	s_xor_b64 s[18:19], exec, s[18:19]
	s_cbranch_execz .LBB376_1184
; %bb.1169:
	s_movk_i32 s20, 0x80
	v_cmp_ne_u16_e32 vcc, s20, v5
	s_and_b64 s[20:21], vcc, exec
	s_andn2_saveexec_b64 s[18:19], s[18:19]
	s_cbranch_execnz .LBB376_1185
.LBB376_1170:
	s_or_b64 exec, exec, s[18:19]
	v_mov_b64_e32 v[2:3], 0
	s_and_saveexec_b64 s[18:19], s[20:21]
	s_cbranch_execz .LBB376_1172
.LBB376_1171:
	v_and_b32_e32 v3, 0xffff, v5
	v_lshlrev_b32_e32 v2, 24, v5
	v_and_b32_e32 v5, 7, v3
	v_ffbh_u32_e32 v9, v5
	v_min_u32_e32 v9, 32, v9
	v_subrev_u32_e32 v11, 28, v9
	v_bfe_u32 v8, v3, 3, 4
	v_lshlrev_b32_e32 v3, v11, v3
	v_sub_u32_e32 v9, 29, v9
	v_and_b32_e32 v3, 7, v3
	v_cmp_eq_u32_e32 vcc, 0, v8
	v_and_b32_e32 v2, 0x80000000, v2
	s_mov_b32 s20, 0x2f800000
	v_cndmask_b32_e32 v8, v8, v9, vcc
	v_cndmask_b32_e32 v3, v5, v3, vcc
	v_mov_b32_e32 v5, 0x3b800000
	v_lshlrev_b32_e32 v3, 20, v3
	v_lshl_add_u32 v5, v8, 23, v5
	v_or3_b32 v2, v2, v5, v3
	v_trunc_f32_e32 v2, v2
	v_mul_f32_e64 v3, |v2|, s20
	v_floor_f32_e32 v3, v3
	s_mov_b32 s20, 0xcf800000
	v_fma_f32 v5, v3, s20, |v2|
	v_cvt_u32_f32_e32 v5, v5
	v_cvt_u32_f32_e32 v3, v3
	v_ashrrev_i32_e32 v8, 31, v2
	v_xor_b32_e32 v2, v5, v8
	v_xor_b32_e32 v3, v3, v8
	v_sub_co_u32_e32 v2, vcc, v2, v8
	s_nop 1
	v_subb_co_u32_e32 v3, vcc, v3, v8, vcc
.LBB376_1172:
	s_or_b64 exec, exec, s[18:19]
.LBB376_1173:
	s_mov_b64 s[18:19], -1
.LBB376_1174:
	s_branch .LBB376_1205
.LBB376_1175:
	s_cmp_gt_i32 s22, 22
	s_cbranch_scc0 .LBB376_1183
; %bb.1176:
	s_cmp_lt_i32 s22, 24
	s_cbranch_scc1 .LBB376_1186
; %bb.1177:
	s_cmp_gt_i32 s22, 24
	s_cbranch_scc0 .LBB376_1187
; %bb.1178:
	global_load_ubyte v5, v[6:7], off
	s_movk_i32 s2, 0x7f
	s_mov_b64 s[18:19], 0
	s_waitcnt vmcnt(0)
	v_cmp_lt_i16_e32 vcc, s2, v5
	s_and_saveexec_b64 s[2:3], vcc
	s_xor_b64 s[2:3], exec, s[2:3]
	s_cbranch_execz .LBB376_1199
; %bb.1179:
	s_movk_i32 s18, 0x80
	v_cmp_ne_u16_e32 vcc, s18, v5
	s_and_b64 s[18:19], vcc, exec
	s_andn2_saveexec_b64 s[2:3], s[2:3]
	s_cbranch_execnz .LBB376_1200
.LBB376_1180:
	s_or_b64 exec, exec, s[2:3]
	v_mov_b64_e32 v[2:3], 0
	s_and_saveexec_b64 s[2:3], s[18:19]
	s_cbranch_execz .LBB376_1182
.LBB376_1181:
	v_and_b32_e32 v3, 0xffff, v5
	v_lshlrev_b32_e32 v2, 24, v5
	v_and_b32_e32 v5, 3, v3
	v_ffbh_u32_e32 v9, v5
	v_min_u32_e32 v9, 32, v9
	v_subrev_u32_e32 v11, 29, v9
	v_bfe_u32 v8, v3, 2, 5
	v_lshlrev_b32_e32 v3, v11, v3
	v_sub_u32_e32 v9, 30, v9
	v_and_b32_e32 v3, 3, v3
	v_cmp_eq_u32_e32 vcc, 0, v8
	v_and_b32_e32 v2, 0x80000000, v2
	s_mov_b32 s18, 0x2f800000
	v_cndmask_b32_e32 v8, v8, v9, vcc
	v_cndmask_b32_e32 v3, v5, v3, vcc
	v_mov_b32_e32 v5, 0x37800000
	v_lshlrev_b32_e32 v3, 21, v3
	v_lshl_add_u32 v5, v8, 23, v5
	v_or3_b32 v2, v2, v5, v3
	v_trunc_f32_e32 v2, v2
	v_mul_f32_e64 v3, |v2|, s18
	v_floor_f32_e32 v3, v3
	s_mov_b32 s18, 0xcf800000
	v_fma_f32 v5, v3, s18, |v2|
	v_cvt_u32_f32_e32 v5, v5
	v_cvt_u32_f32_e32 v3, v3
	v_ashrrev_i32_e32 v8, 31, v2
	v_xor_b32_e32 v2, v5, v8
	v_xor_b32_e32 v3, v3, v8
	v_sub_co_u32_e32 v2, vcc, v2, v8
	s_nop 1
	v_subb_co_u32_e32 v3, vcc, v3, v8, vcc
.LBB376_1182:
	s_or_b64 exec, exec, s[2:3]
	s_mov_b64 s[2:3], 0
	s_branch .LBB376_1188
.LBB376_1183:
	s_mov_b64 s[2:3], -1
                                        ; implicit-def: $vgpr2_vgpr3
	s_branch .LBB376_1194
.LBB376_1184:
	s_andn2_saveexec_b64 s[18:19], s[18:19]
	s_cbranch_execz .LBB376_1170
.LBB376_1185:
	v_cmp_ne_u16_e32 vcc, 0, v5
	s_andn2_b64 s[20:21], s[20:21], exec
	s_and_b64 s[24:25], vcc, exec
	s_or_b64 s[20:21], s[20:21], s[24:25]
	s_or_b64 exec, exec, s[18:19]
	v_mov_b64_e32 v[2:3], 0
	s_and_saveexec_b64 s[18:19], s[20:21]
	s_cbranch_execnz .LBB376_1171
	s_branch .LBB376_1172
.LBB376_1186:
	s_mov_b64 s[2:3], -1
                                        ; implicit-def: $vgpr2_vgpr3
	s_branch .LBB376_1191
.LBB376_1187:
	s_mov_b64 s[2:3], -1
                                        ; implicit-def: $vgpr2_vgpr3
.LBB376_1188:
	s_and_b64 vcc, exec, s[2:3]
	s_cbranch_vccz .LBB376_1190
; %bb.1189:
	global_load_ubyte v2, v[6:7], off
	s_mov_b32 s2, 0x7f800000
	s_brev_b32 s3, 1
	s_mov_b32 s18, 0x2f800000
	s_mov_b32 s19, 0xcf800000
	s_waitcnt vmcnt(0)
	v_lshlrev_b32_e32 v2, 24, v2
	v_and_b32_e32 v3, 0x7f000000, v2
	v_ffbh_u32_e32 v5, v3
	v_min_u32_e32 v5, 32, v5
	v_sub_u32_e64 v5, v5, 4 clamp
	v_lshlrev_b32_e32 v9, v5, v3
	v_lshlrev_b32_e32 v5, 23, v5
	v_lshrrev_b32_e32 v9, 4, v9
	v_add_u32_e32 v8, 0x1000000, v3
	v_sub_u32_e32 v5, v9, v5
	v_ashrrev_i32_e32 v8, 8, v8
	v_add_u32_e32 v5, 0x3c000000, v5
	v_and_or_b32 v5, v8, s2, v5
	v_cmp_ne_u32_e32 vcc, 0, v3
	s_nop 1
	v_cndmask_b32_e32 v3, 0, v5, vcc
	v_and_or_b32 v2, v2, s3, v3
	v_trunc_f32_e32 v2, v2
	v_mul_f32_e64 v3, |v2|, s18
	v_floor_f32_e32 v3, v3
	v_fma_f32 v5, v3, s19, |v2|
	v_cvt_u32_f32_e32 v5, v5
	v_cvt_u32_f32_e32 v3, v3
	v_ashrrev_i32_e32 v8, 31, v2
	v_xor_b32_e32 v2, v5, v8
	v_xor_b32_e32 v3, v3, v8
	v_sub_co_u32_e32 v2, vcc, v2, v8
	s_nop 1
	v_subb_co_u32_e32 v3, vcc, v3, v8, vcc
.LBB376_1190:
	s_mov_b64 s[2:3], 0
.LBB376_1191:
	s_andn2_b64 vcc, exec, s[2:3]
	s_cbranch_vccnz .LBB376_1193
; %bb.1192:
	global_load_ubyte v2, v[6:7], off
	s_movk_i32 s2, 0x7f00
	s_brev_b32 s3, 16
	s_brev_b32 s18, 1
	s_mov_b32 s19, 0x2f800000
	s_mov_b32 s20, 0xcf800000
	s_waitcnt vmcnt(0)
	v_lshlrev_b16_e32 v3, 8, v2
	v_lshlrev_b32_e32 v2, 25, v2
	v_lshrrev_b32_e32 v5, 4, v2
	v_and_or_b32 v8, v3, s2, 0.5
	v_or_b32_e32 v5, 0x70000000, v5
	v_add_f32_e32 v8, -0.5, v8
	v_mul_f32_e32 v5, 0x7800000, v5
	v_cmp_gt_u32_e32 vcc, s3, v2
	v_bfe_i32 v3, v3, 0, 16
	s_nop 0
	v_cndmask_b32_e32 v2, v5, v8, vcc
	v_and_or_b32 v2, v3, s18, v2
	v_trunc_f32_e32 v2, v2
	v_mul_f32_e64 v3, |v2|, s19
	v_floor_f32_e32 v3, v3
	v_fma_f32 v5, v3, s20, |v2|
	v_cvt_u32_f32_e32 v5, v5
	v_cvt_u32_f32_e32 v3, v3
	v_ashrrev_i32_e32 v8, 31, v2
	v_xor_b32_e32 v2, v5, v8
	v_xor_b32_e32 v3, v3, v8
	v_sub_co_u32_e32 v2, vcc, v2, v8
	s_nop 1
	v_subb_co_u32_e32 v3, vcc, v3, v8, vcc
.LBB376_1193:
	s_mov_b64 s[2:3], 0
	s_mov_b64 s[18:19], -1
.LBB376_1194:
	s_andn2_b64 vcc, exec, s[2:3]
	s_mov_b64 s[2:3], 0
	s_cbranch_vccnz .LBB376_1205
; %bb.1195:
	s_cmp_gt_i32 s22, 14
	s_cbranch_scc0 .LBB376_1198
; %bb.1196:
	s_cmp_eq_u32 s22, 15
	s_cbranch_scc0 .LBB376_1201
; %bb.1197:
	global_load_ushort v2, v[6:7], off
	s_mov_b32 s0, 0x2f800000
	s_mov_b32 s1, 0xcf800000
	s_mov_b64 s[18:19], -1
	s_waitcnt vmcnt(0)
	v_lshlrev_b32_e32 v2, 16, v2
	v_trunc_f32_e32 v2, v2
	v_mul_f32_e64 v3, |v2|, s0
	v_floor_f32_e32 v3, v3
	v_fma_f32 v5, v3, s1, |v2|
	v_cvt_u32_f32_e32 v5, v5
	v_cvt_u32_f32_e32 v3, v3
	v_ashrrev_i32_e32 v8, 31, v2
	s_mov_b64 s[0:1], 0
	v_xor_b32_e32 v2, v5, v8
	v_xor_b32_e32 v3, v3, v8
	v_sub_co_u32_e32 v2, vcc, v2, v8
	s_nop 1
	v_subb_co_u32_e32 v3, vcc, v3, v8, vcc
	s_branch .LBB376_1202
.LBB376_1198:
	s_mov_b64 s[20:21], -1
                                        ; implicit-def: $vgpr2_vgpr3
	s_branch .LBB376_1203
.LBB376_1199:
	s_andn2_saveexec_b64 s[2:3], s[2:3]
	s_cbranch_execz .LBB376_1180
.LBB376_1200:
	v_cmp_ne_u16_e32 vcc, 0, v5
	s_andn2_b64 s[18:19], s[18:19], exec
	s_and_b64 s[20:21], vcc, exec
	s_or_b64 s[18:19], s[18:19], s[20:21]
	s_or_b64 exec, exec, s[2:3]
	v_mov_b64_e32 v[2:3], 0
	s_and_saveexec_b64 s[2:3], s[18:19]
	s_cbranch_execnz .LBB376_1181
	s_branch .LBB376_1182
.LBB376_1201:
	s_mov_b64 s[0:1], -1
                                        ; implicit-def: $vgpr2_vgpr3
.LBB376_1202:
	s_mov_b64 s[20:21], 0
.LBB376_1203:
	s_and_b64 vcc, exec, s[20:21]
	s_cbranch_vccz .LBB376_1205
; %bb.1204:
	s_cmp_lg_u32 s22, 11
	s_mov_b64 s[2:3], -1
	s_cselect_b64 s[0:1], -1, 0
.LBB376_1205:
	s_and_b64 vcc, exec, s[0:1]
	s_cbranch_vccnz .LBB376_1268
; %bb.1206:
	s_andn2_b64 vcc, exec, s[2:3]
	s_cbranch_vccnz .LBB376_1208
.LBB376_1207:
	global_load_ubyte v2, v[6:7], off
	s_mov_b32 s0, 0
	s_waitcnt vmcnt(1)
	v_mov_b32_e32 v3, s0
	s_mov_b64 s[18:19], -1
	s_waitcnt vmcnt(0)
	v_cmp_ne_u16_e32 vcc, 0, v2
	s_nop 1
	v_cndmask_b32_e64 v2, 0, 1, vcc
.LBB376_1208:
	s_branch .LBB376_1139
.LBB376_1209:
	s_cmp_lt_i32 s22, 5
	s_cbranch_scc1 .LBB376_1214
; %bb.1210:
	s_cmp_lt_i32 s22, 8
	s_cbranch_scc1 .LBB376_1215
; %bb.1211:
	;; [unrolled: 3-line block ×3, first 2 shown]
	s_cmp_gt_i32 s22, 9
	s_cbranch_scc0 .LBB376_1217
; %bb.1213:
	global_load_dwordx2 v[2:3], v[6:7], off
	s_movk_i32 s0, 0xffe0
	s_waitcnt vmcnt(0)
	v_trunc_f64_e32 v[8:9], v[2:3]
	v_ldexp_f64 v[2:3], v[8:9], s0
	v_floor_f64_e32 v[12:13], v[2:3]
	v_fmac_f64_e32 v[8:9], 0xc1f00000, v[12:13]
	v_cvt_i32_f64_e32 v3, v[12:13]
	v_cvt_u32_f64_e32 v2, v[8:9]
	s_mov_b64 s[0:1], 0
	s_branch .LBB376_1218
.LBB376_1214:
                                        ; implicit-def: $vgpr2_vgpr3
	s_branch .LBB376_1236
.LBB376_1215:
	s_mov_b64 s[0:1], -1
                                        ; implicit-def: $vgpr2_vgpr3
	s_branch .LBB376_1224
.LBB376_1216:
	s_mov_b64 s[0:1], -1
                                        ; implicit-def: $vgpr2_vgpr3
	s_branch .LBB376_1221
.LBB376_1217:
	s_mov_b64 s[0:1], -1
                                        ; implicit-def: $vgpr2_vgpr3
.LBB376_1218:
	s_andn2_b64 vcc, exec, s[0:1]
	s_cbranch_vccnz .LBB376_1220
; %bb.1219:
	global_load_dword v2, v[6:7], off
	s_mov_b32 s0, 0x2f800000
	s_mov_b32 s1, 0xcf800000
	s_waitcnt vmcnt(0)
	v_trunc_f32_e32 v2, v2
	v_mul_f32_e64 v3, |v2|, s0
	v_floor_f32_e32 v3, v3
	v_cvt_u32_f32_e32 v5, v3
	v_fma_f32 v3, v3, s1, |v2|
	v_cvt_u32_f32_e32 v3, v3
	v_ashrrev_i32_e32 v8, 31, v2
	v_xor_b32_e32 v5, v5, v8
	v_xor_b32_e32 v2, v3, v8
	v_sub_co_u32_e32 v2, vcc, v2, v8
	s_nop 1
	v_subb_co_u32_e32 v3, vcc, v5, v8, vcc
.LBB376_1220:
	s_mov_b64 s[0:1], 0
.LBB376_1221:
	s_andn2_b64 vcc, exec, s[0:1]
	s_cbranch_vccnz .LBB376_1223
; %bb.1222:
	global_load_dword v2, v[6:7], off
	s_waitcnt vmcnt(0)
	v_cvt_f32_f16_e32 v2, v2
	v_cvt_i32_f32_e32 v2, v2
	v_ashrrev_i32_e32 v3, 31, v2
.LBB376_1223:
	s_mov_b64 s[0:1], 0
.LBB376_1224:
	s_andn2_b64 vcc, exec, s[0:1]
	s_cbranch_vccnz .LBB376_1235
; %bb.1225:
	s_cmp_lt_i32 s22, 6
	s_cbranch_scc1 .LBB376_1228
; %bb.1226:
	s_cmp_gt_i32 s22, 6
	s_cbranch_scc0 .LBB376_1229
; %bb.1227:
	global_load_dwordx2 v[2:3], v[6:7], off
	s_movk_i32 s0, 0xffe0
	s_waitcnt vmcnt(0)
	v_trunc_f64_e32 v[8:9], v[2:3]
	v_ldexp_f64 v[2:3], v[8:9], s0
	v_floor_f64_e32 v[12:13], v[2:3]
	v_fmac_f64_e32 v[8:9], 0xc1f00000, v[12:13]
	v_cvt_i32_f64_e32 v3, v[12:13]
	v_cvt_u32_f64_e32 v2, v[8:9]
	s_mov_b64 s[0:1], 0
	s_branch .LBB376_1230
.LBB376_1228:
	s_mov_b64 s[0:1], -1
                                        ; implicit-def: $vgpr2_vgpr3
	s_branch .LBB376_1233
.LBB376_1229:
	s_mov_b64 s[0:1], -1
                                        ; implicit-def: $vgpr2_vgpr3
.LBB376_1230:
	s_andn2_b64 vcc, exec, s[0:1]
	s_cbranch_vccnz .LBB376_1232
; %bb.1231:
	global_load_dword v2, v[6:7], off
	s_mov_b32 s0, 0x2f800000
	s_mov_b32 s1, 0xcf800000
	s_waitcnt vmcnt(0)
	v_trunc_f32_e32 v2, v2
	v_mul_f32_e64 v3, |v2|, s0
	v_floor_f32_e32 v3, v3
	v_cvt_u32_f32_e32 v5, v3
	v_fma_f32 v3, v3, s1, |v2|
	v_cvt_u32_f32_e32 v3, v3
	v_ashrrev_i32_e32 v8, 31, v2
	v_xor_b32_e32 v5, v5, v8
	v_xor_b32_e32 v2, v3, v8
	v_sub_co_u32_e32 v2, vcc, v2, v8
	s_nop 1
	v_subb_co_u32_e32 v3, vcc, v5, v8, vcc
.LBB376_1232:
	s_mov_b64 s[0:1], 0
.LBB376_1233:
	s_andn2_b64 vcc, exec, s[0:1]
	s_cbranch_vccnz .LBB376_1235
; %bb.1234:
	global_load_ushort v2, v[6:7], off
	s_waitcnt vmcnt(0)
	v_cvt_f32_f16_e32 v2, v2
	v_cvt_i32_f32_e32 v2, v2
	v_ashrrev_i32_e32 v3, 31, v2
.LBB376_1235:
	s_cbranch_execnz .LBB376_1255
.LBB376_1236:
	s_cmp_lt_i32 s22, 2
	s_cbranch_scc1 .LBB376_1240
; %bb.1237:
	s_cmp_lt_i32 s22, 3
	s_cbranch_scc1 .LBB376_1241
; %bb.1238:
	s_cmp_gt_i32 s22, 3
	s_cbranch_scc0 .LBB376_1242
; %bb.1239:
	global_load_dwordx2 v[2:3], v[6:7], off
	s_mov_b64 s[0:1], 0
	s_branch .LBB376_1243
.LBB376_1240:
	s_mov_b64 s[0:1], -1
                                        ; implicit-def: $vgpr2_vgpr3
	s_branch .LBB376_1249
.LBB376_1241:
	s_mov_b64 s[0:1], -1
                                        ; implicit-def: $vgpr2_vgpr3
	s_branch .LBB376_1246
.LBB376_1242:
	s_mov_b64 s[0:1], -1
                                        ; implicit-def: $vgpr2_vgpr3
.LBB376_1243:
	s_andn2_b64 vcc, exec, s[0:1]
	s_cbranch_vccnz .LBB376_1245
; %bb.1244:
	global_load_dword v2, v[6:7], off
	s_waitcnt vmcnt(0)
	v_ashrrev_i32_e32 v3, 31, v2
.LBB376_1245:
	s_mov_b64 s[0:1], 0
.LBB376_1246:
	s_andn2_b64 vcc, exec, s[0:1]
	s_cbranch_vccnz .LBB376_1248
; %bb.1247:
	global_load_ushort v2, v[6:7], off
	s_waitcnt vmcnt(0)
	v_bfe_i32 v2, v2, 0, 16
	v_ashrrev_i32_e32 v3, 31, v2
.LBB376_1248:
	s_mov_b64 s[0:1], 0
.LBB376_1249:
	s_andn2_b64 vcc, exec, s[0:1]
	s_cbranch_vccnz .LBB376_1255
; %bb.1250:
	s_cmp_gt_i32 s22, 0
	s_cbranch_scc0 .LBB376_1252
; %bb.1251:
	global_load_sbyte v2, v[6:7], off
	s_mov_b64 s[0:1], 0
	s_waitcnt vmcnt(0)
	v_bfe_i32 v2, v2, 0, 16
	v_ashrrev_i32_e32 v3, 31, v2
	s_branch .LBB376_1253
.LBB376_1252:
	s_mov_b64 s[0:1], -1
                                        ; implicit-def: $vgpr2_vgpr3
.LBB376_1253:
	s_andn2_b64 vcc, exec, s[0:1]
	s_cbranch_vccnz .LBB376_1255
; %bb.1254:
	global_load_ubyte v2, v[6:7], off
	s_mov_b32 s0, 0
	s_waitcnt vmcnt(1)
	v_mov_b32_e32 v3, s0
	s_waitcnt vmcnt(0)
	v_and_b32_e32 v2, 0xffff, v2
.LBB376_1255:
.LBB376_1256:
	v_add_u32_e32 v6, s9, v4
	v_ashrrev_i32_e32 v7, 31, v6
	s_cmp_lt_i32 s22, 11
	v_lshl_add_u64 v[8:9], s[6:7], 0, v[6:7]
	s_cbranch_scc1 .LBB376_1263
; %bb.1257:
	s_cmp_gt_i32 s22, 25
	s_mov_b64 s[2:3], 0
	s_cbranch_scc0 .LBB376_1265
; %bb.1258:
	s_cmp_gt_i32 s22, 28
	s_cbranch_scc0 .LBB376_1266
; %bb.1259:
	s_cmp_gt_i32 s22, 43
	;; [unrolled: 3-line block ×3, first 2 shown]
	s_cbranch_scc0 .LBB376_1269
; %bb.1261:
	s_cmp_eq_u32 s22, 46
	s_mov_b64 s[20:21], 0
	s_cbranch_scc0 .LBB376_1270
; %bb.1262:
	global_load_dword v4, v[8:9], off
	s_mov_b32 s0, 0x2f800000
	s_mov_b32 s1, 0xcf800000
	s_mov_b64 s[18:19], -1
	s_waitcnt vmcnt(0)
	v_lshlrev_b32_e32 v4, 16, v4
	v_trunc_f32_e32 v4, v4
	v_mul_f32_e64 v5, |v4|, s0
	v_floor_f32_e32 v5, v5
	v_fma_f32 v7, v5, s1, |v4|
	v_cvt_u32_f32_e32 v7, v7
	v_cvt_u32_f32_e32 v5, v5
	v_ashrrev_i32_e32 v11, 31, v4
	s_mov_b64 s[0:1], 0
	v_xor_b32_e32 v4, v7, v11
	v_xor_b32_e32 v5, v5, v11
	v_sub_co_u32_e32 v4, vcc, v4, v11
	s_nop 1
	v_subb_co_u32_e32 v5, vcc, v5, v11, vcc
	s_branch .LBB376_1271
.LBB376_1263:
	s_mov_b64 s[18:19], 0
                                        ; implicit-def: $vgpr4_vgpr5
	s_cbranch_execnz .LBB376_1333
.LBB376_1264:
	s_andn2_b64 vcc, exec, s[18:19]
	s_cbranch_vccnz .LBB376_1940
	s_branch .LBB376_1381
.LBB376_1265:
	s_mov_b64 s[20:21], -1
	s_mov_b64 s[18:19], 0
	s_mov_b64 s[0:1], 0
                                        ; implicit-def: $vgpr4_vgpr5
	s_branch .LBB376_1298
.LBB376_1266:
	s_mov_b64 s[20:21], -1
	s_mov_b64 s[18:19], 0
	s_mov_b64 s[0:1], 0
                                        ; implicit-def: $vgpr4_vgpr5
	s_branch .LBB376_1281
.LBB376_1267:
	s_mov_b64 s[20:21], -1
	s_mov_b64 s[18:19], 0
	s_mov_b64 s[0:1], 0
                                        ; implicit-def: $vgpr4_vgpr5
	s_branch .LBB376_1276
.LBB376_1268:
	s_trap 2
	s_or_b64 s[16:17], s[16:17], exec
	s_cbranch_execz .LBB376_1207
	s_branch .LBB376_1208
.LBB376_1269:
	s_mov_b64 s[20:21], -1
	s_mov_b64 s[18:19], 0
	s_mov_b64 s[0:1], 0
                                        ; implicit-def: $vgpr4_vgpr5
	s_branch .LBB376_1271
.LBB376_1270:
	s_mov_b64 s[0:1], -1
                                        ; implicit-def: $vgpr4_vgpr5
	s_mov_b64 s[18:19], 0
.LBB376_1271:
	s_and_b64 vcc, exec, s[20:21]
	s_cbranch_vccz .LBB376_1275
; %bb.1272:
	s_cmp_eq_u32 s22, 44
	s_cbranch_scc0 .LBB376_1274
; %bb.1273:
	global_load_ubyte v4, v[8:9], off
	s_mov_b32 s0, 0x2f800000
	s_mov_b32 s1, 0xcf800000
	s_mov_b64 s[18:19], -1
	s_waitcnt vmcnt(0)
	v_lshlrev_b32_e32 v5, 23, v4
	v_trunc_f32_e32 v5, v5
	v_mul_f32_e64 v7, |v5|, s0
	v_floor_f32_e32 v7, v7
	v_fma_f32 v11, v7, s1, |v5|
	v_cvt_u32_f32_e32 v11, v11
	v_cvt_u32_f32_e32 v7, v7
	v_ashrrev_i32_e32 v5, 31, v5
	s_mov_b64 s[0:1], 0
	v_xor_b32_e32 v11, v11, v5
	v_xor_b32_e32 v7, v7, v5
	v_sub_co_u32_e32 v11, vcc, v11, v5
	s_nop 1
	v_subb_co_u32_e32 v5, vcc, v7, v5, vcc
	v_cmp_ne_u32_e32 vcc, 0, v4
	s_nop 1
	v_cndmask_b32_e32 v5, 0, v5, vcc
	v_cndmask_b32_e32 v4, 0, v11, vcc
	s_branch .LBB376_1275
.LBB376_1274:
	s_mov_b64 s[0:1], -1
                                        ; implicit-def: $vgpr4_vgpr5
.LBB376_1275:
	s_mov_b64 s[20:21], 0
.LBB376_1276:
	s_and_b64 vcc, exec, s[20:21]
	s_cbranch_vccz .LBB376_1280
; %bb.1277:
	s_cmp_eq_u32 s22, 29
	s_cbranch_scc0 .LBB376_1279
; %bb.1278:
	global_load_dwordx2 v[4:5], v[8:9], off
	s_mov_b64 s[0:1], 0
	s_mov_b64 s[18:19], -1
	s_branch .LBB376_1280
.LBB376_1279:
	s_mov_b64 s[0:1], -1
                                        ; implicit-def: $vgpr4_vgpr5
.LBB376_1280:
	s_mov_b64 s[20:21], 0
.LBB376_1281:
	s_and_b64 vcc, exec, s[20:21]
	s_cbranch_vccz .LBB376_1297
; %bb.1282:
	s_cmp_lt_i32 s22, 27
	s_cbranch_scc1 .LBB376_1285
; %bb.1283:
	s_cmp_gt_i32 s22, 27
	s_cbranch_scc0 .LBB376_1286
; %bb.1284:
	global_load_dword v4, v[8:9], off
	s_waitcnt vmcnt(1)
	v_mov_b32_e32 v5, 0
	s_mov_b64 s[18:19], 0
	s_branch .LBB376_1287
.LBB376_1285:
	s_mov_b64 s[18:19], -1
                                        ; implicit-def: $vgpr4_vgpr5
	s_branch .LBB376_1290
.LBB376_1286:
	s_mov_b64 s[18:19], -1
                                        ; implicit-def: $vgpr4_vgpr5
.LBB376_1287:
	s_andn2_b64 vcc, exec, s[18:19]
	s_cbranch_vccnz .LBB376_1289
; %bb.1288:
	global_load_ushort v4, v[8:9], off
	s_mov_b32 s18, 0
	s_waitcnt vmcnt(1)
	v_mov_b32_e32 v5, s18
	s_waitcnt vmcnt(0)
	v_and_b32_e32 v4, 0xffff, v4
.LBB376_1289:
	s_mov_b64 s[18:19], 0
.LBB376_1290:
	s_andn2_b64 vcc, exec, s[18:19]
	s_cbranch_vccnz .LBB376_1296
; %bb.1291:
	global_load_ubyte v7, v[8:9], off
	s_movk_i32 s18, 0x7f
	s_mov_b64 s[20:21], 0
	s_waitcnt vmcnt(0)
	v_cmp_lt_i16_e32 vcc, s18, v7
	s_and_saveexec_b64 s[18:19], vcc
	s_xor_b64 s[18:19], exec, s[18:19]
	s_cbranch_execz .LBB376_1308
; %bb.1292:
	s_movk_i32 s20, 0x80
	v_cmp_ne_u16_e32 vcc, s20, v7
	s_and_b64 s[20:21], vcc, exec
	s_andn2_saveexec_b64 s[18:19], s[18:19]
	s_cbranch_execnz .LBB376_1309
.LBB376_1293:
	s_or_b64 exec, exec, s[18:19]
	v_mov_b64_e32 v[4:5], 0
	s_and_saveexec_b64 s[18:19], s[20:21]
	s_cbranch_execz .LBB376_1295
.LBB376_1294:
	v_and_b32_e32 v5, 0xffff, v7
	v_lshlrev_b32_e32 v4, 24, v7
	v_and_b32_e32 v7, 7, v5
	v_ffbh_u32_e32 v12, v7
	v_min_u32_e32 v12, 32, v12
	v_subrev_u32_e32 v13, 28, v12
	v_bfe_u32 v11, v5, 3, 4
	v_lshlrev_b32_e32 v5, v13, v5
	v_sub_u32_e32 v12, 29, v12
	v_and_b32_e32 v5, 7, v5
	v_cmp_eq_u32_e32 vcc, 0, v11
	v_and_b32_e32 v4, 0x80000000, v4
	s_mov_b32 s20, 0x2f800000
	v_cndmask_b32_e32 v11, v11, v12, vcc
	v_cndmask_b32_e32 v5, v7, v5, vcc
	v_mov_b32_e32 v7, 0x3b800000
	v_lshlrev_b32_e32 v5, 20, v5
	v_lshl_add_u32 v7, v11, 23, v7
	v_or3_b32 v4, v4, v7, v5
	v_trunc_f32_e32 v4, v4
	v_mul_f32_e64 v5, |v4|, s20
	v_floor_f32_e32 v5, v5
	s_mov_b32 s20, 0xcf800000
	v_fma_f32 v7, v5, s20, |v4|
	v_cvt_u32_f32_e32 v7, v7
	v_cvt_u32_f32_e32 v5, v5
	v_ashrrev_i32_e32 v11, 31, v4
	v_xor_b32_e32 v4, v7, v11
	v_xor_b32_e32 v5, v5, v11
	v_sub_co_u32_e32 v4, vcc, v4, v11
	s_nop 1
	v_subb_co_u32_e32 v5, vcc, v5, v11, vcc
.LBB376_1295:
	s_or_b64 exec, exec, s[18:19]
.LBB376_1296:
	s_mov_b64 s[18:19], -1
.LBB376_1297:
	s_mov_b64 s[20:21], 0
.LBB376_1298:
	s_and_b64 vcc, exec, s[20:21]
	s_cbranch_vccz .LBB376_1329
; %bb.1299:
	s_cmp_gt_i32 s22, 22
	s_cbranch_scc0 .LBB376_1307
; %bb.1300:
	s_cmp_lt_i32 s22, 24
	s_cbranch_scc1 .LBB376_1310
; %bb.1301:
	s_cmp_gt_i32 s22, 24
	s_cbranch_scc0 .LBB376_1311
; %bb.1302:
	global_load_ubyte v7, v[8:9], off
	s_movk_i32 s2, 0x7f
	s_mov_b64 s[18:19], 0
	s_waitcnt vmcnt(0)
	v_cmp_lt_i16_e32 vcc, s2, v7
	s_and_saveexec_b64 s[2:3], vcc
	s_xor_b64 s[2:3], exec, s[2:3]
	s_cbranch_execz .LBB376_1323
; %bb.1303:
	s_movk_i32 s18, 0x80
	v_cmp_ne_u16_e32 vcc, s18, v7
	s_and_b64 s[18:19], vcc, exec
	s_andn2_saveexec_b64 s[2:3], s[2:3]
	s_cbranch_execnz .LBB376_1324
.LBB376_1304:
	s_or_b64 exec, exec, s[2:3]
	v_mov_b64_e32 v[4:5], 0
	s_and_saveexec_b64 s[2:3], s[18:19]
	s_cbranch_execz .LBB376_1306
.LBB376_1305:
	v_and_b32_e32 v5, 0xffff, v7
	v_lshlrev_b32_e32 v4, 24, v7
	v_and_b32_e32 v7, 3, v5
	v_ffbh_u32_e32 v12, v7
	v_min_u32_e32 v12, 32, v12
	v_subrev_u32_e32 v13, 29, v12
	v_bfe_u32 v11, v5, 2, 5
	v_lshlrev_b32_e32 v5, v13, v5
	v_sub_u32_e32 v12, 30, v12
	v_and_b32_e32 v5, 3, v5
	v_cmp_eq_u32_e32 vcc, 0, v11
	v_and_b32_e32 v4, 0x80000000, v4
	s_mov_b32 s18, 0x2f800000
	v_cndmask_b32_e32 v11, v11, v12, vcc
	v_cndmask_b32_e32 v5, v7, v5, vcc
	v_mov_b32_e32 v7, 0x37800000
	v_lshlrev_b32_e32 v5, 21, v5
	v_lshl_add_u32 v7, v11, 23, v7
	v_or3_b32 v4, v4, v7, v5
	v_trunc_f32_e32 v4, v4
	v_mul_f32_e64 v5, |v4|, s18
	v_floor_f32_e32 v5, v5
	s_mov_b32 s18, 0xcf800000
	v_fma_f32 v7, v5, s18, |v4|
	v_cvt_u32_f32_e32 v7, v7
	v_cvt_u32_f32_e32 v5, v5
	v_ashrrev_i32_e32 v11, 31, v4
	v_xor_b32_e32 v4, v7, v11
	v_xor_b32_e32 v5, v5, v11
	v_sub_co_u32_e32 v4, vcc, v4, v11
	s_nop 1
	v_subb_co_u32_e32 v5, vcc, v5, v11, vcc
.LBB376_1306:
	s_or_b64 exec, exec, s[2:3]
	s_mov_b64 s[2:3], 0
	s_branch .LBB376_1312
.LBB376_1307:
	s_mov_b64 s[2:3], -1
                                        ; implicit-def: $vgpr4_vgpr5
	s_branch .LBB376_1318
.LBB376_1308:
	s_andn2_saveexec_b64 s[18:19], s[18:19]
	s_cbranch_execz .LBB376_1293
.LBB376_1309:
	v_cmp_ne_u16_e32 vcc, 0, v7
	s_andn2_b64 s[20:21], s[20:21], exec
	s_and_b64 s[24:25], vcc, exec
	s_or_b64 s[20:21], s[20:21], s[24:25]
	s_or_b64 exec, exec, s[18:19]
	v_mov_b64_e32 v[4:5], 0
	s_and_saveexec_b64 s[18:19], s[20:21]
	s_cbranch_execnz .LBB376_1294
	s_branch .LBB376_1295
.LBB376_1310:
	s_mov_b64 s[2:3], -1
                                        ; implicit-def: $vgpr4_vgpr5
	s_branch .LBB376_1315
.LBB376_1311:
	s_mov_b64 s[2:3], -1
                                        ; implicit-def: $vgpr4_vgpr5
.LBB376_1312:
	s_and_b64 vcc, exec, s[2:3]
	s_cbranch_vccz .LBB376_1314
; %bb.1313:
	global_load_ubyte v4, v[8:9], off
	s_mov_b32 s2, 0x7f800000
	s_brev_b32 s3, 1
	s_mov_b32 s18, 0x2f800000
	s_mov_b32 s19, 0xcf800000
	s_waitcnt vmcnt(0)
	v_lshlrev_b32_e32 v4, 24, v4
	v_and_b32_e32 v5, 0x7f000000, v4
	v_ffbh_u32_e32 v7, v5
	v_min_u32_e32 v7, 32, v7
	v_sub_u32_e64 v7, v7, 4 clamp
	v_lshlrev_b32_e32 v12, v7, v5
	v_lshlrev_b32_e32 v7, 23, v7
	v_lshrrev_b32_e32 v12, 4, v12
	v_add_u32_e32 v11, 0x1000000, v5
	v_sub_u32_e32 v7, v12, v7
	v_ashrrev_i32_e32 v11, 8, v11
	v_add_u32_e32 v7, 0x3c000000, v7
	v_and_or_b32 v7, v11, s2, v7
	v_cmp_ne_u32_e32 vcc, 0, v5
	s_nop 1
	v_cndmask_b32_e32 v5, 0, v7, vcc
	v_and_or_b32 v4, v4, s3, v5
	v_trunc_f32_e32 v4, v4
	v_mul_f32_e64 v5, |v4|, s18
	v_floor_f32_e32 v5, v5
	v_fma_f32 v7, v5, s19, |v4|
	v_cvt_u32_f32_e32 v7, v7
	v_cvt_u32_f32_e32 v5, v5
	v_ashrrev_i32_e32 v11, 31, v4
	v_xor_b32_e32 v4, v7, v11
	v_xor_b32_e32 v5, v5, v11
	v_sub_co_u32_e32 v4, vcc, v4, v11
	s_nop 1
	v_subb_co_u32_e32 v5, vcc, v5, v11, vcc
.LBB376_1314:
	s_mov_b64 s[2:3], 0
.LBB376_1315:
	s_andn2_b64 vcc, exec, s[2:3]
	s_cbranch_vccnz .LBB376_1317
; %bb.1316:
	global_load_ubyte v4, v[8:9], off
	s_movk_i32 s2, 0x7f00
	s_brev_b32 s3, 16
	s_brev_b32 s18, 1
	s_mov_b32 s19, 0x2f800000
	s_mov_b32 s20, 0xcf800000
	s_waitcnt vmcnt(0)
	v_lshlrev_b16_e32 v5, 8, v4
	v_lshlrev_b32_e32 v4, 25, v4
	v_lshrrev_b32_e32 v7, 4, v4
	v_and_or_b32 v11, v5, s2, 0.5
	v_or_b32_e32 v7, 0x70000000, v7
	v_add_f32_e32 v11, -0.5, v11
	v_mul_f32_e32 v7, 0x7800000, v7
	v_cmp_gt_u32_e32 vcc, s3, v4
	v_bfe_i32 v5, v5, 0, 16
	s_nop 0
	v_cndmask_b32_e32 v4, v7, v11, vcc
	v_and_or_b32 v4, v5, s18, v4
	v_trunc_f32_e32 v4, v4
	v_mul_f32_e64 v5, |v4|, s19
	v_floor_f32_e32 v5, v5
	v_fma_f32 v7, v5, s20, |v4|
	v_cvt_u32_f32_e32 v7, v7
	v_cvt_u32_f32_e32 v5, v5
	v_ashrrev_i32_e32 v11, 31, v4
	v_xor_b32_e32 v4, v7, v11
	v_xor_b32_e32 v5, v5, v11
	v_sub_co_u32_e32 v4, vcc, v4, v11
	s_nop 1
	v_subb_co_u32_e32 v5, vcc, v5, v11, vcc
.LBB376_1317:
	s_mov_b64 s[2:3], 0
	s_mov_b64 s[18:19], -1
.LBB376_1318:
	s_andn2_b64 vcc, exec, s[2:3]
	s_mov_b64 s[2:3], 0
	s_cbranch_vccnz .LBB376_1329
; %bb.1319:
	s_cmp_gt_i32 s22, 14
	s_cbranch_scc0 .LBB376_1322
; %bb.1320:
	s_cmp_eq_u32 s22, 15
	s_cbranch_scc0 .LBB376_1325
; %bb.1321:
	global_load_ushort v4, v[8:9], off
	s_mov_b32 s0, 0x2f800000
	s_mov_b32 s1, 0xcf800000
	s_mov_b64 s[18:19], -1
	s_waitcnt vmcnt(0)
	v_lshlrev_b32_e32 v4, 16, v4
	v_trunc_f32_e32 v4, v4
	v_mul_f32_e64 v5, |v4|, s0
	v_floor_f32_e32 v5, v5
	v_fma_f32 v7, v5, s1, |v4|
	v_cvt_u32_f32_e32 v7, v7
	v_cvt_u32_f32_e32 v5, v5
	v_ashrrev_i32_e32 v11, 31, v4
	s_mov_b64 s[0:1], 0
	v_xor_b32_e32 v4, v7, v11
	v_xor_b32_e32 v5, v5, v11
	v_sub_co_u32_e32 v4, vcc, v4, v11
	s_nop 1
	v_subb_co_u32_e32 v5, vcc, v5, v11, vcc
	s_branch .LBB376_1326
.LBB376_1322:
	s_mov_b64 s[20:21], -1
                                        ; implicit-def: $vgpr4_vgpr5
	s_branch .LBB376_1327
.LBB376_1323:
	s_andn2_saveexec_b64 s[2:3], s[2:3]
	s_cbranch_execz .LBB376_1304
.LBB376_1324:
	v_cmp_ne_u16_e32 vcc, 0, v7
	s_andn2_b64 s[18:19], s[18:19], exec
	s_and_b64 s[20:21], vcc, exec
	s_or_b64 s[18:19], s[18:19], s[20:21]
	s_or_b64 exec, exec, s[2:3]
	v_mov_b64_e32 v[4:5], 0
	s_and_saveexec_b64 s[2:3], s[18:19]
	s_cbranch_execnz .LBB376_1305
	s_branch .LBB376_1306
.LBB376_1325:
	s_mov_b64 s[0:1], -1
                                        ; implicit-def: $vgpr4_vgpr5
.LBB376_1326:
	s_mov_b64 s[20:21], 0
.LBB376_1327:
	s_and_b64 vcc, exec, s[20:21]
	s_cbranch_vccz .LBB376_1329
; %bb.1328:
	s_cmp_lg_u32 s22, 11
	s_mov_b64 s[2:3], -1
	s_cselect_b64 s[0:1], -1, 0
.LBB376_1329:
	s_and_b64 vcc, exec, s[0:1]
	s_cbranch_vccnz .LBB376_1392
; %bb.1330:
	s_andn2_b64 vcc, exec, s[2:3]
	s_cbranch_vccnz .LBB376_1332
.LBB376_1331:
	global_load_ubyte v4, v[8:9], off
	s_mov_b32 s0, 0
	s_waitcnt vmcnt(1)
	v_mov_b32_e32 v5, s0
	s_mov_b64 s[18:19], -1
	s_waitcnt vmcnt(0)
	v_cmp_ne_u16_e32 vcc, 0, v4
	s_nop 1
	v_cndmask_b32_e64 v4, 0, 1, vcc
.LBB376_1332:
	s_branch .LBB376_1264
.LBB376_1333:
	s_cmp_lt_i32 s22, 5
	s_cbranch_scc1 .LBB376_1338
; %bb.1334:
	s_cmp_lt_i32 s22, 8
	s_cbranch_scc1 .LBB376_1339
; %bb.1335:
	;; [unrolled: 3-line block ×3, first 2 shown]
	s_cmp_gt_i32 s22, 9
	s_cbranch_scc0 .LBB376_1341
; %bb.1337:
	global_load_dwordx2 v[4:5], v[8:9], off
	s_movk_i32 s0, 0xffe0
	s_waitcnt vmcnt(0)
	v_trunc_f64_e32 v[12:13], v[4:5]
	v_ldexp_f64 v[4:5], v[12:13], s0
	v_floor_f64_e32 v[14:15], v[4:5]
	v_fmac_f64_e32 v[12:13], 0xc1f00000, v[14:15]
	v_cvt_i32_f64_e32 v5, v[14:15]
	v_cvt_u32_f64_e32 v4, v[12:13]
	s_mov_b64 s[0:1], 0
	s_branch .LBB376_1342
.LBB376_1338:
	s_mov_b64 s[0:1], -1
                                        ; implicit-def: $vgpr4_vgpr5
	s_branch .LBB376_1360
.LBB376_1339:
	s_mov_b64 s[0:1], -1
                                        ; implicit-def: $vgpr4_vgpr5
	s_branch .LBB376_1348
.LBB376_1340:
	s_mov_b64 s[0:1], -1
                                        ; implicit-def: $vgpr4_vgpr5
	s_branch .LBB376_1345
.LBB376_1341:
	s_mov_b64 s[0:1], -1
                                        ; implicit-def: $vgpr4_vgpr5
.LBB376_1342:
	s_andn2_b64 vcc, exec, s[0:1]
	s_cbranch_vccnz .LBB376_1344
; %bb.1343:
	global_load_dword v4, v[8:9], off
	s_mov_b32 s0, 0x2f800000
	s_mov_b32 s1, 0xcf800000
	s_waitcnt vmcnt(0)
	v_trunc_f32_e32 v4, v4
	v_mul_f32_e64 v5, |v4|, s0
	v_floor_f32_e32 v5, v5
	v_cvt_u32_f32_e32 v7, v5
	v_fma_f32 v5, v5, s1, |v4|
	v_cvt_u32_f32_e32 v5, v5
	v_ashrrev_i32_e32 v11, 31, v4
	v_xor_b32_e32 v7, v7, v11
	v_xor_b32_e32 v4, v5, v11
	v_sub_co_u32_e32 v4, vcc, v4, v11
	s_nop 1
	v_subb_co_u32_e32 v5, vcc, v7, v11, vcc
.LBB376_1344:
	s_mov_b64 s[0:1], 0
.LBB376_1345:
	s_andn2_b64 vcc, exec, s[0:1]
	s_cbranch_vccnz .LBB376_1347
; %bb.1346:
	global_load_dword v4, v[8:9], off
	s_waitcnt vmcnt(0)
	v_cvt_f32_f16_e32 v4, v4
	v_cvt_i32_f32_e32 v4, v4
	v_ashrrev_i32_e32 v5, 31, v4
.LBB376_1347:
	s_mov_b64 s[0:1], 0
.LBB376_1348:
	s_andn2_b64 vcc, exec, s[0:1]
	s_cbranch_vccnz .LBB376_1359
; %bb.1349:
	s_cmp_lt_i32 s22, 6
	s_cbranch_scc1 .LBB376_1352
; %bb.1350:
	s_cmp_gt_i32 s22, 6
	s_cbranch_scc0 .LBB376_1353
; %bb.1351:
	global_load_dwordx2 v[4:5], v[8:9], off
	s_movk_i32 s0, 0xffe0
	s_waitcnt vmcnt(0)
	v_trunc_f64_e32 v[12:13], v[4:5]
	v_ldexp_f64 v[4:5], v[12:13], s0
	v_floor_f64_e32 v[14:15], v[4:5]
	v_fmac_f64_e32 v[12:13], 0xc1f00000, v[14:15]
	v_cvt_i32_f64_e32 v5, v[14:15]
	v_cvt_u32_f64_e32 v4, v[12:13]
	s_mov_b64 s[0:1], 0
	s_branch .LBB376_1354
.LBB376_1352:
	s_mov_b64 s[0:1], -1
                                        ; implicit-def: $vgpr4_vgpr5
	s_branch .LBB376_1357
.LBB376_1353:
	s_mov_b64 s[0:1], -1
                                        ; implicit-def: $vgpr4_vgpr5
.LBB376_1354:
	s_andn2_b64 vcc, exec, s[0:1]
	s_cbranch_vccnz .LBB376_1356
; %bb.1355:
	global_load_dword v4, v[8:9], off
	s_mov_b32 s0, 0x2f800000
	s_mov_b32 s1, 0xcf800000
	s_waitcnt vmcnt(0)
	v_trunc_f32_e32 v4, v4
	v_mul_f32_e64 v5, |v4|, s0
	v_floor_f32_e32 v5, v5
	v_cvt_u32_f32_e32 v7, v5
	v_fma_f32 v5, v5, s1, |v4|
	v_cvt_u32_f32_e32 v5, v5
	v_ashrrev_i32_e32 v11, 31, v4
	v_xor_b32_e32 v7, v7, v11
	v_xor_b32_e32 v4, v5, v11
	v_sub_co_u32_e32 v4, vcc, v4, v11
	s_nop 1
	v_subb_co_u32_e32 v5, vcc, v7, v11, vcc
.LBB376_1356:
	s_mov_b64 s[0:1], 0
.LBB376_1357:
	s_andn2_b64 vcc, exec, s[0:1]
	s_cbranch_vccnz .LBB376_1359
; %bb.1358:
	global_load_ushort v4, v[8:9], off
	s_waitcnt vmcnt(0)
	v_cvt_f32_f16_e32 v4, v4
	v_cvt_i32_f32_e32 v4, v4
	v_ashrrev_i32_e32 v5, 31, v4
.LBB376_1359:
	s_mov_b64 s[0:1], 0
.LBB376_1360:
	s_andn2_b64 vcc, exec, s[0:1]
	s_cbranch_vccnz .LBB376_1380
; %bb.1361:
	s_cmp_lt_i32 s22, 2
	s_cbranch_scc1 .LBB376_1365
; %bb.1362:
	s_cmp_lt_i32 s22, 3
	s_cbranch_scc1 .LBB376_1366
; %bb.1363:
	s_cmp_gt_i32 s22, 3
	s_cbranch_scc0 .LBB376_1367
; %bb.1364:
	global_load_dwordx2 v[4:5], v[8:9], off
	s_mov_b64 s[0:1], 0
	s_branch .LBB376_1368
.LBB376_1365:
	s_mov_b64 s[0:1], -1
                                        ; implicit-def: $vgpr4_vgpr5
	s_branch .LBB376_1374
.LBB376_1366:
	s_mov_b64 s[0:1], -1
                                        ; implicit-def: $vgpr4_vgpr5
	s_branch .LBB376_1371
.LBB376_1367:
	s_mov_b64 s[0:1], -1
                                        ; implicit-def: $vgpr4_vgpr5
.LBB376_1368:
	s_andn2_b64 vcc, exec, s[0:1]
	s_cbranch_vccnz .LBB376_1370
; %bb.1369:
	global_load_dword v4, v[8:9], off
	s_waitcnt vmcnt(0)
	v_ashrrev_i32_e32 v5, 31, v4
.LBB376_1370:
	s_mov_b64 s[0:1], 0
.LBB376_1371:
	s_andn2_b64 vcc, exec, s[0:1]
	s_cbranch_vccnz .LBB376_1373
; %bb.1372:
	global_load_ushort v4, v[8:9], off
	s_waitcnt vmcnt(0)
	v_bfe_i32 v4, v4, 0, 16
	v_ashrrev_i32_e32 v5, 31, v4
.LBB376_1373:
	s_mov_b64 s[0:1], 0
.LBB376_1374:
	s_andn2_b64 vcc, exec, s[0:1]
	s_cbranch_vccnz .LBB376_1380
; %bb.1375:
	s_cmp_gt_i32 s22, 0
	s_cbranch_scc0 .LBB376_1377
; %bb.1376:
	global_load_sbyte v4, v[8:9], off
	s_mov_b64 s[0:1], 0
	s_waitcnt vmcnt(0)
	v_bfe_i32 v4, v4, 0, 16
	v_ashrrev_i32_e32 v5, 31, v4
	s_branch .LBB376_1378
.LBB376_1377:
	s_mov_b64 s[0:1], -1
                                        ; implicit-def: $vgpr4_vgpr5
.LBB376_1378:
	s_andn2_b64 vcc, exec, s[0:1]
	s_cbranch_vccnz .LBB376_1380
; %bb.1379:
	global_load_ubyte v4, v[8:9], off
	s_mov_b32 s0, 0
	s_waitcnt vmcnt(1)
	v_mov_b32_e32 v5, s0
	s_waitcnt vmcnt(0)
	v_and_b32_e32 v4, 0xffff, v4
.LBB376_1380:
.LBB376_1381:
	v_add_u32_e32 v6, s9, v6
	v_ashrrev_i32_e32 v7, 31, v6
	s_cmp_lt_i32 s22, 11
	v_lshl_add_u64 v[8:9], s[6:7], 0, v[6:7]
	s_cbranch_scc1 .LBB376_1388
; %bb.1382:
	s_cmp_gt_i32 s22, 25
	s_mov_b64 s[2:3], 0
	s_cbranch_scc0 .LBB376_1389
; %bb.1383:
	s_cmp_gt_i32 s22, 28
	s_cbranch_scc0 .LBB376_1390
; %bb.1384:
	s_cmp_gt_i32 s22, 43
	s_cbranch_scc0 .LBB376_1391
; %bb.1385:
	s_cmp_gt_i32 s22, 45
	s_cbranch_scc0 .LBB376_1393
; %bb.1386:
	s_cmp_eq_u32 s22, 46
	s_mov_b64 s[18:19], 0
	s_cbranch_scc0 .LBB376_1394
; %bb.1387:
	global_load_dword v6, v[8:9], off
	s_mov_b32 s0, 0x2f800000
	s_mov_b32 s1, 0xcf800000
	s_mov_b64 s[6:7], -1
	s_waitcnt vmcnt(0)
	v_lshlrev_b32_e32 v6, 16, v6
	v_trunc_f32_e32 v6, v6
	v_mul_f32_e64 v7, |v6|, s0
	v_floor_f32_e32 v7, v7
	v_fma_f32 v11, v7, s1, |v6|
	v_cvt_u32_f32_e32 v11, v11
	v_cvt_u32_f32_e32 v7, v7
	v_ashrrev_i32_e32 v12, 31, v6
	s_mov_b64 s[0:1], 0
	v_xor_b32_e32 v6, v11, v12
	v_xor_b32_e32 v7, v7, v12
	v_sub_co_u32_e32 v6, vcc, v6, v12
	s_nop 1
	v_subb_co_u32_e32 v7, vcc, v7, v12, vcc
	s_branch .LBB376_1395
.LBB376_1388:
	s_mov_b64 s[0:1], -1
	s_mov_b64 s[6:7], 0
                                        ; implicit-def: $vgpr6_vgpr7
	s_branch .LBB376_1457
.LBB376_1389:
	s_mov_b64 s[18:19], -1
	s_mov_b64 s[6:7], 0
	s_mov_b64 s[0:1], 0
                                        ; implicit-def: $vgpr6_vgpr7
	s_branch .LBB376_1422
.LBB376_1390:
	s_mov_b64 s[18:19], -1
	s_mov_b64 s[6:7], 0
	s_mov_b64 s[0:1], 0
                                        ; implicit-def: $vgpr6_vgpr7
	s_branch .LBB376_1405
.LBB376_1391:
	s_mov_b64 s[18:19], -1
	s_mov_b64 s[6:7], 0
	s_mov_b64 s[0:1], 0
                                        ; implicit-def: $vgpr6_vgpr7
	s_branch .LBB376_1400
.LBB376_1392:
	s_trap 2
	s_or_b64 s[16:17], s[16:17], exec
	s_cbranch_execz .LBB376_1331
	s_branch .LBB376_1332
.LBB376_1393:
	s_mov_b64 s[18:19], -1
	s_mov_b64 s[6:7], 0
	s_mov_b64 s[0:1], 0
                                        ; implicit-def: $vgpr6_vgpr7
	s_branch .LBB376_1395
.LBB376_1394:
	s_mov_b64 s[0:1], -1
                                        ; implicit-def: $vgpr6_vgpr7
	s_mov_b64 s[6:7], 0
.LBB376_1395:
	s_and_b64 vcc, exec, s[18:19]
	s_cbranch_vccz .LBB376_1399
; %bb.1396:
	s_cmp_eq_u32 s22, 44
	s_cbranch_scc0 .LBB376_1398
; %bb.1397:
	global_load_ubyte v6, v[8:9], off
	s_mov_b32 s0, 0x2f800000
	s_mov_b32 s1, 0xcf800000
	s_mov_b64 s[6:7], -1
	s_waitcnt vmcnt(0)
	v_lshlrev_b32_e32 v7, 23, v6
	v_trunc_f32_e32 v7, v7
	v_mul_f32_e64 v11, |v7|, s0
	v_floor_f32_e32 v11, v11
	v_fma_f32 v12, v11, s1, |v7|
	v_cvt_u32_f32_e32 v12, v12
	v_cvt_u32_f32_e32 v11, v11
	v_ashrrev_i32_e32 v7, 31, v7
	s_mov_b64 s[0:1], 0
	v_xor_b32_e32 v12, v12, v7
	v_xor_b32_e32 v11, v11, v7
	v_sub_co_u32_e32 v12, vcc, v12, v7
	s_nop 1
	v_subb_co_u32_e32 v7, vcc, v11, v7, vcc
	v_cmp_ne_u32_e32 vcc, 0, v6
	s_nop 1
	v_cndmask_b32_e32 v7, 0, v7, vcc
	v_cndmask_b32_e32 v6, 0, v12, vcc
	s_branch .LBB376_1399
.LBB376_1398:
	s_mov_b64 s[0:1], -1
                                        ; implicit-def: $vgpr6_vgpr7
.LBB376_1399:
	s_mov_b64 s[18:19], 0
.LBB376_1400:
	s_and_b64 vcc, exec, s[18:19]
	s_cbranch_vccz .LBB376_1404
; %bb.1401:
	s_cmp_eq_u32 s22, 29
	s_cbranch_scc0 .LBB376_1403
; %bb.1402:
	global_load_dwordx2 v[6:7], v[8:9], off
	s_mov_b64 s[0:1], 0
	s_mov_b64 s[6:7], -1
	s_branch .LBB376_1404
.LBB376_1403:
	s_mov_b64 s[0:1], -1
                                        ; implicit-def: $vgpr6_vgpr7
.LBB376_1404:
	s_mov_b64 s[18:19], 0
.LBB376_1405:
	s_and_b64 vcc, exec, s[18:19]
	s_cbranch_vccz .LBB376_1421
; %bb.1406:
	s_cmp_lt_i32 s22, 27
	s_cbranch_scc1 .LBB376_1409
; %bb.1407:
	s_cmp_gt_i32 s22, 27
	s_cbranch_scc0 .LBB376_1410
; %bb.1408:
	global_load_dword v6, v[8:9], off
	s_waitcnt vmcnt(1)
	v_mov_b32_e32 v7, 0
	s_mov_b64 s[6:7], 0
	s_branch .LBB376_1411
.LBB376_1409:
	s_mov_b64 s[6:7], -1
                                        ; implicit-def: $vgpr6_vgpr7
	s_branch .LBB376_1414
.LBB376_1410:
	s_mov_b64 s[6:7], -1
                                        ; implicit-def: $vgpr6_vgpr7
.LBB376_1411:
	s_andn2_b64 vcc, exec, s[6:7]
	s_cbranch_vccnz .LBB376_1413
; %bb.1412:
	global_load_ushort v6, v[8:9], off
	s_mov_b32 s6, 0
	s_waitcnt vmcnt(1)
	v_mov_b32_e32 v7, s6
	s_waitcnt vmcnt(0)
	v_and_b32_e32 v6, 0xffff, v6
.LBB376_1413:
	s_mov_b64 s[6:7], 0
.LBB376_1414:
	s_andn2_b64 vcc, exec, s[6:7]
	s_cbranch_vccnz .LBB376_1420
; %bb.1415:
	global_load_ubyte v11, v[8:9], off
	s_movk_i32 s6, 0x7f
	s_mov_b64 s[18:19], 0
	s_waitcnt vmcnt(0)
	v_cmp_lt_i16_e32 vcc, s6, v11
	s_and_saveexec_b64 s[6:7], vcc
	s_xor_b64 s[6:7], exec, s[6:7]
	s_cbranch_execz .LBB376_1432
; %bb.1416:
	s_movk_i32 s9, 0x80
	v_cmp_ne_u16_e32 vcc, s9, v11
	s_and_b64 s[18:19], vcc, exec
	s_andn2_saveexec_b64 s[6:7], s[6:7]
	s_cbranch_execnz .LBB376_1433
.LBB376_1417:
	s_or_b64 exec, exec, s[6:7]
	v_mov_b64_e32 v[6:7], 0
	s_and_saveexec_b64 s[6:7], s[18:19]
	s_cbranch_execz .LBB376_1419
.LBB376_1418:
	v_and_b32_e32 v7, 0xffff, v11
	v_lshlrev_b32_e32 v6, 24, v11
	v_and_b32_e32 v11, 7, v7
	v_ffbh_u32_e32 v13, v11
	v_min_u32_e32 v13, 32, v13
	v_subrev_u32_e32 v14, 28, v13
	v_bfe_u32 v12, v7, 3, 4
	v_lshlrev_b32_e32 v7, v14, v7
	v_sub_u32_e32 v13, 29, v13
	v_and_b32_e32 v7, 7, v7
	v_cmp_eq_u32_e32 vcc, 0, v12
	v_and_b32_e32 v6, 0x80000000, v6
	s_mov_b32 s9, 0x2f800000
	v_cndmask_b32_e32 v12, v12, v13, vcc
	v_cndmask_b32_e32 v7, v11, v7, vcc
	v_mov_b32_e32 v11, 0x3b800000
	v_lshlrev_b32_e32 v7, 20, v7
	v_lshl_add_u32 v11, v12, 23, v11
	v_or3_b32 v6, v6, v11, v7
	v_trunc_f32_e32 v6, v6
	v_mul_f32_e64 v7, |v6|, s9
	v_floor_f32_e32 v7, v7
	s_mov_b32 s9, 0xcf800000
	v_fma_f32 v11, v7, s9, |v6|
	v_cvt_u32_f32_e32 v11, v11
	v_cvt_u32_f32_e32 v7, v7
	v_ashrrev_i32_e32 v12, 31, v6
	v_xor_b32_e32 v6, v11, v12
	v_xor_b32_e32 v7, v7, v12
	v_sub_co_u32_e32 v6, vcc, v6, v12
	s_nop 1
	v_subb_co_u32_e32 v7, vcc, v7, v12, vcc
.LBB376_1419:
	s_or_b64 exec, exec, s[6:7]
.LBB376_1420:
	s_mov_b64 s[6:7], -1
.LBB376_1421:
	s_mov_b64 s[18:19], 0
.LBB376_1422:
	s_and_b64 vcc, exec, s[18:19]
	s_cbranch_vccz .LBB376_1453
; %bb.1423:
	s_cmp_gt_i32 s22, 22
	s_cbranch_scc0 .LBB376_1431
; %bb.1424:
	s_cmp_lt_i32 s22, 24
	s_cbranch_scc1 .LBB376_1434
; %bb.1425:
	s_cmp_gt_i32 s22, 24
	s_cbranch_scc0 .LBB376_1435
; %bb.1426:
	global_load_ubyte v11, v[8:9], off
	s_movk_i32 s2, 0x7f
	s_mov_b64 s[6:7], 0
	s_waitcnt vmcnt(0)
	v_cmp_lt_i16_e32 vcc, s2, v11
	s_and_saveexec_b64 s[2:3], vcc
	s_xor_b64 s[2:3], exec, s[2:3]
	s_cbranch_execz .LBB376_1447
; %bb.1427:
	s_movk_i32 s6, 0x80
	v_cmp_ne_u16_e32 vcc, s6, v11
	s_and_b64 s[6:7], vcc, exec
	s_andn2_saveexec_b64 s[2:3], s[2:3]
	s_cbranch_execnz .LBB376_1448
.LBB376_1428:
	s_or_b64 exec, exec, s[2:3]
	v_mov_b64_e32 v[6:7], 0
	s_and_saveexec_b64 s[2:3], s[6:7]
	s_cbranch_execz .LBB376_1430
.LBB376_1429:
	v_and_b32_e32 v7, 0xffff, v11
	v_lshlrev_b32_e32 v6, 24, v11
	v_and_b32_e32 v11, 3, v7
	v_ffbh_u32_e32 v13, v11
	v_min_u32_e32 v13, 32, v13
	v_subrev_u32_e32 v14, 29, v13
	v_bfe_u32 v12, v7, 2, 5
	v_lshlrev_b32_e32 v7, v14, v7
	v_sub_u32_e32 v13, 30, v13
	v_and_b32_e32 v7, 3, v7
	v_cmp_eq_u32_e32 vcc, 0, v12
	v_and_b32_e32 v6, 0x80000000, v6
	s_mov_b32 s6, 0x2f800000
	v_cndmask_b32_e32 v12, v12, v13, vcc
	v_cndmask_b32_e32 v7, v11, v7, vcc
	v_mov_b32_e32 v11, 0x37800000
	v_lshlrev_b32_e32 v7, 21, v7
	v_lshl_add_u32 v11, v12, 23, v11
	v_or3_b32 v6, v6, v11, v7
	v_trunc_f32_e32 v6, v6
	v_mul_f32_e64 v7, |v6|, s6
	v_floor_f32_e32 v7, v7
	s_mov_b32 s6, 0xcf800000
	v_fma_f32 v11, v7, s6, |v6|
	v_cvt_u32_f32_e32 v11, v11
	v_cvt_u32_f32_e32 v7, v7
	v_ashrrev_i32_e32 v12, 31, v6
	v_xor_b32_e32 v6, v11, v12
	v_xor_b32_e32 v7, v7, v12
	v_sub_co_u32_e32 v6, vcc, v6, v12
	s_nop 1
	v_subb_co_u32_e32 v7, vcc, v7, v12, vcc
.LBB376_1430:
	s_or_b64 exec, exec, s[2:3]
	s_mov_b64 s[2:3], 0
	s_branch .LBB376_1436
.LBB376_1431:
	s_mov_b64 s[2:3], -1
                                        ; implicit-def: $vgpr6_vgpr7
	s_branch .LBB376_1442
.LBB376_1432:
	s_andn2_saveexec_b64 s[6:7], s[6:7]
	s_cbranch_execz .LBB376_1417
.LBB376_1433:
	v_cmp_ne_u16_e32 vcc, 0, v11
	s_andn2_b64 s[18:19], s[18:19], exec
	s_and_b64 s[20:21], vcc, exec
	s_or_b64 s[18:19], s[18:19], s[20:21]
	s_or_b64 exec, exec, s[6:7]
	v_mov_b64_e32 v[6:7], 0
	s_and_saveexec_b64 s[6:7], s[18:19]
	s_cbranch_execnz .LBB376_1418
	s_branch .LBB376_1419
.LBB376_1434:
	s_mov_b64 s[2:3], -1
                                        ; implicit-def: $vgpr6_vgpr7
	s_branch .LBB376_1439
.LBB376_1435:
	s_mov_b64 s[2:3], -1
                                        ; implicit-def: $vgpr6_vgpr7
.LBB376_1436:
	s_and_b64 vcc, exec, s[2:3]
	s_cbranch_vccz .LBB376_1438
; %bb.1437:
	global_load_ubyte v6, v[8:9], off
	s_mov_b32 s2, 0x7f800000
	s_brev_b32 s3, 1
	s_mov_b32 s6, 0x2f800000
	s_mov_b32 s7, 0xcf800000
	s_waitcnt vmcnt(0)
	v_lshlrev_b32_e32 v6, 24, v6
	v_and_b32_e32 v7, 0x7f000000, v6
	v_ffbh_u32_e32 v11, v7
	v_min_u32_e32 v11, 32, v11
	v_sub_u32_e64 v11, v11, 4 clamp
	v_lshlrev_b32_e32 v13, v11, v7
	v_lshlrev_b32_e32 v11, 23, v11
	v_lshrrev_b32_e32 v13, 4, v13
	v_add_u32_e32 v12, 0x1000000, v7
	v_sub_u32_e32 v11, v13, v11
	v_ashrrev_i32_e32 v12, 8, v12
	v_add_u32_e32 v11, 0x3c000000, v11
	v_and_or_b32 v11, v12, s2, v11
	v_cmp_ne_u32_e32 vcc, 0, v7
	s_nop 1
	v_cndmask_b32_e32 v7, 0, v11, vcc
	v_and_or_b32 v6, v6, s3, v7
	v_trunc_f32_e32 v6, v6
	v_mul_f32_e64 v7, |v6|, s6
	v_floor_f32_e32 v7, v7
	v_fma_f32 v11, v7, s7, |v6|
	v_cvt_u32_f32_e32 v11, v11
	v_cvt_u32_f32_e32 v7, v7
	v_ashrrev_i32_e32 v12, 31, v6
	v_xor_b32_e32 v6, v11, v12
	v_xor_b32_e32 v7, v7, v12
	v_sub_co_u32_e32 v6, vcc, v6, v12
	s_nop 1
	v_subb_co_u32_e32 v7, vcc, v7, v12, vcc
.LBB376_1438:
	s_mov_b64 s[2:3], 0
.LBB376_1439:
	s_andn2_b64 vcc, exec, s[2:3]
	s_cbranch_vccnz .LBB376_1441
; %bb.1440:
	global_load_ubyte v6, v[8:9], off
	s_movk_i32 s2, 0x7f00
	s_brev_b32 s3, 16
	s_brev_b32 s6, 1
	s_mov_b32 s7, 0x2f800000
	s_mov_b32 s9, 0xcf800000
	s_waitcnt vmcnt(0)
	v_lshlrev_b16_e32 v7, 8, v6
	v_lshlrev_b32_e32 v6, 25, v6
	v_lshrrev_b32_e32 v11, 4, v6
	v_and_or_b32 v12, v7, s2, 0.5
	v_or_b32_e32 v11, 0x70000000, v11
	v_add_f32_e32 v12, -0.5, v12
	v_mul_f32_e32 v11, 0x7800000, v11
	v_cmp_gt_u32_e32 vcc, s3, v6
	v_bfe_i32 v7, v7, 0, 16
	s_nop 0
	v_cndmask_b32_e32 v6, v11, v12, vcc
	v_and_or_b32 v6, v7, s6, v6
	v_trunc_f32_e32 v6, v6
	v_mul_f32_e64 v7, |v6|, s7
	v_floor_f32_e32 v7, v7
	v_fma_f32 v11, v7, s9, |v6|
	v_cvt_u32_f32_e32 v11, v11
	v_cvt_u32_f32_e32 v7, v7
	v_ashrrev_i32_e32 v12, 31, v6
	v_xor_b32_e32 v6, v11, v12
	v_xor_b32_e32 v7, v7, v12
	v_sub_co_u32_e32 v6, vcc, v6, v12
	s_nop 1
	v_subb_co_u32_e32 v7, vcc, v7, v12, vcc
.LBB376_1441:
	s_mov_b64 s[2:3], 0
	s_mov_b64 s[6:7], -1
.LBB376_1442:
	s_andn2_b64 vcc, exec, s[2:3]
	s_mov_b64 s[2:3], 0
	s_cbranch_vccnz .LBB376_1453
; %bb.1443:
	s_cmp_gt_i32 s22, 14
	s_cbranch_scc0 .LBB376_1446
; %bb.1444:
	s_cmp_eq_u32 s22, 15
	s_cbranch_scc0 .LBB376_1449
; %bb.1445:
	global_load_ushort v6, v[8:9], off
	s_mov_b32 s0, 0x2f800000
	s_mov_b32 s1, 0xcf800000
	s_mov_b64 s[6:7], -1
	s_waitcnt vmcnt(0)
	v_lshlrev_b32_e32 v6, 16, v6
	v_trunc_f32_e32 v6, v6
	v_mul_f32_e64 v7, |v6|, s0
	v_floor_f32_e32 v7, v7
	v_fma_f32 v11, v7, s1, |v6|
	v_cvt_u32_f32_e32 v11, v11
	v_cvt_u32_f32_e32 v7, v7
	v_ashrrev_i32_e32 v12, 31, v6
	s_mov_b64 s[0:1], 0
	v_xor_b32_e32 v6, v11, v12
	v_xor_b32_e32 v7, v7, v12
	v_sub_co_u32_e32 v6, vcc, v6, v12
	s_nop 1
	v_subb_co_u32_e32 v7, vcc, v7, v12, vcc
	s_branch .LBB376_1450
.LBB376_1446:
	s_mov_b64 s[18:19], -1
                                        ; implicit-def: $vgpr6_vgpr7
	s_branch .LBB376_1451
.LBB376_1447:
	s_andn2_saveexec_b64 s[2:3], s[2:3]
	s_cbranch_execz .LBB376_1428
.LBB376_1448:
	v_cmp_ne_u16_e32 vcc, 0, v11
	s_andn2_b64 s[6:7], s[6:7], exec
	s_and_b64 s[18:19], vcc, exec
	s_or_b64 s[6:7], s[6:7], s[18:19]
	s_or_b64 exec, exec, s[2:3]
	v_mov_b64_e32 v[6:7], 0
	s_and_saveexec_b64 s[2:3], s[6:7]
	s_cbranch_execnz .LBB376_1429
	s_branch .LBB376_1430
.LBB376_1449:
	s_mov_b64 s[0:1], -1
                                        ; implicit-def: $vgpr6_vgpr7
.LBB376_1450:
	s_mov_b64 s[18:19], 0
.LBB376_1451:
	s_and_b64 vcc, exec, s[18:19]
	s_cbranch_vccz .LBB376_1453
; %bb.1452:
	s_cmp_lg_u32 s22, 11
	s_mov_b64 s[2:3], -1
	s_cselect_b64 s[0:1], -1, 0
.LBB376_1453:
	s_and_b64 vcc, exec, s[0:1]
	s_cbranch_vccnz .LBB376_1986
; %bb.1454:
	s_andn2_b64 vcc, exec, s[2:3]
	s_cbranch_vccnz .LBB376_1456
.LBB376_1455:
	global_load_ubyte v6, v[8:9], off
	s_mov_b32 s0, 0
	s_waitcnt vmcnt(1)
	v_mov_b32_e32 v7, s0
	s_mov_b64 s[6:7], -1
	s_waitcnt vmcnt(0)
	v_cmp_ne_u16_e32 vcc, 0, v6
	s_nop 1
	v_cndmask_b32_e64 v6, 0, 1, vcc
.LBB376_1456:
	s_mov_b64 s[0:1], 0
.LBB376_1457:
	s_and_b64 vcc, exec, s[0:1]
	s_cbranch_vccz .LBB376_1506
; %bb.1458:
	s_cmp_lt_i32 s22, 5
	s_cbranch_scc1 .LBB376_1463
; %bb.1459:
	s_cmp_lt_i32 s22, 8
	s_cbranch_scc1 .LBB376_1464
	;; [unrolled: 3-line block ×3, first 2 shown]
; %bb.1461:
	s_cmp_gt_i32 s22, 9
	s_cbranch_scc0 .LBB376_1466
; %bb.1462:
	global_load_dwordx2 v[6:7], v[8:9], off
	s_movk_i32 s0, 0xffe0
	s_waitcnt vmcnt(0)
	v_trunc_f64_e32 v[12:13], v[6:7]
	v_ldexp_f64 v[6:7], v[12:13], s0
	v_floor_f64_e32 v[14:15], v[6:7]
	v_fmac_f64_e32 v[12:13], 0xc1f00000, v[14:15]
	v_cvt_i32_f64_e32 v7, v[14:15]
	v_cvt_u32_f64_e32 v6, v[12:13]
	s_mov_b64 s[0:1], 0
	s_branch .LBB376_1467
.LBB376_1463:
	s_mov_b64 s[0:1], -1
                                        ; implicit-def: $vgpr6_vgpr7
	s_branch .LBB376_1485
.LBB376_1464:
	s_mov_b64 s[0:1], -1
                                        ; implicit-def: $vgpr6_vgpr7
	s_branch .LBB376_1473
.LBB376_1465:
	s_mov_b64 s[0:1], -1
                                        ; implicit-def: $vgpr6_vgpr7
	s_branch .LBB376_1470
.LBB376_1466:
	s_mov_b64 s[0:1], -1
                                        ; implicit-def: $vgpr6_vgpr7
.LBB376_1467:
	s_andn2_b64 vcc, exec, s[0:1]
	s_cbranch_vccnz .LBB376_1469
; %bb.1468:
	global_load_dword v6, v[8:9], off
	s_mov_b32 s0, 0x2f800000
	s_mov_b32 s1, 0xcf800000
	s_waitcnt vmcnt(0)
	v_trunc_f32_e32 v6, v6
	v_mul_f32_e64 v7, |v6|, s0
	v_floor_f32_e32 v7, v7
	v_cvt_u32_f32_e32 v11, v7
	v_fma_f32 v7, v7, s1, |v6|
	v_cvt_u32_f32_e32 v7, v7
	v_ashrrev_i32_e32 v12, 31, v6
	v_xor_b32_e32 v11, v11, v12
	v_xor_b32_e32 v6, v7, v12
	v_sub_co_u32_e32 v6, vcc, v6, v12
	s_nop 1
	v_subb_co_u32_e32 v7, vcc, v11, v12, vcc
.LBB376_1469:
	s_mov_b64 s[0:1], 0
.LBB376_1470:
	s_andn2_b64 vcc, exec, s[0:1]
	s_cbranch_vccnz .LBB376_1472
; %bb.1471:
	global_load_dword v6, v[8:9], off
	s_waitcnt vmcnt(0)
	v_cvt_f32_f16_e32 v6, v6
	v_cvt_i32_f32_e32 v6, v6
	v_ashrrev_i32_e32 v7, 31, v6
.LBB376_1472:
	s_mov_b64 s[0:1], 0
.LBB376_1473:
	s_andn2_b64 vcc, exec, s[0:1]
	s_cbranch_vccnz .LBB376_1484
; %bb.1474:
	s_cmp_lt_i32 s22, 6
	s_cbranch_scc1 .LBB376_1477
; %bb.1475:
	s_cmp_gt_i32 s22, 6
	s_cbranch_scc0 .LBB376_1478
; %bb.1476:
	global_load_dwordx2 v[6:7], v[8:9], off
	s_movk_i32 s0, 0xffe0
	s_waitcnt vmcnt(0)
	v_trunc_f64_e32 v[12:13], v[6:7]
	v_ldexp_f64 v[6:7], v[12:13], s0
	v_floor_f64_e32 v[14:15], v[6:7]
	v_fmac_f64_e32 v[12:13], 0xc1f00000, v[14:15]
	v_cvt_i32_f64_e32 v7, v[14:15]
	v_cvt_u32_f64_e32 v6, v[12:13]
	s_mov_b64 s[0:1], 0
	s_branch .LBB376_1479
.LBB376_1477:
	s_mov_b64 s[0:1], -1
                                        ; implicit-def: $vgpr6_vgpr7
	s_branch .LBB376_1482
.LBB376_1478:
	s_mov_b64 s[0:1], -1
                                        ; implicit-def: $vgpr6_vgpr7
.LBB376_1479:
	s_andn2_b64 vcc, exec, s[0:1]
	s_cbranch_vccnz .LBB376_1481
; %bb.1480:
	global_load_dword v6, v[8:9], off
	s_mov_b32 s0, 0x2f800000
	s_mov_b32 s1, 0xcf800000
	s_waitcnt vmcnt(0)
	v_trunc_f32_e32 v6, v6
	v_mul_f32_e64 v7, |v6|, s0
	v_floor_f32_e32 v7, v7
	v_cvt_u32_f32_e32 v11, v7
	v_fma_f32 v7, v7, s1, |v6|
	v_cvt_u32_f32_e32 v7, v7
	v_ashrrev_i32_e32 v12, 31, v6
	v_xor_b32_e32 v11, v11, v12
	v_xor_b32_e32 v6, v7, v12
	v_sub_co_u32_e32 v6, vcc, v6, v12
	s_nop 1
	v_subb_co_u32_e32 v7, vcc, v11, v12, vcc
.LBB376_1481:
	s_mov_b64 s[0:1], 0
.LBB376_1482:
	s_andn2_b64 vcc, exec, s[0:1]
	s_cbranch_vccnz .LBB376_1484
; %bb.1483:
	global_load_ushort v6, v[8:9], off
	s_waitcnt vmcnt(0)
	v_cvt_f32_f16_e32 v6, v6
	v_cvt_i32_f32_e32 v6, v6
	v_ashrrev_i32_e32 v7, 31, v6
.LBB376_1484:
	s_mov_b64 s[0:1], 0
.LBB376_1485:
	s_andn2_b64 vcc, exec, s[0:1]
	s_cbranch_vccnz .LBB376_1505
; %bb.1486:
	s_cmp_lt_i32 s22, 2
	s_cbranch_scc1 .LBB376_1490
; %bb.1487:
	s_cmp_lt_i32 s22, 3
	s_cbranch_scc1 .LBB376_1491
; %bb.1488:
	s_cmp_gt_i32 s22, 3
	s_cbranch_scc0 .LBB376_1492
; %bb.1489:
	global_load_dwordx2 v[6:7], v[8:9], off
	s_mov_b64 s[0:1], 0
	s_branch .LBB376_1493
.LBB376_1490:
	s_mov_b64 s[0:1], -1
                                        ; implicit-def: $vgpr6_vgpr7
	s_branch .LBB376_1499
.LBB376_1491:
	s_mov_b64 s[0:1], -1
                                        ; implicit-def: $vgpr6_vgpr7
	s_branch .LBB376_1496
.LBB376_1492:
	s_mov_b64 s[0:1], -1
                                        ; implicit-def: $vgpr6_vgpr7
.LBB376_1493:
	s_andn2_b64 vcc, exec, s[0:1]
	s_cbranch_vccnz .LBB376_1495
; %bb.1494:
	global_load_dword v6, v[8:9], off
	s_waitcnt vmcnt(0)
	v_ashrrev_i32_e32 v7, 31, v6
.LBB376_1495:
	s_mov_b64 s[0:1], 0
.LBB376_1496:
	s_andn2_b64 vcc, exec, s[0:1]
	s_cbranch_vccnz .LBB376_1498
; %bb.1497:
	global_load_ushort v6, v[8:9], off
	s_waitcnt vmcnt(0)
	v_bfe_i32 v6, v6, 0, 16
	v_ashrrev_i32_e32 v7, 31, v6
.LBB376_1498:
	s_mov_b64 s[0:1], 0
.LBB376_1499:
	s_andn2_b64 vcc, exec, s[0:1]
	s_cbranch_vccnz .LBB376_1505
; %bb.1500:
	s_cmp_gt_i32 s22, 0
	s_cbranch_scc0 .LBB376_1502
; %bb.1501:
	global_load_sbyte v6, v[8:9], off
	s_mov_b64 s[0:1], 0
	s_waitcnt vmcnt(0)
	v_bfe_i32 v6, v6, 0, 16
	v_ashrrev_i32_e32 v7, 31, v6
	s_branch .LBB376_1503
.LBB376_1502:
	s_mov_b64 s[0:1], -1
                                        ; implicit-def: $vgpr6_vgpr7
.LBB376_1503:
	s_andn2_b64 vcc, exec, s[0:1]
	s_cbranch_vccnz .LBB376_1505
; %bb.1504:
	global_load_ubyte v6, v[8:9], off
	s_mov_b32 s0, 0
	s_waitcnt vmcnt(1)
	v_mov_b32_e32 v7, s0
	s_waitcnt vmcnt(0)
	v_and_b32_e32 v6, 0xffff, v6
.LBB376_1505:
	s_mov_b64 s[6:7], -1
.LBB376_1506:
	s_andn2_b64 vcc, exec, s[6:7]
	s_cbranch_vccnz .LBB376_1940
; %bb.1507:
	v_mov_b32_e32 v8, s11
	s_waitcnt vmcnt(0)
	v_cmp_lt_i64_e32 vcc, s[10:11], v[0:1]
	s_and_b32 s22, s33, 0xff
	s_cmp_lt_i32 s22, 11
	v_cndmask_b32_e32 v9, v8, v1, vcc
	v_mov_b32_e32 v1, s10
	v_cndmask_b32_e32 v8, v1, v0, vcc
	v_mul_lo_u32 v0, s8, v10
	v_ashrrev_i32_e32 v1, 31, v0
	v_lshl_add_u64 v[10:11], s[4:5], 0, v[0:1]
	s_cbranch_scc1 .LBB376_1585
; %bb.1508:
	s_and_b32 s9, 0xffff, s22
	s_mov_b64 s[18:19], -1
	s_mov_b64 s[2:3], 0
	s_cmp_gt_i32 s9, 25
	s_mov_b64 s[6:7], 0
	s_mov_b64 s[0:1], 0
	s_cbranch_scc0 .LBB376_1541
; %bb.1509:
	s_cmp_gt_i32 s9, 28
	s_cbranch_scc0 .LBB376_1524
; %bb.1510:
	s_cmp_gt_i32 s9, 43
	;; [unrolled: 3-line block ×3, first 2 shown]
	s_cbranch_scc0 .LBB376_1514
; %bb.1512:
	s_mov_b64 s[0:1], -1
	s_mov_b64 s[18:19], 0
	s_cmp_eq_u32 s9, 46
	s_cbranch_scc0 .LBB376_1514
; %bb.1513:
	v_xor_b32_e32 v12, v8, v9
	v_ffbh_i32_e32 v1, v9
	v_ashrrev_i32_e32 v12, 31, v12
	v_add_u32_e32 v1, -1, v1
	v_add_u32_e32 v12, 32, v12
	v_min_u32_e32 v1, v1, v12
	v_lshlrev_b64 v[12:13], v1, v[8:9]
	v_min_u32_e32 v12, 1, v12
	v_or_b32_e32 v12, v13, v12
	v_cvt_f32_i32_e32 v12, v12
	v_sub_u32_e32 v1, 32, v1
	s_movk_i32 s0, 0x7fff
	s_mov_b64 s[6:7], -1
	v_ldexp_f32 v1, v12, v1
	v_bfe_u32 v12, v1, 16, 1
	v_add3_u32 v1, v1, v12, s0
	v_lshrrev_b32_e32 v1, 16, v1
	global_store_dword v[10:11], v1, off
	s_mov_b64 s[0:1], 0
.LBB376_1514:
	s_and_b64 vcc, exec, s[18:19]
	s_cbranch_vccz .LBB376_1519
; %bb.1515:
	s_cmp_eq_u32 s9, 44
	s_mov_b64 s[0:1], -1
	s_cbranch_scc0 .LBB376_1519
; %bb.1516:
	v_xor_b32_e32 v12, v8, v9
	v_ffbh_i32_e32 v1, v9
	v_ashrrev_i32_e32 v12, 31, v12
	v_add_u32_e32 v1, -1, v1
	v_add_u32_e32 v12, 32, v12
	v_min_u32_e32 v1, v1, v12
	v_lshlrev_b64 v[12:13], v1, v[8:9]
	v_min_u32_e32 v12, 1, v12
	v_or_b32_e32 v12, v13, v12
	v_cvt_f32_i32_e32 v12, v12
	v_sub_u32_e32 v1, 32, v1
	s_movk_i32 s0, 0xff
	v_mov_b32_e32 v13, 0xff
	v_ldexp_f32 v1, v12, v1
	v_bfe_u32 v12, v1, 23, 8
	v_cmp_ne_u32_e32 vcc, s0, v12
	s_and_saveexec_b64 s[6:7], vcc
; %bb.1517:
	s_mov_b32 s0, 0x3fffff
	v_lshrrev_b32_e32 v13, 23, v1
	v_and_b32_e32 v14, 0x400000, v1
	v_and_or_b32 v1, v1, s0, v12
	v_cmp_ne_u32_e32 vcc, 0, v14
	v_cmp_ne_u32_e64 s[0:1], 0, v1
	s_and_b64 s[0:1], vcc, s[0:1]
	s_nop 0
	v_cndmask_b32_e64 v1, 0, 1, s[0:1]
	v_add_u32_e32 v13, v13, v1
; %bb.1518:
	s_or_b64 exec, exec, s[6:7]
	s_mov_b64 s[0:1], 0
	s_mov_b64 s[6:7], -1
	global_store_byte v[10:11], v13, off
.LBB376_1519:
	s_mov_b64 s[18:19], 0
.LBB376_1520:
	s_and_b64 vcc, exec, s[18:19]
	s_cbranch_vccz .LBB376_1523
; %bb.1521:
	s_cmp_eq_u32 s9, 29
	s_mov_b64 s[0:1], -1
	s_cbranch_scc0 .LBB376_1523
; %bb.1522:
	global_store_dwordx2 v[10:11], v[8:9], off
	s_mov_b64 s[0:1], 0
	s_mov_b64 s[6:7], -1
.LBB376_1523:
	s_mov_b64 s[18:19], 0
.LBB376_1524:
	s_and_b64 vcc, exec, s[18:19]
	s_cbranch_vccz .LBB376_1540
; %bb.1525:
	s_cmp_lt_i32 s9, 27
	s_mov_b64 s[6:7], -1
	s_cbranch_scc1 .LBB376_1531
; %bb.1526:
	s_cmp_gt_i32 s9, 27
	s_cbranch_scc0 .LBB376_1528
; %bb.1527:
	s_mov_b64 s[6:7], 0
	global_store_dword v[10:11], v8, off
.LBB376_1528:
	s_andn2_b64 vcc, exec, s[6:7]
	s_cbranch_vccnz .LBB376_1530
; %bb.1529:
	global_store_short v[10:11], v8, off
.LBB376_1530:
	s_mov_b64 s[6:7], 0
.LBB376_1531:
	s_andn2_b64 vcc, exec, s[6:7]
	s_cbranch_vccnz .LBB376_1539
; %bb.1532:
	v_xor_b32_e32 v12, v8, v9
	v_ffbh_i32_e32 v1, v9
	v_ashrrev_i32_e32 v12, 31, v12
	v_add_u32_e32 v1, -1, v1
	v_add_u32_e32 v12, 32, v12
	v_min_u32_e32 v1, v1, v12
	v_lshlrev_b64 v[12:13], v1, v[8:9]
	v_min_u32_e32 v12, 1, v12
	v_or_b32_e32 v12, v13, v12
	v_cvt_f32_i32_e32 v12, v12
	v_sub_u32_e32 v1, 32, v1
	s_mov_b32 s6, 0x43800000
	v_mov_b32_e32 v13, 0x80
	v_ldexp_f32 v1, v12, v1
	v_and_b32_e32 v12, 0x7fffffff, v1
	v_cmp_gt_u32_e32 vcc, s6, v12
	s_and_saveexec_b64 s[6:7], vcc
	s_cbranch_execz .LBB376_1538
; %bb.1533:
	s_mov_b32 s18, 0x3bffffff
	v_cmp_lt_u32_e32 vcc, s18, v12
	s_mov_b64 s[18:19], 0
                                        ; implicit-def: $vgpr12
	s_and_saveexec_b64 s[20:21], vcc
	s_xor_b64 s[20:21], exec, s[20:21]
	s_cbranch_execz .LBB376_1987
; %bb.1534:
	v_bfe_u32 v12, v1, 20, 1
	s_mov_b32 s23, 0x487ffff
	v_add3_u32 v12, v1, v12, s23
	s_mov_b64 s[18:19], exec
	v_lshrrev_b32_e32 v12, 20, v12
	s_andn2_saveexec_b64 s[20:21], s[20:21]
	s_cbranch_execnz .LBB376_1988
.LBB376_1535:
	s_or_b64 exec, exec, s[20:21]
	v_mov_b32_e32 v13, 0
	s_and_saveexec_b64 s[20:21], s[18:19]
.LBB376_1536:
	v_lshrrev_b32_e32 v1, 24, v1
	s_movk_i32 s18, 0x80
	v_and_or_b32 v13, v1, s18, v12
.LBB376_1537:
	s_or_b64 exec, exec, s[20:21]
.LBB376_1538:
	s_or_b64 exec, exec, s[6:7]
	global_store_byte v[10:11], v13, off
.LBB376_1539:
	s_mov_b64 s[6:7], -1
.LBB376_1540:
	s_mov_b64 s[18:19], 0
.LBB376_1541:
	s_and_b64 vcc, exec, s[18:19]
	s_cbranch_vccz .LBB376_1581
; %bb.1542:
	s_cmp_gt_i32 s9, 22
	s_mov_b64 s[2:3], -1
	s_cbranch_scc0 .LBB376_1574
; %bb.1543:
	s_cmp_lt_i32 s9, 24
	s_cbranch_scc1 .LBB376_1563
; %bb.1544:
	s_cmp_gt_i32 s9, 24
	s_cbranch_scc0 .LBB376_1552
; %bb.1545:
	v_xor_b32_e32 v12, v8, v9
	v_ffbh_i32_e32 v1, v9
	v_ashrrev_i32_e32 v12, 31, v12
	v_add_u32_e32 v1, -1, v1
	v_add_u32_e32 v12, 32, v12
	v_min_u32_e32 v1, v1, v12
	v_lshlrev_b64 v[12:13], v1, v[8:9]
	v_min_u32_e32 v12, 1, v12
	v_or_b32_e32 v12, v13, v12
	v_cvt_f32_i32_e32 v12, v12
	v_sub_u32_e32 v1, 32, v1
	s_mov_b32 s2, 0x47800000
	v_mov_b32_e32 v13, 0x80
	v_ldexp_f32 v1, v12, v1
	v_and_b32_e32 v12, 0x7fffffff, v1
	v_cmp_gt_u32_e32 vcc, s2, v12
	s_and_saveexec_b64 s[2:3], vcc
	s_cbranch_execz .LBB376_1551
; %bb.1546:
	s_mov_b32 s6, 0x37ffffff
	v_cmp_lt_u32_e32 vcc, s6, v12
	s_mov_b64 s[6:7], 0
                                        ; implicit-def: $vgpr12
	s_and_saveexec_b64 s[18:19], vcc
	s_xor_b64 s[18:19], exec, s[18:19]
	s_cbranch_execz .LBB376_1990
; %bb.1547:
	v_bfe_u32 v12, v1, 21, 1
	s_mov_b32 s20, 0x88fffff
	v_add3_u32 v12, v1, v12, s20
	s_mov_b64 s[6:7], exec
	v_lshrrev_b32_e32 v12, 21, v12
	s_andn2_saveexec_b64 s[18:19], s[18:19]
	s_cbranch_execnz .LBB376_1991
.LBB376_1548:
	s_or_b64 exec, exec, s[18:19]
	v_mov_b32_e32 v13, 0
	s_and_saveexec_b64 s[18:19], s[6:7]
.LBB376_1549:
	v_lshrrev_b32_e32 v1, 24, v1
	s_movk_i32 s6, 0x80
	v_and_or_b32 v13, v1, s6, v12
.LBB376_1550:
	s_or_b64 exec, exec, s[18:19]
.LBB376_1551:
	s_or_b64 exec, exec, s[2:3]
	s_mov_b64 s[2:3], 0
	global_store_byte v[10:11], v13, off
.LBB376_1552:
	s_and_b64 vcc, exec, s[2:3]
	s_cbranch_vccz .LBB376_1562
; %bb.1553:
	v_xor_b32_e32 v12, v8, v9
	v_ffbh_i32_e32 v1, v9
	v_ashrrev_i32_e32 v12, 31, v12
	v_add_u32_e32 v1, -1, v1
	v_add_u32_e32 v12, 32, v12
	v_min_u32_e32 v1, v1, v12
	v_lshlrev_b64 v[12:13], v1, v[8:9]
	v_min_u32_e32 v12, 1, v12
	v_or_b32_e32 v12, v13, v12
	v_cvt_f32_i32_e32 v12, v12
	v_sub_u32_e32 v1, 32, v1
	s_mov_b32 s2, 0x43f00000
	v_ldexp_f32 v1, v12, v1
	v_and_b32_e32 v13, 0x7fffffff, v1
	v_cmp_gt_u32_e32 vcc, s2, v13
                                        ; implicit-def: $vgpr12
	s_and_saveexec_b64 s[2:3], vcc
	s_xor_b64 s[2:3], exec, s[2:3]
	s_cbranch_execz .LBB376_1559
; %bb.1554:
	s_mov_b32 s6, 0x3c7fffff
	v_cmp_lt_u32_e32 vcc, s6, v13
                                        ; implicit-def: $vgpr12
	s_and_saveexec_b64 s[6:7], vcc
	s_xor_b64 s[6:7], exec, s[6:7]
; %bb.1555:
	v_bfe_u32 v12, v1, 20, 1
	s_mov_b32 s18, 0x407ffff
	v_add3_u32 v12, v1, v12, s18
	v_lshrrev_b32_e32 v13, 20, v12
	v_and_b32_e32 v12, 0xff00000, v12
	s_mov_b32 s18, 0x7f00000
	v_mov_b32_e32 v14, 0x7e
	v_cmp_ne_u32_e32 vcc, s18, v12
	s_nop 1
	v_cndmask_b32_e32 v12, v14, v13, vcc
; %bb.1556:
	s_andn2_saveexec_b64 s[6:7], s[6:7]
; %bb.1557:
	s_mov_b32 s18, 0x46800000
	v_add_f32_e64 v12, |v1|, s18
; %bb.1558:
	s_or_b64 exec, exec, s[6:7]
                                        ; implicit-def: $vgpr13
.LBB376_1559:
	s_andn2_saveexec_b64 s[2:3], s[2:3]
; %bb.1560:
	s_mov_b32 s6, 0x7f800000
	v_mov_b32_e32 v12, 0x7e
	v_mov_b32_e32 v14, 0x7f
	v_cmp_lt_u32_e32 vcc, s6, v13
	s_nop 1
	v_cndmask_b32_e32 v12, v12, v14, vcc
; %bb.1561:
	s_or_b64 exec, exec, s[2:3]
	v_lshrrev_b32_e32 v1, 24, v1
	s_movk_i32 s2, 0x80
	v_and_or_b32 v1, v1, s2, v12
	global_store_byte v[10:11], v1, off
.LBB376_1562:
	s_mov_b64 s[2:3], 0
.LBB376_1563:
	s_andn2_b64 vcc, exec, s[2:3]
	s_cbranch_vccnz .LBB376_1573
; %bb.1564:
	v_xor_b32_e32 v12, v8, v9
	v_ffbh_i32_e32 v1, v9
	v_ashrrev_i32_e32 v12, 31, v12
	v_add_u32_e32 v1, -1, v1
	v_add_u32_e32 v12, 32, v12
	v_min_u32_e32 v1, v1, v12
	v_lshlrev_b64 v[12:13], v1, v[8:9]
	v_min_u32_e32 v12, 1, v12
	v_or_b32_e32 v12, v13, v12
	v_cvt_f32_i32_e32 v12, v12
	v_sub_u32_e32 v1, 32, v1
	s_mov_b32 s2, 0x47800000
	v_ldexp_f32 v1, v12, v1
	v_and_b32_e32 v13, 0x7fffffff, v1
	v_cmp_gt_u32_e32 vcc, s2, v13
                                        ; implicit-def: $vgpr12
	s_and_saveexec_b64 s[2:3], vcc
	s_xor_b64 s[2:3], exec, s[2:3]
	s_cbranch_execz .LBB376_1570
; %bb.1565:
	s_mov_b32 s6, 0x387fffff
	v_cmp_lt_u32_e32 vcc, s6, v13
                                        ; implicit-def: $vgpr12
	s_and_saveexec_b64 s[6:7], vcc
	s_xor_b64 s[6:7], exec, s[6:7]
; %bb.1566:
	v_bfe_u32 v12, v1, 21, 1
	s_mov_b32 s18, 0x80fffff
	v_add3_u32 v12, v1, v12, s18
	v_lshrrev_b32_e32 v12, 21, v12
; %bb.1567:
	s_andn2_saveexec_b64 s[6:7], s[6:7]
; %bb.1568:
	s_mov_b32 s18, 0x43000000
	v_add_f32_e64 v12, |v1|, s18
; %bb.1569:
	s_or_b64 exec, exec, s[6:7]
                                        ; implicit-def: $vgpr13
.LBB376_1570:
	s_andn2_saveexec_b64 s[2:3], s[2:3]
; %bb.1571:
	s_mov_b32 s6, 0x7f800000
	v_mov_b32_e32 v12, 0x7c
	v_mov_b32_e32 v14, 0x7f
	v_cmp_lt_u32_e32 vcc, s6, v13
	s_nop 1
	v_cndmask_b32_e32 v12, v12, v14, vcc
; %bb.1572:
	s_or_b64 exec, exec, s[2:3]
	v_lshrrev_b32_e32 v1, 24, v1
	s_movk_i32 s2, 0x80
	v_and_or_b32 v1, v1, s2, v12
	global_store_byte v[10:11], v1, off
.LBB376_1573:
	s_mov_b64 s[2:3], 0
	s_mov_b64 s[6:7], -1
.LBB376_1574:
	s_andn2_b64 vcc, exec, s[2:3]
	s_mov_b64 s[2:3], 0
	s_cbranch_vccnz .LBB376_1581
; %bb.1575:
	s_cmp_gt_i32 s9, 14
	s_mov_b64 s[18:19], -1
	s_cbranch_scc0 .LBB376_1579
; %bb.1576:
	s_cmp_eq_u32 s9, 15
	s_mov_b64 s[0:1], -1
	s_cbranch_scc0 .LBB376_1578
; %bb.1577:
	v_xor_b32_e32 v12, v8, v9
	v_ffbh_i32_e32 v1, v9
	v_ashrrev_i32_e32 v12, 31, v12
	v_add_u32_e32 v1, -1, v1
	v_add_u32_e32 v12, 32, v12
	v_min_u32_e32 v1, v1, v12
	v_lshlrev_b64 v[12:13], v1, v[8:9]
	v_min_u32_e32 v12, 1, v12
	v_or_b32_e32 v12, v13, v12
	v_cvt_f32_i32_e32 v12, v12
	v_sub_u32_e32 v1, 32, v1
	s_movk_i32 s0, 0x7fff
	s_mov_b64 s[6:7], -1
	v_ldexp_f32 v1, v12, v1
	v_bfe_u32 v12, v1, 16, 1
	v_add3_u32 v1, v1, v12, s0
	global_store_short_d16_hi v[10:11], v1, off
	s_mov_b64 s[0:1], 0
.LBB376_1578:
	s_mov_b64 s[18:19], 0
.LBB376_1579:
	s_and_b64 vcc, exec, s[18:19]
	s_cbranch_vccz .LBB376_1581
; %bb.1580:
	s_cmp_lg_u32 s9, 11
	s_mov_b64 s[2:3], -1
	s_cselect_b64 s[0:1], -1, 0
.LBB376_1581:
	s_and_b64 vcc, exec, s[0:1]
	s_cbranch_vccnz .LBB376_1989
; %bb.1582:
	s_andn2_b64 vcc, exec, s[2:3]
	s_cbranch_vccnz .LBB376_1584
.LBB376_1583:
	v_cmp_ne_u64_e32 vcc, 0, v[8:9]
	s_mov_b64 s[6:7], -1
	s_nop 0
	v_cndmask_b32_e64 v1, 0, 1, vcc
	global_store_byte v[10:11], v1, off
.LBB376_1584:
	s_mov_b64 s[0:1], 0
	s_branch .LBB376_1586
.LBB376_1585:
	s_mov_b64 s[0:1], -1
	s_mov_b64 s[6:7], 0
.LBB376_1586:
	s_and_b64 vcc, exec, s[0:1]
	s_cbranch_vccz .LBB376_1625
; %bb.1587:
	s_and_b32 s2, 0xffff, s22
	s_cmp_lt_i32 s2, 5
	s_mov_b64 s[0:1], -1
	s_cbranch_scc1 .LBB376_1608
; %bb.1588:
	s_cmp_lt_i32 s2, 8
	s_cbranch_scc1 .LBB376_1598
; %bb.1589:
	s_cmp_lt_i32 s2, 9
	s_cbranch_scc1 .LBB376_1595
; %bb.1590:
	s_cmp_gt_i32 s2, 9
	s_cbranch_scc0 .LBB376_1592
; %bb.1591:
	v_cvt_f64_i32_e32 v[12:13], v9
	v_ldexp_f64 v[12:13], v[12:13], 32
	v_cvt_f64_u32_e32 v[14:15], v8
	v_add_f64 v[12:13], v[12:13], v[14:15]
	v_mov_b32_e32 v14, 0
	v_mov_b32_e32 v15, v14
	global_store_dwordx4 v[10:11], v[12:15], off
	s_mov_b64 s[0:1], 0
.LBB376_1592:
	s_andn2_b64 vcc, exec, s[0:1]
	s_cbranch_vccnz .LBB376_1594
; %bb.1593:
	v_xor_b32_e32 v12, v8, v9
	v_ffbh_i32_e32 v1, v9
	v_ashrrev_i32_e32 v12, 31, v12
	v_add_u32_e32 v1, -1, v1
	v_add_u32_e32 v12, 32, v12
	v_min_u32_e32 v1, v1, v12
	v_lshlrev_b64 v[12:13], v1, v[8:9]
	v_min_u32_e32 v12, 1, v12
	v_or_b32_e32 v12, v13, v12
	v_cvt_f32_i32_e32 v12, v12
	v_sub_u32_e32 v1, 32, v1
	v_mov_b32_e32 v13, 0
	v_ldexp_f32 v12, v12, v1
	global_store_dwordx2 v[10:11], v[12:13], off
.LBB376_1594:
	s_mov_b64 s[0:1], 0
.LBB376_1595:
	s_andn2_b64 vcc, exec, s[0:1]
	s_cbranch_vccnz .LBB376_1597
; %bb.1596:
	v_xor_b32_e32 v12, v8, v9
	v_ffbh_i32_e32 v1, v9
	v_ashrrev_i32_e32 v12, 31, v12
	v_add_u32_e32 v1, -1, v1
	v_add_u32_e32 v12, 32, v12
	v_min_u32_e32 v1, v1, v12
	v_lshlrev_b64 v[12:13], v1, v[8:9]
	v_min_u32_e32 v12, 1, v12
	v_or_b32_e32 v12, v13, v12
	v_cvt_f32_i32_e32 v12, v12
	v_sub_u32_e32 v1, 32, v1
	v_ldexp_f32 v1, v12, v1
	v_cvt_f16_f32_e32 v1, v1
	global_store_dword v[10:11], v1, off
.LBB376_1597:
	s_mov_b64 s[0:1], 0
.LBB376_1598:
	s_andn2_b64 vcc, exec, s[0:1]
	s_cbranch_vccnz .LBB376_1607
; %bb.1599:
	s_cmp_lt_i32 s2, 6
	s_mov_b64 s[0:1], -1
	s_cbranch_scc1 .LBB376_1605
; %bb.1600:
	s_cmp_gt_i32 s2, 6
	s_cbranch_scc0 .LBB376_1602
; %bb.1601:
	v_cvt_f64_i32_e32 v[12:13], v9
	v_ldexp_f64 v[12:13], v[12:13], 32
	v_cvt_f64_u32_e32 v[14:15], v8
	v_add_f64 v[12:13], v[12:13], v[14:15]
	global_store_dwordx2 v[10:11], v[12:13], off
	s_mov_b64 s[0:1], 0
.LBB376_1602:
	s_andn2_b64 vcc, exec, s[0:1]
	s_cbranch_vccnz .LBB376_1604
; %bb.1603:
	v_xor_b32_e32 v12, v8, v9
	v_ffbh_i32_e32 v1, v9
	v_ashrrev_i32_e32 v12, 31, v12
	v_add_u32_e32 v1, -1, v1
	v_add_u32_e32 v12, 32, v12
	v_min_u32_e32 v1, v1, v12
	v_lshlrev_b64 v[12:13], v1, v[8:9]
	v_min_u32_e32 v12, 1, v12
	v_or_b32_e32 v12, v13, v12
	v_cvt_f32_i32_e32 v12, v12
	v_sub_u32_e32 v1, 32, v1
	v_ldexp_f32 v1, v12, v1
	global_store_dword v[10:11], v1, off
.LBB376_1604:
	s_mov_b64 s[0:1], 0
.LBB376_1605:
	s_andn2_b64 vcc, exec, s[0:1]
	s_cbranch_vccnz .LBB376_1607
; %bb.1606:
	v_xor_b32_e32 v12, v8, v9
	v_ffbh_i32_e32 v1, v9
	v_ashrrev_i32_e32 v12, 31, v12
	v_add_u32_e32 v1, -1, v1
	v_add_u32_e32 v12, 32, v12
	v_min_u32_e32 v1, v1, v12
	v_lshlrev_b64 v[12:13], v1, v[8:9]
	v_min_u32_e32 v12, 1, v12
	v_or_b32_e32 v12, v13, v12
	v_cvt_f32_i32_e32 v12, v12
	v_sub_u32_e32 v1, 32, v1
	v_ldexp_f32 v1, v12, v1
	v_cvt_f16_f32_e32 v1, v1
	global_store_short v[10:11], v1, off
.LBB376_1607:
	s_mov_b64 s[0:1], 0
.LBB376_1608:
	s_andn2_b64 vcc, exec, s[0:1]
	s_cbranch_vccnz .LBB376_1624
; %bb.1609:
	s_cmp_lt_i32 s2, 2
	s_mov_b64 s[0:1], -1
	s_cbranch_scc1 .LBB376_1619
; %bb.1610:
	s_cmp_lt_i32 s2, 3
	s_cbranch_scc1 .LBB376_1616
; %bb.1611:
	s_cmp_gt_i32 s2, 3
	s_cbranch_scc0 .LBB376_1613
; %bb.1612:
	global_store_dwordx2 v[10:11], v[8:9], off
	s_mov_b64 s[0:1], 0
.LBB376_1613:
	s_andn2_b64 vcc, exec, s[0:1]
	s_cbranch_vccnz .LBB376_1615
; %bb.1614:
	global_store_dword v[10:11], v8, off
.LBB376_1615:
	s_mov_b64 s[0:1], 0
.LBB376_1616:
	s_andn2_b64 vcc, exec, s[0:1]
	s_cbranch_vccnz .LBB376_1618
; %bb.1617:
	global_store_short v[10:11], v8, off
.LBB376_1618:
	s_mov_b64 s[0:1], 0
.LBB376_1619:
	s_andn2_b64 vcc, exec, s[0:1]
	s_cbranch_vccnz .LBB376_1624
; %bb.1620:
	s_cmp_gt_i32 s2, 0
	s_mov_b64 s[0:1], -1
	s_cbranch_scc0 .LBB376_1622
; %bb.1621:
	global_store_byte v[10:11], v8, off
	s_mov_b64 s[0:1], 0
.LBB376_1622:
	s_andn2_b64 vcc, exec, s[0:1]
	s_cbranch_vccnz .LBB376_1624
; %bb.1623:
	global_store_byte v[10:11], v8, off
.LBB376_1624:
	s_mov_b64 s[6:7], -1
.LBB376_1625:
	s_andn2_b64 vcc, exec, s[6:7]
	s_cbranch_vccnz .LBB376_1940
; %bb.1626:
	v_mov_b32_e32 v1, s11
	v_cmp_lt_i64_e32 vcc, s[10:11], v[2:3]
	s_lshl_b32 s20, s8, 7
	v_add_u32_e32 v0, s20, v0
	v_cndmask_b32_e32 v3, v1, v3, vcc
	v_mov_b32_e32 v1, s10
	v_cndmask_b32_e32 v2, v1, v2, vcc
	v_ashrrev_i32_e32 v1, 31, v0
	s_cmp_lt_i32 s22, 11
	v_lshl_add_u64 v[8:9], s[4:5], 0, v[0:1]
	s_cbranch_scc1 .LBB376_1704
; %bb.1627:
	s_and_b32 s21, 0xffff, s22
	s_mov_b64 s[8:9], -1
	s_mov_b64 s[2:3], 0
	s_cmp_gt_i32 s21, 25
	s_mov_b64 s[6:7], 0
	s_mov_b64 s[0:1], 0
	s_cbranch_scc0 .LBB376_1660
; %bb.1628:
	s_cmp_gt_i32 s21, 28
	s_cbranch_scc0 .LBB376_1643
; %bb.1629:
	s_cmp_gt_i32 s21, 43
	;; [unrolled: 3-line block ×3, first 2 shown]
	s_cbranch_scc0 .LBB376_1633
; %bb.1631:
	s_mov_b64 s[0:1], -1
	s_mov_b64 s[8:9], 0
	s_cmp_eq_u32 s21, 46
	s_cbranch_scc0 .LBB376_1633
; %bb.1632:
	v_xor_b32_e32 v10, v2, v3
	v_ffbh_i32_e32 v1, v3
	v_ashrrev_i32_e32 v10, 31, v10
	v_add_u32_e32 v1, -1, v1
	v_add_u32_e32 v10, 32, v10
	v_min_u32_e32 v1, v1, v10
	v_lshlrev_b64 v[10:11], v1, v[2:3]
	v_min_u32_e32 v10, 1, v10
	v_or_b32_e32 v10, v11, v10
	v_cvt_f32_i32_e32 v10, v10
	v_sub_u32_e32 v1, 32, v1
	s_movk_i32 s0, 0x7fff
	s_mov_b64 s[6:7], -1
	v_ldexp_f32 v1, v10, v1
	v_bfe_u32 v10, v1, 16, 1
	v_add3_u32 v1, v1, v10, s0
	v_lshrrev_b32_e32 v1, 16, v1
	global_store_dword v[8:9], v1, off
	s_mov_b64 s[0:1], 0
.LBB376_1633:
	s_and_b64 vcc, exec, s[8:9]
	s_cbranch_vccz .LBB376_1638
; %bb.1634:
	s_cmp_eq_u32 s21, 44
	s_mov_b64 s[0:1], -1
	s_cbranch_scc0 .LBB376_1638
; %bb.1635:
	v_xor_b32_e32 v10, v2, v3
	v_ffbh_i32_e32 v1, v3
	v_ashrrev_i32_e32 v10, 31, v10
	v_add_u32_e32 v1, -1, v1
	v_add_u32_e32 v10, 32, v10
	v_min_u32_e32 v1, v1, v10
	v_lshlrev_b64 v[10:11], v1, v[2:3]
	v_min_u32_e32 v10, 1, v10
	v_or_b32_e32 v10, v11, v10
	v_cvt_f32_i32_e32 v10, v10
	v_sub_u32_e32 v1, 32, v1
	s_movk_i32 s0, 0xff
	v_mov_b32_e32 v11, 0xff
	v_ldexp_f32 v1, v10, v1
	v_bfe_u32 v10, v1, 23, 8
	v_cmp_ne_u32_e32 vcc, s0, v10
	s_and_saveexec_b64 s[6:7], vcc
; %bb.1636:
	s_mov_b32 s0, 0x3fffff
	v_lshrrev_b32_e32 v11, 23, v1
	v_and_b32_e32 v12, 0x400000, v1
	v_and_or_b32 v1, v1, s0, v10
	v_cmp_ne_u32_e32 vcc, 0, v12
	v_cmp_ne_u32_e64 s[0:1], 0, v1
	s_and_b64 s[0:1], vcc, s[0:1]
	s_nop 0
	v_cndmask_b32_e64 v1, 0, 1, s[0:1]
	v_add_u32_e32 v11, v11, v1
; %bb.1637:
	s_or_b64 exec, exec, s[6:7]
	s_mov_b64 s[0:1], 0
	s_mov_b64 s[6:7], -1
	global_store_byte v[8:9], v11, off
.LBB376_1638:
	s_mov_b64 s[8:9], 0
.LBB376_1639:
	s_and_b64 vcc, exec, s[8:9]
	s_cbranch_vccz .LBB376_1642
; %bb.1640:
	s_cmp_eq_u32 s21, 29
	s_mov_b64 s[0:1], -1
	s_cbranch_scc0 .LBB376_1642
; %bb.1641:
	global_store_dwordx2 v[8:9], v[2:3], off
	s_mov_b64 s[0:1], 0
	s_mov_b64 s[6:7], -1
.LBB376_1642:
	s_mov_b64 s[8:9], 0
.LBB376_1643:
	s_and_b64 vcc, exec, s[8:9]
	s_cbranch_vccz .LBB376_1659
; %bb.1644:
	s_cmp_lt_i32 s21, 27
	s_mov_b64 s[6:7], -1
	s_cbranch_scc1 .LBB376_1650
; %bb.1645:
	s_cmp_gt_i32 s21, 27
	s_cbranch_scc0 .LBB376_1647
; %bb.1646:
	s_mov_b64 s[6:7], 0
	global_store_dword v[8:9], v2, off
.LBB376_1647:
	s_andn2_b64 vcc, exec, s[6:7]
	s_cbranch_vccnz .LBB376_1649
; %bb.1648:
	global_store_short v[8:9], v2, off
.LBB376_1649:
	s_mov_b64 s[6:7], 0
.LBB376_1650:
	s_andn2_b64 vcc, exec, s[6:7]
	s_cbranch_vccnz .LBB376_1658
; %bb.1651:
	v_xor_b32_e32 v10, v2, v3
	v_ffbh_i32_e32 v1, v3
	v_ashrrev_i32_e32 v10, 31, v10
	v_add_u32_e32 v1, -1, v1
	v_add_u32_e32 v10, 32, v10
	v_min_u32_e32 v1, v1, v10
	v_lshlrev_b64 v[10:11], v1, v[2:3]
	v_min_u32_e32 v10, 1, v10
	v_or_b32_e32 v10, v11, v10
	v_cvt_f32_i32_e32 v10, v10
	v_sub_u32_e32 v1, 32, v1
	s_mov_b32 s6, 0x43800000
	v_mov_b32_e32 v11, 0x80
	v_ldexp_f32 v1, v10, v1
	v_and_b32_e32 v10, 0x7fffffff, v1
	v_cmp_gt_u32_e32 vcc, s6, v10
	s_and_saveexec_b64 s[6:7], vcc
	s_cbranch_execz .LBB376_1657
; %bb.1652:
	s_mov_b32 s8, 0x3bffffff
	v_cmp_lt_u32_e32 vcc, s8, v10
	s_mov_b64 s[8:9], 0
                                        ; implicit-def: $vgpr10
	s_and_saveexec_b64 s[18:19], vcc
	s_xor_b64 s[18:19], exec, s[18:19]
	s_cbranch_execz .LBB376_1992
; %bb.1653:
	v_bfe_u32 v10, v1, 20, 1
	s_mov_b32 s23, 0x487ffff
	v_add3_u32 v10, v1, v10, s23
	s_mov_b64 s[8:9], exec
	v_lshrrev_b32_e32 v10, 20, v10
	s_andn2_saveexec_b64 s[18:19], s[18:19]
	s_cbranch_execnz .LBB376_1993
.LBB376_1654:
	s_or_b64 exec, exec, s[18:19]
	v_mov_b32_e32 v11, 0
	s_and_saveexec_b64 s[18:19], s[8:9]
.LBB376_1655:
	v_lshrrev_b32_e32 v1, 24, v1
	s_movk_i32 s8, 0x80
	v_and_or_b32 v11, v1, s8, v10
.LBB376_1656:
	s_or_b64 exec, exec, s[18:19]
.LBB376_1657:
	s_or_b64 exec, exec, s[6:7]
	global_store_byte v[8:9], v11, off
.LBB376_1658:
	s_mov_b64 s[6:7], -1
.LBB376_1659:
	s_mov_b64 s[8:9], 0
.LBB376_1660:
	s_and_b64 vcc, exec, s[8:9]
	s_cbranch_vccz .LBB376_1700
; %bb.1661:
	s_cmp_gt_i32 s21, 22
	s_mov_b64 s[2:3], -1
	s_cbranch_scc0 .LBB376_1693
; %bb.1662:
	s_cmp_lt_i32 s21, 24
	s_cbranch_scc1 .LBB376_1682
; %bb.1663:
	s_cmp_gt_i32 s21, 24
	s_cbranch_scc0 .LBB376_1671
; %bb.1664:
	v_xor_b32_e32 v10, v2, v3
	v_ffbh_i32_e32 v1, v3
	v_ashrrev_i32_e32 v10, 31, v10
	v_add_u32_e32 v1, -1, v1
	v_add_u32_e32 v10, 32, v10
	v_min_u32_e32 v1, v1, v10
	v_lshlrev_b64 v[10:11], v1, v[2:3]
	v_min_u32_e32 v10, 1, v10
	v_or_b32_e32 v10, v11, v10
	v_cvt_f32_i32_e32 v10, v10
	v_sub_u32_e32 v1, 32, v1
	s_mov_b32 s2, 0x47800000
	v_mov_b32_e32 v11, 0x80
	v_ldexp_f32 v1, v10, v1
	v_and_b32_e32 v10, 0x7fffffff, v1
	v_cmp_gt_u32_e32 vcc, s2, v10
	s_and_saveexec_b64 s[2:3], vcc
	s_cbranch_execz .LBB376_1670
; %bb.1665:
	s_mov_b32 s6, 0x37ffffff
	v_cmp_lt_u32_e32 vcc, s6, v10
	s_mov_b64 s[6:7], 0
                                        ; implicit-def: $vgpr10
	s_and_saveexec_b64 s[8:9], vcc
	s_xor_b64 s[8:9], exec, s[8:9]
	s_cbranch_execz .LBB376_1995
; %bb.1666:
	v_bfe_u32 v10, v1, 21, 1
	s_mov_b32 s18, 0x88fffff
	v_add3_u32 v10, v1, v10, s18
	s_mov_b64 s[6:7], exec
	v_lshrrev_b32_e32 v10, 21, v10
	s_andn2_saveexec_b64 s[8:9], s[8:9]
	s_cbranch_execnz .LBB376_1996
.LBB376_1667:
	s_or_b64 exec, exec, s[8:9]
	v_mov_b32_e32 v11, 0
	s_and_saveexec_b64 s[8:9], s[6:7]
.LBB376_1668:
	v_lshrrev_b32_e32 v1, 24, v1
	s_movk_i32 s6, 0x80
	v_and_or_b32 v11, v1, s6, v10
.LBB376_1669:
	s_or_b64 exec, exec, s[8:9]
.LBB376_1670:
	s_or_b64 exec, exec, s[2:3]
	s_mov_b64 s[2:3], 0
	global_store_byte v[8:9], v11, off
.LBB376_1671:
	s_and_b64 vcc, exec, s[2:3]
	s_cbranch_vccz .LBB376_1681
; %bb.1672:
	v_xor_b32_e32 v10, v2, v3
	v_ffbh_i32_e32 v1, v3
	v_ashrrev_i32_e32 v10, 31, v10
	v_add_u32_e32 v1, -1, v1
	v_add_u32_e32 v10, 32, v10
	v_min_u32_e32 v1, v1, v10
	v_lshlrev_b64 v[10:11], v1, v[2:3]
	v_min_u32_e32 v10, 1, v10
	v_or_b32_e32 v10, v11, v10
	v_cvt_f32_i32_e32 v10, v10
	v_sub_u32_e32 v1, 32, v1
	s_mov_b32 s2, 0x43f00000
	v_ldexp_f32 v1, v10, v1
	v_and_b32_e32 v11, 0x7fffffff, v1
	v_cmp_gt_u32_e32 vcc, s2, v11
                                        ; implicit-def: $vgpr10
	s_and_saveexec_b64 s[2:3], vcc
	s_xor_b64 s[2:3], exec, s[2:3]
	s_cbranch_execz .LBB376_1678
; %bb.1673:
	s_mov_b32 s6, 0x3c7fffff
	v_cmp_lt_u32_e32 vcc, s6, v11
                                        ; implicit-def: $vgpr10
	s_and_saveexec_b64 s[6:7], vcc
	s_xor_b64 s[6:7], exec, s[6:7]
; %bb.1674:
	v_bfe_u32 v10, v1, 20, 1
	s_mov_b32 s8, 0x407ffff
	v_add3_u32 v10, v1, v10, s8
	v_lshrrev_b32_e32 v11, 20, v10
	v_and_b32_e32 v10, 0xff00000, v10
	s_mov_b32 s8, 0x7f00000
	v_mov_b32_e32 v12, 0x7e
	v_cmp_ne_u32_e32 vcc, s8, v10
	s_nop 1
	v_cndmask_b32_e32 v10, v12, v11, vcc
; %bb.1675:
	s_andn2_saveexec_b64 s[6:7], s[6:7]
; %bb.1676:
	s_mov_b32 s8, 0x46800000
	v_add_f32_e64 v10, |v1|, s8
; %bb.1677:
	s_or_b64 exec, exec, s[6:7]
                                        ; implicit-def: $vgpr11
.LBB376_1678:
	s_andn2_saveexec_b64 s[2:3], s[2:3]
; %bb.1679:
	s_mov_b32 s6, 0x7f800000
	v_mov_b32_e32 v10, 0x7e
	v_mov_b32_e32 v12, 0x7f
	v_cmp_lt_u32_e32 vcc, s6, v11
	s_nop 1
	v_cndmask_b32_e32 v10, v10, v12, vcc
; %bb.1680:
	s_or_b64 exec, exec, s[2:3]
	v_lshrrev_b32_e32 v1, 24, v1
	s_movk_i32 s2, 0x80
	v_and_or_b32 v1, v1, s2, v10
	global_store_byte v[8:9], v1, off
.LBB376_1681:
	s_mov_b64 s[2:3], 0
.LBB376_1682:
	s_andn2_b64 vcc, exec, s[2:3]
	s_cbranch_vccnz .LBB376_1692
; %bb.1683:
	v_xor_b32_e32 v10, v2, v3
	v_ffbh_i32_e32 v1, v3
	v_ashrrev_i32_e32 v10, 31, v10
	v_add_u32_e32 v1, -1, v1
	v_add_u32_e32 v10, 32, v10
	v_min_u32_e32 v1, v1, v10
	v_lshlrev_b64 v[10:11], v1, v[2:3]
	v_min_u32_e32 v10, 1, v10
	v_or_b32_e32 v10, v11, v10
	v_cvt_f32_i32_e32 v10, v10
	v_sub_u32_e32 v1, 32, v1
	s_mov_b32 s2, 0x47800000
	v_ldexp_f32 v1, v10, v1
	v_and_b32_e32 v11, 0x7fffffff, v1
	v_cmp_gt_u32_e32 vcc, s2, v11
                                        ; implicit-def: $vgpr10
	s_and_saveexec_b64 s[2:3], vcc
	s_xor_b64 s[2:3], exec, s[2:3]
	s_cbranch_execz .LBB376_1689
; %bb.1684:
	s_mov_b32 s6, 0x387fffff
	v_cmp_lt_u32_e32 vcc, s6, v11
                                        ; implicit-def: $vgpr10
	s_and_saveexec_b64 s[6:7], vcc
	s_xor_b64 s[6:7], exec, s[6:7]
; %bb.1685:
	v_bfe_u32 v10, v1, 21, 1
	s_mov_b32 s8, 0x80fffff
	v_add3_u32 v10, v1, v10, s8
	v_lshrrev_b32_e32 v10, 21, v10
; %bb.1686:
	s_andn2_saveexec_b64 s[6:7], s[6:7]
; %bb.1687:
	s_mov_b32 s8, 0x43000000
	v_add_f32_e64 v10, |v1|, s8
; %bb.1688:
	s_or_b64 exec, exec, s[6:7]
                                        ; implicit-def: $vgpr11
.LBB376_1689:
	s_andn2_saveexec_b64 s[2:3], s[2:3]
; %bb.1690:
	s_mov_b32 s6, 0x7f800000
	v_mov_b32_e32 v10, 0x7c
	v_mov_b32_e32 v12, 0x7f
	v_cmp_lt_u32_e32 vcc, s6, v11
	s_nop 1
	v_cndmask_b32_e32 v10, v10, v12, vcc
; %bb.1691:
	s_or_b64 exec, exec, s[2:3]
	v_lshrrev_b32_e32 v1, 24, v1
	s_movk_i32 s2, 0x80
	v_and_or_b32 v1, v1, s2, v10
	global_store_byte v[8:9], v1, off
.LBB376_1692:
	s_mov_b64 s[2:3], 0
	s_mov_b64 s[6:7], -1
.LBB376_1693:
	s_andn2_b64 vcc, exec, s[2:3]
	s_mov_b64 s[2:3], 0
	s_cbranch_vccnz .LBB376_1700
; %bb.1694:
	s_cmp_gt_i32 s21, 14
	s_mov_b64 s[8:9], -1
	s_cbranch_scc0 .LBB376_1698
; %bb.1695:
	s_cmp_eq_u32 s21, 15
	s_mov_b64 s[0:1], -1
	s_cbranch_scc0 .LBB376_1697
; %bb.1696:
	v_xor_b32_e32 v10, v2, v3
	v_ffbh_i32_e32 v1, v3
	v_ashrrev_i32_e32 v10, 31, v10
	v_add_u32_e32 v1, -1, v1
	v_add_u32_e32 v10, 32, v10
	v_min_u32_e32 v1, v1, v10
	v_lshlrev_b64 v[10:11], v1, v[2:3]
	v_min_u32_e32 v10, 1, v10
	v_or_b32_e32 v10, v11, v10
	v_cvt_f32_i32_e32 v10, v10
	v_sub_u32_e32 v1, 32, v1
	s_movk_i32 s0, 0x7fff
	s_mov_b64 s[6:7], -1
	v_ldexp_f32 v1, v10, v1
	v_bfe_u32 v10, v1, 16, 1
	v_add3_u32 v1, v1, v10, s0
	global_store_short_d16_hi v[8:9], v1, off
	s_mov_b64 s[0:1], 0
.LBB376_1697:
	s_mov_b64 s[8:9], 0
.LBB376_1698:
	s_and_b64 vcc, exec, s[8:9]
	s_cbranch_vccz .LBB376_1700
; %bb.1699:
	s_cmp_lg_u32 s21, 11
	s_mov_b64 s[2:3], -1
	s_cselect_b64 s[0:1], -1, 0
.LBB376_1700:
	s_and_b64 vcc, exec, s[0:1]
	s_cbranch_vccnz .LBB376_1994
; %bb.1701:
	s_andn2_b64 vcc, exec, s[2:3]
	s_cbranch_vccnz .LBB376_1703
.LBB376_1702:
	v_cmp_ne_u64_e32 vcc, 0, v[2:3]
	s_mov_b64 s[6:7], -1
	s_nop 0
	v_cndmask_b32_e64 v1, 0, 1, vcc
	global_store_byte v[8:9], v1, off
.LBB376_1703:
	s_mov_b64 s[0:1], 0
	s_branch .LBB376_1705
.LBB376_1704:
	s_mov_b64 s[0:1], -1
	s_mov_b64 s[6:7], 0
.LBB376_1705:
	s_and_b64 vcc, exec, s[0:1]
	s_cbranch_vccz .LBB376_1744
; %bb.1706:
	s_and_b32 s2, 0xffff, s22
	s_cmp_lt_i32 s2, 5
	s_mov_b64 s[0:1], -1
	s_cbranch_scc1 .LBB376_1727
; %bb.1707:
	s_cmp_lt_i32 s2, 8
	s_cbranch_scc1 .LBB376_1717
; %bb.1708:
	s_cmp_lt_i32 s2, 9
	s_cbranch_scc1 .LBB376_1714
; %bb.1709:
	s_cmp_gt_i32 s2, 9
	s_cbranch_scc0 .LBB376_1711
; %bb.1710:
	v_cvt_f64_i32_e32 v[10:11], v3
	v_ldexp_f64 v[10:11], v[10:11], 32
	v_cvt_f64_u32_e32 v[12:13], v2
	v_add_f64 v[10:11], v[10:11], v[12:13]
	v_mov_b32_e32 v12, 0
	v_mov_b32_e32 v13, v12
	global_store_dwordx4 v[8:9], v[10:13], off
	s_mov_b64 s[0:1], 0
.LBB376_1711:
	s_andn2_b64 vcc, exec, s[0:1]
	s_cbranch_vccnz .LBB376_1713
; %bb.1712:
	v_xor_b32_e32 v10, v2, v3
	v_ffbh_i32_e32 v1, v3
	v_ashrrev_i32_e32 v10, 31, v10
	v_add_u32_e32 v1, -1, v1
	v_add_u32_e32 v10, 32, v10
	v_min_u32_e32 v1, v1, v10
	v_lshlrev_b64 v[10:11], v1, v[2:3]
	v_min_u32_e32 v10, 1, v10
	v_or_b32_e32 v10, v11, v10
	v_cvt_f32_i32_e32 v10, v10
	v_sub_u32_e32 v1, 32, v1
	v_mov_b32_e32 v11, 0
	v_ldexp_f32 v10, v10, v1
	global_store_dwordx2 v[8:9], v[10:11], off
.LBB376_1713:
	s_mov_b64 s[0:1], 0
.LBB376_1714:
	s_andn2_b64 vcc, exec, s[0:1]
	s_cbranch_vccnz .LBB376_1716
; %bb.1715:
	v_xor_b32_e32 v10, v2, v3
	v_ffbh_i32_e32 v1, v3
	v_ashrrev_i32_e32 v10, 31, v10
	v_add_u32_e32 v1, -1, v1
	v_add_u32_e32 v10, 32, v10
	v_min_u32_e32 v1, v1, v10
	v_lshlrev_b64 v[10:11], v1, v[2:3]
	v_min_u32_e32 v10, 1, v10
	v_or_b32_e32 v10, v11, v10
	v_cvt_f32_i32_e32 v10, v10
	v_sub_u32_e32 v1, 32, v1
	v_ldexp_f32 v1, v10, v1
	v_cvt_f16_f32_e32 v1, v1
	global_store_dword v[8:9], v1, off
.LBB376_1716:
	s_mov_b64 s[0:1], 0
.LBB376_1717:
	s_andn2_b64 vcc, exec, s[0:1]
	s_cbranch_vccnz .LBB376_1726
; %bb.1718:
	s_cmp_lt_i32 s2, 6
	s_mov_b64 s[0:1], -1
	s_cbranch_scc1 .LBB376_1724
; %bb.1719:
	s_cmp_gt_i32 s2, 6
	s_cbranch_scc0 .LBB376_1721
; %bb.1720:
	v_cvt_f64_i32_e32 v[10:11], v3
	v_ldexp_f64 v[10:11], v[10:11], 32
	v_cvt_f64_u32_e32 v[12:13], v2
	v_add_f64 v[10:11], v[10:11], v[12:13]
	global_store_dwordx2 v[8:9], v[10:11], off
	s_mov_b64 s[0:1], 0
.LBB376_1721:
	s_andn2_b64 vcc, exec, s[0:1]
	s_cbranch_vccnz .LBB376_1723
; %bb.1722:
	v_xor_b32_e32 v10, v2, v3
	v_ffbh_i32_e32 v1, v3
	v_ashrrev_i32_e32 v10, 31, v10
	v_add_u32_e32 v1, -1, v1
	v_add_u32_e32 v10, 32, v10
	v_min_u32_e32 v1, v1, v10
	v_lshlrev_b64 v[10:11], v1, v[2:3]
	v_min_u32_e32 v10, 1, v10
	v_or_b32_e32 v10, v11, v10
	v_cvt_f32_i32_e32 v10, v10
	v_sub_u32_e32 v1, 32, v1
	v_ldexp_f32 v1, v10, v1
	global_store_dword v[8:9], v1, off
.LBB376_1723:
	s_mov_b64 s[0:1], 0
.LBB376_1724:
	s_andn2_b64 vcc, exec, s[0:1]
	s_cbranch_vccnz .LBB376_1726
; %bb.1725:
	v_xor_b32_e32 v10, v2, v3
	v_ffbh_i32_e32 v1, v3
	v_ashrrev_i32_e32 v10, 31, v10
	v_add_u32_e32 v1, -1, v1
	v_add_u32_e32 v10, 32, v10
	v_min_u32_e32 v1, v1, v10
	v_lshlrev_b64 v[10:11], v1, v[2:3]
	v_min_u32_e32 v10, 1, v10
	v_or_b32_e32 v10, v11, v10
	v_cvt_f32_i32_e32 v10, v10
	v_sub_u32_e32 v1, 32, v1
	v_ldexp_f32 v1, v10, v1
	v_cvt_f16_f32_e32 v1, v1
	global_store_short v[8:9], v1, off
.LBB376_1726:
	s_mov_b64 s[0:1], 0
.LBB376_1727:
	s_andn2_b64 vcc, exec, s[0:1]
	s_cbranch_vccnz .LBB376_1743
; %bb.1728:
	s_cmp_lt_i32 s2, 2
	s_mov_b64 s[0:1], -1
	s_cbranch_scc1 .LBB376_1738
; %bb.1729:
	s_cmp_lt_i32 s2, 3
	s_cbranch_scc1 .LBB376_1735
; %bb.1730:
	s_cmp_gt_i32 s2, 3
	s_cbranch_scc0 .LBB376_1732
; %bb.1731:
	global_store_dwordx2 v[8:9], v[2:3], off
	s_mov_b64 s[0:1], 0
.LBB376_1732:
	s_andn2_b64 vcc, exec, s[0:1]
	s_cbranch_vccnz .LBB376_1734
; %bb.1733:
	global_store_dword v[8:9], v2, off
.LBB376_1734:
	s_mov_b64 s[0:1], 0
.LBB376_1735:
	s_andn2_b64 vcc, exec, s[0:1]
	s_cbranch_vccnz .LBB376_1737
; %bb.1736:
	global_store_short v[8:9], v2, off
.LBB376_1737:
	s_mov_b64 s[0:1], 0
.LBB376_1738:
	s_andn2_b64 vcc, exec, s[0:1]
	s_cbranch_vccnz .LBB376_1743
; %bb.1739:
	s_cmp_gt_i32 s2, 0
	s_mov_b64 s[0:1], -1
	s_cbranch_scc0 .LBB376_1741
; %bb.1740:
	global_store_byte v[8:9], v2, off
	s_mov_b64 s[0:1], 0
.LBB376_1741:
	s_andn2_b64 vcc, exec, s[0:1]
	s_cbranch_vccnz .LBB376_1743
; %bb.1742:
	global_store_byte v[8:9], v2, off
.LBB376_1743:
	s_mov_b64 s[6:7], -1
.LBB376_1744:
	s_andn2_b64 vcc, exec, s[6:7]
	s_cbranch_vccnz .LBB376_1940
; %bb.1745:
	v_mov_b32_e32 v1, s11
	v_cmp_lt_i64_e32 vcc, s[10:11], v[4:5]
	v_add_u32_e32 v2, s20, v0
	v_ashrrev_i32_e32 v3, 31, v2
	v_cndmask_b32_e32 v5, v1, v5, vcc
	v_mov_b32_e32 v1, s10
	v_cndmask_b32_e32 v4, v1, v4, vcc
	s_cmp_lt_i32 s22, 11
	v_lshl_add_u64 v[0:1], s[4:5], 0, v[2:3]
	s_cbranch_scc1 .LBB376_1823
; %bb.1746:
	s_and_b32 s21, 0xffff, s22
	s_mov_b64 s[8:9], -1
	s_mov_b64 s[2:3], 0
	s_cmp_gt_i32 s21, 25
	s_mov_b64 s[6:7], 0
	s_mov_b64 s[0:1], 0
	s_cbranch_scc0 .LBB376_1779
; %bb.1747:
	s_cmp_gt_i32 s21, 28
	s_cbranch_scc0 .LBB376_1762
; %bb.1748:
	s_cmp_gt_i32 s21, 43
	;; [unrolled: 3-line block ×3, first 2 shown]
	s_cbranch_scc0 .LBB376_1752
; %bb.1750:
	s_mov_b64 s[0:1], -1
	s_mov_b64 s[8:9], 0
	s_cmp_eq_u32 s21, 46
	s_cbranch_scc0 .LBB376_1752
; %bb.1751:
	v_xor_b32_e32 v8, v4, v5
	v_ffbh_i32_e32 v3, v5
	v_ashrrev_i32_e32 v8, 31, v8
	v_add_u32_e32 v3, -1, v3
	v_add_u32_e32 v8, 32, v8
	v_min_u32_e32 v3, v3, v8
	v_lshlrev_b64 v[8:9], v3, v[4:5]
	v_min_u32_e32 v8, 1, v8
	v_or_b32_e32 v8, v9, v8
	v_cvt_f32_i32_e32 v8, v8
	v_sub_u32_e32 v3, 32, v3
	s_movk_i32 s0, 0x7fff
	s_mov_b64 s[6:7], -1
	v_ldexp_f32 v3, v8, v3
	v_bfe_u32 v8, v3, 16, 1
	v_add3_u32 v3, v3, v8, s0
	v_lshrrev_b32_e32 v3, 16, v3
	global_store_dword v[0:1], v3, off
	s_mov_b64 s[0:1], 0
.LBB376_1752:
	s_and_b64 vcc, exec, s[8:9]
	s_cbranch_vccz .LBB376_1757
; %bb.1753:
	s_cmp_eq_u32 s21, 44
	s_mov_b64 s[0:1], -1
	s_cbranch_scc0 .LBB376_1757
; %bb.1754:
	v_xor_b32_e32 v8, v4, v5
	v_ffbh_i32_e32 v3, v5
	v_ashrrev_i32_e32 v8, 31, v8
	v_add_u32_e32 v3, -1, v3
	v_add_u32_e32 v8, 32, v8
	v_min_u32_e32 v3, v3, v8
	v_lshlrev_b64 v[8:9], v3, v[4:5]
	v_min_u32_e32 v8, 1, v8
	v_or_b32_e32 v8, v9, v8
	v_cvt_f32_i32_e32 v8, v8
	v_sub_u32_e32 v3, 32, v3
	s_movk_i32 s0, 0xff
	v_mov_b32_e32 v9, 0xff
	v_ldexp_f32 v3, v8, v3
	v_bfe_u32 v8, v3, 23, 8
	v_cmp_ne_u32_e32 vcc, s0, v8
	s_and_saveexec_b64 s[6:7], vcc
; %bb.1755:
	s_mov_b32 s0, 0x3fffff
	v_lshrrev_b32_e32 v9, 23, v3
	v_and_b32_e32 v10, 0x400000, v3
	v_and_or_b32 v3, v3, s0, v8
	v_cmp_ne_u32_e32 vcc, 0, v10
	v_cmp_ne_u32_e64 s[0:1], 0, v3
	s_and_b64 s[0:1], vcc, s[0:1]
	s_nop 0
	v_cndmask_b32_e64 v3, 0, 1, s[0:1]
	v_add_u32_e32 v9, v9, v3
; %bb.1756:
	s_or_b64 exec, exec, s[6:7]
	s_mov_b64 s[0:1], 0
	s_mov_b64 s[6:7], -1
	global_store_byte v[0:1], v9, off
.LBB376_1757:
	s_mov_b64 s[8:9], 0
.LBB376_1758:
	s_and_b64 vcc, exec, s[8:9]
	s_cbranch_vccz .LBB376_1761
; %bb.1759:
	s_cmp_eq_u32 s21, 29
	s_mov_b64 s[0:1], -1
	s_cbranch_scc0 .LBB376_1761
; %bb.1760:
	global_store_dwordx2 v[0:1], v[4:5], off
	s_mov_b64 s[0:1], 0
	s_mov_b64 s[6:7], -1
.LBB376_1761:
	s_mov_b64 s[8:9], 0
.LBB376_1762:
	s_and_b64 vcc, exec, s[8:9]
	s_cbranch_vccz .LBB376_1778
; %bb.1763:
	s_cmp_lt_i32 s21, 27
	s_mov_b64 s[6:7], -1
	s_cbranch_scc1 .LBB376_1769
; %bb.1764:
	s_cmp_gt_i32 s21, 27
	s_cbranch_scc0 .LBB376_1766
; %bb.1765:
	s_mov_b64 s[6:7], 0
	global_store_dword v[0:1], v4, off
.LBB376_1766:
	s_andn2_b64 vcc, exec, s[6:7]
	s_cbranch_vccnz .LBB376_1768
; %bb.1767:
	global_store_short v[0:1], v4, off
.LBB376_1768:
	s_mov_b64 s[6:7], 0
.LBB376_1769:
	s_andn2_b64 vcc, exec, s[6:7]
	s_cbranch_vccnz .LBB376_1777
; %bb.1770:
	v_xor_b32_e32 v8, v4, v5
	v_ffbh_i32_e32 v3, v5
	v_ashrrev_i32_e32 v8, 31, v8
	v_add_u32_e32 v3, -1, v3
	v_add_u32_e32 v8, 32, v8
	v_min_u32_e32 v3, v3, v8
	v_lshlrev_b64 v[8:9], v3, v[4:5]
	v_min_u32_e32 v8, 1, v8
	v_or_b32_e32 v8, v9, v8
	v_cvt_f32_i32_e32 v8, v8
	v_sub_u32_e32 v3, 32, v3
	s_mov_b32 s6, 0x43800000
	v_mov_b32_e32 v9, 0x80
	v_ldexp_f32 v3, v8, v3
	v_and_b32_e32 v8, 0x7fffffff, v3
	v_cmp_gt_u32_e32 vcc, s6, v8
	s_and_saveexec_b64 s[6:7], vcc
	s_cbranch_execz .LBB376_1776
; %bb.1771:
	s_mov_b32 s8, 0x3bffffff
	v_cmp_lt_u32_e32 vcc, s8, v8
	s_mov_b64 s[8:9], 0
                                        ; implicit-def: $vgpr8
	s_and_saveexec_b64 s[18:19], vcc
	s_xor_b64 s[18:19], exec, s[18:19]
	s_cbranch_execz .LBB376_1997
; %bb.1772:
	v_bfe_u32 v8, v3, 20, 1
	s_mov_b32 s23, 0x487ffff
	v_add3_u32 v8, v3, v8, s23
	s_mov_b64 s[8:9], exec
	v_lshrrev_b32_e32 v8, 20, v8
	s_andn2_saveexec_b64 s[18:19], s[18:19]
	s_cbranch_execnz .LBB376_1998
.LBB376_1773:
	s_or_b64 exec, exec, s[18:19]
	v_mov_b32_e32 v9, 0
	s_and_saveexec_b64 s[18:19], s[8:9]
.LBB376_1774:
	v_lshrrev_b32_e32 v3, 24, v3
	s_movk_i32 s8, 0x80
	v_and_or_b32 v9, v3, s8, v8
.LBB376_1775:
	s_or_b64 exec, exec, s[18:19]
.LBB376_1776:
	s_or_b64 exec, exec, s[6:7]
	global_store_byte v[0:1], v9, off
.LBB376_1777:
	s_mov_b64 s[6:7], -1
.LBB376_1778:
	s_mov_b64 s[8:9], 0
.LBB376_1779:
	s_and_b64 vcc, exec, s[8:9]
	s_cbranch_vccz .LBB376_1819
; %bb.1780:
	s_cmp_gt_i32 s21, 22
	s_mov_b64 s[2:3], -1
	s_cbranch_scc0 .LBB376_1812
; %bb.1781:
	s_cmp_lt_i32 s21, 24
	s_cbranch_scc1 .LBB376_1801
; %bb.1782:
	s_cmp_gt_i32 s21, 24
	s_cbranch_scc0 .LBB376_1790
; %bb.1783:
	v_xor_b32_e32 v8, v4, v5
	v_ffbh_i32_e32 v3, v5
	v_ashrrev_i32_e32 v8, 31, v8
	v_add_u32_e32 v3, -1, v3
	v_add_u32_e32 v8, 32, v8
	v_min_u32_e32 v3, v3, v8
	v_lshlrev_b64 v[8:9], v3, v[4:5]
	v_min_u32_e32 v8, 1, v8
	v_or_b32_e32 v8, v9, v8
	v_cvt_f32_i32_e32 v8, v8
	v_sub_u32_e32 v3, 32, v3
	s_mov_b32 s2, 0x47800000
	v_mov_b32_e32 v9, 0x80
	v_ldexp_f32 v3, v8, v3
	v_and_b32_e32 v8, 0x7fffffff, v3
	v_cmp_gt_u32_e32 vcc, s2, v8
	s_and_saveexec_b64 s[2:3], vcc
	s_cbranch_execz .LBB376_1789
; %bb.1784:
	s_mov_b32 s6, 0x37ffffff
	v_cmp_lt_u32_e32 vcc, s6, v8
	s_mov_b64 s[6:7], 0
                                        ; implicit-def: $vgpr8
	s_and_saveexec_b64 s[8:9], vcc
	s_xor_b64 s[8:9], exec, s[8:9]
	s_cbranch_execz .LBB376_2000
; %bb.1785:
	v_bfe_u32 v8, v3, 21, 1
	s_mov_b32 s18, 0x88fffff
	v_add3_u32 v8, v3, v8, s18
	s_mov_b64 s[6:7], exec
	v_lshrrev_b32_e32 v8, 21, v8
	s_andn2_saveexec_b64 s[8:9], s[8:9]
	s_cbranch_execnz .LBB376_2001
.LBB376_1786:
	s_or_b64 exec, exec, s[8:9]
	v_mov_b32_e32 v9, 0
	s_and_saveexec_b64 s[8:9], s[6:7]
.LBB376_1787:
	v_lshrrev_b32_e32 v3, 24, v3
	s_movk_i32 s6, 0x80
	v_and_or_b32 v9, v3, s6, v8
.LBB376_1788:
	s_or_b64 exec, exec, s[8:9]
.LBB376_1789:
	s_or_b64 exec, exec, s[2:3]
	s_mov_b64 s[2:3], 0
	global_store_byte v[0:1], v9, off
.LBB376_1790:
	s_and_b64 vcc, exec, s[2:3]
	s_cbranch_vccz .LBB376_1800
; %bb.1791:
	v_xor_b32_e32 v8, v4, v5
	v_ffbh_i32_e32 v3, v5
	v_ashrrev_i32_e32 v8, 31, v8
	v_add_u32_e32 v3, -1, v3
	v_add_u32_e32 v8, 32, v8
	v_min_u32_e32 v3, v3, v8
	v_lshlrev_b64 v[8:9], v3, v[4:5]
	v_min_u32_e32 v8, 1, v8
	v_or_b32_e32 v8, v9, v8
	v_cvt_f32_i32_e32 v8, v8
	v_sub_u32_e32 v3, 32, v3
	s_mov_b32 s2, 0x43f00000
	v_ldexp_f32 v3, v8, v3
	v_and_b32_e32 v9, 0x7fffffff, v3
	v_cmp_gt_u32_e32 vcc, s2, v9
                                        ; implicit-def: $vgpr8
	s_and_saveexec_b64 s[2:3], vcc
	s_xor_b64 s[2:3], exec, s[2:3]
	s_cbranch_execz .LBB376_1797
; %bb.1792:
	s_mov_b32 s6, 0x3c7fffff
	v_cmp_lt_u32_e32 vcc, s6, v9
                                        ; implicit-def: $vgpr8
	s_and_saveexec_b64 s[6:7], vcc
	s_xor_b64 s[6:7], exec, s[6:7]
; %bb.1793:
	v_bfe_u32 v8, v3, 20, 1
	s_mov_b32 s8, 0x407ffff
	v_add3_u32 v8, v3, v8, s8
	v_lshrrev_b32_e32 v9, 20, v8
	v_and_b32_e32 v8, 0xff00000, v8
	s_mov_b32 s8, 0x7f00000
	v_mov_b32_e32 v10, 0x7e
	v_cmp_ne_u32_e32 vcc, s8, v8
	s_nop 1
	v_cndmask_b32_e32 v8, v10, v9, vcc
; %bb.1794:
	s_andn2_saveexec_b64 s[6:7], s[6:7]
; %bb.1795:
	s_mov_b32 s8, 0x46800000
	v_add_f32_e64 v8, |v3|, s8
; %bb.1796:
	s_or_b64 exec, exec, s[6:7]
                                        ; implicit-def: $vgpr9
.LBB376_1797:
	s_andn2_saveexec_b64 s[2:3], s[2:3]
; %bb.1798:
	s_mov_b32 s6, 0x7f800000
	v_mov_b32_e32 v8, 0x7e
	v_mov_b32_e32 v10, 0x7f
	v_cmp_lt_u32_e32 vcc, s6, v9
	s_nop 1
	v_cndmask_b32_e32 v8, v8, v10, vcc
; %bb.1799:
	s_or_b64 exec, exec, s[2:3]
	v_lshrrev_b32_e32 v3, 24, v3
	s_movk_i32 s2, 0x80
	v_and_or_b32 v3, v3, s2, v8
	global_store_byte v[0:1], v3, off
.LBB376_1800:
	s_mov_b64 s[2:3], 0
.LBB376_1801:
	s_andn2_b64 vcc, exec, s[2:3]
	s_cbranch_vccnz .LBB376_1811
; %bb.1802:
	v_xor_b32_e32 v8, v4, v5
	v_ffbh_i32_e32 v3, v5
	v_ashrrev_i32_e32 v8, 31, v8
	v_add_u32_e32 v3, -1, v3
	v_add_u32_e32 v8, 32, v8
	v_min_u32_e32 v3, v3, v8
	v_lshlrev_b64 v[8:9], v3, v[4:5]
	v_min_u32_e32 v8, 1, v8
	v_or_b32_e32 v8, v9, v8
	v_cvt_f32_i32_e32 v8, v8
	v_sub_u32_e32 v3, 32, v3
	s_mov_b32 s2, 0x47800000
	v_ldexp_f32 v3, v8, v3
	v_and_b32_e32 v9, 0x7fffffff, v3
	v_cmp_gt_u32_e32 vcc, s2, v9
                                        ; implicit-def: $vgpr8
	s_and_saveexec_b64 s[2:3], vcc
	s_xor_b64 s[2:3], exec, s[2:3]
	s_cbranch_execz .LBB376_1808
; %bb.1803:
	s_mov_b32 s6, 0x387fffff
	v_cmp_lt_u32_e32 vcc, s6, v9
                                        ; implicit-def: $vgpr8
	s_and_saveexec_b64 s[6:7], vcc
	s_xor_b64 s[6:7], exec, s[6:7]
; %bb.1804:
	v_bfe_u32 v8, v3, 21, 1
	s_mov_b32 s8, 0x80fffff
	v_add3_u32 v8, v3, v8, s8
	v_lshrrev_b32_e32 v8, 21, v8
; %bb.1805:
	s_andn2_saveexec_b64 s[6:7], s[6:7]
; %bb.1806:
	s_mov_b32 s8, 0x43000000
	v_add_f32_e64 v8, |v3|, s8
; %bb.1807:
	s_or_b64 exec, exec, s[6:7]
                                        ; implicit-def: $vgpr9
.LBB376_1808:
	s_andn2_saveexec_b64 s[2:3], s[2:3]
; %bb.1809:
	s_mov_b32 s6, 0x7f800000
	v_mov_b32_e32 v8, 0x7c
	v_mov_b32_e32 v10, 0x7f
	v_cmp_lt_u32_e32 vcc, s6, v9
	s_nop 1
	v_cndmask_b32_e32 v8, v8, v10, vcc
; %bb.1810:
	s_or_b64 exec, exec, s[2:3]
	v_lshrrev_b32_e32 v3, 24, v3
	s_movk_i32 s2, 0x80
	v_and_or_b32 v3, v3, s2, v8
	global_store_byte v[0:1], v3, off
.LBB376_1811:
	s_mov_b64 s[2:3], 0
	s_mov_b64 s[6:7], -1
.LBB376_1812:
	s_andn2_b64 vcc, exec, s[2:3]
	s_mov_b64 s[2:3], 0
	s_cbranch_vccnz .LBB376_1819
; %bb.1813:
	s_cmp_gt_i32 s21, 14
	s_mov_b64 s[8:9], -1
	s_cbranch_scc0 .LBB376_1817
; %bb.1814:
	s_cmp_eq_u32 s21, 15
	s_mov_b64 s[0:1], -1
	s_cbranch_scc0 .LBB376_1816
; %bb.1815:
	v_xor_b32_e32 v8, v4, v5
	v_ffbh_i32_e32 v3, v5
	v_ashrrev_i32_e32 v8, 31, v8
	v_add_u32_e32 v3, -1, v3
	v_add_u32_e32 v8, 32, v8
	v_min_u32_e32 v3, v3, v8
	v_lshlrev_b64 v[8:9], v3, v[4:5]
	v_min_u32_e32 v8, 1, v8
	v_or_b32_e32 v8, v9, v8
	v_cvt_f32_i32_e32 v8, v8
	v_sub_u32_e32 v3, 32, v3
	s_movk_i32 s0, 0x7fff
	s_mov_b64 s[6:7], -1
	v_ldexp_f32 v3, v8, v3
	v_bfe_u32 v8, v3, 16, 1
	v_add3_u32 v3, v3, v8, s0
	global_store_short_d16_hi v[0:1], v3, off
	s_mov_b64 s[0:1], 0
.LBB376_1816:
	s_mov_b64 s[8:9], 0
.LBB376_1817:
	s_and_b64 vcc, exec, s[8:9]
	s_cbranch_vccz .LBB376_1819
; %bb.1818:
	s_cmp_lg_u32 s21, 11
	s_mov_b64 s[2:3], -1
	s_cselect_b64 s[0:1], -1, 0
.LBB376_1819:
	s_and_b64 vcc, exec, s[0:1]
	s_cbranch_vccnz .LBB376_1999
; %bb.1820:
	s_andn2_b64 vcc, exec, s[2:3]
	s_cbranch_vccnz .LBB376_1822
.LBB376_1821:
	v_cmp_ne_u64_e32 vcc, 0, v[4:5]
	s_mov_b64 s[6:7], -1
	s_nop 0
	v_cndmask_b32_e64 v3, 0, 1, vcc
	global_store_byte v[0:1], v3, off
.LBB376_1822:
	s_mov_b64 s[0:1], 0
	s_branch .LBB376_1824
.LBB376_1823:
	s_mov_b64 s[0:1], -1
	s_mov_b64 s[6:7], 0
.LBB376_1824:
	s_and_b64 vcc, exec, s[0:1]
	s_cbranch_vccz .LBB376_1863
; %bb.1825:
	s_and_b32 s2, 0xffff, s22
	s_cmp_lt_i32 s2, 5
	s_mov_b64 s[0:1], -1
	s_cbranch_scc1 .LBB376_1846
; %bb.1826:
	s_cmp_lt_i32 s2, 8
	s_cbranch_scc1 .LBB376_1836
; %bb.1827:
	s_cmp_lt_i32 s2, 9
	s_cbranch_scc1 .LBB376_1833
; %bb.1828:
	s_cmp_gt_i32 s2, 9
	s_cbranch_scc0 .LBB376_1830
; %bb.1829:
	v_cvt_f64_i32_e32 v[8:9], v5
	v_ldexp_f64 v[8:9], v[8:9], 32
	v_cvt_f64_u32_e32 v[10:11], v4
	v_add_f64 v[8:9], v[8:9], v[10:11]
	v_mov_b32_e32 v10, 0
	v_mov_b32_e32 v11, v10
	global_store_dwordx4 v[0:1], v[8:11], off
	s_mov_b64 s[0:1], 0
.LBB376_1830:
	s_andn2_b64 vcc, exec, s[0:1]
	s_cbranch_vccnz .LBB376_1832
; %bb.1831:
	v_xor_b32_e32 v8, v4, v5
	v_ffbh_i32_e32 v3, v5
	v_ashrrev_i32_e32 v8, 31, v8
	v_add_u32_e32 v3, -1, v3
	v_add_u32_e32 v8, 32, v8
	v_min_u32_e32 v3, v3, v8
	v_lshlrev_b64 v[8:9], v3, v[4:5]
	v_min_u32_e32 v8, 1, v8
	v_or_b32_e32 v8, v9, v8
	v_cvt_f32_i32_e32 v8, v8
	v_sub_u32_e32 v3, 32, v3
	v_mov_b32_e32 v9, 0
	v_ldexp_f32 v8, v8, v3
	global_store_dwordx2 v[0:1], v[8:9], off
.LBB376_1832:
	s_mov_b64 s[0:1], 0
.LBB376_1833:
	s_andn2_b64 vcc, exec, s[0:1]
	s_cbranch_vccnz .LBB376_1835
; %bb.1834:
	v_xor_b32_e32 v8, v4, v5
	v_ffbh_i32_e32 v3, v5
	v_ashrrev_i32_e32 v8, 31, v8
	v_add_u32_e32 v3, -1, v3
	v_add_u32_e32 v8, 32, v8
	v_min_u32_e32 v3, v3, v8
	v_lshlrev_b64 v[8:9], v3, v[4:5]
	v_min_u32_e32 v8, 1, v8
	v_or_b32_e32 v8, v9, v8
	v_cvt_f32_i32_e32 v8, v8
	v_sub_u32_e32 v3, 32, v3
	v_ldexp_f32 v3, v8, v3
	v_cvt_f16_f32_e32 v3, v3
	global_store_dword v[0:1], v3, off
.LBB376_1835:
	s_mov_b64 s[0:1], 0
.LBB376_1836:
	s_andn2_b64 vcc, exec, s[0:1]
	s_cbranch_vccnz .LBB376_1845
; %bb.1837:
	s_cmp_lt_i32 s2, 6
	s_mov_b64 s[0:1], -1
	s_cbranch_scc1 .LBB376_1843
; %bb.1838:
	s_cmp_gt_i32 s2, 6
	s_cbranch_scc0 .LBB376_1840
; %bb.1839:
	v_cvt_f64_i32_e32 v[8:9], v5
	v_ldexp_f64 v[8:9], v[8:9], 32
	v_cvt_f64_u32_e32 v[10:11], v4
	v_add_f64 v[8:9], v[8:9], v[10:11]
	global_store_dwordx2 v[0:1], v[8:9], off
	s_mov_b64 s[0:1], 0
.LBB376_1840:
	s_andn2_b64 vcc, exec, s[0:1]
	s_cbranch_vccnz .LBB376_1842
; %bb.1841:
	v_xor_b32_e32 v8, v4, v5
	v_ffbh_i32_e32 v3, v5
	v_ashrrev_i32_e32 v8, 31, v8
	v_add_u32_e32 v3, -1, v3
	v_add_u32_e32 v8, 32, v8
	v_min_u32_e32 v3, v3, v8
	v_lshlrev_b64 v[8:9], v3, v[4:5]
	v_min_u32_e32 v8, 1, v8
	v_or_b32_e32 v8, v9, v8
	v_cvt_f32_i32_e32 v8, v8
	v_sub_u32_e32 v3, 32, v3
	v_ldexp_f32 v3, v8, v3
	global_store_dword v[0:1], v3, off
.LBB376_1842:
	s_mov_b64 s[0:1], 0
.LBB376_1843:
	s_andn2_b64 vcc, exec, s[0:1]
	s_cbranch_vccnz .LBB376_1845
; %bb.1844:
	v_xor_b32_e32 v8, v4, v5
	v_ffbh_i32_e32 v3, v5
	v_ashrrev_i32_e32 v8, 31, v8
	v_add_u32_e32 v3, -1, v3
	v_add_u32_e32 v8, 32, v8
	v_min_u32_e32 v3, v3, v8
	v_lshlrev_b64 v[8:9], v3, v[4:5]
	v_min_u32_e32 v8, 1, v8
	v_or_b32_e32 v8, v9, v8
	v_cvt_f32_i32_e32 v8, v8
	v_sub_u32_e32 v3, 32, v3
	v_ldexp_f32 v3, v8, v3
	v_cvt_f16_f32_e32 v3, v3
	global_store_short v[0:1], v3, off
.LBB376_1845:
	s_mov_b64 s[0:1], 0
.LBB376_1846:
	s_andn2_b64 vcc, exec, s[0:1]
	s_cbranch_vccnz .LBB376_1862
; %bb.1847:
	s_cmp_lt_i32 s2, 2
	s_mov_b64 s[0:1], -1
	s_cbranch_scc1 .LBB376_1857
; %bb.1848:
	s_cmp_lt_i32 s2, 3
	s_cbranch_scc1 .LBB376_1854
; %bb.1849:
	s_cmp_gt_i32 s2, 3
	s_cbranch_scc0 .LBB376_1851
; %bb.1850:
	global_store_dwordx2 v[0:1], v[4:5], off
	s_mov_b64 s[0:1], 0
.LBB376_1851:
	s_andn2_b64 vcc, exec, s[0:1]
	s_cbranch_vccnz .LBB376_1853
; %bb.1852:
	global_store_dword v[0:1], v4, off
.LBB376_1853:
	s_mov_b64 s[0:1], 0
.LBB376_1854:
	s_andn2_b64 vcc, exec, s[0:1]
	s_cbranch_vccnz .LBB376_1856
; %bb.1855:
	global_store_short v[0:1], v4, off
.LBB376_1856:
	s_mov_b64 s[0:1], 0
.LBB376_1857:
	s_andn2_b64 vcc, exec, s[0:1]
	s_cbranch_vccnz .LBB376_1862
; %bb.1858:
	s_cmp_gt_i32 s2, 0
	s_mov_b64 s[0:1], -1
	s_cbranch_scc0 .LBB376_1860
; %bb.1859:
	global_store_byte v[0:1], v4, off
	s_mov_b64 s[0:1], 0
.LBB376_1860:
	s_andn2_b64 vcc, exec, s[0:1]
	s_cbranch_vccnz .LBB376_1862
; %bb.1861:
	global_store_byte v[0:1], v4, off
.LBB376_1862:
	s_mov_b64 s[6:7], -1
.LBB376_1863:
	s_andn2_b64 vcc, exec, s[6:7]
	s_cbranch_vccnz .LBB376_1940
; %bb.1864:
	v_mov_b32_e32 v0, s11
	v_cmp_lt_i64_e32 vcc, s[10:11], v[6:7]
	v_add_u32_e32 v2, s20, v2
	v_ashrrev_i32_e32 v3, 31, v2
	v_cndmask_b32_e32 v1, v0, v7, vcc
	v_mov_b32_e32 v0, s10
	v_cndmask_b32_e32 v0, v0, v6, vcc
	s_cmp_lt_i32 s22, 11
	v_lshl_add_u64 v[2:3], s[4:5], 0, v[2:3]
	s_cbranch_scc1 .LBB376_1985
; %bb.1865:
	s_and_b32 s10, 0xffff, s22
	s_mov_b64 s[4:5], -1
	s_mov_b64 s[2:3], 0
	s_cmp_gt_i32 s10, 25
	s_mov_b64 s[0:1], 0
	s_cbranch_scc0 .LBB376_1898
; %bb.1866:
	s_cmp_gt_i32 s10, 28
	s_cbranch_scc0 .LBB376_1882
; %bb.1867:
	s_cmp_gt_i32 s10, 43
	;; [unrolled: 3-line block ×3, first 2 shown]
	s_cbranch_scc0 .LBB376_1872
; %bb.1869:
	s_cmp_eq_u32 s10, 46
	s_mov_b64 s[0:1], -1
	s_cbranch_scc0 .LBB376_1871
; %bb.1870:
	v_xor_b32_e32 v5, v0, v1
	v_ffbh_i32_e32 v4, v1
	v_ashrrev_i32_e32 v5, 31, v5
	v_add_u32_e32 v4, -1, v4
	v_add_u32_e32 v5, 32, v5
	v_min_u32_e32 v6, v4, v5
	v_lshlrev_b64 v[4:5], v6, v[0:1]
	v_min_u32_e32 v4, 1, v4
	v_or_b32_e32 v4, v5, v4
	v_cvt_f32_i32_e32 v4, v4
	v_sub_u32_e32 v5, 32, v6
	s_movk_i32 s0, 0x7fff
	v_ldexp_f32 v4, v4, v5
	v_bfe_u32 v5, v4, 16, 1
	v_add3_u32 v4, v4, v5, s0
	v_lshrrev_b32_e32 v4, 16, v4
	global_store_dword v[2:3], v4, off
	s_mov_b64 s[0:1], 0
.LBB376_1871:
	s_mov_b64 s[4:5], 0
.LBB376_1872:
	s_and_b64 vcc, exec, s[4:5]
	s_cbranch_vccz .LBB376_1877
; %bb.1873:
	s_cmp_eq_u32 s10, 44
	s_mov_b64 s[0:1], -1
	s_cbranch_scc0 .LBB376_1877
; %bb.1874:
	v_xor_b32_e32 v5, v0, v1
	v_ffbh_i32_e32 v4, v1
	v_ashrrev_i32_e32 v5, 31, v5
	v_add_u32_e32 v4, -1, v4
	v_add_u32_e32 v5, 32, v5
	v_min_u32_e32 v6, v4, v5
	v_lshlrev_b64 v[4:5], v6, v[0:1]
	v_min_u32_e32 v4, 1, v4
	v_or_b32_e32 v4, v5, v4
	v_cvt_f32_i32_e32 v4, v4
	v_sub_u32_e32 v5, 32, v6
	s_movk_i32 s0, 0xff
	v_mov_b32_e32 v6, 0xff
	v_ldexp_f32 v4, v4, v5
	v_bfe_u32 v5, v4, 23, 8
	v_cmp_ne_u32_e32 vcc, s0, v5
	s_and_saveexec_b64 s[4:5], vcc
; %bb.1875:
	s_mov_b32 s0, 0x3fffff
	v_lshrrev_b32_e32 v6, 23, v4
	v_and_b32_e32 v7, 0x400000, v4
	v_and_or_b32 v4, v4, s0, v5
	v_cmp_ne_u32_e32 vcc, 0, v7
	v_cmp_ne_u32_e64 s[0:1], 0, v4
	s_and_b64 s[0:1], vcc, s[0:1]
	s_nop 0
	v_cndmask_b32_e64 v4, 0, 1, s[0:1]
	v_add_u32_e32 v6, v6, v4
; %bb.1876:
	s_or_b64 exec, exec, s[4:5]
	s_mov_b64 s[0:1], 0
	global_store_byte v[2:3], v6, off
.LBB376_1877:
	s_mov_b64 s[4:5], 0
.LBB376_1878:
	s_and_b64 vcc, exec, s[4:5]
	s_cbranch_vccz .LBB376_1881
; %bb.1879:
	s_cmp_eq_u32 s10, 29
	s_mov_b64 s[0:1], -1
	s_cbranch_scc0 .LBB376_1881
; %bb.1880:
	global_store_dwordx2 v[2:3], v[0:1], off
	s_mov_b64 s[0:1], 0
.LBB376_1881:
	s_mov_b64 s[4:5], 0
.LBB376_1882:
	s_and_b64 vcc, exec, s[4:5]
	s_cbranch_vccz .LBB376_1897
; %bb.1883:
	s_cmp_lt_i32 s10, 27
	s_mov_b64 s[4:5], -1
	s_cbranch_scc1 .LBB376_1889
; %bb.1884:
	s_cmp_gt_i32 s10, 27
	s_cbranch_scc0 .LBB376_1886
; %bb.1885:
	global_store_dword v[2:3], v0, off
	s_mov_b64 s[4:5], 0
.LBB376_1886:
	s_andn2_b64 vcc, exec, s[4:5]
	s_cbranch_vccnz .LBB376_1888
; %bb.1887:
	global_store_short v[2:3], v0, off
.LBB376_1888:
	s_mov_b64 s[4:5], 0
.LBB376_1889:
	s_andn2_b64 vcc, exec, s[4:5]
	s_cbranch_vccnz .LBB376_1897
; %bb.1890:
	v_xor_b32_e32 v5, v0, v1
	v_ffbh_i32_e32 v4, v1
	v_ashrrev_i32_e32 v5, 31, v5
	v_add_u32_e32 v4, -1, v4
	v_add_u32_e32 v5, 32, v5
	v_min_u32_e32 v6, v4, v5
	v_lshlrev_b64 v[4:5], v6, v[0:1]
	v_min_u32_e32 v4, 1, v4
	v_or_b32_e32 v4, v5, v4
	v_cvt_f32_i32_e32 v4, v4
	v_sub_u32_e32 v5, 32, v6
	s_mov_b32 s4, 0x43800000
	v_mov_b32_e32 v6, 0x80
	v_ldexp_f32 v4, v4, v5
	v_and_b32_e32 v5, 0x7fffffff, v4
	v_cmp_gt_u32_e32 vcc, s4, v5
	s_and_saveexec_b64 s[4:5], vcc
	s_cbranch_execz .LBB376_1896
; %bb.1891:
	s_mov_b32 s6, 0x3bffffff
	v_cmp_lt_u32_e32 vcc, s6, v5
	s_mov_b64 s[6:7], 0
                                        ; implicit-def: $vgpr5
	s_and_saveexec_b64 s[8:9], vcc
	s_xor_b64 s[8:9], exec, s[8:9]
	s_cbranch_execz .LBB376_2002
; %bb.1892:
	v_bfe_u32 v5, v4, 20, 1
	s_mov_b32 s11, 0x487ffff
	v_add3_u32 v5, v4, v5, s11
	s_mov_b64 s[6:7], exec
	v_lshrrev_b32_e32 v5, 20, v5
	s_andn2_saveexec_b64 s[8:9], s[8:9]
	s_cbranch_execnz .LBB376_2003
.LBB376_1893:
	s_or_b64 exec, exec, s[8:9]
	v_mov_b32_e32 v6, 0
	s_and_saveexec_b64 s[8:9], s[6:7]
.LBB376_1894:
	v_lshrrev_b32_e32 v4, 24, v4
	s_movk_i32 s6, 0x80
	v_and_or_b32 v6, v4, s6, v5
.LBB376_1895:
	s_or_b64 exec, exec, s[8:9]
.LBB376_1896:
	s_or_b64 exec, exec, s[4:5]
	global_store_byte v[2:3], v6, off
.LBB376_1897:
	s_mov_b64 s[4:5], 0
.LBB376_1898:
	s_and_b64 vcc, exec, s[4:5]
	s_cbranch_vccz .LBB376_1938
; %bb.1899:
	s_cmp_gt_i32 s10, 22
	s_mov_b64 s[2:3], -1
	s_cbranch_scc0 .LBB376_1931
; %bb.1900:
	s_cmp_lt_i32 s10, 24
	s_cbranch_scc1 .LBB376_1920
; %bb.1901:
	s_cmp_gt_i32 s10, 24
	s_cbranch_scc0 .LBB376_1909
; %bb.1902:
	v_xor_b32_e32 v5, v0, v1
	v_ffbh_i32_e32 v4, v1
	v_ashrrev_i32_e32 v5, 31, v5
	v_add_u32_e32 v4, -1, v4
	v_add_u32_e32 v5, 32, v5
	v_min_u32_e32 v6, v4, v5
	v_lshlrev_b64 v[4:5], v6, v[0:1]
	v_min_u32_e32 v4, 1, v4
	v_or_b32_e32 v4, v5, v4
	v_cvt_f32_i32_e32 v4, v4
	v_sub_u32_e32 v5, 32, v6
	s_mov_b32 s2, 0x47800000
	v_mov_b32_e32 v6, 0x80
	v_ldexp_f32 v4, v4, v5
	v_and_b32_e32 v5, 0x7fffffff, v4
	v_cmp_gt_u32_e32 vcc, s2, v5
	s_and_saveexec_b64 s[2:3], vcc
	s_cbranch_execz .LBB376_1908
; %bb.1903:
	s_mov_b32 s4, 0x37ffffff
	v_cmp_lt_u32_e32 vcc, s4, v5
	s_mov_b64 s[4:5], 0
                                        ; implicit-def: $vgpr5
	s_and_saveexec_b64 s[6:7], vcc
	s_xor_b64 s[6:7], exec, s[6:7]
	s_cbranch_execz .LBB376_2005
; %bb.1904:
	v_bfe_u32 v5, v4, 21, 1
	s_mov_b32 s8, 0x88fffff
	v_add3_u32 v5, v4, v5, s8
	s_mov_b64 s[4:5], exec
	v_lshrrev_b32_e32 v5, 21, v5
	s_andn2_saveexec_b64 s[6:7], s[6:7]
	s_cbranch_execnz .LBB376_2006
.LBB376_1905:
	s_or_b64 exec, exec, s[6:7]
	v_mov_b32_e32 v6, 0
	s_and_saveexec_b64 s[6:7], s[4:5]
.LBB376_1906:
	v_lshrrev_b32_e32 v4, 24, v4
	s_movk_i32 s4, 0x80
	v_and_or_b32 v6, v4, s4, v5
.LBB376_1907:
	s_or_b64 exec, exec, s[6:7]
.LBB376_1908:
	s_or_b64 exec, exec, s[2:3]
	s_mov_b64 s[2:3], 0
	global_store_byte v[2:3], v6, off
.LBB376_1909:
	s_and_b64 vcc, exec, s[2:3]
	s_cbranch_vccz .LBB376_1919
; %bb.1910:
	v_xor_b32_e32 v5, v0, v1
	v_ffbh_i32_e32 v4, v1
	v_ashrrev_i32_e32 v5, 31, v5
	v_add_u32_e32 v4, -1, v4
	v_add_u32_e32 v5, 32, v5
	v_min_u32_e32 v6, v4, v5
	v_lshlrev_b64 v[4:5], v6, v[0:1]
	v_min_u32_e32 v4, 1, v4
	v_or_b32_e32 v4, v5, v4
	v_cvt_f32_i32_e32 v4, v4
	v_sub_u32_e32 v5, 32, v6
	s_mov_b32 s2, 0x43f00000
	v_ldexp_f32 v4, v4, v5
	v_and_b32_e32 v6, 0x7fffffff, v4
	v_cmp_gt_u32_e32 vcc, s2, v6
                                        ; implicit-def: $vgpr5
	s_and_saveexec_b64 s[2:3], vcc
	s_xor_b64 s[2:3], exec, s[2:3]
	s_cbranch_execz .LBB376_1916
; %bb.1911:
	s_mov_b32 s4, 0x3c7fffff
	v_cmp_lt_u32_e32 vcc, s4, v6
                                        ; implicit-def: $vgpr5
	s_and_saveexec_b64 s[4:5], vcc
	s_xor_b64 s[4:5], exec, s[4:5]
; %bb.1912:
	v_bfe_u32 v5, v4, 20, 1
	s_mov_b32 s6, 0x407ffff
	v_add3_u32 v5, v4, v5, s6
	v_lshrrev_b32_e32 v6, 20, v5
	v_and_b32_e32 v5, 0xff00000, v5
	s_mov_b32 s6, 0x7f00000
	v_mov_b32_e32 v7, 0x7e
	v_cmp_ne_u32_e32 vcc, s6, v5
	s_nop 1
	v_cndmask_b32_e32 v5, v7, v6, vcc
; %bb.1913:
	s_andn2_saveexec_b64 s[4:5], s[4:5]
; %bb.1914:
	s_mov_b32 s6, 0x46800000
	v_add_f32_e64 v5, |v4|, s6
; %bb.1915:
	s_or_b64 exec, exec, s[4:5]
                                        ; implicit-def: $vgpr6
.LBB376_1916:
	s_andn2_saveexec_b64 s[2:3], s[2:3]
; %bb.1917:
	s_mov_b32 s4, 0x7f800000
	v_mov_b32_e32 v5, 0x7e
	v_mov_b32_e32 v7, 0x7f
	v_cmp_lt_u32_e32 vcc, s4, v6
	s_nop 1
	v_cndmask_b32_e32 v5, v5, v7, vcc
; %bb.1918:
	s_or_b64 exec, exec, s[2:3]
	v_lshrrev_b32_e32 v4, 24, v4
	s_movk_i32 s2, 0x80
	v_and_or_b32 v4, v4, s2, v5
	global_store_byte v[2:3], v4, off
.LBB376_1919:
	s_mov_b64 s[2:3], 0
.LBB376_1920:
	s_andn2_b64 vcc, exec, s[2:3]
	s_cbranch_vccnz .LBB376_1930
; %bb.1921:
	v_xor_b32_e32 v5, v0, v1
	v_ffbh_i32_e32 v4, v1
	v_ashrrev_i32_e32 v5, 31, v5
	v_add_u32_e32 v4, -1, v4
	v_add_u32_e32 v5, 32, v5
	v_min_u32_e32 v6, v4, v5
	v_lshlrev_b64 v[4:5], v6, v[0:1]
	v_min_u32_e32 v4, 1, v4
	v_or_b32_e32 v4, v5, v4
	v_cvt_f32_i32_e32 v4, v4
	v_sub_u32_e32 v5, 32, v6
	s_mov_b32 s2, 0x47800000
	v_ldexp_f32 v4, v4, v5
	v_and_b32_e32 v6, 0x7fffffff, v4
	v_cmp_gt_u32_e32 vcc, s2, v6
                                        ; implicit-def: $vgpr5
	s_and_saveexec_b64 s[2:3], vcc
	s_xor_b64 s[2:3], exec, s[2:3]
	s_cbranch_execz .LBB376_1927
; %bb.1922:
	s_mov_b32 s4, 0x387fffff
	v_cmp_lt_u32_e32 vcc, s4, v6
                                        ; implicit-def: $vgpr5
	s_and_saveexec_b64 s[4:5], vcc
	s_xor_b64 s[4:5], exec, s[4:5]
; %bb.1923:
	v_bfe_u32 v5, v4, 21, 1
	s_mov_b32 s6, 0x80fffff
	v_add3_u32 v5, v4, v5, s6
	v_lshrrev_b32_e32 v5, 21, v5
; %bb.1924:
	s_andn2_saveexec_b64 s[4:5], s[4:5]
; %bb.1925:
	s_mov_b32 s6, 0x43000000
	v_add_f32_e64 v5, |v4|, s6
; %bb.1926:
	s_or_b64 exec, exec, s[4:5]
                                        ; implicit-def: $vgpr6
.LBB376_1927:
	s_andn2_saveexec_b64 s[2:3], s[2:3]
; %bb.1928:
	s_mov_b32 s4, 0x7f800000
	v_mov_b32_e32 v5, 0x7c
	v_mov_b32_e32 v7, 0x7f
	v_cmp_lt_u32_e32 vcc, s4, v6
	s_nop 1
	v_cndmask_b32_e32 v5, v5, v7, vcc
; %bb.1929:
	s_or_b64 exec, exec, s[2:3]
	v_lshrrev_b32_e32 v4, 24, v4
	s_movk_i32 s2, 0x80
	v_and_or_b32 v4, v4, s2, v5
	global_store_byte v[2:3], v4, off
.LBB376_1930:
	s_mov_b64 s[2:3], 0
.LBB376_1931:
	s_andn2_b64 vcc, exec, s[2:3]
	s_mov_b64 s[2:3], 0
	s_cbranch_vccnz .LBB376_1938
; %bb.1932:
	s_cmp_gt_i32 s10, 14
	s_mov_b64 s[4:5], -1
	s_cbranch_scc0 .LBB376_1936
; %bb.1933:
	s_cmp_eq_u32 s10, 15
	s_mov_b64 s[0:1], -1
	s_cbranch_scc0 .LBB376_1935
; %bb.1934:
	v_xor_b32_e32 v5, v0, v1
	v_ffbh_i32_e32 v4, v1
	v_ashrrev_i32_e32 v5, 31, v5
	v_add_u32_e32 v4, -1, v4
	v_add_u32_e32 v5, 32, v5
	v_min_u32_e32 v6, v4, v5
	v_lshlrev_b64 v[4:5], v6, v[0:1]
	v_min_u32_e32 v4, 1, v4
	v_or_b32_e32 v4, v5, v4
	v_cvt_f32_i32_e32 v4, v4
	v_sub_u32_e32 v5, 32, v6
	s_movk_i32 s0, 0x7fff
	v_ldexp_f32 v4, v4, v5
	v_bfe_u32 v5, v4, 16, 1
	v_add3_u32 v4, v4, v5, s0
	global_store_short_d16_hi v[2:3], v4, off
	s_mov_b64 s[0:1], 0
.LBB376_1935:
	s_mov_b64 s[4:5], 0
.LBB376_1936:
	s_and_b64 vcc, exec, s[4:5]
	s_cbranch_vccz .LBB376_1938
; %bb.1937:
	s_cmp_lg_u32 s10, 11
	s_mov_b64 s[2:3], -1
	s_cselect_b64 s[0:1], -1, 0
.LBB376_1938:
	s_and_b64 vcc, exec, s[0:1]
	s_cbranch_vccnz .LBB376_2004
.LBB376_1939:
	s_mov_b64 s[0:1], 0
	s_branch .LBB376_1941
.LBB376_1940:
	s_mov_b64 s[0:1], 0
	s_mov_b64 s[2:3], 0
                                        ; implicit-def: $sgpr22
                                        ; implicit-def: $vgpr2_vgpr3
                                        ; implicit-def: $vgpr0_vgpr1
.LBB376_1941:
	s_andn2_b64 s[4:5], s[14:15], exec
	s_and_b64 s[6:7], s[16:17], exec
	s_and_b64 s[0:1], s[0:1], exec
	s_and_b64 s[2:3], s[2:3], exec
	s_or_b64 s[14:15], s[4:5], s[6:7]
.LBB376_1942:
	s_or_b64 exec, exec, s[12:13]
	s_and_saveexec_b64 s[4:5], s[14:15]
	s_cbranch_execz .LBB376_1945
; %bb.1943:
	; divergent unreachable
	s_or_b64 exec, exec, s[4:5]
	s_and_saveexec_b64 s[4:5], s[2:3]
	s_xor_b64 s[2:3], exec, s[4:5]
	s_cbranch_execnz .LBB376_1946
.LBB376_1944:
	s_or_b64 exec, exec, s[2:3]
	s_and_saveexec_b64 s[2:3], s[0:1]
	s_cbranch_execnz .LBB376_1947
	s_branch .LBB376_1984
.LBB376_1945:
	s_or_b64 exec, exec, s[4:5]
	s_and_saveexec_b64 s[4:5], s[2:3]
	s_xor_b64 s[2:3], exec, s[4:5]
	s_cbranch_execz .LBB376_1944
.LBB376_1946:
	s_waitcnt vmcnt(0)
	v_cmp_ne_u64_e32 vcc, 0, v[0:1]
	s_nop 1
	v_cndmask_b32_e64 v4, 0, 1, vcc
	global_store_byte v[2:3], v4, off
	s_or_b64 exec, exec, s[2:3]
	s_and_saveexec_b64 s[2:3], s[0:1]
	s_cbranch_execz .LBB376_1984
.LBB376_1947:
	s_sext_i32_i16 s2, s22
	s_cmp_lt_i32 s2, 5
	s_mov_b64 s[0:1], -1
	s_cbranch_scc1 .LBB376_1968
; %bb.1948:
	s_cmp_lt_i32 s2, 8
	s_cbranch_scc1 .LBB376_1958
; %bb.1949:
	s_cmp_lt_i32 s2, 9
	s_cbranch_scc1 .LBB376_1955
; %bb.1950:
	s_cmp_gt_i32 s2, 9
	s_cbranch_scc0 .LBB376_1952
; %bb.1951:
	s_waitcnt vmcnt(0)
	v_cvt_f64_i32_e32 v[4:5], v1
	v_ldexp_f64 v[4:5], v[4:5], 32
	v_cvt_f64_u32_e32 v[6:7], v0
	v_add_f64 v[4:5], v[4:5], v[6:7]
	v_mov_b32_e32 v6, 0
	v_mov_b32_e32 v7, v6
	global_store_dwordx4 v[2:3], v[4:7], off
	s_mov_b64 s[0:1], 0
.LBB376_1952:
	s_andn2_b64 vcc, exec, s[0:1]
	s_cbranch_vccnz .LBB376_1954
; %bb.1953:
	s_waitcnt vmcnt(0)
	v_xor_b32_e32 v5, v0, v1
	v_ffbh_i32_e32 v4, v1
	v_ashrrev_i32_e32 v5, 31, v5
	v_add_u32_e32 v4, -1, v4
	v_add_u32_e32 v5, 32, v5
	v_min_u32_e32 v6, v4, v5
	v_lshlrev_b64 v[4:5], v6, v[0:1]
	v_min_u32_e32 v4, 1, v4
	v_or_b32_e32 v4, v5, v4
	v_cvt_f32_i32_e32 v4, v4
	v_sub_u32_e32 v5, 32, v6
	v_ldexp_f32 v4, v4, v5
	v_mov_b32_e32 v5, 0
	global_store_dwordx2 v[2:3], v[4:5], off
.LBB376_1954:
	s_mov_b64 s[0:1], 0
.LBB376_1955:
	s_andn2_b64 vcc, exec, s[0:1]
	s_cbranch_vccnz .LBB376_1957
; %bb.1956:
	s_waitcnt vmcnt(0)
	v_xor_b32_e32 v5, v0, v1
	v_ffbh_i32_e32 v4, v1
	v_ashrrev_i32_e32 v5, 31, v5
	v_add_u32_e32 v4, -1, v4
	v_add_u32_e32 v5, 32, v5
	v_min_u32_e32 v6, v4, v5
	v_lshlrev_b64 v[4:5], v6, v[0:1]
	v_min_u32_e32 v4, 1, v4
	v_or_b32_e32 v4, v5, v4
	v_cvt_f32_i32_e32 v4, v4
	v_sub_u32_e32 v5, 32, v6
	v_ldexp_f32 v4, v4, v5
	v_cvt_f16_f32_e32 v4, v4
	global_store_dword v[2:3], v4, off
.LBB376_1957:
	s_mov_b64 s[0:1], 0
.LBB376_1958:
	s_andn2_b64 vcc, exec, s[0:1]
	s_cbranch_vccnz .LBB376_1967
; %bb.1959:
	s_sext_i32_i16 s2, s22
	s_cmp_lt_i32 s2, 6
	s_mov_b64 s[0:1], -1
	s_cbranch_scc1 .LBB376_1965
; %bb.1960:
	s_cmp_gt_i32 s2, 6
	s_cbranch_scc0 .LBB376_1962
; %bb.1961:
	s_waitcnt vmcnt(0)
	v_cvt_f64_i32_e32 v[4:5], v1
	v_ldexp_f64 v[4:5], v[4:5], 32
	v_cvt_f64_u32_e32 v[6:7], v0
	v_add_f64 v[4:5], v[4:5], v[6:7]
	global_store_dwordx2 v[2:3], v[4:5], off
	s_mov_b64 s[0:1], 0
.LBB376_1962:
	s_andn2_b64 vcc, exec, s[0:1]
	s_cbranch_vccnz .LBB376_1964
; %bb.1963:
	s_waitcnt vmcnt(0)
	v_xor_b32_e32 v5, v0, v1
	v_ffbh_i32_e32 v4, v1
	v_ashrrev_i32_e32 v5, 31, v5
	v_add_u32_e32 v4, -1, v4
	v_add_u32_e32 v5, 32, v5
	v_min_u32_e32 v6, v4, v5
	v_lshlrev_b64 v[4:5], v6, v[0:1]
	v_min_u32_e32 v4, 1, v4
	v_or_b32_e32 v4, v5, v4
	v_cvt_f32_i32_e32 v4, v4
	v_sub_u32_e32 v5, 32, v6
	v_ldexp_f32 v4, v4, v5
	global_store_dword v[2:3], v4, off
.LBB376_1964:
	s_mov_b64 s[0:1], 0
.LBB376_1965:
	s_andn2_b64 vcc, exec, s[0:1]
	s_cbranch_vccnz .LBB376_1967
; %bb.1966:
	s_waitcnt vmcnt(0)
	v_xor_b32_e32 v5, v0, v1
	v_ffbh_i32_e32 v4, v1
	v_ashrrev_i32_e32 v5, 31, v5
	v_add_u32_e32 v4, -1, v4
	v_add_u32_e32 v5, 32, v5
	v_min_u32_e32 v6, v4, v5
	v_lshlrev_b64 v[4:5], v6, v[0:1]
	v_min_u32_e32 v4, 1, v4
	v_or_b32_e32 v4, v5, v4
	v_cvt_f32_i32_e32 v4, v4
	v_sub_u32_e32 v5, 32, v6
	v_ldexp_f32 v4, v4, v5
	v_cvt_f16_f32_e32 v4, v4
	global_store_short v[2:3], v4, off
.LBB376_1967:
	s_mov_b64 s[0:1], 0
.LBB376_1968:
	s_andn2_b64 vcc, exec, s[0:1]
	s_cbranch_vccnz .LBB376_1984
; %bb.1969:
	s_sext_i32_i16 s2, s22
	s_cmp_lt_i32 s2, 2
	s_mov_b64 s[0:1], -1
	s_cbranch_scc1 .LBB376_1979
; %bb.1970:
	s_cmp_lt_i32 s2, 3
	s_cbranch_scc1 .LBB376_1976
; %bb.1971:
	s_cmp_gt_i32 s2, 3
	s_cbranch_scc0 .LBB376_1973
; %bb.1972:
	s_waitcnt vmcnt(0)
	global_store_dwordx2 v[2:3], v[0:1], off
	s_mov_b64 s[0:1], 0
.LBB376_1973:
	s_andn2_b64 vcc, exec, s[0:1]
	s_cbranch_vccnz .LBB376_1975
; %bb.1974:
	s_waitcnt vmcnt(0)
	global_store_dword v[2:3], v0, off
.LBB376_1975:
	s_mov_b64 s[0:1], 0
.LBB376_1976:
	s_andn2_b64 vcc, exec, s[0:1]
	s_cbranch_vccnz .LBB376_1978
; %bb.1977:
	s_waitcnt vmcnt(0)
	global_store_short v[2:3], v0, off
.LBB376_1978:
	s_mov_b64 s[0:1], 0
.LBB376_1979:
	s_andn2_b64 vcc, exec, s[0:1]
	s_cbranch_vccnz .LBB376_1984
; %bb.1980:
	s_sext_i32_i16 s0, s22
	s_cmp_gt_i32 s0, 0
	s_mov_b64 s[0:1], -1
	s_cbranch_scc0 .LBB376_1982
; %bb.1981:
	s_waitcnt vmcnt(0)
	global_store_byte v[2:3], v0, off
	s_mov_b64 s[0:1], 0
.LBB376_1982:
	s_andn2_b64 vcc, exec, s[0:1]
	s_cbranch_vccnz .LBB376_1984
; %bb.1983:
	s_waitcnt vmcnt(0)
	global_store_byte v[2:3], v0, off
	s_endpgm
.LBB376_1984:
	s_endpgm
.LBB376_1985:
	s_mov_b64 s[2:3], 0
	s_mov_b64 s[0:1], -1
	s_branch .LBB376_1941
.LBB376_1986:
	s_trap 2
	s_or_b64 s[16:17], s[16:17], exec
	s_cbranch_execz .LBB376_1455
	s_branch .LBB376_1456
.LBB376_1987:
	s_andn2_saveexec_b64 s[20:21], s[20:21]
	s_cbranch_execz .LBB376_1535
.LBB376_1988:
	s_mov_b32 s23, 0x46000000
	v_add_f32_e64 v12, |v1|, s23
	v_and_b32_e32 v12, 0xff, v12
	v_cmp_ne_u32_e32 vcc, 0, v12
	s_andn2_b64 s[18:19], s[18:19], exec
	s_and_b64 s[24:25], vcc, exec
	s_or_b64 s[18:19], s[18:19], s[24:25]
	s_or_b64 exec, exec, s[20:21]
	v_mov_b32_e32 v13, 0
	s_and_saveexec_b64 s[20:21], s[18:19]
	s_cbranch_execnz .LBB376_1536
	s_branch .LBB376_1537
.LBB376_1989:
	s_trap 2
	s_or_b64 s[16:17], s[16:17], exec
	s_cbranch_execz .LBB376_1583
	s_branch .LBB376_1584
.LBB376_1990:
	s_andn2_saveexec_b64 s[18:19], s[18:19]
	s_cbranch_execz .LBB376_1548
.LBB376_1991:
	s_mov_b32 s20, 0x42800000
	v_add_f32_e64 v12, |v1|, s20
	v_and_b32_e32 v12, 0xff, v12
	v_cmp_ne_u32_e32 vcc, 0, v12
	s_andn2_b64 s[6:7], s[6:7], exec
	s_and_b64 s[20:21], vcc, exec
	s_or_b64 s[6:7], s[6:7], s[20:21]
	s_or_b64 exec, exec, s[18:19]
	v_mov_b32_e32 v13, 0
	s_and_saveexec_b64 s[18:19], s[6:7]
	s_cbranch_execnz .LBB376_1549
	s_branch .LBB376_1550
.LBB376_1992:
	s_andn2_saveexec_b64 s[18:19], s[18:19]
	s_cbranch_execz .LBB376_1654
.LBB376_1993:
	s_mov_b32 s23, 0x46000000
	v_add_f32_e64 v10, |v1|, s23
	v_and_b32_e32 v10, 0xff, v10
	v_cmp_ne_u32_e32 vcc, 0, v10
	s_andn2_b64 s[8:9], s[8:9], exec
	s_and_b64 s[24:25], vcc, exec
	s_or_b64 s[8:9], s[8:9], s[24:25]
	s_or_b64 exec, exec, s[18:19]
	v_mov_b32_e32 v11, 0
	s_and_saveexec_b64 s[18:19], s[8:9]
	s_cbranch_execnz .LBB376_1655
	s_branch .LBB376_1656
.LBB376_1994:
	s_trap 2
	s_or_b64 s[16:17], s[16:17], exec
	s_cbranch_execz .LBB376_1702
	s_branch .LBB376_1703
.LBB376_1995:
	s_andn2_saveexec_b64 s[8:9], s[8:9]
	s_cbranch_execz .LBB376_1667
.LBB376_1996:
	s_mov_b32 s18, 0x42800000
	v_add_f32_e64 v10, |v1|, s18
	v_and_b32_e32 v10, 0xff, v10
	v_cmp_ne_u32_e32 vcc, 0, v10
	s_andn2_b64 s[6:7], s[6:7], exec
	s_and_b64 s[18:19], vcc, exec
	s_or_b64 s[6:7], s[6:7], s[18:19]
	s_or_b64 exec, exec, s[8:9]
	v_mov_b32_e32 v11, 0
	s_and_saveexec_b64 s[8:9], s[6:7]
	s_cbranch_execnz .LBB376_1668
	s_branch .LBB376_1669
.LBB376_1997:
	s_andn2_saveexec_b64 s[18:19], s[18:19]
	s_cbranch_execz .LBB376_1773
.LBB376_1998:
	s_mov_b32 s23, 0x46000000
	v_add_f32_e64 v8, |v3|, s23
	v_and_b32_e32 v8, 0xff, v8
	v_cmp_ne_u32_e32 vcc, 0, v8
	s_andn2_b64 s[8:9], s[8:9], exec
	s_and_b64 s[24:25], vcc, exec
	s_or_b64 s[8:9], s[8:9], s[24:25]
	s_or_b64 exec, exec, s[18:19]
	v_mov_b32_e32 v9, 0
	s_and_saveexec_b64 s[18:19], s[8:9]
	s_cbranch_execnz .LBB376_1774
	s_branch .LBB376_1775
.LBB376_1999:
	s_trap 2
	s_or_b64 s[16:17], s[16:17], exec
	s_cbranch_execz .LBB376_1821
	s_branch .LBB376_1822
.LBB376_2000:
	s_andn2_saveexec_b64 s[8:9], s[8:9]
	s_cbranch_execz .LBB376_1786
.LBB376_2001:
	s_mov_b32 s18, 0x42800000
	v_add_f32_e64 v8, |v3|, s18
	v_and_b32_e32 v8, 0xff, v8
	v_cmp_ne_u32_e32 vcc, 0, v8
	s_andn2_b64 s[6:7], s[6:7], exec
	s_and_b64 s[18:19], vcc, exec
	s_or_b64 s[6:7], s[6:7], s[18:19]
	s_or_b64 exec, exec, s[8:9]
	v_mov_b32_e32 v9, 0
	s_and_saveexec_b64 s[8:9], s[6:7]
	s_cbranch_execnz .LBB376_1787
	s_branch .LBB376_1788
.LBB376_2002:
	s_andn2_saveexec_b64 s[8:9], s[8:9]
	s_cbranch_execz .LBB376_1893
.LBB376_2003:
	s_mov_b32 s11, 0x46000000
	v_add_f32_e64 v5, |v4|, s11
	v_and_b32_e32 v5, 0xff, v5
	v_cmp_ne_u32_e32 vcc, 0, v5
	s_andn2_b64 s[6:7], s[6:7], exec
	s_and_b64 s[18:19], vcc, exec
	s_or_b64 s[6:7], s[6:7], s[18:19]
	s_or_b64 exec, exec, s[8:9]
	v_mov_b32_e32 v6, 0
	s_and_saveexec_b64 s[8:9], s[6:7]
	s_cbranch_execnz .LBB376_1894
	s_branch .LBB376_1895
.LBB376_2004:
	s_mov_b64 s[2:3], 0
	s_or_b64 s[16:17], s[16:17], exec
	s_trap 2
	s_branch .LBB376_1939
.LBB376_2005:
	s_andn2_saveexec_b64 s[6:7], s[6:7]
	s_cbranch_execz .LBB376_1905
.LBB376_2006:
	s_mov_b32 s8, 0x42800000
	v_add_f32_e64 v5, |v4|, s8
	v_and_b32_e32 v5, 0xff, v5
	v_cmp_ne_u32_e32 vcc, 0, v5
	s_andn2_b64 s[4:5], s[4:5], exec
	s_and_b64 s[8:9], vcc, exec
	s_or_b64 s[4:5], s[4:5], s[8:9]
	s_or_b64 exec, exec, s[6:7]
	v_mov_b32_e32 v6, 0
	s_and_saveexec_b64 s[6:7], s[4:5]
	s_cbranch_execnz .LBB376_1906
	s_branch .LBB376_1907
	.section	.rodata,"a",@progbits
	.p2align	6, 0x0
	.amdhsa_kernel _ZN2at6native32elementwise_kernel_manual_unrollILi128ELi4EZNS0_15gpu_kernel_implIZZZNS0_21clamp_min_kernel_cudaERNS_18TensorIteratorBaseERKN3c106ScalarEENKUlvE_clEvENKUlvE2_clEvEUllE_EEvS4_RKT_EUlibE_EEviT1_
		.amdhsa_group_segment_fixed_size 0
		.amdhsa_private_segment_fixed_size 0
		.amdhsa_kernarg_size 48
		.amdhsa_user_sgpr_count 2
		.amdhsa_user_sgpr_dispatch_ptr 0
		.amdhsa_user_sgpr_queue_ptr 0
		.amdhsa_user_sgpr_kernarg_segment_ptr 1
		.amdhsa_user_sgpr_dispatch_id 0
		.amdhsa_user_sgpr_kernarg_preload_length 0
		.amdhsa_user_sgpr_kernarg_preload_offset 0
		.amdhsa_user_sgpr_private_segment_size 0
		.amdhsa_uses_dynamic_stack 0
		.amdhsa_enable_private_segment 0
		.amdhsa_system_sgpr_workgroup_id_x 1
		.amdhsa_system_sgpr_workgroup_id_y 0
		.amdhsa_system_sgpr_workgroup_id_z 0
		.amdhsa_system_sgpr_workgroup_info 0
		.amdhsa_system_vgpr_workitem_id 0
		.amdhsa_next_free_vgpr 16
		.amdhsa_next_free_sgpr 48
		.amdhsa_accum_offset 16
		.amdhsa_reserve_vcc 1
		.amdhsa_float_round_mode_32 0
		.amdhsa_float_round_mode_16_64 0
		.amdhsa_float_denorm_mode_32 3
		.amdhsa_float_denorm_mode_16_64 3
		.amdhsa_dx10_clamp 1
		.amdhsa_ieee_mode 1
		.amdhsa_fp16_overflow 0
		.amdhsa_tg_split 0
		.amdhsa_exception_fp_ieee_invalid_op 0
		.amdhsa_exception_fp_denorm_src 0
		.amdhsa_exception_fp_ieee_div_zero 0
		.amdhsa_exception_fp_ieee_overflow 0
		.amdhsa_exception_fp_ieee_underflow 0
		.amdhsa_exception_fp_ieee_inexact 0
		.amdhsa_exception_int_div_zero 0
	.end_amdhsa_kernel
	.section	.text._ZN2at6native32elementwise_kernel_manual_unrollILi128ELi4EZNS0_15gpu_kernel_implIZZZNS0_21clamp_min_kernel_cudaERNS_18TensorIteratorBaseERKN3c106ScalarEENKUlvE_clEvENKUlvE2_clEvEUllE_EEvS4_RKT_EUlibE_EEviT1_,"axG",@progbits,_ZN2at6native32elementwise_kernel_manual_unrollILi128ELi4EZNS0_15gpu_kernel_implIZZZNS0_21clamp_min_kernel_cudaERNS_18TensorIteratorBaseERKN3c106ScalarEENKUlvE_clEvENKUlvE2_clEvEUllE_EEvS4_RKT_EUlibE_EEviT1_,comdat
.Lfunc_end376:
	.size	_ZN2at6native32elementwise_kernel_manual_unrollILi128ELi4EZNS0_15gpu_kernel_implIZZZNS0_21clamp_min_kernel_cudaERNS_18TensorIteratorBaseERKN3c106ScalarEENKUlvE_clEvENKUlvE2_clEvEUllE_EEvS4_RKT_EUlibE_EEviT1_, .Lfunc_end376-_ZN2at6native32elementwise_kernel_manual_unrollILi128ELi4EZNS0_15gpu_kernel_implIZZZNS0_21clamp_min_kernel_cudaERNS_18TensorIteratorBaseERKN3c106ScalarEENKUlvE_clEvENKUlvE2_clEvEUllE_EEvS4_RKT_EUlibE_EEviT1_
                                        ; -- End function
	.set _ZN2at6native32elementwise_kernel_manual_unrollILi128ELi4EZNS0_15gpu_kernel_implIZZZNS0_21clamp_min_kernel_cudaERNS_18TensorIteratorBaseERKN3c106ScalarEENKUlvE_clEvENKUlvE2_clEvEUllE_EEvS4_RKT_EUlibE_EEviT1_.num_vgpr, 16
	.set _ZN2at6native32elementwise_kernel_manual_unrollILi128ELi4EZNS0_15gpu_kernel_implIZZZNS0_21clamp_min_kernel_cudaERNS_18TensorIteratorBaseERKN3c106ScalarEENKUlvE_clEvENKUlvE2_clEvEUllE_EEvS4_RKT_EUlibE_EEviT1_.num_agpr, 0
	.set _ZN2at6native32elementwise_kernel_manual_unrollILi128ELi4EZNS0_15gpu_kernel_implIZZZNS0_21clamp_min_kernel_cudaERNS_18TensorIteratorBaseERKN3c106ScalarEENKUlvE_clEvENKUlvE2_clEvEUllE_EEvS4_RKT_EUlibE_EEviT1_.numbered_sgpr, 48
	.set _ZN2at6native32elementwise_kernel_manual_unrollILi128ELi4EZNS0_15gpu_kernel_implIZZZNS0_21clamp_min_kernel_cudaERNS_18TensorIteratorBaseERKN3c106ScalarEENKUlvE_clEvENKUlvE2_clEvEUllE_EEvS4_RKT_EUlibE_EEviT1_.num_named_barrier, 0
	.set _ZN2at6native32elementwise_kernel_manual_unrollILi128ELi4EZNS0_15gpu_kernel_implIZZZNS0_21clamp_min_kernel_cudaERNS_18TensorIteratorBaseERKN3c106ScalarEENKUlvE_clEvENKUlvE2_clEvEUllE_EEvS4_RKT_EUlibE_EEviT1_.private_seg_size, 0
	.set _ZN2at6native32elementwise_kernel_manual_unrollILi128ELi4EZNS0_15gpu_kernel_implIZZZNS0_21clamp_min_kernel_cudaERNS_18TensorIteratorBaseERKN3c106ScalarEENKUlvE_clEvENKUlvE2_clEvEUllE_EEvS4_RKT_EUlibE_EEviT1_.uses_vcc, 1
	.set _ZN2at6native32elementwise_kernel_manual_unrollILi128ELi4EZNS0_15gpu_kernel_implIZZZNS0_21clamp_min_kernel_cudaERNS_18TensorIteratorBaseERKN3c106ScalarEENKUlvE_clEvENKUlvE2_clEvEUllE_EEvS4_RKT_EUlibE_EEviT1_.uses_flat_scratch, 0
	.set _ZN2at6native32elementwise_kernel_manual_unrollILi128ELi4EZNS0_15gpu_kernel_implIZZZNS0_21clamp_min_kernel_cudaERNS_18TensorIteratorBaseERKN3c106ScalarEENKUlvE_clEvENKUlvE2_clEvEUllE_EEvS4_RKT_EUlibE_EEviT1_.has_dyn_sized_stack, 0
	.set _ZN2at6native32elementwise_kernel_manual_unrollILi128ELi4EZNS0_15gpu_kernel_implIZZZNS0_21clamp_min_kernel_cudaERNS_18TensorIteratorBaseERKN3c106ScalarEENKUlvE_clEvENKUlvE2_clEvEUllE_EEvS4_RKT_EUlibE_EEviT1_.has_recursion, 0
	.set _ZN2at6native32elementwise_kernel_manual_unrollILi128ELi4EZNS0_15gpu_kernel_implIZZZNS0_21clamp_min_kernel_cudaERNS_18TensorIteratorBaseERKN3c106ScalarEENKUlvE_clEvENKUlvE2_clEvEUllE_EEvS4_RKT_EUlibE_EEviT1_.has_indirect_call, 0
	.section	.AMDGPU.csdata,"",@progbits
; Kernel info:
; codeLenInByte = 40824
; TotalNumSgprs: 54
; NumVgprs: 16
; NumAgprs: 0
; TotalNumVgprs: 16
; ScratchSize: 0
; MemoryBound: 1
; FloatMode: 240
; IeeeMode: 1
; LDSByteSize: 0 bytes/workgroup (compile time only)
; SGPRBlocks: 6
; VGPRBlocks: 1
; NumSGPRsForWavesPerEU: 54
; NumVGPRsForWavesPerEU: 16
; AccumOffset: 16
; Occupancy: 8
; WaveLimiterHint : 0
; COMPUTE_PGM_RSRC2:SCRATCH_EN: 0
; COMPUTE_PGM_RSRC2:USER_SGPR: 2
; COMPUTE_PGM_RSRC2:TRAP_HANDLER: 0
; COMPUTE_PGM_RSRC2:TGID_X_EN: 1
; COMPUTE_PGM_RSRC2:TGID_Y_EN: 0
; COMPUTE_PGM_RSRC2:TGID_Z_EN: 0
; COMPUTE_PGM_RSRC2:TIDIG_COMP_CNT: 0
; COMPUTE_PGM_RSRC3_GFX90A:ACCUM_OFFSET: 3
; COMPUTE_PGM_RSRC3_GFX90A:TG_SPLIT: 0
	.section	.text._ZN2at6native32elementwise_kernel_manual_unrollILi128ELi4EZNS0_15gpu_kernel_implIZZZNS0_21clamp_min_kernel_cudaERNS_18TensorIteratorBaseERKN3c106ScalarEENKUlvE_clEvENKUlvE2_clEvEUllE_EEvS4_RKT_EUlibE0_EEviT1_,"axG",@progbits,_ZN2at6native32elementwise_kernel_manual_unrollILi128ELi4EZNS0_15gpu_kernel_implIZZZNS0_21clamp_min_kernel_cudaERNS_18TensorIteratorBaseERKN3c106ScalarEENKUlvE_clEvENKUlvE2_clEvEUllE_EEvS4_RKT_EUlibE0_EEviT1_,comdat
	.globl	_ZN2at6native32elementwise_kernel_manual_unrollILi128ELi4EZNS0_15gpu_kernel_implIZZZNS0_21clamp_min_kernel_cudaERNS_18TensorIteratorBaseERKN3c106ScalarEENKUlvE_clEvENKUlvE2_clEvEUllE_EEvS4_RKT_EUlibE0_EEviT1_ ; -- Begin function _ZN2at6native32elementwise_kernel_manual_unrollILi128ELi4EZNS0_15gpu_kernel_implIZZZNS0_21clamp_min_kernel_cudaERNS_18TensorIteratorBaseERKN3c106ScalarEENKUlvE_clEvENKUlvE2_clEvEUllE_EEvS4_RKT_EUlibE0_EEviT1_
	.p2align	8
	.type	_ZN2at6native32elementwise_kernel_manual_unrollILi128ELi4EZNS0_15gpu_kernel_implIZZZNS0_21clamp_min_kernel_cudaERNS_18TensorIteratorBaseERKN3c106ScalarEENKUlvE_clEvENKUlvE2_clEvEUllE_EEvS4_RKT_EUlibE0_EEviT1_,@function
_ZN2at6native32elementwise_kernel_manual_unrollILi128ELi4EZNS0_15gpu_kernel_implIZZZNS0_21clamp_min_kernel_cudaERNS_18TensorIteratorBaseERKN3c106ScalarEENKUlvE_clEvENKUlvE2_clEvEUllE_EEvS4_RKT_EUlibE0_EEviT1_: ; @_ZN2at6native32elementwise_kernel_manual_unrollILi128ELi4EZNS0_15gpu_kernel_implIZZZNS0_21clamp_min_kernel_cudaERNS_18TensorIteratorBaseERKN3c106ScalarEENKUlvE_clEvENKUlvE2_clEvEUllE_EEvS4_RKT_EUlibE0_EEviT1_
; %bb.0:
	s_load_dword s72, s[0:1], 0x0
	s_load_dword s33, s[0:1], 0x8
	s_add_u32 s34, s0, 8
	s_addc_u32 s35, s1, 0
	v_lshl_or_b32 v12, s2, 9, v0
	v_or_b32_e32 v16, 0x180, v12
	s_waitcnt lgkmcnt(0)
	s_add_i32 s74, s33, -1
	s_cmp_gt_u32 s74, 1
	v_cmp_le_i32_e32 vcc, s72, v16
	s_cselect_b64 s[42:43], -1, 0
	s_mov_b64 s[40:41], 0
	s_mov_b64 s[24:25], 0
	s_and_saveexec_b64 s[2:3], vcc
	s_xor_b64 s[44:45], exec, s[2:3]
	s_cbranch_execz .LBB377_1074
; %bb.1:
	s_load_dwordx4 s[24:27], s[34:35], 0x4
	s_load_dwordx2 s[48:49], s[34:35], 0x14
	s_load_dwordx2 s[46:47], s[34:35], 0x158
	s_load_dword s75, s[34:35], 0x160
	s_cmp_lg_u32 s33, 0
	s_load_dwordx4 s[28:31], s[34:35], 0xc4
	s_load_dwordx4 s[20:23], s[34:35], 0x148
	s_cselect_b64 s[54:55], -1, 0
	s_add_u32 s52, s34, 0xc4
	s_addc_u32 s53, s35, 0
	s_min_u32 s77, s74, 15
	s_cmp_gt_u32 s33, 1
	s_cselect_b64 s[50:51], -1, 0
	s_waitcnt lgkmcnt(0)
	s_bfe_u32 s76, s75, 0x80008
	v_cmp_gt_i32_e32 vcc, s72, v12
	s_mov_b64 s[4:5], -1
	s_mov_b64 s[64:65], 0
	s_mov_b64 s[58:59], 0
	;; [unrolled: 1-line block ×3, first 2 shown]
	s_and_saveexec_b64 s[60:61], vcc
	s_cbranch_execz .LBB377_263
; %bb.2:
	s_andn2_b64 vcc, exec, s[42:43]
	s_cbranch_vccnz .LBB377_8
; %bb.3:
	s_andn2_b64 vcc, exec, s[54:55]
	s_cbranch_vccnz .LBB377_9
; %bb.4:
	s_add_i32 s59, s77, 1
	s_cmp_eq_u32 s74, 2
	s_cbranch_scc1 .LBB377_10
; %bb.5:
	s_and_b32 s58, s59, 28
	s_mov_b32 s62, 0
	v_mov_b32_e32 v0, 0
	v_mov_b32_e32 v2, 0
	s_mov_b64 s[2:3], s[34:35]
	s_mov_b64 s[56:57], s[52:53]
	v_mov_b32_e32 v4, v12
.LBB377_6:                              ; =>This Inner Loop Header: Depth=1
	s_load_dwordx8 s[12:19], s[2:3], 0x4
	s_load_dwordx4 s[36:39], s[2:3], 0x24
	s_load_dwordx8 s[4:11], s[56:57], 0x0
	s_add_u32 s2, s2, 48
	s_addc_u32 s3, s3, 0
	s_waitcnt lgkmcnt(0)
	v_mul_hi_u32 v1, s13, v4
	v_add_u32_e32 v1, v4, v1
	v_lshrrev_b32_e32 v1, s14, v1
	v_mul_lo_u32 v3, v1, s12
	v_mul_hi_u32 v5, s16, v1
	v_sub_u32_e32 v3, v4, v3
	v_add_u32_e32 v4, v1, v5
	v_lshrrev_b32_e32 v4, s17, v4
	v_mul_lo_u32 v6, v4, s15
	v_mul_hi_u32 v7, s19, v4
	v_sub_u32_e32 v1, v1, v6
	v_add_u32_e32 v6, v4, v7
	v_mul_lo_u32 v5, v3, s5
	v_mul_lo_u32 v3, v3, s4
	v_mul_lo_u32 v7, v1, s7
	v_mul_lo_u32 v1, v1, s6
	v_lshrrev_b32_e32 v6, s36, v6
	v_add3_u32 v0, v3, v0, v1
	v_mul_hi_u32 v3, s38, v6
	v_add3_u32 v1, v5, v2, v7
	v_mul_lo_u32 v2, v6, s18
	v_add_u32_e32 v3, v6, v3
	v_sub_u32_e32 v2, v4, v2
	v_lshrrev_b32_e32 v4, s39, v3
	s_add_i32 s62, s62, 4
	v_mul_lo_u32 v3, v4, s37
	s_add_u32 s56, s56, 32
	v_sub_u32_e32 v3, v6, v3
	s_addc_u32 s57, s57, 0
	v_mul_lo_u32 v5, v2, s8
	v_mul_lo_u32 v2, v2, s9
	;; [unrolled: 1-line block ×4, first 2 shown]
	s_cmp_lg_u32 s58, s62
	v_add3_u32 v2, v2, v1, v3
	v_add3_u32 v0, v5, v0, v6
	s_cbranch_scc1 .LBB377_6
; %bb.7:
	v_mov_b32_e32 v1, v2
	s_branch .LBB377_11
.LBB377_8:
                                        ; implicit-def: $vgpr2
                                        ; implicit-def: $vgpr0
	s_branch .LBB377_15
.LBB377_9:
	v_mov_b32_e32 v2, 0
	v_mov_b32_e32 v0, 0
	s_branch .LBB377_14
.LBB377_10:
	v_mov_b32_e32 v0, 0
	s_mov_b32 s58, 0
	v_mov_b32_e32 v1, v0
                                        ; implicit-def: $vgpr2
	v_mov_b32_e32 v4, v12
.LBB377_11:
	s_and_b32 s6, s59, 3
	s_cmp_eq_u32 s6, 0
	s_cbranch_scc1 .LBB377_14
; %bb.12:
	s_lshl_b32 s2, s58, 3
	s_add_u32 s2, s34, s2
	s_addc_u32 s3, s35, 0
	s_add_u32 s2, s2, 0xc4
	s_addc_u32 s3, s3, 0
	s_mul_i32 s4, s58, 12
	s_add_u32 s4, s34, s4
	s_addc_u32 s5, s35, 0
.LBB377_13:                             ; =>This Inner Loop Header: Depth=1
	s_load_dwordx2 s[8:9], s[4:5], 0x4
	s_load_dword s7, s[4:5], 0xc
	s_load_dwordx2 s[10:11], s[2:3], 0x0
	v_mov_b32_e32 v2, v1
	s_add_u32 s4, s4, 12
	s_waitcnt lgkmcnt(0)
	v_mul_hi_u32 v1, s9, v4
	v_add_u32_e32 v1, v4, v1
	v_lshrrev_b32_e32 v1, s7, v1
	s_addc_u32 s5, s5, 0
	v_mul_lo_u32 v3, v1, s8
	s_add_u32 s2, s2, 8
	v_sub_u32_e32 v5, v4, v3
	s_addc_u32 s3, s3, 0
	s_add_i32 s6, s6, -1
	v_mov_b32_e32 v4, v1
	v_mad_u64_u32 v[2:3], s[8:9], v5, s11, v[2:3]
	v_mad_u64_u32 v[0:1], s[8:9], v5, s10, v[0:1]
	s_cmp_lg_u32 s6, 0
	v_mov_b32_e32 v1, v2
	s_cbranch_scc1 .LBB377_13
.LBB377_14:
	s_cbranch_execnz .LBB377_17
.LBB377_15:
	v_mul_hi_u32 v0, s25, v12
	v_add_u32_e32 v0, v12, v0
	v_lshrrev_b32_e32 v1, s26, v0
	v_mul_lo_u32 v0, v1, s24
	v_sub_u32_e32 v0, v12, v0
	v_mul_lo_u32 v2, v0, s29
	s_andn2_b64 vcc, exec, s[50:51]
	v_mul_lo_u32 v0, v0, s28
	s_cbranch_vccnz .LBB377_17
; %bb.16:
	v_mul_hi_u32 v3, s48, v1
	v_add_u32_e32 v3, v1, v3
	v_lshrrev_b32_e32 v3, s49, v3
	v_mul_lo_u32 v3, v3, s27
	v_sub_u32_e32 v3, v1, v3
	v_mad_u64_u32 v[0:1], s[2:3], v3, s30, v[0:1]
	v_mad_u64_u32 v[2:3], s[2:3], v3, s31, v[2:3]
.LBB377_17:
	v_mov_b32_e32 v3, 0
	s_and_b32 s8, 0xffff, s76
	s_cmp_lt_i32 s8, 11
	v_lshl_add_u64 v[2:3], s[22:23], 0, v[2:3]
	s_cbranch_scc1 .LBB377_24
; %bb.18:
	s_cmp_gt_i32 s8, 25
	s_cbranch_scc0 .LBB377_33
; %bb.19:
	s_cmp_gt_i32 s8, 28
	s_cbranch_scc0 .LBB377_36
	;; [unrolled: 3-line block ×4, first 2 shown]
; %bb.22:
	s_cmp_eq_u32 s8, 46
	s_mov_b64 s[6:7], 0
	s_cbranch_scc0 .LBB377_42
; %bb.23:
	global_load_dword v1, v[2:3], off
	s_mov_b32 s2, 0x2f800000
	s_mov_b32 s3, 0xcf800000
	s_mov_b64 s[4:5], 0
	s_waitcnt vmcnt(0)
	v_lshlrev_b32_e32 v1, 16, v1
	v_trunc_f32_e32 v1, v1
	v_mul_f32_e64 v4, |v1|, s2
	v_floor_f32_e32 v4, v4
	v_fma_f32 v5, v4, s3, |v1|
	v_cvt_u32_f32_e32 v4, v4
	v_cvt_u32_f32_e32 v5, v5
	v_ashrrev_i32_e32 v1, 31, v1
	s_mov_b64 s[2:3], -1
	v_xor_b32_e32 v6, v4, v1
	v_xor_b32_e32 v4, v5, v1
	v_sub_co_u32_e32 v4, vcc, v4, v1
	s_nop 1
	v_subb_co_u32_e32 v5, vcc, v6, v1, vcc
	s_branch .LBB377_44
.LBB377_24:
	s_mov_b64 s[4:5], 0
                                        ; implicit-def: $vgpr4_vgpr5
	s_mov_b64 s[2:3], 0
	s_cbranch_execnz .LBB377_213
.LBB377_25:
	s_andn2_b64 vcc, exec, s[2:3]
	s_cbranch_vccnz .LBB377_260
.LBB377_26:
	v_mov_b32_e32 v1, s47
	s_waitcnt vmcnt(0)
	v_cmp_lt_i64_e32 vcc, s[46:47], v[4:5]
	s_and_b32 s12, s75, 0xff
	s_cmp_lt_i32 s12, 11
	v_cndmask_b32_e32 v3, v1, v5, vcc
	v_mov_b32_e32 v1, s46
	v_cndmask_b32_e32 v2, v1, v4, vcc
	v_mov_b32_e32 v1, 0
	v_lshl_add_u64 v[0:1], s[20:21], 0, v[0:1]
	s_cbranch_scc1 .LBB377_34
; %bb.27:
	s_and_b32 s13, 0xffff, s12
	s_cmp_gt_i32 s13, 25
	s_cbranch_scc0 .LBB377_37
; %bb.28:
	s_cmp_gt_i32 s13, 28
	s_cbranch_scc0 .LBB377_39
; %bb.29:
	;; [unrolled: 3-line block ×4, first 2 shown]
	s_mov_b64 s[8:9], 0
	s_mov_b64 s[2:3], -1
	s_cmp_eq_u32 s13, 46
	s_mov_b64 s[6:7], 0
	s_cbranch_scc0 .LBB377_48
; %bb.32:
	v_xor_b32_e32 v5, v2, v3
	v_ffbh_i32_e32 v4, v3
	v_ashrrev_i32_e32 v5, 31, v5
	v_add_u32_e32 v4, -1, v4
	v_add_u32_e32 v5, 32, v5
	v_min_u32_e32 v6, v4, v5
	v_lshlrev_b64 v[4:5], v6, v[2:3]
	v_min_u32_e32 v4, 1, v4
	v_or_b32_e32 v4, v5, v4
	v_cvt_f32_i32_e32 v4, v4
	v_sub_u32_e32 v5, 32, v6
	s_movk_i32 s2, 0x7fff
	s_mov_b64 s[6:7], -1
	v_ldexp_f32 v4, v4, v5
	v_bfe_u32 v5, v4, 16, 1
	v_add3_u32 v4, v4, v5, s2
	v_lshrrev_b32_e32 v4, 16, v4
	global_store_dword v[0:1], v4, off
	s_mov_b64 s[2:3], 0
	s_branch .LBB377_48
.LBB377_33:
	s_mov_b64 s[4:5], 0
	s_mov_b64 s[2:3], 0
                                        ; implicit-def: $vgpr4_vgpr5
	s_cbranch_execnz .LBB377_180
	s_branch .LBB377_212
.LBB377_34:
	s_mov_b64 s[2:3], 0
	s_mov_b64 s[6:7], 0
	s_cbranch_execnz .LBB377_117
.LBB377_35:
	s_andn2_b64 vcc, exec, s[6:7]
	s_cbranch_vccnz .LBB377_261
	s_branch .LBB377_155
.LBB377_36:
	s_mov_b64 s[6:7], -1
	s_mov_b64 s[4:5], 0
	s_mov_b64 s[2:3], 0
                                        ; implicit-def: $vgpr4_vgpr5
	s_branch .LBB377_163
.LBB377_37:
	s_mov_b64 s[8:9], -1
	s_mov_b64 s[2:3], 0
	s_mov_b64 s[6:7], 0
	s_branch .LBB377_75
.LBB377_38:
	s_mov_b64 s[6:7], -1
	s_mov_b64 s[4:5], 0
	s_mov_b64 s[2:3], 0
                                        ; implicit-def: $vgpr4_vgpr5
	s_branch .LBB377_158
.LBB377_39:
	s_mov_b64 s[8:9], -1
	s_mov_b64 s[2:3], 0
	s_mov_b64 s[6:7], 0
	s_branch .LBB377_58
.LBB377_40:
	s_mov_b64 s[6:7], -1
	s_mov_b64 s[4:5], 0
	s_branch .LBB377_43
.LBB377_41:
	s_mov_b64 s[8:9], -1
	s_mov_b64 s[2:3], 0
	s_mov_b64 s[6:7], 0
	s_branch .LBB377_54
.LBB377_42:
	s_mov_b64 s[4:5], -1
.LBB377_43:
	s_mov_b64 s[2:3], 0
                                        ; implicit-def: $vgpr4_vgpr5
.LBB377_44:
	s_and_b64 vcc, exec, s[6:7]
	s_cbranch_vccz .LBB377_157
; %bb.45:
	s_cmp_eq_u32 s8, 44
	s_cbranch_scc0 .LBB377_156
; %bb.46:
	global_load_ubyte v1, v[2:3], off
	s_mov_b32 s2, 0x2f800000
	s_mov_b32 s3, 0xcf800000
	s_mov_b64 s[4:5], 0
	s_waitcnt vmcnt(0)
	v_lshlrev_b32_e32 v4, 23, v1
	v_trunc_f32_e32 v4, v4
	v_mul_f32_e64 v5, |v4|, s2
	v_floor_f32_e32 v5, v5
	v_fma_f32 v6, v5, s3, |v4|
	v_cvt_u32_f32_e32 v6, v6
	v_cvt_u32_f32_e32 v5, v5
	v_ashrrev_i32_e32 v4, 31, v4
	s_mov_b64 s[2:3], -1
	v_xor_b32_e32 v6, v6, v4
	v_xor_b32_e32 v5, v5, v4
	v_sub_co_u32_e32 v6, vcc, v6, v4
	s_nop 1
	v_subb_co_u32_e32 v4, vcc, v5, v4, vcc
	v_cmp_ne_u32_e32 vcc, 0, v1
	s_nop 1
	v_cndmask_b32_e32 v5, 0, v4, vcc
	v_cndmask_b32_e32 v4, 0, v6, vcc
	s_branch .LBB377_157
.LBB377_47:
	s_mov_b64 s[8:9], -1
	s_mov_b64 s[2:3], 0
	s_mov_b64 s[6:7], 0
.LBB377_48:
	s_and_b64 vcc, exec, s[8:9]
	s_cbranch_vccz .LBB377_53
; %bb.49:
	s_cmp_eq_u32 s13, 44
	s_mov_b64 s[2:3], -1
	s_cbranch_scc0 .LBB377_53
; %bb.50:
	v_xor_b32_e32 v5, v2, v3
	v_ffbh_i32_e32 v4, v3
	v_ashrrev_i32_e32 v5, 31, v5
	v_add_u32_e32 v4, -1, v4
	v_add_u32_e32 v5, 32, v5
	v_min_u32_e32 v6, v4, v5
	v_lshlrev_b64 v[4:5], v6, v[2:3]
	v_min_u32_e32 v4, 1, v4
	v_or_b32_e32 v4, v5, v4
	v_cvt_f32_i32_e32 v4, v4
	v_sub_u32_e32 v5, 32, v6
	s_movk_i32 s2, 0xff
	v_mov_b32_e32 v6, 0xff
	v_ldexp_f32 v4, v4, v5
	v_bfe_u32 v5, v4, 23, 8
	v_cmp_ne_u32_e32 vcc, s2, v5
	s_and_saveexec_b64 s[6:7], vcc
; %bb.51:
	s_mov_b32 s2, 0x3fffff
	v_lshrrev_b32_e32 v6, 23, v4
	v_and_b32_e32 v7, 0x400000, v4
	v_and_or_b32 v4, v4, s2, v5
	v_cmp_ne_u32_e32 vcc, 0, v7
	v_cmp_ne_u32_e64 s[2:3], 0, v4
	s_and_b64 s[2:3], vcc, s[2:3]
	s_nop 0
	v_cndmask_b32_e64 v4, 0, 1, s[2:3]
	v_add_u32_e32 v6, v6, v4
; %bb.52:
	s_or_b64 exec, exec, s[6:7]
	s_mov_b64 s[6:7], -1
	s_mov_b64 s[2:3], 0
	global_store_byte v[0:1], v6, off
.LBB377_53:
	s_mov_b64 s[8:9], 0
.LBB377_54:
	s_and_b64 vcc, exec, s[8:9]
	s_cbranch_vccz .LBB377_57
; %bb.55:
	s_cmp_eq_u32 s13, 29
	s_mov_b64 s[2:3], -1
	s_cbranch_scc0 .LBB377_57
; %bb.56:
	global_store_dwordx2 v[0:1], v[2:3], off
	s_mov_b64 s[6:7], -1
	s_mov_b64 s[2:3], 0
.LBB377_57:
	s_mov_b64 s[8:9], 0
.LBB377_58:
	s_and_b64 vcc, exec, s[8:9]
	s_cbranch_vccz .LBB377_74
; %bb.59:
	s_cmp_lt_i32 s13, 27
	s_mov_b64 s[6:7], -1
	s_cbranch_scc1 .LBB377_65
; %bb.60:
	s_cmp_gt_i32 s13, 27
	s_cbranch_scc0 .LBB377_62
; %bb.61:
	s_mov_b64 s[6:7], 0
	global_store_dword v[0:1], v2, off
.LBB377_62:
	s_andn2_b64 vcc, exec, s[6:7]
	s_cbranch_vccnz .LBB377_64
; %bb.63:
	global_store_short v[0:1], v2, off
.LBB377_64:
	s_mov_b64 s[6:7], 0
.LBB377_65:
	s_andn2_b64 vcc, exec, s[6:7]
	s_cbranch_vccnz .LBB377_73
; %bb.66:
	v_xor_b32_e32 v5, v2, v3
	v_ffbh_i32_e32 v4, v3
	v_ashrrev_i32_e32 v5, 31, v5
	v_add_u32_e32 v4, -1, v4
	v_add_u32_e32 v5, 32, v5
	v_min_u32_e32 v6, v4, v5
	v_lshlrev_b64 v[4:5], v6, v[2:3]
	v_min_u32_e32 v4, 1, v4
	v_or_b32_e32 v4, v5, v4
	v_cvt_f32_i32_e32 v4, v4
	v_sub_u32_e32 v5, 32, v6
	s_mov_b32 s6, 0x43800000
	v_mov_b32_e32 v6, 0x80
	v_ldexp_f32 v4, v4, v5
	v_and_b32_e32 v5, 0x7fffffff, v4
	v_cmp_gt_u32_e32 vcc, s6, v5
	s_and_saveexec_b64 s[6:7], vcc
	s_cbranch_execz .LBB377_72
; %bb.67:
	s_mov_b32 s8, 0x3bffffff
	v_cmp_lt_u32_e32 vcc, s8, v5
	s_mov_b64 s[8:9], 0
                                        ; implicit-def: $vgpr5
	s_and_saveexec_b64 s[10:11], vcc
	s_xor_b64 s[10:11], exec, s[10:11]
	s_cbranch_execz .LBB377_305
; %bb.68:
	v_bfe_u32 v5, v4, 20, 1
	s_mov_b32 s14, 0x487ffff
	v_add3_u32 v5, v4, v5, s14
	s_mov_b64 s[8:9], exec
	v_lshrrev_b32_e32 v5, 20, v5
	s_andn2_saveexec_b64 s[10:11], s[10:11]
	s_cbranch_execnz .LBB377_306
.LBB377_69:
	s_or_b64 exec, exec, s[10:11]
	v_mov_b32_e32 v6, 0
	s_and_saveexec_b64 s[10:11], s[8:9]
.LBB377_70:
	v_lshrrev_b32_e32 v4, 24, v4
	s_movk_i32 s8, 0x80
	v_and_or_b32 v6, v4, s8, v5
.LBB377_71:
	s_or_b64 exec, exec, s[10:11]
.LBB377_72:
	s_or_b64 exec, exec, s[6:7]
	global_store_byte v[0:1], v6, off
.LBB377_73:
	s_mov_b64 s[6:7], -1
.LBB377_74:
	s_mov_b64 s[8:9], 0
.LBB377_75:
	s_and_b64 vcc, exec, s[8:9]
	s_cbranch_vccz .LBB377_116
; %bb.76:
	s_cmp_gt_i32 s13, 22
	s_mov_b64 s[8:9], -1
	s_cbranch_scc0 .LBB377_108
; %bb.77:
	s_cmp_lt_i32 s13, 24
	s_mov_b64 s[6:7], -1
	s_cbranch_scc1 .LBB377_97
; %bb.78:
	s_cmp_gt_i32 s13, 24
	s_cbranch_scc0 .LBB377_86
; %bb.79:
	v_xor_b32_e32 v5, v2, v3
	v_ffbh_i32_e32 v4, v3
	v_ashrrev_i32_e32 v5, 31, v5
	v_add_u32_e32 v4, -1, v4
	v_add_u32_e32 v5, 32, v5
	v_min_u32_e32 v6, v4, v5
	v_lshlrev_b64 v[4:5], v6, v[2:3]
	v_min_u32_e32 v4, 1, v4
	v_or_b32_e32 v4, v5, v4
	v_cvt_f32_i32_e32 v4, v4
	v_sub_u32_e32 v5, 32, v6
	s_mov_b32 s6, 0x47800000
	v_mov_b32_e32 v6, 0x80
	v_ldexp_f32 v4, v4, v5
	v_and_b32_e32 v5, 0x7fffffff, v4
	v_cmp_gt_u32_e32 vcc, s6, v5
	s_and_saveexec_b64 s[6:7], vcc
	s_cbranch_execz .LBB377_85
; %bb.80:
	s_mov_b32 s8, 0x37ffffff
	v_cmp_lt_u32_e32 vcc, s8, v5
	s_mov_b64 s[8:9], 0
                                        ; implicit-def: $vgpr5
	s_and_saveexec_b64 s[10:11], vcc
	s_xor_b64 s[10:11], exec, s[10:11]
	s_cbranch_execz .LBB377_309
; %bb.81:
	v_bfe_u32 v5, v4, 21, 1
	s_mov_b32 s14, 0x88fffff
	v_add3_u32 v5, v4, v5, s14
	s_mov_b64 s[8:9], exec
	v_lshrrev_b32_e32 v5, 21, v5
	s_andn2_saveexec_b64 s[10:11], s[10:11]
	s_cbranch_execnz .LBB377_310
.LBB377_82:
	s_or_b64 exec, exec, s[10:11]
	v_mov_b32_e32 v6, 0
	s_and_saveexec_b64 s[10:11], s[8:9]
.LBB377_83:
	v_lshrrev_b32_e32 v4, 24, v4
	s_movk_i32 s8, 0x80
	v_and_or_b32 v6, v4, s8, v5
.LBB377_84:
	s_or_b64 exec, exec, s[10:11]
.LBB377_85:
	s_or_b64 exec, exec, s[6:7]
	s_mov_b64 s[6:7], 0
	global_store_byte v[0:1], v6, off
.LBB377_86:
	s_and_b64 vcc, exec, s[6:7]
	s_cbranch_vccz .LBB377_96
; %bb.87:
	v_xor_b32_e32 v5, v2, v3
	v_ffbh_i32_e32 v4, v3
	v_ashrrev_i32_e32 v5, 31, v5
	v_add_u32_e32 v4, -1, v4
	v_add_u32_e32 v5, 32, v5
	v_min_u32_e32 v6, v4, v5
	v_lshlrev_b64 v[4:5], v6, v[2:3]
	v_min_u32_e32 v4, 1, v4
	v_or_b32_e32 v4, v5, v4
	v_cvt_f32_i32_e32 v4, v4
	v_sub_u32_e32 v5, 32, v6
	s_mov_b32 s6, 0x43f00000
	v_ldexp_f32 v4, v4, v5
	v_and_b32_e32 v6, 0x7fffffff, v4
	v_cmp_gt_u32_e32 vcc, s6, v6
                                        ; implicit-def: $vgpr5
	s_and_saveexec_b64 s[6:7], vcc
	s_xor_b64 s[6:7], exec, s[6:7]
	s_cbranch_execz .LBB377_93
; %bb.88:
	s_mov_b32 s8, 0x3c7fffff
	v_cmp_lt_u32_e32 vcc, s8, v6
                                        ; implicit-def: $vgpr5
	s_and_saveexec_b64 s[8:9], vcc
	s_xor_b64 s[8:9], exec, s[8:9]
; %bb.89:
	v_bfe_u32 v5, v4, 20, 1
	s_mov_b32 s10, 0x407ffff
	v_add3_u32 v5, v4, v5, s10
	v_lshrrev_b32_e32 v6, 20, v5
	v_and_b32_e32 v5, 0xff00000, v5
	s_mov_b32 s10, 0x7f00000
	v_mov_b32_e32 v7, 0x7e
	v_cmp_ne_u32_e32 vcc, s10, v5
	s_nop 1
	v_cndmask_b32_e32 v5, v7, v6, vcc
; %bb.90:
	s_andn2_saveexec_b64 s[8:9], s[8:9]
; %bb.91:
	s_mov_b32 s10, 0x46800000
	v_add_f32_e64 v5, |v4|, s10
; %bb.92:
	s_or_b64 exec, exec, s[8:9]
                                        ; implicit-def: $vgpr6
.LBB377_93:
	s_andn2_saveexec_b64 s[6:7], s[6:7]
; %bb.94:
	s_mov_b32 s8, 0x7f800000
	v_mov_b32_e32 v5, 0x7e
	v_mov_b32_e32 v7, 0x7f
	v_cmp_lt_u32_e32 vcc, s8, v6
	s_nop 1
	v_cndmask_b32_e32 v5, v5, v7, vcc
; %bb.95:
	s_or_b64 exec, exec, s[6:7]
	v_lshrrev_b32_e32 v4, 24, v4
	s_movk_i32 s6, 0x80
	v_and_or_b32 v4, v4, s6, v5
	global_store_byte v[0:1], v4, off
.LBB377_96:
	s_mov_b64 s[6:7], 0
.LBB377_97:
	s_andn2_b64 vcc, exec, s[6:7]
	s_cbranch_vccnz .LBB377_107
; %bb.98:
	v_xor_b32_e32 v5, v2, v3
	v_ffbh_i32_e32 v4, v3
	v_ashrrev_i32_e32 v5, 31, v5
	v_add_u32_e32 v4, -1, v4
	v_add_u32_e32 v5, 32, v5
	v_min_u32_e32 v6, v4, v5
	v_lshlrev_b64 v[4:5], v6, v[2:3]
	v_min_u32_e32 v4, 1, v4
	v_or_b32_e32 v4, v5, v4
	v_cvt_f32_i32_e32 v4, v4
	v_sub_u32_e32 v5, 32, v6
	s_mov_b32 s6, 0x47800000
	v_ldexp_f32 v4, v4, v5
	v_and_b32_e32 v6, 0x7fffffff, v4
	v_cmp_gt_u32_e32 vcc, s6, v6
                                        ; implicit-def: $vgpr5
	s_and_saveexec_b64 s[6:7], vcc
	s_xor_b64 s[6:7], exec, s[6:7]
	s_cbranch_execz .LBB377_104
; %bb.99:
	s_mov_b32 s8, 0x387fffff
	v_cmp_lt_u32_e32 vcc, s8, v6
                                        ; implicit-def: $vgpr5
	s_and_saveexec_b64 s[8:9], vcc
	s_xor_b64 s[8:9], exec, s[8:9]
; %bb.100:
	v_bfe_u32 v5, v4, 21, 1
	s_mov_b32 s10, 0x80fffff
	v_add3_u32 v5, v4, v5, s10
	v_lshrrev_b32_e32 v5, 21, v5
; %bb.101:
	s_andn2_saveexec_b64 s[8:9], s[8:9]
; %bb.102:
	s_mov_b32 s10, 0x43000000
	v_add_f32_e64 v5, |v4|, s10
; %bb.103:
	s_or_b64 exec, exec, s[8:9]
                                        ; implicit-def: $vgpr6
.LBB377_104:
	s_andn2_saveexec_b64 s[6:7], s[6:7]
; %bb.105:
	s_mov_b32 s8, 0x7f800000
	v_mov_b32_e32 v5, 0x7c
	v_mov_b32_e32 v7, 0x7f
	v_cmp_lt_u32_e32 vcc, s8, v6
	s_nop 1
	v_cndmask_b32_e32 v5, v5, v7, vcc
; %bb.106:
	s_or_b64 exec, exec, s[6:7]
	v_lshrrev_b32_e32 v4, 24, v4
	s_movk_i32 s6, 0x80
	v_and_or_b32 v4, v4, s6, v5
	global_store_byte v[0:1], v4, off
.LBB377_107:
	s_mov_b64 s[8:9], 0
	s_mov_b64 s[6:7], -1
.LBB377_108:
	s_andn2_b64 vcc, exec, s[8:9]
	s_cbranch_vccnz .LBB377_116
; %bb.109:
	s_cmp_gt_i32 s13, 14
	s_mov_b64 s[8:9], -1
	s_cbranch_scc0 .LBB377_113
; %bb.110:
	s_cmp_eq_u32 s13, 15
	s_mov_b64 s[2:3], -1
	s_cbranch_scc0 .LBB377_112
; %bb.111:
	v_xor_b32_e32 v5, v2, v3
	v_ffbh_i32_e32 v4, v3
	v_ashrrev_i32_e32 v5, 31, v5
	v_add_u32_e32 v4, -1, v4
	v_add_u32_e32 v5, 32, v5
	v_min_u32_e32 v6, v4, v5
	v_lshlrev_b64 v[4:5], v6, v[2:3]
	v_min_u32_e32 v4, 1, v4
	v_or_b32_e32 v4, v5, v4
	v_cvt_f32_i32_e32 v4, v4
	v_sub_u32_e32 v5, 32, v6
	s_movk_i32 s2, 0x7fff
	s_mov_b64 s[6:7], -1
	v_ldexp_f32 v4, v4, v5
	v_bfe_u32 v5, v4, 16, 1
	v_add3_u32 v4, v4, v5, s2
	global_store_short_d16_hi v[0:1], v4, off
	s_mov_b64 s[2:3], 0
.LBB377_112:
	s_mov_b64 s[8:9], 0
.LBB377_113:
	s_and_b64 vcc, exec, s[8:9]
	s_cbranch_vccz .LBB377_116
; %bb.114:
	s_cmp_eq_u32 s13, 11
	s_mov_b64 s[2:3], -1
	s_cbranch_scc0 .LBB377_116
; %bb.115:
	v_cmp_ne_u64_e32 vcc, 0, v[2:3]
	s_mov_b64 s[2:3], 0
	s_mov_b64 s[6:7], -1
	v_cndmask_b32_e64 v4, 0, 1, vcc
	global_store_byte v[0:1], v4, off
.LBB377_116:
	s_branch .LBB377_35
.LBB377_117:
	s_and_b32 s8, 0xffff, s12
	s_cmp_lt_i32 s8, 5
	s_mov_b64 s[6:7], -1
	s_cbranch_scc1 .LBB377_138
; %bb.118:
	s_cmp_lt_i32 s8, 8
	s_cbranch_scc1 .LBB377_128
; %bb.119:
	s_cmp_lt_i32 s8, 9
	s_cbranch_scc1 .LBB377_125
; %bb.120:
	s_cmp_gt_i32 s8, 9
	s_cbranch_scc0 .LBB377_122
; %bb.121:
	v_cvt_f64_i32_e32 v[4:5], v3
	v_ldexp_f64 v[4:5], v[4:5], 32
	v_cvt_f64_u32_e32 v[6:7], v2
	v_add_f64 v[4:5], v[4:5], v[6:7]
	v_mov_b32_e32 v6, 0
	v_mov_b32_e32 v7, v6
	global_store_dwordx4 v[0:1], v[4:7], off
	s_mov_b64 s[6:7], 0
.LBB377_122:
	s_andn2_b64 vcc, exec, s[6:7]
	s_cbranch_vccnz .LBB377_124
; %bb.123:
	v_xor_b32_e32 v5, v2, v3
	v_ffbh_i32_e32 v4, v3
	v_ashrrev_i32_e32 v5, 31, v5
	v_add_u32_e32 v4, -1, v4
	v_add_u32_e32 v5, 32, v5
	v_min_u32_e32 v6, v4, v5
	v_lshlrev_b64 v[4:5], v6, v[2:3]
	v_min_u32_e32 v4, 1, v4
	v_or_b32_e32 v4, v5, v4
	v_cvt_f32_i32_e32 v4, v4
	v_sub_u32_e32 v5, 32, v6
	v_ldexp_f32 v4, v4, v5
	v_mov_b32_e32 v5, 0
	global_store_dwordx2 v[0:1], v[4:5], off
.LBB377_124:
	s_mov_b64 s[6:7], 0
.LBB377_125:
	s_andn2_b64 vcc, exec, s[6:7]
	s_cbranch_vccnz .LBB377_127
; %bb.126:
	v_xor_b32_e32 v5, v2, v3
	v_ffbh_i32_e32 v4, v3
	v_ashrrev_i32_e32 v5, 31, v5
	v_add_u32_e32 v4, -1, v4
	v_add_u32_e32 v5, 32, v5
	v_min_u32_e32 v6, v4, v5
	v_lshlrev_b64 v[4:5], v6, v[2:3]
	v_min_u32_e32 v4, 1, v4
	v_or_b32_e32 v4, v5, v4
	v_cvt_f32_i32_e32 v4, v4
	v_sub_u32_e32 v5, 32, v6
	v_ldexp_f32 v4, v4, v5
	v_cvt_f16_f32_e32 v4, v4
	global_store_dword v[0:1], v4, off
.LBB377_127:
	s_mov_b64 s[6:7], 0
.LBB377_128:
	s_andn2_b64 vcc, exec, s[6:7]
	s_cbranch_vccnz .LBB377_137
; %bb.129:
	s_cmp_lt_i32 s8, 6
	s_mov_b64 s[6:7], -1
	s_cbranch_scc1 .LBB377_135
; %bb.130:
	s_cmp_gt_i32 s8, 6
	s_cbranch_scc0 .LBB377_132
; %bb.131:
	v_cvt_f64_i32_e32 v[4:5], v3
	v_ldexp_f64 v[4:5], v[4:5], 32
	v_cvt_f64_u32_e32 v[6:7], v2
	v_add_f64 v[4:5], v[4:5], v[6:7]
	global_store_dwordx2 v[0:1], v[4:5], off
	s_mov_b64 s[6:7], 0
.LBB377_132:
	s_andn2_b64 vcc, exec, s[6:7]
	s_cbranch_vccnz .LBB377_134
; %bb.133:
	v_xor_b32_e32 v5, v2, v3
	v_ffbh_i32_e32 v4, v3
	v_ashrrev_i32_e32 v5, 31, v5
	v_add_u32_e32 v4, -1, v4
	v_add_u32_e32 v5, 32, v5
	v_min_u32_e32 v6, v4, v5
	v_lshlrev_b64 v[4:5], v6, v[2:3]
	v_min_u32_e32 v4, 1, v4
	v_or_b32_e32 v4, v5, v4
	v_cvt_f32_i32_e32 v4, v4
	v_sub_u32_e32 v5, 32, v6
	v_ldexp_f32 v4, v4, v5
	global_store_dword v[0:1], v4, off
.LBB377_134:
	s_mov_b64 s[6:7], 0
.LBB377_135:
	s_andn2_b64 vcc, exec, s[6:7]
	s_cbranch_vccnz .LBB377_137
; %bb.136:
	v_xor_b32_e32 v5, v2, v3
	v_ffbh_i32_e32 v4, v3
	v_ashrrev_i32_e32 v5, 31, v5
	v_add_u32_e32 v4, -1, v4
	v_add_u32_e32 v5, 32, v5
	v_min_u32_e32 v6, v4, v5
	v_lshlrev_b64 v[4:5], v6, v[2:3]
	v_min_u32_e32 v4, 1, v4
	v_or_b32_e32 v4, v5, v4
	v_cvt_f32_i32_e32 v4, v4
	v_sub_u32_e32 v5, 32, v6
	v_ldexp_f32 v4, v4, v5
	v_cvt_f16_f32_e32 v4, v4
	global_store_short v[0:1], v4, off
.LBB377_137:
	s_mov_b64 s[6:7], 0
.LBB377_138:
	s_andn2_b64 vcc, exec, s[6:7]
	s_cbranch_vccnz .LBB377_154
; %bb.139:
	s_cmp_lt_i32 s8, 2
	s_mov_b64 s[6:7], -1
	s_cbranch_scc1 .LBB377_149
; %bb.140:
	s_cmp_lt_i32 s8, 3
	s_cbranch_scc1 .LBB377_146
; %bb.141:
	s_cmp_gt_i32 s8, 3
	s_cbranch_scc0 .LBB377_143
; %bb.142:
	global_store_dwordx2 v[0:1], v[2:3], off
	s_mov_b64 s[6:7], 0
.LBB377_143:
	s_andn2_b64 vcc, exec, s[6:7]
	s_cbranch_vccnz .LBB377_145
; %bb.144:
	global_store_dword v[0:1], v2, off
.LBB377_145:
	s_mov_b64 s[6:7], 0
.LBB377_146:
	s_andn2_b64 vcc, exec, s[6:7]
	s_cbranch_vccnz .LBB377_148
; %bb.147:
	global_store_short v[0:1], v2, off
.LBB377_148:
	s_mov_b64 s[6:7], 0
.LBB377_149:
	s_andn2_b64 vcc, exec, s[6:7]
	s_cbranch_vccnz .LBB377_154
; %bb.150:
	s_cmp_gt_i32 s8, 0
	s_mov_b64 s[6:7], -1
	s_cbranch_scc0 .LBB377_152
; %bb.151:
	global_store_byte v[0:1], v2, off
	s_mov_b64 s[6:7], 0
.LBB377_152:
	s_andn2_b64 vcc, exec, s[6:7]
	s_cbranch_vccnz .LBB377_154
; %bb.153:
	global_store_byte v[0:1], v2, off
.LBB377_154:
.LBB377_155:
	v_add_u32_e32 v12, 0x80, v12
	s_mov_b64 s[6:7], -1
	s_branch .LBB377_262
.LBB377_156:
	s_mov_b64 s[4:5], -1
                                        ; implicit-def: $vgpr4_vgpr5
.LBB377_157:
	s_mov_b64 s[6:7], 0
.LBB377_158:
	s_and_b64 vcc, exec, s[6:7]
	s_cbranch_vccz .LBB377_162
; %bb.159:
	s_cmp_eq_u32 s8, 29
	s_cbranch_scc0 .LBB377_161
; %bb.160:
	global_load_dwordx2 v[4:5], v[2:3], off
	s_mov_b64 s[2:3], -1
	s_mov_b64 s[4:5], 0
	s_branch .LBB377_162
.LBB377_161:
	s_mov_b64 s[4:5], -1
                                        ; implicit-def: $vgpr4_vgpr5
.LBB377_162:
	s_mov_b64 s[6:7], 0
.LBB377_163:
	s_and_b64 vcc, exec, s[6:7]
	s_cbranch_vccz .LBB377_179
; %bb.164:
	s_cmp_lt_i32 s8, 27
	s_cbranch_scc1 .LBB377_167
; %bb.165:
	s_cmp_gt_i32 s8, 27
	s_cbranch_scc0 .LBB377_168
; %bb.166:
	global_load_dword v4, v[2:3], off
	s_waitcnt vmcnt(1)
	v_mov_b32_e32 v5, 0
	s_mov_b64 s[2:3], 0
	s_branch .LBB377_169
.LBB377_167:
	s_mov_b64 s[2:3], -1
                                        ; implicit-def: $vgpr4_vgpr5
	s_branch .LBB377_172
.LBB377_168:
	s_mov_b64 s[2:3], -1
                                        ; implicit-def: $vgpr4_vgpr5
.LBB377_169:
	s_andn2_b64 vcc, exec, s[2:3]
	s_cbranch_vccnz .LBB377_171
; %bb.170:
	global_load_ushort v1, v[2:3], off
	s_mov_b32 s2, 0
	s_waitcnt vmcnt(1)
	v_mov_b32_e32 v5, s2
	s_waitcnt vmcnt(0)
	v_and_b32_e32 v4, 0xffff, v1
.LBB377_171:
	s_mov_b64 s[2:3], 0
.LBB377_172:
	s_andn2_b64 vcc, exec, s[2:3]
	s_cbranch_vccnz .LBB377_178
; %bb.173:
	global_load_ubyte v1, v[2:3], off
	s_movk_i32 s2, 0x7f
	s_mov_b64 s[6:7], 0
	s_waitcnt vmcnt(0)
	v_cmp_lt_i16_e32 vcc, s2, v1
	s_and_saveexec_b64 s[2:3], vcc
	s_xor_b64 s[2:3], exec, s[2:3]
	s_cbranch_execz .LBB377_189
; %bb.174:
	s_movk_i32 s6, 0x80
	v_cmp_ne_u16_e32 vcc, s6, v1
	s_and_b64 s[6:7], vcc, exec
	s_andn2_saveexec_b64 s[2:3], s[2:3]
	s_cbranch_execnz .LBB377_190
.LBB377_175:
	s_or_b64 exec, exec, s[2:3]
	v_mov_b64_e32 v[4:5], 0
	s_and_saveexec_b64 s[2:3], s[6:7]
	s_cbranch_execz .LBB377_177
.LBB377_176:
	v_lshlrev_b32_e32 v4, 24, v1
	v_and_b32_e32 v1, 0xffff, v1
	v_and_b32_e32 v5, 7, v1
	v_ffbh_u32_e32 v7, v5
	v_min_u32_e32 v7, 32, v7
	v_subrev_u32_e32 v8, 28, v7
	v_bfe_u32 v6, v1, 3, 4
	v_lshlrev_b32_e32 v1, v8, v1
	v_sub_u32_e32 v7, 29, v7
	v_and_b32_e32 v1, 7, v1
	v_cmp_eq_u32_e32 vcc, 0, v6
	v_and_b32_e32 v4, 0x80000000, v4
	s_mov_b32 s6, 0x2f800000
	v_cndmask_b32_e32 v6, v6, v7, vcc
	v_cndmask_b32_e32 v1, v5, v1, vcc
	v_mov_b32_e32 v5, 0x3b800000
	v_lshlrev_b32_e32 v1, 20, v1
	v_lshl_add_u32 v5, v6, 23, v5
	v_or3_b32 v1, v4, v5, v1
	v_trunc_f32_e32 v1, v1
	v_mul_f32_e64 v4, |v1|, s6
	v_floor_f32_e32 v4, v4
	s_mov_b32 s6, 0xcf800000
	v_fma_f32 v5, v4, s6, |v1|
	v_cvt_u32_f32_e32 v4, v4
	v_cvt_u32_f32_e32 v5, v5
	v_ashrrev_i32_e32 v1, 31, v1
	v_xor_b32_e32 v6, v4, v1
	v_xor_b32_e32 v4, v5, v1
	v_sub_co_u32_e32 v4, vcc, v4, v1
	s_nop 1
	v_subb_co_u32_e32 v5, vcc, v6, v1, vcc
.LBB377_177:
	s_or_b64 exec, exec, s[2:3]
.LBB377_178:
	s_mov_b64 s[2:3], -1
.LBB377_179:
	s_branch .LBB377_212
.LBB377_180:
	s_cmp_gt_i32 s8, 22
	s_cbranch_scc0 .LBB377_188
; %bb.181:
	s_cmp_lt_i32 s8, 24
	s_cbranch_scc1 .LBB377_191
; %bb.182:
	s_cmp_gt_i32 s8, 24
	s_cbranch_scc0 .LBB377_192
; %bb.183:
	global_load_ubyte v1, v[2:3], off
	s_movk_i32 s2, 0x7f
	s_mov_b64 s[6:7], 0
	s_waitcnt vmcnt(0)
	v_cmp_lt_i16_e32 vcc, s2, v1
	s_and_saveexec_b64 s[2:3], vcc
	s_xor_b64 s[2:3], exec, s[2:3]
	s_cbranch_execz .LBB377_204
; %bb.184:
	s_movk_i32 s6, 0x80
	v_cmp_ne_u16_e32 vcc, s6, v1
	s_and_b64 s[6:7], vcc, exec
	s_andn2_saveexec_b64 s[2:3], s[2:3]
	s_cbranch_execnz .LBB377_205
.LBB377_185:
	s_or_b64 exec, exec, s[2:3]
	v_mov_b64_e32 v[4:5], 0
	s_and_saveexec_b64 s[2:3], s[6:7]
	s_cbranch_execz .LBB377_187
.LBB377_186:
	v_lshlrev_b32_e32 v4, 24, v1
	v_and_b32_e32 v1, 0xffff, v1
	v_and_b32_e32 v5, 3, v1
	v_ffbh_u32_e32 v7, v5
	v_min_u32_e32 v7, 32, v7
	v_subrev_u32_e32 v8, 29, v7
	v_bfe_u32 v6, v1, 2, 5
	v_lshlrev_b32_e32 v1, v8, v1
	v_sub_u32_e32 v7, 30, v7
	v_and_b32_e32 v1, 3, v1
	v_cmp_eq_u32_e32 vcc, 0, v6
	v_and_b32_e32 v4, 0x80000000, v4
	s_mov_b32 s6, 0x2f800000
	v_cndmask_b32_e32 v6, v6, v7, vcc
	v_cndmask_b32_e32 v1, v5, v1, vcc
	v_mov_b32_e32 v5, 0x37800000
	v_lshlrev_b32_e32 v1, 21, v1
	v_lshl_add_u32 v5, v6, 23, v5
	v_or3_b32 v1, v4, v5, v1
	v_trunc_f32_e32 v1, v1
	v_mul_f32_e64 v4, |v1|, s6
	v_floor_f32_e32 v4, v4
	s_mov_b32 s6, 0xcf800000
	v_fma_f32 v5, v4, s6, |v1|
	v_cvt_u32_f32_e32 v4, v4
	v_cvt_u32_f32_e32 v5, v5
	v_ashrrev_i32_e32 v1, 31, v1
	v_xor_b32_e32 v6, v4, v1
	v_xor_b32_e32 v4, v5, v1
	v_sub_co_u32_e32 v4, vcc, v4, v1
	s_nop 1
	v_subb_co_u32_e32 v5, vcc, v6, v1, vcc
.LBB377_187:
	s_or_b64 exec, exec, s[2:3]
	s_mov_b64 s[2:3], 0
	s_branch .LBB377_193
.LBB377_188:
	s_mov_b64 s[6:7], -1
                                        ; implicit-def: $vgpr4_vgpr5
	s_branch .LBB377_199
.LBB377_189:
	s_andn2_saveexec_b64 s[2:3], s[2:3]
	s_cbranch_execz .LBB377_175
.LBB377_190:
	v_cmp_ne_u16_e32 vcc, 0, v1
	s_andn2_b64 s[6:7], s[6:7], exec
	s_and_b64 s[10:11], vcc, exec
	s_or_b64 s[6:7], s[6:7], s[10:11]
	s_or_b64 exec, exec, s[2:3]
	v_mov_b64_e32 v[4:5], 0
	s_and_saveexec_b64 s[2:3], s[6:7]
	s_cbranch_execnz .LBB377_176
	s_branch .LBB377_177
.LBB377_191:
	s_mov_b64 s[2:3], -1
                                        ; implicit-def: $vgpr4_vgpr5
	s_branch .LBB377_196
.LBB377_192:
	s_mov_b64 s[2:3], -1
                                        ; implicit-def: $vgpr4_vgpr5
.LBB377_193:
	s_and_b64 vcc, exec, s[2:3]
	s_cbranch_vccz .LBB377_195
; %bb.194:
	global_load_ubyte v1, v[2:3], off
	s_mov_b32 s2, 0x7f800000
	s_brev_b32 s3, 1
	s_mov_b32 s6, 0x2f800000
	s_mov_b32 s7, 0xcf800000
	s_waitcnt vmcnt(0)
	v_lshlrev_b32_e32 v1, 24, v1
	v_and_b32_e32 v4, 0x7f000000, v1
	v_ffbh_u32_e32 v5, v4
	v_min_u32_e32 v5, 32, v5
	v_sub_u32_e64 v5, v5, 4 clamp
	v_lshlrev_b32_e32 v7, v5, v4
	v_lshlrev_b32_e32 v5, 23, v5
	v_lshrrev_b32_e32 v7, 4, v7
	v_add_u32_e32 v6, 0x1000000, v4
	v_sub_u32_e32 v5, v7, v5
	v_ashrrev_i32_e32 v6, 8, v6
	v_add_u32_e32 v5, 0x3c000000, v5
	v_and_or_b32 v5, v6, s2, v5
	v_cmp_ne_u32_e32 vcc, 0, v4
	s_nop 1
	v_cndmask_b32_e32 v4, 0, v5, vcc
	v_and_or_b32 v1, v1, s3, v4
	v_trunc_f32_e32 v1, v1
	v_mul_f32_e64 v4, |v1|, s6
	v_floor_f32_e32 v4, v4
	v_fma_f32 v5, v4, s7, |v1|
	v_cvt_u32_f32_e32 v4, v4
	v_cvt_u32_f32_e32 v5, v5
	v_ashrrev_i32_e32 v1, 31, v1
	v_xor_b32_e32 v6, v4, v1
	v_xor_b32_e32 v4, v5, v1
	v_sub_co_u32_e32 v4, vcc, v4, v1
	s_nop 1
	v_subb_co_u32_e32 v5, vcc, v6, v1, vcc
.LBB377_195:
	s_mov_b64 s[2:3], 0
.LBB377_196:
	s_andn2_b64 vcc, exec, s[2:3]
	s_cbranch_vccnz .LBB377_198
; %bb.197:
	global_load_ubyte v1, v[2:3], off
	s_movk_i32 s2, 0x7f00
	s_brev_b32 s3, 16
	s_brev_b32 s6, 1
	s_mov_b32 s7, 0x2f800000
	s_mov_b32 s9, 0xcf800000
	s_waitcnt vmcnt(0)
	v_lshlrev_b16_e32 v4, 8, v1
	v_lshlrev_b32_e32 v1, 25, v1
	v_lshrrev_b32_e32 v5, 4, v1
	v_and_or_b32 v6, v4, s2, 0.5
	v_or_b32_e32 v5, 0x70000000, v5
	v_add_f32_e32 v6, -0.5, v6
	v_mul_f32_e32 v5, 0x7800000, v5
	v_cmp_gt_u32_e32 vcc, s3, v1
	v_bfe_i32 v4, v4, 0, 16
	s_nop 0
	v_cndmask_b32_e32 v1, v5, v6, vcc
	v_and_or_b32 v1, v4, s6, v1
	v_trunc_f32_e32 v1, v1
	v_mul_f32_e64 v4, |v1|, s7
	v_floor_f32_e32 v4, v4
	v_fma_f32 v5, v4, s9, |v1|
	v_cvt_u32_f32_e32 v4, v4
	v_cvt_u32_f32_e32 v5, v5
	v_ashrrev_i32_e32 v1, 31, v1
	v_xor_b32_e32 v6, v4, v1
	v_xor_b32_e32 v4, v5, v1
	v_sub_co_u32_e32 v4, vcc, v4, v1
	s_nop 1
	v_subb_co_u32_e32 v5, vcc, v6, v1, vcc
.LBB377_198:
	s_mov_b64 s[6:7], 0
	s_mov_b64 s[2:3], -1
.LBB377_199:
	s_andn2_b64 vcc, exec, s[6:7]
	s_cbranch_vccnz .LBB377_212
; %bb.200:
	s_cmp_gt_i32 s8, 14
	s_cbranch_scc0 .LBB377_203
; %bb.201:
	s_cmp_eq_u32 s8, 15
	s_cbranch_scc0 .LBB377_206
; %bb.202:
	global_load_ushort v1, v[2:3], off
	s_mov_b32 s2, 0x2f800000
	s_mov_b32 s3, 0xcf800000
	s_mov_b64 s[4:5], 0
	s_waitcnt vmcnt(0)
	v_lshlrev_b32_e32 v1, 16, v1
	v_trunc_f32_e32 v1, v1
	v_mul_f32_e64 v4, |v1|, s2
	v_floor_f32_e32 v4, v4
	v_fma_f32 v5, v4, s3, |v1|
	v_cvt_u32_f32_e32 v4, v4
	v_cvt_u32_f32_e32 v5, v5
	v_ashrrev_i32_e32 v1, 31, v1
	s_mov_b64 s[2:3], -1
	v_xor_b32_e32 v6, v4, v1
	v_xor_b32_e32 v4, v5, v1
	v_sub_co_u32_e32 v4, vcc, v4, v1
	s_nop 1
	v_subb_co_u32_e32 v5, vcc, v6, v1, vcc
	s_branch .LBB377_207
.LBB377_203:
	s_mov_b64 s[6:7], -1
                                        ; implicit-def: $vgpr4_vgpr5
	s_branch .LBB377_208
.LBB377_204:
	s_andn2_saveexec_b64 s[2:3], s[2:3]
	s_cbranch_execz .LBB377_185
.LBB377_205:
	v_cmp_ne_u16_e32 vcc, 0, v1
	s_andn2_b64 s[6:7], s[6:7], exec
	s_and_b64 s[10:11], vcc, exec
	s_or_b64 s[6:7], s[6:7], s[10:11]
	s_or_b64 exec, exec, s[2:3]
	v_mov_b64_e32 v[4:5], 0
	s_and_saveexec_b64 s[2:3], s[6:7]
	s_cbranch_execnz .LBB377_186
	s_branch .LBB377_187
.LBB377_206:
	s_mov_b64 s[4:5], -1
                                        ; implicit-def: $vgpr4_vgpr5
.LBB377_207:
	s_mov_b64 s[6:7], 0
.LBB377_208:
	s_and_b64 vcc, exec, s[6:7]
	s_cbranch_vccz .LBB377_212
; %bb.209:
	s_cmp_eq_u32 s8, 11
	s_cbranch_scc0 .LBB377_211
; %bb.210:
	global_load_ubyte v1, v[2:3], off
	s_mov_b32 s4, 0
	s_mov_b64 s[2:3], -1
	s_waitcnt vmcnt(1)
	v_mov_b32_e32 v5, s4
	s_mov_b64 s[4:5], 0
	s_waitcnt vmcnt(0)
	v_cmp_ne_u16_e32 vcc, 0, v1
	s_nop 1
	v_cndmask_b32_e64 v4, 0, 1, vcc
	s_branch .LBB377_212
.LBB377_211:
	s_mov_b64 s[4:5], -1
                                        ; implicit-def: $vgpr4_vgpr5
.LBB377_212:
	s_branch .LBB377_25
.LBB377_213:
	s_cmp_lt_i32 s8, 5
	s_cbranch_scc1 .LBB377_218
; %bb.214:
	s_cmp_lt_i32 s8, 8
	s_cbranch_scc1 .LBB377_219
; %bb.215:
	;; [unrolled: 3-line block ×3, first 2 shown]
	s_cmp_gt_i32 s8, 9
	s_cbranch_scc0 .LBB377_221
; %bb.217:
	global_load_dwordx2 v[4:5], v[2:3], off
	s_movk_i32 s2, 0xffe0
	s_waitcnt vmcnt(0)
	v_trunc_f64_e32 v[6:7], v[4:5]
	v_ldexp_f64 v[4:5], v[6:7], s2
	v_floor_f64_e32 v[8:9], v[4:5]
	v_fmac_f64_e32 v[6:7], 0xc1f00000, v[8:9]
	v_cvt_i32_f64_e32 v5, v[8:9]
	v_cvt_u32_f64_e32 v4, v[6:7]
	s_mov_b64 s[2:3], 0
	s_branch .LBB377_222
.LBB377_218:
                                        ; implicit-def: $vgpr4_vgpr5
	s_branch .LBB377_240
.LBB377_219:
	s_mov_b64 s[2:3], -1
                                        ; implicit-def: $vgpr4_vgpr5
	s_branch .LBB377_228
.LBB377_220:
	s_mov_b64 s[2:3], -1
                                        ; implicit-def: $vgpr4_vgpr5
	s_branch .LBB377_225
.LBB377_221:
	s_mov_b64 s[2:3], -1
                                        ; implicit-def: $vgpr4_vgpr5
.LBB377_222:
	s_andn2_b64 vcc, exec, s[2:3]
	s_cbranch_vccnz .LBB377_224
; %bb.223:
	global_load_dword v1, v[2:3], off
	s_mov_b32 s2, 0x2f800000
	s_mov_b32 s3, 0xcf800000
	s_waitcnt vmcnt(0)
	v_trunc_f32_e32 v1, v1
	v_mul_f32_e64 v4, |v1|, s2
	v_floor_f32_e32 v4, v4
	v_cvt_u32_f32_e32 v5, v4
	v_fma_f32 v4, v4, s3, |v1|
	v_cvt_u32_f32_e32 v4, v4
	v_ashrrev_i32_e32 v1, 31, v1
	v_xor_b32_e32 v5, v5, v1
	v_xor_b32_e32 v4, v4, v1
	v_sub_co_u32_e32 v4, vcc, v4, v1
	s_nop 1
	v_subb_co_u32_e32 v5, vcc, v5, v1, vcc
.LBB377_224:
	s_mov_b64 s[2:3], 0
.LBB377_225:
	s_andn2_b64 vcc, exec, s[2:3]
	s_cbranch_vccnz .LBB377_227
; %bb.226:
	global_load_dword v1, v[2:3], off
	s_waitcnt vmcnt(0)
	v_cvt_f32_f16_e32 v1, v1
	v_cvt_i32_f32_e32 v4, v1
	v_ashrrev_i32_e32 v5, 31, v4
.LBB377_227:
	s_mov_b64 s[2:3], 0
.LBB377_228:
	s_andn2_b64 vcc, exec, s[2:3]
	s_cbranch_vccnz .LBB377_239
; %bb.229:
	s_cmp_lt_i32 s8, 6
	s_cbranch_scc1 .LBB377_232
; %bb.230:
	s_cmp_gt_i32 s8, 6
	s_cbranch_scc0 .LBB377_233
; %bb.231:
	global_load_dwordx2 v[4:5], v[2:3], off
	s_movk_i32 s2, 0xffe0
	s_waitcnt vmcnt(0)
	v_trunc_f64_e32 v[6:7], v[4:5]
	v_ldexp_f64 v[4:5], v[6:7], s2
	v_floor_f64_e32 v[8:9], v[4:5]
	v_fmac_f64_e32 v[6:7], 0xc1f00000, v[8:9]
	v_cvt_i32_f64_e32 v5, v[8:9]
	v_cvt_u32_f64_e32 v4, v[6:7]
	s_mov_b64 s[2:3], 0
	s_branch .LBB377_234
.LBB377_232:
	s_mov_b64 s[2:3], -1
                                        ; implicit-def: $vgpr4_vgpr5
	s_branch .LBB377_237
.LBB377_233:
	s_mov_b64 s[2:3], -1
                                        ; implicit-def: $vgpr4_vgpr5
.LBB377_234:
	s_andn2_b64 vcc, exec, s[2:3]
	s_cbranch_vccnz .LBB377_236
; %bb.235:
	global_load_dword v1, v[2:3], off
	s_mov_b32 s2, 0x2f800000
	s_mov_b32 s3, 0xcf800000
	s_waitcnt vmcnt(0)
	v_trunc_f32_e32 v1, v1
	v_mul_f32_e64 v4, |v1|, s2
	v_floor_f32_e32 v4, v4
	v_cvt_u32_f32_e32 v5, v4
	v_fma_f32 v4, v4, s3, |v1|
	v_cvt_u32_f32_e32 v4, v4
	v_ashrrev_i32_e32 v1, 31, v1
	v_xor_b32_e32 v5, v5, v1
	v_xor_b32_e32 v4, v4, v1
	v_sub_co_u32_e32 v4, vcc, v4, v1
	s_nop 1
	v_subb_co_u32_e32 v5, vcc, v5, v1, vcc
.LBB377_236:
	s_mov_b64 s[2:3], 0
.LBB377_237:
	s_andn2_b64 vcc, exec, s[2:3]
	s_cbranch_vccnz .LBB377_239
; %bb.238:
	global_load_ushort v1, v[2:3], off
	s_waitcnt vmcnt(0)
	v_cvt_f32_f16_e32 v1, v1
	v_cvt_i32_f32_e32 v4, v1
	v_ashrrev_i32_e32 v5, 31, v4
.LBB377_239:
	s_cbranch_execnz .LBB377_259
.LBB377_240:
	s_cmp_lt_i32 s8, 2
	s_cbranch_scc1 .LBB377_244
; %bb.241:
	s_cmp_lt_i32 s8, 3
	s_cbranch_scc1 .LBB377_245
; %bb.242:
	s_cmp_gt_i32 s8, 3
	s_cbranch_scc0 .LBB377_246
; %bb.243:
	global_load_dwordx2 v[4:5], v[2:3], off
	s_mov_b64 s[2:3], 0
	s_branch .LBB377_247
.LBB377_244:
	s_mov_b64 s[2:3], -1
                                        ; implicit-def: $vgpr4_vgpr5
	s_branch .LBB377_253
.LBB377_245:
	s_mov_b64 s[2:3], -1
                                        ; implicit-def: $vgpr4_vgpr5
	s_branch .LBB377_250
.LBB377_246:
	s_mov_b64 s[2:3], -1
                                        ; implicit-def: $vgpr4_vgpr5
.LBB377_247:
	s_andn2_b64 vcc, exec, s[2:3]
	s_cbranch_vccnz .LBB377_249
; %bb.248:
	global_load_dword v4, v[2:3], off
	s_waitcnt vmcnt(0)
	v_ashrrev_i32_e32 v5, 31, v4
.LBB377_249:
	s_mov_b64 s[2:3], 0
.LBB377_250:
	s_andn2_b64 vcc, exec, s[2:3]
	s_cbranch_vccnz .LBB377_252
; %bb.251:
	global_load_ushort v1, v[2:3], off
	s_waitcnt vmcnt(0)
	v_bfe_i32 v4, v1, 0, 16
	v_ashrrev_i32_e32 v5, 31, v4
.LBB377_252:
	s_mov_b64 s[2:3], 0
.LBB377_253:
	s_andn2_b64 vcc, exec, s[2:3]
	s_cbranch_vccnz .LBB377_259
; %bb.254:
	s_cmp_gt_i32 s8, 0
	s_cbranch_scc0 .LBB377_256
; %bb.255:
	global_load_sbyte v1, v[2:3], off
	s_mov_b64 s[2:3], 0
	s_waitcnt vmcnt(0)
	v_bfe_i32 v4, v1, 0, 16
	v_ashrrev_i32_e32 v5, 31, v4
	s_branch .LBB377_257
.LBB377_256:
	s_mov_b64 s[2:3], -1
                                        ; implicit-def: $vgpr4_vgpr5
.LBB377_257:
	s_andn2_b64 vcc, exec, s[2:3]
	s_cbranch_vccnz .LBB377_259
; %bb.258:
	global_load_ubyte v1, v[2:3], off
	s_mov_b32 s2, 0
	s_waitcnt vmcnt(1)
	v_mov_b32_e32 v5, s2
	s_waitcnt vmcnt(0)
	v_and_b32_e32 v4, 0xffff, v1
.LBB377_259:
	s_branch .LBB377_26
.LBB377_260:
	s_mov_b64 s[2:3], 0
.LBB377_261:
	s_mov_b64 s[6:7], 0
                                        ; implicit-def: $vgpr12
.LBB377_262:
	s_and_b64 s[56:57], s[2:3], exec
	s_and_b64 s[58:59], s[4:5], exec
	s_orn2_b64 s[4:5], s[6:7], exec
.LBB377_263:
	s_or_b64 exec, exec, s[60:61]
	s_mov_b64 s[8:9], 0
	s_mov_b64 s[2:3], 0
                                        ; implicit-def: $vgpr2_vgpr3
                                        ; implicit-def: $vgpr0
                                        ; implicit-def: $vgpr6_vgpr7
	s_and_saveexec_b64 s[60:61], s[4:5]
	s_cbranch_execz .LBB377_271
; %bb.264:
	v_cmp_gt_i32_e32 vcc, s72, v12
	s_mov_b64 s[2:3], -1
	s_mov_b64 s[62:63], s[58:59]
	s_mov_b64 s[64:65], s[56:57]
	s_and_saveexec_b64 s[66:67], vcc
	s_cbranch_execz .LBB377_536
; %bb.265:
	s_andn2_b64 vcc, exec, s[42:43]
	s_cbranch_vccnz .LBB377_274
; %bb.266:
	s_andn2_b64 vcc, exec, s[54:55]
	s_cbranch_vccnz .LBB377_275
; %bb.267:
	s_add_i32 s65, s77, 1
	s_cmp_eq_u32 s74, 2
	s_cbranch_scc1 .LBB377_276
; %bb.268:
	s_and_b32 s64, s65, 28
	s_mov_b32 s68, 0
	v_mov_b32_e32 v0, 0
	v_mov_b32_e32 v2, 0
	s_mov_b64 s[2:3], s[34:35]
	s_mov_b64 s[62:63], s[52:53]
	s_waitcnt vmcnt(0)
	v_mov_b32_e32 v4, v12
.LBB377_269:                            ; =>This Inner Loop Header: Depth=1
	s_load_dwordx8 s[12:19], s[2:3], 0x4
	s_load_dwordx4 s[36:39], s[2:3], 0x24
	s_load_dwordx8 s[4:11], s[62:63], 0x0
	s_add_u32 s2, s2, 48
	s_addc_u32 s3, s3, 0
	s_waitcnt lgkmcnt(0)
	v_mul_hi_u32 v1, s13, v4
	v_add_u32_e32 v1, v4, v1
	v_lshrrev_b32_e32 v1, s14, v1
	v_mul_lo_u32 v3, v1, s12
	v_mul_hi_u32 v5, s16, v1
	v_sub_u32_e32 v3, v4, v3
	v_add_u32_e32 v4, v1, v5
	v_lshrrev_b32_e32 v4, s17, v4
	v_mul_lo_u32 v6, v4, s15
	v_mul_hi_u32 v7, s19, v4
	v_sub_u32_e32 v1, v1, v6
	v_add_u32_e32 v6, v4, v7
	v_mul_lo_u32 v5, v3, s5
	v_mul_lo_u32 v3, v3, s4
	;; [unrolled: 1-line block ×4, first 2 shown]
	v_lshrrev_b32_e32 v6, s36, v6
	v_add3_u32 v0, v3, v0, v1
	v_mul_hi_u32 v3, s38, v6
	v_add3_u32 v1, v5, v2, v7
	v_mul_lo_u32 v2, v6, s18
	v_add_u32_e32 v3, v6, v3
	v_sub_u32_e32 v2, v4, v2
	v_lshrrev_b32_e32 v4, s39, v3
	s_add_i32 s68, s68, 4
	v_mul_lo_u32 v3, v4, s37
	s_add_u32 s62, s62, 32
	v_sub_u32_e32 v3, v6, v3
	s_addc_u32 s63, s63, 0
	v_mul_lo_u32 v5, v2, s8
	v_mul_lo_u32 v2, v2, s9
	v_mul_lo_u32 v6, v3, s10
	v_mul_lo_u32 v3, v3, s11
	s_cmp_eq_u32 s64, s68
	v_add3_u32 v2, v2, v1, v3
	v_add3_u32 v0, v5, v0, v6
	s_cbranch_scc0 .LBB377_269
; %bb.270:
	v_mov_b32_e32 v1, v2
	s_branch .LBB377_277
.LBB377_271:
	s_or_b64 exec, exec, s[60:61]
	s_mov_b64 s[4:5], 0
	s_and_saveexec_b64 s[6:7], s[58:59]
	s_cbranch_execnz .LBB377_906
.LBB377_272:
	s_or_b64 exec, exec, s[6:7]
	s_and_saveexec_b64 s[6:7], s[64:65]
	s_xor_b64 s[6:7], exec, s[6:7]
	s_cbranch_execz .LBB377_907
.LBB377_273:
	global_load_ubyte v1, v[2:3], off
	s_mov_b32 s10, 0
	s_waitcnt vmcnt(1)
	v_mov_b32_e32 v7, s10
	s_or_b64 s[2:3], s[2:3], exec
	s_waitcnt vmcnt(0)
	v_cmp_ne_u16_e32 vcc, 0, v1
	s_nop 1
	v_cndmask_b32_e64 v6, 0, 1, vcc
	s_or_b64 exec, exec, s[6:7]
	s_and_saveexec_b64 s[6:7], s[8:9]
	s_cbranch_execz .LBB377_953
	s_branch .LBB377_908
.LBB377_274:
                                        ; implicit-def: $vgpr2
                                        ; implicit-def: $vgpr0
	s_andn2_b64 vcc, exec, s[2:3]
	s_cbranch_vccz .LBB377_281
	s_branch .LBB377_283
.LBB377_275:
	v_mov_b32_e32 v2, 0
	v_mov_b32_e32 v0, 0
	s_branch .LBB377_280
.LBB377_276:
	v_mov_b32_e32 v0, 0
	s_mov_b32 s64, 0
	v_mov_b32_e32 v1, v0
                                        ; implicit-def: $vgpr2
	s_waitcnt vmcnt(0)
	v_mov_b32_e32 v4, v12
.LBB377_277:
	s_and_b32 s6, s65, 3
	s_cmp_eq_u32 s6, 0
	s_cbranch_scc1 .LBB377_280
; %bb.278:
	s_lshl_b32 s2, s64, 3
	s_add_u32 s2, s34, s2
	s_addc_u32 s3, s35, 0
	s_add_u32 s2, s2, 0xc4
	s_addc_u32 s3, s3, 0
	s_mul_i32 s4, s64, 12
	s_add_u32 s4, s34, s4
	s_addc_u32 s5, s35, 0
.LBB377_279:                            ; =>This Inner Loop Header: Depth=1
	s_load_dwordx2 s[8:9], s[4:5], 0x4
	s_load_dword s7, s[4:5], 0xc
	s_load_dwordx2 s[10:11], s[2:3], 0x0
	v_mov_b32_e32 v2, v1
	s_add_u32 s4, s4, 12
	s_waitcnt lgkmcnt(0)
	v_mul_hi_u32 v1, s9, v4
	v_add_u32_e32 v1, v4, v1
	v_lshrrev_b32_e32 v1, s7, v1
	s_addc_u32 s5, s5, 0
	v_mul_lo_u32 v3, v1, s8
	s_add_u32 s2, s2, 8
	v_sub_u32_e32 v5, v4, v3
	s_addc_u32 s3, s3, 0
	s_add_i32 s6, s6, -1
	v_mov_b32_e32 v4, v1
	v_mad_u64_u32 v[2:3], s[8:9], v5, s11, v[2:3]
	v_mad_u64_u32 v[0:1], s[8:9], v5, s10, v[0:1]
	s_cmp_lg_u32 s6, 0
	v_mov_b32_e32 v1, v2
	s_cbranch_scc1 .LBB377_279
.LBB377_280:
	s_cbranch_execnz .LBB377_283
.LBB377_281:
	v_mul_hi_u32 v0, s25, v12
	v_add_u32_e32 v0, v12, v0
	v_lshrrev_b32_e32 v1, s26, v0
	v_mul_lo_u32 v0, v1, s24
	v_sub_u32_e32 v0, v12, v0
	v_mul_lo_u32 v2, v0, s29
	s_andn2_b64 vcc, exec, s[50:51]
	v_mul_lo_u32 v0, v0, s28
	s_cbranch_vccnz .LBB377_283
; %bb.282:
	v_mul_hi_u32 v3, s48, v1
	v_add_u32_e32 v3, v1, v3
	v_lshrrev_b32_e32 v3, s49, v3
	v_mul_lo_u32 v3, v3, s27
	v_sub_u32_e32 v3, v1, v3
	v_mad_u64_u32 v[0:1], s[2:3], v3, s30, v[0:1]
	v_mad_u64_u32 v[2:3], s[2:3], v3, s31, v[2:3]
.LBB377_283:
	v_mov_b32_e32 v3, 0
	s_and_b32 s8, 0xffff, s76
	s_cmp_lt_i32 s8, 11
	v_lshl_add_u64 v[2:3], s[22:23], 0, v[2:3]
	s_cbranch_scc1 .LBB377_290
; %bb.284:
	s_cmp_gt_i32 s8, 25
	s_cbranch_scc0 .LBB377_299
; %bb.285:
	s_cmp_gt_i32 s8, 28
	s_cbranch_scc0 .LBB377_301
	;; [unrolled: 3-line block ×4, first 2 shown]
; %bb.288:
	s_cmp_eq_u32 s8, 46
	s_mov_b64 s[6:7], 0
	s_cbranch_scc0 .LBB377_311
; %bb.289:
	global_load_dword v1, v[2:3], off
	s_mov_b32 s2, 0x2f800000
	s_mov_b32 s3, 0xcf800000
	s_mov_b64 s[4:5], 0
	s_waitcnt vmcnt(0)
	v_lshlrev_b32_e32 v1, 16, v1
	v_trunc_f32_e32 v1, v1
	v_mul_f32_e64 v4, |v1|, s2
	v_floor_f32_e32 v4, v4
	v_fma_f32 v5, v4, s3, |v1|
	v_cvt_u32_f32_e32 v4, v4
	v_cvt_u32_f32_e32 v5, v5
	v_ashrrev_i32_e32 v1, 31, v1
	s_mov_b64 s[2:3], -1
	v_xor_b32_e32 v6, v4, v1
	v_xor_b32_e32 v4, v5, v1
	v_sub_co_u32_e32 v4, vcc, v4, v1
	s_nop 1
	v_subb_co_u32_e32 v5, vcc, v6, v1, vcc
	s_branch .LBB377_312
.LBB377_290:
	s_mov_b64 s[2:3], 0
                                        ; implicit-def: $vgpr4_vgpr5
	s_mov_b64 s[4:5], s[58:59]
	s_cbranch_execnz .LBB377_485
.LBB377_291:
	s_andn2_b64 vcc, exec, s[2:3]
	s_cbranch_vccnz .LBB377_533
.LBB377_292:
	v_mov_b32_e32 v1, s47
	s_waitcnt vmcnt(0)
	v_cmp_lt_i64_e32 vcc, s[46:47], v[4:5]
	s_and_b32 s12, s75, 0xff
	s_cmp_lt_i32 s12, 11
	v_cndmask_b32_e32 v3, v1, v5, vcc
	v_mov_b32_e32 v1, s46
	v_cndmask_b32_e32 v2, v1, v4, vcc
	v_mov_b32_e32 v1, 0
	v_lshl_add_u64 v[0:1], s[20:21], 0, v[0:1]
	s_cbranch_scc1 .LBB377_300
; %bb.293:
	s_and_b32 s13, 0xffff, s12
	s_cmp_gt_i32 s13, 25
	s_cbranch_scc0 .LBB377_302
; %bb.294:
	s_cmp_gt_i32 s13, 28
	s_cbranch_scc0 .LBB377_304
; %bb.295:
	;; [unrolled: 3-line block ×4, first 2 shown]
	s_mov_b64 s[8:9], 0
	s_mov_b64 s[2:3], -1
	s_cmp_eq_u32 s13, 46
	s_mov_b64 s[6:7], 0
	s_cbranch_scc0 .LBB377_316
; %bb.298:
	v_xor_b32_e32 v5, v2, v3
	v_ffbh_i32_e32 v4, v3
	v_ashrrev_i32_e32 v5, 31, v5
	v_add_u32_e32 v4, -1, v4
	v_add_u32_e32 v5, 32, v5
	v_min_u32_e32 v6, v4, v5
	v_lshlrev_b64 v[4:5], v6, v[2:3]
	v_min_u32_e32 v4, 1, v4
	v_or_b32_e32 v4, v5, v4
	v_cvt_f32_i32_e32 v4, v4
	v_sub_u32_e32 v5, 32, v6
	s_movk_i32 s2, 0x7fff
	s_mov_b64 s[6:7], -1
	v_ldexp_f32 v4, v4, v5
	v_bfe_u32 v5, v4, 16, 1
	v_add3_u32 v4, v4, v5, s2
	v_lshrrev_b32_e32 v4, 16, v4
	global_store_dword v[0:1], v4, off
	s_mov_b64 s[2:3], 0
	s_branch .LBB377_316
.LBB377_299:
	s_mov_b64 s[6:7], -1
	s_mov_b64 s[2:3], 0
	s_mov_b64 s[4:5], s[58:59]
                                        ; implicit-def: $vgpr4_vgpr5
	s_branch .LBB377_451
.LBB377_300:
	s_mov_b64 s[8:9], -1
	s_mov_b64 s[6:7], 0
	s_mov_b64 s[2:3], s[56:57]
	s_branch .LBB377_385
.LBB377_301:
	s_mov_b64 s[6:7], -1
	s_mov_b64 s[2:3], 0
	s_mov_b64 s[4:5], s[58:59]
                                        ; implicit-def: $vgpr4_vgpr5
	s_branch .LBB377_434
.LBB377_302:
	s_mov_b64 s[8:9], -1
	s_mov_b64 s[6:7], 0
	s_mov_b64 s[2:3], s[56:57]
	s_branch .LBB377_343
.LBB377_303:
	s_mov_b64 s[6:7], -1
	s_mov_b64 s[2:3], 0
	s_mov_b64 s[4:5], s[58:59]
                                        ; implicit-def: $vgpr4_vgpr5
	s_branch .LBB377_429
.LBB377_304:
	s_mov_b64 s[8:9], -1
	s_mov_b64 s[6:7], 0
	s_mov_b64 s[2:3], s[56:57]
	s_branch .LBB377_326
.LBB377_305:
	s_andn2_saveexec_b64 s[10:11], s[10:11]
	s_cbranch_execz .LBB377_69
.LBB377_306:
	s_mov_b32 s14, 0x46000000
	v_add_f32_e64 v5, |v4|, s14
	v_and_b32_e32 v5, 0xff, v5
	v_cmp_ne_u32_e32 vcc, 0, v5
	s_andn2_b64 s[8:9], s[8:9], exec
	s_and_b64 s[14:15], vcc, exec
	s_or_b64 s[8:9], s[8:9], s[14:15]
	s_or_b64 exec, exec, s[10:11]
	v_mov_b32_e32 v6, 0
	s_and_saveexec_b64 s[10:11], s[8:9]
	s_cbranch_execnz .LBB377_70
	s_branch .LBB377_71
.LBB377_307:
	s_mov_b64 s[6:7], -1
	s_mov_b64 s[2:3], 0
	s_mov_b64 s[4:5], s[58:59]
                                        ; implicit-def: $vgpr4_vgpr5
	s_branch .LBB377_312
.LBB377_308:
	s_mov_b64 s[8:9], -1
	s_mov_b64 s[6:7], 0
	s_mov_b64 s[2:3], s[56:57]
	s_branch .LBB377_322
.LBB377_309:
	s_andn2_saveexec_b64 s[10:11], s[10:11]
	s_cbranch_execz .LBB377_82
.LBB377_310:
	s_mov_b32 s14, 0x42800000
	v_add_f32_e64 v5, |v4|, s14
	v_and_b32_e32 v5, 0xff, v5
	v_cmp_ne_u32_e32 vcc, 0, v5
	s_andn2_b64 s[8:9], s[8:9], exec
	s_and_b64 s[14:15], vcc, exec
	s_or_b64 s[8:9], s[8:9], s[14:15]
	s_or_b64 exec, exec, s[10:11]
	v_mov_b32_e32 v6, 0
	s_and_saveexec_b64 s[10:11], s[8:9]
	s_cbranch_execnz .LBB377_83
	s_branch .LBB377_84
.LBB377_311:
	s_mov_b64 s[4:5], -1
                                        ; implicit-def: $vgpr4_vgpr5
	s_mov_b64 s[2:3], 0
.LBB377_312:
	s_and_b64 vcc, exec, s[6:7]
	s_cbranch_vccz .LBB377_428
; %bb.313:
	s_cmp_eq_u32 s8, 44
	s_cbranch_scc0 .LBB377_427
; %bb.314:
	global_load_ubyte v1, v[2:3], off
	s_mov_b32 s2, 0x2f800000
	s_mov_b32 s3, 0xcf800000
	s_mov_b64 s[4:5], 0
	s_waitcnt vmcnt(0)
	v_lshlrev_b32_e32 v4, 23, v1
	v_trunc_f32_e32 v4, v4
	v_mul_f32_e64 v5, |v4|, s2
	v_floor_f32_e32 v5, v5
	v_fma_f32 v6, v5, s3, |v4|
	v_cvt_u32_f32_e32 v6, v6
	v_cvt_u32_f32_e32 v5, v5
	v_ashrrev_i32_e32 v4, 31, v4
	s_mov_b64 s[2:3], -1
	v_xor_b32_e32 v6, v6, v4
	v_xor_b32_e32 v5, v5, v4
	v_sub_co_u32_e32 v6, vcc, v6, v4
	s_nop 1
	v_subb_co_u32_e32 v4, vcc, v5, v4, vcc
	v_cmp_ne_u32_e32 vcc, 0, v1
	s_nop 1
	v_cndmask_b32_e32 v5, 0, v4, vcc
	v_cndmask_b32_e32 v4, 0, v6, vcc
	s_branch .LBB377_428
.LBB377_315:
	s_mov_b64 s[8:9], -1
	s_mov_b64 s[6:7], 0
	s_mov_b64 s[2:3], s[56:57]
.LBB377_316:
	s_and_b64 vcc, exec, s[8:9]
	s_cbranch_vccz .LBB377_321
; %bb.317:
	s_cmp_eq_u32 s13, 44
	s_mov_b64 s[2:3], -1
	s_cbranch_scc0 .LBB377_321
; %bb.318:
	v_xor_b32_e32 v5, v2, v3
	v_ffbh_i32_e32 v4, v3
	v_ashrrev_i32_e32 v5, 31, v5
	v_add_u32_e32 v4, -1, v4
	v_add_u32_e32 v5, 32, v5
	v_min_u32_e32 v6, v4, v5
	v_lshlrev_b64 v[4:5], v6, v[2:3]
	v_min_u32_e32 v4, 1, v4
	v_or_b32_e32 v4, v5, v4
	v_cvt_f32_i32_e32 v4, v4
	v_sub_u32_e32 v5, 32, v6
	s_movk_i32 s2, 0xff
	v_mov_b32_e32 v6, 0xff
	v_ldexp_f32 v4, v4, v5
	v_bfe_u32 v5, v4, 23, 8
	v_cmp_ne_u32_e32 vcc, s2, v5
	s_and_saveexec_b64 s[6:7], vcc
; %bb.319:
	s_mov_b32 s2, 0x3fffff
	v_lshrrev_b32_e32 v6, 23, v4
	v_and_b32_e32 v7, 0x400000, v4
	v_and_or_b32 v4, v4, s2, v5
	v_cmp_ne_u32_e32 vcc, 0, v7
	v_cmp_ne_u32_e64 s[2:3], 0, v4
	s_and_b64 s[2:3], vcc, s[2:3]
	s_nop 0
	v_cndmask_b32_e64 v4, 0, 1, s[2:3]
	v_add_u32_e32 v6, v6, v4
; %bb.320:
	s_or_b64 exec, exec, s[6:7]
	s_mov_b64 s[6:7], -1
	s_mov_b64 s[2:3], 0
	global_store_byte v[0:1], v6, off
.LBB377_321:
	s_mov_b64 s[8:9], 0
.LBB377_322:
	s_and_b64 vcc, exec, s[8:9]
	s_cbranch_vccz .LBB377_325
; %bb.323:
	s_cmp_eq_u32 s13, 29
	s_mov_b64 s[2:3], -1
	s_cbranch_scc0 .LBB377_325
; %bb.324:
	global_store_dwordx2 v[0:1], v[2:3], off
	s_mov_b64 s[6:7], -1
	s_mov_b64 s[2:3], 0
.LBB377_325:
	s_mov_b64 s[8:9], 0
.LBB377_326:
	s_and_b64 vcc, exec, s[8:9]
	s_cbranch_vccz .LBB377_342
; %bb.327:
	s_cmp_lt_i32 s13, 27
	s_mov_b64 s[6:7], -1
	s_cbranch_scc1 .LBB377_333
; %bb.328:
	s_cmp_gt_i32 s13, 27
	s_cbranch_scc0 .LBB377_330
; %bb.329:
	s_mov_b64 s[6:7], 0
	global_store_dword v[0:1], v2, off
.LBB377_330:
	s_andn2_b64 vcc, exec, s[6:7]
	s_cbranch_vccnz .LBB377_332
; %bb.331:
	global_store_short v[0:1], v2, off
.LBB377_332:
	s_mov_b64 s[6:7], 0
.LBB377_333:
	s_andn2_b64 vcc, exec, s[6:7]
	s_cbranch_vccnz .LBB377_341
; %bb.334:
	v_xor_b32_e32 v5, v2, v3
	v_ffbh_i32_e32 v4, v3
	v_ashrrev_i32_e32 v5, 31, v5
	v_add_u32_e32 v4, -1, v4
	v_add_u32_e32 v5, 32, v5
	v_min_u32_e32 v6, v4, v5
	v_lshlrev_b64 v[4:5], v6, v[2:3]
	v_min_u32_e32 v4, 1, v4
	v_or_b32_e32 v4, v5, v4
	v_cvt_f32_i32_e32 v4, v4
	v_sub_u32_e32 v5, 32, v6
	s_mov_b32 s6, 0x43800000
	v_mov_b32_e32 v6, 0x80
	v_ldexp_f32 v4, v4, v5
	v_and_b32_e32 v5, 0x7fffffff, v4
	v_cmp_gt_u32_e32 vcc, s6, v5
	s_and_saveexec_b64 s[6:7], vcc
	s_cbranch_execz .LBB377_340
; %bb.335:
	s_mov_b32 s8, 0x3bffffff
	v_cmp_lt_u32_e32 vcc, s8, v5
	s_mov_b64 s[8:9], 0
                                        ; implicit-def: $vgpr5
	s_and_saveexec_b64 s[10:11], vcc
	s_xor_b64 s[10:11], exec, s[10:11]
	s_cbranch_execz .LBB377_565
; %bb.336:
	v_bfe_u32 v5, v4, 20, 1
	s_mov_b32 s14, 0x487ffff
	v_add3_u32 v5, v4, v5, s14
	s_mov_b64 s[8:9], exec
	v_lshrrev_b32_e32 v5, 20, v5
	s_andn2_saveexec_b64 s[10:11], s[10:11]
	s_cbranch_execnz .LBB377_566
.LBB377_337:
	s_or_b64 exec, exec, s[10:11]
	v_mov_b32_e32 v6, 0
	s_and_saveexec_b64 s[10:11], s[8:9]
.LBB377_338:
	v_lshrrev_b32_e32 v4, 24, v4
	s_movk_i32 s8, 0x80
	v_and_or_b32 v6, v4, s8, v5
.LBB377_339:
	s_or_b64 exec, exec, s[10:11]
.LBB377_340:
	s_or_b64 exec, exec, s[6:7]
	global_store_byte v[0:1], v6, off
.LBB377_341:
	s_mov_b64 s[6:7], -1
.LBB377_342:
	s_mov_b64 s[8:9], 0
.LBB377_343:
	s_and_b64 vcc, exec, s[8:9]
	s_cbranch_vccz .LBB377_384
; %bb.344:
	s_cmp_gt_i32 s13, 22
	s_mov_b64 s[8:9], -1
	s_cbranch_scc0 .LBB377_376
; %bb.345:
	s_cmp_lt_i32 s13, 24
	s_mov_b64 s[6:7], -1
	s_cbranch_scc1 .LBB377_365
; %bb.346:
	s_cmp_gt_i32 s13, 24
	s_cbranch_scc0 .LBB377_354
; %bb.347:
	v_xor_b32_e32 v5, v2, v3
	v_ffbh_i32_e32 v4, v3
	v_ashrrev_i32_e32 v5, 31, v5
	v_add_u32_e32 v4, -1, v4
	v_add_u32_e32 v5, 32, v5
	v_min_u32_e32 v6, v4, v5
	v_lshlrev_b64 v[4:5], v6, v[2:3]
	v_min_u32_e32 v4, 1, v4
	v_or_b32_e32 v4, v5, v4
	v_cvt_f32_i32_e32 v4, v4
	v_sub_u32_e32 v5, 32, v6
	s_mov_b32 s6, 0x47800000
	v_mov_b32_e32 v6, 0x80
	v_ldexp_f32 v4, v4, v5
	v_and_b32_e32 v5, 0x7fffffff, v4
	v_cmp_gt_u32_e32 vcc, s6, v5
	s_and_saveexec_b64 s[6:7], vcc
	s_cbranch_execz .LBB377_353
; %bb.348:
	s_mov_b32 s8, 0x37ffffff
	v_cmp_lt_u32_e32 vcc, s8, v5
	s_mov_b64 s[8:9], 0
                                        ; implicit-def: $vgpr5
	s_and_saveexec_b64 s[10:11], vcc
	s_xor_b64 s[10:11], exec, s[10:11]
	s_cbranch_execz .LBB377_568
; %bb.349:
	v_bfe_u32 v5, v4, 21, 1
	s_mov_b32 s14, 0x88fffff
	v_add3_u32 v5, v4, v5, s14
	s_mov_b64 s[8:9], exec
	v_lshrrev_b32_e32 v5, 21, v5
	s_andn2_saveexec_b64 s[10:11], s[10:11]
	s_cbranch_execnz .LBB377_569
.LBB377_350:
	s_or_b64 exec, exec, s[10:11]
	v_mov_b32_e32 v6, 0
	s_and_saveexec_b64 s[10:11], s[8:9]
.LBB377_351:
	v_lshrrev_b32_e32 v4, 24, v4
	s_movk_i32 s8, 0x80
	v_and_or_b32 v6, v4, s8, v5
.LBB377_352:
	s_or_b64 exec, exec, s[10:11]
.LBB377_353:
	s_or_b64 exec, exec, s[6:7]
	s_mov_b64 s[6:7], 0
	global_store_byte v[0:1], v6, off
.LBB377_354:
	s_and_b64 vcc, exec, s[6:7]
	s_cbranch_vccz .LBB377_364
; %bb.355:
	v_xor_b32_e32 v5, v2, v3
	v_ffbh_i32_e32 v4, v3
	v_ashrrev_i32_e32 v5, 31, v5
	v_add_u32_e32 v4, -1, v4
	v_add_u32_e32 v5, 32, v5
	v_min_u32_e32 v6, v4, v5
	v_lshlrev_b64 v[4:5], v6, v[2:3]
	v_min_u32_e32 v4, 1, v4
	v_or_b32_e32 v4, v5, v4
	v_cvt_f32_i32_e32 v4, v4
	v_sub_u32_e32 v5, 32, v6
	s_mov_b32 s6, 0x43f00000
	v_ldexp_f32 v4, v4, v5
	v_and_b32_e32 v6, 0x7fffffff, v4
	v_cmp_gt_u32_e32 vcc, s6, v6
                                        ; implicit-def: $vgpr5
	s_and_saveexec_b64 s[6:7], vcc
	s_xor_b64 s[6:7], exec, s[6:7]
	s_cbranch_execz .LBB377_361
; %bb.356:
	s_mov_b32 s8, 0x3c7fffff
	v_cmp_lt_u32_e32 vcc, s8, v6
                                        ; implicit-def: $vgpr5
	s_and_saveexec_b64 s[8:9], vcc
	s_xor_b64 s[8:9], exec, s[8:9]
; %bb.357:
	v_bfe_u32 v5, v4, 20, 1
	s_mov_b32 s10, 0x407ffff
	v_add3_u32 v5, v4, v5, s10
	v_lshrrev_b32_e32 v6, 20, v5
	v_and_b32_e32 v5, 0xff00000, v5
	s_mov_b32 s10, 0x7f00000
	v_mov_b32_e32 v7, 0x7e
	v_cmp_ne_u32_e32 vcc, s10, v5
	s_nop 1
	v_cndmask_b32_e32 v5, v7, v6, vcc
; %bb.358:
	s_andn2_saveexec_b64 s[8:9], s[8:9]
; %bb.359:
	s_mov_b32 s10, 0x46800000
	v_add_f32_e64 v5, |v4|, s10
; %bb.360:
	s_or_b64 exec, exec, s[8:9]
                                        ; implicit-def: $vgpr6
.LBB377_361:
	s_andn2_saveexec_b64 s[6:7], s[6:7]
; %bb.362:
	s_mov_b32 s8, 0x7f800000
	v_mov_b32_e32 v5, 0x7e
	v_mov_b32_e32 v7, 0x7f
	v_cmp_lt_u32_e32 vcc, s8, v6
	s_nop 1
	v_cndmask_b32_e32 v5, v5, v7, vcc
; %bb.363:
	s_or_b64 exec, exec, s[6:7]
	v_lshrrev_b32_e32 v4, 24, v4
	s_movk_i32 s6, 0x80
	v_and_or_b32 v4, v4, s6, v5
	global_store_byte v[0:1], v4, off
.LBB377_364:
	s_mov_b64 s[6:7], 0
.LBB377_365:
	s_andn2_b64 vcc, exec, s[6:7]
	s_cbranch_vccnz .LBB377_375
; %bb.366:
	v_xor_b32_e32 v5, v2, v3
	v_ffbh_i32_e32 v4, v3
	v_ashrrev_i32_e32 v5, 31, v5
	v_add_u32_e32 v4, -1, v4
	v_add_u32_e32 v5, 32, v5
	v_min_u32_e32 v6, v4, v5
	v_lshlrev_b64 v[4:5], v6, v[2:3]
	v_min_u32_e32 v4, 1, v4
	v_or_b32_e32 v4, v5, v4
	v_cvt_f32_i32_e32 v4, v4
	v_sub_u32_e32 v5, 32, v6
	s_mov_b32 s6, 0x47800000
	v_ldexp_f32 v4, v4, v5
	v_and_b32_e32 v6, 0x7fffffff, v4
	v_cmp_gt_u32_e32 vcc, s6, v6
                                        ; implicit-def: $vgpr5
	s_and_saveexec_b64 s[6:7], vcc
	s_xor_b64 s[6:7], exec, s[6:7]
	s_cbranch_execz .LBB377_372
; %bb.367:
	s_mov_b32 s8, 0x387fffff
	v_cmp_lt_u32_e32 vcc, s8, v6
                                        ; implicit-def: $vgpr5
	s_and_saveexec_b64 s[8:9], vcc
	s_xor_b64 s[8:9], exec, s[8:9]
; %bb.368:
	v_bfe_u32 v5, v4, 21, 1
	s_mov_b32 s10, 0x80fffff
	v_add3_u32 v5, v4, v5, s10
	v_lshrrev_b32_e32 v5, 21, v5
; %bb.369:
	s_andn2_saveexec_b64 s[8:9], s[8:9]
; %bb.370:
	s_mov_b32 s10, 0x43000000
	v_add_f32_e64 v5, |v4|, s10
; %bb.371:
	s_or_b64 exec, exec, s[8:9]
                                        ; implicit-def: $vgpr6
.LBB377_372:
	s_andn2_saveexec_b64 s[6:7], s[6:7]
; %bb.373:
	s_mov_b32 s8, 0x7f800000
	v_mov_b32_e32 v5, 0x7c
	v_mov_b32_e32 v7, 0x7f
	v_cmp_lt_u32_e32 vcc, s8, v6
	s_nop 1
	v_cndmask_b32_e32 v5, v5, v7, vcc
; %bb.374:
	s_or_b64 exec, exec, s[6:7]
	v_lshrrev_b32_e32 v4, 24, v4
	s_movk_i32 s6, 0x80
	v_and_or_b32 v4, v4, s6, v5
	global_store_byte v[0:1], v4, off
.LBB377_375:
	s_mov_b64 s[8:9], 0
	s_mov_b64 s[6:7], -1
.LBB377_376:
	s_andn2_b64 vcc, exec, s[8:9]
	s_cbranch_vccnz .LBB377_384
; %bb.377:
	s_cmp_gt_i32 s13, 14
	s_mov_b64 s[8:9], -1
	s_cbranch_scc0 .LBB377_381
; %bb.378:
	s_cmp_eq_u32 s13, 15
	s_mov_b64 s[2:3], -1
	s_cbranch_scc0 .LBB377_380
; %bb.379:
	v_xor_b32_e32 v5, v2, v3
	v_ffbh_i32_e32 v4, v3
	v_ashrrev_i32_e32 v5, 31, v5
	v_add_u32_e32 v4, -1, v4
	v_add_u32_e32 v5, 32, v5
	v_min_u32_e32 v6, v4, v5
	v_lshlrev_b64 v[4:5], v6, v[2:3]
	v_min_u32_e32 v4, 1, v4
	v_or_b32_e32 v4, v5, v4
	v_cvt_f32_i32_e32 v4, v4
	v_sub_u32_e32 v5, 32, v6
	s_movk_i32 s2, 0x7fff
	s_mov_b64 s[6:7], -1
	v_ldexp_f32 v4, v4, v5
	v_bfe_u32 v5, v4, 16, 1
	v_add3_u32 v4, v4, v5, s2
	global_store_short_d16_hi v[0:1], v4, off
	s_mov_b64 s[2:3], 0
.LBB377_380:
	s_mov_b64 s[8:9], 0
.LBB377_381:
	s_and_b64 vcc, exec, s[8:9]
	s_cbranch_vccz .LBB377_384
; %bb.382:
	s_cmp_eq_u32 s13, 11
	s_mov_b64 s[2:3], -1
	s_cbranch_scc0 .LBB377_384
; %bb.383:
	v_cmp_ne_u64_e32 vcc, 0, v[2:3]
	s_mov_b64 s[2:3], 0
	s_mov_b64 s[6:7], -1
	v_cndmask_b32_e64 v4, 0, 1, vcc
	global_store_byte v[0:1], v4, off
.LBB377_384:
	s_mov_b64 s[8:9], 0
.LBB377_385:
	s_and_b64 vcc, exec, s[8:9]
	s_cbranch_vccz .LBB377_424
; %bb.386:
	s_and_b32 s8, 0xffff, s12
	s_cmp_lt_i32 s8, 5
	s_mov_b64 s[6:7], -1
	s_cbranch_scc1 .LBB377_407
; %bb.387:
	s_cmp_lt_i32 s8, 8
	s_cbranch_scc1 .LBB377_397
; %bb.388:
	s_cmp_lt_i32 s8, 9
	s_cbranch_scc1 .LBB377_394
; %bb.389:
	s_cmp_gt_i32 s8, 9
	s_cbranch_scc0 .LBB377_391
; %bb.390:
	v_cvt_f64_i32_e32 v[4:5], v3
	v_ldexp_f64 v[4:5], v[4:5], 32
	v_cvt_f64_u32_e32 v[6:7], v2
	v_add_f64 v[4:5], v[4:5], v[6:7]
	v_mov_b32_e32 v6, 0
	v_mov_b32_e32 v7, v6
	s_mov_b64 s[6:7], 0
	global_store_dwordx4 v[0:1], v[4:7], off
.LBB377_391:
	s_andn2_b64 vcc, exec, s[6:7]
	s_cbranch_vccnz .LBB377_393
; %bb.392:
	v_xor_b32_e32 v5, v2, v3
	v_ffbh_i32_e32 v4, v3
	v_ashrrev_i32_e32 v5, 31, v5
	v_add_u32_e32 v4, -1, v4
	v_add_u32_e32 v5, 32, v5
	v_min_u32_e32 v6, v4, v5
	v_lshlrev_b64 v[4:5], v6, v[2:3]
	v_min_u32_e32 v4, 1, v4
	v_or_b32_e32 v4, v5, v4
	v_cvt_f32_i32_e32 v4, v4
	v_sub_u32_e32 v5, 32, v6
	v_ldexp_f32 v4, v4, v5
	v_mov_b32_e32 v5, 0
	global_store_dwordx2 v[0:1], v[4:5], off
.LBB377_393:
	s_mov_b64 s[6:7], 0
.LBB377_394:
	s_andn2_b64 vcc, exec, s[6:7]
	s_cbranch_vccnz .LBB377_396
; %bb.395:
	v_xor_b32_e32 v5, v2, v3
	v_ffbh_i32_e32 v4, v3
	v_ashrrev_i32_e32 v5, 31, v5
	v_add_u32_e32 v4, -1, v4
	v_add_u32_e32 v5, 32, v5
	v_min_u32_e32 v6, v4, v5
	v_lshlrev_b64 v[4:5], v6, v[2:3]
	v_min_u32_e32 v4, 1, v4
	v_or_b32_e32 v4, v5, v4
	v_cvt_f32_i32_e32 v4, v4
	v_sub_u32_e32 v5, 32, v6
	v_ldexp_f32 v4, v4, v5
	v_cvt_f16_f32_e32 v4, v4
	global_store_dword v[0:1], v4, off
.LBB377_396:
	s_mov_b64 s[6:7], 0
.LBB377_397:
	s_andn2_b64 vcc, exec, s[6:7]
	s_cbranch_vccnz .LBB377_406
; %bb.398:
	s_cmp_lt_i32 s8, 6
	s_mov_b64 s[6:7], -1
	s_cbranch_scc1 .LBB377_404
; %bb.399:
	s_cmp_gt_i32 s8, 6
	s_cbranch_scc0 .LBB377_401
; %bb.400:
	v_cvt_f64_i32_e32 v[4:5], v3
	v_ldexp_f64 v[4:5], v[4:5], 32
	v_cvt_f64_u32_e32 v[6:7], v2
	v_add_f64 v[4:5], v[4:5], v[6:7]
	s_mov_b64 s[6:7], 0
	global_store_dwordx2 v[0:1], v[4:5], off
.LBB377_401:
	s_andn2_b64 vcc, exec, s[6:7]
	s_cbranch_vccnz .LBB377_403
; %bb.402:
	v_xor_b32_e32 v5, v2, v3
	v_ffbh_i32_e32 v4, v3
	v_ashrrev_i32_e32 v5, 31, v5
	v_add_u32_e32 v4, -1, v4
	v_add_u32_e32 v5, 32, v5
	v_min_u32_e32 v6, v4, v5
	v_lshlrev_b64 v[4:5], v6, v[2:3]
	v_min_u32_e32 v4, 1, v4
	v_or_b32_e32 v4, v5, v4
	v_cvt_f32_i32_e32 v4, v4
	v_sub_u32_e32 v5, 32, v6
	v_ldexp_f32 v4, v4, v5
	global_store_dword v[0:1], v4, off
.LBB377_403:
	s_mov_b64 s[6:7], 0
.LBB377_404:
	s_andn2_b64 vcc, exec, s[6:7]
	s_cbranch_vccnz .LBB377_406
; %bb.405:
	v_xor_b32_e32 v5, v2, v3
	v_ffbh_i32_e32 v4, v3
	v_ashrrev_i32_e32 v5, 31, v5
	v_add_u32_e32 v4, -1, v4
	v_add_u32_e32 v5, 32, v5
	v_min_u32_e32 v6, v4, v5
	v_lshlrev_b64 v[4:5], v6, v[2:3]
	v_min_u32_e32 v4, 1, v4
	v_or_b32_e32 v4, v5, v4
	v_cvt_f32_i32_e32 v4, v4
	v_sub_u32_e32 v5, 32, v6
	v_ldexp_f32 v4, v4, v5
	v_cvt_f16_f32_e32 v4, v4
	global_store_short v[0:1], v4, off
.LBB377_406:
	s_mov_b64 s[6:7], 0
.LBB377_407:
	s_andn2_b64 vcc, exec, s[6:7]
	s_cbranch_vccnz .LBB377_423
; %bb.408:
	s_cmp_lt_i32 s8, 2
	s_mov_b64 s[6:7], -1
	s_cbranch_scc1 .LBB377_418
; %bb.409:
	s_cmp_lt_i32 s8, 3
	s_cbranch_scc1 .LBB377_415
; %bb.410:
	s_cmp_gt_i32 s8, 3
	s_cbranch_scc0 .LBB377_412
; %bb.411:
	s_mov_b64 s[6:7], 0
	global_store_dwordx2 v[0:1], v[2:3], off
.LBB377_412:
	s_andn2_b64 vcc, exec, s[6:7]
	s_cbranch_vccnz .LBB377_414
; %bb.413:
	global_store_dword v[0:1], v2, off
.LBB377_414:
	s_mov_b64 s[6:7], 0
.LBB377_415:
	s_andn2_b64 vcc, exec, s[6:7]
	s_cbranch_vccnz .LBB377_417
; %bb.416:
	global_store_short v[0:1], v2, off
.LBB377_417:
	s_mov_b64 s[6:7], 0
.LBB377_418:
	s_andn2_b64 vcc, exec, s[6:7]
	s_cbranch_vccnz .LBB377_423
; %bb.419:
	s_cmp_gt_i32 s8, 0
	s_mov_b64 s[6:7], -1
	s_cbranch_scc0 .LBB377_421
; %bb.420:
	s_mov_b64 s[6:7], 0
	global_store_byte v[0:1], v2, off
.LBB377_421:
	s_andn2_b64 vcc, exec, s[6:7]
	s_cbranch_vccnz .LBB377_423
; %bb.422:
	global_store_byte v[0:1], v2, off
.LBB377_423:
	s_mov_b64 s[6:7], -1
.LBB377_424:
	s_andn2_b64 vcc, exec, s[6:7]
	s_cbranch_vccnz .LBB377_426
; %bb.425:
	v_add_u32_e32 v12, 0x80, v12
	s_mov_b64 s[6:7], -1
	s_branch .LBB377_535
.LBB377_426:
	s_mov_b64 s[6:7], 0
	s_branch .LBB377_534
.LBB377_427:
	s_mov_b64 s[4:5], -1
                                        ; implicit-def: $vgpr4_vgpr5
.LBB377_428:
	s_mov_b64 s[6:7], 0
.LBB377_429:
	s_and_b64 vcc, exec, s[6:7]
	s_cbranch_vccz .LBB377_433
; %bb.430:
	s_cmp_eq_u32 s8, 29
	s_cbranch_scc0 .LBB377_432
; %bb.431:
	global_load_dwordx2 v[4:5], v[2:3], off
	s_mov_b64 s[2:3], -1
	s_mov_b64 s[4:5], 0
	s_branch .LBB377_433
.LBB377_432:
	s_mov_b64 s[4:5], -1
                                        ; implicit-def: $vgpr4_vgpr5
.LBB377_433:
	s_mov_b64 s[6:7], 0
.LBB377_434:
	s_and_b64 vcc, exec, s[6:7]
	s_cbranch_vccz .LBB377_450
; %bb.435:
	s_cmp_lt_i32 s8, 27
	s_cbranch_scc1 .LBB377_438
; %bb.436:
	s_cmp_gt_i32 s8, 27
	s_cbranch_scc0 .LBB377_439
; %bb.437:
	global_load_dword v4, v[2:3], off
	s_waitcnt vmcnt(1)
	v_mov_b32_e32 v5, 0
	s_mov_b64 s[2:3], 0
	s_branch .LBB377_440
.LBB377_438:
	s_mov_b64 s[2:3], -1
                                        ; implicit-def: $vgpr4_vgpr5
	s_branch .LBB377_443
.LBB377_439:
	s_mov_b64 s[2:3], -1
                                        ; implicit-def: $vgpr4_vgpr5
.LBB377_440:
	s_andn2_b64 vcc, exec, s[2:3]
	s_cbranch_vccnz .LBB377_442
; %bb.441:
	global_load_ushort v1, v[2:3], off
	s_mov_b32 s2, 0
	s_waitcnt vmcnt(1)
	v_mov_b32_e32 v5, s2
	s_waitcnt vmcnt(0)
	v_and_b32_e32 v4, 0xffff, v1
.LBB377_442:
	s_mov_b64 s[2:3], 0
.LBB377_443:
	s_andn2_b64 vcc, exec, s[2:3]
	s_cbranch_vccnz .LBB377_449
; %bb.444:
	global_load_ubyte v1, v[2:3], off
	s_movk_i32 s2, 0x7f
	s_mov_b64 s[6:7], 0
	s_waitcnt vmcnt(0)
	v_cmp_lt_i16_e32 vcc, s2, v1
	s_and_saveexec_b64 s[2:3], vcc
	s_xor_b64 s[2:3], exec, s[2:3]
	s_cbranch_execz .LBB377_461
; %bb.445:
	s_movk_i32 s6, 0x80
	v_cmp_ne_u16_e32 vcc, s6, v1
	s_and_b64 s[6:7], vcc, exec
	s_andn2_saveexec_b64 s[2:3], s[2:3]
	s_cbranch_execnz .LBB377_462
.LBB377_446:
	s_or_b64 exec, exec, s[2:3]
	v_mov_b64_e32 v[4:5], 0
	s_and_saveexec_b64 s[2:3], s[6:7]
	s_cbranch_execz .LBB377_448
.LBB377_447:
	v_lshlrev_b32_e32 v4, 24, v1
	v_and_b32_e32 v1, 0xffff, v1
	v_and_b32_e32 v5, 7, v1
	v_ffbh_u32_e32 v7, v5
	v_min_u32_e32 v7, 32, v7
	v_subrev_u32_e32 v8, 28, v7
	v_bfe_u32 v6, v1, 3, 4
	v_lshlrev_b32_e32 v1, v8, v1
	v_sub_u32_e32 v7, 29, v7
	v_and_b32_e32 v1, 7, v1
	v_cmp_eq_u32_e32 vcc, 0, v6
	v_and_b32_e32 v4, 0x80000000, v4
	s_mov_b32 s6, 0x2f800000
	v_cndmask_b32_e32 v6, v6, v7, vcc
	v_cndmask_b32_e32 v1, v5, v1, vcc
	v_mov_b32_e32 v5, 0x3b800000
	v_lshlrev_b32_e32 v1, 20, v1
	v_lshl_add_u32 v5, v6, 23, v5
	v_or3_b32 v1, v4, v5, v1
	v_trunc_f32_e32 v1, v1
	v_mul_f32_e64 v4, |v1|, s6
	v_floor_f32_e32 v4, v4
	s_mov_b32 s6, 0xcf800000
	v_fma_f32 v5, v4, s6, |v1|
	v_cvt_u32_f32_e32 v4, v4
	v_cvt_u32_f32_e32 v5, v5
	v_ashrrev_i32_e32 v1, 31, v1
	v_xor_b32_e32 v6, v4, v1
	v_xor_b32_e32 v4, v5, v1
	v_sub_co_u32_e32 v4, vcc, v4, v1
	s_nop 1
	v_subb_co_u32_e32 v5, vcc, v6, v1, vcc
.LBB377_448:
	s_or_b64 exec, exec, s[2:3]
.LBB377_449:
	s_mov_b64 s[2:3], -1
.LBB377_450:
	s_mov_b64 s[6:7], 0
.LBB377_451:
	s_and_b64 vcc, exec, s[6:7]
	s_cbranch_vccz .LBB377_484
; %bb.452:
	s_cmp_gt_i32 s8, 22
	s_cbranch_scc0 .LBB377_460
; %bb.453:
	s_cmp_lt_i32 s8, 24
	s_cbranch_scc1 .LBB377_463
; %bb.454:
	s_cmp_gt_i32 s8, 24
	s_cbranch_scc0 .LBB377_464
; %bb.455:
	global_load_ubyte v1, v[2:3], off
	s_movk_i32 s2, 0x7f
	s_mov_b64 s[6:7], 0
	s_waitcnt vmcnt(0)
	v_cmp_lt_i16_e32 vcc, s2, v1
	s_and_saveexec_b64 s[2:3], vcc
	s_xor_b64 s[2:3], exec, s[2:3]
	s_cbranch_execz .LBB377_476
; %bb.456:
	s_movk_i32 s6, 0x80
	v_cmp_ne_u16_e32 vcc, s6, v1
	s_and_b64 s[6:7], vcc, exec
	s_andn2_saveexec_b64 s[2:3], s[2:3]
	s_cbranch_execnz .LBB377_477
.LBB377_457:
	s_or_b64 exec, exec, s[2:3]
	v_mov_b64_e32 v[4:5], 0
	s_and_saveexec_b64 s[2:3], s[6:7]
	s_cbranch_execz .LBB377_459
.LBB377_458:
	v_lshlrev_b32_e32 v4, 24, v1
	v_and_b32_e32 v1, 0xffff, v1
	v_and_b32_e32 v5, 3, v1
	v_ffbh_u32_e32 v7, v5
	v_min_u32_e32 v7, 32, v7
	v_subrev_u32_e32 v8, 29, v7
	v_bfe_u32 v6, v1, 2, 5
	v_lshlrev_b32_e32 v1, v8, v1
	v_sub_u32_e32 v7, 30, v7
	v_and_b32_e32 v1, 3, v1
	v_cmp_eq_u32_e32 vcc, 0, v6
	v_and_b32_e32 v4, 0x80000000, v4
	s_mov_b32 s6, 0x2f800000
	v_cndmask_b32_e32 v6, v6, v7, vcc
	v_cndmask_b32_e32 v1, v5, v1, vcc
	v_mov_b32_e32 v5, 0x37800000
	v_lshlrev_b32_e32 v1, 21, v1
	v_lshl_add_u32 v5, v6, 23, v5
	v_or3_b32 v1, v4, v5, v1
	v_trunc_f32_e32 v1, v1
	v_mul_f32_e64 v4, |v1|, s6
	v_floor_f32_e32 v4, v4
	s_mov_b32 s6, 0xcf800000
	v_fma_f32 v5, v4, s6, |v1|
	v_cvt_u32_f32_e32 v4, v4
	v_cvt_u32_f32_e32 v5, v5
	v_ashrrev_i32_e32 v1, 31, v1
	v_xor_b32_e32 v6, v4, v1
	v_xor_b32_e32 v4, v5, v1
	v_sub_co_u32_e32 v4, vcc, v4, v1
	s_nop 1
	v_subb_co_u32_e32 v5, vcc, v6, v1, vcc
.LBB377_459:
	s_or_b64 exec, exec, s[2:3]
	s_mov_b64 s[2:3], 0
	s_branch .LBB377_465
.LBB377_460:
	s_mov_b64 s[6:7], -1
                                        ; implicit-def: $vgpr4_vgpr5
	s_branch .LBB377_471
.LBB377_461:
	s_andn2_saveexec_b64 s[2:3], s[2:3]
	s_cbranch_execz .LBB377_446
.LBB377_462:
	v_cmp_ne_u16_e32 vcc, 0, v1
	s_andn2_b64 s[6:7], s[6:7], exec
	s_and_b64 s[10:11], vcc, exec
	s_or_b64 s[6:7], s[6:7], s[10:11]
	s_or_b64 exec, exec, s[2:3]
	v_mov_b64_e32 v[4:5], 0
	s_and_saveexec_b64 s[2:3], s[6:7]
	s_cbranch_execnz .LBB377_447
	s_branch .LBB377_448
.LBB377_463:
	s_mov_b64 s[2:3], -1
                                        ; implicit-def: $vgpr4_vgpr5
	s_branch .LBB377_468
.LBB377_464:
	s_mov_b64 s[2:3], -1
                                        ; implicit-def: $vgpr4_vgpr5
.LBB377_465:
	s_and_b64 vcc, exec, s[2:3]
	s_cbranch_vccz .LBB377_467
; %bb.466:
	global_load_ubyte v1, v[2:3], off
	s_mov_b32 s2, 0x7f800000
	s_brev_b32 s3, 1
	s_mov_b32 s6, 0x2f800000
	s_mov_b32 s7, 0xcf800000
	s_waitcnt vmcnt(0)
	v_lshlrev_b32_e32 v1, 24, v1
	v_and_b32_e32 v4, 0x7f000000, v1
	v_ffbh_u32_e32 v5, v4
	v_min_u32_e32 v5, 32, v5
	v_sub_u32_e64 v5, v5, 4 clamp
	v_lshlrev_b32_e32 v7, v5, v4
	v_lshlrev_b32_e32 v5, 23, v5
	v_lshrrev_b32_e32 v7, 4, v7
	v_add_u32_e32 v6, 0x1000000, v4
	v_sub_u32_e32 v5, v7, v5
	v_ashrrev_i32_e32 v6, 8, v6
	v_add_u32_e32 v5, 0x3c000000, v5
	v_and_or_b32 v5, v6, s2, v5
	v_cmp_ne_u32_e32 vcc, 0, v4
	s_nop 1
	v_cndmask_b32_e32 v4, 0, v5, vcc
	v_and_or_b32 v1, v1, s3, v4
	v_trunc_f32_e32 v1, v1
	v_mul_f32_e64 v4, |v1|, s6
	v_floor_f32_e32 v4, v4
	v_fma_f32 v5, v4, s7, |v1|
	v_cvt_u32_f32_e32 v4, v4
	v_cvt_u32_f32_e32 v5, v5
	v_ashrrev_i32_e32 v1, 31, v1
	v_xor_b32_e32 v6, v4, v1
	v_xor_b32_e32 v4, v5, v1
	v_sub_co_u32_e32 v4, vcc, v4, v1
	s_nop 1
	v_subb_co_u32_e32 v5, vcc, v6, v1, vcc
.LBB377_467:
	s_mov_b64 s[2:3], 0
.LBB377_468:
	s_andn2_b64 vcc, exec, s[2:3]
	s_cbranch_vccnz .LBB377_470
; %bb.469:
	global_load_ubyte v1, v[2:3], off
	s_movk_i32 s2, 0x7f00
	s_brev_b32 s3, 16
	s_brev_b32 s6, 1
	s_mov_b32 s7, 0x2f800000
	s_mov_b32 s9, 0xcf800000
	s_waitcnt vmcnt(0)
	v_lshlrev_b16_e32 v4, 8, v1
	v_lshlrev_b32_e32 v1, 25, v1
	v_lshrrev_b32_e32 v5, 4, v1
	v_and_or_b32 v6, v4, s2, 0.5
	v_or_b32_e32 v5, 0x70000000, v5
	v_add_f32_e32 v6, -0.5, v6
	v_mul_f32_e32 v5, 0x7800000, v5
	v_cmp_gt_u32_e32 vcc, s3, v1
	v_bfe_i32 v4, v4, 0, 16
	s_nop 0
	v_cndmask_b32_e32 v1, v5, v6, vcc
	v_and_or_b32 v1, v4, s6, v1
	v_trunc_f32_e32 v1, v1
	v_mul_f32_e64 v4, |v1|, s7
	v_floor_f32_e32 v4, v4
	v_fma_f32 v5, v4, s9, |v1|
	v_cvt_u32_f32_e32 v4, v4
	v_cvt_u32_f32_e32 v5, v5
	v_ashrrev_i32_e32 v1, 31, v1
	v_xor_b32_e32 v6, v4, v1
	v_xor_b32_e32 v4, v5, v1
	v_sub_co_u32_e32 v4, vcc, v4, v1
	s_nop 1
	v_subb_co_u32_e32 v5, vcc, v6, v1, vcc
.LBB377_470:
	s_mov_b64 s[6:7], 0
	s_mov_b64 s[2:3], -1
.LBB377_471:
	s_andn2_b64 vcc, exec, s[6:7]
	s_cbranch_vccnz .LBB377_484
; %bb.472:
	s_cmp_gt_i32 s8, 14
	s_cbranch_scc0 .LBB377_475
; %bb.473:
	s_cmp_eq_u32 s8, 15
	s_cbranch_scc0 .LBB377_478
; %bb.474:
	global_load_ushort v1, v[2:3], off
	s_mov_b32 s2, 0x2f800000
	s_mov_b32 s3, 0xcf800000
	s_mov_b64 s[4:5], 0
	s_waitcnt vmcnt(0)
	v_lshlrev_b32_e32 v1, 16, v1
	v_trunc_f32_e32 v1, v1
	v_mul_f32_e64 v4, |v1|, s2
	v_floor_f32_e32 v4, v4
	v_fma_f32 v5, v4, s3, |v1|
	v_cvt_u32_f32_e32 v4, v4
	v_cvt_u32_f32_e32 v5, v5
	v_ashrrev_i32_e32 v1, 31, v1
	s_mov_b64 s[2:3], -1
	v_xor_b32_e32 v6, v4, v1
	v_xor_b32_e32 v4, v5, v1
	v_sub_co_u32_e32 v4, vcc, v4, v1
	s_nop 1
	v_subb_co_u32_e32 v5, vcc, v6, v1, vcc
	s_branch .LBB377_479
.LBB377_475:
	s_mov_b64 s[6:7], -1
                                        ; implicit-def: $vgpr4_vgpr5
	s_branch .LBB377_480
.LBB377_476:
	s_andn2_saveexec_b64 s[2:3], s[2:3]
	s_cbranch_execz .LBB377_457
.LBB377_477:
	v_cmp_ne_u16_e32 vcc, 0, v1
	s_andn2_b64 s[6:7], s[6:7], exec
	s_and_b64 s[10:11], vcc, exec
	s_or_b64 s[6:7], s[6:7], s[10:11]
	s_or_b64 exec, exec, s[2:3]
	v_mov_b64_e32 v[4:5], 0
	s_and_saveexec_b64 s[2:3], s[6:7]
	s_cbranch_execnz .LBB377_458
	s_branch .LBB377_459
.LBB377_478:
	s_mov_b64 s[4:5], -1
                                        ; implicit-def: $vgpr4_vgpr5
.LBB377_479:
	s_mov_b64 s[6:7], 0
.LBB377_480:
	s_and_b64 vcc, exec, s[6:7]
	s_cbranch_vccz .LBB377_484
; %bb.481:
	s_cmp_eq_u32 s8, 11
	s_cbranch_scc0 .LBB377_483
; %bb.482:
	global_load_ubyte v1, v[2:3], off
	s_mov_b32 s4, 0
	s_mov_b64 s[2:3], -1
	s_waitcnt vmcnt(1)
	v_mov_b32_e32 v5, s4
	s_mov_b64 s[4:5], 0
	s_waitcnt vmcnt(0)
	v_cmp_ne_u16_e32 vcc, 0, v1
	s_nop 1
	v_cndmask_b32_e64 v4, 0, 1, vcc
	s_branch .LBB377_484
.LBB377_483:
	s_mov_b64 s[4:5], -1
                                        ; implicit-def: $vgpr4_vgpr5
.LBB377_484:
	s_branch .LBB377_291
.LBB377_485:
	s_cmp_lt_i32 s8, 5
	s_cbranch_scc1 .LBB377_490
; %bb.486:
	s_cmp_lt_i32 s8, 8
	s_cbranch_scc1 .LBB377_491
; %bb.487:
	;; [unrolled: 3-line block ×3, first 2 shown]
	s_cmp_gt_i32 s8, 9
	s_cbranch_scc0 .LBB377_493
; %bb.489:
	global_load_dwordx2 v[4:5], v[2:3], off
	s_movk_i32 s2, 0xffe0
	s_waitcnt vmcnt(0)
	v_trunc_f64_e32 v[6:7], v[4:5]
	v_ldexp_f64 v[4:5], v[6:7], s2
	v_floor_f64_e32 v[8:9], v[4:5]
	v_fmac_f64_e32 v[6:7], 0xc1f00000, v[8:9]
	v_cvt_i32_f64_e32 v5, v[8:9]
	v_cvt_u32_f64_e32 v4, v[6:7]
	s_mov_b64 s[2:3], 0
	s_branch .LBB377_494
.LBB377_490:
	s_mov_b64 s[2:3], -1
                                        ; implicit-def: $vgpr4_vgpr5
	s_branch .LBB377_512
.LBB377_491:
	s_mov_b64 s[2:3], -1
                                        ; implicit-def: $vgpr4_vgpr5
	s_branch .LBB377_500
.LBB377_492:
	s_mov_b64 s[2:3], -1
                                        ; implicit-def: $vgpr4_vgpr5
	s_branch .LBB377_497
.LBB377_493:
	s_mov_b64 s[2:3], -1
                                        ; implicit-def: $vgpr4_vgpr5
.LBB377_494:
	s_andn2_b64 vcc, exec, s[2:3]
	s_cbranch_vccnz .LBB377_496
; %bb.495:
	global_load_dword v1, v[2:3], off
	s_mov_b32 s2, 0x2f800000
	s_mov_b32 s3, 0xcf800000
	s_waitcnt vmcnt(0)
	v_trunc_f32_e32 v1, v1
	v_mul_f32_e64 v4, |v1|, s2
	v_floor_f32_e32 v4, v4
	v_cvt_u32_f32_e32 v5, v4
	v_fma_f32 v4, v4, s3, |v1|
	v_cvt_u32_f32_e32 v4, v4
	v_ashrrev_i32_e32 v1, 31, v1
	v_xor_b32_e32 v5, v5, v1
	v_xor_b32_e32 v4, v4, v1
	v_sub_co_u32_e32 v4, vcc, v4, v1
	s_nop 1
	v_subb_co_u32_e32 v5, vcc, v5, v1, vcc
.LBB377_496:
	s_mov_b64 s[2:3], 0
.LBB377_497:
	s_andn2_b64 vcc, exec, s[2:3]
	s_cbranch_vccnz .LBB377_499
; %bb.498:
	global_load_dword v1, v[2:3], off
	s_waitcnt vmcnt(0)
	v_cvt_f32_f16_e32 v1, v1
	v_cvt_i32_f32_e32 v4, v1
	v_ashrrev_i32_e32 v5, 31, v4
.LBB377_499:
	s_mov_b64 s[2:3], 0
.LBB377_500:
	s_andn2_b64 vcc, exec, s[2:3]
	s_cbranch_vccnz .LBB377_511
; %bb.501:
	s_cmp_lt_i32 s8, 6
	s_cbranch_scc1 .LBB377_504
; %bb.502:
	s_cmp_gt_i32 s8, 6
	s_cbranch_scc0 .LBB377_505
; %bb.503:
	global_load_dwordx2 v[4:5], v[2:3], off
	s_movk_i32 s2, 0xffe0
	s_waitcnt vmcnt(0)
	v_trunc_f64_e32 v[6:7], v[4:5]
	v_ldexp_f64 v[4:5], v[6:7], s2
	v_floor_f64_e32 v[8:9], v[4:5]
	v_fmac_f64_e32 v[6:7], 0xc1f00000, v[8:9]
	v_cvt_i32_f64_e32 v5, v[8:9]
	v_cvt_u32_f64_e32 v4, v[6:7]
	s_mov_b64 s[2:3], 0
	s_branch .LBB377_506
.LBB377_504:
	s_mov_b64 s[2:3], -1
                                        ; implicit-def: $vgpr4_vgpr5
	s_branch .LBB377_509
.LBB377_505:
	s_mov_b64 s[2:3], -1
                                        ; implicit-def: $vgpr4_vgpr5
.LBB377_506:
	s_andn2_b64 vcc, exec, s[2:3]
	s_cbranch_vccnz .LBB377_508
; %bb.507:
	global_load_dword v1, v[2:3], off
	s_mov_b32 s2, 0x2f800000
	s_mov_b32 s3, 0xcf800000
	s_waitcnt vmcnt(0)
	v_trunc_f32_e32 v1, v1
	v_mul_f32_e64 v4, |v1|, s2
	v_floor_f32_e32 v4, v4
	v_cvt_u32_f32_e32 v5, v4
	v_fma_f32 v4, v4, s3, |v1|
	v_cvt_u32_f32_e32 v4, v4
	v_ashrrev_i32_e32 v1, 31, v1
	v_xor_b32_e32 v5, v5, v1
	v_xor_b32_e32 v4, v4, v1
	v_sub_co_u32_e32 v4, vcc, v4, v1
	s_nop 1
	v_subb_co_u32_e32 v5, vcc, v5, v1, vcc
.LBB377_508:
	s_mov_b64 s[2:3], 0
.LBB377_509:
	s_andn2_b64 vcc, exec, s[2:3]
	s_cbranch_vccnz .LBB377_511
; %bb.510:
	global_load_ushort v1, v[2:3], off
	s_waitcnt vmcnt(0)
	v_cvt_f32_f16_e32 v1, v1
	v_cvt_i32_f32_e32 v4, v1
	v_ashrrev_i32_e32 v5, 31, v4
.LBB377_511:
	s_mov_b64 s[2:3], 0
.LBB377_512:
	s_andn2_b64 vcc, exec, s[2:3]
	s_cbranch_vccnz .LBB377_532
; %bb.513:
	s_cmp_lt_i32 s8, 2
	s_cbranch_scc1 .LBB377_517
; %bb.514:
	s_cmp_lt_i32 s8, 3
	s_cbranch_scc1 .LBB377_518
; %bb.515:
	s_cmp_gt_i32 s8, 3
	s_cbranch_scc0 .LBB377_519
; %bb.516:
	global_load_dwordx2 v[4:5], v[2:3], off
	s_mov_b64 s[2:3], 0
	s_branch .LBB377_520
.LBB377_517:
	s_mov_b64 s[2:3], -1
                                        ; implicit-def: $vgpr4_vgpr5
	s_branch .LBB377_526
.LBB377_518:
	s_mov_b64 s[2:3], -1
                                        ; implicit-def: $vgpr4_vgpr5
	s_branch .LBB377_523
.LBB377_519:
	s_mov_b64 s[2:3], -1
                                        ; implicit-def: $vgpr4_vgpr5
.LBB377_520:
	s_andn2_b64 vcc, exec, s[2:3]
	s_cbranch_vccnz .LBB377_522
; %bb.521:
	global_load_dword v4, v[2:3], off
	s_waitcnt vmcnt(0)
	v_ashrrev_i32_e32 v5, 31, v4
.LBB377_522:
	s_mov_b64 s[2:3], 0
.LBB377_523:
	s_andn2_b64 vcc, exec, s[2:3]
	s_cbranch_vccnz .LBB377_525
; %bb.524:
	global_load_ushort v1, v[2:3], off
	s_waitcnt vmcnt(0)
	v_bfe_i32 v4, v1, 0, 16
	v_ashrrev_i32_e32 v5, 31, v4
.LBB377_525:
	s_mov_b64 s[2:3], 0
.LBB377_526:
	s_andn2_b64 vcc, exec, s[2:3]
	s_cbranch_vccnz .LBB377_532
; %bb.527:
	s_cmp_gt_i32 s8, 0
	s_cbranch_scc0 .LBB377_529
; %bb.528:
	global_load_sbyte v1, v[2:3], off
	s_mov_b64 s[2:3], 0
	s_waitcnt vmcnt(0)
	v_bfe_i32 v4, v1, 0, 16
	v_ashrrev_i32_e32 v5, 31, v4
	s_branch .LBB377_530
.LBB377_529:
	s_mov_b64 s[2:3], -1
                                        ; implicit-def: $vgpr4_vgpr5
.LBB377_530:
	s_andn2_b64 vcc, exec, s[2:3]
	s_cbranch_vccnz .LBB377_532
; %bb.531:
	global_load_ubyte v1, v[2:3], off
	s_mov_b32 s2, 0
	s_waitcnt vmcnt(1)
	v_mov_b32_e32 v5, s2
	s_waitcnt vmcnt(0)
	v_and_b32_e32 v4, 0xffff, v1
.LBB377_532:
	s_branch .LBB377_292
.LBB377_533:
	s_mov_b64 s[6:7], 0
	s_mov_b64 s[2:3], s[56:57]
.LBB377_534:
                                        ; implicit-def: $vgpr12
.LBB377_535:
	s_andn2_b64 s[8:9], s[56:57], exec
	s_and_b64 s[2:3], s[2:3], exec
	s_or_b64 s[64:65], s[8:9], s[2:3]
	s_andn2_b64 s[2:3], s[58:59], exec
	s_and_b64 s[4:5], s[4:5], exec
	s_or_b64 s[62:63], s[2:3], s[4:5]
	s_orn2_b64 s[2:3], s[6:7], exec
.LBB377_536:
	s_or_b64 exec, exec, s[66:67]
	s_mov_b64 s[4:5], 0
	s_mov_b64 s[6:7], 0
	;; [unrolled: 1-line block ×3, first 2 shown]
                                        ; implicit-def: $vgpr2_vgpr3
                                        ; implicit-def: $vgpr0
                                        ; implicit-def: $vgpr6_vgpr7
	s_and_saveexec_b64 s[66:67], s[2:3]
	s_cbranch_execz .LBB377_905
; %bb.537:
	v_cmp_gt_i32_e32 vcc, s72, v12
	s_mov_b64 s[6:7], -1
	s_mov_b64 s[2:3], s[62:63]
	s_mov_b64 s[70:71], s[64:65]
	s_and_saveexec_b64 s[68:69], vcc
	s_cbranch_execz .LBB377_808
; %bb.538:
	s_andn2_b64 vcc, exec, s[42:43]
	s_cbranch_vccnz .LBB377_544
; %bb.539:
	s_andn2_b64 vcc, exec, s[54:55]
	s_cbranch_vccnz .LBB377_545
; %bb.540:
	s_add_i32 s78, s77, 1
	s_cmp_eq_u32 s74, 2
	s_cbranch_scc1 .LBB377_546
; %bb.541:
	s_and_b32 s73, s78, 28
	s_mov_b32 s79, 0
	v_mov_b32_e32 v0, 0
	v_mov_b32_e32 v2, 0
	s_mov_b64 s[2:3], s[34:35]
	s_mov_b64 s[70:71], s[52:53]
	s_waitcnt vmcnt(0)
	v_mov_b32_e32 v4, v12
.LBB377_542:                            ; =>This Inner Loop Header: Depth=1
	s_load_dwordx8 s[12:19], s[2:3], 0x4
	s_load_dwordx4 s[36:39], s[2:3], 0x24
	s_load_dwordx8 s[4:11], s[70:71], 0x0
	s_add_u32 s2, s2, 48
	s_addc_u32 s3, s3, 0
	s_waitcnt lgkmcnt(0)
	v_mul_hi_u32 v1, s13, v4
	v_add_u32_e32 v1, v4, v1
	v_lshrrev_b32_e32 v1, s14, v1
	v_mul_lo_u32 v3, v1, s12
	v_mul_hi_u32 v5, s16, v1
	v_sub_u32_e32 v3, v4, v3
	v_add_u32_e32 v4, v1, v5
	v_lshrrev_b32_e32 v4, s17, v4
	v_mul_lo_u32 v6, v4, s15
	v_mul_hi_u32 v7, s19, v4
	v_sub_u32_e32 v1, v1, v6
	v_add_u32_e32 v6, v4, v7
	v_mul_lo_u32 v5, v3, s5
	v_mul_lo_u32 v3, v3, s4
	;; [unrolled: 1-line block ×4, first 2 shown]
	v_lshrrev_b32_e32 v6, s36, v6
	v_add3_u32 v0, v3, v0, v1
	v_mul_hi_u32 v3, s38, v6
	v_add3_u32 v1, v5, v2, v7
	v_mul_lo_u32 v2, v6, s18
	v_add_u32_e32 v3, v6, v3
	v_sub_u32_e32 v2, v4, v2
	v_lshrrev_b32_e32 v4, s39, v3
	s_add_i32 s79, s79, 4
	v_mul_lo_u32 v3, v4, s37
	s_add_u32 s70, s70, 32
	v_sub_u32_e32 v3, v6, v3
	s_addc_u32 s71, s71, 0
	v_mul_lo_u32 v5, v2, s8
	v_mul_lo_u32 v2, v2, s9
	;; [unrolled: 1-line block ×4, first 2 shown]
	s_cmp_eq_u32 s73, s79
	v_add3_u32 v2, v2, v1, v3
	v_add3_u32 v0, v5, v0, v6
	s_cbranch_scc0 .LBB377_542
; %bb.543:
	v_mov_b32_e32 v1, v2
	s_branch .LBB377_547
.LBB377_544:
	s_mov_b64 s[2:3], -1
                                        ; implicit-def: $vgpr2
                                        ; implicit-def: $vgpr0
	s_branch .LBB377_551
.LBB377_545:
	v_mov_b32_e32 v2, 0
	v_mov_b32_e32 v0, 0
	s_branch .LBB377_550
.LBB377_546:
	v_mov_b32_e32 v0, 0
	s_mov_b32 s73, 0
	v_mov_b32_e32 v1, v0
                                        ; implicit-def: $vgpr2
	s_waitcnt vmcnt(0)
	v_mov_b32_e32 v4, v12
.LBB377_547:
	s_and_b32 s6, s78, 3
	s_cmp_eq_u32 s6, 0
	s_cbranch_scc1 .LBB377_550
; %bb.548:
	s_lshl_b32 s2, s73, 3
	s_add_u32 s2, s34, s2
	s_addc_u32 s3, s35, 0
	s_add_u32 s2, s2, 0xc4
	s_addc_u32 s3, s3, 0
	s_mul_i32 s4, s73, 12
	s_add_u32 s4, s34, s4
	s_addc_u32 s5, s35, 0
.LBB377_549:                            ; =>This Inner Loop Header: Depth=1
	s_load_dwordx2 s[8:9], s[4:5], 0x4
	s_load_dword s7, s[4:5], 0xc
	s_load_dwordx2 s[10:11], s[2:3], 0x0
	v_mov_b32_e32 v2, v1
	s_add_u32 s4, s4, 12
	s_waitcnt lgkmcnt(0)
	v_mul_hi_u32 v1, s9, v4
	v_add_u32_e32 v1, v4, v1
	v_lshrrev_b32_e32 v1, s7, v1
	s_addc_u32 s5, s5, 0
	v_mul_lo_u32 v3, v1, s8
	s_add_u32 s2, s2, 8
	v_sub_u32_e32 v5, v4, v3
	s_addc_u32 s3, s3, 0
	s_add_i32 s6, s6, -1
	v_mov_b32_e32 v4, v1
	v_mad_u64_u32 v[2:3], s[8:9], v5, s11, v[2:3]
	v_mad_u64_u32 v[0:1], s[8:9], v5, s10, v[0:1]
	s_cmp_lg_u32 s6, 0
	v_mov_b32_e32 v1, v2
	s_cbranch_scc1 .LBB377_549
.LBB377_550:
	s_mov_b64 s[2:3], 0
.LBB377_551:
	s_andn2_b64 vcc, exec, s[2:3]
	s_cbranch_vccnz .LBB377_554
; %bb.552:
	v_mul_hi_u32 v0, s25, v12
	v_add_u32_e32 v0, v12, v0
	v_lshrrev_b32_e32 v1, s26, v0
	v_mul_lo_u32 v0, v1, s24
	v_sub_u32_e32 v0, v12, v0
	v_mul_lo_u32 v2, v0, s29
	s_andn2_b64 vcc, exec, s[50:51]
	v_mul_lo_u32 v0, v0, s28
	s_cbranch_vccnz .LBB377_554
; %bb.553:
	v_mul_hi_u32 v3, s48, v1
	v_add_u32_e32 v3, v1, v3
	v_lshrrev_b32_e32 v3, s49, v3
	v_mul_lo_u32 v3, v3, s27
	v_sub_u32_e32 v3, v1, v3
	v_mad_u64_u32 v[0:1], s[2:3], v3, s30, v[0:1]
	v_mad_u64_u32 v[2:3], s[2:3], v3, s31, v[2:3]
.LBB377_554:
	v_mov_b32_e32 v3, 0
	s_and_b32 s8, 0xffff, s76
	s_cmp_lt_i32 s8, 11
	v_lshl_add_u64 v[2:3], s[22:23], 0, v[2:3]
	s_cbranch_scc1 .LBB377_561
; %bb.555:
	s_cmp_gt_i32 s8, 25
	s_cbranch_scc0 .LBB377_562
; %bb.556:
	s_cmp_gt_i32 s8, 28
	s_cbranch_scc0 .LBB377_563
	;; [unrolled: 3-line block ×4, first 2 shown]
; %bb.559:
	s_cmp_eq_u32 s8, 46
	s_mov_b64 s[6:7], 0
	s_cbranch_scc0 .LBB377_570
; %bb.560:
	global_load_dword v1, v[2:3], off
	s_mov_b32 s2, 0x2f800000
	s_mov_b32 s3, 0xcf800000
	s_mov_b64 s[4:5], 0
	s_waitcnt vmcnt(0)
	v_lshlrev_b32_e32 v1, 16, v1
	v_trunc_f32_e32 v1, v1
	v_mul_f32_e64 v4, |v1|, s2
	v_floor_f32_e32 v4, v4
	v_fma_f32 v5, v4, s3, |v1|
	v_cvt_u32_f32_e32 v4, v4
	v_cvt_u32_f32_e32 v5, v5
	v_ashrrev_i32_e32 v1, 31, v1
	s_mov_b64 s[2:3], -1
	v_xor_b32_e32 v6, v4, v1
	v_xor_b32_e32 v4, v5, v1
	v_sub_co_u32_e32 v4, vcc, v4, v1
	s_nop 1
	v_subb_co_u32_e32 v5, vcc, v6, v1, vcc
	s_branch .LBB377_571
.LBB377_561:
	s_mov_b64 s[6:7], -1
	s_mov_b64 s[2:3], 0
                                        ; implicit-def: $vgpr4_vgpr5
	s_mov_b64 s[4:5], s[62:63]
	s_branch .LBB377_632
.LBB377_562:
	s_mov_b64 s[6:7], -1
	s_mov_b64 s[2:3], 0
	s_mov_b64 s[4:5], s[62:63]
                                        ; implicit-def: $vgpr4_vgpr5
	s_branch .LBB377_598
.LBB377_563:
	s_mov_b64 s[6:7], -1
	s_mov_b64 s[2:3], 0
	s_mov_b64 s[4:5], s[62:63]
                                        ; implicit-def: $vgpr4_vgpr5
	s_branch .LBB377_581
.LBB377_564:
	s_mov_b64 s[6:7], -1
	s_mov_b64 s[2:3], 0
	s_mov_b64 s[4:5], s[62:63]
                                        ; implicit-def: $vgpr4_vgpr5
	s_branch .LBB377_576
.LBB377_565:
	s_andn2_saveexec_b64 s[10:11], s[10:11]
	s_cbranch_execz .LBB377_337
.LBB377_566:
	s_mov_b32 s14, 0x46000000
	v_add_f32_e64 v5, |v4|, s14
	v_and_b32_e32 v5, 0xff, v5
	v_cmp_ne_u32_e32 vcc, 0, v5
	s_andn2_b64 s[8:9], s[8:9], exec
	s_and_b64 s[14:15], vcc, exec
	s_or_b64 s[8:9], s[8:9], s[14:15]
	s_or_b64 exec, exec, s[10:11]
	v_mov_b32_e32 v6, 0
	s_and_saveexec_b64 s[10:11], s[8:9]
	s_cbranch_execnz .LBB377_338
	s_branch .LBB377_339
.LBB377_567:
	s_mov_b64 s[6:7], -1
	s_mov_b64 s[2:3], 0
	s_mov_b64 s[4:5], s[62:63]
                                        ; implicit-def: $vgpr4_vgpr5
	s_branch .LBB377_571
.LBB377_568:
	s_andn2_saveexec_b64 s[10:11], s[10:11]
	s_cbranch_execz .LBB377_350
.LBB377_569:
	s_mov_b32 s14, 0x42800000
	v_add_f32_e64 v5, |v4|, s14
	v_and_b32_e32 v5, 0xff, v5
	v_cmp_ne_u32_e32 vcc, 0, v5
	s_andn2_b64 s[8:9], s[8:9], exec
	s_and_b64 s[14:15], vcc, exec
	s_or_b64 s[8:9], s[8:9], s[14:15]
	s_or_b64 exec, exec, s[10:11]
	v_mov_b32_e32 v6, 0
	s_and_saveexec_b64 s[10:11], s[8:9]
	s_cbranch_execnz .LBB377_351
	s_branch .LBB377_352
.LBB377_570:
	s_mov_b64 s[4:5], -1
                                        ; implicit-def: $vgpr4_vgpr5
	s_mov_b64 s[2:3], 0
.LBB377_571:
	s_and_b64 vcc, exec, s[6:7]
	s_cbranch_vccz .LBB377_575
; %bb.572:
	s_cmp_eq_u32 s8, 44
	s_cbranch_scc0 .LBB377_574
; %bb.573:
	global_load_ubyte v1, v[2:3], off
	s_mov_b32 s2, 0x2f800000
	s_mov_b32 s3, 0xcf800000
	s_mov_b64 s[4:5], 0
	s_waitcnt vmcnt(0)
	v_lshlrev_b32_e32 v4, 23, v1
	v_trunc_f32_e32 v4, v4
	v_mul_f32_e64 v5, |v4|, s2
	v_floor_f32_e32 v5, v5
	v_fma_f32 v6, v5, s3, |v4|
	v_cvt_u32_f32_e32 v6, v6
	v_cvt_u32_f32_e32 v5, v5
	v_ashrrev_i32_e32 v4, 31, v4
	s_mov_b64 s[2:3], -1
	v_xor_b32_e32 v6, v6, v4
	v_xor_b32_e32 v5, v5, v4
	v_sub_co_u32_e32 v6, vcc, v6, v4
	s_nop 1
	v_subb_co_u32_e32 v4, vcc, v5, v4, vcc
	v_cmp_ne_u32_e32 vcc, 0, v1
	s_nop 1
	v_cndmask_b32_e32 v5, 0, v4, vcc
	v_cndmask_b32_e32 v4, 0, v6, vcc
	s_branch .LBB377_575
.LBB377_574:
	s_mov_b64 s[4:5], -1
                                        ; implicit-def: $vgpr4_vgpr5
.LBB377_575:
	s_mov_b64 s[6:7], 0
.LBB377_576:
	s_and_b64 vcc, exec, s[6:7]
	s_cbranch_vccz .LBB377_580
; %bb.577:
	s_cmp_eq_u32 s8, 29
	s_cbranch_scc0 .LBB377_579
; %bb.578:
	global_load_dwordx2 v[4:5], v[2:3], off
	s_mov_b64 s[2:3], -1
	s_mov_b64 s[4:5], 0
	s_branch .LBB377_580
.LBB377_579:
	s_mov_b64 s[4:5], -1
                                        ; implicit-def: $vgpr4_vgpr5
.LBB377_580:
	s_mov_b64 s[6:7], 0
.LBB377_581:
	s_and_b64 vcc, exec, s[6:7]
	s_cbranch_vccz .LBB377_597
; %bb.582:
	s_cmp_lt_i32 s8, 27
	s_cbranch_scc1 .LBB377_585
; %bb.583:
	s_cmp_gt_i32 s8, 27
	s_cbranch_scc0 .LBB377_586
; %bb.584:
	global_load_dword v4, v[2:3], off
	s_waitcnt vmcnt(1)
	v_mov_b32_e32 v5, 0
	s_mov_b64 s[2:3], 0
	s_branch .LBB377_587
.LBB377_585:
	s_mov_b64 s[2:3], -1
                                        ; implicit-def: $vgpr4_vgpr5
	s_branch .LBB377_590
.LBB377_586:
	s_mov_b64 s[2:3], -1
                                        ; implicit-def: $vgpr4_vgpr5
.LBB377_587:
	s_andn2_b64 vcc, exec, s[2:3]
	s_cbranch_vccnz .LBB377_589
; %bb.588:
	global_load_ushort v1, v[2:3], off
	s_mov_b32 s2, 0
	s_waitcnt vmcnt(1)
	v_mov_b32_e32 v5, s2
	s_waitcnt vmcnt(0)
	v_and_b32_e32 v4, 0xffff, v1
.LBB377_589:
	s_mov_b64 s[2:3], 0
.LBB377_590:
	s_andn2_b64 vcc, exec, s[2:3]
	s_cbranch_vccnz .LBB377_596
; %bb.591:
	global_load_ubyte v1, v[2:3], off
	s_movk_i32 s2, 0x7f
	s_mov_b64 s[6:7], 0
	s_waitcnt vmcnt(0)
	v_cmp_lt_i16_e32 vcc, s2, v1
	s_and_saveexec_b64 s[2:3], vcc
	s_xor_b64 s[2:3], exec, s[2:3]
	s_cbranch_execz .LBB377_608
; %bb.592:
	s_movk_i32 s6, 0x80
	v_cmp_ne_u16_e32 vcc, s6, v1
	s_and_b64 s[6:7], vcc, exec
	s_andn2_saveexec_b64 s[2:3], s[2:3]
	s_cbranch_execnz .LBB377_609
.LBB377_593:
	s_or_b64 exec, exec, s[2:3]
	v_mov_b64_e32 v[4:5], 0
	s_and_saveexec_b64 s[2:3], s[6:7]
	s_cbranch_execz .LBB377_595
.LBB377_594:
	v_lshlrev_b32_e32 v4, 24, v1
	v_and_b32_e32 v1, 0xffff, v1
	v_and_b32_e32 v5, 7, v1
	v_ffbh_u32_e32 v7, v5
	v_min_u32_e32 v7, 32, v7
	v_subrev_u32_e32 v8, 28, v7
	v_bfe_u32 v6, v1, 3, 4
	v_lshlrev_b32_e32 v1, v8, v1
	v_sub_u32_e32 v7, 29, v7
	v_and_b32_e32 v1, 7, v1
	v_cmp_eq_u32_e32 vcc, 0, v6
	v_and_b32_e32 v4, 0x80000000, v4
	s_mov_b32 s6, 0x2f800000
	v_cndmask_b32_e32 v6, v6, v7, vcc
	v_cndmask_b32_e32 v1, v5, v1, vcc
	v_mov_b32_e32 v5, 0x3b800000
	v_lshlrev_b32_e32 v1, 20, v1
	v_lshl_add_u32 v5, v6, 23, v5
	v_or3_b32 v1, v4, v5, v1
	v_trunc_f32_e32 v1, v1
	v_mul_f32_e64 v4, |v1|, s6
	v_floor_f32_e32 v4, v4
	s_mov_b32 s6, 0xcf800000
	v_fma_f32 v5, v4, s6, |v1|
	v_cvt_u32_f32_e32 v4, v4
	v_cvt_u32_f32_e32 v5, v5
	v_ashrrev_i32_e32 v1, 31, v1
	v_xor_b32_e32 v6, v4, v1
	v_xor_b32_e32 v4, v5, v1
	v_sub_co_u32_e32 v4, vcc, v4, v1
	s_nop 1
	v_subb_co_u32_e32 v5, vcc, v6, v1, vcc
.LBB377_595:
	s_or_b64 exec, exec, s[2:3]
.LBB377_596:
	s_mov_b64 s[2:3], -1
.LBB377_597:
	s_mov_b64 s[6:7], 0
.LBB377_598:
	s_and_b64 vcc, exec, s[6:7]
	s_cbranch_vccz .LBB377_631
; %bb.599:
	s_cmp_gt_i32 s8, 22
	s_cbranch_scc0 .LBB377_607
; %bb.600:
	s_cmp_lt_i32 s8, 24
	s_cbranch_scc1 .LBB377_610
; %bb.601:
	s_cmp_gt_i32 s8, 24
	s_cbranch_scc0 .LBB377_611
; %bb.602:
	global_load_ubyte v1, v[2:3], off
	s_movk_i32 s2, 0x7f
	s_mov_b64 s[6:7], 0
	s_waitcnt vmcnt(0)
	v_cmp_lt_i16_e32 vcc, s2, v1
	s_and_saveexec_b64 s[2:3], vcc
	s_xor_b64 s[2:3], exec, s[2:3]
	s_cbranch_execz .LBB377_623
; %bb.603:
	s_movk_i32 s6, 0x80
	v_cmp_ne_u16_e32 vcc, s6, v1
	s_and_b64 s[6:7], vcc, exec
	s_andn2_saveexec_b64 s[2:3], s[2:3]
	s_cbranch_execnz .LBB377_624
.LBB377_604:
	s_or_b64 exec, exec, s[2:3]
	v_mov_b64_e32 v[4:5], 0
	s_and_saveexec_b64 s[2:3], s[6:7]
	s_cbranch_execz .LBB377_606
.LBB377_605:
	v_lshlrev_b32_e32 v4, 24, v1
	v_and_b32_e32 v1, 0xffff, v1
	v_and_b32_e32 v5, 3, v1
	v_ffbh_u32_e32 v7, v5
	v_min_u32_e32 v7, 32, v7
	v_subrev_u32_e32 v8, 29, v7
	v_bfe_u32 v6, v1, 2, 5
	v_lshlrev_b32_e32 v1, v8, v1
	v_sub_u32_e32 v7, 30, v7
	v_and_b32_e32 v1, 3, v1
	v_cmp_eq_u32_e32 vcc, 0, v6
	v_and_b32_e32 v4, 0x80000000, v4
	s_mov_b32 s6, 0x2f800000
	v_cndmask_b32_e32 v6, v6, v7, vcc
	v_cndmask_b32_e32 v1, v5, v1, vcc
	v_mov_b32_e32 v5, 0x37800000
	v_lshlrev_b32_e32 v1, 21, v1
	v_lshl_add_u32 v5, v6, 23, v5
	v_or3_b32 v1, v4, v5, v1
	v_trunc_f32_e32 v1, v1
	v_mul_f32_e64 v4, |v1|, s6
	v_floor_f32_e32 v4, v4
	s_mov_b32 s6, 0xcf800000
	v_fma_f32 v5, v4, s6, |v1|
	v_cvt_u32_f32_e32 v4, v4
	v_cvt_u32_f32_e32 v5, v5
	v_ashrrev_i32_e32 v1, 31, v1
	v_xor_b32_e32 v6, v4, v1
	v_xor_b32_e32 v4, v5, v1
	v_sub_co_u32_e32 v4, vcc, v4, v1
	s_nop 1
	v_subb_co_u32_e32 v5, vcc, v6, v1, vcc
.LBB377_606:
	s_or_b64 exec, exec, s[2:3]
	s_mov_b64 s[2:3], 0
	s_branch .LBB377_612
.LBB377_607:
	s_mov_b64 s[6:7], -1
                                        ; implicit-def: $vgpr4_vgpr5
	s_branch .LBB377_618
.LBB377_608:
	s_andn2_saveexec_b64 s[2:3], s[2:3]
	s_cbranch_execz .LBB377_593
.LBB377_609:
	v_cmp_ne_u16_e32 vcc, 0, v1
	s_andn2_b64 s[6:7], s[6:7], exec
	s_and_b64 s[10:11], vcc, exec
	s_or_b64 s[6:7], s[6:7], s[10:11]
	s_or_b64 exec, exec, s[2:3]
	v_mov_b64_e32 v[4:5], 0
	s_and_saveexec_b64 s[2:3], s[6:7]
	s_cbranch_execnz .LBB377_594
	s_branch .LBB377_595
.LBB377_610:
	s_mov_b64 s[2:3], -1
                                        ; implicit-def: $vgpr4_vgpr5
	s_branch .LBB377_615
.LBB377_611:
	s_mov_b64 s[2:3], -1
                                        ; implicit-def: $vgpr4_vgpr5
.LBB377_612:
	s_and_b64 vcc, exec, s[2:3]
	s_cbranch_vccz .LBB377_614
; %bb.613:
	global_load_ubyte v1, v[2:3], off
	s_mov_b32 s2, 0x7f800000
	s_brev_b32 s3, 1
	s_mov_b32 s6, 0x2f800000
	s_mov_b32 s7, 0xcf800000
	s_waitcnt vmcnt(0)
	v_lshlrev_b32_e32 v1, 24, v1
	v_and_b32_e32 v4, 0x7f000000, v1
	v_ffbh_u32_e32 v5, v4
	v_min_u32_e32 v5, 32, v5
	v_sub_u32_e64 v5, v5, 4 clamp
	v_lshlrev_b32_e32 v7, v5, v4
	v_lshlrev_b32_e32 v5, 23, v5
	v_lshrrev_b32_e32 v7, 4, v7
	v_add_u32_e32 v6, 0x1000000, v4
	v_sub_u32_e32 v5, v7, v5
	v_ashrrev_i32_e32 v6, 8, v6
	v_add_u32_e32 v5, 0x3c000000, v5
	v_and_or_b32 v5, v6, s2, v5
	v_cmp_ne_u32_e32 vcc, 0, v4
	s_nop 1
	v_cndmask_b32_e32 v4, 0, v5, vcc
	v_and_or_b32 v1, v1, s3, v4
	v_trunc_f32_e32 v1, v1
	v_mul_f32_e64 v4, |v1|, s6
	v_floor_f32_e32 v4, v4
	v_fma_f32 v5, v4, s7, |v1|
	v_cvt_u32_f32_e32 v4, v4
	v_cvt_u32_f32_e32 v5, v5
	v_ashrrev_i32_e32 v1, 31, v1
	v_xor_b32_e32 v6, v4, v1
	v_xor_b32_e32 v4, v5, v1
	v_sub_co_u32_e32 v4, vcc, v4, v1
	s_nop 1
	v_subb_co_u32_e32 v5, vcc, v6, v1, vcc
.LBB377_614:
	s_mov_b64 s[2:3], 0
.LBB377_615:
	s_andn2_b64 vcc, exec, s[2:3]
	s_cbranch_vccnz .LBB377_617
; %bb.616:
	global_load_ubyte v1, v[2:3], off
	s_movk_i32 s2, 0x7f00
	s_brev_b32 s3, 16
	s_brev_b32 s6, 1
	s_mov_b32 s7, 0x2f800000
	s_mov_b32 s9, 0xcf800000
	s_waitcnt vmcnt(0)
	v_lshlrev_b16_e32 v4, 8, v1
	v_lshlrev_b32_e32 v1, 25, v1
	v_lshrrev_b32_e32 v5, 4, v1
	v_and_or_b32 v6, v4, s2, 0.5
	v_or_b32_e32 v5, 0x70000000, v5
	v_add_f32_e32 v6, -0.5, v6
	v_mul_f32_e32 v5, 0x7800000, v5
	v_cmp_gt_u32_e32 vcc, s3, v1
	v_bfe_i32 v4, v4, 0, 16
	s_nop 0
	v_cndmask_b32_e32 v1, v5, v6, vcc
	v_and_or_b32 v1, v4, s6, v1
	v_trunc_f32_e32 v1, v1
	v_mul_f32_e64 v4, |v1|, s7
	v_floor_f32_e32 v4, v4
	v_fma_f32 v5, v4, s9, |v1|
	v_cvt_u32_f32_e32 v4, v4
	v_cvt_u32_f32_e32 v5, v5
	v_ashrrev_i32_e32 v1, 31, v1
	v_xor_b32_e32 v6, v4, v1
	v_xor_b32_e32 v4, v5, v1
	v_sub_co_u32_e32 v4, vcc, v4, v1
	s_nop 1
	v_subb_co_u32_e32 v5, vcc, v6, v1, vcc
.LBB377_617:
	s_mov_b64 s[6:7], 0
	s_mov_b64 s[2:3], -1
.LBB377_618:
	s_andn2_b64 vcc, exec, s[6:7]
	s_cbranch_vccnz .LBB377_631
; %bb.619:
	s_cmp_gt_i32 s8, 14
	s_cbranch_scc0 .LBB377_622
; %bb.620:
	s_cmp_eq_u32 s8, 15
	s_cbranch_scc0 .LBB377_625
; %bb.621:
	global_load_ushort v1, v[2:3], off
	s_mov_b32 s2, 0x2f800000
	s_mov_b32 s3, 0xcf800000
	s_mov_b64 s[4:5], 0
	s_waitcnt vmcnt(0)
	v_lshlrev_b32_e32 v1, 16, v1
	v_trunc_f32_e32 v1, v1
	v_mul_f32_e64 v4, |v1|, s2
	v_floor_f32_e32 v4, v4
	v_fma_f32 v5, v4, s3, |v1|
	v_cvt_u32_f32_e32 v4, v4
	v_cvt_u32_f32_e32 v5, v5
	v_ashrrev_i32_e32 v1, 31, v1
	s_mov_b64 s[2:3], -1
	v_xor_b32_e32 v6, v4, v1
	v_xor_b32_e32 v4, v5, v1
	v_sub_co_u32_e32 v4, vcc, v4, v1
	s_nop 1
	v_subb_co_u32_e32 v5, vcc, v6, v1, vcc
	s_branch .LBB377_626
.LBB377_622:
	s_mov_b64 s[6:7], -1
                                        ; implicit-def: $vgpr4_vgpr5
	s_branch .LBB377_627
.LBB377_623:
	s_andn2_saveexec_b64 s[2:3], s[2:3]
	s_cbranch_execz .LBB377_604
.LBB377_624:
	v_cmp_ne_u16_e32 vcc, 0, v1
	s_andn2_b64 s[6:7], s[6:7], exec
	s_and_b64 s[10:11], vcc, exec
	s_or_b64 s[6:7], s[6:7], s[10:11]
	s_or_b64 exec, exec, s[2:3]
	v_mov_b64_e32 v[4:5], 0
	s_and_saveexec_b64 s[2:3], s[6:7]
	s_cbranch_execnz .LBB377_605
	s_branch .LBB377_606
.LBB377_625:
	s_mov_b64 s[4:5], -1
                                        ; implicit-def: $vgpr4_vgpr5
.LBB377_626:
	s_mov_b64 s[6:7], 0
.LBB377_627:
	s_and_b64 vcc, exec, s[6:7]
	s_cbranch_vccz .LBB377_631
; %bb.628:
	s_cmp_eq_u32 s8, 11
	s_cbranch_scc0 .LBB377_630
; %bb.629:
	global_load_ubyte v1, v[2:3], off
	s_mov_b32 s4, 0
	s_mov_b64 s[2:3], -1
	s_waitcnt vmcnt(1)
	v_mov_b32_e32 v5, s4
	s_mov_b64 s[4:5], 0
	s_waitcnt vmcnt(0)
	v_cmp_ne_u16_e32 vcc, 0, v1
	s_nop 1
	v_cndmask_b32_e64 v4, 0, 1, vcc
	s_branch .LBB377_631
.LBB377_630:
	s_mov_b64 s[4:5], -1
                                        ; implicit-def: $vgpr4_vgpr5
.LBB377_631:
	s_mov_b64 s[6:7], 0
.LBB377_632:
	s_and_b64 vcc, exec, s[6:7]
	s_cbranch_vccz .LBB377_681
; %bb.633:
	s_cmp_lt_i32 s8, 5
	s_cbranch_scc1 .LBB377_638
; %bb.634:
	s_cmp_lt_i32 s8, 8
	s_cbranch_scc1 .LBB377_639
	;; [unrolled: 3-line block ×3, first 2 shown]
; %bb.636:
	s_cmp_gt_i32 s8, 9
	s_cbranch_scc0 .LBB377_641
; %bb.637:
	global_load_dwordx2 v[4:5], v[2:3], off
	s_movk_i32 s2, 0xffe0
	s_waitcnt vmcnt(0)
	v_trunc_f64_e32 v[6:7], v[4:5]
	v_ldexp_f64 v[4:5], v[6:7], s2
	v_floor_f64_e32 v[8:9], v[4:5]
	v_fmac_f64_e32 v[6:7], 0xc1f00000, v[8:9]
	v_cvt_i32_f64_e32 v5, v[8:9]
	v_cvt_u32_f64_e32 v4, v[6:7]
	s_mov_b64 s[2:3], 0
	s_branch .LBB377_642
.LBB377_638:
	s_mov_b64 s[2:3], -1
                                        ; implicit-def: $vgpr4_vgpr5
	s_branch .LBB377_660
.LBB377_639:
	s_mov_b64 s[2:3], -1
                                        ; implicit-def: $vgpr4_vgpr5
	s_branch .LBB377_648
.LBB377_640:
	s_mov_b64 s[2:3], -1
                                        ; implicit-def: $vgpr4_vgpr5
	s_branch .LBB377_645
.LBB377_641:
	s_mov_b64 s[2:3], -1
                                        ; implicit-def: $vgpr4_vgpr5
.LBB377_642:
	s_andn2_b64 vcc, exec, s[2:3]
	s_cbranch_vccnz .LBB377_644
; %bb.643:
	global_load_dword v1, v[2:3], off
	s_mov_b32 s2, 0x2f800000
	s_mov_b32 s3, 0xcf800000
	s_waitcnt vmcnt(0)
	v_trunc_f32_e32 v1, v1
	v_mul_f32_e64 v4, |v1|, s2
	v_floor_f32_e32 v4, v4
	v_cvt_u32_f32_e32 v5, v4
	v_fma_f32 v4, v4, s3, |v1|
	v_cvt_u32_f32_e32 v4, v4
	v_ashrrev_i32_e32 v1, 31, v1
	v_xor_b32_e32 v5, v5, v1
	v_xor_b32_e32 v4, v4, v1
	v_sub_co_u32_e32 v4, vcc, v4, v1
	s_nop 1
	v_subb_co_u32_e32 v5, vcc, v5, v1, vcc
.LBB377_644:
	s_mov_b64 s[2:3], 0
.LBB377_645:
	s_andn2_b64 vcc, exec, s[2:3]
	s_cbranch_vccnz .LBB377_647
; %bb.646:
	global_load_dword v1, v[2:3], off
	s_waitcnt vmcnt(0)
	v_cvt_f32_f16_e32 v1, v1
	v_cvt_i32_f32_e32 v4, v1
	v_ashrrev_i32_e32 v5, 31, v4
.LBB377_647:
	s_mov_b64 s[2:3], 0
.LBB377_648:
	s_andn2_b64 vcc, exec, s[2:3]
	s_cbranch_vccnz .LBB377_659
; %bb.649:
	s_cmp_lt_i32 s8, 6
	s_cbranch_scc1 .LBB377_652
; %bb.650:
	s_cmp_gt_i32 s8, 6
	s_cbranch_scc0 .LBB377_653
; %bb.651:
	global_load_dwordx2 v[4:5], v[2:3], off
	s_movk_i32 s2, 0xffe0
	s_waitcnt vmcnt(0)
	v_trunc_f64_e32 v[6:7], v[4:5]
	v_ldexp_f64 v[4:5], v[6:7], s2
	v_floor_f64_e32 v[8:9], v[4:5]
	v_fmac_f64_e32 v[6:7], 0xc1f00000, v[8:9]
	v_cvt_i32_f64_e32 v5, v[8:9]
	v_cvt_u32_f64_e32 v4, v[6:7]
	s_mov_b64 s[2:3], 0
	s_branch .LBB377_654
.LBB377_652:
	s_mov_b64 s[2:3], -1
                                        ; implicit-def: $vgpr4_vgpr5
	s_branch .LBB377_657
.LBB377_653:
	s_mov_b64 s[2:3], -1
                                        ; implicit-def: $vgpr4_vgpr5
.LBB377_654:
	s_andn2_b64 vcc, exec, s[2:3]
	s_cbranch_vccnz .LBB377_656
; %bb.655:
	global_load_dword v1, v[2:3], off
	s_mov_b32 s2, 0x2f800000
	s_mov_b32 s3, 0xcf800000
	s_waitcnt vmcnt(0)
	v_trunc_f32_e32 v1, v1
	v_mul_f32_e64 v4, |v1|, s2
	v_floor_f32_e32 v4, v4
	v_cvt_u32_f32_e32 v5, v4
	v_fma_f32 v4, v4, s3, |v1|
	v_cvt_u32_f32_e32 v4, v4
	v_ashrrev_i32_e32 v1, 31, v1
	v_xor_b32_e32 v5, v5, v1
	v_xor_b32_e32 v4, v4, v1
	v_sub_co_u32_e32 v4, vcc, v4, v1
	s_nop 1
	v_subb_co_u32_e32 v5, vcc, v5, v1, vcc
.LBB377_656:
	s_mov_b64 s[2:3], 0
.LBB377_657:
	s_andn2_b64 vcc, exec, s[2:3]
	s_cbranch_vccnz .LBB377_659
; %bb.658:
	global_load_ushort v1, v[2:3], off
	s_waitcnt vmcnt(0)
	v_cvt_f32_f16_e32 v1, v1
	v_cvt_i32_f32_e32 v4, v1
	v_ashrrev_i32_e32 v5, 31, v4
.LBB377_659:
	s_mov_b64 s[2:3], 0
.LBB377_660:
	s_andn2_b64 vcc, exec, s[2:3]
	s_cbranch_vccnz .LBB377_680
; %bb.661:
	s_cmp_lt_i32 s8, 2
	s_cbranch_scc1 .LBB377_665
; %bb.662:
	s_cmp_lt_i32 s8, 3
	s_cbranch_scc1 .LBB377_666
; %bb.663:
	s_cmp_gt_i32 s8, 3
	s_cbranch_scc0 .LBB377_667
; %bb.664:
	global_load_dwordx2 v[4:5], v[2:3], off
	s_mov_b64 s[2:3], 0
	s_branch .LBB377_668
.LBB377_665:
	s_mov_b64 s[2:3], -1
                                        ; implicit-def: $vgpr4_vgpr5
	s_branch .LBB377_674
.LBB377_666:
	s_mov_b64 s[2:3], -1
                                        ; implicit-def: $vgpr4_vgpr5
	s_branch .LBB377_671
.LBB377_667:
	s_mov_b64 s[2:3], -1
                                        ; implicit-def: $vgpr4_vgpr5
.LBB377_668:
	s_andn2_b64 vcc, exec, s[2:3]
	s_cbranch_vccnz .LBB377_670
; %bb.669:
	global_load_dword v4, v[2:3], off
	s_waitcnt vmcnt(0)
	v_ashrrev_i32_e32 v5, 31, v4
.LBB377_670:
	s_mov_b64 s[2:3], 0
.LBB377_671:
	s_andn2_b64 vcc, exec, s[2:3]
	s_cbranch_vccnz .LBB377_673
; %bb.672:
	global_load_ushort v1, v[2:3], off
	s_waitcnt vmcnt(0)
	v_bfe_i32 v4, v1, 0, 16
	v_ashrrev_i32_e32 v5, 31, v4
.LBB377_673:
	s_mov_b64 s[2:3], 0
.LBB377_674:
	s_andn2_b64 vcc, exec, s[2:3]
	s_cbranch_vccnz .LBB377_680
; %bb.675:
	s_cmp_gt_i32 s8, 0
	s_cbranch_scc0 .LBB377_677
; %bb.676:
	global_load_sbyte v1, v[2:3], off
	s_mov_b64 s[2:3], 0
	s_waitcnt vmcnt(0)
	v_bfe_i32 v4, v1, 0, 16
	v_ashrrev_i32_e32 v5, 31, v4
	s_branch .LBB377_678
.LBB377_677:
	s_mov_b64 s[2:3], -1
                                        ; implicit-def: $vgpr4_vgpr5
.LBB377_678:
	s_andn2_b64 vcc, exec, s[2:3]
	s_cbranch_vccnz .LBB377_680
; %bb.679:
	global_load_ubyte v1, v[2:3], off
	s_mov_b32 s2, 0
	s_waitcnt vmcnt(1)
	v_mov_b32_e32 v5, s2
	s_waitcnt vmcnt(0)
	v_and_b32_e32 v4, 0xffff, v1
.LBB377_680:
	s_mov_b64 s[2:3], -1
.LBB377_681:
	s_andn2_b64 vcc, exec, s[2:3]
	s_cbranch_vccnz .LBB377_689
; %bb.682:
	v_mov_b32_e32 v1, s47
	s_waitcnt vmcnt(0)
	v_cmp_lt_i64_e32 vcc, s[46:47], v[4:5]
	s_and_b32 s12, s75, 0xff
	s_cmp_lt_i32 s12, 11
	v_cndmask_b32_e32 v3, v1, v5, vcc
	v_mov_b32_e32 v1, s46
	v_cndmask_b32_e32 v2, v1, v4, vcc
	v_mov_b32_e32 v1, 0
	v_lshl_add_u64 v[0:1], s[20:21], 0, v[0:1]
	s_cbranch_scc1 .LBB377_690
; %bb.683:
	s_and_b32 s13, 0xffff, s12
	s_cmp_gt_i32 s13, 25
	s_cbranch_scc0 .LBB377_691
; %bb.684:
	s_cmp_gt_i32 s13, 28
	s_cbranch_scc0 .LBB377_692
; %bb.685:
	;; [unrolled: 3-line block ×4, first 2 shown]
	s_mov_b64 s[8:9], 0
	s_mov_b64 s[2:3], -1
	s_cmp_eq_u32 s13, 46
	s_mov_b64 s[6:7], 0
	s_cbranch_scc0 .LBB377_695
; %bb.688:
	v_xor_b32_e32 v5, v2, v3
	v_ffbh_i32_e32 v4, v3
	v_ashrrev_i32_e32 v5, 31, v5
	v_add_u32_e32 v4, -1, v4
	v_add_u32_e32 v5, 32, v5
	v_min_u32_e32 v6, v4, v5
	v_lshlrev_b64 v[4:5], v6, v[2:3]
	v_min_u32_e32 v4, 1, v4
	v_or_b32_e32 v4, v5, v4
	v_cvt_f32_i32_e32 v4, v4
	v_sub_u32_e32 v5, 32, v6
	s_movk_i32 s2, 0x7fff
	s_mov_b64 s[6:7], -1
	v_ldexp_f32 v4, v4, v5
	v_bfe_u32 v5, v4, 16, 1
	v_add3_u32 v4, v4, v5, s2
	v_lshrrev_b32_e32 v4, 16, v4
	global_store_dword v[0:1], v4, off
	s_mov_b64 s[2:3], 0
	s_branch .LBB377_695
.LBB377_689:
	s_mov_b64 s[6:7], 0
	s_mov_b64 s[2:3], s[64:65]
	s_branch .LBB377_806
.LBB377_690:
	s_mov_b64 s[8:9], -1
	s_mov_b64 s[6:7], 0
	s_mov_b64 s[2:3], s[64:65]
	s_branch .LBB377_764
.LBB377_691:
	s_mov_b64 s[8:9], -1
	s_mov_b64 s[6:7], 0
	s_mov_b64 s[2:3], s[64:65]
	s_branch .LBB377_722
.LBB377_692:
	s_mov_b64 s[8:9], -1
	s_mov_b64 s[6:7], 0
	s_mov_b64 s[2:3], s[64:65]
	s_branch .LBB377_705
.LBB377_693:
	s_mov_b64 s[8:9], -1
	s_mov_b64 s[6:7], 0
	s_mov_b64 s[2:3], s[64:65]
	s_branch .LBB377_701
.LBB377_694:
	s_mov_b64 s[8:9], -1
	s_mov_b64 s[6:7], 0
	s_mov_b64 s[2:3], s[64:65]
.LBB377_695:
	s_and_b64 vcc, exec, s[8:9]
	s_cbranch_vccz .LBB377_700
; %bb.696:
	s_cmp_eq_u32 s13, 44
	s_mov_b64 s[2:3], -1
	s_cbranch_scc0 .LBB377_700
; %bb.697:
	v_xor_b32_e32 v5, v2, v3
	v_ffbh_i32_e32 v4, v3
	v_ashrrev_i32_e32 v5, 31, v5
	v_add_u32_e32 v4, -1, v4
	v_add_u32_e32 v5, 32, v5
	v_min_u32_e32 v6, v4, v5
	v_lshlrev_b64 v[4:5], v6, v[2:3]
	v_min_u32_e32 v4, 1, v4
	v_or_b32_e32 v4, v5, v4
	v_cvt_f32_i32_e32 v4, v4
	v_sub_u32_e32 v5, 32, v6
	s_movk_i32 s2, 0xff
	v_mov_b32_e32 v6, 0xff
	v_ldexp_f32 v4, v4, v5
	v_bfe_u32 v5, v4, 23, 8
	v_cmp_ne_u32_e32 vcc, s2, v5
	s_and_saveexec_b64 s[6:7], vcc
; %bb.698:
	s_mov_b32 s2, 0x3fffff
	v_lshrrev_b32_e32 v6, 23, v4
	v_and_b32_e32 v7, 0x400000, v4
	v_and_or_b32 v4, v4, s2, v5
	v_cmp_ne_u32_e32 vcc, 0, v7
	v_cmp_ne_u32_e64 s[2:3], 0, v4
	s_and_b64 s[2:3], vcc, s[2:3]
	s_nop 0
	v_cndmask_b32_e64 v4, 0, 1, s[2:3]
	v_add_u32_e32 v6, v6, v4
; %bb.699:
	s_or_b64 exec, exec, s[6:7]
	s_mov_b64 s[6:7], -1
	s_mov_b64 s[2:3], 0
	global_store_byte v[0:1], v6, off
.LBB377_700:
	s_mov_b64 s[8:9], 0
.LBB377_701:
	s_and_b64 vcc, exec, s[8:9]
	s_cbranch_vccz .LBB377_704
; %bb.702:
	s_cmp_eq_u32 s13, 29
	s_mov_b64 s[2:3], -1
	s_cbranch_scc0 .LBB377_704
; %bb.703:
	global_store_dwordx2 v[0:1], v[2:3], off
	s_mov_b64 s[6:7], -1
	s_mov_b64 s[2:3], 0
.LBB377_704:
	s_mov_b64 s[8:9], 0
.LBB377_705:
	s_and_b64 vcc, exec, s[8:9]
	s_cbranch_vccz .LBB377_721
; %bb.706:
	s_cmp_lt_i32 s13, 27
	s_mov_b64 s[6:7], -1
	s_cbranch_scc1 .LBB377_712
; %bb.707:
	s_cmp_gt_i32 s13, 27
	s_cbranch_scc0 .LBB377_709
; %bb.708:
	s_mov_b64 s[6:7], 0
	global_store_dword v[0:1], v2, off
.LBB377_709:
	s_andn2_b64 vcc, exec, s[6:7]
	s_cbranch_vccnz .LBB377_711
; %bb.710:
	global_store_short v[0:1], v2, off
.LBB377_711:
	s_mov_b64 s[6:7], 0
.LBB377_712:
	s_andn2_b64 vcc, exec, s[6:7]
	s_cbranch_vccnz .LBB377_720
; %bb.713:
	v_xor_b32_e32 v5, v2, v3
	v_ffbh_i32_e32 v4, v3
	v_ashrrev_i32_e32 v5, 31, v5
	v_add_u32_e32 v4, -1, v4
	v_add_u32_e32 v5, 32, v5
	v_min_u32_e32 v6, v4, v5
	v_lshlrev_b64 v[4:5], v6, v[2:3]
	v_min_u32_e32 v4, 1, v4
	v_or_b32_e32 v4, v5, v4
	v_cvt_f32_i32_e32 v4, v4
	v_sub_u32_e32 v5, 32, v6
	s_mov_b32 s6, 0x43800000
	v_mov_b32_e32 v6, 0x80
	v_ldexp_f32 v4, v4, v5
	v_and_b32_e32 v5, 0x7fffffff, v4
	v_cmp_gt_u32_e32 vcc, s6, v5
	s_and_saveexec_b64 s[6:7], vcc
	s_cbranch_execz .LBB377_719
; %bb.714:
	s_mov_b32 s8, 0x3bffffff
	v_cmp_lt_u32_e32 vcc, s8, v5
	s_mov_b64 s[8:9], 0
                                        ; implicit-def: $vgpr5
	s_and_saveexec_b64 s[10:11], vcc
	s_xor_b64 s[10:11], exec, s[10:11]
	s_cbranch_execz .LBB377_837
; %bb.715:
	v_bfe_u32 v5, v4, 20, 1
	s_mov_b32 s14, 0x487ffff
	v_add3_u32 v5, v4, v5, s14
	s_mov_b64 s[8:9], exec
	v_lshrrev_b32_e32 v5, 20, v5
	s_andn2_saveexec_b64 s[10:11], s[10:11]
	s_cbranch_execnz .LBB377_838
.LBB377_716:
	s_or_b64 exec, exec, s[10:11]
	v_mov_b32_e32 v6, 0
	s_and_saveexec_b64 s[10:11], s[8:9]
.LBB377_717:
	v_lshrrev_b32_e32 v4, 24, v4
	s_movk_i32 s8, 0x80
	v_and_or_b32 v6, v4, s8, v5
.LBB377_718:
	s_or_b64 exec, exec, s[10:11]
.LBB377_719:
	s_or_b64 exec, exec, s[6:7]
	global_store_byte v[0:1], v6, off
.LBB377_720:
	s_mov_b64 s[6:7], -1
.LBB377_721:
	s_mov_b64 s[8:9], 0
.LBB377_722:
	s_and_b64 vcc, exec, s[8:9]
	s_cbranch_vccz .LBB377_763
; %bb.723:
	s_cmp_gt_i32 s13, 22
	s_mov_b64 s[8:9], -1
	s_cbranch_scc0 .LBB377_755
; %bb.724:
	s_cmp_lt_i32 s13, 24
	s_mov_b64 s[6:7], -1
	s_cbranch_scc1 .LBB377_744
; %bb.725:
	s_cmp_gt_i32 s13, 24
	s_cbranch_scc0 .LBB377_733
; %bb.726:
	v_xor_b32_e32 v5, v2, v3
	v_ffbh_i32_e32 v4, v3
	v_ashrrev_i32_e32 v5, 31, v5
	v_add_u32_e32 v4, -1, v4
	v_add_u32_e32 v5, 32, v5
	v_min_u32_e32 v6, v4, v5
	v_lshlrev_b64 v[4:5], v6, v[2:3]
	v_min_u32_e32 v4, 1, v4
	v_or_b32_e32 v4, v5, v4
	v_cvt_f32_i32_e32 v4, v4
	v_sub_u32_e32 v5, 32, v6
	s_mov_b32 s6, 0x47800000
	v_mov_b32_e32 v6, 0x80
	v_ldexp_f32 v4, v4, v5
	v_and_b32_e32 v5, 0x7fffffff, v4
	v_cmp_gt_u32_e32 vcc, s6, v5
	s_and_saveexec_b64 s[6:7], vcc
	s_cbranch_execz .LBB377_732
; %bb.727:
	s_mov_b32 s8, 0x37ffffff
	v_cmp_lt_u32_e32 vcc, s8, v5
	s_mov_b64 s[8:9], 0
                                        ; implicit-def: $vgpr5
	s_and_saveexec_b64 s[10:11], vcc
	s_xor_b64 s[10:11], exec, s[10:11]
	s_cbranch_execz .LBB377_840
; %bb.728:
	v_bfe_u32 v5, v4, 21, 1
	s_mov_b32 s14, 0x88fffff
	v_add3_u32 v5, v4, v5, s14
	s_mov_b64 s[8:9], exec
	v_lshrrev_b32_e32 v5, 21, v5
	s_andn2_saveexec_b64 s[10:11], s[10:11]
	s_cbranch_execnz .LBB377_841
.LBB377_729:
	s_or_b64 exec, exec, s[10:11]
	v_mov_b32_e32 v6, 0
	s_and_saveexec_b64 s[10:11], s[8:9]
.LBB377_730:
	v_lshrrev_b32_e32 v4, 24, v4
	s_movk_i32 s8, 0x80
	v_and_or_b32 v6, v4, s8, v5
.LBB377_731:
	s_or_b64 exec, exec, s[10:11]
.LBB377_732:
	s_or_b64 exec, exec, s[6:7]
	s_mov_b64 s[6:7], 0
	global_store_byte v[0:1], v6, off
.LBB377_733:
	s_and_b64 vcc, exec, s[6:7]
	s_cbranch_vccz .LBB377_743
; %bb.734:
	v_xor_b32_e32 v5, v2, v3
	v_ffbh_i32_e32 v4, v3
	v_ashrrev_i32_e32 v5, 31, v5
	v_add_u32_e32 v4, -1, v4
	v_add_u32_e32 v5, 32, v5
	v_min_u32_e32 v6, v4, v5
	v_lshlrev_b64 v[4:5], v6, v[2:3]
	v_min_u32_e32 v4, 1, v4
	v_or_b32_e32 v4, v5, v4
	v_cvt_f32_i32_e32 v4, v4
	v_sub_u32_e32 v5, 32, v6
	s_mov_b32 s6, 0x43f00000
	v_ldexp_f32 v4, v4, v5
	v_and_b32_e32 v6, 0x7fffffff, v4
	v_cmp_gt_u32_e32 vcc, s6, v6
                                        ; implicit-def: $vgpr5
	s_and_saveexec_b64 s[6:7], vcc
	s_xor_b64 s[6:7], exec, s[6:7]
	s_cbranch_execz .LBB377_740
; %bb.735:
	s_mov_b32 s8, 0x3c7fffff
	v_cmp_lt_u32_e32 vcc, s8, v6
                                        ; implicit-def: $vgpr5
	s_and_saveexec_b64 s[8:9], vcc
	s_xor_b64 s[8:9], exec, s[8:9]
; %bb.736:
	v_bfe_u32 v5, v4, 20, 1
	s_mov_b32 s10, 0x407ffff
	v_add3_u32 v5, v4, v5, s10
	v_lshrrev_b32_e32 v6, 20, v5
	v_and_b32_e32 v5, 0xff00000, v5
	s_mov_b32 s10, 0x7f00000
	v_mov_b32_e32 v7, 0x7e
	v_cmp_ne_u32_e32 vcc, s10, v5
	s_nop 1
	v_cndmask_b32_e32 v5, v7, v6, vcc
; %bb.737:
	s_andn2_saveexec_b64 s[8:9], s[8:9]
; %bb.738:
	s_mov_b32 s10, 0x46800000
	v_add_f32_e64 v5, |v4|, s10
; %bb.739:
	s_or_b64 exec, exec, s[8:9]
                                        ; implicit-def: $vgpr6
.LBB377_740:
	s_andn2_saveexec_b64 s[6:7], s[6:7]
; %bb.741:
	s_mov_b32 s8, 0x7f800000
	v_mov_b32_e32 v5, 0x7e
	v_mov_b32_e32 v7, 0x7f
	v_cmp_lt_u32_e32 vcc, s8, v6
	s_nop 1
	v_cndmask_b32_e32 v5, v5, v7, vcc
; %bb.742:
	s_or_b64 exec, exec, s[6:7]
	v_lshrrev_b32_e32 v4, 24, v4
	s_movk_i32 s6, 0x80
	v_and_or_b32 v4, v4, s6, v5
	global_store_byte v[0:1], v4, off
.LBB377_743:
	s_mov_b64 s[6:7], 0
.LBB377_744:
	s_andn2_b64 vcc, exec, s[6:7]
	s_cbranch_vccnz .LBB377_754
; %bb.745:
	v_xor_b32_e32 v5, v2, v3
	v_ffbh_i32_e32 v4, v3
	v_ashrrev_i32_e32 v5, 31, v5
	v_add_u32_e32 v4, -1, v4
	v_add_u32_e32 v5, 32, v5
	v_min_u32_e32 v6, v4, v5
	v_lshlrev_b64 v[4:5], v6, v[2:3]
	v_min_u32_e32 v4, 1, v4
	v_or_b32_e32 v4, v5, v4
	v_cvt_f32_i32_e32 v4, v4
	v_sub_u32_e32 v5, 32, v6
	s_mov_b32 s6, 0x47800000
	v_ldexp_f32 v4, v4, v5
	v_and_b32_e32 v6, 0x7fffffff, v4
	v_cmp_gt_u32_e32 vcc, s6, v6
                                        ; implicit-def: $vgpr5
	s_and_saveexec_b64 s[6:7], vcc
	s_xor_b64 s[6:7], exec, s[6:7]
	s_cbranch_execz .LBB377_751
; %bb.746:
	s_mov_b32 s8, 0x387fffff
	v_cmp_lt_u32_e32 vcc, s8, v6
                                        ; implicit-def: $vgpr5
	s_and_saveexec_b64 s[8:9], vcc
	s_xor_b64 s[8:9], exec, s[8:9]
; %bb.747:
	v_bfe_u32 v5, v4, 21, 1
	s_mov_b32 s10, 0x80fffff
	v_add3_u32 v5, v4, v5, s10
	v_lshrrev_b32_e32 v5, 21, v5
; %bb.748:
	s_andn2_saveexec_b64 s[8:9], s[8:9]
; %bb.749:
	s_mov_b32 s10, 0x43000000
	v_add_f32_e64 v5, |v4|, s10
; %bb.750:
	s_or_b64 exec, exec, s[8:9]
                                        ; implicit-def: $vgpr6
.LBB377_751:
	s_andn2_saveexec_b64 s[6:7], s[6:7]
; %bb.752:
	s_mov_b32 s8, 0x7f800000
	v_mov_b32_e32 v5, 0x7c
	v_mov_b32_e32 v7, 0x7f
	v_cmp_lt_u32_e32 vcc, s8, v6
	s_nop 1
	v_cndmask_b32_e32 v5, v5, v7, vcc
; %bb.753:
	s_or_b64 exec, exec, s[6:7]
	v_lshrrev_b32_e32 v4, 24, v4
	s_movk_i32 s6, 0x80
	v_and_or_b32 v4, v4, s6, v5
	global_store_byte v[0:1], v4, off
.LBB377_754:
	s_mov_b64 s[8:9], 0
	s_mov_b64 s[6:7], -1
.LBB377_755:
	s_andn2_b64 vcc, exec, s[8:9]
	s_cbranch_vccnz .LBB377_763
; %bb.756:
	s_cmp_gt_i32 s13, 14
	s_mov_b64 s[8:9], -1
	s_cbranch_scc0 .LBB377_760
; %bb.757:
	s_cmp_eq_u32 s13, 15
	s_mov_b64 s[2:3], -1
	s_cbranch_scc0 .LBB377_759
; %bb.758:
	v_xor_b32_e32 v5, v2, v3
	v_ffbh_i32_e32 v4, v3
	v_ashrrev_i32_e32 v5, 31, v5
	v_add_u32_e32 v4, -1, v4
	v_add_u32_e32 v5, 32, v5
	v_min_u32_e32 v6, v4, v5
	v_lshlrev_b64 v[4:5], v6, v[2:3]
	v_min_u32_e32 v4, 1, v4
	v_or_b32_e32 v4, v5, v4
	v_cvt_f32_i32_e32 v4, v4
	v_sub_u32_e32 v5, 32, v6
	s_movk_i32 s2, 0x7fff
	s_mov_b64 s[6:7], -1
	v_ldexp_f32 v4, v4, v5
	v_bfe_u32 v5, v4, 16, 1
	v_add3_u32 v4, v4, v5, s2
	global_store_short_d16_hi v[0:1], v4, off
	s_mov_b64 s[2:3], 0
.LBB377_759:
	s_mov_b64 s[8:9], 0
.LBB377_760:
	s_and_b64 vcc, exec, s[8:9]
	s_cbranch_vccz .LBB377_763
; %bb.761:
	s_cmp_eq_u32 s13, 11
	s_mov_b64 s[2:3], -1
	s_cbranch_scc0 .LBB377_763
; %bb.762:
	v_cmp_ne_u64_e32 vcc, 0, v[2:3]
	s_mov_b64 s[2:3], 0
	s_mov_b64 s[6:7], -1
	v_cndmask_b32_e64 v4, 0, 1, vcc
	global_store_byte v[0:1], v4, off
.LBB377_763:
	s_mov_b64 s[8:9], 0
.LBB377_764:
	s_and_b64 vcc, exec, s[8:9]
	s_cbranch_vccz .LBB377_803
; %bb.765:
	s_and_b32 s8, 0xffff, s12
	s_cmp_lt_i32 s8, 5
	s_mov_b64 s[6:7], -1
	s_cbranch_scc1 .LBB377_786
; %bb.766:
	s_cmp_lt_i32 s8, 8
	s_cbranch_scc1 .LBB377_776
; %bb.767:
	s_cmp_lt_i32 s8, 9
	s_cbranch_scc1 .LBB377_773
; %bb.768:
	s_cmp_gt_i32 s8, 9
	s_cbranch_scc0 .LBB377_770
; %bb.769:
	v_cvt_f64_i32_e32 v[4:5], v3
	v_ldexp_f64 v[4:5], v[4:5], 32
	v_cvt_f64_u32_e32 v[6:7], v2
	v_add_f64 v[4:5], v[4:5], v[6:7]
	v_mov_b32_e32 v6, 0
	v_mov_b32_e32 v7, v6
	s_mov_b64 s[6:7], 0
	global_store_dwordx4 v[0:1], v[4:7], off
.LBB377_770:
	s_andn2_b64 vcc, exec, s[6:7]
	s_cbranch_vccnz .LBB377_772
; %bb.771:
	v_xor_b32_e32 v5, v2, v3
	v_ffbh_i32_e32 v4, v3
	v_ashrrev_i32_e32 v5, 31, v5
	v_add_u32_e32 v4, -1, v4
	v_add_u32_e32 v5, 32, v5
	v_min_u32_e32 v6, v4, v5
	v_lshlrev_b64 v[4:5], v6, v[2:3]
	v_min_u32_e32 v4, 1, v4
	v_or_b32_e32 v4, v5, v4
	v_cvt_f32_i32_e32 v4, v4
	v_sub_u32_e32 v5, 32, v6
	v_ldexp_f32 v4, v4, v5
	v_mov_b32_e32 v5, 0
	global_store_dwordx2 v[0:1], v[4:5], off
.LBB377_772:
	s_mov_b64 s[6:7], 0
.LBB377_773:
	s_andn2_b64 vcc, exec, s[6:7]
	s_cbranch_vccnz .LBB377_775
; %bb.774:
	v_xor_b32_e32 v5, v2, v3
	v_ffbh_i32_e32 v4, v3
	v_ashrrev_i32_e32 v5, 31, v5
	v_add_u32_e32 v4, -1, v4
	v_add_u32_e32 v5, 32, v5
	v_min_u32_e32 v6, v4, v5
	v_lshlrev_b64 v[4:5], v6, v[2:3]
	v_min_u32_e32 v4, 1, v4
	v_or_b32_e32 v4, v5, v4
	v_cvt_f32_i32_e32 v4, v4
	v_sub_u32_e32 v5, 32, v6
	v_ldexp_f32 v4, v4, v5
	v_cvt_f16_f32_e32 v4, v4
	global_store_dword v[0:1], v4, off
.LBB377_775:
	s_mov_b64 s[6:7], 0
.LBB377_776:
	s_andn2_b64 vcc, exec, s[6:7]
	s_cbranch_vccnz .LBB377_785
; %bb.777:
	s_cmp_lt_i32 s8, 6
	s_mov_b64 s[6:7], -1
	s_cbranch_scc1 .LBB377_783
; %bb.778:
	s_cmp_gt_i32 s8, 6
	s_cbranch_scc0 .LBB377_780
; %bb.779:
	v_cvt_f64_i32_e32 v[4:5], v3
	v_ldexp_f64 v[4:5], v[4:5], 32
	v_cvt_f64_u32_e32 v[6:7], v2
	v_add_f64 v[4:5], v[4:5], v[6:7]
	s_mov_b64 s[6:7], 0
	global_store_dwordx2 v[0:1], v[4:5], off
.LBB377_780:
	s_andn2_b64 vcc, exec, s[6:7]
	s_cbranch_vccnz .LBB377_782
; %bb.781:
	v_xor_b32_e32 v5, v2, v3
	v_ffbh_i32_e32 v4, v3
	v_ashrrev_i32_e32 v5, 31, v5
	v_add_u32_e32 v4, -1, v4
	v_add_u32_e32 v5, 32, v5
	v_min_u32_e32 v6, v4, v5
	v_lshlrev_b64 v[4:5], v6, v[2:3]
	v_min_u32_e32 v4, 1, v4
	v_or_b32_e32 v4, v5, v4
	v_cvt_f32_i32_e32 v4, v4
	v_sub_u32_e32 v5, 32, v6
	v_ldexp_f32 v4, v4, v5
	global_store_dword v[0:1], v4, off
.LBB377_782:
	s_mov_b64 s[6:7], 0
.LBB377_783:
	s_andn2_b64 vcc, exec, s[6:7]
	s_cbranch_vccnz .LBB377_785
; %bb.784:
	v_xor_b32_e32 v5, v2, v3
	v_ffbh_i32_e32 v4, v3
	v_ashrrev_i32_e32 v5, 31, v5
	v_add_u32_e32 v4, -1, v4
	v_add_u32_e32 v5, 32, v5
	v_min_u32_e32 v6, v4, v5
	v_lshlrev_b64 v[4:5], v6, v[2:3]
	v_min_u32_e32 v4, 1, v4
	v_or_b32_e32 v4, v5, v4
	v_cvt_f32_i32_e32 v4, v4
	v_sub_u32_e32 v5, 32, v6
	v_ldexp_f32 v4, v4, v5
	v_cvt_f16_f32_e32 v4, v4
	global_store_short v[0:1], v4, off
.LBB377_785:
	s_mov_b64 s[6:7], 0
.LBB377_786:
	s_andn2_b64 vcc, exec, s[6:7]
	s_cbranch_vccnz .LBB377_802
; %bb.787:
	s_cmp_lt_i32 s8, 2
	s_mov_b64 s[6:7], -1
	s_cbranch_scc1 .LBB377_797
; %bb.788:
	s_cmp_lt_i32 s8, 3
	s_cbranch_scc1 .LBB377_794
; %bb.789:
	s_cmp_gt_i32 s8, 3
	s_cbranch_scc0 .LBB377_791
; %bb.790:
	s_mov_b64 s[6:7], 0
	global_store_dwordx2 v[0:1], v[2:3], off
.LBB377_791:
	s_andn2_b64 vcc, exec, s[6:7]
	s_cbranch_vccnz .LBB377_793
; %bb.792:
	global_store_dword v[0:1], v2, off
.LBB377_793:
	s_mov_b64 s[6:7], 0
.LBB377_794:
	s_andn2_b64 vcc, exec, s[6:7]
	s_cbranch_vccnz .LBB377_796
; %bb.795:
	global_store_short v[0:1], v2, off
.LBB377_796:
	s_mov_b64 s[6:7], 0
.LBB377_797:
	s_andn2_b64 vcc, exec, s[6:7]
	s_cbranch_vccnz .LBB377_802
; %bb.798:
	s_cmp_gt_i32 s8, 0
	s_mov_b64 s[6:7], -1
	s_cbranch_scc0 .LBB377_800
; %bb.799:
	s_mov_b64 s[6:7], 0
	global_store_byte v[0:1], v2, off
.LBB377_800:
	s_andn2_b64 vcc, exec, s[6:7]
	s_cbranch_vccnz .LBB377_802
; %bb.801:
	global_store_byte v[0:1], v2, off
.LBB377_802:
	s_mov_b64 s[6:7], -1
.LBB377_803:
	s_andn2_b64 vcc, exec, s[6:7]
	s_cbranch_vccnz .LBB377_805
; %bb.804:
	v_add_u32_e32 v12, 0x80, v12
	s_mov_b64 s[6:7], -1
	s_branch .LBB377_807
.LBB377_805:
	s_mov_b64 s[6:7], 0
.LBB377_806:
                                        ; implicit-def: $vgpr12
.LBB377_807:
	s_andn2_b64 s[8:9], s[64:65], exec
	s_and_b64 s[2:3], s[2:3], exec
	s_or_b64 s[70:71], s[8:9], s[2:3]
	s_andn2_b64 s[2:3], s[62:63], exec
	s_and_b64 s[4:5], s[4:5], exec
	s_or_b64 s[2:3], s[2:3], s[4:5]
	s_orn2_b64 s[6:7], s[6:7], exec
.LBB377_808:
	s_or_b64 exec, exec, s[68:69]
	s_mov_b64 s[4:5], 0
	s_mov_b64 s[10:11], 0
	;; [unrolled: 1-line block ×3, first 2 shown]
                                        ; implicit-def: $vgpr2_vgpr3
                                        ; implicit-def: $vgpr0
                                        ; implicit-def: $vgpr6_vgpr7
	s_and_saveexec_b64 s[68:69], s[6:7]
	s_cbranch_execz .LBB377_904
; %bb.809:
	v_cmp_gt_i32_e32 vcc, s72, v12
	s_mov_b64 s[6:7], 0
	s_mov_b64 s[12:13], s[2:3]
                                        ; implicit-def: $vgpr2_vgpr3
                                        ; implicit-def: $vgpr0
                                        ; implicit-def: $vgpr6_vgpr7
	s_and_saveexec_b64 s[72:73], vcc
	s_cbranch_execz .LBB377_903
; %bb.810:
	s_andn2_b64 vcc, exec, s[42:43]
	s_cbranch_vccnz .LBB377_816
; %bb.811:
	s_andn2_b64 vcc, exec, s[54:55]
	s_cbranch_vccnz .LBB377_817
; %bb.812:
	s_add_i32 s78, s77, 1
	s_cmp_eq_u32 s74, 2
	s_cbranch_scc1 .LBB377_818
; %bb.813:
	s_and_b32 s77, s78, 28
	s_mov_b32 s79, 0
	v_mov_b32_e32 v0, 0
	v_mov_b32_e32 v2, 0
	s_mov_b64 s[54:55], s[34:35]
	s_waitcnt vmcnt(0)
	v_mov_b32_e32 v4, v12
.LBB377_814:                            ; =>This Inner Loop Header: Depth=1
	s_load_dwordx8 s[12:19], s[54:55], 0x4
	s_load_dwordx4 s[36:39], s[54:55], 0x24
	s_load_dwordx8 s[4:11], s[52:53], 0x0
	s_add_u32 s54, s54, 48
	s_addc_u32 s55, s55, 0
	s_waitcnt lgkmcnt(0)
	v_mul_hi_u32 v1, s13, v4
	v_add_u32_e32 v1, v4, v1
	v_lshrrev_b32_e32 v1, s14, v1
	v_mul_lo_u32 v3, v1, s12
	v_mul_hi_u32 v5, s16, v1
	v_sub_u32_e32 v3, v4, v3
	v_add_u32_e32 v4, v1, v5
	v_lshrrev_b32_e32 v4, s17, v4
	v_mul_lo_u32 v6, v4, s15
	v_mul_hi_u32 v7, s19, v4
	v_sub_u32_e32 v1, v1, v6
	v_add_u32_e32 v6, v4, v7
	v_mul_lo_u32 v5, v3, s5
	v_mul_lo_u32 v3, v3, s4
	;; [unrolled: 1-line block ×4, first 2 shown]
	v_lshrrev_b32_e32 v6, s36, v6
	v_add3_u32 v0, v3, v0, v1
	v_mul_hi_u32 v3, s38, v6
	v_add3_u32 v1, v5, v2, v7
	v_mul_lo_u32 v2, v6, s18
	v_add_u32_e32 v3, v6, v3
	v_sub_u32_e32 v2, v4, v2
	v_lshrrev_b32_e32 v4, s39, v3
	s_add_i32 s79, s79, 4
	v_mul_lo_u32 v3, v4, s37
	s_add_u32 s52, s52, 32
	v_sub_u32_e32 v3, v6, v3
	s_addc_u32 s53, s53, 0
	v_mul_lo_u32 v5, v2, s8
	v_mul_lo_u32 v2, v2, s9
	;; [unrolled: 1-line block ×4, first 2 shown]
	s_cmp_eq_u32 s77, s79
	v_add3_u32 v2, v2, v1, v3
	v_add3_u32 v0, v5, v0, v6
	s_cbranch_scc0 .LBB377_814
; %bb.815:
	v_mov_b32_e32 v1, v2
	s_branch .LBB377_819
.LBB377_816:
	s_mov_b64 s[4:5], -1
                                        ; implicit-def: $vgpr2
                                        ; implicit-def: $vgpr0
	s_branch .LBB377_823
.LBB377_817:
	v_mov_b32_e32 v2, 0
	v_mov_b32_e32 v0, 0
	s_branch .LBB377_822
.LBB377_818:
	v_mov_b32_e32 v0, 0
	s_mov_b32 s77, 0
	v_mov_b32_e32 v1, v0
                                        ; implicit-def: $vgpr2
	s_waitcnt vmcnt(0)
	v_mov_b32_e32 v4, v12
.LBB377_819:
	s_and_b32 s8, s78, 3
	s_cmp_eq_u32 s8, 0
	s_cbranch_scc1 .LBB377_822
; %bb.820:
	s_lshl_b32 s4, s77, 3
	s_add_u32 s4, s34, s4
	s_addc_u32 s5, s35, 0
	s_add_u32 s4, s4, 0xc4
	s_addc_u32 s5, s5, 0
	s_mul_i32 s6, s77, 12
	s_add_u32 s6, s34, s6
	s_addc_u32 s7, s35, 0
.LBB377_821:                            ; =>This Inner Loop Header: Depth=1
	s_load_dwordx2 s[10:11], s[6:7], 0x4
	s_load_dword s9, s[6:7], 0xc
	s_load_dwordx2 s[12:13], s[4:5], 0x0
	v_mov_b32_e32 v2, v1
	s_add_u32 s6, s6, 12
	s_waitcnt lgkmcnt(0)
	v_mul_hi_u32 v1, s11, v4
	v_add_u32_e32 v1, v4, v1
	v_lshrrev_b32_e32 v1, s9, v1
	s_addc_u32 s7, s7, 0
	v_mul_lo_u32 v3, v1, s10
	s_add_u32 s4, s4, 8
	v_sub_u32_e32 v5, v4, v3
	s_addc_u32 s5, s5, 0
	s_add_i32 s8, s8, -1
	v_mov_b32_e32 v4, v1
	v_mad_u64_u32 v[2:3], s[10:11], v5, s13, v[2:3]
	v_mad_u64_u32 v[0:1], s[10:11], v5, s12, v[0:1]
	s_cmp_lg_u32 s8, 0
	v_mov_b32_e32 v1, v2
	s_cbranch_scc1 .LBB377_821
.LBB377_822:
	s_mov_b64 s[4:5], 0
.LBB377_823:
	s_andn2_b64 vcc, exec, s[4:5]
	s_cbranch_vccnz .LBB377_826
; %bb.824:
	v_mul_hi_u32 v0, s25, v12
	v_add_u32_e32 v0, v12, v0
	v_lshrrev_b32_e32 v1, s26, v0
	v_mul_lo_u32 v0, v1, s24
	v_sub_u32_e32 v0, v12, v0
	v_mul_lo_u32 v2, v0, s29
	s_andn2_b64 vcc, exec, s[50:51]
	v_mul_lo_u32 v0, v0, s28
	s_cbranch_vccnz .LBB377_826
; %bb.825:
	v_mul_hi_u32 v3, s48, v1
	v_add_u32_e32 v3, v1, v3
	v_lshrrev_b32_e32 v3, s49, v3
	v_mul_lo_u32 v3, v3, s27
	v_sub_u32_e32 v3, v1, v3
	v_mad_u64_u32 v[0:1], s[4:5], v3, s30, v[0:1]
	v_mad_u64_u32 v[2:3], s[4:5], v3, s31, v[2:3]
.LBB377_826:
	v_mov_b32_e32 v3, 0
	s_and_b32 s12, 0xffff, s76
	s_cmp_lt_i32 s12, 11
	v_lshl_add_u64 v[2:3], s[22:23], 0, v[2:3]
	s_cbranch_scc1 .LBB377_833
; %bb.827:
	s_cmp_gt_i32 s12, 25
	s_mov_b64 s[6:7], 0
	s_cbranch_scc0 .LBB377_834
; %bb.828:
	s_cmp_gt_i32 s12, 28
	s_cbranch_scc0 .LBB377_835
; %bb.829:
	s_cmp_gt_i32 s12, 43
	;; [unrolled: 3-line block ×3, first 2 shown]
	s_cbranch_scc0 .LBB377_839
; %bb.831:
	s_cmp_eq_u32 s12, 46
	s_mov_b64 s[10:11], 0
	s_cbranch_scc0 .LBB377_842
; %bb.832:
	global_load_dword v1, v[2:3], off
	s_mov_b32 s4, 0x2f800000
	s_mov_b32 s5, 0xcf800000
	s_mov_b64 s[8:9], -1
	s_waitcnt vmcnt(0)
	v_lshlrev_b32_e32 v1, 16, v1
	v_trunc_f32_e32 v1, v1
	v_mul_f32_e64 v4, |v1|, s4
	v_floor_f32_e32 v4, v4
	v_fma_f32 v5, v4, s5, |v1|
	v_cvt_u32_f32_e32 v5, v5
	v_cvt_u32_f32_e32 v4, v4
	v_ashrrev_i32_e32 v1, 31, v1
	s_mov_b64 s[4:5], 0
	v_xor_b32_e32 v5, v5, v1
	v_xor_b32_e32 v4, v4, v1
	v_sub_co_u32_e32 v6, vcc, v5, v1
	s_nop 1
	v_subb_co_u32_e32 v7, vcc, v4, v1, vcc
	s_branch .LBB377_843
.LBB377_833:
	s_mov_b64 s[10:11], -1
	s_mov_b64 s[8:9], 0
	s_mov_b64 s[6:7], 0
	;; [unrolled: 1-line block ×3, first 2 shown]
                                        ; implicit-def: $vgpr6_vgpr7
	s_branch .LBB377_902
.LBB377_834:
	s_mov_b64 s[10:11], -1
	s_mov_b64 s[8:9], 0
	s_mov_b64 s[4:5], s[2:3]
                                        ; implicit-def: $vgpr6_vgpr7
	s_branch .LBB377_870
.LBB377_835:
	s_mov_b64 s[10:11], -1
	s_mov_b64 s[8:9], 0
	s_mov_b64 s[4:5], s[2:3]
                                        ; implicit-def: $vgpr6_vgpr7
	s_branch .LBB377_853
.LBB377_836:
	s_mov_b64 s[10:11], -1
	s_mov_b64 s[8:9], 0
	s_mov_b64 s[4:5], s[2:3]
                                        ; implicit-def: $vgpr6_vgpr7
	s_branch .LBB377_848
.LBB377_837:
	s_andn2_saveexec_b64 s[10:11], s[10:11]
	s_cbranch_execz .LBB377_716
.LBB377_838:
	s_mov_b32 s14, 0x46000000
	v_add_f32_e64 v5, |v4|, s14
	v_and_b32_e32 v5, 0xff, v5
	v_cmp_ne_u32_e32 vcc, 0, v5
	s_andn2_b64 s[8:9], s[8:9], exec
	s_and_b64 s[14:15], vcc, exec
	s_or_b64 s[8:9], s[8:9], s[14:15]
	s_or_b64 exec, exec, s[10:11]
	v_mov_b32_e32 v6, 0
	s_and_saveexec_b64 s[10:11], s[8:9]
	s_cbranch_execnz .LBB377_717
	s_branch .LBB377_718
.LBB377_839:
	s_mov_b64 s[10:11], -1
	s_mov_b64 s[8:9], 0
	s_mov_b64 s[4:5], s[2:3]
                                        ; implicit-def: $vgpr6_vgpr7
	s_branch .LBB377_843
.LBB377_840:
	s_andn2_saveexec_b64 s[10:11], s[10:11]
	s_cbranch_execz .LBB377_729
.LBB377_841:
	s_mov_b32 s14, 0x42800000
	v_add_f32_e64 v5, |v4|, s14
	v_and_b32_e32 v5, 0xff, v5
	v_cmp_ne_u32_e32 vcc, 0, v5
	s_andn2_b64 s[8:9], s[8:9], exec
	s_and_b64 s[14:15], vcc, exec
	s_or_b64 s[8:9], s[8:9], s[14:15]
	s_or_b64 exec, exec, s[10:11]
	v_mov_b32_e32 v6, 0
	s_and_saveexec_b64 s[10:11], s[8:9]
	s_cbranch_execnz .LBB377_730
	s_branch .LBB377_731
.LBB377_842:
	s_mov_b64 s[4:5], -1
                                        ; implicit-def: $vgpr6_vgpr7
	s_mov_b64 s[8:9], 0
.LBB377_843:
	s_and_b64 vcc, exec, s[10:11]
	s_cbranch_vccz .LBB377_847
; %bb.844:
	s_cmp_eq_u32 s12, 44
	s_cbranch_scc0 .LBB377_846
; %bb.845:
	global_load_ubyte v1, v[2:3], off
	s_mov_b32 s4, 0x2f800000
	s_mov_b32 s5, 0xcf800000
	s_mov_b64 s[8:9], -1
	s_waitcnt vmcnt(0)
	v_lshlrev_b32_e32 v4, 23, v1
	v_trunc_f32_e32 v4, v4
	v_mul_f32_e64 v5, |v4|, s4
	v_floor_f32_e32 v5, v5
	v_fma_f32 v6, v5, s5, |v4|
	v_cvt_u32_f32_e32 v6, v6
	v_cvt_u32_f32_e32 v5, v5
	v_ashrrev_i32_e32 v4, 31, v4
	s_mov_b64 s[4:5], 0
	v_xor_b32_e32 v6, v6, v4
	v_xor_b32_e32 v5, v5, v4
	v_sub_co_u32_e32 v6, vcc, v6, v4
	s_nop 1
	v_subb_co_u32_e32 v4, vcc, v5, v4, vcc
	v_cmp_ne_u32_e32 vcc, 0, v1
	s_nop 1
	v_cndmask_b32_e32 v7, 0, v4, vcc
	v_cndmask_b32_e32 v6, 0, v6, vcc
	s_branch .LBB377_847
.LBB377_846:
	s_mov_b64 s[4:5], -1
                                        ; implicit-def: $vgpr6_vgpr7
.LBB377_847:
	s_mov_b64 s[10:11], 0
.LBB377_848:
	s_and_b64 vcc, exec, s[10:11]
	s_cbranch_vccz .LBB377_852
; %bb.849:
	s_cmp_eq_u32 s12, 29
	s_cbranch_scc0 .LBB377_851
; %bb.850:
	global_load_dwordx2 v[6:7], v[2:3], off
	s_mov_b64 s[4:5], 0
	s_mov_b64 s[8:9], -1
	s_branch .LBB377_852
.LBB377_851:
	s_mov_b64 s[4:5], -1
                                        ; implicit-def: $vgpr6_vgpr7
.LBB377_852:
	s_mov_b64 s[10:11], 0
.LBB377_853:
	s_and_b64 vcc, exec, s[10:11]
	s_cbranch_vccz .LBB377_869
; %bb.854:
	s_cmp_lt_i32 s12, 27
	s_cbranch_scc1 .LBB377_857
; %bb.855:
	s_cmp_gt_i32 s12, 27
	s_cbranch_scc0 .LBB377_858
; %bb.856:
	global_load_dword v6, v[2:3], off
	s_waitcnt vmcnt(1)
	v_mov_b32_e32 v7, 0
	s_mov_b64 s[8:9], 0
	s_branch .LBB377_859
.LBB377_857:
	s_mov_b64 s[8:9], -1
                                        ; implicit-def: $vgpr6_vgpr7
	s_branch .LBB377_862
.LBB377_858:
	s_mov_b64 s[8:9], -1
                                        ; implicit-def: $vgpr6_vgpr7
.LBB377_859:
	s_andn2_b64 vcc, exec, s[8:9]
	s_cbranch_vccnz .LBB377_861
; %bb.860:
	global_load_ushort v1, v[2:3], off
	s_mov_b32 s8, 0
	s_waitcnt vmcnt(1)
	v_mov_b32_e32 v7, s8
	s_waitcnt vmcnt(0)
	v_and_b32_e32 v6, 0xffff, v1
.LBB377_861:
	s_mov_b64 s[8:9], 0
.LBB377_862:
	s_andn2_b64 vcc, exec, s[8:9]
	s_cbranch_vccnz .LBB377_868
; %bb.863:
	global_load_ubyte v1, v[2:3], off
	s_movk_i32 s8, 0x7f
	s_mov_b64 s[10:11], 0
	s_waitcnt vmcnt(0)
	v_cmp_lt_i16_e32 vcc, s8, v1
	s_and_saveexec_b64 s[8:9], vcc
	s_xor_b64 s[8:9], exec, s[8:9]
	s_cbranch_execz .LBB377_880
; %bb.864:
	s_movk_i32 s10, 0x80
	v_cmp_ne_u16_e32 vcc, s10, v1
	s_and_b64 s[10:11], vcc, exec
	s_andn2_saveexec_b64 s[8:9], s[8:9]
	s_cbranch_execnz .LBB377_881
.LBB377_865:
	s_or_b64 exec, exec, s[8:9]
	v_mov_b64_e32 v[6:7], 0
	s_and_saveexec_b64 s[8:9], s[10:11]
	s_cbranch_execz .LBB377_867
.LBB377_866:
	v_lshlrev_b32_e32 v4, 24, v1
	v_and_b32_e32 v1, 0xffff, v1
	v_and_b32_e32 v5, 7, v1
	v_ffbh_u32_e32 v7, v5
	v_min_u32_e32 v7, 32, v7
	v_subrev_u32_e32 v8, 28, v7
	v_bfe_u32 v6, v1, 3, 4
	v_lshlrev_b32_e32 v1, v8, v1
	v_sub_u32_e32 v7, 29, v7
	v_and_b32_e32 v1, 7, v1
	v_cmp_eq_u32_e32 vcc, 0, v6
	v_and_b32_e32 v4, 0x80000000, v4
	s_mov_b32 s10, 0x2f800000
	v_cndmask_b32_e32 v6, v6, v7, vcc
	v_cndmask_b32_e32 v1, v5, v1, vcc
	v_mov_b32_e32 v5, 0x3b800000
	v_lshlrev_b32_e32 v1, 20, v1
	v_lshl_add_u32 v5, v6, 23, v5
	v_or3_b32 v1, v4, v5, v1
	v_trunc_f32_e32 v1, v1
	v_mul_f32_e64 v4, |v1|, s10
	v_floor_f32_e32 v4, v4
	s_mov_b32 s10, 0xcf800000
	v_fma_f32 v5, v4, s10, |v1|
	v_cvt_u32_f32_e32 v5, v5
	v_cvt_u32_f32_e32 v4, v4
	v_ashrrev_i32_e32 v1, 31, v1
	v_xor_b32_e32 v5, v5, v1
	v_xor_b32_e32 v4, v4, v1
	v_sub_co_u32_e32 v6, vcc, v5, v1
	s_nop 1
	v_subb_co_u32_e32 v7, vcc, v4, v1, vcc
.LBB377_867:
	s_or_b64 exec, exec, s[8:9]
.LBB377_868:
	s_mov_b64 s[8:9], -1
.LBB377_869:
	s_mov_b64 s[10:11], 0
.LBB377_870:
	s_and_b64 vcc, exec, s[10:11]
	s_cbranch_vccz .LBB377_901
; %bb.871:
	s_cmp_gt_i32 s12, 22
	s_cbranch_scc0 .LBB377_879
; %bb.872:
	s_cmp_lt_i32 s12, 24
	s_cbranch_scc1 .LBB377_882
; %bb.873:
	s_cmp_gt_i32 s12, 24
	s_cbranch_scc0 .LBB377_883
; %bb.874:
	global_load_ubyte v1, v[2:3], off
	s_movk_i32 s6, 0x7f
	s_mov_b64 s[8:9], 0
	s_waitcnt vmcnt(0)
	v_cmp_lt_i16_e32 vcc, s6, v1
	s_and_saveexec_b64 s[6:7], vcc
	s_xor_b64 s[6:7], exec, s[6:7]
	s_cbranch_execz .LBB377_895
; %bb.875:
	s_movk_i32 s8, 0x80
	v_cmp_ne_u16_e32 vcc, s8, v1
	s_and_b64 s[8:9], vcc, exec
	s_andn2_saveexec_b64 s[6:7], s[6:7]
	s_cbranch_execnz .LBB377_896
.LBB377_876:
	s_or_b64 exec, exec, s[6:7]
	v_mov_b64_e32 v[6:7], 0
	s_and_saveexec_b64 s[6:7], s[8:9]
	s_cbranch_execz .LBB377_878
.LBB377_877:
	v_lshlrev_b32_e32 v4, 24, v1
	v_and_b32_e32 v1, 0xffff, v1
	v_and_b32_e32 v5, 3, v1
	v_ffbh_u32_e32 v7, v5
	v_min_u32_e32 v7, 32, v7
	v_subrev_u32_e32 v8, 29, v7
	v_bfe_u32 v6, v1, 2, 5
	v_lshlrev_b32_e32 v1, v8, v1
	v_sub_u32_e32 v7, 30, v7
	v_and_b32_e32 v1, 3, v1
	v_cmp_eq_u32_e32 vcc, 0, v6
	v_and_b32_e32 v4, 0x80000000, v4
	s_mov_b32 s8, 0x2f800000
	v_cndmask_b32_e32 v6, v6, v7, vcc
	v_cndmask_b32_e32 v1, v5, v1, vcc
	v_mov_b32_e32 v5, 0x37800000
	v_lshlrev_b32_e32 v1, 21, v1
	v_lshl_add_u32 v5, v6, 23, v5
	v_or3_b32 v1, v4, v5, v1
	v_trunc_f32_e32 v1, v1
	v_mul_f32_e64 v4, |v1|, s8
	v_floor_f32_e32 v4, v4
	s_mov_b32 s8, 0xcf800000
	v_fma_f32 v5, v4, s8, |v1|
	v_cvt_u32_f32_e32 v5, v5
	v_cvt_u32_f32_e32 v4, v4
	v_ashrrev_i32_e32 v1, 31, v1
	v_xor_b32_e32 v5, v5, v1
	v_xor_b32_e32 v4, v4, v1
	v_sub_co_u32_e32 v6, vcc, v5, v1
	s_nop 1
	v_subb_co_u32_e32 v7, vcc, v4, v1, vcc
.LBB377_878:
	s_or_b64 exec, exec, s[6:7]
	s_mov_b64 s[6:7], 0
	s_branch .LBB377_884
.LBB377_879:
	s_mov_b64 s[6:7], -1
                                        ; implicit-def: $vgpr6_vgpr7
	s_branch .LBB377_890
.LBB377_880:
	s_andn2_saveexec_b64 s[8:9], s[8:9]
	s_cbranch_execz .LBB377_865
.LBB377_881:
	v_cmp_ne_u16_e32 vcc, 0, v1
	s_andn2_b64 s[10:11], s[10:11], exec
	s_and_b64 s[14:15], vcc, exec
	s_or_b64 s[10:11], s[10:11], s[14:15]
	s_or_b64 exec, exec, s[8:9]
	v_mov_b64_e32 v[6:7], 0
	s_and_saveexec_b64 s[8:9], s[10:11]
	s_cbranch_execnz .LBB377_866
	s_branch .LBB377_867
.LBB377_882:
	s_mov_b64 s[6:7], -1
                                        ; implicit-def: $vgpr6_vgpr7
	s_branch .LBB377_887
.LBB377_883:
	s_mov_b64 s[6:7], -1
                                        ; implicit-def: $vgpr6_vgpr7
.LBB377_884:
	s_and_b64 vcc, exec, s[6:7]
	s_cbranch_vccz .LBB377_886
; %bb.885:
	global_load_ubyte v1, v[2:3], off
	s_mov_b32 s6, 0x7f800000
	s_brev_b32 s7, 1
	s_mov_b32 s8, 0x2f800000
	s_mov_b32 s9, 0xcf800000
	s_waitcnt vmcnt(0)
	v_lshlrev_b32_e32 v1, 24, v1
	v_and_b32_e32 v4, 0x7f000000, v1
	v_ffbh_u32_e32 v5, v4
	v_min_u32_e32 v5, 32, v5
	v_sub_u32_e64 v5, v5, 4 clamp
	v_lshlrev_b32_e32 v7, v5, v4
	v_lshlrev_b32_e32 v5, 23, v5
	v_lshrrev_b32_e32 v7, 4, v7
	v_add_u32_e32 v6, 0x1000000, v4
	v_sub_u32_e32 v5, v7, v5
	v_ashrrev_i32_e32 v6, 8, v6
	v_add_u32_e32 v5, 0x3c000000, v5
	v_and_or_b32 v5, v6, s6, v5
	v_cmp_ne_u32_e32 vcc, 0, v4
	s_nop 1
	v_cndmask_b32_e32 v4, 0, v5, vcc
	v_and_or_b32 v1, v1, s7, v4
	v_trunc_f32_e32 v1, v1
	v_mul_f32_e64 v4, |v1|, s8
	v_floor_f32_e32 v4, v4
	v_fma_f32 v5, v4, s9, |v1|
	v_cvt_u32_f32_e32 v5, v5
	v_cvt_u32_f32_e32 v4, v4
	v_ashrrev_i32_e32 v1, 31, v1
	v_xor_b32_e32 v5, v5, v1
	v_xor_b32_e32 v4, v4, v1
	v_sub_co_u32_e32 v6, vcc, v5, v1
	s_nop 1
	v_subb_co_u32_e32 v7, vcc, v4, v1, vcc
.LBB377_886:
	s_mov_b64 s[6:7], 0
.LBB377_887:
	s_andn2_b64 vcc, exec, s[6:7]
	s_cbranch_vccnz .LBB377_889
; %bb.888:
	global_load_ubyte v1, v[2:3], off
	s_movk_i32 s6, 0x7f00
	s_brev_b32 s7, 16
	s_brev_b32 s8, 1
	s_mov_b32 s9, 0x2f800000
	s_mov_b32 s10, 0xcf800000
	s_waitcnt vmcnt(0)
	v_lshlrev_b16_e32 v4, 8, v1
	v_lshlrev_b32_e32 v1, 25, v1
	v_lshrrev_b32_e32 v5, 4, v1
	v_and_or_b32 v6, v4, s6, 0.5
	v_or_b32_e32 v5, 0x70000000, v5
	v_add_f32_e32 v6, -0.5, v6
	v_mul_f32_e32 v5, 0x7800000, v5
	v_cmp_gt_u32_e32 vcc, s7, v1
	v_bfe_i32 v4, v4, 0, 16
	s_nop 0
	v_cndmask_b32_e32 v1, v5, v6, vcc
	v_and_or_b32 v1, v4, s8, v1
	v_trunc_f32_e32 v1, v1
	v_mul_f32_e64 v4, |v1|, s9
	v_floor_f32_e32 v4, v4
	v_fma_f32 v5, v4, s10, |v1|
	v_cvt_u32_f32_e32 v5, v5
	v_cvt_u32_f32_e32 v4, v4
	v_ashrrev_i32_e32 v1, 31, v1
	v_xor_b32_e32 v5, v5, v1
	v_xor_b32_e32 v4, v4, v1
	v_sub_co_u32_e32 v6, vcc, v5, v1
	s_nop 1
	v_subb_co_u32_e32 v7, vcc, v4, v1, vcc
.LBB377_889:
	s_mov_b64 s[6:7], 0
	s_mov_b64 s[8:9], -1
.LBB377_890:
	s_andn2_b64 vcc, exec, s[6:7]
	s_mov_b64 s[6:7], 0
	s_cbranch_vccnz .LBB377_901
; %bb.891:
	s_cmp_gt_i32 s12, 14
	s_cbranch_scc0 .LBB377_894
; %bb.892:
	s_cmp_eq_u32 s12, 15
	s_cbranch_scc0 .LBB377_897
; %bb.893:
	global_load_ushort v1, v[2:3], off
	s_mov_b32 s4, 0x2f800000
	s_mov_b32 s5, 0xcf800000
	s_mov_b64 s[8:9], -1
	s_waitcnt vmcnt(0)
	v_lshlrev_b32_e32 v1, 16, v1
	v_trunc_f32_e32 v1, v1
	v_mul_f32_e64 v4, |v1|, s4
	v_floor_f32_e32 v4, v4
	v_fma_f32 v5, v4, s5, |v1|
	v_cvt_u32_f32_e32 v5, v5
	v_cvt_u32_f32_e32 v4, v4
	v_ashrrev_i32_e32 v1, 31, v1
	s_mov_b64 s[4:5], 0
	v_xor_b32_e32 v5, v5, v1
	v_xor_b32_e32 v4, v4, v1
	v_sub_co_u32_e32 v6, vcc, v5, v1
	s_nop 1
	v_subb_co_u32_e32 v7, vcc, v4, v1, vcc
	s_branch .LBB377_898
.LBB377_894:
	s_mov_b64 s[10:11], -1
                                        ; implicit-def: $vgpr6_vgpr7
	s_branch .LBB377_899
.LBB377_895:
	s_andn2_saveexec_b64 s[6:7], s[6:7]
	s_cbranch_execz .LBB377_876
.LBB377_896:
	v_cmp_ne_u16_e32 vcc, 0, v1
	s_andn2_b64 s[8:9], s[8:9], exec
	s_and_b64 s[10:11], vcc, exec
	s_or_b64 s[8:9], s[8:9], s[10:11]
	s_or_b64 exec, exec, s[6:7]
	v_mov_b64_e32 v[6:7], 0
	s_and_saveexec_b64 s[6:7], s[8:9]
	s_cbranch_execnz .LBB377_877
	s_branch .LBB377_878
.LBB377_897:
	s_mov_b64 s[4:5], -1
                                        ; implicit-def: $vgpr6_vgpr7
.LBB377_898:
	s_mov_b64 s[10:11], 0
.LBB377_899:
	s_and_b64 vcc, exec, s[10:11]
	s_cbranch_vccz .LBB377_901
; %bb.900:
	s_cmp_lg_u32 s12, 11
	s_cselect_b64 s[10:11], -1, 0
	s_andn2_b64 s[4:5], s[4:5], exec
	s_and_b64 s[10:11], s[10:11], exec
	s_mov_b64 s[6:7], -1
	s_or_b64 s[4:5], s[4:5], s[10:11]
.LBB377_901:
	s_mov_b64 s[10:11], 0
.LBB377_902:
	s_andn2_b64 s[12:13], s[2:3], exec
	s_and_b64 s[4:5], s[4:5], exec
	s_and_b64 s[8:9], s[8:9], exec
	;; [unrolled: 1-line block ×4, first 2 shown]
	s_or_b64 s[12:13], s[12:13], s[4:5]
.LBB377_903:
	s_or_b64 exec, exec, s[72:73]
	s_and_b64 s[4:5], s[6:7], exec
	s_andn2_b64 s[2:3], s[2:3], exec
	s_and_b64 s[6:7], s[12:13], exec
	s_and_b64 s[8:9], s[8:9], exec
	;; [unrolled: 1-line block ×3, first 2 shown]
	s_or_b64 s[2:3], s[2:3], s[6:7]
.LBB377_904:
	s_or_b64 exec, exec, s[68:69]
	s_andn2_b64 s[6:7], s[64:65], exec
	s_and_b64 s[12:13], s[70:71], exec
	s_or_b64 s[64:65], s[6:7], s[12:13]
	s_and_b64 s[6:7], s[10:11], exec
	s_andn2_b64 s[10:11], s[62:63], exec
	s_and_b64 s[2:3], s[2:3], exec
	s_and_b64 s[8:9], s[8:9], exec
	;; [unrolled: 1-line block ×3, first 2 shown]
	s_or_b64 s[62:63], s[10:11], s[2:3]
.LBB377_905:
	s_or_b64 exec, exec, s[66:67]
	s_andn2_b64 s[2:3], s[56:57], exec
	s_and_b64 s[10:11], s[64:65], exec
	s_or_b64 s[56:57], s[2:3], s[10:11]
	s_and_b64 s[2:3], s[8:9], exec
	s_and_b64 s[8:9], s[6:7], exec
	;; [unrolled: 1-line block ×3, first 2 shown]
	s_andn2_b64 s[4:5], s[58:59], exec
	s_and_b64 s[6:7], s[62:63], exec
	s_or_b64 s[58:59], s[4:5], s[6:7]
	s_or_b64 exec, exec, s[60:61]
	s_mov_b64 s[4:5], 0
	s_and_saveexec_b64 s[6:7], s[58:59]
	s_cbranch_execz .LBB377_272
.LBB377_906:
	s_mov_b64 s[4:5], exec
	s_andn2_b64 s[64:65], s[64:65], exec
	s_trap 2
	s_or_b64 exec, exec, s[6:7]
	s_and_saveexec_b64 s[6:7], s[64:65]
	s_xor_b64 s[6:7], exec, s[6:7]
	s_cbranch_execnz .LBB377_273
.LBB377_907:
	s_or_b64 exec, exec, s[6:7]
	s_and_saveexec_b64 s[6:7], s[8:9]
	s_cbranch_execz .LBB377_953
.LBB377_908:
	s_sext_i32_i16 s8, s76
	s_cmp_lt_i32 s8, 5
	s_cbranch_scc1 .LBB377_913
; %bb.909:
	s_cmp_lt_i32 s8, 8
	s_cbranch_scc1 .LBB377_914
; %bb.910:
	s_cmp_lt_i32 s8, 9
	s_cbranch_scc1 .LBB377_915
; %bb.911:
	s_cmp_gt_i32 s8, 9
	s_cbranch_scc0 .LBB377_916
; %bb.912:
	global_load_dwordx2 v[4:5], v[2:3], off
	s_movk_i32 s8, 0xffe0
	s_waitcnt vmcnt(0)
	v_trunc_f64_e32 v[4:5], v[4:5]
	v_ldexp_f64 v[6:7], v[4:5], s8
	v_floor_f64_e32 v[8:9], v[6:7]
	v_fmac_f64_e32 v[4:5], 0xc1f00000, v[8:9]
	v_cvt_i32_f64_e32 v7, v[8:9]
	v_cvt_u32_f64_e32 v6, v[4:5]
	s_mov_b64 s[8:9], 0
	s_branch .LBB377_917
.LBB377_913:
                                        ; implicit-def: $vgpr6_vgpr7
	s_branch .LBB377_934
.LBB377_914:
                                        ; implicit-def: $vgpr6_vgpr7
	s_branch .LBB377_923
.LBB377_915:
	s_mov_b64 s[8:9], -1
                                        ; implicit-def: $vgpr6_vgpr7
	s_branch .LBB377_920
.LBB377_916:
	s_mov_b64 s[8:9], -1
                                        ; implicit-def: $vgpr6_vgpr7
.LBB377_917:
	s_andn2_b64 vcc, exec, s[8:9]
	s_cbranch_vccnz .LBB377_919
; %bb.918:
	global_load_dword v1, v[2:3], off
	s_mov_b32 s8, 0x2f800000
	s_mov_b32 s9, 0xcf800000
	s_waitcnt vmcnt(0)
	v_trunc_f32_e32 v1, v1
	v_mul_f32_e64 v4, |v1|, s8
	v_floor_f32_e32 v4, v4
	v_cvt_u32_f32_e32 v5, v4
	v_fma_f32 v4, v4, s9, |v1|
	v_cvt_u32_f32_e32 v4, v4
	v_ashrrev_i32_e32 v1, 31, v1
	v_xor_b32_e32 v5, v5, v1
	v_xor_b32_e32 v4, v4, v1
	v_sub_co_u32_e32 v6, vcc, v4, v1
	s_nop 1
	v_subb_co_u32_e32 v7, vcc, v5, v1, vcc
.LBB377_919:
	s_mov_b64 s[8:9], 0
.LBB377_920:
	s_andn2_b64 vcc, exec, s[8:9]
	s_cbranch_vccnz .LBB377_922
; %bb.921:
	global_load_dword v1, v[2:3], off
	s_waitcnt vmcnt(0)
	v_cvt_f32_f16_e32 v1, v1
	v_cvt_i32_f32_e32 v6, v1
	v_ashrrev_i32_e32 v7, 31, v6
.LBB377_922:
	s_cbranch_execnz .LBB377_933
.LBB377_923:
	s_sext_i32_i16 s8, s76
	s_cmp_lt_i32 s8, 6
	s_cbranch_scc1 .LBB377_926
; %bb.924:
	s_cmp_gt_i32 s8, 6
	s_cbranch_scc0 .LBB377_927
; %bb.925:
	global_load_dwordx2 v[4:5], v[2:3], off
	s_movk_i32 s8, 0xffe0
	s_waitcnt vmcnt(0)
	v_trunc_f64_e32 v[4:5], v[4:5]
	v_ldexp_f64 v[6:7], v[4:5], s8
	v_floor_f64_e32 v[8:9], v[6:7]
	v_fmac_f64_e32 v[4:5], 0xc1f00000, v[8:9]
	v_cvt_i32_f64_e32 v7, v[8:9]
	v_cvt_u32_f64_e32 v6, v[4:5]
	s_mov_b64 s[8:9], 0
	s_branch .LBB377_928
.LBB377_926:
	s_mov_b64 s[8:9], -1
                                        ; implicit-def: $vgpr6_vgpr7
	s_branch .LBB377_931
.LBB377_927:
	s_mov_b64 s[8:9], -1
                                        ; implicit-def: $vgpr6_vgpr7
.LBB377_928:
	s_andn2_b64 vcc, exec, s[8:9]
	s_cbranch_vccnz .LBB377_930
; %bb.929:
	global_load_dword v1, v[2:3], off
	s_mov_b32 s8, 0x2f800000
	s_mov_b32 s9, 0xcf800000
	s_waitcnt vmcnt(0)
	v_trunc_f32_e32 v1, v1
	v_mul_f32_e64 v4, |v1|, s8
	v_floor_f32_e32 v4, v4
	v_cvt_u32_f32_e32 v5, v4
	v_fma_f32 v4, v4, s9, |v1|
	v_cvt_u32_f32_e32 v4, v4
	v_ashrrev_i32_e32 v1, 31, v1
	v_xor_b32_e32 v5, v5, v1
	v_xor_b32_e32 v4, v4, v1
	v_sub_co_u32_e32 v6, vcc, v4, v1
	s_nop 1
	v_subb_co_u32_e32 v7, vcc, v5, v1, vcc
.LBB377_930:
	s_mov_b64 s[8:9], 0
.LBB377_931:
	s_andn2_b64 vcc, exec, s[8:9]
	s_cbranch_vccnz .LBB377_933
; %bb.932:
	global_load_ushort v1, v[2:3], off
	s_waitcnt vmcnt(0)
	v_cvt_f32_f16_e32 v1, v1
	v_cvt_i32_f32_e32 v6, v1
	v_ashrrev_i32_e32 v7, 31, v6
.LBB377_933:
	s_cbranch_execnz .LBB377_952
.LBB377_934:
	s_sext_i32_i16 s8, s76
	s_cmp_lt_i32 s8, 2
	s_cbranch_scc1 .LBB377_938
; %bb.935:
	s_cmp_lt_i32 s8, 3
	s_cbranch_scc1 .LBB377_939
; %bb.936:
	s_cmp_gt_i32 s8, 3
	s_cbranch_scc0 .LBB377_940
; %bb.937:
	global_load_dwordx2 v[6:7], v[2:3], off
	s_mov_b64 s[8:9], 0
	s_branch .LBB377_941
.LBB377_938:
                                        ; implicit-def: $vgpr6_vgpr7
	s_branch .LBB377_947
.LBB377_939:
	s_mov_b64 s[8:9], -1
                                        ; implicit-def: $vgpr6_vgpr7
	s_branch .LBB377_944
.LBB377_940:
	s_mov_b64 s[8:9], -1
                                        ; implicit-def: $vgpr6_vgpr7
.LBB377_941:
	s_andn2_b64 vcc, exec, s[8:9]
	s_cbranch_vccnz .LBB377_943
; %bb.942:
	global_load_dword v6, v[2:3], off
	s_waitcnt vmcnt(0)
	v_ashrrev_i32_e32 v7, 31, v6
.LBB377_943:
	s_mov_b64 s[8:9], 0
.LBB377_944:
	s_andn2_b64 vcc, exec, s[8:9]
	s_cbranch_vccnz .LBB377_946
; %bb.945:
	global_load_ushort v1, v[2:3], off
	s_waitcnt vmcnt(0)
	v_bfe_i32 v6, v1, 0, 16
	v_ashrrev_i32_e32 v7, 31, v6
.LBB377_946:
	s_cbranch_execnz .LBB377_952
.LBB377_947:
	s_sext_i32_i16 s8, s76
	s_cmp_gt_i32 s8, 0
	s_cbranch_scc0 .LBB377_949
; %bb.948:
	global_load_sbyte v1, v[2:3], off
	s_mov_b64 s[8:9], 0
	s_waitcnt vmcnt(0)
	v_bfe_i32 v6, v1, 0, 16
	v_ashrrev_i32_e32 v7, 31, v6
	s_branch .LBB377_950
.LBB377_949:
	s_mov_b64 s[8:9], -1
                                        ; implicit-def: $vgpr6_vgpr7
.LBB377_950:
	s_andn2_b64 vcc, exec, s[8:9]
	s_cbranch_vccnz .LBB377_952
; %bb.951:
	global_load_ubyte v1, v[2:3], off
	s_mov_b32 s8, 0
	s_waitcnt vmcnt(1)
	v_mov_b32_e32 v7, s8
	s_waitcnt vmcnt(0)
	v_and_b32_e32 v6, 0xffff, v1
.LBB377_952:
	s_or_b64 s[2:3], s[2:3], exec
.LBB377_953:
	s_or_b64 exec, exec, s[6:7]
	s_mov_b64 s[10:11], 0
	s_mov_b64 s[8:9], 0
                                        ; implicit-def: $sgpr16
                                        ; implicit-def: $vgpr4_vgpr5
                                        ; implicit-def: $vgpr2_vgpr3
	s_and_saveexec_b64 s[6:7], s[2:3]
	s_cbranch_execz .LBB377_961
; %bb.954:
	v_mov_b32_e32 v1, s47
	s_waitcnt vmcnt(0)
	v_cmp_lt_i64_e32 vcc, s[46:47], v[6:7]
	s_and_b32 s16, s75, 0xff
	s_cmp_lt_i32 s16, 11
	v_cndmask_b32_e32 v3, v1, v7, vcc
	v_mov_b32_e32 v1, s46
	v_cndmask_b32_e32 v2, v1, v6, vcc
	v_mov_b32_e32 v1, 0
	v_lshl_add_u64 v[4:5], s[20:21], 0, v[0:1]
	s_cbranch_scc1 .LBB377_964
; %bb.955:
	s_and_b32 s17, 0xffff, s16
	s_mov_b64 s[10:11], -1
	s_cmp_gt_i32 s17, 25
	s_mov_b64 s[2:3], s[56:57]
	s_cbranch_scc0 .LBB377_992
; %bb.956:
	s_mov_b64 s[8:9], -1
	s_cmp_gt_i32 s17, 28
	s_mov_b64 s[2:3], s[56:57]
	s_cbranch_scc0 .LBB377_976
; %bb.957:
	s_cmp_gt_i32 s17, 43
	s_mov_b64 s[2:3], s[56:57]
	s_cbranch_scc0 .LBB377_972
; %bb.958:
	;; [unrolled: 4-line block ×3, first 2 shown]
	s_cmp_eq_u32 s17, 46
	s_mov_b64 s[2:3], -1
	s_cbranch_scc0 .LBB377_965
; %bb.960:
	v_xor_b32_e32 v1, v2, v3
	v_ffbh_i32_e32 v0, v3
	v_ashrrev_i32_e32 v1, 31, v1
	v_add_u32_e32 v0, -1, v0
	v_add_u32_e32 v1, 32, v1
	v_min_u32_e32 v6, v0, v1
	v_lshlrev_b64 v[0:1], v6, v[2:3]
	v_min_u32_e32 v0, 1, v0
	v_or_b32_e32 v0, v1, v0
	v_cvt_f32_i32_e32 v0, v0
	v_sub_u32_e32 v1, 32, v6
	s_movk_i32 s2, 0x7fff
	s_mov_b64 s[8:9], 0
	v_ldexp_f32 v0, v0, v1
	v_bfe_u32 v1, v0, 16, 1
	v_add3_u32 v0, v0, v1, s2
	v_lshrrev_b32_e32 v0, 16, v0
	global_store_dword v[4:5], v0, off
	s_mov_b64 s[2:3], 0
	s_branch .LBB377_966
.LBB377_961:
	s_or_b64 exec, exec, s[6:7]
	s_and_saveexec_b64 s[2:3], s[56:57]
	s_cbranch_execnz .LBB377_1034
.LBB377_962:
	s_or_b64 exec, exec, s[2:3]
	s_and_saveexec_b64 s[2:3], s[10:11]
	s_xor_b64 s[2:3], exec, s[2:3]
	s_cbranch_execz .LBB377_1035
.LBB377_963:
	v_cmp_ne_u64_e32 vcc, 0, v[2:3]
	s_nop 1
	v_cndmask_b32_e64 v0, 0, 1, vcc
	s_waitcnt vmcnt(0)
	global_store_byte v[4:5], v0, off
	s_or_b64 exec, exec, s[2:3]
	s_and_saveexec_b64 s[2:3], s[8:9]
	s_xor_b64 s[2:3], exec, s[2:3]
	s_cbranch_execz .LBB377_1073
	s_branch .LBB377_1036
.LBB377_964:
	s_mov_b64 s[8:9], -1
	s_mov_b64 s[2:3], s[56:57]
	s_branch .LBB377_1033
.LBB377_965:
	s_mov_b64 s[8:9], 0
.LBB377_966:
	s_and_b64 vcc, exec, s[8:9]
	s_cbranch_vccz .LBB377_971
; %bb.967:
	s_cmp_eq_u32 s17, 44
	s_mov_b64 s[2:3], -1
	s_cbranch_scc0 .LBB377_971
; %bb.968:
	v_xor_b32_e32 v1, v2, v3
	v_ffbh_i32_e32 v0, v3
	v_ashrrev_i32_e32 v1, 31, v1
	v_add_u32_e32 v0, -1, v0
	v_add_u32_e32 v1, 32, v1
	v_min_u32_e32 v6, v0, v1
	v_lshlrev_b64 v[0:1], v6, v[2:3]
	v_min_u32_e32 v0, 1, v0
	v_or_b32_e32 v0, v1, v0
	v_cvt_f32_i32_e32 v0, v0
	v_sub_u32_e32 v1, 32, v6
	s_movk_i32 s2, 0xff
	v_mov_b32_e32 v6, 0xff
	v_ldexp_f32 v0, v0, v1
	v_bfe_u32 v1, v0, 23, 8
	v_cmp_ne_u32_e32 vcc, s2, v1
	s_and_saveexec_b64 s[8:9], vcc
; %bb.969:
	s_mov_b32 s2, 0x3fffff
	v_lshrrev_b32_e32 v6, 23, v0
	v_and_b32_e32 v7, 0x400000, v0
	v_and_or_b32 v0, v0, s2, v1
	v_cmp_ne_u32_e32 vcc, 0, v7
	v_cmp_ne_u32_e64 s[2:3], 0, v0
	s_and_b64 s[2:3], vcc, s[2:3]
	s_nop 0
	v_cndmask_b32_e64 v0, 0, 1, s[2:3]
	v_add_u32_e32 v6, v6, v0
; %bb.970:
	s_or_b64 exec, exec, s[8:9]
	s_mov_b64 s[2:3], 0
	global_store_byte v[4:5], v6, off
.LBB377_971:
	s_mov_b64 s[8:9], 0
.LBB377_972:
	s_and_b64 vcc, exec, s[8:9]
	s_cbranch_vccz .LBB377_975
; %bb.973:
	s_cmp_eq_u32 s17, 29
	s_mov_b64 s[2:3], -1
	s_cbranch_scc0 .LBB377_975
; %bb.974:
	global_store_dwordx2 v[4:5], v[2:3], off
	s_mov_b64 s[2:3], 0
.LBB377_975:
	s_mov_b64 s[8:9], 0
.LBB377_976:
	s_and_b64 vcc, exec, s[8:9]
	s_cbranch_vccz .LBB377_991
; %bb.977:
	s_cmp_lt_i32 s17, 27
	s_mov_b64 s[8:9], -1
	s_cbranch_scc1 .LBB377_983
; %bb.978:
	s_cmp_gt_i32 s17, 27
	s_cbranch_scc0 .LBB377_980
; %bb.979:
	s_mov_b64 s[8:9], 0
	global_store_dword v[4:5], v2, off
.LBB377_980:
	s_andn2_b64 vcc, exec, s[8:9]
	s_cbranch_vccnz .LBB377_982
; %bb.981:
	global_store_short v[4:5], v2, off
.LBB377_982:
	s_mov_b64 s[8:9], 0
.LBB377_983:
	s_andn2_b64 vcc, exec, s[8:9]
	s_cbranch_vccnz .LBB377_991
; %bb.984:
	v_xor_b32_e32 v1, v2, v3
	v_ffbh_i32_e32 v0, v3
	v_ashrrev_i32_e32 v1, 31, v1
	v_add_u32_e32 v0, -1, v0
	v_add_u32_e32 v1, 32, v1
	v_min_u32_e32 v6, v0, v1
	v_lshlrev_b64 v[0:1], v6, v[2:3]
	v_min_u32_e32 v0, 1, v0
	v_or_b32_e32 v0, v1, v0
	v_cvt_f32_i32_e32 v0, v0
	v_sub_u32_e32 v1, 32, v6
	s_mov_b32 s8, 0x43800000
	v_mov_b32_e32 v6, 0x80
	v_ldexp_f32 v0, v0, v1
	v_and_b32_e32 v1, 0x7fffffff, v0
	v_cmp_gt_u32_e32 vcc, s8, v1
	s_and_saveexec_b64 s[8:9], vcc
	s_cbranch_execz .LBB377_990
; %bb.985:
	s_mov_b32 s10, 0x3bffffff
	v_cmp_lt_u32_e32 vcc, s10, v1
	s_mov_b64 s[10:11], 0
                                        ; implicit-def: $vgpr1
	s_and_saveexec_b64 s[12:13], vcc
	s_xor_b64 s[12:13], exec, s[12:13]
	s_cbranch_execz .LBB377_1144
; %bb.986:
	v_bfe_u32 v1, v0, 20, 1
	s_mov_b32 s14, 0x487ffff
	v_add3_u32 v1, v0, v1, s14
	s_mov_b64 s[10:11], exec
	v_lshrrev_b32_e32 v1, 20, v1
	s_andn2_saveexec_b64 s[12:13], s[12:13]
	s_cbranch_execnz .LBB377_1145
.LBB377_987:
	s_or_b64 exec, exec, s[12:13]
	v_mov_b32_e32 v6, 0
	s_and_saveexec_b64 s[12:13], s[10:11]
.LBB377_988:
	v_lshrrev_b32_e32 v0, 24, v0
	s_movk_i32 s10, 0x80
	v_and_or_b32 v6, v0, s10, v1
.LBB377_989:
	s_or_b64 exec, exec, s[12:13]
.LBB377_990:
	s_or_b64 exec, exec, s[8:9]
	global_store_byte v[4:5], v6, off
.LBB377_991:
	s_mov_b64 s[10:11], 0
.LBB377_992:
	s_mov_b64 s[8:9], 0
	s_and_b64 vcc, exec, s[10:11]
	s_cbranch_vccz .LBB377_1032
; %bb.993:
	s_cmp_gt_i32 s17, 22
	s_mov_b64 s[10:11], -1
	s_cbranch_scc0 .LBB377_1025
; %bb.994:
	s_cmp_lt_i32 s17, 24
	s_cbranch_scc1 .LBB377_1014
; %bb.995:
	s_cmp_gt_i32 s17, 24
	s_cbranch_scc0 .LBB377_1003
; %bb.996:
	v_xor_b32_e32 v1, v2, v3
	v_ffbh_i32_e32 v0, v3
	v_ashrrev_i32_e32 v1, 31, v1
	v_add_u32_e32 v0, -1, v0
	v_add_u32_e32 v1, 32, v1
	v_min_u32_e32 v6, v0, v1
	v_lshlrev_b64 v[0:1], v6, v[2:3]
	v_min_u32_e32 v0, 1, v0
	v_or_b32_e32 v0, v1, v0
	v_cvt_f32_i32_e32 v0, v0
	v_sub_u32_e32 v1, 32, v6
	s_mov_b32 s10, 0x47800000
	v_mov_b32_e32 v6, 0x80
	v_ldexp_f32 v0, v0, v1
	v_and_b32_e32 v1, 0x7fffffff, v0
	v_cmp_gt_u32_e32 vcc, s10, v1
	s_and_saveexec_b64 s[10:11], vcc
	s_cbranch_execz .LBB377_1002
; %bb.997:
	s_mov_b32 s12, 0x37ffffff
	v_cmp_lt_u32_e32 vcc, s12, v1
	s_mov_b64 s[12:13], 0
                                        ; implicit-def: $vgpr1
	s_and_saveexec_b64 s[14:15], vcc
	s_xor_b64 s[14:15], exec, s[14:15]
	s_cbranch_execz .LBB377_1264
; %bb.998:
	v_bfe_u32 v1, v0, 21, 1
	s_mov_b32 s18, 0x88fffff
	v_add3_u32 v1, v0, v1, s18
	s_mov_b64 s[12:13], exec
	v_lshrrev_b32_e32 v1, 21, v1
	s_andn2_saveexec_b64 s[14:15], s[14:15]
	s_cbranch_execnz .LBB377_1265
.LBB377_999:
	s_or_b64 exec, exec, s[14:15]
	v_mov_b32_e32 v6, 0
	s_and_saveexec_b64 s[14:15], s[12:13]
.LBB377_1000:
	v_lshrrev_b32_e32 v0, 24, v0
	s_movk_i32 s12, 0x80
	v_and_or_b32 v6, v0, s12, v1
.LBB377_1001:
	s_or_b64 exec, exec, s[14:15]
.LBB377_1002:
	s_or_b64 exec, exec, s[10:11]
	s_mov_b64 s[10:11], 0
	global_store_byte v[4:5], v6, off
.LBB377_1003:
	s_and_b64 vcc, exec, s[10:11]
	s_cbranch_vccz .LBB377_1013
; %bb.1004:
	v_xor_b32_e32 v1, v2, v3
	v_ffbh_i32_e32 v0, v3
	v_ashrrev_i32_e32 v1, 31, v1
	v_add_u32_e32 v0, -1, v0
	v_add_u32_e32 v1, 32, v1
	v_min_u32_e32 v6, v0, v1
	v_lshlrev_b64 v[0:1], v6, v[2:3]
	v_min_u32_e32 v0, 1, v0
	v_or_b32_e32 v0, v1, v0
	v_cvt_f32_i32_e32 v0, v0
	v_sub_u32_e32 v1, 32, v6
	s_mov_b32 s10, 0x43f00000
	v_ldexp_f32 v0, v0, v1
	v_and_b32_e32 v6, 0x7fffffff, v0
	v_cmp_gt_u32_e32 vcc, s10, v6
                                        ; implicit-def: $vgpr1
	s_and_saveexec_b64 s[10:11], vcc
	s_xor_b64 s[10:11], exec, s[10:11]
	s_cbranch_execz .LBB377_1010
; %bb.1005:
	s_mov_b32 s12, 0x3c7fffff
	v_cmp_lt_u32_e32 vcc, s12, v6
                                        ; implicit-def: $vgpr1
	s_and_saveexec_b64 s[12:13], vcc
	s_xor_b64 s[12:13], exec, s[12:13]
; %bb.1006:
	v_bfe_u32 v1, v0, 20, 1
	s_mov_b32 s14, 0x407ffff
	v_add3_u32 v1, v0, v1, s14
	v_lshrrev_b32_e32 v6, 20, v1
	v_and_b32_e32 v1, 0xff00000, v1
	s_mov_b32 s14, 0x7f00000
	v_mov_b32_e32 v7, 0x7e
	v_cmp_ne_u32_e32 vcc, s14, v1
	s_nop 1
	v_cndmask_b32_e32 v1, v7, v6, vcc
; %bb.1007:
	s_andn2_saveexec_b64 s[12:13], s[12:13]
; %bb.1008:
	s_mov_b32 s14, 0x46800000
	v_add_f32_e64 v1, |v0|, s14
; %bb.1009:
	s_or_b64 exec, exec, s[12:13]
                                        ; implicit-def: $vgpr6
.LBB377_1010:
	s_andn2_saveexec_b64 s[10:11], s[10:11]
; %bb.1011:
	s_mov_b32 s12, 0x7f800000
	v_mov_b32_e32 v1, 0x7e
	v_mov_b32_e32 v7, 0x7f
	v_cmp_lt_u32_e32 vcc, s12, v6
	s_nop 1
	v_cndmask_b32_e32 v1, v1, v7, vcc
; %bb.1012:
	s_or_b64 exec, exec, s[10:11]
	v_lshrrev_b32_e32 v0, 24, v0
	s_movk_i32 s10, 0x80
	v_and_or_b32 v0, v0, s10, v1
	global_store_byte v[4:5], v0, off
.LBB377_1013:
	s_mov_b64 s[10:11], 0
.LBB377_1014:
	s_andn2_b64 vcc, exec, s[10:11]
	s_cbranch_vccnz .LBB377_1024
; %bb.1015:
	v_xor_b32_e32 v1, v2, v3
	v_ffbh_i32_e32 v0, v3
	v_ashrrev_i32_e32 v1, 31, v1
	v_add_u32_e32 v0, -1, v0
	v_add_u32_e32 v1, 32, v1
	v_min_u32_e32 v6, v0, v1
	v_lshlrev_b64 v[0:1], v6, v[2:3]
	v_min_u32_e32 v0, 1, v0
	v_or_b32_e32 v0, v1, v0
	v_cvt_f32_i32_e32 v0, v0
	v_sub_u32_e32 v1, 32, v6
	s_mov_b32 s10, 0x47800000
	v_ldexp_f32 v0, v0, v1
	v_and_b32_e32 v6, 0x7fffffff, v0
	v_cmp_gt_u32_e32 vcc, s10, v6
                                        ; implicit-def: $vgpr1
	s_and_saveexec_b64 s[10:11], vcc
	s_xor_b64 s[10:11], exec, s[10:11]
	s_cbranch_execz .LBB377_1021
; %bb.1016:
	s_mov_b32 s12, 0x387fffff
	v_cmp_lt_u32_e32 vcc, s12, v6
                                        ; implicit-def: $vgpr1
	s_and_saveexec_b64 s[12:13], vcc
	s_xor_b64 s[12:13], exec, s[12:13]
; %bb.1017:
	v_bfe_u32 v1, v0, 21, 1
	s_mov_b32 s14, 0x80fffff
	v_add3_u32 v1, v0, v1, s14
	v_lshrrev_b32_e32 v1, 21, v1
; %bb.1018:
	s_andn2_saveexec_b64 s[12:13], s[12:13]
; %bb.1019:
	s_mov_b32 s14, 0x43000000
	v_add_f32_e64 v1, |v0|, s14
; %bb.1020:
	s_or_b64 exec, exec, s[12:13]
                                        ; implicit-def: $vgpr6
.LBB377_1021:
	s_andn2_saveexec_b64 s[10:11], s[10:11]
; %bb.1022:
	s_mov_b32 s12, 0x7f800000
	v_mov_b32_e32 v1, 0x7c
	v_mov_b32_e32 v7, 0x7f
	v_cmp_lt_u32_e32 vcc, s12, v6
	s_nop 1
	v_cndmask_b32_e32 v1, v1, v7, vcc
; %bb.1023:
	s_or_b64 exec, exec, s[10:11]
	v_lshrrev_b32_e32 v0, 24, v0
	s_movk_i32 s10, 0x80
	v_and_or_b32 v0, v0, s10, v1
	global_store_byte v[4:5], v0, off
.LBB377_1024:
	s_mov_b64 s[10:11], 0
.LBB377_1025:
	s_andn2_b64 vcc, exec, s[10:11]
	s_mov_b64 s[10:11], 0
	s_cbranch_vccnz .LBB377_1033
; %bb.1026:
	s_cmp_gt_i32 s17, 14
	s_mov_b64 s[12:13], -1
	s_cbranch_scc0 .LBB377_1030
; %bb.1027:
	s_cmp_eq_u32 s17, 15
	s_mov_b64 s[2:3], -1
	s_cbranch_scc0 .LBB377_1029
; %bb.1028:
	v_xor_b32_e32 v1, v2, v3
	v_ffbh_i32_e32 v0, v3
	v_ashrrev_i32_e32 v1, 31, v1
	v_add_u32_e32 v0, -1, v0
	v_add_u32_e32 v1, 32, v1
	v_min_u32_e32 v6, v0, v1
	v_lshlrev_b64 v[0:1], v6, v[2:3]
	v_min_u32_e32 v0, 1, v0
	v_or_b32_e32 v0, v1, v0
	v_cvt_f32_i32_e32 v0, v0
	v_sub_u32_e32 v1, 32, v6
	s_movk_i32 s2, 0x7fff
	v_ldexp_f32 v0, v0, v1
	v_bfe_u32 v1, v0, 16, 1
	v_add3_u32 v0, v0, v1, s2
	global_store_short_d16_hi v[4:5], v0, off
	s_mov_b64 s[2:3], 0
.LBB377_1029:
	s_mov_b64 s[12:13], 0
.LBB377_1030:
	s_and_b64 vcc, exec, s[12:13]
	s_cbranch_vccz .LBB377_1033
; %bb.1031:
	s_cmp_lg_u32 s17, 11
	s_cselect_b64 s[12:13], -1, 0
	s_andn2_b64 s[2:3], s[2:3], exec
	s_and_b64 s[12:13], s[12:13], exec
	s_mov_b64 s[10:11], -1
	s_or_b64 s[2:3], s[2:3], s[12:13]
	s_branch .LBB377_1033
.LBB377_1032:
	s_mov_b64 s[10:11], 0
.LBB377_1033:
	s_andn2_b64 s[12:13], s[56:57], exec
	s_and_b64 s[2:3], s[2:3], exec
	s_and_b64 s[8:9], s[8:9], exec
	;; [unrolled: 1-line block ×3, first 2 shown]
	s_or_b64 s[56:57], s[12:13], s[2:3]
	s_or_b64 exec, exec, s[6:7]
	s_and_saveexec_b64 s[2:3], s[56:57]
	s_cbranch_execz .LBB377_962
.LBB377_1034:
	s_or_b64 s[4:5], s[4:5], exec
	s_andn2_b64 s[10:11], s[10:11], exec
	s_trap 2
	s_or_b64 exec, exec, s[2:3]
	s_and_saveexec_b64 s[2:3], s[10:11]
	s_xor_b64 s[2:3], exec, s[2:3]
	s_cbranch_execnz .LBB377_963
.LBB377_1035:
	s_or_b64 exec, exec, s[2:3]
	s_and_saveexec_b64 s[2:3], s[8:9]
	s_xor_b64 s[2:3], exec, s[2:3]
	s_cbranch_execz .LBB377_1073
.LBB377_1036:
	s_sext_i32_i16 s8, s16
	s_cmp_lt_i32 s8, 5
	s_mov_b64 s[6:7], -1
	s_cbranch_scc1 .LBB377_1057
; %bb.1037:
	s_cmp_lt_i32 s8, 8
	s_cbranch_scc1 .LBB377_1047
; %bb.1038:
	s_cmp_lt_i32 s8, 9
	s_cbranch_scc1 .LBB377_1044
; %bb.1039:
	s_cmp_gt_i32 s8, 9
	s_cbranch_scc0 .LBB377_1041
; %bb.1040:
	v_cvt_f64_i32_e32 v[0:1], v3
	v_ldexp_f64 v[0:1], v[0:1], 32
	s_waitcnt vmcnt(0)
	v_cvt_f64_u32_e32 v[6:7], v2
	v_mov_b32_e32 v8, 0
	v_add_f64 v[6:7], v[0:1], v[6:7]
	v_mov_b32_e32 v9, v8
	s_mov_b64 s[6:7], 0
	global_store_dwordx4 v[4:5], v[6:9], off
.LBB377_1041:
	s_andn2_b64 vcc, exec, s[6:7]
	s_cbranch_vccnz .LBB377_1043
; %bb.1042:
	v_xor_b32_e32 v1, v2, v3
	v_ffbh_i32_e32 v0, v3
	v_ashrrev_i32_e32 v1, 31, v1
	v_add_u32_e32 v0, -1, v0
	v_add_u32_e32 v1, 32, v1
	s_waitcnt vmcnt(0)
	v_min_u32_e32 v6, v0, v1
	v_lshlrev_b64 v[0:1], v6, v[2:3]
	v_min_u32_e32 v0, 1, v0
	v_or_b32_e32 v0, v1, v0
	v_cvt_f32_i32_e32 v0, v0
	v_sub_u32_e32 v1, 32, v6
	v_ldexp_f32 v0, v0, v1
	v_mov_b32_e32 v1, 0
	global_store_dwordx2 v[4:5], v[0:1], off
.LBB377_1043:
	s_mov_b64 s[6:7], 0
.LBB377_1044:
	s_andn2_b64 vcc, exec, s[6:7]
	s_cbranch_vccnz .LBB377_1046
; %bb.1045:
	v_xor_b32_e32 v1, v2, v3
	v_ffbh_i32_e32 v0, v3
	v_ashrrev_i32_e32 v1, 31, v1
	v_add_u32_e32 v0, -1, v0
	v_add_u32_e32 v1, 32, v1
	s_waitcnt vmcnt(0)
	v_min_u32_e32 v6, v0, v1
	v_lshlrev_b64 v[0:1], v6, v[2:3]
	v_min_u32_e32 v0, 1, v0
	v_or_b32_e32 v0, v1, v0
	v_cvt_f32_i32_e32 v0, v0
	v_sub_u32_e32 v1, 32, v6
	v_ldexp_f32 v0, v0, v1
	v_cvt_f16_f32_e32 v0, v0
	global_store_dword v[4:5], v0, off
.LBB377_1046:
	s_mov_b64 s[6:7], 0
.LBB377_1047:
	s_andn2_b64 vcc, exec, s[6:7]
	s_cbranch_vccnz .LBB377_1056
; %bb.1048:
	s_sext_i32_i16 s8, s16
	s_cmp_lt_i32 s8, 6
	s_mov_b64 s[6:7], -1
	s_cbranch_scc1 .LBB377_1054
; %bb.1049:
	s_cmp_gt_i32 s8, 6
	s_cbranch_scc0 .LBB377_1051
; %bb.1050:
	v_cvt_f64_i32_e32 v[0:1], v3
	v_ldexp_f64 v[0:1], v[0:1], 32
	s_waitcnt vmcnt(0)
	v_cvt_f64_u32_e32 v[6:7], v2
	v_add_f64 v[0:1], v[0:1], v[6:7]
	s_mov_b64 s[6:7], 0
	global_store_dwordx2 v[4:5], v[0:1], off
.LBB377_1051:
	s_andn2_b64 vcc, exec, s[6:7]
	s_cbranch_vccnz .LBB377_1053
; %bb.1052:
	v_xor_b32_e32 v1, v2, v3
	v_ffbh_i32_e32 v0, v3
	v_ashrrev_i32_e32 v1, 31, v1
	v_add_u32_e32 v0, -1, v0
	v_add_u32_e32 v1, 32, v1
	s_waitcnt vmcnt(0)
	v_min_u32_e32 v6, v0, v1
	v_lshlrev_b64 v[0:1], v6, v[2:3]
	v_min_u32_e32 v0, 1, v0
	v_or_b32_e32 v0, v1, v0
	v_cvt_f32_i32_e32 v0, v0
	v_sub_u32_e32 v1, 32, v6
	v_ldexp_f32 v0, v0, v1
	global_store_dword v[4:5], v0, off
.LBB377_1053:
	s_mov_b64 s[6:7], 0
.LBB377_1054:
	s_andn2_b64 vcc, exec, s[6:7]
	s_cbranch_vccnz .LBB377_1056
; %bb.1055:
	v_xor_b32_e32 v1, v2, v3
	v_ffbh_i32_e32 v0, v3
	v_ashrrev_i32_e32 v1, 31, v1
	v_add_u32_e32 v0, -1, v0
	v_add_u32_e32 v1, 32, v1
	s_waitcnt vmcnt(0)
	v_min_u32_e32 v6, v0, v1
	v_lshlrev_b64 v[0:1], v6, v[2:3]
	v_min_u32_e32 v0, 1, v0
	v_or_b32_e32 v0, v1, v0
	v_cvt_f32_i32_e32 v0, v0
	v_sub_u32_e32 v1, 32, v6
	v_ldexp_f32 v0, v0, v1
	v_cvt_f16_f32_e32 v0, v0
	global_store_short v[4:5], v0, off
.LBB377_1056:
	s_mov_b64 s[6:7], 0
.LBB377_1057:
	s_andn2_b64 vcc, exec, s[6:7]
	s_cbranch_vccnz .LBB377_1073
; %bb.1058:
	s_sext_i32_i16 s8, s16
	s_cmp_lt_i32 s8, 2
	s_mov_b64 s[6:7], -1
	s_cbranch_scc1 .LBB377_1068
; %bb.1059:
	s_cmp_lt_i32 s8, 3
	s_cbranch_scc1 .LBB377_1065
; %bb.1060:
	s_cmp_gt_i32 s8, 3
	s_cbranch_scc0 .LBB377_1062
; %bb.1061:
	s_mov_b64 s[6:7], 0
	s_waitcnt vmcnt(0)
	global_store_dwordx2 v[4:5], v[2:3], off
.LBB377_1062:
	s_andn2_b64 vcc, exec, s[6:7]
	s_cbranch_vccnz .LBB377_1064
; %bb.1063:
	s_waitcnt vmcnt(0)
	global_store_dword v[4:5], v2, off
.LBB377_1064:
	s_mov_b64 s[6:7], 0
.LBB377_1065:
	s_andn2_b64 vcc, exec, s[6:7]
	s_cbranch_vccnz .LBB377_1067
; %bb.1066:
	s_waitcnt vmcnt(0)
	global_store_short v[4:5], v2, off
.LBB377_1067:
	s_mov_b64 s[6:7], 0
.LBB377_1068:
	s_andn2_b64 vcc, exec, s[6:7]
	s_cbranch_vccnz .LBB377_1073
; %bb.1069:
	s_sext_i32_i16 s6, s16
	s_cmp_gt_i32 s6, 0
	s_mov_b64 s[6:7], -1
	s_cbranch_scc0 .LBB377_1071
; %bb.1070:
	s_mov_b64 s[6:7], 0
	s_waitcnt vmcnt(0)
	global_store_byte v[4:5], v2, off
.LBB377_1071:
	s_andn2_b64 vcc, exec, s[6:7]
	s_cbranch_vccnz .LBB377_1073
; %bb.1072:
	s_waitcnt vmcnt(0)
	global_store_byte v[4:5], v2, off
.LBB377_1073:
	s_or_b64 exec, exec, s[2:3]
	s_and_b64 s[24:25], s[4:5], exec
                                        ; implicit-def: $vgpr16
                                        ; implicit-def: $vgpr12
.LBB377_1074:
	s_or_saveexec_b64 s[26:27], s[44:45]
	s_mov_b64 s[6:7], 0
                                        ; implicit-def: $vgpr0_vgpr1
                                        ; implicit-def: $sgpr16
                                        ; implicit-def: $vgpr2_vgpr3
	s_xor_b64 exec, exec, s[26:27]
	s_cbranch_execz .LBB377_2061
; %bb.1075:
	v_cndmask_b32_e64 v0, 0, 1, s[42:43]
	v_cmp_ne_u32_e64 s[2:3], 1, v0
	s_andn2_b64 vcc, exec, s[42:43]
	s_cbranch_vccnz .LBB377_1081
; %bb.1076:
	s_cmp_lg_u32 s33, 0
	s_mov_b32 s36, 0
	s_cbranch_scc0 .LBB377_1082
; %bb.1077:
	s_min_u32 s37, s74, 15
	s_add_i32 s37, s37, 1
	s_cmp_eq_u32 s74, 2
	s_cbranch_scc1 .LBB377_1083
; %bb.1078:
	s_and_b32 s36, s37, 28
	s_add_u32 s28, s34, 0xc4
	s_addc_u32 s29, s35, 0
	s_mov_b32 s38, 0
	s_waitcnt vmcnt(0)
	v_mov_b32_e32 v6, 0
	v_mov_b32_e32 v8, 0
	s_mov_b64 s[30:31], s[34:35]
	v_mov_b32_e32 v0, v12
.LBB377_1079:                           ; =>This Inner Loop Header: Depth=1
	s_load_dwordx8 s[12:19], s[30:31], 0x4
	s_load_dwordx4 s[20:23], s[30:31], 0x24
	s_load_dwordx8 s[4:11], s[28:29], 0x0
	s_add_u32 s30, s30, 48
	s_addc_u32 s31, s31, 0
	s_waitcnt lgkmcnt(0)
	v_mul_hi_u32 v1, s13, v0
	v_add_u32_e32 v1, v0, v1
	v_lshrrev_b32_e32 v1, s14, v1
	v_mul_lo_u32 v2, v1, s12
	v_mul_hi_u32 v3, s16, v1
	v_sub_u32_e32 v0, v0, v2
	v_add_u32_e32 v2, v1, v3
	v_lshrrev_b32_e32 v2, s17, v2
	v_mul_lo_u32 v4, v2, s15
	v_mul_hi_u32 v5, s19, v2
	v_sub_u32_e32 v1, v1, v4
	v_add_u32_e32 v4, v2, v5
	v_mul_lo_u32 v3, v0, s5
	v_mul_lo_u32 v0, v0, s4
	;; [unrolled: 1-line block ×4, first 2 shown]
	v_lshrrev_b32_e32 v4, s20, v4
	v_add3_u32 v1, v0, v6, v1
	v_add3_u32 v3, v3, v8, v5
	v_mul_lo_u32 v0, v4, s18
	v_mul_hi_u32 v5, s22, v4
	v_sub_u32_e32 v0, v2, v0
	v_add_u32_e32 v2, v4, v5
	v_mul_lo_u32 v5, v0, s8
	v_mul_lo_u32 v6, v0, s9
	v_lshrrev_b32_e32 v0, s23, v2
	s_add_i32 s38, s38, 4
	v_mul_lo_u32 v2, v0, s21
	s_add_u32 s28, s28, 32
	v_sub_u32_e32 v2, v4, v2
	s_addc_u32 s29, s29, 0
	v_mul_lo_u32 v4, v2, s10
	v_mul_lo_u32 v2, v2, s11
	s_cmp_lg_u32 s36, s38
	v_add3_u32 v8, v6, v3, v2
	v_add3_u32 v6, v5, v1, v4
	s_cbranch_scc1 .LBB377_1079
; %bb.1080:
	v_mov_b32_e32 v1, v8
	s_and_b32 s8, s37, 3
	s_cmp_eq_u32 s8, 0
	s_cbranch_scc0 .LBB377_1084
	s_branch .LBB377_1086
.LBB377_1081:
                                        ; implicit-def: $vgpr8
                                        ; implicit-def: $vgpr6
	s_branch .LBB377_1087
.LBB377_1082:
	v_mov_b32_e32 v8, 0
	s_waitcnt vmcnt(0)
	v_mov_b32_e32 v6, 0
	s_branch .LBB377_1086
.LBB377_1083:
	s_waitcnt vmcnt(0)
	v_mov_b32_e32 v6, 0
                                        ; implicit-def: $vgpr8
	v_mov_b32_e32 v1, v6
	v_mov_b32_e32 v0, v12
	s_and_b32 s8, s37, 3
	s_cmp_eq_u32 s8, 0
	s_cbranch_scc1 .LBB377_1086
.LBB377_1084:
	s_lshl_b32 s4, s36, 3
	s_add_u32 s4, s34, s4
	s_addc_u32 s5, s35, 0
	s_add_u32 s4, s4, 0xc4
	s_addc_u32 s5, s5, 0
	s_mul_i32 s6, s36, 12
	s_add_u32 s6, s34, s6
	s_addc_u32 s7, s35, 0
.LBB377_1085:                           ; =>This Inner Loop Header: Depth=1
	s_load_dwordx2 s[10:11], s[6:7], 0x4
	s_load_dword s9, s[6:7], 0xc
	s_load_dwordx2 s[12:13], s[4:5], 0x0
	v_mov_b32_e32 v2, v1
	s_add_u32 s6, s6, 12
	s_waitcnt lgkmcnt(0)
	v_mul_hi_u32 v1, s11, v0
	v_add_u32_e32 v1, v0, v1
	v_lshrrev_b32_e32 v1, s9, v1
	s_addc_u32 s7, s7, 0
	v_mul_lo_u32 v3, v1, s10
	s_add_u32 s4, s4, 8
	v_sub_u32_e32 v3, v0, v3
	s_addc_u32 s5, s5, 0
	s_add_i32 s8, s8, -1
	v_mad_u64_u32 v[8:9], s[10:11], v3, s13, v[2:3]
	s_cmp_lg_u32 s8, 0
	v_mov_b32_e32 v0, v1
	v_mad_u64_u32 v[6:7], s[10:11], v3, s12, v[6:7]
	v_mov_b32_e32 v1, v8
	s_cbranch_scc1 .LBB377_1085
.LBB377_1086:
	s_cbranch_execnz .LBB377_1089
.LBB377_1087:
	s_load_dwordx4 s[4:7], s[34:35], 0x4
	s_load_dwordx2 s[8:9], s[34:35], 0xc4
	s_cmp_lt_u32 s33, 2
	s_waitcnt lgkmcnt(0)
	v_mul_hi_u32 v0, s5, v12
	v_add_u32_e32 v0, v12, v0
	v_lshrrev_b32_e32 v0, s6, v0
	v_mul_lo_u32 v1, v0, s4
	v_sub_u32_e32 v1, v12, v1
	v_mul_lo_u32 v8, v1, s9
	s_waitcnt vmcnt(0)
	v_mul_lo_u32 v6, v1, s8
	s_cbranch_scc1 .LBB377_1089
; %bb.1088:
	s_load_dwordx4 s[4:7], s[34:35], 0x10
	s_load_dwordx2 s[8:9], s[34:35], 0xcc
	s_waitcnt lgkmcnt(0)
	v_mul_hi_u32 v1, s5, v0
	v_add_u32_e32 v1, v0, v1
	v_lshrrev_b32_e32 v1, s6, v1
	v_mul_lo_u32 v1, v1, s4
	v_sub_u32_e32 v0, v0, v1
	v_mad_u64_u32 v[6:7], s[4:5], v0, s8, v[6:7]
	v_mad_u64_u32 v[8:9], s[4:5], v0, s9, v[8:9]
.LBB377_1089:
	s_and_b64 vcc, exec, s[2:3]
	v_add_u32_e32 v0, 0x80, v12
	s_cbranch_vccnz .LBB377_1095
; %bb.1090:
	s_cmp_lg_u32 s33, 0
	s_mov_b32 s36, 0
	s_cbranch_scc0 .LBB377_1096
; %bb.1091:
	s_min_u32 s37, s74, 15
	s_add_i32 s37, s37, 1
	s_cmp_eq_u32 s74, 2
	s_cbranch_scc1 .LBB377_1097
; %bb.1092:
	s_and_b32 s36, s37, 28
	s_add_u32 s28, s34, 0xc4
	s_addc_u32 s29, s35, 0
	s_mov_b32 s38, 0
	s_waitcnt vmcnt(0)
	v_mov_b32_e32 v4, 0
	v_mov_b32_e32 v10, 0
	s_mov_b64 s[30:31], s[34:35]
	v_mov_b32_e32 v2, v0
.LBB377_1093:                           ; =>This Inner Loop Header: Depth=1
	s_load_dwordx8 s[12:19], s[30:31], 0x4
	s_load_dwordx4 s[20:23], s[30:31], 0x24
	s_load_dwordx8 s[4:11], s[28:29], 0x0
	s_add_u32 s30, s30, 48
	s_addc_u32 s31, s31, 0
	s_waitcnt lgkmcnt(0)
	v_mul_hi_u32 v1, s13, v2
	v_add_u32_e32 v1, v2, v1
	v_lshrrev_b32_e32 v1, s14, v1
	v_mul_lo_u32 v3, v1, s12
	v_mul_hi_u32 v5, s16, v1
	v_sub_u32_e32 v2, v2, v3
	v_add_u32_e32 v3, v1, v5
	v_lshrrev_b32_e32 v3, s17, v3
	v_mul_lo_u32 v7, v3, s15
	v_mul_hi_u32 v9, s19, v3
	v_sub_u32_e32 v1, v1, v7
	v_add_u32_e32 v7, v3, v9
	v_mul_lo_u32 v5, v2, s5
	v_mul_lo_u32 v2, v2, s4
	;; [unrolled: 1-line block ×4, first 2 shown]
	v_lshrrev_b32_e32 v7, s20, v7
	v_add3_u32 v1, v2, v4, v1
	v_add3_u32 v4, v5, v10, v9
	v_mul_lo_u32 v2, v7, s18
	v_mul_hi_u32 v5, s22, v7
	v_sub_u32_e32 v2, v3, v2
	v_add_u32_e32 v3, v7, v5
	v_mul_lo_u32 v5, v2, s8
	v_mul_lo_u32 v9, v2, s9
	v_lshrrev_b32_e32 v2, s23, v3
	s_add_i32 s38, s38, 4
	v_mul_lo_u32 v3, v2, s21
	s_add_u32 s28, s28, 32
	v_sub_u32_e32 v3, v7, v3
	s_addc_u32 s29, s29, 0
	v_mul_lo_u32 v7, v3, s10
	v_mul_lo_u32 v3, v3, s11
	s_cmp_lg_u32 s36, s38
	v_add3_u32 v10, v9, v4, v3
	v_add3_u32 v4, v5, v1, v7
	s_cbranch_scc1 .LBB377_1093
; %bb.1094:
	v_mov_b32_e32 v1, v10
	s_and_b32 s8, s37, 3
	s_cmp_eq_u32 s8, 0
	s_cbranch_scc0 .LBB377_1098
	s_branch .LBB377_1100
.LBB377_1095:
                                        ; implicit-def: $vgpr10
                                        ; implicit-def: $vgpr4
	s_branch .LBB377_1101
.LBB377_1096:
	v_mov_b32_e32 v10, 0
	s_waitcnt vmcnt(0)
	v_mov_b32_e32 v4, 0
	s_branch .LBB377_1100
.LBB377_1097:
	s_waitcnt vmcnt(0)
	v_mov_b32_e32 v4, 0
                                        ; implicit-def: $vgpr10
	v_mov_b32_e32 v1, v4
	v_mov_b32_e32 v2, v0
	s_and_b32 s8, s37, 3
	s_cmp_eq_u32 s8, 0
	s_cbranch_scc1 .LBB377_1100
.LBB377_1098:
	s_lshl_b32 s4, s36, 3
	s_add_u32 s4, s34, s4
	s_addc_u32 s5, s35, 0
	s_add_u32 s4, s4, 0xc4
	s_addc_u32 s5, s5, 0
	s_mul_i32 s6, s36, 12
	s_add_u32 s6, s34, s6
	s_addc_u32 s7, s35, 0
.LBB377_1099:                           ; =>This Inner Loop Header: Depth=1
	s_load_dwordx2 s[10:11], s[6:7], 0x4
	s_load_dword s9, s[6:7], 0xc
	s_load_dwordx2 s[12:13], s[4:5], 0x0
	v_mov_b32_e32 v10, v1
	s_add_u32 s6, s6, 12
	s_waitcnt lgkmcnt(0)
	v_mul_hi_u32 v1, s11, v2
	v_add_u32_e32 v1, v2, v1
	v_lshrrev_b32_e32 v1, s9, v1
	s_addc_u32 s7, s7, 0
	v_mul_lo_u32 v3, v1, s10
	s_add_u32 s4, s4, 8
	v_sub_u32_e32 v3, v2, v3
	s_addc_u32 s5, s5, 0
	s_add_i32 s8, s8, -1
	v_mad_u64_u32 v[10:11], s[10:11], v3, s13, v[10:11]
	s_cmp_lg_u32 s8, 0
	v_mov_b32_e32 v2, v1
	v_mad_u64_u32 v[4:5], s[10:11], v3, s12, v[4:5]
	v_mov_b32_e32 v1, v10
	s_cbranch_scc1 .LBB377_1099
.LBB377_1100:
	s_cbranch_execnz .LBB377_1103
.LBB377_1101:
	s_load_dwordx4 s[4:7], s[34:35], 0x4
	s_load_dwordx2 s[8:9], s[34:35], 0xc4
	s_cmp_lt_u32 s33, 2
	s_waitcnt lgkmcnt(0)
	v_mul_hi_u32 v1, s5, v0
	v_add_u32_e32 v1, v0, v1
	v_lshrrev_b32_e32 v1, s6, v1
	v_mul_lo_u32 v2, v1, s4
	v_sub_u32_e32 v0, v0, v2
	v_mul_lo_u32 v10, v0, s9
	s_waitcnt vmcnt(0)
	v_mul_lo_u32 v4, v0, s8
	s_cbranch_scc1 .LBB377_1103
; %bb.1102:
	s_load_dwordx4 s[4:7], s[34:35], 0x10
	s_load_dwordx2 s[8:9], s[34:35], 0xcc
	s_waitcnt lgkmcnt(0)
	v_mul_hi_u32 v0, s5, v1
	v_add_u32_e32 v0, v1, v0
	v_lshrrev_b32_e32 v0, s6, v0
	v_mul_lo_u32 v0, v0, s4
	v_sub_u32_e32 v0, v1, v0
	v_mad_u64_u32 v[4:5], s[4:5], v0, s8, v[4:5]
	v_mad_u64_u32 v[10:11], s[4:5], v0, s9, v[10:11]
.LBB377_1103:
	s_and_b64 vcc, exec, s[2:3]
	v_add_u32_e32 v0, 0x100, v12
	s_cbranch_vccnz .LBB377_1109
; %bb.1104:
	s_cmp_lg_u32 s33, 0
	s_mov_b32 s36, 0
	s_cbranch_scc0 .LBB377_1110
; %bb.1105:
	s_min_u32 s37, s74, 15
	s_add_i32 s37, s37, 1
	s_cmp_eq_u32 s74, 2
	s_cbranch_scc1 .LBB377_1111
; %bb.1106:
	s_and_b32 s36, s37, 28
	s_add_u32 s28, s34, 0xc4
	s_addc_u32 s29, s35, 0
	s_mov_b32 s38, 0
	v_mov_b32_e32 v2, 0
	v_mov_b32_e32 v12, 0
	s_mov_b64 s[30:31], s[34:35]
	s_waitcnt vmcnt(0)
	v_mov_b32_e32 v5, v0
.LBB377_1107:                           ; =>This Inner Loop Header: Depth=1
	s_load_dwordx8 s[12:19], s[30:31], 0x4
	s_load_dwordx4 s[20:23], s[30:31], 0x24
	s_load_dwordx8 s[4:11], s[28:29], 0x0
	s_add_u32 s30, s30, 48
	s_addc_u32 s31, s31, 0
	s_waitcnt lgkmcnt(0)
	v_mul_hi_u32 v1, s13, v5
	v_add_u32_e32 v1, v5, v1
	v_lshrrev_b32_e32 v1, s14, v1
	v_mul_lo_u32 v3, v1, s12
	v_mul_hi_u32 v7, s16, v1
	v_sub_u32_e32 v3, v5, v3
	v_add_u32_e32 v5, v1, v7
	v_lshrrev_b32_e32 v5, s17, v5
	v_mul_lo_u32 v9, v5, s15
	v_mul_hi_u32 v11, s19, v5
	v_sub_u32_e32 v1, v1, v9
	v_add_u32_e32 v9, v5, v11
	v_mul_lo_u32 v7, v3, s5
	v_mul_lo_u32 v3, v3, s4
	;; [unrolled: 1-line block ×4, first 2 shown]
	v_lshrrev_b32_e32 v9, s20, v9
	v_add3_u32 v1, v3, v2, v1
	v_add3_u32 v2, v7, v12, v11
	v_mul_lo_u32 v3, v9, s18
	v_mul_hi_u32 v7, s22, v9
	v_sub_u32_e32 v3, v5, v3
	v_add_u32_e32 v5, v9, v7
	v_lshrrev_b32_e32 v5, s23, v5
	s_add_i32 s38, s38, 4
	v_mul_lo_u32 v11, v5, s21
	s_add_u32 s28, s28, 32
	v_sub_u32_e32 v9, v9, v11
	s_addc_u32 s29, s29, 0
	v_mul_lo_u32 v7, v3, s8
	v_mul_lo_u32 v3, v3, s9
	;; [unrolled: 1-line block ×4, first 2 shown]
	s_cmp_lg_u32 s36, s38
	v_add3_u32 v12, v3, v2, v9
	v_add3_u32 v2, v7, v1, v11
	s_cbranch_scc1 .LBB377_1107
; %bb.1108:
	v_mov_b32_e32 v1, v12
	s_and_b32 s8, s37, 3
	s_cmp_eq_u32 s8, 0
	s_cbranch_scc0 .LBB377_1112
	s_branch .LBB377_1114
.LBB377_1109:
                                        ; implicit-def: $vgpr12
                                        ; implicit-def: $vgpr2
	s_branch .LBB377_1115
.LBB377_1110:
	v_mov_b32_e32 v12, 0
	v_mov_b32_e32 v2, 0
	s_branch .LBB377_1114
.LBB377_1111:
	v_mov_b32_e32 v2, 0
                                        ; implicit-def: $vgpr12
	v_mov_b32_e32 v1, v2
	s_waitcnt vmcnt(0)
	v_mov_b32_e32 v5, v0
	s_and_b32 s8, s37, 3
	s_cmp_eq_u32 s8, 0
	s_cbranch_scc1 .LBB377_1114
.LBB377_1112:
	s_lshl_b32 s4, s36, 3
	s_add_u32 s4, s34, s4
	s_addc_u32 s5, s35, 0
	s_add_u32 s4, s4, 0xc4
	s_addc_u32 s5, s5, 0
	s_mul_i32 s6, s36, 12
	s_add_u32 s6, s34, s6
	s_addc_u32 s7, s35, 0
.LBB377_1113:                           ; =>This Inner Loop Header: Depth=1
	s_load_dwordx2 s[10:11], s[6:7], 0x4
	s_load_dword s9, s[6:7], 0xc
	s_load_dwordx2 s[12:13], s[4:5], 0x0
	v_mov_b32_e32 v12, v1
	s_add_u32 s6, s6, 12
	s_waitcnt lgkmcnt(0)
	v_mul_hi_u32 v1, s11, v5
	v_add_u32_e32 v1, v5, v1
	v_lshrrev_b32_e32 v1, s9, v1
	s_addc_u32 s7, s7, 0
	v_mul_lo_u32 v3, v1, s10
	s_add_u32 s4, s4, 8
	v_sub_u32_e32 v3, v5, v3
	s_addc_u32 s5, s5, 0
	s_add_i32 s8, s8, -1
	v_mad_u64_u32 v[12:13], s[10:11], v3, s13, v[12:13]
	s_cmp_lg_u32 s8, 0
	v_mov_b32_e32 v5, v1
	v_mad_u64_u32 v[2:3], s[10:11], v3, s12, v[2:3]
	v_mov_b32_e32 v1, v12
	s_cbranch_scc1 .LBB377_1113
.LBB377_1114:
	s_cbranch_execnz .LBB377_1117
.LBB377_1115:
	s_load_dwordx4 s[4:7], s[34:35], 0x4
	s_load_dwordx2 s[8:9], s[34:35], 0xc4
	s_cmp_lt_u32 s33, 2
	s_waitcnt lgkmcnt(0)
	v_mul_hi_u32 v1, s5, v0
	v_add_u32_e32 v1, v0, v1
	v_lshrrev_b32_e32 v1, s6, v1
	v_mul_lo_u32 v2, v1, s4
	v_sub_u32_e32 v0, v0, v2
	v_mul_lo_u32 v12, v0, s9
	v_mul_lo_u32 v2, v0, s8
	s_cbranch_scc1 .LBB377_1117
; %bb.1116:
	s_load_dwordx4 s[4:7], s[34:35], 0x10
	s_load_dwordx2 s[8:9], s[34:35], 0xcc
	s_waitcnt lgkmcnt(0)
	v_mul_hi_u32 v0, s5, v1
	v_add_u32_e32 v0, v1, v0
	v_lshrrev_b32_e32 v0, s6, v0
	v_mul_lo_u32 v0, v0, s4
	v_sub_u32_e32 v0, v1, v0
	v_mad_u64_u32 v[2:3], s[4:5], v0, s8, v[2:3]
	v_mad_u64_u32 v[12:13], s[4:5], v0, s9, v[12:13]
.LBB377_1117:
	s_and_b64 vcc, exec, s[2:3]
	s_cbranch_vccnz .LBB377_1123
; %bb.1118:
	s_cmp_lg_u32 s33, 0
	s_mov_b32 s30, 0
	s_cbranch_scc0 .LBB377_1124
; %bb.1119:
	s_min_u32 s31, s74, 15
	s_add_i32 s31, s31, 1
	s_cmp_eq_u32 s74, 2
	s_cbranch_scc1 .LBB377_1125
; %bb.1120:
	s_and_b32 s30, s31, 28
	s_add_u32 s2, s34, 0xc4
	s_addc_u32 s3, s35, 0
	s_mov_b32 s36, 0
	v_mov_b32_e32 v0, 0
	v_mov_b32_e32 v14, 0
	s_mov_b64 s[28:29], s[34:35]
	v_mov_b32_e32 v3, v16
.LBB377_1121:                           ; =>This Inner Loop Header: Depth=1
	s_load_dwordx8 s[12:19], s[28:29], 0x4
	s_load_dwordx4 s[20:23], s[28:29], 0x24
	s_load_dwordx8 s[4:11], s[2:3], 0x0
	s_add_u32 s28, s28, 48
	s_addc_u32 s29, s29, 0
	s_waitcnt lgkmcnt(0)
	v_mul_hi_u32 v1, s13, v3
	v_add_u32_e32 v1, v3, v1
	v_lshrrev_b32_e32 v1, s14, v1
	s_waitcnt vmcnt(0)
	v_mul_lo_u32 v5, v1, s12
	v_mul_hi_u32 v7, s16, v1
	v_sub_u32_e32 v3, v3, v5
	v_add_u32_e32 v5, v1, v7
	v_lshrrev_b32_e32 v5, s17, v5
	v_mul_lo_u32 v9, v5, s15
	v_mul_hi_u32 v11, s19, v5
	v_sub_u32_e32 v1, v1, v9
	v_add_u32_e32 v9, v5, v11
	v_mul_lo_u32 v7, v3, s5
	v_mul_lo_u32 v3, v3, s4
	;; [unrolled: 1-line block ×4, first 2 shown]
	v_lshrrev_b32_e32 v9, s20, v9
	v_add3_u32 v0, v3, v0, v1
	v_add3_u32 v1, v7, v14, v11
	v_mul_lo_u32 v3, v9, s18
	v_mul_hi_u32 v7, s22, v9
	v_sub_u32_e32 v3, v5, v3
	v_add_u32_e32 v5, v9, v7
	v_mul_lo_u32 v7, v3, s8
	v_mul_lo_u32 v11, v3, s9
	v_lshrrev_b32_e32 v3, s23, v5
	s_add_i32 s36, s36, 4
	v_mul_lo_u32 v5, v3, s21
	s_add_u32 s2, s2, 32
	v_sub_u32_e32 v5, v9, v5
	s_addc_u32 s3, s3, 0
	v_mul_lo_u32 v9, v5, s10
	v_mul_lo_u32 v5, v5, s11
	s_cmp_lg_u32 s30, s36
	v_add3_u32 v14, v11, v1, v5
	v_add3_u32 v0, v7, v0, v9
	s_cbranch_scc1 .LBB377_1121
; %bb.1122:
	v_mov_b32_e32 v1, v14
	s_and_b32 s6, s31, 3
	s_cmp_eq_u32 s6, 0
	s_cbranch_scc0 .LBB377_1126
	s_branch .LBB377_1128
.LBB377_1123:
                                        ; implicit-def: $vgpr14
                                        ; implicit-def: $vgpr0
	s_branch .LBB377_1129
.LBB377_1124:
	v_mov_b32_e32 v14, 0
	v_mov_b32_e32 v0, 0
	s_branch .LBB377_1128
.LBB377_1125:
	v_mov_b32_e32 v0, 0
                                        ; implicit-def: $vgpr14
	v_mov_b32_e32 v1, v0
	v_mov_b32_e32 v3, v16
	s_and_b32 s6, s31, 3
	s_cmp_eq_u32 s6, 0
	s_cbranch_scc1 .LBB377_1128
.LBB377_1126:
	s_lshl_b32 s2, s30, 3
	s_add_u32 s2, s34, s2
	s_addc_u32 s3, s35, 0
	s_add_u32 s2, s2, 0xc4
	s_addc_u32 s3, s3, 0
	s_mul_i32 s4, s30, 12
	s_add_u32 s4, s34, s4
	s_addc_u32 s5, s35, 0
.LBB377_1127:                           ; =>This Inner Loop Header: Depth=1
	s_load_dwordx2 s[8:9], s[4:5], 0x4
	s_load_dword s7, s[4:5], 0xc
	s_load_dwordx2 s[10:11], s[2:3], 0x0
	v_mov_b32_e32 v14, v1
	s_add_u32 s4, s4, 12
	s_waitcnt lgkmcnt(0)
	v_mul_hi_u32 v1, s9, v3
	v_add_u32_e32 v1, v3, v1
	v_lshrrev_b32_e32 v1, s7, v1
	s_addc_u32 s5, s5, 0
	s_waitcnt vmcnt(0)
	v_mul_lo_u32 v5, v1, s8
	s_add_u32 s2, s2, 8
	v_sub_u32_e32 v5, v3, v5
	s_addc_u32 s3, s3, 0
	s_add_i32 s6, s6, -1
	v_mov_b32_e32 v3, v1
	v_mad_u64_u32 v[14:15], s[8:9], v5, s11, v[14:15]
	v_mad_u64_u32 v[0:1], s[8:9], v5, s10, v[0:1]
	s_cmp_lg_u32 s6, 0
	v_mov_b32_e32 v1, v14
	s_cbranch_scc1 .LBB377_1127
.LBB377_1128:
	s_cbranch_execnz .LBB377_1131
.LBB377_1129:
	s_load_dwordx4 s[4:7], s[34:35], 0x4
	s_load_dwordx2 s[2:3], s[34:35], 0xc4
	s_cmp_lt_u32 s33, 2
	s_waitcnt lgkmcnt(0)
	v_mul_hi_u32 v0, s5, v16
	v_add_u32_e32 v0, v16, v0
	v_lshrrev_b32_e32 v1, s6, v0
	v_mul_lo_u32 v0, v1, s4
	v_sub_u32_e32 v0, v16, v0
	v_mul_lo_u32 v14, v0, s3
	v_mul_lo_u32 v0, v0, s2
	s_cbranch_scc1 .LBB377_1131
; %bb.1130:
	s_load_dwordx4 s[4:7], s[34:35], 0x10
	s_load_dwordx2 s[2:3], s[34:35], 0xcc
	s_waitcnt lgkmcnt(0)
	v_mul_hi_u32 v3, s5, v1
	v_add_u32_e32 v3, v1, v3
	v_lshrrev_b32_e32 v3, s6, v3
	v_mul_lo_u32 v3, v3, s4
	v_sub_u32_e32 v3, v1, v3
	v_mad_u64_u32 v[0:1], s[4:5], v3, s2, v[0:1]
	v_mad_u64_u32 v[14:15], s[2:3], v3, s3, v[14:15]
.LBB377_1131:
	s_load_dword s12, s[0:1], 0x168
	s_load_dwordx4 s[4:7], s[34:35], 0x148
	v_mov_b32_e32 v9, 0
	s_waitcnt lgkmcnt(0)
	s_bfe_u32 s13, s12, 0x80008
	s_cmp_lt_i32 s13, 11
	v_lshl_add_u64 v[16:17], s[6:7], 0, v[8:9]
	s_cbranch_scc1 .LBB377_1138
; %bb.1132:
	s_and_b32 s14, 0xffff, s13
	s_cmp_gt_i32 s14, 25
	s_mov_b64 s[8:9], 0
	s_cbranch_scc0 .LBB377_1140
; %bb.1133:
	s_cmp_gt_i32 s14, 28
	s_cbranch_scc0 .LBB377_1141
; %bb.1134:
	s_cmp_gt_i32 s14, 43
	;; [unrolled: 3-line block ×3, first 2 shown]
	s_cbranch_scc0 .LBB377_1143
; %bb.1136:
	s_cmp_eq_u32 s14, 46
	s_mov_b64 s[2:3], 0
	s_cbranch_scc0 .LBB377_1146
; %bb.1137:
	global_load_dword v1, v[16:17], off
	s_mov_b32 s0, 0x2f800000
	s_mov_b32 s1, 0xcf800000
	s_mov_b64 s[10:11], -1
	s_waitcnt vmcnt(0)
	v_lshlrev_b32_e32 v1, 16, v1
	v_trunc_f32_e32 v1, v1
	v_mul_f32_e64 v3, |v1|, s0
	v_floor_f32_e32 v3, v3
	v_fma_f32 v5, v3, s1, |v1|
	v_cvt_u32_f32_e32 v5, v5
	v_cvt_u32_f32_e32 v3, v3
	v_ashrrev_i32_e32 v1, 31, v1
	s_mov_b64 s[0:1], 0
	v_xor_b32_e32 v5, v5, v1
	v_xor_b32_e32 v3, v3, v1
	v_sub_co_u32_e32 v8, vcc, v5, v1
	s_nop 1
	v_subb_co_u32_e32 v9, vcc, v3, v1, vcc
	s_branch .LBB377_1147
.LBB377_1138:
	s_mov_b64 s[10:11], 0
                                        ; implicit-def: $vgpr8_vgpr9
	s_mov_b64 s[2:3], s[24:25]
	s_cbranch_execnz .LBB377_1205
.LBB377_1139:
	s_andn2_b64 vcc, exec, s[10:11]
	s_cbranch_vccz .LBB377_1250
	s_branch .LBB377_2059
.LBB377_1140:
	s_mov_b64 s[10:11], 0
	s_mov_b64 s[0:1], 0
                                        ; implicit-def: $vgpr8_vgpr9
	s_cbranch_execnz .LBB377_1172
	s_branch .LBB377_1201
.LBB377_1141:
	s_mov_b64 s[10:11], 0
	s_mov_b64 s[0:1], 0
                                        ; implicit-def: $vgpr8_vgpr9
	s_cbranch_execz .LBB377_1171
	s_branch .LBB377_1156
.LBB377_1142:
	s_mov_b64 s[10:11], 0
	s_mov_b64 s[0:1], 0
                                        ; implicit-def: $vgpr8_vgpr9
	s_cbranch_execnz .LBB377_1152
	s_branch .LBB377_1155
.LBB377_1143:
	s_mov_b64 s[2:3], -1
	s_mov_b64 s[10:11], 0
	s_mov_b64 s[0:1], 0
                                        ; implicit-def: $vgpr8_vgpr9
	s_branch .LBB377_1147
.LBB377_1144:
	s_andn2_saveexec_b64 s[12:13], s[12:13]
	s_cbranch_execz .LBB377_987
.LBB377_1145:
	s_mov_b32 s14, 0x46000000
	v_add_f32_e64 v1, |v0|, s14
	v_and_b32_e32 v1, 0xff, v1
	v_cmp_ne_u32_e32 vcc, 0, v1
	s_andn2_b64 s[10:11], s[10:11], exec
	s_and_b64 s[14:15], vcc, exec
	s_or_b64 s[10:11], s[10:11], s[14:15]
	s_or_b64 exec, exec, s[12:13]
	v_mov_b32_e32 v6, 0
	s_and_saveexec_b64 s[12:13], s[10:11]
	s_cbranch_execnz .LBB377_988
	s_branch .LBB377_989
.LBB377_1146:
	s_mov_b64 s[0:1], -1
                                        ; implicit-def: $vgpr8_vgpr9
	s_mov_b64 s[10:11], 0
.LBB377_1147:
	s_and_b64 vcc, exec, s[2:3]
	s_cbranch_vccz .LBB377_1150
; %bb.1148:
	s_cmp_eq_u32 s14, 44
	s_cbranch_scc0 .LBB377_1151
; %bb.1149:
	global_load_ubyte v1, v[16:17], off
	s_mov_b32 s0, 0x2f800000
	s_mov_b32 s1, 0xcf800000
	s_mov_b64 s[10:11], -1
	s_waitcnt vmcnt(0)
	v_lshlrev_b32_e32 v3, 23, v1
	v_trunc_f32_e32 v3, v3
	v_mul_f32_e64 v5, |v3|, s0
	v_floor_f32_e32 v5, v5
	v_fma_f32 v7, v5, s1, |v3|
	v_cvt_u32_f32_e32 v7, v7
	v_cvt_u32_f32_e32 v5, v5
	v_ashrrev_i32_e32 v3, 31, v3
	s_mov_b64 s[0:1], 0
	v_xor_b32_e32 v7, v7, v3
	v_xor_b32_e32 v5, v5, v3
	v_sub_co_u32_e32 v7, vcc, v7, v3
	s_nop 1
	v_subb_co_u32_e32 v3, vcc, v5, v3, vcc
	v_cmp_ne_u32_e32 vcc, 0, v1
	s_nop 1
	v_cndmask_b32_e32 v9, 0, v3, vcc
	v_cndmask_b32_e32 v8, 0, v7, vcc
.LBB377_1150:
	s_branch .LBB377_1155
.LBB377_1151:
	s_mov_b64 s[0:1], -1
                                        ; implicit-def: $vgpr8_vgpr9
	s_branch .LBB377_1155
.LBB377_1152:
	s_cmp_eq_u32 s14, 29
	s_cbranch_scc0 .LBB377_1154
; %bb.1153:
	global_load_dwordx2 v[8:9], v[16:17], off
	s_mov_b64 s[0:1], 0
	s_mov_b64 s[10:11], -1
	s_branch .LBB377_1155
.LBB377_1154:
	s_mov_b64 s[0:1], -1
                                        ; implicit-def: $vgpr8_vgpr9
.LBB377_1155:
	s_branch .LBB377_1171
.LBB377_1156:
	s_cmp_lt_i32 s14, 27
	s_cbranch_scc1 .LBB377_1159
; %bb.1157:
	s_cmp_gt_i32 s14, 27
	s_cbranch_scc0 .LBB377_1160
; %bb.1158:
	global_load_dword v8, v[16:17], off
	s_waitcnt vmcnt(1)
	v_mov_b32_e32 v9, 0
	s_mov_b64 s[2:3], 0
	s_branch .LBB377_1161
.LBB377_1159:
	s_mov_b64 s[2:3], -1
                                        ; implicit-def: $vgpr8_vgpr9
	s_branch .LBB377_1164
.LBB377_1160:
	s_mov_b64 s[2:3], -1
                                        ; implicit-def: $vgpr8_vgpr9
.LBB377_1161:
	s_andn2_b64 vcc, exec, s[2:3]
	s_cbranch_vccnz .LBB377_1163
; %bb.1162:
	global_load_ushort v1, v[16:17], off
	s_mov_b32 s2, 0
	s_waitcnt vmcnt(1)
	v_mov_b32_e32 v9, s2
	s_waitcnt vmcnt(0)
	v_and_b32_e32 v8, 0xffff, v1
.LBB377_1163:
	s_mov_b64 s[2:3], 0
.LBB377_1164:
	s_andn2_b64 vcc, exec, s[2:3]
	s_cbranch_vccnz .LBB377_1170
; %bb.1165:
	global_load_ubyte v1, v[16:17], off
	s_movk_i32 s2, 0x7f
	s_mov_b64 s[10:11], 0
	s_waitcnt vmcnt(0)
	v_cmp_lt_i16_e32 vcc, s2, v1
	s_and_saveexec_b64 s[2:3], vcc
	s_xor_b64 s[2:3], exec, s[2:3]
	s_cbranch_execz .LBB377_1181
; %bb.1166:
	s_movk_i32 s10, 0x80
	v_cmp_ne_u16_e32 vcc, s10, v1
	s_and_b64 s[10:11], vcc, exec
	s_andn2_saveexec_b64 s[2:3], s[2:3]
	s_cbranch_execnz .LBB377_1182
.LBB377_1167:
	s_or_b64 exec, exec, s[2:3]
	v_mov_b64_e32 v[8:9], 0
	s_and_saveexec_b64 s[2:3], s[10:11]
	s_cbranch_execz .LBB377_1169
.LBB377_1168:
	v_lshlrev_b32_e32 v3, 24, v1
	v_and_b32_e32 v1, 0xffff, v1
	v_and_b32_e32 v5, 7, v1
	v_ffbh_u32_e32 v8, v5
	v_min_u32_e32 v8, 32, v8
	v_subrev_u32_e32 v9, 28, v8
	v_bfe_u32 v7, v1, 3, 4
	v_lshlrev_b32_e32 v1, v9, v1
	v_sub_u32_e32 v8, 29, v8
	v_and_b32_e32 v1, 7, v1
	v_cmp_eq_u32_e32 vcc, 0, v7
	v_and_b32_e32 v3, 0x80000000, v3
	s_mov_b32 s10, 0x2f800000
	v_cndmask_b32_e32 v7, v7, v8, vcc
	v_cndmask_b32_e32 v1, v5, v1, vcc
	v_mov_b32_e32 v5, 0x3b800000
	v_lshlrev_b32_e32 v1, 20, v1
	v_lshl_add_u32 v5, v7, 23, v5
	v_or3_b32 v1, v3, v5, v1
	v_trunc_f32_e32 v1, v1
	v_mul_f32_e64 v3, |v1|, s10
	v_floor_f32_e32 v3, v3
	s_mov_b32 s10, 0xcf800000
	v_fma_f32 v5, v3, s10, |v1|
	v_cvt_u32_f32_e32 v5, v5
	v_cvt_u32_f32_e32 v3, v3
	v_ashrrev_i32_e32 v1, 31, v1
	v_xor_b32_e32 v5, v5, v1
	v_xor_b32_e32 v3, v3, v1
	v_sub_co_u32_e32 v8, vcc, v5, v1
	s_nop 1
	v_subb_co_u32_e32 v9, vcc, v3, v1, vcc
.LBB377_1169:
	s_or_b64 exec, exec, s[2:3]
.LBB377_1170:
	s_mov_b64 s[10:11], -1
.LBB377_1171:
	s_branch .LBB377_1201
.LBB377_1172:
	s_cmp_gt_i32 s14, 22
	s_cbranch_scc0 .LBB377_1180
; %bb.1173:
	s_cmp_lt_i32 s14, 24
	s_cbranch_scc1 .LBB377_1183
; %bb.1174:
	s_cmp_gt_i32 s14, 24
	s_cbranch_scc0 .LBB377_1184
; %bb.1175:
	global_load_ubyte v1, v[16:17], off
	s_movk_i32 s2, 0x7f
	s_waitcnt vmcnt(0)
	v_cmp_lt_i16_e32 vcc, s2, v1
	s_and_saveexec_b64 s[2:3], vcc
	s_xor_b64 s[2:3], exec, s[2:3]
	s_cbranch_execz .LBB377_1195
; %bb.1176:
	s_movk_i32 s8, 0x80
	v_cmp_ne_u16_e32 vcc, s8, v1
	s_and_b64 s[8:9], vcc, exec
	s_andn2_saveexec_b64 s[2:3], s[2:3]
	s_cbranch_execnz .LBB377_1196
.LBB377_1177:
	s_or_b64 exec, exec, s[2:3]
	v_mov_b64_e32 v[8:9], 0
	s_and_saveexec_b64 s[2:3], s[8:9]
	s_cbranch_execz .LBB377_1179
.LBB377_1178:
	v_lshlrev_b32_e32 v3, 24, v1
	v_and_b32_e32 v1, 0xffff, v1
	v_and_b32_e32 v5, 3, v1
	v_ffbh_u32_e32 v8, v5
	v_min_u32_e32 v8, 32, v8
	v_subrev_u32_e32 v9, 29, v8
	v_bfe_u32 v7, v1, 2, 5
	v_lshlrev_b32_e32 v1, v9, v1
	v_sub_u32_e32 v8, 30, v8
	v_and_b32_e32 v1, 3, v1
	v_cmp_eq_u32_e32 vcc, 0, v7
	v_and_b32_e32 v3, 0x80000000, v3
	s_mov_b32 s8, 0x2f800000
	v_cndmask_b32_e32 v7, v7, v8, vcc
	v_cndmask_b32_e32 v1, v5, v1, vcc
	v_mov_b32_e32 v5, 0x37800000
	v_lshlrev_b32_e32 v1, 21, v1
	v_lshl_add_u32 v5, v7, 23, v5
	v_or3_b32 v1, v3, v5, v1
	v_trunc_f32_e32 v1, v1
	v_mul_f32_e64 v3, |v1|, s8
	v_floor_f32_e32 v3, v3
	s_mov_b32 s8, 0xcf800000
	v_fma_f32 v5, v3, s8, |v1|
	v_cvt_u32_f32_e32 v5, v5
	v_cvt_u32_f32_e32 v3, v3
	v_ashrrev_i32_e32 v1, 31, v1
	v_xor_b32_e32 v5, v5, v1
	v_xor_b32_e32 v3, v3, v1
	v_sub_co_u32_e32 v8, vcc, v5, v1
	s_nop 1
	v_subb_co_u32_e32 v9, vcc, v3, v1, vcc
.LBB377_1179:
	s_or_b64 exec, exec, s[2:3]
	s_mov_b64 s[2:3], 0
	s_branch .LBB377_1185
.LBB377_1180:
                                        ; implicit-def: $vgpr8_vgpr9
	s_mov_b64 s[8:9], 0
	s_branch .LBB377_1191
.LBB377_1181:
	s_andn2_saveexec_b64 s[2:3], s[2:3]
	s_cbranch_execz .LBB377_1167
.LBB377_1182:
	v_cmp_ne_u16_e32 vcc, 0, v1
	s_andn2_b64 s[10:11], s[10:11], exec
	s_and_b64 s[16:17], vcc, exec
	s_or_b64 s[10:11], s[10:11], s[16:17]
	s_or_b64 exec, exec, s[2:3]
	v_mov_b64_e32 v[8:9], 0
	s_and_saveexec_b64 s[2:3], s[10:11]
	s_cbranch_execnz .LBB377_1168
	s_branch .LBB377_1169
.LBB377_1183:
	s_mov_b64 s[2:3], -1
                                        ; implicit-def: $vgpr8_vgpr9
	s_branch .LBB377_1188
.LBB377_1184:
	s_mov_b64 s[2:3], -1
                                        ; implicit-def: $vgpr8_vgpr9
.LBB377_1185:
	s_and_b64 vcc, exec, s[2:3]
	s_cbranch_vccz .LBB377_1187
; %bb.1186:
	global_load_ubyte v1, v[16:17], off
	s_mov_b32 s2, 0x7f800000
	s_brev_b32 s3, 1
	s_mov_b32 s8, 0x2f800000
	s_mov_b32 s9, 0xcf800000
	s_waitcnt vmcnt(0)
	v_lshlrev_b32_e32 v1, 24, v1
	v_and_b32_e32 v3, 0x7f000000, v1
	v_ffbh_u32_e32 v5, v3
	v_min_u32_e32 v5, 32, v5
	v_sub_u32_e64 v5, v5, 4 clamp
	v_lshlrev_b32_e32 v8, v5, v3
	v_lshlrev_b32_e32 v5, 23, v5
	v_lshrrev_b32_e32 v8, 4, v8
	v_add_u32_e32 v7, 0x1000000, v3
	v_sub_u32_e32 v5, v8, v5
	v_ashrrev_i32_e32 v7, 8, v7
	v_add_u32_e32 v5, 0x3c000000, v5
	v_and_or_b32 v5, v7, s2, v5
	v_cmp_ne_u32_e32 vcc, 0, v3
	s_nop 1
	v_cndmask_b32_e32 v3, 0, v5, vcc
	v_and_or_b32 v1, v1, s3, v3
	v_trunc_f32_e32 v1, v1
	v_mul_f32_e64 v3, |v1|, s8
	v_floor_f32_e32 v3, v3
	v_fma_f32 v5, v3, s9, |v1|
	v_cvt_u32_f32_e32 v5, v5
	v_cvt_u32_f32_e32 v3, v3
	v_ashrrev_i32_e32 v1, 31, v1
	v_xor_b32_e32 v5, v5, v1
	v_xor_b32_e32 v3, v3, v1
	v_sub_co_u32_e32 v8, vcc, v5, v1
	s_nop 1
	v_subb_co_u32_e32 v9, vcc, v3, v1, vcc
.LBB377_1187:
	s_mov_b64 s[2:3], 0
.LBB377_1188:
	s_andn2_b64 vcc, exec, s[2:3]
	s_cbranch_vccnz .LBB377_1190
; %bb.1189:
	global_load_ubyte v1, v[16:17], off
	s_movk_i32 s2, 0x7f00
	s_brev_b32 s3, 16
	s_brev_b32 s8, 1
	s_mov_b32 s9, 0x2f800000
	s_mov_b32 s10, 0xcf800000
	s_waitcnt vmcnt(0)
	v_lshlrev_b16_e32 v3, 8, v1
	v_lshlrev_b32_e32 v1, 25, v1
	v_lshrrev_b32_e32 v5, 4, v1
	v_and_or_b32 v7, v3, s2, 0.5
	v_or_b32_e32 v5, 0x70000000, v5
	v_add_f32_e32 v7, -0.5, v7
	v_mul_f32_e32 v5, 0x7800000, v5
	v_cmp_gt_u32_e32 vcc, s3, v1
	v_bfe_i32 v3, v3, 0, 16
	s_nop 0
	v_cndmask_b32_e32 v1, v5, v7, vcc
	v_and_or_b32 v1, v3, s8, v1
	v_trunc_f32_e32 v1, v1
	v_mul_f32_e64 v3, |v1|, s9
	v_floor_f32_e32 v3, v3
	v_fma_f32 v5, v3, s10, |v1|
	v_cvt_u32_f32_e32 v5, v5
	v_cvt_u32_f32_e32 v3, v3
	v_ashrrev_i32_e32 v1, 31, v1
	v_xor_b32_e32 v5, v5, v1
	v_xor_b32_e32 v3, v3, v1
	v_sub_co_u32_e32 v8, vcc, v5, v1
	s_nop 1
	v_subb_co_u32_e32 v9, vcc, v3, v1, vcc
.LBB377_1190:
	s_mov_b64 s[10:11], -1
	s_mov_b64 s[8:9], 0
	s_cbranch_execnz .LBB377_1201
.LBB377_1191:
	s_cmp_gt_i32 s14, 14
	s_cbranch_scc0 .LBB377_1194
; %bb.1192:
	s_cmp_eq_u32 s14, 15
	s_cbranch_scc0 .LBB377_1197
; %bb.1193:
	global_load_ushort v1, v[16:17], off
	s_mov_b32 s0, 0x2f800000
	s_mov_b32 s1, 0xcf800000
	s_mov_b64 s[10:11], -1
	s_waitcnt vmcnt(0)
	v_lshlrev_b32_e32 v1, 16, v1
	v_trunc_f32_e32 v1, v1
	v_mul_f32_e64 v3, |v1|, s0
	v_floor_f32_e32 v3, v3
	v_fma_f32 v5, v3, s1, |v1|
	v_cvt_u32_f32_e32 v5, v5
	v_cvt_u32_f32_e32 v3, v3
	v_ashrrev_i32_e32 v1, 31, v1
	s_mov_b64 s[0:1], 0
	v_xor_b32_e32 v5, v5, v1
	v_xor_b32_e32 v3, v3, v1
	v_sub_co_u32_e32 v8, vcc, v5, v1
	s_nop 1
	v_subb_co_u32_e32 v9, vcc, v3, v1, vcc
	s_branch .LBB377_1198
.LBB377_1194:
	s_mov_b64 s[2:3], -1
                                        ; implicit-def: $vgpr8_vgpr9
	s_branch .LBB377_1199
.LBB377_1195:
	s_andn2_saveexec_b64 s[2:3], s[2:3]
	s_cbranch_execz .LBB377_1177
.LBB377_1196:
	v_cmp_ne_u16_e32 vcc, 0, v1
	s_andn2_b64 s[8:9], s[8:9], exec
	s_and_b64 s[10:11], vcc, exec
	s_or_b64 s[8:9], s[8:9], s[10:11]
	s_or_b64 exec, exec, s[2:3]
	v_mov_b64_e32 v[8:9], 0
	s_and_saveexec_b64 s[2:3], s[8:9]
	s_cbranch_execnz .LBB377_1178
	s_branch .LBB377_1179
.LBB377_1197:
	s_mov_b64 s[0:1], -1
                                        ; implicit-def: $vgpr8_vgpr9
.LBB377_1198:
	s_mov_b64 s[2:3], 0
.LBB377_1199:
	s_and_b64 vcc, exec, s[2:3]
	s_cbranch_vccz .LBB377_1201
; %bb.1200:
	s_cmp_lg_u32 s14, 11
	s_mov_b64 s[8:9], -1
	s_cselect_b64 s[0:1], -1, 0
.LBB377_1201:
	s_and_b64 vcc, exec, s[0:1]
	s_mov_b64 s[2:3], s[24:25]
	s_cbranch_vccnz .LBB377_1262
; %bb.1202:
	s_andn2_b64 vcc, exec, s[8:9]
	s_cbranch_vccnz .LBB377_1204
.LBB377_1203:
	global_load_ubyte v1, v[16:17], off
	s_mov_b32 s0, 0
	s_waitcnt vmcnt(1)
	v_mov_b32_e32 v9, s0
	s_mov_b64 s[10:11], -1
	s_waitcnt vmcnt(0)
	v_cmp_ne_u16_e32 vcc, 0, v1
	s_nop 1
	v_cndmask_b32_e64 v8, 0, 1, vcc
.LBB377_1204:
	s_branch .LBB377_1139
.LBB377_1205:
	s_and_b32 s8, 0xffff, s13
	s_cmp_lt_i32 s8, 5
	s_cbranch_scc1 .LBB377_1210
; %bb.1206:
	s_cmp_lt_i32 s8, 8
	s_cbranch_scc1 .LBB377_1211
; %bb.1207:
	;; [unrolled: 3-line block ×3, first 2 shown]
	s_cmp_gt_i32 s8, 9
	s_cbranch_scc0 .LBB377_1213
; %bb.1209:
	global_load_dwordx2 v[8:9], v[16:17], off
	s_movk_i32 s0, 0xffe0
	s_waitcnt vmcnt(0)
	v_trunc_f64_e32 v[18:19], v[8:9]
	v_ldexp_f64 v[8:9], v[18:19], s0
	v_floor_f64_e32 v[20:21], v[8:9]
	v_fmac_f64_e32 v[18:19], 0xc1f00000, v[20:21]
	v_cvt_i32_f64_e32 v9, v[20:21]
	v_cvt_u32_f64_e32 v8, v[18:19]
	s_mov_b64 s[0:1], 0
	s_branch .LBB377_1214
.LBB377_1210:
                                        ; implicit-def: $vgpr8_vgpr9
	s_branch .LBB377_1231
.LBB377_1211:
                                        ; implicit-def: $vgpr8_vgpr9
	s_branch .LBB377_1220
.LBB377_1212:
	s_mov_b64 s[0:1], -1
                                        ; implicit-def: $vgpr8_vgpr9
	s_branch .LBB377_1217
.LBB377_1213:
	s_mov_b64 s[0:1], -1
                                        ; implicit-def: $vgpr8_vgpr9
.LBB377_1214:
	s_andn2_b64 vcc, exec, s[0:1]
	s_cbranch_vccnz .LBB377_1216
; %bb.1215:
	global_load_dword v1, v[16:17], off
	s_mov_b32 s0, 0x2f800000
	s_mov_b32 s1, 0xcf800000
	s_waitcnt vmcnt(0)
	v_trunc_f32_e32 v1, v1
	v_mul_f32_e64 v3, |v1|, s0
	v_floor_f32_e32 v3, v3
	v_cvt_u32_f32_e32 v5, v3
	v_fma_f32 v3, v3, s1, |v1|
	v_cvt_u32_f32_e32 v3, v3
	v_ashrrev_i32_e32 v1, 31, v1
	v_xor_b32_e32 v5, v5, v1
	v_xor_b32_e32 v3, v3, v1
	v_sub_co_u32_e32 v8, vcc, v3, v1
	s_nop 1
	v_subb_co_u32_e32 v9, vcc, v5, v1, vcc
.LBB377_1216:
	s_mov_b64 s[0:1], 0
.LBB377_1217:
	s_andn2_b64 vcc, exec, s[0:1]
	s_cbranch_vccnz .LBB377_1219
; %bb.1218:
	global_load_dword v1, v[16:17], off
	s_waitcnt vmcnt(0)
	v_cvt_f32_f16_e32 v1, v1
	v_cvt_i32_f32_e32 v8, v1
	v_ashrrev_i32_e32 v9, 31, v8
.LBB377_1219:
	s_cbranch_execnz .LBB377_1230
.LBB377_1220:
	s_cmp_lt_i32 s8, 6
	s_cbranch_scc1 .LBB377_1223
; %bb.1221:
	s_cmp_gt_i32 s8, 6
	s_cbranch_scc0 .LBB377_1224
; %bb.1222:
	global_load_dwordx2 v[8:9], v[16:17], off
	s_movk_i32 s0, 0xffe0
	s_waitcnt vmcnt(0)
	v_trunc_f64_e32 v[18:19], v[8:9]
	v_ldexp_f64 v[8:9], v[18:19], s0
	v_floor_f64_e32 v[20:21], v[8:9]
	v_fmac_f64_e32 v[18:19], 0xc1f00000, v[20:21]
	v_cvt_i32_f64_e32 v9, v[20:21]
	v_cvt_u32_f64_e32 v8, v[18:19]
	s_mov_b64 s[0:1], 0
	s_branch .LBB377_1225
.LBB377_1223:
	s_mov_b64 s[0:1], -1
                                        ; implicit-def: $vgpr8_vgpr9
	s_branch .LBB377_1228
.LBB377_1224:
	s_mov_b64 s[0:1], -1
                                        ; implicit-def: $vgpr8_vgpr9
.LBB377_1225:
	s_andn2_b64 vcc, exec, s[0:1]
	s_cbranch_vccnz .LBB377_1227
; %bb.1226:
	global_load_dword v1, v[16:17], off
	s_mov_b32 s0, 0x2f800000
	s_mov_b32 s1, 0xcf800000
	s_waitcnt vmcnt(0)
	v_trunc_f32_e32 v1, v1
	v_mul_f32_e64 v3, |v1|, s0
	v_floor_f32_e32 v3, v3
	v_cvt_u32_f32_e32 v5, v3
	v_fma_f32 v3, v3, s1, |v1|
	v_cvt_u32_f32_e32 v3, v3
	v_ashrrev_i32_e32 v1, 31, v1
	v_xor_b32_e32 v5, v5, v1
	v_xor_b32_e32 v3, v3, v1
	v_sub_co_u32_e32 v8, vcc, v3, v1
	s_nop 1
	v_subb_co_u32_e32 v9, vcc, v5, v1, vcc
.LBB377_1227:
	s_mov_b64 s[0:1], 0
.LBB377_1228:
	s_andn2_b64 vcc, exec, s[0:1]
	s_cbranch_vccnz .LBB377_1230
; %bb.1229:
	global_load_ushort v1, v[16:17], off
	s_waitcnt vmcnt(0)
	v_cvt_f32_f16_e32 v1, v1
	v_cvt_i32_f32_e32 v8, v1
	v_ashrrev_i32_e32 v9, 31, v8
.LBB377_1230:
	s_cbranch_execnz .LBB377_1249
.LBB377_1231:
	s_cmp_lt_i32 s8, 2
	s_cbranch_scc1 .LBB377_1235
; %bb.1232:
	s_cmp_lt_i32 s8, 3
	s_cbranch_scc1 .LBB377_1236
; %bb.1233:
	s_cmp_gt_i32 s8, 3
	s_cbranch_scc0 .LBB377_1237
; %bb.1234:
	global_load_dwordx2 v[8:9], v[16:17], off
	s_mov_b64 s[0:1], 0
	s_branch .LBB377_1238
.LBB377_1235:
                                        ; implicit-def: $vgpr8_vgpr9
	s_branch .LBB377_1244
.LBB377_1236:
	s_mov_b64 s[0:1], -1
                                        ; implicit-def: $vgpr8_vgpr9
	s_branch .LBB377_1241
.LBB377_1237:
	s_mov_b64 s[0:1], -1
                                        ; implicit-def: $vgpr8_vgpr9
.LBB377_1238:
	s_andn2_b64 vcc, exec, s[0:1]
	s_cbranch_vccnz .LBB377_1240
; %bb.1239:
	global_load_dword v8, v[16:17], off
	s_waitcnt vmcnt(0)
	v_ashrrev_i32_e32 v9, 31, v8
.LBB377_1240:
	s_mov_b64 s[0:1], 0
.LBB377_1241:
	s_andn2_b64 vcc, exec, s[0:1]
	s_cbranch_vccnz .LBB377_1243
; %bb.1242:
	global_load_ushort v1, v[16:17], off
	s_waitcnt vmcnt(0)
	v_bfe_i32 v8, v1, 0, 16
	v_ashrrev_i32_e32 v9, 31, v8
.LBB377_1243:
	s_cbranch_execnz .LBB377_1249
.LBB377_1244:
	s_cmp_gt_i32 s8, 0
	s_cbranch_scc0 .LBB377_1246
; %bb.1245:
	global_load_sbyte v1, v[16:17], off
	s_mov_b64 s[0:1], 0
	s_waitcnt vmcnt(0)
	v_bfe_i32 v8, v1, 0, 16
	v_ashrrev_i32_e32 v9, 31, v8
	s_branch .LBB377_1247
.LBB377_1246:
	s_mov_b64 s[0:1], -1
                                        ; implicit-def: $vgpr8_vgpr9
.LBB377_1247:
	s_andn2_b64 vcc, exec, s[0:1]
	s_cbranch_vccnz .LBB377_1249
; %bb.1248:
	global_load_ubyte v1, v[16:17], off
	s_mov_b32 s0, 0
	s_waitcnt vmcnt(1)
	v_mov_b32_e32 v9, s0
	s_waitcnt vmcnt(0)
	v_and_b32_e32 v8, 0xffff, v1
.LBB377_1249:
.LBB377_1250:
	s_lshr_b32 s0, s12, 8
	v_mov_b32_e32 v11, 0
	s_and_b32 s14, s0, 0xff
	s_cmp_lt_i32 s14, 11
	v_lshl_add_u64 v[16:17], s[6:7], 0, v[10:11]
	s_cbranch_scc1 .LBB377_1257
; %bb.1251:
	s_and_b32 s15, 0xffff, s14
	s_cmp_gt_i32 s15, 25
	s_mov_b64 s[8:9], 0
	s_cbranch_scc0 .LBB377_1259
; %bb.1252:
	s_cmp_gt_i32 s15, 28
	s_cbranch_scc0 .LBB377_1260
; %bb.1253:
	s_cmp_gt_i32 s15, 43
	;; [unrolled: 3-line block ×3, first 2 shown]
	s_cbranch_scc0 .LBB377_1263
; %bb.1255:
	s_cmp_eq_u32 s15, 46
	s_mov_b64 s[12:13], 0
	s_cbranch_scc0 .LBB377_1266
; %bb.1256:
	global_load_dword v1, v[16:17], off
	s_mov_b32 s0, 0x2f800000
	s_mov_b32 s1, 0xcf800000
	s_mov_b64 s[10:11], -1
	s_waitcnt vmcnt(0)
	v_lshlrev_b32_e32 v1, 16, v1
	v_trunc_f32_e32 v1, v1
	v_mul_f32_e64 v3, |v1|, s0
	v_floor_f32_e32 v3, v3
	v_fma_f32 v5, v3, s1, |v1|
	v_cvt_u32_f32_e32 v5, v5
	v_cvt_u32_f32_e32 v3, v3
	v_ashrrev_i32_e32 v1, 31, v1
	s_mov_b64 s[0:1], 0
	v_xor_b32_e32 v5, v5, v1
	v_xor_b32_e32 v3, v3, v1
	v_sub_co_u32_e32 v10, vcc, v5, v1
	s_nop 1
	v_subb_co_u32_e32 v11, vcc, v3, v1, vcc
	s_branch .LBB377_1267
.LBB377_1257:
	s_mov_b64 s[10:11], 0
                                        ; implicit-def: $vgpr10_vgpr11
	s_cbranch_execnz .LBB377_1328
.LBB377_1258:
	s_andn2_b64 vcc, exec, s[10:11]
	s_cbranch_vccnz .LBB377_2059
	s_branch .LBB377_1375
.LBB377_1259:
	s_mov_b64 s[10:11], 0
	s_mov_b64 s[0:1], 0
                                        ; implicit-def: $vgpr10_vgpr11
	s_cbranch_execnz .LBB377_1294
	s_branch .LBB377_1324
.LBB377_1260:
	s_mov_b64 s[12:13], -1
	s_mov_b64 s[10:11], 0
	s_mov_b64 s[0:1], 0
                                        ; implicit-def: $vgpr10_vgpr11
	s_branch .LBB377_1277
.LBB377_1261:
	s_mov_b64 s[12:13], -1
	s_mov_b64 s[10:11], 0
	s_mov_b64 s[0:1], 0
                                        ; implicit-def: $vgpr10_vgpr11
	s_branch .LBB377_1272
.LBB377_1262:
	s_or_b64 s[2:3], s[24:25], exec
	s_trap 2
	s_cbranch_execz .LBB377_1203
	s_branch .LBB377_1204
.LBB377_1263:
	s_mov_b64 s[12:13], -1
	s_mov_b64 s[10:11], 0
	s_mov_b64 s[0:1], 0
                                        ; implicit-def: $vgpr10_vgpr11
	s_branch .LBB377_1267
.LBB377_1264:
	s_andn2_saveexec_b64 s[14:15], s[14:15]
	s_cbranch_execz .LBB377_999
.LBB377_1265:
	s_mov_b32 s18, 0x42800000
	v_add_f32_e64 v1, |v0|, s18
	v_and_b32_e32 v1, 0xff, v1
	v_cmp_ne_u32_e32 vcc, 0, v1
	s_andn2_b64 s[12:13], s[12:13], exec
	s_and_b64 s[18:19], vcc, exec
	s_or_b64 s[12:13], s[12:13], s[18:19]
	s_or_b64 exec, exec, s[14:15]
	v_mov_b32_e32 v6, 0
	s_and_saveexec_b64 s[14:15], s[12:13]
	s_cbranch_execnz .LBB377_1000
	s_branch .LBB377_1001
.LBB377_1266:
	s_mov_b64 s[0:1], -1
                                        ; implicit-def: $vgpr10_vgpr11
	s_mov_b64 s[10:11], 0
.LBB377_1267:
	s_and_b64 vcc, exec, s[12:13]
	s_cbranch_vccz .LBB377_1271
; %bb.1268:
	s_cmp_eq_u32 s15, 44
	s_cbranch_scc0 .LBB377_1270
; %bb.1269:
	global_load_ubyte v1, v[16:17], off
	s_mov_b32 s0, 0x2f800000
	s_mov_b32 s1, 0xcf800000
	s_mov_b64 s[10:11], -1
	s_waitcnt vmcnt(0)
	v_lshlrev_b32_e32 v3, 23, v1
	v_trunc_f32_e32 v3, v3
	v_mul_f32_e64 v5, |v3|, s0
	v_floor_f32_e32 v5, v5
	v_fma_f32 v7, v5, s1, |v3|
	v_cvt_u32_f32_e32 v7, v7
	v_cvt_u32_f32_e32 v5, v5
	v_ashrrev_i32_e32 v3, 31, v3
	s_mov_b64 s[0:1], 0
	v_xor_b32_e32 v7, v7, v3
	v_xor_b32_e32 v5, v5, v3
	v_sub_co_u32_e32 v7, vcc, v7, v3
	s_nop 1
	v_subb_co_u32_e32 v3, vcc, v5, v3, vcc
	v_cmp_ne_u32_e32 vcc, 0, v1
	s_nop 1
	v_cndmask_b32_e32 v11, 0, v3, vcc
	v_cndmask_b32_e32 v10, 0, v7, vcc
	s_branch .LBB377_1271
.LBB377_1270:
	s_mov_b64 s[0:1], -1
                                        ; implicit-def: $vgpr10_vgpr11
.LBB377_1271:
	s_mov_b64 s[12:13], 0
.LBB377_1272:
	s_and_b64 vcc, exec, s[12:13]
	s_cbranch_vccz .LBB377_1276
; %bb.1273:
	s_cmp_eq_u32 s15, 29
	s_cbranch_scc0 .LBB377_1275
; %bb.1274:
	global_load_dwordx2 v[10:11], v[16:17], off
	s_mov_b64 s[0:1], 0
	s_mov_b64 s[10:11], -1
	s_branch .LBB377_1276
.LBB377_1275:
	s_mov_b64 s[0:1], -1
                                        ; implicit-def: $vgpr10_vgpr11
.LBB377_1276:
	s_mov_b64 s[12:13], 0
.LBB377_1277:
	s_and_b64 vcc, exec, s[12:13]
	s_cbranch_vccz .LBB377_1293
; %bb.1278:
	s_cmp_lt_i32 s15, 27
	s_cbranch_scc1 .LBB377_1281
; %bb.1279:
	s_cmp_gt_i32 s15, 27
	s_cbranch_scc0 .LBB377_1282
; %bb.1280:
	global_load_dword v10, v[16:17], off
	s_waitcnt vmcnt(1)
	v_mov_b32_e32 v11, 0
	s_mov_b64 s[10:11], 0
	s_branch .LBB377_1283
.LBB377_1281:
	s_mov_b64 s[10:11], -1
                                        ; implicit-def: $vgpr10_vgpr11
	s_branch .LBB377_1286
.LBB377_1282:
	s_mov_b64 s[10:11], -1
                                        ; implicit-def: $vgpr10_vgpr11
.LBB377_1283:
	s_andn2_b64 vcc, exec, s[10:11]
	s_cbranch_vccnz .LBB377_1285
; %bb.1284:
	global_load_ushort v1, v[16:17], off
	s_mov_b32 s10, 0
	s_waitcnt vmcnt(1)
	v_mov_b32_e32 v11, s10
	s_waitcnt vmcnt(0)
	v_and_b32_e32 v10, 0xffff, v1
.LBB377_1285:
	s_mov_b64 s[10:11], 0
.LBB377_1286:
	s_andn2_b64 vcc, exec, s[10:11]
	s_cbranch_vccnz .LBB377_1292
; %bb.1287:
	global_load_ubyte v1, v[16:17], off
	s_movk_i32 s10, 0x7f
	s_mov_b64 s[12:13], 0
	s_waitcnt vmcnt(0)
	v_cmp_lt_i16_e32 vcc, s10, v1
	s_and_saveexec_b64 s[10:11], vcc
	s_xor_b64 s[10:11], exec, s[10:11]
	s_cbranch_execz .LBB377_1303
; %bb.1288:
	s_movk_i32 s12, 0x80
	v_cmp_ne_u16_e32 vcc, s12, v1
	s_and_b64 s[12:13], vcc, exec
	s_andn2_saveexec_b64 s[10:11], s[10:11]
	s_cbranch_execnz .LBB377_1304
.LBB377_1289:
	s_or_b64 exec, exec, s[10:11]
	v_mov_b64_e32 v[10:11], 0
	s_and_saveexec_b64 s[10:11], s[12:13]
	s_cbranch_execz .LBB377_1291
.LBB377_1290:
	v_lshlrev_b32_e32 v3, 24, v1
	v_and_b32_e32 v1, 0xffff, v1
	v_and_b32_e32 v5, 7, v1
	v_ffbh_u32_e32 v10, v5
	v_min_u32_e32 v10, 32, v10
	v_subrev_u32_e32 v11, 28, v10
	v_bfe_u32 v7, v1, 3, 4
	v_lshlrev_b32_e32 v1, v11, v1
	v_sub_u32_e32 v10, 29, v10
	v_and_b32_e32 v1, 7, v1
	v_cmp_eq_u32_e32 vcc, 0, v7
	v_and_b32_e32 v3, 0x80000000, v3
	s_mov_b32 s12, 0x2f800000
	v_cndmask_b32_e32 v7, v7, v10, vcc
	v_cndmask_b32_e32 v1, v5, v1, vcc
	v_mov_b32_e32 v5, 0x3b800000
	v_lshlrev_b32_e32 v1, 20, v1
	v_lshl_add_u32 v5, v7, 23, v5
	v_or3_b32 v1, v3, v5, v1
	v_trunc_f32_e32 v1, v1
	v_mul_f32_e64 v3, |v1|, s12
	v_floor_f32_e32 v3, v3
	s_mov_b32 s12, 0xcf800000
	v_fma_f32 v5, v3, s12, |v1|
	v_cvt_u32_f32_e32 v5, v5
	v_cvt_u32_f32_e32 v3, v3
	v_ashrrev_i32_e32 v1, 31, v1
	v_xor_b32_e32 v5, v5, v1
	v_xor_b32_e32 v3, v3, v1
	v_sub_co_u32_e32 v10, vcc, v5, v1
	s_nop 1
	v_subb_co_u32_e32 v11, vcc, v3, v1, vcc
.LBB377_1291:
	s_or_b64 exec, exec, s[10:11]
.LBB377_1292:
	s_mov_b64 s[10:11], -1
.LBB377_1293:
	s_branch .LBB377_1324
.LBB377_1294:
	s_cmp_gt_i32 s15, 22
	s_cbranch_scc0 .LBB377_1302
; %bb.1295:
	s_cmp_lt_i32 s15, 24
	s_cbranch_scc1 .LBB377_1305
; %bb.1296:
	s_cmp_gt_i32 s15, 24
	s_cbranch_scc0 .LBB377_1306
; %bb.1297:
	global_load_ubyte v1, v[16:17], off
	s_movk_i32 s8, 0x7f
	s_mov_b64 s[10:11], 0
	s_waitcnt vmcnt(0)
	v_cmp_lt_i16_e32 vcc, s8, v1
	s_and_saveexec_b64 s[8:9], vcc
	s_xor_b64 s[8:9], exec, s[8:9]
	s_cbranch_execz .LBB377_1318
; %bb.1298:
	s_movk_i32 s10, 0x80
	v_cmp_ne_u16_e32 vcc, s10, v1
	s_and_b64 s[10:11], vcc, exec
	s_andn2_saveexec_b64 s[8:9], s[8:9]
	s_cbranch_execnz .LBB377_1319
.LBB377_1299:
	s_or_b64 exec, exec, s[8:9]
	v_mov_b64_e32 v[10:11], 0
	s_and_saveexec_b64 s[8:9], s[10:11]
	s_cbranch_execz .LBB377_1301
.LBB377_1300:
	v_lshlrev_b32_e32 v3, 24, v1
	v_and_b32_e32 v1, 0xffff, v1
	v_and_b32_e32 v5, 3, v1
	v_ffbh_u32_e32 v10, v5
	v_min_u32_e32 v10, 32, v10
	v_subrev_u32_e32 v11, 29, v10
	v_bfe_u32 v7, v1, 2, 5
	v_lshlrev_b32_e32 v1, v11, v1
	v_sub_u32_e32 v10, 30, v10
	v_and_b32_e32 v1, 3, v1
	v_cmp_eq_u32_e32 vcc, 0, v7
	v_and_b32_e32 v3, 0x80000000, v3
	s_mov_b32 s10, 0x2f800000
	v_cndmask_b32_e32 v7, v7, v10, vcc
	v_cndmask_b32_e32 v1, v5, v1, vcc
	v_mov_b32_e32 v5, 0x37800000
	v_lshlrev_b32_e32 v1, 21, v1
	v_lshl_add_u32 v5, v7, 23, v5
	v_or3_b32 v1, v3, v5, v1
	v_trunc_f32_e32 v1, v1
	v_mul_f32_e64 v3, |v1|, s10
	v_floor_f32_e32 v3, v3
	s_mov_b32 s10, 0xcf800000
	v_fma_f32 v5, v3, s10, |v1|
	v_cvt_u32_f32_e32 v5, v5
	v_cvt_u32_f32_e32 v3, v3
	v_ashrrev_i32_e32 v1, 31, v1
	v_xor_b32_e32 v5, v5, v1
	v_xor_b32_e32 v3, v3, v1
	v_sub_co_u32_e32 v10, vcc, v5, v1
	s_nop 1
	v_subb_co_u32_e32 v11, vcc, v3, v1, vcc
.LBB377_1301:
	s_or_b64 exec, exec, s[8:9]
	s_mov_b64 s[8:9], 0
	s_branch .LBB377_1307
.LBB377_1302:
	s_mov_b64 s[8:9], -1
                                        ; implicit-def: $vgpr10_vgpr11
	s_branch .LBB377_1313
.LBB377_1303:
	s_andn2_saveexec_b64 s[10:11], s[10:11]
	s_cbranch_execz .LBB377_1289
.LBB377_1304:
	v_cmp_ne_u16_e32 vcc, 0, v1
	s_andn2_b64 s[12:13], s[12:13], exec
	s_and_b64 s[16:17], vcc, exec
	s_or_b64 s[12:13], s[12:13], s[16:17]
	s_or_b64 exec, exec, s[10:11]
	v_mov_b64_e32 v[10:11], 0
	s_and_saveexec_b64 s[10:11], s[12:13]
	s_cbranch_execnz .LBB377_1290
	s_branch .LBB377_1291
.LBB377_1305:
	s_mov_b64 s[8:9], -1
                                        ; implicit-def: $vgpr10_vgpr11
	s_branch .LBB377_1310
.LBB377_1306:
	s_mov_b64 s[8:9], -1
                                        ; implicit-def: $vgpr10_vgpr11
.LBB377_1307:
	s_and_b64 vcc, exec, s[8:9]
	s_cbranch_vccz .LBB377_1309
; %bb.1308:
	global_load_ubyte v1, v[16:17], off
	s_mov_b32 s8, 0x7f800000
	s_brev_b32 s9, 1
	s_mov_b32 s10, 0x2f800000
	s_mov_b32 s11, 0xcf800000
	s_waitcnt vmcnt(0)
	v_lshlrev_b32_e32 v1, 24, v1
	v_and_b32_e32 v3, 0x7f000000, v1
	v_ffbh_u32_e32 v5, v3
	v_min_u32_e32 v5, 32, v5
	v_sub_u32_e64 v5, v5, 4 clamp
	v_lshlrev_b32_e32 v10, v5, v3
	v_lshlrev_b32_e32 v5, 23, v5
	v_lshrrev_b32_e32 v10, 4, v10
	v_add_u32_e32 v7, 0x1000000, v3
	v_sub_u32_e32 v5, v10, v5
	v_ashrrev_i32_e32 v7, 8, v7
	v_add_u32_e32 v5, 0x3c000000, v5
	v_and_or_b32 v5, v7, s8, v5
	v_cmp_ne_u32_e32 vcc, 0, v3
	s_nop 1
	v_cndmask_b32_e32 v3, 0, v5, vcc
	v_and_or_b32 v1, v1, s9, v3
	v_trunc_f32_e32 v1, v1
	v_mul_f32_e64 v3, |v1|, s10
	v_floor_f32_e32 v3, v3
	v_fma_f32 v5, v3, s11, |v1|
	v_cvt_u32_f32_e32 v5, v5
	v_cvt_u32_f32_e32 v3, v3
	v_ashrrev_i32_e32 v1, 31, v1
	v_xor_b32_e32 v5, v5, v1
	v_xor_b32_e32 v3, v3, v1
	v_sub_co_u32_e32 v10, vcc, v5, v1
	s_nop 1
	v_subb_co_u32_e32 v11, vcc, v3, v1, vcc
.LBB377_1309:
	s_mov_b64 s[8:9], 0
.LBB377_1310:
	s_andn2_b64 vcc, exec, s[8:9]
	s_cbranch_vccnz .LBB377_1312
; %bb.1311:
	global_load_ubyte v1, v[16:17], off
	s_movk_i32 s8, 0x7f00
	s_brev_b32 s9, 16
	s_brev_b32 s10, 1
	s_mov_b32 s11, 0x2f800000
	s_mov_b32 s12, 0xcf800000
	s_waitcnt vmcnt(0)
	v_lshlrev_b16_e32 v3, 8, v1
	v_lshlrev_b32_e32 v1, 25, v1
	v_lshrrev_b32_e32 v5, 4, v1
	v_and_or_b32 v7, v3, s8, 0.5
	v_or_b32_e32 v5, 0x70000000, v5
	v_add_f32_e32 v7, -0.5, v7
	v_mul_f32_e32 v5, 0x7800000, v5
	v_cmp_gt_u32_e32 vcc, s9, v1
	v_bfe_i32 v3, v3, 0, 16
	s_nop 0
	v_cndmask_b32_e32 v1, v5, v7, vcc
	v_and_or_b32 v1, v3, s10, v1
	v_trunc_f32_e32 v1, v1
	v_mul_f32_e64 v3, |v1|, s11
	v_floor_f32_e32 v3, v3
	v_fma_f32 v5, v3, s12, |v1|
	v_cvt_u32_f32_e32 v5, v5
	v_cvt_u32_f32_e32 v3, v3
	v_ashrrev_i32_e32 v1, 31, v1
	v_xor_b32_e32 v5, v5, v1
	v_xor_b32_e32 v3, v3, v1
	v_sub_co_u32_e32 v10, vcc, v5, v1
	s_nop 1
	v_subb_co_u32_e32 v11, vcc, v3, v1, vcc
.LBB377_1312:
	s_mov_b64 s[8:9], 0
	s_mov_b64 s[10:11], -1
.LBB377_1313:
	s_andn2_b64 vcc, exec, s[8:9]
	s_mov_b64 s[8:9], 0
	s_cbranch_vccnz .LBB377_1324
; %bb.1314:
	s_cmp_gt_i32 s15, 14
	s_cbranch_scc0 .LBB377_1317
; %bb.1315:
	s_cmp_eq_u32 s15, 15
	s_cbranch_scc0 .LBB377_1320
; %bb.1316:
	global_load_ushort v1, v[16:17], off
	s_mov_b32 s0, 0x2f800000
	s_mov_b32 s1, 0xcf800000
	s_mov_b64 s[10:11], -1
	s_waitcnt vmcnt(0)
	v_lshlrev_b32_e32 v1, 16, v1
	v_trunc_f32_e32 v1, v1
	v_mul_f32_e64 v3, |v1|, s0
	v_floor_f32_e32 v3, v3
	v_fma_f32 v5, v3, s1, |v1|
	v_cvt_u32_f32_e32 v5, v5
	v_cvt_u32_f32_e32 v3, v3
	v_ashrrev_i32_e32 v1, 31, v1
	s_mov_b64 s[0:1], 0
	v_xor_b32_e32 v5, v5, v1
	v_xor_b32_e32 v3, v3, v1
	v_sub_co_u32_e32 v10, vcc, v5, v1
	s_nop 1
	v_subb_co_u32_e32 v11, vcc, v3, v1, vcc
	s_branch .LBB377_1321
.LBB377_1317:
	s_mov_b64 s[12:13], -1
                                        ; implicit-def: $vgpr10_vgpr11
	s_branch .LBB377_1322
.LBB377_1318:
	s_andn2_saveexec_b64 s[8:9], s[8:9]
	s_cbranch_execz .LBB377_1299
.LBB377_1319:
	v_cmp_ne_u16_e32 vcc, 0, v1
	s_andn2_b64 s[10:11], s[10:11], exec
	s_and_b64 s[12:13], vcc, exec
	s_or_b64 s[10:11], s[10:11], s[12:13]
	s_or_b64 exec, exec, s[8:9]
	v_mov_b64_e32 v[10:11], 0
	s_and_saveexec_b64 s[8:9], s[10:11]
	s_cbranch_execnz .LBB377_1300
	s_branch .LBB377_1301
.LBB377_1320:
	s_mov_b64 s[0:1], -1
                                        ; implicit-def: $vgpr10_vgpr11
.LBB377_1321:
	s_mov_b64 s[12:13], 0
.LBB377_1322:
	s_and_b64 vcc, exec, s[12:13]
	s_cbranch_vccz .LBB377_1324
; %bb.1323:
	s_cmp_lg_u32 s15, 11
	s_mov_b64 s[8:9], -1
	s_cselect_b64 s[0:1], -1, 0
.LBB377_1324:
	s_and_b64 vcc, exec, s[0:1]
	s_cbranch_vccnz .LBB377_1387
; %bb.1325:
	s_andn2_b64 vcc, exec, s[8:9]
	s_cbranch_vccnz .LBB377_1327
.LBB377_1326:
	global_load_ubyte v1, v[16:17], off
	s_mov_b32 s0, 0
	s_waitcnt vmcnt(1)
	v_mov_b32_e32 v11, s0
	s_mov_b64 s[10:11], -1
	s_waitcnt vmcnt(0)
	v_cmp_ne_u16_e32 vcc, 0, v1
	s_nop 1
	v_cndmask_b32_e64 v10, 0, 1, vcc
.LBB377_1327:
	s_branch .LBB377_1258
.LBB377_1328:
	s_and_b32 s8, 0xffff, s14
	s_cmp_lt_i32 s8, 5
	s_cbranch_scc1 .LBB377_1333
; %bb.1329:
	s_cmp_lt_i32 s8, 8
	s_cbranch_scc1 .LBB377_1334
; %bb.1330:
	;; [unrolled: 3-line block ×3, first 2 shown]
	s_cmp_gt_i32 s8, 9
	s_cbranch_scc0 .LBB377_1336
; %bb.1332:
	global_load_dwordx2 v[10:11], v[16:17], off
	s_movk_i32 s0, 0xffe0
	s_waitcnt vmcnt(0)
	v_trunc_f64_e32 v[18:19], v[10:11]
	v_ldexp_f64 v[10:11], v[18:19], s0
	v_floor_f64_e32 v[20:21], v[10:11]
	v_fmac_f64_e32 v[18:19], 0xc1f00000, v[20:21]
	v_cvt_i32_f64_e32 v11, v[20:21]
	v_cvt_u32_f64_e32 v10, v[18:19]
	s_mov_b64 s[0:1], 0
	s_branch .LBB377_1337
.LBB377_1333:
                                        ; implicit-def: $vgpr10_vgpr11
	s_branch .LBB377_1355
.LBB377_1334:
	s_mov_b64 s[0:1], -1
                                        ; implicit-def: $vgpr10_vgpr11
	s_branch .LBB377_1343
.LBB377_1335:
	s_mov_b64 s[0:1], -1
                                        ; implicit-def: $vgpr10_vgpr11
	s_branch .LBB377_1340
.LBB377_1336:
	s_mov_b64 s[0:1], -1
                                        ; implicit-def: $vgpr10_vgpr11
.LBB377_1337:
	s_andn2_b64 vcc, exec, s[0:1]
	s_cbranch_vccnz .LBB377_1339
; %bb.1338:
	global_load_dword v1, v[16:17], off
	s_mov_b32 s0, 0x2f800000
	s_mov_b32 s1, 0xcf800000
	s_waitcnt vmcnt(0)
	v_trunc_f32_e32 v1, v1
	v_mul_f32_e64 v3, |v1|, s0
	v_floor_f32_e32 v3, v3
	v_cvt_u32_f32_e32 v5, v3
	v_fma_f32 v3, v3, s1, |v1|
	v_cvt_u32_f32_e32 v3, v3
	v_ashrrev_i32_e32 v1, 31, v1
	v_xor_b32_e32 v5, v5, v1
	v_xor_b32_e32 v3, v3, v1
	v_sub_co_u32_e32 v10, vcc, v3, v1
	s_nop 1
	v_subb_co_u32_e32 v11, vcc, v5, v1, vcc
.LBB377_1339:
	s_mov_b64 s[0:1], 0
.LBB377_1340:
	s_andn2_b64 vcc, exec, s[0:1]
	s_cbranch_vccnz .LBB377_1342
; %bb.1341:
	global_load_dword v1, v[16:17], off
	s_waitcnt vmcnt(0)
	v_cvt_f32_f16_e32 v1, v1
	v_cvt_i32_f32_e32 v10, v1
	v_ashrrev_i32_e32 v11, 31, v10
.LBB377_1342:
	s_mov_b64 s[0:1], 0
.LBB377_1343:
	s_andn2_b64 vcc, exec, s[0:1]
	s_cbranch_vccnz .LBB377_1354
; %bb.1344:
	s_cmp_lt_i32 s8, 6
	s_cbranch_scc1 .LBB377_1347
; %bb.1345:
	s_cmp_gt_i32 s8, 6
	s_cbranch_scc0 .LBB377_1348
; %bb.1346:
	global_load_dwordx2 v[10:11], v[16:17], off
	s_movk_i32 s0, 0xffe0
	s_waitcnt vmcnt(0)
	v_trunc_f64_e32 v[18:19], v[10:11]
	v_ldexp_f64 v[10:11], v[18:19], s0
	v_floor_f64_e32 v[20:21], v[10:11]
	v_fmac_f64_e32 v[18:19], 0xc1f00000, v[20:21]
	v_cvt_i32_f64_e32 v11, v[20:21]
	v_cvt_u32_f64_e32 v10, v[18:19]
	s_mov_b64 s[0:1], 0
	s_branch .LBB377_1349
.LBB377_1347:
	s_mov_b64 s[0:1], -1
                                        ; implicit-def: $vgpr10_vgpr11
	s_branch .LBB377_1352
.LBB377_1348:
	s_mov_b64 s[0:1], -1
                                        ; implicit-def: $vgpr10_vgpr11
.LBB377_1349:
	s_andn2_b64 vcc, exec, s[0:1]
	s_cbranch_vccnz .LBB377_1351
; %bb.1350:
	global_load_dword v1, v[16:17], off
	s_mov_b32 s0, 0x2f800000
	s_mov_b32 s1, 0xcf800000
	s_waitcnt vmcnt(0)
	v_trunc_f32_e32 v1, v1
	v_mul_f32_e64 v3, |v1|, s0
	v_floor_f32_e32 v3, v3
	v_cvt_u32_f32_e32 v5, v3
	v_fma_f32 v3, v3, s1, |v1|
	v_cvt_u32_f32_e32 v3, v3
	v_ashrrev_i32_e32 v1, 31, v1
	v_xor_b32_e32 v5, v5, v1
	v_xor_b32_e32 v3, v3, v1
	v_sub_co_u32_e32 v10, vcc, v3, v1
	s_nop 1
	v_subb_co_u32_e32 v11, vcc, v5, v1, vcc
.LBB377_1351:
	s_mov_b64 s[0:1], 0
.LBB377_1352:
	s_andn2_b64 vcc, exec, s[0:1]
	s_cbranch_vccnz .LBB377_1354
; %bb.1353:
	global_load_ushort v1, v[16:17], off
	s_waitcnt vmcnt(0)
	v_cvt_f32_f16_e32 v1, v1
	v_cvt_i32_f32_e32 v10, v1
	v_ashrrev_i32_e32 v11, 31, v10
.LBB377_1354:
	s_cbranch_execnz .LBB377_1374
.LBB377_1355:
	s_cmp_lt_i32 s8, 2
	s_cbranch_scc1 .LBB377_1359
; %bb.1356:
	s_cmp_lt_i32 s8, 3
	s_cbranch_scc1 .LBB377_1360
; %bb.1357:
	s_cmp_gt_i32 s8, 3
	s_cbranch_scc0 .LBB377_1361
; %bb.1358:
	global_load_dwordx2 v[10:11], v[16:17], off
	s_mov_b64 s[0:1], 0
	s_branch .LBB377_1362
.LBB377_1359:
	s_mov_b64 s[0:1], -1
                                        ; implicit-def: $vgpr10_vgpr11
	s_branch .LBB377_1368
.LBB377_1360:
	s_mov_b64 s[0:1], -1
                                        ; implicit-def: $vgpr10_vgpr11
	s_branch .LBB377_1365
.LBB377_1361:
	s_mov_b64 s[0:1], -1
                                        ; implicit-def: $vgpr10_vgpr11
.LBB377_1362:
	s_andn2_b64 vcc, exec, s[0:1]
	s_cbranch_vccnz .LBB377_1364
; %bb.1363:
	global_load_dword v10, v[16:17], off
	s_waitcnt vmcnt(0)
	v_ashrrev_i32_e32 v11, 31, v10
.LBB377_1364:
	s_mov_b64 s[0:1], 0
.LBB377_1365:
	s_andn2_b64 vcc, exec, s[0:1]
	s_cbranch_vccnz .LBB377_1367
; %bb.1366:
	global_load_ushort v1, v[16:17], off
	s_waitcnt vmcnt(0)
	v_bfe_i32 v10, v1, 0, 16
	v_ashrrev_i32_e32 v11, 31, v10
.LBB377_1367:
	s_mov_b64 s[0:1], 0
.LBB377_1368:
	s_andn2_b64 vcc, exec, s[0:1]
	s_cbranch_vccnz .LBB377_1374
; %bb.1369:
	s_cmp_gt_i32 s8, 0
	s_cbranch_scc0 .LBB377_1371
; %bb.1370:
	global_load_sbyte v1, v[16:17], off
	s_mov_b64 s[0:1], 0
	s_waitcnt vmcnt(0)
	v_bfe_i32 v10, v1, 0, 16
	v_ashrrev_i32_e32 v11, 31, v10
	s_branch .LBB377_1372
.LBB377_1371:
	s_mov_b64 s[0:1], -1
                                        ; implicit-def: $vgpr10_vgpr11
.LBB377_1372:
	s_andn2_b64 vcc, exec, s[0:1]
	s_cbranch_vccnz .LBB377_1374
; %bb.1373:
	global_load_ubyte v1, v[16:17], off
	s_mov_b32 s0, 0
	s_waitcnt vmcnt(1)
	v_mov_b32_e32 v11, s0
	s_waitcnt vmcnt(0)
	v_and_b32_e32 v10, 0xffff, v1
.LBB377_1374:
.LBB377_1375:
	v_mov_b32_e32 v13, 0
	s_cmp_lt_i32 s14, 11
	v_lshl_add_u64 v[16:17], s[6:7], 0, v[12:13]
	s_cbranch_scc1 .LBB377_1382
; %bb.1376:
	s_and_b32 s15, 0xffff, s14
	s_cmp_gt_i32 s15, 25
	s_mov_b64 s[8:9], 0
	s_cbranch_scc0 .LBB377_1384
; %bb.1377:
	s_cmp_gt_i32 s15, 28
	s_cbranch_scc0 .LBB377_1385
; %bb.1378:
	s_cmp_gt_i32 s15, 43
	;; [unrolled: 3-line block ×3, first 2 shown]
	s_cbranch_scc0 .LBB377_1388
; %bb.1380:
	s_cmp_eq_u32 s15, 46
	s_mov_b64 s[12:13], 0
	s_cbranch_scc0 .LBB377_1389
; %bb.1381:
	global_load_dword v1, v[16:17], off
	s_mov_b32 s0, 0x2f800000
	s_mov_b32 s1, 0xcf800000
	s_mov_b64 s[10:11], -1
	s_waitcnt vmcnt(0)
	v_lshlrev_b32_e32 v1, 16, v1
	v_trunc_f32_e32 v1, v1
	v_mul_f32_e64 v3, |v1|, s0
	v_floor_f32_e32 v3, v3
	v_fma_f32 v5, v3, s1, |v1|
	v_cvt_u32_f32_e32 v5, v5
	v_cvt_u32_f32_e32 v3, v3
	v_ashrrev_i32_e32 v1, 31, v1
	s_mov_b64 s[0:1], 0
	v_xor_b32_e32 v5, v5, v1
	v_xor_b32_e32 v3, v3, v1
	v_sub_co_u32_e32 v12, vcc, v5, v1
	s_nop 1
	v_subb_co_u32_e32 v13, vcc, v3, v1, vcc
	s_branch .LBB377_1390
.LBB377_1382:
	s_mov_b64 s[10:11], 0
                                        ; implicit-def: $vgpr12_vgpr13
	s_cbranch_execnz .LBB377_1452
.LBB377_1383:
	s_andn2_b64 vcc, exec, s[10:11]
	s_cbranch_vccnz .LBB377_2059
	s_branch .LBB377_1500
.LBB377_1384:
	s_mov_b64 s[12:13], -1
	s_mov_b64 s[10:11], 0
	s_mov_b64 s[0:1], 0
                                        ; implicit-def: $vgpr12_vgpr13
	s_branch .LBB377_1417
.LBB377_1385:
	s_mov_b64 s[12:13], -1
	s_mov_b64 s[10:11], 0
	s_mov_b64 s[0:1], 0
                                        ; implicit-def: $vgpr12_vgpr13
	s_branch .LBB377_1400
.LBB377_1386:
	s_mov_b64 s[12:13], -1
	s_mov_b64 s[10:11], 0
	s_mov_b64 s[0:1], 0
                                        ; implicit-def: $vgpr12_vgpr13
	s_branch .LBB377_1395
.LBB377_1387:
	s_trap 2
	s_or_b64 s[2:3], s[2:3], exec
	s_cbranch_execz .LBB377_1326
	s_branch .LBB377_1327
.LBB377_1388:
	s_mov_b64 s[12:13], -1
	s_mov_b64 s[10:11], 0
	s_mov_b64 s[0:1], 0
                                        ; implicit-def: $vgpr12_vgpr13
	s_branch .LBB377_1390
.LBB377_1389:
	s_mov_b64 s[0:1], -1
                                        ; implicit-def: $vgpr12_vgpr13
	s_mov_b64 s[10:11], 0
.LBB377_1390:
	s_and_b64 vcc, exec, s[12:13]
	s_cbranch_vccz .LBB377_1394
; %bb.1391:
	s_cmp_eq_u32 s15, 44
	s_cbranch_scc0 .LBB377_1393
; %bb.1392:
	global_load_ubyte v1, v[16:17], off
	s_mov_b32 s0, 0x2f800000
	s_mov_b32 s1, 0xcf800000
	s_mov_b64 s[10:11], -1
	s_waitcnt vmcnt(0)
	v_lshlrev_b32_e32 v3, 23, v1
	v_trunc_f32_e32 v3, v3
	v_mul_f32_e64 v5, |v3|, s0
	v_floor_f32_e32 v5, v5
	v_fma_f32 v7, v5, s1, |v3|
	v_cvt_u32_f32_e32 v7, v7
	v_cvt_u32_f32_e32 v5, v5
	v_ashrrev_i32_e32 v3, 31, v3
	s_mov_b64 s[0:1], 0
	v_xor_b32_e32 v7, v7, v3
	v_xor_b32_e32 v5, v5, v3
	v_sub_co_u32_e32 v7, vcc, v7, v3
	s_nop 1
	v_subb_co_u32_e32 v3, vcc, v5, v3, vcc
	v_cmp_ne_u32_e32 vcc, 0, v1
	s_nop 1
	v_cndmask_b32_e32 v13, 0, v3, vcc
	v_cndmask_b32_e32 v12, 0, v7, vcc
	s_branch .LBB377_1394
.LBB377_1393:
	s_mov_b64 s[0:1], -1
                                        ; implicit-def: $vgpr12_vgpr13
.LBB377_1394:
	s_mov_b64 s[12:13], 0
.LBB377_1395:
	s_and_b64 vcc, exec, s[12:13]
	s_cbranch_vccz .LBB377_1399
; %bb.1396:
	s_cmp_eq_u32 s15, 29
	s_cbranch_scc0 .LBB377_1398
; %bb.1397:
	global_load_dwordx2 v[12:13], v[16:17], off
	s_mov_b64 s[0:1], 0
	s_mov_b64 s[10:11], -1
	s_branch .LBB377_1399
.LBB377_1398:
	s_mov_b64 s[0:1], -1
                                        ; implicit-def: $vgpr12_vgpr13
.LBB377_1399:
	s_mov_b64 s[12:13], 0
.LBB377_1400:
	s_and_b64 vcc, exec, s[12:13]
	s_cbranch_vccz .LBB377_1416
; %bb.1401:
	s_cmp_lt_i32 s15, 27
	s_cbranch_scc1 .LBB377_1404
; %bb.1402:
	s_cmp_gt_i32 s15, 27
	s_cbranch_scc0 .LBB377_1405
; %bb.1403:
	global_load_dword v12, v[16:17], off
	s_waitcnt vmcnt(1)
	v_mov_b32_e32 v13, 0
	s_mov_b64 s[10:11], 0
	s_branch .LBB377_1406
.LBB377_1404:
	s_mov_b64 s[10:11], -1
                                        ; implicit-def: $vgpr12_vgpr13
	s_branch .LBB377_1409
.LBB377_1405:
	s_mov_b64 s[10:11], -1
                                        ; implicit-def: $vgpr12_vgpr13
.LBB377_1406:
	s_andn2_b64 vcc, exec, s[10:11]
	s_cbranch_vccnz .LBB377_1408
; %bb.1407:
	global_load_ushort v1, v[16:17], off
	s_mov_b32 s10, 0
	s_waitcnt vmcnt(1)
	v_mov_b32_e32 v13, s10
	s_waitcnt vmcnt(0)
	v_and_b32_e32 v12, 0xffff, v1
.LBB377_1408:
	s_mov_b64 s[10:11], 0
.LBB377_1409:
	s_andn2_b64 vcc, exec, s[10:11]
	s_cbranch_vccnz .LBB377_1415
; %bb.1410:
	global_load_ubyte v1, v[16:17], off
	s_movk_i32 s10, 0x7f
	s_mov_b64 s[12:13], 0
	s_waitcnt vmcnt(0)
	v_cmp_lt_i16_e32 vcc, s10, v1
	s_and_saveexec_b64 s[10:11], vcc
	s_xor_b64 s[10:11], exec, s[10:11]
	s_cbranch_execz .LBB377_1427
; %bb.1411:
	s_movk_i32 s12, 0x80
	v_cmp_ne_u16_e32 vcc, s12, v1
	s_and_b64 s[12:13], vcc, exec
	s_andn2_saveexec_b64 s[10:11], s[10:11]
	s_cbranch_execnz .LBB377_1428
.LBB377_1412:
	s_or_b64 exec, exec, s[10:11]
	v_mov_b64_e32 v[12:13], 0
	s_and_saveexec_b64 s[10:11], s[12:13]
	s_cbranch_execz .LBB377_1414
.LBB377_1413:
	v_lshlrev_b32_e32 v3, 24, v1
	v_and_b32_e32 v1, 0xffff, v1
	v_and_b32_e32 v5, 7, v1
	v_ffbh_u32_e32 v12, v5
	v_min_u32_e32 v12, 32, v12
	v_subrev_u32_e32 v13, 28, v12
	v_bfe_u32 v7, v1, 3, 4
	v_lshlrev_b32_e32 v1, v13, v1
	v_sub_u32_e32 v12, 29, v12
	v_and_b32_e32 v1, 7, v1
	v_cmp_eq_u32_e32 vcc, 0, v7
	v_and_b32_e32 v3, 0x80000000, v3
	s_mov_b32 s12, 0x2f800000
	v_cndmask_b32_e32 v7, v7, v12, vcc
	v_cndmask_b32_e32 v1, v5, v1, vcc
	v_mov_b32_e32 v5, 0x3b800000
	v_lshlrev_b32_e32 v1, 20, v1
	v_lshl_add_u32 v5, v7, 23, v5
	v_or3_b32 v1, v3, v5, v1
	v_trunc_f32_e32 v1, v1
	v_mul_f32_e64 v3, |v1|, s12
	v_floor_f32_e32 v3, v3
	s_mov_b32 s12, 0xcf800000
	v_fma_f32 v5, v3, s12, |v1|
	v_cvt_u32_f32_e32 v5, v5
	v_cvt_u32_f32_e32 v3, v3
	v_ashrrev_i32_e32 v1, 31, v1
	v_xor_b32_e32 v5, v5, v1
	v_xor_b32_e32 v3, v3, v1
	v_sub_co_u32_e32 v12, vcc, v5, v1
	s_nop 1
	v_subb_co_u32_e32 v13, vcc, v3, v1, vcc
.LBB377_1414:
	s_or_b64 exec, exec, s[10:11]
.LBB377_1415:
	s_mov_b64 s[10:11], -1
.LBB377_1416:
	s_mov_b64 s[12:13], 0
.LBB377_1417:
	s_and_b64 vcc, exec, s[12:13]
	s_cbranch_vccz .LBB377_1448
; %bb.1418:
	s_cmp_gt_i32 s15, 22
	s_cbranch_scc0 .LBB377_1426
; %bb.1419:
	s_cmp_lt_i32 s15, 24
	s_cbranch_scc1 .LBB377_1429
; %bb.1420:
	s_cmp_gt_i32 s15, 24
	s_cbranch_scc0 .LBB377_1430
; %bb.1421:
	global_load_ubyte v1, v[16:17], off
	s_movk_i32 s8, 0x7f
	s_mov_b64 s[10:11], 0
	s_waitcnt vmcnt(0)
	v_cmp_lt_i16_e32 vcc, s8, v1
	s_and_saveexec_b64 s[8:9], vcc
	s_xor_b64 s[8:9], exec, s[8:9]
	s_cbranch_execz .LBB377_1442
; %bb.1422:
	s_movk_i32 s10, 0x80
	v_cmp_ne_u16_e32 vcc, s10, v1
	s_and_b64 s[10:11], vcc, exec
	s_andn2_saveexec_b64 s[8:9], s[8:9]
	s_cbranch_execnz .LBB377_1443
.LBB377_1423:
	s_or_b64 exec, exec, s[8:9]
	v_mov_b64_e32 v[12:13], 0
	s_and_saveexec_b64 s[8:9], s[10:11]
	s_cbranch_execz .LBB377_1425
.LBB377_1424:
	v_lshlrev_b32_e32 v3, 24, v1
	v_and_b32_e32 v1, 0xffff, v1
	v_and_b32_e32 v5, 3, v1
	v_ffbh_u32_e32 v12, v5
	v_min_u32_e32 v12, 32, v12
	v_subrev_u32_e32 v13, 29, v12
	v_bfe_u32 v7, v1, 2, 5
	v_lshlrev_b32_e32 v1, v13, v1
	v_sub_u32_e32 v12, 30, v12
	v_and_b32_e32 v1, 3, v1
	v_cmp_eq_u32_e32 vcc, 0, v7
	v_and_b32_e32 v3, 0x80000000, v3
	s_mov_b32 s10, 0x2f800000
	v_cndmask_b32_e32 v7, v7, v12, vcc
	v_cndmask_b32_e32 v1, v5, v1, vcc
	v_mov_b32_e32 v5, 0x37800000
	v_lshlrev_b32_e32 v1, 21, v1
	v_lshl_add_u32 v5, v7, 23, v5
	v_or3_b32 v1, v3, v5, v1
	v_trunc_f32_e32 v1, v1
	v_mul_f32_e64 v3, |v1|, s10
	v_floor_f32_e32 v3, v3
	s_mov_b32 s10, 0xcf800000
	v_fma_f32 v5, v3, s10, |v1|
	v_cvt_u32_f32_e32 v5, v5
	v_cvt_u32_f32_e32 v3, v3
	v_ashrrev_i32_e32 v1, 31, v1
	v_xor_b32_e32 v5, v5, v1
	v_xor_b32_e32 v3, v3, v1
	v_sub_co_u32_e32 v12, vcc, v5, v1
	s_nop 1
	v_subb_co_u32_e32 v13, vcc, v3, v1, vcc
.LBB377_1425:
	s_or_b64 exec, exec, s[8:9]
	s_mov_b64 s[8:9], 0
	s_branch .LBB377_1431
.LBB377_1426:
	s_mov_b64 s[8:9], -1
                                        ; implicit-def: $vgpr12_vgpr13
	s_branch .LBB377_1437
.LBB377_1427:
	s_andn2_saveexec_b64 s[10:11], s[10:11]
	s_cbranch_execz .LBB377_1412
.LBB377_1428:
	v_cmp_ne_u16_e32 vcc, 0, v1
	s_andn2_b64 s[12:13], s[12:13], exec
	s_and_b64 s[16:17], vcc, exec
	s_or_b64 s[12:13], s[12:13], s[16:17]
	s_or_b64 exec, exec, s[10:11]
	v_mov_b64_e32 v[12:13], 0
	s_and_saveexec_b64 s[10:11], s[12:13]
	s_cbranch_execnz .LBB377_1413
	s_branch .LBB377_1414
.LBB377_1429:
	s_mov_b64 s[8:9], -1
                                        ; implicit-def: $vgpr12_vgpr13
	s_branch .LBB377_1434
.LBB377_1430:
	s_mov_b64 s[8:9], -1
                                        ; implicit-def: $vgpr12_vgpr13
.LBB377_1431:
	s_and_b64 vcc, exec, s[8:9]
	s_cbranch_vccz .LBB377_1433
; %bb.1432:
	global_load_ubyte v1, v[16:17], off
	s_mov_b32 s8, 0x7f800000
	s_brev_b32 s9, 1
	s_mov_b32 s10, 0x2f800000
	s_mov_b32 s11, 0xcf800000
	s_waitcnt vmcnt(0)
	v_lshlrev_b32_e32 v1, 24, v1
	v_and_b32_e32 v3, 0x7f000000, v1
	v_ffbh_u32_e32 v5, v3
	v_min_u32_e32 v5, 32, v5
	v_sub_u32_e64 v5, v5, 4 clamp
	v_lshlrev_b32_e32 v12, v5, v3
	v_lshlrev_b32_e32 v5, 23, v5
	v_lshrrev_b32_e32 v12, 4, v12
	v_add_u32_e32 v7, 0x1000000, v3
	v_sub_u32_e32 v5, v12, v5
	v_ashrrev_i32_e32 v7, 8, v7
	v_add_u32_e32 v5, 0x3c000000, v5
	v_and_or_b32 v5, v7, s8, v5
	v_cmp_ne_u32_e32 vcc, 0, v3
	s_nop 1
	v_cndmask_b32_e32 v3, 0, v5, vcc
	v_and_or_b32 v1, v1, s9, v3
	v_trunc_f32_e32 v1, v1
	v_mul_f32_e64 v3, |v1|, s10
	v_floor_f32_e32 v3, v3
	v_fma_f32 v5, v3, s11, |v1|
	v_cvt_u32_f32_e32 v5, v5
	v_cvt_u32_f32_e32 v3, v3
	v_ashrrev_i32_e32 v1, 31, v1
	v_xor_b32_e32 v5, v5, v1
	v_xor_b32_e32 v3, v3, v1
	v_sub_co_u32_e32 v12, vcc, v5, v1
	s_nop 1
	v_subb_co_u32_e32 v13, vcc, v3, v1, vcc
.LBB377_1433:
	s_mov_b64 s[8:9], 0
.LBB377_1434:
	s_andn2_b64 vcc, exec, s[8:9]
	s_cbranch_vccnz .LBB377_1436
; %bb.1435:
	global_load_ubyte v1, v[16:17], off
	s_movk_i32 s8, 0x7f00
	s_brev_b32 s9, 16
	s_brev_b32 s10, 1
	s_mov_b32 s11, 0x2f800000
	s_mov_b32 s12, 0xcf800000
	s_waitcnt vmcnt(0)
	v_lshlrev_b16_e32 v3, 8, v1
	v_lshlrev_b32_e32 v1, 25, v1
	v_lshrrev_b32_e32 v5, 4, v1
	v_and_or_b32 v7, v3, s8, 0.5
	v_or_b32_e32 v5, 0x70000000, v5
	v_add_f32_e32 v7, -0.5, v7
	v_mul_f32_e32 v5, 0x7800000, v5
	v_cmp_gt_u32_e32 vcc, s9, v1
	v_bfe_i32 v3, v3, 0, 16
	s_nop 0
	v_cndmask_b32_e32 v1, v5, v7, vcc
	v_and_or_b32 v1, v3, s10, v1
	v_trunc_f32_e32 v1, v1
	v_mul_f32_e64 v3, |v1|, s11
	v_floor_f32_e32 v3, v3
	v_fma_f32 v5, v3, s12, |v1|
	v_cvt_u32_f32_e32 v5, v5
	v_cvt_u32_f32_e32 v3, v3
	v_ashrrev_i32_e32 v1, 31, v1
	v_xor_b32_e32 v5, v5, v1
	v_xor_b32_e32 v3, v3, v1
	v_sub_co_u32_e32 v12, vcc, v5, v1
	s_nop 1
	v_subb_co_u32_e32 v13, vcc, v3, v1, vcc
.LBB377_1436:
	s_mov_b64 s[8:9], 0
	s_mov_b64 s[10:11], -1
.LBB377_1437:
	s_andn2_b64 vcc, exec, s[8:9]
	s_mov_b64 s[8:9], 0
	s_cbranch_vccnz .LBB377_1448
; %bb.1438:
	s_cmp_gt_i32 s15, 14
	s_cbranch_scc0 .LBB377_1441
; %bb.1439:
	s_cmp_eq_u32 s15, 15
	s_cbranch_scc0 .LBB377_1444
; %bb.1440:
	global_load_ushort v1, v[16:17], off
	s_mov_b32 s0, 0x2f800000
	s_mov_b32 s1, 0xcf800000
	s_mov_b64 s[10:11], -1
	s_waitcnt vmcnt(0)
	v_lshlrev_b32_e32 v1, 16, v1
	v_trunc_f32_e32 v1, v1
	v_mul_f32_e64 v3, |v1|, s0
	v_floor_f32_e32 v3, v3
	v_fma_f32 v5, v3, s1, |v1|
	v_cvt_u32_f32_e32 v5, v5
	v_cvt_u32_f32_e32 v3, v3
	v_ashrrev_i32_e32 v1, 31, v1
	s_mov_b64 s[0:1], 0
	v_xor_b32_e32 v5, v5, v1
	v_xor_b32_e32 v3, v3, v1
	v_sub_co_u32_e32 v12, vcc, v5, v1
	s_nop 1
	v_subb_co_u32_e32 v13, vcc, v3, v1, vcc
	s_branch .LBB377_1445
.LBB377_1441:
	s_mov_b64 s[12:13], -1
                                        ; implicit-def: $vgpr12_vgpr13
	s_branch .LBB377_1446
.LBB377_1442:
	s_andn2_saveexec_b64 s[8:9], s[8:9]
	s_cbranch_execz .LBB377_1423
.LBB377_1443:
	v_cmp_ne_u16_e32 vcc, 0, v1
	s_andn2_b64 s[10:11], s[10:11], exec
	s_and_b64 s[12:13], vcc, exec
	s_or_b64 s[10:11], s[10:11], s[12:13]
	s_or_b64 exec, exec, s[8:9]
	v_mov_b64_e32 v[12:13], 0
	s_and_saveexec_b64 s[8:9], s[10:11]
	s_cbranch_execnz .LBB377_1424
	s_branch .LBB377_1425
.LBB377_1444:
	s_mov_b64 s[0:1], -1
                                        ; implicit-def: $vgpr12_vgpr13
.LBB377_1445:
	s_mov_b64 s[12:13], 0
.LBB377_1446:
	s_and_b64 vcc, exec, s[12:13]
	s_cbranch_vccz .LBB377_1448
; %bb.1447:
	s_cmp_lg_u32 s15, 11
	s_mov_b64 s[8:9], -1
	s_cselect_b64 s[0:1], -1, 0
.LBB377_1448:
	s_and_b64 vcc, exec, s[0:1]
	s_cbranch_vccnz .LBB377_1511
; %bb.1449:
	s_andn2_b64 vcc, exec, s[8:9]
	s_cbranch_vccnz .LBB377_1451
.LBB377_1450:
	global_load_ubyte v1, v[16:17], off
	s_mov_b32 s0, 0
	s_waitcnt vmcnt(1)
	v_mov_b32_e32 v13, s0
	s_mov_b64 s[10:11], -1
	s_waitcnt vmcnt(0)
	v_cmp_ne_u16_e32 vcc, 0, v1
	s_nop 1
	v_cndmask_b32_e64 v12, 0, 1, vcc
.LBB377_1451:
	s_branch .LBB377_1383
.LBB377_1452:
	s_and_b32 s8, 0xffff, s14
	s_cmp_lt_i32 s8, 5
	s_cbranch_scc1 .LBB377_1457
; %bb.1453:
	s_cmp_lt_i32 s8, 8
	s_cbranch_scc1 .LBB377_1458
; %bb.1454:
	;; [unrolled: 3-line block ×3, first 2 shown]
	s_cmp_gt_i32 s8, 9
	s_cbranch_scc0 .LBB377_1460
; %bb.1456:
	global_load_dwordx2 v[12:13], v[16:17], off
	s_movk_i32 s0, 0xffe0
	s_waitcnt vmcnt(0)
	v_trunc_f64_e32 v[18:19], v[12:13]
	v_ldexp_f64 v[12:13], v[18:19], s0
	v_floor_f64_e32 v[20:21], v[12:13]
	v_fmac_f64_e32 v[18:19], 0xc1f00000, v[20:21]
	v_cvt_i32_f64_e32 v13, v[20:21]
	v_cvt_u32_f64_e32 v12, v[18:19]
	s_mov_b64 s[0:1], 0
	s_branch .LBB377_1461
.LBB377_1457:
	s_mov_b64 s[0:1], -1
                                        ; implicit-def: $vgpr12_vgpr13
	s_branch .LBB377_1479
.LBB377_1458:
	s_mov_b64 s[0:1], -1
                                        ; implicit-def: $vgpr12_vgpr13
	s_branch .LBB377_1467
.LBB377_1459:
	s_mov_b64 s[0:1], -1
                                        ; implicit-def: $vgpr12_vgpr13
	s_branch .LBB377_1464
.LBB377_1460:
	s_mov_b64 s[0:1], -1
                                        ; implicit-def: $vgpr12_vgpr13
.LBB377_1461:
	s_andn2_b64 vcc, exec, s[0:1]
	s_cbranch_vccnz .LBB377_1463
; %bb.1462:
	global_load_dword v1, v[16:17], off
	s_mov_b32 s0, 0x2f800000
	s_mov_b32 s1, 0xcf800000
	s_waitcnt vmcnt(0)
	v_trunc_f32_e32 v1, v1
	v_mul_f32_e64 v3, |v1|, s0
	v_floor_f32_e32 v3, v3
	v_cvt_u32_f32_e32 v5, v3
	v_fma_f32 v3, v3, s1, |v1|
	v_cvt_u32_f32_e32 v3, v3
	v_ashrrev_i32_e32 v1, 31, v1
	v_xor_b32_e32 v5, v5, v1
	v_xor_b32_e32 v3, v3, v1
	v_sub_co_u32_e32 v12, vcc, v3, v1
	s_nop 1
	v_subb_co_u32_e32 v13, vcc, v5, v1, vcc
.LBB377_1463:
	s_mov_b64 s[0:1], 0
.LBB377_1464:
	s_andn2_b64 vcc, exec, s[0:1]
	s_cbranch_vccnz .LBB377_1466
; %bb.1465:
	global_load_dword v1, v[16:17], off
	s_waitcnt vmcnt(0)
	v_cvt_f32_f16_e32 v1, v1
	v_cvt_i32_f32_e32 v12, v1
	v_ashrrev_i32_e32 v13, 31, v12
.LBB377_1466:
	s_mov_b64 s[0:1], 0
.LBB377_1467:
	s_andn2_b64 vcc, exec, s[0:1]
	s_cbranch_vccnz .LBB377_1478
; %bb.1468:
	s_cmp_lt_i32 s8, 6
	s_cbranch_scc1 .LBB377_1471
; %bb.1469:
	s_cmp_gt_i32 s8, 6
	s_cbranch_scc0 .LBB377_1472
; %bb.1470:
	global_load_dwordx2 v[12:13], v[16:17], off
	s_movk_i32 s0, 0xffe0
	s_waitcnt vmcnt(0)
	v_trunc_f64_e32 v[18:19], v[12:13]
	v_ldexp_f64 v[12:13], v[18:19], s0
	v_floor_f64_e32 v[20:21], v[12:13]
	v_fmac_f64_e32 v[18:19], 0xc1f00000, v[20:21]
	v_cvt_i32_f64_e32 v13, v[20:21]
	v_cvt_u32_f64_e32 v12, v[18:19]
	s_mov_b64 s[0:1], 0
	s_branch .LBB377_1473
.LBB377_1471:
	s_mov_b64 s[0:1], -1
                                        ; implicit-def: $vgpr12_vgpr13
	s_branch .LBB377_1476
.LBB377_1472:
	s_mov_b64 s[0:1], -1
                                        ; implicit-def: $vgpr12_vgpr13
.LBB377_1473:
	s_andn2_b64 vcc, exec, s[0:1]
	s_cbranch_vccnz .LBB377_1475
; %bb.1474:
	global_load_dword v1, v[16:17], off
	s_mov_b32 s0, 0x2f800000
	s_mov_b32 s1, 0xcf800000
	s_waitcnt vmcnt(0)
	v_trunc_f32_e32 v1, v1
	v_mul_f32_e64 v3, |v1|, s0
	v_floor_f32_e32 v3, v3
	v_cvt_u32_f32_e32 v5, v3
	v_fma_f32 v3, v3, s1, |v1|
	v_cvt_u32_f32_e32 v3, v3
	v_ashrrev_i32_e32 v1, 31, v1
	v_xor_b32_e32 v5, v5, v1
	v_xor_b32_e32 v3, v3, v1
	v_sub_co_u32_e32 v12, vcc, v3, v1
	s_nop 1
	v_subb_co_u32_e32 v13, vcc, v5, v1, vcc
.LBB377_1475:
	s_mov_b64 s[0:1], 0
.LBB377_1476:
	s_andn2_b64 vcc, exec, s[0:1]
	s_cbranch_vccnz .LBB377_1478
; %bb.1477:
	global_load_ushort v1, v[16:17], off
	s_waitcnt vmcnt(0)
	v_cvt_f32_f16_e32 v1, v1
	v_cvt_i32_f32_e32 v12, v1
	v_ashrrev_i32_e32 v13, 31, v12
.LBB377_1478:
	s_mov_b64 s[0:1], 0
.LBB377_1479:
	s_andn2_b64 vcc, exec, s[0:1]
	s_cbranch_vccnz .LBB377_1499
; %bb.1480:
	s_cmp_lt_i32 s8, 2
	s_cbranch_scc1 .LBB377_1484
; %bb.1481:
	s_cmp_lt_i32 s8, 3
	s_cbranch_scc1 .LBB377_1485
; %bb.1482:
	s_cmp_gt_i32 s8, 3
	s_cbranch_scc0 .LBB377_1486
; %bb.1483:
	global_load_dwordx2 v[12:13], v[16:17], off
	s_mov_b64 s[0:1], 0
	s_branch .LBB377_1487
.LBB377_1484:
	s_mov_b64 s[0:1], -1
                                        ; implicit-def: $vgpr12_vgpr13
	s_branch .LBB377_1493
.LBB377_1485:
	s_mov_b64 s[0:1], -1
                                        ; implicit-def: $vgpr12_vgpr13
	s_branch .LBB377_1490
.LBB377_1486:
	s_mov_b64 s[0:1], -1
                                        ; implicit-def: $vgpr12_vgpr13
.LBB377_1487:
	s_andn2_b64 vcc, exec, s[0:1]
	s_cbranch_vccnz .LBB377_1489
; %bb.1488:
	global_load_dword v12, v[16:17], off
	s_waitcnt vmcnt(0)
	v_ashrrev_i32_e32 v13, 31, v12
.LBB377_1489:
	s_mov_b64 s[0:1], 0
.LBB377_1490:
	s_andn2_b64 vcc, exec, s[0:1]
	s_cbranch_vccnz .LBB377_1492
; %bb.1491:
	global_load_ushort v1, v[16:17], off
	s_waitcnt vmcnt(0)
	v_bfe_i32 v12, v1, 0, 16
	v_ashrrev_i32_e32 v13, 31, v12
.LBB377_1492:
	s_mov_b64 s[0:1], 0
.LBB377_1493:
	s_andn2_b64 vcc, exec, s[0:1]
	s_cbranch_vccnz .LBB377_1499
; %bb.1494:
	s_cmp_gt_i32 s8, 0
	s_cbranch_scc0 .LBB377_1496
; %bb.1495:
	global_load_sbyte v1, v[16:17], off
	s_mov_b64 s[0:1], 0
	s_waitcnt vmcnt(0)
	v_bfe_i32 v12, v1, 0, 16
	v_ashrrev_i32_e32 v13, 31, v12
	s_branch .LBB377_1497
.LBB377_1496:
	s_mov_b64 s[0:1], -1
                                        ; implicit-def: $vgpr12_vgpr13
.LBB377_1497:
	s_andn2_b64 vcc, exec, s[0:1]
	s_cbranch_vccnz .LBB377_1499
; %bb.1498:
	global_load_ubyte v1, v[16:17], off
	s_mov_b32 s0, 0
	s_waitcnt vmcnt(1)
	v_mov_b32_e32 v13, s0
	s_waitcnt vmcnt(0)
	v_and_b32_e32 v12, 0xffff, v1
.LBB377_1499:
.LBB377_1500:
	v_mov_b32_e32 v15, 0
	s_cmp_lt_i32 s14, 11
	v_lshl_add_u64 v[16:17], s[6:7], 0, v[14:15]
	s_cbranch_scc1 .LBB377_1507
; %bb.1501:
	s_and_b32 s12, 0xffff, s14
	s_cmp_gt_i32 s12, 25
	s_mov_b64 s[6:7], 0
	s_cbranch_scc0 .LBB377_1508
; %bb.1502:
	s_cmp_gt_i32 s12, 28
	s_cbranch_scc0 .LBB377_1509
; %bb.1503:
	s_cmp_gt_i32 s12, 43
	;; [unrolled: 3-line block ×3, first 2 shown]
	s_cbranch_scc0 .LBB377_1512
; %bb.1505:
	s_cmp_eq_u32 s12, 46
	s_mov_b64 s[10:11], 0
	s_cbranch_scc0 .LBB377_1513
; %bb.1506:
	global_load_dword v1, v[16:17], off
	s_mov_b32 s0, 0x2f800000
	s_mov_b32 s1, 0xcf800000
	s_mov_b64 s[8:9], -1
	s_waitcnt vmcnt(0)
	v_lshlrev_b32_e32 v1, 16, v1
	v_trunc_f32_e32 v1, v1
	v_mul_f32_e64 v3, |v1|, s0
	v_floor_f32_e32 v3, v3
	v_fma_f32 v5, v3, s1, |v1|
	v_cvt_u32_f32_e32 v5, v5
	v_cvt_u32_f32_e32 v3, v3
	v_ashrrev_i32_e32 v1, 31, v1
	s_mov_b64 s[0:1], 0
	v_xor_b32_e32 v5, v5, v1
	v_xor_b32_e32 v3, v3, v1
	v_sub_co_u32_e32 v14, vcc, v5, v1
	s_nop 1
	v_subb_co_u32_e32 v15, vcc, v3, v1, vcc
	s_branch .LBB377_1514
.LBB377_1507:
	s_mov_b64 s[0:1], -1
	s_mov_b64 s[8:9], 0
                                        ; implicit-def: $vgpr14_vgpr15
	s_branch .LBB377_1576
.LBB377_1508:
	s_mov_b64 s[10:11], -1
	s_mov_b64 s[8:9], 0
	s_mov_b64 s[0:1], 0
                                        ; implicit-def: $vgpr14_vgpr15
	s_branch .LBB377_1541
.LBB377_1509:
	s_mov_b64 s[10:11], -1
	s_mov_b64 s[8:9], 0
	s_mov_b64 s[0:1], 0
                                        ; implicit-def: $vgpr14_vgpr15
	s_branch .LBB377_1524
.LBB377_1510:
	s_mov_b64 s[10:11], -1
	s_mov_b64 s[8:9], 0
	s_mov_b64 s[0:1], 0
                                        ; implicit-def: $vgpr14_vgpr15
	s_branch .LBB377_1519
.LBB377_1511:
	s_trap 2
	s_or_b64 s[2:3], s[2:3], exec
	s_cbranch_execz .LBB377_1450
	s_branch .LBB377_1451
.LBB377_1512:
	s_mov_b64 s[10:11], -1
	s_mov_b64 s[8:9], 0
	s_mov_b64 s[0:1], 0
                                        ; implicit-def: $vgpr14_vgpr15
	s_branch .LBB377_1514
.LBB377_1513:
	s_mov_b64 s[0:1], -1
                                        ; implicit-def: $vgpr14_vgpr15
	s_mov_b64 s[8:9], 0
.LBB377_1514:
	s_and_b64 vcc, exec, s[10:11]
	s_cbranch_vccz .LBB377_1518
; %bb.1515:
	s_cmp_eq_u32 s12, 44
	s_cbranch_scc0 .LBB377_1517
; %bb.1516:
	global_load_ubyte v1, v[16:17], off
	s_mov_b32 s0, 0x2f800000
	s_mov_b32 s1, 0xcf800000
	s_mov_b64 s[8:9], -1
	s_waitcnt vmcnt(0)
	v_lshlrev_b32_e32 v3, 23, v1
	v_trunc_f32_e32 v3, v3
	v_mul_f32_e64 v5, |v3|, s0
	v_floor_f32_e32 v5, v5
	v_fma_f32 v7, v5, s1, |v3|
	v_cvt_u32_f32_e32 v7, v7
	v_cvt_u32_f32_e32 v5, v5
	v_ashrrev_i32_e32 v3, 31, v3
	s_mov_b64 s[0:1], 0
	v_xor_b32_e32 v7, v7, v3
	v_xor_b32_e32 v5, v5, v3
	v_sub_co_u32_e32 v7, vcc, v7, v3
	s_nop 1
	v_subb_co_u32_e32 v3, vcc, v5, v3, vcc
	v_cmp_ne_u32_e32 vcc, 0, v1
	s_nop 1
	v_cndmask_b32_e32 v15, 0, v3, vcc
	v_cndmask_b32_e32 v14, 0, v7, vcc
	s_branch .LBB377_1518
.LBB377_1517:
	s_mov_b64 s[0:1], -1
                                        ; implicit-def: $vgpr14_vgpr15
.LBB377_1518:
	s_mov_b64 s[10:11], 0
.LBB377_1519:
	s_and_b64 vcc, exec, s[10:11]
	s_cbranch_vccz .LBB377_1523
; %bb.1520:
	s_cmp_eq_u32 s12, 29
	s_cbranch_scc0 .LBB377_1522
; %bb.1521:
	global_load_dwordx2 v[14:15], v[16:17], off
	s_mov_b64 s[0:1], 0
	s_mov_b64 s[8:9], -1
	s_branch .LBB377_1523
.LBB377_1522:
	s_mov_b64 s[0:1], -1
                                        ; implicit-def: $vgpr14_vgpr15
.LBB377_1523:
	s_mov_b64 s[10:11], 0
.LBB377_1524:
	s_and_b64 vcc, exec, s[10:11]
	s_cbranch_vccz .LBB377_1540
; %bb.1525:
	s_cmp_lt_i32 s12, 27
	s_cbranch_scc1 .LBB377_1528
; %bb.1526:
	s_cmp_gt_i32 s12, 27
	s_cbranch_scc0 .LBB377_1529
; %bb.1527:
	global_load_dword v14, v[16:17], off
	s_waitcnt vmcnt(1)
	v_mov_b32_e32 v15, 0
	s_mov_b64 s[8:9], 0
	s_branch .LBB377_1530
.LBB377_1528:
	s_mov_b64 s[8:9], -1
                                        ; implicit-def: $vgpr14_vgpr15
	s_branch .LBB377_1533
.LBB377_1529:
	s_mov_b64 s[8:9], -1
                                        ; implicit-def: $vgpr14_vgpr15
.LBB377_1530:
	s_andn2_b64 vcc, exec, s[8:9]
	s_cbranch_vccnz .LBB377_1532
; %bb.1531:
	global_load_ushort v1, v[16:17], off
	s_mov_b32 s8, 0
	s_waitcnt vmcnt(1)
	v_mov_b32_e32 v15, s8
	s_waitcnt vmcnt(0)
	v_and_b32_e32 v14, 0xffff, v1
.LBB377_1532:
	s_mov_b64 s[8:9], 0
.LBB377_1533:
	s_andn2_b64 vcc, exec, s[8:9]
	s_cbranch_vccnz .LBB377_1539
; %bb.1534:
	global_load_ubyte v1, v[16:17], off
	s_movk_i32 s8, 0x7f
	s_mov_b64 s[10:11], 0
	s_waitcnt vmcnt(0)
	v_cmp_lt_i16_e32 vcc, s8, v1
	s_and_saveexec_b64 s[8:9], vcc
	s_xor_b64 s[8:9], exec, s[8:9]
	s_cbranch_execz .LBB377_1551
; %bb.1535:
	s_movk_i32 s10, 0x80
	v_cmp_ne_u16_e32 vcc, s10, v1
	s_and_b64 s[10:11], vcc, exec
	s_andn2_saveexec_b64 s[8:9], s[8:9]
	s_cbranch_execnz .LBB377_1552
.LBB377_1536:
	s_or_b64 exec, exec, s[8:9]
	v_mov_b64_e32 v[14:15], 0
	s_and_saveexec_b64 s[8:9], s[10:11]
	s_cbranch_execz .LBB377_1538
.LBB377_1537:
	v_lshlrev_b32_e32 v3, 24, v1
	v_and_b32_e32 v1, 0xffff, v1
	v_and_b32_e32 v5, 7, v1
	v_ffbh_u32_e32 v14, v5
	v_min_u32_e32 v14, 32, v14
	v_subrev_u32_e32 v15, 28, v14
	v_bfe_u32 v7, v1, 3, 4
	v_lshlrev_b32_e32 v1, v15, v1
	v_sub_u32_e32 v14, 29, v14
	v_and_b32_e32 v1, 7, v1
	v_cmp_eq_u32_e32 vcc, 0, v7
	v_and_b32_e32 v3, 0x80000000, v3
	s_mov_b32 s10, 0x2f800000
	v_cndmask_b32_e32 v7, v7, v14, vcc
	v_cndmask_b32_e32 v1, v5, v1, vcc
	v_mov_b32_e32 v5, 0x3b800000
	v_lshlrev_b32_e32 v1, 20, v1
	v_lshl_add_u32 v5, v7, 23, v5
	v_or3_b32 v1, v3, v5, v1
	v_trunc_f32_e32 v1, v1
	v_mul_f32_e64 v3, |v1|, s10
	v_floor_f32_e32 v3, v3
	s_mov_b32 s10, 0xcf800000
	v_fma_f32 v5, v3, s10, |v1|
	v_cvt_u32_f32_e32 v5, v5
	v_cvt_u32_f32_e32 v3, v3
	v_ashrrev_i32_e32 v1, 31, v1
	v_xor_b32_e32 v5, v5, v1
	v_xor_b32_e32 v3, v3, v1
	v_sub_co_u32_e32 v14, vcc, v5, v1
	s_nop 1
	v_subb_co_u32_e32 v15, vcc, v3, v1, vcc
.LBB377_1538:
	s_or_b64 exec, exec, s[8:9]
.LBB377_1539:
	s_mov_b64 s[8:9], -1
.LBB377_1540:
	s_mov_b64 s[10:11], 0
.LBB377_1541:
	s_and_b64 vcc, exec, s[10:11]
	s_cbranch_vccz .LBB377_1572
; %bb.1542:
	s_cmp_gt_i32 s12, 22
	s_cbranch_scc0 .LBB377_1550
; %bb.1543:
	s_cmp_lt_i32 s12, 24
	s_cbranch_scc1 .LBB377_1553
; %bb.1544:
	s_cmp_gt_i32 s12, 24
	s_cbranch_scc0 .LBB377_1554
; %bb.1545:
	global_load_ubyte v1, v[16:17], off
	s_movk_i32 s6, 0x7f
	s_mov_b64 s[8:9], 0
	s_waitcnt vmcnt(0)
	v_cmp_lt_i16_e32 vcc, s6, v1
	s_and_saveexec_b64 s[6:7], vcc
	s_xor_b64 s[6:7], exec, s[6:7]
	s_cbranch_execz .LBB377_1566
; %bb.1546:
	s_movk_i32 s8, 0x80
	v_cmp_ne_u16_e32 vcc, s8, v1
	s_and_b64 s[8:9], vcc, exec
	s_andn2_saveexec_b64 s[6:7], s[6:7]
	s_cbranch_execnz .LBB377_1567
.LBB377_1547:
	s_or_b64 exec, exec, s[6:7]
	v_mov_b64_e32 v[14:15], 0
	s_and_saveexec_b64 s[6:7], s[8:9]
	s_cbranch_execz .LBB377_1549
.LBB377_1548:
	v_lshlrev_b32_e32 v3, 24, v1
	v_and_b32_e32 v1, 0xffff, v1
	v_and_b32_e32 v5, 3, v1
	v_ffbh_u32_e32 v14, v5
	v_min_u32_e32 v14, 32, v14
	v_subrev_u32_e32 v15, 29, v14
	v_bfe_u32 v7, v1, 2, 5
	v_lshlrev_b32_e32 v1, v15, v1
	v_sub_u32_e32 v14, 30, v14
	v_and_b32_e32 v1, 3, v1
	v_cmp_eq_u32_e32 vcc, 0, v7
	v_and_b32_e32 v3, 0x80000000, v3
	s_mov_b32 s8, 0x2f800000
	v_cndmask_b32_e32 v7, v7, v14, vcc
	v_cndmask_b32_e32 v1, v5, v1, vcc
	v_mov_b32_e32 v5, 0x37800000
	v_lshlrev_b32_e32 v1, 21, v1
	v_lshl_add_u32 v5, v7, 23, v5
	v_or3_b32 v1, v3, v5, v1
	v_trunc_f32_e32 v1, v1
	v_mul_f32_e64 v3, |v1|, s8
	v_floor_f32_e32 v3, v3
	s_mov_b32 s8, 0xcf800000
	v_fma_f32 v5, v3, s8, |v1|
	v_cvt_u32_f32_e32 v5, v5
	v_cvt_u32_f32_e32 v3, v3
	v_ashrrev_i32_e32 v1, 31, v1
	v_xor_b32_e32 v5, v5, v1
	v_xor_b32_e32 v3, v3, v1
	v_sub_co_u32_e32 v14, vcc, v5, v1
	s_nop 1
	v_subb_co_u32_e32 v15, vcc, v3, v1, vcc
.LBB377_1549:
	s_or_b64 exec, exec, s[6:7]
	s_mov_b64 s[6:7], 0
	s_branch .LBB377_1555
.LBB377_1550:
	s_mov_b64 s[6:7], -1
                                        ; implicit-def: $vgpr14_vgpr15
	s_branch .LBB377_1561
.LBB377_1551:
	s_andn2_saveexec_b64 s[8:9], s[8:9]
	s_cbranch_execz .LBB377_1536
.LBB377_1552:
	v_cmp_ne_u16_e32 vcc, 0, v1
	s_andn2_b64 s[10:11], s[10:11], exec
	s_and_b64 s[16:17], vcc, exec
	s_or_b64 s[10:11], s[10:11], s[16:17]
	s_or_b64 exec, exec, s[8:9]
	v_mov_b64_e32 v[14:15], 0
	s_and_saveexec_b64 s[8:9], s[10:11]
	s_cbranch_execnz .LBB377_1537
	s_branch .LBB377_1538
.LBB377_1553:
	s_mov_b64 s[6:7], -1
                                        ; implicit-def: $vgpr14_vgpr15
	s_branch .LBB377_1558
.LBB377_1554:
	s_mov_b64 s[6:7], -1
                                        ; implicit-def: $vgpr14_vgpr15
.LBB377_1555:
	s_and_b64 vcc, exec, s[6:7]
	s_cbranch_vccz .LBB377_1557
; %bb.1556:
	global_load_ubyte v1, v[16:17], off
	s_mov_b32 s6, 0x7f800000
	s_brev_b32 s7, 1
	s_mov_b32 s8, 0x2f800000
	s_mov_b32 s9, 0xcf800000
	s_waitcnt vmcnt(0)
	v_lshlrev_b32_e32 v1, 24, v1
	v_and_b32_e32 v3, 0x7f000000, v1
	v_ffbh_u32_e32 v5, v3
	v_min_u32_e32 v5, 32, v5
	v_sub_u32_e64 v5, v5, 4 clamp
	v_lshlrev_b32_e32 v14, v5, v3
	v_lshlrev_b32_e32 v5, 23, v5
	v_lshrrev_b32_e32 v14, 4, v14
	v_add_u32_e32 v7, 0x1000000, v3
	v_sub_u32_e32 v5, v14, v5
	v_ashrrev_i32_e32 v7, 8, v7
	v_add_u32_e32 v5, 0x3c000000, v5
	v_and_or_b32 v5, v7, s6, v5
	v_cmp_ne_u32_e32 vcc, 0, v3
	s_nop 1
	v_cndmask_b32_e32 v3, 0, v5, vcc
	v_and_or_b32 v1, v1, s7, v3
	v_trunc_f32_e32 v1, v1
	v_mul_f32_e64 v3, |v1|, s8
	v_floor_f32_e32 v3, v3
	v_fma_f32 v5, v3, s9, |v1|
	v_cvt_u32_f32_e32 v5, v5
	v_cvt_u32_f32_e32 v3, v3
	v_ashrrev_i32_e32 v1, 31, v1
	v_xor_b32_e32 v5, v5, v1
	v_xor_b32_e32 v3, v3, v1
	v_sub_co_u32_e32 v14, vcc, v5, v1
	s_nop 1
	v_subb_co_u32_e32 v15, vcc, v3, v1, vcc
.LBB377_1557:
	s_mov_b64 s[6:7], 0
.LBB377_1558:
	s_andn2_b64 vcc, exec, s[6:7]
	s_cbranch_vccnz .LBB377_1560
; %bb.1559:
	global_load_ubyte v1, v[16:17], off
	s_movk_i32 s6, 0x7f00
	s_brev_b32 s7, 16
	s_brev_b32 s8, 1
	s_mov_b32 s9, 0x2f800000
	s_mov_b32 s10, 0xcf800000
	s_waitcnt vmcnt(0)
	v_lshlrev_b16_e32 v3, 8, v1
	v_lshlrev_b32_e32 v1, 25, v1
	v_lshrrev_b32_e32 v5, 4, v1
	v_and_or_b32 v7, v3, s6, 0.5
	v_or_b32_e32 v5, 0x70000000, v5
	v_add_f32_e32 v7, -0.5, v7
	v_mul_f32_e32 v5, 0x7800000, v5
	v_cmp_gt_u32_e32 vcc, s7, v1
	v_bfe_i32 v3, v3, 0, 16
	s_nop 0
	v_cndmask_b32_e32 v1, v5, v7, vcc
	v_and_or_b32 v1, v3, s8, v1
	v_trunc_f32_e32 v1, v1
	v_mul_f32_e64 v3, |v1|, s9
	v_floor_f32_e32 v3, v3
	v_fma_f32 v5, v3, s10, |v1|
	v_cvt_u32_f32_e32 v5, v5
	v_cvt_u32_f32_e32 v3, v3
	v_ashrrev_i32_e32 v1, 31, v1
	v_xor_b32_e32 v5, v5, v1
	v_xor_b32_e32 v3, v3, v1
	v_sub_co_u32_e32 v14, vcc, v5, v1
	s_nop 1
	v_subb_co_u32_e32 v15, vcc, v3, v1, vcc
.LBB377_1560:
	s_mov_b64 s[6:7], 0
	s_mov_b64 s[8:9], -1
.LBB377_1561:
	s_andn2_b64 vcc, exec, s[6:7]
	s_mov_b64 s[6:7], 0
	s_cbranch_vccnz .LBB377_1572
; %bb.1562:
	s_cmp_gt_i32 s12, 14
	s_cbranch_scc0 .LBB377_1565
; %bb.1563:
	s_cmp_eq_u32 s12, 15
	s_cbranch_scc0 .LBB377_1568
; %bb.1564:
	global_load_ushort v1, v[16:17], off
	s_mov_b32 s0, 0x2f800000
	s_mov_b32 s1, 0xcf800000
	s_mov_b64 s[8:9], -1
	s_waitcnt vmcnt(0)
	v_lshlrev_b32_e32 v1, 16, v1
	v_trunc_f32_e32 v1, v1
	v_mul_f32_e64 v3, |v1|, s0
	v_floor_f32_e32 v3, v3
	v_fma_f32 v5, v3, s1, |v1|
	v_cvt_u32_f32_e32 v5, v5
	v_cvt_u32_f32_e32 v3, v3
	v_ashrrev_i32_e32 v1, 31, v1
	s_mov_b64 s[0:1], 0
	v_xor_b32_e32 v5, v5, v1
	v_xor_b32_e32 v3, v3, v1
	v_sub_co_u32_e32 v14, vcc, v5, v1
	s_nop 1
	v_subb_co_u32_e32 v15, vcc, v3, v1, vcc
	s_branch .LBB377_1569
.LBB377_1565:
	s_mov_b64 s[10:11], -1
                                        ; implicit-def: $vgpr14_vgpr15
	s_branch .LBB377_1570
.LBB377_1566:
	s_andn2_saveexec_b64 s[6:7], s[6:7]
	s_cbranch_execz .LBB377_1547
.LBB377_1567:
	v_cmp_ne_u16_e32 vcc, 0, v1
	s_andn2_b64 s[8:9], s[8:9], exec
	s_and_b64 s[10:11], vcc, exec
	s_or_b64 s[8:9], s[8:9], s[10:11]
	s_or_b64 exec, exec, s[6:7]
	v_mov_b64_e32 v[14:15], 0
	s_and_saveexec_b64 s[6:7], s[8:9]
	s_cbranch_execnz .LBB377_1548
	s_branch .LBB377_1549
.LBB377_1568:
	s_mov_b64 s[0:1], -1
                                        ; implicit-def: $vgpr14_vgpr15
.LBB377_1569:
	s_mov_b64 s[10:11], 0
.LBB377_1570:
	s_and_b64 vcc, exec, s[10:11]
	s_cbranch_vccz .LBB377_1572
; %bb.1571:
	s_cmp_lg_u32 s12, 11
	s_mov_b64 s[6:7], -1
	s_cselect_b64 s[0:1], -1, 0
.LBB377_1572:
	s_and_b64 vcc, exec, s[0:1]
	s_cbranch_vccnz .LBB377_2105
; %bb.1573:
	s_andn2_b64 vcc, exec, s[6:7]
	s_cbranch_vccnz .LBB377_1575
.LBB377_1574:
	global_load_ubyte v1, v[16:17], off
	s_mov_b32 s0, 0
	s_waitcnt vmcnt(1)
	v_mov_b32_e32 v15, s0
	s_mov_b64 s[8:9], -1
	s_waitcnt vmcnt(0)
	v_cmp_ne_u16_e32 vcc, 0, v1
	s_nop 1
	v_cndmask_b32_e64 v14, 0, 1, vcc
.LBB377_1575:
	s_mov_b64 s[0:1], 0
.LBB377_1576:
	s_and_b64 vcc, exec, s[0:1]
	s_cbranch_vccz .LBB377_1625
; %bb.1577:
	s_and_b32 s6, 0xffff, s14
	s_cmp_lt_i32 s6, 5
	s_cbranch_scc1 .LBB377_1582
; %bb.1578:
	s_cmp_lt_i32 s6, 8
	s_cbranch_scc1 .LBB377_1583
; %bb.1579:
	;; [unrolled: 3-line block ×3, first 2 shown]
	s_cmp_gt_i32 s6, 9
	s_cbranch_scc0 .LBB377_1585
; %bb.1581:
	global_load_dwordx2 v[14:15], v[16:17], off
	s_movk_i32 s0, 0xffe0
	s_waitcnt vmcnt(0)
	v_trunc_f64_e32 v[18:19], v[14:15]
	v_ldexp_f64 v[14:15], v[18:19], s0
	v_floor_f64_e32 v[20:21], v[14:15]
	v_fmac_f64_e32 v[18:19], 0xc1f00000, v[20:21]
	v_cvt_i32_f64_e32 v15, v[20:21]
	v_cvt_u32_f64_e32 v14, v[18:19]
	s_mov_b64 s[0:1], 0
	s_branch .LBB377_1586
.LBB377_1582:
	s_mov_b64 s[0:1], -1
                                        ; implicit-def: $vgpr14_vgpr15
	s_branch .LBB377_1604
.LBB377_1583:
	s_mov_b64 s[0:1], -1
                                        ; implicit-def: $vgpr14_vgpr15
	s_branch .LBB377_1592
.LBB377_1584:
	s_mov_b64 s[0:1], -1
                                        ; implicit-def: $vgpr14_vgpr15
	s_branch .LBB377_1589
.LBB377_1585:
	s_mov_b64 s[0:1], -1
                                        ; implicit-def: $vgpr14_vgpr15
.LBB377_1586:
	s_andn2_b64 vcc, exec, s[0:1]
	s_cbranch_vccnz .LBB377_1588
; %bb.1587:
	global_load_dword v1, v[16:17], off
	s_mov_b32 s0, 0x2f800000
	s_mov_b32 s1, 0xcf800000
	s_waitcnt vmcnt(0)
	v_trunc_f32_e32 v1, v1
	v_mul_f32_e64 v3, |v1|, s0
	v_floor_f32_e32 v3, v3
	v_cvt_u32_f32_e32 v5, v3
	v_fma_f32 v3, v3, s1, |v1|
	v_cvt_u32_f32_e32 v3, v3
	v_ashrrev_i32_e32 v1, 31, v1
	v_xor_b32_e32 v5, v5, v1
	v_xor_b32_e32 v3, v3, v1
	v_sub_co_u32_e32 v14, vcc, v3, v1
	s_nop 1
	v_subb_co_u32_e32 v15, vcc, v5, v1, vcc
.LBB377_1588:
	s_mov_b64 s[0:1], 0
.LBB377_1589:
	s_andn2_b64 vcc, exec, s[0:1]
	s_cbranch_vccnz .LBB377_1591
; %bb.1590:
	global_load_dword v1, v[16:17], off
	s_waitcnt vmcnt(0)
	v_cvt_f32_f16_e32 v1, v1
	v_cvt_i32_f32_e32 v14, v1
	v_ashrrev_i32_e32 v15, 31, v14
.LBB377_1591:
	s_mov_b64 s[0:1], 0
.LBB377_1592:
	s_andn2_b64 vcc, exec, s[0:1]
	s_cbranch_vccnz .LBB377_1603
; %bb.1593:
	s_cmp_lt_i32 s6, 6
	s_cbranch_scc1 .LBB377_1596
; %bb.1594:
	s_cmp_gt_i32 s6, 6
	s_cbranch_scc0 .LBB377_1597
; %bb.1595:
	global_load_dwordx2 v[14:15], v[16:17], off
	s_movk_i32 s0, 0xffe0
	s_waitcnt vmcnt(0)
	v_trunc_f64_e32 v[18:19], v[14:15]
	v_ldexp_f64 v[14:15], v[18:19], s0
	v_floor_f64_e32 v[20:21], v[14:15]
	v_fmac_f64_e32 v[18:19], 0xc1f00000, v[20:21]
	v_cvt_i32_f64_e32 v15, v[20:21]
	v_cvt_u32_f64_e32 v14, v[18:19]
	s_mov_b64 s[0:1], 0
	s_branch .LBB377_1598
.LBB377_1596:
	s_mov_b64 s[0:1], -1
                                        ; implicit-def: $vgpr14_vgpr15
	s_branch .LBB377_1601
.LBB377_1597:
	s_mov_b64 s[0:1], -1
                                        ; implicit-def: $vgpr14_vgpr15
.LBB377_1598:
	s_andn2_b64 vcc, exec, s[0:1]
	s_cbranch_vccnz .LBB377_1600
; %bb.1599:
	global_load_dword v1, v[16:17], off
	s_mov_b32 s0, 0x2f800000
	s_mov_b32 s1, 0xcf800000
	s_waitcnt vmcnt(0)
	v_trunc_f32_e32 v1, v1
	v_mul_f32_e64 v3, |v1|, s0
	v_floor_f32_e32 v3, v3
	v_cvt_u32_f32_e32 v5, v3
	v_fma_f32 v3, v3, s1, |v1|
	v_cvt_u32_f32_e32 v3, v3
	v_ashrrev_i32_e32 v1, 31, v1
	v_xor_b32_e32 v5, v5, v1
	v_xor_b32_e32 v3, v3, v1
	v_sub_co_u32_e32 v14, vcc, v3, v1
	s_nop 1
	v_subb_co_u32_e32 v15, vcc, v5, v1, vcc
.LBB377_1600:
	s_mov_b64 s[0:1], 0
.LBB377_1601:
	s_andn2_b64 vcc, exec, s[0:1]
	s_cbranch_vccnz .LBB377_1603
; %bb.1602:
	global_load_ushort v1, v[16:17], off
	s_waitcnt vmcnt(0)
	v_cvt_f32_f16_e32 v1, v1
	v_cvt_i32_f32_e32 v14, v1
	v_ashrrev_i32_e32 v15, 31, v14
.LBB377_1603:
	s_mov_b64 s[0:1], 0
.LBB377_1604:
	s_andn2_b64 vcc, exec, s[0:1]
	s_cbranch_vccnz .LBB377_1624
; %bb.1605:
	s_cmp_lt_i32 s6, 2
	s_cbranch_scc1 .LBB377_1609
; %bb.1606:
	s_cmp_lt_i32 s6, 3
	s_cbranch_scc1 .LBB377_1610
; %bb.1607:
	s_cmp_gt_i32 s6, 3
	s_cbranch_scc0 .LBB377_1611
; %bb.1608:
	global_load_dwordx2 v[14:15], v[16:17], off
	s_mov_b64 s[0:1], 0
	s_branch .LBB377_1612
.LBB377_1609:
	s_mov_b64 s[0:1], -1
                                        ; implicit-def: $vgpr14_vgpr15
	s_branch .LBB377_1618
.LBB377_1610:
	s_mov_b64 s[0:1], -1
                                        ; implicit-def: $vgpr14_vgpr15
	s_branch .LBB377_1615
.LBB377_1611:
	s_mov_b64 s[0:1], -1
                                        ; implicit-def: $vgpr14_vgpr15
.LBB377_1612:
	s_andn2_b64 vcc, exec, s[0:1]
	s_cbranch_vccnz .LBB377_1614
; %bb.1613:
	global_load_dword v14, v[16:17], off
	s_waitcnt vmcnt(0)
	v_ashrrev_i32_e32 v15, 31, v14
.LBB377_1614:
	s_mov_b64 s[0:1], 0
.LBB377_1615:
	s_andn2_b64 vcc, exec, s[0:1]
	s_cbranch_vccnz .LBB377_1617
; %bb.1616:
	global_load_ushort v1, v[16:17], off
	s_waitcnt vmcnt(0)
	v_bfe_i32 v14, v1, 0, 16
	v_ashrrev_i32_e32 v15, 31, v14
.LBB377_1617:
	s_mov_b64 s[0:1], 0
.LBB377_1618:
	s_andn2_b64 vcc, exec, s[0:1]
	s_cbranch_vccnz .LBB377_1624
; %bb.1619:
	s_cmp_gt_i32 s6, 0
	s_cbranch_scc0 .LBB377_1621
; %bb.1620:
	global_load_sbyte v1, v[16:17], off
	s_mov_b64 s[0:1], 0
	s_waitcnt vmcnt(0)
	v_bfe_i32 v14, v1, 0, 16
	v_ashrrev_i32_e32 v15, 31, v14
	s_branch .LBB377_1622
.LBB377_1621:
	s_mov_b64 s[0:1], -1
                                        ; implicit-def: $vgpr14_vgpr15
.LBB377_1622:
	s_andn2_b64 vcc, exec, s[0:1]
	s_cbranch_vccnz .LBB377_1624
; %bb.1623:
	global_load_ubyte v1, v[16:17], off
	s_mov_b32 s0, 0
	s_waitcnt vmcnt(1)
	v_mov_b32_e32 v15, s0
	s_waitcnt vmcnt(0)
	v_and_b32_e32 v14, 0xffff, v1
.LBB377_1624:
	s_mov_b64 s[8:9], -1
.LBB377_1625:
	s_andn2_b64 vcc, exec, s[8:9]
	s_cbranch_vccnz .LBB377_2059
; %bb.1626:
	s_load_dword s0, s[34:35], 0x160
	s_load_dwordx2 s[6:7], s[34:35], 0x158
	s_waitcnt vmcnt(0)
	v_mov_b32_e32 v7, 0
	v_lshl_add_u64 v[6:7], s[4:5], 0, v[6:7]
	s_waitcnt lgkmcnt(0)
	s_and_b32 s16, s0, 0xff
	v_mov_b32_e32 v1, s7
	v_mov_b32_e32 v3, s6
	v_cmp_lt_i64_e32 vcc, s[6:7], v[8:9]
	s_cmp_lt_i32 s16, 11
	s_nop 0
	v_cndmask_b32_e32 v9, v1, v9, vcc
	v_cndmask_b32_e32 v8, v3, v8, vcc
	s_cbranch_scc1 .LBB377_1704
; %bb.1627:
	s_and_b32 s17, 0xffff, s16
	s_mov_b64 s[12:13], -1
	s_mov_b64 s[8:9], 0
	s_cmp_gt_i32 s17, 25
	s_mov_b64 s[10:11], 0
	s_mov_b64 s[0:1], 0
	s_cbranch_scc0 .LBB377_1660
; %bb.1628:
	s_cmp_gt_i32 s17, 28
	s_cbranch_scc0 .LBB377_1643
; %bb.1629:
	s_cmp_gt_i32 s17, 43
	;; [unrolled: 3-line block ×3, first 2 shown]
	s_cbranch_scc0 .LBB377_1633
; %bb.1631:
	s_mov_b64 s[0:1], -1
	s_mov_b64 s[12:13], 0
	s_cmp_eq_u32 s17, 46
	s_cbranch_scc0 .LBB377_1633
; %bb.1632:
	v_xor_b32_e32 v3, v8, v9
	v_ffbh_i32_e32 v1, v9
	v_ashrrev_i32_e32 v3, 31, v3
	v_add_u32_e32 v1, -1, v1
	v_add_u32_e32 v3, 32, v3
	v_min_u32_e32 v1, v1, v3
	v_lshlrev_b64 v[16:17], v1, v[8:9]
	v_min_u32_e32 v3, 1, v16
	v_or_b32_e32 v3, v17, v3
	v_cvt_f32_i32_e32 v3, v3
	v_sub_u32_e32 v1, 32, v1
	s_movk_i32 s0, 0x7fff
	s_mov_b64 s[10:11], -1
	v_ldexp_f32 v1, v3, v1
	v_bfe_u32 v3, v1, 16, 1
	v_add3_u32 v1, v1, v3, s0
	v_lshrrev_b32_e32 v1, 16, v1
	global_store_dword v[6:7], v1, off
	s_mov_b64 s[0:1], 0
.LBB377_1633:
	s_and_b64 vcc, exec, s[12:13]
	s_cbranch_vccz .LBB377_1638
; %bb.1634:
	s_cmp_eq_u32 s17, 44
	s_mov_b64 s[0:1], -1
	s_cbranch_scc0 .LBB377_1638
; %bb.1635:
	v_xor_b32_e32 v3, v8, v9
	v_ffbh_i32_e32 v1, v9
	v_ashrrev_i32_e32 v3, 31, v3
	v_add_u32_e32 v1, -1, v1
	v_add_u32_e32 v3, 32, v3
	v_min_u32_e32 v1, v1, v3
	v_lshlrev_b64 v[16:17], v1, v[8:9]
	v_min_u32_e32 v3, 1, v16
	v_or_b32_e32 v3, v17, v3
	v_cvt_f32_i32_e32 v3, v3
	v_sub_u32_e32 v1, 32, v1
	s_movk_i32 s0, 0xff
	v_mov_b32_e32 v5, 0xff
	v_ldexp_f32 v1, v3, v1
	v_bfe_u32 v3, v1, 23, 8
	v_cmp_ne_u32_e32 vcc, s0, v3
	s_and_saveexec_b64 s[10:11], vcc
; %bb.1636:
	s_mov_b32 s0, 0x3fffff
	v_lshrrev_b32_e32 v5, 23, v1
	v_and_b32_e32 v16, 0x400000, v1
	v_and_or_b32 v1, v1, s0, v3
	v_cmp_ne_u32_e32 vcc, 0, v16
	v_cmp_ne_u32_e64 s[0:1], 0, v1
	s_and_b64 s[0:1], vcc, s[0:1]
	s_nop 0
	v_cndmask_b32_e64 v1, 0, 1, s[0:1]
	v_add_u32_e32 v5, v5, v1
; %bb.1637:
	s_or_b64 exec, exec, s[10:11]
	s_mov_b64 s[0:1], 0
	s_mov_b64 s[10:11], -1
	global_store_byte v[6:7], v5, off
.LBB377_1638:
	s_mov_b64 s[12:13], 0
.LBB377_1639:
	s_and_b64 vcc, exec, s[12:13]
	s_cbranch_vccz .LBB377_1642
; %bb.1640:
	s_cmp_eq_u32 s17, 29
	s_mov_b64 s[0:1], -1
	s_cbranch_scc0 .LBB377_1642
; %bb.1641:
	global_store_dwordx2 v[6:7], v[8:9], off
	s_mov_b64 s[0:1], 0
	s_mov_b64 s[10:11], -1
.LBB377_1642:
	s_mov_b64 s[12:13], 0
.LBB377_1643:
	s_and_b64 vcc, exec, s[12:13]
	s_cbranch_vccz .LBB377_1659
; %bb.1644:
	s_cmp_lt_i32 s17, 27
	s_mov_b64 s[10:11], -1
	s_cbranch_scc1 .LBB377_1650
; %bb.1645:
	s_cmp_gt_i32 s17, 27
	s_cbranch_scc0 .LBB377_1647
; %bb.1646:
	s_mov_b64 s[10:11], 0
	global_store_dword v[6:7], v8, off
.LBB377_1647:
	s_andn2_b64 vcc, exec, s[10:11]
	s_cbranch_vccnz .LBB377_1649
; %bb.1648:
	global_store_short v[6:7], v8, off
.LBB377_1649:
	s_mov_b64 s[10:11], 0
.LBB377_1650:
	s_andn2_b64 vcc, exec, s[10:11]
	s_cbranch_vccnz .LBB377_1658
; %bb.1651:
	v_xor_b32_e32 v3, v8, v9
	v_ffbh_i32_e32 v1, v9
	v_ashrrev_i32_e32 v3, 31, v3
	v_add_u32_e32 v1, -1, v1
	v_add_u32_e32 v3, 32, v3
	v_min_u32_e32 v1, v1, v3
	v_lshlrev_b64 v[16:17], v1, v[8:9]
	v_min_u32_e32 v3, 1, v16
	v_or_b32_e32 v3, v17, v3
	v_cvt_f32_i32_e32 v3, v3
	v_sub_u32_e32 v1, 32, v1
	s_mov_b32 s10, 0x43800000
	v_mov_b32_e32 v5, 0x80
	v_ldexp_f32 v1, v3, v1
	v_and_b32_e32 v3, 0x7fffffff, v1
	v_cmp_gt_u32_e32 vcc, s10, v3
	s_and_saveexec_b64 s[10:11], vcc
	s_cbranch_execz .LBB377_1657
; %bb.1652:
	s_mov_b32 s12, 0x3bffffff
	v_cmp_lt_u32_e32 vcc, s12, v3
	s_mov_b64 s[12:13], 0
                                        ; implicit-def: $vgpr3
	s_and_saveexec_b64 s[14:15], vcc
	s_xor_b64 s[14:15], exec, s[14:15]
	s_cbranch_execz .LBB377_2106
; %bb.1653:
	v_bfe_u32 v3, v1, 20, 1
	s_mov_b32 s18, 0x487ffff
	v_add3_u32 v3, v1, v3, s18
	s_mov_b64 s[12:13], exec
	v_lshrrev_b32_e32 v3, 20, v3
	s_andn2_saveexec_b64 s[14:15], s[14:15]
	s_cbranch_execnz .LBB377_2107
.LBB377_1654:
	s_or_b64 exec, exec, s[14:15]
	v_mov_b32_e32 v5, 0
	s_and_saveexec_b64 s[14:15], s[12:13]
.LBB377_1655:
	v_lshrrev_b32_e32 v1, 24, v1
	s_movk_i32 s12, 0x80
	v_and_or_b32 v5, v1, s12, v3
.LBB377_1656:
	s_or_b64 exec, exec, s[14:15]
.LBB377_1657:
	s_or_b64 exec, exec, s[10:11]
	global_store_byte v[6:7], v5, off
.LBB377_1658:
	s_mov_b64 s[10:11], -1
.LBB377_1659:
	s_mov_b64 s[12:13], 0
.LBB377_1660:
	s_and_b64 vcc, exec, s[12:13]
	s_cbranch_vccz .LBB377_1700
; %bb.1661:
	s_cmp_gt_i32 s17, 22
	s_mov_b64 s[8:9], -1
	s_cbranch_scc0 .LBB377_1693
; %bb.1662:
	s_cmp_lt_i32 s17, 24
	s_cbranch_scc1 .LBB377_1682
; %bb.1663:
	s_cmp_gt_i32 s17, 24
	s_cbranch_scc0 .LBB377_1671
; %bb.1664:
	v_xor_b32_e32 v3, v8, v9
	v_ffbh_i32_e32 v1, v9
	v_ashrrev_i32_e32 v3, 31, v3
	v_add_u32_e32 v1, -1, v1
	v_add_u32_e32 v3, 32, v3
	v_min_u32_e32 v1, v1, v3
	v_lshlrev_b64 v[16:17], v1, v[8:9]
	v_min_u32_e32 v3, 1, v16
	v_or_b32_e32 v3, v17, v3
	v_cvt_f32_i32_e32 v3, v3
	v_sub_u32_e32 v1, 32, v1
	s_mov_b32 s8, 0x47800000
	v_mov_b32_e32 v5, 0x80
	v_ldexp_f32 v1, v3, v1
	v_and_b32_e32 v3, 0x7fffffff, v1
	v_cmp_gt_u32_e32 vcc, s8, v3
	s_and_saveexec_b64 s[8:9], vcc
	s_cbranch_execz .LBB377_1670
; %bb.1665:
	s_mov_b32 s10, 0x37ffffff
	v_cmp_lt_u32_e32 vcc, s10, v3
	s_mov_b64 s[10:11], 0
                                        ; implicit-def: $vgpr3
	s_and_saveexec_b64 s[12:13], vcc
	s_xor_b64 s[12:13], exec, s[12:13]
	s_cbranch_execz .LBB377_2109
; %bb.1666:
	v_bfe_u32 v3, v1, 21, 1
	s_mov_b32 s14, 0x88fffff
	v_add3_u32 v3, v1, v3, s14
	s_mov_b64 s[10:11], exec
	v_lshrrev_b32_e32 v3, 21, v3
	s_andn2_saveexec_b64 s[12:13], s[12:13]
	s_cbranch_execnz .LBB377_2110
.LBB377_1667:
	s_or_b64 exec, exec, s[12:13]
	v_mov_b32_e32 v5, 0
	s_and_saveexec_b64 s[12:13], s[10:11]
.LBB377_1668:
	v_lshrrev_b32_e32 v1, 24, v1
	s_movk_i32 s10, 0x80
	v_and_or_b32 v5, v1, s10, v3
.LBB377_1669:
	s_or_b64 exec, exec, s[12:13]
.LBB377_1670:
	s_or_b64 exec, exec, s[8:9]
	s_mov_b64 s[8:9], 0
	global_store_byte v[6:7], v5, off
.LBB377_1671:
	s_and_b64 vcc, exec, s[8:9]
	s_cbranch_vccz .LBB377_1681
; %bb.1672:
	v_xor_b32_e32 v3, v8, v9
	v_ffbh_i32_e32 v1, v9
	v_ashrrev_i32_e32 v3, 31, v3
	v_add_u32_e32 v1, -1, v1
	v_add_u32_e32 v3, 32, v3
	v_min_u32_e32 v1, v1, v3
	v_lshlrev_b64 v[16:17], v1, v[8:9]
	v_min_u32_e32 v3, 1, v16
	v_or_b32_e32 v3, v17, v3
	v_cvt_f32_i32_e32 v3, v3
	v_sub_u32_e32 v1, 32, v1
	s_mov_b32 s8, 0x43f00000
	v_ldexp_f32 v1, v3, v1
	v_and_b32_e32 v5, 0x7fffffff, v1
	v_cmp_gt_u32_e32 vcc, s8, v5
                                        ; implicit-def: $vgpr3
	s_and_saveexec_b64 s[8:9], vcc
	s_xor_b64 s[8:9], exec, s[8:9]
	s_cbranch_execz .LBB377_1678
; %bb.1673:
	s_mov_b32 s10, 0x3c7fffff
	v_cmp_lt_u32_e32 vcc, s10, v5
                                        ; implicit-def: $vgpr3
	s_and_saveexec_b64 s[10:11], vcc
	s_xor_b64 s[10:11], exec, s[10:11]
; %bb.1674:
	v_bfe_u32 v3, v1, 20, 1
	s_mov_b32 s12, 0x407ffff
	v_add3_u32 v3, v1, v3, s12
	v_lshrrev_b32_e32 v5, 20, v3
	v_and_b32_e32 v3, 0xff00000, v3
	s_mov_b32 s12, 0x7f00000
	v_mov_b32_e32 v16, 0x7e
	v_cmp_ne_u32_e32 vcc, s12, v3
	s_nop 1
	v_cndmask_b32_e32 v3, v16, v5, vcc
; %bb.1675:
	s_andn2_saveexec_b64 s[10:11], s[10:11]
; %bb.1676:
	s_mov_b32 s12, 0x46800000
	v_add_f32_e64 v3, |v1|, s12
; %bb.1677:
	s_or_b64 exec, exec, s[10:11]
                                        ; implicit-def: $vgpr5
.LBB377_1678:
	s_andn2_saveexec_b64 s[8:9], s[8:9]
; %bb.1679:
	s_mov_b32 s10, 0x7f800000
	v_mov_b32_e32 v3, 0x7e
	v_mov_b32_e32 v16, 0x7f
	v_cmp_lt_u32_e32 vcc, s10, v5
	s_nop 1
	v_cndmask_b32_e32 v3, v3, v16, vcc
; %bb.1680:
	s_or_b64 exec, exec, s[8:9]
	v_lshrrev_b32_e32 v1, 24, v1
	s_movk_i32 s8, 0x80
	v_and_or_b32 v1, v1, s8, v3
	global_store_byte v[6:7], v1, off
.LBB377_1681:
	s_mov_b64 s[8:9], 0
.LBB377_1682:
	s_andn2_b64 vcc, exec, s[8:9]
	s_cbranch_vccnz .LBB377_1692
; %bb.1683:
	v_xor_b32_e32 v3, v8, v9
	v_ffbh_i32_e32 v1, v9
	v_ashrrev_i32_e32 v3, 31, v3
	v_add_u32_e32 v1, -1, v1
	v_add_u32_e32 v3, 32, v3
	v_min_u32_e32 v1, v1, v3
	v_lshlrev_b64 v[16:17], v1, v[8:9]
	v_min_u32_e32 v3, 1, v16
	v_or_b32_e32 v3, v17, v3
	v_cvt_f32_i32_e32 v3, v3
	v_sub_u32_e32 v1, 32, v1
	s_mov_b32 s8, 0x47800000
	v_ldexp_f32 v1, v3, v1
	v_and_b32_e32 v5, 0x7fffffff, v1
	v_cmp_gt_u32_e32 vcc, s8, v5
                                        ; implicit-def: $vgpr3
	s_and_saveexec_b64 s[8:9], vcc
	s_xor_b64 s[8:9], exec, s[8:9]
	s_cbranch_execz .LBB377_1689
; %bb.1684:
	s_mov_b32 s10, 0x387fffff
	v_cmp_lt_u32_e32 vcc, s10, v5
                                        ; implicit-def: $vgpr3
	s_and_saveexec_b64 s[10:11], vcc
	s_xor_b64 s[10:11], exec, s[10:11]
; %bb.1685:
	v_bfe_u32 v3, v1, 21, 1
	s_mov_b32 s12, 0x80fffff
	v_add3_u32 v3, v1, v3, s12
	v_lshrrev_b32_e32 v3, 21, v3
; %bb.1686:
	s_andn2_saveexec_b64 s[10:11], s[10:11]
; %bb.1687:
	s_mov_b32 s12, 0x43000000
	v_add_f32_e64 v3, |v1|, s12
; %bb.1688:
	s_or_b64 exec, exec, s[10:11]
                                        ; implicit-def: $vgpr5
.LBB377_1689:
	s_andn2_saveexec_b64 s[8:9], s[8:9]
; %bb.1690:
	s_mov_b32 s10, 0x7f800000
	v_mov_b32_e32 v3, 0x7c
	v_mov_b32_e32 v16, 0x7f
	v_cmp_lt_u32_e32 vcc, s10, v5
	s_nop 1
	v_cndmask_b32_e32 v3, v3, v16, vcc
; %bb.1691:
	s_or_b64 exec, exec, s[8:9]
	v_lshrrev_b32_e32 v1, 24, v1
	s_movk_i32 s8, 0x80
	v_and_or_b32 v1, v1, s8, v3
	global_store_byte v[6:7], v1, off
.LBB377_1692:
	s_mov_b64 s[8:9], 0
	s_mov_b64 s[10:11], -1
.LBB377_1693:
	s_andn2_b64 vcc, exec, s[8:9]
	s_mov_b64 s[8:9], 0
	s_cbranch_vccnz .LBB377_1700
; %bb.1694:
	s_cmp_gt_i32 s17, 14
	s_mov_b64 s[12:13], -1
	s_cbranch_scc0 .LBB377_1698
; %bb.1695:
	s_cmp_eq_u32 s17, 15
	s_mov_b64 s[0:1], -1
	s_cbranch_scc0 .LBB377_1697
; %bb.1696:
	v_xor_b32_e32 v3, v8, v9
	v_ffbh_i32_e32 v1, v9
	v_ashrrev_i32_e32 v3, 31, v3
	v_add_u32_e32 v1, -1, v1
	v_add_u32_e32 v3, 32, v3
	v_min_u32_e32 v1, v1, v3
	v_lshlrev_b64 v[16:17], v1, v[8:9]
	v_min_u32_e32 v3, 1, v16
	v_or_b32_e32 v3, v17, v3
	v_cvt_f32_i32_e32 v3, v3
	v_sub_u32_e32 v1, 32, v1
	s_movk_i32 s0, 0x7fff
	s_mov_b64 s[10:11], -1
	v_ldexp_f32 v1, v3, v1
	v_bfe_u32 v3, v1, 16, 1
	v_add3_u32 v1, v1, v3, s0
	global_store_short_d16_hi v[6:7], v1, off
	s_mov_b64 s[0:1], 0
.LBB377_1697:
	s_mov_b64 s[12:13], 0
.LBB377_1698:
	s_and_b64 vcc, exec, s[12:13]
	s_cbranch_vccz .LBB377_1700
; %bb.1699:
	s_cmp_lg_u32 s17, 11
	s_mov_b64 s[8:9], -1
	s_cselect_b64 s[0:1], -1, 0
.LBB377_1700:
	s_and_b64 vcc, exec, s[0:1]
	s_cbranch_vccnz .LBB377_2108
; %bb.1701:
	s_andn2_b64 vcc, exec, s[8:9]
	s_cbranch_vccnz .LBB377_1703
.LBB377_1702:
	v_cmp_ne_u64_e32 vcc, 0, v[8:9]
	s_mov_b64 s[10:11], -1
	s_nop 0
	v_cndmask_b32_e64 v1, 0, 1, vcc
	global_store_byte v[6:7], v1, off
.LBB377_1703:
	s_mov_b64 s[0:1], 0
	s_branch .LBB377_1705
.LBB377_1704:
	s_mov_b64 s[0:1], -1
	s_mov_b64 s[10:11], 0
.LBB377_1705:
	s_and_b64 vcc, exec, s[0:1]
	s_cbranch_vccz .LBB377_1744
; %bb.1706:
	s_and_b32 s8, 0xffff, s16
	s_cmp_lt_i32 s8, 5
	s_mov_b64 s[0:1], -1
	s_cbranch_scc1 .LBB377_1727
; %bb.1707:
	s_cmp_lt_i32 s8, 8
	s_cbranch_scc1 .LBB377_1717
; %bb.1708:
	s_cmp_lt_i32 s8, 9
	s_cbranch_scc1 .LBB377_1714
; %bb.1709:
	s_cmp_gt_i32 s8, 9
	s_cbranch_scc0 .LBB377_1711
; %bb.1710:
	v_cvt_f64_i32_e32 v[16:17], v9
	v_ldexp_f64 v[16:17], v[16:17], 32
	v_cvt_f64_u32_e32 v[18:19], v8
	v_add_f64 v[16:17], v[16:17], v[18:19]
	v_mov_b32_e32 v18, 0
	v_mov_b32_e32 v19, v18
	global_store_dwordx4 v[6:7], v[16:19], off
	s_mov_b64 s[0:1], 0
.LBB377_1711:
	s_andn2_b64 vcc, exec, s[0:1]
	s_cbranch_vccnz .LBB377_1713
; %bb.1712:
	v_xor_b32_e32 v3, v8, v9
	v_ffbh_i32_e32 v1, v9
	v_ashrrev_i32_e32 v3, 31, v3
	v_add_u32_e32 v1, -1, v1
	v_add_u32_e32 v3, 32, v3
	v_min_u32_e32 v1, v1, v3
	v_lshlrev_b64 v[16:17], v1, v[8:9]
	v_min_u32_e32 v3, 1, v16
	v_or_b32_e32 v3, v17, v3
	v_cvt_f32_i32_e32 v3, v3
	v_sub_u32_e32 v1, 32, v1
	v_mov_b32_e32 v17, 0
	v_ldexp_f32 v16, v3, v1
	global_store_dwordx2 v[6:7], v[16:17], off
.LBB377_1713:
	s_mov_b64 s[0:1], 0
.LBB377_1714:
	s_andn2_b64 vcc, exec, s[0:1]
	s_cbranch_vccnz .LBB377_1716
; %bb.1715:
	v_xor_b32_e32 v3, v8, v9
	v_ffbh_i32_e32 v1, v9
	v_ashrrev_i32_e32 v3, 31, v3
	v_add_u32_e32 v1, -1, v1
	v_add_u32_e32 v3, 32, v3
	v_min_u32_e32 v1, v1, v3
	v_lshlrev_b64 v[16:17], v1, v[8:9]
	v_min_u32_e32 v3, 1, v16
	v_or_b32_e32 v3, v17, v3
	v_cvt_f32_i32_e32 v3, v3
	v_sub_u32_e32 v1, 32, v1
	v_ldexp_f32 v1, v3, v1
	v_cvt_f16_f32_e32 v1, v1
	global_store_dword v[6:7], v1, off
.LBB377_1716:
	s_mov_b64 s[0:1], 0
.LBB377_1717:
	s_andn2_b64 vcc, exec, s[0:1]
	s_cbranch_vccnz .LBB377_1726
; %bb.1718:
	s_cmp_lt_i32 s8, 6
	s_mov_b64 s[0:1], -1
	s_cbranch_scc1 .LBB377_1724
; %bb.1719:
	s_cmp_gt_i32 s8, 6
	s_cbranch_scc0 .LBB377_1721
; %bb.1720:
	v_cvt_f64_i32_e32 v[16:17], v9
	v_ldexp_f64 v[16:17], v[16:17], 32
	v_cvt_f64_u32_e32 v[18:19], v8
	v_add_f64 v[16:17], v[16:17], v[18:19]
	global_store_dwordx2 v[6:7], v[16:17], off
	s_mov_b64 s[0:1], 0
.LBB377_1721:
	s_andn2_b64 vcc, exec, s[0:1]
	s_cbranch_vccnz .LBB377_1723
; %bb.1722:
	v_xor_b32_e32 v3, v8, v9
	v_ffbh_i32_e32 v1, v9
	v_ashrrev_i32_e32 v3, 31, v3
	v_add_u32_e32 v1, -1, v1
	v_add_u32_e32 v3, 32, v3
	v_min_u32_e32 v1, v1, v3
	v_lshlrev_b64 v[16:17], v1, v[8:9]
	v_min_u32_e32 v3, 1, v16
	v_or_b32_e32 v3, v17, v3
	v_cvt_f32_i32_e32 v3, v3
	v_sub_u32_e32 v1, 32, v1
	v_ldexp_f32 v1, v3, v1
	global_store_dword v[6:7], v1, off
.LBB377_1723:
	s_mov_b64 s[0:1], 0
.LBB377_1724:
	s_andn2_b64 vcc, exec, s[0:1]
	s_cbranch_vccnz .LBB377_1726
; %bb.1725:
	v_xor_b32_e32 v3, v8, v9
	v_ffbh_i32_e32 v1, v9
	v_ashrrev_i32_e32 v3, 31, v3
	v_add_u32_e32 v1, -1, v1
	v_add_u32_e32 v3, 32, v3
	v_min_u32_e32 v1, v1, v3
	v_lshlrev_b64 v[16:17], v1, v[8:9]
	v_min_u32_e32 v3, 1, v16
	v_or_b32_e32 v3, v17, v3
	v_cvt_f32_i32_e32 v3, v3
	v_sub_u32_e32 v1, 32, v1
	v_ldexp_f32 v1, v3, v1
	v_cvt_f16_f32_e32 v1, v1
	global_store_short v[6:7], v1, off
.LBB377_1726:
	s_mov_b64 s[0:1], 0
.LBB377_1727:
	s_andn2_b64 vcc, exec, s[0:1]
	s_cbranch_vccnz .LBB377_1743
; %bb.1728:
	s_cmp_lt_i32 s8, 2
	s_mov_b64 s[0:1], -1
	s_cbranch_scc1 .LBB377_1738
; %bb.1729:
	s_cmp_lt_i32 s8, 3
	s_cbranch_scc1 .LBB377_1735
; %bb.1730:
	s_cmp_gt_i32 s8, 3
	s_cbranch_scc0 .LBB377_1732
; %bb.1731:
	global_store_dwordx2 v[6:7], v[8:9], off
	s_mov_b64 s[0:1], 0
.LBB377_1732:
	s_andn2_b64 vcc, exec, s[0:1]
	s_cbranch_vccnz .LBB377_1734
; %bb.1733:
	global_store_dword v[6:7], v8, off
.LBB377_1734:
	s_mov_b64 s[0:1], 0
.LBB377_1735:
	s_andn2_b64 vcc, exec, s[0:1]
	s_cbranch_vccnz .LBB377_1737
; %bb.1736:
	global_store_short v[6:7], v8, off
.LBB377_1737:
	s_mov_b64 s[0:1], 0
.LBB377_1738:
	s_andn2_b64 vcc, exec, s[0:1]
	s_cbranch_vccnz .LBB377_1743
; %bb.1739:
	s_cmp_gt_i32 s8, 0
	s_mov_b64 s[0:1], -1
	s_cbranch_scc0 .LBB377_1741
; %bb.1740:
	global_store_byte v[6:7], v8, off
	s_mov_b64 s[0:1], 0
.LBB377_1741:
	s_andn2_b64 vcc, exec, s[0:1]
	s_cbranch_vccnz .LBB377_1743
; %bb.1742:
	global_store_byte v[6:7], v8, off
.LBB377_1743:
	s_mov_b64 s[10:11], -1
.LBB377_1744:
	s_andn2_b64 vcc, exec, s[10:11]
	s_cbranch_vccnz .LBB377_2059
; %bb.1745:
	v_mov_b32_e32 v1, s7
	v_cmp_lt_i64_e32 vcc, s[6:7], v[10:11]
	v_mov_b32_e32 v5, 0
	s_and_b32 s17, 0xffff, s16
	v_cndmask_b32_e32 v7, v1, v11, vcc
	v_mov_b32_e32 v1, s6
	v_cndmask_b32_e32 v6, v1, v10, vcc
	s_cmp_lt_i32 s17, 11
	v_lshl_add_u64 v[4:5], s[4:5], 0, v[4:5]
	s_cbranch_scc1 .LBB377_1823
; %bb.1746:
	s_mov_b64 s[12:13], -1
	s_mov_b64 s[8:9], 0
	s_cmp_gt_i32 s17, 25
	s_mov_b64 s[10:11], 0
	s_mov_b64 s[0:1], 0
	s_cbranch_scc0 .LBB377_1779
; %bb.1747:
	s_cmp_gt_i32 s17, 28
	s_cbranch_scc0 .LBB377_1762
; %bb.1748:
	s_cmp_gt_i32 s17, 43
	;; [unrolled: 3-line block ×3, first 2 shown]
	s_cbranch_scc0 .LBB377_1752
; %bb.1750:
	s_mov_b64 s[0:1], -1
	s_mov_b64 s[12:13], 0
	s_cmp_eq_u32 s17, 46
	s_cbranch_scc0 .LBB377_1752
; %bb.1751:
	v_xor_b32_e32 v3, v6, v7
	v_ffbh_i32_e32 v1, v7
	v_ashrrev_i32_e32 v3, 31, v3
	v_add_u32_e32 v1, -1, v1
	v_add_u32_e32 v3, 32, v3
	v_min_u32_e32 v1, v1, v3
	v_lshlrev_b64 v[8:9], v1, v[6:7]
	v_min_u32_e32 v3, 1, v8
	v_or_b32_e32 v3, v9, v3
	v_cvt_f32_i32_e32 v3, v3
	v_sub_u32_e32 v1, 32, v1
	s_movk_i32 s0, 0x7fff
	s_mov_b64 s[10:11], -1
	v_ldexp_f32 v1, v3, v1
	v_bfe_u32 v3, v1, 16, 1
	v_add3_u32 v1, v1, v3, s0
	v_lshrrev_b32_e32 v1, 16, v1
	global_store_dword v[4:5], v1, off
	s_mov_b64 s[0:1], 0
.LBB377_1752:
	s_and_b64 vcc, exec, s[12:13]
	s_cbranch_vccz .LBB377_1757
; %bb.1753:
	s_cmp_eq_u32 s17, 44
	s_mov_b64 s[0:1], -1
	s_cbranch_scc0 .LBB377_1757
; %bb.1754:
	v_xor_b32_e32 v3, v6, v7
	v_ffbh_i32_e32 v1, v7
	v_ashrrev_i32_e32 v3, 31, v3
	v_add_u32_e32 v1, -1, v1
	v_add_u32_e32 v3, 32, v3
	v_min_u32_e32 v1, v1, v3
	v_lshlrev_b64 v[8:9], v1, v[6:7]
	v_min_u32_e32 v3, 1, v8
	v_or_b32_e32 v3, v9, v3
	v_cvt_f32_i32_e32 v3, v3
	v_sub_u32_e32 v1, 32, v1
	s_movk_i32 s0, 0xff
	v_mov_b32_e32 v8, 0xff
	v_ldexp_f32 v1, v3, v1
	v_bfe_u32 v3, v1, 23, 8
	v_cmp_ne_u32_e32 vcc, s0, v3
	s_and_saveexec_b64 s[10:11], vcc
; %bb.1755:
	s_mov_b32 s0, 0x3fffff
	v_lshrrev_b32_e32 v8, 23, v1
	v_and_b32_e32 v9, 0x400000, v1
	v_and_or_b32 v1, v1, s0, v3
	v_cmp_ne_u32_e32 vcc, 0, v9
	v_cmp_ne_u32_e64 s[0:1], 0, v1
	s_and_b64 s[0:1], vcc, s[0:1]
	s_nop 0
	v_cndmask_b32_e64 v1, 0, 1, s[0:1]
	v_add_u32_e32 v8, v8, v1
; %bb.1756:
	s_or_b64 exec, exec, s[10:11]
	s_mov_b64 s[0:1], 0
	s_mov_b64 s[10:11], -1
	global_store_byte v[4:5], v8, off
.LBB377_1757:
	s_mov_b64 s[12:13], 0
.LBB377_1758:
	s_and_b64 vcc, exec, s[12:13]
	s_cbranch_vccz .LBB377_1761
; %bb.1759:
	s_cmp_eq_u32 s17, 29
	s_mov_b64 s[0:1], -1
	s_cbranch_scc0 .LBB377_1761
; %bb.1760:
	global_store_dwordx2 v[4:5], v[6:7], off
	s_mov_b64 s[0:1], 0
	s_mov_b64 s[10:11], -1
.LBB377_1761:
	s_mov_b64 s[12:13], 0
.LBB377_1762:
	s_and_b64 vcc, exec, s[12:13]
	s_cbranch_vccz .LBB377_1778
; %bb.1763:
	s_cmp_lt_i32 s17, 27
	s_mov_b64 s[10:11], -1
	s_cbranch_scc1 .LBB377_1769
; %bb.1764:
	s_cmp_gt_i32 s17, 27
	s_cbranch_scc0 .LBB377_1766
; %bb.1765:
	s_mov_b64 s[10:11], 0
	global_store_dword v[4:5], v6, off
.LBB377_1766:
	s_andn2_b64 vcc, exec, s[10:11]
	s_cbranch_vccnz .LBB377_1768
; %bb.1767:
	global_store_short v[4:5], v6, off
.LBB377_1768:
	s_mov_b64 s[10:11], 0
.LBB377_1769:
	s_andn2_b64 vcc, exec, s[10:11]
	s_cbranch_vccnz .LBB377_1777
; %bb.1770:
	v_xor_b32_e32 v3, v6, v7
	v_ffbh_i32_e32 v1, v7
	v_ashrrev_i32_e32 v3, 31, v3
	v_add_u32_e32 v1, -1, v1
	v_add_u32_e32 v3, 32, v3
	v_min_u32_e32 v1, v1, v3
	v_lshlrev_b64 v[8:9], v1, v[6:7]
	v_min_u32_e32 v3, 1, v8
	v_or_b32_e32 v3, v9, v3
	v_cvt_f32_i32_e32 v3, v3
	v_sub_u32_e32 v1, 32, v1
	s_mov_b32 s10, 0x43800000
	v_mov_b32_e32 v8, 0x80
	v_ldexp_f32 v1, v3, v1
	v_and_b32_e32 v3, 0x7fffffff, v1
	v_cmp_gt_u32_e32 vcc, s10, v3
	s_and_saveexec_b64 s[10:11], vcc
	s_cbranch_execz .LBB377_1776
; %bb.1771:
	s_mov_b32 s12, 0x3bffffff
	v_cmp_lt_u32_e32 vcc, s12, v3
	s_mov_b64 s[12:13], 0
                                        ; implicit-def: $vgpr3
	s_and_saveexec_b64 s[14:15], vcc
	s_xor_b64 s[14:15], exec, s[14:15]
	s_cbranch_execz .LBB377_2111
; %bb.1772:
	v_bfe_u32 v3, v1, 20, 1
	s_mov_b32 s18, 0x487ffff
	v_add3_u32 v3, v1, v3, s18
	s_mov_b64 s[12:13], exec
	v_lshrrev_b32_e32 v3, 20, v3
	s_andn2_saveexec_b64 s[14:15], s[14:15]
	s_cbranch_execnz .LBB377_2112
.LBB377_1773:
	s_or_b64 exec, exec, s[14:15]
	v_mov_b32_e32 v8, 0
	s_and_saveexec_b64 s[14:15], s[12:13]
.LBB377_1774:
	v_lshrrev_b32_e32 v1, 24, v1
	s_movk_i32 s12, 0x80
	v_and_or_b32 v8, v1, s12, v3
.LBB377_1775:
	s_or_b64 exec, exec, s[14:15]
.LBB377_1776:
	s_or_b64 exec, exec, s[10:11]
	global_store_byte v[4:5], v8, off
.LBB377_1777:
	s_mov_b64 s[10:11], -1
.LBB377_1778:
	s_mov_b64 s[12:13], 0
.LBB377_1779:
	s_and_b64 vcc, exec, s[12:13]
	s_cbranch_vccz .LBB377_1819
; %bb.1780:
	s_cmp_gt_i32 s17, 22
	s_mov_b64 s[8:9], -1
	s_cbranch_scc0 .LBB377_1812
; %bb.1781:
	s_cmp_lt_i32 s17, 24
	s_cbranch_scc1 .LBB377_1801
; %bb.1782:
	s_cmp_gt_i32 s17, 24
	s_cbranch_scc0 .LBB377_1790
; %bb.1783:
	v_xor_b32_e32 v3, v6, v7
	v_ffbh_i32_e32 v1, v7
	v_ashrrev_i32_e32 v3, 31, v3
	v_add_u32_e32 v1, -1, v1
	v_add_u32_e32 v3, 32, v3
	v_min_u32_e32 v1, v1, v3
	v_lshlrev_b64 v[8:9], v1, v[6:7]
	v_min_u32_e32 v3, 1, v8
	v_or_b32_e32 v3, v9, v3
	v_cvt_f32_i32_e32 v3, v3
	v_sub_u32_e32 v1, 32, v1
	s_mov_b32 s8, 0x47800000
	v_mov_b32_e32 v8, 0x80
	v_ldexp_f32 v1, v3, v1
	v_and_b32_e32 v3, 0x7fffffff, v1
	v_cmp_gt_u32_e32 vcc, s8, v3
	s_and_saveexec_b64 s[8:9], vcc
	s_cbranch_execz .LBB377_1789
; %bb.1784:
	s_mov_b32 s10, 0x37ffffff
	v_cmp_lt_u32_e32 vcc, s10, v3
	s_mov_b64 s[10:11], 0
                                        ; implicit-def: $vgpr3
	s_and_saveexec_b64 s[12:13], vcc
	s_xor_b64 s[12:13], exec, s[12:13]
	s_cbranch_execz .LBB377_2114
; %bb.1785:
	v_bfe_u32 v3, v1, 21, 1
	s_mov_b32 s14, 0x88fffff
	v_add3_u32 v3, v1, v3, s14
	s_mov_b64 s[10:11], exec
	v_lshrrev_b32_e32 v3, 21, v3
	s_andn2_saveexec_b64 s[12:13], s[12:13]
	s_cbranch_execnz .LBB377_2115
.LBB377_1786:
	s_or_b64 exec, exec, s[12:13]
	v_mov_b32_e32 v8, 0
	s_and_saveexec_b64 s[12:13], s[10:11]
.LBB377_1787:
	v_lshrrev_b32_e32 v1, 24, v1
	s_movk_i32 s10, 0x80
	v_and_or_b32 v8, v1, s10, v3
.LBB377_1788:
	s_or_b64 exec, exec, s[12:13]
.LBB377_1789:
	s_or_b64 exec, exec, s[8:9]
	s_mov_b64 s[8:9], 0
	global_store_byte v[4:5], v8, off
.LBB377_1790:
	s_and_b64 vcc, exec, s[8:9]
	s_cbranch_vccz .LBB377_1800
; %bb.1791:
	v_xor_b32_e32 v3, v6, v7
	v_ffbh_i32_e32 v1, v7
	v_ashrrev_i32_e32 v3, 31, v3
	v_add_u32_e32 v1, -1, v1
	v_add_u32_e32 v3, 32, v3
	v_min_u32_e32 v1, v1, v3
	v_lshlrev_b64 v[8:9], v1, v[6:7]
	v_min_u32_e32 v3, 1, v8
	v_or_b32_e32 v3, v9, v3
	v_cvt_f32_i32_e32 v3, v3
	v_sub_u32_e32 v1, 32, v1
	s_mov_b32 s8, 0x43f00000
	v_ldexp_f32 v1, v3, v1
	v_and_b32_e32 v8, 0x7fffffff, v1
	v_cmp_gt_u32_e32 vcc, s8, v8
                                        ; implicit-def: $vgpr3
	s_and_saveexec_b64 s[8:9], vcc
	s_xor_b64 s[8:9], exec, s[8:9]
	s_cbranch_execz .LBB377_1797
; %bb.1792:
	s_mov_b32 s10, 0x3c7fffff
	v_cmp_lt_u32_e32 vcc, s10, v8
                                        ; implicit-def: $vgpr3
	s_and_saveexec_b64 s[10:11], vcc
	s_xor_b64 s[10:11], exec, s[10:11]
; %bb.1793:
	v_bfe_u32 v3, v1, 20, 1
	s_mov_b32 s12, 0x407ffff
	v_add3_u32 v3, v1, v3, s12
	v_lshrrev_b32_e32 v8, 20, v3
	v_and_b32_e32 v3, 0xff00000, v3
	s_mov_b32 s12, 0x7f00000
	v_mov_b32_e32 v9, 0x7e
	v_cmp_ne_u32_e32 vcc, s12, v3
	s_nop 1
	v_cndmask_b32_e32 v3, v9, v8, vcc
; %bb.1794:
	s_andn2_saveexec_b64 s[10:11], s[10:11]
; %bb.1795:
	s_mov_b32 s12, 0x46800000
	v_add_f32_e64 v3, |v1|, s12
; %bb.1796:
	s_or_b64 exec, exec, s[10:11]
                                        ; implicit-def: $vgpr8
.LBB377_1797:
	s_andn2_saveexec_b64 s[8:9], s[8:9]
; %bb.1798:
	s_mov_b32 s10, 0x7f800000
	v_mov_b32_e32 v3, 0x7e
	v_mov_b32_e32 v9, 0x7f
	v_cmp_lt_u32_e32 vcc, s10, v8
	s_nop 1
	v_cndmask_b32_e32 v3, v3, v9, vcc
; %bb.1799:
	s_or_b64 exec, exec, s[8:9]
	v_lshrrev_b32_e32 v1, 24, v1
	s_movk_i32 s8, 0x80
	v_and_or_b32 v1, v1, s8, v3
	global_store_byte v[4:5], v1, off
.LBB377_1800:
	s_mov_b64 s[8:9], 0
.LBB377_1801:
	s_andn2_b64 vcc, exec, s[8:9]
	s_cbranch_vccnz .LBB377_1811
; %bb.1802:
	v_xor_b32_e32 v3, v6, v7
	v_ffbh_i32_e32 v1, v7
	v_ashrrev_i32_e32 v3, 31, v3
	v_add_u32_e32 v1, -1, v1
	v_add_u32_e32 v3, 32, v3
	v_min_u32_e32 v1, v1, v3
	v_lshlrev_b64 v[8:9], v1, v[6:7]
	v_min_u32_e32 v3, 1, v8
	v_or_b32_e32 v3, v9, v3
	v_cvt_f32_i32_e32 v3, v3
	v_sub_u32_e32 v1, 32, v1
	s_mov_b32 s8, 0x47800000
	v_ldexp_f32 v1, v3, v1
	v_and_b32_e32 v8, 0x7fffffff, v1
	v_cmp_gt_u32_e32 vcc, s8, v8
                                        ; implicit-def: $vgpr3
	s_and_saveexec_b64 s[8:9], vcc
	s_xor_b64 s[8:9], exec, s[8:9]
	s_cbranch_execz .LBB377_1808
; %bb.1803:
	s_mov_b32 s10, 0x387fffff
	v_cmp_lt_u32_e32 vcc, s10, v8
                                        ; implicit-def: $vgpr3
	s_and_saveexec_b64 s[10:11], vcc
	s_xor_b64 s[10:11], exec, s[10:11]
; %bb.1804:
	v_bfe_u32 v3, v1, 21, 1
	s_mov_b32 s12, 0x80fffff
	v_add3_u32 v3, v1, v3, s12
	v_lshrrev_b32_e32 v3, 21, v3
; %bb.1805:
	s_andn2_saveexec_b64 s[10:11], s[10:11]
; %bb.1806:
	s_mov_b32 s12, 0x43000000
	v_add_f32_e64 v3, |v1|, s12
; %bb.1807:
	s_or_b64 exec, exec, s[10:11]
                                        ; implicit-def: $vgpr8
.LBB377_1808:
	s_andn2_saveexec_b64 s[8:9], s[8:9]
; %bb.1809:
	s_mov_b32 s10, 0x7f800000
	v_mov_b32_e32 v3, 0x7c
	v_mov_b32_e32 v9, 0x7f
	v_cmp_lt_u32_e32 vcc, s10, v8
	s_nop 1
	v_cndmask_b32_e32 v3, v3, v9, vcc
; %bb.1810:
	s_or_b64 exec, exec, s[8:9]
	v_lshrrev_b32_e32 v1, 24, v1
	s_movk_i32 s8, 0x80
	v_and_or_b32 v1, v1, s8, v3
	global_store_byte v[4:5], v1, off
.LBB377_1811:
	s_mov_b64 s[8:9], 0
	s_mov_b64 s[10:11], -1
.LBB377_1812:
	s_andn2_b64 vcc, exec, s[8:9]
	s_mov_b64 s[8:9], 0
	s_cbranch_vccnz .LBB377_1819
; %bb.1813:
	s_cmp_gt_i32 s17, 14
	s_mov_b64 s[12:13], -1
	s_cbranch_scc0 .LBB377_1817
; %bb.1814:
	s_cmp_eq_u32 s17, 15
	s_mov_b64 s[0:1], -1
	s_cbranch_scc0 .LBB377_1816
; %bb.1815:
	v_xor_b32_e32 v3, v6, v7
	v_ffbh_i32_e32 v1, v7
	v_ashrrev_i32_e32 v3, 31, v3
	v_add_u32_e32 v1, -1, v1
	v_add_u32_e32 v3, 32, v3
	v_min_u32_e32 v1, v1, v3
	v_lshlrev_b64 v[8:9], v1, v[6:7]
	v_min_u32_e32 v3, 1, v8
	v_or_b32_e32 v3, v9, v3
	v_cvt_f32_i32_e32 v3, v3
	v_sub_u32_e32 v1, 32, v1
	s_movk_i32 s0, 0x7fff
	s_mov_b64 s[10:11], -1
	v_ldexp_f32 v1, v3, v1
	v_bfe_u32 v3, v1, 16, 1
	v_add3_u32 v1, v1, v3, s0
	global_store_short_d16_hi v[4:5], v1, off
	s_mov_b64 s[0:1], 0
.LBB377_1816:
	s_mov_b64 s[12:13], 0
.LBB377_1817:
	s_and_b64 vcc, exec, s[12:13]
	s_cbranch_vccz .LBB377_1819
; %bb.1818:
	s_cmp_lg_u32 s17, 11
	s_mov_b64 s[8:9], -1
	s_cselect_b64 s[0:1], -1, 0
.LBB377_1819:
	s_and_b64 vcc, exec, s[0:1]
	s_cbranch_vccnz .LBB377_2113
; %bb.1820:
	s_andn2_b64 vcc, exec, s[8:9]
	s_cbranch_vccnz .LBB377_1822
.LBB377_1821:
	v_cmp_ne_u64_e32 vcc, 0, v[6:7]
	s_mov_b64 s[10:11], -1
	s_nop 0
	v_cndmask_b32_e64 v1, 0, 1, vcc
	global_store_byte v[4:5], v1, off
.LBB377_1822:
	s_mov_b64 s[0:1], 0
	s_branch .LBB377_1824
.LBB377_1823:
	s_mov_b64 s[0:1], -1
	s_mov_b64 s[10:11], 0
.LBB377_1824:
	s_and_b64 vcc, exec, s[0:1]
	s_cbranch_vccz .LBB377_1863
; %bb.1825:
	s_cmp_lt_i32 s17, 5
	s_mov_b64 s[0:1], -1
	s_cbranch_scc1 .LBB377_1846
; %bb.1826:
	s_cmp_lt_i32 s17, 8
	s_cbranch_scc1 .LBB377_1836
; %bb.1827:
	s_cmp_lt_i32 s17, 9
	s_cbranch_scc1 .LBB377_1833
; %bb.1828:
	s_cmp_gt_i32 s17, 9
	s_cbranch_scc0 .LBB377_1830
; %bb.1829:
	v_cvt_f64_i32_e32 v[8:9], v7
	v_ldexp_f64 v[8:9], v[8:9], 32
	v_cvt_f64_u32_e32 v[10:11], v6
	v_add_f64 v[8:9], v[8:9], v[10:11]
	v_mov_b32_e32 v10, 0
	v_mov_b32_e32 v11, v10
	global_store_dwordx4 v[4:5], v[8:11], off
	s_mov_b64 s[0:1], 0
.LBB377_1830:
	s_andn2_b64 vcc, exec, s[0:1]
	s_cbranch_vccnz .LBB377_1832
; %bb.1831:
	v_xor_b32_e32 v3, v6, v7
	v_ffbh_i32_e32 v1, v7
	v_ashrrev_i32_e32 v3, 31, v3
	v_add_u32_e32 v1, -1, v1
	v_add_u32_e32 v3, 32, v3
	v_min_u32_e32 v1, v1, v3
	v_lshlrev_b64 v[8:9], v1, v[6:7]
	v_min_u32_e32 v3, 1, v8
	v_or_b32_e32 v3, v9, v3
	v_cvt_f32_i32_e32 v3, v3
	v_sub_u32_e32 v1, 32, v1
	v_mov_b32_e32 v9, 0
	v_ldexp_f32 v8, v3, v1
	global_store_dwordx2 v[4:5], v[8:9], off
.LBB377_1832:
	s_mov_b64 s[0:1], 0
.LBB377_1833:
	s_andn2_b64 vcc, exec, s[0:1]
	s_cbranch_vccnz .LBB377_1835
; %bb.1834:
	v_xor_b32_e32 v3, v6, v7
	v_ffbh_i32_e32 v1, v7
	v_ashrrev_i32_e32 v3, 31, v3
	v_add_u32_e32 v1, -1, v1
	v_add_u32_e32 v3, 32, v3
	v_min_u32_e32 v1, v1, v3
	v_lshlrev_b64 v[8:9], v1, v[6:7]
	v_min_u32_e32 v3, 1, v8
	v_or_b32_e32 v3, v9, v3
	v_cvt_f32_i32_e32 v3, v3
	v_sub_u32_e32 v1, 32, v1
	v_ldexp_f32 v1, v3, v1
	v_cvt_f16_f32_e32 v1, v1
	global_store_dword v[4:5], v1, off
.LBB377_1835:
	s_mov_b64 s[0:1], 0
.LBB377_1836:
	s_andn2_b64 vcc, exec, s[0:1]
	s_cbranch_vccnz .LBB377_1845
; %bb.1837:
	s_cmp_lt_i32 s17, 6
	s_mov_b64 s[0:1], -1
	s_cbranch_scc1 .LBB377_1843
; %bb.1838:
	s_cmp_gt_i32 s17, 6
	s_cbranch_scc0 .LBB377_1840
; %bb.1839:
	v_cvt_f64_i32_e32 v[8:9], v7
	v_ldexp_f64 v[8:9], v[8:9], 32
	v_cvt_f64_u32_e32 v[10:11], v6
	v_add_f64 v[8:9], v[8:9], v[10:11]
	global_store_dwordx2 v[4:5], v[8:9], off
	s_mov_b64 s[0:1], 0
.LBB377_1840:
	s_andn2_b64 vcc, exec, s[0:1]
	s_cbranch_vccnz .LBB377_1842
; %bb.1841:
	v_xor_b32_e32 v3, v6, v7
	v_ffbh_i32_e32 v1, v7
	v_ashrrev_i32_e32 v3, 31, v3
	v_add_u32_e32 v1, -1, v1
	v_add_u32_e32 v3, 32, v3
	v_min_u32_e32 v1, v1, v3
	v_lshlrev_b64 v[8:9], v1, v[6:7]
	v_min_u32_e32 v3, 1, v8
	v_or_b32_e32 v3, v9, v3
	v_cvt_f32_i32_e32 v3, v3
	v_sub_u32_e32 v1, 32, v1
	v_ldexp_f32 v1, v3, v1
	global_store_dword v[4:5], v1, off
.LBB377_1842:
	s_mov_b64 s[0:1], 0
.LBB377_1843:
	s_andn2_b64 vcc, exec, s[0:1]
	s_cbranch_vccnz .LBB377_1845
; %bb.1844:
	v_xor_b32_e32 v3, v6, v7
	v_ffbh_i32_e32 v1, v7
	v_ashrrev_i32_e32 v3, 31, v3
	v_add_u32_e32 v1, -1, v1
	v_add_u32_e32 v3, 32, v3
	v_min_u32_e32 v1, v1, v3
	v_lshlrev_b64 v[8:9], v1, v[6:7]
	v_min_u32_e32 v3, 1, v8
	v_or_b32_e32 v3, v9, v3
	v_cvt_f32_i32_e32 v3, v3
	v_sub_u32_e32 v1, 32, v1
	v_ldexp_f32 v1, v3, v1
	v_cvt_f16_f32_e32 v1, v1
	global_store_short v[4:5], v1, off
.LBB377_1845:
	s_mov_b64 s[0:1], 0
.LBB377_1846:
	s_andn2_b64 vcc, exec, s[0:1]
	s_cbranch_vccnz .LBB377_1862
; %bb.1847:
	s_cmp_lt_i32 s17, 2
	s_mov_b64 s[0:1], -1
	s_cbranch_scc1 .LBB377_1857
; %bb.1848:
	s_cmp_lt_i32 s17, 3
	s_cbranch_scc1 .LBB377_1854
; %bb.1849:
	s_cmp_gt_i32 s17, 3
	s_cbranch_scc0 .LBB377_1851
; %bb.1850:
	global_store_dwordx2 v[4:5], v[6:7], off
	s_mov_b64 s[0:1], 0
.LBB377_1851:
	s_andn2_b64 vcc, exec, s[0:1]
	s_cbranch_vccnz .LBB377_1853
; %bb.1852:
	global_store_dword v[4:5], v6, off
.LBB377_1853:
	s_mov_b64 s[0:1], 0
.LBB377_1854:
	s_andn2_b64 vcc, exec, s[0:1]
	s_cbranch_vccnz .LBB377_1856
; %bb.1855:
	global_store_short v[4:5], v6, off
.LBB377_1856:
	s_mov_b64 s[0:1], 0
.LBB377_1857:
	s_andn2_b64 vcc, exec, s[0:1]
	s_cbranch_vccnz .LBB377_1862
; %bb.1858:
	s_cmp_gt_i32 s17, 0
	s_mov_b64 s[0:1], -1
	s_cbranch_scc0 .LBB377_1860
; %bb.1859:
	global_store_byte v[4:5], v6, off
	s_mov_b64 s[0:1], 0
.LBB377_1860:
	s_andn2_b64 vcc, exec, s[0:1]
	s_cbranch_vccnz .LBB377_1862
; %bb.1861:
	global_store_byte v[4:5], v6, off
.LBB377_1862:
	s_mov_b64 s[10:11], -1
.LBB377_1863:
	s_andn2_b64 vcc, exec, s[10:11]
	s_cbranch_vccnz .LBB377_2059
; %bb.1864:
	v_mov_b32_e32 v1, s7
	v_cmp_lt_i64_e32 vcc, s[6:7], v[12:13]
	v_mov_b32_e32 v3, 0
	s_cmp_lt_i32 s17, 11
	v_cndmask_b32_e32 v5, v1, v13, vcc
	v_mov_b32_e32 v1, s6
	v_cndmask_b32_e32 v4, v1, v12, vcc
	v_lshl_add_u64 v[2:3], s[4:5], 0, v[2:3]
	s_cbranch_scc1 .LBB377_1942
; %bb.1865:
	s_mov_b64 s[12:13], -1
	s_mov_b64 s[8:9], 0
	s_cmp_gt_i32 s17, 25
	s_mov_b64 s[10:11], 0
	s_mov_b64 s[0:1], 0
	s_cbranch_scc0 .LBB377_1898
; %bb.1866:
	s_cmp_gt_i32 s17, 28
	s_cbranch_scc0 .LBB377_1881
; %bb.1867:
	s_cmp_gt_i32 s17, 43
	;; [unrolled: 3-line block ×3, first 2 shown]
	s_cbranch_scc0 .LBB377_1871
; %bb.1869:
	s_mov_b64 s[0:1], -1
	s_mov_b64 s[12:13], 0
	s_cmp_eq_u32 s17, 46
	s_cbranch_scc0 .LBB377_1871
; %bb.1870:
	v_xor_b32_e32 v6, v4, v5
	v_ffbh_i32_e32 v1, v5
	v_ashrrev_i32_e32 v6, 31, v6
	v_add_u32_e32 v1, -1, v1
	v_add_u32_e32 v6, 32, v6
	v_min_u32_e32 v1, v1, v6
	v_lshlrev_b64 v[6:7], v1, v[4:5]
	v_min_u32_e32 v6, 1, v6
	v_or_b32_e32 v6, v7, v6
	v_cvt_f32_i32_e32 v6, v6
	v_sub_u32_e32 v1, 32, v1
	s_movk_i32 s0, 0x7fff
	s_mov_b64 s[10:11], -1
	v_ldexp_f32 v1, v6, v1
	v_bfe_u32 v6, v1, 16, 1
	v_add3_u32 v1, v1, v6, s0
	v_lshrrev_b32_e32 v1, 16, v1
	global_store_dword v[2:3], v1, off
	s_mov_b64 s[0:1], 0
.LBB377_1871:
	s_and_b64 vcc, exec, s[12:13]
	s_cbranch_vccz .LBB377_1876
; %bb.1872:
	s_cmp_eq_u32 s17, 44
	s_mov_b64 s[0:1], -1
	s_cbranch_scc0 .LBB377_1876
; %bb.1873:
	v_xor_b32_e32 v6, v4, v5
	v_ffbh_i32_e32 v1, v5
	v_ashrrev_i32_e32 v6, 31, v6
	v_add_u32_e32 v1, -1, v1
	v_add_u32_e32 v6, 32, v6
	v_min_u32_e32 v1, v1, v6
	v_lshlrev_b64 v[6:7], v1, v[4:5]
	v_min_u32_e32 v6, 1, v6
	v_or_b32_e32 v6, v7, v6
	v_cvt_f32_i32_e32 v6, v6
	v_sub_u32_e32 v1, 32, v1
	s_movk_i32 s0, 0xff
	v_mov_b32_e32 v7, 0xff
	v_ldexp_f32 v1, v6, v1
	v_bfe_u32 v6, v1, 23, 8
	v_cmp_ne_u32_e32 vcc, s0, v6
	s_and_saveexec_b64 s[10:11], vcc
; %bb.1874:
	s_mov_b32 s0, 0x3fffff
	v_lshrrev_b32_e32 v7, 23, v1
	v_and_b32_e32 v8, 0x400000, v1
	v_and_or_b32 v1, v1, s0, v6
	v_cmp_ne_u32_e32 vcc, 0, v8
	v_cmp_ne_u32_e64 s[0:1], 0, v1
	s_and_b64 s[0:1], vcc, s[0:1]
	s_nop 0
	v_cndmask_b32_e64 v1, 0, 1, s[0:1]
	v_add_u32_e32 v7, v7, v1
; %bb.1875:
	s_or_b64 exec, exec, s[10:11]
	s_mov_b64 s[0:1], 0
	s_mov_b64 s[10:11], -1
	global_store_byte v[2:3], v7, off
.LBB377_1876:
	s_mov_b64 s[12:13], 0
.LBB377_1877:
	s_and_b64 vcc, exec, s[12:13]
	s_cbranch_vccz .LBB377_1880
; %bb.1878:
	s_cmp_eq_u32 s17, 29
	s_mov_b64 s[0:1], -1
	s_cbranch_scc0 .LBB377_1880
; %bb.1879:
	global_store_dwordx2 v[2:3], v[4:5], off
	s_mov_b64 s[0:1], 0
	s_mov_b64 s[10:11], -1
.LBB377_1880:
	s_mov_b64 s[12:13], 0
.LBB377_1881:
	s_and_b64 vcc, exec, s[12:13]
	s_cbranch_vccz .LBB377_1897
; %bb.1882:
	s_cmp_lt_i32 s17, 27
	s_mov_b64 s[10:11], -1
	s_cbranch_scc1 .LBB377_1888
; %bb.1883:
	s_cmp_gt_i32 s17, 27
	s_cbranch_scc0 .LBB377_1885
; %bb.1884:
	s_mov_b64 s[10:11], 0
	global_store_dword v[2:3], v4, off
.LBB377_1885:
	s_andn2_b64 vcc, exec, s[10:11]
	s_cbranch_vccnz .LBB377_1887
; %bb.1886:
	global_store_short v[2:3], v4, off
.LBB377_1887:
	s_mov_b64 s[10:11], 0
.LBB377_1888:
	s_andn2_b64 vcc, exec, s[10:11]
	s_cbranch_vccnz .LBB377_1896
; %bb.1889:
	v_xor_b32_e32 v6, v4, v5
	v_ffbh_i32_e32 v1, v5
	v_ashrrev_i32_e32 v6, 31, v6
	v_add_u32_e32 v1, -1, v1
	v_add_u32_e32 v6, 32, v6
	v_min_u32_e32 v1, v1, v6
	v_lshlrev_b64 v[6:7], v1, v[4:5]
	v_min_u32_e32 v6, 1, v6
	v_or_b32_e32 v6, v7, v6
	v_cvt_f32_i32_e32 v6, v6
	v_sub_u32_e32 v1, 32, v1
	s_mov_b32 s10, 0x43800000
	v_mov_b32_e32 v7, 0x80
	v_ldexp_f32 v1, v6, v1
	v_and_b32_e32 v6, 0x7fffffff, v1
	v_cmp_gt_u32_e32 vcc, s10, v6
	s_and_saveexec_b64 s[10:11], vcc
	s_cbranch_execz .LBB377_1895
; %bb.1890:
	s_mov_b32 s12, 0x3bffffff
	v_cmp_lt_u32_e32 vcc, s12, v6
	s_mov_b64 s[12:13], 0
                                        ; implicit-def: $vgpr6
	s_and_saveexec_b64 s[14:15], vcc
	s_xor_b64 s[14:15], exec, s[14:15]
	s_cbranch_execz .LBB377_2116
; %bb.1891:
	v_bfe_u32 v6, v1, 20, 1
	s_mov_b32 s18, 0x487ffff
	v_add3_u32 v6, v1, v6, s18
	s_mov_b64 s[12:13], exec
	v_lshrrev_b32_e32 v6, 20, v6
	s_andn2_saveexec_b64 s[14:15], s[14:15]
	s_cbranch_execnz .LBB377_2117
.LBB377_1892:
	s_or_b64 exec, exec, s[14:15]
	v_mov_b32_e32 v7, 0
	s_and_saveexec_b64 s[14:15], s[12:13]
.LBB377_1893:
	v_lshrrev_b32_e32 v1, 24, v1
	s_movk_i32 s12, 0x80
	v_and_or_b32 v7, v1, s12, v6
.LBB377_1894:
	s_or_b64 exec, exec, s[14:15]
.LBB377_1895:
	s_or_b64 exec, exec, s[10:11]
	global_store_byte v[2:3], v7, off
.LBB377_1896:
	s_mov_b64 s[10:11], -1
.LBB377_1897:
	s_mov_b64 s[12:13], 0
.LBB377_1898:
	s_and_b64 vcc, exec, s[12:13]
	s_cbranch_vccz .LBB377_1938
; %bb.1899:
	s_cmp_gt_i32 s17, 22
	s_mov_b64 s[8:9], -1
	s_cbranch_scc0 .LBB377_1931
; %bb.1900:
	s_cmp_lt_i32 s17, 24
	s_cbranch_scc1 .LBB377_1920
; %bb.1901:
	s_cmp_gt_i32 s17, 24
	s_cbranch_scc0 .LBB377_1909
; %bb.1902:
	v_xor_b32_e32 v6, v4, v5
	v_ffbh_i32_e32 v1, v5
	v_ashrrev_i32_e32 v6, 31, v6
	v_add_u32_e32 v1, -1, v1
	v_add_u32_e32 v6, 32, v6
	v_min_u32_e32 v1, v1, v6
	v_lshlrev_b64 v[6:7], v1, v[4:5]
	v_min_u32_e32 v6, 1, v6
	v_or_b32_e32 v6, v7, v6
	v_cvt_f32_i32_e32 v6, v6
	v_sub_u32_e32 v1, 32, v1
	s_mov_b32 s8, 0x47800000
	v_mov_b32_e32 v7, 0x80
	v_ldexp_f32 v1, v6, v1
	v_and_b32_e32 v6, 0x7fffffff, v1
	v_cmp_gt_u32_e32 vcc, s8, v6
	s_and_saveexec_b64 s[8:9], vcc
	s_cbranch_execz .LBB377_1908
; %bb.1903:
	s_mov_b32 s10, 0x37ffffff
	v_cmp_lt_u32_e32 vcc, s10, v6
	s_mov_b64 s[10:11], 0
                                        ; implicit-def: $vgpr6
	s_and_saveexec_b64 s[12:13], vcc
	s_xor_b64 s[12:13], exec, s[12:13]
	s_cbranch_execz .LBB377_2119
; %bb.1904:
	v_bfe_u32 v6, v1, 21, 1
	s_mov_b32 s14, 0x88fffff
	v_add3_u32 v6, v1, v6, s14
	s_mov_b64 s[10:11], exec
	v_lshrrev_b32_e32 v6, 21, v6
	s_andn2_saveexec_b64 s[12:13], s[12:13]
	s_cbranch_execnz .LBB377_2120
.LBB377_1905:
	s_or_b64 exec, exec, s[12:13]
	v_mov_b32_e32 v7, 0
	s_and_saveexec_b64 s[12:13], s[10:11]
.LBB377_1906:
	v_lshrrev_b32_e32 v1, 24, v1
	s_movk_i32 s10, 0x80
	v_and_or_b32 v7, v1, s10, v6
.LBB377_1907:
	s_or_b64 exec, exec, s[12:13]
.LBB377_1908:
	s_or_b64 exec, exec, s[8:9]
	s_mov_b64 s[8:9], 0
	global_store_byte v[2:3], v7, off
.LBB377_1909:
	s_and_b64 vcc, exec, s[8:9]
	s_cbranch_vccz .LBB377_1919
; %bb.1910:
	v_xor_b32_e32 v6, v4, v5
	v_ffbh_i32_e32 v1, v5
	v_ashrrev_i32_e32 v6, 31, v6
	v_add_u32_e32 v1, -1, v1
	v_add_u32_e32 v6, 32, v6
	v_min_u32_e32 v1, v1, v6
	v_lshlrev_b64 v[6:7], v1, v[4:5]
	v_min_u32_e32 v6, 1, v6
	v_or_b32_e32 v6, v7, v6
	v_cvt_f32_i32_e32 v6, v6
	v_sub_u32_e32 v1, 32, v1
	s_mov_b32 s8, 0x43f00000
	v_ldexp_f32 v1, v6, v1
	v_and_b32_e32 v7, 0x7fffffff, v1
	v_cmp_gt_u32_e32 vcc, s8, v7
                                        ; implicit-def: $vgpr6
	s_and_saveexec_b64 s[8:9], vcc
	s_xor_b64 s[8:9], exec, s[8:9]
	s_cbranch_execz .LBB377_1916
; %bb.1911:
	s_mov_b32 s10, 0x3c7fffff
	v_cmp_lt_u32_e32 vcc, s10, v7
                                        ; implicit-def: $vgpr6
	s_and_saveexec_b64 s[10:11], vcc
	s_xor_b64 s[10:11], exec, s[10:11]
; %bb.1912:
	v_bfe_u32 v6, v1, 20, 1
	s_mov_b32 s12, 0x407ffff
	v_add3_u32 v6, v1, v6, s12
	v_lshrrev_b32_e32 v7, 20, v6
	v_and_b32_e32 v6, 0xff00000, v6
	s_mov_b32 s12, 0x7f00000
	v_mov_b32_e32 v8, 0x7e
	v_cmp_ne_u32_e32 vcc, s12, v6
	s_nop 1
	v_cndmask_b32_e32 v6, v8, v7, vcc
; %bb.1913:
	s_andn2_saveexec_b64 s[10:11], s[10:11]
; %bb.1914:
	s_mov_b32 s12, 0x46800000
	v_add_f32_e64 v6, |v1|, s12
; %bb.1915:
	s_or_b64 exec, exec, s[10:11]
                                        ; implicit-def: $vgpr7
.LBB377_1916:
	s_andn2_saveexec_b64 s[8:9], s[8:9]
; %bb.1917:
	s_mov_b32 s10, 0x7f800000
	v_mov_b32_e32 v6, 0x7e
	v_mov_b32_e32 v8, 0x7f
	v_cmp_lt_u32_e32 vcc, s10, v7
	s_nop 1
	v_cndmask_b32_e32 v6, v6, v8, vcc
; %bb.1918:
	s_or_b64 exec, exec, s[8:9]
	v_lshrrev_b32_e32 v1, 24, v1
	s_movk_i32 s8, 0x80
	v_and_or_b32 v1, v1, s8, v6
	global_store_byte v[2:3], v1, off
.LBB377_1919:
	s_mov_b64 s[8:9], 0
.LBB377_1920:
	s_andn2_b64 vcc, exec, s[8:9]
	s_cbranch_vccnz .LBB377_1930
; %bb.1921:
	v_xor_b32_e32 v6, v4, v5
	v_ffbh_i32_e32 v1, v5
	v_ashrrev_i32_e32 v6, 31, v6
	v_add_u32_e32 v1, -1, v1
	v_add_u32_e32 v6, 32, v6
	v_min_u32_e32 v1, v1, v6
	v_lshlrev_b64 v[6:7], v1, v[4:5]
	v_min_u32_e32 v6, 1, v6
	v_or_b32_e32 v6, v7, v6
	v_cvt_f32_i32_e32 v6, v6
	v_sub_u32_e32 v1, 32, v1
	s_mov_b32 s8, 0x47800000
	v_ldexp_f32 v1, v6, v1
	v_and_b32_e32 v7, 0x7fffffff, v1
	v_cmp_gt_u32_e32 vcc, s8, v7
                                        ; implicit-def: $vgpr6
	s_and_saveexec_b64 s[8:9], vcc
	s_xor_b64 s[8:9], exec, s[8:9]
	s_cbranch_execz .LBB377_1927
; %bb.1922:
	s_mov_b32 s10, 0x387fffff
	v_cmp_lt_u32_e32 vcc, s10, v7
                                        ; implicit-def: $vgpr6
	s_and_saveexec_b64 s[10:11], vcc
	s_xor_b64 s[10:11], exec, s[10:11]
; %bb.1923:
	v_bfe_u32 v6, v1, 21, 1
	s_mov_b32 s12, 0x80fffff
	v_add3_u32 v6, v1, v6, s12
	v_lshrrev_b32_e32 v6, 21, v6
; %bb.1924:
	s_andn2_saveexec_b64 s[10:11], s[10:11]
; %bb.1925:
	s_mov_b32 s12, 0x43000000
	v_add_f32_e64 v6, |v1|, s12
; %bb.1926:
	s_or_b64 exec, exec, s[10:11]
                                        ; implicit-def: $vgpr7
.LBB377_1927:
	s_andn2_saveexec_b64 s[8:9], s[8:9]
; %bb.1928:
	s_mov_b32 s10, 0x7f800000
	v_mov_b32_e32 v6, 0x7c
	v_mov_b32_e32 v8, 0x7f
	v_cmp_lt_u32_e32 vcc, s10, v7
	s_nop 1
	v_cndmask_b32_e32 v6, v6, v8, vcc
; %bb.1929:
	s_or_b64 exec, exec, s[8:9]
	v_lshrrev_b32_e32 v1, 24, v1
	s_movk_i32 s8, 0x80
	v_and_or_b32 v1, v1, s8, v6
	global_store_byte v[2:3], v1, off
.LBB377_1930:
	s_mov_b64 s[8:9], 0
	s_mov_b64 s[10:11], -1
.LBB377_1931:
	s_andn2_b64 vcc, exec, s[8:9]
	s_mov_b64 s[8:9], 0
	s_cbranch_vccnz .LBB377_1938
; %bb.1932:
	s_cmp_gt_i32 s17, 14
	s_mov_b64 s[12:13], -1
	s_cbranch_scc0 .LBB377_1936
; %bb.1933:
	s_cmp_eq_u32 s17, 15
	s_mov_b64 s[0:1], -1
	s_cbranch_scc0 .LBB377_1935
; %bb.1934:
	v_xor_b32_e32 v6, v4, v5
	v_ffbh_i32_e32 v1, v5
	v_ashrrev_i32_e32 v6, 31, v6
	v_add_u32_e32 v1, -1, v1
	v_add_u32_e32 v6, 32, v6
	v_min_u32_e32 v1, v1, v6
	v_lshlrev_b64 v[6:7], v1, v[4:5]
	v_min_u32_e32 v6, 1, v6
	v_or_b32_e32 v6, v7, v6
	v_cvt_f32_i32_e32 v6, v6
	v_sub_u32_e32 v1, 32, v1
	s_movk_i32 s0, 0x7fff
	s_mov_b64 s[10:11], -1
	v_ldexp_f32 v1, v6, v1
	v_bfe_u32 v6, v1, 16, 1
	v_add3_u32 v1, v1, v6, s0
	global_store_short_d16_hi v[2:3], v1, off
	s_mov_b64 s[0:1], 0
.LBB377_1935:
	s_mov_b64 s[12:13], 0
.LBB377_1936:
	s_and_b64 vcc, exec, s[12:13]
	s_cbranch_vccz .LBB377_1938
; %bb.1937:
	s_cmp_lg_u32 s17, 11
	s_mov_b64 s[8:9], -1
	s_cselect_b64 s[0:1], -1, 0
.LBB377_1938:
	s_and_b64 vcc, exec, s[0:1]
	s_cbranch_vccnz .LBB377_2118
; %bb.1939:
	s_andn2_b64 vcc, exec, s[8:9]
	s_cbranch_vccnz .LBB377_1941
.LBB377_1940:
	v_cmp_ne_u64_e32 vcc, 0, v[4:5]
	s_mov_b64 s[10:11], -1
	s_nop 0
	v_cndmask_b32_e64 v1, 0, 1, vcc
	global_store_byte v[2:3], v1, off
.LBB377_1941:
	s_mov_b64 s[0:1], 0
	s_branch .LBB377_1943
.LBB377_1942:
	s_mov_b64 s[0:1], -1
	s_mov_b64 s[10:11], 0
.LBB377_1943:
	s_and_b64 vcc, exec, s[0:1]
	s_cbranch_vccz .LBB377_1982
; %bb.1944:
	s_cmp_lt_i32 s17, 5
	s_mov_b64 s[0:1], -1
	s_cbranch_scc1 .LBB377_1965
; %bb.1945:
	s_cmp_lt_i32 s17, 8
	s_cbranch_scc1 .LBB377_1955
; %bb.1946:
	s_cmp_lt_i32 s17, 9
	s_cbranch_scc1 .LBB377_1952
; %bb.1947:
	s_cmp_gt_i32 s17, 9
	s_cbranch_scc0 .LBB377_1949
; %bb.1948:
	v_cvt_f64_i32_e32 v[6:7], v5
	v_ldexp_f64 v[6:7], v[6:7], 32
	v_cvt_f64_u32_e32 v[8:9], v4
	v_add_f64 v[6:7], v[6:7], v[8:9]
	v_mov_b32_e32 v8, 0
	v_mov_b32_e32 v9, v8
	global_store_dwordx4 v[2:3], v[6:9], off
	s_mov_b64 s[0:1], 0
.LBB377_1949:
	s_andn2_b64 vcc, exec, s[0:1]
	s_cbranch_vccnz .LBB377_1951
; %bb.1950:
	v_xor_b32_e32 v6, v4, v5
	v_ffbh_i32_e32 v1, v5
	v_ashrrev_i32_e32 v6, 31, v6
	v_add_u32_e32 v1, -1, v1
	v_add_u32_e32 v6, 32, v6
	v_min_u32_e32 v1, v1, v6
	v_lshlrev_b64 v[6:7], v1, v[4:5]
	v_min_u32_e32 v6, 1, v6
	v_or_b32_e32 v6, v7, v6
	v_cvt_f32_i32_e32 v6, v6
	v_sub_u32_e32 v1, 32, v1
	v_mov_b32_e32 v7, 0
	v_ldexp_f32 v6, v6, v1
	global_store_dwordx2 v[2:3], v[6:7], off
.LBB377_1951:
	s_mov_b64 s[0:1], 0
.LBB377_1952:
	s_andn2_b64 vcc, exec, s[0:1]
	s_cbranch_vccnz .LBB377_1954
; %bb.1953:
	v_xor_b32_e32 v6, v4, v5
	v_ffbh_i32_e32 v1, v5
	v_ashrrev_i32_e32 v6, 31, v6
	v_add_u32_e32 v1, -1, v1
	v_add_u32_e32 v6, 32, v6
	v_min_u32_e32 v1, v1, v6
	v_lshlrev_b64 v[6:7], v1, v[4:5]
	v_min_u32_e32 v6, 1, v6
	v_or_b32_e32 v6, v7, v6
	v_cvt_f32_i32_e32 v6, v6
	v_sub_u32_e32 v1, 32, v1
	v_ldexp_f32 v1, v6, v1
	v_cvt_f16_f32_e32 v1, v1
	global_store_dword v[2:3], v1, off
.LBB377_1954:
	s_mov_b64 s[0:1], 0
.LBB377_1955:
	s_andn2_b64 vcc, exec, s[0:1]
	s_cbranch_vccnz .LBB377_1964
; %bb.1956:
	s_cmp_lt_i32 s17, 6
	s_mov_b64 s[0:1], -1
	s_cbranch_scc1 .LBB377_1962
; %bb.1957:
	s_cmp_gt_i32 s17, 6
	s_cbranch_scc0 .LBB377_1959
; %bb.1958:
	v_cvt_f64_i32_e32 v[6:7], v5
	v_ldexp_f64 v[6:7], v[6:7], 32
	v_cvt_f64_u32_e32 v[8:9], v4
	v_add_f64 v[6:7], v[6:7], v[8:9]
	global_store_dwordx2 v[2:3], v[6:7], off
	s_mov_b64 s[0:1], 0
.LBB377_1959:
	s_andn2_b64 vcc, exec, s[0:1]
	s_cbranch_vccnz .LBB377_1961
; %bb.1960:
	v_xor_b32_e32 v6, v4, v5
	v_ffbh_i32_e32 v1, v5
	v_ashrrev_i32_e32 v6, 31, v6
	v_add_u32_e32 v1, -1, v1
	v_add_u32_e32 v6, 32, v6
	v_min_u32_e32 v1, v1, v6
	v_lshlrev_b64 v[6:7], v1, v[4:5]
	v_min_u32_e32 v6, 1, v6
	v_or_b32_e32 v6, v7, v6
	v_cvt_f32_i32_e32 v6, v6
	v_sub_u32_e32 v1, 32, v1
	v_ldexp_f32 v1, v6, v1
	global_store_dword v[2:3], v1, off
.LBB377_1961:
	s_mov_b64 s[0:1], 0
.LBB377_1962:
	s_andn2_b64 vcc, exec, s[0:1]
	s_cbranch_vccnz .LBB377_1964
; %bb.1963:
	v_xor_b32_e32 v6, v4, v5
	v_ffbh_i32_e32 v1, v5
	v_ashrrev_i32_e32 v6, 31, v6
	v_add_u32_e32 v1, -1, v1
	v_add_u32_e32 v6, 32, v6
	v_min_u32_e32 v1, v1, v6
	v_lshlrev_b64 v[6:7], v1, v[4:5]
	v_min_u32_e32 v6, 1, v6
	v_or_b32_e32 v6, v7, v6
	v_cvt_f32_i32_e32 v6, v6
	v_sub_u32_e32 v1, 32, v1
	v_ldexp_f32 v1, v6, v1
	v_cvt_f16_f32_e32 v1, v1
	global_store_short v[2:3], v1, off
.LBB377_1964:
	s_mov_b64 s[0:1], 0
.LBB377_1965:
	s_andn2_b64 vcc, exec, s[0:1]
	s_cbranch_vccnz .LBB377_1981
; %bb.1966:
	s_cmp_lt_i32 s17, 2
	s_mov_b64 s[0:1], -1
	s_cbranch_scc1 .LBB377_1976
; %bb.1967:
	s_cmp_lt_i32 s17, 3
	s_cbranch_scc1 .LBB377_1973
; %bb.1968:
	s_cmp_gt_i32 s17, 3
	s_cbranch_scc0 .LBB377_1970
; %bb.1969:
	global_store_dwordx2 v[2:3], v[4:5], off
	s_mov_b64 s[0:1], 0
.LBB377_1970:
	s_andn2_b64 vcc, exec, s[0:1]
	s_cbranch_vccnz .LBB377_1972
; %bb.1971:
	global_store_dword v[2:3], v4, off
.LBB377_1972:
	s_mov_b64 s[0:1], 0
.LBB377_1973:
	s_andn2_b64 vcc, exec, s[0:1]
	s_cbranch_vccnz .LBB377_1975
; %bb.1974:
	global_store_short v[2:3], v4, off
.LBB377_1975:
	s_mov_b64 s[0:1], 0
.LBB377_1976:
	s_andn2_b64 vcc, exec, s[0:1]
	s_cbranch_vccnz .LBB377_1981
; %bb.1977:
	s_cmp_gt_i32 s17, 0
	s_mov_b64 s[0:1], -1
	s_cbranch_scc0 .LBB377_1979
; %bb.1978:
	global_store_byte v[2:3], v4, off
	s_mov_b64 s[0:1], 0
.LBB377_1979:
	s_andn2_b64 vcc, exec, s[0:1]
	s_cbranch_vccnz .LBB377_1981
; %bb.1980:
	global_store_byte v[2:3], v4, off
.LBB377_1981:
	s_mov_b64 s[10:11], -1
.LBB377_1982:
	s_andn2_b64 vcc, exec, s[10:11]
	s_cbranch_vccnz .LBB377_2059
; %bb.1983:
	v_mov_b32_e32 v1, s7
	v_cmp_lt_i64_e32 vcc, s[6:7], v[14:15]
	s_cmp_lt_i32 s17, 11
	s_nop 0
	v_cndmask_b32_e32 v3, v1, v15, vcc
	v_mov_b32_e32 v1, s6
	v_cndmask_b32_e32 v2, v1, v14, vcc
	v_mov_b32_e32 v1, 0
	v_lshl_add_u64 v[0:1], s[4:5], 0, v[0:1]
	s_cbranch_scc1 .LBB377_2104
; %bb.1984:
	s_mov_b64 s[6:7], -1
	s_mov_b64 s[4:5], 0
	s_cmp_gt_i32 s17, 25
	s_mov_b64 s[0:1], 0
	s_cbranch_scc0 .LBB377_2017
; %bb.1985:
	s_cmp_gt_i32 s17, 28
	s_cbranch_scc0 .LBB377_2001
; %bb.1986:
	s_cmp_gt_i32 s17, 43
	;; [unrolled: 3-line block ×3, first 2 shown]
	s_cbranch_scc0 .LBB377_1991
; %bb.1988:
	s_cmp_eq_u32 s17, 46
	s_mov_b64 s[0:1], -1
	s_cbranch_scc0 .LBB377_1990
; %bb.1989:
	v_xor_b32_e32 v5, v2, v3
	v_ffbh_i32_e32 v4, v3
	v_ashrrev_i32_e32 v5, 31, v5
	v_add_u32_e32 v4, -1, v4
	v_add_u32_e32 v5, 32, v5
	v_min_u32_e32 v6, v4, v5
	v_lshlrev_b64 v[4:5], v6, v[2:3]
	v_min_u32_e32 v4, 1, v4
	v_or_b32_e32 v4, v5, v4
	v_cvt_f32_i32_e32 v4, v4
	v_sub_u32_e32 v5, 32, v6
	s_movk_i32 s0, 0x7fff
	v_ldexp_f32 v4, v4, v5
	v_bfe_u32 v5, v4, 16, 1
	v_add3_u32 v4, v4, v5, s0
	v_lshrrev_b32_e32 v4, 16, v4
	global_store_dword v[0:1], v4, off
	s_mov_b64 s[0:1], 0
.LBB377_1990:
	s_mov_b64 s[6:7], 0
.LBB377_1991:
	s_and_b64 vcc, exec, s[6:7]
	s_cbranch_vccz .LBB377_1996
; %bb.1992:
	s_cmp_eq_u32 s17, 44
	s_mov_b64 s[0:1], -1
	s_cbranch_scc0 .LBB377_1996
; %bb.1993:
	v_xor_b32_e32 v5, v2, v3
	v_ffbh_i32_e32 v4, v3
	v_ashrrev_i32_e32 v5, 31, v5
	v_add_u32_e32 v4, -1, v4
	v_add_u32_e32 v5, 32, v5
	v_min_u32_e32 v6, v4, v5
	v_lshlrev_b64 v[4:5], v6, v[2:3]
	v_min_u32_e32 v4, 1, v4
	v_or_b32_e32 v4, v5, v4
	v_cvt_f32_i32_e32 v4, v4
	v_sub_u32_e32 v5, 32, v6
	s_movk_i32 s0, 0xff
	v_mov_b32_e32 v6, 0xff
	v_ldexp_f32 v4, v4, v5
	v_bfe_u32 v5, v4, 23, 8
	v_cmp_ne_u32_e32 vcc, s0, v5
	s_and_saveexec_b64 s[6:7], vcc
; %bb.1994:
	s_mov_b32 s0, 0x3fffff
	v_lshrrev_b32_e32 v6, 23, v4
	v_and_b32_e32 v7, 0x400000, v4
	v_and_or_b32 v4, v4, s0, v5
	v_cmp_ne_u32_e32 vcc, 0, v7
	v_cmp_ne_u32_e64 s[0:1], 0, v4
	s_and_b64 s[0:1], vcc, s[0:1]
	s_nop 0
	v_cndmask_b32_e64 v4, 0, 1, s[0:1]
	v_add_u32_e32 v6, v6, v4
; %bb.1995:
	s_or_b64 exec, exec, s[6:7]
	s_mov_b64 s[0:1], 0
	global_store_byte v[0:1], v6, off
.LBB377_1996:
	s_mov_b64 s[6:7], 0
.LBB377_1997:
	s_and_b64 vcc, exec, s[6:7]
	s_cbranch_vccz .LBB377_2000
; %bb.1998:
	s_cmp_eq_u32 s17, 29
	s_mov_b64 s[0:1], -1
	s_cbranch_scc0 .LBB377_2000
; %bb.1999:
	global_store_dwordx2 v[0:1], v[2:3], off
	s_mov_b64 s[0:1], 0
.LBB377_2000:
	s_mov_b64 s[6:7], 0
.LBB377_2001:
	s_and_b64 vcc, exec, s[6:7]
	s_cbranch_vccz .LBB377_2016
; %bb.2002:
	s_cmp_lt_i32 s17, 27
	s_mov_b64 s[6:7], -1
	s_cbranch_scc1 .LBB377_2008
; %bb.2003:
	s_cmp_gt_i32 s17, 27
	s_cbranch_scc0 .LBB377_2005
; %bb.2004:
	global_store_dword v[0:1], v2, off
	s_mov_b64 s[6:7], 0
.LBB377_2005:
	s_andn2_b64 vcc, exec, s[6:7]
	s_cbranch_vccnz .LBB377_2007
; %bb.2006:
	global_store_short v[0:1], v2, off
.LBB377_2007:
	s_mov_b64 s[6:7], 0
.LBB377_2008:
	s_andn2_b64 vcc, exec, s[6:7]
	s_cbranch_vccnz .LBB377_2016
; %bb.2009:
	v_xor_b32_e32 v5, v2, v3
	v_ffbh_i32_e32 v4, v3
	v_ashrrev_i32_e32 v5, 31, v5
	v_add_u32_e32 v4, -1, v4
	v_add_u32_e32 v5, 32, v5
	v_min_u32_e32 v6, v4, v5
	v_lshlrev_b64 v[4:5], v6, v[2:3]
	v_min_u32_e32 v4, 1, v4
	v_or_b32_e32 v4, v5, v4
	v_cvt_f32_i32_e32 v4, v4
	v_sub_u32_e32 v5, 32, v6
	s_mov_b32 s6, 0x43800000
	v_mov_b32_e32 v6, 0x80
	v_ldexp_f32 v4, v4, v5
	v_and_b32_e32 v5, 0x7fffffff, v4
	v_cmp_gt_u32_e32 vcc, s6, v5
	s_and_saveexec_b64 s[6:7], vcc
	s_cbranch_execz .LBB377_2015
; %bb.2010:
	s_mov_b32 s8, 0x3bffffff
	v_cmp_lt_u32_e32 vcc, s8, v5
	s_mov_b64 s[8:9], 0
                                        ; implicit-def: $vgpr5
	s_and_saveexec_b64 s[10:11], vcc
	s_xor_b64 s[10:11], exec, s[10:11]
	s_cbranch_execz .LBB377_2121
; %bb.2011:
	v_bfe_u32 v5, v4, 20, 1
	s_mov_b32 s12, 0x487ffff
	v_add3_u32 v5, v4, v5, s12
	s_mov_b64 s[8:9], exec
	v_lshrrev_b32_e32 v5, 20, v5
	s_andn2_saveexec_b64 s[10:11], s[10:11]
	s_cbranch_execnz .LBB377_2122
.LBB377_2012:
	s_or_b64 exec, exec, s[10:11]
	v_mov_b32_e32 v6, 0
	s_and_saveexec_b64 s[10:11], s[8:9]
.LBB377_2013:
	v_lshrrev_b32_e32 v4, 24, v4
	s_movk_i32 s8, 0x80
	v_and_or_b32 v6, v4, s8, v5
.LBB377_2014:
	s_or_b64 exec, exec, s[10:11]
.LBB377_2015:
	s_or_b64 exec, exec, s[6:7]
	global_store_byte v[0:1], v6, off
.LBB377_2016:
	s_mov_b64 s[6:7], 0
.LBB377_2017:
	s_and_b64 vcc, exec, s[6:7]
	s_cbranch_vccz .LBB377_2057
; %bb.2018:
	s_cmp_gt_i32 s17, 22
	s_mov_b64 s[4:5], -1
	s_cbranch_scc0 .LBB377_2050
; %bb.2019:
	s_cmp_lt_i32 s17, 24
	s_cbranch_scc1 .LBB377_2039
; %bb.2020:
	s_cmp_gt_i32 s17, 24
	s_cbranch_scc0 .LBB377_2028
; %bb.2021:
	v_xor_b32_e32 v5, v2, v3
	v_ffbh_i32_e32 v4, v3
	v_ashrrev_i32_e32 v5, 31, v5
	v_add_u32_e32 v4, -1, v4
	v_add_u32_e32 v5, 32, v5
	v_min_u32_e32 v6, v4, v5
	v_lshlrev_b64 v[4:5], v6, v[2:3]
	v_min_u32_e32 v4, 1, v4
	v_or_b32_e32 v4, v5, v4
	v_cvt_f32_i32_e32 v4, v4
	v_sub_u32_e32 v5, 32, v6
	s_mov_b32 s4, 0x47800000
	v_mov_b32_e32 v6, 0x80
	v_ldexp_f32 v4, v4, v5
	v_and_b32_e32 v5, 0x7fffffff, v4
	v_cmp_gt_u32_e32 vcc, s4, v5
	s_and_saveexec_b64 s[4:5], vcc
	s_cbranch_execz .LBB377_2027
; %bb.2022:
	s_mov_b32 s6, 0x37ffffff
	v_cmp_lt_u32_e32 vcc, s6, v5
	s_mov_b64 s[6:7], 0
                                        ; implicit-def: $vgpr5
	s_and_saveexec_b64 s[8:9], vcc
	s_xor_b64 s[8:9], exec, s[8:9]
	s_cbranch_execz .LBB377_2124
; %bb.2023:
	v_bfe_u32 v5, v4, 21, 1
	s_mov_b32 s10, 0x88fffff
	v_add3_u32 v5, v4, v5, s10
	s_mov_b64 s[6:7], exec
	v_lshrrev_b32_e32 v5, 21, v5
	s_andn2_saveexec_b64 s[8:9], s[8:9]
	s_cbranch_execnz .LBB377_2125
.LBB377_2024:
	s_or_b64 exec, exec, s[8:9]
	v_mov_b32_e32 v6, 0
	s_and_saveexec_b64 s[8:9], s[6:7]
.LBB377_2025:
	v_lshrrev_b32_e32 v4, 24, v4
	s_movk_i32 s6, 0x80
	v_and_or_b32 v6, v4, s6, v5
.LBB377_2026:
	s_or_b64 exec, exec, s[8:9]
.LBB377_2027:
	s_or_b64 exec, exec, s[4:5]
	s_mov_b64 s[4:5], 0
	global_store_byte v[0:1], v6, off
.LBB377_2028:
	s_and_b64 vcc, exec, s[4:5]
	s_cbranch_vccz .LBB377_2038
; %bb.2029:
	v_xor_b32_e32 v5, v2, v3
	v_ffbh_i32_e32 v4, v3
	v_ashrrev_i32_e32 v5, 31, v5
	v_add_u32_e32 v4, -1, v4
	v_add_u32_e32 v5, 32, v5
	v_min_u32_e32 v6, v4, v5
	v_lshlrev_b64 v[4:5], v6, v[2:3]
	v_min_u32_e32 v4, 1, v4
	v_or_b32_e32 v4, v5, v4
	v_cvt_f32_i32_e32 v4, v4
	v_sub_u32_e32 v5, 32, v6
	s_mov_b32 s4, 0x43f00000
	v_ldexp_f32 v4, v4, v5
	v_and_b32_e32 v6, 0x7fffffff, v4
	v_cmp_gt_u32_e32 vcc, s4, v6
                                        ; implicit-def: $vgpr5
	s_and_saveexec_b64 s[4:5], vcc
	s_xor_b64 s[4:5], exec, s[4:5]
	s_cbranch_execz .LBB377_2035
; %bb.2030:
	s_mov_b32 s6, 0x3c7fffff
	v_cmp_lt_u32_e32 vcc, s6, v6
                                        ; implicit-def: $vgpr5
	s_and_saveexec_b64 s[6:7], vcc
	s_xor_b64 s[6:7], exec, s[6:7]
; %bb.2031:
	v_bfe_u32 v5, v4, 20, 1
	s_mov_b32 s8, 0x407ffff
	v_add3_u32 v5, v4, v5, s8
	v_lshrrev_b32_e32 v6, 20, v5
	v_and_b32_e32 v5, 0xff00000, v5
	s_mov_b32 s8, 0x7f00000
	v_mov_b32_e32 v7, 0x7e
	v_cmp_ne_u32_e32 vcc, s8, v5
	s_nop 1
	v_cndmask_b32_e32 v5, v7, v6, vcc
; %bb.2032:
	s_andn2_saveexec_b64 s[6:7], s[6:7]
; %bb.2033:
	s_mov_b32 s8, 0x46800000
	v_add_f32_e64 v5, |v4|, s8
; %bb.2034:
	s_or_b64 exec, exec, s[6:7]
                                        ; implicit-def: $vgpr6
.LBB377_2035:
	s_andn2_saveexec_b64 s[4:5], s[4:5]
; %bb.2036:
	s_mov_b32 s6, 0x7f800000
	v_mov_b32_e32 v5, 0x7e
	v_mov_b32_e32 v7, 0x7f
	v_cmp_lt_u32_e32 vcc, s6, v6
	s_nop 1
	v_cndmask_b32_e32 v5, v5, v7, vcc
; %bb.2037:
	s_or_b64 exec, exec, s[4:5]
	v_lshrrev_b32_e32 v4, 24, v4
	s_movk_i32 s4, 0x80
	v_and_or_b32 v4, v4, s4, v5
	global_store_byte v[0:1], v4, off
.LBB377_2038:
	s_mov_b64 s[4:5], 0
.LBB377_2039:
	s_andn2_b64 vcc, exec, s[4:5]
	s_cbranch_vccnz .LBB377_2049
; %bb.2040:
	v_xor_b32_e32 v5, v2, v3
	v_ffbh_i32_e32 v4, v3
	v_ashrrev_i32_e32 v5, 31, v5
	v_add_u32_e32 v4, -1, v4
	v_add_u32_e32 v5, 32, v5
	v_min_u32_e32 v6, v4, v5
	v_lshlrev_b64 v[4:5], v6, v[2:3]
	v_min_u32_e32 v4, 1, v4
	v_or_b32_e32 v4, v5, v4
	v_cvt_f32_i32_e32 v4, v4
	v_sub_u32_e32 v5, 32, v6
	s_mov_b32 s4, 0x47800000
	v_ldexp_f32 v4, v4, v5
	v_and_b32_e32 v6, 0x7fffffff, v4
	v_cmp_gt_u32_e32 vcc, s4, v6
                                        ; implicit-def: $vgpr5
	s_and_saveexec_b64 s[4:5], vcc
	s_xor_b64 s[4:5], exec, s[4:5]
	s_cbranch_execz .LBB377_2046
; %bb.2041:
	s_mov_b32 s6, 0x387fffff
	v_cmp_lt_u32_e32 vcc, s6, v6
                                        ; implicit-def: $vgpr5
	s_and_saveexec_b64 s[6:7], vcc
	s_xor_b64 s[6:7], exec, s[6:7]
; %bb.2042:
	v_bfe_u32 v5, v4, 21, 1
	s_mov_b32 s8, 0x80fffff
	v_add3_u32 v5, v4, v5, s8
	v_lshrrev_b32_e32 v5, 21, v5
; %bb.2043:
	s_andn2_saveexec_b64 s[6:7], s[6:7]
; %bb.2044:
	s_mov_b32 s8, 0x43000000
	v_add_f32_e64 v5, |v4|, s8
; %bb.2045:
	s_or_b64 exec, exec, s[6:7]
                                        ; implicit-def: $vgpr6
.LBB377_2046:
	s_andn2_saveexec_b64 s[4:5], s[4:5]
; %bb.2047:
	s_mov_b32 s6, 0x7f800000
	v_mov_b32_e32 v5, 0x7c
	v_mov_b32_e32 v7, 0x7f
	v_cmp_lt_u32_e32 vcc, s6, v6
	s_nop 1
	v_cndmask_b32_e32 v5, v5, v7, vcc
; %bb.2048:
	s_or_b64 exec, exec, s[4:5]
	v_lshrrev_b32_e32 v4, 24, v4
	s_movk_i32 s4, 0x80
	v_and_or_b32 v4, v4, s4, v5
	global_store_byte v[0:1], v4, off
.LBB377_2049:
	s_mov_b64 s[4:5], 0
.LBB377_2050:
	s_andn2_b64 vcc, exec, s[4:5]
	s_mov_b64 s[4:5], 0
	s_cbranch_vccnz .LBB377_2057
; %bb.2051:
	s_cmp_gt_i32 s17, 14
	s_mov_b64 s[6:7], -1
	s_cbranch_scc0 .LBB377_2055
; %bb.2052:
	s_cmp_eq_u32 s17, 15
	s_mov_b64 s[0:1], -1
	s_cbranch_scc0 .LBB377_2054
; %bb.2053:
	v_xor_b32_e32 v5, v2, v3
	v_ffbh_i32_e32 v4, v3
	v_ashrrev_i32_e32 v5, 31, v5
	v_add_u32_e32 v4, -1, v4
	v_add_u32_e32 v5, 32, v5
	v_min_u32_e32 v6, v4, v5
	v_lshlrev_b64 v[4:5], v6, v[2:3]
	v_min_u32_e32 v4, 1, v4
	v_or_b32_e32 v4, v5, v4
	v_cvt_f32_i32_e32 v4, v4
	v_sub_u32_e32 v5, 32, v6
	s_movk_i32 s0, 0x7fff
	v_ldexp_f32 v4, v4, v5
	v_bfe_u32 v5, v4, 16, 1
	v_add3_u32 v4, v4, v5, s0
	global_store_short_d16_hi v[0:1], v4, off
	s_mov_b64 s[0:1], 0
.LBB377_2054:
	s_mov_b64 s[6:7], 0
.LBB377_2055:
	s_and_b64 vcc, exec, s[6:7]
	s_cbranch_vccz .LBB377_2057
; %bb.2056:
	s_cmp_lg_u32 s17, 11
	s_mov_b64 s[4:5], -1
	s_cselect_b64 s[0:1], -1, 0
.LBB377_2057:
	s_and_b64 vcc, exec, s[0:1]
	s_cbranch_vccnz .LBB377_2123
.LBB377_2058:
	s_mov_b64 s[0:1], 0
	s_branch .LBB377_2060
.LBB377_2059:
	s_mov_b64 s[0:1], 0
	s_mov_b64 s[4:5], 0
                                        ; implicit-def: $vgpr0_vgpr1
                                        ; implicit-def: $sgpr16
                                        ; implicit-def: $vgpr2_vgpr3
.LBB377_2060:
	s_and_b64 s[6:7], s[0:1], exec
	s_andn2_b64 s[0:1], s[24:25], exec
	s_and_b64 s[2:3], s[2:3], exec
	s_and_b64 s[40:41], s[4:5], exec
	s_or_b64 s[24:25], s[0:1], s[2:3]
.LBB377_2061:
	s_or_b64 exec, exec, s[26:27]
	s_and_saveexec_b64 s[0:1], s[24:25]
	s_cbranch_execz .LBB377_2064
; %bb.2062:
	; divergent unreachable
	s_or_b64 exec, exec, s[0:1]
	s_and_saveexec_b64 s[0:1], s[40:41]
	s_xor_b64 s[0:1], exec, s[0:1]
	s_cbranch_execnz .LBB377_2065
.LBB377_2063:
	s_or_b64 exec, exec, s[0:1]
	s_and_saveexec_b64 s[0:1], s[6:7]
	s_cbranch_execnz .LBB377_2066
	s_branch .LBB377_2103
.LBB377_2064:
	s_or_b64 exec, exec, s[0:1]
	s_and_saveexec_b64 s[0:1], s[40:41]
	s_xor_b64 s[0:1], exec, s[0:1]
	s_cbranch_execz .LBB377_2063
.LBB377_2065:
	v_cmp_ne_u64_e32 vcc, 0, v[2:3]
	s_waitcnt vmcnt(0)
	s_nop 0
	v_cndmask_b32_e64 v4, 0, 1, vcc
	global_store_byte v[0:1], v4, off
	s_or_b64 exec, exec, s[0:1]
	s_and_saveexec_b64 s[0:1], s[6:7]
	s_cbranch_execz .LBB377_2103
.LBB377_2066:
	s_sext_i32_i16 s2, s16
	s_cmp_lt_i32 s2, 5
	s_mov_b64 s[0:1], -1
	s_cbranch_scc1 .LBB377_2087
; %bb.2067:
	s_cmp_lt_i32 s2, 8
	s_cbranch_scc1 .LBB377_2077
; %bb.2068:
	s_cmp_lt_i32 s2, 9
	s_cbranch_scc1 .LBB377_2074
; %bb.2069:
	s_cmp_gt_i32 s2, 9
	s_cbranch_scc0 .LBB377_2071
; %bb.2070:
	s_waitcnt vmcnt(0)
	v_cvt_f64_i32_e32 v[4:5], v3
	v_ldexp_f64 v[4:5], v[4:5], 32
	v_cvt_f64_u32_e32 v[6:7], v2
	v_add_f64 v[4:5], v[4:5], v[6:7]
	v_mov_b32_e32 v6, 0
	v_mov_b32_e32 v7, v6
	global_store_dwordx4 v[0:1], v[4:7], off
	s_mov_b64 s[0:1], 0
.LBB377_2071:
	s_andn2_b64 vcc, exec, s[0:1]
	s_cbranch_vccnz .LBB377_2073
; %bb.2072:
	s_waitcnt vmcnt(0)
	v_xor_b32_e32 v5, v2, v3
	v_ffbh_i32_e32 v4, v3
	v_ashrrev_i32_e32 v5, 31, v5
	v_add_u32_e32 v4, -1, v4
	v_add_u32_e32 v5, 32, v5
	v_min_u32_e32 v6, v4, v5
	v_lshlrev_b64 v[4:5], v6, v[2:3]
	v_min_u32_e32 v4, 1, v4
	v_or_b32_e32 v4, v5, v4
	v_cvt_f32_i32_e32 v4, v4
	v_sub_u32_e32 v5, 32, v6
	v_ldexp_f32 v4, v4, v5
	v_mov_b32_e32 v5, 0
	global_store_dwordx2 v[0:1], v[4:5], off
.LBB377_2073:
	s_mov_b64 s[0:1], 0
.LBB377_2074:
	s_andn2_b64 vcc, exec, s[0:1]
	s_cbranch_vccnz .LBB377_2076
; %bb.2075:
	s_waitcnt vmcnt(0)
	v_xor_b32_e32 v5, v2, v3
	v_ffbh_i32_e32 v4, v3
	v_ashrrev_i32_e32 v5, 31, v5
	v_add_u32_e32 v4, -1, v4
	v_add_u32_e32 v5, 32, v5
	v_min_u32_e32 v6, v4, v5
	v_lshlrev_b64 v[4:5], v6, v[2:3]
	v_min_u32_e32 v4, 1, v4
	v_or_b32_e32 v4, v5, v4
	v_cvt_f32_i32_e32 v4, v4
	v_sub_u32_e32 v5, 32, v6
	v_ldexp_f32 v4, v4, v5
	v_cvt_f16_f32_e32 v4, v4
	global_store_dword v[0:1], v4, off
.LBB377_2076:
	s_mov_b64 s[0:1], 0
.LBB377_2077:
	s_andn2_b64 vcc, exec, s[0:1]
	s_cbranch_vccnz .LBB377_2086
; %bb.2078:
	s_sext_i32_i16 s2, s16
	s_cmp_lt_i32 s2, 6
	s_mov_b64 s[0:1], -1
	s_cbranch_scc1 .LBB377_2084
; %bb.2079:
	s_cmp_gt_i32 s2, 6
	s_cbranch_scc0 .LBB377_2081
; %bb.2080:
	s_waitcnt vmcnt(0)
	v_cvt_f64_i32_e32 v[4:5], v3
	v_ldexp_f64 v[4:5], v[4:5], 32
	v_cvt_f64_u32_e32 v[6:7], v2
	v_add_f64 v[4:5], v[4:5], v[6:7]
	global_store_dwordx2 v[0:1], v[4:5], off
	s_mov_b64 s[0:1], 0
.LBB377_2081:
	s_andn2_b64 vcc, exec, s[0:1]
	s_cbranch_vccnz .LBB377_2083
; %bb.2082:
	s_waitcnt vmcnt(0)
	v_xor_b32_e32 v5, v2, v3
	v_ffbh_i32_e32 v4, v3
	v_ashrrev_i32_e32 v5, 31, v5
	v_add_u32_e32 v4, -1, v4
	v_add_u32_e32 v5, 32, v5
	v_min_u32_e32 v6, v4, v5
	v_lshlrev_b64 v[4:5], v6, v[2:3]
	v_min_u32_e32 v4, 1, v4
	v_or_b32_e32 v4, v5, v4
	v_cvt_f32_i32_e32 v4, v4
	v_sub_u32_e32 v5, 32, v6
	v_ldexp_f32 v4, v4, v5
	global_store_dword v[0:1], v4, off
.LBB377_2083:
	s_mov_b64 s[0:1], 0
.LBB377_2084:
	s_andn2_b64 vcc, exec, s[0:1]
	s_cbranch_vccnz .LBB377_2086
; %bb.2085:
	s_waitcnt vmcnt(0)
	v_xor_b32_e32 v5, v2, v3
	v_ffbh_i32_e32 v4, v3
	v_ashrrev_i32_e32 v5, 31, v5
	v_add_u32_e32 v4, -1, v4
	v_add_u32_e32 v5, 32, v5
	v_min_u32_e32 v6, v4, v5
	v_lshlrev_b64 v[4:5], v6, v[2:3]
	v_min_u32_e32 v4, 1, v4
	v_or_b32_e32 v4, v5, v4
	v_cvt_f32_i32_e32 v4, v4
	v_sub_u32_e32 v5, 32, v6
	v_ldexp_f32 v4, v4, v5
	v_cvt_f16_f32_e32 v4, v4
	global_store_short v[0:1], v4, off
.LBB377_2086:
	s_mov_b64 s[0:1], 0
.LBB377_2087:
	s_andn2_b64 vcc, exec, s[0:1]
	s_cbranch_vccnz .LBB377_2103
; %bb.2088:
	s_sext_i32_i16 s2, s16
	s_cmp_lt_i32 s2, 2
	s_mov_b64 s[0:1], -1
	s_cbranch_scc1 .LBB377_2098
; %bb.2089:
	s_cmp_lt_i32 s2, 3
	s_cbranch_scc1 .LBB377_2095
; %bb.2090:
	s_cmp_gt_i32 s2, 3
	s_cbranch_scc0 .LBB377_2092
; %bb.2091:
	global_store_dwordx2 v[0:1], v[2:3], off
	s_mov_b64 s[0:1], 0
.LBB377_2092:
	s_andn2_b64 vcc, exec, s[0:1]
	s_cbranch_vccnz .LBB377_2094
; %bb.2093:
	global_store_dword v[0:1], v2, off
.LBB377_2094:
	s_mov_b64 s[0:1], 0
.LBB377_2095:
	s_andn2_b64 vcc, exec, s[0:1]
	s_cbranch_vccnz .LBB377_2097
; %bb.2096:
	global_store_short v[0:1], v2, off
.LBB377_2097:
	s_mov_b64 s[0:1], 0
.LBB377_2098:
	s_andn2_b64 vcc, exec, s[0:1]
	s_cbranch_vccnz .LBB377_2103
; %bb.2099:
	s_sext_i32_i16 s0, s16
	s_cmp_gt_i32 s0, 0
	s_mov_b64 s[0:1], -1
	s_cbranch_scc0 .LBB377_2101
; %bb.2100:
	global_store_byte v[0:1], v2, off
	s_mov_b64 s[0:1], 0
.LBB377_2101:
	s_andn2_b64 vcc, exec, s[0:1]
	s_cbranch_vccnz .LBB377_2103
; %bb.2102:
	global_store_byte v[0:1], v2, off
	s_endpgm
.LBB377_2103:
	s_endpgm
.LBB377_2104:
	s_mov_b64 s[4:5], 0
	s_mov_b64 s[0:1], -1
	s_branch .LBB377_2060
.LBB377_2105:
	s_trap 2
	s_or_b64 s[2:3], s[2:3], exec
	s_cbranch_execz .LBB377_1574
	s_branch .LBB377_1575
.LBB377_2106:
	s_andn2_saveexec_b64 s[14:15], s[14:15]
	s_cbranch_execz .LBB377_1654
.LBB377_2107:
	s_mov_b32 s18, 0x46000000
	v_add_f32_e64 v3, |v1|, s18
	v_and_b32_e32 v3, 0xff, v3
	v_cmp_ne_u32_e32 vcc, 0, v3
	s_andn2_b64 s[12:13], s[12:13], exec
	s_and_b64 s[18:19], vcc, exec
	s_or_b64 s[12:13], s[12:13], s[18:19]
	s_or_b64 exec, exec, s[14:15]
	v_mov_b32_e32 v5, 0
	s_and_saveexec_b64 s[14:15], s[12:13]
	s_cbranch_execnz .LBB377_1655
	s_branch .LBB377_1656
.LBB377_2108:
	s_trap 2
	s_or_b64 s[2:3], s[2:3], exec
	s_cbranch_execz .LBB377_1702
	s_branch .LBB377_1703
.LBB377_2109:
	s_andn2_saveexec_b64 s[12:13], s[12:13]
	s_cbranch_execz .LBB377_1667
.LBB377_2110:
	s_mov_b32 s14, 0x42800000
	v_add_f32_e64 v3, |v1|, s14
	v_and_b32_e32 v3, 0xff, v3
	v_cmp_ne_u32_e32 vcc, 0, v3
	s_andn2_b64 s[10:11], s[10:11], exec
	s_and_b64 s[14:15], vcc, exec
	s_or_b64 s[10:11], s[10:11], s[14:15]
	s_or_b64 exec, exec, s[12:13]
	v_mov_b32_e32 v5, 0
	s_and_saveexec_b64 s[12:13], s[10:11]
	s_cbranch_execnz .LBB377_1668
	s_branch .LBB377_1669
.LBB377_2111:
	s_andn2_saveexec_b64 s[14:15], s[14:15]
	s_cbranch_execz .LBB377_1773
.LBB377_2112:
	s_mov_b32 s18, 0x46000000
	v_add_f32_e64 v3, |v1|, s18
	v_and_b32_e32 v3, 0xff, v3
	v_cmp_ne_u32_e32 vcc, 0, v3
	s_andn2_b64 s[12:13], s[12:13], exec
	s_and_b64 s[18:19], vcc, exec
	s_or_b64 s[12:13], s[12:13], s[18:19]
	s_or_b64 exec, exec, s[14:15]
	v_mov_b32_e32 v8, 0
	s_and_saveexec_b64 s[14:15], s[12:13]
	s_cbranch_execnz .LBB377_1774
	s_branch .LBB377_1775
.LBB377_2113:
	s_trap 2
	s_or_b64 s[2:3], s[2:3], exec
	s_cbranch_execz .LBB377_1821
	s_branch .LBB377_1822
.LBB377_2114:
	s_andn2_saveexec_b64 s[12:13], s[12:13]
	s_cbranch_execz .LBB377_1786
.LBB377_2115:
	s_mov_b32 s14, 0x42800000
	v_add_f32_e64 v3, |v1|, s14
	v_and_b32_e32 v3, 0xff, v3
	v_cmp_ne_u32_e32 vcc, 0, v3
	s_andn2_b64 s[10:11], s[10:11], exec
	s_and_b64 s[14:15], vcc, exec
	s_or_b64 s[10:11], s[10:11], s[14:15]
	s_or_b64 exec, exec, s[12:13]
	v_mov_b32_e32 v8, 0
	s_and_saveexec_b64 s[12:13], s[10:11]
	s_cbranch_execnz .LBB377_1787
	s_branch .LBB377_1788
.LBB377_2116:
	s_andn2_saveexec_b64 s[14:15], s[14:15]
	s_cbranch_execz .LBB377_1892
.LBB377_2117:
	s_mov_b32 s18, 0x46000000
	v_add_f32_e64 v6, |v1|, s18
	v_and_b32_e32 v6, 0xff, v6
	v_cmp_ne_u32_e32 vcc, 0, v6
	s_andn2_b64 s[12:13], s[12:13], exec
	s_and_b64 s[18:19], vcc, exec
	s_or_b64 s[12:13], s[12:13], s[18:19]
	s_or_b64 exec, exec, s[14:15]
	v_mov_b32_e32 v7, 0
	s_and_saveexec_b64 s[14:15], s[12:13]
	s_cbranch_execnz .LBB377_1893
	s_branch .LBB377_1894
.LBB377_2118:
	s_trap 2
	s_or_b64 s[2:3], s[2:3], exec
	s_cbranch_execz .LBB377_1940
	s_branch .LBB377_1941
.LBB377_2119:
	s_andn2_saveexec_b64 s[12:13], s[12:13]
	s_cbranch_execz .LBB377_1905
.LBB377_2120:
	s_mov_b32 s14, 0x42800000
	v_add_f32_e64 v6, |v1|, s14
	v_and_b32_e32 v6, 0xff, v6
	v_cmp_ne_u32_e32 vcc, 0, v6
	s_andn2_b64 s[10:11], s[10:11], exec
	s_and_b64 s[14:15], vcc, exec
	s_or_b64 s[10:11], s[10:11], s[14:15]
	s_or_b64 exec, exec, s[12:13]
	v_mov_b32_e32 v7, 0
	s_and_saveexec_b64 s[12:13], s[10:11]
	s_cbranch_execnz .LBB377_1906
	s_branch .LBB377_1907
.LBB377_2121:
	s_andn2_saveexec_b64 s[10:11], s[10:11]
	s_cbranch_execz .LBB377_2012
.LBB377_2122:
	s_mov_b32 s12, 0x46000000
	v_add_f32_e64 v5, |v4|, s12
	v_and_b32_e32 v5, 0xff, v5
	v_cmp_ne_u32_e32 vcc, 0, v5
	s_andn2_b64 s[8:9], s[8:9], exec
	s_and_b64 s[12:13], vcc, exec
	s_or_b64 s[8:9], s[8:9], s[12:13]
	s_or_b64 exec, exec, s[10:11]
	v_mov_b32_e32 v6, 0
	s_and_saveexec_b64 s[10:11], s[8:9]
	s_cbranch_execnz .LBB377_2013
	s_branch .LBB377_2014
.LBB377_2123:
	s_mov_b64 s[4:5], 0
	s_or_b64 s[2:3], s[2:3], exec
	s_trap 2
	s_branch .LBB377_2058
.LBB377_2124:
	s_andn2_saveexec_b64 s[8:9], s[8:9]
	s_cbranch_execz .LBB377_2024
.LBB377_2125:
	s_mov_b32 s10, 0x42800000
	v_add_f32_e64 v5, |v4|, s10
	v_and_b32_e32 v5, 0xff, v5
	v_cmp_ne_u32_e32 vcc, 0, v5
	s_andn2_b64 s[6:7], s[6:7], exec
	s_and_b64 s[10:11], vcc, exec
	s_or_b64 s[6:7], s[6:7], s[10:11]
	s_or_b64 exec, exec, s[8:9]
	v_mov_b32_e32 v6, 0
	s_and_saveexec_b64 s[8:9], s[6:7]
	s_cbranch_execnz .LBB377_2025
	s_branch .LBB377_2026
	.section	.rodata,"a",@progbits
	.p2align	6, 0x0
	.amdhsa_kernel _ZN2at6native32elementwise_kernel_manual_unrollILi128ELi4EZNS0_15gpu_kernel_implIZZZNS0_21clamp_min_kernel_cudaERNS_18TensorIteratorBaseERKN3c106ScalarEENKUlvE_clEvENKUlvE2_clEvEUllE_EEvS4_RKT_EUlibE0_EEviT1_
		.amdhsa_group_segment_fixed_size 0
		.amdhsa_private_segment_fixed_size 0
		.amdhsa_kernarg_size 368
		.amdhsa_user_sgpr_count 2
		.amdhsa_user_sgpr_dispatch_ptr 0
		.amdhsa_user_sgpr_queue_ptr 0
		.amdhsa_user_sgpr_kernarg_segment_ptr 1
		.amdhsa_user_sgpr_dispatch_id 0
		.amdhsa_user_sgpr_kernarg_preload_length 0
		.amdhsa_user_sgpr_kernarg_preload_offset 0
		.amdhsa_user_sgpr_private_segment_size 0
		.amdhsa_uses_dynamic_stack 0
		.amdhsa_enable_private_segment 0
		.amdhsa_system_sgpr_workgroup_id_x 1
		.amdhsa_system_sgpr_workgroup_id_y 0
		.amdhsa_system_sgpr_workgroup_id_z 0
		.amdhsa_system_sgpr_workgroup_info 0
		.amdhsa_system_vgpr_workitem_id 0
		.amdhsa_next_free_vgpr 22
		.amdhsa_next_free_sgpr 80
		.amdhsa_accum_offset 24
		.amdhsa_reserve_vcc 1
		.amdhsa_float_round_mode_32 0
		.amdhsa_float_round_mode_16_64 0
		.amdhsa_float_denorm_mode_32 3
		.amdhsa_float_denorm_mode_16_64 3
		.amdhsa_dx10_clamp 1
		.amdhsa_ieee_mode 1
		.amdhsa_fp16_overflow 0
		.amdhsa_tg_split 0
		.amdhsa_exception_fp_ieee_invalid_op 0
		.amdhsa_exception_fp_denorm_src 0
		.amdhsa_exception_fp_ieee_div_zero 0
		.amdhsa_exception_fp_ieee_overflow 0
		.amdhsa_exception_fp_ieee_underflow 0
		.amdhsa_exception_fp_ieee_inexact 0
		.amdhsa_exception_int_div_zero 0
	.end_amdhsa_kernel
	.section	.text._ZN2at6native32elementwise_kernel_manual_unrollILi128ELi4EZNS0_15gpu_kernel_implIZZZNS0_21clamp_min_kernel_cudaERNS_18TensorIteratorBaseERKN3c106ScalarEENKUlvE_clEvENKUlvE2_clEvEUllE_EEvS4_RKT_EUlibE0_EEviT1_,"axG",@progbits,_ZN2at6native32elementwise_kernel_manual_unrollILi128ELi4EZNS0_15gpu_kernel_implIZZZNS0_21clamp_min_kernel_cudaERNS_18TensorIteratorBaseERKN3c106ScalarEENKUlvE_clEvENKUlvE2_clEvEUllE_EEvS4_RKT_EUlibE0_EEviT1_,comdat
.Lfunc_end377:
	.size	_ZN2at6native32elementwise_kernel_manual_unrollILi128ELi4EZNS0_15gpu_kernel_implIZZZNS0_21clamp_min_kernel_cudaERNS_18TensorIteratorBaseERKN3c106ScalarEENKUlvE_clEvENKUlvE2_clEvEUllE_EEvS4_RKT_EUlibE0_EEviT1_, .Lfunc_end377-_ZN2at6native32elementwise_kernel_manual_unrollILi128ELi4EZNS0_15gpu_kernel_implIZZZNS0_21clamp_min_kernel_cudaERNS_18TensorIteratorBaseERKN3c106ScalarEENKUlvE_clEvENKUlvE2_clEvEUllE_EEvS4_RKT_EUlibE0_EEviT1_
                                        ; -- End function
	.set _ZN2at6native32elementwise_kernel_manual_unrollILi128ELi4EZNS0_15gpu_kernel_implIZZZNS0_21clamp_min_kernel_cudaERNS_18TensorIteratorBaseERKN3c106ScalarEENKUlvE_clEvENKUlvE2_clEvEUllE_EEvS4_RKT_EUlibE0_EEviT1_.num_vgpr, 22
	.set _ZN2at6native32elementwise_kernel_manual_unrollILi128ELi4EZNS0_15gpu_kernel_implIZZZNS0_21clamp_min_kernel_cudaERNS_18TensorIteratorBaseERKN3c106ScalarEENKUlvE_clEvENKUlvE2_clEvEUllE_EEvS4_RKT_EUlibE0_EEviT1_.num_agpr, 0
	.set _ZN2at6native32elementwise_kernel_manual_unrollILi128ELi4EZNS0_15gpu_kernel_implIZZZNS0_21clamp_min_kernel_cudaERNS_18TensorIteratorBaseERKN3c106ScalarEENKUlvE_clEvENKUlvE2_clEvEUllE_EEvS4_RKT_EUlibE0_EEviT1_.numbered_sgpr, 80
	.set _ZN2at6native32elementwise_kernel_manual_unrollILi128ELi4EZNS0_15gpu_kernel_implIZZZNS0_21clamp_min_kernel_cudaERNS_18TensorIteratorBaseERKN3c106ScalarEENKUlvE_clEvENKUlvE2_clEvEUllE_EEvS4_RKT_EUlibE0_EEviT1_.num_named_barrier, 0
	.set _ZN2at6native32elementwise_kernel_manual_unrollILi128ELi4EZNS0_15gpu_kernel_implIZZZNS0_21clamp_min_kernel_cudaERNS_18TensorIteratorBaseERKN3c106ScalarEENKUlvE_clEvENKUlvE2_clEvEUllE_EEvS4_RKT_EUlibE0_EEviT1_.private_seg_size, 0
	.set _ZN2at6native32elementwise_kernel_manual_unrollILi128ELi4EZNS0_15gpu_kernel_implIZZZNS0_21clamp_min_kernel_cudaERNS_18TensorIteratorBaseERKN3c106ScalarEENKUlvE_clEvENKUlvE2_clEvEUllE_EEvS4_RKT_EUlibE0_EEviT1_.uses_vcc, 1
	.set _ZN2at6native32elementwise_kernel_manual_unrollILi128ELi4EZNS0_15gpu_kernel_implIZZZNS0_21clamp_min_kernel_cudaERNS_18TensorIteratorBaseERKN3c106ScalarEENKUlvE_clEvENKUlvE2_clEvEUllE_EEvS4_RKT_EUlibE0_EEviT1_.uses_flat_scratch, 0
	.set _ZN2at6native32elementwise_kernel_manual_unrollILi128ELi4EZNS0_15gpu_kernel_implIZZZNS0_21clamp_min_kernel_cudaERNS_18TensorIteratorBaseERKN3c106ScalarEENKUlvE_clEvENKUlvE2_clEvEUllE_EEvS4_RKT_EUlibE0_EEviT1_.has_dyn_sized_stack, 0
	.set _ZN2at6native32elementwise_kernel_manual_unrollILi128ELi4EZNS0_15gpu_kernel_implIZZZNS0_21clamp_min_kernel_cudaERNS_18TensorIteratorBaseERKN3c106ScalarEENKUlvE_clEvENKUlvE2_clEvEUllE_EEvS4_RKT_EUlibE0_EEviT1_.has_recursion, 0
	.set _ZN2at6native32elementwise_kernel_manual_unrollILi128ELi4EZNS0_15gpu_kernel_implIZZZNS0_21clamp_min_kernel_cudaERNS_18TensorIteratorBaseERKN3c106ScalarEENKUlvE_clEvENKUlvE2_clEvEUllE_EEvS4_RKT_EUlibE0_EEviT1_.has_indirect_call, 0
	.section	.AMDGPU.csdata,"",@progbits
; Kernel info:
; codeLenInByte = 46296
; TotalNumSgprs: 86
; NumVgprs: 22
; NumAgprs: 0
; TotalNumVgprs: 22
; ScratchSize: 0
; MemoryBound: 1
; FloatMode: 240
; IeeeMode: 1
; LDSByteSize: 0 bytes/workgroup (compile time only)
; SGPRBlocks: 10
; VGPRBlocks: 2
; NumSGPRsForWavesPerEU: 86
; NumVGPRsForWavesPerEU: 22
; AccumOffset: 24
; Occupancy: 8
; WaveLimiterHint : 1
; COMPUTE_PGM_RSRC2:SCRATCH_EN: 0
; COMPUTE_PGM_RSRC2:USER_SGPR: 2
; COMPUTE_PGM_RSRC2:TRAP_HANDLER: 0
; COMPUTE_PGM_RSRC2:TGID_X_EN: 1
; COMPUTE_PGM_RSRC2:TGID_Y_EN: 0
; COMPUTE_PGM_RSRC2:TGID_Z_EN: 0
; COMPUTE_PGM_RSRC2:TIDIG_COMP_CNT: 0
; COMPUTE_PGM_RSRC3_GFX90A:ACCUM_OFFSET: 5
; COMPUTE_PGM_RSRC3_GFX90A:TG_SPLIT: 0
	.section	.text._ZN2at6native29vectorized_elementwise_kernelILi16EZZZNS0_21clamp_min_kernel_cudaERNS_18TensorIteratorBaseERKN3c106ScalarEENKUlvE_clEvENKUlvE3_clEvEUlsE_St5arrayIPcLm2EEEEviT0_T1_,"axG",@progbits,_ZN2at6native29vectorized_elementwise_kernelILi16EZZZNS0_21clamp_min_kernel_cudaERNS_18TensorIteratorBaseERKN3c106ScalarEENKUlvE_clEvENKUlvE3_clEvEUlsE_St5arrayIPcLm2EEEEviT0_T1_,comdat
	.globl	_ZN2at6native29vectorized_elementwise_kernelILi16EZZZNS0_21clamp_min_kernel_cudaERNS_18TensorIteratorBaseERKN3c106ScalarEENKUlvE_clEvENKUlvE3_clEvEUlsE_St5arrayIPcLm2EEEEviT0_T1_ ; -- Begin function _ZN2at6native29vectorized_elementwise_kernelILi16EZZZNS0_21clamp_min_kernel_cudaERNS_18TensorIteratorBaseERKN3c106ScalarEENKUlvE_clEvENKUlvE3_clEvEUlsE_St5arrayIPcLm2EEEEviT0_T1_
	.p2align	8
	.type	_ZN2at6native29vectorized_elementwise_kernelILi16EZZZNS0_21clamp_min_kernel_cudaERNS_18TensorIteratorBaseERKN3c106ScalarEENKUlvE_clEvENKUlvE3_clEvEUlsE_St5arrayIPcLm2EEEEviT0_T1_,@function
_ZN2at6native29vectorized_elementwise_kernelILi16EZZZNS0_21clamp_min_kernel_cudaERNS_18TensorIteratorBaseERKN3c106ScalarEENKUlvE_clEvENKUlvE3_clEvEUlsE_St5arrayIPcLm2EEEEviT0_T1_: ; @_ZN2at6native29vectorized_elementwise_kernelILi16EZZZNS0_21clamp_min_kernel_cudaERNS_18TensorIteratorBaseERKN3c106ScalarEENKUlvE_clEvENKUlvE3_clEvEUlsE_St5arrayIPcLm2EEEEviT0_T1_
; %bb.0:
	s_load_dwordx2 s[8:9], s[0:1], 0x0
	s_load_dwordx4 s[4:7], s[0:1], 0x8
	s_lshl_b32 s2, s2, 11
	s_mov_b64 s[0:1], -1
	s_waitcnt lgkmcnt(0)
	s_sub_i32 s8, s8, s2
	s_cmpk_gt_i32 s8, 0x7ff
	s_cbranch_scc0 .LBB378_2
; %bb.1:
	s_ashr_i32 s3, s2, 31
	s_lshl_b64 s[0:1], s[2:3], 1
	s_add_u32 s10, s6, s0
	s_addc_u32 s11, s7, s1
	v_lshlrev_b32_e32 v1, 4, v0
	global_load_dwordx4 v[2:5], v1, s[10:11]
	s_add_u32 s0, s4, s0
	s_addc_u32 s1, s5, s1
	s_waitcnt vmcnt(0)
	v_pk_max_i16 v3, v3, s9 op_sel_hi:[1,0]
	v_pk_max_i16 v2, v2, s9 op_sel_hi:[1,0]
	;; [unrolled: 1-line block ×4, first 2 shown]
	global_store_dwordx4 v1, v[2:5], s[0:1]
	s_mov_b64 s[0:1], 0
.LBB378_2:
	s_andn2_b64 vcc, exec, s[0:1]
	s_cbranch_vccnz .LBB378_28
; %bb.3:
	v_cmp_gt_i32_e32 vcc, s8, v0
	v_mov_b32_e32 v1, 0
	v_or_b32_e32 v2, s2, v0
	v_mov_b32_e32 v3, 0
	v_mov_b32_e32 v4, v0
	s_and_saveexec_b64 s[0:1], vcc
	s_cbranch_execz .LBB378_5
; %bb.4:
	v_mov_b32_e32 v3, 0
	v_lshl_add_u64 v[4:5], v[2:3], 1, s[6:7]
	global_load_ushort v3, v[4:5], off
	v_or_b32_e32 v4, 0x100, v0
.LBB378_5:
	s_or_b64 exec, exec, s[0:1]
	v_cmp_gt_i32_e64 s[0:1], s8, v4
	s_and_saveexec_b64 s[10:11], s[0:1]
	s_cbranch_execz .LBB378_7
; %bb.6:
	v_add_u32_e32 v6, s2, v4
	v_mov_b32_e32 v7, 0
	v_lshl_add_u64 v[6:7], v[6:7], 1, s[6:7]
	global_load_ushort v1, v[6:7], off
	v_add_u32_e32 v4, 0x100, v4
.LBB378_7:
	s_or_b64 exec, exec, s[10:11]
	v_cmp_gt_i32_e64 s[0:1], s8, v4
	v_mov_b32_e32 v5, 0
	v_mov_b32_e32 v6, 0
	s_and_saveexec_b64 s[10:11], s[0:1]
	s_cbranch_execz .LBB378_9
; %bb.8:
	v_add_u32_e32 v6, s2, v4
	v_mov_b32_e32 v7, 0
	v_lshl_add_u64 v[6:7], v[6:7], 1, s[6:7]
	global_load_ushort v6, v[6:7], off
	v_add_u32_e32 v4, 0x100, v4
.LBB378_9:
	s_or_b64 exec, exec, s[10:11]
	v_cmp_gt_i32_e64 s[0:1], s8, v4
	s_and_saveexec_b64 s[10:11], s[0:1]
	s_cbranch_execz .LBB378_11
; %bb.10:
	v_add_u32_e32 v8, s2, v4
	v_mov_b32_e32 v9, 0
	v_lshl_add_u64 v[8:9], v[8:9], 1, s[6:7]
	global_load_ushort v5, v[8:9], off
	v_add_u32_e32 v4, 0x100, v4
.LBB378_11:
	s_or_b64 exec, exec, s[10:11]
	v_cmp_gt_i32_e64 s[0:1], s8, v4
	v_mov_b32_e32 v7, 0
	v_mov_b32_e32 v8, 0
	s_and_saveexec_b64 s[10:11], s[0:1]
	s_cbranch_execz .LBB378_13
; %bb.12:
	v_add_u32_e32 v8, s2, v4
	v_mov_b32_e32 v9, 0
	v_lshl_add_u64 v[8:9], v[8:9], 1, s[6:7]
	global_load_ushort v8, v[8:9], off
	v_add_u32_e32 v4, 0x100, v4
.LBB378_13:
	;; [unrolled: 24-line block ×3, first 2 shown]
	s_or_b64 exec, exec, s[10:11]
	v_cmp_gt_i32_e64 s[0:1], s8, v4
	s_and_saveexec_b64 s[10:11], s[0:1]
	s_cbranch_execz .LBB378_19
; %bb.18:
	v_add_u32_e32 v12, s2, v4
	v_mov_b32_e32 v13, 0
	v_lshl_add_u64 v[12:13], v[12:13], 1, s[6:7]
	global_load_ushort v9, v[12:13], off
.LBB378_19:
	s_or_b64 exec, exec, s[10:11]
	s_waitcnt vmcnt(0)
	v_max_i16_e32 v3, s9, v3
	v_cndmask_b32_e32 v3, 0, v3, vcc
	v_or_b32_e32 v12, 0x100, v0
	v_max_i16_e32 v1, s9, v1
	s_mov_b32 s3, 0x5040100
	v_perm_b32 v1, v1, v3, s3
	v_cmp_gt_i32_e64 s[0:1], s8, v12
	v_max_i16_e32 v4, s9, v5
	s_nop 0
	v_cndmask_b32_e64 v11, v3, v1, s[0:1]
	v_or_b32_e32 v1, 0x200, v0
	v_max_i16_e32 v3, s9, v6
	v_cmp_gt_i32_e64 s[0:1], s8, v1
	v_max_i16_e32 v6, s9, v9
	s_nop 0
	v_cndmask_b32_e64 v1, 0, v3, s[0:1]
	v_or_b32_e32 v3, 0x300, v0
	v_perm_b32 v4, v4, v1, s3
	v_cmp_gt_i32_e64 s[0:1], s8, v3
	v_max_i16_e32 v3, s9, v8
	s_nop 0
	v_cndmask_b32_e64 v5, v1, v4, s[0:1]
	v_or_b32_e32 v1, 0x400, v0
	v_cmp_gt_i32_e64 s[0:1], s8, v1
	v_max_i16_e32 v4, s9, v7
	s_nop 0
	v_cndmask_b32_e64 v1, 0, v3, s[0:1]
	v_or_b32_e32 v3, 0x500, v0
	v_perm_b32 v4, v4, v1, s3
	v_cmp_gt_i32_e64 s[0:1], s8, v3
	v_max_i16_e32 v3, s9, v10
	s_nop 0
	v_cndmask_b32_e64 v4, v1, v4, s[0:1]
	v_or_b32_e32 v1, 0x600, v0
	v_cmp_gt_i32_e64 s[0:1], s8, v1
	s_nop 1
	v_cndmask_b32_e64 v1, 0, v3, s[0:1]
	v_or_b32_e32 v3, 0x700, v0
	v_perm_b32 v6, v6, v1, s3
	v_cmp_gt_i32_e64 s[0:1], s8, v3
	s_nop 1
	v_cndmask_b32_e64 v1, v1, v6, s[0:1]
	s_and_saveexec_b64 s[0:1], vcc
	s_cbranch_execnz .LBB378_29
; %bb.20:
	s_or_b64 exec, exec, s[0:1]
	v_cmp_gt_i32_e32 vcc, s8, v0
	s_and_saveexec_b64 s[0:1], vcc
	s_cbranch_execnz .LBB378_30
.LBB378_21:
	s_or_b64 exec, exec, s[0:1]
	v_cmp_gt_i32_e32 vcc, s8, v0
	s_and_saveexec_b64 s[0:1], vcc
	s_cbranch_execnz .LBB378_31
.LBB378_22:
	s_or_b64 exec, exec, s[0:1]
	v_cmp_gt_i32_e32 vcc, s8, v0
	s_and_saveexec_b64 s[0:1], vcc
	s_cbranch_execnz .LBB378_32
.LBB378_23:
	s_or_b64 exec, exec, s[0:1]
	v_cmp_gt_i32_e32 vcc, s8, v0
	s_and_saveexec_b64 s[0:1], vcc
	s_cbranch_execnz .LBB378_33
.LBB378_24:
	s_or_b64 exec, exec, s[0:1]
	v_cmp_gt_i32_e32 vcc, s8, v0
	s_and_saveexec_b64 s[0:1], vcc
	s_cbranch_execnz .LBB378_34
.LBB378_25:
	s_or_b64 exec, exec, s[0:1]
	v_cmp_gt_i32_e32 vcc, s8, v0
	s_and_saveexec_b64 s[0:1], vcc
	s_cbranch_execnz .LBB378_35
.LBB378_26:
	s_or_b64 exec, exec, s[0:1]
	v_cmp_gt_i32_e32 vcc, s8, v0
	s_and_saveexec_b64 s[0:1], vcc
	s_cbranch_execz .LBB378_28
.LBB378_27:
	v_add_u32_e32 v2, s2, v0
	v_mov_b32_e32 v3, 0
	v_lshl_add_u64 v[2:3], v[2:3], 1, s[4:5]
	global_store_short_d16_hi v[2:3], v1, off
.LBB378_28:
	s_endpgm
.LBB378_29:
	v_mov_b32_e32 v3, 0
	v_lshl_add_u64 v[2:3], v[2:3], 1, s[4:5]
	v_mov_b32_e32 v0, v12
	global_store_short v[2:3], v11, off
	s_or_b64 exec, exec, s[0:1]
	v_cmp_gt_i32_e32 vcc, s8, v0
	s_and_saveexec_b64 s[0:1], vcc
	s_cbranch_execz .LBB378_21
.LBB378_30:
	v_add_u32_e32 v2, s2, v0
	v_mov_b32_e32 v3, 0
	v_lshl_add_u64 v[2:3], v[2:3], 1, s[4:5]
	v_add_u32_e32 v0, 0x100, v0
	global_store_short_d16_hi v[2:3], v11, off
	s_or_b64 exec, exec, s[0:1]
	v_cmp_gt_i32_e32 vcc, s8, v0
	s_and_saveexec_b64 s[0:1], vcc
	s_cbranch_execz .LBB378_22
.LBB378_31:
	v_add_u32_e32 v2, s2, v0
	v_mov_b32_e32 v3, 0
	v_lshl_add_u64 v[2:3], v[2:3], 1, s[4:5]
	v_add_u32_e32 v0, 0x100, v0
	global_store_short v[2:3], v5, off
	s_or_b64 exec, exec, s[0:1]
	v_cmp_gt_i32_e32 vcc, s8, v0
	s_and_saveexec_b64 s[0:1], vcc
	s_cbranch_execz .LBB378_23
.LBB378_32:
	v_add_u32_e32 v2, s2, v0
	v_mov_b32_e32 v3, 0
	v_lshl_add_u64 v[2:3], v[2:3], 1, s[4:5]
	v_add_u32_e32 v0, 0x100, v0
	global_store_short_d16_hi v[2:3], v5, off
	s_or_b64 exec, exec, s[0:1]
	v_cmp_gt_i32_e32 vcc, s8, v0
	s_and_saveexec_b64 s[0:1], vcc
	s_cbranch_execz .LBB378_24
.LBB378_33:
	v_add_u32_e32 v2, s2, v0
	v_mov_b32_e32 v3, 0
	v_lshl_add_u64 v[2:3], v[2:3], 1, s[4:5]
	v_add_u32_e32 v0, 0x100, v0
	global_store_short v[2:3], v4, off
	s_or_b64 exec, exec, s[0:1]
	v_cmp_gt_i32_e32 vcc, s8, v0
	s_and_saveexec_b64 s[0:1], vcc
	s_cbranch_execz .LBB378_25
.LBB378_34:
	v_add_u32_e32 v2, s2, v0
	v_mov_b32_e32 v3, 0
	v_lshl_add_u64 v[2:3], v[2:3], 1, s[4:5]
	v_add_u32_e32 v0, 0x100, v0
	global_store_short_d16_hi v[2:3], v4, off
	s_or_b64 exec, exec, s[0:1]
	v_cmp_gt_i32_e32 vcc, s8, v0
	s_and_saveexec_b64 s[0:1], vcc
	s_cbranch_execz .LBB378_26
.LBB378_35:
	v_add_u32_e32 v2, s2, v0
	v_mov_b32_e32 v3, 0
	v_lshl_add_u64 v[2:3], v[2:3], 1, s[4:5]
	v_add_u32_e32 v0, 0x100, v0
	global_store_short v[2:3], v1, off
	s_or_b64 exec, exec, s[0:1]
	v_cmp_gt_i32_e32 vcc, s8, v0
	s_and_saveexec_b64 s[0:1], vcc
	s_cbranch_execnz .LBB378_27
	s_branch .LBB378_28
	.section	.rodata,"a",@progbits
	.p2align	6, 0x0
	.amdhsa_kernel _ZN2at6native29vectorized_elementwise_kernelILi16EZZZNS0_21clamp_min_kernel_cudaERNS_18TensorIteratorBaseERKN3c106ScalarEENKUlvE_clEvENKUlvE3_clEvEUlsE_St5arrayIPcLm2EEEEviT0_T1_
		.amdhsa_group_segment_fixed_size 0
		.amdhsa_private_segment_fixed_size 0
		.amdhsa_kernarg_size 24
		.amdhsa_user_sgpr_count 2
		.amdhsa_user_sgpr_dispatch_ptr 0
		.amdhsa_user_sgpr_queue_ptr 0
		.amdhsa_user_sgpr_kernarg_segment_ptr 1
		.amdhsa_user_sgpr_dispatch_id 0
		.amdhsa_user_sgpr_kernarg_preload_length 0
		.amdhsa_user_sgpr_kernarg_preload_offset 0
		.amdhsa_user_sgpr_private_segment_size 0
		.amdhsa_uses_dynamic_stack 0
		.amdhsa_enable_private_segment 0
		.amdhsa_system_sgpr_workgroup_id_x 1
		.amdhsa_system_sgpr_workgroup_id_y 0
		.amdhsa_system_sgpr_workgroup_id_z 0
		.amdhsa_system_sgpr_workgroup_info 0
		.amdhsa_system_vgpr_workitem_id 0
		.amdhsa_next_free_vgpr 14
		.amdhsa_next_free_sgpr 12
		.amdhsa_accum_offset 16
		.amdhsa_reserve_vcc 1
		.amdhsa_float_round_mode_32 0
		.amdhsa_float_round_mode_16_64 0
		.amdhsa_float_denorm_mode_32 3
		.amdhsa_float_denorm_mode_16_64 3
		.amdhsa_dx10_clamp 1
		.amdhsa_ieee_mode 1
		.amdhsa_fp16_overflow 0
		.amdhsa_tg_split 0
		.amdhsa_exception_fp_ieee_invalid_op 0
		.amdhsa_exception_fp_denorm_src 0
		.amdhsa_exception_fp_ieee_div_zero 0
		.amdhsa_exception_fp_ieee_overflow 0
		.amdhsa_exception_fp_ieee_underflow 0
		.amdhsa_exception_fp_ieee_inexact 0
		.amdhsa_exception_int_div_zero 0
	.end_amdhsa_kernel
	.section	.text._ZN2at6native29vectorized_elementwise_kernelILi16EZZZNS0_21clamp_min_kernel_cudaERNS_18TensorIteratorBaseERKN3c106ScalarEENKUlvE_clEvENKUlvE3_clEvEUlsE_St5arrayIPcLm2EEEEviT0_T1_,"axG",@progbits,_ZN2at6native29vectorized_elementwise_kernelILi16EZZZNS0_21clamp_min_kernel_cudaERNS_18TensorIteratorBaseERKN3c106ScalarEENKUlvE_clEvENKUlvE3_clEvEUlsE_St5arrayIPcLm2EEEEviT0_T1_,comdat
.Lfunc_end378:
	.size	_ZN2at6native29vectorized_elementwise_kernelILi16EZZZNS0_21clamp_min_kernel_cudaERNS_18TensorIteratorBaseERKN3c106ScalarEENKUlvE_clEvENKUlvE3_clEvEUlsE_St5arrayIPcLm2EEEEviT0_T1_, .Lfunc_end378-_ZN2at6native29vectorized_elementwise_kernelILi16EZZZNS0_21clamp_min_kernel_cudaERNS_18TensorIteratorBaseERKN3c106ScalarEENKUlvE_clEvENKUlvE3_clEvEUlsE_St5arrayIPcLm2EEEEviT0_T1_
                                        ; -- End function
	.set _ZN2at6native29vectorized_elementwise_kernelILi16EZZZNS0_21clamp_min_kernel_cudaERNS_18TensorIteratorBaseERKN3c106ScalarEENKUlvE_clEvENKUlvE3_clEvEUlsE_St5arrayIPcLm2EEEEviT0_T1_.num_vgpr, 14
	.set _ZN2at6native29vectorized_elementwise_kernelILi16EZZZNS0_21clamp_min_kernel_cudaERNS_18TensorIteratorBaseERKN3c106ScalarEENKUlvE_clEvENKUlvE3_clEvEUlsE_St5arrayIPcLm2EEEEviT0_T1_.num_agpr, 0
	.set _ZN2at6native29vectorized_elementwise_kernelILi16EZZZNS0_21clamp_min_kernel_cudaERNS_18TensorIteratorBaseERKN3c106ScalarEENKUlvE_clEvENKUlvE3_clEvEUlsE_St5arrayIPcLm2EEEEviT0_T1_.numbered_sgpr, 12
	.set _ZN2at6native29vectorized_elementwise_kernelILi16EZZZNS0_21clamp_min_kernel_cudaERNS_18TensorIteratorBaseERKN3c106ScalarEENKUlvE_clEvENKUlvE3_clEvEUlsE_St5arrayIPcLm2EEEEviT0_T1_.num_named_barrier, 0
	.set _ZN2at6native29vectorized_elementwise_kernelILi16EZZZNS0_21clamp_min_kernel_cudaERNS_18TensorIteratorBaseERKN3c106ScalarEENKUlvE_clEvENKUlvE3_clEvEUlsE_St5arrayIPcLm2EEEEviT0_T1_.private_seg_size, 0
	.set _ZN2at6native29vectorized_elementwise_kernelILi16EZZZNS0_21clamp_min_kernel_cudaERNS_18TensorIteratorBaseERKN3c106ScalarEENKUlvE_clEvENKUlvE3_clEvEUlsE_St5arrayIPcLm2EEEEviT0_T1_.uses_vcc, 1
	.set _ZN2at6native29vectorized_elementwise_kernelILi16EZZZNS0_21clamp_min_kernel_cudaERNS_18TensorIteratorBaseERKN3c106ScalarEENKUlvE_clEvENKUlvE3_clEvEUlsE_St5arrayIPcLm2EEEEviT0_T1_.uses_flat_scratch, 0
	.set _ZN2at6native29vectorized_elementwise_kernelILi16EZZZNS0_21clamp_min_kernel_cudaERNS_18TensorIteratorBaseERKN3c106ScalarEENKUlvE_clEvENKUlvE3_clEvEUlsE_St5arrayIPcLm2EEEEviT0_T1_.has_dyn_sized_stack, 0
	.set _ZN2at6native29vectorized_elementwise_kernelILi16EZZZNS0_21clamp_min_kernel_cudaERNS_18TensorIteratorBaseERKN3c106ScalarEENKUlvE_clEvENKUlvE3_clEvEUlsE_St5arrayIPcLm2EEEEviT0_T1_.has_recursion, 0
	.set _ZN2at6native29vectorized_elementwise_kernelILi16EZZZNS0_21clamp_min_kernel_cudaERNS_18TensorIteratorBaseERKN3c106ScalarEENKUlvE_clEvENKUlvE3_clEvEUlsE_St5arrayIPcLm2EEEEviT0_T1_.has_indirect_call, 0
	.section	.AMDGPU.csdata,"",@progbits
; Kernel info:
; codeLenInByte = 1328
; TotalNumSgprs: 18
; NumVgprs: 14
; NumAgprs: 0
; TotalNumVgprs: 14
; ScratchSize: 0
; MemoryBound: 0
; FloatMode: 240
; IeeeMode: 1
; LDSByteSize: 0 bytes/workgroup (compile time only)
; SGPRBlocks: 2
; VGPRBlocks: 1
; NumSGPRsForWavesPerEU: 18
; NumVGPRsForWavesPerEU: 14
; AccumOffset: 16
; Occupancy: 8
; WaveLimiterHint : 0
; COMPUTE_PGM_RSRC2:SCRATCH_EN: 0
; COMPUTE_PGM_RSRC2:USER_SGPR: 2
; COMPUTE_PGM_RSRC2:TRAP_HANDLER: 0
; COMPUTE_PGM_RSRC2:TGID_X_EN: 1
; COMPUTE_PGM_RSRC2:TGID_Y_EN: 0
; COMPUTE_PGM_RSRC2:TGID_Z_EN: 0
; COMPUTE_PGM_RSRC2:TIDIG_COMP_CNT: 0
; COMPUTE_PGM_RSRC3_GFX90A:ACCUM_OFFSET: 3
; COMPUTE_PGM_RSRC3_GFX90A:TG_SPLIT: 0
	.section	.text._ZN2at6native29vectorized_elementwise_kernelILi8EZZZNS0_21clamp_min_kernel_cudaERNS_18TensorIteratorBaseERKN3c106ScalarEENKUlvE_clEvENKUlvE3_clEvEUlsE_St5arrayIPcLm2EEEEviT0_T1_,"axG",@progbits,_ZN2at6native29vectorized_elementwise_kernelILi8EZZZNS0_21clamp_min_kernel_cudaERNS_18TensorIteratorBaseERKN3c106ScalarEENKUlvE_clEvENKUlvE3_clEvEUlsE_St5arrayIPcLm2EEEEviT0_T1_,comdat
	.globl	_ZN2at6native29vectorized_elementwise_kernelILi8EZZZNS0_21clamp_min_kernel_cudaERNS_18TensorIteratorBaseERKN3c106ScalarEENKUlvE_clEvENKUlvE3_clEvEUlsE_St5arrayIPcLm2EEEEviT0_T1_ ; -- Begin function _ZN2at6native29vectorized_elementwise_kernelILi8EZZZNS0_21clamp_min_kernel_cudaERNS_18TensorIteratorBaseERKN3c106ScalarEENKUlvE_clEvENKUlvE3_clEvEUlsE_St5arrayIPcLm2EEEEviT0_T1_
	.p2align	8
	.type	_ZN2at6native29vectorized_elementwise_kernelILi8EZZZNS0_21clamp_min_kernel_cudaERNS_18TensorIteratorBaseERKN3c106ScalarEENKUlvE_clEvENKUlvE3_clEvEUlsE_St5arrayIPcLm2EEEEviT0_T1_,@function
_ZN2at6native29vectorized_elementwise_kernelILi8EZZZNS0_21clamp_min_kernel_cudaERNS_18TensorIteratorBaseERKN3c106ScalarEENKUlvE_clEvENKUlvE3_clEvEUlsE_St5arrayIPcLm2EEEEviT0_T1_: ; @_ZN2at6native29vectorized_elementwise_kernelILi8EZZZNS0_21clamp_min_kernel_cudaERNS_18TensorIteratorBaseERKN3c106ScalarEENKUlvE_clEvENKUlvE3_clEvEUlsE_St5arrayIPcLm2EEEEviT0_T1_
; %bb.0:
	s_load_dwordx2 s[8:9], s[0:1], 0x0
	s_load_dwordx4 s[4:7], s[0:1], 0x8
	s_lshl_b32 s2, s2, 11
	s_mov_b64 s[0:1], -1
	s_waitcnt lgkmcnt(0)
	s_sub_i32 s8, s8, s2
	s_cmpk_gt_i32 s8, 0x7ff
	s_cbranch_scc0 .LBB379_2
; %bb.1:
	s_ashr_i32 s3, s2, 31
	s_lshl_b64 s[0:1], s[2:3], 1
	s_add_u32 s10, s6, s0
	s_addc_u32 s11, s7, s1
	v_lshlrev_b32_e32 v1, 4, v0
	global_load_dwordx4 v[2:5], v1, s[10:11]
	s_add_u32 s0, s4, s0
	s_addc_u32 s1, s5, s1
	s_waitcnt vmcnt(0)
	v_pk_max_i16 v3, v3, s9 op_sel_hi:[1,0]
	v_pk_max_i16 v2, v2, s9 op_sel_hi:[1,0]
	;; [unrolled: 1-line block ×4, first 2 shown]
	global_store_dwordx4 v1, v[2:5], s[0:1]
	s_mov_b64 s[0:1], 0
.LBB379_2:
	s_andn2_b64 vcc, exec, s[0:1]
	s_cbranch_vccnz .LBB379_28
; %bb.3:
	v_cmp_gt_i32_e32 vcc, s8, v0
	v_mov_b32_e32 v1, 0
	v_or_b32_e32 v2, s2, v0
	v_mov_b32_e32 v3, 0
	v_mov_b32_e32 v4, v0
	s_and_saveexec_b64 s[0:1], vcc
	s_cbranch_execz .LBB379_5
; %bb.4:
	v_mov_b32_e32 v3, 0
	v_lshl_add_u64 v[4:5], v[2:3], 1, s[6:7]
	global_load_ushort v3, v[4:5], off
	v_or_b32_e32 v4, 0x100, v0
.LBB379_5:
	s_or_b64 exec, exec, s[0:1]
	v_cmp_gt_i32_e64 s[0:1], s8, v4
	s_and_saveexec_b64 s[10:11], s[0:1]
	s_cbranch_execz .LBB379_7
; %bb.6:
	v_add_u32_e32 v6, s2, v4
	v_mov_b32_e32 v7, 0
	v_lshl_add_u64 v[6:7], v[6:7], 1, s[6:7]
	global_load_ushort v1, v[6:7], off
	v_add_u32_e32 v4, 0x100, v4
.LBB379_7:
	s_or_b64 exec, exec, s[10:11]
	v_cmp_gt_i32_e64 s[0:1], s8, v4
	v_mov_b32_e32 v5, 0
	v_mov_b32_e32 v6, 0
	s_and_saveexec_b64 s[10:11], s[0:1]
	s_cbranch_execz .LBB379_9
; %bb.8:
	v_add_u32_e32 v6, s2, v4
	v_mov_b32_e32 v7, 0
	v_lshl_add_u64 v[6:7], v[6:7], 1, s[6:7]
	global_load_ushort v6, v[6:7], off
	v_add_u32_e32 v4, 0x100, v4
.LBB379_9:
	s_or_b64 exec, exec, s[10:11]
	v_cmp_gt_i32_e64 s[0:1], s8, v4
	s_and_saveexec_b64 s[10:11], s[0:1]
	s_cbranch_execz .LBB379_11
; %bb.10:
	v_add_u32_e32 v8, s2, v4
	v_mov_b32_e32 v9, 0
	v_lshl_add_u64 v[8:9], v[8:9], 1, s[6:7]
	global_load_ushort v5, v[8:9], off
	v_add_u32_e32 v4, 0x100, v4
.LBB379_11:
	s_or_b64 exec, exec, s[10:11]
	v_cmp_gt_i32_e64 s[0:1], s8, v4
	v_mov_b32_e32 v7, 0
	v_mov_b32_e32 v8, 0
	s_and_saveexec_b64 s[10:11], s[0:1]
	s_cbranch_execz .LBB379_13
; %bb.12:
	v_add_u32_e32 v8, s2, v4
	v_mov_b32_e32 v9, 0
	v_lshl_add_u64 v[8:9], v[8:9], 1, s[6:7]
	global_load_ushort v8, v[8:9], off
	v_add_u32_e32 v4, 0x100, v4
.LBB379_13:
	;; [unrolled: 24-line block ×3, first 2 shown]
	s_or_b64 exec, exec, s[10:11]
	v_cmp_gt_i32_e64 s[0:1], s8, v4
	s_and_saveexec_b64 s[10:11], s[0:1]
	s_cbranch_execz .LBB379_19
; %bb.18:
	v_add_u32_e32 v12, s2, v4
	v_mov_b32_e32 v13, 0
	v_lshl_add_u64 v[12:13], v[12:13], 1, s[6:7]
	global_load_ushort v9, v[12:13], off
.LBB379_19:
	s_or_b64 exec, exec, s[10:11]
	s_waitcnt vmcnt(0)
	v_max_i16_e32 v3, s9, v3
	v_cndmask_b32_e32 v3, 0, v3, vcc
	v_or_b32_e32 v12, 0x100, v0
	v_max_i16_e32 v1, s9, v1
	s_mov_b32 s3, 0x5040100
	v_perm_b32 v1, v1, v3, s3
	v_cmp_gt_i32_e64 s[0:1], s8, v12
	v_max_i16_e32 v4, s9, v5
	s_nop 0
	v_cndmask_b32_e64 v11, v3, v1, s[0:1]
	v_or_b32_e32 v1, 0x200, v0
	v_max_i16_e32 v3, s9, v6
	v_cmp_gt_i32_e64 s[0:1], s8, v1
	v_max_i16_e32 v6, s9, v9
	s_nop 0
	v_cndmask_b32_e64 v1, 0, v3, s[0:1]
	v_or_b32_e32 v3, 0x300, v0
	v_perm_b32 v4, v4, v1, s3
	v_cmp_gt_i32_e64 s[0:1], s8, v3
	v_max_i16_e32 v3, s9, v8
	s_nop 0
	v_cndmask_b32_e64 v5, v1, v4, s[0:1]
	v_or_b32_e32 v1, 0x400, v0
	v_cmp_gt_i32_e64 s[0:1], s8, v1
	v_max_i16_e32 v4, s9, v7
	s_nop 0
	v_cndmask_b32_e64 v1, 0, v3, s[0:1]
	v_or_b32_e32 v3, 0x500, v0
	v_perm_b32 v4, v4, v1, s3
	v_cmp_gt_i32_e64 s[0:1], s8, v3
	v_max_i16_e32 v3, s9, v10
	s_nop 0
	v_cndmask_b32_e64 v4, v1, v4, s[0:1]
	v_or_b32_e32 v1, 0x600, v0
	v_cmp_gt_i32_e64 s[0:1], s8, v1
	s_nop 1
	v_cndmask_b32_e64 v1, 0, v3, s[0:1]
	v_or_b32_e32 v3, 0x700, v0
	v_perm_b32 v6, v6, v1, s3
	v_cmp_gt_i32_e64 s[0:1], s8, v3
	s_nop 1
	v_cndmask_b32_e64 v1, v1, v6, s[0:1]
	s_and_saveexec_b64 s[0:1], vcc
	s_cbranch_execnz .LBB379_29
; %bb.20:
	s_or_b64 exec, exec, s[0:1]
	v_cmp_gt_i32_e32 vcc, s8, v0
	s_and_saveexec_b64 s[0:1], vcc
	s_cbranch_execnz .LBB379_30
.LBB379_21:
	s_or_b64 exec, exec, s[0:1]
	v_cmp_gt_i32_e32 vcc, s8, v0
	s_and_saveexec_b64 s[0:1], vcc
	s_cbranch_execnz .LBB379_31
.LBB379_22:
	s_or_b64 exec, exec, s[0:1]
	v_cmp_gt_i32_e32 vcc, s8, v0
	s_and_saveexec_b64 s[0:1], vcc
	s_cbranch_execnz .LBB379_32
.LBB379_23:
	s_or_b64 exec, exec, s[0:1]
	v_cmp_gt_i32_e32 vcc, s8, v0
	s_and_saveexec_b64 s[0:1], vcc
	s_cbranch_execnz .LBB379_33
.LBB379_24:
	s_or_b64 exec, exec, s[0:1]
	v_cmp_gt_i32_e32 vcc, s8, v0
	s_and_saveexec_b64 s[0:1], vcc
	s_cbranch_execnz .LBB379_34
.LBB379_25:
	s_or_b64 exec, exec, s[0:1]
	v_cmp_gt_i32_e32 vcc, s8, v0
	s_and_saveexec_b64 s[0:1], vcc
	s_cbranch_execnz .LBB379_35
.LBB379_26:
	s_or_b64 exec, exec, s[0:1]
	v_cmp_gt_i32_e32 vcc, s8, v0
	s_and_saveexec_b64 s[0:1], vcc
	s_cbranch_execz .LBB379_28
.LBB379_27:
	v_add_u32_e32 v2, s2, v0
	v_mov_b32_e32 v3, 0
	v_lshl_add_u64 v[2:3], v[2:3], 1, s[4:5]
	global_store_short_d16_hi v[2:3], v1, off
.LBB379_28:
	s_endpgm
.LBB379_29:
	v_mov_b32_e32 v3, 0
	v_lshl_add_u64 v[2:3], v[2:3], 1, s[4:5]
	v_mov_b32_e32 v0, v12
	global_store_short v[2:3], v11, off
	s_or_b64 exec, exec, s[0:1]
	v_cmp_gt_i32_e32 vcc, s8, v0
	s_and_saveexec_b64 s[0:1], vcc
	s_cbranch_execz .LBB379_21
.LBB379_30:
	v_add_u32_e32 v2, s2, v0
	v_mov_b32_e32 v3, 0
	v_lshl_add_u64 v[2:3], v[2:3], 1, s[4:5]
	v_add_u32_e32 v0, 0x100, v0
	global_store_short_d16_hi v[2:3], v11, off
	s_or_b64 exec, exec, s[0:1]
	v_cmp_gt_i32_e32 vcc, s8, v0
	s_and_saveexec_b64 s[0:1], vcc
	s_cbranch_execz .LBB379_22
.LBB379_31:
	v_add_u32_e32 v2, s2, v0
	v_mov_b32_e32 v3, 0
	v_lshl_add_u64 v[2:3], v[2:3], 1, s[4:5]
	v_add_u32_e32 v0, 0x100, v0
	global_store_short v[2:3], v5, off
	s_or_b64 exec, exec, s[0:1]
	v_cmp_gt_i32_e32 vcc, s8, v0
	s_and_saveexec_b64 s[0:1], vcc
	s_cbranch_execz .LBB379_23
.LBB379_32:
	v_add_u32_e32 v2, s2, v0
	v_mov_b32_e32 v3, 0
	v_lshl_add_u64 v[2:3], v[2:3], 1, s[4:5]
	v_add_u32_e32 v0, 0x100, v0
	global_store_short_d16_hi v[2:3], v5, off
	s_or_b64 exec, exec, s[0:1]
	v_cmp_gt_i32_e32 vcc, s8, v0
	s_and_saveexec_b64 s[0:1], vcc
	s_cbranch_execz .LBB379_24
.LBB379_33:
	v_add_u32_e32 v2, s2, v0
	v_mov_b32_e32 v3, 0
	v_lshl_add_u64 v[2:3], v[2:3], 1, s[4:5]
	v_add_u32_e32 v0, 0x100, v0
	global_store_short v[2:3], v4, off
	s_or_b64 exec, exec, s[0:1]
	v_cmp_gt_i32_e32 vcc, s8, v0
	s_and_saveexec_b64 s[0:1], vcc
	s_cbranch_execz .LBB379_25
.LBB379_34:
	v_add_u32_e32 v2, s2, v0
	v_mov_b32_e32 v3, 0
	v_lshl_add_u64 v[2:3], v[2:3], 1, s[4:5]
	v_add_u32_e32 v0, 0x100, v0
	global_store_short_d16_hi v[2:3], v4, off
	s_or_b64 exec, exec, s[0:1]
	v_cmp_gt_i32_e32 vcc, s8, v0
	s_and_saveexec_b64 s[0:1], vcc
	s_cbranch_execz .LBB379_26
.LBB379_35:
	v_add_u32_e32 v2, s2, v0
	v_mov_b32_e32 v3, 0
	v_lshl_add_u64 v[2:3], v[2:3], 1, s[4:5]
	v_add_u32_e32 v0, 0x100, v0
	global_store_short v[2:3], v1, off
	s_or_b64 exec, exec, s[0:1]
	v_cmp_gt_i32_e32 vcc, s8, v0
	s_and_saveexec_b64 s[0:1], vcc
	s_cbranch_execnz .LBB379_27
	s_branch .LBB379_28
	.section	.rodata,"a",@progbits
	.p2align	6, 0x0
	.amdhsa_kernel _ZN2at6native29vectorized_elementwise_kernelILi8EZZZNS0_21clamp_min_kernel_cudaERNS_18TensorIteratorBaseERKN3c106ScalarEENKUlvE_clEvENKUlvE3_clEvEUlsE_St5arrayIPcLm2EEEEviT0_T1_
		.amdhsa_group_segment_fixed_size 0
		.amdhsa_private_segment_fixed_size 0
		.amdhsa_kernarg_size 24
		.amdhsa_user_sgpr_count 2
		.amdhsa_user_sgpr_dispatch_ptr 0
		.amdhsa_user_sgpr_queue_ptr 0
		.amdhsa_user_sgpr_kernarg_segment_ptr 1
		.amdhsa_user_sgpr_dispatch_id 0
		.amdhsa_user_sgpr_kernarg_preload_length 0
		.amdhsa_user_sgpr_kernarg_preload_offset 0
		.amdhsa_user_sgpr_private_segment_size 0
		.amdhsa_uses_dynamic_stack 0
		.amdhsa_enable_private_segment 0
		.amdhsa_system_sgpr_workgroup_id_x 1
		.amdhsa_system_sgpr_workgroup_id_y 0
		.amdhsa_system_sgpr_workgroup_id_z 0
		.amdhsa_system_sgpr_workgroup_info 0
		.amdhsa_system_vgpr_workitem_id 0
		.amdhsa_next_free_vgpr 14
		.amdhsa_next_free_sgpr 12
		.amdhsa_accum_offset 16
		.amdhsa_reserve_vcc 1
		.amdhsa_float_round_mode_32 0
		.amdhsa_float_round_mode_16_64 0
		.amdhsa_float_denorm_mode_32 3
		.amdhsa_float_denorm_mode_16_64 3
		.amdhsa_dx10_clamp 1
		.amdhsa_ieee_mode 1
		.amdhsa_fp16_overflow 0
		.amdhsa_tg_split 0
		.amdhsa_exception_fp_ieee_invalid_op 0
		.amdhsa_exception_fp_denorm_src 0
		.amdhsa_exception_fp_ieee_div_zero 0
		.amdhsa_exception_fp_ieee_overflow 0
		.amdhsa_exception_fp_ieee_underflow 0
		.amdhsa_exception_fp_ieee_inexact 0
		.amdhsa_exception_int_div_zero 0
	.end_amdhsa_kernel
	.section	.text._ZN2at6native29vectorized_elementwise_kernelILi8EZZZNS0_21clamp_min_kernel_cudaERNS_18TensorIteratorBaseERKN3c106ScalarEENKUlvE_clEvENKUlvE3_clEvEUlsE_St5arrayIPcLm2EEEEviT0_T1_,"axG",@progbits,_ZN2at6native29vectorized_elementwise_kernelILi8EZZZNS0_21clamp_min_kernel_cudaERNS_18TensorIteratorBaseERKN3c106ScalarEENKUlvE_clEvENKUlvE3_clEvEUlsE_St5arrayIPcLm2EEEEviT0_T1_,comdat
.Lfunc_end379:
	.size	_ZN2at6native29vectorized_elementwise_kernelILi8EZZZNS0_21clamp_min_kernel_cudaERNS_18TensorIteratorBaseERKN3c106ScalarEENKUlvE_clEvENKUlvE3_clEvEUlsE_St5arrayIPcLm2EEEEviT0_T1_, .Lfunc_end379-_ZN2at6native29vectorized_elementwise_kernelILi8EZZZNS0_21clamp_min_kernel_cudaERNS_18TensorIteratorBaseERKN3c106ScalarEENKUlvE_clEvENKUlvE3_clEvEUlsE_St5arrayIPcLm2EEEEviT0_T1_
                                        ; -- End function
	.set _ZN2at6native29vectorized_elementwise_kernelILi8EZZZNS0_21clamp_min_kernel_cudaERNS_18TensorIteratorBaseERKN3c106ScalarEENKUlvE_clEvENKUlvE3_clEvEUlsE_St5arrayIPcLm2EEEEviT0_T1_.num_vgpr, 14
	.set _ZN2at6native29vectorized_elementwise_kernelILi8EZZZNS0_21clamp_min_kernel_cudaERNS_18TensorIteratorBaseERKN3c106ScalarEENKUlvE_clEvENKUlvE3_clEvEUlsE_St5arrayIPcLm2EEEEviT0_T1_.num_agpr, 0
	.set _ZN2at6native29vectorized_elementwise_kernelILi8EZZZNS0_21clamp_min_kernel_cudaERNS_18TensorIteratorBaseERKN3c106ScalarEENKUlvE_clEvENKUlvE3_clEvEUlsE_St5arrayIPcLm2EEEEviT0_T1_.numbered_sgpr, 12
	.set _ZN2at6native29vectorized_elementwise_kernelILi8EZZZNS0_21clamp_min_kernel_cudaERNS_18TensorIteratorBaseERKN3c106ScalarEENKUlvE_clEvENKUlvE3_clEvEUlsE_St5arrayIPcLm2EEEEviT0_T1_.num_named_barrier, 0
	.set _ZN2at6native29vectorized_elementwise_kernelILi8EZZZNS0_21clamp_min_kernel_cudaERNS_18TensorIteratorBaseERKN3c106ScalarEENKUlvE_clEvENKUlvE3_clEvEUlsE_St5arrayIPcLm2EEEEviT0_T1_.private_seg_size, 0
	.set _ZN2at6native29vectorized_elementwise_kernelILi8EZZZNS0_21clamp_min_kernel_cudaERNS_18TensorIteratorBaseERKN3c106ScalarEENKUlvE_clEvENKUlvE3_clEvEUlsE_St5arrayIPcLm2EEEEviT0_T1_.uses_vcc, 1
	.set _ZN2at6native29vectorized_elementwise_kernelILi8EZZZNS0_21clamp_min_kernel_cudaERNS_18TensorIteratorBaseERKN3c106ScalarEENKUlvE_clEvENKUlvE3_clEvEUlsE_St5arrayIPcLm2EEEEviT0_T1_.uses_flat_scratch, 0
	.set _ZN2at6native29vectorized_elementwise_kernelILi8EZZZNS0_21clamp_min_kernel_cudaERNS_18TensorIteratorBaseERKN3c106ScalarEENKUlvE_clEvENKUlvE3_clEvEUlsE_St5arrayIPcLm2EEEEviT0_T1_.has_dyn_sized_stack, 0
	.set _ZN2at6native29vectorized_elementwise_kernelILi8EZZZNS0_21clamp_min_kernel_cudaERNS_18TensorIteratorBaseERKN3c106ScalarEENKUlvE_clEvENKUlvE3_clEvEUlsE_St5arrayIPcLm2EEEEviT0_T1_.has_recursion, 0
	.set _ZN2at6native29vectorized_elementwise_kernelILi8EZZZNS0_21clamp_min_kernel_cudaERNS_18TensorIteratorBaseERKN3c106ScalarEENKUlvE_clEvENKUlvE3_clEvEUlsE_St5arrayIPcLm2EEEEviT0_T1_.has_indirect_call, 0
	.section	.AMDGPU.csdata,"",@progbits
; Kernel info:
; codeLenInByte = 1328
; TotalNumSgprs: 18
; NumVgprs: 14
; NumAgprs: 0
; TotalNumVgprs: 14
; ScratchSize: 0
; MemoryBound: 0
; FloatMode: 240
; IeeeMode: 1
; LDSByteSize: 0 bytes/workgroup (compile time only)
; SGPRBlocks: 2
; VGPRBlocks: 1
; NumSGPRsForWavesPerEU: 18
; NumVGPRsForWavesPerEU: 14
; AccumOffset: 16
; Occupancy: 8
; WaveLimiterHint : 0
; COMPUTE_PGM_RSRC2:SCRATCH_EN: 0
; COMPUTE_PGM_RSRC2:USER_SGPR: 2
; COMPUTE_PGM_RSRC2:TRAP_HANDLER: 0
; COMPUTE_PGM_RSRC2:TGID_X_EN: 1
; COMPUTE_PGM_RSRC2:TGID_Y_EN: 0
; COMPUTE_PGM_RSRC2:TGID_Z_EN: 0
; COMPUTE_PGM_RSRC2:TIDIG_COMP_CNT: 0
; COMPUTE_PGM_RSRC3_GFX90A:ACCUM_OFFSET: 3
; COMPUTE_PGM_RSRC3_GFX90A:TG_SPLIT: 0
	.section	.text._ZN2at6native29vectorized_elementwise_kernelILi4EZZZNS0_21clamp_min_kernel_cudaERNS_18TensorIteratorBaseERKN3c106ScalarEENKUlvE_clEvENKUlvE3_clEvEUlsE_St5arrayIPcLm2EEEEviT0_T1_,"axG",@progbits,_ZN2at6native29vectorized_elementwise_kernelILi4EZZZNS0_21clamp_min_kernel_cudaERNS_18TensorIteratorBaseERKN3c106ScalarEENKUlvE_clEvENKUlvE3_clEvEUlsE_St5arrayIPcLm2EEEEviT0_T1_,comdat
	.globl	_ZN2at6native29vectorized_elementwise_kernelILi4EZZZNS0_21clamp_min_kernel_cudaERNS_18TensorIteratorBaseERKN3c106ScalarEENKUlvE_clEvENKUlvE3_clEvEUlsE_St5arrayIPcLm2EEEEviT0_T1_ ; -- Begin function _ZN2at6native29vectorized_elementwise_kernelILi4EZZZNS0_21clamp_min_kernel_cudaERNS_18TensorIteratorBaseERKN3c106ScalarEENKUlvE_clEvENKUlvE3_clEvEUlsE_St5arrayIPcLm2EEEEviT0_T1_
	.p2align	8
	.type	_ZN2at6native29vectorized_elementwise_kernelILi4EZZZNS0_21clamp_min_kernel_cudaERNS_18TensorIteratorBaseERKN3c106ScalarEENKUlvE_clEvENKUlvE3_clEvEUlsE_St5arrayIPcLm2EEEEviT0_T1_,@function
_ZN2at6native29vectorized_elementwise_kernelILi4EZZZNS0_21clamp_min_kernel_cudaERNS_18TensorIteratorBaseERKN3c106ScalarEENKUlvE_clEvENKUlvE3_clEvEUlsE_St5arrayIPcLm2EEEEviT0_T1_: ; @_ZN2at6native29vectorized_elementwise_kernelILi4EZZZNS0_21clamp_min_kernel_cudaERNS_18TensorIteratorBaseERKN3c106ScalarEENKUlvE_clEvENKUlvE3_clEvEUlsE_St5arrayIPcLm2EEEEviT0_T1_
; %bb.0:
	s_load_dwordx2 s[8:9], s[0:1], 0x0
	s_load_dwordx4 s[4:7], s[0:1], 0x8
	s_lshl_b32 s2, s2, 11
	s_mov_b64 s[0:1], -1
	s_waitcnt lgkmcnt(0)
	s_sub_i32 s8, s8, s2
	s_cmpk_gt_i32 s8, 0x7ff
	s_cbranch_scc0 .LBB380_2
; %bb.1:
	s_ashr_i32 s3, s2, 31
	s_lshl_b64 s[0:1], s[2:3], 1
	s_add_u32 s10, s6, s0
	s_addc_u32 s11, s7, s1
	v_lshlrev_b32_e32 v1, 3, v0
	global_load_dwordx2 v[2:3], v1, s[10:11] offset:2048
	global_load_dwordx2 v[4:5], v1, s[10:11]
	s_add_u32 s0, s4, s0
	s_addc_u32 s1, s5, s1
	s_waitcnt vmcnt(1)
	v_pk_max_i16 v3, v3, s9 op_sel_hi:[1,0]
	s_waitcnt vmcnt(0)
	v_pk_max_i16 v5, v5, s9 op_sel_hi:[1,0]
	v_pk_max_i16 v4, v4, s9 op_sel_hi:[1,0]
	;; [unrolled: 1-line block ×3, first 2 shown]
	global_store_dwordx2 v1, v[4:5], s[0:1]
	global_store_dwordx2 v1, v[2:3], s[0:1] offset:2048
	s_mov_b64 s[0:1], 0
.LBB380_2:
	s_andn2_b64 vcc, exec, s[0:1]
	s_cbranch_vccnz .LBB380_28
; %bb.3:
	v_cmp_gt_i32_e32 vcc, s8, v0
	v_mov_b32_e32 v1, 0
	v_or_b32_e32 v2, s2, v0
	v_mov_b32_e32 v3, 0
	v_mov_b32_e32 v4, v0
	s_and_saveexec_b64 s[0:1], vcc
	s_cbranch_execz .LBB380_5
; %bb.4:
	v_mov_b32_e32 v3, 0
	v_lshl_add_u64 v[4:5], v[2:3], 1, s[6:7]
	global_load_ushort v3, v[4:5], off
	v_or_b32_e32 v4, 0x100, v0
.LBB380_5:
	s_or_b64 exec, exec, s[0:1]
	v_cmp_gt_i32_e64 s[0:1], s8, v4
	s_and_saveexec_b64 s[10:11], s[0:1]
	s_cbranch_execz .LBB380_7
; %bb.6:
	v_add_u32_e32 v6, s2, v4
	v_mov_b32_e32 v7, 0
	v_lshl_add_u64 v[6:7], v[6:7], 1, s[6:7]
	global_load_ushort v1, v[6:7], off
	v_add_u32_e32 v4, 0x100, v4
.LBB380_7:
	s_or_b64 exec, exec, s[10:11]
	v_cmp_gt_i32_e64 s[0:1], s8, v4
	v_mov_b32_e32 v5, 0
	v_mov_b32_e32 v6, 0
	s_and_saveexec_b64 s[10:11], s[0:1]
	s_cbranch_execz .LBB380_9
; %bb.8:
	v_add_u32_e32 v6, s2, v4
	v_mov_b32_e32 v7, 0
	v_lshl_add_u64 v[6:7], v[6:7], 1, s[6:7]
	global_load_ushort v6, v[6:7], off
	v_add_u32_e32 v4, 0x100, v4
.LBB380_9:
	s_or_b64 exec, exec, s[10:11]
	v_cmp_gt_i32_e64 s[0:1], s8, v4
	s_and_saveexec_b64 s[10:11], s[0:1]
	s_cbranch_execz .LBB380_11
; %bb.10:
	v_add_u32_e32 v8, s2, v4
	v_mov_b32_e32 v9, 0
	v_lshl_add_u64 v[8:9], v[8:9], 1, s[6:7]
	global_load_ushort v5, v[8:9], off
	v_add_u32_e32 v4, 0x100, v4
.LBB380_11:
	s_or_b64 exec, exec, s[10:11]
	v_cmp_gt_i32_e64 s[0:1], s8, v4
	v_mov_b32_e32 v7, 0
	v_mov_b32_e32 v8, 0
	s_and_saveexec_b64 s[10:11], s[0:1]
	s_cbranch_execz .LBB380_13
; %bb.12:
	v_add_u32_e32 v8, s2, v4
	v_mov_b32_e32 v9, 0
	v_lshl_add_u64 v[8:9], v[8:9], 1, s[6:7]
	global_load_ushort v8, v[8:9], off
	v_add_u32_e32 v4, 0x100, v4
.LBB380_13:
	;; [unrolled: 24-line block ×3, first 2 shown]
	s_or_b64 exec, exec, s[10:11]
	v_cmp_gt_i32_e64 s[0:1], s8, v4
	s_and_saveexec_b64 s[10:11], s[0:1]
	s_cbranch_execz .LBB380_19
; %bb.18:
	v_add_u32_e32 v12, s2, v4
	v_mov_b32_e32 v13, 0
	v_lshl_add_u64 v[12:13], v[12:13], 1, s[6:7]
	global_load_ushort v9, v[12:13], off
.LBB380_19:
	s_or_b64 exec, exec, s[10:11]
	s_waitcnt vmcnt(0)
	v_max_i16_e32 v3, s9, v3
	v_cndmask_b32_e32 v3, 0, v3, vcc
	v_or_b32_e32 v12, 0x100, v0
	v_max_i16_e32 v1, s9, v1
	s_mov_b32 s3, 0x5040100
	v_perm_b32 v1, v1, v3, s3
	v_cmp_gt_i32_e64 s[0:1], s8, v12
	v_max_i16_e32 v4, s9, v5
	s_nop 0
	v_cndmask_b32_e64 v11, v3, v1, s[0:1]
	v_or_b32_e32 v1, 0x200, v0
	v_max_i16_e32 v3, s9, v6
	v_cmp_gt_i32_e64 s[0:1], s8, v1
	v_max_i16_e32 v6, s9, v9
	s_nop 0
	v_cndmask_b32_e64 v1, 0, v3, s[0:1]
	v_or_b32_e32 v3, 0x300, v0
	v_perm_b32 v4, v4, v1, s3
	v_cmp_gt_i32_e64 s[0:1], s8, v3
	v_max_i16_e32 v3, s9, v8
	s_nop 0
	v_cndmask_b32_e64 v5, v1, v4, s[0:1]
	v_or_b32_e32 v1, 0x400, v0
	v_cmp_gt_i32_e64 s[0:1], s8, v1
	v_max_i16_e32 v4, s9, v7
	s_nop 0
	v_cndmask_b32_e64 v1, 0, v3, s[0:1]
	v_or_b32_e32 v3, 0x500, v0
	v_perm_b32 v4, v4, v1, s3
	v_cmp_gt_i32_e64 s[0:1], s8, v3
	v_max_i16_e32 v3, s9, v10
	s_nop 0
	v_cndmask_b32_e64 v4, v1, v4, s[0:1]
	v_or_b32_e32 v1, 0x600, v0
	v_cmp_gt_i32_e64 s[0:1], s8, v1
	s_nop 1
	v_cndmask_b32_e64 v1, 0, v3, s[0:1]
	v_or_b32_e32 v3, 0x700, v0
	v_perm_b32 v6, v6, v1, s3
	v_cmp_gt_i32_e64 s[0:1], s8, v3
	s_nop 1
	v_cndmask_b32_e64 v1, v1, v6, s[0:1]
	s_and_saveexec_b64 s[0:1], vcc
	s_cbranch_execnz .LBB380_29
; %bb.20:
	s_or_b64 exec, exec, s[0:1]
	v_cmp_gt_i32_e32 vcc, s8, v0
	s_and_saveexec_b64 s[0:1], vcc
	s_cbranch_execnz .LBB380_30
.LBB380_21:
	s_or_b64 exec, exec, s[0:1]
	v_cmp_gt_i32_e32 vcc, s8, v0
	s_and_saveexec_b64 s[0:1], vcc
	s_cbranch_execnz .LBB380_31
.LBB380_22:
	s_or_b64 exec, exec, s[0:1]
	v_cmp_gt_i32_e32 vcc, s8, v0
	s_and_saveexec_b64 s[0:1], vcc
	s_cbranch_execnz .LBB380_32
.LBB380_23:
	s_or_b64 exec, exec, s[0:1]
	v_cmp_gt_i32_e32 vcc, s8, v0
	s_and_saveexec_b64 s[0:1], vcc
	s_cbranch_execnz .LBB380_33
.LBB380_24:
	s_or_b64 exec, exec, s[0:1]
	v_cmp_gt_i32_e32 vcc, s8, v0
	s_and_saveexec_b64 s[0:1], vcc
	s_cbranch_execnz .LBB380_34
.LBB380_25:
	s_or_b64 exec, exec, s[0:1]
	v_cmp_gt_i32_e32 vcc, s8, v0
	s_and_saveexec_b64 s[0:1], vcc
	s_cbranch_execnz .LBB380_35
.LBB380_26:
	s_or_b64 exec, exec, s[0:1]
	v_cmp_gt_i32_e32 vcc, s8, v0
	s_and_saveexec_b64 s[0:1], vcc
	s_cbranch_execz .LBB380_28
.LBB380_27:
	v_add_u32_e32 v2, s2, v0
	v_mov_b32_e32 v3, 0
	v_lshl_add_u64 v[2:3], v[2:3], 1, s[4:5]
	global_store_short_d16_hi v[2:3], v1, off
.LBB380_28:
	s_endpgm
.LBB380_29:
	v_mov_b32_e32 v3, 0
	v_lshl_add_u64 v[2:3], v[2:3], 1, s[4:5]
	v_mov_b32_e32 v0, v12
	global_store_short v[2:3], v11, off
	s_or_b64 exec, exec, s[0:1]
	v_cmp_gt_i32_e32 vcc, s8, v0
	s_and_saveexec_b64 s[0:1], vcc
	s_cbranch_execz .LBB380_21
.LBB380_30:
	v_add_u32_e32 v2, s2, v0
	v_mov_b32_e32 v3, 0
	v_lshl_add_u64 v[2:3], v[2:3], 1, s[4:5]
	v_add_u32_e32 v0, 0x100, v0
	global_store_short_d16_hi v[2:3], v11, off
	s_or_b64 exec, exec, s[0:1]
	v_cmp_gt_i32_e32 vcc, s8, v0
	s_and_saveexec_b64 s[0:1], vcc
	s_cbranch_execz .LBB380_22
.LBB380_31:
	v_add_u32_e32 v2, s2, v0
	v_mov_b32_e32 v3, 0
	v_lshl_add_u64 v[2:3], v[2:3], 1, s[4:5]
	v_add_u32_e32 v0, 0x100, v0
	global_store_short v[2:3], v5, off
	s_or_b64 exec, exec, s[0:1]
	v_cmp_gt_i32_e32 vcc, s8, v0
	s_and_saveexec_b64 s[0:1], vcc
	s_cbranch_execz .LBB380_23
.LBB380_32:
	v_add_u32_e32 v2, s2, v0
	v_mov_b32_e32 v3, 0
	v_lshl_add_u64 v[2:3], v[2:3], 1, s[4:5]
	v_add_u32_e32 v0, 0x100, v0
	global_store_short_d16_hi v[2:3], v5, off
	s_or_b64 exec, exec, s[0:1]
	v_cmp_gt_i32_e32 vcc, s8, v0
	s_and_saveexec_b64 s[0:1], vcc
	s_cbranch_execz .LBB380_24
.LBB380_33:
	v_add_u32_e32 v2, s2, v0
	v_mov_b32_e32 v3, 0
	v_lshl_add_u64 v[2:3], v[2:3], 1, s[4:5]
	v_add_u32_e32 v0, 0x100, v0
	global_store_short v[2:3], v4, off
	s_or_b64 exec, exec, s[0:1]
	v_cmp_gt_i32_e32 vcc, s8, v0
	s_and_saveexec_b64 s[0:1], vcc
	s_cbranch_execz .LBB380_25
.LBB380_34:
	v_add_u32_e32 v2, s2, v0
	v_mov_b32_e32 v3, 0
	v_lshl_add_u64 v[2:3], v[2:3], 1, s[4:5]
	v_add_u32_e32 v0, 0x100, v0
	global_store_short_d16_hi v[2:3], v4, off
	s_or_b64 exec, exec, s[0:1]
	v_cmp_gt_i32_e32 vcc, s8, v0
	s_and_saveexec_b64 s[0:1], vcc
	s_cbranch_execz .LBB380_26
.LBB380_35:
	v_add_u32_e32 v2, s2, v0
	v_mov_b32_e32 v3, 0
	v_lshl_add_u64 v[2:3], v[2:3], 1, s[4:5]
	v_add_u32_e32 v0, 0x100, v0
	global_store_short v[2:3], v1, off
	s_or_b64 exec, exec, s[0:1]
	v_cmp_gt_i32_e32 vcc, s8, v0
	s_and_saveexec_b64 s[0:1], vcc
	s_cbranch_execnz .LBB380_27
	s_branch .LBB380_28
	.section	.rodata,"a",@progbits
	.p2align	6, 0x0
	.amdhsa_kernel _ZN2at6native29vectorized_elementwise_kernelILi4EZZZNS0_21clamp_min_kernel_cudaERNS_18TensorIteratorBaseERKN3c106ScalarEENKUlvE_clEvENKUlvE3_clEvEUlsE_St5arrayIPcLm2EEEEviT0_T1_
		.amdhsa_group_segment_fixed_size 0
		.amdhsa_private_segment_fixed_size 0
		.amdhsa_kernarg_size 24
		.amdhsa_user_sgpr_count 2
		.amdhsa_user_sgpr_dispatch_ptr 0
		.amdhsa_user_sgpr_queue_ptr 0
		.amdhsa_user_sgpr_kernarg_segment_ptr 1
		.amdhsa_user_sgpr_dispatch_id 0
		.amdhsa_user_sgpr_kernarg_preload_length 0
		.amdhsa_user_sgpr_kernarg_preload_offset 0
		.amdhsa_user_sgpr_private_segment_size 0
		.amdhsa_uses_dynamic_stack 0
		.amdhsa_enable_private_segment 0
		.amdhsa_system_sgpr_workgroup_id_x 1
		.amdhsa_system_sgpr_workgroup_id_y 0
		.amdhsa_system_sgpr_workgroup_id_z 0
		.amdhsa_system_sgpr_workgroup_info 0
		.amdhsa_system_vgpr_workitem_id 0
		.amdhsa_next_free_vgpr 14
		.amdhsa_next_free_sgpr 12
		.amdhsa_accum_offset 16
		.amdhsa_reserve_vcc 1
		.amdhsa_float_round_mode_32 0
		.amdhsa_float_round_mode_16_64 0
		.amdhsa_float_denorm_mode_32 3
		.amdhsa_float_denorm_mode_16_64 3
		.amdhsa_dx10_clamp 1
		.amdhsa_ieee_mode 1
		.amdhsa_fp16_overflow 0
		.amdhsa_tg_split 0
		.amdhsa_exception_fp_ieee_invalid_op 0
		.amdhsa_exception_fp_denorm_src 0
		.amdhsa_exception_fp_ieee_div_zero 0
		.amdhsa_exception_fp_ieee_overflow 0
		.amdhsa_exception_fp_ieee_underflow 0
		.amdhsa_exception_fp_ieee_inexact 0
		.amdhsa_exception_int_div_zero 0
	.end_amdhsa_kernel
	.section	.text._ZN2at6native29vectorized_elementwise_kernelILi4EZZZNS0_21clamp_min_kernel_cudaERNS_18TensorIteratorBaseERKN3c106ScalarEENKUlvE_clEvENKUlvE3_clEvEUlsE_St5arrayIPcLm2EEEEviT0_T1_,"axG",@progbits,_ZN2at6native29vectorized_elementwise_kernelILi4EZZZNS0_21clamp_min_kernel_cudaERNS_18TensorIteratorBaseERKN3c106ScalarEENKUlvE_clEvENKUlvE3_clEvEUlsE_St5arrayIPcLm2EEEEviT0_T1_,comdat
.Lfunc_end380:
	.size	_ZN2at6native29vectorized_elementwise_kernelILi4EZZZNS0_21clamp_min_kernel_cudaERNS_18TensorIteratorBaseERKN3c106ScalarEENKUlvE_clEvENKUlvE3_clEvEUlsE_St5arrayIPcLm2EEEEviT0_T1_, .Lfunc_end380-_ZN2at6native29vectorized_elementwise_kernelILi4EZZZNS0_21clamp_min_kernel_cudaERNS_18TensorIteratorBaseERKN3c106ScalarEENKUlvE_clEvENKUlvE3_clEvEUlsE_St5arrayIPcLm2EEEEviT0_T1_
                                        ; -- End function
	.set _ZN2at6native29vectorized_elementwise_kernelILi4EZZZNS0_21clamp_min_kernel_cudaERNS_18TensorIteratorBaseERKN3c106ScalarEENKUlvE_clEvENKUlvE3_clEvEUlsE_St5arrayIPcLm2EEEEviT0_T1_.num_vgpr, 14
	.set _ZN2at6native29vectorized_elementwise_kernelILi4EZZZNS0_21clamp_min_kernel_cudaERNS_18TensorIteratorBaseERKN3c106ScalarEENKUlvE_clEvENKUlvE3_clEvEUlsE_St5arrayIPcLm2EEEEviT0_T1_.num_agpr, 0
	.set _ZN2at6native29vectorized_elementwise_kernelILi4EZZZNS0_21clamp_min_kernel_cudaERNS_18TensorIteratorBaseERKN3c106ScalarEENKUlvE_clEvENKUlvE3_clEvEUlsE_St5arrayIPcLm2EEEEviT0_T1_.numbered_sgpr, 12
	.set _ZN2at6native29vectorized_elementwise_kernelILi4EZZZNS0_21clamp_min_kernel_cudaERNS_18TensorIteratorBaseERKN3c106ScalarEENKUlvE_clEvENKUlvE3_clEvEUlsE_St5arrayIPcLm2EEEEviT0_T1_.num_named_barrier, 0
	.set _ZN2at6native29vectorized_elementwise_kernelILi4EZZZNS0_21clamp_min_kernel_cudaERNS_18TensorIteratorBaseERKN3c106ScalarEENKUlvE_clEvENKUlvE3_clEvEUlsE_St5arrayIPcLm2EEEEviT0_T1_.private_seg_size, 0
	.set _ZN2at6native29vectorized_elementwise_kernelILi4EZZZNS0_21clamp_min_kernel_cudaERNS_18TensorIteratorBaseERKN3c106ScalarEENKUlvE_clEvENKUlvE3_clEvEUlsE_St5arrayIPcLm2EEEEviT0_T1_.uses_vcc, 1
	.set _ZN2at6native29vectorized_elementwise_kernelILi4EZZZNS0_21clamp_min_kernel_cudaERNS_18TensorIteratorBaseERKN3c106ScalarEENKUlvE_clEvENKUlvE3_clEvEUlsE_St5arrayIPcLm2EEEEviT0_T1_.uses_flat_scratch, 0
	.set _ZN2at6native29vectorized_elementwise_kernelILi4EZZZNS0_21clamp_min_kernel_cudaERNS_18TensorIteratorBaseERKN3c106ScalarEENKUlvE_clEvENKUlvE3_clEvEUlsE_St5arrayIPcLm2EEEEviT0_T1_.has_dyn_sized_stack, 0
	.set _ZN2at6native29vectorized_elementwise_kernelILi4EZZZNS0_21clamp_min_kernel_cudaERNS_18TensorIteratorBaseERKN3c106ScalarEENKUlvE_clEvENKUlvE3_clEvEUlsE_St5arrayIPcLm2EEEEviT0_T1_.has_recursion, 0
	.set _ZN2at6native29vectorized_elementwise_kernelILi4EZZZNS0_21clamp_min_kernel_cudaERNS_18TensorIteratorBaseERKN3c106ScalarEENKUlvE_clEvENKUlvE3_clEvEUlsE_St5arrayIPcLm2EEEEviT0_T1_.has_indirect_call, 0
	.section	.AMDGPU.csdata,"",@progbits
; Kernel info:
; codeLenInByte = 1348
; TotalNumSgprs: 18
; NumVgprs: 14
; NumAgprs: 0
; TotalNumVgprs: 14
; ScratchSize: 0
; MemoryBound: 0
; FloatMode: 240
; IeeeMode: 1
; LDSByteSize: 0 bytes/workgroup (compile time only)
; SGPRBlocks: 2
; VGPRBlocks: 1
; NumSGPRsForWavesPerEU: 18
; NumVGPRsForWavesPerEU: 14
; AccumOffset: 16
; Occupancy: 8
; WaveLimiterHint : 1
; COMPUTE_PGM_RSRC2:SCRATCH_EN: 0
; COMPUTE_PGM_RSRC2:USER_SGPR: 2
; COMPUTE_PGM_RSRC2:TRAP_HANDLER: 0
; COMPUTE_PGM_RSRC2:TGID_X_EN: 1
; COMPUTE_PGM_RSRC2:TGID_Y_EN: 0
; COMPUTE_PGM_RSRC2:TGID_Z_EN: 0
; COMPUTE_PGM_RSRC2:TIDIG_COMP_CNT: 0
; COMPUTE_PGM_RSRC3_GFX90A:ACCUM_OFFSET: 3
; COMPUTE_PGM_RSRC3_GFX90A:TG_SPLIT: 0
	.section	.text._ZN2at6native29vectorized_elementwise_kernelILi2EZZZNS0_21clamp_min_kernel_cudaERNS_18TensorIteratorBaseERKN3c106ScalarEENKUlvE_clEvENKUlvE3_clEvEUlsE_St5arrayIPcLm2EEEEviT0_T1_,"axG",@progbits,_ZN2at6native29vectorized_elementwise_kernelILi2EZZZNS0_21clamp_min_kernel_cudaERNS_18TensorIteratorBaseERKN3c106ScalarEENKUlvE_clEvENKUlvE3_clEvEUlsE_St5arrayIPcLm2EEEEviT0_T1_,comdat
	.globl	_ZN2at6native29vectorized_elementwise_kernelILi2EZZZNS0_21clamp_min_kernel_cudaERNS_18TensorIteratorBaseERKN3c106ScalarEENKUlvE_clEvENKUlvE3_clEvEUlsE_St5arrayIPcLm2EEEEviT0_T1_ ; -- Begin function _ZN2at6native29vectorized_elementwise_kernelILi2EZZZNS0_21clamp_min_kernel_cudaERNS_18TensorIteratorBaseERKN3c106ScalarEENKUlvE_clEvENKUlvE3_clEvEUlsE_St5arrayIPcLm2EEEEviT0_T1_
	.p2align	8
	.type	_ZN2at6native29vectorized_elementwise_kernelILi2EZZZNS0_21clamp_min_kernel_cudaERNS_18TensorIteratorBaseERKN3c106ScalarEENKUlvE_clEvENKUlvE3_clEvEUlsE_St5arrayIPcLm2EEEEviT0_T1_,@function
_ZN2at6native29vectorized_elementwise_kernelILi2EZZZNS0_21clamp_min_kernel_cudaERNS_18TensorIteratorBaseERKN3c106ScalarEENKUlvE_clEvENKUlvE3_clEvEUlsE_St5arrayIPcLm2EEEEviT0_T1_: ; @_ZN2at6native29vectorized_elementwise_kernelILi2EZZZNS0_21clamp_min_kernel_cudaERNS_18TensorIteratorBaseERKN3c106ScalarEENKUlvE_clEvENKUlvE3_clEvEUlsE_St5arrayIPcLm2EEEEviT0_T1_
; %bb.0:
	s_load_dwordx2 s[8:9], s[0:1], 0x0
	s_load_dwordx4 s[4:7], s[0:1], 0x8
	s_lshl_b32 s2, s2, 11
	s_mov_b64 s[0:1], -1
	s_waitcnt lgkmcnt(0)
	s_sub_i32 s8, s8, s2
	s_cmpk_gt_i32 s8, 0x7ff
	s_cbranch_scc0 .LBB381_2
; %bb.1:
	s_ashr_i32 s3, s2, 31
	s_lshl_b64 s[0:1], s[2:3], 1
	s_add_u32 s10, s6, s0
	s_addc_u32 s11, s7, s1
	v_lshlrev_b32_e32 v1, 2, v0
	global_load_dword v2, v1, s[10:11] offset:3072
	global_load_dword v3, v1, s[10:11] offset:2048
	;; [unrolled: 1-line block ×3, first 2 shown]
	global_load_dword v5, v1, s[10:11]
	s_add_u32 s0, s4, s0
	s_addc_u32 s1, s5, s1
	s_waitcnt vmcnt(3)
	v_pk_max_i16 v2, v2, s9 op_sel_hi:[1,0]
	s_waitcnt vmcnt(2)
	v_pk_max_i16 v3, v3, s9 op_sel_hi:[1,0]
	;; [unrolled: 2-line block ×4, first 2 shown]
	global_store_dword v1, v5, s[0:1]
	global_store_dword v1, v4, s[0:1] offset:1024
	global_store_dword v1, v3, s[0:1] offset:2048
	;; [unrolled: 1-line block ×3, first 2 shown]
	s_mov_b64 s[0:1], 0
.LBB381_2:
	s_andn2_b64 vcc, exec, s[0:1]
	s_cbranch_vccnz .LBB381_28
; %bb.3:
	v_cmp_gt_i32_e32 vcc, s8, v0
	v_mov_b32_e32 v1, 0
	v_or_b32_e32 v2, s2, v0
	v_mov_b32_e32 v3, 0
	v_mov_b32_e32 v4, v0
	s_and_saveexec_b64 s[0:1], vcc
	s_cbranch_execz .LBB381_5
; %bb.4:
	v_mov_b32_e32 v3, 0
	v_lshl_add_u64 v[4:5], v[2:3], 1, s[6:7]
	global_load_ushort v3, v[4:5], off
	v_or_b32_e32 v4, 0x100, v0
.LBB381_5:
	s_or_b64 exec, exec, s[0:1]
	v_cmp_gt_i32_e64 s[0:1], s8, v4
	s_and_saveexec_b64 s[10:11], s[0:1]
	s_cbranch_execz .LBB381_7
; %bb.6:
	v_add_u32_e32 v6, s2, v4
	v_mov_b32_e32 v7, 0
	v_lshl_add_u64 v[6:7], v[6:7], 1, s[6:7]
	global_load_ushort v1, v[6:7], off
	v_add_u32_e32 v4, 0x100, v4
.LBB381_7:
	s_or_b64 exec, exec, s[10:11]
	v_cmp_gt_i32_e64 s[0:1], s8, v4
	v_mov_b32_e32 v5, 0
	v_mov_b32_e32 v6, 0
	s_and_saveexec_b64 s[10:11], s[0:1]
	s_cbranch_execz .LBB381_9
; %bb.8:
	v_add_u32_e32 v6, s2, v4
	v_mov_b32_e32 v7, 0
	v_lshl_add_u64 v[6:7], v[6:7], 1, s[6:7]
	global_load_ushort v6, v[6:7], off
	v_add_u32_e32 v4, 0x100, v4
.LBB381_9:
	s_or_b64 exec, exec, s[10:11]
	v_cmp_gt_i32_e64 s[0:1], s8, v4
	s_and_saveexec_b64 s[10:11], s[0:1]
	s_cbranch_execz .LBB381_11
; %bb.10:
	v_add_u32_e32 v8, s2, v4
	v_mov_b32_e32 v9, 0
	v_lshl_add_u64 v[8:9], v[8:9], 1, s[6:7]
	global_load_ushort v5, v[8:9], off
	v_add_u32_e32 v4, 0x100, v4
.LBB381_11:
	s_or_b64 exec, exec, s[10:11]
	v_cmp_gt_i32_e64 s[0:1], s8, v4
	v_mov_b32_e32 v7, 0
	v_mov_b32_e32 v8, 0
	s_and_saveexec_b64 s[10:11], s[0:1]
	s_cbranch_execz .LBB381_13
; %bb.12:
	v_add_u32_e32 v8, s2, v4
	v_mov_b32_e32 v9, 0
	v_lshl_add_u64 v[8:9], v[8:9], 1, s[6:7]
	global_load_ushort v8, v[8:9], off
	v_add_u32_e32 v4, 0x100, v4
.LBB381_13:
	;; [unrolled: 24-line block ×3, first 2 shown]
	s_or_b64 exec, exec, s[10:11]
	v_cmp_gt_i32_e64 s[0:1], s8, v4
	s_and_saveexec_b64 s[10:11], s[0:1]
	s_cbranch_execz .LBB381_19
; %bb.18:
	v_add_u32_e32 v12, s2, v4
	v_mov_b32_e32 v13, 0
	v_lshl_add_u64 v[12:13], v[12:13], 1, s[6:7]
	global_load_ushort v9, v[12:13], off
.LBB381_19:
	s_or_b64 exec, exec, s[10:11]
	s_waitcnt vmcnt(0)
	v_max_i16_e32 v3, s9, v3
	v_cndmask_b32_e32 v3, 0, v3, vcc
	v_or_b32_e32 v12, 0x100, v0
	v_max_i16_e32 v1, s9, v1
	s_mov_b32 s3, 0x5040100
	v_perm_b32 v1, v1, v3, s3
	v_cmp_gt_i32_e64 s[0:1], s8, v12
	v_max_i16_e32 v4, s9, v5
	s_nop 0
	v_cndmask_b32_e64 v11, v3, v1, s[0:1]
	v_or_b32_e32 v1, 0x200, v0
	v_max_i16_e32 v3, s9, v6
	v_cmp_gt_i32_e64 s[0:1], s8, v1
	v_max_i16_e32 v6, s9, v9
	s_nop 0
	v_cndmask_b32_e64 v1, 0, v3, s[0:1]
	v_or_b32_e32 v3, 0x300, v0
	v_perm_b32 v4, v4, v1, s3
	v_cmp_gt_i32_e64 s[0:1], s8, v3
	v_max_i16_e32 v3, s9, v8
	s_nop 0
	v_cndmask_b32_e64 v5, v1, v4, s[0:1]
	v_or_b32_e32 v1, 0x400, v0
	v_cmp_gt_i32_e64 s[0:1], s8, v1
	v_max_i16_e32 v4, s9, v7
	s_nop 0
	v_cndmask_b32_e64 v1, 0, v3, s[0:1]
	v_or_b32_e32 v3, 0x500, v0
	v_perm_b32 v4, v4, v1, s3
	v_cmp_gt_i32_e64 s[0:1], s8, v3
	v_max_i16_e32 v3, s9, v10
	s_nop 0
	v_cndmask_b32_e64 v4, v1, v4, s[0:1]
	v_or_b32_e32 v1, 0x600, v0
	v_cmp_gt_i32_e64 s[0:1], s8, v1
	s_nop 1
	v_cndmask_b32_e64 v1, 0, v3, s[0:1]
	v_or_b32_e32 v3, 0x700, v0
	v_perm_b32 v6, v6, v1, s3
	v_cmp_gt_i32_e64 s[0:1], s8, v3
	s_nop 1
	v_cndmask_b32_e64 v1, v1, v6, s[0:1]
	s_and_saveexec_b64 s[0:1], vcc
	s_cbranch_execnz .LBB381_29
; %bb.20:
	s_or_b64 exec, exec, s[0:1]
	v_cmp_gt_i32_e32 vcc, s8, v0
	s_and_saveexec_b64 s[0:1], vcc
	s_cbranch_execnz .LBB381_30
.LBB381_21:
	s_or_b64 exec, exec, s[0:1]
	v_cmp_gt_i32_e32 vcc, s8, v0
	s_and_saveexec_b64 s[0:1], vcc
	s_cbranch_execnz .LBB381_31
.LBB381_22:
	s_or_b64 exec, exec, s[0:1]
	v_cmp_gt_i32_e32 vcc, s8, v0
	s_and_saveexec_b64 s[0:1], vcc
	s_cbranch_execnz .LBB381_32
.LBB381_23:
	s_or_b64 exec, exec, s[0:1]
	v_cmp_gt_i32_e32 vcc, s8, v0
	s_and_saveexec_b64 s[0:1], vcc
	s_cbranch_execnz .LBB381_33
.LBB381_24:
	s_or_b64 exec, exec, s[0:1]
	v_cmp_gt_i32_e32 vcc, s8, v0
	s_and_saveexec_b64 s[0:1], vcc
	s_cbranch_execnz .LBB381_34
.LBB381_25:
	s_or_b64 exec, exec, s[0:1]
	v_cmp_gt_i32_e32 vcc, s8, v0
	s_and_saveexec_b64 s[0:1], vcc
	s_cbranch_execnz .LBB381_35
.LBB381_26:
	s_or_b64 exec, exec, s[0:1]
	v_cmp_gt_i32_e32 vcc, s8, v0
	s_and_saveexec_b64 s[0:1], vcc
	s_cbranch_execz .LBB381_28
.LBB381_27:
	v_add_u32_e32 v2, s2, v0
	v_mov_b32_e32 v3, 0
	v_lshl_add_u64 v[2:3], v[2:3], 1, s[4:5]
	global_store_short_d16_hi v[2:3], v1, off
.LBB381_28:
	s_endpgm
.LBB381_29:
	v_mov_b32_e32 v3, 0
	v_lshl_add_u64 v[2:3], v[2:3], 1, s[4:5]
	v_mov_b32_e32 v0, v12
	global_store_short v[2:3], v11, off
	s_or_b64 exec, exec, s[0:1]
	v_cmp_gt_i32_e32 vcc, s8, v0
	s_and_saveexec_b64 s[0:1], vcc
	s_cbranch_execz .LBB381_21
.LBB381_30:
	v_add_u32_e32 v2, s2, v0
	v_mov_b32_e32 v3, 0
	v_lshl_add_u64 v[2:3], v[2:3], 1, s[4:5]
	v_add_u32_e32 v0, 0x100, v0
	global_store_short_d16_hi v[2:3], v11, off
	s_or_b64 exec, exec, s[0:1]
	v_cmp_gt_i32_e32 vcc, s8, v0
	s_and_saveexec_b64 s[0:1], vcc
	s_cbranch_execz .LBB381_22
.LBB381_31:
	v_add_u32_e32 v2, s2, v0
	v_mov_b32_e32 v3, 0
	v_lshl_add_u64 v[2:3], v[2:3], 1, s[4:5]
	v_add_u32_e32 v0, 0x100, v0
	global_store_short v[2:3], v5, off
	s_or_b64 exec, exec, s[0:1]
	v_cmp_gt_i32_e32 vcc, s8, v0
	s_and_saveexec_b64 s[0:1], vcc
	s_cbranch_execz .LBB381_23
.LBB381_32:
	v_add_u32_e32 v2, s2, v0
	v_mov_b32_e32 v3, 0
	v_lshl_add_u64 v[2:3], v[2:3], 1, s[4:5]
	v_add_u32_e32 v0, 0x100, v0
	global_store_short_d16_hi v[2:3], v5, off
	s_or_b64 exec, exec, s[0:1]
	v_cmp_gt_i32_e32 vcc, s8, v0
	s_and_saveexec_b64 s[0:1], vcc
	s_cbranch_execz .LBB381_24
.LBB381_33:
	v_add_u32_e32 v2, s2, v0
	v_mov_b32_e32 v3, 0
	v_lshl_add_u64 v[2:3], v[2:3], 1, s[4:5]
	v_add_u32_e32 v0, 0x100, v0
	global_store_short v[2:3], v4, off
	s_or_b64 exec, exec, s[0:1]
	v_cmp_gt_i32_e32 vcc, s8, v0
	s_and_saveexec_b64 s[0:1], vcc
	s_cbranch_execz .LBB381_25
.LBB381_34:
	v_add_u32_e32 v2, s2, v0
	v_mov_b32_e32 v3, 0
	v_lshl_add_u64 v[2:3], v[2:3], 1, s[4:5]
	v_add_u32_e32 v0, 0x100, v0
	global_store_short_d16_hi v[2:3], v4, off
	s_or_b64 exec, exec, s[0:1]
	v_cmp_gt_i32_e32 vcc, s8, v0
	s_and_saveexec_b64 s[0:1], vcc
	s_cbranch_execz .LBB381_26
.LBB381_35:
	v_add_u32_e32 v2, s2, v0
	v_mov_b32_e32 v3, 0
	v_lshl_add_u64 v[2:3], v[2:3], 1, s[4:5]
	v_add_u32_e32 v0, 0x100, v0
	global_store_short v[2:3], v1, off
	s_or_b64 exec, exec, s[0:1]
	v_cmp_gt_i32_e32 vcc, s8, v0
	s_and_saveexec_b64 s[0:1], vcc
	s_cbranch_execnz .LBB381_27
	s_branch .LBB381_28
	.section	.rodata,"a",@progbits
	.p2align	6, 0x0
	.amdhsa_kernel _ZN2at6native29vectorized_elementwise_kernelILi2EZZZNS0_21clamp_min_kernel_cudaERNS_18TensorIteratorBaseERKN3c106ScalarEENKUlvE_clEvENKUlvE3_clEvEUlsE_St5arrayIPcLm2EEEEviT0_T1_
		.amdhsa_group_segment_fixed_size 0
		.amdhsa_private_segment_fixed_size 0
		.amdhsa_kernarg_size 24
		.amdhsa_user_sgpr_count 2
		.amdhsa_user_sgpr_dispatch_ptr 0
		.amdhsa_user_sgpr_queue_ptr 0
		.amdhsa_user_sgpr_kernarg_segment_ptr 1
		.amdhsa_user_sgpr_dispatch_id 0
		.amdhsa_user_sgpr_kernarg_preload_length 0
		.amdhsa_user_sgpr_kernarg_preload_offset 0
		.amdhsa_user_sgpr_private_segment_size 0
		.amdhsa_uses_dynamic_stack 0
		.amdhsa_enable_private_segment 0
		.amdhsa_system_sgpr_workgroup_id_x 1
		.amdhsa_system_sgpr_workgroup_id_y 0
		.amdhsa_system_sgpr_workgroup_id_z 0
		.amdhsa_system_sgpr_workgroup_info 0
		.amdhsa_system_vgpr_workitem_id 0
		.amdhsa_next_free_vgpr 14
		.amdhsa_next_free_sgpr 12
		.amdhsa_accum_offset 16
		.amdhsa_reserve_vcc 1
		.amdhsa_float_round_mode_32 0
		.amdhsa_float_round_mode_16_64 0
		.amdhsa_float_denorm_mode_32 3
		.amdhsa_float_denorm_mode_16_64 3
		.amdhsa_dx10_clamp 1
		.amdhsa_ieee_mode 1
		.amdhsa_fp16_overflow 0
		.amdhsa_tg_split 0
		.amdhsa_exception_fp_ieee_invalid_op 0
		.amdhsa_exception_fp_denorm_src 0
		.amdhsa_exception_fp_ieee_div_zero 0
		.amdhsa_exception_fp_ieee_overflow 0
		.amdhsa_exception_fp_ieee_underflow 0
		.amdhsa_exception_fp_ieee_inexact 0
		.amdhsa_exception_int_div_zero 0
	.end_amdhsa_kernel
	.section	.text._ZN2at6native29vectorized_elementwise_kernelILi2EZZZNS0_21clamp_min_kernel_cudaERNS_18TensorIteratorBaseERKN3c106ScalarEENKUlvE_clEvENKUlvE3_clEvEUlsE_St5arrayIPcLm2EEEEviT0_T1_,"axG",@progbits,_ZN2at6native29vectorized_elementwise_kernelILi2EZZZNS0_21clamp_min_kernel_cudaERNS_18TensorIteratorBaseERKN3c106ScalarEENKUlvE_clEvENKUlvE3_clEvEUlsE_St5arrayIPcLm2EEEEviT0_T1_,comdat
.Lfunc_end381:
	.size	_ZN2at6native29vectorized_elementwise_kernelILi2EZZZNS0_21clamp_min_kernel_cudaERNS_18TensorIteratorBaseERKN3c106ScalarEENKUlvE_clEvENKUlvE3_clEvEUlsE_St5arrayIPcLm2EEEEviT0_T1_, .Lfunc_end381-_ZN2at6native29vectorized_elementwise_kernelILi2EZZZNS0_21clamp_min_kernel_cudaERNS_18TensorIteratorBaseERKN3c106ScalarEENKUlvE_clEvENKUlvE3_clEvEUlsE_St5arrayIPcLm2EEEEviT0_T1_
                                        ; -- End function
	.set _ZN2at6native29vectorized_elementwise_kernelILi2EZZZNS0_21clamp_min_kernel_cudaERNS_18TensorIteratorBaseERKN3c106ScalarEENKUlvE_clEvENKUlvE3_clEvEUlsE_St5arrayIPcLm2EEEEviT0_T1_.num_vgpr, 14
	.set _ZN2at6native29vectorized_elementwise_kernelILi2EZZZNS0_21clamp_min_kernel_cudaERNS_18TensorIteratorBaseERKN3c106ScalarEENKUlvE_clEvENKUlvE3_clEvEUlsE_St5arrayIPcLm2EEEEviT0_T1_.num_agpr, 0
	.set _ZN2at6native29vectorized_elementwise_kernelILi2EZZZNS0_21clamp_min_kernel_cudaERNS_18TensorIteratorBaseERKN3c106ScalarEENKUlvE_clEvENKUlvE3_clEvEUlsE_St5arrayIPcLm2EEEEviT0_T1_.numbered_sgpr, 12
	.set _ZN2at6native29vectorized_elementwise_kernelILi2EZZZNS0_21clamp_min_kernel_cudaERNS_18TensorIteratorBaseERKN3c106ScalarEENKUlvE_clEvENKUlvE3_clEvEUlsE_St5arrayIPcLm2EEEEviT0_T1_.num_named_barrier, 0
	.set _ZN2at6native29vectorized_elementwise_kernelILi2EZZZNS0_21clamp_min_kernel_cudaERNS_18TensorIteratorBaseERKN3c106ScalarEENKUlvE_clEvENKUlvE3_clEvEUlsE_St5arrayIPcLm2EEEEviT0_T1_.private_seg_size, 0
	.set _ZN2at6native29vectorized_elementwise_kernelILi2EZZZNS0_21clamp_min_kernel_cudaERNS_18TensorIteratorBaseERKN3c106ScalarEENKUlvE_clEvENKUlvE3_clEvEUlsE_St5arrayIPcLm2EEEEviT0_T1_.uses_vcc, 1
	.set _ZN2at6native29vectorized_elementwise_kernelILi2EZZZNS0_21clamp_min_kernel_cudaERNS_18TensorIteratorBaseERKN3c106ScalarEENKUlvE_clEvENKUlvE3_clEvEUlsE_St5arrayIPcLm2EEEEviT0_T1_.uses_flat_scratch, 0
	.set _ZN2at6native29vectorized_elementwise_kernelILi2EZZZNS0_21clamp_min_kernel_cudaERNS_18TensorIteratorBaseERKN3c106ScalarEENKUlvE_clEvENKUlvE3_clEvEUlsE_St5arrayIPcLm2EEEEviT0_T1_.has_dyn_sized_stack, 0
	.set _ZN2at6native29vectorized_elementwise_kernelILi2EZZZNS0_21clamp_min_kernel_cudaERNS_18TensorIteratorBaseERKN3c106ScalarEENKUlvE_clEvENKUlvE3_clEvEUlsE_St5arrayIPcLm2EEEEviT0_T1_.has_recursion, 0
	.set _ZN2at6native29vectorized_elementwise_kernelILi2EZZZNS0_21clamp_min_kernel_cudaERNS_18TensorIteratorBaseERKN3c106ScalarEENKUlvE_clEvENKUlvE3_clEvEUlsE_St5arrayIPcLm2EEEEviT0_T1_.has_indirect_call, 0
	.section	.AMDGPU.csdata,"",@progbits
; Kernel info:
; codeLenInByte = 1388
; TotalNumSgprs: 18
; NumVgprs: 14
; NumAgprs: 0
; TotalNumVgprs: 14
; ScratchSize: 0
; MemoryBound: 0
; FloatMode: 240
; IeeeMode: 1
; LDSByteSize: 0 bytes/workgroup (compile time only)
; SGPRBlocks: 2
; VGPRBlocks: 1
; NumSGPRsForWavesPerEU: 18
; NumVGPRsForWavesPerEU: 14
; AccumOffset: 16
; Occupancy: 8
; WaveLimiterHint : 1
; COMPUTE_PGM_RSRC2:SCRATCH_EN: 0
; COMPUTE_PGM_RSRC2:USER_SGPR: 2
; COMPUTE_PGM_RSRC2:TRAP_HANDLER: 0
; COMPUTE_PGM_RSRC2:TGID_X_EN: 1
; COMPUTE_PGM_RSRC2:TGID_Y_EN: 0
; COMPUTE_PGM_RSRC2:TGID_Z_EN: 0
; COMPUTE_PGM_RSRC2:TIDIG_COMP_CNT: 0
; COMPUTE_PGM_RSRC3_GFX90A:ACCUM_OFFSET: 3
; COMPUTE_PGM_RSRC3_GFX90A:TG_SPLIT: 0
	.section	.text._ZN2at6native27unrolled_elementwise_kernelIZZZNS0_21clamp_min_kernel_cudaERNS_18TensorIteratorBaseERKN3c106ScalarEENKUlvE_clEvENKUlvE3_clEvEUlsE_St5arrayIPcLm2EELi4E23TrivialOffsetCalculatorILi1EjESF_NS0_6memory15LoadWithoutCastENSG_16StoreWithoutCastEEEviT_T0_T2_T3_T4_T5_,"axG",@progbits,_ZN2at6native27unrolled_elementwise_kernelIZZZNS0_21clamp_min_kernel_cudaERNS_18TensorIteratorBaseERKN3c106ScalarEENKUlvE_clEvENKUlvE3_clEvEUlsE_St5arrayIPcLm2EELi4E23TrivialOffsetCalculatorILi1EjESF_NS0_6memory15LoadWithoutCastENSG_16StoreWithoutCastEEEviT_T0_T2_T3_T4_T5_,comdat
	.globl	_ZN2at6native27unrolled_elementwise_kernelIZZZNS0_21clamp_min_kernel_cudaERNS_18TensorIteratorBaseERKN3c106ScalarEENKUlvE_clEvENKUlvE3_clEvEUlsE_St5arrayIPcLm2EELi4E23TrivialOffsetCalculatorILi1EjESF_NS0_6memory15LoadWithoutCastENSG_16StoreWithoutCastEEEviT_T0_T2_T3_T4_T5_ ; -- Begin function _ZN2at6native27unrolled_elementwise_kernelIZZZNS0_21clamp_min_kernel_cudaERNS_18TensorIteratorBaseERKN3c106ScalarEENKUlvE_clEvENKUlvE3_clEvEUlsE_St5arrayIPcLm2EELi4E23TrivialOffsetCalculatorILi1EjESF_NS0_6memory15LoadWithoutCastENSG_16StoreWithoutCastEEEviT_T0_T2_T3_T4_T5_
	.p2align	8
	.type	_ZN2at6native27unrolled_elementwise_kernelIZZZNS0_21clamp_min_kernel_cudaERNS_18TensorIteratorBaseERKN3c106ScalarEENKUlvE_clEvENKUlvE3_clEvEUlsE_St5arrayIPcLm2EELi4E23TrivialOffsetCalculatorILi1EjESF_NS0_6memory15LoadWithoutCastENSG_16StoreWithoutCastEEEviT_T0_T2_T3_T4_T5_,@function
_ZN2at6native27unrolled_elementwise_kernelIZZZNS0_21clamp_min_kernel_cudaERNS_18TensorIteratorBaseERKN3c106ScalarEENKUlvE_clEvENKUlvE3_clEvEUlsE_St5arrayIPcLm2EELi4E23TrivialOffsetCalculatorILi1EjESF_NS0_6memory15LoadWithoutCastENSG_16StoreWithoutCastEEEviT_T0_T2_T3_T4_T5_: ; @_ZN2at6native27unrolled_elementwise_kernelIZZZNS0_21clamp_min_kernel_cudaERNS_18TensorIteratorBaseERKN3c106ScalarEENKUlvE_clEvENKUlvE3_clEvEUlsE_St5arrayIPcLm2EELi4E23TrivialOffsetCalculatorILi1EjESF_NS0_6memory15LoadWithoutCastENSG_16StoreWithoutCastEEEviT_T0_T2_T3_T4_T5_
; %bb.0:
	s_load_dwordx2 s[8:9], s[0:1], 0x0
	s_load_dwordx4 s[4:7], s[0:1], 0x8
	s_lshl_b32 s10, s2, 10
	v_mov_b32_e32 v1, 0
	v_or_b32_e32 v2, s10, v0
	s_waitcnt lgkmcnt(0)
	s_sub_i32 s8, s8, s10
	v_cmp_gt_i32_e32 vcc, s8, v0
	v_mov_b32_e32 v3, 0
	v_mov_b32_e32 v4, v0
	s_and_saveexec_b64 s[0:1], vcc
	s_cbranch_execz .LBB382_2
; %bb.1:
	v_mov_b32_e32 v3, 0
	v_lshl_add_u64 v[4:5], v[2:3], 1, s[6:7]
	global_load_ushort v3, v[4:5], off
	v_or_b32_e32 v4, 0x100, v0
.LBB382_2:
	s_or_b64 exec, exec, s[0:1]
	v_cmp_gt_i32_e64 s[0:1], s8, v4
	s_and_saveexec_b64 s[2:3], s[0:1]
	s_cbranch_execz .LBB382_4
; %bb.3:
	v_add_u32_e32 v6, s10, v4
	v_mov_b32_e32 v7, 0
	v_lshl_add_u64 v[6:7], v[6:7], 1, s[6:7]
	global_load_ushort v1, v[6:7], off
	v_add_u32_e32 v4, 0x100, v4
.LBB382_4:
	s_or_b64 exec, exec, s[2:3]
	v_cmp_gt_i32_e64 s[0:1], s8, v4
	v_mov_b32_e32 v5, 0
	v_mov_b32_e32 v6, 0
	s_and_saveexec_b64 s[2:3], s[0:1]
	s_cbranch_execz .LBB382_6
; %bb.5:
	v_add_u32_e32 v6, s10, v4
	v_mov_b32_e32 v7, 0
	v_lshl_add_u64 v[6:7], v[6:7], 1, s[6:7]
	global_load_ushort v6, v[6:7], off
	v_add_u32_e32 v4, 0x100, v4
.LBB382_6:
	s_or_b64 exec, exec, s[2:3]
	v_cmp_gt_i32_e64 s[0:1], s8, v4
	s_and_saveexec_b64 s[2:3], s[0:1]
	s_cbranch_execz .LBB382_8
; %bb.7:
	v_add_u32_e32 v4, s10, v4
	v_mov_b32_e32 v5, 0
	v_lshl_add_u64 v[4:5], v[4:5], 1, s[6:7]
	global_load_ushort v5, v[4:5], off
.LBB382_8:
	s_or_b64 exec, exec, s[2:3]
	s_waitcnt vmcnt(0)
	v_max_i16_e32 v3, s9, v3
	v_cndmask_b32_e32 v3, 0, v3, vcc
	v_or_b32_e32 v7, 0x100, v0
	v_max_i16_e32 v1, s9, v1
	s_mov_b32 s2, 0x5040100
	v_perm_b32 v1, v1, v3, s2
	v_cmp_gt_i32_e64 s[0:1], s8, v7
	v_max_i16_e32 v5, s9, v5
	s_nop 0
	v_cndmask_b32_e64 v4, v3, v1, s[0:1]
	v_or_b32_e32 v1, 0x200, v0
	v_max_i16_e32 v3, s9, v6
	v_cmp_gt_i32_e64 s[0:1], s8, v1
	s_nop 1
	v_cndmask_b32_e64 v1, 0, v3, s[0:1]
	v_or_b32_e32 v3, 0x300, v0
	v_perm_b32 v5, v5, v1, s2
	v_cmp_gt_i32_e64 s[0:1], s8, v3
	s_nop 1
	v_cndmask_b32_e64 v1, v1, v5, s[0:1]
	s_and_saveexec_b64 s[0:1], vcc
	s_cbranch_execnz .LBB382_13
; %bb.9:
	s_or_b64 exec, exec, s[0:1]
	v_cmp_gt_i32_e32 vcc, s8, v0
	s_and_saveexec_b64 s[0:1], vcc
	s_cbranch_execnz .LBB382_14
.LBB382_10:
	s_or_b64 exec, exec, s[0:1]
	v_cmp_gt_i32_e32 vcc, s8, v0
	s_and_saveexec_b64 s[0:1], vcc
	s_cbranch_execnz .LBB382_15
.LBB382_11:
	s_or_b64 exec, exec, s[0:1]
	v_cmp_gt_i32_e32 vcc, s8, v0
	s_and_saveexec_b64 s[0:1], vcc
	s_cbranch_execnz .LBB382_16
.LBB382_12:
	s_endpgm
.LBB382_13:
	v_mov_b32_e32 v3, 0
	v_lshl_add_u64 v[2:3], v[2:3], 1, s[4:5]
	v_mov_b32_e32 v0, v7
	global_store_short v[2:3], v4, off
	s_or_b64 exec, exec, s[0:1]
	v_cmp_gt_i32_e32 vcc, s8, v0
	s_and_saveexec_b64 s[0:1], vcc
	s_cbranch_execz .LBB382_10
.LBB382_14:
	v_add_u32_e32 v5, 0x100, v0
	v_add_u32_e32 v2, s10, v0
	v_mov_b32_e32 v3, 0
	v_lshl_add_u64 v[2:3], v[2:3], 1, s[4:5]
	v_mov_b32_e32 v0, v5
	global_store_short_d16_hi v[2:3], v4, off
	s_or_b64 exec, exec, s[0:1]
	v_cmp_gt_i32_e32 vcc, s8, v0
	s_and_saveexec_b64 s[0:1], vcc
	s_cbranch_execz .LBB382_11
.LBB382_15:
	v_add_u32_e32 v4, 0x100, v0
	v_add_u32_e32 v2, s10, v0
	v_mov_b32_e32 v3, 0
	v_lshl_add_u64 v[2:3], v[2:3], 1, s[4:5]
	v_mov_b32_e32 v0, v4
	global_store_short v[2:3], v1, off
	s_or_b64 exec, exec, s[0:1]
	v_cmp_gt_i32_e32 vcc, s8, v0
	s_and_saveexec_b64 s[0:1], vcc
	s_cbranch_execz .LBB382_12
.LBB382_16:
	v_add_u32_e32 v2, s10, v0
	v_mov_b32_e32 v3, 0
	v_lshl_add_u64 v[2:3], v[2:3], 1, s[4:5]
	global_store_short_d16_hi v[2:3], v1, off
	s_endpgm
	.section	.rodata,"a",@progbits
	.p2align	6, 0x0
	.amdhsa_kernel _ZN2at6native27unrolled_elementwise_kernelIZZZNS0_21clamp_min_kernel_cudaERNS_18TensorIteratorBaseERKN3c106ScalarEENKUlvE_clEvENKUlvE3_clEvEUlsE_St5arrayIPcLm2EELi4E23TrivialOffsetCalculatorILi1EjESF_NS0_6memory15LoadWithoutCastENSG_16StoreWithoutCastEEEviT_T0_T2_T3_T4_T5_
		.amdhsa_group_segment_fixed_size 0
		.amdhsa_private_segment_fixed_size 0
		.amdhsa_kernarg_size 28
		.amdhsa_user_sgpr_count 2
		.amdhsa_user_sgpr_dispatch_ptr 0
		.amdhsa_user_sgpr_queue_ptr 0
		.amdhsa_user_sgpr_kernarg_segment_ptr 1
		.amdhsa_user_sgpr_dispatch_id 0
		.amdhsa_user_sgpr_kernarg_preload_length 0
		.amdhsa_user_sgpr_kernarg_preload_offset 0
		.amdhsa_user_sgpr_private_segment_size 0
		.amdhsa_uses_dynamic_stack 0
		.amdhsa_enable_private_segment 0
		.amdhsa_system_sgpr_workgroup_id_x 1
		.amdhsa_system_sgpr_workgroup_id_y 0
		.amdhsa_system_sgpr_workgroup_id_z 0
		.amdhsa_system_sgpr_workgroup_info 0
		.amdhsa_system_vgpr_workitem_id 0
		.amdhsa_next_free_vgpr 8
		.amdhsa_next_free_sgpr 11
		.amdhsa_accum_offset 8
		.amdhsa_reserve_vcc 1
		.amdhsa_float_round_mode_32 0
		.amdhsa_float_round_mode_16_64 0
		.amdhsa_float_denorm_mode_32 3
		.amdhsa_float_denorm_mode_16_64 3
		.amdhsa_dx10_clamp 1
		.amdhsa_ieee_mode 1
		.amdhsa_fp16_overflow 0
		.amdhsa_tg_split 0
		.amdhsa_exception_fp_ieee_invalid_op 0
		.amdhsa_exception_fp_denorm_src 0
		.amdhsa_exception_fp_ieee_div_zero 0
		.amdhsa_exception_fp_ieee_overflow 0
		.amdhsa_exception_fp_ieee_underflow 0
		.amdhsa_exception_fp_ieee_inexact 0
		.amdhsa_exception_int_div_zero 0
	.end_amdhsa_kernel
	.section	.text._ZN2at6native27unrolled_elementwise_kernelIZZZNS0_21clamp_min_kernel_cudaERNS_18TensorIteratorBaseERKN3c106ScalarEENKUlvE_clEvENKUlvE3_clEvEUlsE_St5arrayIPcLm2EELi4E23TrivialOffsetCalculatorILi1EjESF_NS0_6memory15LoadWithoutCastENSG_16StoreWithoutCastEEEviT_T0_T2_T3_T4_T5_,"axG",@progbits,_ZN2at6native27unrolled_elementwise_kernelIZZZNS0_21clamp_min_kernel_cudaERNS_18TensorIteratorBaseERKN3c106ScalarEENKUlvE_clEvENKUlvE3_clEvEUlsE_St5arrayIPcLm2EELi4E23TrivialOffsetCalculatorILi1EjESF_NS0_6memory15LoadWithoutCastENSG_16StoreWithoutCastEEEviT_T0_T2_T3_T4_T5_,comdat
.Lfunc_end382:
	.size	_ZN2at6native27unrolled_elementwise_kernelIZZZNS0_21clamp_min_kernel_cudaERNS_18TensorIteratorBaseERKN3c106ScalarEENKUlvE_clEvENKUlvE3_clEvEUlsE_St5arrayIPcLm2EELi4E23TrivialOffsetCalculatorILi1EjESF_NS0_6memory15LoadWithoutCastENSG_16StoreWithoutCastEEEviT_T0_T2_T3_T4_T5_, .Lfunc_end382-_ZN2at6native27unrolled_elementwise_kernelIZZZNS0_21clamp_min_kernel_cudaERNS_18TensorIteratorBaseERKN3c106ScalarEENKUlvE_clEvENKUlvE3_clEvEUlsE_St5arrayIPcLm2EELi4E23TrivialOffsetCalculatorILi1EjESF_NS0_6memory15LoadWithoutCastENSG_16StoreWithoutCastEEEviT_T0_T2_T3_T4_T5_
                                        ; -- End function
	.set _ZN2at6native27unrolled_elementwise_kernelIZZZNS0_21clamp_min_kernel_cudaERNS_18TensorIteratorBaseERKN3c106ScalarEENKUlvE_clEvENKUlvE3_clEvEUlsE_St5arrayIPcLm2EELi4E23TrivialOffsetCalculatorILi1EjESF_NS0_6memory15LoadWithoutCastENSG_16StoreWithoutCastEEEviT_T0_T2_T3_T4_T5_.num_vgpr, 8
	.set _ZN2at6native27unrolled_elementwise_kernelIZZZNS0_21clamp_min_kernel_cudaERNS_18TensorIteratorBaseERKN3c106ScalarEENKUlvE_clEvENKUlvE3_clEvEUlsE_St5arrayIPcLm2EELi4E23TrivialOffsetCalculatorILi1EjESF_NS0_6memory15LoadWithoutCastENSG_16StoreWithoutCastEEEviT_T0_T2_T3_T4_T5_.num_agpr, 0
	.set _ZN2at6native27unrolled_elementwise_kernelIZZZNS0_21clamp_min_kernel_cudaERNS_18TensorIteratorBaseERKN3c106ScalarEENKUlvE_clEvENKUlvE3_clEvEUlsE_St5arrayIPcLm2EELi4E23TrivialOffsetCalculatorILi1EjESF_NS0_6memory15LoadWithoutCastENSG_16StoreWithoutCastEEEviT_T0_T2_T3_T4_T5_.numbered_sgpr, 11
	.set _ZN2at6native27unrolled_elementwise_kernelIZZZNS0_21clamp_min_kernel_cudaERNS_18TensorIteratorBaseERKN3c106ScalarEENKUlvE_clEvENKUlvE3_clEvEUlsE_St5arrayIPcLm2EELi4E23TrivialOffsetCalculatorILi1EjESF_NS0_6memory15LoadWithoutCastENSG_16StoreWithoutCastEEEviT_T0_T2_T3_T4_T5_.num_named_barrier, 0
	.set _ZN2at6native27unrolled_elementwise_kernelIZZZNS0_21clamp_min_kernel_cudaERNS_18TensorIteratorBaseERKN3c106ScalarEENKUlvE_clEvENKUlvE3_clEvEUlsE_St5arrayIPcLm2EELi4E23TrivialOffsetCalculatorILi1EjESF_NS0_6memory15LoadWithoutCastENSG_16StoreWithoutCastEEEviT_T0_T2_T3_T4_T5_.private_seg_size, 0
	.set _ZN2at6native27unrolled_elementwise_kernelIZZZNS0_21clamp_min_kernel_cudaERNS_18TensorIteratorBaseERKN3c106ScalarEENKUlvE_clEvENKUlvE3_clEvEUlsE_St5arrayIPcLm2EELi4E23TrivialOffsetCalculatorILi1EjESF_NS0_6memory15LoadWithoutCastENSG_16StoreWithoutCastEEEviT_T0_T2_T3_T4_T5_.uses_vcc, 1
	.set _ZN2at6native27unrolled_elementwise_kernelIZZZNS0_21clamp_min_kernel_cudaERNS_18TensorIteratorBaseERKN3c106ScalarEENKUlvE_clEvENKUlvE3_clEvEUlsE_St5arrayIPcLm2EELi4E23TrivialOffsetCalculatorILi1EjESF_NS0_6memory15LoadWithoutCastENSG_16StoreWithoutCastEEEviT_T0_T2_T3_T4_T5_.uses_flat_scratch, 0
	.set _ZN2at6native27unrolled_elementwise_kernelIZZZNS0_21clamp_min_kernel_cudaERNS_18TensorIteratorBaseERKN3c106ScalarEENKUlvE_clEvENKUlvE3_clEvEUlsE_St5arrayIPcLm2EELi4E23TrivialOffsetCalculatorILi1EjESF_NS0_6memory15LoadWithoutCastENSG_16StoreWithoutCastEEEviT_T0_T2_T3_T4_T5_.has_dyn_sized_stack, 0
	.set _ZN2at6native27unrolled_elementwise_kernelIZZZNS0_21clamp_min_kernel_cudaERNS_18TensorIteratorBaseERKN3c106ScalarEENKUlvE_clEvENKUlvE3_clEvEUlsE_St5arrayIPcLm2EELi4E23TrivialOffsetCalculatorILi1EjESF_NS0_6memory15LoadWithoutCastENSG_16StoreWithoutCastEEEviT_T0_T2_T3_T4_T5_.has_recursion, 0
	.set _ZN2at6native27unrolled_elementwise_kernelIZZZNS0_21clamp_min_kernel_cudaERNS_18TensorIteratorBaseERKN3c106ScalarEENKUlvE_clEvENKUlvE3_clEvEUlsE_St5arrayIPcLm2EELi4E23TrivialOffsetCalculatorILi1EjESF_NS0_6memory15LoadWithoutCastENSG_16StoreWithoutCastEEEviT_T0_T2_T3_T4_T5_.has_indirect_call, 0
	.section	.AMDGPU.csdata,"",@progbits
; Kernel info:
; codeLenInByte = 608
; TotalNumSgprs: 17
; NumVgprs: 8
; NumAgprs: 0
; TotalNumVgprs: 8
; ScratchSize: 0
; MemoryBound: 0
; FloatMode: 240
; IeeeMode: 1
; LDSByteSize: 0 bytes/workgroup (compile time only)
; SGPRBlocks: 2
; VGPRBlocks: 0
; NumSGPRsForWavesPerEU: 17
; NumVGPRsForWavesPerEU: 8
; AccumOffset: 8
; Occupancy: 8
; WaveLimiterHint : 0
; COMPUTE_PGM_RSRC2:SCRATCH_EN: 0
; COMPUTE_PGM_RSRC2:USER_SGPR: 2
; COMPUTE_PGM_RSRC2:TRAP_HANDLER: 0
; COMPUTE_PGM_RSRC2:TGID_X_EN: 1
; COMPUTE_PGM_RSRC2:TGID_Y_EN: 0
; COMPUTE_PGM_RSRC2:TGID_Z_EN: 0
; COMPUTE_PGM_RSRC2:TIDIG_COMP_CNT: 0
; COMPUTE_PGM_RSRC3_GFX90A:ACCUM_OFFSET: 1
; COMPUTE_PGM_RSRC3_GFX90A:TG_SPLIT: 0
	.section	.text._ZN2at6native32elementwise_kernel_manual_unrollILi128ELi8EZNS0_22gpu_kernel_impl_nocastIZZZNS0_21clamp_min_kernel_cudaERNS_18TensorIteratorBaseERKN3c106ScalarEENKUlvE_clEvENKUlvE3_clEvEUlsE_EEvS4_RKT_EUlibE_EEviT1_,"axG",@progbits,_ZN2at6native32elementwise_kernel_manual_unrollILi128ELi8EZNS0_22gpu_kernel_impl_nocastIZZZNS0_21clamp_min_kernel_cudaERNS_18TensorIteratorBaseERKN3c106ScalarEENKUlvE_clEvENKUlvE3_clEvEUlsE_EEvS4_RKT_EUlibE_EEviT1_,comdat
	.globl	_ZN2at6native32elementwise_kernel_manual_unrollILi128ELi8EZNS0_22gpu_kernel_impl_nocastIZZZNS0_21clamp_min_kernel_cudaERNS_18TensorIteratorBaseERKN3c106ScalarEENKUlvE_clEvENKUlvE3_clEvEUlsE_EEvS4_RKT_EUlibE_EEviT1_ ; -- Begin function _ZN2at6native32elementwise_kernel_manual_unrollILi128ELi8EZNS0_22gpu_kernel_impl_nocastIZZZNS0_21clamp_min_kernel_cudaERNS_18TensorIteratorBaseERKN3c106ScalarEENKUlvE_clEvENKUlvE3_clEvEUlsE_EEvS4_RKT_EUlibE_EEviT1_
	.p2align	8
	.type	_ZN2at6native32elementwise_kernel_manual_unrollILi128ELi8EZNS0_22gpu_kernel_impl_nocastIZZZNS0_21clamp_min_kernel_cudaERNS_18TensorIteratorBaseERKN3c106ScalarEENKUlvE_clEvENKUlvE3_clEvEUlsE_EEvS4_RKT_EUlibE_EEviT1_,@function
_ZN2at6native32elementwise_kernel_manual_unrollILi128ELi8EZNS0_22gpu_kernel_impl_nocastIZZZNS0_21clamp_min_kernel_cudaERNS_18TensorIteratorBaseERKN3c106ScalarEENKUlvE_clEvENKUlvE3_clEvEUlsE_EEvS4_RKT_EUlibE_EEviT1_: ; @_ZN2at6native32elementwise_kernel_manual_unrollILi128ELi8EZNS0_22gpu_kernel_impl_nocastIZZZNS0_21clamp_min_kernel_cudaERNS_18TensorIteratorBaseERKN3c106ScalarEENKUlvE_clEvENKUlvE3_clEvEUlsE_EEvS4_RKT_EUlibE_EEviT1_
; %bb.0:
	s_load_dword s56, s[0:1], 0x0
	s_load_dword s33, s[0:1], 0x8
	s_add_u32 s34, s0, 8
	s_addc_u32 s35, s1, 0
	v_lshl_or_b32 v24, s2, 10, v0
	v_or_b32_e32 v32, 0x380, v24
	s_waitcnt lgkmcnt(0)
	s_add_i32 s54, s33, -1
	s_cmp_gt_u32 s54, 1
	v_cmp_le_i32_e32 vcc, s56, v32
	s_cselect_b64 s[36:37], -1, 0
	s_and_saveexec_b64 s[0:1], vcc
	s_xor_b64 s[38:39], exec, s[0:1]
	s_cbranch_execz .LBB383_8
; %bb.1:
	s_load_dwordx4 s[24:27], s[34:35], 0x4
	s_load_dwordx2 s[40:41], s[34:35], 0x14
	s_load_dwordx4 s[20:23], s[34:35], 0xc4
	s_load_dwordx4 s[16:19], s[34:35], 0x148
	s_load_dword s55, s[34:35], 0x158
	s_cmp_lg_u32 s33, 0
	s_cselect_b64 s[46:47], -1, 0
	s_add_u32 s44, s34, 0xc4
	s_addc_u32 s45, s35, 0
	s_min_u32 s57, s54, 15
	s_cmp_gt_u32 s33, 1
	s_cselect_b64 s[42:43], -1, 0
	v_cmp_gt_i32_e32 vcc, s56, v24
	s_and_saveexec_b64 s[48:49], vcc
	s_cbranch_execz .LBB383_15
; %bb.2:
	s_andn2_b64 vcc, exec, s[36:37]
	s_cbranch_vccnz .LBB383_23
; %bb.3:
	s_andn2_b64 vcc, exec, s[46:47]
	s_cbranch_vccnz .LBB383_131
; %bb.4:
	s_add_i32 s59, s57, 1
	s_cmp_eq_u32 s54, 2
	s_cbranch_scc1 .LBB383_133
; %bb.5:
	s_and_b32 s58, s59, 28
	s_mov_b32 s60, 0
	v_mov_b32_e32 v0, 0
	v_mov_b32_e32 v2, 0
	s_mov_b64 s[50:51], s[34:35]
	s_mov_b64 s[52:53], s[44:45]
	v_mov_b32_e32 v4, v24
.LBB383_6:                              ; =>This Inner Loop Header: Depth=1
	s_load_dwordx8 s[8:15], s[50:51], 0x4
	s_load_dwordx4 s[28:31], s[50:51], 0x24
	s_load_dwordx8 s[0:7], s[52:53], 0x0
	s_add_u32 s50, s50, 48
	s_addc_u32 s51, s51, 0
	s_waitcnt lgkmcnt(0)
	v_mul_hi_u32 v1, s9, v4
	v_add_u32_e32 v1, v4, v1
	v_lshrrev_b32_e32 v1, s10, v1
	v_mul_lo_u32 v3, v1, s8
	v_mul_hi_u32 v5, s12, v1
	v_sub_u32_e32 v3, v4, v3
	v_add_u32_e32 v4, v1, v5
	v_lshrrev_b32_e32 v4, s13, v4
	v_mul_lo_u32 v6, v4, s11
	v_mul_hi_u32 v7, s15, v4
	v_sub_u32_e32 v1, v1, v6
	v_add_u32_e32 v6, v4, v7
	v_mul_lo_u32 v5, v3, s1
	v_mul_lo_u32 v3, v3, s0
	;; [unrolled: 1-line block ×4, first 2 shown]
	v_lshrrev_b32_e32 v6, s28, v6
	v_add3_u32 v0, v3, v0, v1
	v_mul_hi_u32 v3, s30, v6
	v_add3_u32 v1, v5, v2, v7
	v_mul_lo_u32 v2, v6, s14
	v_add_u32_e32 v3, v6, v3
	v_sub_u32_e32 v2, v4, v2
	v_lshrrev_b32_e32 v4, s31, v3
	s_add_i32 s60, s60, 4
	v_mul_lo_u32 v3, v4, s29
	s_add_u32 s52, s52, 32
	v_sub_u32_e32 v3, v6, v3
	s_addc_u32 s53, s53, 0
	v_mul_lo_u32 v5, v2, s4
	v_mul_lo_u32 v2, v2, s5
	;; [unrolled: 1-line block ×4, first 2 shown]
	s_cmp_lg_u32 s58, s60
	v_add3_u32 v2, v2, v1, v3
	v_add3_u32 v0, v5, v0, v6
	s_cbranch_scc1 .LBB383_6
; %bb.7:
	v_mov_b32_e32 v1, v2
	s_branch .LBB383_134
.LBB383_8:
	s_andn2_saveexec_b64 s[0:1], s[38:39]
	s_cbranch_execz .LBB383_228
.LBB383_9:
	v_cndmask_b32_e64 v0, 0, 1, s[36:37]
	v_cmp_ne_u32_e64 s[0:1], 1, v0
	s_andn2_b64 vcc, exec, s[36:37]
	s_cbranch_vccnz .LBB383_22
; %bb.10:
	s_cmp_lg_u32 s33, 0
	s_waitcnt lgkmcnt(0)
	s_mov_b32 s26, 0
	s_cbranch_scc0 .LBB383_25
; %bb.11:
	s_min_u32 s27, s54, 15
	s_add_i32 s27, s27, 1
	s_cmp_eq_u32 s54, 2
	s_cbranch_scc1 .LBB383_26
; %bb.12:
	s_and_b32 s26, s27, 28
	s_add_u32 s2, s34, 0xc4
	s_addc_u32 s3, s35, 0
	s_mov_b32 s28, 0
	v_mov_b32_e32 v0, 0
	v_mov_b32_e32 v2, 0
	s_mov_b64 s[24:25], s[34:35]
	v_mov_b32_e32 v4, v24
.LBB383_13:                             ; =>This Inner Loop Header: Depth=1
	s_load_dwordx8 s[12:19], s[24:25], 0x4
	s_load_dwordx4 s[20:23], s[24:25], 0x24
	s_load_dwordx8 s[4:11], s[2:3], 0x0
	s_add_u32 s24, s24, 48
	s_addc_u32 s25, s25, 0
	s_waitcnt lgkmcnt(0)
	v_mul_hi_u32 v1, s13, v4
	v_add_u32_e32 v1, v4, v1
	v_lshrrev_b32_e32 v1, s14, v1
	v_mul_lo_u32 v3, v1, s12
	v_mul_hi_u32 v5, s16, v1
	v_sub_u32_e32 v3, v4, v3
	v_add_u32_e32 v4, v1, v5
	v_lshrrev_b32_e32 v4, s17, v4
	v_mul_lo_u32 v6, v4, s15
	v_mul_hi_u32 v7, s19, v4
	v_sub_u32_e32 v1, v1, v6
	v_add_u32_e32 v6, v4, v7
	v_mul_lo_u32 v5, v3, s5
	v_mul_lo_u32 v3, v3, s4
	;; [unrolled: 1-line block ×4, first 2 shown]
	v_lshrrev_b32_e32 v6, s20, v6
	v_add3_u32 v0, v3, v0, v1
	v_mul_hi_u32 v3, s22, v6
	v_add3_u32 v1, v5, v2, v7
	v_mul_lo_u32 v2, v6, s18
	v_add_u32_e32 v3, v6, v3
	v_sub_u32_e32 v2, v4, v2
	v_lshrrev_b32_e32 v4, s23, v3
	s_add_i32 s28, s28, 4
	v_mul_lo_u32 v3, v4, s21
	s_add_u32 s2, s2, 32
	v_sub_u32_e32 v3, v6, v3
	s_addc_u32 s3, s3, 0
	v_mul_lo_u32 v5, v2, s8
	v_mul_lo_u32 v2, v2, s9
	;; [unrolled: 1-line block ×4, first 2 shown]
	s_cmp_lg_u32 s26, s28
	v_add3_u32 v2, v2, v1, v3
	v_add3_u32 v0, v5, v0, v6
	s_cbranch_scc1 .LBB383_13
; %bb.14:
	v_mov_b32_e32 v1, v2
	s_and_b32 s6, s27, 3
	s_cmp_eq_u32 s6, 0
	s_cbranch_scc0 .LBB383_27
	s_branch .LBB383_29
.LBB383_15:
	s_or_b64 exec, exec, s[48:49]
	v_cmp_gt_i32_e32 vcc, s56, v24
	s_and_saveexec_b64 s[48:49], vcc
	s_cbranch_execz .LBB383_141
.LBB383_16:
	s_andn2_b64 vcc, exec, s[36:37]
	s_cbranch_vccnz .LBB383_24
; %bb.17:
	s_andn2_b64 vcc, exec, s[46:47]
	s_cbranch_vccnz .LBB383_132
; %bb.18:
	s_add_i32 s59, s57, 1
	s_cmp_eq_u32 s54, 2
	s_cbranch_scc1 .LBB383_150
; %bb.19:
	s_and_b32 s58, s59, 28
	s_mov_b32 s60, 0
	v_mov_b32_e32 v0, 0
	v_mov_b32_e32 v2, 0
	s_mov_b64 s[50:51], s[34:35]
	s_mov_b64 s[52:53], s[44:45]
	v_mov_b32_e32 v4, v24
.LBB383_20:                             ; =>This Inner Loop Header: Depth=1
	s_load_dwordx8 s[8:15], s[50:51], 0x4
	s_load_dwordx4 s[28:31], s[50:51], 0x24
	s_load_dwordx8 s[0:7], s[52:53], 0x0
	s_add_u32 s50, s50, 48
	s_addc_u32 s51, s51, 0
	s_waitcnt lgkmcnt(0)
	v_mul_hi_u32 v1, s9, v4
	v_add_u32_e32 v1, v4, v1
	v_lshrrev_b32_e32 v1, s10, v1
	v_mul_lo_u32 v3, v1, s8
	v_mul_hi_u32 v5, s12, v1
	v_sub_u32_e32 v3, v4, v3
	v_add_u32_e32 v4, v1, v5
	v_lshrrev_b32_e32 v4, s13, v4
	v_mul_lo_u32 v6, v4, s11
	v_mul_hi_u32 v7, s15, v4
	v_sub_u32_e32 v1, v1, v6
	v_add_u32_e32 v6, v4, v7
	v_mul_lo_u32 v5, v3, s1
	v_mul_lo_u32 v3, v3, s0
	;; [unrolled: 1-line block ×4, first 2 shown]
	v_lshrrev_b32_e32 v6, s28, v6
	v_add3_u32 v0, v3, v0, v1
	v_mul_hi_u32 v3, s30, v6
	v_add3_u32 v1, v5, v2, v7
	v_mul_lo_u32 v2, v6, s14
	v_add_u32_e32 v3, v6, v3
	v_sub_u32_e32 v2, v4, v2
	v_lshrrev_b32_e32 v4, s31, v3
	s_add_i32 s60, s60, 4
	v_mul_lo_u32 v3, v4, s29
	s_add_u32 s52, s52, 32
	v_sub_u32_e32 v3, v6, v3
	s_addc_u32 s53, s53, 0
	v_mul_lo_u32 v5, v2, s4
	v_mul_lo_u32 v2, v2, s5
	;; [unrolled: 1-line block ×4, first 2 shown]
	s_cmp_eq_u32 s58, s60
	v_add3_u32 v2, v2, v1, v3
	v_add3_u32 v0, v5, v0, v6
	s_cbranch_scc0 .LBB383_20
; %bb.21:
	v_mov_b32_e32 v1, v2
	s_branch .LBB383_151
.LBB383_22:
                                        ; implicit-def: $vgpr2
                                        ; implicit-def: $vgpr0
	s_branch .LBB383_30
.LBB383_23:
                                        ; implicit-def: $vgpr2
                                        ; implicit-def: $vgpr0
	s_branch .LBB383_138
.LBB383_24:
                                        ; implicit-def: $vgpr2
                                        ; implicit-def: $vgpr0
	s_branch .LBB383_155
.LBB383_25:
	v_mov_b32_e32 v2, 0
	v_mov_b32_e32 v0, 0
	s_branch .LBB383_29
.LBB383_26:
	v_mov_b32_e32 v0, 0
                                        ; implicit-def: $vgpr2
	v_mov_b32_e32 v1, v0
	v_mov_b32_e32 v4, v24
	s_and_b32 s6, s27, 3
	s_cmp_eq_u32 s6, 0
	s_cbranch_scc1 .LBB383_29
.LBB383_27:
	s_lshl_b32 s2, s26, 3
	s_add_u32 s2, s34, s2
	s_addc_u32 s3, s35, 0
	s_add_u32 s2, s2, 0xc4
	s_addc_u32 s3, s3, 0
	s_mul_i32 s4, s26, 12
	s_add_u32 s4, s34, s4
	s_addc_u32 s5, s35, 0
.LBB383_28:                             ; =>This Inner Loop Header: Depth=1
	s_load_dwordx2 s[8:9], s[4:5], 0x4
	s_load_dword s7, s[4:5], 0xc
	s_load_dwordx2 s[10:11], s[2:3], 0x0
	v_mov_b32_e32 v2, v1
	s_add_u32 s4, s4, 12
	s_waitcnt lgkmcnt(0)
	v_mul_hi_u32 v1, s9, v4
	v_add_u32_e32 v1, v4, v1
	v_lshrrev_b32_e32 v1, s7, v1
	s_addc_u32 s5, s5, 0
	v_mul_lo_u32 v3, v1, s8
	s_add_u32 s2, s2, 8
	v_sub_u32_e32 v5, v4, v3
	s_addc_u32 s3, s3, 0
	s_add_i32 s6, s6, -1
	v_mov_b32_e32 v4, v1
	v_mad_u64_u32 v[2:3], s[8:9], v5, s11, v[2:3]
	v_mad_u64_u32 v[0:1], s[8:9], v5, s10, v[0:1]
	s_cmp_lg_u32 s6, 0
	v_mov_b32_e32 v1, v2
	s_cbranch_scc1 .LBB383_28
.LBB383_29:
	s_cbranch_execnz .LBB383_32
.LBB383_30:
	s_load_dwordx4 s[4:7], s[34:35], 0x4
	s_load_dwordx2 s[2:3], s[34:35], 0xc4
	s_cmp_lt_u32 s33, 2
	s_waitcnt lgkmcnt(0)
	v_mul_hi_u32 v0, s5, v24
	v_add_u32_e32 v0, v24, v0
	v_lshrrev_b32_e32 v1, s6, v0
	v_mul_lo_u32 v0, v1, s4
	v_sub_u32_e32 v0, v24, v0
	v_mul_lo_u32 v2, v0, s3
	v_mul_lo_u32 v0, v0, s2
	s_cbranch_scc1 .LBB383_32
; %bb.31:
	s_load_dwordx4 s[4:7], s[34:35], 0x10
	s_load_dwordx2 s[2:3], s[34:35], 0xcc
	s_waitcnt lgkmcnt(0)
	v_mul_hi_u32 v3, s5, v1
	v_add_u32_e32 v3, v1, v3
	v_lshrrev_b32_e32 v3, s6, v3
	v_mul_lo_u32 v3, v3, s4
	v_sub_u32_e32 v3, v1, v3
	v_mad_u64_u32 v[0:1], s[4:5], v3, s2, v[0:1]
	v_mad_u64_u32 v[2:3], s[2:3], v3, s3, v[2:3]
.LBB383_32:
	s_and_b64 vcc, exec, s[0:1]
	v_add_u32_e32 v3, 0x80, v24
	s_cbranch_vccnz .LBB383_38
; %bb.33:
	s_cmp_lg_u32 s33, 0
	s_waitcnt lgkmcnt(0)
	s_mov_b32 s26, 0
	s_cbranch_scc0 .LBB383_39
; %bb.34:
	s_min_u32 s27, s54, 15
	s_add_i32 s27, s27, 1
	s_cmp_eq_u32 s54, 2
	s_cbranch_scc1 .LBB383_40
; %bb.35:
	s_and_b32 s26, s27, 28
	s_add_u32 s2, s34, 0xc4
	s_addc_u32 s3, s35, 0
	s_mov_b32 s28, 0
	v_mov_b32_e32 v4, 0
	v_mov_b32_e32 v6, 0
	s_mov_b64 s[24:25], s[34:35]
	v_mov_b32_e32 v8, v3
.LBB383_36:                             ; =>This Inner Loop Header: Depth=1
	s_load_dwordx8 s[12:19], s[24:25], 0x4
	s_load_dwordx4 s[20:23], s[24:25], 0x24
	s_load_dwordx8 s[4:11], s[2:3], 0x0
	s_add_u32 s24, s24, 48
	s_addc_u32 s25, s25, 0
	s_waitcnt lgkmcnt(0)
	v_mul_hi_u32 v1, s13, v8
	v_add_u32_e32 v1, v8, v1
	v_lshrrev_b32_e32 v1, s14, v1
	v_mul_hi_u32 v7, s16, v1
	v_add_u32_e32 v7, v1, v7
	v_lshrrev_b32_e32 v7, s17, v7
	v_mul_lo_u32 v5, v1, s12
	v_mul_lo_u32 v9, v7, s15
	v_mul_hi_u32 v10, s19, v7
	v_sub_u32_e32 v5, v8, v5
	v_sub_u32_e32 v1, v1, v9
	v_add_u32_e32 v9, v7, v10
	v_mul_lo_u32 v8, v5, s5
	v_mul_lo_u32 v5, v5, s4
	;; [unrolled: 1-line block ×4, first 2 shown]
	v_lshrrev_b32_e32 v9, s20, v9
	v_add3_u32 v1, v5, v4, v1
	v_add3_u32 v4, v8, v6, v10
	v_mul_hi_u32 v6, s22, v9
	v_add_u32_e32 v6, v9, v6
	v_lshrrev_b32_e32 v8, s23, v6
	s_add_i32 s28, s28, 4
	v_mul_lo_u32 v5, v9, s18
	v_mul_lo_u32 v6, v8, s21
	s_add_u32 s2, s2, 32
	v_sub_u32_e32 v5, v7, v5
	v_sub_u32_e32 v6, v9, v6
	s_addc_u32 s3, s3, 0
	v_mul_lo_u32 v7, v5, s8
	v_mul_lo_u32 v5, v5, s9
	;; [unrolled: 1-line block ×4, first 2 shown]
	s_cmp_lg_u32 s26, s28
	v_add3_u32 v6, v5, v4, v6
	v_add3_u32 v4, v7, v1, v9
	s_cbranch_scc1 .LBB383_36
; %bb.37:
	v_mov_b32_e32 v1, v6
	s_and_b32 s6, s27, 3
	s_cmp_eq_u32 s6, 0
	s_cbranch_scc0 .LBB383_41
	s_branch .LBB383_43
.LBB383_38:
                                        ; implicit-def: $vgpr6
                                        ; implicit-def: $vgpr4
	s_branch .LBB383_44
.LBB383_39:
	v_mov_b32_e32 v6, 0
	v_mov_b32_e32 v4, 0
	s_branch .LBB383_43
.LBB383_40:
	v_mov_b32_e32 v4, 0
                                        ; implicit-def: $vgpr6
	v_mov_b32_e32 v1, v4
	v_mov_b32_e32 v8, v3
	s_and_b32 s6, s27, 3
	s_cmp_eq_u32 s6, 0
	s_cbranch_scc1 .LBB383_43
.LBB383_41:
	s_lshl_b32 s2, s26, 3
	s_add_u32 s2, s34, s2
	s_addc_u32 s3, s35, 0
	s_add_u32 s2, s2, 0xc4
	s_addc_u32 s3, s3, 0
	s_mul_i32 s4, s26, 12
	s_add_u32 s4, s34, s4
	s_addc_u32 s5, s35, 0
.LBB383_42:                             ; =>This Inner Loop Header: Depth=1
	s_load_dwordx2 s[8:9], s[4:5], 0x4
	s_load_dword s7, s[4:5], 0xc
	s_load_dwordx2 s[10:11], s[2:3], 0x0
	v_mov_b32_e32 v6, v1
	s_add_u32 s4, s4, 12
	s_waitcnt lgkmcnt(0)
	v_mul_hi_u32 v1, s9, v8
	v_add_u32_e32 v1, v8, v1
	v_lshrrev_b32_e32 v1, s7, v1
	s_addc_u32 s5, s5, 0
	v_mul_lo_u32 v5, v1, s8
	s_add_u32 s2, s2, 8
	v_sub_u32_e32 v5, v8, v5
	s_addc_u32 s3, s3, 0
	s_add_i32 s6, s6, -1
	v_mad_u64_u32 v[6:7], s[8:9], v5, s11, v[6:7]
	s_cmp_lg_u32 s6, 0
	v_mov_b32_e32 v8, v1
	v_mad_u64_u32 v[4:5], s[8:9], v5, s10, v[4:5]
	v_mov_b32_e32 v1, v6
	s_cbranch_scc1 .LBB383_42
.LBB383_43:
	s_cbranch_execnz .LBB383_46
.LBB383_44:
	s_load_dwordx4 s[4:7], s[34:35], 0x4
	s_load_dwordx2 s[2:3], s[34:35], 0xc4
	s_cmp_lt_u32 s33, 2
	s_waitcnt lgkmcnt(0)
	v_mul_hi_u32 v1, s5, v3
	v_add_u32_e32 v1, v3, v1
	v_lshrrev_b32_e32 v1, s6, v1
	v_mul_lo_u32 v4, v1, s4
	v_sub_u32_e32 v3, v3, v4
	v_mul_lo_u32 v6, v3, s3
	v_mul_lo_u32 v4, v3, s2
	s_cbranch_scc1 .LBB383_46
; %bb.45:
	s_load_dwordx4 s[4:7], s[34:35], 0x10
	s_load_dwordx2 s[2:3], s[34:35], 0xcc
	s_waitcnt lgkmcnt(0)
	v_mul_hi_u32 v3, s5, v1
	v_add_u32_e32 v3, v1, v3
	v_lshrrev_b32_e32 v3, s6, v3
	v_mul_lo_u32 v3, v3, s4
	v_sub_u32_e32 v1, v1, v3
	v_mad_u64_u32 v[4:5], s[4:5], v1, s2, v[4:5]
	v_mad_u64_u32 v[6:7], s[2:3], v1, s3, v[6:7]
.LBB383_46:
	s_and_b64 vcc, exec, s[0:1]
	v_add_u32_e32 v3, 0x100, v24
	s_cbranch_vccnz .LBB383_52
; %bb.47:
	s_cmp_lg_u32 s33, 0
	s_waitcnt lgkmcnt(0)
	s_mov_b32 s26, 0
	s_cbranch_scc0 .LBB383_53
; %bb.48:
	s_min_u32 s27, s54, 15
	s_add_i32 s27, s27, 1
	s_cmp_eq_u32 s54, 2
	s_cbranch_scc1 .LBB383_54
; %bb.49:
	s_and_b32 s26, s27, 28
	s_add_u32 s2, s34, 0xc4
	s_addc_u32 s3, s35, 0
	s_mov_b32 s28, 0
	v_mov_b32_e32 v8, 0
	v_mov_b32_e32 v10, 0
	s_mov_b64 s[24:25], s[34:35]
	v_mov_b32_e32 v5, v3
.LBB383_50:                             ; =>This Inner Loop Header: Depth=1
	s_load_dwordx8 s[12:19], s[24:25], 0x4
	s_load_dwordx4 s[20:23], s[24:25], 0x24
	s_load_dwordx8 s[4:11], s[2:3], 0x0
	s_add_u32 s24, s24, 48
	s_addc_u32 s25, s25, 0
	s_waitcnt lgkmcnt(0)
	v_mul_hi_u32 v1, s13, v5
	v_add_u32_e32 v1, v5, v1
	v_lshrrev_b32_e32 v1, s14, v1
	v_mul_lo_u32 v7, v1, s12
	v_mul_hi_u32 v9, s16, v1
	v_sub_u32_e32 v5, v5, v7
	v_add_u32_e32 v7, v1, v9
	v_lshrrev_b32_e32 v7, s17, v7
	v_mul_lo_u32 v11, v7, s15
	v_mul_hi_u32 v12, s19, v7
	v_sub_u32_e32 v1, v1, v11
	v_add_u32_e32 v11, v7, v12
	v_mul_lo_u32 v9, v5, s5
	v_mul_lo_u32 v5, v5, s4
	;; [unrolled: 1-line block ×4, first 2 shown]
	v_lshrrev_b32_e32 v11, s20, v11
	v_add3_u32 v1, v5, v8, v1
	v_add3_u32 v8, v9, v10, v12
	v_mul_lo_u32 v5, v11, s18
	v_mul_hi_u32 v9, s22, v11
	v_sub_u32_e32 v5, v7, v5
	v_add_u32_e32 v7, v11, v9
	v_mul_lo_u32 v9, v5, s8
	v_mul_lo_u32 v10, v5, s9
	v_lshrrev_b32_e32 v5, s23, v7
	s_add_i32 s28, s28, 4
	v_mul_lo_u32 v7, v5, s21
	s_add_u32 s2, s2, 32
	v_sub_u32_e32 v7, v11, v7
	s_addc_u32 s3, s3, 0
	v_mul_lo_u32 v11, v7, s10
	v_mul_lo_u32 v7, v7, s11
	s_cmp_lg_u32 s26, s28
	v_add3_u32 v10, v10, v8, v7
	v_add3_u32 v8, v9, v1, v11
	s_cbranch_scc1 .LBB383_50
; %bb.51:
	v_mov_b32_e32 v1, v10
	s_and_b32 s6, s27, 3
	s_cmp_eq_u32 s6, 0
	s_cbranch_scc0 .LBB383_55
	s_branch .LBB383_57
.LBB383_52:
                                        ; implicit-def: $vgpr10
                                        ; implicit-def: $vgpr8
	s_branch .LBB383_58
.LBB383_53:
	v_mov_b32_e32 v10, 0
	v_mov_b32_e32 v8, 0
	s_branch .LBB383_57
.LBB383_54:
	v_mov_b32_e32 v8, 0
                                        ; implicit-def: $vgpr10
	v_mov_b32_e32 v1, v8
	v_mov_b32_e32 v5, v3
	s_and_b32 s6, s27, 3
	s_cmp_eq_u32 s6, 0
	s_cbranch_scc1 .LBB383_57
.LBB383_55:
	s_lshl_b32 s2, s26, 3
	s_add_u32 s2, s34, s2
	s_addc_u32 s3, s35, 0
	s_add_u32 s2, s2, 0xc4
	s_addc_u32 s3, s3, 0
	s_mul_i32 s4, s26, 12
	s_add_u32 s4, s34, s4
	s_addc_u32 s5, s35, 0
.LBB383_56:                             ; =>This Inner Loop Header: Depth=1
	s_load_dwordx2 s[8:9], s[4:5], 0x4
	s_load_dword s7, s[4:5], 0xc
	s_load_dwordx2 s[10:11], s[2:3], 0x0
	v_mov_b32_e32 v10, v1
	s_add_u32 s4, s4, 12
	s_waitcnt lgkmcnt(0)
	v_mul_hi_u32 v1, s9, v5
	v_add_u32_e32 v1, v5, v1
	v_lshrrev_b32_e32 v1, s7, v1
	s_addc_u32 s5, s5, 0
	v_mul_lo_u32 v7, v1, s8
	s_add_u32 s2, s2, 8
	v_sub_u32_e32 v7, v5, v7
	s_addc_u32 s3, s3, 0
	s_add_i32 s6, s6, -1
	v_mad_u64_u32 v[10:11], s[8:9], v7, s11, v[10:11]
	s_cmp_lg_u32 s6, 0
	v_mov_b32_e32 v5, v1
	v_mad_u64_u32 v[8:9], s[8:9], v7, s10, v[8:9]
	v_mov_b32_e32 v1, v10
	s_cbranch_scc1 .LBB383_56
.LBB383_57:
	s_cbranch_execnz .LBB383_60
.LBB383_58:
	s_load_dwordx4 s[4:7], s[34:35], 0x4
	s_load_dwordx2 s[2:3], s[34:35], 0xc4
	s_cmp_lt_u32 s33, 2
	s_waitcnt lgkmcnt(0)
	v_mul_hi_u32 v1, s5, v3
	v_add_u32_e32 v1, v3, v1
	v_lshrrev_b32_e32 v1, s6, v1
	v_mul_lo_u32 v5, v1, s4
	v_sub_u32_e32 v3, v3, v5
	v_mul_lo_u32 v10, v3, s3
	v_mul_lo_u32 v8, v3, s2
	s_cbranch_scc1 .LBB383_60
; %bb.59:
	s_load_dwordx4 s[4:7], s[34:35], 0x10
	s_load_dwordx2 s[2:3], s[34:35], 0xcc
	s_waitcnt lgkmcnt(0)
	v_mul_hi_u32 v3, s5, v1
	v_add_u32_e32 v3, v1, v3
	v_lshrrev_b32_e32 v3, s6, v3
	v_mul_lo_u32 v3, v3, s4
	v_sub_u32_e32 v1, v1, v3
	v_mad_u64_u32 v[8:9], s[4:5], v1, s2, v[8:9]
	v_mad_u64_u32 v[10:11], s[2:3], v1, s3, v[10:11]
.LBB383_60:
	s_and_b64 vcc, exec, s[0:1]
	v_add_u32_e32 v3, 0x180, v24
	s_cbranch_vccnz .LBB383_66
; %bb.61:
	s_cmp_lg_u32 s33, 0
	s_waitcnt lgkmcnt(0)
	s_mov_b32 s26, 0
	s_cbranch_scc0 .LBB383_67
; %bb.62:
	s_min_u32 s27, s54, 15
	s_add_i32 s27, s27, 1
	s_cmp_eq_u32 s54, 2
	s_cbranch_scc1 .LBB383_68
; %bb.63:
	s_and_b32 s26, s27, 28
	s_add_u32 s2, s34, 0xc4
	s_addc_u32 s3, s35, 0
	s_mov_b32 s28, 0
	v_mov_b32_e32 v12, 0
	v_mov_b32_e32 v14, 0
	s_mov_b64 s[24:25], s[34:35]
	v_mov_b32_e32 v5, v3
.LBB383_64:                             ; =>This Inner Loop Header: Depth=1
	s_load_dwordx8 s[12:19], s[24:25], 0x4
	s_load_dwordx4 s[20:23], s[24:25], 0x24
	s_load_dwordx8 s[4:11], s[2:3], 0x0
	s_add_u32 s24, s24, 48
	s_addc_u32 s25, s25, 0
	s_waitcnt lgkmcnt(0)
	v_mul_hi_u32 v1, s13, v5
	v_add_u32_e32 v1, v5, v1
	v_lshrrev_b32_e32 v1, s14, v1
	v_mul_lo_u32 v7, v1, s12
	v_mul_hi_u32 v9, s16, v1
	v_sub_u32_e32 v5, v5, v7
	v_add_u32_e32 v7, v1, v9
	v_lshrrev_b32_e32 v7, s17, v7
	v_mul_lo_u32 v11, v7, s15
	v_mul_hi_u32 v13, s19, v7
	v_sub_u32_e32 v1, v1, v11
	v_add_u32_e32 v11, v7, v13
	v_mul_lo_u32 v9, v5, s5
	v_mul_lo_u32 v5, v5, s4
	;; [unrolled: 1-line block ×4, first 2 shown]
	v_lshrrev_b32_e32 v11, s20, v11
	v_add3_u32 v1, v5, v12, v1
	v_mul_lo_u32 v5, v11, s18
	v_mul_hi_u32 v12, s22, v11
	v_sub_u32_e32 v5, v7, v5
	v_add_u32_e32 v7, v11, v12
	v_add3_u32 v9, v9, v14, v13
	v_mul_lo_u32 v12, v5, s8
	v_mul_lo_u32 v13, v5, s9
	v_lshrrev_b32_e32 v5, s23, v7
	s_add_i32 s28, s28, 4
	v_mul_lo_u32 v7, v5, s21
	s_add_u32 s2, s2, 32
	v_sub_u32_e32 v7, v11, v7
	s_addc_u32 s3, s3, 0
	v_mul_lo_u32 v11, v7, s10
	v_mul_lo_u32 v7, v7, s11
	s_cmp_lg_u32 s26, s28
	v_add3_u32 v14, v13, v9, v7
	v_add3_u32 v12, v12, v1, v11
	s_cbranch_scc1 .LBB383_64
; %bb.65:
	v_mov_b32_e32 v1, v14
	s_and_b32 s6, s27, 3
	s_cmp_eq_u32 s6, 0
	s_cbranch_scc0 .LBB383_69
	s_branch .LBB383_71
.LBB383_66:
                                        ; implicit-def: $vgpr14
                                        ; implicit-def: $vgpr12
	s_branch .LBB383_72
.LBB383_67:
	v_mov_b32_e32 v14, 0
	v_mov_b32_e32 v12, 0
	s_branch .LBB383_71
.LBB383_68:
	v_mov_b32_e32 v12, 0
                                        ; implicit-def: $vgpr14
	v_mov_b32_e32 v1, v12
	v_mov_b32_e32 v5, v3
	s_and_b32 s6, s27, 3
	s_cmp_eq_u32 s6, 0
	s_cbranch_scc1 .LBB383_71
.LBB383_69:
	s_lshl_b32 s2, s26, 3
	s_add_u32 s2, s34, s2
	s_addc_u32 s3, s35, 0
	s_add_u32 s2, s2, 0xc4
	s_addc_u32 s3, s3, 0
	s_mul_i32 s4, s26, 12
	s_add_u32 s4, s34, s4
	s_addc_u32 s5, s35, 0
.LBB383_70:                             ; =>This Inner Loop Header: Depth=1
	s_load_dwordx2 s[8:9], s[4:5], 0x4
	s_load_dword s7, s[4:5], 0xc
	s_load_dwordx2 s[10:11], s[2:3], 0x0
	v_mov_b32_e32 v14, v1
	s_add_u32 s4, s4, 12
	s_waitcnt lgkmcnt(0)
	v_mul_hi_u32 v1, s9, v5
	v_add_u32_e32 v1, v5, v1
	v_lshrrev_b32_e32 v1, s7, v1
	s_addc_u32 s5, s5, 0
	v_mul_lo_u32 v7, v1, s8
	s_add_u32 s2, s2, 8
	v_sub_u32_e32 v7, v5, v7
	s_addc_u32 s3, s3, 0
	s_add_i32 s6, s6, -1
	v_mad_u64_u32 v[14:15], s[8:9], v7, s11, v[14:15]
	s_cmp_lg_u32 s6, 0
	v_mov_b32_e32 v5, v1
	v_mad_u64_u32 v[12:13], s[8:9], v7, s10, v[12:13]
	v_mov_b32_e32 v1, v14
	s_cbranch_scc1 .LBB383_70
.LBB383_71:
	s_cbranch_execnz .LBB383_74
.LBB383_72:
	s_load_dwordx4 s[4:7], s[34:35], 0x4
	s_load_dwordx2 s[2:3], s[34:35], 0xc4
	s_cmp_lt_u32 s33, 2
	s_waitcnt lgkmcnt(0)
	v_mul_hi_u32 v1, s5, v3
	v_add_u32_e32 v1, v3, v1
	v_lshrrev_b32_e32 v1, s6, v1
	v_mul_lo_u32 v5, v1, s4
	v_sub_u32_e32 v3, v3, v5
	v_mul_lo_u32 v14, v3, s3
	v_mul_lo_u32 v12, v3, s2
	s_cbranch_scc1 .LBB383_74
; %bb.73:
	s_load_dwordx4 s[4:7], s[34:35], 0x10
	s_load_dwordx2 s[2:3], s[34:35], 0xcc
	s_waitcnt lgkmcnt(0)
	v_mul_hi_u32 v3, s5, v1
	v_add_u32_e32 v3, v1, v3
	v_lshrrev_b32_e32 v3, s6, v3
	v_mul_lo_u32 v3, v3, s4
	v_sub_u32_e32 v1, v1, v3
	v_mad_u64_u32 v[12:13], s[4:5], v1, s2, v[12:13]
	v_mad_u64_u32 v[14:15], s[2:3], v1, s3, v[14:15]
.LBB383_74:
	s_and_b64 vcc, exec, s[0:1]
	v_add_u32_e32 v3, 0x200, v24
	s_cbranch_vccnz .LBB383_80
; %bb.75:
	s_cmp_lg_u32 s33, 0
	s_waitcnt lgkmcnt(0)
	s_mov_b32 s26, 0
	s_cbranch_scc0 .LBB383_81
; %bb.76:
	s_min_u32 s27, s54, 15
	s_add_i32 s27, s27, 1
	s_cmp_eq_u32 s54, 2
	s_cbranch_scc1 .LBB383_82
; %bb.77:
	s_and_b32 s26, s27, 28
	s_add_u32 s2, s34, 0xc4
	s_addc_u32 s3, s35, 0
	s_mov_b32 s28, 0
	v_mov_b32_e32 v16, 0
	v_mov_b32_e32 v18, 0
	s_mov_b64 s[24:25], s[34:35]
	v_mov_b32_e32 v5, v3
.LBB383_78:                             ; =>This Inner Loop Header: Depth=1
	s_load_dwordx8 s[12:19], s[24:25], 0x4
	s_load_dwordx4 s[20:23], s[24:25], 0x24
	s_load_dwordx8 s[4:11], s[2:3], 0x0
	s_add_u32 s24, s24, 48
	s_addc_u32 s25, s25, 0
	s_waitcnt lgkmcnt(0)
	v_mul_hi_u32 v1, s13, v5
	v_add_u32_e32 v1, v5, v1
	v_lshrrev_b32_e32 v1, s14, v1
	v_mul_lo_u32 v7, v1, s12
	v_mul_hi_u32 v9, s16, v1
	v_sub_u32_e32 v5, v5, v7
	v_add_u32_e32 v7, v1, v9
	v_lshrrev_b32_e32 v7, s17, v7
	v_mul_lo_u32 v11, v7, s15
	v_mul_hi_u32 v13, s19, v7
	v_sub_u32_e32 v1, v1, v11
	v_add_u32_e32 v11, v7, v13
	v_mul_lo_u32 v9, v5, s5
	v_mul_lo_u32 v5, v5, s4
	;; [unrolled: 1-line block ×4, first 2 shown]
	v_lshrrev_b32_e32 v11, s20, v11
	v_add3_u32 v1, v5, v16, v1
	v_add3_u32 v9, v9, v18, v13
	v_mul_lo_u32 v5, v11, s18
	v_mul_hi_u32 v13, s22, v11
	v_sub_u32_e32 v5, v7, v5
	v_add_u32_e32 v7, v11, v13
	v_mul_lo_u32 v13, v5, s8
	v_mul_lo_u32 v15, v5, s9
	v_lshrrev_b32_e32 v5, s23, v7
	s_add_i32 s28, s28, 4
	v_mul_lo_u32 v7, v5, s21
	s_add_u32 s2, s2, 32
	v_sub_u32_e32 v7, v11, v7
	s_addc_u32 s3, s3, 0
	v_mul_lo_u32 v11, v7, s10
	v_mul_lo_u32 v7, v7, s11
	s_cmp_lg_u32 s26, s28
	v_add3_u32 v18, v15, v9, v7
	v_add3_u32 v16, v13, v1, v11
	s_cbranch_scc1 .LBB383_78
; %bb.79:
	v_mov_b32_e32 v1, v18
	s_and_b32 s6, s27, 3
	s_cmp_eq_u32 s6, 0
	s_cbranch_scc0 .LBB383_83
	s_branch .LBB383_85
.LBB383_80:
                                        ; implicit-def: $vgpr18
                                        ; implicit-def: $vgpr16
	s_branch .LBB383_86
.LBB383_81:
	v_mov_b32_e32 v18, 0
	v_mov_b32_e32 v16, 0
	s_branch .LBB383_85
.LBB383_82:
	v_mov_b32_e32 v16, 0
                                        ; implicit-def: $vgpr18
	v_mov_b32_e32 v1, v16
	v_mov_b32_e32 v5, v3
	s_and_b32 s6, s27, 3
	s_cmp_eq_u32 s6, 0
	s_cbranch_scc1 .LBB383_85
.LBB383_83:
	s_lshl_b32 s2, s26, 3
	s_add_u32 s2, s34, s2
	s_addc_u32 s3, s35, 0
	s_add_u32 s2, s2, 0xc4
	s_addc_u32 s3, s3, 0
	s_mul_i32 s4, s26, 12
	s_add_u32 s4, s34, s4
	s_addc_u32 s5, s35, 0
.LBB383_84:                             ; =>This Inner Loop Header: Depth=1
	s_load_dwordx2 s[8:9], s[4:5], 0x4
	s_load_dword s7, s[4:5], 0xc
	s_load_dwordx2 s[10:11], s[2:3], 0x0
	v_mov_b32_e32 v18, v1
	s_add_u32 s4, s4, 12
	s_waitcnt lgkmcnt(0)
	v_mul_hi_u32 v1, s9, v5
	v_add_u32_e32 v1, v5, v1
	v_lshrrev_b32_e32 v1, s7, v1
	s_addc_u32 s5, s5, 0
	v_mul_lo_u32 v7, v1, s8
	s_add_u32 s2, s2, 8
	v_sub_u32_e32 v7, v5, v7
	s_addc_u32 s3, s3, 0
	s_add_i32 s6, s6, -1
	v_mad_u64_u32 v[18:19], s[8:9], v7, s11, v[18:19]
	s_cmp_lg_u32 s6, 0
	v_mov_b32_e32 v5, v1
	v_mad_u64_u32 v[16:17], s[8:9], v7, s10, v[16:17]
	v_mov_b32_e32 v1, v18
	s_cbranch_scc1 .LBB383_84
.LBB383_85:
	s_cbranch_execnz .LBB383_88
.LBB383_86:
	s_load_dwordx4 s[4:7], s[34:35], 0x4
	s_load_dwordx2 s[2:3], s[34:35], 0xc4
	s_cmp_lt_u32 s33, 2
	s_waitcnt lgkmcnt(0)
	v_mul_hi_u32 v1, s5, v3
	v_add_u32_e32 v1, v3, v1
	v_lshrrev_b32_e32 v1, s6, v1
	v_mul_lo_u32 v5, v1, s4
	v_sub_u32_e32 v3, v3, v5
	v_mul_lo_u32 v18, v3, s3
	v_mul_lo_u32 v16, v3, s2
	s_cbranch_scc1 .LBB383_88
; %bb.87:
	s_load_dwordx4 s[4:7], s[34:35], 0x10
	s_load_dwordx2 s[2:3], s[34:35], 0xcc
	s_waitcnt lgkmcnt(0)
	v_mul_hi_u32 v3, s5, v1
	v_add_u32_e32 v3, v1, v3
	v_lshrrev_b32_e32 v3, s6, v3
	v_mul_lo_u32 v3, v3, s4
	v_sub_u32_e32 v1, v1, v3
	v_mad_u64_u32 v[16:17], s[4:5], v1, s2, v[16:17]
	v_mad_u64_u32 v[18:19], s[2:3], v1, s3, v[18:19]
.LBB383_88:
	s_and_b64 vcc, exec, s[0:1]
	v_add_u32_e32 v3, 0x280, v24
	s_cbranch_vccnz .LBB383_94
; %bb.89:
	s_cmp_lg_u32 s33, 0
	s_waitcnt lgkmcnt(0)
	s_mov_b32 s26, 0
	s_cbranch_scc0 .LBB383_95
; %bb.90:
	s_min_u32 s27, s54, 15
	s_add_i32 s27, s27, 1
	s_cmp_eq_u32 s54, 2
	s_cbranch_scc1 .LBB383_96
; %bb.91:
	s_and_b32 s26, s27, 28
	s_add_u32 s2, s34, 0xc4
	s_addc_u32 s3, s35, 0
	s_mov_b32 s28, 0
	v_mov_b32_e32 v20, 0
	v_mov_b32_e32 v22, 0
	s_mov_b64 s[24:25], s[34:35]
	v_mov_b32_e32 v5, v3
.LBB383_92:                             ; =>This Inner Loop Header: Depth=1
	s_load_dwordx8 s[12:19], s[24:25], 0x4
	s_load_dwordx4 s[20:23], s[24:25], 0x24
	s_load_dwordx8 s[4:11], s[2:3], 0x0
	s_add_u32 s24, s24, 48
	s_addc_u32 s25, s25, 0
	s_waitcnt lgkmcnt(0)
	v_mul_hi_u32 v1, s13, v5
	v_add_u32_e32 v1, v5, v1
	v_lshrrev_b32_e32 v1, s14, v1
	v_mul_lo_u32 v7, v1, s12
	v_mul_hi_u32 v9, s16, v1
	v_sub_u32_e32 v5, v5, v7
	v_add_u32_e32 v7, v1, v9
	v_lshrrev_b32_e32 v7, s17, v7
	v_mul_lo_u32 v11, v7, s15
	v_mul_hi_u32 v13, s19, v7
	v_sub_u32_e32 v1, v1, v11
	v_add_u32_e32 v11, v7, v13
	v_mul_lo_u32 v9, v5, s5
	v_mul_lo_u32 v5, v5, s4
	;; [unrolled: 1-line block ×4, first 2 shown]
	v_lshrrev_b32_e32 v11, s20, v11
	v_add3_u32 v1, v5, v20, v1
	v_add3_u32 v9, v9, v22, v13
	v_mul_lo_u32 v5, v11, s18
	v_mul_hi_u32 v13, s22, v11
	v_sub_u32_e32 v5, v7, v5
	v_add_u32_e32 v7, v11, v13
	v_mul_lo_u32 v13, v5, s8
	v_mul_lo_u32 v15, v5, s9
	v_lshrrev_b32_e32 v5, s23, v7
	s_add_i32 s28, s28, 4
	v_mul_lo_u32 v7, v5, s21
	s_add_u32 s2, s2, 32
	v_sub_u32_e32 v7, v11, v7
	s_addc_u32 s3, s3, 0
	v_mul_lo_u32 v11, v7, s10
	v_mul_lo_u32 v7, v7, s11
	s_cmp_lg_u32 s26, s28
	v_add3_u32 v22, v15, v9, v7
	v_add3_u32 v20, v13, v1, v11
	s_cbranch_scc1 .LBB383_92
; %bb.93:
	v_mov_b32_e32 v1, v22
	s_and_b32 s6, s27, 3
	s_cmp_eq_u32 s6, 0
	s_cbranch_scc0 .LBB383_97
	s_branch .LBB383_99
.LBB383_94:
                                        ; implicit-def: $vgpr22
                                        ; implicit-def: $vgpr20
	s_branch .LBB383_100
.LBB383_95:
	v_mov_b32_e32 v22, 0
	v_mov_b32_e32 v20, 0
	s_branch .LBB383_99
.LBB383_96:
	v_mov_b32_e32 v20, 0
                                        ; implicit-def: $vgpr22
	v_mov_b32_e32 v1, v20
	v_mov_b32_e32 v5, v3
	s_and_b32 s6, s27, 3
	s_cmp_eq_u32 s6, 0
	s_cbranch_scc1 .LBB383_99
.LBB383_97:
	s_lshl_b32 s2, s26, 3
	s_add_u32 s2, s34, s2
	s_addc_u32 s3, s35, 0
	s_add_u32 s2, s2, 0xc4
	s_addc_u32 s3, s3, 0
	s_mul_i32 s4, s26, 12
	s_add_u32 s4, s34, s4
	s_addc_u32 s5, s35, 0
.LBB383_98:                             ; =>This Inner Loop Header: Depth=1
	s_load_dwordx2 s[8:9], s[4:5], 0x4
	s_load_dword s7, s[4:5], 0xc
	s_load_dwordx2 s[10:11], s[2:3], 0x0
	v_mov_b32_e32 v22, v1
	s_add_u32 s4, s4, 12
	s_waitcnt lgkmcnt(0)
	v_mul_hi_u32 v1, s9, v5
	v_add_u32_e32 v1, v5, v1
	v_lshrrev_b32_e32 v1, s7, v1
	s_addc_u32 s5, s5, 0
	v_mul_lo_u32 v7, v1, s8
	s_add_u32 s2, s2, 8
	v_sub_u32_e32 v7, v5, v7
	s_addc_u32 s3, s3, 0
	s_add_i32 s6, s6, -1
	v_mad_u64_u32 v[22:23], s[8:9], v7, s11, v[22:23]
	s_cmp_lg_u32 s6, 0
	v_mov_b32_e32 v5, v1
	v_mad_u64_u32 v[20:21], s[8:9], v7, s10, v[20:21]
	v_mov_b32_e32 v1, v22
	s_cbranch_scc1 .LBB383_98
.LBB383_99:
	s_cbranch_execnz .LBB383_102
.LBB383_100:
	s_load_dwordx4 s[4:7], s[34:35], 0x4
	s_load_dwordx2 s[2:3], s[34:35], 0xc4
	s_cmp_lt_u32 s33, 2
	s_waitcnt lgkmcnt(0)
	v_mul_hi_u32 v1, s5, v3
	v_add_u32_e32 v1, v3, v1
	v_lshrrev_b32_e32 v1, s6, v1
	v_mul_lo_u32 v5, v1, s4
	v_sub_u32_e32 v3, v3, v5
	v_mul_lo_u32 v22, v3, s3
	v_mul_lo_u32 v20, v3, s2
	s_cbranch_scc1 .LBB383_102
; %bb.101:
	s_load_dwordx4 s[4:7], s[34:35], 0x10
	s_load_dwordx2 s[2:3], s[34:35], 0xcc
	s_waitcnt lgkmcnt(0)
	v_mul_hi_u32 v3, s5, v1
	v_add_u32_e32 v3, v1, v3
	v_lshrrev_b32_e32 v3, s6, v3
	v_mul_lo_u32 v3, v3, s4
	v_sub_u32_e32 v1, v1, v3
	v_mad_u64_u32 v[20:21], s[4:5], v1, s2, v[20:21]
	v_mad_u64_u32 v[22:23], s[2:3], v1, s3, v[22:23]
.LBB383_102:
	s_and_b64 vcc, exec, s[0:1]
	v_add_u32_e32 v3, 0x300, v24
	s_cbranch_vccnz .LBB383_108
; %bb.103:
	s_cmp_lg_u32 s33, 0
	s_waitcnt lgkmcnt(0)
	s_mov_b32 s26, 0
	s_cbranch_scc0 .LBB383_109
; %bb.104:
	s_min_u32 s27, s54, 15
	s_add_i32 s27, s27, 1
	s_cmp_eq_u32 s54, 2
	s_cbranch_scc1 .LBB383_110
; %bb.105:
	s_and_b32 s26, s27, 28
	s_add_u32 s2, s34, 0xc4
	s_addc_u32 s3, s35, 0
	s_mov_b32 s28, 0
	v_mov_b32_e32 v24, 0
	v_mov_b32_e32 v26, 0
	s_mov_b64 s[24:25], s[34:35]
	v_mov_b32_e32 v5, v3
.LBB383_106:                            ; =>This Inner Loop Header: Depth=1
	s_load_dwordx8 s[12:19], s[24:25], 0x4
	s_load_dwordx4 s[20:23], s[24:25], 0x24
	s_load_dwordx8 s[4:11], s[2:3], 0x0
	s_add_u32 s24, s24, 48
	s_addc_u32 s25, s25, 0
	s_waitcnt lgkmcnt(0)
	v_mul_hi_u32 v1, s13, v5
	v_add_u32_e32 v1, v5, v1
	v_lshrrev_b32_e32 v1, s14, v1
	v_mul_lo_u32 v7, v1, s12
	v_mul_hi_u32 v9, s16, v1
	v_sub_u32_e32 v5, v5, v7
	v_add_u32_e32 v7, v1, v9
	v_lshrrev_b32_e32 v7, s17, v7
	v_mul_lo_u32 v11, v7, s15
	v_mul_hi_u32 v13, s19, v7
	v_sub_u32_e32 v1, v1, v11
	v_add_u32_e32 v11, v7, v13
	v_mul_lo_u32 v9, v5, s5
	v_mul_lo_u32 v5, v5, s4
	;; [unrolled: 1-line block ×4, first 2 shown]
	v_lshrrev_b32_e32 v11, s20, v11
	v_add3_u32 v1, v5, v24, v1
	v_add3_u32 v9, v9, v26, v13
	v_mul_lo_u32 v5, v11, s18
	v_mul_hi_u32 v13, s22, v11
	v_sub_u32_e32 v5, v7, v5
	v_add_u32_e32 v7, v11, v13
	v_mul_lo_u32 v13, v5, s8
	v_mul_lo_u32 v15, v5, s9
	v_lshrrev_b32_e32 v5, s23, v7
	s_add_i32 s28, s28, 4
	v_mul_lo_u32 v7, v5, s21
	s_add_u32 s2, s2, 32
	v_sub_u32_e32 v7, v11, v7
	s_addc_u32 s3, s3, 0
	v_mul_lo_u32 v11, v7, s10
	v_mul_lo_u32 v7, v7, s11
	s_cmp_lg_u32 s26, s28
	v_add3_u32 v26, v15, v9, v7
	v_add3_u32 v24, v13, v1, v11
	s_cbranch_scc1 .LBB383_106
; %bb.107:
	v_mov_b32_e32 v1, v26
	s_and_b32 s6, s27, 3
	s_cmp_eq_u32 s6, 0
	s_cbranch_scc0 .LBB383_111
	s_branch .LBB383_113
.LBB383_108:
                                        ; implicit-def: $vgpr26
                                        ; implicit-def: $vgpr24
	s_branch .LBB383_114
.LBB383_109:
	v_mov_b32_e32 v26, 0
	v_mov_b32_e32 v24, 0
	s_branch .LBB383_113
.LBB383_110:
	v_mov_b32_e32 v24, 0
                                        ; implicit-def: $vgpr26
	v_mov_b32_e32 v1, v24
	v_mov_b32_e32 v5, v3
	s_and_b32 s6, s27, 3
	s_cmp_eq_u32 s6, 0
	s_cbranch_scc1 .LBB383_113
.LBB383_111:
	s_lshl_b32 s2, s26, 3
	s_add_u32 s2, s34, s2
	s_addc_u32 s3, s35, 0
	s_add_u32 s2, s2, 0xc4
	s_addc_u32 s3, s3, 0
	s_mul_i32 s4, s26, 12
	s_add_u32 s4, s34, s4
	s_addc_u32 s5, s35, 0
.LBB383_112:                            ; =>This Inner Loop Header: Depth=1
	s_load_dwordx2 s[8:9], s[4:5], 0x4
	s_load_dword s7, s[4:5], 0xc
	s_load_dwordx2 s[10:11], s[2:3], 0x0
	v_mov_b32_e32 v26, v1
	s_add_u32 s4, s4, 12
	s_waitcnt lgkmcnt(0)
	v_mul_hi_u32 v1, s9, v5
	v_add_u32_e32 v1, v5, v1
	v_lshrrev_b32_e32 v1, s7, v1
	s_addc_u32 s5, s5, 0
	v_mul_lo_u32 v7, v1, s8
	s_add_u32 s2, s2, 8
	v_sub_u32_e32 v7, v5, v7
	s_addc_u32 s3, s3, 0
	s_add_i32 s6, s6, -1
	v_mad_u64_u32 v[26:27], s[8:9], v7, s11, v[26:27]
	s_cmp_lg_u32 s6, 0
	v_mov_b32_e32 v5, v1
	v_mad_u64_u32 v[24:25], s[8:9], v7, s10, v[24:25]
	v_mov_b32_e32 v1, v26
	s_cbranch_scc1 .LBB383_112
.LBB383_113:
	s_cbranch_execnz .LBB383_116
.LBB383_114:
	s_load_dwordx4 s[4:7], s[34:35], 0x4
	s_load_dwordx2 s[2:3], s[34:35], 0xc4
	s_cmp_lt_u32 s33, 2
	s_waitcnt lgkmcnt(0)
	v_mul_hi_u32 v1, s5, v3
	v_add_u32_e32 v1, v3, v1
	v_lshrrev_b32_e32 v1, s6, v1
	v_mul_lo_u32 v5, v1, s4
	v_sub_u32_e32 v3, v3, v5
	v_mul_lo_u32 v26, v3, s3
	v_mul_lo_u32 v24, v3, s2
	s_cbranch_scc1 .LBB383_116
; %bb.115:
	s_load_dwordx4 s[4:7], s[34:35], 0x10
	s_load_dwordx2 s[2:3], s[34:35], 0xcc
	s_waitcnt lgkmcnt(0)
	v_mul_hi_u32 v3, s5, v1
	v_add_u32_e32 v3, v1, v3
	v_lshrrev_b32_e32 v3, s6, v3
	v_mul_lo_u32 v3, v3, s4
	v_sub_u32_e32 v1, v1, v3
	v_mad_u64_u32 v[24:25], s[4:5], v1, s2, v[24:25]
	v_mad_u64_u32 v[26:27], s[2:3], v1, s3, v[26:27]
.LBB383_116:
	s_and_b64 vcc, exec, s[0:1]
	s_cbranch_vccnz .LBB383_122
; %bb.117:
	s_cmp_lg_u32 s33, 0
	s_waitcnt lgkmcnt(0)
	s_mov_b32 s24, 0
	s_cbranch_scc0 .LBB383_123
; %bb.118:
	s_min_u32 s25, s54, 15
	s_add_i32 s25, s25, 1
	s_cmp_eq_u32 s54, 2
	s_cbranch_scc1 .LBB383_124
; %bb.119:
	s_and_b32 s24, s25, 28
	s_add_u32 s20, s34, 0xc4
	s_addc_u32 s21, s35, 0
	s_mov_b32 s26, 0
	v_mov_b32_e32 v28, 0
	v_mov_b32_e32 v30, 0
	s_mov_b64 s[22:23], s[34:35]
	v_mov_b32_e32 v3, v32
.LBB383_120:                            ; =>This Inner Loop Header: Depth=1
	s_load_dwordx8 s[8:15], s[22:23], 0x4
	s_load_dwordx4 s[16:19], s[22:23], 0x24
	s_load_dwordx8 s[0:7], s[20:21], 0x0
	s_add_u32 s22, s22, 48
	s_addc_u32 s23, s23, 0
	s_waitcnt lgkmcnt(0)
	v_mul_hi_u32 v1, s9, v3
	v_add_u32_e32 v1, v3, v1
	v_lshrrev_b32_e32 v1, s10, v1
	v_mul_lo_u32 v5, v1, s8
	v_mul_hi_u32 v7, s12, v1
	v_sub_u32_e32 v3, v3, v5
	v_add_u32_e32 v5, v1, v7
	v_lshrrev_b32_e32 v5, s13, v5
	v_mul_lo_u32 v9, v5, s11
	v_mul_hi_u32 v11, s15, v5
	v_sub_u32_e32 v1, v1, v9
	v_add_u32_e32 v9, v5, v11
	v_mul_lo_u32 v7, v3, s1
	v_mul_lo_u32 v3, v3, s0
	;; [unrolled: 1-line block ×4, first 2 shown]
	v_lshrrev_b32_e32 v9, s16, v9
	v_add3_u32 v1, v3, v28, v1
	v_add3_u32 v7, v7, v30, v11
	v_mul_lo_u32 v3, v9, s14
	v_mul_hi_u32 v11, s18, v9
	v_sub_u32_e32 v3, v5, v3
	v_add_u32_e32 v5, v9, v11
	v_mul_lo_u32 v11, v3, s4
	v_mul_lo_u32 v13, v3, s5
	v_lshrrev_b32_e32 v3, s19, v5
	s_add_i32 s26, s26, 4
	v_mul_lo_u32 v5, v3, s17
	s_add_u32 s20, s20, 32
	v_sub_u32_e32 v5, v9, v5
	s_addc_u32 s21, s21, 0
	v_mul_lo_u32 v9, v5, s6
	v_mul_lo_u32 v5, v5, s7
	s_cmp_lg_u32 s24, s26
	v_add3_u32 v30, v13, v7, v5
	v_add3_u32 v28, v11, v1, v9
	s_cbranch_scc1 .LBB383_120
; %bb.121:
	v_mov_b32_e32 v1, v30
	s_and_b32 s4, s25, 3
	s_cmp_eq_u32 s4, 0
	s_cbranch_scc0 .LBB383_125
	s_branch .LBB383_127
.LBB383_122:
                                        ; implicit-def: $vgpr30
                                        ; implicit-def: $vgpr28
	s_branch .LBB383_128
.LBB383_123:
	v_mov_b32_e32 v30, 0
	v_mov_b32_e32 v28, 0
	s_branch .LBB383_127
.LBB383_124:
	v_mov_b32_e32 v28, 0
                                        ; implicit-def: $vgpr30
	v_mov_b32_e32 v1, v28
	v_mov_b32_e32 v3, v32
	s_and_b32 s4, s25, 3
	s_cmp_eq_u32 s4, 0
	s_cbranch_scc1 .LBB383_127
.LBB383_125:
	s_lshl_b32 s0, s24, 3
	s_add_u32 s0, s34, s0
	s_addc_u32 s1, s35, 0
	s_add_u32 s0, s0, 0xc4
	s_addc_u32 s1, s1, 0
	s_mul_i32 s2, s24, 12
	s_add_u32 s2, s34, s2
	s_addc_u32 s3, s35, 0
.LBB383_126:                            ; =>This Inner Loop Header: Depth=1
	s_load_dwordx2 s[6:7], s[2:3], 0x4
	s_load_dword s5, s[2:3], 0xc
	s_load_dwordx2 s[8:9], s[0:1], 0x0
	v_mov_b32_e32 v30, v1
	s_add_u32 s2, s2, 12
	s_waitcnt lgkmcnt(0)
	v_mul_hi_u32 v1, s7, v3
	v_add_u32_e32 v1, v3, v1
	v_lshrrev_b32_e32 v1, s5, v1
	s_addc_u32 s3, s3, 0
	v_mul_lo_u32 v5, v1, s6
	s_add_u32 s0, s0, 8
	v_sub_u32_e32 v5, v3, v5
	s_addc_u32 s1, s1, 0
	s_add_i32 s4, s4, -1
	v_mad_u64_u32 v[30:31], s[6:7], v5, s9, v[30:31]
	s_cmp_lg_u32 s4, 0
	v_mov_b32_e32 v3, v1
	v_mad_u64_u32 v[28:29], s[6:7], v5, s8, v[28:29]
	v_mov_b32_e32 v1, v30
	s_cbranch_scc1 .LBB383_126
.LBB383_127:
	s_cbranch_execnz .LBB383_130
.LBB383_128:
	s_load_dwordx4 s[0:3], s[34:35], 0x4
	s_load_dwordx2 s[4:5], s[34:35], 0xc4
	s_cmp_lt_u32 s33, 2
	s_waitcnt lgkmcnt(0)
	v_mul_hi_u32 v1, s1, v32
	v_add_u32_e32 v1, v32, v1
	v_lshrrev_b32_e32 v1, s2, v1
	v_mul_lo_u32 v3, v1, s0
	v_sub_u32_e32 v3, v32, v3
	v_mul_lo_u32 v30, v3, s5
	v_mul_lo_u32 v28, v3, s4
	s_cbranch_scc1 .LBB383_130
; %bb.129:
	s_load_dwordx4 s[0:3], s[34:35], 0x10
	s_load_dwordx2 s[4:5], s[34:35], 0xcc
	s_waitcnt lgkmcnt(0)
	v_mul_hi_u32 v3, s1, v1
	v_add_u32_e32 v3, v1, v3
	v_lshrrev_b32_e32 v3, s2, v3
	v_mul_lo_u32 v3, v3, s0
	v_sub_u32_e32 v1, v1, v3
	v_mad_u64_u32 v[28:29], s[0:1], v1, s4, v[28:29]
	v_mad_u64_u32 v[30:31], s[0:1], v1, s5, v[30:31]
.LBB383_130:
	s_load_dwordx4 s[0:3], s[34:35], 0x148
	s_load_dword s4, s[34:35], 0x158
	s_waitcnt lgkmcnt(0)
	global_load_ushort v1, v2, s[2:3]
	global_load_ushort v3, v6, s[2:3]
	global_load_ushort v5, v10, s[2:3]
	global_load_ushort v7, v14, s[2:3]
	global_load_ushort v9, v18, s[2:3]
	global_load_ushort v11, v22, s[2:3]
	global_load_ushort v13, v26, s[2:3]
	global_load_ushort v15, v30, s[2:3]
	s_waitcnt vmcnt(7)
	v_max_i16_e32 v1, s4, v1
	s_waitcnt vmcnt(6)
	v_max_i16_e32 v2, s4, v3
	;; [unrolled: 2-line block ×8, first 2 shown]
	global_store_short v0, v1, s[0:1]
	global_store_short v4, v2, s[0:1]
	;; [unrolled: 1-line block ×8, first 2 shown]
	s_endpgm
.LBB383_131:
	v_mov_b32_e32 v2, 0
	v_mov_b32_e32 v0, 0
	s_branch .LBB383_137
.LBB383_132:
	v_mov_b32_e32 v2, 0
	v_mov_b32_e32 v0, 0
	s_branch .LBB383_154
.LBB383_133:
	v_mov_b32_e32 v0, 0
	s_mov_b32 s58, 0
	v_mov_b32_e32 v1, v0
                                        ; implicit-def: $vgpr2
	v_mov_b32_e32 v4, v24
.LBB383_134:
	s_and_b32 s4, s59, 3
	s_cmp_eq_u32 s4, 0
	s_cbranch_scc1 .LBB383_137
; %bb.135:
	s_lshl_b32 s0, s58, 3
	s_add_u32 s0, s34, s0
	s_addc_u32 s1, s35, 0
	s_add_u32 s0, s0, 0xc4
	s_addc_u32 s1, s1, 0
	s_mul_i32 s2, s58, 12
	s_add_u32 s2, s34, s2
	s_addc_u32 s3, s35, 0
.LBB383_136:                            ; =>This Inner Loop Header: Depth=1
	s_load_dwordx2 s[6:7], s[2:3], 0x4
	s_load_dword s5, s[2:3], 0xc
	s_load_dwordx2 s[8:9], s[0:1], 0x0
	v_mov_b32_e32 v2, v1
	s_add_u32 s2, s2, 12
	s_waitcnt lgkmcnt(0)
	v_mul_hi_u32 v1, s7, v4
	v_add_u32_e32 v1, v4, v1
	v_lshrrev_b32_e32 v1, s5, v1
	s_addc_u32 s3, s3, 0
	v_mul_lo_u32 v3, v1, s6
	s_add_u32 s0, s0, 8
	v_sub_u32_e32 v5, v4, v3
	s_addc_u32 s1, s1, 0
	s_add_i32 s4, s4, -1
	v_mov_b32_e32 v4, v1
	v_mad_u64_u32 v[2:3], s[6:7], v5, s9, v[2:3]
	v_mad_u64_u32 v[0:1], s[6:7], v5, s8, v[0:1]
	s_cmp_lg_u32 s4, 0
	v_mov_b32_e32 v1, v2
	s_cbranch_scc1 .LBB383_136
.LBB383_137:
	s_cbranch_execnz .LBB383_140
.LBB383_138:
	s_waitcnt lgkmcnt(0)
	v_mul_hi_u32 v0, s25, v24
	v_add_u32_e32 v0, v24, v0
	v_lshrrev_b32_e32 v1, s26, v0
	v_mul_lo_u32 v0, v1, s24
	v_sub_u32_e32 v0, v24, v0
	v_mul_lo_u32 v2, v0, s21
	s_andn2_b64 vcc, exec, s[42:43]
	v_mul_lo_u32 v0, v0, s20
	s_cbranch_vccnz .LBB383_140
; %bb.139:
	v_mul_hi_u32 v3, s40, v1
	v_add_u32_e32 v3, v1, v3
	v_lshrrev_b32_e32 v3, s41, v3
	v_mul_lo_u32 v3, v3, s27
	v_sub_u32_e32 v3, v1, v3
	v_mad_u64_u32 v[0:1], s[0:1], v3, s22, v[0:1]
	v_mad_u64_u32 v[2:3], s[0:1], v3, s23, v[2:3]
.LBB383_140:
	s_waitcnt lgkmcnt(0)
	global_load_ushort v1, v2, s[18:19]
	v_add_u32_e32 v24, 0x80, v24
	s_waitcnt vmcnt(0)
	v_max_i16_e32 v1, s55, v1
	global_store_short v0, v1, s[16:17]
	s_or_b64 exec, exec, s[48:49]
	v_cmp_gt_i32_e32 vcc, s56, v24
	s_and_saveexec_b64 s[48:49], vcc
	s_cbranch_execnz .LBB383_16
.LBB383_141:
	s_or_b64 exec, exec, s[48:49]
	v_cmp_gt_i32_e32 vcc, s56, v24
	s_and_saveexec_b64 s[48:49], vcc
	s_cbranch_execz .LBB383_158
.LBB383_142:
	s_andn2_b64 vcc, exec, s[36:37]
	s_cbranch_vccnz .LBB383_148
; %bb.143:
	s_andn2_b64 vcc, exec, s[46:47]
	s_cbranch_vccnz .LBB383_149
; %bb.144:
	s_add_i32 s59, s57, 1
	s_cmp_eq_u32 s54, 2
	s_cbranch_scc1 .LBB383_167
; %bb.145:
	s_and_b32 s58, s59, 28
	s_mov_b32 s60, 0
	v_mov_b32_e32 v0, 0
	v_mov_b32_e32 v2, 0
	s_mov_b64 s[50:51], s[34:35]
	s_mov_b64 s[52:53], s[44:45]
	v_mov_b32_e32 v4, v24
.LBB383_146:                            ; =>This Inner Loop Header: Depth=1
	s_load_dwordx8 s[8:15], s[50:51], 0x4
	s_load_dwordx4 s[28:31], s[50:51], 0x24
	s_load_dwordx8 s[0:7], s[52:53], 0x0
	s_add_u32 s50, s50, 48
	s_addc_u32 s51, s51, 0
	s_waitcnt lgkmcnt(0)
	v_mul_hi_u32 v1, s9, v4
	v_add_u32_e32 v1, v4, v1
	v_lshrrev_b32_e32 v1, s10, v1
	v_mul_lo_u32 v3, v1, s8
	v_mul_hi_u32 v5, s12, v1
	v_sub_u32_e32 v3, v4, v3
	v_add_u32_e32 v4, v1, v5
	v_lshrrev_b32_e32 v4, s13, v4
	v_mul_lo_u32 v6, v4, s11
	v_mul_hi_u32 v7, s15, v4
	v_sub_u32_e32 v1, v1, v6
	v_add_u32_e32 v6, v4, v7
	v_mul_lo_u32 v5, v3, s1
	v_mul_lo_u32 v3, v3, s0
	;; [unrolled: 1-line block ×4, first 2 shown]
	v_lshrrev_b32_e32 v6, s28, v6
	v_add3_u32 v0, v3, v0, v1
	v_mul_hi_u32 v3, s30, v6
	v_add3_u32 v1, v5, v2, v7
	v_mul_lo_u32 v2, v6, s14
	v_add_u32_e32 v3, v6, v3
	v_sub_u32_e32 v2, v4, v2
	v_lshrrev_b32_e32 v4, s31, v3
	s_add_i32 s60, s60, 4
	v_mul_lo_u32 v3, v4, s29
	s_add_u32 s52, s52, 32
	v_sub_u32_e32 v3, v6, v3
	s_addc_u32 s53, s53, 0
	v_mul_lo_u32 v5, v2, s4
	v_mul_lo_u32 v2, v2, s5
	v_mul_lo_u32 v6, v3, s6
	v_mul_lo_u32 v3, v3, s7
	s_cmp_eq_u32 s58, s60
	v_add3_u32 v2, v2, v1, v3
	v_add3_u32 v0, v5, v0, v6
	s_cbranch_scc0 .LBB383_146
; %bb.147:
	v_mov_b32_e32 v1, v2
	s_branch .LBB383_168
.LBB383_148:
                                        ; implicit-def: $vgpr2
                                        ; implicit-def: $vgpr0
	s_branch .LBB383_172
.LBB383_149:
	v_mov_b32_e32 v2, 0
	v_mov_b32_e32 v0, 0
	s_branch .LBB383_171
.LBB383_150:
	v_mov_b32_e32 v0, 0
	s_mov_b32 s58, 0
	v_mov_b32_e32 v1, v0
                                        ; implicit-def: $vgpr2
	v_mov_b32_e32 v4, v24
.LBB383_151:
	s_and_b32 s4, s59, 3
	s_cmp_eq_u32 s4, 0
	s_cbranch_scc1 .LBB383_154
; %bb.152:
	s_lshl_b32 s0, s58, 3
	s_add_u32 s0, s34, s0
	s_addc_u32 s1, s35, 0
	s_add_u32 s0, s0, 0xc4
	s_addc_u32 s1, s1, 0
	s_mul_i32 s2, s58, 12
	s_add_u32 s2, s34, s2
	s_addc_u32 s3, s35, 0
.LBB383_153:                            ; =>This Inner Loop Header: Depth=1
	s_load_dwordx2 s[6:7], s[2:3], 0x4
	s_load_dword s5, s[2:3], 0xc
	s_load_dwordx2 s[8:9], s[0:1], 0x0
	v_mov_b32_e32 v2, v1
	s_add_u32 s2, s2, 12
	s_waitcnt lgkmcnt(0)
	v_mul_hi_u32 v1, s7, v4
	v_add_u32_e32 v1, v4, v1
	v_lshrrev_b32_e32 v1, s5, v1
	s_addc_u32 s3, s3, 0
	v_mul_lo_u32 v3, v1, s6
	s_add_u32 s0, s0, 8
	v_sub_u32_e32 v5, v4, v3
	s_addc_u32 s1, s1, 0
	s_add_i32 s4, s4, -1
	v_mov_b32_e32 v4, v1
	v_mad_u64_u32 v[2:3], s[6:7], v5, s9, v[2:3]
	v_mad_u64_u32 v[0:1], s[6:7], v5, s8, v[0:1]
	s_cmp_lg_u32 s4, 0
	v_mov_b32_e32 v1, v2
	s_cbranch_scc1 .LBB383_153
.LBB383_154:
	s_cbranch_execnz .LBB383_157
.LBB383_155:
	s_waitcnt lgkmcnt(0)
	v_mul_hi_u32 v0, s25, v24
	v_add_u32_e32 v0, v24, v0
	v_lshrrev_b32_e32 v1, s26, v0
	v_mul_lo_u32 v0, v1, s24
	v_sub_u32_e32 v0, v24, v0
	v_mul_lo_u32 v2, v0, s21
	s_andn2_b64 vcc, exec, s[42:43]
	v_mul_lo_u32 v0, v0, s20
	s_cbranch_vccnz .LBB383_157
; %bb.156:
	v_mul_hi_u32 v3, s40, v1
	v_add_u32_e32 v3, v1, v3
	v_lshrrev_b32_e32 v3, s41, v3
	v_mul_lo_u32 v3, v3, s27
	v_sub_u32_e32 v3, v1, v3
	v_mad_u64_u32 v[0:1], s[0:1], v3, s22, v[0:1]
	v_mad_u64_u32 v[2:3], s[0:1], v3, s23, v[2:3]
.LBB383_157:
	s_waitcnt lgkmcnt(0)
	global_load_ushort v1, v2, s[18:19]
	v_add_u32_e32 v24, 0x80, v24
	s_waitcnt vmcnt(0)
	v_max_i16_e32 v1, s55, v1
	global_store_short v0, v1, s[16:17]
	s_or_b64 exec, exec, s[48:49]
	v_cmp_gt_i32_e32 vcc, s56, v24
	s_and_saveexec_b64 s[48:49], vcc
	s_cbranch_execnz .LBB383_142
.LBB383_158:
	s_or_b64 exec, exec, s[48:49]
	v_cmp_gt_i32_e32 vcc, s56, v24
	s_and_saveexec_b64 s[48:49], vcc
	s_cbranch_execz .LBB383_175
.LBB383_159:
	s_andn2_b64 vcc, exec, s[36:37]
	s_cbranch_vccnz .LBB383_165
; %bb.160:
	s_andn2_b64 vcc, exec, s[46:47]
	s_cbranch_vccnz .LBB383_166
; %bb.161:
	s_add_i32 s59, s57, 1
	s_cmp_eq_u32 s54, 2
	s_cbranch_scc1 .LBB383_184
; %bb.162:
	s_and_b32 s58, s59, 28
	s_mov_b32 s60, 0
	v_mov_b32_e32 v0, 0
	v_mov_b32_e32 v2, 0
	s_mov_b64 s[50:51], s[34:35]
	s_mov_b64 s[52:53], s[44:45]
	v_mov_b32_e32 v4, v24
.LBB383_163:                            ; =>This Inner Loop Header: Depth=1
	s_load_dwordx8 s[8:15], s[50:51], 0x4
	s_load_dwordx4 s[28:31], s[50:51], 0x24
	s_load_dwordx8 s[0:7], s[52:53], 0x0
	s_add_u32 s50, s50, 48
	s_addc_u32 s51, s51, 0
	s_waitcnt lgkmcnt(0)
	v_mul_hi_u32 v1, s9, v4
	v_add_u32_e32 v1, v4, v1
	v_lshrrev_b32_e32 v1, s10, v1
	v_mul_lo_u32 v3, v1, s8
	v_mul_hi_u32 v5, s12, v1
	v_sub_u32_e32 v3, v4, v3
	v_add_u32_e32 v4, v1, v5
	v_lshrrev_b32_e32 v4, s13, v4
	v_mul_lo_u32 v6, v4, s11
	v_mul_hi_u32 v7, s15, v4
	v_sub_u32_e32 v1, v1, v6
	v_add_u32_e32 v6, v4, v7
	v_mul_lo_u32 v5, v3, s1
	v_mul_lo_u32 v3, v3, s0
	;; [unrolled: 1-line block ×4, first 2 shown]
	v_lshrrev_b32_e32 v6, s28, v6
	v_add3_u32 v0, v3, v0, v1
	v_mul_hi_u32 v3, s30, v6
	v_add3_u32 v1, v5, v2, v7
	v_mul_lo_u32 v2, v6, s14
	v_add_u32_e32 v3, v6, v3
	v_sub_u32_e32 v2, v4, v2
	v_lshrrev_b32_e32 v4, s31, v3
	s_add_i32 s60, s60, 4
	v_mul_lo_u32 v3, v4, s29
	s_add_u32 s52, s52, 32
	v_sub_u32_e32 v3, v6, v3
	s_addc_u32 s53, s53, 0
	v_mul_lo_u32 v5, v2, s4
	v_mul_lo_u32 v2, v2, s5
	;; [unrolled: 1-line block ×4, first 2 shown]
	s_cmp_eq_u32 s58, s60
	v_add3_u32 v2, v2, v1, v3
	v_add3_u32 v0, v5, v0, v6
	s_cbranch_scc0 .LBB383_163
; %bb.164:
	v_mov_b32_e32 v1, v2
	s_branch .LBB383_185
.LBB383_165:
                                        ; implicit-def: $vgpr2
                                        ; implicit-def: $vgpr0
	s_branch .LBB383_189
.LBB383_166:
	v_mov_b32_e32 v2, 0
	v_mov_b32_e32 v0, 0
	s_branch .LBB383_188
.LBB383_167:
	v_mov_b32_e32 v0, 0
	s_mov_b32 s58, 0
	v_mov_b32_e32 v1, v0
                                        ; implicit-def: $vgpr2
	v_mov_b32_e32 v4, v24
.LBB383_168:
	s_and_b32 s4, s59, 3
	s_cmp_eq_u32 s4, 0
	s_cbranch_scc1 .LBB383_171
; %bb.169:
	s_lshl_b32 s0, s58, 3
	s_add_u32 s0, s34, s0
	s_addc_u32 s1, s35, 0
	s_add_u32 s0, s0, 0xc4
	s_addc_u32 s1, s1, 0
	s_mul_i32 s2, s58, 12
	s_add_u32 s2, s34, s2
	s_addc_u32 s3, s35, 0
.LBB383_170:                            ; =>This Inner Loop Header: Depth=1
	s_load_dwordx2 s[6:7], s[2:3], 0x4
	s_load_dword s5, s[2:3], 0xc
	s_load_dwordx2 s[8:9], s[0:1], 0x0
	v_mov_b32_e32 v2, v1
	s_add_u32 s2, s2, 12
	s_waitcnt lgkmcnt(0)
	v_mul_hi_u32 v1, s7, v4
	v_add_u32_e32 v1, v4, v1
	v_lshrrev_b32_e32 v1, s5, v1
	s_addc_u32 s3, s3, 0
	v_mul_lo_u32 v3, v1, s6
	s_add_u32 s0, s0, 8
	v_sub_u32_e32 v5, v4, v3
	s_addc_u32 s1, s1, 0
	s_add_i32 s4, s4, -1
	v_mov_b32_e32 v4, v1
	v_mad_u64_u32 v[2:3], s[6:7], v5, s9, v[2:3]
	v_mad_u64_u32 v[0:1], s[6:7], v5, s8, v[0:1]
	s_cmp_lg_u32 s4, 0
	v_mov_b32_e32 v1, v2
	s_cbranch_scc1 .LBB383_170
.LBB383_171:
	s_cbranch_execnz .LBB383_174
.LBB383_172:
	s_waitcnt lgkmcnt(0)
	v_mul_hi_u32 v0, s25, v24
	v_add_u32_e32 v0, v24, v0
	v_lshrrev_b32_e32 v1, s26, v0
	v_mul_lo_u32 v0, v1, s24
	v_sub_u32_e32 v0, v24, v0
	v_mul_lo_u32 v2, v0, s21
	s_andn2_b64 vcc, exec, s[42:43]
	v_mul_lo_u32 v0, v0, s20
	s_cbranch_vccnz .LBB383_174
; %bb.173:
	v_mul_hi_u32 v3, s40, v1
	v_add_u32_e32 v3, v1, v3
	v_lshrrev_b32_e32 v3, s41, v3
	v_mul_lo_u32 v3, v3, s27
	v_sub_u32_e32 v3, v1, v3
	v_mad_u64_u32 v[0:1], s[0:1], v3, s22, v[0:1]
	v_mad_u64_u32 v[2:3], s[0:1], v3, s23, v[2:3]
.LBB383_174:
	s_waitcnt lgkmcnt(0)
	global_load_ushort v1, v2, s[18:19]
	v_add_u32_e32 v24, 0x80, v24
	s_waitcnt vmcnt(0)
	v_max_i16_e32 v1, s55, v1
	global_store_short v0, v1, s[16:17]
	s_or_b64 exec, exec, s[48:49]
	v_cmp_gt_i32_e32 vcc, s56, v24
	s_and_saveexec_b64 s[48:49], vcc
	s_cbranch_execnz .LBB383_159
.LBB383_175:
	s_or_b64 exec, exec, s[48:49]
	v_cmp_gt_i32_e32 vcc, s56, v24
	s_and_saveexec_b64 s[48:49], vcc
	s_cbranch_execz .LBB383_192
.LBB383_176:
	s_andn2_b64 vcc, exec, s[36:37]
	s_cbranch_vccnz .LBB383_182
; %bb.177:
	s_andn2_b64 vcc, exec, s[46:47]
	s_cbranch_vccnz .LBB383_183
; %bb.178:
	s_add_i32 s59, s57, 1
	s_cmp_eq_u32 s54, 2
	s_cbranch_scc1 .LBB383_201
; %bb.179:
	s_and_b32 s58, s59, 28
	s_mov_b32 s60, 0
	v_mov_b32_e32 v0, 0
	v_mov_b32_e32 v2, 0
	s_mov_b64 s[50:51], s[34:35]
	s_mov_b64 s[52:53], s[44:45]
	v_mov_b32_e32 v4, v24
.LBB383_180:                            ; =>This Inner Loop Header: Depth=1
	s_load_dwordx8 s[8:15], s[50:51], 0x4
	s_load_dwordx4 s[28:31], s[50:51], 0x24
	s_load_dwordx8 s[0:7], s[52:53], 0x0
	s_add_u32 s50, s50, 48
	s_addc_u32 s51, s51, 0
	s_waitcnt lgkmcnt(0)
	v_mul_hi_u32 v1, s9, v4
	v_add_u32_e32 v1, v4, v1
	v_lshrrev_b32_e32 v1, s10, v1
	v_mul_lo_u32 v3, v1, s8
	v_mul_hi_u32 v5, s12, v1
	v_sub_u32_e32 v3, v4, v3
	v_add_u32_e32 v4, v1, v5
	v_lshrrev_b32_e32 v4, s13, v4
	v_mul_lo_u32 v6, v4, s11
	v_mul_hi_u32 v7, s15, v4
	v_sub_u32_e32 v1, v1, v6
	v_add_u32_e32 v6, v4, v7
	v_mul_lo_u32 v5, v3, s1
	v_mul_lo_u32 v3, v3, s0
	;; [unrolled: 1-line block ×4, first 2 shown]
	v_lshrrev_b32_e32 v6, s28, v6
	v_add3_u32 v0, v3, v0, v1
	v_mul_hi_u32 v3, s30, v6
	v_add3_u32 v1, v5, v2, v7
	v_mul_lo_u32 v2, v6, s14
	v_add_u32_e32 v3, v6, v3
	v_sub_u32_e32 v2, v4, v2
	v_lshrrev_b32_e32 v4, s31, v3
	s_add_i32 s60, s60, 4
	v_mul_lo_u32 v3, v4, s29
	s_add_u32 s52, s52, 32
	v_sub_u32_e32 v3, v6, v3
	s_addc_u32 s53, s53, 0
	v_mul_lo_u32 v5, v2, s4
	v_mul_lo_u32 v2, v2, s5
	;; [unrolled: 1-line block ×4, first 2 shown]
	s_cmp_eq_u32 s58, s60
	v_add3_u32 v2, v2, v1, v3
	v_add3_u32 v0, v5, v0, v6
	s_cbranch_scc0 .LBB383_180
; %bb.181:
	v_mov_b32_e32 v1, v2
	s_branch .LBB383_202
.LBB383_182:
                                        ; implicit-def: $vgpr2
                                        ; implicit-def: $vgpr0
	s_branch .LBB383_206
.LBB383_183:
	v_mov_b32_e32 v2, 0
	v_mov_b32_e32 v0, 0
	s_branch .LBB383_205
.LBB383_184:
	v_mov_b32_e32 v0, 0
	s_mov_b32 s58, 0
	v_mov_b32_e32 v1, v0
                                        ; implicit-def: $vgpr2
	v_mov_b32_e32 v4, v24
.LBB383_185:
	s_and_b32 s4, s59, 3
	s_cmp_eq_u32 s4, 0
	s_cbranch_scc1 .LBB383_188
; %bb.186:
	s_lshl_b32 s0, s58, 3
	s_add_u32 s0, s34, s0
	s_addc_u32 s1, s35, 0
	s_add_u32 s0, s0, 0xc4
	s_addc_u32 s1, s1, 0
	s_mul_i32 s2, s58, 12
	s_add_u32 s2, s34, s2
	s_addc_u32 s3, s35, 0
.LBB383_187:                            ; =>This Inner Loop Header: Depth=1
	s_load_dwordx2 s[6:7], s[2:3], 0x4
	s_load_dword s5, s[2:3], 0xc
	s_load_dwordx2 s[8:9], s[0:1], 0x0
	v_mov_b32_e32 v2, v1
	s_add_u32 s2, s2, 12
	s_waitcnt lgkmcnt(0)
	v_mul_hi_u32 v1, s7, v4
	v_add_u32_e32 v1, v4, v1
	v_lshrrev_b32_e32 v1, s5, v1
	s_addc_u32 s3, s3, 0
	v_mul_lo_u32 v3, v1, s6
	s_add_u32 s0, s0, 8
	v_sub_u32_e32 v5, v4, v3
	s_addc_u32 s1, s1, 0
	s_add_i32 s4, s4, -1
	v_mov_b32_e32 v4, v1
	v_mad_u64_u32 v[2:3], s[6:7], v5, s9, v[2:3]
	v_mad_u64_u32 v[0:1], s[6:7], v5, s8, v[0:1]
	s_cmp_lg_u32 s4, 0
	v_mov_b32_e32 v1, v2
	s_cbranch_scc1 .LBB383_187
.LBB383_188:
	s_cbranch_execnz .LBB383_191
.LBB383_189:
	s_waitcnt lgkmcnt(0)
	v_mul_hi_u32 v0, s25, v24
	v_add_u32_e32 v0, v24, v0
	v_lshrrev_b32_e32 v1, s26, v0
	v_mul_lo_u32 v0, v1, s24
	v_sub_u32_e32 v0, v24, v0
	v_mul_lo_u32 v2, v0, s21
	s_andn2_b64 vcc, exec, s[42:43]
	v_mul_lo_u32 v0, v0, s20
	s_cbranch_vccnz .LBB383_191
; %bb.190:
	v_mul_hi_u32 v3, s40, v1
	v_add_u32_e32 v3, v1, v3
	v_lshrrev_b32_e32 v3, s41, v3
	v_mul_lo_u32 v3, v3, s27
	v_sub_u32_e32 v3, v1, v3
	v_mad_u64_u32 v[0:1], s[0:1], v3, s22, v[0:1]
	v_mad_u64_u32 v[2:3], s[0:1], v3, s23, v[2:3]
.LBB383_191:
	s_waitcnt lgkmcnt(0)
	global_load_ushort v1, v2, s[18:19]
	v_add_u32_e32 v24, 0x80, v24
	s_waitcnt vmcnt(0)
	v_max_i16_e32 v1, s55, v1
	global_store_short v0, v1, s[16:17]
	s_or_b64 exec, exec, s[48:49]
	v_cmp_gt_i32_e32 vcc, s56, v24
	s_and_saveexec_b64 s[48:49], vcc
	s_cbranch_execnz .LBB383_176
.LBB383_192:
	s_or_b64 exec, exec, s[48:49]
	v_cmp_gt_i32_e32 vcc, s56, v24
	s_and_saveexec_b64 s[48:49], vcc
	s_cbranch_execz .LBB383_209
.LBB383_193:
	s_andn2_b64 vcc, exec, s[36:37]
	s_cbranch_vccnz .LBB383_199
; %bb.194:
	s_andn2_b64 vcc, exec, s[46:47]
	s_cbranch_vccnz .LBB383_200
; %bb.195:
	s_add_i32 s59, s57, 1
	s_cmp_eq_u32 s54, 2
	s_cbranch_scc1 .LBB383_218
; %bb.196:
	s_and_b32 s58, s59, 28
	s_mov_b32 s60, 0
	v_mov_b32_e32 v0, 0
	v_mov_b32_e32 v2, 0
	s_mov_b64 s[50:51], s[34:35]
	s_mov_b64 s[52:53], s[44:45]
	v_mov_b32_e32 v4, v24
.LBB383_197:                            ; =>This Inner Loop Header: Depth=1
	s_load_dwordx8 s[8:15], s[50:51], 0x4
	s_load_dwordx4 s[28:31], s[50:51], 0x24
	s_load_dwordx8 s[0:7], s[52:53], 0x0
	s_add_u32 s50, s50, 48
	s_addc_u32 s51, s51, 0
	s_waitcnt lgkmcnt(0)
	v_mul_hi_u32 v1, s9, v4
	v_add_u32_e32 v1, v4, v1
	v_lshrrev_b32_e32 v1, s10, v1
	v_mul_lo_u32 v3, v1, s8
	v_mul_hi_u32 v5, s12, v1
	v_sub_u32_e32 v3, v4, v3
	v_add_u32_e32 v4, v1, v5
	v_lshrrev_b32_e32 v4, s13, v4
	v_mul_lo_u32 v6, v4, s11
	v_mul_hi_u32 v7, s15, v4
	v_sub_u32_e32 v1, v1, v6
	v_add_u32_e32 v6, v4, v7
	v_mul_lo_u32 v5, v3, s1
	v_mul_lo_u32 v3, v3, s0
	;; [unrolled: 1-line block ×4, first 2 shown]
	v_lshrrev_b32_e32 v6, s28, v6
	v_add3_u32 v0, v3, v0, v1
	v_mul_hi_u32 v3, s30, v6
	v_add3_u32 v1, v5, v2, v7
	v_mul_lo_u32 v2, v6, s14
	v_add_u32_e32 v3, v6, v3
	v_sub_u32_e32 v2, v4, v2
	v_lshrrev_b32_e32 v4, s31, v3
	s_add_i32 s60, s60, 4
	v_mul_lo_u32 v3, v4, s29
	s_add_u32 s52, s52, 32
	v_sub_u32_e32 v3, v6, v3
	s_addc_u32 s53, s53, 0
	v_mul_lo_u32 v5, v2, s4
	v_mul_lo_u32 v2, v2, s5
	;; [unrolled: 1-line block ×4, first 2 shown]
	s_cmp_eq_u32 s58, s60
	v_add3_u32 v2, v2, v1, v3
	v_add3_u32 v0, v5, v0, v6
	s_cbranch_scc0 .LBB383_197
; %bb.198:
	v_mov_b32_e32 v1, v2
	s_branch .LBB383_219
.LBB383_199:
                                        ; implicit-def: $vgpr2
                                        ; implicit-def: $vgpr0
	s_branch .LBB383_223
.LBB383_200:
	v_mov_b32_e32 v2, 0
	v_mov_b32_e32 v0, 0
	s_branch .LBB383_222
.LBB383_201:
	v_mov_b32_e32 v0, 0
	s_mov_b32 s58, 0
	v_mov_b32_e32 v1, v0
                                        ; implicit-def: $vgpr2
	v_mov_b32_e32 v4, v24
.LBB383_202:
	s_and_b32 s4, s59, 3
	s_cmp_eq_u32 s4, 0
	s_cbranch_scc1 .LBB383_205
; %bb.203:
	s_lshl_b32 s0, s58, 3
	s_add_u32 s0, s34, s0
	s_addc_u32 s1, s35, 0
	s_add_u32 s0, s0, 0xc4
	s_addc_u32 s1, s1, 0
	s_mul_i32 s2, s58, 12
	s_add_u32 s2, s34, s2
	s_addc_u32 s3, s35, 0
.LBB383_204:                            ; =>This Inner Loop Header: Depth=1
	s_load_dwordx2 s[6:7], s[2:3], 0x4
	s_load_dword s5, s[2:3], 0xc
	s_load_dwordx2 s[8:9], s[0:1], 0x0
	v_mov_b32_e32 v2, v1
	s_add_u32 s2, s2, 12
	s_waitcnt lgkmcnt(0)
	v_mul_hi_u32 v1, s7, v4
	v_add_u32_e32 v1, v4, v1
	v_lshrrev_b32_e32 v1, s5, v1
	s_addc_u32 s3, s3, 0
	v_mul_lo_u32 v3, v1, s6
	s_add_u32 s0, s0, 8
	v_sub_u32_e32 v5, v4, v3
	s_addc_u32 s1, s1, 0
	s_add_i32 s4, s4, -1
	v_mov_b32_e32 v4, v1
	v_mad_u64_u32 v[2:3], s[6:7], v5, s9, v[2:3]
	v_mad_u64_u32 v[0:1], s[6:7], v5, s8, v[0:1]
	s_cmp_lg_u32 s4, 0
	v_mov_b32_e32 v1, v2
	s_cbranch_scc1 .LBB383_204
.LBB383_205:
	s_cbranch_execnz .LBB383_208
.LBB383_206:
	s_waitcnt lgkmcnt(0)
	v_mul_hi_u32 v0, s25, v24
	v_add_u32_e32 v0, v24, v0
	v_lshrrev_b32_e32 v1, s26, v0
	v_mul_lo_u32 v0, v1, s24
	v_sub_u32_e32 v0, v24, v0
	v_mul_lo_u32 v2, v0, s21
	s_andn2_b64 vcc, exec, s[42:43]
	v_mul_lo_u32 v0, v0, s20
	s_cbranch_vccnz .LBB383_208
; %bb.207:
	v_mul_hi_u32 v3, s40, v1
	v_add_u32_e32 v3, v1, v3
	v_lshrrev_b32_e32 v3, s41, v3
	v_mul_lo_u32 v3, v3, s27
	v_sub_u32_e32 v3, v1, v3
	v_mad_u64_u32 v[0:1], s[0:1], v3, s22, v[0:1]
	v_mad_u64_u32 v[2:3], s[0:1], v3, s23, v[2:3]
.LBB383_208:
	s_waitcnt lgkmcnt(0)
	global_load_ushort v1, v2, s[18:19]
	v_add_u32_e32 v24, 0x80, v24
	s_waitcnt vmcnt(0)
	v_max_i16_e32 v1, s55, v1
	global_store_short v0, v1, s[16:17]
	s_or_b64 exec, exec, s[48:49]
	v_cmp_gt_i32_e32 vcc, s56, v24
	s_and_saveexec_b64 s[48:49], vcc
	s_cbranch_execnz .LBB383_193
.LBB383_209:
	s_or_b64 exec, exec, s[48:49]
	v_cmp_gt_i32_e32 vcc, s56, v24
	s_and_saveexec_b64 s[48:49], vcc
	s_cbranch_execz .LBB383_226
.LBB383_210:
	s_andn2_b64 vcc, exec, s[36:37]
	s_cbranch_vccnz .LBB383_216
; %bb.211:
	s_andn2_b64 vcc, exec, s[46:47]
	s_cbranch_vccnz .LBB383_217
; %bb.212:
	s_add_i32 s59, s57, 1
	s_cmp_eq_u32 s54, 2
	s_cbranch_scc1 .LBB383_229
; %bb.213:
	s_and_b32 s58, s59, 28
	s_mov_b32 s60, 0
	v_mov_b32_e32 v0, 0
	v_mov_b32_e32 v2, 0
	s_mov_b64 s[50:51], s[34:35]
	s_mov_b64 s[52:53], s[44:45]
	v_mov_b32_e32 v4, v24
.LBB383_214:                            ; =>This Inner Loop Header: Depth=1
	s_load_dwordx8 s[8:15], s[50:51], 0x4
	s_load_dwordx4 s[28:31], s[50:51], 0x24
	s_load_dwordx8 s[0:7], s[52:53], 0x0
	s_add_u32 s50, s50, 48
	s_addc_u32 s51, s51, 0
	s_waitcnt lgkmcnt(0)
	v_mul_hi_u32 v1, s9, v4
	v_add_u32_e32 v1, v4, v1
	v_lshrrev_b32_e32 v1, s10, v1
	v_mul_lo_u32 v3, v1, s8
	v_mul_hi_u32 v5, s12, v1
	v_sub_u32_e32 v3, v4, v3
	v_add_u32_e32 v4, v1, v5
	v_lshrrev_b32_e32 v4, s13, v4
	v_mul_lo_u32 v6, v4, s11
	v_mul_hi_u32 v7, s15, v4
	v_sub_u32_e32 v1, v1, v6
	v_add_u32_e32 v6, v4, v7
	v_mul_lo_u32 v5, v3, s1
	v_mul_lo_u32 v3, v3, s0
	;; [unrolled: 1-line block ×4, first 2 shown]
	v_lshrrev_b32_e32 v6, s28, v6
	v_add3_u32 v0, v3, v0, v1
	v_mul_hi_u32 v3, s30, v6
	v_add3_u32 v1, v5, v2, v7
	v_mul_lo_u32 v2, v6, s14
	v_add_u32_e32 v3, v6, v3
	v_sub_u32_e32 v2, v4, v2
	v_lshrrev_b32_e32 v4, s31, v3
	s_add_i32 s60, s60, 4
	v_mul_lo_u32 v3, v4, s29
	s_add_u32 s52, s52, 32
	v_sub_u32_e32 v3, v6, v3
	s_addc_u32 s53, s53, 0
	v_mul_lo_u32 v5, v2, s4
	v_mul_lo_u32 v2, v2, s5
	v_mul_lo_u32 v6, v3, s6
	v_mul_lo_u32 v3, v3, s7
	s_cmp_eq_u32 s58, s60
	v_add3_u32 v2, v2, v1, v3
	v_add3_u32 v0, v5, v0, v6
	s_cbranch_scc0 .LBB383_214
; %bb.215:
	v_mov_b32_e32 v1, v2
	s_branch .LBB383_230
.LBB383_216:
                                        ; implicit-def: $vgpr2
                                        ; implicit-def: $vgpr0
	s_branch .LBB383_234
.LBB383_217:
	v_mov_b32_e32 v2, 0
	v_mov_b32_e32 v0, 0
	s_branch .LBB383_233
.LBB383_218:
	v_mov_b32_e32 v0, 0
	s_mov_b32 s58, 0
	v_mov_b32_e32 v1, v0
                                        ; implicit-def: $vgpr2
	v_mov_b32_e32 v4, v24
.LBB383_219:
	s_and_b32 s4, s59, 3
	s_cmp_eq_u32 s4, 0
	s_cbranch_scc1 .LBB383_222
; %bb.220:
	s_lshl_b32 s0, s58, 3
	s_add_u32 s0, s34, s0
	s_addc_u32 s1, s35, 0
	s_add_u32 s0, s0, 0xc4
	s_addc_u32 s1, s1, 0
	s_mul_i32 s2, s58, 12
	s_add_u32 s2, s34, s2
	s_addc_u32 s3, s35, 0
.LBB383_221:                            ; =>This Inner Loop Header: Depth=1
	s_load_dwordx2 s[6:7], s[2:3], 0x4
	s_load_dword s5, s[2:3], 0xc
	s_load_dwordx2 s[8:9], s[0:1], 0x0
	v_mov_b32_e32 v2, v1
	s_add_u32 s2, s2, 12
	s_waitcnt lgkmcnt(0)
	v_mul_hi_u32 v1, s7, v4
	v_add_u32_e32 v1, v4, v1
	v_lshrrev_b32_e32 v1, s5, v1
	s_addc_u32 s3, s3, 0
	v_mul_lo_u32 v3, v1, s6
	s_add_u32 s0, s0, 8
	v_sub_u32_e32 v5, v4, v3
	s_addc_u32 s1, s1, 0
	s_add_i32 s4, s4, -1
	v_mov_b32_e32 v4, v1
	v_mad_u64_u32 v[2:3], s[6:7], v5, s9, v[2:3]
	v_mad_u64_u32 v[0:1], s[6:7], v5, s8, v[0:1]
	s_cmp_lg_u32 s4, 0
	v_mov_b32_e32 v1, v2
	s_cbranch_scc1 .LBB383_221
.LBB383_222:
	s_cbranch_execnz .LBB383_225
.LBB383_223:
	s_waitcnt lgkmcnt(0)
	v_mul_hi_u32 v0, s25, v24
	v_add_u32_e32 v0, v24, v0
	v_lshrrev_b32_e32 v1, s26, v0
	v_mul_lo_u32 v0, v1, s24
	v_sub_u32_e32 v0, v24, v0
	v_mul_lo_u32 v2, v0, s21
	s_andn2_b64 vcc, exec, s[42:43]
	v_mul_lo_u32 v0, v0, s20
	s_cbranch_vccnz .LBB383_225
; %bb.224:
	v_mul_hi_u32 v3, s40, v1
	v_add_u32_e32 v3, v1, v3
	v_lshrrev_b32_e32 v3, s41, v3
	v_mul_lo_u32 v3, v3, s27
	v_sub_u32_e32 v3, v1, v3
	v_mad_u64_u32 v[0:1], s[0:1], v3, s22, v[0:1]
	v_mad_u64_u32 v[2:3], s[0:1], v3, s23, v[2:3]
.LBB383_225:
	s_waitcnt lgkmcnt(0)
	global_load_ushort v1, v2, s[18:19]
	v_add_u32_e32 v24, 0x80, v24
	s_waitcnt vmcnt(0)
	v_max_i16_e32 v1, s55, v1
	global_store_short v0, v1, s[16:17]
	s_or_b64 exec, exec, s[48:49]
	v_cmp_gt_i32_e32 vcc, s56, v24
	s_and_saveexec_b64 s[48:49], vcc
	s_cbranch_execnz .LBB383_210
.LBB383_226:
	s_or_b64 exec, exec, s[48:49]
	v_cmp_gt_i32_e32 vcc, s56, v24
	s_and_saveexec_b64 s[48:49], vcc
	s_cbranch_execnz .LBB383_237
.LBB383_227:
	s_or_b64 exec, exec, s[48:49]
                                        ; implicit-def: $vgpr32
                                        ; implicit-def: $vgpr24
	s_andn2_saveexec_b64 s[0:1], s[38:39]
	s_cbranch_execnz .LBB383_9
.LBB383_228:
	s_endpgm
.LBB383_229:
	v_mov_b32_e32 v0, 0
	s_mov_b32 s58, 0
	v_mov_b32_e32 v1, v0
                                        ; implicit-def: $vgpr2
	v_mov_b32_e32 v4, v24
.LBB383_230:
	s_and_b32 s4, s59, 3
	s_cmp_eq_u32 s4, 0
	s_cbranch_scc1 .LBB383_233
; %bb.231:
	s_lshl_b32 s0, s58, 3
	s_add_u32 s0, s34, s0
	s_addc_u32 s1, s35, 0
	s_add_u32 s0, s0, 0xc4
	s_addc_u32 s1, s1, 0
	s_mul_i32 s2, s58, 12
	s_add_u32 s2, s34, s2
	s_addc_u32 s3, s35, 0
.LBB383_232:                            ; =>This Inner Loop Header: Depth=1
	s_load_dwordx2 s[6:7], s[2:3], 0x4
	s_load_dword s5, s[2:3], 0xc
	s_load_dwordx2 s[8:9], s[0:1], 0x0
	v_mov_b32_e32 v2, v1
	s_add_u32 s2, s2, 12
	s_waitcnt lgkmcnt(0)
	v_mul_hi_u32 v1, s7, v4
	v_add_u32_e32 v1, v4, v1
	v_lshrrev_b32_e32 v1, s5, v1
	s_addc_u32 s3, s3, 0
	v_mul_lo_u32 v3, v1, s6
	s_add_u32 s0, s0, 8
	v_sub_u32_e32 v5, v4, v3
	s_addc_u32 s1, s1, 0
	s_add_i32 s4, s4, -1
	v_mov_b32_e32 v4, v1
	v_mad_u64_u32 v[2:3], s[6:7], v5, s9, v[2:3]
	v_mad_u64_u32 v[0:1], s[6:7], v5, s8, v[0:1]
	s_cmp_lg_u32 s4, 0
	v_mov_b32_e32 v1, v2
	s_cbranch_scc1 .LBB383_232
.LBB383_233:
	s_cbranch_execnz .LBB383_236
.LBB383_234:
	s_waitcnt lgkmcnt(0)
	v_mul_hi_u32 v0, s25, v24
	v_add_u32_e32 v0, v24, v0
	v_lshrrev_b32_e32 v1, s26, v0
	v_mul_lo_u32 v0, v1, s24
	v_sub_u32_e32 v0, v24, v0
	v_mul_lo_u32 v2, v0, s21
	s_andn2_b64 vcc, exec, s[42:43]
	v_mul_lo_u32 v0, v0, s20
	s_cbranch_vccnz .LBB383_236
; %bb.235:
	v_mul_hi_u32 v3, s40, v1
	v_add_u32_e32 v3, v1, v3
	v_lshrrev_b32_e32 v3, s41, v3
	v_mul_lo_u32 v3, v3, s27
	v_sub_u32_e32 v3, v1, v3
	v_mad_u64_u32 v[0:1], s[0:1], v3, s22, v[0:1]
	v_mad_u64_u32 v[2:3], s[0:1], v3, s23, v[2:3]
.LBB383_236:
	s_waitcnt lgkmcnt(0)
	global_load_ushort v1, v2, s[18:19]
	v_add_u32_e32 v24, 0x80, v24
	s_waitcnt vmcnt(0)
	v_max_i16_e32 v1, s55, v1
	global_store_short v0, v1, s[16:17]
	s_or_b64 exec, exec, s[48:49]
	v_cmp_gt_i32_e32 vcc, s56, v24
	s_and_saveexec_b64 s[48:49], vcc
	s_cbranch_execz .LBB383_227
.LBB383_237:
	s_andn2_b64 vcc, exec, s[36:37]
	s_cbranch_vccnz .LBB383_243
; %bb.238:
	s_andn2_b64 vcc, exec, s[46:47]
	s_cbranch_vccnz .LBB383_244
; %bb.239:
	s_add_i32 s57, s57, 1
	s_cmp_eq_u32 s54, 2
	s_cbranch_scc1 .LBB383_245
; %bb.240:
	s_and_b32 s50, s57, 28
	s_mov_b32 s51, 0
	v_mov_b32_e32 v0, 0
	v_mov_b32_e32 v2, 0
	s_mov_b64 s[46:47], s[34:35]
	v_mov_b32_e32 v4, v24
.LBB383_241:                            ; =>This Inner Loop Header: Depth=1
	s_load_dwordx8 s[8:15], s[46:47], 0x4
	s_load_dwordx4 s[28:31], s[46:47], 0x24
	s_load_dwordx8 s[0:7], s[44:45], 0x0
	s_add_u32 s46, s46, 48
	s_addc_u32 s47, s47, 0
	s_waitcnt lgkmcnt(0)
	v_mul_hi_u32 v1, s9, v4
	v_add_u32_e32 v1, v4, v1
	v_lshrrev_b32_e32 v1, s10, v1
	v_mul_lo_u32 v3, v1, s8
	v_mul_hi_u32 v5, s12, v1
	v_sub_u32_e32 v3, v4, v3
	v_add_u32_e32 v4, v1, v5
	v_lshrrev_b32_e32 v4, s13, v4
	v_mul_lo_u32 v6, v4, s11
	v_mul_hi_u32 v7, s15, v4
	v_sub_u32_e32 v1, v1, v6
	v_add_u32_e32 v6, v4, v7
	v_mul_lo_u32 v5, v3, s1
	v_mul_lo_u32 v3, v3, s0
	;; [unrolled: 1-line block ×4, first 2 shown]
	v_lshrrev_b32_e32 v6, s28, v6
	v_add3_u32 v0, v3, v0, v1
	v_mul_hi_u32 v3, s30, v6
	v_add3_u32 v1, v5, v2, v7
	v_mul_lo_u32 v2, v6, s14
	v_add_u32_e32 v3, v6, v3
	v_sub_u32_e32 v2, v4, v2
	v_lshrrev_b32_e32 v4, s31, v3
	s_add_i32 s51, s51, 4
	v_mul_lo_u32 v3, v4, s29
	s_add_u32 s44, s44, 32
	v_sub_u32_e32 v3, v6, v3
	s_addc_u32 s45, s45, 0
	v_mul_lo_u32 v5, v2, s4
	v_mul_lo_u32 v2, v2, s5
	;; [unrolled: 1-line block ×4, first 2 shown]
	s_cmp_eq_u32 s50, s51
	v_add3_u32 v2, v2, v1, v3
	v_add3_u32 v0, v5, v0, v6
	s_cbranch_scc0 .LBB383_241
; %bb.242:
	v_mov_b32_e32 v1, v2
	s_branch .LBB383_246
.LBB383_243:
                                        ; implicit-def: $vgpr2
                                        ; implicit-def: $vgpr0
	s_branch .LBB383_250
.LBB383_244:
	v_mov_b32_e32 v2, 0
	v_mov_b32_e32 v0, 0
	s_branch .LBB383_249
.LBB383_245:
	v_mov_b32_e32 v0, 0
	s_mov_b32 s50, 0
	v_mov_b32_e32 v1, v0
                                        ; implicit-def: $vgpr2
	v_mov_b32_e32 v4, v24
.LBB383_246:
	s_and_b32 s4, s57, 3
	s_cmp_eq_u32 s4, 0
	s_cbranch_scc1 .LBB383_249
; %bb.247:
	s_lshl_b32 s0, s50, 3
	s_add_u32 s0, s34, s0
	s_addc_u32 s1, s35, 0
	s_add_u32 s0, s0, 0xc4
	s_addc_u32 s1, s1, 0
	s_mul_i32 s2, s50, 12
	s_add_u32 s2, s34, s2
	s_addc_u32 s3, s35, 0
.LBB383_248:                            ; =>This Inner Loop Header: Depth=1
	s_load_dwordx2 s[6:7], s[2:3], 0x4
	s_load_dword s5, s[2:3], 0xc
	s_load_dwordx2 s[8:9], s[0:1], 0x0
	v_mov_b32_e32 v2, v1
	s_add_u32 s2, s2, 12
	s_waitcnt lgkmcnt(0)
	v_mul_hi_u32 v1, s7, v4
	v_add_u32_e32 v1, v4, v1
	v_lshrrev_b32_e32 v1, s5, v1
	s_addc_u32 s3, s3, 0
	v_mul_lo_u32 v3, v1, s6
	s_add_u32 s0, s0, 8
	v_sub_u32_e32 v5, v4, v3
	s_addc_u32 s1, s1, 0
	s_add_i32 s4, s4, -1
	v_mov_b32_e32 v4, v1
	v_mad_u64_u32 v[2:3], s[6:7], v5, s9, v[2:3]
	v_mad_u64_u32 v[0:1], s[6:7], v5, s8, v[0:1]
	s_cmp_lg_u32 s4, 0
	v_mov_b32_e32 v1, v2
	s_cbranch_scc1 .LBB383_248
.LBB383_249:
	s_cbranch_execnz .LBB383_252
.LBB383_250:
	s_waitcnt lgkmcnt(0)
	v_mul_hi_u32 v0, s25, v24
	v_add_u32_e32 v0, v24, v0
	v_lshrrev_b32_e32 v1, s26, v0
	v_mul_lo_u32 v0, v1, s24
	v_sub_u32_e32 v0, v24, v0
	v_mul_lo_u32 v2, v0, s21
	s_andn2_b64 vcc, exec, s[42:43]
	v_mul_lo_u32 v0, v0, s20
	s_cbranch_vccnz .LBB383_252
; %bb.251:
	v_mul_hi_u32 v3, s40, v1
	v_add_u32_e32 v3, v1, v3
	v_lshrrev_b32_e32 v3, s41, v3
	v_mul_lo_u32 v3, v3, s27
	v_sub_u32_e32 v3, v1, v3
	v_mad_u64_u32 v[0:1], s[0:1], v3, s22, v[0:1]
	v_mad_u64_u32 v[2:3], s[0:1], v3, s23, v[2:3]
.LBB383_252:
	s_waitcnt lgkmcnt(0)
	global_load_ushort v1, v2, s[18:19]
	s_waitcnt vmcnt(0)
	v_max_i16_e32 v1, s55, v1
	global_store_short v0, v1, s[16:17]
	s_or_b64 exec, exec, s[48:49]
                                        ; implicit-def: $vgpr32
                                        ; implicit-def: $vgpr24
	s_andn2_saveexec_b64 s[0:1], s[38:39]
	s_cbranch_execz .LBB383_228
	s_branch .LBB383_9
	.section	.rodata,"a",@progbits
	.p2align	6, 0x0
	.amdhsa_kernel _ZN2at6native32elementwise_kernel_manual_unrollILi128ELi8EZNS0_22gpu_kernel_impl_nocastIZZZNS0_21clamp_min_kernel_cudaERNS_18TensorIteratorBaseERKN3c106ScalarEENKUlvE_clEvENKUlvE3_clEvEUlsE_EEvS4_RKT_EUlibE_EEviT1_
		.amdhsa_group_segment_fixed_size 0
		.amdhsa_private_segment_fixed_size 0
		.amdhsa_kernarg_size 360
		.amdhsa_user_sgpr_count 2
		.amdhsa_user_sgpr_dispatch_ptr 0
		.amdhsa_user_sgpr_queue_ptr 0
		.amdhsa_user_sgpr_kernarg_segment_ptr 1
		.amdhsa_user_sgpr_dispatch_id 0
		.amdhsa_user_sgpr_kernarg_preload_length 0
		.amdhsa_user_sgpr_kernarg_preload_offset 0
		.amdhsa_user_sgpr_private_segment_size 0
		.amdhsa_uses_dynamic_stack 0
		.amdhsa_enable_private_segment 0
		.amdhsa_system_sgpr_workgroup_id_x 1
		.amdhsa_system_sgpr_workgroup_id_y 0
		.amdhsa_system_sgpr_workgroup_id_z 0
		.amdhsa_system_sgpr_workgroup_info 0
		.amdhsa_system_vgpr_workitem_id 0
		.amdhsa_next_free_vgpr 33
		.amdhsa_next_free_sgpr 61
		.amdhsa_accum_offset 36
		.amdhsa_reserve_vcc 1
		.amdhsa_float_round_mode_32 0
		.amdhsa_float_round_mode_16_64 0
		.amdhsa_float_denorm_mode_32 3
		.amdhsa_float_denorm_mode_16_64 3
		.amdhsa_dx10_clamp 1
		.amdhsa_ieee_mode 1
		.amdhsa_fp16_overflow 0
		.amdhsa_tg_split 0
		.amdhsa_exception_fp_ieee_invalid_op 0
		.amdhsa_exception_fp_denorm_src 0
		.amdhsa_exception_fp_ieee_div_zero 0
		.amdhsa_exception_fp_ieee_overflow 0
		.amdhsa_exception_fp_ieee_underflow 0
		.amdhsa_exception_fp_ieee_inexact 0
		.amdhsa_exception_int_div_zero 0
	.end_amdhsa_kernel
	.section	.text._ZN2at6native32elementwise_kernel_manual_unrollILi128ELi8EZNS0_22gpu_kernel_impl_nocastIZZZNS0_21clamp_min_kernel_cudaERNS_18TensorIteratorBaseERKN3c106ScalarEENKUlvE_clEvENKUlvE3_clEvEUlsE_EEvS4_RKT_EUlibE_EEviT1_,"axG",@progbits,_ZN2at6native32elementwise_kernel_manual_unrollILi128ELi8EZNS0_22gpu_kernel_impl_nocastIZZZNS0_21clamp_min_kernel_cudaERNS_18TensorIteratorBaseERKN3c106ScalarEENKUlvE_clEvENKUlvE3_clEvEUlsE_EEvS4_RKT_EUlibE_EEviT1_,comdat
.Lfunc_end383:
	.size	_ZN2at6native32elementwise_kernel_manual_unrollILi128ELi8EZNS0_22gpu_kernel_impl_nocastIZZZNS0_21clamp_min_kernel_cudaERNS_18TensorIteratorBaseERKN3c106ScalarEENKUlvE_clEvENKUlvE3_clEvEUlsE_EEvS4_RKT_EUlibE_EEviT1_, .Lfunc_end383-_ZN2at6native32elementwise_kernel_manual_unrollILi128ELi8EZNS0_22gpu_kernel_impl_nocastIZZZNS0_21clamp_min_kernel_cudaERNS_18TensorIteratorBaseERKN3c106ScalarEENKUlvE_clEvENKUlvE3_clEvEUlsE_EEvS4_RKT_EUlibE_EEviT1_
                                        ; -- End function
	.set _ZN2at6native32elementwise_kernel_manual_unrollILi128ELi8EZNS0_22gpu_kernel_impl_nocastIZZZNS0_21clamp_min_kernel_cudaERNS_18TensorIteratorBaseERKN3c106ScalarEENKUlvE_clEvENKUlvE3_clEvEUlsE_EEvS4_RKT_EUlibE_EEviT1_.num_vgpr, 33
	.set _ZN2at6native32elementwise_kernel_manual_unrollILi128ELi8EZNS0_22gpu_kernel_impl_nocastIZZZNS0_21clamp_min_kernel_cudaERNS_18TensorIteratorBaseERKN3c106ScalarEENKUlvE_clEvENKUlvE3_clEvEUlsE_EEvS4_RKT_EUlibE_EEviT1_.num_agpr, 0
	.set _ZN2at6native32elementwise_kernel_manual_unrollILi128ELi8EZNS0_22gpu_kernel_impl_nocastIZZZNS0_21clamp_min_kernel_cudaERNS_18TensorIteratorBaseERKN3c106ScalarEENKUlvE_clEvENKUlvE3_clEvEUlsE_EEvS4_RKT_EUlibE_EEviT1_.numbered_sgpr, 61
	.set _ZN2at6native32elementwise_kernel_manual_unrollILi128ELi8EZNS0_22gpu_kernel_impl_nocastIZZZNS0_21clamp_min_kernel_cudaERNS_18TensorIteratorBaseERKN3c106ScalarEENKUlvE_clEvENKUlvE3_clEvEUlsE_EEvS4_RKT_EUlibE_EEviT1_.num_named_barrier, 0
	.set _ZN2at6native32elementwise_kernel_manual_unrollILi128ELi8EZNS0_22gpu_kernel_impl_nocastIZZZNS0_21clamp_min_kernel_cudaERNS_18TensorIteratorBaseERKN3c106ScalarEENKUlvE_clEvENKUlvE3_clEvEUlsE_EEvS4_RKT_EUlibE_EEviT1_.private_seg_size, 0
	.set _ZN2at6native32elementwise_kernel_manual_unrollILi128ELi8EZNS0_22gpu_kernel_impl_nocastIZZZNS0_21clamp_min_kernel_cudaERNS_18TensorIteratorBaseERKN3c106ScalarEENKUlvE_clEvENKUlvE3_clEvEUlsE_EEvS4_RKT_EUlibE_EEviT1_.uses_vcc, 1
	.set _ZN2at6native32elementwise_kernel_manual_unrollILi128ELi8EZNS0_22gpu_kernel_impl_nocastIZZZNS0_21clamp_min_kernel_cudaERNS_18TensorIteratorBaseERKN3c106ScalarEENKUlvE_clEvENKUlvE3_clEvEUlsE_EEvS4_RKT_EUlibE_EEviT1_.uses_flat_scratch, 0
	.set _ZN2at6native32elementwise_kernel_manual_unrollILi128ELi8EZNS0_22gpu_kernel_impl_nocastIZZZNS0_21clamp_min_kernel_cudaERNS_18TensorIteratorBaseERKN3c106ScalarEENKUlvE_clEvENKUlvE3_clEvEUlsE_EEvS4_RKT_EUlibE_EEviT1_.has_dyn_sized_stack, 0
	.set _ZN2at6native32elementwise_kernel_manual_unrollILi128ELi8EZNS0_22gpu_kernel_impl_nocastIZZZNS0_21clamp_min_kernel_cudaERNS_18TensorIteratorBaseERKN3c106ScalarEENKUlvE_clEvENKUlvE3_clEvEUlsE_EEvS4_RKT_EUlibE_EEviT1_.has_recursion, 0
	.set _ZN2at6native32elementwise_kernel_manual_unrollILi128ELi8EZNS0_22gpu_kernel_impl_nocastIZZZNS0_21clamp_min_kernel_cudaERNS_18TensorIteratorBaseERKN3c106ScalarEENKUlvE_clEvENKUlvE3_clEvEUlsE_EEvS4_RKT_EUlibE_EEviT1_.has_indirect_call, 0
	.section	.AMDGPU.csdata,"",@progbits
; Kernel info:
; codeLenInByte = 11472
; TotalNumSgprs: 67
; NumVgprs: 33
; NumAgprs: 0
; TotalNumVgprs: 33
; ScratchSize: 0
; MemoryBound: 0
; FloatMode: 240
; IeeeMode: 1
; LDSByteSize: 0 bytes/workgroup (compile time only)
; SGPRBlocks: 8
; VGPRBlocks: 4
; NumSGPRsForWavesPerEU: 67
; NumVGPRsForWavesPerEU: 33
; AccumOffset: 36
; Occupancy: 8
; WaveLimiterHint : 1
; COMPUTE_PGM_RSRC2:SCRATCH_EN: 0
; COMPUTE_PGM_RSRC2:USER_SGPR: 2
; COMPUTE_PGM_RSRC2:TRAP_HANDLER: 0
; COMPUTE_PGM_RSRC2:TGID_X_EN: 1
; COMPUTE_PGM_RSRC2:TGID_Y_EN: 0
; COMPUTE_PGM_RSRC2:TGID_Z_EN: 0
; COMPUTE_PGM_RSRC2:TIDIG_COMP_CNT: 0
; COMPUTE_PGM_RSRC3_GFX90A:ACCUM_OFFSET: 8
; COMPUTE_PGM_RSRC3_GFX90A:TG_SPLIT: 0
	.section	.text._ZN2at6native32elementwise_kernel_manual_unrollILi128ELi4EZNS0_15gpu_kernel_implIZZZNS0_21clamp_min_kernel_cudaERNS_18TensorIteratorBaseERKN3c106ScalarEENKUlvE_clEvENKUlvE3_clEvEUlsE_EEvS4_RKT_EUlibE_EEviT1_,"axG",@progbits,_ZN2at6native32elementwise_kernel_manual_unrollILi128ELi4EZNS0_15gpu_kernel_implIZZZNS0_21clamp_min_kernel_cudaERNS_18TensorIteratorBaseERKN3c106ScalarEENKUlvE_clEvENKUlvE3_clEvEUlsE_EEvS4_RKT_EUlibE_EEviT1_,comdat
	.globl	_ZN2at6native32elementwise_kernel_manual_unrollILi128ELi4EZNS0_15gpu_kernel_implIZZZNS0_21clamp_min_kernel_cudaERNS_18TensorIteratorBaseERKN3c106ScalarEENKUlvE_clEvENKUlvE3_clEvEUlsE_EEvS4_RKT_EUlibE_EEviT1_ ; -- Begin function _ZN2at6native32elementwise_kernel_manual_unrollILi128ELi4EZNS0_15gpu_kernel_implIZZZNS0_21clamp_min_kernel_cudaERNS_18TensorIteratorBaseERKN3c106ScalarEENKUlvE_clEvENKUlvE3_clEvEUlsE_EEvS4_RKT_EUlibE_EEviT1_
	.p2align	8
	.type	_ZN2at6native32elementwise_kernel_manual_unrollILi128ELi4EZNS0_15gpu_kernel_implIZZZNS0_21clamp_min_kernel_cudaERNS_18TensorIteratorBaseERKN3c106ScalarEENKUlvE_clEvENKUlvE3_clEvEUlsE_EEvS4_RKT_EUlibE_EEviT1_,@function
_ZN2at6native32elementwise_kernel_manual_unrollILi128ELi4EZNS0_15gpu_kernel_implIZZZNS0_21clamp_min_kernel_cudaERNS_18TensorIteratorBaseERKN3c106ScalarEENKUlvE_clEvENKUlvE3_clEvEUlsE_EEvS4_RKT_EUlibE_EEviT1_: ; @_ZN2at6native32elementwise_kernel_manual_unrollILi128ELi4EZNS0_15gpu_kernel_implIZZZNS0_21clamp_min_kernel_cudaERNS_18TensorIteratorBaseERKN3c106ScalarEENKUlvE_clEvENKUlvE3_clEvEUlsE_EEvS4_RKT_EUlibE_EEviT1_
; %bb.0:
	s_load_dword s33, s[0:1], 0x20
	s_load_dwordx2 s[8:9], s[0:1], 0x18
	s_load_dword s38, s[0:1], 0x0
	s_load_dwordx4 s[4:7], s[0:1], 0x8
	v_lshl_or_b32 v10, s2, 9, v0
	v_or_b32_e32 v0, 0x180, v10
	s_waitcnt lgkmcnt(0)
	s_lshr_b32 s42, s33, 16
	s_lshr_b32 s43, s33, 24
	v_cmp_le_i32_e32 vcc, s38, v0
	s_mov_b64 s[2:3], 0
	s_mov_b64 s[12:13], 0
	s_and_saveexec_b64 s[0:1], vcc
	s_xor_b64 s[10:11], exec, s[0:1]
	s_cbranch_execz .LBB384_1011
; %bb.1:
	v_cmp_gt_i32_e32 vcc, s38, v10
	s_mov_b64 s[18:19], -1
	s_mov_b64 s[20:21], 0
	s_mov_b64 s[14:15], 0
	s_and_saveexec_b64 s[16:17], vcc
	s_cbranch_execz .LBB384_248
; %bb.2:
	v_mul_lo_u32 v0, v10, s9
	v_ashrrev_i32_e32 v1, 31, v0
	s_and_b32 s18, 0xffff, s43
	s_cmp_lt_i32 s18, 11
	v_lshl_add_u64 v[0:1], s[6:7], 0, v[0:1]
	s_cbranch_scc1 .LBB384_9
; %bb.3:
	s_cmp_gt_i32 s18, 25
	s_cbranch_scc0 .LBB384_18
; %bb.4:
	s_cmp_gt_i32 s18, 28
	s_cbranch_scc0 .LBB384_22
	;; [unrolled: 3-line block ×4, first 2 shown]
; %bb.7:
	s_cmp_eq_u32 s18, 46
	s_cbranch_scc0 .LBB384_28
; %bb.8:
	global_load_dword v2, v[0:1], off
	s_mov_b64 s[0:1], -1
	s_waitcnt vmcnt(0)
	v_lshlrev_b32_e32 v2, 16, v2
	v_cvt_i32_f32_e32 v2, v2
	s_branch .LBB384_30
.LBB384_9:
                                        ; implicit-def: $vgpr2
	s_mov_b64 s[0:1], 0
	s_cbranch_execnz .LBB384_199
.LBB384_10:
	s_andn2_b64 vcc, exec, s[0:1]
	s_cbranch_vccnz .LBB384_246
.LBB384_11:
	v_mul_lo_u32 v0, v10, s8
	v_ashrrev_i32_e32 v1, 31, v0
	s_and_b32 s24, s42, 0xff
	s_waitcnt vmcnt(0)
	v_max_i16_e32 v4, s33, v2
	s_cmp_lt_i32 s24, 11
	v_lshl_add_u64 v[0:1], s[4:5], 0, v[0:1]
	s_cbranch_scc1 .LBB384_19
; %bb.12:
	s_and_b32 s25, 0xffff, s24
	s_cmp_gt_i32 s25, 25
	s_cbranch_scc0 .LBB384_23
; %bb.13:
	s_cmp_gt_i32 s25, 28
	s_cbranch_scc0 .LBB384_25
; %bb.14:
	;; [unrolled: 3-line block ×4, first 2 shown]
	s_mov_b64 s[18:19], 0
	s_mov_b64 s[0:1], -1
	s_cmp_eq_u32 s25, 46
	s_mov_b64 s[12:13], 0
	s_cbranch_scc0 .LBB384_34
; %bb.17:
	v_cvt_f32_i32_sdwa v2, sext(v4) dst_sel:DWORD dst_unused:UNUSED_PAD src0_sel:WORD_0
	s_movk_i32 s0, 0x7fff
	s_mov_b64 s[12:13], -1
	v_bfe_u32 v3, v2, 16, 1
	v_add3_u32 v2, v2, v3, s0
	v_lshrrev_b32_e32 v2, 16, v2
	global_store_dword v[0:1], v2, off
	s_mov_b64 s[0:1], 0
	s_branch .LBB384_34
.LBB384_18:
	s_mov_b64 s[0:1], 0
                                        ; implicit-def: $vgpr2
	s_cbranch_execnz .LBB384_166
	s_branch .LBB384_198
.LBB384_19:
	s_mov_b64 s[0:1], 0
	s_mov_b64 s[12:13], 0
	s_cbranch_execnz .LBB384_103
.LBB384_20:
	s_andn2_b64 vcc, exec, s[12:13]
	s_cbranch_vccnz .LBB384_141
.LBB384_21:
	v_add_u32_e32 v10, 0x80, v10
	s_mov_b64 s[18:19], -1
	s_branch .LBB384_247
.LBB384_22:
	s_mov_b64 s[12:13], -1
	s_mov_b64 s[0:1], 0
                                        ; implicit-def: $vgpr2
	s_branch .LBB384_149
.LBB384_23:
	s_mov_b64 s[18:19], -1
	s_mov_b64 s[0:1], 0
	s_mov_b64 s[12:13], 0
	s_branch .LBB384_61
.LBB384_24:
	s_mov_b64 s[12:13], -1
	s_mov_b64 s[0:1], 0
                                        ; implicit-def: $vgpr2
	s_branch .LBB384_144
.LBB384_25:
	s_mov_b64 s[18:19], -1
	s_mov_b64 s[0:1], 0
	s_mov_b64 s[12:13], 0
	s_branch .LBB384_44
.LBB384_26:
	s_mov_b64 s[12:13], -1
	s_branch .LBB384_29
.LBB384_27:
	s_mov_b64 s[18:19], -1
	s_mov_b64 s[0:1], 0
	s_mov_b64 s[12:13], 0
	s_branch .LBB384_40
.LBB384_28:
	s_mov_b64 s[14:15], -1
.LBB384_29:
	s_mov_b64 s[0:1], 0
                                        ; implicit-def: $vgpr2
.LBB384_30:
	s_and_b64 vcc, exec, s[12:13]
	s_cbranch_vccz .LBB384_143
; %bb.31:
	s_cmp_eq_u32 s18, 44
	s_cbranch_scc0 .LBB384_142
; %bb.32:
	global_load_ubyte v2, v[0:1], off
	s_mov_b64 s[0:1], -1
	s_mov_b64 s[14:15], 0
	s_waitcnt vmcnt(0)
	v_lshlrev_b32_e32 v3, 23, v2
	v_cvt_i32_f32_e32 v3, v3
	v_cmp_ne_u32_e32 vcc, 0, v2
	s_nop 1
	v_cndmask_b32_e32 v2, 0, v3, vcc
	s_branch .LBB384_143
.LBB384_33:
	s_mov_b64 s[18:19], -1
	s_mov_b64 s[0:1], 0
	s_mov_b64 s[12:13], 0
.LBB384_34:
	s_and_b64 vcc, exec, s[18:19]
	s_cbranch_vccz .LBB384_39
; %bb.35:
	s_cmp_eq_u32 s25, 44
	s_mov_b64 s[0:1], -1
	s_cbranch_scc0 .LBB384_39
; %bb.36:
	v_cvt_f32_i32_sdwa v2, sext(v4) dst_sel:DWORD dst_unused:UNUSED_PAD src0_sel:WORD_0
	s_movk_i32 s0, 0xff
	v_mov_b32_e32 v5, 0xff
	v_bfe_u32 v3, v2, 23, 8
	v_cmp_ne_u32_e32 vcc, s0, v3
	s_and_saveexec_b64 s[12:13], vcc
; %bb.37:
	s_mov_b32 s0, 0x3fffff
	v_lshrrev_b32_e32 v5, 23, v2
	v_and_b32_e32 v6, 0x400000, v2
	v_and_or_b32 v2, v2, s0, v3
	v_cmp_ne_u32_e32 vcc, 0, v6
	v_cmp_ne_u32_e64 s[0:1], 0, v2
	s_and_b64 s[0:1], vcc, s[0:1]
	s_nop 0
	v_cndmask_b32_e64 v2, 0, 1, s[0:1]
	v_add_u32_e32 v5, v5, v2
; %bb.38:
	s_or_b64 exec, exec, s[12:13]
	s_mov_b64 s[12:13], -1
	s_mov_b64 s[0:1], 0
	global_store_byte v[0:1], v5, off
.LBB384_39:
	s_mov_b64 s[18:19], 0
.LBB384_40:
	s_and_b64 vcc, exec, s[18:19]
	s_cbranch_vccz .LBB384_43
; %bb.41:
	s_cmp_eq_u32 s25, 29
	s_mov_b64 s[0:1], -1
	s_cbranch_scc0 .LBB384_43
; %bb.42:
	v_bfe_i32 v2, v4, 0, 16
	v_ashrrev_i32_e32 v3, 31, v2
	global_store_dwordx2 v[0:1], v[2:3], off
	s_mov_b64 s[12:13], -1
	s_mov_b64 s[0:1], 0
.LBB384_43:
	s_mov_b64 s[18:19], 0
.LBB384_44:
	s_and_b64 vcc, exec, s[18:19]
	s_cbranch_vccz .LBB384_60
; %bb.45:
	s_cmp_lt_i32 s25, 27
	s_mov_b64 s[12:13], -1
	s_cbranch_scc1 .LBB384_51
; %bb.46:
	s_cmp_gt_i32 s25, 27
	s_cbranch_scc0 .LBB384_48
; %bb.47:
	v_bfe_i32 v2, v4, 0, 16
	s_mov_b64 s[12:13], 0
	global_store_dword v[0:1], v2, off
.LBB384_48:
	s_andn2_b64 vcc, exec, s[12:13]
	s_cbranch_vccnz .LBB384_50
; %bb.49:
	global_store_short v[0:1], v4, off
.LBB384_50:
	s_mov_b64 s[12:13], 0
.LBB384_51:
	s_andn2_b64 vcc, exec, s[12:13]
	s_cbranch_vccnz .LBB384_59
; %bb.52:
	v_cvt_f32_i32_sdwa v2, sext(v4) dst_sel:DWORD dst_unused:UNUSED_PAD src0_sel:WORD_0
	s_mov_b32 s12, 0x43800000
	v_mov_b32_e32 v5, 0x80
	v_and_b32_e32 v3, 0x7fffffff, v2
	v_cmp_gt_u32_e32 vcc, s12, v3
	s_and_saveexec_b64 s[12:13], vcc
	s_cbranch_execz .LBB384_58
; %bb.53:
	s_mov_b32 s18, 0x3bffffff
	v_cmp_lt_u32_e32 vcc, s18, v3
	s_mov_b64 s[18:19], 0
                                        ; implicit-def: $vgpr3
	s_and_saveexec_b64 s[22:23], vcc
	s_xor_b64 s[22:23], exec, s[22:23]
	s_cbranch_execz .LBB384_275
; %bb.54:
	v_bfe_u32 v3, v2, 20, 1
	s_mov_b32 s26, 0x487ffff
	v_add3_u32 v3, v2, v3, s26
	s_mov_b64 s[18:19], exec
	v_lshrrev_b32_e32 v3, 20, v3
	s_andn2_saveexec_b64 s[22:23], s[22:23]
	s_cbranch_execnz .LBB384_276
.LBB384_55:
	s_or_b64 exec, exec, s[22:23]
	v_mov_b32_e32 v5, 0
	s_and_saveexec_b64 s[22:23], s[18:19]
.LBB384_56:
	v_lshrrev_b32_e32 v2, 24, v2
	s_movk_i32 s18, 0x80
	v_and_or_b32 v5, v2, s18, v3
.LBB384_57:
	s_or_b64 exec, exec, s[22:23]
.LBB384_58:
	s_or_b64 exec, exec, s[12:13]
	global_store_byte v[0:1], v5, off
.LBB384_59:
	s_mov_b64 s[12:13], -1
.LBB384_60:
	s_mov_b64 s[18:19], 0
.LBB384_61:
	s_and_b64 vcc, exec, s[18:19]
	s_cbranch_vccz .LBB384_102
; %bb.62:
	s_cmp_gt_i32 s25, 22
	s_mov_b64 s[18:19], -1
	s_cbranch_scc0 .LBB384_94
; %bb.63:
	s_cmp_lt_i32 s25, 24
	s_mov_b64 s[12:13], -1
	s_cbranch_scc1 .LBB384_83
; %bb.64:
	s_cmp_gt_i32 s25, 24
	s_cbranch_scc0 .LBB384_72
; %bb.65:
	v_cvt_f32_i32_sdwa v2, sext(v4) dst_sel:DWORD dst_unused:UNUSED_PAD src0_sel:WORD_0
	s_mov_b32 s12, 0x47800000
	v_mov_b32_e32 v5, 0x80
	v_and_b32_e32 v3, 0x7fffffff, v2
	v_cmp_gt_u32_e32 vcc, s12, v3
	s_and_saveexec_b64 s[12:13], vcc
	s_cbranch_execz .LBB384_71
; %bb.66:
	s_mov_b32 s18, 0x37ffffff
	v_cmp_lt_u32_e32 vcc, s18, v3
	s_mov_b64 s[18:19], 0
                                        ; implicit-def: $vgpr3
	s_and_saveexec_b64 s[22:23], vcc
	s_xor_b64 s[22:23], exec, s[22:23]
	s_cbranch_execz .LBB384_279
; %bb.67:
	v_bfe_u32 v3, v2, 21, 1
	s_mov_b32 s26, 0x88fffff
	v_add3_u32 v3, v2, v3, s26
	s_mov_b64 s[18:19], exec
	v_lshrrev_b32_e32 v3, 21, v3
	s_andn2_saveexec_b64 s[22:23], s[22:23]
	s_cbranch_execnz .LBB384_280
.LBB384_68:
	s_or_b64 exec, exec, s[22:23]
	v_mov_b32_e32 v5, 0
	s_and_saveexec_b64 s[22:23], s[18:19]
.LBB384_69:
	v_lshrrev_b32_e32 v2, 24, v2
	s_movk_i32 s18, 0x80
	v_and_or_b32 v5, v2, s18, v3
.LBB384_70:
	s_or_b64 exec, exec, s[22:23]
.LBB384_71:
	s_or_b64 exec, exec, s[12:13]
	s_mov_b64 s[12:13], 0
	global_store_byte v[0:1], v5, off
.LBB384_72:
	s_and_b64 vcc, exec, s[12:13]
	s_cbranch_vccz .LBB384_82
; %bb.73:
	v_cvt_f32_i32_sdwa v2, sext(v4) dst_sel:DWORD dst_unused:UNUSED_PAD src0_sel:WORD_0
	s_mov_b32 s12, 0x43f00000
                                        ; implicit-def: $vgpr3
	v_and_b32_e32 v5, 0x7fffffff, v2
	v_cmp_gt_u32_e32 vcc, s12, v5
	s_and_saveexec_b64 s[12:13], vcc
	s_xor_b64 s[12:13], exec, s[12:13]
	s_cbranch_execz .LBB384_79
; %bb.74:
	s_mov_b32 s18, 0x3c7fffff
	v_cmp_lt_u32_e32 vcc, s18, v5
                                        ; implicit-def: $vgpr3
	s_and_saveexec_b64 s[18:19], vcc
	s_xor_b64 s[18:19], exec, s[18:19]
; %bb.75:
	v_bfe_u32 v3, v2, 20, 1
	s_mov_b32 s22, 0x407ffff
	v_add3_u32 v3, v2, v3, s22
	v_lshrrev_b32_e32 v5, 20, v3
	v_and_b32_e32 v3, 0xff00000, v3
	s_mov_b32 s22, 0x7f00000
	v_mov_b32_e32 v6, 0x7e
	v_cmp_ne_u32_e32 vcc, s22, v3
	s_nop 1
	v_cndmask_b32_e32 v3, v6, v5, vcc
; %bb.76:
	s_andn2_saveexec_b64 s[18:19], s[18:19]
; %bb.77:
	s_mov_b32 s22, 0x46800000
	v_add_f32_e64 v3, |v2|, s22
; %bb.78:
	s_or_b64 exec, exec, s[18:19]
                                        ; implicit-def: $vgpr5
.LBB384_79:
	s_andn2_saveexec_b64 s[12:13], s[12:13]
; %bb.80:
	s_mov_b32 s18, 0x7f800000
	v_mov_b32_e32 v3, 0x7e
	v_mov_b32_e32 v6, 0x7f
	v_cmp_lt_u32_e32 vcc, s18, v5
	s_nop 1
	v_cndmask_b32_e32 v3, v3, v6, vcc
; %bb.81:
	s_or_b64 exec, exec, s[12:13]
	v_lshrrev_b32_e32 v2, 24, v2
	s_movk_i32 s12, 0x80
	v_and_or_b32 v2, v2, s12, v3
	global_store_byte v[0:1], v2, off
.LBB384_82:
	s_mov_b64 s[12:13], 0
.LBB384_83:
	s_andn2_b64 vcc, exec, s[12:13]
	s_cbranch_vccnz .LBB384_93
; %bb.84:
	v_cvt_f32_i32_sdwa v2, sext(v4) dst_sel:DWORD dst_unused:UNUSED_PAD src0_sel:WORD_0
	s_mov_b32 s12, 0x47800000
                                        ; implicit-def: $vgpr3
	v_and_b32_e32 v5, 0x7fffffff, v2
	v_cmp_gt_u32_e32 vcc, s12, v5
	s_and_saveexec_b64 s[12:13], vcc
	s_xor_b64 s[12:13], exec, s[12:13]
	s_cbranch_execz .LBB384_90
; %bb.85:
	s_mov_b32 s18, 0x387fffff
	v_cmp_lt_u32_e32 vcc, s18, v5
                                        ; implicit-def: $vgpr3
	s_and_saveexec_b64 s[18:19], vcc
	s_xor_b64 s[18:19], exec, s[18:19]
; %bb.86:
	v_bfe_u32 v3, v2, 21, 1
	s_mov_b32 s22, 0x80fffff
	v_add3_u32 v3, v2, v3, s22
	v_lshrrev_b32_e32 v3, 21, v3
; %bb.87:
	s_andn2_saveexec_b64 s[18:19], s[18:19]
; %bb.88:
	s_mov_b32 s22, 0x43000000
	v_add_f32_e64 v3, |v2|, s22
; %bb.89:
	s_or_b64 exec, exec, s[18:19]
                                        ; implicit-def: $vgpr5
.LBB384_90:
	s_andn2_saveexec_b64 s[12:13], s[12:13]
; %bb.91:
	s_mov_b32 s18, 0x7f800000
	v_mov_b32_e32 v3, 0x7c
	v_mov_b32_e32 v6, 0x7f
	v_cmp_lt_u32_e32 vcc, s18, v5
	s_nop 1
	v_cndmask_b32_e32 v3, v3, v6, vcc
; %bb.92:
	s_or_b64 exec, exec, s[12:13]
	v_lshrrev_b32_e32 v2, 24, v2
	s_movk_i32 s12, 0x80
	v_and_or_b32 v2, v2, s12, v3
	global_store_byte v[0:1], v2, off
.LBB384_93:
	s_mov_b64 s[18:19], 0
	s_mov_b64 s[12:13], -1
.LBB384_94:
	s_andn2_b64 vcc, exec, s[18:19]
	s_cbranch_vccnz .LBB384_102
; %bb.95:
	s_cmp_gt_i32 s25, 14
	s_mov_b64 s[18:19], -1
	s_cbranch_scc0 .LBB384_99
; %bb.96:
	s_cmp_eq_u32 s25, 15
	s_mov_b64 s[0:1], -1
	s_cbranch_scc0 .LBB384_98
; %bb.97:
	v_cvt_f32_i32_sdwa v2, sext(v4) dst_sel:DWORD dst_unused:UNUSED_PAD src0_sel:WORD_0
	s_movk_i32 s0, 0x7fff
	s_mov_b64 s[12:13], -1
	v_bfe_u32 v3, v2, 16, 1
	v_add3_u32 v2, v2, v3, s0
	global_store_short_d16_hi v[0:1], v2, off
	s_mov_b64 s[0:1], 0
.LBB384_98:
	s_mov_b64 s[18:19], 0
.LBB384_99:
	s_and_b64 vcc, exec, s[18:19]
	s_cbranch_vccz .LBB384_102
; %bb.100:
	s_cmp_eq_u32 s25, 11
	s_mov_b64 s[0:1], -1
	s_cbranch_scc0 .LBB384_102
; %bb.101:
	v_cmp_ne_u16_e32 vcc, 0, v4
	s_mov_b64 s[12:13], -1
	s_mov_b64 s[0:1], 0
	v_cndmask_b32_e64 v2, 0, 1, vcc
	global_store_byte v[0:1], v2, off
.LBB384_102:
	s_branch .LBB384_20
.LBB384_103:
	s_and_b32 s18, 0xffff, s24
	s_cmp_lt_i32 s18, 5
	s_mov_b64 s[12:13], -1
	s_cbranch_scc1 .LBB384_124
; %bb.104:
	s_cmp_lt_i32 s18, 8
	s_cbranch_scc1 .LBB384_114
; %bb.105:
	s_cmp_lt_i32 s18, 9
	s_cbranch_scc1 .LBB384_111
; %bb.106:
	s_cmp_gt_i32 s18, 9
	s_cbranch_scc0 .LBB384_108
; %bb.107:
	v_bfe_i32 v2, v4, 0, 16
	v_mov_b32_e32 v8, 0
	v_cvt_f64_i32_e32 v[6:7], v2
	v_mov_b32_e32 v9, v8
	global_store_dwordx4 v[0:1], v[6:9], off
	s_mov_b64 s[12:13], 0
.LBB384_108:
	s_andn2_b64 vcc, exec, s[12:13]
	s_cbranch_vccnz .LBB384_110
; %bb.109:
	v_cvt_f32_i32_sdwa v2, sext(v4) dst_sel:DWORD dst_unused:UNUSED_PAD src0_sel:WORD_0
	v_mov_b32_e32 v3, 0
	global_store_dwordx2 v[0:1], v[2:3], off
.LBB384_110:
	s_mov_b64 s[12:13], 0
.LBB384_111:
	s_andn2_b64 vcc, exec, s[12:13]
	s_cbranch_vccnz .LBB384_113
; %bb.112:
	v_cvt_f16_i16_e32 v2, v4
	global_store_dword v[0:1], v2, off
.LBB384_113:
	s_mov_b64 s[12:13], 0
.LBB384_114:
	s_andn2_b64 vcc, exec, s[12:13]
	s_cbranch_vccnz .LBB384_123
; %bb.115:
	s_cmp_lt_i32 s18, 6
	s_mov_b64 s[12:13], -1
	s_cbranch_scc1 .LBB384_121
; %bb.116:
	s_cmp_gt_i32 s18, 6
	s_cbranch_scc0 .LBB384_118
; %bb.117:
	v_bfe_i32 v2, v4, 0, 16
	v_cvt_f64_i32_e32 v[2:3], v2
	global_store_dwordx2 v[0:1], v[2:3], off
	s_mov_b64 s[12:13], 0
.LBB384_118:
	s_andn2_b64 vcc, exec, s[12:13]
	s_cbranch_vccnz .LBB384_120
; %bb.119:
	v_cvt_f32_i32_sdwa v2, sext(v4) dst_sel:DWORD dst_unused:UNUSED_PAD src0_sel:WORD_0
	global_store_dword v[0:1], v2, off
.LBB384_120:
	s_mov_b64 s[12:13], 0
.LBB384_121:
	s_andn2_b64 vcc, exec, s[12:13]
	s_cbranch_vccnz .LBB384_123
; %bb.122:
	v_cvt_f16_i16_e32 v2, v4
	global_store_short v[0:1], v2, off
.LBB384_123:
	s_mov_b64 s[12:13], 0
.LBB384_124:
	s_andn2_b64 vcc, exec, s[12:13]
	s_cbranch_vccnz .LBB384_140
; %bb.125:
	s_cmp_lt_i32 s18, 2
	s_mov_b64 s[12:13], -1
	s_cbranch_scc1 .LBB384_135
; %bb.126:
	s_cmp_lt_i32 s18, 3
	s_cbranch_scc1 .LBB384_132
; %bb.127:
	s_cmp_gt_i32 s18, 3
	v_bfe_i32 v2, v4, 0, 16
	s_cbranch_scc0 .LBB384_129
; %bb.128:
	v_ashrrev_i32_e32 v3, 31, v2
	global_store_dwordx2 v[0:1], v[2:3], off
	s_mov_b64 s[12:13], 0
.LBB384_129:
	s_andn2_b64 vcc, exec, s[12:13]
	s_cbranch_vccnz .LBB384_131
; %bb.130:
	global_store_dword v[0:1], v2, off
.LBB384_131:
	s_mov_b64 s[12:13], 0
.LBB384_132:
	s_andn2_b64 vcc, exec, s[12:13]
	s_cbranch_vccnz .LBB384_134
; %bb.133:
	global_store_short v[0:1], v4, off
.LBB384_134:
	s_mov_b64 s[12:13], 0
.LBB384_135:
	s_andn2_b64 vcc, exec, s[12:13]
	s_cbranch_vccnz .LBB384_140
; %bb.136:
	s_cmp_gt_i32 s18, 0
	s_mov_b64 s[12:13], -1
	s_cbranch_scc0 .LBB384_138
; %bb.137:
	global_store_byte v[0:1], v4, off
	s_mov_b64 s[12:13], 0
.LBB384_138:
	s_andn2_b64 vcc, exec, s[12:13]
	s_cbranch_vccnz .LBB384_140
; %bb.139:
	global_store_byte v[0:1], v4, off
.LBB384_140:
	s_branch .LBB384_21
.LBB384_141:
	s_mov_b64 s[18:19], 0
                                        ; implicit-def: $vgpr10
	s_branch .LBB384_247
.LBB384_142:
	s_mov_b64 s[14:15], -1
                                        ; implicit-def: $vgpr2
.LBB384_143:
	s_mov_b64 s[12:13], 0
.LBB384_144:
	s_and_b64 vcc, exec, s[12:13]
	s_cbranch_vccz .LBB384_148
; %bb.145:
	s_cmp_eq_u32 s18, 29
	s_cbranch_scc0 .LBB384_147
; %bb.146:
	global_load_dwordx2 v[2:3], v[0:1], off
	s_mov_b64 s[0:1], -1
	s_mov_b64 s[14:15], 0
	s_branch .LBB384_148
.LBB384_147:
	s_mov_b64 s[14:15], -1
                                        ; implicit-def: $vgpr2
.LBB384_148:
	s_mov_b64 s[12:13], 0
.LBB384_149:
	s_and_b64 vcc, exec, s[12:13]
	s_cbranch_vccz .LBB384_165
; %bb.150:
	s_cmp_lt_i32 s18, 27
	s_cbranch_scc1 .LBB384_153
; %bb.151:
	s_cmp_gt_i32 s18, 27
	s_cbranch_scc0 .LBB384_154
; %bb.152:
	global_load_dword v2, v[0:1], off
	s_mov_b64 s[0:1], 0
	s_branch .LBB384_155
.LBB384_153:
	s_mov_b64 s[0:1], -1
                                        ; implicit-def: $vgpr2
	s_branch .LBB384_158
.LBB384_154:
	s_mov_b64 s[0:1], -1
                                        ; implicit-def: $vgpr2
.LBB384_155:
	s_andn2_b64 vcc, exec, s[0:1]
	s_cbranch_vccnz .LBB384_157
; %bb.156:
	global_load_ushort v2, v[0:1], off
.LBB384_157:
	s_mov_b64 s[0:1], 0
.LBB384_158:
	s_andn2_b64 vcc, exec, s[0:1]
	s_cbranch_vccnz .LBB384_164
; %bb.159:
	global_load_ubyte v3, v[0:1], off
	s_movk_i32 s0, 0x7f
	s_mov_b64 s[12:13], 0
	s_waitcnt vmcnt(0)
	v_cmp_lt_i16_e32 vcc, s0, v3
	s_and_saveexec_b64 s[0:1], vcc
	s_xor_b64 s[0:1], exec, s[0:1]
	s_cbranch_execz .LBB384_175
; %bb.160:
	s_movk_i32 s12, 0x80
	v_cmp_ne_u16_e32 vcc, s12, v3
	s_and_b64 s[12:13], vcc, exec
	s_andn2_saveexec_b64 s[0:1], s[0:1]
	s_cbranch_execnz .LBB384_176
.LBB384_161:
	s_or_b64 exec, exec, s[0:1]
	v_mov_b32_e32 v2, 0
	s_and_saveexec_b64 s[0:1], s[12:13]
	s_cbranch_execz .LBB384_163
.LBB384_162:
	v_lshlrev_b32_e32 v2, 24, v3
	v_and_b32_e32 v3, 0xffff, v3
	v_and_b32_e32 v4, 7, v3
	v_ffbh_u32_e32 v6, v4
	v_min_u32_e32 v6, 32, v6
	v_subrev_u32_e32 v7, 28, v6
	v_bfe_u32 v5, v3, 3, 4
	v_lshlrev_b32_e32 v3, v7, v3
	v_sub_u32_e32 v6, 29, v6
	v_and_b32_e32 v3, 7, v3
	v_cmp_eq_u32_e32 vcc, 0, v5
	v_and_b32_e32 v2, 0x80000000, v2
	s_nop 0
	v_cndmask_b32_e32 v5, v5, v6, vcc
	v_cndmask_b32_e32 v3, v4, v3, vcc
	v_mov_b32_e32 v4, 0x3b800000
	v_lshlrev_b32_e32 v3, 20, v3
	v_lshl_add_u32 v4, v5, 23, v4
	v_or3_b32 v2, v2, v4, v3
	v_cvt_i32_f32_e32 v2, v2
.LBB384_163:
	s_or_b64 exec, exec, s[0:1]
.LBB384_164:
	s_mov_b64 s[0:1], -1
.LBB384_165:
	s_branch .LBB384_198
.LBB384_166:
	s_cmp_gt_i32 s18, 22
	s_cbranch_scc0 .LBB384_174
; %bb.167:
	s_cmp_lt_i32 s18, 24
	s_cbranch_scc1 .LBB384_177
; %bb.168:
	s_cmp_gt_i32 s18, 24
	s_cbranch_scc0 .LBB384_178
; %bb.169:
	global_load_ubyte v3, v[0:1], off
	s_movk_i32 s0, 0x7f
	s_mov_b64 s[12:13], 0
	s_waitcnt vmcnt(0)
	v_cmp_lt_i16_e32 vcc, s0, v3
	s_and_saveexec_b64 s[0:1], vcc
	s_xor_b64 s[0:1], exec, s[0:1]
	s_cbranch_execz .LBB384_190
; %bb.170:
	s_movk_i32 s12, 0x80
	v_cmp_ne_u16_e32 vcc, s12, v3
	s_and_b64 s[12:13], vcc, exec
	s_andn2_saveexec_b64 s[0:1], s[0:1]
	s_cbranch_execnz .LBB384_191
.LBB384_171:
	s_or_b64 exec, exec, s[0:1]
	v_mov_b32_e32 v2, 0
	s_and_saveexec_b64 s[0:1], s[12:13]
	s_cbranch_execz .LBB384_173
.LBB384_172:
	v_lshlrev_b32_e32 v2, 24, v3
	v_and_b32_e32 v3, 0xffff, v3
	v_and_b32_e32 v4, 3, v3
	v_ffbh_u32_e32 v6, v4
	v_min_u32_e32 v6, 32, v6
	v_subrev_u32_e32 v7, 29, v6
	v_bfe_u32 v5, v3, 2, 5
	v_lshlrev_b32_e32 v3, v7, v3
	v_sub_u32_e32 v6, 30, v6
	v_and_b32_e32 v3, 3, v3
	v_cmp_eq_u32_e32 vcc, 0, v5
	v_and_b32_e32 v2, 0x80000000, v2
	s_nop 0
	v_cndmask_b32_e32 v5, v5, v6, vcc
	v_cndmask_b32_e32 v3, v4, v3, vcc
	v_mov_b32_e32 v4, 0x37800000
	v_lshlrev_b32_e32 v3, 21, v3
	v_lshl_add_u32 v4, v5, 23, v4
	v_or3_b32 v2, v2, v4, v3
	v_cvt_i32_f32_e32 v2, v2
.LBB384_173:
	s_or_b64 exec, exec, s[0:1]
	s_mov_b64 s[0:1], 0
	s_branch .LBB384_179
.LBB384_174:
	s_mov_b64 s[12:13], -1
                                        ; implicit-def: $vgpr2
	s_branch .LBB384_185
.LBB384_175:
	s_andn2_saveexec_b64 s[0:1], s[0:1]
	s_cbranch_execz .LBB384_161
.LBB384_176:
	v_cmp_ne_u16_e32 vcc, 0, v3
	s_andn2_b64 s[12:13], s[12:13], exec
	s_and_b64 s[22:23], vcc, exec
	s_or_b64 s[12:13], s[12:13], s[22:23]
	s_or_b64 exec, exec, s[0:1]
	v_mov_b32_e32 v2, 0
	s_and_saveexec_b64 s[0:1], s[12:13]
	s_cbranch_execnz .LBB384_162
	s_branch .LBB384_163
.LBB384_177:
	s_mov_b64 s[0:1], -1
                                        ; implicit-def: $vgpr2
	s_branch .LBB384_182
.LBB384_178:
	s_mov_b64 s[0:1], -1
                                        ; implicit-def: $vgpr2
.LBB384_179:
	s_and_b64 vcc, exec, s[0:1]
	s_cbranch_vccz .LBB384_181
; %bb.180:
	global_load_ubyte v2, v[0:1], off
	s_mov_b32 s0, 0x7f800000
	s_waitcnt vmcnt(0)
	v_lshlrev_b32_e32 v2, 24, v2
	v_and_b32_e32 v3, 0x7f000000, v2
	v_ffbh_u32_e32 v4, v3
	v_min_u32_e32 v4, 32, v4
	v_sub_u32_e64 v4, v4, 4 clamp
	v_lshlrev_b32_e32 v6, v4, v3
	v_lshlrev_b32_e32 v4, 23, v4
	v_lshrrev_b32_e32 v6, 4, v6
	v_add_u32_e32 v5, 0x1000000, v3
	v_sub_u32_e32 v4, v6, v4
	v_ashrrev_i32_e32 v5, 8, v5
	v_add_u32_e32 v4, 0x3c000000, v4
	v_and_or_b32 v4, v5, s0, v4
	v_cmp_ne_u32_e32 vcc, 0, v3
	s_brev_b32 s0, 1
	s_nop 0
	v_cndmask_b32_e32 v3, 0, v4, vcc
	v_and_or_b32 v2, v2, s0, v3
	v_cvt_i32_f32_e32 v2, v2
.LBB384_181:
	s_mov_b64 s[0:1], 0
.LBB384_182:
	s_andn2_b64 vcc, exec, s[0:1]
	s_cbranch_vccnz .LBB384_184
; %bb.183:
	global_load_ubyte v2, v[0:1], off
	s_movk_i32 s0, 0x7f00
	s_brev_b32 s1, 16
	s_waitcnt vmcnt(0)
	v_lshlrev_b16_e32 v3, 8, v2
	v_lshlrev_b32_e32 v2, 25, v2
	v_lshrrev_b32_e32 v4, 4, v2
	v_and_or_b32 v5, v3, s0, 0.5
	v_or_b32_e32 v4, 0x70000000, v4
	v_add_f32_e32 v5, -0.5, v5
	v_mul_f32_e32 v4, 0x7800000, v4
	v_cmp_gt_u32_e32 vcc, s1, v2
	v_bfe_i32 v3, v3, 0, 16
	s_brev_b32 s0, 1
	v_cndmask_b32_e32 v2, v4, v5, vcc
	v_and_or_b32 v2, v3, s0, v2
	v_cvt_i32_f32_e32 v2, v2
.LBB384_184:
	s_mov_b64 s[12:13], 0
	s_mov_b64 s[0:1], -1
.LBB384_185:
	s_andn2_b64 vcc, exec, s[12:13]
	s_cbranch_vccnz .LBB384_198
; %bb.186:
	s_cmp_gt_i32 s18, 14
	s_cbranch_scc0 .LBB384_189
; %bb.187:
	s_cmp_eq_u32 s18, 15
	s_cbranch_scc0 .LBB384_192
; %bb.188:
	global_load_ushort v2, v[0:1], off
	s_mov_b64 s[0:1], -1
	s_mov_b64 s[14:15], 0
	s_waitcnt vmcnt(0)
	v_lshlrev_b32_e32 v2, 16, v2
	v_cvt_i32_f32_e32 v2, v2
	s_branch .LBB384_193
.LBB384_189:
	s_mov_b64 s[12:13], -1
                                        ; implicit-def: $vgpr2
	s_branch .LBB384_194
.LBB384_190:
	s_andn2_saveexec_b64 s[0:1], s[0:1]
	s_cbranch_execz .LBB384_171
.LBB384_191:
	v_cmp_ne_u16_e32 vcc, 0, v3
	s_andn2_b64 s[12:13], s[12:13], exec
	s_and_b64 s[22:23], vcc, exec
	s_or_b64 s[12:13], s[12:13], s[22:23]
	s_or_b64 exec, exec, s[0:1]
	v_mov_b32_e32 v2, 0
	s_and_saveexec_b64 s[0:1], s[12:13]
	s_cbranch_execnz .LBB384_172
	s_branch .LBB384_173
.LBB384_192:
	s_mov_b64 s[14:15], -1
                                        ; implicit-def: $vgpr2
.LBB384_193:
	s_mov_b64 s[12:13], 0
.LBB384_194:
	s_and_b64 vcc, exec, s[12:13]
	s_cbranch_vccz .LBB384_198
; %bb.195:
	s_cmp_eq_u32 s18, 11
	s_cbranch_scc0 .LBB384_197
; %bb.196:
	global_load_ubyte v2, v[0:1], off
	s_mov_b64 s[0:1], -1
	s_mov_b64 s[14:15], 0
	s_waitcnt vmcnt(0)
	v_cmp_ne_u16_e32 vcc, 0, v2
	s_nop 1
	v_cndmask_b32_e64 v2, 0, 1, vcc
	s_branch .LBB384_198
.LBB384_197:
	s_mov_b64 s[14:15], -1
                                        ; implicit-def: $vgpr2
.LBB384_198:
	s_branch .LBB384_10
.LBB384_199:
	s_cmp_lt_i32 s18, 5
	s_cbranch_scc1 .LBB384_204
; %bb.200:
	s_cmp_lt_i32 s18, 8
	s_cbranch_scc1 .LBB384_205
; %bb.201:
	;; [unrolled: 3-line block ×3, first 2 shown]
	s_cmp_gt_i32 s18, 9
	s_cbranch_scc0 .LBB384_207
; %bb.203:
	global_load_dwordx2 v[2:3], v[0:1], off
	s_mov_b64 s[0:1], 0
	s_waitcnt vmcnt(0)
	v_cvt_i32_f64_e32 v2, v[2:3]
	s_branch .LBB384_208
.LBB384_204:
                                        ; implicit-def: $vgpr2
	s_branch .LBB384_226
.LBB384_205:
	s_mov_b64 s[0:1], -1
                                        ; implicit-def: $vgpr2
	s_branch .LBB384_214
.LBB384_206:
	s_mov_b64 s[0:1], -1
                                        ; implicit-def: $vgpr2
	s_branch .LBB384_211
.LBB384_207:
	s_mov_b64 s[0:1], -1
                                        ; implicit-def: $vgpr2
.LBB384_208:
	s_andn2_b64 vcc, exec, s[0:1]
	s_cbranch_vccnz .LBB384_210
; %bb.209:
	global_load_dword v2, v[0:1], off
	s_waitcnt vmcnt(0)
	v_cvt_i32_f32_e32 v2, v2
.LBB384_210:
	s_mov_b64 s[0:1], 0
.LBB384_211:
	s_andn2_b64 vcc, exec, s[0:1]
	s_cbranch_vccnz .LBB384_213
; %bb.212:
	global_load_dword v2, v[0:1], off
	s_waitcnt vmcnt(0)
	v_cvt_i16_f16_e32 v2, v2
.LBB384_213:
	s_mov_b64 s[0:1], 0
.LBB384_214:
	s_andn2_b64 vcc, exec, s[0:1]
	s_cbranch_vccnz .LBB384_225
; %bb.215:
	s_cmp_lt_i32 s18, 6
	s_cbranch_scc1 .LBB384_218
; %bb.216:
	s_cmp_gt_i32 s18, 6
	s_cbranch_scc0 .LBB384_219
; %bb.217:
	global_load_dwordx2 v[2:3], v[0:1], off
	s_mov_b64 s[0:1], 0
	s_waitcnt vmcnt(0)
	v_cvt_i32_f64_e32 v2, v[2:3]
	s_branch .LBB384_220
.LBB384_218:
	s_mov_b64 s[0:1], -1
                                        ; implicit-def: $vgpr2
	s_branch .LBB384_223
.LBB384_219:
	s_mov_b64 s[0:1], -1
                                        ; implicit-def: $vgpr2
.LBB384_220:
	s_andn2_b64 vcc, exec, s[0:1]
	s_cbranch_vccnz .LBB384_222
; %bb.221:
	global_load_dword v2, v[0:1], off
	s_waitcnt vmcnt(0)
	v_cvt_i32_f32_e32 v2, v2
.LBB384_222:
	s_mov_b64 s[0:1], 0
.LBB384_223:
	s_andn2_b64 vcc, exec, s[0:1]
	s_cbranch_vccnz .LBB384_225
; %bb.224:
	global_load_ushort v2, v[0:1], off
	s_waitcnt vmcnt(0)
	v_cvt_i16_f16_e32 v2, v2
.LBB384_225:
	s_cbranch_execnz .LBB384_245
.LBB384_226:
	s_cmp_lt_i32 s18, 2
	s_cbranch_scc1 .LBB384_230
; %bb.227:
	s_cmp_lt_i32 s18, 3
	s_cbranch_scc1 .LBB384_231
; %bb.228:
	s_cmp_gt_i32 s18, 3
	s_cbranch_scc0 .LBB384_232
; %bb.229:
	global_load_dwordx2 v[2:3], v[0:1], off
	s_mov_b64 s[0:1], 0
	s_branch .LBB384_233
.LBB384_230:
	s_mov_b64 s[0:1], -1
                                        ; implicit-def: $vgpr2
	s_branch .LBB384_239
.LBB384_231:
	s_mov_b64 s[0:1], -1
                                        ; implicit-def: $vgpr2
	s_branch .LBB384_236
.LBB384_232:
	s_mov_b64 s[0:1], -1
                                        ; implicit-def: $vgpr2
.LBB384_233:
	s_andn2_b64 vcc, exec, s[0:1]
	s_cbranch_vccnz .LBB384_235
; %bb.234:
	global_load_dword v2, v[0:1], off
.LBB384_235:
	s_mov_b64 s[0:1], 0
.LBB384_236:
	s_andn2_b64 vcc, exec, s[0:1]
	s_cbranch_vccnz .LBB384_238
; %bb.237:
	global_load_ushort v2, v[0:1], off
.LBB384_238:
	s_mov_b64 s[0:1], 0
.LBB384_239:
	s_andn2_b64 vcc, exec, s[0:1]
	s_cbranch_vccnz .LBB384_245
; %bb.240:
	s_cmp_gt_i32 s18, 0
	s_cbranch_scc0 .LBB384_242
; %bb.241:
	global_load_sbyte v2, v[0:1], off
	s_mov_b64 s[0:1], 0
	s_branch .LBB384_243
.LBB384_242:
	s_mov_b64 s[0:1], -1
                                        ; implicit-def: $vgpr2
.LBB384_243:
	s_andn2_b64 vcc, exec, s[0:1]
	s_cbranch_vccnz .LBB384_245
; %bb.244:
	global_load_ubyte v2, v[0:1], off
.LBB384_245:
	s_branch .LBB384_11
.LBB384_246:
	s_mov_b64 s[0:1], 0
                                        ; implicit-def: $vgpr10
	s_mov_b64 s[18:19], 0
.LBB384_247:
	s_and_b64 s[12:13], s[0:1], exec
	s_and_b64 s[14:15], s[14:15], exec
	s_orn2_b64 s[18:19], s[18:19], exec
.LBB384_248:
	s_or_b64 exec, exec, s[16:17]
	s_mov_b64 s[22:23], 0
	s_mov_b64 s[0:1], 0
                                        ; implicit-def: $vgpr0_vgpr1
                                        ; implicit-def: $vgpr2
	s_and_saveexec_b64 s[16:17], s[18:19]
	s_cbranch_execz .LBB384_257
; %bb.249:
	v_cmp_gt_i32_e32 vcc, s38, v10
	s_mov_b64 s[0:1], -1
	s_mov_b64 s[18:19], s[14:15]
	s_mov_b64 s[20:21], s[12:13]
	s_and_saveexec_b64 s[22:23], vcc
	s_cbranch_execz .LBB384_505
; %bb.250:
	v_mul_lo_u32 v0, v10, s9
	v_ashrrev_i32_e32 v1, 31, v0
	s_and_b32 s24, 0xffff, s43
	s_cmp_lt_i32 s24, 11
	v_lshl_add_u64 v[0:1], s[6:7], 0, v[0:1]
	s_cbranch_scc1 .LBB384_260
; %bb.251:
	s_cmp_gt_i32 s24, 25
	s_cbranch_scc0 .LBB384_269
; %bb.252:
	s_cmp_gt_i32 s24, 28
	s_cbranch_scc0 .LBB384_271
	;; [unrolled: 3-line block ×4, first 2 shown]
; %bb.255:
	s_cmp_eq_u32 s24, 46
	s_mov_b64 s[20:21], 0
	s_cbranch_scc0 .LBB384_281
; %bb.256:
	global_load_dword v2, v[0:1], off
	s_mov_b64 s[18:19], 0
	s_waitcnt vmcnt(0)
	v_lshlrev_b32_e32 v2, 16, v2
	v_cvt_i32_f32_e32 v2, v2
	s_branch .LBB384_282
.LBB384_257:
	s_or_b64 exec, exec, s[16:17]
	s_mov_b64 s[16:17], 0
	s_and_saveexec_b64 s[18:19], s[14:15]
	s_cbranch_execnz .LBB384_843
.LBB384_258:
	s_or_b64 exec, exec, s[18:19]
	s_and_saveexec_b64 s[14:15], s[20:21]
	s_xor_b64 s[14:15], exec, s[14:15]
	s_cbranch_execz .LBB384_844
.LBB384_259:
	global_load_ubyte v2, v[0:1], off
	s_or_b64 s[0:1], s[0:1], exec
	s_waitcnt vmcnt(0)
	v_cmp_ne_u16_e32 vcc, 0, v2
	s_nop 1
	v_cndmask_b32_e64 v2, 0, 1, vcc
	s_or_b64 exec, exec, s[14:15]
	s_and_saveexec_b64 s[14:15], s[22:23]
	s_cbranch_execz .LBB384_890
	s_branch .LBB384_845
.LBB384_260:
	s_mov_b64 s[0:1], 0
                                        ; implicit-def: $vgpr2
	s_mov_b64 s[18:19], s[14:15]
	s_cbranch_execnz .LBB384_455
.LBB384_261:
	s_andn2_b64 vcc, exec, s[0:1]
	s_cbranch_vccnz .LBB384_503
.LBB384_262:
	v_mul_lo_u32 v0, v10, s8
	v_ashrrev_i32_e32 v1, 31, v0
	s_and_b32 s28, s42, 0xff
	s_waitcnt vmcnt(0)
	v_max_i16_e32 v4, s33, v2
	s_cmp_lt_i32 s28, 11
	v_lshl_add_u64 v[0:1], s[4:5], 0, v[0:1]
	s_cbranch_scc1 .LBB384_270
; %bb.263:
	s_and_b32 s29, 0xffff, s28
	s_cmp_gt_i32 s29, 25
	s_cbranch_scc0 .LBB384_272
; %bb.264:
	s_cmp_gt_i32 s29, 28
	s_cbranch_scc0 .LBB384_274
; %bb.265:
	;; [unrolled: 3-line block ×4, first 2 shown]
	s_mov_b64 s[24:25], 0
	s_mov_b64 s[0:1], -1
	s_cmp_eq_u32 s29, 46
	s_mov_b64 s[20:21], 0
	s_cbranch_scc0 .LBB384_286
; %bb.268:
	v_cvt_f32_i32_sdwa v2, sext(v4) dst_sel:DWORD dst_unused:UNUSED_PAD src0_sel:WORD_0
	s_movk_i32 s0, 0x7fff
	s_mov_b64 s[20:21], -1
	v_bfe_u32 v3, v2, 16, 1
	v_add3_u32 v2, v2, v3, s0
	v_lshrrev_b32_e32 v2, 16, v2
	global_store_dword v[0:1], v2, off
	s_mov_b64 s[0:1], 0
	s_branch .LBB384_286
.LBB384_269:
	s_mov_b64 s[20:21], -1
	s_mov_b64 s[0:1], 0
	s_mov_b64 s[18:19], s[14:15]
                                        ; implicit-def: $vgpr2
	s_branch .LBB384_421
.LBB384_270:
	s_mov_b64 s[24:25], -1
	s_mov_b64 s[20:21], 0
	s_mov_b64 s[0:1], s[12:13]
	s_branch .LBB384_355
.LBB384_271:
	s_mov_b64 s[20:21], -1
	s_mov_b64 s[0:1], 0
	s_mov_b64 s[18:19], s[14:15]
                                        ; implicit-def: $vgpr2
	s_branch .LBB384_404
.LBB384_272:
	s_mov_b64 s[24:25], -1
	s_mov_b64 s[20:21], 0
	s_mov_b64 s[0:1], s[12:13]
	s_branch .LBB384_313
.LBB384_273:
	s_mov_b64 s[20:21], -1
	s_mov_b64 s[0:1], 0
	s_mov_b64 s[18:19], s[14:15]
                                        ; implicit-def: $vgpr2
	s_branch .LBB384_399
.LBB384_274:
	s_mov_b64 s[24:25], -1
	s_mov_b64 s[20:21], 0
	s_mov_b64 s[0:1], s[12:13]
	s_branch .LBB384_296
.LBB384_275:
	s_andn2_saveexec_b64 s[22:23], s[22:23]
	s_cbranch_execz .LBB384_55
.LBB384_276:
	s_mov_b32 s26, 0x46000000
	v_add_f32_e64 v3, |v2|, s26
	v_and_b32_e32 v3, 0xff, v3
	v_cmp_ne_u32_e32 vcc, 0, v3
	s_andn2_b64 s[18:19], s[18:19], exec
	s_and_b64 s[26:27], vcc, exec
	s_or_b64 s[18:19], s[18:19], s[26:27]
	s_or_b64 exec, exec, s[22:23]
	v_mov_b32_e32 v5, 0
	s_and_saveexec_b64 s[22:23], s[18:19]
	s_cbranch_execnz .LBB384_56
	s_branch .LBB384_57
.LBB384_277:
	s_mov_b64 s[20:21], -1
	s_mov_b64 s[0:1], 0
	s_mov_b64 s[18:19], s[14:15]
                                        ; implicit-def: $vgpr2
	s_branch .LBB384_282
.LBB384_278:
	s_mov_b64 s[24:25], -1
	s_mov_b64 s[20:21], 0
	s_mov_b64 s[0:1], s[12:13]
	s_branch .LBB384_292
.LBB384_279:
	s_andn2_saveexec_b64 s[22:23], s[22:23]
	s_cbranch_execz .LBB384_68
.LBB384_280:
	s_mov_b32 s26, 0x42800000
	v_add_f32_e64 v3, |v2|, s26
	v_and_b32_e32 v3, 0xff, v3
	v_cmp_ne_u32_e32 vcc, 0, v3
	s_andn2_b64 s[18:19], s[18:19], exec
	s_and_b64 s[26:27], vcc, exec
	s_or_b64 s[18:19], s[18:19], s[26:27]
	s_or_b64 exec, exec, s[22:23]
	v_mov_b32_e32 v5, 0
	s_and_saveexec_b64 s[22:23], s[18:19]
	s_cbranch_execnz .LBB384_69
	s_branch .LBB384_70
.LBB384_281:
	s_mov_b64 s[18:19], -1
                                        ; implicit-def: $vgpr2
	s_mov_b64 s[0:1], 0
.LBB384_282:
	s_and_b64 vcc, exec, s[20:21]
	s_cbranch_vccz .LBB384_398
; %bb.283:
	s_cmp_eq_u32 s24, 44
	s_cbranch_scc0 .LBB384_397
; %bb.284:
	global_load_ubyte v2, v[0:1], off
	s_mov_b64 s[0:1], -1
	s_mov_b64 s[18:19], 0
	s_waitcnt vmcnt(0)
	v_lshlrev_b32_e32 v3, 23, v2
	v_cvt_i32_f32_e32 v3, v3
	v_cmp_ne_u32_e32 vcc, 0, v2
	s_nop 1
	v_cndmask_b32_e32 v2, 0, v3, vcc
	s_branch .LBB384_398
.LBB384_285:
	s_mov_b64 s[24:25], -1
	s_mov_b64 s[20:21], 0
	s_mov_b64 s[0:1], s[12:13]
.LBB384_286:
	s_and_b64 vcc, exec, s[24:25]
	s_cbranch_vccz .LBB384_291
; %bb.287:
	s_cmp_eq_u32 s29, 44
	s_mov_b64 s[0:1], -1
	s_cbranch_scc0 .LBB384_291
; %bb.288:
	v_cvt_f32_i32_sdwa v2, sext(v4) dst_sel:DWORD dst_unused:UNUSED_PAD src0_sel:WORD_0
	s_movk_i32 s0, 0xff
	v_mov_b32_e32 v5, 0xff
	v_bfe_u32 v3, v2, 23, 8
	v_cmp_ne_u32_e32 vcc, s0, v3
	s_and_saveexec_b64 s[20:21], vcc
; %bb.289:
	s_mov_b32 s0, 0x3fffff
	v_lshrrev_b32_e32 v5, 23, v2
	v_and_b32_e32 v6, 0x400000, v2
	v_and_or_b32 v2, v2, s0, v3
	v_cmp_ne_u32_e32 vcc, 0, v6
	v_cmp_ne_u32_e64 s[0:1], 0, v2
	s_and_b64 s[0:1], vcc, s[0:1]
	s_nop 0
	v_cndmask_b32_e64 v2, 0, 1, s[0:1]
	v_add_u32_e32 v5, v5, v2
; %bb.290:
	s_or_b64 exec, exec, s[20:21]
	s_mov_b64 s[20:21], -1
	s_mov_b64 s[0:1], 0
	global_store_byte v[0:1], v5, off
.LBB384_291:
	s_mov_b64 s[24:25], 0
.LBB384_292:
	s_and_b64 vcc, exec, s[24:25]
	s_cbranch_vccz .LBB384_295
; %bb.293:
	s_cmp_eq_u32 s29, 29
	s_mov_b64 s[0:1], -1
	s_cbranch_scc0 .LBB384_295
; %bb.294:
	v_bfe_i32 v2, v4, 0, 16
	v_ashrrev_i32_e32 v3, 31, v2
	global_store_dwordx2 v[0:1], v[2:3], off
	s_mov_b64 s[20:21], -1
	s_mov_b64 s[0:1], 0
.LBB384_295:
	s_mov_b64 s[24:25], 0
.LBB384_296:
	s_and_b64 vcc, exec, s[24:25]
	s_cbranch_vccz .LBB384_312
; %bb.297:
	s_cmp_lt_i32 s29, 27
	s_mov_b64 s[20:21], -1
	s_cbranch_scc1 .LBB384_303
; %bb.298:
	s_cmp_gt_i32 s29, 27
	s_cbranch_scc0 .LBB384_300
; %bb.299:
	v_bfe_i32 v2, v4, 0, 16
	s_mov_b64 s[20:21], 0
	global_store_dword v[0:1], v2, off
.LBB384_300:
	s_andn2_b64 vcc, exec, s[20:21]
	s_cbranch_vccnz .LBB384_302
; %bb.301:
	global_store_short v[0:1], v4, off
.LBB384_302:
	s_mov_b64 s[20:21], 0
.LBB384_303:
	s_andn2_b64 vcc, exec, s[20:21]
	s_cbranch_vccnz .LBB384_311
; %bb.304:
	v_cvt_f32_i32_sdwa v2, sext(v4) dst_sel:DWORD dst_unused:UNUSED_PAD src0_sel:WORD_0
	s_mov_b32 s20, 0x43800000
	v_mov_b32_e32 v5, 0x80
	v_and_b32_e32 v3, 0x7fffffff, v2
	v_cmp_gt_u32_e32 vcc, s20, v3
	s_and_saveexec_b64 s[20:21], vcc
	s_cbranch_execz .LBB384_310
; %bb.305:
	s_mov_b32 s24, 0x3bffffff
	v_cmp_lt_u32_e32 vcc, s24, v3
	s_mov_b64 s[24:25], 0
                                        ; implicit-def: $vgpr3
	s_and_saveexec_b64 s[26:27], vcc
	s_xor_b64 s[26:27], exec, s[26:27]
	s_cbranch_execz .LBB384_518
; %bb.306:
	v_bfe_u32 v3, v2, 20, 1
	s_mov_b32 s30, 0x487ffff
	v_add3_u32 v3, v2, v3, s30
	s_mov_b64 s[24:25], exec
	v_lshrrev_b32_e32 v3, 20, v3
	s_andn2_saveexec_b64 s[26:27], s[26:27]
	s_cbranch_execnz .LBB384_519
.LBB384_307:
	s_or_b64 exec, exec, s[26:27]
	v_mov_b32_e32 v5, 0
	s_and_saveexec_b64 s[26:27], s[24:25]
.LBB384_308:
	v_lshrrev_b32_e32 v2, 24, v2
	s_movk_i32 s24, 0x80
	v_and_or_b32 v5, v2, s24, v3
.LBB384_309:
	s_or_b64 exec, exec, s[26:27]
.LBB384_310:
	s_or_b64 exec, exec, s[20:21]
	global_store_byte v[0:1], v5, off
.LBB384_311:
	s_mov_b64 s[20:21], -1
.LBB384_312:
	s_mov_b64 s[24:25], 0
.LBB384_313:
	s_and_b64 vcc, exec, s[24:25]
	s_cbranch_vccz .LBB384_354
; %bb.314:
	s_cmp_gt_i32 s29, 22
	s_mov_b64 s[24:25], -1
	s_cbranch_scc0 .LBB384_346
; %bb.315:
	s_cmp_lt_i32 s29, 24
	s_mov_b64 s[20:21], -1
	s_cbranch_scc1 .LBB384_335
; %bb.316:
	s_cmp_gt_i32 s29, 24
	s_cbranch_scc0 .LBB384_324
; %bb.317:
	v_cvt_f32_i32_sdwa v2, sext(v4) dst_sel:DWORD dst_unused:UNUSED_PAD src0_sel:WORD_0
	s_mov_b32 s20, 0x47800000
	v_mov_b32_e32 v5, 0x80
	v_and_b32_e32 v3, 0x7fffffff, v2
	v_cmp_gt_u32_e32 vcc, s20, v3
	s_and_saveexec_b64 s[20:21], vcc
	s_cbranch_execz .LBB384_323
; %bb.318:
	s_mov_b32 s24, 0x37ffffff
	v_cmp_lt_u32_e32 vcc, s24, v3
	s_mov_b64 s[24:25], 0
                                        ; implicit-def: $vgpr3
	s_and_saveexec_b64 s[26:27], vcc
	s_xor_b64 s[26:27], exec, s[26:27]
	s_cbranch_execz .LBB384_521
; %bb.319:
	v_bfe_u32 v3, v2, 21, 1
	s_mov_b32 s30, 0x88fffff
	v_add3_u32 v3, v2, v3, s30
	s_mov_b64 s[24:25], exec
	v_lshrrev_b32_e32 v3, 21, v3
	s_andn2_saveexec_b64 s[26:27], s[26:27]
	s_cbranch_execnz .LBB384_522
.LBB384_320:
	s_or_b64 exec, exec, s[26:27]
	v_mov_b32_e32 v5, 0
	s_and_saveexec_b64 s[26:27], s[24:25]
.LBB384_321:
	v_lshrrev_b32_e32 v2, 24, v2
	s_movk_i32 s24, 0x80
	v_and_or_b32 v5, v2, s24, v3
.LBB384_322:
	s_or_b64 exec, exec, s[26:27]
.LBB384_323:
	s_or_b64 exec, exec, s[20:21]
	s_mov_b64 s[20:21], 0
	global_store_byte v[0:1], v5, off
.LBB384_324:
	s_and_b64 vcc, exec, s[20:21]
	s_cbranch_vccz .LBB384_334
; %bb.325:
	v_cvt_f32_i32_sdwa v2, sext(v4) dst_sel:DWORD dst_unused:UNUSED_PAD src0_sel:WORD_0
	s_mov_b32 s20, 0x43f00000
                                        ; implicit-def: $vgpr3
	v_and_b32_e32 v5, 0x7fffffff, v2
	v_cmp_gt_u32_e32 vcc, s20, v5
	s_and_saveexec_b64 s[20:21], vcc
	s_xor_b64 s[20:21], exec, s[20:21]
	s_cbranch_execz .LBB384_331
; %bb.326:
	s_mov_b32 s24, 0x3c7fffff
	v_cmp_lt_u32_e32 vcc, s24, v5
                                        ; implicit-def: $vgpr3
	s_and_saveexec_b64 s[24:25], vcc
	s_xor_b64 s[24:25], exec, s[24:25]
; %bb.327:
	v_bfe_u32 v3, v2, 20, 1
	s_mov_b32 s26, 0x407ffff
	v_add3_u32 v3, v2, v3, s26
	v_lshrrev_b32_e32 v5, 20, v3
	v_and_b32_e32 v3, 0xff00000, v3
	s_mov_b32 s26, 0x7f00000
	v_mov_b32_e32 v6, 0x7e
	v_cmp_ne_u32_e32 vcc, s26, v3
	s_nop 1
	v_cndmask_b32_e32 v3, v6, v5, vcc
; %bb.328:
	s_andn2_saveexec_b64 s[24:25], s[24:25]
; %bb.329:
	s_mov_b32 s26, 0x46800000
	v_add_f32_e64 v3, |v2|, s26
; %bb.330:
	s_or_b64 exec, exec, s[24:25]
                                        ; implicit-def: $vgpr5
.LBB384_331:
	s_andn2_saveexec_b64 s[20:21], s[20:21]
; %bb.332:
	s_mov_b32 s24, 0x7f800000
	v_mov_b32_e32 v3, 0x7e
	v_mov_b32_e32 v6, 0x7f
	v_cmp_lt_u32_e32 vcc, s24, v5
	s_nop 1
	v_cndmask_b32_e32 v3, v3, v6, vcc
; %bb.333:
	s_or_b64 exec, exec, s[20:21]
	v_lshrrev_b32_e32 v2, 24, v2
	s_movk_i32 s20, 0x80
	v_and_or_b32 v2, v2, s20, v3
	global_store_byte v[0:1], v2, off
.LBB384_334:
	s_mov_b64 s[20:21], 0
.LBB384_335:
	s_andn2_b64 vcc, exec, s[20:21]
	s_cbranch_vccnz .LBB384_345
; %bb.336:
	v_cvt_f32_i32_sdwa v2, sext(v4) dst_sel:DWORD dst_unused:UNUSED_PAD src0_sel:WORD_0
	s_mov_b32 s20, 0x47800000
                                        ; implicit-def: $vgpr3
	v_and_b32_e32 v5, 0x7fffffff, v2
	v_cmp_gt_u32_e32 vcc, s20, v5
	s_and_saveexec_b64 s[20:21], vcc
	s_xor_b64 s[20:21], exec, s[20:21]
	s_cbranch_execz .LBB384_342
; %bb.337:
	s_mov_b32 s24, 0x387fffff
	v_cmp_lt_u32_e32 vcc, s24, v5
                                        ; implicit-def: $vgpr3
	s_and_saveexec_b64 s[24:25], vcc
	s_xor_b64 s[24:25], exec, s[24:25]
; %bb.338:
	v_bfe_u32 v3, v2, 21, 1
	s_mov_b32 s26, 0x80fffff
	v_add3_u32 v3, v2, v3, s26
	v_lshrrev_b32_e32 v3, 21, v3
; %bb.339:
	s_andn2_saveexec_b64 s[24:25], s[24:25]
; %bb.340:
	s_mov_b32 s26, 0x43000000
	v_add_f32_e64 v3, |v2|, s26
; %bb.341:
	s_or_b64 exec, exec, s[24:25]
                                        ; implicit-def: $vgpr5
.LBB384_342:
	s_andn2_saveexec_b64 s[20:21], s[20:21]
; %bb.343:
	s_mov_b32 s24, 0x7f800000
	v_mov_b32_e32 v3, 0x7c
	v_mov_b32_e32 v6, 0x7f
	v_cmp_lt_u32_e32 vcc, s24, v5
	s_nop 1
	v_cndmask_b32_e32 v3, v3, v6, vcc
; %bb.344:
	s_or_b64 exec, exec, s[20:21]
	v_lshrrev_b32_e32 v2, 24, v2
	s_movk_i32 s20, 0x80
	v_and_or_b32 v2, v2, s20, v3
	global_store_byte v[0:1], v2, off
.LBB384_345:
	s_mov_b64 s[24:25], 0
	s_mov_b64 s[20:21], -1
.LBB384_346:
	s_andn2_b64 vcc, exec, s[24:25]
	s_cbranch_vccnz .LBB384_354
; %bb.347:
	s_cmp_gt_i32 s29, 14
	s_mov_b64 s[24:25], -1
	s_cbranch_scc0 .LBB384_351
; %bb.348:
	s_cmp_eq_u32 s29, 15
	s_mov_b64 s[0:1], -1
	s_cbranch_scc0 .LBB384_350
; %bb.349:
	v_cvt_f32_i32_sdwa v2, sext(v4) dst_sel:DWORD dst_unused:UNUSED_PAD src0_sel:WORD_0
	s_movk_i32 s0, 0x7fff
	s_mov_b64 s[20:21], -1
	v_bfe_u32 v3, v2, 16, 1
	v_add3_u32 v2, v2, v3, s0
	global_store_short_d16_hi v[0:1], v2, off
	s_mov_b64 s[0:1], 0
.LBB384_350:
	s_mov_b64 s[24:25], 0
.LBB384_351:
	s_and_b64 vcc, exec, s[24:25]
	s_cbranch_vccz .LBB384_354
; %bb.352:
	s_cmp_eq_u32 s29, 11
	s_mov_b64 s[0:1], -1
	s_cbranch_scc0 .LBB384_354
; %bb.353:
	v_cmp_ne_u16_e32 vcc, 0, v4
	s_mov_b64 s[20:21], -1
	s_mov_b64 s[0:1], 0
	v_cndmask_b32_e64 v2, 0, 1, vcc
	global_store_byte v[0:1], v2, off
.LBB384_354:
	s_mov_b64 s[24:25], 0
.LBB384_355:
	s_and_b64 vcc, exec, s[24:25]
	s_cbranch_vccz .LBB384_394
; %bb.356:
	s_and_b32 s24, 0xffff, s28
	s_cmp_lt_i32 s24, 5
	s_mov_b64 s[20:21], -1
	s_cbranch_scc1 .LBB384_377
; %bb.357:
	s_cmp_lt_i32 s24, 8
	s_cbranch_scc1 .LBB384_367
; %bb.358:
	s_cmp_lt_i32 s24, 9
	s_cbranch_scc1 .LBB384_364
; %bb.359:
	s_cmp_gt_i32 s24, 9
	s_cbranch_scc0 .LBB384_361
; %bb.360:
	v_bfe_i32 v2, v4, 0, 16
	v_mov_b32_e32 v8, 0
	v_cvt_f64_i32_e32 v[6:7], v2
	v_mov_b32_e32 v9, v8
	s_mov_b64 s[20:21], 0
	global_store_dwordx4 v[0:1], v[6:9], off
.LBB384_361:
	s_andn2_b64 vcc, exec, s[20:21]
	s_cbranch_vccnz .LBB384_363
; %bb.362:
	v_cvt_f32_i32_sdwa v2, sext(v4) dst_sel:DWORD dst_unused:UNUSED_PAD src0_sel:WORD_0
	v_mov_b32_e32 v3, 0
	global_store_dwordx2 v[0:1], v[2:3], off
.LBB384_363:
	s_mov_b64 s[20:21], 0
.LBB384_364:
	s_andn2_b64 vcc, exec, s[20:21]
	s_cbranch_vccnz .LBB384_366
; %bb.365:
	v_cvt_f16_i16_e32 v2, v4
	global_store_dword v[0:1], v2, off
.LBB384_366:
	s_mov_b64 s[20:21], 0
.LBB384_367:
	s_andn2_b64 vcc, exec, s[20:21]
	s_cbranch_vccnz .LBB384_376
; %bb.368:
	s_cmp_lt_i32 s24, 6
	s_mov_b64 s[20:21], -1
	s_cbranch_scc1 .LBB384_374
; %bb.369:
	s_cmp_gt_i32 s24, 6
	s_cbranch_scc0 .LBB384_371
; %bb.370:
	v_bfe_i32 v2, v4, 0, 16
	v_cvt_f64_i32_e32 v[2:3], v2
	s_mov_b64 s[20:21], 0
	global_store_dwordx2 v[0:1], v[2:3], off
.LBB384_371:
	s_andn2_b64 vcc, exec, s[20:21]
	s_cbranch_vccnz .LBB384_373
; %bb.372:
	v_cvt_f32_i32_sdwa v2, sext(v4) dst_sel:DWORD dst_unused:UNUSED_PAD src0_sel:WORD_0
	global_store_dword v[0:1], v2, off
.LBB384_373:
	s_mov_b64 s[20:21], 0
.LBB384_374:
	s_andn2_b64 vcc, exec, s[20:21]
	s_cbranch_vccnz .LBB384_376
; %bb.375:
	v_cvt_f16_i16_e32 v2, v4
	global_store_short v[0:1], v2, off
.LBB384_376:
	s_mov_b64 s[20:21], 0
.LBB384_377:
	s_andn2_b64 vcc, exec, s[20:21]
	s_cbranch_vccnz .LBB384_393
; %bb.378:
	s_cmp_lt_i32 s24, 2
	s_mov_b64 s[20:21], -1
	s_cbranch_scc1 .LBB384_388
; %bb.379:
	s_cmp_lt_i32 s24, 3
	s_cbranch_scc1 .LBB384_385
; %bb.380:
	s_cmp_gt_i32 s24, 3
	v_bfe_i32 v2, v4, 0, 16
	s_cbranch_scc0 .LBB384_382
; %bb.381:
	v_ashrrev_i32_e32 v3, 31, v2
	s_mov_b64 s[20:21], 0
	global_store_dwordx2 v[0:1], v[2:3], off
.LBB384_382:
	s_andn2_b64 vcc, exec, s[20:21]
	s_cbranch_vccnz .LBB384_384
; %bb.383:
	global_store_dword v[0:1], v2, off
.LBB384_384:
	s_mov_b64 s[20:21], 0
.LBB384_385:
	s_andn2_b64 vcc, exec, s[20:21]
	s_cbranch_vccnz .LBB384_387
; %bb.386:
	global_store_short v[0:1], v4, off
.LBB384_387:
	s_mov_b64 s[20:21], 0
.LBB384_388:
	s_andn2_b64 vcc, exec, s[20:21]
	s_cbranch_vccnz .LBB384_393
; %bb.389:
	s_cmp_gt_i32 s24, 0
	s_mov_b64 s[20:21], -1
	s_cbranch_scc0 .LBB384_391
; %bb.390:
	s_mov_b64 s[20:21], 0
	global_store_byte v[0:1], v4, off
.LBB384_391:
	s_andn2_b64 vcc, exec, s[20:21]
	s_cbranch_vccnz .LBB384_393
; %bb.392:
	global_store_byte v[0:1], v4, off
.LBB384_393:
	s_mov_b64 s[20:21], -1
.LBB384_394:
	s_andn2_b64 vcc, exec, s[20:21]
	s_cbranch_vccnz .LBB384_396
; %bb.395:
	v_add_u32_e32 v10, 0x80, v10
	s_mov_b64 s[24:25], -1
	s_branch .LBB384_504
.LBB384_396:
	s_mov_b64 s[24:25], 0
                                        ; implicit-def: $vgpr10
	s_branch .LBB384_504
.LBB384_397:
	s_mov_b64 s[18:19], -1
                                        ; implicit-def: $vgpr2
.LBB384_398:
	s_mov_b64 s[20:21], 0
.LBB384_399:
	s_and_b64 vcc, exec, s[20:21]
	s_cbranch_vccz .LBB384_403
; %bb.400:
	s_cmp_eq_u32 s24, 29
	s_cbranch_scc0 .LBB384_402
; %bb.401:
	global_load_dwordx2 v[2:3], v[0:1], off
	s_mov_b64 s[0:1], -1
	s_mov_b64 s[18:19], 0
	s_branch .LBB384_403
.LBB384_402:
	s_mov_b64 s[18:19], -1
                                        ; implicit-def: $vgpr2
.LBB384_403:
	s_mov_b64 s[20:21], 0
.LBB384_404:
	s_and_b64 vcc, exec, s[20:21]
	s_cbranch_vccz .LBB384_420
; %bb.405:
	s_cmp_lt_i32 s24, 27
	s_cbranch_scc1 .LBB384_408
; %bb.406:
	s_cmp_gt_i32 s24, 27
	s_cbranch_scc0 .LBB384_409
; %bb.407:
	global_load_dword v2, v[0:1], off
	s_mov_b64 s[0:1], 0
	s_branch .LBB384_410
.LBB384_408:
	s_mov_b64 s[0:1], -1
                                        ; implicit-def: $vgpr2
	s_branch .LBB384_413
.LBB384_409:
	s_mov_b64 s[0:1], -1
                                        ; implicit-def: $vgpr2
.LBB384_410:
	s_andn2_b64 vcc, exec, s[0:1]
	s_cbranch_vccnz .LBB384_412
; %bb.411:
	global_load_ushort v2, v[0:1], off
.LBB384_412:
	s_mov_b64 s[0:1], 0
.LBB384_413:
	s_andn2_b64 vcc, exec, s[0:1]
	s_cbranch_vccnz .LBB384_419
; %bb.414:
	global_load_ubyte v3, v[0:1], off
	s_movk_i32 s0, 0x7f
	s_mov_b64 s[20:21], 0
	s_waitcnt vmcnt(0)
	v_cmp_lt_i16_e32 vcc, s0, v3
	s_and_saveexec_b64 s[0:1], vcc
	s_xor_b64 s[0:1], exec, s[0:1]
	s_cbranch_execz .LBB384_431
; %bb.415:
	s_movk_i32 s20, 0x80
	v_cmp_ne_u16_e32 vcc, s20, v3
	s_and_b64 s[20:21], vcc, exec
	s_andn2_saveexec_b64 s[0:1], s[0:1]
	s_cbranch_execnz .LBB384_432
.LBB384_416:
	s_or_b64 exec, exec, s[0:1]
	v_mov_b32_e32 v2, 0
	s_and_saveexec_b64 s[0:1], s[20:21]
	s_cbranch_execz .LBB384_418
.LBB384_417:
	v_lshlrev_b32_e32 v2, 24, v3
	v_and_b32_e32 v3, 0xffff, v3
	v_and_b32_e32 v4, 7, v3
	v_ffbh_u32_e32 v6, v4
	v_min_u32_e32 v6, 32, v6
	v_subrev_u32_e32 v7, 28, v6
	v_bfe_u32 v5, v3, 3, 4
	v_lshlrev_b32_e32 v3, v7, v3
	v_sub_u32_e32 v6, 29, v6
	v_and_b32_e32 v3, 7, v3
	v_cmp_eq_u32_e32 vcc, 0, v5
	v_and_b32_e32 v2, 0x80000000, v2
	s_nop 0
	v_cndmask_b32_e32 v5, v5, v6, vcc
	v_cndmask_b32_e32 v3, v4, v3, vcc
	v_mov_b32_e32 v4, 0x3b800000
	v_lshlrev_b32_e32 v3, 20, v3
	v_lshl_add_u32 v4, v5, 23, v4
	v_or3_b32 v2, v2, v4, v3
	v_cvt_i32_f32_e32 v2, v2
.LBB384_418:
	s_or_b64 exec, exec, s[0:1]
.LBB384_419:
	s_mov_b64 s[0:1], -1
.LBB384_420:
	s_mov_b64 s[20:21], 0
.LBB384_421:
	s_and_b64 vcc, exec, s[20:21]
	s_cbranch_vccz .LBB384_454
; %bb.422:
	s_cmp_gt_i32 s24, 22
	s_cbranch_scc0 .LBB384_430
; %bb.423:
	s_cmp_lt_i32 s24, 24
	s_cbranch_scc1 .LBB384_433
; %bb.424:
	s_cmp_gt_i32 s24, 24
	s_cbranch_scc0 .LBB384_434
; %bb.425:
	global_load_ubyte v3, v[0:1], off
	s_movk_i32 s0, 0x7f
	s_mov_b64 s[20:21], 0
	s_waitcnt vmcnt(0)
	v_cmp_lt_i16_e32 vcc, s0, v3
	s_and_saveexec_b64 s[0:1], vcc
	s_xor_b64 s[0:1], exec, s[0:1]
	s_cbranch_execz .LBB384_446
; %bb.426:
	s_movk_i32 s20, 0x80
	v_cmp_ne_u16_e32 vcc, s20, v3
	s_and_b64 s[20:21], vcc, exec
	s_andn2_saveexec_b64 s[0:1], s[0:1]
	s_cbranch_execnz .LBB384_447
.LBB384_427:
	s_or_b64 exec, exec, s[0:1]
	v_mov_b32_e32 v2, 0
	s_and_saveexec_b64 s[0:1], s[20:21]
	s_cbranch_execz .LBB384_429
.LBB384_428:
	v_lshlrev_b32_e32 v2, 24, v3
	v_and_b32_e32 v3, 0xffff, v3
	v_and_b32_e32 v4, 3, v3
	v_ffbh_u32_e32 v6, v4
	v_min_u32_e32 v6, 32, v6
	v_subrev_u32_e32 v7, 29, v6
	v_bfe_u32 v5, v3, 2, 5
	v_lshlrev_b32_e32 v3, v7, v3
	v_sub_u32_e32 v6, 30, v6
	v_and_b32_e32 v3, 3, v3
	v_cmp_eq_u32_e32 vcc, 0, v5
	v_and_b32_e32 v2, 0x80000000, v2
	s_nop 0
	v_cndmask_b32_e32 v5, v5, v6, vcc
	v_cndmask_b32_e32 v3, v4, v3, vcc
	v_mov_b32_e32 v4, 0x37800000
	v_lshlrev_b32_e32 v3, 21, v3
	v_lshl_add_u32 v4, v5, 23, v4
	v_or3_b32 v2, v2, v4, v3
	v_cvt_i32_f32_e32 v2, v2
.LBB384_429:
	s_or_b64 exec, exec, s[0:1]
	s_mov_b64 s[0:1], 0
	s_branch .LBB384_435
.LBB384_430:
	s_mov_b64 s[20:21], -1
                                        ; implicit-def: $vgpr2
	s_branch .LBB384_441
.LBB384_431:
	s_andn2_saveexec_b64 s[0:1], s[0:1]
	s_cbranch_execz .LBB384_416
.LBB384_432:
	v_cmp_ne_u16_e32 vcc, 0, v3
	s_andn2_b64 s[20:21], s[20:21], exec
	s_and_b64 s[26:27], vcc, exec
	s_or_b64 s[20:21], s[20:21], s[26:27]
	s_or_b64 exec, exec, s[0:1]
	v_mov_b32_e32 v2, 0
	s_and_saveexec_b64 s[0:1], s[20:21]
	s_cbranch_execnz .LBB384_417
	s_branch .LBB384_418
.LBB384_433:
	s_mov_b64 s[0:1], -1
                                        ; implicit-def: $vgpr2
	s_branch .LBB384_438
.LBB384_434:
	s_mov_b64 s[0:1], -1
                                        ; implicit-def: $vgpr2
.LBB384_435:
	s_and_b64 vcc, exec, s[0:1]
	s_cbranch_vccz .LBB384_437
; %bb.436:
	global_load_ubyte v2, v[0:1], off
	s_mov_b32 s0, 0x7f800000
	s_waitcnt vmcnt(0)
	v_lshlrev_b32_e32 v2, 24, v2
	v_and_b32_e32 v3, 0x7f000000, v2
	v_ffbh_u32_e32 v4, v3
	v_min_u32_e32 v4, 32, v4
	v_sub_u32_e64 v4, v4, 4 clamp
	v_lshlrev_b32_e32 v6, v4, v3
	v_lshlrev_b32_e32 v4, 23, v4
	v_lshrrev_b32_e32 v6, 4, v6
	v_add_u32_e32 v5, 0x1000000, v3
	v_sub_u32_e32 v4, v6, v4
	v_ashrrev_i32_e32 v5, 8, v5
	v_add_u32_e32 v4, 0x3c000000, v4
	v_and_or_b32 v4, v5, s0, v4
	v_cmp_ne_u32_e32 vcc, 0, v3
	s_brev_b32 s0, 1
	s_nop 0
	v_cndmask_b32_e32 v3, 0, v4, vcc
	v_and_or_b32 v2, v2, s0, v3
	v_cvt_i32_f32_e32 v2, v2
.LBB384_437:
	s_mov_b64 s[0:1], 0
.LBB384_438:
	s_andn2_b64 vcc, exec, s[0:1]
	s_cbranch_vccnz .LBB384_440
; %bb.439:
	global_load_ubyte v2, v[0:1], off
	s_movk_i32 s0, 0x7f00
	s_brev_b32 s1, 16
	s_waitcnt vmcnt(0)
	v_lshlrev_b16_e32 v3, 8, v2
	v_lshlrev_b32_e32 v2, 25, v2
	v_lshrrev_b32_e32 v4, 4, v2
	v_and_or_b32 v5, v3, s0, 0.5
	v_or_b32_e32 v4, 0x70000000, v4
	v_add_f32_e32 v5, -0.5, v5
	v_mul_f32_e32 v4, 0x7800000, v4
	v_cmp_gt_u32_e32 vcc, s1, v2
	v_bfe_i32 v3, v3, 0, 16
	s_brev_b32 s0, 1
	v_cndmask_b32_e32 v2, v4, v5, vcc
	v_and_or_b32 v2, v3, s0, v2
	v_cvt_i32_f32_e32 v2, v2
.LBB384_440:
	s_mov_b64 s[20:21], 0
	s_mov_b64 s[0:1], -1
.LBB384_441:
	s_andn2_b64 vcc, exec, s[20:21]
	s_cbranch_vccnz .LBB384_454
; %bb.442:
	s_cmp_gt_i32 s24, 14
	s_cbranch_scc0 .LBB384_445
; %bb.443:
	s_cmp_eq_u32 s24, 15
	s_cbranch_scc0 .LBB384_448
; %bb.444:
	global_load_ushort v2, v[0:1], off
	s_mov_b64 s[0:1], -1
	s_mov_b64 s[18:19], 0
	s_waitcnt vmcnt(0)
	v_lshlrev_b32_e32 v2, 16, v2
	v_cvt_i32_f32_e32 v2, v2
	s_branch .LBB384_449
.LBB384_445:
	s_mov_b64 s[20:21], -1
                                        ; implicit-def: $vgpr2
	s_branch .LBB384_450
.LBB384_446:
	s_andn2_saveexec_b64 s[0:1], s[0:1]
	s_cbranch_execz .LBB384_427
.LBB384_447:
	v_cmp_ne_u16_e32 vcc, 0, v3
	s_andn2_b64 s[20:21], s[20:21], exec
	s_and_b64 s[26:27], vcc, exec
	s_or_b64 s[20:21], s[20:21], s[26:27]
	s_or_b64 exec, exec, s[0:1]
	v_mov_b32_e32 v2, 0
	s_and_saveexec_b64 s[0:1], s[20:21]
	s_cbranch_execnz .LBB384_428
	s_branch .LBB384_429
.LBB384_448:
	s_mov_b64 s[18:19], -1
                                        ; implicit-def: $vgpr2
.LBB384_449:
	s_mov_b64 s[20:21], 0
.LBB384_450:
	s_and_b64 vcc, exec, s[20:21]
	s_cbranch_vccz .LBB384_454
; %bb.451:
	s_cmp_eq_u32 s24, 11
	s_cbranch_scc0 .LBB384_453
; %bb.452:
	global_load_ubyte v2, v[0:1], off
	s_mov_b64 s[0:1], -1
	s_mov_b64 s[18:19], 0
	s_waitcnt vmcnt(0)
	v_cmp_ne_u16_e32 vcc, 0, v2
	s_nop 1
	v_cndmask_b32_e64 v2, 0, 1, vcc
	s_branch .LBB384_454
.LBB384_453:
	s_mov_b64 s[18:19], -1
                                        ; implicit-def: $vgpr2
.LBB384_454:
	s_branch .LBB384_261
.LBB384_455:
	s_cmp_lt_i32 s24, 5
	s_cbranch_scc1 .LBB384_460
; %bb.456:
	s_cmp_lt_i32 s24, 8
	s_cbranch_scc1 .LBB384_461
; %bb.457:
	;; [unrolled: 3-line block ×3, first 2 shown]
	s_cmp_gt_i32 s24, 9
	s_cbranch_scc0 .LBB384_463
; %bb.459:
	global_load_dwordx2 v[2:3], v[0:1], off
	s_mov_b64 s[0:1], 0
	s_waitcnt vmcnt(0)
	v_cvt_i32_f64_e32 v2, v[2:3]
	s_branch .LBB384_464
.LBB384_460:
	s_mov_b64 s[0:1], -1
                                        ; implicit-def: $vgpr2
	s_branch .LBB384_482
.LBB384_461:
	s_mov_b64 s[0:1], -1
                                        ; implicit-def: $vgpr2
	s_branch .LBB384_470
.LBB384_462:
	s_mov_b64 s[0:1], -1
                                        ; implicit-def: $vgpr2
	s_branch .LBB384_467
.LBB384_463:
	s_mov_b64 s[0:1], -1
                                        ; implicit-def: $vgpr2
.LBB384_464:
	s_andn2_b64 vcc, exec, s[0:1]
	s_cbranch_vccnz .LBB384_466
; %bb.465:
	global_load_dword v2, v[0:1], off
	s_waitcnt vmcnt(0)
	v_cvt_i32_f32_e32 v2, v2
.LBB384_466:
	s_mov_b64 s[0:1], 0
.LBB384_467:
	s_andn2_b64 vcc, exec, s[0:1]
	s_cbranch_vccnz .LBB384_469
; %bb.468:
	global_load_dword v2, v[0:1], off
	s_waitcnt vmcnt(0)
	v_cvt_i16_f16_e32 v2, v2
.LBB384_469:
	s_mov_b64 s[0:1], 0
.LBB384_470:
	s_andn2_b64 vcc, exec, s[0:1]
	s_cbranch_vccnz .LBB384_481
; %bb.471:
	s_cmp_lt_i32 s24, 6
	s_cbranch_scc1 .LBB384_474
; %bb.472:
	s_cmp_gt_i32 s24, 6
	s_cbranch_scc0 .LBB384_475
; %bb.473:
	global_load_dwordx2 v[2:3], v[0:1], off
	s_mov_b64 s[0:1], 0
	s_waitcnt vmcnt(0)
	v_cvt_i32_f64_e32 v2, v[2:3]
	s_branch .LBB384_476
.LBB384_474:
	s_mov_b64 s[0:1], -1
                                        ; implicit-def: $vgpr2
	s_branch .LBB384_479
.LBB384_475:
	s_mov_b64 s[0:1], -1
                                        ; implicit-def: $vgpr2
.LBB384_476:
	s_andn2_b64 vcc, exec, s[0:1]
	s_cbranch_vccnz .LBB384_478
; %bb.477:
	global_load_dword v2, v[0:1], off
	s_waitcnt vmcnt(0)
	v_cvt_i32_f32_e32 v2, v2
.LBB384_478:
	s_mov_b64 s[0:1], 0
.LBB384_479:
	s_andn2_b64 vcc, exec, s[0:1]
	s_cbranch_vccnz .LBB384_481
; %bb.480:
	global_load_ushort v2, v[0:1], off
	s_waitcnt vmcnt(0)
	v_cvt_i16_f16_e32 v2, v2
.LBB384_481:
	s_mov_b64 s[0:1], 0
.LBB384_482:
	s_andn2_b64 vcc, exec, s[0:1]
	s_cbranch_vccnz .LBB384_502
; %bb.483:
	s_cmp_lt_i32 s24, 2
	s_cbranch_scc1 .LBB384_487
; %bb.484:
	s_cmp_lt_i32 s24, 3
	s_cbranch_scc1 .LBB384_488
; %bb.485:
	s_cmp_gt_i32 s24, 3
	s_cbranch_scc0 .LBB384_489
; %bb.486:
	global_load_dwordx2 v[2:3], v[0:1], off
	s_mov_b64 s[0:1], 0
	s_branch .LBB384_490
.LBB384_487:
	s_mov_b64 s[0:1], -1
                                        ; implicit-def: $vgpr2
	s_branch .LBB384_496
.LBB384_488:
	s_mov_b64 s[0:1], -1
                                        ; implicit-def: $vgpr2
	s_branch .LBB384_493
.LBB384_489:
	s_mov_b64 s[0:1], -1
                                        ; implicit-def: $vgpr2
.LBB384_490:
	s_andn2_b64 vcc, exec, s[0:1]
	s_cbranch_vccnz .LBB384_492
; %bb.491:
	global_load_dword v2, v[0:1], off
.LBB384_492:
	s_mov_b64 s[0:1], 0
.LBB384_493:
	s_andn2_b64 vcc, exec, s[0:1]
	s_cbranch_vccnz .LBB384_495
; %bb.494:
	global_load_ushort v2, v[0:1], off
.LBB384_495:
	s_mov_b64 s[0:1], 0
.LBB384_496:
	s_andn2_b64 vcc, exec, s[0:1]
	s_cbranch_vccnz .LBB384_502
; %bb.497:
	s_cmp_gt_i32 s24, 0
	s_cbranch_scc0 .LBB384_499
; %bb.498:
	global_load_sbyte v2, v[0:1], off
	s_mov_b64 s[0:1], 0
	s_branch .LBB384_500
.LBB384_499:
	s_mov_b64 s[0:1], -1
                                        ; implicit-def: $vgpr2
.LBB384_500:
	s_andn2_b64 vcc, exec, s[0:1]
	s_cbranch_vccnz .LBB384_502
; %bb.501:
	global_load_ubyte v2, v[0:1], off
.LBB384_502:
	s_branch .LBB384_262
.LBB384_503:
	s_mov_b64 s[24:25], 0
                                        ; implicit-def: $vgpr10
	s_mov_b64 s[0:1], s[12:13]
.LBB384_504:
	s_andn2_b64 s[20:21], s[12:13], exec
	s_and_b64 s[0:1], s[0:1], exec
	s_or_b64 s[20:21], s[20:21], s[0:1]
	s_andn2_b64 s[0:1], s[14:15], exec
	s_and_b64 s[18:19], s[18:19], exec
	s_or_b64 s[18:19], s[0:1], s[18:19]
	s_orn2_b64 s[0:1], s[24:25], exec
.LBB384_505:
	s_or_b64 exec, exec, s[22:23]
	s_mov_b64 s[24:25], 0
	s_mov_b64 s[26:27], 0
	;; [unrolled: 1-line block ×3, first 2 shown]
                                        ; implicit-def: $vgpr0_vgpr1
                                        ; implicit-def: $vgpr2
	s_and_saveexec_b64 s[22:23], s[0:1]
	s_cbranch_execz .LBB384_842
; %bb.506:
	v_cmp_gt_i32_e32 vcc, s38, v10
	s_mov_b64 s[34:35], -1
	s_mov_b64 s[0:1], s[18:19]
	s_mov_b64 s[28:29], s[20:21]
	s_and_saveexec_b64 s[24:25], vcc
	s_cbranch_execz .LBB384_760
; %bb.507:
	v_mul_lo_u32 v0, v10, s9
	v_ashrrev_i32_e32 v1, 31, v0
	s_and_b32 s30, 0xffff, s43
	s_cmp_lt_i32 s30, 11
	v_lshl_add_u64 v[0:1], s[6:7], 0, v[0:1]
	s_cbranch_scc1 .LBB384_514
; %bb.508:
	s_cmp_gt_i32 s30, 25
	s_cbranch_scc0 .LBB384_515
; %bb.509:
	s_cmp_gt_i32 s30, 28
	s_cbranch_scc0 .LBB384_516
; %bb.510:
	s_cmp_gt_i32 s30, 43
	s_cbranch_scc0 .LBB384_517
; %bb.511:
	s_cmp_gt_i32 s30, 45
	s_cbranch_scc0 .LBB384_520
; %bb.512:
	s_cmp_eq_u32 s30, 46
	s_mov_b64 s[28:29], 0
	s_cbranch_scc0 .LBB384_523
; %bb.513:
	global_load_dword v2, v[0:1], off
	s_mov_b64 s[0:1], -1
	s_waitcnt vmcnt(0)
	v_lshlrev_b32_e32 v2, 16, v2
	v_cvt_i32_f32_e32 v2, v2
	s_branch .LBB384_524
.LBB384_514:
	s_mov_b64 s[28:29], -1
	s_mov_b64 s[0:1], 0
                                        ; implicit-def: $vgpr2
	s_mov_b64 s[26:27], s[18:19]
	s_branch .LBB384_585
.LBB384_515:
	s_mov_b64 s[28:29], -1
	s_mov_b64 s[0:1], 0
	s_mov_b64 s[26:27], s[18:19]
                                        ; implicit-def: $vgpr2
	s_branch .LBB384_551
.LBB384_516:
	s_mov_b64 s[28:29], -1
	s_mov_b64 s[0:1], 0
	s_mov_b64 s[26:27], s[18:19]
                                        ; implicit-def: $vgpr2
	s_branch .LBB384_534
.LBB384_517:
	s_mov_b64 s[28:29], -1
	s_mov_b64 s[0:1], 0
	s_mov_b64 s[26:27], s[18:19]
                                        ; implicit-def: $vgpr2
	s_branch .LBB384_529
.LBB384_518:
	s_andn2_saveexec_b64 s[26:27], s[26:27]
	s_cbranch_execz .LBB384_307
.LBB384_519:
	s_mov_b32 s30, 0x46000000
	v_add_f32_e64 v3, |v2|, s30
	v_and_b32_e32 v3, 0xff, v3
	v_cmp_ne_u32_e32 vcc, 0, v3
	s_andn2_b64 s[24:25], s[24:25], exec
	s_and_b64 s[30:31], vcc, exec
	s_or_b64 s[24:25], s[24:25], s[30:31]
	s_or_b64 exec, exec, s[26:27]
	v_mov_b32_e32 v5, 0
	s_and_saveexec_b64 s[26:27], s[24:25]
	s_cbranch_execnz .LBB384_308
	s_branch .LBB384_309
.LBB384_520:
	s_mov_b64 s[28:29], -1
	s_mov_b64 s[0:1], 0
	s_mov_b64 s[26:27], s[18:19]
                                        ; implicit-def: $vgpr2
	s_branch .LBB384_524
.LBB384_521:
	s_andn2_saveexec_b64 s[26:27], s[26:27]
	s_cbranch_execz .LBB384_320
.LBB384_522:
	s_mov_b32 s30, 0x42800000
	v_add_f32_e64 v3, |v2|, s30
	v_and_b32_e32 v3, 0xff, v3
	v_cmp_ne_u32_e32 vcc, 0, v3
	s_andn2_b64 s[24:25], s[24:25], exec
	s_and_b64 s[30:31], vcc, exec
	s_or_b64 s[24:25], s[24:25], s[30:31]
	s_or_b64 exec, exec, s[26:27]
	v_mov_b32_e32 v5, 0
	s_and_saveexec_b64 s[26:27], s[24:25]
	s_cbranch_execnz .LBB384_321
	s_branch .LBB384_322
.LBB384_523:
	s_mov_b64 s[26:27], -1
                                        ; implicit-def: $vgpr2
	s_mov_b64 s[0:1], 0
.LBB384_524:
	s_and_b64 vcc, exec, s[28:29]
	s_cbranch_vccz .LBB384_528
; %bb.525:
	s_cmp_eq_u32 s30, 44
	s_cbranch_scc0 .LBB384_527
; %bb.526:
	global_load_ubyte v2, v[0:1], off
	s_mov_b64 s[0:1], -1
	s_mov_b64 s[26:27], 0
	s_waitcnt vmcnt(0)
	v_lshlrev_b32_e32 v3, 23, v2
	v_cvt_i32_f32_e32 v3, v3
	v_cmp_ne_u32_e32 vcc, 0, v2
	s_nop 1
	v_cndmask_b32_e32 v2, 0, v3, vcc
	s_branch .LBB384_528
.LBB384_527:
	s_mov_b64 s[26:27], -1
                                        ; implicit-def: $vgpr2
.LBB384_528:
	s_mov_b64 s[28:29], 0
.LBB384_529:
	s_and_b64 vcc, exec, s[28:29]
	s_cbranch_vccz .LBB384_533
; %bb.530:
	s_cmp_eq_u32 s30, 29
	s_cbranch_scc0 .LBB384_532
; %bb.531:
	global_load_dwordx2 v[2:3], v[0:1], off
	s_mov_b64 s[0:1], -1
	s_mov_b64 s[26:27], 0
	s_branch .LBB384_533
.LBB384_532:
	s_mov_b64 s[26:27], -1
                                        ; implicit-def: $vgpr2
.LBB384_533:
	s_mov_b64 s[28:29], 0
.LBB384_534:
	s_and_b64 vcc, exec, s[28:29]
	s_cbranch_vccz .LBB384_550
; %bb.535:
	s_cmp_lt_i32 s30, 27
	s_cbranch_scc1 .LBB384_538
; %bb.536:
	s_cmp_gt_i32 s30, 27
	s_cbranch_scc0 .LBB384_539
; %bb.537:
	global_load_dword v2, v[0:1], off
	s_mov_b64 s[0:1], 0
	s_branch .LBB384_540
.LBB384_538:
	s_mov_b64 s[0:1], -1
                                        ; implicit-def: $vgpr2
	s_branch .LBB384_543
.LBB384_539:
	s_mov_b64 s[0:1], -1
                                        ; implicit-def: $vgpr2
.LBB384_540:
	s_andn2_b64 vcc, exec, s[0:1]
	s_cbranch_vccnz .LBB384_542
; %bb.541:
	global_load_ushort v2, v[0:1], off
.LBB384_542:
	s_mov_b64 s[0:1], 0
.LBB384_543:
	s_andn2_b64 vcc, exec, s[0:1]
	s_cbranch_vccnz .LBB384_549
; %bb.544:
	global_load_ubyte v3, v[0:1], off
	s_movk_i32 s0, 0x7f
	s_mov_b64 s[28:29], 0
	s_waitcnt vmcnt(0)
	v_cmp_lt_i16_e32 vcc, s0, v3
	s_and_saveexec_b64 s[0:1], vcc
	s_xor_b64 s[0:1], exec, s[0:1]
	s_cbranch_execz .LBB384_561
; %bb.545:
	s_movk_i32 s28, 0x80
	v_cmp_ne_u16_e32 vcc, s28, v3
	s_and_b64 s[28:29], vcc, exec
	s_andn2_saveexec_b64 s[0:1], s[0:1]
	s_cbranch_execnz .LBB384_562
.LBB384_546:
	s_or_b64 exec, exec, s[0:1]
	v_mov_b32_e32 v2, 0
	s_and_saveexec_b64 s[0:1], s[28:29]
	s_cbranch_execz .LBB384_548
.LBB384_547:
	v_lshlrev_b32_e32 v2, 24, v3
	v_and_b32_e32 v3, 0xffff, v3
	v_and_b32_e32 v4, 7, v3
	v_ffbh_u32_e32 v6, v4
	v_min_u32_e32 v6, 32, v6
	v_subrev_u32_e32 v7, 28, v6
	v_bfe_u32 v5, v3, 3, 4
	v_lshlrev_b32_e32 v3, v7, v3
	v_sub_u32_e32 v6, 29, v6
	v_and_b32_e32 v3, 7, v3
	v_cmp_eq_u32_e32 vcc, 0, v5
	v_and_b32_e32 v2, 0x80000000, v2
	s_nop 0
	v_cndmask_b32_e32 v5, v5, v6, vcc
	v_cndmask_b32_e32 v3, v4, v3, vcc
	v_mov_b32_e32 v4, 0x3b800000
	v_lshlrev_b32_e32 v3, 20, v3
	v_lshl_add_u32 v4, v5, 23, v4
	v_or3_b32 v2, v2, v4, v3
	v_cvt_i32_f32_e32 v2, v2
.LBB384_548:
	s_or_b64 exec, exec, s[0:1]
.LBB384_549:
	s_mov_b64 s[0:1], -1
.LBB384_550:
	s_mov_b64 s[28:29], 0
.LBB384_551:
	s_and_b64 vcc, exec, s[28:29]
	s_cbranch_vccz .LBB384_584
; %bb.552:
	s_cmp_gt_i32 s30, 22
	s_cbranch_scc0 .LBB384_560
; %bb.553:
	s_cmp_lt_i32 s30, 24
	s_cbranch_scc1 .LBB384_563
; %bb.554:
	s_cmp_gt_i32 s30, 24
	s_cbranch_scc0 .LBB384_564
; %bb.555:
	global_load_ubyte v3, v[0:1], off
	s_movk_i32 s0, 0x7f
	s_mov_b64 s[28:29], 0
	s_waitcnt vmcnt(0)
	v_cmp_lt_i16_e32 vcc, s0, v3
	s_and_saveexec_b64 s[0:1], vcc
	s_xor_b64 s[0:1], exec, s[0:1]
	s_cbranch_execz .LBB384_576
; %bb.556:
	s_movk_i32 s28, 0x80
	v_cmp_ne_u16_e32 vcc, s28, v3
	s_and_b64 s[28:29], vcc, exec
	s_andn2_saveexec_b64 s[0:1], s[0:1]
	s_cbranch_execnz .LBB384_577
.LBB384_557:
	s_or_b64 exec, exec, s[0:1]
	v_mov_b32_e32 v2, 0
	s_and_saveexec_b64 s[0:1], s[28:29]
	s_cbranch_execz .LBB384_559
.LBB384_558:
	v_lshlrev_b32_e32 v2, 24, v3
	v_and_b32_e32 v3, 0xffff, v3
	v_and_b32_e32 v4, 3, v3
	v_ffbh_u32_e32 v6, v4
	v_min_u32_e32 v6, 32, v6
	v_subrev_u32_e32 v7, 29, v6
	v_bfe_u32 v5, v3, 2, 5
	v_lshlrev_b32_e32 v3, v7, v3
	v_sub_u32_e32 v6, 30, v6
	v_and_b32_e32 v3, 3, v3
	v_cmp_eq_u32_e32 vcc, 0, v5
	v_and_b32_e32 v2, 0x80000000, v2
	s_nop 0
	v_cndmask_b32_e32 v5, v5, v6, vcc
	v_cndmask_b32_e32 v3, v4, v3, vcc
	v_mov_b32_e32 v4, 0x37800000
	v_lshlrev_b32_e32 v3, 21, v3
	v_lshl_add_u32 v4, v5, 23, v4
	v_or3_b32 v2, v2, v4, v3
	v_cvt_i32_f32_e32 v2, v2
.LBB384_559:
	s_or_b64 exec, exec, s[0:1]
	s_mov_b64 s[0:1], 0
	s_branch .LBB384_565
.LBB384_560:
	s_mov_b64 s[28:29], -1
                                        ; implicit-def: $vgpr2
	s_branch .LBB384_571
.LBB384_561:
	s_andn2_saveexec_b64 s[0:1], s[0:1]
	s_cbranch_execz .LBB384_546
.LBB384_562:
	v_cmp_ne_u16_e32 vcc, 0, v3
	s_andn2_b64 s[28:29], s[28:29], exec
	s_and_b64 s[34:35], vcc, exec
	s_or_b64 s[28:29], s[28:29], s[34:35]
	s_or_b64 exec, exec, s[0:1]
	v_mov_b32_e32 v2, 0
	s_and_saveexec_b64 s[0:1], s[28:29]
	s_cbranch_execnz .LBB384_547
	s_branch .LBB384_548
.LBB384_563:
	s_mov_b64 s[0:1], -1
                                        ; implicit-def: $vgpr2
	s_branch .LBB384_568
.LBB384_564:
	s_mov_b64 s[0:1], -1
                                        ; implicit-def: $vgpr2
.LBB384_565:
	s_and_b64 vcc, exec, s[0:1]
	s_cbranch_vccz .LBB384_567
; %bb.566:
	global_load_ubyte v2, v[0:1], off
	s_mov_b32 s0, 0x7f800000
	s_waitcnt vmcnt(0)
	v_lshlrev_b32_e32 v2, 24, v2
	v_and_b32_e32 v3, 0x7f000000, v2
	v_ffbh_u32_e32 v4, v3
	v_min_u32_e32 v4, 32, v4
	v_sub_u32_e64 v4, v4, 4 clamp
	v_lshlrev_b32_e32 v6, v4, v3
	v_lshlrev_b32_e32 v4, 23, v4
	v_lshrrev_b32_e32 v6, 4, v6
	v_add_u32_e32 v5, 0x1000000, v3
	v_sub_u32_e32 v4, v6, v4
	v_ashrrev_i32_e32 v5, 8, v5
	v_add_u32_e32 v4, 0x3c000000, v4
	v_and_or_b32 v4, v5, s0, v4
	v_cmp_ne_u32_e32 vcc, 0, v3
	s_brev_b32 s0, 1
	s_nop 0
	v_cndmask_b32_e32 v3, 0, v4, vcc
	v_and_or_b32 v2, v2, s0, v3
	v_cvt_i32_f32_e32 v2, v2
.LBB384_567:
	s_mov_b64 s[0:1], 0
.LBB384_568:
	s_andn2_b64 vcc, exec, s[0:1]
	s_cbranch_vccnz .LBB384_570
; %bb.569:
	global_load_ubyte v2, v[0:1], off
	s_movk_i32 s0, 0x7f00
	s_brev_b32 s1, 16
	s_waitcnt vmcnt(0)
	v_lshlrev_b16_e32 v3, 8, v2
	v_lshlrev_b32_e32 v2, 25, v2
	v_lshrrev_b32_e32 v4, 4, v2
	v_and_or_b32 v5, v3, s0, 0.5
	v_or_b32_e32 v4, 0x70000000, v4
	v_add_f32_e32 v5, -0.5, v5
	v_mul_f32_e32 v4, 0x7800000, v4
	v_cmp_gt_u32_e32 vcc, s1, v2
	v_bfe_i32 v3, v3, 0, 16
	s_brev_b32 s0, 1
	v_cndmask_b32_e32 v2, v4, v5, vcc
	v_and_or_b32 v2, v3, s0, v2
	v_cvt_i32_f32_e32 v2, v2
.LBB384_570:
	s_mov_b64 s[28:29], 0
	s_mov_b64 s[0:1], -1
.LBB384_571:
	s_andn2_b64 vcc, exec, s[28:29]
	s_cbranch_vccnz .LBB384_584
; %bb.572:
	s_cmp_gt_i32 s30, 14
	s_cbranch_scc0 .LBB384_575
; %bb.573:
	s_cmp_eq_u32 s30, 15
	s_cbranch_scc0 .LBB384_578
; %bb.574:
	global_load_ushort v2, v[0:1], off
	s_mov_b64 s[0:1], -1
	s_mov_b64 s[26:27], 0
	s_waitcnt vmcnt(0)
	v_lshlrev_b32_e32 v2, 16, v2
	v_cvt_i32_f32_e32 v2, v2
	s_branch .LBB384_579
.LBB384_575:
	s_mov_b64 s[28:29], -1
                                        ; implicit-def: $vgpr2
	s_branch .LBB384_580
.LBB384_576:
	s_andn2_saveexec_b64 s[0:1], s[0:1]
	s_cbranch_execz .LBB384_557
.LBB384_577:
	v_cmp_ne_u16_e32 vcc, 0, v3
	s_andn2_b64 s[28:29], s[28:29], exec
	s_and_b64 s[34:35], vcc, exec
	s_or_b64 s[28:29], s[28:29], s[34:35]
	s_or_b64 exec, exec, s[0:1]
	v_mov_b32_e32 v2, 0
	s_and_saveexec_b64 s[0:1], s[28:29]
	s_cbranch_execnz .LBB384_558
	s_branch .LBB384_559
.LBB384_578:
	s_mov_b64 s[26:27], -1
                                        ; implicit-def: $vgpr2
.LBB384_579:
	s_mov_b64 s[28:29], 0
.LBB384_580:
	s_and_b64 vcc, exec, s[28:29]
	s_cbranch_vccz .LBB384_584
; %bb.581:
	s_cmp_eq_u32 s30, 11
	s_cbranch_scc0 .LBB384_583
; %bb.582:
	global_load_ubyte v2, v[0:1], off
	s_mov_b64 s[0:1], -1
	s_mov_b64 s[26:27], 0
	s_waitcnt vmcnt(0)
	v_cmp_ne_u16_e32 vcc, 0, v2
	s_nop 1
	v_cndmask_b32_e64 v2, 0, 1, vcc
	s_branch .LBB384_584
.LBB384_583:
	s_mov_b64 s[26:27], -1
                                        ; implicit-def: $vgpr2
.LBB384_584:
	s_mov_b64 s[28:29], 0
.LBB384_585:
	s_and_b64 vcc, exec, s[28:29]
	s_cbranch_vccz .LBB384_634
; %bb.586:
	s_cmp_lt_i32 s30, 5
	s_cbranch_scc1 .LBB384_591
; %bb.587:
	s_cmp_lt_i32 s30, 8
	s_cbranch_scc1 .LBB384_592
	;; [unrolled: 3-line block ×3, first 2 shown]
; %bb.589:
	s_cmp_gt_i32 s30, 9
	s_cbranch_scc0 .LBB384_594
; %bb.590:
	global_load_dwordx2 v[2:3], v[0:1], off
	s_mov_b64 s[0:1], 0
	s_waitcnt vmcnt(0)
	v_cvt_i32_f64_e32 v2, v[2:3]
	s_branch .LBB384_595
.LBB384_591:
	s_mov_b64 s[0:1], -1
                                        ; implicit-def: $vgpr2
	s_branch .LBB384_613
.LBB384_592:
	s_mov_b64 s[0:1], -1
                                        ; implicit-def: $vgpr2
	s_branch .LBB384_601
.LBB384_593:
	s_mov_b64 s[0:1], -1
                                        ; implicit-def: $vgpr2
	s_branch .LBB384_598
.LBB384_594:
	s_mov_b64 s[0:1], -1
                                        ; implicit-def: $vgpr2
.LBB384_595:
	s_andn2_b64 vcc, exec, s[0:1]
	s_cbranch_vccnz .LBB384_597
; %bb.596:
	global_load_dword v2, v[0:1], off
	s_waitcnt vmcnt(0)
	v_cvt_i32_f32_e32 v2, v2
.LBB384_597:
	s_mov_b64 s[0:1], 0
.LBB384_598:
	s_andn2_b64 vcc, exec, s[0:1]
	s_cbranch_vccnz .LBB384_600
; %bb.599:
	global_load_dword v2, v[0:1], off
	s_waitcnt vmcnt(0)
	v_cvt_i16_f16_e32 v2, v2
.LBB384_600:
	s_mov_b64 s[0:1], 0
.LBB384_601:
	s_andn2_b64 vcc, exec, s[0:1]
	s_cbranch_vccnz .LBB384_612
; %bb.602:
	s_cmp_lt_i32 s30, 6
	s_cbranch_scc1 .LBB384_605
; %bb.603:
	s_cmp_gt_i32 s30, 6
	s_cbranch_scc0 .LBB384_606
; %bb.604:
	global_load_dwordx2 v[2:3], v[0:1], off
	s_mov_b64 s[0:1], 0
	s_waitcnt vmcnt(0)
	v_cvt_i32_f64_e32 v2, v[2:3]
	s_branch .LBB384_607
.LBB384_605:
	s_mov_b64 s[0:1], -1
                                        ; implicit-def: $vgpr2
	s_branch .LBB384_610
.LBB384_606:
	s_mov_b64 s[0:1], -1
                                        ; implicit-def: $vgpr2
.LBB384_607:
	s_andn2_b64 vcc, exec, s[0:1]
	s_cbranch_vccnz .LBB384_609
; %bb.608:
	global_load_dword v2, v[0:1], off
	s_waitcnt vmcnt(0)
	v_cvt_i32_f32_e32 v2, v2
.LBB384_609:
	s_mov_b64 s[0:1], 0
.LBB384_610:
	s_andn2_b64 vcc, exec, s[0:1]
	s_cbranch_vccnz .LBB384_612
; %bb.611:
	global_load_ushort v2, v[0:1], off
	s_waitcnt vmcnt(0)
	v_cvt_i16_f16_e32 v2, v2
.LBB384_612:
	s_mov_b64 s[0:1], 0
.LBB384_613:
	s_andn2_b64 vcc, exec, s[0:1]
	s_cbranch_vccnz .LBB384_633
; %bb.614:
	s_cmp_lt_i32 s30, 2
	s_cbranch_scc1 .LBB384_618
; %bb.615:
	s_cmp_lt_i32 s30, 3
	s_cbranch_scc1 .LBB384_619
; %bb.616:
	s_cmp_gt_i32 s30, 3
	s_cbranch_scc0 .LBB384_620
; %bb.617:
	global_load_dwordx2 v[2:3], v[0:1], off
	s_mov_b64 s[0:1], 0
	s_branch .LBB384_621
.LBB384_618:
	s_mov_b64 s[0:1], -1
                                        ; implicit-def: $vgpr2
	s_branch .LBB384_627
.LBB384_619:
	s_mov_b64 s[0:1], -1
                                        ; implicit-def: $vgpr2
	s_branch .LBB384_624
.LBB384_620:
	s_mov_b64 s[0:1], -1
                                        ; implicit-def: $vgpr2
.LBB384_621:
	s_andn2_b64 vcc, exec, s[0:1]
	s_cbranch_vccnz .LBB384_623
; %bb.622:
	global_load_dword v2, v[0:1], off
.LBB384_623:
	s_mov_b64 s[0:1], 0
.LBB384_624:
	s_andn2_b64 vcc, exec, s[0:1]
	s_cbranch_vccnz .LBB384_626
; %bb.625:
	global_load_ushort v2, v[0:1], off
.LBB384_626:
	s_mov_b64 s[0:1], 0
.LBB384_627:
	s_andn2_b64 vcc, exec, s[0:1]
	s_cbranch_vccnz .LBB384_633
; %bb.628:
	s_cmp_gt_i32 s30, 0
	s_cbranch_scc0 .LBB384_630
; %bb.629:
	global_load_sbyte v2, v[0:1], off
	s_mov_b64 s[0:1], 0
	s_branch .LBB384_631
.LBB384_630:
	s_mov_b64 s[0:1], -1
                                        ; implicit-def: $vgpr2
.LBB384_631:
	s_andn2_b64 vcc, exec, s[0:1]
	s_cbranch_vccnz .LBB384_633
; %bb.632:
	global_load_ubyte v2, v[0:1], off
.LBB384_633:
	s_mov_b64 s[0:1], -1
.LBB384_634:
	s_andn2_b64 vcc, exec, s[0:1]
	s_cbranch_vccnz .LBB384_642
; %bb.635:
	v_mul_lo_u32 v0, v10, s8
	v_ashrrev_i32_e32 v1, 31, v0
	s_and_b32 s36, s42, 0xff
	s_waitcnt vmcnt(0)
	v_max_i16_e32 v4, s33, v2
	s_cmp_lt_i32 s36, 11
	v_lshl_add_u64 v[0:1], s[4:5], 0, v[0:1]
	s_cbranch_scc1 .LBB384_643
; %bb.636:
	s_and_b32 s37, 0xffff, s36
	s_cmp_gt_i32 s37, 25
	s_cbranch_scc0 .LBB384_644
; %bb.637:
	s_cmp_gt_i32 s37, 28
	s_cbranch_scc0 .LBB384_645
; %bb.638:
	;; [unrolled: 3-line block ×4, first 2 shown]
	s_mov_b64 s[30:31], 0
	s_mov_b64 s[0:1], -1
	s_cmp_eq_u32 s37, 46
	s_mov_b64 s[28:29], 0
	s_cbranch_scc0 .LBB384_648
; %bb.641:
	v_cvt_f32_i32_sdwa v2, sext(v4) dst_sel:DWORD dst_unused:UNUSED_PAD src0_sel:WORD_0
	s_movk_i32 s0, 0x7fff
	s_mov_b64 s[28:29], -1
	v_bfe_u32 v3, v2, 16, 1
	v_add3_u32 v2, v2, v3, s0
	v_lshrrev_b32_e32 v2, 16, v2
	global_store_dword v[0:1], v2, off
	s_mov_b64 s[0:1], 0
	s_branch .LBB384_648
.LBB384_642:
	s_mov_b64 s[30:31], 0
                                        ; implicit-def: $vgpr10
	s_mov_b64 s[0:1], s[20:21]
	s_branch .LBB384_759
.LBB384_643:
	s_mov_b64 s[30:31], -1
	s_mov_b64 s[28:29], 0
	s_mov_b64 s[0:1], s[20:21]
	s_branch .LBB384_717
.LBB384_644:
	s_mov_b64 s[30:31], -1
	s_mov_b64 s[28:29], 0
	s_mov_b64 s[0:1], s[20:21]
	s_branch .LBB384_675
.LBB384_645:
	s_mov_b64 s[30:31], -1
	s_mov_b64 s[28:29], 0
	s_mov_b64 s[0:1], s[20:21]
	s_branch .LBB384_658
.LBB384_646:
	s_mov_b64 s[30:31], -1
	s_mov_b64 s[28:29], 0
	s_mov_b64 s[0:1], s[20:21]
	s_branch .LBB384_654
.LBB384_647:
	s_mov_b64 s[30:31], -1
	s_mov_b64 s[28:29], 0
	s_mov_b64 s[0:1], s[20:21]
.LBB384_648:
	s_and_b64 vcc, exec, s[30:31]
	s_cbranch_vccz .LBB384_653
; %bb.649:
	s_cmp_eq_u32 s37, 44
	s_mov_b64 s[0:1], -1
	s_cbranch_scc0 .LBB384_653
; %bb.650:
	v_cvt_f32_i32_sdwa v2, sext(v4) dst_sel:DWORD dst_unused:UNUSED_PAD src0_sel:WORD_0
	s_movk_i32 s0, 0xff
	v_mov_b32_e32 v5, 0xff
	v_bfe_u32 v3, v2, 23, 8
	v_cmp_ne_u32_e32 vcc, s0, v3
	s_and_saveexec_b64 s[28:29], vcc
; %bb.651:
	s_mov_b32 s0, 0x3fffff
	v_lshrrev_b32_e32 v5, 23, v2
	v_and_b32_e32 v6, 0x400000, v2
	v_and_or_b32 v2, v2, s0, v3
	v_cmp_ne_u32_e32 vcc, 0, v6
	v_cmp_ne_u32_e64 s[0:1], 0, v2
	s_and_b64 s[0:1], vcc, s[0:1]
	s_nop 0
	v_cndmask_b32_e64 v2, 0, 1, s[0:1]
	v_add_u32_e32 v5, v5, v2
; %bb.652:
	s_or_b64 exec, exec, s[28:29]
	s_mov_b64 s[28:29], -1
	s_mov_b64 s[0:1], 0
	global_store_byte v[0:1], v5, off
.LBB384_653:
	s_mov_b64 s[30:31], 0
.LBB384_654:
	s_and_b64 vcc, exec, s[30:31]
	s_cbranch_vccz .LBB384_657
; %bb.655:
	s_cmp_eq_u32 s37, 29
	s_mov_b64 s[0:1], -1
	s_cbranch_scc0 .LBB384_657
; %bb.656:
	v_bfe_i32 v2, v4, 0, 16
	v_ashrrev_i32_e32 v3, 31, v2
	global_store_dwordx2 v[0:1], v[2:3], off
	s_mov_b64 s[28:29], -1
	s_mov_b64 s[0:1], 0
.LBB384_657:
	s_mov_b64 s[30:31], 0
.LBB384_658:
	s_and_b64 vcc, exec, s[30:31]
	s_cbranch_vccz .LBB384_674
; %bb.659:
	s_cmp_lt_i32 s37, 27
	s_mov_b64 s[28:29], -1
	s_cbranch_scc1 .LBB384_665
; %bb.660:
	s_cmp_gt_i32 s37, 27
	s_cbranch_scc0 .LBB384_662
; %bb.661:
	v_bfe_i32 v2, v4, 0, 16
	s_mov_b64 s[28:29], 0
	global_store_dword v[0:1], v2, off
.LBB384_662:
	s_andn2_b64 vcc, exec, s[28:29]
	s_cbranch_vccnz .LBB384_664
; %bb.663:
	global_store_short v[0:1], v4, off
.LBB384_664:
	s_mov_b64 s[28:29], 0
.LBB384_665:
	s_andn2_b64 vcc, exec, s[28:29]
	s_cbranch_vccnz .LBB384_673
; %bb.666:
	v_cvt_f32_i32_sdwa v2, sext(v4) dst_sel:DWORD dst_unused:UNUSED_PAD src0_sel:WORD_0
	s_mov_b32 s28, 0x43800000
	v_mov_b32_e32 v5, 0x80
	v_and_b32_e32 v3, 0x7fffffff, v2
	v_cmp_gt_u32_e32 vcc, s28, v3
	s_and_saveexec_b64 s[28:29], vcc
	s_cbranch_execz .LBB384_672
; %bb.667:
	s_mov_b32 s30, 0x3bffffff
	v_cmp_lt_u32_e32 vcc, s30, v3
	s_mov_b64 s[30:31], 0
                                        ; implicit-def: $vgpr3
	s_and_saveexec_b64 s[34:35], vcc
	s_xor_b64 s[34:35], exec, s[34:35]
	s_cbranch_execz .LBB384_773
; %bb.668:
	v_bfe_u32 v3, v2, 20, 1
	s_mov_b32 s39, 0x487ffff
	v_add3_u32 v3, v2, v3, s39
	s_mov_b64 s[30:31], exec
	v_lshrrev_b32_e32 v3, 20, v3
	s_andn2_saveexec_b64 s[34:35], s[34:35]
	s_cbranch_execnz .LBB384_774
.LBB384_669:
	s_or_b64 exec, exec, s[34:35]
	v_mov_b32_e32 v5, 0
	s_and_saveexec_b64 s[34:35], s[30:31]
.LBB384_670:
	v_lshrrev_b32_e32 v2, 24, v2
	s_movk_i32 s30, 0x80
	v_and_or_b32 v5, v2, s30, v3
.LBB384_671:
	s_or_b64 exec, exec, s[34:35]
.LBB384_672:
	s_or_b64 exec, exec, s[28:29]
	global_store_byte v[0:1], v5, off
.LBB384_673:
	s_mov_b64 s[28:29], -1
.LBB384_674:
	s_mov_b64 s[30:31], 0
.LBB384_675:
	s_and_b64 vcc, exec, s[30:31]
	s_cbranch_vccz .LBB384_716
; %bb.676:
	s_cmp_gt_i32 s37, 22
	s_mov_b64 s[30:31], -1
	s_cbranch_scc0 .LBB384_708
; %bb.677:
	s_cmp_lt_i32 s37, 24
	s_mov_b64 s[28:29], -1
	s_cbranch_scc1 .LBB384_697
; %bb.678:
	s_cmp_gt_i32 s37, 24
	s_cbranch_scc0 .LBB384_686
; %bb.679:
	v_cvt_f32_i32_sdwa v2, sext(v4) dst_sel:DWORD dst_unused:UNUSED_PAD src0_sel:WORD_0
	s_mov_b32 s28, 0x47800000
	v_mov_b32_e32 v5, 0x80
	v_and_b32_e32 v3, 0x7fffffff, v2
	v_cmp_gt_u32_e32 vcc, s28, v3
	s_and_saveexec_b64 s[28:29], vcc
	s_cbranch_execz .LBB384_685
; %bb.680:
	s_mov_b32 s30, 0x37ffffff
	v_cmp_lt_u32_e32 vcc, s30, v3
	s_mov_b64 s[30:31], 0
                                        ; implicit-def: $vgpr3
	s_and_saveexec_b64 s[34:35], vcc
	s_xor_b64 s[34:35], exec, s[34:35]
	s_cbranch_execz .LBB384_776
; %bb.681:
	v_bfe_u32 v3, v2, 21, 1
	s_mov_b32 s39, 0x88fffff
	v_add3_u32 v3, v2, v3, s39
	s_mov_b64 s[30:31], exec
	v_lshrrev_b32_e32 v3, 21, v3
	s_andn2_saveexec_b64 s[34:35], s[34:35]
	s_cbranch_execnz .LBB384_777
.LBB384_682:
	s_or_b64 exec, exec, s[34:35]
	v_mov_b32_e32 v5, 0
	s_and_saveexec_b64 s[34:35], s[30:31]
.LBB384_683:
	v_lshrrev_b32_e32 v2, 24, v2
	s_movk_i32 s30, 0x80
	v_and_or_b32 v5, v2, s30, v3
.LBB384_684:
	s_or_b64 exec, exec, s[34:35]
.LBB384_685:
	s_or_b64 exec, exec, s[28:29]
	s_mov_b64 s[28:29], 0
	global_store_byte v[0:1], v5, off
.LBB384_686:
	s_and_b64 vcc, exec, s[28:29]
	s_cbranch_vccz .LBB384_696
; %bb.687:
	v_cvt_f32_i32_sdwa v2, sext(v4) dst_sel:DWORD dst_unused:UNUSED_PAD src0_sel:WORD_0
	s_mov_b32 s28, 0x43f00000
                                        ; implicit-def: $vgpr3
	v_and_b32_e32 v5, 0x7fffffff, v2
	v_cmp_gt_u32_e32 vcc, s28, v5
	s_and_saveexec_b64 s[28:29], vcc
	s_xor_b64 s[28:29], exec, s[28:29]
	s_cbranch_execz .LBB384_693
; %bb.688:
	s_mov_b32 s30, 0x3c7fffff
	v_cmp_lt_u32_e32 vcc, s30, v5
                                        ; implicit-def: $vgpr3
	s_and_saveexec_b64 s[30:31], vcc
	s_xor_b64 s[30:31], exec, s[30:31]
; %bb.689:
	v_bfe_u32 v3, v2, 20, 1
	s_mov_b32 s34, 0x407ffff
	v_add3_u32 v3, v2, v3, s34
	v_lshrrev_b32_e32 v5, 20, v3
	v_and_b32_e32 v3, 0xff00000, v3
	s_mov_b32 s34, 0x7f00000
	v_mov_b32_e32 v6, 0x7e
	v_cmp_ne_u32_e32 vcc, s34, v3
	s_nop 1
	v_cndmask_b32_e32 v3, v6, v5, vcc
; %bb.690:
	s_andn2_saveexec_b64 s[30:31], s[30:31]
; %bb.691:
	s_mov_b32 s34, 0x46800000
	v_add_f32_e64 v3, |v2|, s34
; %bb.692:
	s_or_b64 exec, exec, s[30:31]
                                        ; implicit-def: $vgpr5
.LBB384_693:
	s_andn2_saveexec_b64 s[28:29], s[28:29]
; %bb.694:
	s_mov_b32 s30, 0x7f800000
	v_mov_b32_e32 v3, 0x7e
	v_mov_b32_e32 v6, 0x7f
	v_cmp_lt_u32_e32 vcc, s30, v5
	s_nop 1
	v_cndmask_b32_e32 v3, v3, v6, vcc
; %bb.695:
	s_or_b64 exec, exec, s[28:29]
	v_lshrrev_b32_e32 v2, 24, v2
	s_movk_i32 s28, 0x80
	v_and_or_b32 v2, v2, s28, v3
	global_store_byte v[0:1], v2, off
.LBB384_696:
	s_mov_b64 s[28:29], 0
.LBB384_697:
	s_andn2_b64 vcc, exec, s[28:29]
	s_cbranch_vccnz .LBB384_707
; %bb.698:
	v_cvt_f32_i32_sdwa v2, sext(v4) dst_sel:DWORD dst_unused:UNUSED_PAD src0_sel:WORD_0
	s_mov_b32 s28, 0x47800000
                                        ; implicit-def: $vgpr3
	v_and_b32_e32 v5, 0x7fffffff, v2
	v_cmp_gt_u32_e32 vcc, s28, v5
	s_and_saveexec_b64 s[28:29], vcc
	s_xor_b64 s[28:29], exec, s[28:29]
	s_cbranch_execz .LBB384_704
; %bb.699:
	s_mov_b32 s30, 0x387fffff
	v_cmp_lt_u32_e32 vcc, s30, v5
                                        ; implicit-def: $vgpr3
	s_and_saveexec_b64 s[30:31], vcc
	s_xor_b64 s[30:31], exec, s[30:31]
; %bb.700:
	v_bfe_u32 v3, v2, 21, 1
	s_mov_b32 s34, 0x80fffff
	v_add3_u32 v3, v2, v3, s34
	v_lshrrev_b32_e32 v3, 21, v3
; %bb.701:
	s_andn2_saveexec_b64 s[30:31], s[30:31]
; %bb.702:
	s_mov_b32 s34, 0x43000000
	v_add_f32_e64 v3, |v2|, s34
; %bb.703:
	s_or_b64 exec, exec, s[30:31]
                                        ; implicit-def: $vgpr5
.LBB384_704:
	s_andn2_saveexec_b64 s[28:29], s[28:29]
; %bb.705:
	s_mov_b32 s30, 0x7f800000
	v_mov_b32_e32 v3, 0x7c
	v_mov_b32_e32 v6, 0x7f
	v_cmp_lt_u32_e32 vcc, s30, v5
	s_nop 1
	v_cndmask_b32_e32 v3, v3, v6, vcc
; %bb.706:
	s_or_b64 exec, exec, s[28:29]
	v_lshrrev_b32_e32 v2, 24, v2
	s_movk_i32 s28, 0x80
	v_and_or_b32 v2, v2, s28, v3
	global_store_byte v[0:1], v2, off
.LBB384_707:
	s_mov_b64 s[30:31], 0
	s_mov_b64 s[28:29], -1
.LBB384_708:
	s_andn2_b64 vcc, exec, s[30:31]
	s_cbranch_vccnz .LBB384_716
; %bb.709:
	s_cmp_gt_i32 s37, 14
	s_mov_b64 s[30:31], -1
	s_cbranch_scc0 .LBB384_713
; %bb.710:
	s_cmp_eq_u32 s37, 15
	s_mov_b64 s[0:1], -1
	s_cbranch_scc0 .LBB384_712
; %bb.711:
	v_cvt_f32_i32_sdwa v2, sext(v4) dst_sel:DWORD dst_unused:UNUSED_PAD src0_sel:WORD_0
	s_movk_i32 s0, 0x7fff
	s_mov_b64 s[28:29], -1
	v_bfe_u32 v3, v2, 16, 1
	v_add3_u32 v2, v2, v3, s0
	global_store_short_d16_hi v[0:1], v2, off
	s_mov_b64 s[0:1], 0
.LBB384_712:
	s_mov_b64 s[30:31], 0
.LBB384_713:
	s_and_b64 vcc, exec, s[30:31]
	s_cbranch_vccz .LBB384_716
; %bb.714:
	s_cmp_eq_u32 s37, 11
	s_mov_b64 s[0:1], -1
	s_cbranch_scc0 .LBB384_716
; %bb.715:
	v_cmp_ne_u16_e32 vcc, 0, v4
	s_mov_b64 s[28:29], -1
	s_mov_b64 s[0:1], 0
	v_cndmask_b32_e64 v2, 0, 1, vcc
	global_store_byte v[0:1], v2, off
.LBB384_716:
	s_mov_b64 s[30:31], 0
.LBB384_717:
	s_and_b64 vcc, exec, s[30:31]
	s_cbranch_vccz .LBB384_756
; %bb.718:
	s_and_b32 s30, 0xffff, s36
	s_cmp_lt_i32 s30, 5
	s_mov_b64 s[28:29], -1
	s_cbranch_scc1 .LBB384_739
; %bb.719:
	s_cmp_lt_i32 s30, 8
	s_cbranch_scc1 .LBB384_729
; %bb.720:
	s_cmp_lt_i32 s30, 9
	s_cbranch_scc1 .LBB384_726
; %bb.721:
	s_cmp_gt_i32 s30, 9
	s_cbranch_scc0 .LBB384_723
; %bb.722:
	v_bfe_i32 v2, v4, 0, 16
	v_mov_b32_e32 v8, 0
	v_cvt_f64_i32_e32 v[6:7], v2
	v_mov_b32_e32 v9, v8
	s_mov_b64 s[28:29], 0
	global_store_dwordx4 v[0:1], v[6:9], off
.LBB384_723:
	s_andn2_b64 vcc, exec, s[28:29]
	s_cbranch_vccnz .LBB384_725
; %bb.724:
	v_cvt_f32_i32_sdwa v2, sext(v4) dst_sel:DWORD dst_unused:UNUSED_PAD src0_sel:WORD_0
	v_mov_b32_e32 v3, 0
	global_store_dwordx2 v[0:1], v[2:3], off
.LBB384_725:
	s_mov_b64 s[28:29], 0
.LBB384_726:
	s_andn2_b64 vcc, exec, s[28:29]
	s_cbranch_vccnz .LBB384_728
; %bb.727:
	v_cvt_f16_i16_e32 v2, v4
	global_store_dword v[0:1], v2, off
.LBB384_728:
	s_mov_b64 s[28:29], 0
.LBB384_729:
	s_andn2_b64 vcc, exec, s[28:29]
	s_cbranch_vccnz .LBB384_738
; %bb.730:
	s_cmp_lt_i32 s30, 6
	s_mov_b64 s[28:29], -1
	s_cbranch_scc1 .LBB384_736
; %bb.731:
	s_cmp_gt_i32 s30, 6
	s_cbranch_scc0 .LBB384_733
; %bb.732:
	v_bfe_i32 v2, v4, 0, 16
	v_cvt_f64_i32_e32 v[2:3], v2
	s_mov_b64 s[28:29], 0
	global_store_dwordx2 v[0:1], v[2:3], off
.LBB384_733:
	s_andn2_b64 vcc, exec, s[28:29]
	s_cbranch_vccnz .LBB384_735
; %bb.734:
	v_cvt_f32_i32_sdwa v2, sext(v4) dst_sel:DWORD dst_unused:UNUSED_PAD src0_sel:WORD_0
	global_store_dword v[0:1], v2, off
.LBB384_735:
	s_mov_b64 s[28:29], 0
.LBB384_736:
	s_andn2_b64 vcc, exec, s[28:29]
	s_cbranch_vccnz .LBB384_738
; %bb.737:
	v_cvt_f16_i16_e32 v2, v4
	global_store_short v[0:1], v2, off
.LBB384_738:
	s_mov_b64 s[28:29], 0
.LBB384_739:
	s_andn2_b64 vcc, exec, s[28:29]
	s_cbranch_vccnz .LBB384_755
; %bb.740:
	s_cmp_lt_i32 s30, 2
	s_mov_b64 s[28:29], -1
	s_cbranch_scc1 .LBB384_750
; %bb.741:
	s_cmp_lt_i32 s30, 3
	s_cbranch_scc1 .LBB384_747
; %bb.742:
	s_cmp_gt_i32 s30, 3
	v_bfe_i32 v2, v4, 0, 16
	s_cbranch_scc0 .LBB384_744
; %bb.743:
	v_ashrrev_i32_e32 v3, 31, v2
	s_mov_b64 s[28:29], 0
	global_store_dwordx2 v[0:1], v[2:3], off
.LBB384_744:
	s_andn2_b64 vcc, exec, s[28:29]
	s_cbranch_vccnz .LBB384_746
; %bb.745:
	global_store_dword v[0:1], v2, off
.LBB384_746:
	s_mov_b64 s[28:29], 0
.LBB384_747:
	s_andn2_b64 vcc, exec, s[28:29]
	s_cbranch_vccnz .LBB384_749
; %bb.748:
	global_store_short v[0:1], v4, off
.LBB384_749:
	s_mov_b64 s[28:29], 0
.LBB384_750:
	s_andn2_b64 vcc, exec, s[28:29]
	s_cbranch_vccnz .LBB384_755
; %bb.751:
	s_cmp_gt_i32 s30, 0
	s_mov_b64 s[28:29], -1
	s_cbranch_scc0 .LBB384_753
; %bb.752:
	s_mov_b64 s[28:29], 0
	global_store_byte v[0:1], v4, off
.LBB384_753:
	s_andn2_b64 vcc, exec, s[28:29]
	s_cbranch_vccnz .LBB384_755
; %bb.754:
	global_store_byte v[0:1], v4, off
.LBB384_755:
	s_mov_b64 s[28:29], -1
.LBB384_756:
	s_andn2_b64 vcc, exec, s[28:29]
	s_cbranch_vccnz .LBB384_758
; %bb.757:
	v_add_u32_e32 v10, 0x80, v10
	s_mov_b64 s[30:31], -1
	s_branch .LBB384_759
.LBB384_758:
	s_mov_b64 s[30:31], 0
                                        ; implicit-def: $vgpr10
.LBB384_759:
	s_andn2_b64 s[28:29], s[20:21], exec
	s_and_b64 s[0:1], s[0:1], exec
	s_or_b64 s[28:29], s[28:29], s[0:1]
	s_andn2_b64 s[0:1], s[18:19], exec
	s_and_b64 s[26:27], s[26:27], exec
	s_or_b64 s[0:1], s[0:1], s[26:27]
	s_orn2_b64 s[34:35], s[30:31], exec
.LBB384_760:
	s_or_b64 exec, exec, s[24:25]
	s_mov_b64 s[30:31], 0
	s_mov_b64 s[26:27], 0
	;; [unrolled: 1-line block ×3, first 2 shown]
                                        ; implicit-def: $vgpr0_vgpr1
                                        ; implicit-def: $vgpr2
	s_and_saveexec_b64 s[24:25], s[34:35]
	s_cbranch_execz .LBB384_841
; %bb.761:
	v_cmp_gt_i32_e32 vcc, s38, v10
	s_mov_b64 s[34:35], 0
	s_mov_b64 s[38:39], s[0:1]
	;; [unrolled: 1-line block ×3, first 2 shown]
                                        ; implicit-def: $vgpr0_vgpr1
                                        ; implicit-def: $vgpr2
	s_and_saveexec_b64 s[26:27], vcc
	s_cbranch_execz .LBB384_840
; %bb.762:
	v_mul_lo_u32 v0, v10, s9
	v_ashrrev_i32_e32 v1, 31, v0
	s_and_b32 s40, 0xffff, s43
	s_cmp_lt_i32 s40, 11
	v_lshl_add_u64 v[0:1], s[6:7], 0, v[0:1]
	s_cbranch_scc1 .LBB384_769
; %bb.763:
	s_cmp_gt_i32 s40, 25
	s_cbranch_scc0 .LBB384_770
; %bb.764:
	s_cmp_gt_i32 s40, 28
	s_cbranch_scc0 .LBB384_771
	;; [unrolled: 3-line block ×4, first 2 shown]
; %bb.767:
	s_cmp_eq_u32 s40, 46
	s_mov_b64 s[38:39], 0
	s_cbranch_scc0 .LBB384_778
; %bb.768:
	global_load_dword v2, v[0:1], off
	s_mov_b64 s[36:37], -1
	s_waitcnt vmcnt(0)
	v_lshlrev_b32_e32 v2, 16, v2
	v_cvt_i32_f32_e32 v2, v2
	s_branch .LBB384_780
.LBB384_769:
	s_mov_b64 s[38:39], -1
                                        ; implicit-def: $vgpr2
	s_mov_b64 s[30:31], s[0:1]
	s_branch .LBB384_839
.LBB384_770:
	s_mov_b64 s[38:39], -1
	s_mov_b64 s[30:31], s[0:1]
                                        ; implicit-def: $vgpr2
	s_branch .LBB384_807
.LBB384_771:
	s_mov_b64 s[38:39], -1
	s_mov_b64 s[30:31], s[0:1]
                                        ; implicit-def: $vgpr2
	s_branch .LBB384_790
.LBB384_772:
	s_mov_b64 s[38:39], -1
	s_mov_b64 s[30:31], s[0:1]
                                        ; implicit-def: $vgpr2
	s_branch .LBB384_785
.LBB384_773:
	s_andn2_saveexec_b64 s[34:35], s[34:35]
	s_cbranch_execz .LBB384_669
.LBB384_774:
	s_mov_b32 s39, 0x46000000
	v_add_f32_e64 v3, |v2|, s39
	v_and_b32_e32 v3, 0xff, v3
	v_cmp_ne_u32_e32 vcc, 0, v3
	s_andn2_b64 s[30:31], s[30:31], exec
	s_and_b64 s[40:41], vcc, exec
	s_or_b64 s[30:31], s[30:31], s[40:41]
	s_or_b64 exec, exec, s[34:35]
	v_mov_b32_e32 v5, 0
	s_and_saveexec_b64 s[34:35], s[30:31]
	s_cbranch_execnz .LBB384_670
	s_branch .LBB384_671
.LBB384_775:
	s_mov_b64 s[38:39], -1
	s_mov_b64 s[30:31], s[0:1]
	s_branch .LBB384_779
.LBB384_776:
	s_andn2_saveexec_b64 s[34:35], s[34:35]
	s_cbranch_execz .LBB384_682
.LBB384_777:
	s_mov_b32 s39, 0x42800000
	v_add_f32_e64 v3, |v2|, s39
	v_and_b32_e32 v3, 0xff, v3
	v_cmp_ne_u32_e32 vcc, 0, v3
	s_andn2_b64 s[30:31], s[30:31], exec
	s_and_b64 s[40:41], vcc, exec
	s_or_b64 s[30:31], s[30:31], s[40:41]
	s_or_b64 exec, exec, s[34:35]
	v_mov_b32_e32 v5, 0
	s_and_saveexec_b64 s[34:35], s[30:31]
	s_cbranch_execnz .LBB384_683
	s_branch .LBB384_684
.LBB384_778:
	s_mov_b64 s[30:31], -1
.LBB384_779:
                                        ; implicit-def: $vgpr2
.LBB384_780:
	s_and_b64 vcc, exec, s[38:39]
	s_cbranch_vccz .LBB384_784
; %bb.781:
	s_cmp_eq_u32 s40, 44
	s_cbranch_scc0 .LBB384_783
; %bb.782:
	global_load_ubyte v2, v[0:1], off
	s_mov_b64 s[30:31], 0
	s_mov_b64 s[36:37], -1
	s_waitcnt vmcnt(0)
	v_lshlrev_b32_e32 v3, 23, v2
	v_cvt_i32_f32_e32 v3, v3
	v_cmp_ne_u32_e32 vcc, 0, v2
	s_nop 1
	v_cndmask_b32_e32 v2, 0, v3, vcc
	s_branch .LBB384_784
.LBB384_783:
	s_mov_b64 s[30:31], -1
                                        ; implicit-def: $vgpr2
.LBB384_784:
	s_mov_b64 s[38:39], 0
.LBB384_785:
	s_and_b64 vcc, exec, s[38:39]
	s_cbranch_vccz .LBB384_789
; %bb.786:
	s_cmp_eq_u32 s40, 29
	s_cbranch_scc0 .LBB384_788
; %bb.787:
	global_load_dwordx2 v[2:3], v[0:1], off
	s_mov_b64 s[30:31], 0
	s_mov_b64 s[36:37], -1
	s_branch .LBB384_789
.LBB384_788:
	s_mov_b64 s[30:31], -1
                                        ; implicit-def: $vgpr2
.LBB384_789:
	s_mov_b64 s[38:39], 0
.LBB384_790:
	s_and_b64 vcc, exec, s[38:39]
	s_cbranch_vccz .LBB384_806
; %bb.791:
	s_cmp_lt_i32 s40, 27
	s_cbranch_scc1 .LBB384_794
; %bb.792:
	s_cmp_gt_i32 s40, 27
	s_cbranch_scc0 .LBB384_795
; %bb.793:
	global_load_dword v2, v[0:1], off
	s_mov_b64 s[36:37], 0
	s_branch .LBB384_796
.LBB384_794:
	s_mov_b64 s[36:37], -1
                                        ; implicit-def: $vgpr2
	s_branch .LBB384_799
.LBB384_795:
	s_mov_b64 s[36:37], -1
                                        ; implicit-def: $vgpr2
.LBB384_796:
	s_andn2_b64 vcc, exec, s[36:37]
	s_cbranch_vccnz .LBB384_798
; %bb.797:
	global_load_ushort v2, v[0:1], off
.LBB384_798:
	s_mov_b64 s[36:37], 0
.LBB384_799:
	s_andn2_b64 vcc, exec, s[36:37]
	s_cbranch_vccnz .LBB384_805
; %bb.800:
	global_load_ubyte v3, v[0:1], off
	s_movk_i32 s36, 0x7f
	s_mov_b64 s[38:39], 0
	s_waitcnt vmcnt(0)
	v_cmp_lt_i16_e32 vcc, s36, v3
	s_and_saveexec_b64 s[36:37], vcc
	s_xor_b64 s[36:37], exec, s[36:37]
	s_cbranch_execz .LBB384_817
; %bb.801:
	s_movk_i32 s38, 0x80
	v_cmp_ne_u16_e32 vcc, s38, v3
	s_and_b64 s[38:39], vcc, exec
	s_andn2_saveexec_b64 s[36:37], s[36:37]
	s_cbranch_execnz .LBB384_818
.LBB384_802:
	s_or_b64 exec, exec, s[36:37]
	v_mov_b32_e32 v2, 0
	s_and_saveexec_b64 s[36:37], s[38:39]
	s_cbranch_execz .LBB384_804
.LBB384_803:
	v_lshlrev_b32_e32 v2, 24, v3
	v_and_b32_e32 v3, 0xffff, v3
	v_and_b32_e32 v4, 7, v3
	v_ffbh_u32_e32 v6, v4
	v_min_u32_e32 v6, 32, v6
	v_subrev_u32_e32 v7, 28, v6
	v_bfe_u32 v5, v3, 3, 4
	v_lshlrev_b32_e32 v3, v7, v3
	v_sub_u32_e32 v6, 29, v6
	v_and_b32_e32 v3, 7, v3
	v_cmp_eq_u32_e32 vcc, 0, v5
	v_and_b32_e32 v2, 0x80000000, v2
	s_nop 0
	v_cndmask_b32_e32 v5, v5, v6, vcc
	v_cndmask_b32_e32 v3, v4, v3, vcc
	v_mov_b32_e32 v4, 0x3b800000
	v_lshlrev_b32_e32 v3, 20, v3
	v_lshl_add_u32 v4, v5, 23, v4
	v_or3_b32 v2, v2, v4, v3
	v_cvt_i32_f32_e32 v2, v2
.LBB384_804:
	s_or_b64 exec, exec, s[36:37]
.LBB384_805:
	s_mov_b64 s[36:37], -1
.LBB384_806:
	s_mov_b64 s[38:39], 0
.LBB384_807:
	s_and_b64 vcc, exec, s[38:39]
	s_cbranch_vccz .LBB384_838
; %bb.808:
	s_cmp_gt_i32 s40, 22
	s_cbranch_scc0 .LBB384_816
; %bb.809:
	s_cmp_lt_i32 s40, 24
	s_cbranch_scc1 .LBB384_819
; %bb.810:
	s_cmp_gt_i32 s40, 24
	s_cbranch_scc0 .LBB384_820
; %bb.811:
	global_load_ubyte v3, v[0:1], off
	s_movk_i32 s34, 0x7f
	s_mov_b64 s[36:37], 0
	s_waitcnt vmcnt(0)
	v_cmp_lt_i16_e32 vcc, s34, v3
	s_and_saveexec_b64 s[34:35], vcc
	s_xor_b64 s[34:35], exec, s[34:35]
	s_cbranch_execz .LBB384_832
; %bb.812:
	s_movk_i32 s36, 0x80
	v_cmp_ne_u16_e32 vcc, s36, v3
	s_and_b64 s[36:37], vcc, exec
	s_andn2_saveexec_b64 s[34:35], s[34:35]
	s_cbranch_execnz .LBB384_833
.LBB384_813:
	s_or_b64 exec, exec, s[34:35]
	v_mov_b32_e32 v2, 0
	s_and_saveexec_b64 s[34:35], s[36:37]
	s_cbranch_execz .LBB384_815
.LBB384_814:
	v_lshlrev_b32_e32 v2, 24, v3
	v_and_b32_e32 v3, 0xffff, v3
	v_and_b32_e32 v4, 3, v3
	v_ffbh_u32_e32 v6, v4
	v_min_u32_e32 v6, 32, v6
	v_subrev_u32_e32 v7, 29, v6
	v_bfe_u32 v5, v3, 2, 5
	v_lshlrev_b32_e32 v3, v7, v3
	v_sub_u32_e32 v6, 30, v6
	v_and_b32_e32 v3, 3, v3
	v_cmp_eq_u32_e32 vcc, 0, v5
	v_and_b32_e32 v2, 0x80000000, v2
	s_nop 0
	v_cndmask_b32_e32 v5, v5, v6, vcc
	v_cndmask_b32_e32 v3, v4, v3, vcc
	v_mov_b32_e32 v4, 0x37800000
	v_lshlrev_b32_e32 v3, 21, v3
	v_lshl_add_u32 v4, v5, 23, v4
	v_or3_b32 v2, v2, v4, v3
	v_cvt_i32_f32_e32 v2, v2
.LBB384_815:
	s_or_b64 exec, exec, s[34:35]
	s_mov_b64 s[34:35], 0
	s_branch .LBB384_821
.LBB384_816:
	s_mov_b64 s[34:35], -1
                                        ; implicit-def: $vgpr2
	s_branch .LBB384_827
.LBB384_817:
	s_andn2_saveexec_b64 s[36:37], s[36:37]
	s_cbranch_execz .LBB384_802
.LBB384_818:
	v_cmp_ne_u16_e32 vcc, 0, v3
	s_andn2_b64 s[38:39], s[38:39], exec
	s_and_b64 s[44:45], vcc, exec
	s_or_b64 s[38:39], s[38:39], s[44:45]
	s_or_b64 exec, exec, s[36:37]
	v_mov_b32_e32 v2, 0
	s_and_saveexec_b64 s[36:37], s[38:39]
	s_cbranch_execnz .LBB384_803
	s_branch .LBB384_804
.LBB384_819:
	s_mov_b64 s[34:35], -1
                                        ; implicit-def: $vgpr2
	s_branch .LBB384_824
.LBB384_820:
	s_mov_b64 s[34:35], -1
                                        ; implicit-def: $vgpr2
.LBB384_821:
	s_and_b64 vcc, exec, s[34:35]
	s_cbranch_vccz .LBB384_823
; %bb.822:
	global_load_ubyte v2, v[0:1], off
	s_mov_b32 s34, 0x7f800000
	s_waitcnt vmcnt(0)
	v_lshlrev_b32_e32 v2, 24, v2
	v_and_b32_e32 v3, 0x7f000000, v2
	v_ffbh_u32_e32 v4, v3
	v_min_u32_e32 v4, 32, v4
	v_sub_u32_e64 v4, v4, 4 clamp
	v_lshlrev_b32_e32 v6, v4, v3
	v_lshlrev_b32_e32 v4, 23, v4
	v_lshrrev_b32_e32 v6, 4, v6
	v_add_u32_e32 v5, 0x1000000, v3
	v_sub_u32_e32 v4, v6, v4
	v_ashrrev_i32_e32 v5, 8, v5
	v_add_u32_e32 v4, 0x3c000000, v4
	v_and_or_b32 v4, v5, s34, v4
	v_cmp_ne_u32_e32 vcc, 0, v3
	s_brev_b32 s34, 1
	s_nop 0
	v_cndmask_b32_e32 v3, 0, v4, vcc
	v_and_or_b32 v2, v2, s34, v3
	v_cvt_i32_f32_e32 v2, v2
.LBB384_823:
	s_mov_b64 s[34:35], 0
.LBB384_824:
	s_andn2_b64 vcc, exec, s[34:35]
	s_cbranch_vccnz .LBB384_826
; %bb.825:
	global_load_ubyte v2, v[0:1], off
	s_movk_i32 s34, 0x7f00
	s_brev_b32 s35, 16
	s_waitcnt vmcnt(0)
	v_lshlrev_b16_e32 v3, 8, v2
	v_lshlrev_b32_e32 v2, 25, v2
	v_lshrrev_b32_e32 v4, 4, v2
	v_and_or_b32 v5, v3, s34, 0.5
	v_or_b32_e32 v4, 0x70000000, v4
	v_add_f32_e32 v5, -0.5, v5
	v_mul_f32_e32 v4, 0x7800000, v4
	v_cmp_gt_u32_e32 vcc, s35, v2
	v_bfe_i32 v3, v3, 0, 16
	s_brev_b32 s34, 1
	v_cndmask_b32_e32 v2, v4, v5, vcc
	v_and_or_b32 v2, v3, s34, v2
	v_cvt_i32_f32_e32 v2, v2
.LBB384_826:
	s_mov_b64 s[34:35], 0
	s_mov_b64 s[36:37], -1
.LBB384_827:
	s_andn2_b64 vcc, exec, s[34:35]
	s_mov_b64 s[34:35], 0
	s_cbranch_vccnz .LBB384_838
; %bb.828:
	s_cmp_gt_i32 s40, 14
	s_cbranch_scc0 .LBB384_831
; %bb.829:
	s_cmp_eq_u32 s40, 15
	s_cbranch_scc0 .LBB384_834
; %bb.830:
	global_load_ushort v2, v[0:1], off
	s_mov_b64 s[30:31], 0
	s_mov_b64 s[36:37], -1
	s_waitcnt vmcnt(0)
	v_lshlrev_b32_e32 v2, 16, v2
	v_cvt_i32_f32_e32 v2, v2
	s_branch .LBB384_835
.LBB384_831:
	s_mov_b64 s[38:39], -1
                                        ; implicit-def: $vgpr2
	s_branch .LBB384_836
.LBB384_832:
	s_andn2_saveexec_b64 s[34:35], s[34:35]
	s_cbranch_execz .LBB384_813
.LBB384_833:
	v_cmp_ne_u16_e32 vcc, 0, v3
	s_andn2_b64 s[36:37], s[36:37], exec
	s_and_b64 s[38:39], vcc, exec
	s_or_b64 s[36:37], s[36:37], s[38:39]
	s_or_b64 exec, exec, s[34:35]
	v_mov_b32_e32 v2, 0
	s_and_saveexec_b64 s[34:35], s[36:37]
	s_cbranch_execnz .LBB384_814
	s_branch .LBB384_815
.LBB384_834:
	s_mov_b64 s[30:31], -1
                                        ; implicit-def: $vgpr2
.LBB384_835:
	s_mov_b64 s[38:39], 0
.LBB384_836:
	s_and_b64 vcc, exec, s[38:39]
	s_cbranch_vccz .LBB384_838
; %bb.837:
	s_cmp_lg_u32 s40, 11
	s_cselect_b64 s[38:39], -1, 0
	s_andn2_b64 s[30:31], s[30:31], exec
	s_and_b64 s[38:39], s[38:39], exec
	s_mov_b64 s[34:35], -1
	s_or_b64 s[30:31], s[30:31], s[38:39]
.LBB384_838:
	s_mov_b64 s[38:39], 0
.LBB384_839:
	s_and_b64 s[40:41], s[38:39], exec
	s_andn2_b64 s[38:39], s[0:1], exec
	s_and_b64 s[30:31], s[30:31], exec
	s_and_b64 s[36:37], s[36:37], exec
	s_and_b64 s[34:35], s[34:35], exec
	s_or_b64 s[38:39], s[38:39], s[30:31]
.LBB384_840:
	s_or_b64 exec, exec, s[26:27]
	s_and_b64 s[30:31], s[34:35], exec
	s_andn2_b64 s[0:1], s[0:1], exec
	s_and_b64 s[34:35], s[38:39], exec
	s_and_b64 s[36:37], s[36:37], exec
	;; [unrolled: 1-line block ×3, first 2 shown]
	s_or_b64 s[0:1], s[0:1], s[34:35]
.LBB384_841:
	s_or_b64 exec, exec, s[24:25]
	s_andn2_b64 s[20:21], s[20:21], exec
	s_and_b64 s[24:25], s[28:29], exec
	s_andn2_b64 s[18:19], s[18:19], exec
	s_and_b64 s[0:1], s[0:1], exec
	s_or_b64 s[20:21], s[20:21], s[24:25]
	s_and_b64 s[28:29], s[36:37], exec
	s_and_b64 s[26:27], s[26:27], exec
	;; [unrolled: 1-line block ×3, first 2 shown]
	s_or_b64 s[18:19], s[18:19], s[0:1]
.LBB384_842:
	s_or_b64 exec, exec, s[22:23]
	s_andn2_b64 s[0:1], s[12:13], exec
	s_and_b64 s[12:13], s[20:21], exec
	s_andn2_b64 s[14:15], s[14:15], exec
	s_and_b64 s[18:19], s[18:19], exec
	s_or_b64 s[12:13], s[0:1], s[12:13]
	s_and_b64 s[0:1], s[28:29], exec
	s_and_b64 s[22:23], s[26:27], exec
	;; [unrolled: 1-line block ×3, first 2 shown]
	s_or_b64 s[14:15], s[14:15], s[18:19]
	s_or_b64 exec, exec, s[16:17]
	s_mov_b64 s[16:17], 0
	s_and_saveexec_b64 s[18:19], s[14:15]
	s_cbranch_execz .LBB384_258
.LBB384_843:
	s_mov_b64 s[16:17], exec
	s_andn2_b64 s[20:21], s[20:21], exec
	s_trap 2
	s_or_b64 exec, exec, s[18:19]
	s_and_saveexec_b64 s[14:15], s[20:21]
	s_xor_b64 s[14:15], exec, s[14:15]
	s_cbranch_execnz .LBB384_259
.LBB384_844:
	s_or_b64 exec, exec, s[14:15]
	s_and_saveexec_b64 s[14:15], s[22:23]
	s_cbranch_execz .LBB384_890
.LBB384_845:
	s_sext_i32_i16 s18, s43
	s_cmp_lt_i32 s18, 5
	s_cbranch_scc1 .LBB384_850
; %bb.846:
	s_cmp_lt_i32 s18, 8
	s_cbranch_scc1 .LBB384_851
; %bb.847:
	;; [unrolled: 3-line block ×3, first 2 shown]
	s_cmp_gt_i32 s18, 9
	s_cbranch_scc0 .LBB384_853
; %bb.849:
	global_load_dwordx2 v[2:3], v[0:1], off
	s_mov_b64 s[18:19], 0
	s_waitcnt vmcnt(0)
	v_cvt_i32_f64_e32 v2, v[2:3]
	s_branch .LBB384_854
.LBB384_850:
                                        ; implicit-def: $vgpr2
	s_branch .LBB384_871
.LBB384_851:
                                        ; implicit-def: $vgpr2
	s_branch .LBB384_860
.LBB384_852:
	s_mov_b64 s[18:19], -1
                                        ; implicit-def: $vgpr2
	s_branch .LBB384_857
.LBB384_853:
	s_mov_b64 s[18:19], -1
                                        ; implicit-def: $vgpr2
.LBB384_854:
	s_andn2_b64 vcc, exec, s[18:19]
	s_cbranch_vccnz .LBB384_856
; %bb.855:
	global_load_dword v2, v[0:1], off
	s_waitcnt vmcnt(0)
	v_cvt_i32_f32_e32 v2, v2
.LBB384_856:
	s_mov_b64 s[18:19], 0
.LBB384_857:
	s_andn2_b64 vcc, exec, s[18:19]
	s_cbranch_vccnz .LBB384_859
; %bb.858:
	global_load_dword v2, v[0:1], off
	s_waitcnt vmcnt(0)
	v_cvt_i16_f16_e32 v2, v2
.LBB384_859:
	s_cbranch_execnz .LBB384_870
.LBB384_860:
	s_sext_i32_i16 s18, s43
	s_cmp_lt_i32 s18, 6
	s_cbranch_scc1 .LBB384_863
; %bb.861:
	s_cmp_gt_i32 s18, 6
	s_cbranch_scc0 .LBB384_864
; %bb.862:
	global_load_dwordx2 v[2:3], v[0:1], off
	s_mov_b64 s[18:19], 0
	s_waitcnt vmcnt(0)
	v_cvt_i32_f64_e32 v2, v[2:3]
	s_branch .LBB384_865
.LBB384_863:
	s_mov_b64 s[18:19], -1
                                        ; implicit-def: $vgpr2
	s_branch .LBB384_868
.LBB384_864:
	s_mov_b64 s[18:19], -1
                                        ; implicit-def: $vgpr2
.LBB384_865:
	s_andn2_b64 vcc, exec, s[18:19]
	s_cbranch_vccnz .LBB384_867
; %bb.866:
	global_load_dword v2, v[0:1], off
	s_waitcnt vmcnt(0)
	v_cvt_i32_f32_e32 v2, v2
.LBB384_867:
	s_mov_b64 s[18:19], 0
.LBB384_868:
	s_andn2_b64 vcc, exec, s[18:19]
	s_cbranch_vccnz .LBB384_870
; %bb.869:
	global_load_ushort v2, v[0:1], off
	s_waitcnt vmcnt(0)
	v_cvt_i16_f16_e32 v2, v2
.LBB384_870:
	s_cbranch_execnz .LBB384_889
.LBB384_871:
	s_sext_i32_i16 s18, s43
	s_cmp_lt_i32 s18, 2
	s_cbranch_scc1 .LBB384_875
; %bb.872:
	s_cmp_lt_i32 s18, 3
	s_cbranch_scc1 .LBB384_876
; %bb.873:
	s_cmp_gt_i32 s18, 3
	s_cbranch_scc0 .LBB384_877
; %bb.874:
	global_load_dwordx2 v[2:3], v[0:1], off
	s_mov_b64 s[18:19], 0
	s_branch .LBB384_878
.LBB384_875:
                                        ; implicit-def: $vgpr2
	s_branch .LBB384_884
.LBB384_876:
	s_mov_b64 s[18:19], -1
                                        ; implicit-def: $vgpr2
	s_branch .LBB384_881
.LBB384_877:
	s_mov_b64 s[18:19], -1
                                        ; implicit-def: $vgpr2
.LBB384_878:
	s_andn2_b64 vcc, exec, s[18:19]
	s_cbranch_vccnz .LBB384_880
; %bb.879:
	global_load_dword v2, v[0:1], off
.LBB384_880:
	s_mov_b64 s[18:19], 0
.LBB384_881:
	s_andn2_b64 vcc, exec, s[18:19]
	s_cbranch_vccnz .LBB384_883
; %bb.882:
	global_load_ushort v2, v[0:1], off
.LBB384_883:
	s_cbranch_execnz .LBB384_889
.LBB384_884:
	s_sext_i32_i16 s18, s43
	s_cmp_gt_i32 s18, 0
	s_cbranch_scc0 .LBB384_886
; %bb.885:
	global_load_sbyte v2, v[0:1], off
	s_mov_b64 s[18:19], 0
	s_branch .LBB384_887
.LBB384_886:
	s_mov_b64 s[18:19], -1
                                        ; implicit-def: $vgpr2
.LBB384_887:
	s_andn2_b64 vcc, exec, s[18:19]
	s_cbranch_vccnz .LBB384_889
; %bb.888:
	global_load_ubyte v2, v[0:1], off
.LBB384_889:
	s_or_b64 s[0:1], s[0:1], exec
.LBB384_890:
	s_or_b64 exec, exec, s[14:15]
	s_mov_b64 s[20:21], 0
	s_mov_b64 s[18:19], 0
                                        ; implicit-def: $sgpr26
                                        ; implicit-def: $vgpr0_vgpr1
                                        ; implicit-def: $vgpr4
	s_and_saveexec_b64 s[14:15], s[0:1]
	s_cbranch_execz .LBB384_898
; %bb.891:
	v_mul_lo_u32 v0, v10, s8
	v_ashrrev_i32_e32 v1, 31, v0
	s_and_b32 s26, s42, 0xff
	s_waitcnt vmcnt(0)
	v_max_i16_e32 v4, s33, v2
	s_cmp_lt_i32 s26, 11
	v_lshl_add_u64 v[0:1], s[4:5], 0, v[0:1]
	s_cbranch_scc1 .LBB384_901
; %bb.892:
	s_and_b32 s27, 0xffff, s26
	s_mov_b64 s[20:21], -1
	s_cmp_gt_i32 s27, 25
	s_mov_b64 s[0:1], s[12:13]
	s_cbranch_scc0 .LBB384_929
; %bb.893:
	s_mov_b64 s[18:19], -1
	s_cmp_gt_i32 s27, 28
	s_mov_b64 s[0:1], s[12:13]
	s_cbranch_scc0 .LBB384_913
; %bb.894:
	s_cmp_gt_i32 s27, 43
	s_mov_b64 s[0:1], s[12:13]
	s_cbranch_scc0 .LBB384_909
; %bb.895:
	;; [unrolled: 4-line block ×3, first 2 shown]
	s_cmp_eq_u32 s27, 46
	s_mov_b64 s[0:1], -1
	s_cbranch_scc0 .LBB384_902
; %bb.897:
	v_cvt_f32_i32_sdwa v2, sext(v4) dst_sel:DWORD dst_unused:UNUSED_PAD src0_sel:WORD_0
	s_movk_i32 s0, 0x7fff
	s_mov_b64 s[18:19], 0
	v_bfe_u32 v3, v2, 16, 1
	v_add3_u32 v2, v2, v3, s0
	v_lshrrev_b32_e32 v2, 16, v2
	global_store_dword v[0:1], v2, off
	s_mov_b64 s[0:1], 0
	s_branch .LBB384_903
.LBB384_898:
	s_or_b64 exec, exec, s[14:15]
	s_and_saveexec_b64 s[0:1], s[12:13]
	s_cbranch_execnz .LBB384_971
.LBB384_899:
	s_or_b64 exec, exec, s[0:1]
	s_and_saveexec_b64 s[0:1], s[20:21]
	s_xor_b64 s[0:1], exec, s[0:1]
	s_cbranch_execz .LBB384_972
.LBB384_900:
	v_cmp_ne_u16_e32 vcc, 0, v4
	s_waitcnt vmcnt(0)
	s_nop 0
	v_cndmask_b32_e64 v2, 0, 1, vcc
	global_store_byte v[0:1], v2, off
	s_or_b64 exec, exec, s[0:1]
	s_and_saveexec_b64 s[0:1], s[18:19]
	s_xor_b64 s[0:1], exec, s[0:1]
	s_cbranch_execz .LBB384_1010
	s_branch .LBB384_973
.LBB384_901:
	s_mov_b64 s[18:19], -1
	s_mov_b64 s[0:1], s[12:13]
	s_branch .LBB384_970
.LBB384_902:
	s_mov_b64 s[18:19], 0
.LBB384_903:
	s_and_b64 vcc, exec, s[18:19]
	s_cbranch_vccz .LBB384_908
; %bb.904:
	s_cmp_eq_u32 s27, 44
	s_mov_b64 s[0:1], -1
	s_cbranch_scc0 .LBB384_908
; %bb.905:
	v_cvt_f32_i32_sdwa v2, sext(v4) dst_sel:DWORD dst_unused:UNUSED_PAD src0_sel:WORD_0
	s_movk_i32 s0, 0xff
	v_mov_b32_e32 v5, 0xff
	v_bfe_u32 v3, v2, 23, 8
	v_cmp_ne_u32_e32 vcc, s0, v3
	s_and_saveexec_b64 s[18:19], vcc
; %bb.906:
	s_mov_b32 s0, 0x3fffff
	v_lshrrev_b32_e32 v5, 23, v2
	v_and_b32_e32 v6, 0x400000, v2
	v_and_or_b32 v2, v2, s0, v3
	v_cmp_ne_u32_e32 vcc, 0, v6
	v_cmp_ne_u32_e64 s[0:1], 0, v2
	s_and_b64 s[0:1], vcc, s[0:1]
	s_nop 0
	v_cndmask_b32_e64 v2, 0, 1, s[0:1]
	v_add_u32_e32 v5, v5, v2
; %bb.907:
	s_or_b64 exec, exec, s[18:19]
	s_mov_b64 s[0:1], 0
	global_store_byte v[0:1], v5, off
.LBB384_908:
	s_mov_b64 s[18:19], 0
.LBB384_909:
	s_and_b64 vcc, exec, s[18:19]
	s_cbranch_vccz .LBB384_912
; %bb.910:
	s_cmp_eq_u32 s27, 29
	s_mov_b64 s[0:1], -1
	s_cbranch_scc0 .LBB384_912
; %bb.911:
	v_bfe_i32 v2, v4, 0, 16
	v_ashrrev_i32_e32 v3, 31, v2
	global_store_dwordx2 v[0:1], v[2:3], off
	s_mov_b64 s[0:1], 0
.LBB384_912:
	s_mov_b64 s[18:19], 0
.LBB384_913:
	s_and_b64 vcc, exec, s[18:19]
	s_cbranch_vccz .LBB384_928
; %bb.914:
	s_cmp_lt_i32 s27, 27
	s_mov_b64 s[18:19], -1
	s_cbranch_scc1 .LBB384_920
; %bb.915:
	s_cmp_gt_i32 s27, 27
	s_cbranch_scc0 .LBB384_917
; %bb.916:
	v_bfe_i32 v2, v4, 0, 16
	s_mov_b64 s[18:19], 0
	global_store_dword v[0:1], v2, off
.LBB384_917:
	s_andn2_b64 vcc, exec, s[18:19]
	s_cbranch_vccnz .LBB384_919
; %bb.918:
	global_store_short v[0:1], v4, off
.LBB384_919:
	s_mov_b64 s[18:19], 0
.LBB384_920:
	s_andn2_b64 vcc, exec, s[18:19]
	s_cbranch_vccnz .LBB384_928
; %bb.921:
	v_cvt_f32_i32_sdwa v2, sext(v4) dst_sel:DWORD dst_unused:UNUSED_PAD src0_sel:WORD_0
	s_mov_b32 s18, 0x43800000
	v_mov_b32_e32 v5, 0x80
	v_and_b32_e32 v3, 0x7fffffff, v2
	v_cmp_gt_u32_e32 vcc, s18, v3
	s_and_saveexec_b64 s[18:19], vcc
	s_cbranch_execz .LBB384_927
; %bb.922:
	s_mov_b32 s20, 0x3bffffff
	v_cmp_lt_u32_e32 vcc, s20, v3
	s_mov_b64 s[20:21], 0
                                        ; implicit-def: $vgpr3
	s_and_saveexec_b64 s[22:23], vcc
	s_xor_b64 s[22:23], exec, s[22:23]
	s_cbranch_execz .LBB384_1025
; %bb.923:
	v_bfe_u32 v3, v2, 20, 1
	s_mov_b32 s24, 0x487ffff
	v_add3_u32 v3, v2, v3, s24
	s_mov_b64 s[20:21], exec
	v_lshrrev_b32_e32 v3, 20, v3
	s_andn2_saveexec_b64 s[22:23], s[22:23]
	s_cbranch_execnz .LBB384_1026
.LBB384_924:
	s_or_b64 exec, exec, s[22:23]
	v_mov_b32_e32 v5, 0
	s_and_saveexec_b64 s[22:23], s[20:21]
.LBB384_925:
	v_lshrrev_b32_e32 v2, 24, v2
	s_movk_i32 s20, 0x80
	v_and_or_b32 v5, v2, s20, v3
.LBB384_926:
	s_or_b64 exec, exec, s[22:23]
.LBB384_927:
	s_or_b64 exec, exec, s[18:19]
	global_store_byte v[0:1], v5, off
.LBB384_928:
	s_mov_b64 s[20:21], 0
.LBB384_929:
	s_mov_b64 s[18:19], 0
	s_and_b64 vcc, exec, s[20:21]
	s_cbranch_vccz .LBB384_969
; %bb.930:
	s_cmp_gt_i32 s27, 22
	s_mov_b64 s[20:21], -1
	s_cbranch_scc0 .LBB384_962
; %bb.931:
	s_cmp_lt_i32 s27, 24
	s_cbranch_scc1 .LBB384_951
; %bb.932:
	s_cmp_gt_i32 s27, 24
	s_cbranch_scc0 .LBB384_940
; %bb.933:
	v_cvt_f32_i32_sdwa v2, sext(v4) dst_sel:DWORD dst_unused:UNUSED_PAD src0_sel:WORD_0
	s_mov_b32 s20, 0x47800000
	v_mov_b32_e32 v5, 0x80
	v_and_b32_e32 v3, 0x7fffffff, v2
	v_cmp_gt_u32_e32 vcc, s20, v3
	s_and_saveexec_b64 s[20:21], vcc
	s_cbranch_execz .LBB384_939
; %bb.934:
	s_mov_b32 s22, 0x37ffffff
	v_cmp_lt_u32_e32 vcc, s22, v3
	s_mov_b64 s[22:23], 0
                                        ; implicit-def: $vgpr3
	s_and_saveexec_b64 s[24:25], vcc
	s_xor_b64 s[24:25], exec, s[24:25]
	s_cbranch_execz .LBB384_1145
; %bb.935:
	v_bfe_u32 v3, v2, 21, 1
	s_mov_b32 s28, 0x88fffff
	v_add3_u32 v3, v2, v3, s28
	s_mov_b64 s[22:23], exec
	v_lshrrev_b32_e32 v3, 21, v3
	s_andn2_saveexec_b64 s[24:25], s[24:25]
	s_cbranch_execnz .LBB384_1146
.LBB384_936:
	s_or_b64 exec, exec, s[24:25]
	v_mov_b32_e32 v5, 0
	s_and_saveexec_b64 s[24:25], s[22:23]
.LBB384_937:
	v_lshrrev_b32_e32 v2, 24, v2
	s_movk_i32 s22, 0x80
	v_and_or_b32 v5, v2, s22, v3
.LBB384_938:
	s_or_b64 exec, exec, s[24:25]
.LBB384_939:
	s_or_b64 exec, exec, s[20:21]
	s_mov_b64 s[20:21], 0
	global_store_byte v[0:1], v5, off
.LBB384_940:
	s_and_b64 vcc, exec, s[20:21]
	s_cbranch_vccz .LBB384_950
; %bb.941:
	v_cvt_f32_i32_sdwa v2, sext(v4) dst_sel:DWORD dst_unused:UNUSED_PAD src0_sel:WORD_0
	s_mov_b32 s20, 0x43f00000
                                        ; implicit-def: $vgpr3
	v_and_b32_e32 v5, 0x7fffffff, v2
	v_cmp_gt_u32_e32 vcc, s20, v5
	s_and_saveexec_b64 s[20:21], vcc
	s_xor_b64 s[20:21], exec, s[20:21]
	s_cbranch_execz .LBB384_947
; %bb.942:
	s_mov_b32 s22, 0x3c7fffff
	v_cmp_lt_u32_e32 vcc, s22, v5
                                        ; implicit-def: $vgpr3
	s_and_saveexec_b64 s[22:23], vcc
	s_xor_b64 s[22:23], exec, s[22:23]
; %bb.943:
	v_bfe_u32 v3, v2, 20, 1
	s_mov_b32 s24, 0x407ffff
	v_add3_u32 v3, v2, v3, s24
	v_lshrrev_b32_e32 v5, 20, v3
	v_and_b32_e32 v3, 0xff00000, v3
	s_mov_b32 s24, 0x7f00000
	v_mov_b32_e32 v6, 0x7e
	v_cmp_ne_u32_e32 vcc, s24, v3
	s_nop 1
	v_cndmask_b32_e32 v3, v6, v5, vcc
; %bb.944:
	s_andn2_saveexec_b64 s[22:23], s[22:23]
; %bb.945:
	s_mov_b32 s24, 0x46800000
	v_add_f32_e64 v3, |v2|, s24
; %bb.946:
	s_or_b64 exec, exec, s[22:23]
                                        ; implicit-def: $vgpr5
.LBB384_947:
	s_andn2_saveexec_b64 s[20:21], s[20:21]
; %bb.948:
	s_mov_b32 s22, 0x7f800000
	v_mov_b32_e32 v3, 0x7e
	v_mov_b32_e32 v6, 0x7f
	v_cmp_lt_u32_e32 vcc, s22, v5
	s_nop 1
	v_cndmask_b32_e32 v3, v3, v6, vcc
; %bb.949:
	s_or_b64 exec, exec, s[20:21]
	v_lshrrev_b32_e32 v2, 24, v2
	s_movk_i32 s20, 0x80
	v_and_or_b32 v2, v2, s20, v3
	global_store_byte v[0:1], v2, off
.LBB384_950:
	s_mov_b64 s[20:21], 0
.LBB384_951:
	s_andn2_b64 vcc, exec, s[20:21]
	s_cbranch_vccnz .LBB384_961
; %bb.952:
	v_cvt_f32_i32_sdwa v2, sext(v4) dst_sel:DWORD dst_unused:UNUSED_PAD src0_sel:WORD_0
	s_mov_b32 s20, 0x47800000
                                        ; implicit-def: $vgpr3
	v_and_b32_e32 v5, 0x7fffffff, v2
	v_cmp_gt_u32_e32 vcc, s20, v5
	s_and_saveexec_b64 s[20:21], vcc
	s_xor_b64 s[20:21], exec, s[20:21]
	s_cbranch_execz .LBB384_958
; %bb.953:
	s_mov_b32 s22, 0x387fffff
	v_cmp_lt_u32_e32 vcc, s22, v5
                                        ; implicit-def: $vgpr3
	s_and_saveexec_b64 s[22:23], vcc
	s_xor_b64 s[22:23], exec, s[22:23]
; %bb.954:
	v_bfe_u32 v3, v2, 21, 1
	s_mov_b32 s24, 0x80fffff
	v_add3_u32 v3, v2, v3, s24
	v_lshrrev_b32_e32 v3, 21, v3
; %bb.955:
	s_andn2_saveexec_b64 s[22:23], s[22:23]
; %bb.956:
	s_mov_b32 s24, 0x43000000
	v_add_f32_e64 v3, |v2|, s24
; %bb.957:
	s_or_b64 exec, exec, s[22:23]
                                        ; implicit-def: $vgpr5
.LBB384_958:
	s_andn2_saveexec_b64 s[20:21], s[20:21]
; %bb.959:
	s_mov_b32 s22, 0x7f800000
	v_mov_b32_e32 v3, 0x7c
	v_mov_b32_e32 v6, 0x7f
	v_cmp_lt_u32_e32 vcc, s22, v5
	s_nop 1
	v_cndmask_b32_e32 v3, v3, v6, vcc
; %bb.960:
	s_or_b64 exec, exec, s[20:21]
	v_lshrrev_b32_e32 v2, 24, v2
	s_movk_i32 s20, 0x80
	v_and_or_b32 v2, v2, s20, v3
	global_store_byte v[0:1], v2, off
.LBB384_961:
	s_mov_b64 s[20:21], 0
.LBB384_962:
	s_andn2_b64 vcc, exec, s[20:21]
	s_mov_b64 s[20:21], 0
	s_cbranch_vccnz .LBB384_970
; %bb.963:
	s_cmp_gt_i32 s27, 14
	s_mov_b64 s[22:23], -1
	s_cbranch_scc0 .LBB384_967
; %bb.964:
	s_cmp_eq_u32 s27, 15
	s_mov_b64 s[0:1], -1
	s_cbranch_scc0 .LBB384_966
; %bb.965:
	v_cvt_f32_i32_sdwa v2, sext(v4) dst_sel:DWORD dst_unused:UNUSED_PAD src0_sel:WORD_0
	s_movk_i32 s0, 0x7fff
	v_bfe_u32 v3, v2, 16, 1
	v_add3_u32 v2, v2, v3, s0
	global_store_short_d16_hi v[0:1], v2, off
	s_mov_b64 s[0:1], 0
.LBB384_966:
	s_mov_b64 s[22:23], 0
.LBB384_967:
	s_and_b64 vcc, exec, s[22:23]
	s_cbranch_vccz .LBB384_970
; %bb.968:
	s_cmp_lg_u32 s27, 11
	s_cselect_b64 s[22:23], -1, 0
	s_andn2_b64 s[0:1], s[0:1], exec
	s_and_b64 s[22:23], s[22:23], exec
	s_mov_b64 s[20:21], -1
	s_or_b64 s[0:1], s[0:1], s[22:23]
	s_branch .LBB384_970
.LBB384_969:
	s_mov_b64 s[20:21], 0
.LBB384_970:
	s_andn2_b64 s[12:13], s[12:13], exec
	s_and_b64 s[0:1], s[0:1], exec
	s_and_b64 s[18:19], s[18:19], exec
	;; [unrolled: 1-line block ×3, first 2 shown]
	s_or_b64 s[12:13], s[12:13], s[0:1]
	s_or_b64 exec, exec, s[14:15]
	s_and_saveexec_b64 s[0:1], s[12:13]
	s_cbranch_execz .LBB384_899
.LBB384_971:
	s_or_b64 s[16:17], s[16:17], exec
	s_andn2_b64 s[20:21], s[20:21], exec
	s_trap 2
	s_or_b64 exec, exec, s[0:1]
	s_and_saveexec_b64 s[0:1], s[20:21]
	s_xor_b64 s[0:1], exec, s[0:1]
	s_cbranch_execnz .LBB384_900
.LBB384_972:
	s_or_b64 exec, exec, s[0:1]
	s_and_saveexec_b64 s[0:1], s[18:19]
	s_xor_b64 s[0:1], exec, s[0:1]
	s_cbranch_execz .LBB384_1010
.LBB384_973:
	s_sext_i32_i16 s14, s26
	s_cmp_lt_i32 s14, 5
	s_mov_b64 s[12:13], -1
	s_cbranch_scc1 .LBB384_994
; %bb.974:
	s_cmp_lt_i32 s14, 8
	s_cbranch_scc1 .LBB384_984
; %bb.975:
	s_cmp_lt_i32 s14, 9
	s_cbranch_scc1 .LBB384_981
; %bb.976:
	s_cmp_gt_i32 s14, 9
	s_cbranch_scc0 .LBB384_978
; %bb.977:
	s_waitcnt vmcnt(0)
	v_bfe_i32 v2, v4, 0, 16
	v_mov_b32_e32 v8, 0
	v_cvt_f64_i32_e32 v[6:7], v2
	v_mov_b32_e32 v9, v8
	s_mov_b64 s[12:13], 0
	global_store_dwordx4 v[0:1], v[6:9], off
.LBB384_978:
	s_andn2_b64 vcc, exec, s[12:13]
	s_cbranch_vccnz .LBB384_980
; %bb.979:
	s_waitcnt vmcnt(0)
	v_cvt_f32_i32_sdwa v2, sext(v4) dst_sel:DWORD dst_unused:UNUSED_PAD src0_sel:WORD_0
	v_mov_b32_e32 v3, 0
	global_store_dwordx2 v[0:1], v[2:3], off
.LBB384_980:
	s_mov_b64 s[12:13], 0
.LBB384_981:
	s_andn2_b64 vcc, exec, s[12:13]
	s_cbranch_vccnz .LBB384_983
; %bb.982:
	s_waitcnt vmcnt(0)
	v_cvt_f16_i16_e32 v2, v4
	global_store_dword v[0:1], v2, off
.LBB384_983:
	s_mov_b64 s[12:13], 0
.LBB384_984:
	s_andn2_b64 vcc, exec, s[12:13]
	s_cbranch_vccnz .LBB384_993
; %bb.985:
	s_sext_i32_i16 s14, s26
	s_cmp_lt_i32 s14, 6
	s_mov_b64 s[12:13], -1
	s_cbranch_scc1 .LBB384_991
; %bb.986:
	s_cmp_gt_i32 s14, 6
	s_cbranch_scc0 .LBB384_988
; %bb.987:
	s_waitcnt vmcnt(0)
	v_bfe_i32 v2, v4, 0, 16
	v_cvt_f64_i32_e32 v[2:3], v2
	s_mov_b64 s[12:13], 0
	global_store_dwordx2 v[0:1], v[2:3], off
.LBB384_988:
	s_andn2_b64 vcc, exec, s[12:13]
	s_cbranch_vccnz .LBB384_990
; %bb.989:
	s_waitcnt vmcnt(0)
	v_cvt_f32_i32_sdwa v2, sext(v4) dst_sel:DWORD dst_unused:UNUSED_PAD src0_sel:WORD_0
	global_store_dword v[0:1], v2, off
.LBB384_990:
	s_mov_b64 s[12:13], 0
.LBB384_991:
	s_andn2_b64 vcc, exec, s[12:13]
	s_cbranch_vccnz .LBB384_993
; %bb.992:
	s_waitcnt vmcnt(0)
	v_cvt_f16_i16_e32 v2, v4
	global_store_short v[0:1], v2, off
.LBB384_993:
	s_mov_b64 s[12:13], 0
.LBB384_994:
	s_andn2_b64 vcc, exec, s[12:13]
	s_cbranch_vccnz .LBB384_1010
; %bb.995:
	s_sext_i32_i16 s14, s26
	s_cmp_lt_i32 s14, 2
	s_mov_b64 s[12:13], -1
	s_cbranch_scc1 .LBB384_1005
; %bb.996:
	s_cmp_lt_i32 s14, 3
	s_cbranch_scc1 .LBB384_1002
; %bb.997:
	s_cmp_gt_i32 s14, 3
	s_waitcnt vmcnt(0)
	v_bfe_i32 v2, v4, 0, 16
	s_cbranch_scc0 .LBB384_999
; %bb.998:
	v_ashrrev_i32_e32 v3, 31, v2
	s_mov_b64 s[12:13], 0
	global_store_dwordx2 v[0:1], v[2:3], off
.LBB384_999:
	s_andn2_b64 vcc, exec, s[12:13]
	s_cbranch_vccnz .LBB384_1001
; %bb.1000:
	global_store_dword v[0:1], v2, off
.LBB384_1001:
	s_mov_b64 s[12:13], 0
.LBB384_1002:
	s_andn2_b64 vcc, exec, s[12:13]
	s_cbranch_vccnz .LBB384_1004
; %bb.1003:
	global_store_short v[0:1], v4, off
.LBB384_1004:
	s_mov_b64 s[12:13], 0
.LBB384_1005:
	s_andn2_b64 vcc, exec, s[12:13]
	s_cbranch_vccnz .LBB384_1010
; %bb.1006:
	s_sext_i32_i16 s12, s26
	s_cmp_gt_i32 s12, 0
	s_mov_b64 s[12:13], -1
	s_cbranch_scc0 .LBB384_1008
; %bb.1007:
	s_mov_b64 s[12:13], 0
	global_store_byte v[0:1], v4, off
.LBB384_1008:
	s_andn2_b64 vcc, exec, s[12:13]
	s_cbranch_vccnz .LBB384_1010
; %bb.1009:
	global_store_byte v[0:1], v4, off
.LBB384_1010:
	s_or_b64 exec, exec, s[0:1]
	s_and_b64 s[12:13], s[16:17], exec
                                        ; implicit-def: $vgpr10
.LBB384_1011:
	s_or_saveexec_b64 s[10:11], s[10:11]
	s_mov_b64 s[0:1], 0
                                        ; implicit-def: $sgpr20
                                        ; implicit-def: $vgpr0_vgpr1
                                        ; implicit-def: $vgpr4
	s_xor_b64 exec, exec, s[10:11]
	s_cbranch_execz .LBB384_1942
; %bb.1012:
	v_mul_lo_u32 v0, s9, v10
	v_ashrrev_i32_e32 v1, 31, v0
	s_and_b32 s20, 0xffff, s43
	s_cmp_lt_i32 s20, 11
	s_waitcnt vmcnt(0)
	v_lshl_add_u64 v[2:3], s[6:7], 0, v[0:1]
	s_cbranch_scc1 .LBB384_1019
; %bb.1013:
	s_cmp_gt_i32 s20, 25
	s_cbranch_scc0 .LBB384_1021
; %bb.1014:
	s_cmp_gt_i32 s20, 28
	s_cbranch_scc0 .LBB384_1022
	;; [unrolled: 3-line block ×4, first 2 shown]
; %bb.1017:
	s_cmp_eq_u32 s20, 46
	s_mov_b64 s[14:15], 0
	s_cbranch_scc0 .LBB384_1027
; %bb.1018:
	global_load_dword v1, v[2:3], off
	s_mov_b64 s[16:17], -1
	s_waitcnt vmcnt(0)
	v_lshlrev_b32_e32 v1, 16, v1
	v_cvt_i32_f32_e32 v6, v1
	s_branch .LBB384_1028
.LBB384_1019:
	s_mov_b64 s[16:17], 0
                                        ; implicit-def: $vgpr6
	s_mov_b64 s[14:15], s[12:13]
	s_cbranch_execnz .LBB384_1086
.LBB384_1020:
	s_andn2_b64 vcc, exec, s[16:17]
	s_cbranch_vccz .LBB384_1131
	s_branch .LBB384_1940
.LBB384_1021:
	s_mov_b64 s[16:17], 0
                                        ; implicit-def: $vgpr6
	s_cbranch_execnz .LBB384_1053
	s_branch .LBB384_1082
.LBB384_1022:
	s_mov_b64 s[16:17], 0
                                        ; implicit-def: $vgpr6
	s_cbranch_execz .LBB384_1052
	s_branch .LBB384_1037
.LBB384_1023:
	s_mov_b64 s[16:17], 0
                                        ; implicit-def: $vgpr6
	s_cbranch_execnz .LBB384_1033
	s_branch .LBB384_1036
.LBB384_1024:
	s_mov_b64 s[14:15], -1
	s_mov_b64 s[16:17], 0
                                        ; implicit-def: $vgpr6
	s_branch .LBB384_1028
.LBB384_1025:
	s_andn2_saveexec_b64 s[22:23], s[22:23]
	s_cbranch_execz .LBB384_924
.LBB384_1026:
	s_mov_b32 s24, 0x46000000
	v_add_f32_e64 v3, |v2|, s24
	v_and_b32_e32 v3, 0xff, v3
	v_cmp_ne_u32_e32 vcc, 0, v3
	s_andn2_b64 s[20:21], s[20:21], exec
	s_and_b64 s[24:25], vcc, exec
	s_or_b64 s[20:21], s[20:21], s[24:25]
	s_or_b64 exec, exec, s[22:23]
	v_mov_b32_e32 v5, 0
	s_and_saveexec_b64 s[22:23], s[20:21]
	s_cbranch_execnz .LBB384_925
	s_branch .LBB384_926
.LBB384_1027:
	s_mov_b64 s[0:1], -1
                                        ; implicit-def: $vgpr6
	s_mov_b64 s[16:17], 0
.LBB384_1028:
	s_and_b64 vcc, exec, s[14:15]
	s_cbranch_vccz .LBB384_1031
; %bb.1029:
	s_cmp_eq_u32 s20, 44
	s_cbranch_scc0 .LBB384_1032
; %bb.1030:
	global_load_ubyte v1, v[2:3], off
	s_mov_b64 s[0:1], 0
	s_mov_b64 s[16:17], -1
	s_waitcnt vmcnt(0)
	v_lshlrev_b32_e32 v4, 23, v1
	v_cvt_i32_f32_e32 v4, v4
	v_cmp_ne_u32_e32 vcc, 0, v1
	s_nop 1
	v_cndmask_b32_e32 v6, 0, v4, vcc
.LBB384_1031:
	s_branch .LBB384_1036
.LBB384_1032:
	s_mov_b64 s[0:1], -1
                                        ; implicit-def: $vgpr6
	s_branch .LBB384_1036
.LBB384_1033:
	s_cmp_eq_u32 s20, 29
	s_cbranch_scc0 .LBB384_1035
; %bb.1034:
	global_load_dwordx2 v[6:7], v[2:3], off
	s_mov_b64 s[0:1], 0
	s_mov_b64 s[16:17], -1
	s_branch .LBB384_1036
.LBB384_1035:
	s_mov_b64 s[0:1], -1
                                        ; implicit-def: $vgpr6
.LBB384_1036:
	s_branch .LBB384_1052
.LBB384_1037:
	s_cmp_lt_i32 s20, 27
	s_cbranch_scc1 .LBB384_1040
; %bb.1038:
	s_cmp_gt_i32 s20, 27
	s_cbranch_scc0 .LBB384_1041
; %bb.1039:
	global_load_dword v6, v[2:3], off
	s_mov_b64 s[14:15], 0
	s_branch .LBB384_1042
.LBB384_1040:
	s_mov_b64 s[14:15], -1
                                        ; implicit-def: $vgpr6
	s_branch .LBB384_1045
.LBB384_1041:
	s_mov_b64 s[14:15], -1
                                        ; implicit-def: $vgpr6
.LBB384_1042:
	s_andn2_b64 vcc, exec, s[14:15]
	s_cbranch_vccnz .LBB384_1044
; %bb.1043:
	global_load_ushort v6, v[2:3], off
.LBB384_1044:
	s_mov_b64 s[14:15], 0
.LBB384_1045:
	s_andn2_b64 vcc, exec, s[14:15]
	s_cbranch_vccnz .LBB384_1051
; %bb.1046:
	global_load_ubyte v1, v[2:3], off
	s_movk_i32 s14, 0x7f
	s_mov_b64 s[16:17], 0
	s_waitcnt vmcnt(0)
	v_cmp_lt_i16_e32 vcc, s14, v1
	s_and_saveexec_b64 s[14:15], vcc
	s_xor_b64 s[14:15], exec, s[14:15]
	s_cbranch_execz .LBB384_1062
; %bb.1047:
	s_movk_i32 s16, 0x80
	v_cmp_ne_u16_e32 vcc, s16, v1
	s_and_b64 s[16:17], vcc, exec
	s_andn2_saveexec_b64 s[14:15], s[14:15]
	s_cbranch_execnz .LBB384_1063
.LBB384_1048:
	s_or_b64 exec, exec, s[14:15]
	v_mov_b32_e32 v6, 0
	s_and_saveexec_b64 s[14:15], s[16:17]
	s_cbranch_execz .LBB384_1050
.LBB384_1049:
	v_lshlrev_b32_e32 v4, 24, v1
	v_and_b32_e32 v1, 0xffff, v1
	v_and_b32_e32 v5, 7, v1
	v_ffbh_u32_e32 v7, v5
	v_min_u32_e32 v7, 32, v7
	v_subrev_u32_e32 v8, 28, v7
	v_bfe_u32 v6, v1, 3, 4
	v_lshlrev_b32_e32 v1, v8, v1
	v_sub_u32_e32 v7, 29, v7
	v_and_b32_e32 v1, 7, v1
	v_cmp_eq_u32_e32 vcc, 0, v6
	v_and_b32_e32 v4, 0x80000000, v4
	s_nop 0
	v_cndmask_b32_e32 v6, v6, v7, vcc
	v_cndmask_b32_e32 v1, v5, v1, vcc
	v_mov_b32_e32 v5, 0x3b800000
	v_lshlrev_b32_e32 v1, 20, v1
	v_lshl_add_u32 v5, v6, 23, v5
	v_or3_b32 v1, v4, v5, v1
	v_cvt_i32_f32_e32 v6, v1
.LBB384_1050:
	s_or_b64 exec, exec, s[14:15]
.LBB384_1051:
	s_mov_b64 s[16:17], -1
.LBB384_1052:
	s_branch .LBB384_1082
.LBB384_1053:
	s_cmp_gt_i32 s20, 22
	s_cbranch_scc0 .LBB384_1061
; %bb.1054:
	s_cmp_lt_i32 s20, 24
	s_cbranch_scc1 .LBB384_1064
; %bb.1055:
	s_cmp_gt_i32 s20, 24
	s_cbranch_scc0 .LBB384_1065
; %bb.1056:
	global_load_ubyte v1, v[2:3], off
	s_movk_i32 s2, 0x7f
	s_mov_b64 s[14:15], 0
	s_waitcnt vmcnt(0)
	v_cmp_lt_i16_e32 vcc, s2, v1
	s_and_saveexec_b64 s[2:3], vcc
	s_xor_b64 s[2:3], exec, s[2:3]
	s_cbranch_execz .LBB384_1076
; %bb.1057:
	s_movk_i32 s14, 0x80
	v_cmp_ne_u16_e32 vcc, s14, v1
	s_and_b64 s[14:15], vcc, exec
	s_andn2_saveexec_b64 s[2:3], s[2:3]
	s_cbranch_execnz .LBB384_1077
.LBB384_1058:
	s_or_b64 exec, exec, s[2:3]
	v_mov_b32_e32 v6, 0
	s_and_saveexec_b64 s[2:3], s[14:15]
	s_cbranch_execz .LBB384_1060
.LBB384_1059:
	v_lshlrev_b32_e32 v4, 24, v1
	v_and_b32_e32 v1, 0xffff, v1
	v_and_b32_e32 v5, 3, v1
	v_ffbh_u32_e32 v7, v5
	v_min_u32_e32 v7, 32, v7
	v_subrev_u32_e32 v8, 29, v7
	v_bfe_u32 v6, v1, 2, 5
	v_lshlrev_b32_e32 v1, v8, v1
	v_sub_u32_e32 v7, 30, v7
	v_and_b32_e32 v1, 3, v1
	v_cmp_eq_u32_e32 vcc, 0, v6
	v_and_b32_e32 v4, 0x80000000, v4
	s_nop 0
	v_cndmask_b32_e32 v6, v6, v7, vcc
	v_cndmask_b32_e32 v1, v5, v1, vcc
	v_mov_b32_e32 v5, 0x37800000
	v_lshlrev_b32_e32 v1, 21, v1
	v_lshl_add_u32 v5, v6, 23, v5
	v_or3_b32 v1, v4, v5, v1
	v_cvt_i32_f32_e32 v6, v1
.LBB384_1060:
	s_or_b64 exec, exec, s[2:3]
	s_mov_b64 s[2:3], 0
	s_branch .LBB384_1066
.LBB384_1061:
                                        ; implicit-def: $vgpr6
	s_mov_b64 s[2:3], 0
	s_branch .LBB384_1072
.LBB384_1062:
	s_andn2_saveexec_b64 s[14:15], s[14:15]
	s_cbranch_execz .LBB384_1048
.LBB384_1063:
	v_cmp_ne_u16_e32 vcc, 0, v1
	s_andn2_b64 s[16:17], s[16:17], exec
	s_and_b64 s[18:19], vcc, exec
	s_or_b64 s[16:17], s[16:17], s[18:19]
	s_or_b64 exec, exec, s[14:15]
	v_mov_b32_e32 v6, 0
	s_and_saveexec_b64 s[14:15], s[16:17]
	s_cbranch_execnz .LBB384_1049
	s_branch .LBB384_1050
.LBB384_1064:
	s_mov_b64 s[2:3], -1
                                        ; implicit-def: $vgpr6
	s_branch .LBB384_1069
.LBB384_1065:
	s_mov_b64 s[2:3], -1
                                        ; implicit-def: $vgpr6
.LBB384_1066:
	s_and_b64 vcc, exec, s[2:3]
	s_cbranch_vccz .LBB384_1068
; %bb.1067:
	global_load_ubyte v1, v[2:3], off
	s_mov_b32 s2, 0x7f800000
	s_waitcnt vmcnt(0)
	v_lshlrev_b32_e32 v1, 24, v1
	v_and_b32_e32 v4, 0x7f000000, v1
	v_ffbh_u32_e32 v5, v4
	v_min_u32_e32 v5, 32, v5
	v_sub_u32_e64 v5, v5, 4 clamp
	v_lshlrev_b32_e32 v7, v5, v4
	v_lshlrev_b32_e32 v5, 23, v5
	v_lshrrev_b32_e32 v7, 4, v7
	v_add_u32_e32 v6, 0x1000000, v4
	v_sub_u32_e32 v5, v7, v5
	v_ashrrev_i32_e32 v6, 8, v6
	v_add_u32_e32 v5, 0x3c000000, v5
	v_and_or_b32 v5, v6, s2, v5
	v_cmp_ne_u32_e32 vcc, 0, v4
	s_brev_b32 s2, 1
	s_nop 0
	v_cndmask_b32_e32 v4, 0, v5, vcc
	v_and_or_b32 v1, v1, s2, v4
	v_cvt_i32_f32_e32 v6, v1
.LBB384_1068:
	s_mov_b64 s[2:3], 0
.LBB384_1069:
	s_andn2_b64 vcc, exec, s[2:3]
	s_cbranch_vccnz .LBB384_1071
; %bb.1070:
	global_load_ubyte v1, v[2:3], off
	s_movk_i32 s2, 0x7f00
	s_brev_b32 s3, 16
	s_waitcnt vmcnt(0)
	v_lshlrev_b16_e32 v4, 8, v1
	v_lshlrev_b32_e32 v1, 25, v1
	v_lshrrev_b32_e32 v5, 4, v1
	v_and_or_b32 v6, v4, s2, 0.5
	v_or_b32_e32 v5, 0x70000000, v5
	v_add_f32_e32 v6, -0.5, v6
	v_mul_f32_e32 v5, 0x7800000, v5
	v_cmp_gt_u32_e32 vcc, s3, v1
	v_bfe_i32 v4, v4, 0, 16
	s_brev_b32 s2, 1
	v_cndmask_b32_e32 v1, v5, v6, vcc
	v_and_or_b32 v1, v4, s2, v1
	v_cvt_i32_f32_e32 v6, v1
.LBB384_1071:
	s_mov_b64 s[16:17], -1
	s_mov_b64 s[2:3], 0
	s_cbranch_execnz .LBB384_1082
.LBB384_1072:
	s_cmp_gt_i32 s20, 14
	s_cbranch_scc0 .LBB384_1075
; %bb.1073:
	s_cmp_eq_u32 s20, 15
	s_cbranch_scc0 .LBB384_1078
; %bb.1074:
	global_load_ushort v1, v[2:3], off
	s_mov_b64 s[0:1], 0
	s_mov_b64 s[16:17], -1
	s_waitcnt vmcnt(0)
	v_lshlrev_b32_e32 v1, 16, v1
	v_cvt_i32_f32_e32 v6, v1
	s_branch .LBB384_1079
.LBB384_1075:
	s_mov_b64 s[14:15], -1
                                        ; implicit-def: $vgpr6
	s_branch .LBB384_1080
.LBB384_1076:
	s_andn2_saveexec_b64 s[2:3], s[2:3]
	s_cbranch_execz .LBB384_1058
.LBB384_1077:
	v_cmp_ne_u16_e32 vcc, 0, v1
	s_andn2_b64 s[14:15], s[14:15], exec
	s_and_b64 s[16:17], vcc, exec
	s_or_b64 s[14:15], s[14:15], s[16:17]
	s_or_b64 exec, exec, s[2:3]
	v_mov_b32_e32 v6, 0
	s_and_saveexec_b64 s[2:3], s[14:15]
	s_cbranch_execnz .LBB384_1059
	s_branch .LBB384_1060
.LBB384_1078:
	s_mov_b64 s[0:1], -1
                                        ; implicit-def: $vgpr6
.LBB384_1079:
	s_mov_b64 s[14:15], 0
.LBB384_1080:
	s_and_b64 vcc, exec, s[14:15]
	s_cbranch_vccz .LBB384_1082
; %bb.1081:
	s_cmp_lg_u32 s20, 11
	s_mov_b64 s[2:3], -1
	s_cselect_b64 s[0:1], -1, 0
.LBB384_1082:
	s_and_b64 vcc, exec, s[0:1]
	s_mov_b64 s[14:15], s[12:13]
	s_cbranch_vccnz .LBB384_1143
; %bb.1083:
	s_andn2_b64 vcc, exec, s[2:3]
	s_cbranch_vccnz .LBB384_1085
.LBB384_1084:
	global_load_ubyte v1, v[2:3], off
	s_mov_b64 s[16:17], -1
	s_waitcnt vmcnt(0)
	v_cmp_ne_u16_e32 vcc, 0, v1
	s_nop 1
	v_cndmask_b32_e64 v6, 0, 1, vcc
.LBB384_1085:
	s_branch .LBB384_1020
.LBB384_1086:
	s_cmp_lt_i32 s20, 5
	s_cbranch_scc1 .LBB384_1091
; %bb.1087:
	s_cmp_lt_i32 s20, 8
	s_cbranch_scc1 .LBB384_1092
; %bb.1088:
	;; [unrolled: 3-line block ×3, first 2 shown]
	s_cmp_gt_i32 s20, 9
	s_cbranch_scc0 .LBB384_1094
; %bb.1090:
	global_load_dwordx2 v[4:5], v[2:3], off
	s_mov_b64 s[0:1], 0
	s_waitcnt vmcnt(0)
	v_cvt_i32_f64_e32 v6, v[4:5]
	s_branch .LBB384_1095
.LBB384_1091:
                                        ; implicit-def: $vgpr6
	s_branch .LBB384_1112
.LBB384_1092:
                                        ; implicit-def: $vgpr6
	s_branch .LBB384_1101
.LBB384_1093:
	s_mov_b64 s[0:1], -1
                                        ; implicit-def: $vgpr6
	s_branch .LBB384_1098
.LBB384_1094:
	s_mov_b64 s[0:1], -1
                                        ; implicit-def: $vgpr6
.LBB384_1095:
	s_andn2_b64 vcc, exec, s[0:1]
	s_cbranch_vccnz .LBB384_1097
; %bb.1096:
	global_load_dword v1, v[2:3], off
	s_waitcnt vmcnt(0)
	v_cvt_i32_f32_e32 v6, v1
.LBB384_1097:
	s_mov_b64 s[0:1], 0
.LBB384_1098:
	s_andn2_b64 vcc, exec, s[0:1]
	s_cbranch_vccnz .LBB384_1100
; %bb.1099:
	global_load_dword v1, v[2:3], off
	s_waitcnt vmcnt(0)
	v_cvt_i16_f16_e32 v6, v1
.LBB384_1100:
	s_cbranch_execnz .LBB384_1111
.LBB384_1101:
	s_cmp_lt_i32 s20, 6
	s_cbranch_scc1 .LBB384_1104
; %bb.1102:
	s_cmp_gt_i32 s20, 6
	s_cbranch_scc0 .LBB384_1105
; %bb.1103:
	global_load_dwordx2 v[4:5], v[2:3], off
	s_mov_b64 s[0:1], 0
	s_waitcnt vmcnt(0)
	v_cvt_i32_f64_e32 v6, v[4:5]
	s_branch .LBB384_1106
.LBB384_1104:
	s_mov_b64 s[0:1], -1
                                        ; implicit-def: $vgpr6
	s_branch .LBB384_1109
.LBB384_1105:
	s_mov_b64 s[0:1], -1
                                        ; implicit-def: $vgpr6
.LBB384_1106:
	s_andn2_b64 vcc, exec, s[0:1]
	s_cbranch_vccnz .LBB384_1108
; %bb.1107:
	global_load_dword v1, v[2:3], off
	s_waitcnt vmcnt(0)
	v_cvt_i32_f32_e32 v6, v1
.LBB384_1108:
	s_mov_b64 s[0:1], 0
.LBB384_1109:
	s_andn2_b64 vcc, exec, s[0:1]
	s_cbranch_vccnz .LBB384_1111
; %bb.1110:
	global_load_ushort v1, v[2:3], off
	s_waitcnt vmcnt(0)
	v_cvt_i16_f16_e32 v6, v1
.LBB384_1111:
	s_cbranch_execnz .LBB384_1130
.LBB384_1112:
	s_cmp_lt_i32 s20, 2
	s_cbranch_scc1 .LBB384_1116
; %bb.1113:
	s_cmp_lt_i32 s20, 3
	s_cbranch_scc1 .LBB384_1117
; %bb.1114:
	s_cmp_gt_i32 s20, 3
	s_cbranch_scc0 .LBB384_1118
; %bb.1115:
	global_load_dwordx2 v[6:7], v[2:3], off
	s_mov_b64 s[0:1], 0
	s_branch .LBB384_1119
.LBB384_1116:
                                        ; implicit-def: $vgpr6
	s_branch .LBB384_1125
.LBB384_1117:
	s_mov_b64 s[0:1], -1
                                        ; implicit-def: $vgpr6
	s_branch .LBB384_1122
.LBB384_1118:
	s_mov_b64 s[0:1], -1
                                        ; implicit-def: $vgpr6
.LBB384_1119:
	s_andn2_b64 vcc, exec, s[0:1]
	s_cbranch_vccnz .LBB384_1121
; %bb.1120:
	global_load_dword v6, v[2:3], off
.LBB384_1121:
	s_mov_b64 s[0:1], 0
.LBB384_1122:
	s_andn2_b64 vcc, exec, s[0:1]
	s_cbranch_vccnz .LBB384_1124
; %bb.1123:
	global_load_ushort v6, v[2:3], off
.LBB384_1124:
	s_cbranch_execnz .LBB384_1130
.LBB384_1125:
	s_cmp_gt_i32 s20, 0
	s_cbranch_scc0 .LBB384_1127
; %bb.1126:
	global_load_sbyte v6, v[2:3], off
	s_mov_b64 s[0:1], 0
	s_branch .LBB384_1128
.LBB384_1127:
	s_mov_b64 s[0:1], -1
                                        ; implicit-def: $vgpr6
.LBB384_1128:
	s_andn2_b64 vcc, exec, s[0:1]
	s_cbranch_vccnz .LBB384_1130
; %bb.1129:
	global_load_ubyte v6, v[2:3], off
.LBB384_1130:
.LBB384_1131:
	s_lshl_b32 s9, s9, 7
	v_add_u32_e32 v0, s9, v0
	v_ashrrev_i32_e32 v1, 31, v0
	s_cmp_lt_i32 s20, 11
	v_lshl_add_u64 v[2:3], s[6:7], 0, v[0:1]
	s_cbranch_scc1 .LBB384_1138
; %bb.1132:
	s_cmp_gt_i32 s20, 25
	s_mov_b64 s[2:3], 0
	s_cbranch_scc0 .LBB384_1140
; %bb.1133:
	s_cmp_gt_i32 s20, 28
	s_cbranch_scc0 .LBB384_1141
; %bb.1134:
	s_cmp_gt_i32 s20, 43
	;; [unrolled: 3-line block ×3, first 2 shown]
	s_cbranch_scc0 .LBB384_1144
; %bb.1136:
	s_cmp_eq_u32 s20, 46
	s_mov_b64 s[18:19], 0
	s_cbranch_scc0 .LBB384_1147
; %bb.1137:
	global_load_dword v1, v[2:3], off
	s_mov_b64 s[0:1], 0
	s_mov_b64 s[16:17], -1
	s_waitcnt vmcnt(0)
	v_lshlrev_b32_e32 v1, 16, v1
	v_cvt_i32_f32_e32 v4, v1
	s_branch .LBB384_1148
.LBB384_1138:
	s_mov_b64 s[16:17], 0
                                        ; implicit-def: $vgpr4
	s_cbranch_execnz .LBB384_1209
.LBB384_1139:
	s_andn2_b64 vcc, exec, s[16:17]
	s_cbranch_vccnz .LBB384_1940
	s_branch .LBB384_1256
.LBB384_1140:
	s_mov_b64 s[16:17], 0
	s_mov_b64 s[0:1], 0
                                        ; implicit-def: $vgpr4
	s_cbranch_execnz .LBB384_1175
	s_branch .LBB384_1205
.LBB384_1141:
	s_mov_b64 s[18:19], -1
	s_mov_b64 s[16:17], 0
	s_mov_b64 s[0:1], 0
                                        ; implicit-def: $vgpr4
	s_branch .LBB384_1158
.LBB384_1142:
	s_mov_b64 s[18:19], -1
	s_mov_b64 s[16:17], 0
	s_mov_b64 s[0:1], 0
                                        ; implicit-def: $vgpr4
	s_branch .LBB384_1153
.LBB384_1143:
	s_or_b64 s[14:15], s[12:13], exec
	s_trap 2
	s_cbranch_execz .LBB384_1084
	s_branch .LBB384_1085
.LBB384_1144:
	s_mov_b64 s[18:19], -1
	s_mov_b64 s[16:17], 0
	s_mov_b64 s[0:1], 0
                                        ; implicit-def: $vgpr4
	s_branch .LBB384_1148
.LBB384_1145:
	s_andn2_saveexec_b64 s[24:25], s[24:25]
	s_cbranch_execz .LBB384_936
.LBB384_1146:
	s_mov_b32 s28, 0x42800000
	v_add_f32_e64 v3, |v2|, s28
	v_and_b32_e32 v3, 0xff, v3
	v_cmp_ne_u32_e32 vcc, 0, v3
	s_andn2_b64 s[22:23], s[22:23], exec
	s_and_b64 s[28:29], vcc, exec
	s_or_b64 s[22:23], s[22:23], s[28:29]
	s_or_b64 exec, exec, s[24:25]
	v_mov_b32_e32 v5, 0
	s_and_saveexec_b64 s[24:25], s[22:23]
	s_cbranch_execnz .LBB384_937
	s_branch .LBB384_938
.LBB384_1147:
	s_mov_b64 s[0:1], -1
                                        ; implicit-def: $vgpr4
	s_mov_b64 s[16:17], 0
.LBB384_1148:
	s_and_b64 vcc, exec, s[18:19]
	s_cbranch_vccz .LBB384_1152
; %bb.1149:
	s_cmp_eq_u32 s20, 44
	s_cbranch_scc0 .LBB384_1151
; %bb.1150:
	global_load_ubyte v1, v[2:3], off
	s_mov_b64 s[0:1], 0
	s_mov_b64 s[16:17], -1
	s_waitcnt vmcnt(0)
	v_lshlrev_b32_e32 v4, 23, v1
	v_cvt_i32_f32_e32 v4, v4
	v_cmp_ne_u32_e32 vcc, 0, v1
	s_nop 1
	v_cndmask_b32_e32 v4, 0, v4, vcc
	s_branch .LBB384_1152
.LBB384_1151:
	s_mov_b64 s[0:1], -1
                                        ; implicit-def: $vgpr4
.LBB384_1152:
	s_mov_b64 s[18:19], 0
.LBB384_1153:
	s_and_b64 vcc, exec, s[18:19]
	s_cbranch_vccz .LBB384_1157
; %bb.1154:
	s_cmp_eq_u32 s20, 29
	s_cbranch_scc0 .LBB384_1156
; %bb.1155:
	global_load_dwordx2 v[4:5], v[2:3], off
	s_mov_b64 s[0:1], 0
	s_mov_b64 s[16:17], -1
	s_branch .LBB384_1157
.LBB384_1156:
	s_mov_b64 s[0:1], -1
                                        ; implicit-def: $vgpr4
.LBB384_1157:
	s_mov_b64 s[18:19], 0
.LBB384_1158:
	s_and_b64 vcc, exec, s[18:19]
	s_cbranch_vccz .LBB384_1174
; %bb.1159:
	s_cmp_lt_i32 s20, 27
	s_cbranch_scc1 .LBB384_1162
; %bb.1160:
	s_cmp_gt_i32 s20, 27
	s_cbranch_scc0 .LBB384_1163
; %bb.1161:
	global_load_dword v4, v[2:3], off
	s_mov_b64 s[16:17], 0
	s_branch .LBB384_1164
.LBB384_1162:
	s_mov_b64 s[16:17], -1
                                        ; implicit-def: $vgpr4
	s_branch .LBB384_1167
.LBB384_1163:
	s_mov_b64 s[16:17], -1
                                        ; implicit-def: $vgpr4
.LBB384_1164:
	s_andn2_b64 vcc, exec, s[16:17]
	s_cbranch_vccnz .LBB384_1166
; %bb.1165:
	global_load_ushort v4, v[2:3], off
.LBB384_1166:
	s_mov_b64 s[16:17], 0
.LBB384_1167:
	s_andn2_b64 vcc, exec, s[16:17]
	s_cbranch_vccnz .LBB384_1173
; %bb.1168:
	global_load_ubyte v1, v[2:3], off
	s_movk_i32 s16, 0x7f
	s_mov_b64 s[18:19], 0
	s_waitcnt vmcnt(0)
	v_cmp_lt_i16_e32 vcc, s16, v1
	s_and_saveexec_b64 s[16:17], vcc
	s_xor_b64 s[16:17], exec, s[16:17]
	s_cbranch_execz .LBB384_1184
; %bb.1169:
	s_movk_i32 s18, 0x80
	v_cmp_ne_u16_e32 vcc, s18, v1
	s_and_b64 s[18:19], vcc, exec
	s_andn2_saveexec_b64 s[16:17], s[16:17]
	s_cbranch_execnz .LBB384_1185
.LBB384_1170:
	s_or_b64 exec, exec, s[16:17]
	v_mov_b32_e32 v4, 0
	s_and_saveexec_b64 s[16:17], s[18:19]
	s_cbranch_execz .LBB384_1172
.LBB384_1171:
	v_lshlrev_b32_e32 v4, 24, v1
	v_and_b32_e32 v1, 0xffff, v1
	v_and_b32_e32 v5, 7, v1
	v_ffbh_u32_e32 v8, v5
	v_min_u32_e32 v8, 32, v8
	v_subrev_u32_e32 v9, 28, v8
	v_bfe_u32 v7, v1, 3, 4
	v_lshlrev_b32_e32 v1, v9, v1
	v_sub_u32_e32 v8, 29, v8
	v_and_b32_e32 v1, 7, v1
	v_cmp_eq_u32_e32 vcc, 0, v7
	v_and_b32_e32 v4, 0x80000000, v4
	s_nop 0
	v_cndmask_b32_e32 v7, v7, v8, vcc
	v_cndmask_b32_e32 v1, v5, v1, vcc
	v_mov_b32_e32 v5, 0x3b800000
	v_lshlrev_b32_e32 v1, 20, v1
	v_lshl_add_u32 v5, v7, 23, v5
	v_or3_b32 v1, v4, v5, v1
	v_cvt_i32_f32_e32 v4, v1
.LBB384_1172:
	s_or_b64 exec, exec, s[16:17]
.LBB384_1173:
	s_mov_b64 s[16:17], -1
.LBB384_1174:
	s_branch .LBB384_1205
.LBB384_1175:
	s_cmp_gt_i32 s20, 22
	s_cbranch_scc0 .LBB384_1183
; %bb.1176:
	s_cmp_lt_i32 s20, 24
	s_cbranch_scc1 .LBB384_1186
; %bb.1177:
	s_cmp_gt_i32 s20, 24
	s_cbranch_scc0 .LBB384_1187
; %bb.1178:
	global_load_ubyte v1, v[2:3], off
	s_movk_i32 s2, 0x7f
	s_mov_b64 s[16:17], 0
	s_waitcnt vmcnt(0)
	v_cmp_lt_i16_e32 vcc, s2, v1
	s_and_saveexec_b64 s[2:3], vcc
	s_xor_b64 s[2:3], exec, s[2:3]
	s_cbranch_execz .LBB384_1199
; %bb.1179:
	s_movk_i32 s16, 0x80
	v_cmp_ne_u16_e32 vcc, s16, v1
	s_and_b64 s[16:17], vcc, exec
	s_andn2_saveexec_b64 s[2:3], s[2:3]
	s_cbranch_execnz .LBB384_1200
.LBB384_1180:
	s_or_b64 exec, exec, s[2:3]
	v_mov_b32_e32 v4, 0
	s_and_saveexec_b64 s[2:3], s[16:17]
	s_cbranch_execz .LBB384_1182
.LBB384_1181:
	v_lshlrev_b32_e32 v4, 24, v1
	v_and_b32_e32 v1, 0xffff, v1
	v_and_b32_e32 v5, 3, v1
	v_ffbh_u32_e32 v8, v5
	v_min_u32_e32 v8, 32, v8
	v_subrev_u32_e32 v9, 29, v8
	v_bfe_u32 v7, v1, 2, 5
	v_lshlrev_b32_e32 v1, v9, v1
	v_sub_u32_e32 v8, 30, v8
	v_and_b32_e32 v1, 3, v1
	v_cmp_eq_u32_e32 vcc, 0, v7
	v_and_b32_e32 v4, 0x80000000, v4
	s_nop 0
	v_cndmask_b32_e32 v7, v7, v8, vcc
	v_cndmask_b32_e32 v1, v5, v1, vcc
	v_mov_b32_e32 v5, 0x37800000
	v_lshlrev_b32_e32 v1, 21, v1
	v_lshl_add_u32 v5, v7, 23, v5
	v_or3_b32 v1, v4, v5, v1
	v_cvt_i32_f32_e32 v4, v1
.LBB384_1182:
	s_or_b64 exec, exec, s[2:3]
	s_mov_b64 s[2:3], 0
	s_branch .LBB384_1188
.LBB384_1183:
	s_mov_b64 s[2:3], -1
                                        ; implicit-def: $vgpr4
	s_branch .LBB384_1194
.LBB384_1184:
	s_andn2_saveexec_b64 s[16:17], s[16:17]
	s_cbranch_execz .LBB384_1170
.LBB384_1185:
	v_cmp_ne_u16_e32 vcc, 0, v1
	s_andn2_b64 s[18:19], s[18:19], exec
	s_and_b64 s[22:23], vcc, exec
	s_or_b64 s[18:19], s[18:19], s[22:23]
	s_or_b64 exec, exec, s[16:17]
	v_mov_b32_e32 v4, 0
	s_and_saveexec_b64 s[16:17], s[18:19]
	s_cbranch_execnz .LBB384_1171
	s_branch .LBB384_1172
.LBB384_1186:
	s_mov_b64 s[2:3], -1
                                        ; implicit-def: $vgpr4
	s_branch .LBB384_1191
.LBB384_1187:
	s_mov_b64 s[2:3], -1
                                        ; implicit-def: $vgpr4
.LBB384_1188:
	s_and_b64 vcc, exec, s[2:3]
	s_cbranch_vccz .LBB384_1190
; %bb.1189:
	global_load_ubyte v1, v[2:3], off
	s_mov_b32 s2, 0x7f800000
	s_waitcnt vmcnt(0)
	v_lshlrev_b32_e32 v1, 24, v1
	v_and_b32_e32 v4, 0x7f000000, v1
	v_ffbh_u32_e32 v5, v4
	v_min_u32_e32 v5, 32, v5
	v_sub_u32_e64 v5, v5, 4 clamp
	v_lshlrev_b32_e32 v8, v5, v4
	v_lshlrev_b32_e32 v5, 23, v5
	v_lshrrev_b32_e32 v8, 4, v8
	v_add_u32_e32 v7, 0x1000000, v4
	v_sub_u32_e32 v5, v8, v5
	v_ashrrev_i32_e32 v7, 8, v7
	v_add_u32_e32 v5, 0x3c000000, v5
	v_and_or_b32 v5, v7, s2, v5
	v_cmp_ne_u32_e32 vcc, 0, v4
	s_brev_b32 s2, 1
	s_nop 0
	v_cndmask_b32_e32 v4, 0, v5, vcc
	v_and_or_b32 v1, v1, s2, v4
	v_cvt_i32_f32_e32 v4, v1
.LBB384_1190:
	s_mov_b64 s[2:3], 0
.LBB384_1191:
	s_andn2_b64 vcc, exec, s[2:3]
	s_cbranch_vccnz .LBB384_1193
; %bb.1192:
	global_load_ubyte v1, v[2:3], off
	s_movk_i32 s2, 0x7f00
	s_brev_b32 s3, 16
	s_waitcnt vmcnt(0)
	v_lshlrev_b16_e32 v4, 8, v1
	v_lshlrev_b32_e32 v1, 25, v1
	v_lshrrev_b32_e32 v5, 4, v1
	v_and_or_b32 v7, v4, s2, 0.5
	v_or_b32_e32 v5, 0x70000000, v5
	v_add_f32_e32 v7, -0.5, v7
	v_mul_f32_e32 v5, 0x7800000, v5
	v_cmp_gt_u32_e32 vcc, s3, v1
	v_bfe_i32 v4, v4, 0, 16
	s_brev_b32 s2, 1
	v_cndmask_b32_e32 v1, v5, v7, vcc
	v_and_or_b32 v1, v4, s2, v1
	v_cvt_i32_f32_e32 v4, v1
.LBB384_1193:
	s_mov_b64 s[2:3], 0
	s_mov_b64 s[16:17], -1
.LBB384_1194:
	s_andn2_b64 vcc, exec, s[2:3]
	s_mov_b64 s[2:3], 0
	s_cbranch_vccnz .LBB384_1205
; %bb.1195:
	s_cmp_gt_i32 s20, 14
	s_cbranch_scc0 .LBB384_1198
; %bb.1196:
	s_cmp_eq_u32 s20, 15
	s_cbranch_scc0 .LBB384_1201
; %bb.1197:
	global_load_ushort v1, v[2:3], off
	s_mov_b64 s[0:1], 0
	s_mov_b64 s[16:17], -1
	s_waitcnt vmcnt(0)
	v_lshlrev_b32_e32 v1, 16, v1
	v_cvt_i32_f32_e32 v4, v1
	s_branch .LBB384_1202
.LBB384_1198:
	s_mov_b64 s[18:19], -1
                                        ; implicit-def: $vgpr4
	s_branch .LBB384_1203
.LBB384_1199:
	s_andn2_saveexec_b64 s[2:3], s[2:3]
	s_cbranch_execz .LBB384_1180
.LBB384_1200:
	v_cmp_ne_u16_e32 vcc, 0, v1
	s_andn2_b64 s[16:17], s[16:17], exec
	s_and_b64 s[18:19], vcc, exec
	s_or_b64 s[16:17], s[16:17], s[18:19]
	s_or_b64 exec, exec, s[2:3]
	v_mov_b32_e32 v4, 0
	s_and_saveexec_b64 s[2:3], s[16:17]
	s_cbranch_execnz .LBB384_1181
	s_branch .LBB384_1182
.LBB384_1201:
	s_mov_b64 s[0:1], -1
                                        ; implicit-def: $vgpr4
.LBB384_1202:
	s_mov_b64 s[18:19], 0
.LBB384_1203:
	s_and_b64 vcc, exec, s[18:19]
	s_cbranch_vccz .LBB384_1205
; %bb.1204:
	s_cmp_lg_u32 s20, 11
	s_mov_b64 s[2:3], -1
	s_cselect_b64 s[0:1], -1, 0
.LBB384_1205:
	s_and_b64 vcc, exec, s[0:1]
	s_cbranch_vccnz .LBB384_1268
; %bb.1206:
	s_andn2_b64 vcc, exec, s[2:3]
	s_cbranch_vccnz .LBB384_1208
.LBB384_1207:
	global_load_ubyte v1, v[2:3], off
	s_mov_b64 s[16:17], -1
	s_waitcnt vmcnt(0)
	v_cmp_ne_u16_e32 vcc, 0, v1
	s_nop 1
	v_cndmask_b32_e64 v4, 0, 1, vcc
.LBB384_1208:
	s_branch .LBB384_1139
.LBB384_1209:
	s_cmp_lt_i32 s20, 5
	s_cbranch_scc1 .LBB384_1214
; %bb.1210:
	s_cmp_lt_i32 s20, 8
	s_cbranch_scc1 .LBB384_1215
; %bb.1211:
	s_cmp_lt_i32 s20, 9
	s_cbranch_scc1 .LBB384_1216
; %bb.1212:
	s_cmp_gt_i32 s20, 9
	s_cbranch_scc0 .LBB384_1217
; %bb.1213:
	global_load_dwordx2 v[4:5], v[2:3], off
	s_mov_b64 s[0:1], 0
	s_waitcnt vmcnt(0)
	v_cvt_i32_f64_e32 v4, v[4:5]
	s_branch .LBB384_1218
.LBB384_1214:
                                        ; implicit-def: $vgpr4
	s_branch .LBB384_1236
.LBB384_1215:
	s_mov_b64 s[0:1], -1
                                        ; implicit-def: $vgpr4
	s_branch .LBB384_1224
.LBB384_1216:
	s_mov_b64 s[0:1], -1
                                        ; implicit-def: $vgpr4
	s_branch .LBB384_1221
.LBB384_1217:
	s_mov_b64 s[0:1], -1
                                        ; implicit-def: $vgpr4
.LBB384_1218:
	s_andn2_b64 vcc, exec, s[0:1]
	s_cbranch_vccnz .LBB384_1220
; %bb.1219:
	global_load_dword v1, v[2:3], off
	s_waitcnt vmcnt(0)
	v_cvt_i32_f32_e32 v4, v1
.LBB384_1220:
	s_mov_b64 s[0:1], 0
.LBB384_1221:
	s_andn2_b64 vcc, exec, s[0:1]
	s_cbranch_vccnz .LBB384_1223
; %bb.1222:
	global_load_dword v1, v[2:3], off
	s_waitcnt vmcnt(0)
	v_cvt_i16_f16_e32 v4, v1
.LBB384_1223:
	s_mov_b64 s[0:1], 0
.LBB384_1224:
	s_andn2_b64 vcc, exec, s[0:1]
	s_cbranch_vccnz .LBB384_1235
; %bb.1225:
	s_cmp_lt_i32 s20, 6
	s_cbranch_scc1 .LBB384_1228
; %bb.1226:
	s_cmp_gt_i32 s20, 6
	s_cbranch_scc0 .LBB384_1229
; %bb.1227:
	global_load_dwordx2 v[4:5], v[2:3], off
	s_mov_b64 s[0:1], 0
	s_waitcnt vmcnt(0)
	v_cvt_i32_f64_e32 v4, v[4:5]
	s_branch .LBB384_1230
.LBB384_1228:
	s_mov_b64 s[0:1], -1
                                        ; implicit-def: $vgpr4
	s_branch .LBB384_1233
.LBB384_1229:
	s_mov_b64 s[0:1], -1
                                        ; implicit-def: $vgpr4
.LBB384_1230:
	s_andn2_b64 vcc, exec, s[0:1]
	s_cbranch_vccnz .LBB384_1232
; %bb.1231:
	global_load_dword v1, v[2:3], off
	s_waitcnt vmcnt(0)
	v_cvt_i32_f32_e32 v4, v1
.LBB384_1232:
	s_mov_b64 s[0:1], 0
.LBB384_1233:
	s_andn2_b64 vcc, exec, s[0:1]
	s_cbranch_vccnz .LBB384_1235
; %bb.1234:
	global_load_ushort v1, v[2:3], off
	s_waitcnt vmcnt(0)
	v_cvt_i16_f16_e32 v4, v1
.LBB384_1235:
	s_cbranch_execnz .LBB384_1255
.LBB384_1236:
	s_cmp_lt_i32 s20, 2
	s_cbranch_scc1 .LBB384_1240
; %bb.1237:
	s_cmp_lt_i32 s20, 3
	s_cbranch_scc1 .LBB384_1241
; %bb.1238:
	s_cmp_gt_i32 s20, 3
	s_cbranch_scc0 .LBB384_1242
; %bb.1239:
	global_load_dwordx2 v[4:5], v[2:3], off
	s_mov_b64 s[0:1], 0
	s_branch .LBB384_1243
.LBB384_1240:
	s_mov_b64 s[0:1], -1
                                        ; implicit-def: $vgpr4
	s_branch .LBB384_1249
.LBB384_1241:
	s_mov_b64 s[0:1], -1
                                        ; implicit-def: $vgpr4
	s_branch .LBB384_1246
.LBB384_1242:
	s_mov_b64 s[0:1], -1
                                        ; implicit-def: $vgpr4
.LBB384_1243:
	s_andn2_b64 vcc, exec, s[0:1]
	s_cbranch_vccnz .LBB384_1245
; %bb.1244:
	global_load_dword v4, v[2:3], off
.LBB384_1245:
	s_mov_b64 s[0:1], 0
.LBB384_1246:
	s_andn2_b64 vcc, exec, s[0:1]
	s_cbranch_vccnz .LBB384_1248
; %bb.1247:
	global_load_ushort v4, v[2:3], off
.LBB384_1248:
	s_mov_b64 s[0:1], 0
.LBB384_1249:
	s_andn2_b64 vcc, exec, s[0:1]
	s_cbranch_vccnz .LBB384_1255
; %bb.1250:
	s_cmp_gt_i32 s20, 0
	s_cbranch_scc0 .LBB384_1252
; %bb.1251:
	global_load_sbyte v4, v[2:3], off
	s_mov_b64 s[0:1], 0
	s_branch .LBB384_1253
.LBB384_1252:
	s_mov_b64 s[0:1], -1
                                        ; implicit-def: $vgpr4
.LBB384_1253:
	s_andn2_b64 vcc, exec, s[0:1]
	s_cbranch_vccnz .LBB384_1255
; %bb.1254:
	global_load_ubyte v4, v[2:3], off
.LBB384_1255:
.LBB384_1256:
	v_add_u32_e32 v0, s9, v0
	v_ashrrev_i32_e32 v1, 31, v0
	s_cmp_lt_i32 s20, 11
	v_lshl_add_u64 v[8:9], s[6:7], 0, v[0:1]
	s_cbranch_scc1 .LBB384_1263
; %bb.1257:
	s_cmp_gt_i32 s20, 25
	s_mov_b64 s[2:3], 0
	s_cbranch_scc0 .LBB384_1265
; %bb.1258:
	s_cmp_gt_i32 s20, 28
	s_cbranch_scc0 .LBB384_1266
; %bb.1259:
	s_cmp_gt_i32 s20, 43
	;; [unrolled: 3-line block ×3, first 2 shown]
	s_cbranch_scc0 .LBB384_1269
; %bb.1261:
	s_cmp_eq_u32 s20, 46
	s_mov_b64 s[18:19], 0
	s_cbranch_scc0 .LBB384_1270
; %bb.1262:
	global_load_dword v1, v[8:9], off
	s_mov_b64 s[0:1], 0
	s_mov_b64 s[16:17], -1
	s_waitcnt vmcnt(0)
	v_lshlrev_b32_e32 v1, 16, v1
	v_cvt_i32_f32_e32 v2, v1
	s_branch .LBB384_1271
.LBB384_1263:
	s_mov_b64 s[16:17], 0
                                        ; implicit-def: $vgpr2
	s_cbranch_execnz .LBB384_1333
.LBB384_1264:
	s_andn2_b64 vcc, exec, s[16:17]
	s_cbranch_vccnz .LBB384_1940
	s_branch .LBB384_1381
.LBB384_1265:
	s_mov_b64 s[18:19], -1
	s_mov_b64 s[16:17], 0
	s_mov_b64 s[0:1], 0
                                        ; implicit-def: $vgpr2
	s_branch .LBB384_1298
.LBB384_1266:
	s_mov_b64 s[18:19], -1
	s_mov_b64 s[16:17], 0
	s_mov_b64 s[0:1], 0
                                        ; implicit-def: $vgpr2
	s_branch .LBB384_1281
.LBB384_1267:
	s_mov_b64 s[18:19], -1
	s_mov_b64 s[16:17], 0
	s_mov_b64 s[0:1], 0
                                        ; implicit-def: $vgpr2
	s_branch .LBB384_1276
.LBB384_1268:
	s_trap 2
	s_or_b64 s[14:15], s[14:15], exec
	s_cbranch_execz .LBB384_1207
	s_branch .LBB384_1208
.LBB384_1269:
	s_mov_b64 s[18:19], -1
	s_mov_b64 s[16:17], 0
	s_mov_b64 s[0:1], 0
                                        ; implicit-def: $vgpr2
	s_branch .LBB384_1271
.LBB384_1270:
	s_mov_b64 s[0:1], -1
                                        ; implicit-def: $vgpr2
	s_mov_b64 s[16:17], 0
.LBB384_1271:
	s_and_b64 vcc, exec, s[18:19]
	s_cbranch_vccz .LBB384_1275
; %bb.1272:
	s_cmp_eq_u32 s20, 44
	s_cbranch_scc0 .LBB384_1274
; %bb.1273:
	global_load_ubyte v1, v[8:9], off
	s_mov_b64 s[0:1], 0
	s_mov_b64 s[16:17], -1
	s_waitcnt vmcnt(0)
	v_lshlrev_b32_e32 v2, 23, v1
	v_cvt_i32_f32_e32 v2, v2
	v_cmp_ne_u32_e32 vcc, 0, v1
	s_nop 1
	v_cndmask_b32_e32 v2, 0, v2, vcc
	s_branch .LBB384_1275
.LBB384_1274:
	s_mov_b64 s[0:1], -1
                                        ; implicit-def: $vgpr2
.LBB384_1275:
	s_mov_b64 s[18:19], 0
.LBB384_1276:
	s_and_b64 vcc, exec, s[18:19]
	s_cbranch_vccz .LBB384_1280
; %bb.1277:
	s_cmp_eq_u32 s20, 29
	s_cbranch_scc0 .LBB384_1279
; %bb.1278:
	global_load_dwordx2 v[2:3], v[8:9], off
	s_mov_b64 s[0:1], 0
	s_mov_b64 s[16:17], -1
	s_branch .LBB384_1280
.LBB384_1279:
	s_mov_b64 s[0:1], -1
                                        ; implicit-def: $vgpr2
.LBB384_1280:
	s_mov_b64 s[18:19], 0
.LBB384_1281:
	s_and_b64 vcc, exec, s[18:19]
	s_cbranch_vccz .LBB384_1297
; %bb.1282:
	s_cmp_lt_i32 s20, 27
	s_cbranch_scc1 .LBB384_1285
; %bb.1283:
	s_cmp_gt_i32 s20, 27
	s_cbranch_scc0 .LBB384_1286
; %bb.1284:
	global_load_dword v2, v[8:9], off
	s_mov_b64 s[16:17], 0
	s_branch .LBB384_1287
.LBB384_1285:
	s_mov_b64 s[16:17], -1
                                        ; implicit-def: $vgpr2
	s_branch .LBB384_1290
.LBB384_1286:
	s_mov_b64 s[16:17], -1
                                        ; implicit-def: $vgpr2
.LBB384_1287:
	s_andn2_b64 vcc, exec, s[16:17]
	s_cbranch_vccnz .LBB384_1289
; %bb.1288:
	global_load_ushort v2, v[8:9], off
.LBB384_1289:
	s_mov_b64 s[16:17], 0
.LBB384_1290:
	s_andn2_b64 vcc, exec, s[16:17]
	s_cbranch_vccnz .LBB384_1296
; %bb.1291:
	global_load_ubyte v1, v[8:9], off
	s_movk_i32 s16, 0x7f
	s_mov_b64 s[18:19], 0
	s_waitcnt vmcnt(0)
	v_cmp_lt_i16_e32 vcc, s16, v1
	s_and_saveexec_b64 s[16:17], vcc
	s_xor_b64 s[16:17], exec, s[16:17]
	s_cbranch_execz .LBB384_1308
; %bb.1292:
	s_movk_i32 s18, 0x80
	v_cmp_ne_u16_e32 vcc, s18, v1
	s_and_b64 s[18:19], vcc, exec
	s_andn2_saveexec_b64 s[16:17], s[16:17]
	s_cbranch_execnz .LBB384_1309
.LBB384_1293:
	s_or_b64 exec, exec, s[16:17]
	v_mov_b32_e32 v2, 0
	s_and_saveexec_b64 s[16:17], s[18:19]
	s_cbranch_execz .LBB384_1295
.LBB384_1294:
	v_lshlrev_b32_e32 v2, 24, v1
	v_and_b32_e32 v1, 0xffff, v1
	v_and_b32_e32 v3, 7, v1
	v_ffbh_u32_e32 v7, v3
	v_min_u32_e32 v7, 32, v7
	v_subrev_u32_e32 v11, 28, v7
	v_bfe_u32 v5, v1, 3, 4
	v_lshlrev_b32_e32 v1, v11, v1
	v_sub_u32_e32 v7, 29, v7
	v_and_b32_e32 v1, 7, v1
	v_cmp_eq_u32_e32 vcc, 0, v5
	v_and_b32_e32 v2, 0x80000000, v2
	s_nop 0
	v_cndmask_b32_e32 v5, v5, v7, vcc
	v_cndmask_b32_e32 v1, v3, v1, vcc
	v_mov_b32_e32 v3, 0x3b800000
	v_lshlrev_b32_e32 v1, 20, v1
	v_lshl_add_u32 v3, v5, 23, v3
	v_or3_b32 v1, v2, v3, v1
	v_cvt_i32_f32_e32 v2, v1
.LBB384_1295:
	s_or_b64 exec, exec, s[16:17]
.LBB384_1296:
	s_mov_b64 s[16:17], -1
.LBB384_1297:
	s_mov_b64 s[18:19], 0
.LBB384_1298:
	s_and_b64 vcc, exec, s[18:19]
	s_cbranch_vccz .LBB384_1329
; %bb.1299:
	s_cmp_gt_i32 s20, 22
	s_cbranch_scc0 .LBB384_1307
; %bb.1300:
	s_cmp_lt_i32 s20, 24
	s_cbranch_scc1 .LBB384_1310
; %bb.1301:
	s_cmp_gt_i32 s20, 24
	s_cbranch_scc0 .LBB384_1311
; %bb.1302:
	global_load_ubyte v1, v[8:9], off
	s_movk_i32 s2, 0x7f
	s_mov_b64 s[16:17], 0
	s_waitcnt vmcnt(0)
	v_cmp_lt_i16_e32 vcc, s2, v1
	s_and_saveexec_b64 s[2:3], vcc
	s_xor_b64 s[2:3], exec, s[2:3]
	s_cbranch_execz .LBB384_1323
; %bb.1303:
	s_movk_i32 s16, 0x80
	v_cmp_ne_u16_e32 vcc, s16, v1
	s_and_b64 s[16:17], vcc, exec
	s_andn2_saveexec_b64 s[2:3], s[2:3]
	s_cbranch_execnz .LBB384_1324
.LBB384_1304:
	s_or_b64 exec, exec, s[2:3]
	v_mov_b32_e32 v2, 0
	s_and_saveexec_b64 s[2:3], s[16:17]
	s_cbranch_execz .LBB384_1306
.LBB384_1305:
	v_lshlrev_b32_e32 v2, 24, v1
	v_and_b32_e32 v1, 0xffff, v1
	v_and_b32_e32 v3, 3, v1
	v_ffbh_u32_e32 v7, v3
	v_min_u32_e32 v7, 32, v7
	v_subrev_u32_e32 v11, 29, v7
	v_bfe_u32 v5, v1, 2, 5
	v_lshlrev_b32_e32 v1, v11, v1
	v_sub_u32_e32 v7, 30, v7
	v_and_b32_e32 v1, 3, v1
	v_cmp_eq_u32_e32 vcc, 0, v5
	v_and_b32_e32 v2, 0x80000000, v2
	s_nop 0
	v_cndmask_b32_e32 v5, v5, v7, vcc
	v_cndmask_b32_e32 v1, v3, v1, vcc
	v_mov_b32_e32 v3, 0x37800000
	v_lshlrev_b32_e32 v1, 21, v1
	v_lshl_add_u32 v3, v5, 23, v3
	v_or3_b32 v1, v2, v3, v1
	v_cvt_i32_f32_e32 v2, v1
.LBB384_1306:
	s_or_b64 exec, exec, s[2:3]
	s_mov_b64 s[2:3], 0
	s_branch .LBB384_1312
.LBB384_1307:
	s_mov_b64 s[2:3], -1
                                        ; implicit-def: $vgpr2
	s_branch .LBB384_1318
.LBB384_1308:
	s_andn2_saveexec_b64 s[16:17], s[16:17]
	s_cbranch_execz .LBB384_1293
.LBB384_1309:
	v_cmp_ne_u16_e32 vcc, 0, v1
	s_andn2_b64 s[18:19], s[18:19], exec
	s_and_b64 s[22:23], vcc, exec
	s_or_b64 s[18:19], s[18:19], s[22:23]
	s_or_b64 exec, exec, s[16:17]
	v_mov_b32_e32 v2, 0
	s_and_saveexec_b64 s[16:17], s[18:19]
	s_cbranch_execnz .LBB384_1294
	s_branch .LBB384_1295
.LBB384_1310:
	s_mov_b64 s[2:3], -1
                                        ; implicit-def: $vgpr2
	s_branch .LBB384_1315
.LBB384_1311:
	s_mov_b64 s[2:3], -1
                                        ; implicit-def: $vgpr2
.LBB384_1312:
	s_and_b64 vcc, exec, s[2:3]
	s_cbranch_vccz .LBB384_1314
; %bb.1313:
	global_load_ubyte v1, v[8:9], off
	s_mov_b32 s2, 0x7f800000
	s_waitcnt vmcnt(0)
	v_lshlrev_b32_e32 v1, 24, v1
	v_and_b32_e32 v2, 0x7f000000, v1
	v_ffbh_u32_e32 v3, v2
	v_min_u32_e32 v3, 32, v3
	v_sub_u32_e64 v3, v3, 4 clamp
	v_lshlrev_b32_e32 v7, v3, v2
	v_lshlrev_b32_e32 v3, 23, v3
	v_lshrrev_b32_e32 v7, 4, v7
	v_add_u32_e32 v5, 0x1000000, v2
	v_sub_u32_e32 v3, v7, v3
	v_ashrrev_i32_e32 v5, 8, v5
	v_add_u32_e32 v3, 0x3c000000, v3
	v_and_or_b32 v3, v5, s2, v3
	v_cmp_ne_u32_e32 vcc, 0, v2
	s_brev_b32 s2, 1
	s_nop 0
	v_cndmask_b32_e32 v2, 0, v3, vcc
	v_and_or_b32 v1, v1, s2, v2
	v_cvt_i32_f32_e32 v2, v1
.LBB384_1314:
	s_mov_b64 s[2:3], 0
.LBB384_1315:
	s_andn2_b64 vcc, exec, s[2:3]
	s_cbranch_vccnz .LBB384_1317
; %bb.1316:
	global_load_ubyte v1, v[8:9], off
	s_movk_i32 s2, 0x7f00
	s_brev_b32 s3, 16
	s_waitcnt vmcnt(0)
	v_lshlrev_b16_e32 v2, 8, v1
	v_lshlrev_b32_e32 v1, 25, v1
	v_lshrrev_b32_e32 v3, 4, v1
	v_and_or_b32 v5, v2, s2, 0.5
	v_or_b32_e32 v3, 0x70000000, v3
	v_add_f32_e32 v5, -0.5, v5
	v_mul_f32_e32 v3, 0x7800000, v3
	v_cmp_gt_u32_e32 vcc, s3, v1
	v_bfe_i32 v2, v2, 0, 16
	s_brev_b32 s2, 1
	v_cndmask_b32_e32 v1, v3, v5, vcc
	v_and_or_b32 v1, v2, s2, v1
	v_cvt_i32_f32_e32 v2, v1
.LBB384_1317:
	s_mov_b64 s[2:3], 0
	s_mov_b64 s[16:17], -1
.LBB384_1318:
	s_andn2_b64 vcc, exec, s[2:3]
	s_mov_b64 s[2:3], 0
	s_cbranch_vccnz .LBB384_1329
; %bb.1319:
	s_cmp_gt_i32 s20, 14
	s_cbranch_scc0 .LBB384_1322
; %bb.1320:
	s_cmp_eq_u32 s20, 15
	s_cbranch_scc0 .LBB384_1325
; %bb.1321:
	global_load_ushort v1, v[8:9], off
	s_mov_b64 s[0:1], 0
	s_mov_b64 s[16:17], -1
	s_waitcnt vmcnt(0)
	v_lshlrev_b32_e32 v1, 16, v1
	v_cvt_i32_f32_e32 v2, v1
	s_branch .LBB384_1326
.LBB384_1322:
	s_mov_b64 s[18:19], -1
                                        ; implicit-def: $vgpr2
	s_branch .LBB384_1327
.LBB384_1323:
	s_andn2_saveexec_b64 s[2:3], s[2:3]
	s_cbranch_execz .LBB384_1304
.LBB384_1324:
	v_cmp_ne_u16_e32 vcc, 0, v1
	s_andn2_b64 s[16:17], s[16:17], exec
	s_and_b64 s[18:19], vcc, exec
	s_or_b64 s[16:17], s[16:17], s[18:19]
	s_or_b64 exec, exec, s[2:3]
	v_mov_b32_e32 v2, 0
	s_and_saveexec_b64 s[2:3], s[16:17]
	s_cbranch_execnz .LBB384_1305
	s_branch .LBB384_1306
.LBB384_1325:
	s_mov_b64 s[0:1], -1
                                        ; implicit-def: $vgpr2
.LBB384_1326:
	s_mov_b64 s[18:19], 0
.LBB384_1327:
	s_and_b64 vcc, exec, s[18:19]
	s_cbranch_vccz .LBB384_1329
; %bb.1328:
	s_cmp_lg_u32 s20, 11
	s_mov_b64 s[2:3], -1
	s_cselect_b64 s[0:1], -1, 0
.LBB384_1329:
	s_and_b64 vcc, exec, s[0:1]
	s_cbranch_vccnz .LBB384_1392
; %bb.1330:
	s_andn2_b64 vcc, exec, s[2:3]
	s_cbranch_vccnz .LBB384_1332
.LBB384_1331:
	global_load_ubyte v1, v[8:9], off
	s_mov_b64 s[16:17], -1
	s_waitcnt vmcnt(0)
	v_cmp_ne_u16_e32 vcc, 0, v1
	s_nop 1
	v_cndmask_b32_e64 v2, 0, 1, vcc
.LBB384_1332:
	s_branch .LBB384_1264
.LBB384_1333:
	s_cmp_lt_i32 s20, 5
	s_cbranch_scc1 .LBB384_1338
; %bb.1334:
	s_cmp_lt_i32 s20, 8
	s_cbranch_scc1 .LBB384_1339
; %bb.1335:
	;; [unrolled: 3-line block ×3, first 2 shown]
	s_cmp_gt_i32 s20, 9
	s_cbranch_scc0 .LBB384_1341
; %bb.1337:
	global_load_dwordx2 v[2:3], v[8:9], off
	s_mov_b64 s[0:1], 0
	s_waitcnt vmcnt(0)
	v_cvt_i32_f64_e32 v2, v[2:3]
	s_branch .LBB384_1342
.LBB384_1338:
	s_mov_b64 s[0:1], -1
                                        ; implicit-def: $vgpr2
	s_branch .LBB384_1360
.LBB384_1339:
	s_mov_b64 s[0:1], -1
                                        ; implicit-def: $vgpr2
	s_branch .LBB384_1348
.LBB384_1340:
	s_mov_b64 s[0:1], -1
                                        ; implicit-def: $vgpr2
	s_branch .LBB384_1345
.LBB384_1341:
	s_mov_b64 s[0:1], -1
                                        ; implicit-def: $vgpr2
.LBB384_1342:
	s_andn2_b64 vcc, exec, s[0:1]
	s_cbranch_vccnz .LBB384_1344
; %bb.1343:
	global_load_dword v1, v[8:9], off
	s_waitcnt vmcnt(0)
	v_cvt_i32_f32_e32 v2, v1
.LBB384_1344:
	s_mov_b64 s[0:1], 0
.LBB384_1345:
	s_andn2_b64 vcc, exec, s[0:1]
	s_cbranch_vccnz .LBB384_1347
; %bb.1346:
	global_load_dword v1, v[8:9], off
	s_waitcnt vmcnt(0)
	v_cvt_i16_f16_e32 v2, v1
.LBB384_1347:
	s_mov_b64 s[0:1], 0
.LBB384_1348:
	s_andn2_b64 vcc, exec, s[0:1]
	s_cbranch_vccnz .LBB384_1359
; %bb.1349:
	s_cmp_lt_i32 s20, 6
	s_cbranch_scc1 .LBB384_1352
; %bb.1350:
	s_cmp_gt_i32 s20, 6
	s_cbranch_scc0 .LBB384_1353
; %bb.1351:
	global_load_dwordx2 v[2:3], v[8:9], off
	s_mov_b64 s[0:1], 0
	s_waitcnt vmcnt(0)
	v_cvt_i32_f64_e32 v2, v[2:3]
	s_branch .LBB384_1354
.LBB384_1352:
	s_mov_b64 s[0:1], -1
                                        ; implicit-def: $vgpr2
	s_branch .LBB384_1357
.LBB384_1353:
	s_mov_b64 s[0:1], -1
                                        ; implicit-def: $vgpr2
.LBB384_1354:
	s_andn2_b64 vcc, exec, s[0:1]
	s_cbranch_vccnz .LBB384_1356
; %bb.1355:
	global_load_dword v1, v[8:9], off
	s_waitcnt vmcnt(0)
	v_cvt_i32_f32_e32 v2, v1
.LBB384_1356:
	s_mov_b64 s[0:1], 0
.LBB384_1357:
	s_andn2_b64 vcc, exec, s[0:1]
	s_cbranch_vccnz .LBB384_1359
; %bb.1358:
	global_load_ushort v1, v[8:9], off
	s_waitcnt vmcnt(0)
	v_cvt_i16_f16_e32 v2, v1
.LBB384_1359:
	s_mov_b64 s[0:1], 0
.LBB384_1360:
	s_andn2_b64 vcc, exec, s[0:1]
	s_cbranch_vccnz .LBB384_1380
; %bb.1361:
	s_cmp_lt_i32 s20, 2
	s_cbranch_scc1 .LBB384_1365
; %bb.1362:
	s_cmp_lt_i32 s20, 3
	s_cbranch_scc1 .LBB384_1366
; %bb.1363:
	s_cmp_gt_i32 s20, 3
	s_cbranch_scc0 .LBB384_1367
; %bb.1364:
	global_load_dwordx2 v[2:3], v[8:9], off
	s_mov_b64 s[0:1], 0
	s_branch .LBB384_1368
.LBB384_1365:
	s_mov_b64 s[0:1], -1
                                        ; implicit-def: $vgpr2
	s_branch .LBB384_1374
.LBB384_1366:
	s_mov_b64 s[0:1], -1
                                        ; implicit-def: $vgpr2
	s_branch .LBB384_1371
.LBB384_1367:
	s_mov_b64 s[0:1], -1
                                        ; implicit-def: $vgpr2
.LBB384_1368:
	s_andn2_b64 vcc, exec, s[0:1]
	s_cbranch_vccnz .LBB384_1370
; %bb.1369:
	global_load_dword v2, v[8:9], off
.LBB384_1370:
	s_mov_b64 s[0:1], 0
.LBB384_1371:
	s_andn2_b64 vcc, exec, s[0:1]
	s_cbranch_vccnz .LBB384_1373
; %bb.1372:
	global_load_ushort v2, v[8:9], off
.LBB384_1373:
	s_mov_b64 s[0:1], 0
.LBB384_1374:
	s_andn2_b64 vcc, exec, s[0:1]
	s_cbranch_vccnz .LBB384_1380
; %bb.1375:
	s_cmp_gt_i32 s20, 0
	s_cbranch_scc0 .LBB384_1377
; %bb.1376:
	global_load_sbyte v2, v[8:9], off
	s_mov_b64 s[0:1], 0
	s_branch .LBB384_1378
.LBB384_1377:
	s_mov_b64 s[0:1], -1
                                        ; implicit-def: $vgpr2
.LBB384_1378:
	s_andn2_b64 vcc, exec, s[0:1]
	s_cbranch_vccnz .LBB384_1380
; %bb.1379:
	global_load_ubyte v2, v[8:9], off
.LBB384_1380:
.LBB384_1381:
	v_add_u32_e32 v0, s9, v0
	v_ashrrev_i32_e32 v1, 31, v0
	s_cmp_lt_i32 s20, 11
	v_lshl_add_u64 v[8:9], s[6:7], 0, v[0:1]
	s_cbranch_scc1 .LBB384_1388
; %bb.1382:
	s_cmp_gt_i32 s20, 25
	s_mov_b64 s[2:3], 0
	s_cbranch_scc0 .LBB384_1389
; %bb.1383:
	s_cmp_gt_i32 s20, 28
	s_cbranch_scc0 .LBB384_1390
; %bb.1384:
	s_cmp_gt_i32 s20, 43
	;; [unrolled: 3-line block ×3, first 2 shown]
	s_cbranch_scc0 .LBB384_1393
; %bb.1386:
	s_cmp_eq_u32 s20, 46
	s_mov_b64 s[16:17], 0
	s_cbranch_scc0 .LBB384_1394
; %bb.1387:
	global_load_dword v0, v[8:9], off
	s_mov_b64 s[0:1], 0
	s_mov_b64 s[6:7], -1
	s_waitcnt vmcnt(0)
	v_lshlrev_b32_e32 v0, 16, v0
	v_cvt_i32_f32_e32 v0, v0
	s_branch .LBB384_1395
.LBB384_1388:
	s_mov_b64 s[0:1], -1
	s_mov_b64 s[6:7], 0
                                        ; implicit-def: $vgpr0
	s_branch .LBB384_1457
.LBB384_1389:
	s_mov_b64 s[16:17], -1
	s_mov_b64 s[6:7], 0
	s_mov_b64 s[0:1], 0
                                        ; implicit-def: $vgpr0
	s_branch .LBB384_1422
.LBB384_1390:
	s_mov_b64 s[16:17], -1
	s_mov_b64 s[6:7], 0
	s_mov_b64 s[0:1], 0
                                        ; implicit-def: $vgpr0
	s_branch .LBB384_1405
.LBB384_1391:
	s_mov_b64 s[16:17], -1
	s_mov_b64 s[6:7], 0
	s_mov_b64 s[0:1], 0
                                        ; implicit-def: $vgpr0
	s_branch .LBB384_1400
.LBB384_1392:
	s_trap 2
	s_or_b64 s[14:15], s[14:15], exec
	s_cbranch_execz .LBB384_1331
	s_branch .LBB384_1332
.LBB384_1393:
	s_mov_b64 s[16:17], -1
	s_mov_b64 s[6:7], 0
	s_mov_b64 s[0:1], 0
                                        ; implicit-def: $vgpr0
	s_branch .LBB384_1395
.LBB384_1394:
	s_mov_b64 s[0:1], -1
                                        ; implicit-def: $vgpr0
	s_mov_b64 s[6:7], 0
.LBB384_1395:
	s_and_b64 vcc, exec, s[16:17]
	s_cbranch_vccz .LBB384_1399
; %bb.1396:
	s_cmp_eq_u32 s20, 44
	s_cbranch_scc0 .LBB384_1398
; %bb.1397:
	global_load_ubyte v0, v[8:9], off
	s_mov_b64 s[0:1], 0
	s_mov_b64 s[6:7], -1
	s_waitcnt vmcnt(0)
	v_lshlrev_b32_e32 v1, 23, v0
	v_cvt_i32_f32_e32 v1, v1
	v_cmp_ne_u32_e32 vcc, 0, v0
	s_nop 1
	v_cndmask_b32_e32 v0, 0, v1, vcc
	s_branch .LBB384_1399
.LBB384_1398:
	s_mov_b64 s[0:1], -1
                                        ; implicit-def: $vgpr0
.LBB384_1399:
	s_mov_b64 s[16:17], 0
.LBB384_1400:
	s_and_b64 vcc, exec, s[16:17]
	s_cbranch_vccz .LBB384_1404
; %bb.1401:
	s_cmp_eq_u32 s20, 29
	s_cbranch_scc0 .LBB384_1403
; %bb.1402:
	global_load_dwordx2 v[0:1], v[8:9], off
	s_mov_b64 s[0:1], 0
	s_mov_b64 s[6:7], -1
	s_branch .LBB384_1404
.LBB384_1403:
	s_mov_b64 s[0:1], -1
                                        ; implicit-def: $vgpr0
.LBB384_1404:
	s_mov_b64 s[16:17], 0
.LBB384_1405:
	s_and_b64 vcc, exec, s[16:17]
	s_cbranch_vccz .LBB384_1421
; %bb.1406:
	s_cmp_lt_i32 s20, 27
	s_cbranch_scc1 .LBB384_1409
; %bb.1407:
	s_cmp_gt_i32 s20, 27
	s_cbranch_scc0 .LBB384_1410
; %bb.1408:
	global_load_dword v0, v[8:9], off
	s_mov_b64 s[6:7], 0
	s_branch .LBB384_1411
.LBB384_1409:
	s_mov_b64 s[6:7], -1
                                        ; implicit-def: $vgpr0
	s_branch .LBB384_1414
.LBB384_1410:
	s_mov_b64 s[6:7], -1
                                        ; implicit-def: $vgpr0
.LBB384_1411:
	s_andn2_b64 vcc, exec, s[6:7]
	s_cbranch_vccnz .LBB384_1413
; %bb.1412:
	global_load_ushort v0, v[8:9], off
.LBB384_1413:
	s_mov_b64 s[6:7], 0
.LBB384_1414:
	s_andn2_b64 vcc, exec, s[6:7]
	s_cbranch_vccnz .LBB384_1420
; %bb.1415:
	global_load_ubyte v1, v[8:9], off
	s_movk_i32 s6, 0x7f
	s_mov_b64 s[16:17], 0
	s_waitcnt vmcnt(0)
	v_cmp_lt_i16_e32 vcc, s6, v1
	s_and_saveexec_b64 s[6:7], vcc
	s_xor_b64 s[6:7], exec, s[6:7]
	s_cbranch_execz .LBB384_1432
; %bb.1416:
	s_movk_i32 s9, 0x80
	v_cmp_ne_u16_e32 vcc, s9, v1
	s_and_b64 s[16:17], vcc, exec
	s_andn2_saveexec_b64 s[6:7], s[6:7]
	s_cbranch_execnz .LBB384_1433
.LBB384_1417:
	s_or_b64 exec, exec, s[6:7]
	v_mov_b32_e32 v0, 0
	s_and_saveexec_b64 s[6:7], s[16:17]
	s_cbranch_execz .LBB384_1419
.LBB384_1418:
	v_lshlrev_b32_e32 v0, 24, v1
	v_and_b32_e32 v1, 0xffff, v1
	v_and_b32_e32 v3, 7, v1
	v_ffbh_u32_e32 v7, v3
	v_min_u32_e32 v7, 32, v7
	v_subrev_u32_e32 v11, 28, v7
	v_bfe_u32 v5, v1, 3, 4
	v_lshlrev_b32_e32 v1, v11, v1
	v_sub_u32_e32 v7, 29, v7
	v_and_b32_e32 v1, 7, v1
	v_cmp_eq_u32_e32 vcc, 0, v5
	v_and_b32_e32 v0, 0x80000000, v0
	s_nop 0
	v_cndmask_b32_e32 v5, v5, v7, vcc
	v_cndmask_b32_e32 v1, v3, v1, vcc
	v_mov_b32_e32 v3, 0x3b800000
	v_lshlrev_b32_e32 v1, 20, v1
	v_lshl_add_u32 v3, v5, 23, v3
	v_or3_b32 v0, v0, v3, v1
	v_cvt_i32_f32_e32 v0, v0
.LBB384_1419:
	s_or_b64 exec, exec, s[6:7]
.LBB384_1420:
	s_mov_b64 s[6:7], -1
.LBB384_1421:
	s_mov_b64 s[16:17], 0
.LBB384_1422:
	s_and_b64 vcc, exec, s[16:17]
	s_cbranch_vccz .LBB384_1453
; %bb.1423:
	s_cmp_gt_i32 s20, 22
	s_cbranch_scc0 .LBB384_1431
; %bb.1424:
	s_cmp_lt_i32 s20, 24
	s_cbranch_scc1 .LBB384_1434
; %bb.1425:
	s_cmp_gt_i32 s20, 24
	s_cbranch_scc0 .LBB384_1435
; %bb.1426:
	global_load_ubyte v1, v[8:9], off
	s_movk_i32 s2, 0x7f
	s_mov_b64 s[6:7], 0
	s_waitcnt vmcnt(0)
	v_cmp_lt_i16_e32 vcc, s2, v1
	s_and_saveexec_b64 s[2:3], vcc
	s_xor_b64 s[2:3], exec, s[2:3]
	s_cbranch_execz .LBB384_1447
; %bb.1427:
	s_movk_i32 s6, 0x80
	v_cmp_ne_u16_e32 vcc, s6, v1
	s_and_b64 s[6:7], vcc, exec
	s_andn2_saveexec_b64 s[2:3], s[2:3]
	s_cbranch_execnz .LBB384_1448
.LBB384_1428:
	s_or_b64 exec, exec, s[2:3]
	v_mov_b32_e32 v0, 0
	s_and_saveexec_b64 s[2:3], s[6:7]
	s_cbranch_execz .LBB384_1430
.LBB384_1429:
	v_lshlrev_b32_e32 v0, 24, v1
	v_and_b32_e32 v1, 0xffff, v1
	v_and_b32_e32 v3, 3, v1
	v_ffbh_u32_e32 v7, v3
	v_min_u32_e32 v7, 32, v7
	v_subrev_u32_e32 v11, 29, v7
	v_bfe_u32 v5, v1, 2, 5
	v_lshlrev_b32_e32 v1, v11, v1
	v_sub_u32_e32 v7, 30, v7
	v_and_b32_e32 v1, 3, v1
	v_cmp_eq_u32_e32 vcc, 0, v5
	v_and_b32_e32 v0, 0x80000000, v0
	s_nop 0
	v_cndmask_b32_e32 v5, v5, v7, vcc
	v_cndmask_b32_e32 v1, v3, v1, vcc
	v_mov_b32_e32 v3, 0x37800000
	v_lshlrev_b32_e32 v1, 21, v1
	v_lshl_add_u32 v3, v5, 23, v3
	v_or3_b32 v0, v0, v3, v1
	v_cvt_i32_f32_e32 v0, v0
.LBB384_1430:
	s_or_b64 exec, exec, s[2:3]
	s_mov_b64 s[2:3], 0
	s_branch .LBB384_1436
.LBB384_1431:
	s_mov_b64 s[2:3], -1
                                        ; implicit-def: $vgpr0
	s_branch .LBB384_1442
.LBB384_1432:
	s_andn2_saveexec_b64 s[6:7], s[6:7]
	s_cbranch_execz .LBB384_1417
.LBB384_1433:
	v_cmp_ne_u16_e32 vcc, 0, v1
	s_andn2_b64 s[16:17], s[16:17], exec
	s_and_b64 s[18:19], vcc, exec
	s_or_b64 s[16:17], s[16:17], s[18:19]
	s_or_b64 exec, exec, s[6:7]
	v_mov_b32_e32 v0, 0
	s_and_saveexec_b64 s[6:7], s[16:17]
	s_cbranch_execnz .LBB384_1418
	s_branch .LBB384_1419
.LBB384_1434:
	s_mov_b64 s[2:3], -1
                                        ; implicit-def: $vgpr0
	s_branch .LBB384_1439
.LBB384_1435:
	s_mov_b64 s[2:3], -1
                                        ; implicit-def: $vgpr0
.LBB384_1436:
	s_and_b64 vcc, exec, s[2:3]
	s_cbranch_vccz .LBB384_1438
; %bb.1437:
	global_load_ubyte v0, v[8:9], off
	s_mov_b32 s2, 0x7f800000
	s_waitcnt vmcnt(0)
	v_lshlrev_b32_e32 v0, 24, v0
	v_and_b32_e32 v1, 0x7f000000, v0
	v_ffbh_u32_e32 v3, v1
	v_min_u32_e32 v3, 32, v3
	v_sub_u32_e64 v3, v3, 4 clamp
	v_lshlrev_b32_e32 v7, v3, v1
	v_lshlrev_b32_e32 v3, 23, v3
	v_lshrrev_b32_e32 v7, 4, v7
	v_add_u32_e32 v5, 0x1000000, v1
	v_sub_u32_e32 v3, v7, v3
	v_ashrrev_i32_e32 v5, 8, v5
	v_add_u32_e32 v3, 0x3c000000, v3
	v_and_or_b32 v3, v5, s2, v3
	v_cmp_ne_u32_e32 vcc, 0, v1
	s_brev_b32 s2, 1
	s_nop 0
	v_cndmask_b32_e32 v1, 0, v3, vcc
	v_and_or_b32 v0, v0, s2, v1
	v_cvt_i32_f32_e32 v0, v0
.LBB384_1438:
	s_mov_b64 s[2:3], 0
.LBB384_1439:
	s_andn2_b64 vcc, exec, s[2:3]
	s_cbranch_vccnz .LBB384_1441
; %bb.1440:
	global_load_ubyte v0, v[8:9], off
	s_movk_i32 s2, 0x7f00
	s_brev_b32 s3, 16
	s_waitcnt vmcnt(0)
	v_lshlrev_b16_e32 v1, 8, v0
	v_lshlrev_b32_e32 v0, 25, v0
	v_lshrrev_b32_e32 v3, 4, v0
	v_and_or_b32 v5, v1, s2, 0.5
	v_or_b32_e32 v3, 0x70000000, v3
	v_add_f32_e32 v5, -0.5, v5
	v_mul_f32_e32 v3, 0x7800000, v3
	v_cmp_gt_u32_e32 vcc, s3, v0
	v_bfe_i32 v1, v1, 0, 16
	s_brev_b32 s2, 1
	v_cndmask_b32_e32 v0, v3, v5, vcc
	v_and_or_b32 v0, v1, s2, v0
	v_cvt_i32_f32_e32 v0, v0
.LBB384_1441:
	s_mov_b64 s[2:3], 0
	s_mov_b64 s[6:7], -1
.LBB384_1442:
	s_andn2_b64 vcc, exec, s[2:3]
	s_mov_b64 s[2:3], 0
	s_cbranch_vccnz .LBB384_1453
; %bb.1443:
	s_cmp_gt_i32 s20, 14
	s_cbranch_scc0 .LBB384_1446
; %bb.1444:
	s_cmp_eq_u32 s20, 15
	s_cbranch_scc0 .LBB384_1449
; %bb.1445:
	global_load_ushort v0, v[8:9], off
	s_mov_b64 s[0:1], 0
	s_mov_b64 s[6:7], -1
	s_waitcnt vmcnt(0)
	v_lshlrev_b32_e32 v0, 16, v0
	v_cvt_i32_f32_e32 v0, v0
	s_branch .LBB384_1450
.LBB384_1446:
	s_mov_b64 s[16:17], -1
                                        ; implicit-def: $vgpr0
	s_branch .LBB384_1451
.LBB384_1447:
	s_andn2_saveexec_b64 s[2:3], s[2:3]
	s_cbranch_execz .LBB384_1428
.LBB384_1448:
	v_cmp_ne_u16_e32 vcc, 0, v1
	s_andn2_b64 s[6:7], s[6:7], exec
	s_and_b64 s[16:17], vcc, exec
	s_or_b64 s[6:7], s[6:7], s[16:17]
	s_or_b64 exec, exec, s[2:3]
	v_mov_b32_e32 v0, 0
	s_and_saveexec_b64 s[2:3], s[6:7]
	s_cbranch_execnz .LBB384_1429
	s_branch .LBB384_1430
.LBB384_1449:
	s_mov_b64 s[0:1], -1
                                        ; implicit-def: $vgpr0
.LBB384_1450:
	s_mov_b64 s[16:17], 0
.LBB384_1451:
	s_and_b64 vcc, exec, s[16:17]
	s_cbranch_vccz .LBB384_1453
; %bb.1452:
	s_cmp_lg_u32 s20, 11
	s_mov_b64 s[2:3], -1
	s_cselect_b64 s[0:1], -1, 0
.LBB384_1453:
	s_and_b64 vcc, exec, s[0:1]
	s_cbranch_vccnz .LBB384_1986
; %bb.1454:
	s_andn2_b64 vcc, exec, s[2:3]
	s_cbranch_vccnz .LBB384_1456
.LBB384_1455:
	global_load_ubyte v0, v[8:9], off
	s_mov_b64 s[6:7], -1
	s_waitcnt vmcnt(0)
	v_cmp_ne_u16_e32 vcc, 0, v0
	s_nop 1
	v_cndmask_b32_e64 v0, 0, 1, vcc
.LBB384_1456:
	s_mov_b64 s[0:1], 0
.LBB384_1457:
	s_and_b64 vcc, exec, s[0:1]
	s_cbranch_vccz .LBB384_1506
; %bb.1458:
	s_cmp_lt_i32 s20, 5
	s_cbranch_scc1 .LBB384_1463
; %bb.1459:
	s_cmp_lt_i32 s20, 8
	s_cbranch_scc1 .LBB384_1464
	;; [unrolled: 3-line block ×3, first 2 shown]
; %bb.1461:
	s_cmp_gt_i32 s20, 9
	s_cbranch_scc0 .LBB384_1466
; %bb.1462:
	global_load_dwordx2 v[0:1], v[8:9], off
	s_mov_b64 s[0:1], 0
	s_waitcnt vmcnt(0)
	v_cvt_i32_f64_e32 v0, v[0:1]
	s_branch .LBB384_1467
.LBB384_1463:
	s_mov_b64 s[0:1], -1
                                        ; implicit-def: $vgpr0
	s_branch .LBB384_1485
.LBB384_1464:
	s_mov_b64 s[0:1], -1
                                        ; implicit-def: $vgpr0
	s_branch .LBB384_1473
.LBB384_1465:
	s_mov_b64 s[0:1], -1
                                        ; implicit-def: $vgpr0
	s_branch .LBB384_1470
.LBB384_1466:
	s_mov_b64 s[0:1], -1
                                        ; implicit-def: $vgpr0
.LBB384_1467:
	s_andn2_b64 vcc, exec, s[0:1]
	s_cbranch_vccnz .LBB384_1469
; %bb.1468:
	global_load_dword v0, v[8:9], off
	s_waitcnt vmcnt(0)
	v_cvt_i32_f32_e32 v0, v0
.LBB384_1469:
	s_mov_b64 s[0:1], 0
.LBB384_1470:
	s_andn2_b64 vcc, exec, s[0:1]
	s_cbranch_vccnz .LBB384_1472
; %bb.1471:
	global_load_dword v0, v[8:9], off
	s_waitcnt vmcnt(0)
	v_cvt_i16_f16_e32 v0, v0
.LBB384_1472:
	s_mov_b64 s[0:1], 0
.LBB384_1473:
	s_andn2_b64 vcc, exec, s[0:1]
	s_cbranch_vccnz .LBB384_1484
; %bb.1474:
	s_cmp_lt_i32 s20, 6
	s_cbranch_scc1 .LBB384_1477
; %bb.1475:
	s_cmp_gt_i32 s20, 6
	s_cbranch_scc0 .LBB384_1478
; %bb.1476:
	global_load_dwordx2 v[0:1], v[8:9], off
	s_mov_b64 s[0:1], 0
	s_waitcnt vmcnt(0)
	v_cvt_i32_f64_e32 v0, v[0:1]
	s_branch .LBB384_1479
.LBB384_1477:
	s_mov_b64 s[0:1], -1
                                        ; implicit-def: $vgpr0
	s_branch .LBB384_1482
.LBB384_1478:
	s_mov_b64 s[0:1], -1
                                        ; implicit-def: $vgpr0
.LBB384_1479:
	s_andn2_b64 vcc, exec, s[0:1]
	s_cbranch_vccnz .LBB384_1481
; %bb.1480:
	global_load_dword v0, v[8:9], off
	s_waitcnt vmcnt(0)
	v_cvt_i32_f32_e32 v0, v0
.LBB384_1481:
	s_mov_b64 s[0:1], 0
.LBB384_1482:
	s_andn2_b64 vcc, exec, s[0:1]
	s_cbranch_vccnz .LBB384_1484
; %bb.1483:
	global_load_ushort v0, v[8:9], off
	s_waitcnt vmcnt(0)
	v_cvt_i16_f16_e32 v0, v0
.LBB384_1484:
	s_mov_b64 s[0:1], 0
.LBB384_1485:
	s_andn2_b64 vcc, exec, s[0:1]
	s_cbranch_vccnz .LBB384_1505
; %bb.1486:
	s_cmp_lt_i32 s20, 2
	s_cbranch_scc1 .LBB384_1490
; %bb.1487:
	s_cmp_lt_i32 s20, 3
	s_cbranch_scc1 .LBB384_1491
; %bb.1488:
	s_cmp_gt_i32 s20, 3
	s_cbranch_scc0 .LBB384_1492
; %bb.1489:
	global_load_dwordx2 v[0:1], v[8:9], off
	s_mov_b64 s[0:1], 0
	s_branch .LBB384_1493
.LBB384_1490:
	s_mov_b64 s[0:1], -1
                                        ; implicit-def: $vgpr0
	s_branch .LBB384_1499
.LBB384_1491:
	s_mov_b64 s[0:1], -1
                                        ; implicit-def: $vgpr0
	s_branch .LBB384_1496
.LBB384_1492:
	s_mov_b64 s[0:1], -1
                                        ; implicit-def: $vgpr0
.LBB384_1493:
	s_andn2_b64 vcc, exec, s[0:1]
	s_cbranch_vccnz .LBB384_1495
; %bb.1494:
	global_load_dword v0, v[8:9], off
.LBB384_1495:
	s_mov_b64 s[0:1], 0
.LBB384_1496:
	s_andn2_b64 vcc, exec, s[0:1]
	s_cbranch_vccnz .LBB384_1498
; %bb.1497:
	global_load_ushort v0, v[8:9], off
.LBB384_1498:
	s_mov_b64 s[0:1], 0
.LBB384_1499:
	s_andn2_b64 vcc, exec, s[0:1]
	s_cbranch_vccnz .LBB384_1505
; %bb.1500:
	s_cmp_gt_i32 s20, 0
	s_cbranch_scc0 .LBB384_1502
; %bb.1501:
	global_load_sbyte v0, v[8:9], off
	s_mov_b64 s[0:1], 0
	s_branch .LBB384_1503
.LBB384_1502:
	s_mov_b64 s[0:1], -1
                                        ; implicit-def: $vgpr0
.LBB384_1503:
	s_andn2_b64 vcc, exec, s[0:1]
	s_cbranch_vccnz .LBB384_1505
; %bb.1504:
	global_load_ubyte v0, v[8:9], off
.LBB384_1505:
	s_mov_b64 s[6:7], -1
.LBB384_1506:
	s_andn2_b64 vcc, exec, s[6:7]
	s_cbranch_vccnz .LBB384_1940
; %bb.1507:
	s_waitcnt vmcnt(0)
	v_max_i16_e32 v1, s33, v6
	v_mul_lo_u32 v6, s8, v10
	v_ashrrev_i32_e32 v7, 31, v6
	s_and_b32 s20, s42, 0xff
	s_cmp_lt_i32 s20, 11
	v_lshl_add_u64 v[8:9], s[4:5], 0, v[6:7]
	s_cbranch_scc1 .LBB384_1585
; %bb.1508:
	s_and_b32 s9, 0xffff, s20
	s_mov_b64 s[16:17], -1
	s_mov_b64 s[2:3], 0
	s_cmp_gt_i32 s9, 25
	s_mov_b64 s[6:7], 0
	s_mov_b64 s[0:1], 0
	s_cbranch_scc0 .LBB384_1541
; %bb.1509:
	s_cmp_gt_i32 s9, 28
	s_cbranch_scc0 .LBB384_1524
; %bb.1510:
	s_cmp_gt_i32 s9, 43
	;; [unrolled: 3-line block ×3, first 2 shown]
	s_cbranch_scc0 .LBB384_1514
; %bb.1512:
	s_mov_b64 s[0:1], -1
	s_mov_b64 s[16:17], 0
	s_cmp_eq_u32 s9, 46
	s_cbranch_scc0 .LBB384_1514
; %bb.1513:
	v_cvt_f32_i32_sdwa v3, sext(v1) dst_sel:DWORD dst_unused:UNUSED_PAD src0_sel:WORD_0
	s_movk_i32 s6, 0x7fff
	s_mov_b64 s[0:1], 0
	v_bfe_u32 v5, v3, 16, 1
	v_add3_u32 v3, v3, v5, s6
	v_lshrrev_b32_e32 v3, 16, v3
	global_store_dword v[8:9], v3, off
	s_mov_b64 s[6:7], -1
.LBB384_1514:
	s_and_b64 vcc, exec, s[16:17]
	s_cbranch_vccz .LBB384_1519
; %bb.1515:
	s_cmp_eq_u32 s9, 44
	s_mov_b64 s[0:1], -1
	s_cbranch_scc0 .LBB384_1519
; %bb.1516:
	v_cvt_f32_i32_sdwa v3, sext(v1) dst_sel:DWORD dst_unused:UNUSED_PAD src0_sel:WORD_0
	s_movk_i32 s0, 0xff
	v_mov_b32_e32 v7, 0xff
	v_bfe_u32 v5, v3, 23, 8
	v_cmp_ne_u32_e32 vcc, s0, v5
	s_and_saveexec_b64 s[6:7], vcc
; %bb.1517:
	s_mov_b32 s0, 0x3fffff
	v_lshrrev_b32_e32 v7, 23, v3
	v_and_b32_e32 v10, 0x400000, v3
	v_and_or_b32 v3, v3, s0, v5
	v_cmp_ne_u32_e32 vcc, 0, v10
	v_cmp_ne_u32_e64 s[0:1], 0, v3
	s_and_b64 s[0:1], vcc, s[0:1]
	s_nop 0
	v_cndmask_b32_e64 v3, 0, 1, s[0:1]
	v_add_u32_e32 v7, v7, v3
; %bb.1518:
	s_or_b64 exec, exec, s[6:7]
	s_mov_b64 s[0:1], 0
	s_mov_b64 s[6:7], -1
	global_store_byte v[8:9], v7, off
.LBB384_1519:
	s_mov_b64 s[16:17], 0
.LBB384_1520:
	s_and_b64 vcc, exec, s[16:17]
	s_cbranch_vccz .LBB384_1523
; %bb.1521:
	s_cmp_eq_u32 s9, 29
	s_mov_b64 s[0:1], -1
	s_cbranch_scc0 .LBB384_1523
; %bb.1522:
	v_bfe_i32 v10, v1, 0, 16
	v_ashrrev_i32_e32 v11, 31, v10
	global_store_dwordx2 v[8:9], v[10:11], off
	s_mov_b64 s[0:1], 0
	s_mov_b64 s[6:7], -1
.LBB384_1523:
	s_mov_b64 s[16:17], 0
.LBB384_1524:
	s_and_b64 vcc, exec, s[16:17]
	s_cbranch_vccz .LBB384_1540
; %bb.1525:
	s_cmp_lt_i32 s9, 27
	s_mov_b64 s[6:7], -1
	s_cbranch_scc1 .LBB384_1531
; %bb.1526:
	s_cmp_gt_i32 s9, 27
	s_cbranch_scc0 .LBB384_1528
; %bb.1527:
	v_bfe_i32 v3, v1, 0, 16
	s_mov_b64 s[6:7], 0
	global_store_dword v[8:9], v3, off
.LBB384_1528:
	s_andn2_b64 vcc, exec, s[6:7]
	s_cbranch_vccnz .LBB384_1530
; %bb.1529:
	global_store_short v[8:9], v1, off
.LBB384_1530:
	s_mov_b64 s[6:7], 0
.LBB384_1531:
	s_andn2_b64 vcc, exec, s[6:7]
	s_cbranch_vccnz .LBB384_1539
; %bb.1532:
	v_cvt_f32_i32_sdwa v3, sext(v1) dst_sel:DWORD dst_unused:UNUSED_PAD src0_sel:WORD_0
	s_mov_b32 s6, 0x43800000
	v_mov_b32_e32 v7, 0x80
	v_and_b32_e32 v5, 0x7fffffff, v3
	v_cmp_gt_u32_e32 vcc, s6, v5
	s_and_saveexec_b64 s[6:7], vcc
	s_cbranch_execz .LBB384_1538
; %bb.1533:
	s_mov_b32 s16, 0x3bffffff
	v_cmp_lt_u32_e32 vcc, s16, v5
	s_mov_b64 s[16:17], 0
                                        ; implicit-def: $vgpr5
	s_and_saveexec_b64 s[18:19], vcc
	s_xor_b64 s[18:19], exec, s[18:19]
	s_cbranch_execz .LBB384_1987
; %bb.1534:
	v_bfe_u32 v5, v3, 20, 1
	s_mov_b32 s21, 0x487ffff
	v_add3_u32 v5, v3, v5, s21
	s_mov_b64 s[16:17], exec
	v_lshrrev_b32_e32 v5, 20, v5
	s_andn2_saveexec_b64 s[18:19], s[18:19]
	s_cbranch_execnz .LBB384_1988
.LBB384_1535:
	s_or_b64 exec, exec, s[18:19]
	v_mov_b32_e32 v7, 0
	s_and_saveexec_b64 s[18:19], s[16:17]
.LBB384_1536:
	v_lshrrev_b32_e32 v3, 24, v3
	s_movk_i32 s16, 0x80
	v_and_or_b32 v7, v3, s16, v5
.LBB384_1537:
	s_or_b64 exec, exec, s[18:19]
.LBB384_1538:
	s_or_b64 exec, exec, s[6:7]
	global_store_byte v[8:9], v7, off
.LBB384_1539:
	s_mov_b64 s[6:7], -1
.LBB384_1540:
	s_mov_b64 s[16:17], 0
.LBB384_1541:
	s_and_b64 vcc, exec, s[16:17]
	s_cbranch_vccz .LBB384_1581
; %bb.1542:
	s_cmp_gt_i32 s9, 22
	s_mov_b64 s[2:3], -1
	s_cbranch_scc0 .LBB384_1574
; %bb.1543:
	s_cmp_lt_i32 s9, 24
	s_cbranch_scc1 .LBB384_1563
; %bb.1544:
	s_cmp_gt_i32 s9, 24
	s_cbranch_scc0 .LBB384_1552
; %bb.1545:
	v_cvt_f32_i32_sdwa v3, sext(v1) dst_sel:DWORD dst_unused:UNUSED_PAD src0_sel:WORD_0
	s_mov_b32 s2, 0x47800000
	v_mov_b32_e32 v7, 0x80
	v_and_b32_e32 v5, 0x7fffffff, v3
	v_cmp_gt_u32_e32 vcc, s2, v5
	s_and_saveexec_b64 s[2:3], vcc
	s_cbranch_execz .LBB384_1551
; %bb.1546:
	s_mov_b32 s6, 0x37ffffff
	v_cmp_lt_u32_e32 vcc, s6, v5
	s_mov_b64 s[6:7], 0
                                        ; implicit-def: $vgpr5
	s_and_saveexec_b64 s[16:17], vcc
	s_xor_b64 s[16:17], exec, s[16:17]
	s_cbranch_execz .LBB384_1990
; %bb.1547:
	v_bfe_u32 v5, v3, 21, 1
	s_mov_b32 s18, 0x88fffff
	v_add3_u32 v5, v3, v5, s18
	s_mov_b64 s[6:7], exec
	v_lshrrev_b32_e32 v5, 21, v5
	s_andn2_saveexec_b64 s[16:17], s[16:17]
	s_cbranch_execnz .LBB384_1991
.LBB384_1548:
	s_or_b64 exec, exec, s[16:17]
	v_mov_b32_e32 v7, 0
	s_and_saveexec_b64 s[16:17], s[6:7]
.LBB384_1549:
	v_lshrrev_b32_e32 v3, 24, v3
	s_movk_i32 s6, 0x80
	v_and_or_b32 v7, v3, s6, v5
.LBB384_1550:
	s_or_b64 exec, exec, s[16:17]
.LBB384_1551:
	s_or_b64 exec, exec, s[2:3]
	s_mov_b64 s[2:3], 0
	global_store_byte v[8:9], v7, off
.LBB384_1552:
	s_and_b64 vcc, exec, s[2:3]
	s_cbranch_vccz .LBB384_1562
; %bb.1553:
	v_cvt_f32_i32_sdwa v3, sext(v1) dst_sel:DWORD dst_unused:UNUSED_PAD src0_sel:WORD_0
	s_mov_b32 s2, 0x43f00000
                                        ; implicit-def: $vgpr5
	v_and_b32_e32 v7, 0x7fffffff, v3
	v_cmp_gt_u32_e32 vcc, s2, v7
	s_and_saveexec_b64 s[2:3], vcc
	s_xor_b64 s[2:3], exec, s[2:3]
	s_cbranch_execz .LBB384_1559
; %bb.1554:
	s_mov_b32 s6, 0x3c7fffff
	v_cmp_lt_u32_e32 vcc, s6, v7
                                        ; implicit-def: $vgpr5
	s_and_saveexec_b64 s[6:7], vcc
	s_xor_b64 s[6:7], exec, s[6:7]
; %bb.1555:
	v_bfe_u32 v5, v3, 20, 1
	s_mov_b32 s16, 0x407ffff
	v_add3_u32 v5, v3, v5, s16
	v_lshrrev_b32_e32 v7, 20, v5
	v_and_b32_e32 v5, 0xff00000, v5
	s_mov_b32 s16, 0x7f00000
	v_mov_b32_e32 v10, 0x7e
	v_cmp_ne_u32_e32 vcc, s16, v5
	s_nop 1
	v_cndmask_b32_e32 v5, v10, v7, vcc
; %bb.1556:
	s_andn2_saveexec_b64 s[6:7], s[6:7]
; %bb.1557:
	s_mov_b32 s16, 0x46800000
	v_add_f32_e64 v5, |v3|, s16
; %bb.1558:
	s_or_b64 exec, exec, s[6:7]
                                        ; implicit-def: $vgpr7
.LBB384_1559:
	s_andn2_saveexec_b64 s[2:3], s[2:3]
; %bb.1560:
	s_mov_b32 s6, 0x7f800000
	v_mov_b32_e32 v5, 0x7e
	v_mov_b32_e32 v10, 0x7f
	v_cmp_lt_u32_e32 vcc, s6, v7
	s_nop 1
	v_cndmask_b32_e32 v5, v5, v10, vcc
; %bb.1561:
	s_or_b64 exec, exec, s[2:3]
	v_lshrrev_b32_e32 v3, 24, v3
	s_movk_i32 s2, 0x80
	v_and_or_b32 v3, v3, s2, v5
	global_store_byte v[8:9], v3, off
.LBB384_1562:
	s_mov_b64 s[2:3], 0
.LBB384_1563:
	s_andn2_b64 vcc, exec, s[2:3]
	s_cbranch_vccnz .LBB384_1573
; %bb.1564:
	v_cvt_f32_i32_sdwa v3, sext(v1) dst_sel:DWORD dst_unused:UNUSED_PAD src0_sel:WORD_0
	s_mov_b32 s2, 0x47800000
                                        ; implicit-def: $vgpr5
	v_and_b32_e32 v7, 0x7fffffff, v3
	v_cmp_gt_u32_e32 vcc, s2, v7
	s_and_saveexec_b64 s[2:3], vcc
	s_xor_b64 s[2:3], exec, s[2:3]
	s_cbranch_execz .LBB384_1570
; %bb.1565:
	s_mov_b32 s6, 0x387fffff
	v_cmp_lt_u32_e32 vcc, s6, v7
                                        ; implicit-def: $vgpr5
	s_and_saveexec_b64 s[6:7], vcc
	s_xor_b64 s[6:7], exec, s[6:7]
; %bb.1566:
	v_bfe_u32 v5, v3, 21, 1
	s_mov_b32 s16, 0x80fffff
	v_add3_u32 v5, v3, v5, s16
	v_lshrrev_b32_e32 v5, 21, v5
; %bb.1567:
	s_andn2_saveexec_b64 s[6:7], s[6:7]
; %bb.1568:
	s_mov_b32 s16, 0x43000000
	v_add_f32_e64 v5, |v3|, s16
; %bb.1569:
	s_or_b64 exec, exec, s[6:7]
                                        ; implicit-def: $vgpr7
.LBB384_1570:
	s_andn2_saveexec_b64 s[2:3], s[2:3]
; %bb.1571:
	s_mov_b32 s6, 0x7f800000
	v_mov_b32_e32 v5, 0x7c
	v_mov_b32_e32 v10, 0x7f
	v_cmp_lt_u32_e32 vcc, s6, v7
	s_nop 1
	v_cndmask_b32_e32 v5, v5, v10, vcc
; %bb.1572:
	s_or_b64 exec, exec, s[2:3]
	v_lshrrev_b32_e32 v3, 24, v3
	s_movk_i32 s2, 0x80
	v_and_or_b32 v3, v3, s2, v5
	global_store_byte v[8:9], v3, off
.LBB384_1573:
	s_mov_b64 s[2:3], 0
	s_mov_b64 s[6:7], -1
.LBB384_1574:
	s_andn2_b64 vcc, exec, s[2:3]
	s_mov_b64 s[2:3], 0
	s_cbranch_vccnz .LBB384_1581
; %bb.1575:
	s_cmp_gt_i32 s9, 14
	s_mov_b64 s[16:17], -1
	s_cbranch_scc0 .LBB384_1579
; %bb.1576:
	s_cmp_eq_u32 s9, 15
	s_mov_b64 s[0:1], -1
	s_cbranch_scc0 .LBB384_1578
; %bb.1577:
	v_cvt_f32_i32_sdwa v3, sext(v1) dst_sel:DWORD dst_unused:UNUSED_PAD src0_sel:WORD_0
	s_movk_i32 s2, 0x7fff
	s_mov_b64 s[0:1], 0
	s_mov_b64 s[6:7], -1
	v_bfe_u32 v5, v3, 16, 1
	v_add3_u32 v3, v3, v5, s2
	global_store_short_d16_hi v[8:9], v3, off
.LBB384_1578:
	s_mov_b64 s[16:17], 0
.LBB384_1579:
	s_mov_b64 s[2:3], 0
	s_and_b64 vcc, exec, s[16:17]
	s_cbranch_vccz .LBB384_1581
; %bb.1580:
	s_cmp_lg_u32 s9, 11
	s_mov_b64 s[2:3], -1
	s_cselect_b64 s[0:1], -1, 0
.LBB384_1581:
	s_and_b64 vcc, exec, s[0:1]
	s_cbranch_vccnz .LBB384_1989
; %bb.1582:
	s_andn2_b64 vcc, exec, s[2:3]
	s_cbranch_vccnz .LBB384_1584
.LBB384_1583:
	v_cmp_ne_u16_e32 vcc, 0, v1
	s_mov_b64 s[6:7], -1
	s_nop 0
	v_cndmask_b32_e64 v3, 0, 1, vcc
	global_store_byte v[8:9], v3, off
.LBB384_1584:
	s_mov_b64 s[0:1], 0
	s_branch .LBB384_1586
.LBB384_1585:
	s_mov_b64 s[0:1], -1
	s_mov_b64 s[6:7], 0
.LBB384_1586:
	s_and_b64 vcc, exec, s[0:1]
	s_cbranch_vccz .LBB384_1625
; %bb.1587:
	s_and_b32 s2, 0xffff, s20
	s_cmp_lt_i32 s2, 5
	s_mov_b64 s[0:1], -1
	s_cbranch_scc1 .LBB384_1608
; %bb.1588:
	s_cmp_lt_i32 s2, 8
	s_cbranch_scc1 .LBB384_1598
; %bb.1589:
	s_cmp_lt_i32 s2, 9
	s_cbranch_scc1 .LBB384_1595
; %bb.1590:
	s_cmp_gt_i32 s2, 9
	s_cbranch_scc0 .LBB384_1592
; %bb.1591:
	v_bfe_i32 v3, v1, 0, 16
	v_mov_b32_e32 v12, 0
	v_cvt_f64_i32_e32 v[10:11], v3
	v_mov_b32_e32 v13, v12
	global_store_dwordx4 v[8:9], v[10:13], off
	s_mov_b64 s[0:1], 0
.LBB384_1592:
	s_andn2_b64 vcc, exec, s[0:1]
	s_cbranch_vccnz .LBB384_1594
; %bb.1593:
	v_cvt_f32_i32_sdwa v10, sext(v1) dst_sel:DWORD dst_unused:UNUSED_PAD src0_sel:WORD_0
	v_mov_b32_e32 v11, 0
	global_store_dwordx2 v[8:9], v[10:11], off
.LBB384_1594:
	s_mov_b64 s[0:1], 0
.LBB384_1595:
	s_andn2_b64 vcc, exec, s[0:1]
	s_cbranch_vccnz .LBB384_1597
; %bb.1596:
	v_cvt_f16_i16_e32 v3, v1
	global_store_dword v[8:9], v3, off
.LBB384_1597:
	s_mov_b64 s[0:1], 0
.LBB384_1598:
	s_andn2_b64 vcc, exec, s[0:1]
	s_cbranch_vccnz .LBB384_1607
; %bb.1599:
	s_cmp_lt_i32 s2, 6
	s_mov_b64 s[0:1], -1
	s_cbranch_scc1 .LBB384_1605
; %bb.1600:
	s_cmp_gt_i32 s2, 6
	s_cbranch_scc0 .LBB384_1602
; %bb.1601:
	v_bfe_i32 v3, v1, 0, 16
	v_cvt_f64_i32_e32 v[10:11], v3
	global_store_dwordx2 v[8:9], v[10:11], off
	s_mov_b64 s[0:1], 0
.LBB384_1602:
	s_andn2_b64 vcc, exec, s[0:1]
	s_cbranch_vccnz .LBB384_1604
; %bb.1603:
	v_cvt_f32_i32_sdwa v3, sext(v1) dst_sel:DWORD dst_unused:UNUSED_PAD src0_sel:WORD_0
	global_store_dword v[8:9], v3, off
.LBB384_1604:
	s_mov_b64 s[0:1], 0
.LBB384_1605:
	s_andn2_b64 vcc, exec, s[0:1]
	s_cbranch_vccnz .LBB384_1607
; %bb.1606:
	v_cvt_f16_i16_e32 v3, v1
	global_store_short v[8:9], v3, off
.LBB384_1607:
	s_mov_b64 s[0:1], 0
.LBB384_1608:
	s_andn2_b64 vcc, exec, s[0:1]
	s_cbranch_vccnz .LBB384_1624
; %bb.1609:
	s_cmp_lt_i32 s2, 2
	s_mov_b64 s[0:1], -1
	s_cbranch_scc1 .LBB384_1619
; %bb.1610:
	s_cmp_lt_i32 s2, 3
	s_cbranch_scc1 .LBB384_1616
; %bb.1611:
	s_cmp_gt_i32 s2, 3
	v_bfe_i32 v10, v1, 0, 16
	s_cbranch_scc0 .LBB384_1613
; %bb.1612:
	v_ashrrev_i32_e32 v11, 31, v10
	global_store_dwordx2 v[8:9], v[10:11], off
	s_mov_b64 s[0:1], 0
.LBB384_1613:
	s_andn2_b64 vcc, exec, s[0:1]
	s_cbranch_vccnz .LBB384_1615
; %bb.1614:
	global_store_dword v[8:9], v10, off
.LBB384_1615:
	s_mov_b64 s[0:1], 0
.LBB384_1616:
	s_andn2_b64 vcc, exec, s[0:1]
	s_cbranch_vccnz .LBB384_1618
; %bb.1617:
	global_store_short v[8:9], v1, off
.LBB384_1618:
	s_mov_b64 s[0:1], 0
.LBB384_1619:
	s_andn2_b64 vcc, exec, s[0:1]
	s_cbranch_vccnz .LBB384_1624
; %bb.1620:
	s_cmp_gt_i32 s2, 0
	s_mov_b64 s[0:1], -1
	s_cbranch_scc0 .LBB384_1622
; %bb.1621:
	global_store_byte v[8:9], v1, off
	s_mov_b64 s[0:1], 0
.LBB384_1622:
	s_andn2_b64 vcc, exec, s[0:1]
	s_cbranch_vccnz .LBB384_1624
; %bb.1623:
	global_store_byte v[8:9], v1, off
.LBB384_1624:
	s_mov_b64 s[6:7], -1
.LBB384_1625:
	s_andn2_b64 vcc, exec, s[6:7]
	s_cbranch_vccnz .LBB384_1940
; %bb.1626:
	s_lshl_b32 s18, s8, 7
	v_max_i16_e32 v1, s33, v4
	v_add_u32_e32 v4, s18, v6
	v_ashrrev_i32_e32 v5, 31, v4
	s_cmp_lt_i32 s20, 11
	v_lshl_add_u64 v[6:7], s[4:5], 0, v[4:5]
	s_cbranch_scc1 .LBB384_1704
; %bb.1627:
	s_and_b32 s19, 0xffff, s20
	s_mov_b64 s[8:9], -1
	s_mov_b64 s[2:3], 0
	s_cmp_gt_i32 s19, 25
	s_mov_b64 s[6:7], 0
	s_mov_b64 s[0:1], 0
	s_cbranch_scc0 .LBB384_1660
; %bb.1628:
	s_cmp_gt_i32 s19, 28
	s_cbranch_scc0 .LBB384_1643
; %bb.1629:
	s_cmp_gt_i32 s19, 43
	;; [unrolled: 3-line block ×3, first 2 shown]
	s_cbranch_scc0 .LBB384_1633
; %bb.1631:
	s_mov_b64 s[0:1], -1
	s_mov_b64 s[8:9], 0
	s_cmp_eq_u32 s19, 46
	s_cbranch_scc0 .LBB384_1633
; %bb.1632:
	v_cvt_f32_i32_sdwa v3, sext(v1) dst_sel:DWORD dst_unused:UNUSED_PAD src0_sel:WORD_0
	s_movk_i32 s6, 0x7fff
	s_mov_b64 s[0:1], 0
	v_bfe_u32 v5, v3, 16, 1
	v_add3_u32 v3, v3, v5, s6
	v_lshrrev_b32_e32 v3, 16, v3
	global_store_dword v[6:7], v3, off
	s_mov_b64 s[6:7], -1
.LBB384_1633:
	s_and_b64 vcc, exec, s[8:9]
	s_cbranch_vccz .LBB384_1638
; %bb.1634:
	s_cmp_eq_u32 s19, 44
	s_mov_b64 s[0:1], -1
	s_cbranch_scc0 .LBB384_1638
; %bb.1635:
	v_cvt_f32_i32_sdwa v3, sext(v1) dst_sel:DWORD dst_unused:UNUSED_PAD src0_sel:WORD_0
	s_movk_i32 s0, 0xff
	v_mov_b32_e32 v8, 0xff
	v_bfe_u32 v5, v3, 23, 8
	v_cmp_ne_u32_e32 vcc, s0, v5
	s_and_saveexec_b64 s[6:7], vcc
; %bb.1636:
	s_mov_b32 s0, 0x3fffff
	v_lshrrev_b32_e32 v8, 23, v3
	v_and_b32_e32 v9, 0x400000, v3
	v_and_or_b32 v3, v3, s0, v5
	v_cmp_ne_u32_e32 vcc, 0, v9
	v_cmp_ne_u32_e64 s[0:1], 0, v3
	s_and_b64 s[0:1], vcc, s[0:1]
	s_nop 0
	v_cndmask_b32_e64 v3, 0, 1, s[0:1]
	v_add_u32_e32 v8, v8, v3
; %bb.1637:
	s_or_b64 exec, exec, s[6:7]
	s_mov_b64 s[0:1], 0
	s_mov_b64 s[6:7], -1
	global_store_byte v[6:7], v8, off
.LBB384_1638:
	s_mov_b64 s[8:9], 0
.LBB384_1639:
	s_and_b64 vcc, exec, s[8:9]
	s_cbranch_vccz .LBB384_1642
; %bb.1640:
	s_cmp_eq_u32 s19, 29
	s_mov_b64 s[0:1], -1
	s_cbranch_scc0 .LBB384_1642
; %bb.1641:
	v_bfe_i32 v8, v1, 0, 16
	v_ashrrev_i32_e32 v9, 31, v8
	global_store_dwordx2 v[6:7], v[8:9], off
	s_mov_b64 s[0:1], 0
	s_mov_b64 s[6:7], -1
.LBB384_1642:
	s_mov_b64 s[8:9], 0
.LBB384_1643:
	s_and_b64 vcc, exec, s[8:9]
	s_cbranch_vccz .LBB384_1659
; %bb.1644:
	s_cmp_lt_i32 s19, 27
	s_mov_b64 s[6:7], -1
	s_cbranch_scc1 .LBB384_1650
; %bb.1645:
	s_cmp_gt_i32 s19, 27
	s_cbranch_scc0 .LBB384_1647
; %bb.1646:
	v_bfe_i32 v3, v1, 0, 16
	s_mov_b64 s[6:7], 0
	global_store_dword v[6:7], v3, off
.LBB384_1647:
	s_andn2_b64 vcc, exec, s[6:7]
	s_cbranch_vccnz .LBB384_1649
; %bb.1648:
	global_store_short v[6:7], v1, off
.LBB384_1649:
	s_mov_b64 s[6:7], 0
.LBB384_1650:
	s_andn2_b64 vcc, exec, s[6:7]
	s_cbranch_vccnz .LBB384_1658
; %bb.1651:
	v_cvt_f32_i32_sdwa v3, sext(v1) dst_sel:DWORD dst_unused:UNUSED_PAD src0_sel:WORD_0
	s_mov_b32 s6, 0x43800000
	v_mov_b32_e32 v8, 0x80
	v_and_b32_e32 v5, 0x7fffffff, v3
	v_cmp_gt_u32_e32 vcc, s6, v5
	s_and_saveexec_b64 s[6:7], vcc
	s_cbranch_execz .LBB384_1657
; %bb.1652:
	s_mov_b32 s8, 0x3bffffff
	v_cmp_lt_u32_e32 vcc, s8, v5
	s_mov_b64 s[8:9], 0
                                        ; implicit-def: $vgpr5
	s_and_saveexec_b64 s[16:17], vcc
	s_xor_b64 s[16:17], exec, s[16:17]
	s_cbranch_execz .LBB384_1992
; %bb.1653:
	v_bfe_u32 v5, v3, 20, 1
	s_mov_b32 s21, 0x487ffff
	v_add3_u32 v5, v3, v5, s21
	s_mov_b64 s[8:9], exec
	v_lshrrev_b32_e32 v5, 20, v5
	s_andn2_saveexec_b64 s[16:17], s[16:17]
	s_cbranch_execnz .LBB384_1993
.LBB384_1654:
	s_or_b64 exec, exec, s[16:17]
	v_mov_b32_e32 v8, 0
	s_and_saveexec_b64 s[16:17], s[8:9]
.LBB384_1655:
	v_lshrrev_b32_e32 v3, 24, v3
	s_movk_i32 s8, 0x80
	v_and_or_b32 v8, v3, s8, v5
.LBB384_1656:
	s_or_b64 exec, exec, s[16:17]
.LBB384_1657:
	s_or_b64 exec, exec, s[6:7]
	global_store_byte v[6:7], v8, off
.LBB384_1658:
	s_mov_b64 s[6:7], -1
.LBB384_1659:
	s_mov_b64 s[8:9], 0
.LBB384_1660:
	s_and_b64 vcc, exec, s[8:9]
	s_cbranch_vccz .LBB384_1700
; %bb.1661:
	s_cmp_gt_i32 s19, 22
	s_mov_b64 s[2:3], -1
	s_cbranch_scc0 .LBB384_1693
; %bb.1662:
	s_cmp_lt_i32 s19, 24
	s_cbranch_scc1 .LBB384_1682
; %bb.1663:
	s_cmp_gt_i32 s19, 24
	s_cbranch_scc0 .LBB384_1671
; %bb.1664:
	v_cvt_f32_i32_sdwa v3, sext(v1) dst_sel:DWORD dst_unused:UNUSED_PAD src0_sel:WORD_0
	s_mov_b32 s2, 0x47800000
	v_mov_b32_e32 v8, 0x80
	v_and_b32_e32 v5, 0x7fffffff, v3
	v_cmp_gt_u32_e32 vcc, s2, v5
	s_and_saveexec_b64 s[2:3], vcc
	s_cbranch_execz .LBB384_1670
; %bb.1665:
	s_mov_b32 s6, 0x37ffffff
	v_cmp_lt_u32_e32 vcc, s6, v5
	s_mov_b64 s[6:7], 0
                                        ; implicit-def: $vgpr5
	s_and_saveexec_b64 s[8:9], vcc
	s_xor_b64 s[8:9], exec, s[8:9]
	s_cbranch_execz .LBB384_1995
; %bb.1666:
	v_bfe_u32 v5, v3, 21, 1
	s_mov_b32 s16, 0x88fffff
	v_add3_u32 v5, v3, v5, s16
	s_mov_b64 s[6:7], exec
	v_lshrrev_b32_e32 v5, 21, v5
	s_andn2_saveexec_b64 s[8:9], s[8:9]
	s_cbranch_execnz .LBB384_1996
.LBB384_1667:
	s_or_b64 exec, exec, s[8:9]
	v_mov_b32_e32 v8, 0
	s_and_saveexec_b64 s[8:9], s[6:7]
.LBB384_1668:
	v_lshrrev_b32_e32 v3, 24, v3
	s_movk_i32 s6, 0x80
	v_and_or_b32 v8, v3, s6, v5
.LBB384_1669:
	s_or_b64 exec, exec, s[8:9]
.LBB384_1670:
	s_or_b64 exec, exec, s[2:3]
	s_mov_b64 s[2:3], 0
	global_store_byte v[6:7], v8, off
.LBB384_1671:
	s_and_b64 vcc, exec, s[2:3]
	s_cbranch_vccz .LBB384_1681
; %bb.1672:
	v_cvt_f32_i32_sdwa v3, sext(v1) dst_sel:DWORD dst_unused:UNUSED_PAD src0_sel:WORD_0
	s_mov_b32 s2, 0x43f00000
                                        ; implicit-def: $vgpr5
	v_and_b32_e32 v8, 0x7fffffff, v3
	v_cmp_gt_u32_e32 vcc, s2, v8
	s_and_saveexec_b64 s[2:3], vcc
	s_xor_b64 s[2:3], exec, s[2:3]
	s_cbranch_execz .LBB384_1678
; %bb.1673:
	s_mov_b32 s6, 0x3c7fffff
	v_cmp_lt_u32_e32 vcc, s6, v8
                                        ; implicit-def: $vgpr5
	s_and_saveexec_b64 s[6:7], vcc
	s_xor_b64 s[6:7], exec, s[6:7]
; %bb.1674:
	v_bfe_u32 v5, v3, 20, 1
	s_mov_b32 s8, 0x407ffff
	v_add3_u32 v5, v3, v5, s8
	v_lshrrev_b32_e32 v8, 20, v5
	v_and_b32_e32 v5, 0xff00000, v5
	s_mov_b32 s8, 0x7f00000
	v_mov_b32_e32 v9, 0x7e
	v_cmp_ne_u32_e32 vcc, s8, v5
	s_nop 1
	v_cndmask_b32_e32 v5, v9, v8, vcc
; %bb.1675:
	s_andn2_saveexec_b64 s[6:7], s[6:7]
; %bb.1676:
	s_mov_b32 s8, 0x46800000
	v_add_f32_e64 v5, |v3|, s8
; %bb.1677:
	s_or_b64 exec, exec, s[6:7]
                                        ; implicit-def: $vgpr8
.LBB384_1678:
	s_andn2_saveexec_b64 s[2:3], s[2:3]
; %bb.1679:
	s_mov_b32 s6, 0x7f800000
	v_mov_b32_e32 v5, 0x7e
	v_mov_b32_e32 v9, 0x7f
	v_cmp_lt_u32_e32 vcc, s6, v8
	s_nop 1
	v_cndmask_b32_e32 v5, v5, v9, vcc
; %bb.1680:
	s_or_b64 exec, exec, s[2:3]
	v_lshrrev_b32_e32 v3, 24, v3
	s_movk_i32 s2, 0x80
	v_and_or_b32 v3, v3, s2, v5
	global_store_byte v[6:7], v3, off
.LBB384_1681:
	s_mov_b64 s[2:3], 0
.LBB384_1682:
	s_andn2_b64 vcc, exec, s[2:3]
	s_cbranch_vccnz .LBB384_1692
; %bb.1683:
	v_cvt_f32_i32_sdwa v3, sext(v1) dst_sel:DWORD dst_unused:UNUSED_PAD src0_sel:WORD_0
	s_mov_b32 s2, 0x47800000
                                        ; implicit-def: $vgpr5
	v_and_b32_e32 v8, 0x7fffffff, v3
	v_cmp_gt_u32_e32 vcc, s2, v8
	s_and_saveexec_b64 s[2:3], vcc
	s_xor_b64 s[2:3], exec, s[2:3]
	s_cbranch_execz .LBB384_1689
; %bb.1684:
	s_mov_b32 s6, 0x387fffff
	v_cmp_lt_u32_e32 vcc, s6, v8
                                        ; implicit-def: $vgpr5
	s_and_saveexec_b64 s[6:7], vcc
	s_xor_b64 s[6:7], exec, s[6:7]
; %bb.1685:
	v_bfe_u32 v5, v3, 21, 1
	s_mov_b32 s8, 0x80fffff
	v_add3_u32 v5, v3, v5, s8
	v_lshrrev_b32_e32 v5, 21, v5
; %bb.1686:
	s_andn2_saveexec_b64 s[6:7], s[6:7]
; %bb.1687:
	s_mov_b32 s8, 0x43000000
	v_add_f32_e64 v5, |v3|, s8
; %bb.1688:
	s_or_b64 exec, exec, s[6:7]
                                        ; implicit-def: $vgpr8
.LBB384_1689:
	s_andn2_saveexec_b64 s[2:3], s[2:3]
; %bb.1690:
	s_mov_b32 s6, 0x7f800000
	v_mov_b32_e32 v5, 0x7c
	v_mov_b32_e32 v9, 0x7f
	v_cmp_lt_u32_e32 vcc, s6, v8
	s_nop 1
	v_cndmask_b32_e32 v5, v5, v9, vcc
; %bb.1691:
	s_or_b64 exec, exec, s[2:3]
	v_lshrrev_b32_e32 v3, 24, v3
	s_movk_i32 s2, 0x80
	v_and_or_b32 v3, v3, s2, v5
	global_store_byte v[6:7], v3, off
.LBB384_1692:
	s_mov_b64 s[2:3], 0
	s_mov_b64 s[6:7], -1
.LBB384_1693:
	s_andn2_b64 vcc, exec, s[2:3]
	s_mov_b64 s[2:3], 0
	s_cbranch_vccnz .LBB384_1700
; %bb.1694:
	s_cmp_gt_i32 s19, 14
	s_mov_b64 s[8:9], -1
	s_cbranch_scc0 .LBB384_1698
; %bb.1695:
	s_cmp_eq_u32 s19, 15
	s_mov_b64 s[0:1], -1
	s_cbranch_scc0 .LBB384_1697
; %bb.1696:
	v_cvt_f32_i32_sdwa v3, sext(v1) dst_sel:DWORD dst_unused:UNUSED_PAD src0_sel:WORD_0
	s_movk_i32 s2, 0x7fff
	s_mov_b64 s[0:1], 0
	s_mov_b64 s[6:7], -1
	v_bfe_u32 v5, v3, 16, 1
	v_add3_u32 v3, v3, v5, s2
	global_store_short_d16_hi v[6:7], v3, off
.LBB384_1697:
	s_mov_b64 s[8:9], 0
.LBB384_1698:
	s_mov_b64 s[2:3], 0
	s_and_b64 vcc, exec, s[8:9]
	s_cbranch_vccz .LBB384_1700
; %bb.1699:
	s_cmp_lg_u32 s19, 11
	s_mov_b64 s[2:3], -1
	s_cselect_b64 s[0:1], -1, 0
.LBB384_1700:
	s_and_b64 vcc, exec, s[0:1]
	s_cbranch_vccnz .LBB384_1994
; %bb.1701:
	s_andn2_b64 vcc, exec, s[2:3]
	s_cbranch_vccnz .LBB384_1703
.LBB384_1702:
	v_cmp_ne_u16_e32 vcc, 0, v1
	s_mov_b64 s[6:7], -1
	s_nop 0
	v_cndmask_b32_e64 v3, 0, 1, vcc
	global_store_byte v[6:7], v3, off
.LBB384_1703:
	s_mov_b64 s[0:1], 0
	s_branch .LBB384_1705
.LBB384_1704:
	s_mov_b64 s[0:1], -1
	s_mov_b64 s[6:7], 0
.LBB384_1705:
	s_and_b64 vcc, exec, s[0:1]
	s_cbranch_vccz .LBB384_1744
; %bb.1706:
	s_and_b32 s2, 0xffff, s20
	s_cmp_lt_i32 s2, 5
	s_mov_b64 s[0:1], -1
	s_cbranch_scc1 .LBB384_1727
; %bb.1707:
	s_cmp_lt_i32 s2, 8
	s_cbranch_scc1 .LBB384_1717
; %bb.1708:
	s_cmp_lt_i32 s2, 9
	s_cbranch_scc1 .LBB384_1714
; %bb.1709:
	s_cmp_gt_i32 s2, 9
	s_cbranch_scc0 .LBB384_1711
; %bb.1710:
	v_bfe_i32 v3, v1, 0, 16
	v_mov_b32_e32 v10, 0
	v_cvt_f64_i32_e32 v[8:9], v3
	v_mov_b32_e32 v11, v10
	global_store_dwordx4 v[6:7], v[8:11], off
	s_mov_b64 s[0:1], 0
.LBB384_1711:
	s_andn2_b64 vcc, exec, s[0:1]
	s_cbranch_vccnz .LBB384_1713
; %bb.1712:
	v_cvt_f32_i32_sdwa v8, sext(v1) dst_sel:DWORD dst_unused:UNUSED_PAD src0_sel:WORD_0
	v_mov_b32_e32 v9, 0
	global_store_dwordx2 v[6:7], v[8:9], off
.LBB384_1713:
	s_mov_b64 s[0:1], 0
.LBB384_1714:
	s_andn2_b64 vcc, exec, s[0:1]
	s_cbranch_vccnz .LBB384_1716
; %bb.1715:
	v_cvt_f16_i16_e32 v3, v1
	global_store_dword v[6:7], v3, off
.LBB384_1716:
	s_mov_b64 s[0:1], 0
.LBB384_1717:
	s_andn2_b64 vcc, exec, s[0:1]
	s_cbranch_vccnz .LBB384_1726
; %bb.1718:
	s_cmp_lt_i32 s2, 6
	s_mov_b64 s[0:1], -1
	s_cbranch_scc1 .LBB384_1724
; %bb.1719:
	s_cmp_gt_i32 s2, 6
	s_cbranch_scc0 .LBB384_1721
; %bb.1720:
	v_bfe_i32 v3, v1, 0, 16
	v_cvt_f64_i32_e32 v[8:9], v3
	global_store_dwordx2 v[6:7], v[8:9], off
	s_mov_b64 s[0:1], 0
.LBB384_1721:
	s_andn2_b64 vcc, exec, s[0:1]
	s_cbranch_vccnz .LBB384_1723
; %bb.1722:
	v_cvt_f32_i32_sdwa v3, sext(v1) dst_sel:DWORD dst_unused:UNUSED_PAD src0_sel:WORD_0
	global_store_dword v[6:7], v3, off
.LBB384_1723:
	s_mov_b64 s[0:1], 0
.LBB384_1724:
	s_andn2_b64 vcc, exec, s[0:1]
	s_cbranch_vccnz .LBB384_1726
; %bb.1725:
	v_cvt_f16_i16_e32 v3, v1
	global_store_short v[6:7], v3, off
.LBB384_1726:
	s_mov_b64 s[0:1], 0
.LBB384_1727:
	s_andn2_b64 vcc, exec, s[0:1]
	s_cbranch_vccnz .LBB384_1743
; %bb.1728:
	s_cmp_lt_i32 s2, 2
	s_mov_b64 s[0:1], -1
	s_cbranch_scc1 .LBB384_1738
; %bb.1729:
	s_cmp_lt_i32 s2, 3
	s_cbranch_scc1 .LBB384_1735
; %bb.1730:
	s_cmp_gt_i32 s2, 3
	v_bfe_i32 v8, v1, 0, 16
	s_cbranch_scc0 .LBB384_1732
; %bb.1731:
	v_ashrrev_i32_e32 v9, 31, v8
	global_store_dwordx2 v[6:7], v[8:9], off
	s_mov_b64 s[0:1], 0
.LBB384_1732:
	s_andn2_b64 vcc, exec, s[0:1]
	s_cbranch_vccnz .LBB384_1734
; %bb.1733:
	global_store_dword v[6:7], v8, off
.LBB384_1734:
	s_mov_b64 s[0:1], 0
.LBB384_1735:
	s_andn2_b64 vcc, exec, s[0:1]
	s_cbranch_vccnz .LBB384_1737
; %bb.1736:
	global_store_short v[6:7], v1, off
.LBB384_1737:
	s_mov_b64 s[0:1], 0
.LBB384_1738:
	s_andn2_b64 vcc, exec, s[0:1]
	s_cbranch_vccnz .LBB384_1743
; %bb.1739:
	s_cmp_gt_i32 s2, 0
	s_mov_b64 s[0:1], -1
	s_cbranch_scc0 .LBB384_1741
; %bb.1740:
	global_store_byte v[6:7], v1, off
	s_mov_b64 s[0:1], 0
.LBB384_1741:
	s_andn2_b64 vcc, exec, s[0:1]
	s_cbranch_vccnz .LBB384_1743
; %bb.1742:
	global_store_byte v[6:7], v1, off
.LBB384_1743:
	s_mov_b64 s[6:7], -1
.LBB384_1744:
	s_andn2_b64 vcc, exec, s[6:7]
	s_cbranch_vccnz .LBB384_1940
; %bb.1745:
	v_max_i16_e32 v1, s33, v2
	v_add_u32_e32 v2, s18, v4
	v_ashrrev_i32_e32 v3, 31, v2
	s_cmp_lt_i32 s20, 11
	v_lshl_add_u64 v[4:5], s[4:5], 0, v[2:3]
	s_cbranch_scc1 .LBB384_1823
; %bb.1746:
	s_and_b32 s19, 0xffff, s20
	s_mov_b64 s[8:9], -1
	s_mov_b64 s[2:3], 0
	s_cmp_gt_i32 s19, 25
	s_mov_b64 s[6:7], 0
	s_mov_b64 s[0:1], 0
	s_cbranch_scc0 .LBB384_1779
; %bb.1747:
	s_cmp_gt_i32 s19, 28
	s_cbranch_scc0 .LBB384_1762
; %bb.1748:
	s_cmp_gt_i32 s19, 43
	;; [unrolled: 3-line block ×3, first 2 shown]
	s_cbranch_scc0 .LBB384_1752
; %bb.1750:
	s_mov_b64 s[0:1], -1
	s_mov_b64 s[8:9], 0
	s_cmp_eq_u32 s19, 46
	s_cbranch_scc0 .LBB384_1752
; %bb.1751:
	v_cvt_f32_i32_sdwa v3, sext(v1) dst_sel:DWORD dst_unused:UNUSED_PAD src0_sel:WORD_0
	s_movk_i32 s6, 0x7fff
	s_mov_b64 s[0:1], 0
	v_bfe_u32 v6, v3, 16, 1
	v_add3_u32 v3, v3, v6, s6
	v_lshrrev_b32_e32 v3, 16, v3
	global_store_dword v[4:5], v3, off
	s_mov_b64 s[6:7], -1
.LBB384_1752:
	s_and_b64 vcc, exec, s[8:9]
	s_cbranch_vccz .LBB384_1757
; %bb.1753:
	s_cmp_eq_u32 s19, 44
	s_mov_b64 s[0:1], -1
	s_cbranch_scc0 .LBB384_1757
; %bb.1754:
	v_cvt_f32_i32_sdwa v3, sext(v1) dst_sel:DWORD dst_unused:UNUSED_PAD src0_sel:WORD_0
	s_movk_i32 s0, 0xff
	v_mov_b32_e32 v7, 0xff
	v_bfe_u32 v6, v3, 23, 8
	v_cmp_ne_u32_e32 vcc, s0, v6
	s_and_saveexec_b64 s[6:7], vcc
; %bb.1755:
	s_mov_b32 s0, 0x3fffff
	v_lshrrev_b32_e32 v7, 23, v3
	v_and_b32_e32 v8, 0x400000, v3
	v_and_or_b32 v3, v3, s0, v6
	v_cmp_ne_u32_e32 vcc, 0, v8
	v_cmp_ne_u32_e64 s[0:1], 0, v3
	s_and_b64 s[0:1], vcc, s[0:1]
	s_nop 0
	v_cndmask_b32_e64 v3, 0, 1, s[0:1]
	v_add_u32_e32 v7, v7, v3
; %bb.1756:
	s_or_b64 exec, exec, s[6:7]
	s_mov_b64 s[0:1], 0
	s_mov_b64 s[6:7], -1
	global_store_byte v[4:5], v7, off
.LBB384_1757:
	s_mov_b64 s[8:9], 0
.LBB384_1758:
	s_and_b64 vcc, exec, s[8:9]
	s_cbranch_vccz .LBB384_1761
; %bb.1759:
	s_cmp_eq_u32 s19, 29
	s_mov_b64 s[0:1], -1
	s_cbranch_scc0 .LBB384_1761
; %bb.1760:
	v_bfe_i32 v6, v1, 0, 16
	v_ashrrev_i32_e32 v7, 31, v6
	global_store_dwordx2 v[4:5], v[6:7], off
	s_mov_b64 s[0:1], 0
	s_mov_b64 s[6:7], -1
.LBB384_1761:
	s_mov_b64 s[8:9], 0
.LBB384_1762:
	s_and_b64 vcc, exec, s[8:9]
	s_cbranch_vccz .LBB384_1778
; %bb.1763:
	s_cmp_lt_i32 s19, 27
	s_mov_b64 s[6:7], -1
	s_cbranch_scc1 .LBB384_1769
; %bb.1764:
	s_cmp_gt_i32 s19, 27
	s_cbranch_scc0 .LBB384_1766
; %bb.1765:
	v_bfe_i32 v3, v1, 0, 16
	s_mov_b64 s[6:7], 0
	global_store_dword v[4:5], v3, off
.LBB384_1766:
	s_andn2_b64 vcc, exec, s[6:7]
	s_cbranch_vccnz .LBB384_1768
; %bb.1767:
	global_store_short v[4:5], v1, off
.LBB384_1768:
	s_mov_b64 s[6:7], 0
.LBB384_1769:
	s_andn2_b64 vcc, exec, s[6:7]
	s_cbranch_vccnz .LBB384_1777
; %bb.1770:
	v_cvt_f32_i32_sdwa v3, sext(v1) dst_sel:DWORD dst_unused:UNUSED_PAD src0_sel:WORD_0
	s_mov_b32 s6, 0x43800000
	v_mov_b32_e32 v7, 0x80
	v_and_b32_e32 v6, 0x7fffffff, v3
	v_cmp_gt_u32_e32 vcc, s6, v6
	s_and_saveexec_b64 s[6:7], vcc
	s_cbranch_execz .LBB384_1776
; %bb.1771:
	s_mov_b32 s8, 0x3bffffff
	v_cmp_lt_u32_e32 vcc, s8, v6
	s_mov_b64 s[8:9], 0
                                        ; implicit-def: $vgpr6
	s_and_saveexec_b64 s[16:17], vcc
	s_xor_b64 s[16:17], exec, s[16:17]
	s_cbranch_execz .LBB384_1997
; %bb.1772:
	v_bfe_u32 v6, v3, 20, 1
	s_mov_b32 s21, 0x487ffff
	v_add3_u32 v6, v3, v6, s21
	s_mov_b64 s[8:9], exec
	v_lshrrev_b32_e32 v6, 20, v6
	s_andn2_saveexec_b64 s[16:17], s[16:17]
	s_cbranch_execnz .LBB384_1998
.LBB384_1773:
	s_or_b64 exec, exec, s[16:17]
	v_mov_b32_e32 v7, 0
	s_and_saveexec_b64 s[16:17], s[8:9]
.LBB384_1774:
	v_lshrrev_b32_e32 v3, 24, v3
	s_movk_i32 s8, 0x80
	v_and_or_b32 v7, v3, s8, v6
.LBB384_1775:
	s_or_b64 exec, exec, s[16:17]
.LBB384_1776:
	s_or_b64 exec, exec, s[6:7]
	global_store_byte v[4:5], v7, off
.LBB384_1777:
	s_mov_b64 s[6:7], -1
.LBB384_1778:
	s_mov_b64 s[8:9], 0
.LBB384_1779:
	s_and_b64 vcc, exec, s[8:9]
	s_cbranch_vccz .LBB384_1819
; %bb.1780:
	s_cmp_gt_i32 s19, 22
	s_mov_b64 s[2:3], -1
	s_cbranch_scc0 .LBB384_1812
; %bb.1781:
	s_cmp_lt_i32 s19, 24
	s_cbranch_scc1 .LBB384_1801
; %bb.1782:
	s_cmp_gt_i32 s19, 24
	s_cbranch_scc0 .LBB384_1790
; %bb.1783:
	v_cvt_f32_i32_sdwa v3, sext(v1) dst_sel:DWORD dst_unused:UNUSED_PAD src0_sel:WORD_0
	s_mov_b32 s2, 0x47800000
	v_mov_b32_e32 v7, 0x80
	v_and_b32_e32 v6, 0x7fffffff, v3
	v_cmp_gt_u32_e32 vcc, s2, v6
	s_and_saveexec_b64 s[2:3], vcc
	s_cbranch_execz .LBB384_1789
; %bb.1784:
	s_mov_b32 s6, 0x37ffffff
	v_cmp_lt_u32_e32 vcc, s6, v6
	s_mov_b64 s[6:7], 0
                                        ; implicit-def: $vgpr6
	s_and_saveexec_b64 s[8:9], vcc
	s_xor_b64 s[8:9], exec, s[8:9]
	s_cbranch_execz .LBB384_2000
; %bb.1785:
	v_bfe_u32 v6, v3, 21, 1
	s_mov_b32 s16, 0x88fffff
	v_add3_u32 v6, v3, v6, s16
	s_mov_b64 s[6:7], exec
	v_lshrrev_b32_e32 v6, 21, v6
	s_andn2_saveexec_b64 s[8:9], s[8:9]
	s_cbranch_execnz .LBB384_2001
.LBB384_1786:
	s_or_b64 exec, exec, s[8:9]
	v_mov_b32_e32 v7, 0
	s_and_saveexec_b64 s[8:9], s[6:7]
.LBB384_1787:
	v_lshrrev_b32_e32 v3, 24, v3
	s_movk_i32 s6, 0x80
	v_and_or_b32 v7, v3, s6, v6
.LBB384_1788:
	s_or_b64 exec, exec, s[8:9]
.LBB384_1789:
	s_or_b64 exec, exec, s[2:3]
	s_mov_b64 s[2:3], 0
	global_store_byte v[4:5], v7, off
.LBB384_1790:
	s_and_b64 vcc, exec, s[2:3]
	s_cbranch_vccz .LBB384_1800
; %bb.1791:
	v_cvt_f32_i32_sdwa v3, sext(v1) dst_sel:DWORD dst_unused:UNUSED_PAD src0_sel:WORD_0
	s_mov_b32 s2, 0x43f00000
                                        ; implicit-def: $vgpr6
	v_and_b32_e32 v7, 0x7fffffff, v3
	v_cmp_gt_u32_e32 vcc, s2, v7
	s_and_saveexec_b64 s[2:3], vcc
	s_xor_b64 s[2:3], exec, s[2:3]
	s_cbranch_execz .LBB384_1797
; %bb.1792:
	s_mov_b32 s6, 0x3c7fffff
	v_cmp_lt_u32_e32 vcc, s6, v7
                                        ; implicit-def: $vgpr6
	s_and_saveexec_b64 s[6:7], vcc
	s_xor_b64 s[6:7], exec, s[6:7]
; %bb.1793:
	v_bfe_u32 v6, v3, 20, 1
	s_mov_b32 s8, 0x407ffff
	v_add3_u32 v6, v3, v6, s8
	v_lshrrev_b32_e32 v7, 20, v6
	v_and_b32_e32 v6, 0xff00000, v6
	s_mov_b32 s8, 0x7f00000
	v_mov_b32_e32 v8, 0x7e
	v_cmp_ne_u32_e32 vcc, s8, v6
	s_nop 1
	v_cndmask_b32_e32 v6, v8, v7, vcc
; %bb.1794:
	s_andn2_saveexec_b64 s[6:7], s[6:7]
; %bb.1795:
	s_mov_b32 s8, 0x46800000
	v_add_f32_e64 v6, |v3|, s8
; %bb.1796:
	s_or_b64 exec, exec, s[6:7]
                                        ; implicit-def: $vgpr7
.LBB384_1797:
	s_andn2_saveexec_b64 s[2:3], s[2:3]
; %bb.1798:
	s_mov_b32 s6, 0x7f800000
	v_mov_b32_e32 v6, 0x7e
	v_mov_b32_e32 v8, 0x7f
	v_cmp_lt_u32_e32 vcc, s6, v7
	s_nop 1
	v_cndmask_b32_e32 v6, v6, v8, vcc
; %bb.1799:
	s_or_b64 exec, exec, s[2:3]
	v_lshrrev_b32_e32 v3, 24, v3
	s_movk_i32 s2, 0x80
	v_and_or_b32 v3, v3, s2, v6
	global_store_byte v[4:5], v3, off
.LBB384_1800:
	s_mov_b64 s[2:3], 0
.LBB384_1801:
	s_andn2_b64 vcc, exec, s[2:3]
	s_cbranch_vccnz .LBB384_1811
; %bb.1802:
	v_cvt_f32_i32_sdwa v3, sext(v1) dst_sel:DWORD dst_unused:UNUSED_PAD src0_sel:WORD_0
	s_mov_b32 s2, 0x47800000
                                        ; implicit-def: $vgpr6
	v_and_b32_e32 v7, 0x7fffffff, v3
	v_cmp_gt_u32_e32 vcc, s2, v7
	s_and_saveexec_b64 s[2:3], vcc
	s_xor_b64 s[2:3], exec, s[2:3]
	s_cbranch_execz .LBB384_1808
; %bb.1803:
	s_mov_b32 s6, 0x387fffff
	v_cmp_lt_u32_e32 vcc, s6, v7
                                        ; implicit-def: $vgpr6
	s_and_saveexec_b64 s[6:7], vcc
	s_xor_b64 s[6:7], exec, s[6:7]
; %bb.1804:
	v_bfe_u32 v6, v3, 21, 1
	s_mov_b32 s8, 0x80fffff
	v_add3_u32 v6, v3, v6, s8
	v_lshrrev_b32_e32 v6, 21, v6
; %bb.1805:
	s_andn2_saveexec_b64 s[6:7], s[6:7]
; %bb.1806:
	s_mov_b32 s8, 0x43000000
	v_add_f32_e64 v6, |v3|, s8
; %bb.1807:
	s_or_b64 exec, exec, s[6:7]
                                        ; implicit-def: $vgpr7
.LBB384_1808:
	s_andn2_saveexec_b64 s[2:3], s[2:3]
; %bb.1809:
	s_mov_b32 s6, 0x7f800000
	v_mov_b32_e32 v6, 0x7c
	v_mov_b32_e32 v8, 0x7f
	v_cmp_lt_u32_e32 vcc, s6, v7
	s_nop 1
	v_cndmask_b32_e32 v6, v6, v8, vcc
; %bb.1810:
	s_or_b64 exec, exec, s[2:3]
	v_lshrrev_b32_e32 v3, 24, v3
	s_movk_i32 s2, 0x80
	v_and_or_b32 v3, v3, s2, v6
	global_store_byte v[4:5], v3, off
.LBB384_1811:
	s_mov_b64 s[2:3], 0
	s_mov_b64 s[6:7], -1
.LBB384_1812:
	s_andn2_b64 vcc, exec, s[2:3]
	s_mov_b64 s[2:3], 0
	s_cbranch_vccnz .LBB384_1819
; %bb.1813:
	s_cmp_gt_i32 s19, 14
	s_mov_b64 s[8:9], -1
	s_cbranch_scc0 .LBB384_1817
; %bb.1814:
	s_cmp_eq_u32 s19, 15
	s_mov_b64 s[0:1], -1
	s_cbranch_scc0 .LBB384_1816
; %bb.1815:
	v_cvt_f32_i32_sdwa v3, sext(v1) dst_sel:DWORD dst_unused:UNUSED_PAD src0_sel:WORD_0
	s_movk_i32 s2, 0x7fff
	s_mov_b64 s[0:1], 0
	s_mov_b64 s[6:7], -1
	v_bfe_u32 v6, v3, 16, 1
	v_add3_u32 v3, v3, v6, s2
	global_store_short_d16_hi v[4:5], v3, off
.LBB384_1816:
	s_mov_b64 s[8:9], 0
.LBB384_1817:
	s_mov_b64 s[2:3], 0
	s_and_b64 vcc, exec, s[8:9]
	s_cbranch_vccz .LBB384_1819
; %bb.1818:
	s_cmp_lg_u32 s19, 11
	s_mov_b64 s[2:3], -1
	s_cselect_b64 s[0:1], -1, 0
.LBB384_1819:
	s_and_b64 vcc, exec, s[0:1]
	s_cbranch_vccnz .LBB384_1999
; %bb.1820:
	s_andn2_b64 vcc, exec, s[2:3]
	s_cbranch_vccnz .LBB384_1822
.LBB384_1821:
	v_cmp_ne_u16_e32 vcc, 0, v1
	s_mov_b64 s[6:7], -1
	s_nop 0
	v_cndmask_b32_e64 v3, 0, 1, vcc
	global_store_byte v[4:5], v3, off
.LBB384_1822:
	s_mov_b64 s[0:1], 0
	s_branch .LBB384_1824
.LBB384_1823:
	s_mov_b64 s[0:1], -1
	s_mov_b64 s[6:7], 0
.LBB384_1824:
	s_and_b64 vcc, exec, s[0:1]
	s_cbranch_vccz .LBB384_1863
; %bb.1825:
	s_and_b32 s2, 0xffff, s20
	s_cmp_lt_i32 s2, 5
	s_mov_b64 s[0:1], -1
	s_cbranch_scc1 .LBB384_1846
; %bb.1826:
	s_cmp_lt_i32 s2, 8
	s_cbranch_scc1 .LBB384_1836
; %bb.1827:
	s_cmp_lt_i32 s2, 9
	s_cbranch_scc1 .LBB384_1833
; %bb.1828:
	s_cmp_gt_i32 s2, 9
	s_cbranch_scc0 .LBB384_1830
; %bb.1829:
	v_bfe_i32 v3, v1, 0, 16
	v_mov_b32_e32 v8, 0
	v_cvt_f64_i32_e32 v[6:7], v3
	v_mov_b32_e32 v9, v8
	global_store_dwordx4 v[4:5], v[6:9], off
	s_mov_b64 s[0:1], 0
.LBB384_1830:
	s_andn2_b64 vcc, exec, s[0:1]
	s_cbranch_vccnz .LBB384_1832
; %bb.1831:
	v_cvt_f32_i32_sdwa v6, sext(v1) dst_sel:DWORD dst_unused:UNUSED_PAD src0_sel:WORD_0
	v_mov_b32_e32 v7, 0
	global_store_dwordx2 v[4:5], v[6:7], off
.LBB384_1832:
	s_mov_b64 s[0:1], 0
.LBB384_1833:
	s_andn2_b64 vcc, exec, s[0:1]
	s_cbranch_vccnz .LBB384_1835
; %bb.1834:
	v_cvt_f16_i16_e32 v3, v1
	global_store_dword v[4:5], v3, off
.LBB384_1835:
	s_mov_b64 s[0:1], 0
.LBB384_1836:
	s_andn2_b64 vcc, exec, s[0:1]
	s_cbranch_vccnz .LBB384_1845
; %bb.1837:
	s_cmp_lt_i32 s2, 6
	s_mov_b64 s[0:1], -1
	s_cbranch_scc1 .LBB384_1843
; %bb.1838:
	s_cmp_gt_i32 s2, 6
	s_cbranch_scc0 .LBB384_1840
; %bb.1839:
	v_bfe_i32 v3, v1, 0, 16
	v_cvt_f64_i32_e32 v[6:7], v3
	global_store_dwordx2 v[4:5], v[6:7], off
	s_mov_b64 s[0:1], 0
.LBB384_1840:
	s_andn2_b64 vcc, exec, s[0:1]
	s_cbranch_vccnz .LBB384_1842
; %bb.1841:
	v_cvt_f32_i32_sdwa v3, sext(v1) dst_sel:DWORD dst_unused:UNUSED_PAD src0_sel:WORD_0
	global_store_dword v[4:5], v3, off
.LBB384_1842:
	s_mov_b64 s[0:1], 0
.LBB384_1843:
	s_andn2_b64 vcc, exec, s[0:1]
	s_cbranch_vccnz .LBB384_1845
; %bb.1844:
	v_cvt_f16_i16_e32 v3, v1
	global_store_short v[4:5], v3, off
.LBB384_1845:
	s_mov_b64 s[0:1], 0
.LBB384_1846:
	s_andn2_b64 vcc, exec, s[0:1]
	s_cbranch_vccnz .LBB384_1862
; %bb.1847:
	s_cmp_lt_i32 s2, 2
	s_mov_b64 s[0:1], -1
	s_cbranch_scc1 .LBB384_1857
; %bb.1848:
	s_cmp_lt_i32 s2, 3
	s_cbranch_scc1 .LBB384_1854
; %bb.1849:
	s_cmp_gt_i32 s2, 3
	v_bfe_i32 v6, v1, 0, 16
	s_cbranch_scc0 .LBB384_1851
; %bb.1850:
	v_ashrrev_i32_e32 v7, 31, v6
	global_store_dwordx2 v[4:5], v[6:7], off
	s_mov_b64 s[0:1], 0
.LBB384_1851:
	s_andn2_b64 vcc, exec, s[0:1]
	s_cbranch_vccnz .LBB384_1853
; %bb.1852:
	global_store_dword v[4:5], v6, off
.LBB384_1853:
	s_mov_b64 s[0:1], 0
.LBB384_1854:
	s_andn2_b64 vcc, exec, s[0:1]
	s_cbranch_vccnz .LBB384_1856
; %bb.1855:
	global_store_short v[4:5], v1, off
.LBB384_1856:
	s_mov_b64 s[0:1], 0
.LBB384_1857:
	s_andn2_b64 vcc, exec, s[0:1]
	s_cbranch_vccnz .LBB384_1862
; %bb.1858:
	s_cmp_gt_i32 s2, 0
	s_mov_b64 s[0:1], -1
	s_cbranch_scc0 .LBB384_1860
; %bb.1859:
	global_store_byte v[4:5], v1, off
	s_mov_b64 s[0:1], 0
.LBB384_1860:
	s_andn2_b64 vcc, exec, s[0:1]
	s_cbranch_vccnz .LBB384_1862
; %bb.1861:
	global_store_byte v[4:5], v1, off
.LBB384_1862:
	s_mov_b64 s[6:7], -1
.LBB384_1863:
	s_andn2_b64 vcc, exec, s[6:7]
	s_cbranch_vccnz .LBB384_1940
; %bb.1864:
	v_max_i16_e32 v4, s33, v0
	v_add_u32_e32 v0, s18, v2
	v_ashrrev_i32_e32 v1, 31, v0
	s_cmp_lt_i32 s20, 11
	v_lshl_add_u64 v[0:1], s[4:5], 0, v[0:1]
	s_cbranch_scc1 .LBB384_1985
; %bb.1865:
	s_and_b32 s16, 0xffff, s20
	s_mov_b64 s[4:5], -1
	s_mov_b64 s[2:3], 0
	s_cmp_gt_i32 s16, 25
	s_mov_b64 s[0:1], 0
	s_cbranch_scc0 .LBB384_1898
; %bb.1866:
	s_cmp_gt_i32 s16, 28
	s_cbranch_scc0 .LBB384_1882
; %bb.1867:
	s_cmp_gt_i32 s16, 43
	;; [unrolled: 3-line block ×3, first 2 shown]
	s_cbranch_scc0 .LBB384_1872
; %bb.1869:
	s_cmp_eq_u32 s16, 46
	s_mov_b64 s[0:1], -1
	s_cbranch_scc0 .LBB384_1871
; %bb.1870:
	v_cvt_f32_i32_sdwa v2, sext(v4) dst_sel:DWORD dst_unused:UNUSED_PAD src0_sel:WORD_0
	s_movk_i32 s0, 0x7fff
	v_bfe_u32 v3, v2, 16, 1
	v_add3_u32 v2, v2, v3, s0
	v_lshrrev_b32_e32 v2, 16, v2
	global_store_dword v[0:1], v2, off
	s_mov_b64 s[0:1], 0
.LBB384_1871:
	s_mov_b64 s[4:5], 0
.LBB384_1872:
	s_and_b64 vcc, exec, s[4:5]
	s_cbranch_vccz .LBB384_1877
; %bb.1873:
	s_cmp_eq_u32 s16, 44
	s_mov_b64 s[0:1], -1
	s_cbranch_scc0 .LBB384_1877
; %bb.1874:
	v_cvt_f32_i32_sdwa v2, sext(v4) dst_sel:DWORD dst_unused:UNUSED_PAD src0_sel:WORD_0
	s_movk_i32 s0, 0xff
	v_mov_b32_e32 v5, 0xff
	v_bfe_u32 v3, v2, 23, 8
	v_cmp_ne_u32_e32 vcc, s0, v3
	s_and_saveexec_b64 s[4:5], vcc
; %bb.1875:
	s_mov_b32 s0, 0x3fffff
	v_lshrrev_b32_e32 v5, 23, v2
	v_and_b32_e32 v6, 0x400000, v2
	v_and_or_b32 v2, v2, s0, v3
	v_cmp_ne_u32_e32 vcc, 0, v6
	v_cmp_ne_u32_e64 s[0:1], 0, v2
	s_and_b64 s[0:1], vcc, s[0:1]
	s_nop 0
	v_cndmask_b32_e64 v2, 0, 1, s[0:1]
	v_add_u32_e32 v5, v5, v2
; %bb.1876:
	s_or_b64 exec, exec, s[4:5]
	s_mov_b64 s[0:1], 0
	global_store_byte v[0:1], v5, off
.LBB384_1877:
	s_mov_b64 s[4:5], 0
.LBB384_1878:
	s_and_b64 vcc, exec, s[4:5]
	s_cbranch_vccz .LBB384_1881
; %bb.1879:
	s_cmp_eq_u32 s16, 29
	s_mov_b64 s[0:1], -1
	s_cbranch_scc0 .LBB384_1881
; %bb.1880:
	v_bfe_i32 v2, v4, 0, 16
	v_ashrrev_i32_e32 v3, 31, v2
	global_store_dwordx2 v[0:1], v[2:3], off
	s_mov_b64 s[0:1], 0
.LBB384_1881:
	s_mov_b64 s[4:5], 0
.LBB384_1882:
	s_and_b64 vcc, exec, s[4:5]
	s_cbranch_vccz .LBB384_1897
; %bb.1883:
	s_cmp_lt_i32 s16, 27
	s_mov_b64 s[4:5], -1
	s_cbranch_scc1 .LBB384_1889
; %bb.1884:
	s_cmp_gt_i32 s16, 27
	s_cbranch_scc0 .LBB384_1886
; %bb.1885:
	v_bfe_i32 v2, v4, 0, 16
	global_store_dword v[0:1], v2, off
	s_mov_b64 s[4:5], 0
.LBB384_1886:
	s_andn2_b64 vcc, exec, s[4:5]
	s_cbranch_vccnz .LBB384_1888
; %bb.1887:
	global_store_short v[0:1], v4, off
.LBB384_1888:
	s_mov_b64 s[4:5], 0
.LBB384_1889:
	s_andn2_b64 vcc, exec, s[4:5]
	s_cbranch_vccnz .LBB384_1897
; %bb.1890:
	v_cvt_f32_i32_sdwa v2, sext(v4) dst_sel:DWORD dst_unused:UNUSED_PAD src0_sel:WORD_0
	s_mov_b32 s4, 0x43800000
	v_mov_b32_e32 v5, 0x80
	v_and_b32_e32 v3, 0x7fffffff, v2
	v_cmp_gt_u32_e32 vcc, s4, v3
	s_and_saveexec_b64 s[4:5], vcc
	s_cbranch_execz .LBB384_1896
; %bb.1891:
	s_mov_b32 s6, 0x3bffffff
	v_cmp_lt_u32_e32 vcc, s6, v3
	s_mov_b64 s[6:7], 0
                                        ; implicit-def: $vgpr3
	s_and_saveexec_b64 s[8:9], vcc
	s_xor_b64 s[8:9], exec, s[8:9]
	s_cbranch_execz .LBB384_2002
; %bb.1892:
	v_bfe_u32 v3, v2, 20, 1
	s_mov_b32 s17, 0x487ffff
	v_add3_u32 v3, v2, v3, s17
	s_mov_b64 s[6:7], exec
	v_lshrrev_b32_e32 v3, 20, v3
	s_andn2_saveexec_b64 s[8:9], s[8:9]
	s_cbranch_execnz .LBB384_2003
.LBB384_1893:
	s_or_b64 exec, exec, s[8:9]
	v_mov_b32_e32 v5, 0
	s_and_saveexec_b64 s[8:9], s[6:7]
.LBB384_1894:
	v_lshrrev_b32_e32 v2, 24, v2
	s_movk_i32 s6, 0x80
	v_and_or_b32 v5, v2, s6, v3
.LBB384_1895:
	s_or_b64 exec, exec, s[8:9]
.LBB384_1896:
	s_or_b64 exec, exec, s[4:5]
	global_store_byte v[0:1], v5, off
.LBB384_1897:
	s_mov_b64 s[4:5], 0
.LBB384_1898:
	s_and_b64 vcc, exec, s[4:5]
	s_cbranch_vccz .LBB384_1938
; %bb.1899:
	s_cmp_gt_i32 s16, 22
	s_mov_b64 s[2:3], -1
	s_cbranch_scc0 .LBB384_1931
; %bb.1900:
	s_cmp_lt_i32 s16, 24
	s_cbranch_scc1 .LBB384_1920
; %bb.1901:
	s_cmp_gt_i32 s16, 24
	s_cbranch_scc0 .LBB384_1909
; %bb.1902:
	v_cvt_f32_i32_sdwa v2, sext(v4) dst_sel:DWORD dst_unused:UNUSED_PAD src0_sel:WORD_0
	s_mov_b32 s2, 0x47800000
	v_mov_b32_e32 v5, 0x80
	v_and_b32_e32 v3, 0x7fffffff, v2
	v_cmp_gt_u32_e32 vcc, s2, v3
	s_and_saveexec_b64 s[2:3], vcc
	s_cbranch_execz .LBB384_1908
; %bb.1903:
	s_mov_b32 s4, 0x37ffffff
	v_cmp_lt_u32_e32 vcc, s4, v3
	s_mov_b64 s[4:5], 0
                                        ; implicit-def: $vgpr3
	s_and_saveexec_b64 s[6:7], vcc
	s_xor_b64 s[6:7], exec, s[6:7]
	s_cbranch_execz .LBB384_2005
; %bb.1904:
	v_bfe_u32 v3, v2, 21, 1
	s_mov_b32 s8, 0x88fffff
	v_add3_u32 v3, v2, v3, s8
	s_mov_b64 s[4:5], exec
	v_lshrrev_b32_e32 v3, 21, v3
	s_andn2_saveexec_b64 s[6:7], s[6:7]
	s_cbranch_execnz .LBB384_2006
.LBB384_1905:
	s_or_b64 exec, exec, s[6:7]
	v_mov_b32_e32 v5, 0
	s_and_saveexec_b64 s[6:7], s[4:5]
.LBB384_1906:
	v_lshrrev_b32_e32 v2, 24, v2
	s_movk_i32 s4, 0x80
	v_and_or_b32 v5, v2, s4, v3
.LBB384_1907:
	s_or_b64 exec, exec, s[6:7]
.LBB384_1908:
	s_or_b64 exec, exec, s[2:3]
	s_mov_b64 s[2:3], 0
	global_store_byte v[0:1], v5, off
.LBB384_1909:
	s_and_b64 vcc, exec, s[2:3]
	s_cbranch_vccz .LBB384_1919
; %bb.1910:
	v_cvt_f32_i32_sdwa v2, sext(v4) dst_sel:DWORD dst_unused:UNUSED_PAD src0_sel:WORD_0
	s_mov_b32 s2, 0x43f00000
                                        ; implicit-def: $vgpr3
	v_and_b32_e32 v5, 0x7fffffff, v2
	v_cmp_gt_u32_e32 vcc, s2, v5
	s_and_saveexec_b64 s[2:3], vcc
	s_xor_b64 s[2:3], exec, s[2:3]
	s_cbranch_execz .LBB384_1916
; %bb.1911:
	s_mov_b32 s4, 0x3c7fffff
	v_cmp_lt_u32_e32 vcc, s4, v5
                                        ; implicit-def: $vgpr3
	s_and_saveexec_b64 s[4:5], vcc
	s_xor_b64 s[4:5], exec, s[4:5]
; %bb.1912:
	v_bfe_u32 v3, v2, 20, 1
	s_mov_b32 s6, 0x407ffff
	v_add3_u32 v3, v2, v3, s6
	v_lshrrev_b32_e32 v5, 20, v3
	v_and_b32_e32 v3, 0xff00000, v3
	s_mov_b32 s6, 0x7f00000
	v_mov_b32_e32 v6, 0x7e
	v_cmp_ne_u32_e32 vcc, s6, v3
	s_nop 1
	v_cndmask_b32_e32 v3, v6, v5, vcc
; %bb.1913:
	s_andn2_saveexec_b64 s[4:5], s[4:5]
; %bb.1914:
	s_mov_b32 s6, 0x46800000
	v_add_f32_e64 v3, |v2|, s6
; %bb.1915:
	s_or_b64 exec, exec, s[4:5]
                                        ; implicit-def: $vgpr5
.LBB384_1916:
	s_andn2_saveexec_b64 s[2:3], s[2:3]
; %bb.1917:
	s_mov_b32 s4, 0x7f800000
	v_mov_b32_e32 v3, 0x7e
	v_mov_b32_e32 v6, 0x7f
	v_cmp_lt_u32_e32 vcc, s4, v5
	s_nop 1
	v_cndmask_b32_e32 v3, v3, v6, vcc
; %bb.1918:
	s_or_b64 exec, exec, s[2:3]
	v_lshrrev_b32_e32 v2, 24, v2
	s_movk_i32 s2, 0x80
	v_and_or_b32 v2, v2, s2, v3
	global_store_byte v[0:1], v2, off
.LBB384_1919:
	s_mov_b64 s[2:3], 0
.LBB384_1920:
	s_andn2_b64 vcc, exec, s[2:3]
	s_cbranch_vccnz .LBB384_1930
; %bb.1921:
	v_cvt_f32_i32_sdwa v2, sext(v4) dst_sel:DWORD dst_unused:UNUSED_PAD src0_sel:WORD_0
	s_mov_b32 s2, 0x47800000
                                        ; implicit-def: $vgpr3
	v_and_b32_e32 v5, 0x7fffffff, v2
	v_cmp_gt_u32_e32 vcc, s2, v5
	s_and_saveexec_b64 s[2:3], vcc
	s_xor_b64 s[2:3], exec, s[2:3]
	s_cbranch_execz .LBB384_1927
; %bb.1922:
	s_mov_b32 s4, 0x387fffff
	v_cmp_lt_u32_e32 vcc, s4, v5
                                        ; implicit-def: $vgpr3
	s_and_saveexec_b64 s[4:5], vcc
	s_xor_b64 s[4:5], exec, s[4:5]
; %bb.1923:
	v_bfe_u32 v3, v2, 21, 1
	s_mov_b32 s6, 0x80fffff
	v_add3_u32 v3, v2, v3, s6
	v_lshrrev_b32_e32 v3, 21, v3
; %bb.1924:
	s_andn2_saveexec_b64 s[4:5], s[4:5]
; %bb.1925:
	s_mov_b32 s6, 0x43000000
	v_add_f32_e64 v3, |v2|, s6
; %bb.1926:
	s_or_b64 exec, exec, s[4:5]
                                        ; implicit-def: $vgpr5
.LBB384_1927:
	s_andn2_saveexec_b64 s[2:3], s[2:3]
; %bb.1928:
	s_mov_b32 s4, 0x7f800000
	v_mov_b32_e32 v3, 0x7c
	v_mov_b32_e32 v6, 0x7f
	v_cmp_lt_u32_e32 vcc, s4, v5
	s_nop 1
	v_cndmask_b32_e32 v3, v3, v6, vcc
; %bb.1929:
	s_or_b64 exec, exec, s[2:3]
	v_lshrrev_b32_e32 v2, 24, v2
	s_movk_i32 s2, 0x80
	v_and_or_b32 v2, v2, s2, v3
	global_store_byte v[0:1], v2, off
.LBB384_1930:
	s_mov_b64 s[2:3], 0
.LBB384_1931:
	s_andn2_b64 vcc, exec, s[2:3]
	s_mov_b64 s[2:3], 0
	s_cbranch_vccnz .LBB384_1938
; %bb.1932:
	s_cmp_gt_i32 s16, 14
	s_mov_b64 s[4:5], -1
	s_cbranch_scc0 .LBB384_1936
; %bb.1933:
	s_cmp_eq_u32 s16, 15
	s_mov_b64 s[0:1], -1
	s_cbranch_scc0 .LBB384_1935
; %bb.1934:
	v_cvt_f32_i32_sdwa v2, sext(v4) dst_sel:DWORD dst_unused:UNUSED_PAD src0_sel:WORD_0
	s_movk_i32 s0, 0x7fff
	v_bfe_u32 v3, v2, 16, 1
	v_add3_u32 v2, v2, v3, s0
	global_store_short_d16_hi v[0:1], v2, off
	s_mov_b64 s[0:1], 0
.LBB384_1935:
	s_mov_b64 s[4:5], 0
.LBB384_1936:
	s_and_b64 vcc, exec, s[4:5]
	s_cbranch_vccz .LBB384_1938
; %bb.1937:
	s_cmp_lg_u32 s16, 11
	s_mov_b64 s[2:3], -1
	s_cselect_b64 s[0:1], -1, 0
.LBB384_1938:
	s_and_b64 vcc, exec, s[0:1]
	s_cbranch_vccnz .LBB384_2004
.LBB384_1939:
	s_mov_b64 s[0:1], 0
	s_branch .LBB384_1941
.LBB384_1940:
	s_mov_b64 s[0:1], 0
	s_mov_b64 s[2:3], 0
                                        ; implicit-def: $sgpr20
                                        ; implicit-def: $vgpr0_vgpr1
                                        ; implicit-def: $vgpr4
.LBB384_1941:
	s_andn2_b64 s[4:5], s[12:13], exec
	s_and_b64 s[6:7], s[14:15], exec
	s_and_b64 s[0:1], s[0:1], exec
	;; [unrolled: 1-line block ×3, first 2 shown]
	s_or_b64 s[12:13], s[4:5], s[6:7]
.LBB384_1942:
	s_or_b64 exec, exec, s[10:11]
	s_and_saveexec_b64 s[4:5], s[12:13]
	s_cbranch_execz .LBB384_1945
; %bb.1943:
	; divergent unreachable
	s_or_b64 exec, exec, s[4:5]
	s_and_saveexec_b64 s[4:5], s[2:3]
	s_xor_b64 s[2:3], exec, s[4:5]
	s_cbranch_execnz .LBB384_1946
.LBB384_1944:
	s_or_b64 exec, exec, s[2:3]
	s_and_saveexec_b64 s[2:3], s[0:1]
	s_cbranch_execnz .LBB384_1947
	s_branch .LBB384_1984
.LBB384_1945:
	s_or_b64 exec, exec, s[4:5]
	s_and_saveexec_b64 s[4:5], s[2:3]
	s_xor_b64 s[2:3], exec, s[4:5]
	s_cbranch_execz .LBB384_1944
.LBB384_1946:
	s_waitcnt vmcnt(0)
	v_cmp_ne_u16_e32 vcc, 0, v4
	s_nop 1
	v_cndmask_b32_e64 v2, 0, 1, vcc
	global_store_byte v[0:1], v2, off
	s_or_b64 exec, exec, s[2:3]
	s_and_saveexec_b64 s[2:3], s[0:1]
	s_cbranch_execz .LBB384_1984
.LBB384_1947:
	s_sext_i32_i16 s2, s20
	s_cmp_lt_i32 s2, 5
	s_mov_b64 s[0:1], -1
	s_cbranch_scc1 .LBB384_1968
; %bb.1948:
	s_cmp_lt_i32 s2, 8
	s_cbranch_scc1 .LBB384_1958
; %bb.1949:
	s_cmp_lt_i32 s2, 9
	s_cbranch_scc1 .LBB384_1955
; %bb.1950:
	s_cmp_gt_i32 s2, 9
	s_cbranch_scc0 .LBB384_1952
; %bb.1951:
	s_waitcnt vmcnt(0)
	v_bfe_i32 v2, v4, 0, 16
	v_mov_b32_e32 v8, 0
	v_cvt_f64_i32_e32 v[6:7], v2
	v_mov_b32_e32 v9, v8
	global_store_dwordx4 v[0:1], v[6:9], off
	s_mov_b64 s[0:1], 0
.LBB384_1952:
	s_andn2_b64 vcc, exec, s[0:1]
	s_cbranch_vccnz .LBB384_1954
; %bb.1953:
	s_waitcnt vmcnt(0)
	v_cvt_f32_i32_sdwa v2, sext(v4) dst_sel:DWORD dst_unused:UNUSED_PAD src0_sel:WORD_0
	v_mov_b32_e32 v3, 0
	global_store_dwordx2 v[0:1], v[2:3], off
.LBB384_1954:
	s_mov_b64 s[0:1], 0
.LBB384_1955:
	s_andn2_b64 vcc, exec, s[0:1]
	s_cbranch_vccnz .LBB384_1957
; %bb.1956:
	s_waitcnt vmcnt(0)
	v_cvt_f16_i16_e32 v2, v4
	global_store_dword v[0:1], v2, off
.LBB384_1957:
	s_mov_b64 s[0:1], 0
.LBB384_1958:
	s_andn2_b64 vcc, exec, s[0:1]
	s_cbranch_vccnz .LBB384_1967
; %bb.1959:
	s_sext_i32_i16 s2, s20
	s_cmp_lt_i32 s2, 6
	s_mov_b64 s[0:1], -1
	s_cbranch_scc1 .LBB384_1965
; %bb.1960:
	s_cmp_gt_i32 s2, 6
	s_cbranch_scc0 .LBB384_1962
; %bb.1961:
	s_waitcnt vmcnt(0)
	v_bfe_i32 v2, v4, 0, 16
	v_cvt_f64_i32_e32 v[2:3], v2
	global_store_dwordx2 v[0:1], v[2:3], off
	s_mov_b64 s[0:1], 0
.LBB384_1962:
	s_andn2_b64 vcc, exec, s[0:1]
	s_cbranch_vccnz .LBB384_1964
; %bb.1963:
	s_waitcnt vmcnt(0)
	v_cvt_f32_i32_sdwa v2, sext(v4) dst_sel:DWORD dst_unused:UNUSED_PAD src0_sel:WORD_0
	global_store_dword v[0:1], v2, off
.LBB384_1964:
	s_mov_b64 s[0:1], 0
.LBB384_1965:
	s_andn2_b64 vcc, exec, s[0:1]
	s_cbranch_vccnz .LBB384_1967
; %bb.1966:
	s_waitcnt vmcnt(0)
	v_cvt_f16_i16_e32 v2, v4
	global_store_short v[0:1], v2, off
.LBB384_1967:
	s_mov_b64 s[0:1], 0
.LBB384_1968:
	s_andn2_b64 vcc, exec, s[0:1]
	s_cbranch_vccnz .LBB384_1984
; %bb.1969:
	s_sext_i32_i16 s2, s20
	s_cmp_lt_i32 s2, 2
	s_mov_b64 s[0:1], -1
	s_cbranch_scc1 .LBB384_1979
; %bb.1970:
	s_cmp_lt_i32 s2, 3
	s_cbranch_scc1 .LBB384_1976
; %bb.1971:
	s_cmp_gt_i32 s2, 3
	s_waitcnt vmcnt(0)
	v_bfe_i32 v2, v4, 0, 16
	s_cbranch_scc0 .LBB384_1973
; %bb.1972:
	v_ashrrev_i32_e32 v3, 31, v2
	global_store_dwordx2 v[0:1], v[2:3], off
	s_mov_b64 s[0:1], 0
.LBB384_1973:
	s_andn2_b64 vcc, exec, s[0:1]
	s_cbranch_vccnz .LBB384_1975
; %bb.1974:
	global_store_dword v[0:1], v2, off
.LBB384_1975:
	s_mov_b64 s[0:1], 0
.LBB384_1976:
	s_andn2_b64 vcc, exec, s[0:1]
	s_cbranch_vccnz .LBB384_1978
; %bb.1977:
	s_waitcnt vmcnt(0)
	global_store_short v[0:1], v4, off
.LBB384_1978:
	s_mov_b64 s[0:1], 0
.LBB384_1979:
	s_andn2_b64 vcc, exec, s[0:1]
	s_cbranch_vccnz .LBB384_1984
; %bb.1980:
	s_sext_i32_i16 s0, s20
	s_cmp_gt_i32 s0, 0
	s_mov_b64 s[0:1], -1
	s_cbranch_scc0 .LBB384_1982
; %bb.1981:
	s_waitcnt vmcnt(0)
	global_store_byte v[0:1], v4, off
	s_mov_b64 s[0:1], 0
.LBB384_1982:
	s_andn2_b64 vcc, exec, s[0:1]
	s_cbranch_vccnz .LBB384_1984
; %bb.1983:
	s_waitcnt vmcnt(0)
	global_store_byte v[0:1], v4, off
	s_endpgm
.LBB384_1984:
	s_endpgm
.LBB384_1985:
	s_mov_b64 s[2:3], 0
	s_mov_b64 s[0:1], -1
	s_branch .LBB384_1941
.LBB384_1986:
	s_trap 2
	s_or_b64 s[14:15], s[14:15], exec
	s_cbranch_execz .LBB384_1455
	s_branch .LBB384_1456
.LBB384_1987:
	s_andn2_saveexec_b64 s[18:19], s[18:19]
	s_cbranch_execz .LBB384_1535
.LBB384_1988:
	s_mov_b32 s21, 0x46000000
	v_add_f32_e64 v5, |v3|, s21
	v_and_b32_e32 v5, 0xff, v5
	v_cmp_ne_u32_e32 vcc, 0, v5
	s_andn2_b64 s[16:17], s[16:17], exec
	s_and_b64 s[22:23], vcc, exec
	s_or_b64 s[16:17], s[16:17], s[22:23]
	s_or_b64 exec, exec, s[18:19]
	v_mov_b32_e32 v7, 0
	s_and_saveexec_b64 s[18:19], s[16:17]
	s_cbranch_execnz .LBB384_1536
	s_branch .LBB384_1537
.LBB384_1989:
	s_trap 2
	s_or_b64 s[14:15], s[14:15], exec
	s_cbranch_execz .LBB384_1583
	s_branch .LBB384_1584
.LBB384_1990:
	s_andn2_saveexec_b64 s[16:17], s[16:17]
	s_cbranch_execz .LBB384_1548
.LBB384_1991:
	s_mov_b32 s18, 0x42800000
	v_add_f32_e64 v5, |v3|, s18
	v_and_b32_e32 v5, 0xff, v5
	v_cmp_ne_u32_e32 vcc, 0, v5
	s_andn2_b64 s[6:7], s[6:7], exec
	s_and_b64 s[18:19], vcc, exec
	s_or_b64 s[6:7], s[6:7], s[18:19]
	s_or_b64 exec, exec, s[16:17]
	v_mov_b32_e32 v7, 0
	s_and_saveexec_b64 s[16:17], s[6:7]
	s_cbranch_execnz .LBB384_1549
	s_branch .LBB384_1550
.LBB384_1992:
	s_andn2_saveexec_b64 s[16:17], s[16:17]
	s_cbranch_execz .LBB384_1654
.LBB384_1993:
	s_mov_b32 s21, 0x46000000
	v_add_f32_e64 v5, |v3|, s21
	v_and_b32_e32 v5, 0xff, v5
	v_cmp_ne_u32_e32 vcc, 0, v5
	s_andn2_b64 s[8:9], s[8:9], exec
	s_and_b64 s[22:23], vcc, exec
	s_or_b64 s[8:9], s[8:9], s[22:23]
	s_or_b64 exec, exec, s[16:17]
	v_mov_b32_e32 v8, 0
	s_and_saveexec_b64 s[16:17], s[8:9]
	s_cbranch_execnz .LBB384_1655
	s_branch .LBB384_1656
.LBB384_1994:
	s_trap 2
	s_or_b64 s[14:15], s[14:15], exec
	s_cbranch_execz .LBB384_1702
	s_branch .LBB384_1703
.LBB384_1995:
	s_andn2_saveexec_b64 s[8:9], s[8:9]
	s_cbranch_execz .LBB384_1667
.LBB384_1996:
	s_mov_b32 s16, 0x42800000
	v_add_f32_e64 v5, |v3|, s16
	v_and_b32_e32 v5, 0xff, v5
	v_cmp_ne_u32_e32 vcc, 0, v5
	s_andn2_b64 s[6:7], s[6:7], exec
	s_and_b64 s[16:17], vcc, exec
	s_or_b64 s[6:7], s[6:7], s[16:17]
	s_or_b64 exec, exec, s[8:9]
	v_mov_b32_e32 v8, 0
	s_and_saveexec_b64 s[8:9], s[6:7]
	s_cbranch_execnz .LBB384_1668
	s_branch .LBB384_1669
.LBB384_1997:
	s_andn2_saveexec_b64 s[16:17], s[16:17]
	s_cbranch_execz .LBB384_1773
.LBB384_1998:
	s_mov_b32 s21, 0x46000000
	v_add_f32_e64 v6, |v3|, s21
	v_and_b32_e32 v6, 0xff, v6
	v_cmp_ne_u32_e32 vcc, 0, v6
	s_andn2_b64 s[8:9], s[8:9], exec
	s_and_b64 s[22:23], vcc, exec
	s_or_b64 s[8:9], s[8:9], s[22:23]
	s_or_b64 exec, exec, s[16:17]
	v_mov_b32_e32 v7, 0
	s_and_saveexec_b64 s[16:17], s[8:9]
	s_cbranch_execnz .LBB384_1774
	s_branch .LBB384_1775
.LBB384_1999:
	s_trap 2
	s_or_b64 s[14:15], s[14:15], exec
	s_cbranch_execz .LBB384_1821
	s_branch .LBB384_1822
.LBB384_2000:
	s_andn2_saveexec_b64 s[8:9], s[8:9]
	s_cbranch_execz .LBB384_1786
.LBB384_2001:
	s_mov_b32 s16, 0x42800000
	v_add_f32_e64 v6, |v3|, s16
	v_and_b32_e32 v6, 0xff, v6
	v_cmp_ne_u32_e32 vcc, 0, v6
	s_andn2_b64 s[6:7], s[6:7], exec
	s_and_b64 s[16:17], vcc, exec
	s_or_b64 s[6:7], s[6:7], s[16:17]
	s_or_b64 exec, exec, s[8:9]
	v_mov_b32_e32 v7, 0
	s_and_saveexec_b64 s[8:9], s[6:7]
	s_cbranch_execnz .LBB384_1787
	s_branch .LBB384_1788
.LBB384_2002:
	s_andn2_saveexec_b64 s[8:9], s[8:9]
	s_cbranch_execz .LBB384_1893
.LBB384_2003:
	s_mov_b32 s17, 0x46000000
	v_add_f32_e64 v3, |v2|, s17
	v_and_b32_e32 v3, 0xff, v3
	v_cmp_ne_u32_e32 vcc, 0, v3
	s_andn2_b64 s[6:7], s[6:7], exec
	s_and_b64 s[18:19], vcc, exec
	s_or_b64 s[6:7], s[6:7], s[18:19]
	s_or_b64 exec, exec, s[8:9]
	v_mov_b32_e32 v5, 0
	s_and_saveexec_b64 s[8:9], s[6:7]
	s_cbranch_execnz .LBB384_1894
	s_branch .LBB384_1895
.LBB384_2004:
	s_mov_b64 s[2:3], 0
	s_or_b64 s[14:15], s[14:15], exec
	s_trap 2
	s_branch .LBB384_1939
.LBB384_2005:
	s_andn2_saveexec_b64 s[6:7], s[6:7]
	s_cbranch_execz .LBB384_1905
.LBB384_2006:
	s_mov_b32 s8, 0x42800000
	v_add_f32_e64 v3, |v2|, s8
	v_and_b32_e32 v3, 0xff, v3
	v_cmp_ne_u32_e32 vcc, 0, v3
	s_andn2_b64 s[4:5], s[4:5], exec
	s_and_b64 s[8:9], vcc, exec
	s_or_b64 s[4:5], s[4:5], s[8:9]
	s_or_b64 exec, exec, s[6:7]
	v_mov_b32_e32 v5, 0
	s_and_saveexec_b64 s[6:7], s[4:5]
	s_cbranch_execnz .LBB384_1906
	s_branch .LBB384_1907
	.section	.rodata,"a",@progbits
	.p2align	6, 0x0
	.amdhsa_kernel _ZN2at6native32elementwise_kernel_manual_unrollILi128ELi4EZNS0_15gpu_kernel_implIZZZNS0_21clamp_min_kernel_cudaERNS_18TensorIteratorBaseERKN3c106ScalarEENKUlvE_clEvENKUlvE3_clEvEUlsE_EEvS4_RKT_EUlibE_EEviT1_
		.amdhsa_group_segment_fixed_size 0
		.amdhsa_private_segment_fixed_size 0
		.amdhsa_kernarg_size 40
		.amdhsa_user_sgpr_count 2
		.amdhsa_user_sgpr_dispatch_ptr 0
		.amdhsa_user_sgpr_queue_ptr 0
		.amdhsa_user_sgpr_kernarg_segment_ptr 1
		.amdhsa_user_sgpr_dispatch_id 0
		.amdhsa_user_sgpr_kernarg_preload_length 0
		.amdhsa_user_sgpr_kernarg_preload_offset 0
		.amdhsa_user_sgpr_private_segment_size 0
		.amdhsa_uses_dynamic_stack 0
		.amdhsa_enable_private_segment 0
		.amdhsa_system_sgpr_workgroup_id_x 1
		.amdhsa_system_sgpr_workgroup_id_y 0
		.amdhsa_system_sgpr_workgroup_id_z 0
		.amdhsa_system_sgpr_workgroup_info 0
		.amdhsa_system_vgpr_workitem_id 0
		.amdhsa_next_free_vgpr 14
		.amdhsa_next_free_sgpr 46
		.amdhsa_accum_offset 16
		.amdhsa_reserve_vcc 1
		.amdhsa_float_round_mode_32 0
		.amdhsa_float_round_mode_16_64 0
		.amdhsa_float_denorm_mode_32 3
		.amdhsa_float_denorm_mode_16_64 3
		.amdhsa_dx10_clamp 1
		.amdhsa_ieee_mode 1
		.amdhsa_fp16_overflow 0
		.amdhsa_tg_split 0
		.amdhsa_exception_fp_ieee_invalid_op 0
		.amdhsa_exception_fp_denorm_src 0
		.amdhsa_exception_fp_ieee_div_zero 0
		.amdhsa_exception_fp_ieee_overflow 0
		.amdhsa_exception_fp_ieee_underflow 0
		.amdhsa_exception_fp_ieee_inexact 0
		.amdhsa_exception_int_div_zero 0
	.end_amdhsa_kernel
	.section	.text._ZN2at6native32elementwise_kernel_manual_unrollILi128ELi4EZNS0_15gpu_kernel_implIZZZNS0_21clamp_min_kernel_cudaERNS_18TensorIteratorBaseERKN3c106ScalarEENKUlvE_clEvENKUlvE3_clEvEUlsE_EEvS4_RKT_EUlibE_EEviT1_,"axG",@progbits,_ZN2at6native32elementwise_kernel_manual_unrollILi128ELi4EZNS0_15gpu_kernel_implIZZZNS0_21clamp_min_kernel_cudaERNS_18TensorIteratorBaseERKN3c106ScalarEENKUlvE_clEvENKUlvE3_clEvEUlsE_EEvS4_RKT_EUlibE_EEviT1_,comdat
.Lfunc_end384:
	.size	_ZN2at6native32elementwise_kernel_manual_unrollILi128ELi4EZNS0_15gpu_kernel_implIZZZNS0_21clamp_min_kernel_cudaERNS_18TensorIteratorBaseERKN3c106ScalarEENKUlvE_clEvENKUlvE3_clEvEUlsE_EEvS4_RKT_EUlibE_EEviT1_, .Lfunc_end384-_ZN2at6native32elementwise_kernel_manual_unrollILi128ELi4EZNS0_15gpu_kernel_implIZZZNS0_21clamp_min_kernel_cudaERNS_18TensorIteratorBaseERKN3c106ScalarEENKUlvE_clEvENKUlvE3_clEvEUlsE_EEvS4_RKT_EUlibE_EEviT1_
                                        ; -- End function
	.set _ZN2at6native32elementwise_kernel_manual_unrollILi128ELi4EZNS0_15gpu_kernel_implIZZZNS0_21clamp_min_kernel_cudaERNS_18TensorIteratorBaseERKN3c106ScalarEENKUlvE_clEvENKUlvE3_clEvEUlsE_EEvS4_RKT_EUlibE_EEviT1_.num_vgpr, 14
	.set _ZN2at6native32elementwise_kernel_manual_unrollILi128ELi4EZNS0_15gpu_kernel_implIZZZNS0_21clamp_min_kernel_cudaERNS_18TensorIteratorBaseERKN3c106ScalarEENKUlvE_clEvENKUlvE3_clEvEUlsE_EEvS4_RKT_EUlibE_EEviT1_.num_agpr, 0
	.set _ZN2at6native32elementwise_kernel_manual_unrollILi128ELi4EZNS0_15gpu_kernel_implIZZZNS0_21clamp_min_kernel_cudaERNS_18TensorIteratorBaseERKN3c106ScalarEENKUlvE_clEvENKUlvE3_clEvEUlsE_EEvS4_RKT_EUlibE_EEviT1_.numbered_sgpr, 46
	.set _ZN2at6native32elementwise_kernel_manual_unrollILi128ELi4EZNS0_15gpu_kernel_implIZZZNS0_21clamp_min_kernel_cudaERNS_18TensorIteratorBaseERKN3c106ScalarEENKUlvE_clEvENKUlvE3_clEvEUlsE_EEvS4_RKT_EUlibE_EEviT1_.num_named_barrier, 0
	.set _ZN2at6native32elementwise_kernel_manual_unrollILi128ELi4EZNS0_15gpu_kernel_implIZZZNS0_21clamp_min_kernel_cudaERNS_18TensorIteratorBaseERKN3c106ScalarEENKUlvE_clEvENKUlvE3_clEvEUlsE_EEvS4_RKT_EUlibE_EEviT1_.private_seg_size, 0
	.set _ZN2at6native32elementwise_kernel_manual_unrollILi128ELi4EZNS0_15gpu_kernel_implIZZZNS0_21clamp_min_kernel_cudaERNS_18TensorIteratorBaseERKN3c106ScalarEENKUlvE_clEvENKUlvE3_clEvEUlsE_EEvS4_RKT_EUlibE_EEviT1_.uses_vcc, 1
	.set _ZN2at6native32elementwise_kernel_manual_unrollILi128ELi4EZNS0_15gpu_kernel_implIZZZNS0_21clamp_min_kernel_cudaERNS_18TensorIteratorBaseERKN3c106ScalarEENKUlvE_clEvENKUlvE3_clEvEUlsE_EEvS4_RKT_EUlibE_EEviT1_.uses_flat_scratch, 0
	.set _ZN2at6native32elementwise_kernel_manual_unrollILi128ELi4EZNS0_15gpu_kernel_implIZZZNS0_21clamp_min_kernel_cudaERNS_18TensorIteratorBaseERKN3c106ScalarEENKUlvE_clEvENKUlvE3_clEvEUlsE_EEvS4_RKT_EUlibE_EEviT1_.has_dyn_sized_stack, 0
	.set _ZN2at6native32elementwise_kernel_manual_unrollILi128ELi4EZNS0_15gpu_kernel_implIZZZNS0_21clamp_min_kernel_cudaERNS_18TensorIteratorBaseERKN3c106ScalarEENKUlvE_clEvENKUlvE3_clEvEUlsE_EEvS4_RKT_EUlibE_EEviT1_.has_recursion, 0
	.set _ZN2at6native32elementwise_kernel_manual_unrollILi128ELi4EZNS0_15gpu_kernel_implIZZZNS0_21clamp_min_kernel_cudaERNS_18TensorIteratorBaseERKN3c106ScalarEENKUlvE_clEvENKUlvE3_clEvEUlsE_EEvS4_RKT_EUlibE_EEviT1_.has_indirect_call, 0
	.section	.AMDGPU.csdata,"",@progbits
; Kernel info:
; codeLenInByte = 29996
; TotalNumSgprs: 52
; NumVgprs: 14
; NumAgprs: 0
; TotalNumVgprs: 14
; ScratchSize: 0
; MemoryBound: 1
; FloatMode: 240
; IeeeMode: 1
; LDSByteSize: 0 bytes/workgroup (compile time only)
; SGPRBlocks: 6
; VGPRBlocks: 1
; NumSGPRsForWavesPerEU: 52
; NumVGPRsForWavesPerEU: 14
; AccumOffset: 16
; Occupancy: 8
; WaveLimiterHint : 0
; COMPUTE_PGM_RSRC2:SCRATCH_EN: 0
; COMPUTE_PGM_RSRC2:USER_SGPR: 2
; COMPUTE_PGM_RSRC2:TRAP_HANDLER: 0
; COMPUTE_PGM_RSRC2:TGID_X_EN: 1
; COMPUTE_PGM_RSRC2:TGID_Y_EN: 0
; COMPUTE_PGM_RSRC2:TGID_Z_EN: 0
; COMPUTE_PGM_RSRC2:TIDIG_COMP_CNT: 0
; COMPUTE_PGM_RSRC3_GFX90A:ACCUM_OFFSET: 3
; COMPUTE_PGM_RSRC3_GFX90A:TG_SPLIT: 0
	.section	.text._ZN2at6native32elementwise_kernel_manual_unrollILi128ELi4EZNS0_15gpu_kernel_implIZZZNS0_21clamp_min_kernel_cudaERNS_18TensorIteratorBaseERKN3c106ScalarEENKUlvE_clEvENKUlvE3_clEvEUlsE_EEvS4_RKT_EUlibE0_EEviT1_,"axG",@progbits,_ZN2at6native32elementwise_kernel_manual_unrollILi128ELi4EZNS0_15gpu_kernel_implIZZZNS0_21clamp_min_kernel_cudaERNS_18TensorIteratorBaseERKN3c106ScalarEENKUlvE_clEvENKUlvE3_clEvEUlsE_EEvS4_RKT_EUlibE0_EEviT1_,comdat
	.globl	_ZN2at6native32elementwise_kernel_manual_unrollILi128ELi4EZNS0_15gpu_kernel_implIZZZNS0_21clamp_min_kernel_cudaERNS_18TensorIteratorBaseERKN3c106ScalarEENKUlvE_clEvENKUlvE3_clEvEUlsE_EEvS4_RKT_EUlibE0_EEviT1_ ; -- Begin function _ZN2at6native32elementwise_kernel_manual_unrollILi128ELi4EZNS0_15gpu_kernel_implIZZZNS0_21clamp_min_kernel_cudaERNS_18TensorIteratorBaseERKN3c106ScalarEENKUlvE_clEvENKUlvE3_clEvEUlsE_EEvS4_RKT_EUlibE0_EEviT1_
	.p2align	8
	.type	_ZN2at6native32elementwise_kernel_manual_unrollILi128ELi4EZNS0_15gpu_kernel_implIZZZNS0_21clamp_min_kernel_cudaERNS_18TensorIteratorBaseERKN3c106ScalarEENKUlvE_clEvENKUlvE3_clEvEUlsE_EEvS4_RKT_EUlibE0_EEviT1_,@function
_ZN2at6native32elementwise_kernel_manual_unrollILi128ELi4EZNS0_15gpu_kernel_implIZZZNS0_21clamp_min_kernel_cudaERNS_18TensorIteratorBaseERKN3c106ScalarEENKUlvE_clEvENKUlvE3_clEvEUlsE_EEvS4_RKT_EUlibE0_EEviT1_: ; @_ZN2at6native32elementwise_kernel_manual_unrollILi128ELi4EZNS0_15gpu_kernel_implIZZZNS0_21clamp_min_kernel_cudaERNS_18TensorIteratorBaseERKN3c106ScalarEENKUlvE_clEvENKUlvE3_clEvEUlsE_EEvS4_RKT_EUlibE0_EEviT1_
; %bb.0:
	s_load_dword s70, s[0:1], 0x0
	s_load_dword s33, s[0:1], 0x8
	s_add_u32 s34, s0, 8
	s_addc_u32 s35, s1, 0
	v_lshl_or_b32 v8, s2, 9, v0
	v_or_b32_e32 v16, 0x180, v8
	s_waitcnt lgkmcnt(0)
	s_add_i32 s72, s33, -1
	s_cmp_gt_u32 s72, 1
	v_cmp_le_i32_e32 vcc, s70, v16
	s_cselect_b64 s[42:43], -1, 0
	s_mov_b64 s[40:41], 0
	s_mov_b64 s[24:25], 0
	s_and_saveexec_b64 s[2:3], vcc
	s_xor_b64 s[44:45], exec, s[2:3]
	s_cbranch_execz .LBB385_1074
; %bb.1:
	s_load_dwordx4 s[24:27], s[34:35], 0x4
	s_load_dwordx2 s[46:47], s[34:35], 0x14
	s_load_dword s73, s[34:35], 0x158
	s_load_dword s2, s[0:1], 0x160
	s_cmp_lg_u32 s33, 0
	s_load_dwordx4 s[28:31], s[34:35], 0xc4
	s_load_dwordx4 s[20:23], s[34:35], 0x148
	s_cselect_b64 s[52:53], -1, 0
	s_add_u32 s50, s34, 0xc4
	s_addc_u32 s51, s35, 0
	s_min_u32 s76, s72, 15
	s_cmp_gt_u32 s33, 1
	s_cselect_b64 s[48:49], -1, 0
	s_waitcnt lgkmcnt(0)
	s_lshr_b32 s74, s2, 16
	s_lshr_b32 s75, s2, 24
	v_cmp_gt_i32_e32 vcc, s70, v8
	s_mov_b64 s[4:5], -1
	s_mov_b64 s[62:63], 0
	s_mov_b64 s[56:57], 0
	;; [unrolled: 1-line block ×3, first 2 shown]
	s_and_saveexec_b64 s[58:59], vcc
	s_cbranch_execz .LBB385_263
; %bb.2:
	s_andn2_b64 vcc, exec, s[42:43]
	s_cbranch_vccnz .LBB385_8
; %bb.3:
	s_andn2_b64 vcc, exec, s[52:53]
	s_cbranch_vccnz .LBB385_9
; %bb.4:
	s_add_i32 s57, s76, 1
	s_cmp_eq_u32 s72, 2
	s_cbranch_scc1 .LBB385_10
; %bb.5:
	s_and_b32 s56, s57, 28
	s_mov_b32 s60, 0
	v_mov_b32_e32 v0, 0
	v_mov_b32_e32 v2, 0
	s_mov_b64 s[2:3], s[34:35]
	s_mov_b64 s[54:55], s[50:51]
	v_mov_b32_e32 v4, v8
.LBB385_6:                              ; =>This Inner Loop Header: Depth=1
	s_load_dwordx8 s[12:19], s[2:3], 0x4
	s_load_dwordx4 s[36:39], s[2:3], 0x24
	s_load_dwordx8 s[4:11], s[54:55], 0x0
	s_add_u32 s2, s2, 48
	s_addc_u32 s3, s3, 0
	s_waitcnt lgkmcnt(0)
	v_mul_hi_u32 v1, s13, v4
	v_add_u32_e32 v1, v4, v1
	v_lshrrev_b32_e32 v1, s14, v1
	v_mul_lo_u32 v3, v1, s12
	v_mul_hi_u32 v5, s16, v1
	v_sub_u32_e32 v3, v4, v3
	v_add_u32_e32 v4, v1, v5
	v_lshrrev_b32_e32 v4, s17, v4
	v_mul_lo_u32 v6, v4, s15
	v_mul_hi_u32 v7, s19, v4
	v_sub_u32_e32 v1, v1, v6
	v_add_u32_e32 v6, v4, v7
	v_mul_lo_u32 v5, v3, s5
	v_mul_lo_u32 v3, v3, s4
	;; [unrolled: 1-line block ×4, first 2 shown]
	v_lshrrev_b32_e32 v6, s36, v6
	v_add3_u32 v0, v3, v0, v1
	v_mul_hi_u32 v3, s38, v6
	v_add3_u32 v1, v5, v2, v7
	v_mul_lo_u32 v2, v6, s18
	v_add_u32_e32 v3, v6, v3
	v_sub_u32_e32 v2, v4, v2
	v_lshrrev_b32_e32 v4, s39, v3
	s_add_i32 s60, s60, 4
	v_mul_lo_u32 v3, v4, s37
	s_add_u32 s54, s54, 32
	v_sub_u32_e32 v3, v6, v3
	s_addc_u32 s55, s55, 0
	v_mul_lo_u32 v5, v2, s8
	v_mul_lo_u32 v2, v2, s9
	;; [unrolled: 1-line block ×4, first 2 shown]
	s_cmp_lg_u32 s56, s60
	v_add3_u32 v2, v2, v1, v3
	v_add3_u32 v0, v5, v0, v6
	s_cbranch_scc1 .LBB385_6
; %bb.7:
	v_mov_b32_e32 v1, v2
	s_branch .LBB385_11
.LBB385_8:
                                        ; implicit-def: $vgpr2
                                        ; implicit-def: $vgpr0
	s_branch .LBB385_15
.LBB385_9:
	v_mov_b32_e32 v2, 0
	v_mov_b32_e32 v0, 0
	s_branch .LBB385_14
.LBB385_10:
	v_mov_b32_e32 v0, 0
	s_mov_b32 s56, 0
	v_mov_b32_e32 v1, v0
                                        ; implicit-def: $vgpr2
	v_mov_b32_e32 v4, v8
.LBB385_11:
	s_and_b32 s6, s57, 3
	s_cmp_eq_u32 s6, 0
	s_cbranch_scc1 .LBB385_14
; %bb.12:
	s_lshl_b32 s2, s56, 3
	s_add_u32 s2, s34, s2
	s_addc_u32 s3, s35, 0
	s_add_u32 s2, s2, 0xc4
	s_addc_u32 s3, s3, 0
	s_mul_i32 s4, s56, 12
	s_add_u32 s4, s34, s4
	s_addc_u32 s5, s35, 0
.LBB385_13:                             ; =>This Inner Loop Header: Depth=1
	s_load_dwordx2 s[8:9], s[4:5], 0x4
	s_load_dword s7, s[4:5], 0xc
	s_load_dwordx2 s[10:11], s[2:3], 0x0
	v_mov_b32_e32 v2, v1
	s_add_u32 s4, s4, 12
	s_waitcnt lgkmcnt(0)
	v_mul_hi_u32 v1, s9, v4
	v_add_u32_e32 v1, v4, v1
	v_lshrrev_b32_e32 v1, s7, v1
	s_addc_u32 s5, s5, 0
	v_mul_lo_u32 v3, v1, s8
	s_add_u32 s2, s2, 8
	v_sub_u32_e32 v5, v4, v3
	s_addc_u32 s3, s3, 0
	s_add_i32 s6, s6, -1
	v_mov_b32_e32 v4, v1
	v_mad_u64_u32 v[2:3], s[8:9], v5, s11, v[2:3]
	v_mad_u64_u32 v[0:1], s[8:9], v5, s10, v[0:1]
	s_cmp_lg_u32 s6, 0
	v_mov_b32_e32 v1, v2
	s_cbranch_scc1 .LBB385_13
.LBB385_14:
	s_cbranch_execnz .LBB385_17
.LBB385_15:
	v_mul_hi_u32 v0, s25, v8
	v_add_u32_e32 v0, v8, v0
	v_lshrrev_b32_e32 v1, s26, v0
	v_mul_lo_u32 v0, v1, s24
	v_sub_u32_e32 v0, v8, v0
	v_mul_lo_u32 v2, v0, s29
	s_andn2_b64 vcc, exec, s[48:49]
	v_mul_lo_u32 v0, v0, s28
	s_cbranch_vccnz .LBB385_17
; %bb.16:
	v_mul_hi_u32 v3, s46, v1
	v_add_u32_e32 v3, v1, v3
	v_lshrrev_b32_e32 v3, s47, v3
	v_mul_lo_u32 v3, v3, s27
	v_sub_u32_e32 v3, v1, v3
	v_mad_u64_u32 v[0:1], s[2:3], v3, s30, v[0:1]
	v_mad_u64_u32 v[2:3], s[2:3], v3, s31, v[2:3]
.LBB385_17:
	v_mov_b32_e32 v3, 0
	s_and_b32 s8, 0xffff, s75
	s_cmp_lt_i32 s8, 11
	v_lshl_add_u64 v[2:3], s[22:23], 0, v[2:3]
	s_cbranch_scc1 .LBB385_24
; %bb.18:
	s_cmp_gt_i32 s8, 25
	s_cbranch_scc0 .LBB385_33
; %bb.19:
	s_cmp_gt_i32 s8, 28
	s_cbranch_scc0 .LBB385_36
; %bb.20:
	s_cmp_gt_i32 s8, 43
	s_cbranch_scc0 .LBB385_38
; %bb.21:
	s_cmp_gt_i32 s8, 45
	s_cbranch_scc0 .LBB385_40
; %bb.22:
	s_cmp_eq_u32 s8, 46
	s_mov_b64 s[6:7], 0
	s_cbranch_scc0 .LBB385_42
; %bb.23:
	global_load_dword v1, v[2:3], off
	s_mov_b64 s[2:3], -1
	s_mov_b64 s[4:5], 0
	s_waitcnt vmcnt(0)
	v_lshlrev_b32_e32 v1, 16, v1
	v_cvt_i32_f32_e32 v4, v1
	s_branch .LBB385_44
.LBB385_24:
	s_mov_b64 s[4:5], 0
                                        ; implicit-def: $vgpr4
	s_mov_b64 s[2:3], 0
	s_cbranch_execnz .LBB385_213
.LBB385_25:
	s_andn2_b64 vcc, exec, s[2:3]
	s_cbranch_vccnz .LBB385_260
.LBB385_26:
	v_mov_b32_e32 v1, 0
	s_and_b32 s12, s74, 0xff
	s_waitcnt vmcnt(0)
	v_max_i16_e32 v4, s73, v4
	s_cmp_lt_i32 s12, 11
	v_lshl_add_u64 v[0:1], s[20:21], 0, v[0:1]
	s_cbranch_scc1 .LBB385_34
; %bb.27:
	s_and_b32 s13, 0xffff, s12
	s_cmp_gt_i32 s13, 25
	s_cbranch_scc0 .LBB385_37
; %bb.28:
	s_cmp_gt_i32 s13, 28
	s_cbranch_scc0 .LBB385_39
; %bb.29:
	;; [unrolled: 3-line block ×4, first 2 shown]
	s_mov_b64 s[8:9], 0
	s_mov_b64 s[2:3], -1
	s_cmp_eq_u32 s13, 46
	s_mov_b64 s[6:7], 0
	s_cbranch_scc0 .LBB385_48
; %bb.32:
	v_cvt_f32_i32_sdwa v2, sext(v4) dst_sel:DWORD dst_unused:UNUSED_PAD src0_sel:WORD_0
	s_movk_i32 s2, 0x7fff
	s_mov_b64 s[6:7], -1
	v_bfe_u32 v3, v2, 16, 1
	v_add3_u32 v2, v2, v3, s2
	v_lshrrev_b32_e32 v2, 16, v2
	global_store_dword v[0:1], v2, off
	s_mov_b64 s[2:3], 0
	s_branch .LBB385_48
.LBB385_33:
	s_mov_b64 s[4:5], 0
	s_mov_b64 s[2:3], 0
                                        ; implicit-def: $vgpr4
	s_cbranch_execnz .LBB385_180
	s_branch .LBB385_212
.LBB385_34:
	s_mov_b64 s[2:3], 0
	s_mov_b64 s[6:7], 0
	s_cbranch_execnz .LBB385_117
.LBB385_35:
	s_andn2_b64 vcc, exec, s[6:7]
	s_cbranch_vccnz .LBB385_261
	s_branch .LBB385_155
.LBB385_36:
	s_mov_b64 s[6:7], -1
	s_mov_b64 s[4:5], 0
	s_mov_b64 s[2:3], 0
                                        ; implicit-def: $vgpr4
	s_branch .LBB385_163
.LBB385_37:
	s_mov_b64 s[8:9], -1
	s_mov_b64 s[2:3], 0
	s_mov_b64 s[6:7], 0
	s_branch .LBB385_75
.LBB385_38:
	s_mov_b64 s[6:7], -1
	s_mov_b64 s[4:5], 0
	s_mov_b64 s[2:3], 0
                                        ; implicit-def: $vgpr4
	s_branch .LBB385_158
.LBB385_39:
	s_mov_b64 s[8:9], -1
	s_mov_b64 s[2:3], 0
	s_mov_b64 s[6:7], 0
	s_branch .LBB385_58
.LBB385_40:
	s_mov_b64 s[6:7], -1
	s_mov_b64 s[4:5], 0
	s_branch .LBB385_43
.LBB385_41:
	s_mov_b64 s[8:9], -1
	s_mov_b64 s[2:3], 0
	s_mov_b64 s[6:7], 0
	s_branch .LBB385_54
.LBB385_42:
	s_mov_b64 s[4:5], -1
.LBB385_43:
	s_mov_b64 s[2:3], 0
                                        ; implicit-def: $vgpr4
.LBB385_44:
	s_and_b64 vcc, exec, s[6:7]
	s_cbranch_vccz .LBB385_157
; %bb.45:
	s_cmp_eq_u32 s8, 44
	s_cbranch_scc0 .LBB385_156
; %bb.46:
	global_load_ubyte v1, v[2:3], off
	s_mov_b64 s[2:3], -1
	s_mov_b64 s[4:5], 0
	s_waitcnt vmcnt(0)
	v_lshlrev_b32_e32 v4, 23, v1
	v_cvt_i32_f32_e32 v4, v4
	v_cmp_ne_u32_e32 vcc, 0, v1
	s_nop 1
	v_cndmask_b32_e32 v4, 0, v4, vcc
	s_branch .LBB385_157
.LBB385_47:
	s_mov_b64 s[8:9], -1
	s_mov_b64 s[2:3], 0
	s_mov_b64 s[6:7], 0
.LBB385_48:
	s_and_b64 vcc, exec, s[8:9]
	s_cbranch_vccz .LBB385_53
; %bb.49:
	s_cmp_eq_u32 s13, 44
	s_mov_b64 s[2:3], -1
	s_cbranch_scc0 .LBB385_53
; %bb.50:
	v_cvt_f32_i32_sdwa v2, sext(v4) dst_sel:DWORD dst_unused:UNUSED_PAD src0_sel:WORD_0
	s_movk_i32 s2, 0xff
	v_mov_b32_e32 v5, 0xff
	v_bfe_u32 v3, v2, 23, 8
	v_cmp_ne_u32_e32 vcc, s2, v3
	s_and_saveexec_b64 s[6:7], vcc
; %bb.51:
	s_mov_b32 s2, 0x3fffff
	v_lshrrev_b32_e32 v5, 23, v2
	v_and_b32_e32 v6, 0x400000, v2
	v_and_or_b32 v2, v2, s2, v3
	v_cmp_ne_u32_e32 vcc, 0, v6
	v_cmp_ne_u32_e64 s[2:3], 0, v2
	s_and_b64 s[2:3], vcc, s[2:3]
	s_nop 0
	v_cndmask_b32_e64 v2, 0, 1, s[2:3]
	v_add_u32_e32 v5, v5, v2
; %bb.52:
	s_or_b64 exec, exec, s[6:7]
	s_mov_b64 s[6:7], -1
	s_mov_b64 s[2:3], 0
	global_store_byte v[0:1], v5, off
.LBB385_53:
	s_mov_b64 s[8:9], 0
.LBB385_54:
	s_and_b64 vcc, exec, s[8:9]
	s_cbranch_vccz .LBB385_57
; %bb.55:
	s_cmp_eq_u32 s13, 29
	s_mov_b64 s[2:3], -1
	s_cbranch_scc0 .LBB385_57
; %bb.56:
	v_bfe_i32 v2, v4, 0, 16
	v_ashrrev_i32_e32 v3, 31, v2
	global_store_dwordx2 v[0:1], v[2:3], off
	s_mov_b64 s[6:7], -1
	s_mov_b64 s[2:3], 0
.LBB385_57:
	s_mov_b64 s[8:9], 0
.LBB385_58:
	s_and_b64 vcc, exec, s[8:9]
	s_cbranch_vccz .LBB385_74
; %bb.59:
	s_cmp_lt_i32 s13, 27
	s_mov_b64 s[6:7], -1
	s_cbranch_scc1 .LBB385_65
; %bb.60:
	s_cmp_gt_i32 s13, 27
	s_cbranch_scc0 .LBB385_62
; %bb.61:
	v_bfe_i32 v2, v4, 0, 16
	s_mov_b64 s[6:7], 0
	global_store_dword v[0:1], v2, off
.LBB385_62:
	s_andn2_b64 vcc, exec, s[6:7]
	s_cbranch_vccnz .LBB385_64
; %bb.63:
	global_store_short v[0:1], v4, off
.LBB385_64:
	s_mov_b64 s[6:7], 0
.LBB385_65:
	s_andn2_b64 vcc, exec, s[6:7]
	s_cbranch_vccnz .LBB385_73
; %bb.66:
	v_cvt_f32_i32_sdwa v2, sext(v4) dst_sel:DWORD dst_unused:UNUSED_PAD src0_sel:WORD_0
	s_mov_b32 s6, 0x43800000
	v_mov_b32_e32 v5, 0x80
	v_and_b32_e32 v3, 0x7fffffff, v2
	v_cmp_gt_u32_e32 vcc, s6, v3
	s_and_saveexec_b64 s[6:7], vcc
	s_cbranch_execz .LBB385_72
; %bb.67:
	s_mov_b32 s8, 0x3bffffff
	v_cmp_lt_u32_e32 vcc, s8, v3
	s_mov_b64 s[8:9], 0
                                        ; implicit-def: $vgpr3
	s_and_saveexec_b64 s[10:11], vcc
	s_xor_b64 s[10:11], exec, s[10:11]
	s_cbranch_execz .LBB385_305
; %bb.68:
	v_bfe_u32 v3, v2, 20, 1
	s_mov_b32 s14, 0x487ffff
	v_add3_u32 v3, v2, v3, s14
	s_mov_b64 s[8:9], exec
	v_lshrrev_b32_e32 v3, 20, v3
	s_andn2_saveexec_b64 s[10:11], s[10:11]
	s_cbranch_execnz .LBB385_306
.LBB385_69:
	s_or_b64 exec, exec, s[10:11]
	v_mov_b32_e32 v5, 0
	s_and_saveexec_b64 s[10:11], s[8:9]
.LBB385_70:
	v_lshrrev_b32_e32 v2, 24, v2
	s_movk_i32 s8, 0x80
	v_and_or_b32 v5, v2, s8, v3
.LBB385_71:
	s_or_b64 exec, exec, s[10:11]
.LBB385_72:
	s_or_b64 exec, exec, s[6:7]
	global_store_byte v[0:1], v5, off
.LBB385_73:
	s_mov_b64 s[6:7], -1
.LBB385_74:
	s_mov_b64 s[8:9], 0
.LBB385_75:
	s_and_b64 vcc, exec, s[8:9]
	s_cbranch_vccz .LBB385_116
; %bb.76:
	s_cmp_gt_i32 s13, 22
	s_mov_b64 s[8:9], -1
	s_cbranch_scc0 .LBB385_108
; %bb.77:
	s_cmp_lt_i32 s13, 24
	s_mov_b64 s[6:7], -1
	s_cbranch_scc1 .LBB385_97
; %bb.78:
	s_cmp_gt_i32 s13, 24
	s_cbranch_scc0 .LBB385_86
; %bb.79:
	v_cvt_f32_i32_sdwa v2, sext(v4) dst_sel:DWORD dst_unused:UNUSED_PAD src0_sel:WORD_0
	s_mov_b32 s6, 0x47800000
	v_mov_b32_e32 v5, 0x80
	v_and_b32_e32 v3, 0x7fffffff, v2
	v_cmp_gt_u32_e32 vcc, s6, v3
	s_and_saveexec_b64 s[6:7], vcc
	s_cbranch_execz .LBB385_85
; %bb.80:
	s_mov_b32 s8, 0x37ffffff
	v_cmp_lt_u32_e32 vcc, s8, v3
	s_mov_b64 s[8:9], 0
                                        ; implicit-def: $vgpr3
	s_and_saveexec_b64 s[10:11], vcc
	s_xor_b64 s[10:11], exec, s[10:11]
	s_cbranch_execz .LBB385_309
; %bb.81:
	v_bfe_u32 v3, v2, 21, 1
	s_mov_b32 s14, 0x88fffff
	v_add3_u32 v3, v2, v3, s14
	s_mov_b64 s[8:9], exec
	v_lshrrev_b32_e32 v3, 21, v3
	s_andn2_saveexec_b64 s[10:11], s[10:11]
	s_cbranch_execnz .LBB385_310
.LBB385_82:
	s_or_b64 exec, exec, s[10:11]
	v_mov_b32_e32 v5, 0
	s_and_saveexec_b64 s[10:11], s[8:9]
.LBB385_83:
	v_lshrrev_b32_e32 v2, 24, v2
	s_movk_i32 s8, 0x80
	v_and_or_b32 v5, v2, s8, v3
.LBB385_84:
	s_or_b64 exec, exec, s[10:11]
.LBB385_85:
	s_or_b64 exec, exec, s[6:7]
	s_mov_b64 s[6:7], 0
	global_store_byte v[0:1], v5, off
.LBB385_86:
	s_and_b64 vcc, exec, s[6:7]
	s_cbranch_vccz .LBB385_96
; %bb.87:
	v_cvt_f32_i32_sdwa v2, sext(v4) dst_sel:DWORD dst_unused:UNUSED_PAD src0_sel:WORD_0
	s_mov_b32 s6, 0x43f00000
                                        ; implicit-def: $vgpr3
	v_and_b32_e32 v5, 0x7fffffff, v2
	v_cmp_gt_u32_e32 vcc, s6, v5
	s_and_saveexec_b64 s[6:7], vcc
	s_xor_b64 s[6:7], exec, s[6:7]
	s_cbranch_execz .LBB385_93
; %bb.88:
	s_mov_b32 s8, 0x3c7fffff
	v_cmp_lt_u32_e32 vcc, s8, v5
                                        ; implicit-def: $vgpr3
	s_and_saveexec_b64 s[8:9], vcc
	s_xor_b64 s[8:9], exec, s[8:9]
; %bb.89:
	v_bfe_u32 v3, v2, 20, 1
	s_mov_b32 s10, 0x407ffff
	v_add3_u32 v3, v2, v3, s10
	v_lshrrev_b32_e32 v5, 20, v3
	v_and_b32_e32 v3, 0xff00000, v3
	s_mov_b32 s10, 0x7f00000
	v_mov_b32_e32 v6, 0x7e
	v_cmp_ne_u32_e32 vcc, s10, v3
	s_nop 1
	v_cndmask_b32_e32 v3, v6, v5, vcc
; %bb.90:
	s_andn2_saveexec_b64 s[8:9], s[8:9]
; %bb.91:
	s_mov_b32 s10, 0x46800000
	v_add_f32_e64 v3, |v2|, s10
; %bb.92:
	s_or_b64 exec, exec, s[8:9]
                                        ; implicit-def: $vgpr5
.LBB385_93:
	s_andn2_saveexec_b64 s[6:7], s[6:7]
; %bb.94:
	s_mov_b32 s8, 0x7f800000
	v_mov_b32_e32 v3, 0x7e
	v_mov_b32_e32 v6, 0x7f
	v_cmp_lt_u32_e32 vcc, s8, v5
	s_nop 1
	v_cndmask_b32_e32 v3, v3, v6, vcc
; %bb.95:
	s_or_b64 exec, exec, s[6:7]
	v_lshrrev_b32_e32 v2, 24, v2
	s_movk_i32 s6, 0x80
	v_and_or_b32 v2, v2, s6, v3
	global_store_byte v[0:1], v2, off
.LBB385_96:
	s_mov_b64 s[6:7], 0
.LBB385_97:
	s_andn2_b64 vcc, exec, s[6:7]
	s_cbranch_vccnz .LBB385_107
; %bb.98:
	v_cvt_f32_i32_sdwa v2, sext(v4) dst_sel:DWORD dst_unused:UNUSED_PAD src0_sel:WORD_0
	s_mov_b32 s6, 0x47800000
                                        ; implicit-def: $vgpr3
	v_and_b32_e32 v5, 0x7fffffff, v2
	v_cmp_gt_u32_e32 vcc, s6, v5
	s_and_saveexec_b64 s[6:7], vcc
	s_xor_b64 s[6:7], exec, s[6:7]
	s_cbranch_execz .LBB385_104
; %bb.99:
	s_mov_b32 s8, 0x387fffff
	v_cmp_lt_u32_e32 vcc, s8, v5
                                        ; implicit-def: $vgpr3
	s_and_saveexec_b64 s[8:9], vcc
	s_xor_b64 s[8:9], exec, s[8:9]
; %bb.100:
	v_bfe_u32 v3, v2, 21, 1
	s_mov_b32 s10, 0x80fffff
	v_add3_u32 v3, v2, v3, s10
	v_lshrrev_b32_e32 v3, 21, v3
; %bb.101:
	s_andn2_saveexec_b64 s[8:9], s[8:9]
; %bb.102:
	s_mov_b32 s10, 0x43000000
	v_add_f32_e64 v3, |v2|, s10
; %bb.103:
	s_or_b64 exec, exec, s[8:9]
                                        ; implicit-def: $vgpr5
.LBB385_104:
	s_andn2_saveexec_b64 s[6:7], s[6:7]
; %bb.105:
	s_mov_b32 s8, 0x7f800000
	v_mov_b32_e32 v3, 0x7c
	v_mov_b32_e32 v6, 0x7f
	v_cmp_lt_u32_e32 vcc, s8, v5
	s_nop 1
	v_cndmask_b32_e32 v3, v3, v6, vcc
; %bb.106:
	s_or_b64 exec, exec, s[6:7]
	v_lshrrev_b32_e32 v2, 24, v2
	s_movk_i32 s6, 0x80
	v_and_or_b32 v2, v2, s6, v3
	global_store_byte v[0:1], v2, off
.LBB385_107:
	s_mov_b64 s[8:9], 0
	s_mov_b64 s[6:7], -1
.LBB385_108:
	s_andn2_b64 vcc, exec, s[8:9]
	s_cbranch_vccnz .LBB385_116
; %bb.109:
	s_cmp_gt_i32 s13, 14
	s_mov_b64 s[8:9], -1
	s_cbranch_scc0 .LBB385_113
; %bb.110:
	s_cmp_eq_u32 s13, 15
	s_mov_b64 s[2:3], -1
	s_cbranch_scc0 .LBB385_112
; %bb.111:
	v_cvt_f32_i32_sdwa v2, sext(v4) dst_sel:DWORD dst_unused:UNUSED_PAD src0_sel:WORD_0
	s_movk_i32 s2, 0x7fff
	s_mov_b64 s[6:7], -1
	v_bfe_u32 v3, v2, 16, 1
	v_add3_u32 v2, v2, v3, s2
	global_store_short_d16_hi v[0:1], v2, off
	s_mov_b64 s[2:3], 0
.LBB385_112:
	s_mov_b64 s[8:9], 0
.LBB385_113:
	s_and_b64 vcc, exec, s[8:9]
	s_cbranch_vccz .LBB385_116
; %bb.114:
	s_cmp_eq_u32 s13, 11
	s_mov_b64 s[2:3], -1
	s_cbranch_scc0 .LBB385_116
; %bb.115:
	v_cmp_ne_u16_e32 vcc, 0, v4
	s_mov_b64 s[6:7], -1
	s_mov_b64 s[2:3], 0
	v_cndmask_b32_e64 v2, 0, 1, vcc
	global_store_byte v[0:1], v2, off
.LBB385_116:
	s_branch .LBB385_35
.LBB385_117:
	s_and_b32 s8, 0xffff, s12
	s_cmp_lt_i32 s8, 5
	s_mov_b64 s[6:7], -1
	s_cbranch_scc1 .LBB385_138
; %bb.118:
	s_cmp_lt_i32 s8, 8
	s_cbranch_scc1 .LBB385_128
; %bb.119:
	s_cmp_lt_i32 s8, 9
	s_cbranch_scc1 .LBB385_125
; %bb.120:
	s_cmp_gt_i32 s8, 9
	s_cbranch_scc0 .LBB385_122
; %bb.121:
	v_bfe_i32 v2, v4, 0, 16
	v_mov_b32_e32 v12, 0
	v_cvt_f64_i32_e32 v[10:11], v2
	v_mov_b32_e32 v13, v12
	global_store_dwordx4 v[0:1], v[10:13], off
	s_mov_b64 s[6:7], 0
.LBB385_122:
	s_andn2_b64 vcc, exec, s[6:7]
	s_cbranch_vccnz .LBB385_124
; %bb.123:
	v_cvt_f32_i32_sdwa v2, sext(v4) dst_sel:DWORD dst_unused:UNUSED_PAD src0_sel:WORD_0
	v_mov_b32_e32 v3, 0
	global_store_dwordx2 v[0:1], v[2:3], off
.LBB385_124:
	s_mov_b64 s[6:7], 0
.LBB385_125:
	s_andn2_b64 vcc, exec, s[6:7]
	s_cbranch_vccnz .LBB385_127
; %bb.126:
	v_cvt_f16_i16_e32 v2, v4
	global_store_dword v[0:1], v2, off
.LBB385_127:
	s_mov_b64 s[6:7], 0
.LBB385_128:
	s_andn2_b64 vcc, exec, s[6:7]
	s_cbranch_vccnz .LBB385_137
; %bb.129:
	s_cmp_lt_i32 s8, 6
	s_mov_b64 s[6:7], -1
	s_cbranch_scc1 .LBB385_135
; %bb.130:
	s_cmp_gt_i32 s8, 6
	s_cbranch_scc0 .LBB385_132
; %bb.131:
	v_bfe_i32 v2, v4, 0, 16
	v_cvt_f64_i32_e32 v[2:3], v2
	global_store_dwordx2 v[0:1], v[2:3], off
	s_mov_b64 s[6:7], 0
.LBB385_132:
	s_andn2_b64 vcc, exec, s[6:7]
	s_cbranch_vccnz .LBB385_134
; %bb.133:
	v_cvt_f32_i32_sdwa v2, sext(v4) dst_sel:DWORD dst_unused:UNUSED_PAD src0_sel:WORD_0
	global_store_dword v[0:1], v2, off
.LBB385_134:
	s_mov_b64 s[6:7], 0
.LBB385_135:
	s_andn2_b64 vcc, exec, s[6:7]
	s_cbranch_vccnz .LBB385_137
; %bb.136:
	v_cvt_f16_i16_e32 v2, v4
	global_store_short v[0:1], v2, off
.LBB385_137:
	s_mov_b64 s[6:7], 0
.LBB385_138:
	s_andn2_b64 vcc, exec, s[6:7]
	s_cbranch_vccnz .LBB385_154
; %bb.139:
	s_cmp_lt_i32 s8, 2
	s_mov_b64 s[6:7], -1
	s_cbranch_scc1 .LBB385_149
; %bb.140:
	s_cmp_lt_i32 s8, 3
	s_cbranch_scc1 .LBB385_146
; %bb.141:
	s_cmp_gt_i32 s8, 3
	v_bfe_i32 v2, v4, 0, 16
	s_cbranch_scc0 .LBB385_143
; %bb.142:
	v_ashrrev_i32_e32 v3, 31, v2
	global_store_dwordx2 v[0:1], v[2:3], off
	s_mov_b64 s[6:7], 0
.LBB385_143:
	s_andn2_b64 vcc, exec, s[6:7]
	s_cbranch_vccnz .LBB385_145
; %bb.144:
	global_store_dword v[0:1], v2, off
.LBB385_145:
	s_mov_b64 s[6:7], 0
.LBB385_146:
	s_andn2_b64 vcc, exec, s[6:7]
	s_cbranch_vccnz .LBB385_148
; %bb.147:
	global_store_short v[0:1], v4, off
.LBB385_148:
	s_mov_b64 s[6:7], 0
.LBB385_149:
	s_andn2_b64 vcc, exec, s[6:7]
	s_cbranch_vccnz .LBB385_154
; %bb.150:
	s_cmp_gt_i32 s8, 0
	s_mov_b64 s[6:7], -1
	s_cbranch_scc0 .LBB385_152
; %bb.151:
	global_store_byte v[0:1], v4, off
	s_mov_b64 s[6:7], 0
.LBB385_152:
	s_andn2_b64 vcc, exec, s[6:7]
	s_cbranch_vccnz .LBB385_154
; %bb.153:
	global_store_byte v[0:1], v4, off
.LBB385_154:
.LBB385_155:
	v_add_u32_e32 v8, 0x80, v8
	s_mov_b64 s[6:7], -1
	s_branch .LBB385_262
.LBB385_156:
	s_mov_b64 s[4:5], -1
                                        ; implicit-def: $vgpr4
.LBB385_157:
	s_mov_b64 s[6:7], 0
.LBB385_158:
	s_and_b64 vcc, exec, s[6:7]
	s_cbranch_vccz .LBB385_162
; %bb.159:
	s_cmp_eq_u32 s8, 29
	s_cbranch_scc0 .LBB385_161
; %bb.160:
	global_load_dwordx2 v[4:5], v[2:3], off
	s_mov_b64 s[2:3], -1
	s_mov_b64 s[4:5], 0
	s_branch .LBB385_162
.LBB385_161:
	s_mov_b64 s[4:5], -1
                                        ; implicit-def: $vgpr4
.LBB385_162:
	s_mov_b64 s[6:7], 0
.LBB385_163:
	s_and_b64 vcc, exec, s[6:7]
	s_cbranch_vccz .LBB385_179
; %bb.164:
	s_cmp_lt_i32 s8, 27
	s_cbranch_scc1 .LBB385_167
; %bb.165:
	s_cmp_gt_i32 s8, 27
	s_cbranch_scc0 .LBB385_168
; %bb.166:
	global_load_dword v4, v[2:3], off
	s_mov_b64 s[2:3], 0
	s_branch .LBB385_169
.LBB385_167:
	s_mov_b64 s[2:3], -1
                                        ; implicit-def: $vgpr4
	s_branch .LBB385_172
.LBB385_168:
	s_mov_b64 s[2:3], -1
                                        ; implicit-def: $vgpr4
.LBB385_169:
	s_andn2_b64 vcc, exec, s[2:3]
	s_cbranch_vccnz .LBB385_171
; %bb.170:
	global_load_ushort v4, v[2:3], off
.LBB385_171:
	s_mov_b64 s[2:3], 0
.LBB385_172:
	s_andn2_b64 vcc, exec, s[2:3]
	s_cbranch_vccnz .LBB385_178
; %bb.173:
	global_load_ubyte v1, v[2:3], off
	s_movk_i32 s2, 0x7f
	s_mov_b64 s[6:7], 0
	s_waitcnt vmcnt(0)
	v_cmp_lt_i16_e32 vcc, s2, v1
	s_and_saveexec_b64 s[2:3], vcc
	s_xor_b64 s[2:3], exec, s[2:3]
	s_cbranch_execz .LBB385_189
; %bb.174:
	s_movk_i32 s6, 0x80
	v_cmp_ne_u16_e32 vcc, s6, v1
	s_and_b64 s[6:7], vcc, exec
	s_andn2_saveexec_b64 s[2:3], s[2:3]
	s_cbranch_execnz .LBB385_190
.LBB385_175:
	s_or_b64 exec, exec, s[2:3]
	v_mov_b32_e32 v4, 0
	s_and_saveexec_b64 s[2:3], s[6:7]
	s_cbranch_execz .LBB385_177
.LBB385_176:
	v_lshlrev_b32_e32 v4, 24, v1
	v_and_b32_e32 v1, 0xffff, v1
	v_and_b32_e32 v5, 7, v1
	v_ffbh_u32_e32 v7, v5
	v_min_u32_e32 v7, 32, v7
	v_subrev_u32_e32 v9, 28, v7
	v_bfe_u32 v6, v1, 3, 4
	v_lshlrev_b32_e32 v1, v9, v1
	v_sub_u32_e32 v7, 29, v7
	v_and_b32_e32 v1, 7, v1
	v_cmp_eq_u32_e32 vcc, 0, v6
	v_and_b32_e32 v4, 0x80000000, v4
	s_nop 0
	v_cndmask_b32_e32 v6, v6, v7, vcc
	v_cndmask_b32_e32 v1, v5, v1, vcc
	v_mov_b32_e32 v5, 0x3b800000
	v_lshlrev_b32_e32 v1, 20, v1
	v_lshl_add_u32 v5, v6, 23, v5
	v_or3_b32 v1, v4, v5, v1
	v_cvt_i32_f32_e32 v4, v1
.LBB385_177:
	s_or_b64 exec, exec, s[2:3]
.LBB385_178:
	s_mov_b64 s[2:3], -1
.LBB385_179:
	s_branch .LBB385_212
.LBB385_180:
	s_cmp_gt_i32 s8, 22
	s_cbranch_scc0 .LBB385_188
; %bb.181:
	s_cmp_lt_i32 s8, 24
	s_cbranch_scc1 .LBB385_191
; %bb.182:
	s_cmp_gt_i32 s8, 24
	s_cbranch_scc0 .LBB385_192
; %bb.183:
	global_load_ubyte v1, v[2:3], off
	s_movk_i32 s2, 0x7f
	s_mov_b64 s[6:7], 0
	s_waitcnt vmcnt(0)
	v_cmp_lt_i16_e32 vcc, s2, v1
	s_and_saveexec_b64 s[2:3], vcc
	s_xor_b64 s[2:3], exec, s[2:3]
	s_cbranch_execz .LBB385_204
; %bb.184:
	s_movk_i32 s6, 0x80
	v_cmp_ne_u16_e32 vcc, s6, v1
	s_and_b64 s[6:7], vcc, exec
	s_andn2_saveexec_b64 s[2:3], s[2:3]
	s_cbranch_execnz .LBB385_205
.LBB385_185:
	s_or_b64 exec, exec, s[2:3]
	v_mov_b32_e32 v4, 0
	s_and_saveexec_b64 s[2:3], s[6:7]
	s_cbranch_execz .LBB385_187
.LBB385_186:
	v_lshlrev_b32_e32 v4, 24, v1
	v_and_b32_e32 v1, 0xffff, v1
	v_and_b32_e32 v5, 3, v1
	v_ffbh_u32_e32 v7, v5
	v_min_u32_e32 v7, 32, v7
	v_subrev_u32_e32 v9, 29, v7
	v_bfe_u32 v6, v1, 2, 5
	v_lshlrev_b32_e32 v1, v9, v1
	v_sub_u32_e32 v7, 30, v7
	v_and_b32_e32 v1, 3, v1
	v_cmp_eq_u32_e32 vcc, 0, v6
	v_and_b32_e32 v4, 0x80000000, v4
	s_nop 0
	v_cndmask_b32_e32 v6, v6, v7, vcc
	v_cndmask_b32_e32 v1, v5, v1, vcc
	v_mov_b32_e32 v5, 0x37800000
	v_lshlrev_b32_e32 v1, 21, v1
	v_lshl_add_u32 v5, v6, 23, v5
	v_or3_b32 v1, v4, v5, v1
	v_cvt_i32_f32_e32 v4, v1
.LBB385_187:
	s_or_b64 exec, exec, s[2:3]
	s_mov_b64 s[2:3], 0
	s_branch .LBB385_193
.LBB385_188:
	s_mov_b64 s[6:7], -1
                                        ; implicit-def: $vgpr4
	s_branch .LBB385_199
.LBB385_189:
	s_andn2_saveexec_b64 s[2:3], s[2:3]
	s_cbranch_execz .LBB385_175
.LBB385_190:
	v_cmp_ne_u16_e32 vcc, 0, v1
	s_andn2_b64 s[6:7], s[6:7], exec
	s_and_b64 s[10:11], vcc, exec
	s_or_b64 s[6:7], s[6:7], s[10:11]
	s_or_b64 exec, exec, s[2:3]
	v_mov_b32_e32 v4, 0
	s_and_saveexec_b64 s[2:3], s[6:7]
	s_cbranch_execnz .LBB385_176
	s_branch .LBB385_177
.LBB385_191:
	s_mov_b64 s[2:3], -1
                                        ; implicit-def: $vgpr4
	s_branch .LBB385_196
.LBB385_192:
	s_mov_b64 s[2:3], -1
                                        ; implicit-def: $vgpr4
.LBB385_193:
	s_and_b64 vcc, exec, s[2:3]
	s_cbranch_vccz .LBB385_195
; %bb.194:
	global_load_ubyte v1, v[2:3], off
	s_mov_b32 s2, 0x7f800000
	s_waitcnt vmcnt(0)
	v_lshlrev_b32_e32 v1, 24, v1
	v_and_b32_e32 v4, 0x7f000000, v1
	v_ffbh_u32_e32 v5, v4
	v_min_u32_e32 v5, 32, v5
	v_sub_u32_e64 v5, v5, 4 clamp
	v_lshlrev_b32_e32 v7, v5, v4
	v_lshlrev_b32_e32 v5, 23, v5
	v_lshrrev_b32_e32 v7, 4, v7
	v_add_u32_e32 v6, 0x1000000, v4
	v_sub_u32_e32 v5, v7, v5
	v_ashrrev_i32_e32 v6, 8, v6
	v_add_u32_e32 v5, 0x3c000000, v5
	v_and_or_b32 v5, v6, s2, v5
	v_cmp_ne_u32_e32 vcc, 0, v4
	s_brev_b32 s2, 1
	s_nop 0
	v_cndmask_b32_e32 v4, 0, v5, vcc
	v_and_or_b32 v1, v1, s2, v4
	v_cvt_i32_f32_e32 v4, v1
.LBB385_195:
	s_mov_b64 s[2:3], 0
.LBB385_196:
	s_andn2_b64 vcc, exec, s[2:3]
	s_cbranch_vccnz .LBB385_198
; %bb.197:
	global_load_ubyte v1, v[2:3], off
	s_movk_i32 s2, 0x7f00
	s_brev_b32 s3, 16
	s_waitcnt vmcnt(0)
	v_lshlrev_b16_e32 v4, 8, v1
	v_lshlrev_b32_e32 v1, 25, v1
	v_lshrrev_b32_e32 v5, 4, v1
	v_and_or_b32 v6, v4, s2, 0.5
	v_or_b32_e32 v5, 0x70000000, v5
	v_add_f32_e32 v6, -0.5, v6
	v_mul_f32_e32 v5, 0x7800000, v5
	v_cmp_gt_u32_e32 vcc, s3, v1
	v_bfe_i32 v4, v4, 0, 16
	s_brev_b32 s2, 1
	v_cndmask_b32_e32 v1, v5, v6, vcc
	v_and_or_b32 v1, v4, s2, v1
	v_cvt_i32_f32_e32 v4, v1
.LBB385_198:
	s_mov_b64 s[6:7], 0
	s_mov_b64 s[2:3], -1
.LBB385_199:
	s_andn2_b64 vcc, exec, s[6:7]
	s_cbranch_vccnz .LBB385_212
; %bb.200:
	s_cmp_gt_i32 s8, 14
	s_cbranch_scc0 .LBB385_203
; %bb.201:
	s_cmp_eq_u32 s8, 15
	s_cbranch_scc0 .LBB385_206
; %bb.202:
	global_load_ushort v1, v[2:3], off
	s_mov_b64 s[2:3], -1
	s_mov_b64 s[4:5], 0
	s_waitcnt vmcnt(0)
	v_lshlrev_b32_e32 v1, 16, v1
	v_cvt_i32_f32_e32 v4, v1
	s_branch .LBB385_207
.LBB385_203:
	s_mov_b64 s[6:7], -1
                                        ; implicit-def: $vgpr4
	s_branch .LBB385_208
.LBB385_204:
	s_andn2_saveexec_b64 s[2:3], s[2:3]
	s_cbranch_execz .LBB385_185
.LBB385_205:
	v_cmp_ne_u16_e32 vcc, 0, v1
	s_andn2_b64 s[6:7], s[6:7], exec
	s_and_b64 s[10:11], vcc, exec
	s_or_b64 s[6:7], s[6:7], s[10:11]
	s_or_b64 exec, exec, s[2:3]
	v_mov_b32_e32 v4, 0
	s_and_saveexec_b64 s[2:3], s[6:7]
	s_cbranch_execnz .LBB385_186
	s_branch .LBB385_187
.LBB385_206:
	s_mov_b64 s[4:5], -1
                                        ; implicit-def: $vgpr4
.LBB385_207:
	s_mov_b64 s[6:7], 0
.LBB385_208:
	s_and_b64 vcc, exec, s[6:7]
	s_cbranch_vccz .LBB385_212
; %bb.209:
	s_cmp_eq_u32 s8, 11
	s_cbranch_scc0 .LBB385_211
; %bb.210:
	global_load_ubyte v1, v[2:3], off
	s_mov_b64 s[2:3], -1
	s_mov_b64 s[4:5], 0
	s_waitcnt vmcnt(0)
	v_cmp_ne_u16_e32 vcc, 0, v1
	s_nop 1
	v_cndmask_b32_e64 v4, 0, 1, vcc
	s_branch .LBB385_212
.LBB385_211:
	s_mov_b64 s[4:5], -1
                                        ; implicit-def: $vgpr4
.LBB385_212:
	s_branch .LBB385_25
.LBB385_213:
	s_cmp_lt_i32 s8, 5
	s_cbranch_scc1 .LBB385_218
; %bb.214:
	s_cmp_lt_i32 s8, 8
	s_cbranch_scc1 .LBB385_219
; %bb.215:
	s_cmp_lt_i32 s8, 9
	s_cbranch_scc1 .LBB385_220
; %bb.216:
	s_cmp_gt_i32 s8, 9
	s_cbranch_scc0 .LBB385_221
; %bb.217:
	global_load_dwordx2 v[4:5], v[2:3], off
	s_mov_b64 s[2:3], 0
	s_waitcnt vmcnt(0)
	v_cvt_i32_f64_e32 v4, v[4:5]
	s_branch .LBB385_222
.LBB385_218:
                                        ; implicit-def: $vgpr4
	s_branch .LBB385_240
.LBB385_219:
	s_mov_b64 s[2:3], -1
                                        ; implicit-def: $vgpr4
	s_branch .LBB385_228
.LBB385_220:
	s_mov_b64 s[2:3], -1
                                        ; implicit-def: $vgpr4
	s_branch .LBB385_225
.LBB385_221:
	s_mov_b64 s[2:3], -1
                                        ; implicit-def: $vgpr4
.LBB385_222:
	s_andn2_b64 vcc, exec, s[2:3]
	s_cbranch_vccnz .LBB385_224
; %bb.223:
	global_load_dword v1, v[2:3], off
	s_waitcnt vmcnt(0)
	v_cvt_i32_f32_e32 v4, v1
.LBB385_224:
	s_mov_b64 s[2:3], 0
.LBB385_225:
	s_andn2_b64 vcc, exec, s[2:3]
	s_cbranch_vccnz .LBB385_227
; %bb.226:
	global_load_dword v1, v[2:3], off
	s_waitcnt vmcnt(0)
	v_cvt_i16_f16_e32 v4, v1
.LBB385_227:
	s_mov_b64 s[2:3], 0
.LBB385_228:
	s_andn2_b64 vcc, exec, s[2:3]
	s_cbranch_vccnz .LBB385_239
; %bb.229:
	s_cmp_lt_i32 s8, 6
	s_cbranch_scc1 .LBB385_232
; %bb.230:
	s_cmp_gt_i32 s8, 6
	s_cbranch_scc0 .LBB385_233
; %bb.231:
	global_load_dwordx2 v[4:5], v[2:3], off
	s_mov_b64 s[2:3], 0
	s_waitcnt vmcnt(0)
	v_cvt_i32_f64_e32 v4, v[4:5]
	s_branch .LBB385_234
.LBB385_232:
	s_mov_b64 s[2:3], -1
                                        ; implicit-def: $vgpr4
	s_branch .LBB385_237
.LBB385_233:
	s_mov_b64 s[2:3], -1
                                        ; implicit-def: $vgpr4
.LBB385_234:
	s_andn2_b64 vcc, exec, s[2:3]
	s_cbranch_vccnz .LBB385_236
; %bb.235:
	global_load_dword v1, v[2:3], off
	s_waitcnt vmcnt(0)
	v_cvt_i32_f32_e32 v4, v1
.LBB385_236:
	s_mov_b64 s[2:3], 0
.LBB385_237:
	s_andn2_b64 vcc, exec, s[2:3]
	s_cbranch_vccnz .LBB385_239
; %bb.238:
	global_load_ushort v1, v[2:3], off
	s_waitcnt vmcnt(0)
	v_cvt_i16_f16_e32 v4, v1
.LBB385_239:
	s_cbranch_execnz .LBB385_259
.LBB385_240:
	s_cmp_lt_i32 s8, 2
	s_cbranch_scc1 .LBB385_244
; %bb.241:
	s_cmp_lt_i32 s8, 3
	s_cbranch_scc1 .LBB385_245
; %bb.242:
	s_cmp_gt_i32 s8, 3
	s_cbranch_scc0 .LBB385_246
; %bb.243:
	global_load_dwordx2 v[4:5], v[2:3], off
	s_mov_b64 s[2:3], 0
	s_branch .LBB385_247
.LBB385_244:
	s_mov_b64 s[2:3], -1
                                        ; implicit-def: $vgpr4
	s_branch .LBB385_253
.LBB385_245:
	s_mov_b64 s[2:3], -1
                                        ; implicit-def: $vgpr4
	s_branch .LBB385_250
.LBB385_246:
	s_mov_b64 s[2:3], -1
                                        ; implicit-def: $vgpr4
.LBB385_247:
	s_andn2_b64 vcc, exec, s[2:3]
	s_cbranch_vccnz .LBB385_249
; %bb.248:
	global_load_dword v4, v[2:3], off
.LBB385_249:
	s_mov_b64 s[2:3], 0
.LBB385_250:
	s_andn2_b64 vcc, exec, s[2:3]
	s_cbranch_vccnz .LBB385_252
; %bb.251:
	global_load_ushort v4, v[2:3], off
.LBB385_252:
	s_mov_b64 s[2:3], 0
.LBB385_253:
	s_andn2_b64 vcc, exec, s[2:3]
	s_cbranch_vccnz .LBB385_259
; %bb.254:
	s_cmp_gt_i32 s8, 0
	s_cbranch_scc0 .LBB385_256
; %bb.255:
	global_load_sbyte v4, v[2:3], off
	s_mov_b64 s[2:3], 0
	s_branch .LBB385_257
.LBB385_256:
	s_mov_b64 s[2:3], -1
                                        ; implicit-def: $vgpr4
.LBB385_257:
	s_andn2_b64 vcc, exec, s[2:3]
	s_cbranch_vccnz .LBB385_259
; %bb.258:
	global_load_ubyte v4, v[2:3], off
.LBB385_259:
	s_branch .LBB385_26
.LBB385_260:
	s_mov_b64 s[2:3], 0
.LBB385_261:
	s_mov_b64 s[6:7], 0
                                        ; implicit-def: $vgpr8
.LBB385_262:
	s_and_b64 s[54:55], s[2:3], exec
	s_and_b64 s[56:57], s[4:5], exec
	s_orn2_b64 s[4:5], s[6:7], exec
.LBB385_263:
	s_or_b64 exec, exec, s[58:59]
	s_mov_b64 s[8:9], 0
	s_mov_b64 s[2:3], 0
                                        ; implicit-def: $vgpr2_vgpr3
                                        ; implicit-def: $vgpr0
                                        ; implicit-def: $vgpr4
	s_and_saveexec_b64 s[58:59], s[4:5]
	s_cbranch_execz .LBB385_271
; %bb.264:
	v_cmp_gt_i32_e32 vcc, s70, v8
	s_mov_b64 s[2:3], -1
	s_mov_b64 s[60:61], s[56:57]
	s_mov_b64 s[62:63], s[54:55]
	s_and_saveexec_b64 s[64:65], vcc
	s_cbranch_execz .LBB385_536
; %bb.265:
	s_andn2_b64 vcc, exec, s[42:43]
	s_cbranch_vccnz .LBB385_274
; %bb.266:
	s_andn2_b64 vcc, exec, s[52:53]
	s_cbranch_vccnz .LBB385_275
; %bb.267:
	s_add_i32 s63, s76, 1
	s_cmp_eq_u32 s72, 2
	s_cbranch_scc1 .LBB385_276
; %bb.268:
	s_and_b32 s62, s63, 28
	s_mov_b32 s66, 0
	v_mov_b32_e32 v0, 0
	v_mov_b32_e32 v2, 0
	s_mov_b64 s[2:3], s[34:35]
	s_mov_b64 s[60:61], s[50:51]
	s_waitcnt vmcnt(0)
	v_mov_b32_e32 v4, v8
.LBB385_269:                            ; =>This Inner Loop Header: Depth=1
	s_load_dwordx8 s[12:19], s[2:3], 0x4
	s_load_dwordx4 s[36:39], s[2:3], 0x24
	s_load_dwordx8 s[4:11], s[60:61], 0x0
	s_add_u32 s2, s2, 48
	s_addc_u32 s3, s3, 0
	s_waitcnt lgkmcnt(0)
	v_mul_hi_u32 v1, s13, v4
	v_add_u32_e32 v1, v4, v1
	v_lshrrev_b32_e32 v1, s14, v1
	v_mul_lo_u32 v3, v1, s12
	v_mul_hi_u32 v5, s16, v1
	v_sub_u32_e32 v3, v4, v3
	v_add_u32_e32 v4, v1, v5
	v_lshrrev_b32_e32 v4, s17, v4
	v_mul_lo_u32 v6, v4, s15
	v_mul_hi_u32 v7, s19, v4
	v_sub_u32_e32 v1, v1, v6
	v_add_u32_e32 v6, v4, v7
	v_mul_lo_u32 v5, v3, s5
	v_mul_lo_u32 v3, v3, s4
	;; [unrolled: 1-line block ×4, first 2 shown]
	v_lshrrev_b32_e32 v6, s36, v6
	v_add3_u32 v0, v3, v0, v1
	v_mul_hi_u32 v3, s38, v6
	v_add3_u32 v1, v5, v2, v7
	v_mul_lo_u32 v2, v6, s18
	v_add_u32_e32 v3, v6, v3
	v_sub_u32_e32 v2, v4, v2
	v_lshrrev_b32_e32 v4, s39, v3
	s_add_i32 s66, s66, 4
	v_mul_lo_u32 v3, v4, s37
	s_add_u32 s60, s60, 32
	v_sub_u32_e32 v3, v6, v3
	s_addc_u32 s61, s61, 0
	v_mul_lo_u32 v5, v2, s8
	v_mul_lo_u32 v2, v2, s9
	;; [unrolled: 1-line block ×4, first 2 shown]
	s_cmp_eq_u32 s62, s66
	v_add3_u32 v2, v2, v1, v3
	v_add3_u32 v0, v5, v0, v6
	s_cbranch_scc0 .LBB385_269
; %bb.270:
	v_mov_b32_e32 v1, v2
	s_branch .LBB385_277
.LBB385_271:
	s_or_b64 exec, exec, s[58:59]
	s_mov_b64 s[4:5], 0
	s_and_saveexec_b64 s[6:7], s[56:57]
	s_cbranch_execnz .LBB385_906
.LBB385_272:
	s_or_b64 exec, exec, s[6:7]
	s_and_saveexec_b64 s[6:7], s[62:63]
	s_xor_b64 s[6:7], exec, s[6:7]
	s_cbranch_execz .LBB385_907
.LBB385_273:
	global_load_ubyte v1, v[2:3], off
	s_or_b64 s[2:3], s[2:3], exec
	s_waitcnt vmcnt(0)
	v_cmp_ne_u16_e32 vcc, 0, v1
	s_nop 1
	v_cndmask_b32_e64 v4, 0, 1, vcc
	s_or_b64 exec, exec, s[6:7]
	s_and_saveexec_b64 s[6:7], s[8:9]
	s_cbranch_execz .LBB385_953
	s_branch .LBB385_908
.LBB385_274:
                                        ; implicit-def: $vgpr2
                                        ; implicit-def: $vgpr0
	s_andn2_b64 vcc, exec, s[2:3]
	s_cbranch_vccz .LBB385_281
	s_branch .LBB385_283
.LBB385_275:
	v_mov_b32_e32 v2, 0
	v_mov_b32_e32 v0, 0
	s_branch .LBB385_280
.LBB385_276:
	v_mov_b32_e32 v0, 0
	s_mov_b32 s62, 0
	v_mov_b32_e32 v1, v0
                                        ; implicit-def: $vgpr2
	s_waitcnt vmcnt(0)
	v_mov_b32_e32 v4, v8
.LBB385_277:
	s_and_b32 s6, s63, 3
	s_cmp_eq_u32 s6, 0
	s_cbranch_scc1 .LBB385_280
; %bb.278:
	s_lshl_b32 s2, s62, 3
	s_add_u32 s2, s34, s2
	s_addc_u32 s3, s35, 0
	s_add_u32 s2, s2, 0xc4
	s_addc_u32 s3, s3, 0
	s_mul_i32 s4, s62, 12
	s_add_u32 s4, s34, s4
	s_addc_u32 s5, s35, 0
.LBB385_279:                            ; =>This Inner Loop Header: Depth=1
	s_load_dwordx2 s[8:9], s[4:5], 0x4
	s_load_dword s7, s[4:5], 0xc
	s_load_dwordx2 s[10:11], s[2:3], 0x0
	v_mov_b32_e32 v2, v1
	s_add_u32 s4, s4, 12
	s_waitcnt lgkmcnt(0)
	v_mul_hi_u32 v1, s9, v4
	v_add_u32_e32 v1, v4, v1
	v_lshrrev_b32_e32 v1, s7, v1
	s_addc_u32 s5, s5, 0
	v_mul_lo_u32 v3, v1, s8
	s_add_u32 s2, s2, 8
	v_sub_u32_e32 v5, v4, v3
	s_addc_u32 s3, s3, 0
	s_add_i32 s6, s6, -1
	v_mov_b32_e32 v4, v1
	v_mad_u64_u32 v[2:3], s[8:9], v5, s11, v[2:3]
	v_mad_u64_u32 v[0:1], s[8:9], v5, s10, v[0:1]
	s_cmp_lg_u32 s6, 0
	v_mov_b32_e32 v1, v2
	s_cbranch_scc1 .LBB385_279
.LBB385_280:
	s_cbranch_execnz .LBB385_283
.LBB385_281:
	v_mul_hi_u32 v0, s25, v8
	v_add_u32_e32 v0, v8, v0
	v_lshrrev_b32_e32 v1, s26, v0
	v_mul_lo_u32 v0, v1, s24
	v_sub_u32_e32 v0, v8, v0
	v_mul_lo_u32 v2, v0, s29
	s_andn2_b64 vcc, exec, s[48:49]
	v_mul_lo_u32 v0, v0, s28
	s_cbranch_vccnz .LBB385_283
; %bb.282:
	v_mul_hi_u32 v3, s46, v1
	v_add_u32_e32 v3, v1, v3
	v_lshrrev_b32_e32 v3, s47, v3
	v_mul_lo_u32 v3, v3, s27
	v_sub_u32_e32 v3, v1, v3
	v_mad_u64_u32 v[0:1], s[2:3], v3, s30, v[0:1]
	v_mad_u64_u32 v[2:3], s[2:3], v3, s31, v[2:3]
.LBB385_283:
	v_mov_b32_e32 v3, 0
	s_and_b32 s8, 0xffff, s75
	s_cmp_lt_i32 s8, 11
	v_lshl_add_u64 v[2:3], s[22:23], 0, v[2:3]
	s_cbranch_scc1 .LBB385_290
; %bb.284:
	s_cmp_gt_i32 s8, 25
	s_cbranch_scc0 .LBB385_299
; %bb.285:
	s_cmp_gt_i32 s8, 28
	s_cbranch_scc0 .LBB385_301
	;; [unrolled: 3-line block ×4, first 2 shown]
; %bb.288:
	s_cmp_eq_u32 s8, 46
	s_mov_b64 s[6:7], 0
	s_cbranch_scc0 .LBB385_311
; %bb.289:
	global_load_dword v1, v[2:3], off
	s_mov_b64 s[2:3], -1
	s_mov_b64 s[4:5], 0
	s_waitcnt vmcnt(0)
	v_lshlrev_b32_e32 v1, 16, v1
	v_cvt_i32_f32_e32 v4, v1
	s_branch .LBB385_312
.LBB385_290:
	s_mov_b64 s[2:3], 0
                                        ; implicit-def: $vgpr4
	s_mov_b64 s[4:5], s[56:57]
	s_cbranch_execnz .LBB385_485
.LBB385_291:
	s_andn2_b64 vcc, exec, s[2:3]
	s_cbranch_vccnz .LBB385_533
.LBB385_292:
	v_mov_b32_e32 v1, 0
	s_and_b32 s12, s74, 0xff
	s_waitcnt vmcnt(0)
	v_max_i16_e32 v4, s73, v4
	s_cmp_lt_i32 s12, 11
	v_lshl_add_u64 v[0:1], s[20:21], 0, v[0:1]
	s_cbranch_scc1 .LBB385_300
; %bb.293:
	s_and_b32 s13, 0xffff, s12
	s_cmp_gt_i32 s13, 25
	s_cbranch_scc0 .LBB385_302
; %bb.294:
	s_cmp_gt_i32 s13, 28
	s_cbranch_scc0 .LBB385_304
; %bb.295:
	;; [unrolled: 3-line block ×4, first 2 shown]
	s_mov_b64 s[8:9], 0
	s_mov_b64 s[2:3], -1
	s_cmp_eq_u32 s13, 46
	s_mov_b64 s[6:7], 0
	s_cbranch_scc0 .LBB385_316
; %bb.298:
	v_cvt_f32_i32_sdwa v2, sext(v4) dst_sel:DWORD dst_unused:UNUSED_PAD src0_sel:WORD_0
	s_movk_i32 s2, 0x7fff
	s_mov_b64 s[6:7], -1
	v_bfe_u32 v3, v2, 16, 1
	v_add3_u32 v2, v2, v3, s2
	v_lshrrev_b32_e32 v2, 16, v2
	global_store_dword v[0:1], v2, off
	s_mov_b64 s[2:3], 0
	s_branch .LBB385_316
.LBB385_299:
	s_mov_b64 s[6:7], -1
	s_mov_b64 s[2:3], 0
	s_mov_b64 s[4:5], s[56:57]
                                        ; implicit-def: $vgpr4
	s_branch .LBB385_451
.LBB385_300:
	s_mov_b64 s[8:9], -1
	s_mov_b64 s[6:7], 0
	s_mov_b64 s[2:3], s[54:55]
	s_branch .LBB385_385
.LBB385_301:
	s_mov_b64 s[6:7], -1
	s_mov_b64 s[2:3], 0
	s_mov_b64 s[4:5], s[56:57]
                                        ; implicit-def: $vgpr4
	s_branch .LBB385_434
.LBB385_302:
	s_mov_b64 s[8:9], -1
	s_mov_b64 s[6:7], 0
	s_mov_b64 s[2:3], s[54:55]
	s_branch .LBB385_343
.LBB385_303:
	s_mov_b64 s[6:7], -1
	s_mov_b64 s[2:3], 0
	s_mov_b64 s[4:5], s[56:57]
                                        ; implicit-def: $vgpr4
	s_branch .LBB385_429
.LBB385_304:
	s_mov_b64 s[8:9], -1
	s_mov_b64 s[6:7], 0
	s_mov_b64 s[2:3], s[54:55]
	s_branch .LBB385_326
.LBB385_305:
	s_andn2_saveexec_b64 s[10:11], s[10:11]
	s_cbranch_execz .LBB385_69
.LBB385_306:
	s_mov_b32 s14, 0x46000000
	v_add_f32_e64 v3, |v2|, s14
	v_and_b32_e32 v3, 0xff, v3
	v_cmp_ne_u32_e32 vcc, 0, v3
	s_andn2_b64 s[8:9], s[8:9], exec
	s_and_b64 s[14:15], vcc, exec
	s_or_b64 s[8:9], s[8:9], s[14:15]
	s_or_b64 exec, exec, s[10:11]
	v_mov_b32_e32 v5, 0
	s_and_saveexec_b64 s[10:11], s[8:9]
	s_cbranch_execnz .LBB385_70
	s_branch .LBB385_71
.LBB385_307:
	s_mov_b64 s[6:7], -1
	s_mov_b64 s[2:3], 0
	s_mov_b64 s[4:5], s[56:57]
                                        ; implicit-def: $vgpr4
	s_branch .LBB385_312
.LBB385_308:
	s_mov_b64 s[8:9], -1
	s_mov_b64 s[6:7], 0
	s_mov_b64 s[2:3], s[54:55]
	s_branch .LBB385_322
.LBB385_309:
	s_andn2_saveexec_b64 s[10:11], s[10:11]
	s_cbranch_execz .LBB385_82
.LBB385_310:
	s_mov_b32 s14, 0x42800000
	v_add_f32_e64 v3, |v2|, s14
	v_and_b32_e32 v3, 0xff, v3
	v_cmp_ne_u32_e32 vcc, 0, v3
	s_andn2_b64 s[8:9], s[8:9], exec
	s_and_b64 s[14:15], vcc, exec
	s_or_b64 s[8:9], s[8:9], s[14:15]
	s_or_b64 exec, exec, s[10:11]
	v_mov_b32_e32 v5, 0
	s_and_saveexec_b64 s[10:11], s[8:9]
	s_cbranch_execnz .LBB385_83
	s_branch .LBB385_84
.LBB385_311:
	s_mov_b64 s[4:5], -1
                                        ; implicit-def: $vgpr4
	s_mov_b64 s[2:3], 0
.LBB385_312:
	s_and_b64 vcc, exec, s[6:7]
	s_cbranch_vccz .LBB385_428
; %bb.313:
	s_cmp_eq_u32 s8, 44
	s_cbranch_scc0 .LBB385_427
; %bb.314:
	global_load_ubyte v1, v[2:3], off
	s_mov_b64 s[2:3], -1
	s_mov_b64 s[4:5], 0
	s_waitcnt vmcnt(0)
	v_lshlrev_b32_e32 v4, 23, v1
	v_cvt_i32_f32_e32 v4, v4
	v_cmp_ne_u32_e32 vcc, 0, v1
	s_nop 1
	v_cndmask_b32_e32 v4, 0, v4, vcc
	s_branch .LBB385_428
.LBB385_315:
	s_mov_b64 s[8:9], -1
	s_mov_b64 s[6:7], 0
	s_mov_b64 s[2:3], s[54:55]
.LBB385_316:
	s_and_b64 vcc, exec, s[8:9]
	s_cbranch_vccz .LBB385_321
; %bb.317:
	s_cmp_eq_u32 s13, 44
	s_mov_b64 s[2:3], -1
	s_cbranch_scc0 .LBB385_321
; %bb.318:
	v_cvt_f32_i32_sdwa v2, sext(v4) dst_sel:DWORD dst_unused:UNUSED_PAD src0_sel:WORD_0
	s_movk_i32 s2, 0xff
	v_mov_b32_e32 v5, 0xff
	v_bfe_u32 v3, v2, 23, 8
	v_cmp_ne_u32_e32 vcc, s2, v3
	s_and_saveexec_b64 s[6:7], vcc
; %bb.319:
	s_mov_b32 s2, 0x3fffff
	v_lshrrev_b32_e32 v5, 23, v2
	v_and_b32_e32 v6, 0x400000, v2
	v_and_or_b32 v2, v2, s2, v3
	v_cmp_ne_u32_e32 vcc, 0, v6
	v_cmp_ne_u32_e64 s[2:3], 0, v2
	s_and_b64 s[2:3], vcc, s[2:3]
	s_nop 0
	v_cndmask_b32_e64 v2, 0, 1, s[2:3]
	v_add_u32_e32 v5, v5, v2
; %bb.320:
	s_or_b64 exec, exec, s[6:7]
	s_mov_b64 s[6:7], -1
	s_mov_b64 s[2:3], 0
	global_store_byte v[0:1], v5, off
.LBB385_321:
	s_mov_b64 s[8:9], 0
.LBB385_322:
	s_and_b64 vcc, exec, s[8:9]
	s_cbranch_vccz .LBB385_325
; %bb.323:
	s_cmp_eq_u32 s13, 29
	s_mov_b64 s[2:3], -1
	s_cbranch_scc0 .LBB385_325
; %bb.324:
	v_bfe_i32 v2, v4, 0, 16
	v_ashrrev_i32_e32 v3, 31, v2
	global_store_dwordx2 v[0:1], v[2:3], off
	s_mov_b64 s[6:7], -1
	s_mov_b64 s[2:3], 0
.LBB385_325:
	s_mov_b64 s[8:9], 0
.LBB385_326:
	s_and_b64 vcc, exec, s[8:9]
	s_cbranch_vccz .LBB385_342
; %bb.327:
	s_cmp_lt_i32 s13, 27
	s_mov_b64 s[6:7], -1
	s_cbranch_scc1 .LBB385_333
; %bb.328:
	s_cmp_gt_i32 s13, 27
	s_cbranch_scc0 .LBB385_330
; %bb.329:
	v_bfe_i32 v2, v4, 0, 16
	s_mov_b64 s[6:7], 0
	global_store_dword v[0:1], v2, off
.LBB385_330:
	s_andn2_b64 vcc, exec, s[6:7]
	s_cbranch_vccnz .LBB385_332
; %bb.331:
	global_store_short v[0:1], v4, off
.LBB385_332:
	s_mov_b64 s[6:7], 0
.LBB385_333:
	s_andn2_b64 vcc, exec, s[6:7]
	s_cbranch_vccnz .LBB385_341
; %bb.334:
	v_cvt_f32_i32_sdwa v2, sext(v4) dst_sel:DWORD dst_unused:UNUSED_PAD src0_sel:WORD_0
	s_mov_b32 s6, 0x43800000
	v_mov_b32_e32 v5, 0x80
	v_and_b32_e32 v3, 0x7fffffff, v2
	v_cmp_gt_u32_e32 vcc, s6, v3
	s_and_saveexec_b64 s[6:7], vcc
	s_cbranch_execz .LBB385_340
; %bb.335:
	s_mov_b32 s8, 0x3bffffff
	v_cmp_lt_u32_e32 vcc, s8, v3
	s_mov_b64 s[8:9], 0
                                        ; implicit-def: $vgpr3
	s_and_saveexec_b64 s[10:11], vcc
	s_xor_b64 s[10:11], exec, s[10:11]
	s_cbranch_execz .LBB385_565
; %bb.336:
	v_bfe_u32 v3, v2, 20, 1
	s_mov_b32 s14, 0x487ffff
	v_add3_u32 v3, v2, v3, s14
	s_mov_b64 s[8:9], exec
	v_lshrrev_b32_e32 v3, 20, v3
	s_andn2_saveexec_b64 s[10:11], s[10:11]
	s_cbranch_execnz .LBB385_566
.LBB385_337:
	s_or_b64 exec, exec, s[10:11]
	v_mov_b32_e32 v5, 0
	s_and_saveexec_b64 s[10:11], s[8:9]
.LBB385_338:
	v_lshrrev_b32_e32 v2, 24, v2
	s_movk_i32 s8, 0x80
	v_and_or_b32 v5, v2, s8, v3
.LBB385_339:
	s_or_b64 exec, exec, s[10:11]
.LBB385_340:
	s_or_b64 exec, exec, s[6:7]
	global_store_byte v[0:1], v5, off
.LBB385_341:
	s_mov_b64 s[6:7], -1
.LBB385_342:
	s_mov_b64 s[8:9], 0
.LBB385_343:
	s_and_b64 vcc, exec, s[8:9]
	s_cbranch_vccz .LBB385_384
; %bb.344:
	s_cmp_gt_i32 s13, 22
	s_mov_b64 s[8:9], -1
	s_cbranch_scc0 .LBB385_376
; %bb.345:
	s_cmp_lt_i32 s13, 24
	s_mov_b64 s[6:7], -1
	s_cbranch_scc1 .LBB385_365
; %bb.346:
	s_cmp_gt_i32 s13, 24
	s_cbranch_scc0 .LBB385_354
; %bb.347:
	v_cvt_f32_i32_sdwa v2, sext(v4) dst_sel:DWORD dst_unused:UNUSED_PAD src0_sel:WORD_0
	s_mov_b32 s6, 0x47800000
	v_mov_b32_e32 v5, 0x80
	v_and_b32_e32 v3, 0x7fffffff, v2
	v_cmp_gt_u32_e32 vcc, s6, v3
	s_and_saveexec_b64 s[6:7], vcc
	s_cbranch_execz .LBB385_353
; %bb.348:
	s_mov_b32 s8, 0x37ffffff
	v_cmp_lt_u32_e32 vcc, s8, v3
	s_mov_b64 s[8:9], 0
                                        ; implicit-def: $vgpr3
	s_and_saveexec_b64 s[10:11], vcc
	s_xor_b64 s[10:11], exec, s[10:11]
	s_cbranch_execz .LBB385_568
; %bb.349:
	v_bfe_u32 v3, v2, 21, 1
	s_mov_b32 s14, 0x88fffff
	v_add3_u32 v3, v2, v3, s14
	s_mov_b64 s[8:9], exec
	v_lshrrev_b32_e32 v3, 21, v3
	s_andn2_saveexec_b64 s[10:11], s[10:11]
	s_cbranch_execnz .LBB385_569
.LBB385_350:
	s_or_b64 exec, exec, s[10:11]
	v_mov_b32_e32 v5, 0
	s_and_saveexec_b64 s[10:11], s[8:9]
.LBB385_351:
	v_lshrrev_b32_e32 v2, 24, v2
	s_movk_i32 s8, 0x80
	v_and_or_b32 v5, v2, s8, v3
.LBB385_352:
	s_or_b64 exec, exec, s[10:11]
.LBB385_353:
	s_or_b64 exec, exec, s[6:7]
	s_mov_b64 s[6:7], 0
	global_store_byte v[0:1], v5, off
.LBB385_354:
	s_and_b64 vcc, exec, s[6:7]
	s_cbranch_vccz .LBB385_364
; %bb.355:
	v_cvt_f32_i32_sdwa v2, sext(v4) dst_sel:DWORD dst_unused:UNUSED_PAD src0_sel:WORD_0
	s_mov_b32 s6, 0x43f00000
                                        ; implicit-def: $vgpr3
	v_and_b32_e32 v5, 0x7fffffff, v2
	v_cmp_gt_u32_e32 vcc, s6, v5
	s_and_saveexec_b64 s[6:7], vcc
	s_xor_b64 s[6:7], exec, s[6:7]
	s_cbranch_execz .LBB385_361
; %bb.356:
	s_mov_b32 s8, 0x3c7fffff
	v_cmp_lt_u32_e32 vcc, s8, v5
                                        ; implicit-def: $vgpr3
	s_and_saveexec_b64 s[8:9], vcc
	s_xor_b64 s[8:9], exec, s[8:9]
; %bb.357:
	v_bfe_u32 v3, v2, 20, 1
	s_mov_b32 s10, 0x407ffff
	v_add3_u32 v3, v2, v3, s10
	v_lshrrev_b32_e32 v5, 20, v3
	v_and_b32_e32 v3, 0xff00000, v3
	s_mov_b32 s10, 0x7f00000
	v_mov_b32_e32 v6, 0x7e
	v_cmp_ne_u32_e32 vcc, s10, v3
	s_nop 1
	v_cndmask_b32_e32 v3, v6, v5, vcc
; %bb.358:
	s_andn2_saveexec_b64 s[8:9], s[8:9]
; %bb.359:
	s_mov_b32 s10, 0x46800000
	v_add_f32_e64 v3, |v2|, s10
; %bb.360:
	s_or_b64 exec, exec, s[8:9]
                                        ; implicit-def: $vgpr5
.LBB385_361:
	s_andn2_saveexec_b64 s[6:7], s[6:7]
; %bb.362:
	s_mov_b32 s8, 0x7f800000
	v_mov_b32_e32 v3, 0x7e
	v_mov_b32_e32 v6, 0x7f
	v_cmp_lt_u32_e32 vcc, s8, v5
	s_nop 1
	v_cndmask_b32_e32 v3, v3, v6, vcc
; %bb.363:
	s_or_b64 exec, exec, s[6:7]
	v_lshrrev_b32_e32 v2, 24, v2
	s_movk_i32 s6, 0x80
	v_and_or_b32 v2, v2, s6, v3
	global_store_byte v[0:1], v2, off
.LBB385_364:
	s_mov_b64 s[6:7], 0
.LBB385_365:
	s_andn2_b64 vcc, exec, s[6:7]
	s_cbranch_vccnz .LBB385_375
; %bb.366:
	v_cvt_f32_i32_sdwa v2, sext(v4) dst_sel:DWORD dst_unused:UNUSED_PAD src0_sel:WORD_0
	s_mov_b32 s6, 0x47800000
                                        ; implicit-def: $vgpr3
	v_and_b32_e32 v5, 0x7fffffff, v2
	v_cmp_gt_u32_e32 vcc, s6, v5
	s_and_saveexec_b64 s[6:7], vcc
	s_xor_b64 s[6:7], exec, s[6:7]
	s_cbranch_execz .LBB385_372
; %bb.367:
	s_mov_b32 s8, 0x387fffff
	v_cmp_lt_u32_e32 vcc, s8, v5
                                        ; implicit-def: $vgpr3
	s_and_saveexec_b64 s[8:9], vcc
	s_xor_b64 s[8:9], exec, s[8:9]
; %bb.368:
	v_bfe_u32 v3, v2, 21, 1
	s_mov_b32 s10, 0x80fffff
	v_add3_u32 v3, v2, v3, s10
	v_lshrrev_b32_e32 v3, 21, v3
; %bb.369:
	s_andn2_saveexec_b64 s[8:9], s[8:9]
; %bb.370:
	s_mov_b32 s10, 0x43000000
	v_add_f32_e64 v3, |v2|, s10
; %bb.371:
	s_or_b64 exec, exec, s[8:9]
                                        ; implicit-def: $vgpr5
.LBB385_372:
	s_andn2_saveexec_b64 s[6:7], s[6:7]
; %bb.373:
	s_mov_b32 s8, 0x7f800000
	v_mov_b32_e32 v3, 0x7c
	v_mov_b32_e32 v6, 0x7f
	v_cmp_lt_u32_e32 vcc, s8, v5
	s_nop 1
	v_cndmask_b32_e32 v3, v3, v6, vcc
; %bb.374:
	s_or_b64 exec, exec, s[6:7]
	v_lshrrev_b32_e32 v2, 24, v2
	s_movk_i32 s6, 0x80
	v_and_or_b32 v2, v2, s6, v3
	global_store_byte v[0:1], v2, off
.LBB385_375:
	s_mov_b64 s[8:9], 0
	s_mov_b64 s[6:7], -1
.LBB385_376:
	s_andn2_b64 vcc, exec, s[8:9]
	s_cbranch_vccnz .LBB385_384
; %bb.377:
	s_cmp_gt_i32 s13, 14
	s_mov_b64 s[8:9], -1
	s_cbranch_scc0 .LBB385_381
; %bb.378:
	s_cmp_eq_u32 s13, 15
	s_mov_b64 s[2:3], -1
	s_cbranch_scc0 .LBB385_380
; %bb.379:
	v_cvt_f32_i32_sdwa v2, sext(v4) dst_sel:DWORD dst_unused:UNUSED_PAD src0_sel:WORD_0
	s_movk_i32 s2, 0x7fff
	s_mov_b64 s[6:7], -1
	v_bfe_u32 v3, v2, 16, 1
	v_add3_u32 v2, v2, v3, s2
	global_store_short_d16_hi v[0:1], v2, off
	s_mov_b64 s[2:3], 0
.LBB385_380:
	s_mov_b64 s[8:9], 0
.LBB385_381:
	s_and_b64 vcc, exec, s[8:9]
	s_cbranch_vccz .LBB385_384
; %bb.382:
	s_cmp_eq_u32 s13, 11
	s_mov_b64 s[2:3], -1
	s_cbranch_scc0 .LBB385_384
; %bb.383:
	v_cmp_ne_u16_e32 vcc, 0, v4
	s_mov_b64 s[6:7], -1
	s_mov_b64 s[2:3], 0
	v_cndmask_b32_e64 v2, 0, 1, vcc
	global_store_byte v[0:1], v2, off
.LBB385_384:
	s_mov_b64 s[8:9], 0
.LBB385_385:
	s_and_b64 vcc, exec, s[8:9]
	s_cbranch_vccz .LBB385_424
; %bb.386:
	s_and_b32 s8, 0xffff, s12
	s_cmp_lt_i32 s8, 5
	s_mov_b64 s[6:7], -1
	s_cbranch_scc1 .LBB385_407
; %bb.387:
	s_cmp_lt_i32 s8, 8
	s_cbranch_scc1 .LBB385_397
; %bb.388:
	s_cmp_lt_i32 s8, 9
	s_cbranch_scc1 .LBB385_394
; %bb.389:
	s_cmp_gt_i32 s8, 9
	s_cbranch_scc0 .LBB385_391
; %bb.390:
	v_bfe_i32 v2, v4, 0, 16
	v_mov_b32_e32 v12, 0
	v_cvt_f64_i32_e32 v[10:11], v2
	v_mov_b32_e32 v13, v12
	s_mov_b64 s[6:7], 0
	global_store_dwordx4 v[0:1], v[10:13], off
.LBB385_391:
	s_andn2_b64 vcc, exec, s[6:7]
	s_cbranch_vccnz .LBB385_393
; %bb.392:
	v_cvt_f32_i32_sdwa v2, sext(v4) dst_sel:DWORD dst_unused:UNUSED_PAD src0_sel:WORD_0
	v_mov_b32_e32 v3, 0
	global_store_dwordx2 v[0:1], v[2:3], off
.LBB385_393:
	s_mov_b64 s[6:7], 0
.LBB385_394:
	s_andn2_b64 vcc, exec, s[6:7]
	s_cbranch_vccnz .LBB385_396
; %bb.395:
	v_cvt_f16_i16_e32 v2, v4
	global_store_dword v[0:1], v2, off
.LBB385_396:
	s_mov_b64 s[6:7], 0
.LBB385_397:
	s_andn2_b64 vcc, exec, s[6:7]
	s_cbranch_vccnz .LBB385_406
; %bb.398:
	s_cmp_lt_i32 s8, 6
	s_mov_b64 s[6:7], -1
	s_cbranch_scc1 .LBB385_404
; %bb.399:
	s_cmp_gt_i32 s8, 6
	s_cbranch_scc0 .LBB385_401
; %bb.400:
	v_bfe_i32 v2, v4, 0, 16
	v_cvt_f64_i32_e32 v[2:3], v2
	s_mov_b64 s[6:7], 0
	global_store_dwordx2 v[0:1], v[2:3], off
.LBB385_401:
	s_andn2_b64 vcc, exec, s[6:7]
	s_cbranch_vccnz .LBB385_403
; %bb.402:
	v_cvt_f32_i32_sdwa v2, sext(v4) dst_sel:DWORD dst_unused:UNUSED_PAD src0_sel:WORD_0
	global_store_dword v[0:1], v2, off
.LBB385_403:
	s_mov_b64 s[6:7], 0
.LBB385_404:
	s_andn2_b64 vcc, exec, s[6:7]
	s_cbranch_vccnz .LBB385_406
; %bb.405:
	v_cvt_f16_i16_e32 v2, v4
	global_store_short v[0:1], v2, off
.LBB385_406:
	s_mov_b64 s[6:7], 0
.LBB385_407:
	s_andn2_b64 vcc, exec, s[6:7]
	s_cbranch_vccnz .LBB385_423
; %bb.408:
	s_cmp_lt_i32 s8, 2
	s_mov_b64 s[6:7], -1
	s_cbranch_scc1 .LBB385_418
; %bb.409:
	s_cmp_lt_i32 s8, 3
	s_cbranch_scc1 .LBB385_415
; %bb.410:
	s_cmp_gt_i32 s8, 3
	v_bfe_i32 v2, v4, 0, 16
	s_cbranch_scc0 .LBB385_412
; %bb.411:
	v_ashrrev_i32_e32 v3, 31, v2
	s_mov_b64 s[6:7], 0
	global_store_dwordx2 v[0:1], v[2:3], off
.LBB385_412:
	s_andn2_b64 vcc, exec, s[6:7]
	s_cbranch_vccnz .LBB385_414
; %bb.413:
	global_store_dword v[0:1], v2, off
.LBB385_414:
	s_mov_b64 s[6:7], 0
.LBB385_415:
	s_andn2_b64 vcc, exec, s[6:7]
	s_cbranch_vccnz .LBB385_417
; %bb.416:
	global_store_short v[0:1], v4, off
.LBB385_417:
	s_mov_b64 s[6:7], 0
.LBB385_418:
	s_andn2_b64 vcc, exec, s[6:7]
	s_cbranch_vccnz .LBB385_423
; %bb.419:
	s_cmp_gt_i32 s8, 0
	s_mov_b64 s[6:7], -1
	s_cbranch_scc0 .LBB385_421
; %bb.420:
	s_mov_b64 s[6:7], 0
	global_store_byte v[0:1], v4, off
.LBB385_421:
	s_andn2_b64 vcc, exec, s[6:7]
	s_cbranch_vccnz .LBB385_423
; %bb.422:
	global_store_byte v[0:1], v4, off
.LBB385_423:
	s_mov_b64 s[6:7], -1
.LBB385_424:
	s_andn2_b64 vcc, exec, s[6:7]
	s_cbranch_vccnz .LBB385_426
; %bb.425:
	v_add_u32_e32 v8, 0x80, v8
	s_mov_b64 s[6:7], -1
	s_branch .LBB385_535
.LBB385_426:
	s_mov_b64 s[6:7], 0
	s_branch .LBB385_534
.LBB385_427:
	s_mov_b64 s[4:5], -1
                                        ; implicit-def: $vgpr4
.LBB385_428:
	s_mov_b64 s[6:7], 0
.LBB385_429:
	s_and_b64 vcc, exec, s[6:7]
	s_cbranch_vccz .LBB385_433
; %bb.430:
	s_cmp_eq_u32 s8, 29
	s_cbranch_scc0 .LBB385_432
; %bb.431:
	global_load_dwordx2 v[4:5], v[2:3], off
	s_mov_b64 s[2:3], -1
	s_mov_b64 s[4:5], 0
	s_branch .LBB385_433
.LBB385_432:
	s_mov_b64 s[4:5], -1
                                        ; implicit-def: $vgpr4
.LBB385_433:
	s_mov_b64 s[6:7], 0
.LBB385_434:
	s_and_b64 vcc, exec, s[6:7]
	s_cbranch_vccz .LBB385_450
; %bb.435:
	s_cmp_lt_i32 s8, 27
	s_cbranch_scc1 .LBB385_438
; %bb.436:
	s_cmp_gt_i32 s8, 27
	s_cbranch_scc0 .LBB385_439
; %bb.437:
	global_load_dword v4, v[2:3], off
	s_mov_b64 s[2:3], 0
	s_branch .LBB385_440
.LBB385_438:
	s_mov_b64 s[2:3], -1
                                        ; implicit-def: $vgpr4
	s_branch .LBB385_443
.LBB385_439:
	s_mov_b64 s[2:3], -1
                                        ; implicit-def: $vgpr4
.LBB385_440:
	s_andn2_b64 vcc, exec, s[2:3]
	s_cbranch_vccnz .LBB385_442
; %bb.441:
	global_load_ushort v4, v[2:3], off
.LBB385_442:
	s_mov_b64 s[2:3], 0
.LBB385_443:
	s_andn2_b64 vcc, exec, s[2:3]
	s_cbranch_vccnz .LBB385_449
; %bb.444:
	global_load_ubyte v1, v[2:3], off
	s_movk_i32 s2, 0x7f
	s_mov_b64 s[6:7], 0
	s_waitcnt vmcnt(0)
	v_cmp_lt_i16_e32 vcc, s2, v1
	s_and_saveexec_b64 s[2:3], vcc
	s_xor_b64 s[2:3], exec, s[2:3]
	s_cbranch_execz .LBB385_461
; %bb.445:
	s_movk_i32 s6, 0x80
	v_cmp_ne_u16_e32 vcc, s6, v1
	s_and_b64 s[6:7], vcc, exec
	s_andn2_saveexec_b64 s[2:3], s[2:3]
	s_cbranch_execnz .LBB385_462
.LBB385_446:
	s_or_b64 exec, exec, s[2:3]
	v_mov_b32_e32 v4, 0
	s_and_saveexec_b64 s[2:3], s[6:7]
	s_cbranch_execz .LBB385_448
.LBB385_447:
	v_lshlrev_b32_e32 v4, 24, v1
	v_and_b32_e32 v1, 0xffff, v1
	v_and_b32_e32 v5, 7, v1
	v_ffbh_u32_e32 v7, v5
	v_min_u32_e32 v7, 32, v7
	v_subrev_u32_e32 v9, 28, v7
	v_bfe_u32 v6, v1, 3, 4
	v_lshlrev_b32_e32 v1, v9, v1
	v_sub_u32_e32 v7, 29, v7
	v_and_b32_e32 v1, 7, v1
	v_cmp_eq_u32_e32 vcc, 0, v6
	v_and_b32_e32 v4, 0x80000000, v4
	s_nop 0
	v_cndmask_b32_e32 v6, v6, v7, vcc
	v_cndmask_b32_e32 v1, v5, v1, vcc
	v_mov_b32_e32 v5, 0x3b800000
	v_lshlrev_b32_e32 v1, 20, v1
	v_lshl_add_u32 v5, v6, 23, v5
	v_or3_b32 v1, v4, v5, v1
	v_cvt_i32_f32_e32 v4, v1
.LBB385_448:
	s_or_b64 exec, exec, s[2:3]
.LBB385_449:
	s_mov_b64 s[2:3], -1
.LBB385_450:
	s_mov_b64 s[6:7], 0
.LBB385_451:
	s_and_b64 vcc, exec, s[6:7]
	s_cbranch_vccz .LBB385_484
; %bb.452:
	s_cmp_gt_i32 s8, 22
	s_cbranch_scc0 .LBB385_460
; %bb.453:
	s_cmp_lt_i32 s8, 24
	s_cbranch_scc1 .LBB385_463
; %bb.454:
	s_cmp_gt_i32 s8, 24
	s_cbranch_scc0 .LBB385_464
; %bb.455:
	global_load_ubyte v1, v[2:3], off
	s_movk_i32 s2, 0x7f
	s_mov_b64 s[6:7], 0
	s_waitcnt vmcnt(0)
	v_cmp_lt_i16_e32 vcc, s2, v1
	s_and_saveexec_b64 s[2:3], vcc
	s_xor_b64 s[2:3], exec, s[2:3]
	s_cbranch_execz .LBB385_476
; %bb.456:
	s_movk_i32 s6, 0x80
	v_cmp_ne_u16_e32 vcc, s6, v1
	s_and_b64 s[6:7], vcc, exec
	s_andn2_saveexec_b64 s[2:3], s[2:3]
	s_cbranch_execnz .LBB385_477
.LBB385_457:
	s_or_b64 exec, exec, s[2:3]
	v_mov_b32_e32 v4, 0
	s_and_saveexec_b64 s[2:3], s[6:7]
	s_cbranch_execz .LBB385_459
.LBB385_458:
	v_lshlrev_b32_e32 v4, 24, v1
	v_and_b32_e32 v1, 0xffff, v1
	v_and_b32_e32 v5, 3, v1
	v_ffbh_u32_e32 v7, v5
	v_min_u32_e32 v7, 32, v7
	v_subrev_u32_e32 v9, 29, v7
	v_bfe_u32 v6, v1, 2, 5
	v_lshlrev_b32_e32 v1, v9, v1
	v_sub_u32_e32 v7, 30, v7
	v_and_b32_e32 v1, 3, v1
	v_cmp_eq_u32_e32 vcc, 0, v6
	v_and_b32_e32 v4, 0x80000000, v4
	s_nop 0
	v_cndmask_b32_e32 v6, v6, v7, vcc
	v_cndmask_b32_e32 v1, v5, v1, vcc
	v_mov_b32_e32 v5, 0x37800000
	v_lshlrev_b32_e32 v1, 21, v1
	v_lshl_add_u32 v5, v6, 23, v5
	v_or3_b32 v1, v4, v5, v1
	v_cvt_i32_f32_e32 v4, v1
.LBB385_459:
	s_or_b64 exec, exec, s[2:3]
	s_mov_b64 s[2:3], 0
	s_branch .LBB385_465
.LBB385_460:
	s_mov_b64 s[6:7], -1
                                        ; implicit-def: $vgpr4
	s_branch .LBB385_471
.LBB385_461:
	s_andn2_saveexec_b64 s[2:3], s[2:3]
	s_cbranch_execz .LBB385_446
.LBB385_462:
	v_cmp_ne_u16_e32 vcc, 0, v1
	s_andn2_b64 s[6:7], s[6:7], exec
	s_and_b64 s[10:11], vcc, exec
	s_or_b64 s[6:7], s[6:7], s[10:11]
	s_or_b64 exec, exec, s[2:3]
	v_mov_b32_e32 v4, 0
	s_and_saveexec_b64 s[2:3], s[6:7]
	s_cbranch_execnz .LBB385_447
	s_branch .LBB385_448
.LBB385_463:
	s_mov_b64 s[2:3], -1
                                        ; implicit-def: $vgpr4
	s_branch .LBB385_468
.LBB385_464:
	s_mov_b64 s[2:3], -1
                                        ; implicit-def: $vgpr4
.LBB385_465:
	s_and_b64 vcc, exec, s[2:3]
	s_cbranch_vccz .LBB385_467
; %bb.466:
	global_load_ubyte v1, v[2:3], off
	s_mov_b32 s2, 0x7f800000
	s_waitcnt vmcnt(0)
	v_lshlrev_b32_e32 v1, 24, v1
	v_and_b32_e32 v4, 0x7f000000, v1
	v_ffbh_u32_e32 v5, v4
	v_min_u32_e32 v5, 32, v5
	v_sub_u32_e64 v5, v5, 4 clamp
	v_lshlrev_b32_e32 v7, v5, v4
	v_lshlrev_b32_e32 v5, 23, v5
	v_lshrrev_b32_e32 v7, 4, v7
	v_add_u32_e32 v6, 0x1000000, v4
	v_sub_u32_e32 v5, v7, v5
	v_ashrrev_i32_e32 v6, 8, v6
	v_add_u32_e32 v5, 0x3c000000, v5
	v_and_or_b32 v5, v6, s2, v5
	v_cmp_ne_u32_e32 vcc, 0, v4
	s_brev_b32 s2, 1
	s_nop 0
	v_cndmask_b32_e32 v4, 0, v5, vcc
	v_and_or_b32 v1, v1, s2, v4
	v_cvt_i32_f32_e32 v4, v1
.LBB385_467:
	s_mov_b64 s[2:3], 0
.LBB385_468:
	s_andn2_b64 vcc, exec, s[2:3]
	s_cbranch_vccnz .LBB385_470
; %bb.469:
	global_load_ubyte v1, v[2:3], off
	s_movk_i32 s2, 0x7f00
	s_brev_b32 s3, 16
	s_waitcnt vmcnt(0)
	v_lshlrev_b16_e32 v4, 8, v1
	v_lshlrev_b32_e32 v1, 25, v1
	v_lshrrev_b32_e32 v5, 4, v1
	v_and_or_b32 v6, v4, s2, 0.5
	v_or_b32_e32 v5, 0x70000000, v5
	v_add_f32_e32 v6, -0.5, v6
	v_mul_f32_e32 v5, 0x7800000, v5
	v_cmp_gt_u32_e32 vcc, s3, v1
	v_bfe_i32 v4, v4, 0, 16
	s_brev_b32 s2, 1
	v_cndmask_b32_e32 v1, v5, v6, vcc
	v_and_or_b32 v1, v4, s2, v1
	v_cvt_i32_f32_e32 v4, v1
.LBB385_470:
	s_mov_b64 s[6:7], 0
	s_mov_b64 s[2:3], -1
.LBB385_471:
	s_andn2_b64 vcc, exec, s[6:7]
	s_cbranch_vccnz .LBB385_484
; %bb.472:
	s_cmp_gt_i32 s8, 14
	s_cbranch_scc0 .LBB385_475
; %bb.473:
	s_cmp_eq_u32 s8, 15
	s_cbranch_scc0 .LBB385_478
; %bb.474:
	global_load_ushort v1, v[2:3], off
	s_mov_b64 s[2:3], -1
	s_mov_b64 s[4:5], 0
	s_waitcnt vmcnt(0)
	v_lshlrev_b32_e32 v1, 16, v1
	v_cvt_i32_f32_e32 v4, v1
	s_branch .LBB385_479
.LBB385_475:
	s_mov_b64 s[6:7], -1
                                        ; implicit-def: $vgpr4
	s_branch .LBB385_480
.LBB385_476:
	s_andn2_saveexec_b64 s[2:3], s[2:3]
	s_cbranch_execz .LBB385_457
.LBB385_477:
	v_cmp_ne_u16_e32 vcc, 0, v1
	s_andn2_b64 s[6:7], s[6:7], exec
	s_and_b64 s[10:11], vcc, exec
	s_or_b64 s[6:7], s[6:7], s[10:11]
	s_or_b64 exec, exec, s[2:3]
	v_mov_b32_e32 v4, 0
	s_and_saveexec_b64 s[2:3], s[6:7]
	s_cbranch_execnz .LBB385_458
	s_branch .LBB385_459
.LBB385_478:
	s_mov_b64 s[4:5], -1
                                        ; implicit-def: $vgpr4
.LBB385_479:
	s_mov_b64 s[6:7], 0
.LBB385_480:
	s_and_b64 vcc, exec, s[6:7]
	s_cbranch_vccz .LBB385_484
; %bb.481:
	s_cmp_eq_u32 s8, 11
	s_cbranch_scc0 .LBB385_483
; %bb.482:
	global_load_ubyte v1, v[2:3], off
	s_mov_b64 s[2:3], -1
	s_mov_b64 s[4:5], 0
	s_waitcnt vmcnt(0)
	v_cmp_ne_u16_e32 vcc, 0, v1
	s_nop 1
	v_cndmask_b32_e64 v4, 0, 1, vcc
	s_branch .LBB385_484
.LBB385_483:
	s_mov_b64 s[4:5], -1
                                        ; implicit-def: $vgpr4
.LBB385_484:
	s_branch .LBB385_291
.LBB385_485:
	s_cmp_lt_i32 s8, 5
	s_cbranch_scc1 .LBB385_490
; %bb.486:
	s_cmp_lt_i32 s8, 8
	s_cbranch_scc1 .LBB385_491
; %bb.487:
	;; [unrolled: 3-line block ×3, first 2 shown]
	s_cmp_gt_i32 s8, 9
	s_cbranch_scc0 .LBB385_493
; %bb.489:
	global_load_dwordx2 v[4:5], v[2:3], off
	s_mov_b64 s[2:3], 0
	s_waitcnt vmcnt(0)
	v_cvt_i32_f64_e32 v4, v[4:5]
	s_branch .LBB385_494
.LBB385_490:
	s_mov_b64 s[2:3], -1
                                        ; implicit-def: $vgpr4
	s_branch .LBB385_512
.LBB385_491:
	s_mov_b64 s[2:3], -1
                                        ; implicit-def: $vgpr4
	s_branch .LBB385_500
.LBB385_492:
	s_mov_b64 s[2:3], -1
                                        ; implicit-def: $vgpr4
	s_branch .LBB385_497
.LBB385_493:
	s_mov_b64 s[2:3], -1
                                        ; implicit-def: $vgpr4
.LBB385_494:
	s_andn2_b64 vcc, exec, s[2:3]
	s_cbranch_vccnz .LBB385_496
; %bb.495:
	global_load_dword v1, v[2:3], off
	s_waitcnt vmcnt(0)
	v_cvt_i32_f32_e32 v4, v1
.LBB385_496:
	s_mov_b64 s[2:3], 0
.LBB385_497:
	s_andn2_b64 vcc, exec, s[2:3]
	s_cbranch_vccnz .LBB385_499
; %bb.498:
	global_load_dword v1, v[2:3], off
	s_waitcnt vmcnt(0)
	v_cvt_i16_f16_e32 v4, v1
.LBB385_499:
	s_mov_b64 s[2:3], 0
.LBB385_500:
	s_andn2_b64 vcc, exec, s[2:3]
	s_cbranch_vccnz .LBB385_511
; %bb.501:
	s_cmp_lt_i32 s8, 6
	s_cbranch_scc1 .LBB385_504
; %bb.502:
	s_cmp_gt_i32 s8, 6
	s_cbranch_scc0 .LBB385_505
; %bb.503:
	global_load_dwordx2 v[4:5], v[2:3], off
	s_mov_b64 s[2:3], 0
	s_waitcnt vmcnt(0)
	v_cvt_i32_f64_e32 v4, v[4:5]
	s_branch .LBB385_506
.LBB385_504:
	s_mov_b64 s[2:3], -1
                                        ; implicit-def: $vgpr4
	s_branch .LBB385_509
.LBB385_505:
	s_mov_b64 s[2:3], -1
                                        ; implicit-def: $vgpr4
.LBB385_506:
	s_andn2_b64 vcc, exec, s[2:3]
	s_cbranch_vccnz .LBB385_508
; %bb.507:
	global_load_dword v1, v[2:3], off
	s_waitcnt vmcnt(0)
	v_cvt_i32_f32_e32 v4, v1
.LBB385_508:
	s_mov_b64 s[2:3], 0
.LBB385_509:
	s_andn2_b64 vcc, exec, s[2:3]
	s_cbranch_vccnz .LBB385_511
; %bb.510:
	global_load_ushort v1, v[2:3], off
	s_waitcnt vmcnt(0)
	v_cvt_i16_f16_e32 v4, v1
.LBB385_511:
	s_mov_b64 s[2:3], 0
.LBB385_512:
	s_andn2_b64 vcc, exec, s[2:3]
	s_cbranch_vccnz .LBB385_532
; %bb.513:
	s_cmp_lt_i32 s8, 2
	s_cbranch_scc1 .LBB385_517
; %bb.514:
	s_cmp_lt_i32 s8, 3
	s_cbranch_scc1 .LBB385_518
; %bb.515:
	s_cmp_gt_i32 s8, 3
	s_cbranch_scc0 .LBB385_519
; %bb.516:
	global_load_dwordx2 v[4:5], v[2:3], off
	s_mov_b64 s[2:3], 0
	s_branch .LBB385_520
.LBB385_517:
	s_mov_b64 s[2:3], -1
                                        ; implicit-def: $vgpr4
	s_branch .LBB385_526
.LBB385_518:
	s_mov_b64 s[2:3], -1
                                        ; implicit-def: $vgpr4
	s_branch .LBB385_523
.LBB385_519:
	s_mov_b64 s[2:3], -1
                                        ; implicit-def: $vgpr4
.LBB385_520:
	s_andn2_b64 vcc, exec, s[2:3]
	s_cbranch_vccnz .LBB385_522
; %bb.521:
	global_load_dword v4, v[2:3], off
.LBB385_522:
	s_mov_b64 s[2:3], 0
.LBB385_523:
	s_andn2_b64 vcc, exec, s[2:3]
	s_cbranch_vccnz .LBB385_525
; %bb.524:
	global_load_ushort v4, v[2:3], off
.LBB385_525:
	s_mov_b64 s[2:3], 0
.LBB385_526:
	s_andn2_b64 vcc, exec, s[2:3]
	s_cbranch_vccnz .LBB385_532
; %bb.527:
	s_cmp_gt_i32 s8, 0
	s_cbranch_scc0 .LBB385_529
; %bb.528:
	global_load_sbyte v4, v[2:3], off
	s_mov_b64 s[2:3], 0
	s_branch .LBB385_530
.LBB385_529:
	s_mov_b64 s[2:3], -1
                                        ; implicit-def: $vgpr4
.LBB385_530:
	s_andn2_b64 vcc, exec, s[2:3]
	s_cbranch_vccnz .LBB385_532
; %bb.531:
	global_load_ubyte v4, v[2:3], off
.LBB385_532:
	s_branch .LBB385_292
.LBB385_533:
	s_mov_b64 s[6:7], 0
	s_mov_b64 s[2:3], s[54:55]
.LBB385_534:
                                        ; implicit-def: $vgpr8
.LBB385_535:
	s_andn2_b64 s[8:9], s[54:55], exec
	s_and_b64 s[2:3], s[2:3], exec
	s_or_b64 s[62:63], s[8:9], s[2:3]
	s_andn2_b64 s[2:3], s[56:57], exec
	s_and_b64 s[4:5], s[4:5], exec
	s_or_b64 s[60:61], s[2:3], s[4:5]
	s_orn2_b64 s[2:3], s[6:7], exec
.LBB385_536:
	s_or_b64 exec, exec, s[64:65]
	s_mov_b64 s[4:5], 0
	s_mov_b64 s[6:7], 0
	;; [unrolled: 1-line block ×3, first 2 shown]
                                        ; implicit-def: $vgpr2_vgpr3
                                        ; implicit-def: $vgpr0
                                        ; implicit-def: $vgpr4
	s_and_saveexec_b64 s[64:65], s[2:3]
	s_cbranch_execz .LBB385_905
; %bb.537:
	v_cmp_gt_i32_e32 vcc, s70, v8
	s_mov_b64 s[6:7], -1
	s_mov_b64 s[2:3], s[60:61]
	s_mov_b64 s[68:69], s[62:63]
	s_and_saveexec_b64 s[66:67], vcc
	s_cbranch_execz .LBB385_808
; %bb.538:
	s_andn2_b64 vcc, exec, s[42:43]
	s_cbranch_vccnz .LBB385_544
; %bb.539:
	s_andn2_b64 vcc, exec, s[52:53]
	s_cbranch_vccnz .LBB385_545
; %bb.540:
	s_add_i32 s77, s76, 1
	s_cmp_eq_u32 s72, 2
	s_cbranch_scc1 .LBB385_546
; %bb.541:
	s_and_b32 s71, s77, 28
	s_mov_b32 s78, 0
	v_mov_b32_e32 v0, 0
	v_mov_b32_e32 v2, 0
	s_mov_b64 s[2:3], s[34:35]
	s_mov_b64 s[68:69], s[50:51]
	s_waitcnt vmcnt(0)
	v_mov_b32_e32 v4, v8
.LBB385_542:                            ; =>This Inner Loop Header: Depth=1
	s_load_dwordx8 s[12:19], s[2:3], 0x4
	s_load_dwordx4 s[36:39], s[2:3], 0x24
	s_load_dwordx8 s[4:11], s[68:69], 0x0
	s_add_u32 s2, s2, 48
	s_addc_u32 s3, s3, 0
	s_waitcnt lgkmcnt(0)
	v_mul_hi_u32 v1, s13, v4
	v_add_u32_e32 v1, v4, v1
	v_lshrrev_b32_e32 v1, s14, v1
	v_mul_lo_u32 v3, v1, s12
	v_mul_hi_u32 v5, s16, v1
	v_sub_u32_e32 v3, v4, v3
	v_add_u32_e32 v4, v1, v5
	v_lshrrev_b32_e32 v4, s17, v4
	v_mul_lo_u32 v6, v4, s15
	v_mul_hi_u32 v7, s19, v4
	v_sub_u32_e32 v1, v1, v6
	v_add_u32_e32 v6, v4, v7
	v_mul_lo_u32 v5, v3, s5
	v_mul_lo_u32 v3, v3, s4
	;; [unrolled: 1-line block ×4, first 2 shown]
	v_lshrrev_b32_e32 v6, s36, v6
	v_add3_u32 v0, v3, v0, v1
	v_mul_hi_u32 v3, s38, v6
	v_add3_u32 v1, v5, v2, v7
	v_mul_lo_u32 v2, v6, s18
	v_add_u32_e32 v3, v6, v3
	v_sub_u32_e32 v2, v4, v2
	v_lshrrev_b32_e32 v4, s39, v3
	s_add_i32 s78, s78, 4
	v_mul_lo_u32 v3, v4, s37
	s_add_u32 s68, s68, 32
	v_sub_u32_e32 v3, v6, v3
	s_addc_u32 s69, s69, 0
	v_mul_lo_u32 v5, v2, s8
	v_mul_lo_u32 v2, v2, s9
	;; [unrolled: 1-line block ×4, first 2 shown]
	s_cmp_eq_u32 s71, s78
	v_add3_u32 v2, v2, v1, v3
	v_add3_u32 v0, v5, v0, v6
	s_cbranch_scc0 .LBB385_542
; %bb.543:
	v_mov_b32_e32 v1, v2
	s_branch .LBB385_547
.LBB385_544:
	s_mov_b64 s[2:3], -1
                                        ; implicit-def: $vgpr2
                                        ; implicit-def: $vgpr0
	s_branch .LBB385_551
.LBB385_545:
	v_mov_b32_e32 v2, 0
	v_mov_b32_e32 v0, 0
	s_branch .LBB385_550
.LBB385_546:
	v_mov_b32_e32 v0, 0
	s_mov_b32 s71, 0
	v_mov_b32_e32 v1, v0
                                        ; implicit-def: $vgpr2
	s_waitcnt vmcnt(0)
	v_mov_b32_e32 v4, v8
.LBB385_547:
	s_and_b32 s6, s77, 3
	s_cmp_eq_u32 s6, 0
	s_cbranch_scc1 .LBB385_550
; %bb.548:
	s_lshl_b32 s2, s71, 3
	s_add_u32 s2, s34, s2
	s_addc_u32 s3, s35, 0
	s_add_u32 s2, s2, 0xc4
	s_addc_u32 s3, s3, 0
	s_mul_i32 s4, s71, 12
	s_add_u32 s4, s34, s4
	s_addc_u32 s5, s35, 0
.LBB385_549:                            ; =>This Inner Loop Header: Depth=1
	s_load_dwordx2 s[8:9], s[4:5], 0x4
	s_load_dword s7, s[4:5], 0xc
	s_load_dwordx2 s[10:11], s[2:3], 0x0
	v_mov_b32_e32 v2, v1
	s_add_u32 s4, s4, 12
	s_waitcnt lgkmcnt(0)
	v_mul_hi_u32 v1, s9, v4
	v_add_u32_e32 v1, v4, v1
	v_lshrrev_b32_e32 v1, s7, v1
	s_addc_u32 s5, s5, 0
	v_mul_lo_u32 v3, v1, s8
	s_add_u32 s2, s2, 8
	v_sub_u32_e32 v5, v4, v3
	s_addc_u32 s3, s3, 0
	s_add_i32 s6, s6, -1
	v_mov_b32_e32 v4, v1
	v_mad_u64_u32 v[2:3], s[8:9], v5, s11, v[2:3]
	v_mad_u64_u32 v[0:1], s[8:9], v5, s10, v[0:1]
	s_cmp_lg_u32 s6, 0
	v_mov_b32_e32 v1, v2
	s_cbranch_scc1 .LBB385_549
.LBB385_550:
	s_mov_b64 s[2:3], 0
.LBB385_551:
	s_andn2_b64 vcc, exec, s[2:3]
	s_cbranch_vccnz .LBB385_554
; %bb.552:
	v_mul_hi_u32 v0, s25, v8
	v_add_u32_e32 v0, v8, v0
	v_lshrrev_b32_e32 v1, s26, v0
	v_mul_lo_u32 v0, v1, s24
	v_sub_u32_e32 v0, v8, v0
	v_mul_lo_u32 v2, v0, s29
	s_andn2_b64 vcc, exec, s[48:49]
	v_mul_lo_u32 v0, v0, s28
	s_cbranch_vccnz .LBB385_554
; %bb.553:
	v_mul_hi_u32 v3, s46, v1
	v_add_u32_e32 v3, v1, v3
	v_lshrrev_b32_e32 v3, s47, v3
	v_mul_lo_u32 v3, v3, s27
	v_sub_u32_e32 v3, v1, v3
	v_mad_u64_u32 v[0:1], s[2:3], v3, s30, v[0:1]
	v_mad_u64_u32 v[2:3], s[2:3], v3, s31, v[2:3]
.LBB385_554:
	v_mov_b32_e32 v3, 0
	s_and_b32 s8, 0xffff, s75
	s_cmp_lt_i32 s8, 11
	v_lshl_add_u64 v[2:3], s[22:23], 0, v[2:3]
	s_cbranch_scc1 .LBB385_561
; %bb.555:
	s_cmp_gt_i32 s8, 25
	s_cbranch_scc0 .LBB385_562
; %bb.556:
	s_cmp_gt_i32 s8, 28
	s_cbranch_scc0 .LBB385_563
	;; [unrolled: 3-line block ×4, first 2 shown]
; %bb.559:
	s_cmp_eq_u32 s8, 46
	s_mov_b64 s[6:7], 0
	s_cbranch_scc0 .LBB385_570
; %bb.560:
	global_load_dword v1, v[2:3], off
	s_mov_b64 s[2:3], -1
	s_mov_b64 s[4:5], 0
	s_waitcnt vmcnt(0)
	v_lshlrev_b32_e32 v1, 16, v1
	v_cvt_i32_f32_e32 v4, v1
	s_branch .LBB385_571
.LBB385_561:
	s_mov_b64 s[6:7], -1
	s_mov_b64 s[2:3], 0
                                        ; implicit-def: $vgpr4
	s_mov_b64 s[4:5], s[60:61]
	s_branch .LBB385_632
.LBB385_562:
	s_mov_b64 s[6:7], -1
	s_mov_b64 s[2:3], 0
	s_mov_b64 s[4:5], s[60:61]
                                        ; implicit-def: $vgpr4
	s_branch .LBB385_598
.LBB385_563:
	s_mov_b64 s[6:7], -1
	s_mov_b64 s[2:3], 0
	s_mov_b64 s[4:5], s[60:61]
                                        ; implicit-def: $vgpr4
	s_branch .LBB385_581
.LBB385_564:
	s_mov_b64 s[6:7], -1
	s_mov_b64 s[2:3], 0
	s_mov_b64 s[4:5], s[60:61]
                                        ; implicit-def: $vgpr4
	s_branch .LBB385_576
.LBB385_565:
	s_andn2_saveexec_b64 s[10:11], s[10:11]
	s_cbranch_execz .LBB385_337
.LBB385_566:
	s_mov_b32 s14, 0x46000000
	v_add_f32_e64 v3, |v2|, s14
	v_and_b32_e32 v3, 0xff, v3
	v_cmp_ne_u32_e32 vcc, 0, v3
	s_andn2_b64 s[8:9], s[8:9], exec
	s_and_b64 s[14:15], vcc, exec
	s_or_b64 s[8:9], s[8:9], s[14:15]
	s_or_b64 exec, exec, s[10:11]
	v_mov_b32_e32 v5, 0
	s_and_saveexec_b64 s[10:11], s[8:9]
	s_cbranch_execnz .LBB385_338
	s_branch .LBB385_339
.LBB385_567:
	s_mov_b64 s[6:7], -1
	s_mov_b64 s[2:3], 0
	s_mov_b64 s[4:5], s[60:61]
                                        ; implicit-def: $vgpr4
	s_branch .LBB385_571
.LBB385_568:
	s_andn2_saveexec_b64 s[10:11], s[10:11]
	s_cbranch_execz .LBB385_350
.LBB385_569:
	s_mov_b32 s14, 0x42800000
	v_add_f32_e64 v3, |v2|, s14
	v_and_b32_e32 v3, 0xff, v3
	v_cmp_ne_u32_e32 vcc, 0, v3
	s_andn2_b64 s[8:9], s[8:9], exec
	s_and_b64 s[14:15], vcc, exec
	s_or_b64 s[8:9], s[8:9], s[14:15]
	s_or_b64 exec, exec, s[10:11]
	v_mov_b32_e32 v5, 0
	s_and_saveexec_b64 s[10:11], s[8:9]
	s_cbranch_execnz .LBB385_351
	s_branch .LBB385_352
.LBB385_570:
	s_mov_b64 s[4:5], -1
                                        ; implicit-def: $vgpr4
	s_mov_b64 s[2:3], 0
.LBB385_571:
	s_and_b64 vcc, exec, s[6:7]
	s_cbranch_vccz .LBB385_575
; %bb.572:
	s_cmp_eq_u32 s8, 44
	s_cbranch_scc0 .LBB385_574
; %bb.573:
	global_load_ubyte v1, v[2:3], off
	s_mov_b64 s[2:3], -1
	s_mov_b64 s[4:5], 0
	s_waitcnt vmcnt(0)
	v_lshlrev_b32_e32 v4, 23, v1
	v_cvt_i32_f32_e32 v4, v4
	v_cmp_ne_u32_e32 vcc, 0, v1
	s_nop 1
	v_cndmask_b32_e32 v4, 0, v4, vcc
	s_branch .LBB385_575
.LBB385_574:
	s_mov_b64 s[4:5], -1
                                        ; implicit-def: $vgpr4
.LBB385_575:
	s_mov_b64 s[6:7], 0
.LBB385_576:
	s_and_b64 vcc, exec, s[6:7]
	s_cbranch_vccz .LBB385_580
; %bb.577:
	s_cmp_eq_u32 s8, 29
	s_cbranch_scc0 .LBB385_579
; %bb.578:
	global_load_dwordx2 v[4:5], v[2:3], off
	s_mov_b64 s[2:3], -1
	s_mov_b64 s[4:5], 0
	s_branch .LBB385_580
.LBB385_579:
	s_mov_b64 s[4:5], -1
                                        ; implicit-def: $vgpr4
.LBB385_580:
	s_mov_b64 s[6:7], 0
.LBB385_581:
	s_and_b64 vcc, exec, s[6:7]
	s_cbranch_vccz .LBB385_597
; %bb.582:
	s_cmp_lt_i32 s8, 27
	s_cbranch_scc1 .LBB385_585
; %bb.583:
	s_cmp_gt_i32 s8, 27
	s_cbranch_scc0 .LBB385_586
; %bb.584:
	global_load_dword v4, v[2:3], off
	s_mov_b64 s[2:3], 0
	s_branch .LBB385_587
.LBB385_585:
	s_mov_b64 s[2:3], -1
                                        ; implicit-def: $vgpr4
	s_branch .LBB385_590
.LBB385_586:
	s_mov_b64 s[2:3], -1
                                        ; implicit-def: $vgpr4
.LBB385_587:
	s_andn2_b64 vcc, exec, s[2:3]
	s_cbranch_vccnz .LBB385_589
; %bb.588:
	global_load_ushort v4, v[2:3], off
.LBB385_589:
	s_mov_b64 s[2:3], 0
.LBB385_590:
	s_andn2_b64 vcc, exec, s[2:3]
	s_cbranch_vccnz .LBB385_596
; %bb.591:
	global_load_ubyte v1, v[2:3], off
	s_movk_i32 s2, 0x7f
	s_mov_b64 s[6:7], 0
	s_waitcnt vmcnt(0)
	v_cmp_lt_i16_e32 vcc, s2, v1
	s_and_saveexec_b64 s[2:3], vcc
	s_xor_b64 s[2:3], exec, s[2:3]
	s_cbranch_execz .LBB385_608
; %bb.592:
	s_movk_i32 s6, 0x80
	v_cmp_ne_u16_e32 vcc, s6, v1
	s_and_b64 s[6:7], vcc, exec
	s_andn2_saveexec_b64 s[2:3], s[2:3]
	s_cbranch_execnz .LBB385_609
.LBB385_593:
	s_or_b64 exec, exec, s[2:3]
	v_mov_b32_e32 v4, 0
	s_and_saveexec_b64 s[2:3], s[6:7]
	s_cbranch_execz .LBB385_595
.LBB385_594:
	v_lshlrev_b32_e32 v4, 24, v1
	v_and_b32_e32 v1, 0xffff, v1
	v_and_b32_e32 v5, 7, v1
	v_ffbh_u32_e32 v7, v5
	v_min_u32_e32 v7, 32, v7
	v_subrev_u32_e32 v9, 28, v7
	v_bfe_u32 v6, v1, 3, 4
	v_lshlrev_b32_e32 v1, v9, v1
	v_sub_u32_e32 v7, 29, v7
	v_and_b32_e32 v1, 7, v1
	v_cmp_eq_u32_e32 vcc, 0, v6
	v_and_b32_e32 v4, 0x80000000, v4
	s_nop 0
	v_cndmask_b32_e32 v6, v6, v7, vcc
	v_cndmask_b32_e32 v1, v5, v1, vcc
	v_mov_b32_e32 v5, 0x3b800000
	v_lshlrev_b32_e32 v1, 20, v1
	v_lshl_add_u32 v5, v6, 23, v5
	v_or3_b32 v1, v4, v5, v1
	v_cvt_i32_f32_e32 v4, v1
.LBB385_595:
	s_or_b64 exec, exec, s[2:3]
.LBB385_596:
	s_mov_b64 s[2:3], -1
.LBB385_597:
	s_mov_b64 s[6:7], 0
.LBB385_598:
	s_and_b64 vcc, exec, s[6:7]
	s_cbranch_vccz .LBB385_631
; %bb.599:
	s_cmp_gt_i32 s8, 22
	s_cbranch_scc0 .LBB385_607
; %bb.600:
	s_cmp_lt_i32 s8, 24
	s_cbranch_scc1 .LBB385_610
; %bb.601:
	s_cmp_gt_i32 s8, 24
	s_cbranch_scc0 .LBB385_611
; %bb.602:
	global_load_ubyte v1, v[2:3], off
	s_movk_i32 s2, 0x7f
	s_mov_b64 s[6:7], 0
	s_waitcnt vmcnt(0)
	v_cmp_lt_i16_e32 vcc, s2, v1
	s_and_saveexec_b64 s[2:3], vcc
	s_xor_b64 s[2:3], exec, s[2:3]
	s_cbranch_execz .LBB385_623
; %bb.603:
	s_movk_i32 s6, 0x80
	v_cmp_ne_u16_e32 vcc, s6, v1
	s_and_b64 s[6:7], vcc, exec
	s_andn2_saveexec_b64 s[2:3], s[2:3]
	s_cbranch_execnz .LBB385_624
.LBB385_604:
	s_or_b64 exec, exec, s[2:3]
	v_mov_b32_e32 v4, 0
	s_and_saveexec_b64 s[2:3], s[6:7]
	s_cbranch_execz .LBB385_606
.LBB385_605:
	v_lshlrev_b32_e32 v4, 24, v1
	v_and_b32_e32 v1, 0xffff, v1
	v_and_b32_e32 v5, 3, v1
	v_ffbh_u32_e32 v7, v5
	v_min_u32_e32 v7, 32, v7
	v_subrev_u32_e32 v9, 29, v7
	v_bfe_u32 v6, v1, 2, 5
	v_lshlrev_b32_e32 v1, v9, v1
	v_sub_u32_e32 v7, 30, v7
	v_and_b32_e32 v1, 3, v1
	v_cmp_eq_u32_e32 vcc, 0, v6
	v_and_b32_e32 v4, 0x80000000, v4
	s_nop 0
	v_cndmask_b32_e32 v6, v6, v7, vcc
	v_cndmask_b32_e32 v1, v5, v1, vcc
	v_mov_b32_e32 v5, 0x37800000
	v_lshlrev_b32_e32 v1, 21, v1
	v_lshl_add_u32 v5, v6, 23, v5
	v_or3_b32 v1, v4, v5, v1
	v_cvt_i32_f32_e32 v4, v1
.LBB385_606:
	s_or_b64 exec, exec, s[2:3]
	s_mov_b64 s[2:3], 0
	s_branch .LBB385_612
.LBB385_607:
	s_mov_b64 s[6:7], -1
                                        ; implicit-def: $vgpr4
	s_branch .LBB385_618
.LBB385_608:
	s_andn2_saveexec_b64 s[2:3], s[2:3]
	s_cbranch_execz .LBB385_593
.LBB385_609:
	v_cmp_ne_u16_e32 vcc, 0, v1
	s_andn2_b64 s[6:7], s[6:7], exec
	s_and_b64 s[10:11], vcc, exec
	s_or_b64 s[6:7], s[6:7], s[10:11]
	s_or_b64 exec, exec, s[2:3]
	v_mov_b32_e32 v4, 0
	s_and_saveexec_b64 s[2:3], s[6:7]
	s_cbranch_execnz .LBB385_594
	s_branch .LBB385_595
.LBB385_610:
	s_mov_b64 s[2:3], -1
                                        ; implicit-def: $vgpr4
	s_branch .LBB385_615
.LBB385_611:
	s_mov_b64 s[2:3], -1
                                        ; implicit-def: $vgpr4
.LBB385_612:
	s_and_b64 vcc, exec, s[2:3]
	s_cbranch_vccz .LBB385_614
; %bb.613:
	global_load_ubyte v1, v[2:3], off
	s_mov_b32 s2, 0x7f800000
	s_waitcnt vmcnt(0)
	v_lshlrev_b32_e32 v1, 24, v1
	v_and_b32_e32 v4, 0x7f000000, v1
	v_ffbh_u32_e32 v5, v4
	v_min_u32_e32 v5, 32, v5
	v_sub_u32_e64 v5, v5, 4 clamp
	v_lshlrev_b32_e32 v7, v5, v4
	v_lshlrev_b32_e32 v5, 23, v5
	v_lshrrev_b32_e32 v7, 4, v7
	v_add_u32_e32 v6, 0x1000000, v4
	v_sub_u32_e32 v5, v7, v5
	v_ashrrev_i32_e32 v6, 8, v6
	v_add_u32_e32 v5, 0x3c000000, v5
	v_and_or_b32 v5, v6, s2, v5
	v_cmp_ne_u32_e32 vcc, 0, v4
	s_brev_b32 s2, 1
	s_nop 0
	v_cndmask_b32_e32 v4, 0, v5, vcc
	v_and_or_b32 v1, v1, s2, v4
	v_cvt_i32_f32_e32 v4, v1
.LBB385_614:
	s_mov_b64 s[2:3], 0
.LBB385_615:
	s_andn2_b64 vcc, exec, s[2:3]
	s_cbranch_vccnz .LBB385_617
; %bb.616:
	global_load_ubyte v1, v[2:3], off
	s_movk_i32 s2, 0x7f00
	s_brev_b32 s3, 16
	s_waitcnt vmcnt(0)
	v_lshlrev_b16_e32 v4, 8, v1
	v_lshlrev_b32_e32 v1, 25, v1
	v_lshrrev_b32_e32 v5, 4, v1
	v_and_or_b32 v6, v4, s2, 0.5
	v_or_b32_e32 v5, 0x70000000, v5
	v_add_f32_e32 v6, -0.5, v6
	v_mul_f32_e32 v5, 0x7800000, v5
	v_cmp_gt_u32_e32 vcc, s3, v1
	v_bfe_i32 v4, v4, 0, 16
	s_brev_b32 s2, 1
	v_cndmask_b32_e32 v1, v5, v6, vcc
	v_and_or_b32 v1, v4, s2, v1
	v_cvt_i32_f32_e32 v4, v1
.LBB385_617:
	s_mov_b64 s[6:7], 0
	s_mov_b64 s[2:3], -1
.LBB385_618:
	s_andn2_b64 vcc, exec, s[6:7]
	s_cbranch_vccnz .LBB385_631
; %bb.619:
	s_cmp_gt_i32 s8, 14
	s_cbranch_scc0 .LBB385_622
; %bb.620:
	s_cmp_eq_u32 s8, 15
	s_cbranch_scc0 .LBB385_625
; %bb.621:
	global_load_ushort v1, v[2:3], off
	s_mov_b64 s[2:3], -1
	s_mov_b64 s[4:5], 0
	s_waitcnt vmcnt(0)
	v_lshlrev_b32_e32 v1, 16, v1
	v_cvt_i32_f32_e32 v4, v1
	s_branch .LBB385_626
.LBB385_622:
	s_mov_b64 s[6:7], -1
                                        ; implicit-def: $vgpr4
	s_branch .LBB385_627
.LBB385_623:
	s_andn2_saveexec_b64 s[2:3], s[2:3]
	s_cbranch_execz .LBB385_604
.LBB385_624:
	v_cmp_ne_u16_e32 vcc, 0, v1
	s_andn2_b64 s[6:7], s[6:7], exec
	s_and_b64 s[10:11], vcc, exec
	s_or_b64 s[6:7], s[6:7], s[10:11]
	s_or_b64 exec, exec, s[2:3]
	v_mov_b32_e32 v4, 0
	s_and_saveexec_b64 s[2:3], s[6:7]
	s_cbranch_execnz .LBB385_605
	s_branch .LBB385_606
.LBB385_625:
	s_mov_b64 s[4:5], -1
                                        ; implicit-def: $vgpr4
.LBB385_626:
	s_mov_b64 s[6:7], 0
.LBB385_627:
	s_and_b64 vcc, exec, s[6:7]
	s_cbranch_vccz .LBB385_631
; %bb.628:
	s_cmp_eq_u32 s8, 11
	s_cbranch_scc0 .LBB385_630
; %bb.629:
	global_load_ubyte v1, v[2:3], off
	s_mov_b64 s[2:3], -1
	s_mov_b64 s[4:5], 0
	s_waitcnt vmcnt(0)
	v_cmp_ne_u16_e32 vcc, 0, v1
	s_nop 1
	v_cndmask_b32_e64 v4, 0, 1, vcc
	s_branch .LBB385_631
.LBB385_630:
	s_mov_b64 s[4:5], -1
                                        ; implicit-def: $vgpr4
.LBB385_631:
	s_mov_b64 s[6:7], 0
.LBB385_632:
	s_and_b64 vcc, exec, s[6:7]
	s_cbranch_vccz .LBB385_681
; %bb.633:
	s_cmp_lt_i32 s8, 5
	s_cbranch_scc1 .LBB385_638
; %bb.634:
	s_cmp_lt_i32 s8, 8
	s_cbranch_scc1 .LBB385_639
; %bb.635:
	s_cmp_lt_i32 s8, 9
	s_cbranch_scc1 .LBB385_640
; %bb.636:
	s_cmp_gt_i32 s8, 9
	s_cbranch_scc0 .LBB385_641
; %bb.637:
	global_load_dwordx2 v[4:5], v[2:3], off
	s_mov_b64 s[2:3], 0
	s_waitcnt vmcnt(0)
	v_cvt_i32_f64_e32 v4, v[4:5]
	s_branch .LBB385_642
.LBB385_638:
	s_mov_b64 s[2:3], -1
                                        ; implicit-def: $vgpr4
	s_branch .LBB385_660
.LBB385_639:
	s_mov_b64 s[2:3], -1
                                        ; implicit-def: $vgpr4
	s_branch .LBB385_648
.LBB385_640:
	s_mov_b64 s[2:3], -1
                                        ; implicit-def: $vgpr4
	s_branch .LBB385_645
.LBB385_641:
	s_mov_b64 s[2:3], -1
                                        ; implicit-def: $vgpr4
.LBB385_642:
	s_andn2_b64 vcc, exec, s[2:3]
	s_cbranch_vccnz .LBB385_644
; %bb.643:
	global_load_dword v1, v[2:3], off
	s_waitcnt vmcnt(0)
	v_cvt_i32_f32_e32 v4, v1
.LBB385_644:
	s_mov_b64 s[2:3], 0
.LBB385_645:
	s_andn2_b64 vcc, exec, s[2:3]
	s_cbranch_vccnz .LBB385_647
; %bb.646:
	global_load_dword v1, v[2:3], off
	s_waitcnt vmcnt(0)
	v_cvt_i16_f16_e32 v4, v1
.LBB385_647:
	s_mov_b64 s[2:3], 0
.LBB385_648:
	s_andn2_b64 vcc, exec, s[2:3]
	s_cbranch_vccnz .LBB385_659
; %bb.649:
	s_cmp_lt_i32 s8, 6
	s_cbranch_scc1 .LBB385_652
; %bb.650:
	s_cmp_gt_i32 s8, 6
	s_cbranch_scc0 .LBB385_653
; %bb.651:
	global_load_dwordx2 v[4:5], v[2:3], off
	s_mov_b64 s[2:3], 0
	s_waitcnt vmcnt(0)
	v_cvt_i32_f64_e32 v4, v[4:5]
	s_branch .LBB385_654
.LBB385_652:
	s_mov_b64 s[2:3], -1
                                        ; implicit-def: $vgpr4
	s_branch .LBB385_657
.LBB385_653:
	s_mov_b64 s[2:3], -1
                                        ; implicit-def: $vgpr4
.LBB385_654:
	s_andn2_b64 vcc, exec, s[2:3]
	s_cbranch_vccnz .LBB385_656
; %bb.655:
	global_load_dword v1, v[2:3], off
	s_waitcnt vmcnt(0)
	v_cvt_i32_f32_e32 v4, v1
.LBB385_656:
	s_mov_b64 s[2:3], 0
.LBB385_657:
	s_andn2_b64 vcc, exec, s[2:3]
	s_cbranch_vccnz .LBB385_659
; %bb.658:
	global_load_ushort v1, v[2:3], off
	s_waitcnt vmcnt(0)
	v_cvt_i16_f16_e32 v4, v1
.LBB385_659:
	s_mov_b64 s[2:3], 0
.LBB385_660:
	s_andn2_b64 vcc, exec, s[2:3]
	s_cbranch_vccnz .LBB385_680
; %bb.661:
	s_cmp_lt_i32 s8, 2
	s_cbranch_scc1 .LBB385_665
; %bb.662:
	s_cmp_lt_i32 s8, 3
	s_cbranch_scc1 .LBB385_666
; %bb.663:
	s_cmp_gt_i32 s8, 3
	s_cbranch_scc0 .LBB385_667
; %bb.664:
	global_load_dwordx2 v[4:5], v[2:3], off
	s_mov_b64 s[2:3], 0
	s_branch .LBB385_668
.LBB385_665:
	s_mov_b64 s[2:3], -1
                                        ; implicit-def: $vgpr4
	s_branch .LBB385_674
.LBB385_666:
	s_mov_b64 s[2:3], -1
                                        ; implicit-def: $vgpr4
	s_branch .LBB385_671
.LBB385_667:
	s_mov_b64 s[2:3], -1
                                        ; implicit-def: $vgpr4
.LBB385_668:
	s_andn2_b64 vcc, exec, s[2:3]
	s_cbranch_vccnz .LBB385_670
; %bb.669:
	global_load_dword v4, v[2:3], off
.LBB385_670:
	s_mov_b64 s[2:3], 0
.LBB385_671:
	s_andn2_b64 vcc, exec, s[2:3]
	s_cbranch_vccnz .LBB385_673
; %bb.672:
	global_load_ushort v4, v[2:3], off
.LBB385_673:
	s_mov_b64 s[2:3], 0
.LBB385_674:
	s_andn2_b64 vcc, exec, s[2:3]
	s_cbranch_vccnz .LBB385_680
; %bb.675:
	s_cmp_gt_i32 s8, 0
	s_cbranch_scc0 .LBB385_677
; %bb.676:
	global_load_sbyte v4, v[2:3], off
	s_mov_b64 s[2:3], 0
	s_branch .LBB385_678
.LBB385_677:
	s_mov_b64 s[2:3], -1
                                        ; implicit-def: $vgpr4
.LBB385_678:
	s_andn2_b64 vcc, exec, s[2:3]
	s_cbranch_vccnz .LBB385_680
; %bb.679:
	global_load_ubyte v4, v[2:3], off
.LBB385_680:
	s_mov_b64 s[2:3], -1
.LBB385_681:
	s_andn2_b64 vcc, exec, s[2:3]
	s_cbranch_vccnz .LBB385_689
; %bb.682:
	v_mov_b32_e32 v1, 0
	s_and_b32 s12, s74, 0xff
	s_waitcnt vmcnt(0)
	v_max_i16_e32 v4, s73, v4
	s_cmp_lt_i32 s12, 11
	v_lshl_add_u64 v[0:1], s[20:21], 0, v[0:1]
	s_cbranch_scc1 .LBB385_690
; %bb.683:
	s_and_b32 s13, 0xffff, s12
	s_cmp_gt_i32 s13, 25
	s_cbranch_scc0 .LBB385_691
; %bb.684:
	s_cmp_gt_i32 s13, 28
	s_cbranch_scc0 .LBB385_692
; %bb.685:
	;; [unrolled: 3-line block ×4, first 2 shown]
	s_mov_b64 s[8:9], 0
	s_mov_b64 s[2:3], -1
	s_cmp_eq_u32 s13, 46
	s_mov_b64 s[6:7], 0
	s_cbranch_scc0 .LBB385_695
; %bb.688:
	v_cvt_f32_i32_sdwa v2, sext(v4) dst_sel:DWORD dst_unused:UNUSED_PAD src0_sel:WORD_0
	s_movk_i32 s2, 0x7fff
	s_mov_b64 s[6:7], -1
	v_bfe_u32 v3, v2, 16, 1
	v_add3_u32 v2, v2, v3, s2
	v_lshrrev_b32_e32 v2, 16, v2
	global_store_dword v[0:1], v2, off
	s_mov_b64 s[2:3], 0
	s_branch .LBB385_695
.LBB385_689:
	s_mov_b64 s[6:7], 0
	s_mov_b64 s[2:3], s[62:63]
	s_branch .LBB385_806
.LBB385_690:
	s_mov_b64 s[8:9], -1
	s_mov_b64 s[6:7], 0
	s_mov_b64 s[2:3], s[62:63]
	s_branch .LBB385_764
.LBB385_691:
	s_mov_b64 s[8:9], -1
	s_mov_b64 s[6:7], 0
	s_mov_b64 s[2:3], s[62:63]
	s_branch .LBB385_722
.LBB385_692:
	s_mov_b64 s[8:9], -1
	s_mov_b64 s[6:7], 0
	s_mov_b64 s[2:3], s[62:63]
	s_branch .LBB385_705
.LBB385_693:
	s_mov_b64 s[8:9], -1
	s_mov_b64 s[6:7], 0
	s_mov_b64 s[2:3], s[62:63]
	s_branch .LBB385_701
.LBB385_694:
	s_mov_b64 s[8:9], -1
	s_mov_b64 s[6:7], 0
	s_mov_b64 s[2:3], s[62:63]
.LBB385_695:
	s_and_b64 vcc, exec, s[8:9]
	s_cbranch_vccz .LBB385_700
; %bb.696:
	s_cmp_eq_u32 s13, 44
	s_mov_b64 s[2:3], -1
	s_cbranch_scc0 .LBB385_700
; %bb.697:
	v_cvt_f32_i32_sdwa v2, sext(v4) dst_sel:DWORD dst_unused:UNUSED_PAD src0_sel:WORD_0
	s_movk_i32 s2, 0xff
	v_mov_b32_e32 v5, 0xff
	v_bfe_u32 v3, v2, 23, 8
	v_cmp_ne_u32_e32 vcc, s2, v3
	s_and_saveexec_b64 s[6:7], vcc
; %bb.698:
	s_mov_b32 s2, 0x3fffff
	v_lshrrev_b32_e32 v5, 23, v2
	v_and_b32_e32 v6, 0x400000, v2
	v_and_or_b32 v2, v2, s2, v3
	v_cmp_ne_u32_e32 vcc, 0, v6
	v_cmp_ne_u32_e64 s[2:3], 0, v2
	s_and_b64 s[2:3], vcc, s[2:3]
	s_nop 0
	v_cndmask_b32_e64 v2, 0, 1, s[2:3]
	v_add_u32_e32 v5, v5, v2
; %bb.699:
	s_or_b64 exec, exec, s[6:7]
	s_mov_b64 s[6:7], -1
	s_mov_b64 s[2:3], 0
	global_store_byte v[0:1], v5, off
.LBB385_700:
	s_mov_b64 s[8:9], 0
.LBB385_701:
	s_and_b64 vcc, exec, s[8:9]
	s_cbranch_vccz .LBB385_704
; %bb.702:
	s_cmp_eq_u32 s13, 29
	s_mov_b64 s[2:3], -1
	s_cbranch_scc0 .LBB385_704
; %bb.703:
	v_bfe_i32 v2, v4, 0, 16
	v_ashrrev_i32_e32 v3, 31, v2
	global_store_dwordx2 v[0:1], v[2:3], off
	s_mov_b64 s[6:7], -1
	s_mov_b64 s[2:3], 0
.LBB385_704:
	s_mov_b64 s[8:9], 0
.LBB385_705:
	s_and_b64 vcc, exec, s[8:9]
	s_cbranch_vccz .LBB385_721
; %bb.706:
	s_cmp_lt_i32 s13, 27
	s_mov_b64 s[6:7], -1
	s_cbranch_scc1 .LBB385_712
; %bb.707:
	s_cmp_gt_i32 s13, 27
	s_cbranch_scc0 .LBB385_709
; %bb.708:
	v_bfe_i32 v2, v4, 0, 16
	s_mov_b64 s[6:7], 0
	global_store_dword v[0:1], v2, off
.LBB385_709:
	s_andn2_b64 vcc, exec, s[6:7]
	s_cbranch_vccnz .LBB385_711
; %bb.710:
	global_store_short v[0:1], v4, off
.LBB385_711:
	s_mov_b64 s[6:7], 0
.LBB385_712:
	s_andn2_b64 vcc, exec, s[6:7]
	s_cbranch_vccnz .LBB385_720
; %bb.713:
	v_cvt_f32_i32_sdwa v2, sext(v4) dst_sel:DWORD dst_unused:UNUSED_PAD src0_sel:WORD_0
	s_mov_b32 s6, 0x43800000
	v_mov_b32_e32 v5, 0x80
	v_and_b32_e32 v3, 0x7fffffff, v2
	v_cmp_gt_u32_e32 vcc, s6, v3
	s_and_saveexec_b64 s[6:7], vcc
	s_cbranch_execz .LBB385_719
; %bb.714:
	s_mov_b32 s8, 0x3bffffff
	v_cmp_lt_u32_e32 vcc, s8, v3
	s_mov_b64 s[8:9], 0
                                        ; implicit-def: $vgpr3
	s_and_saveexec_b64 s[10:11], vcc
	s_xor_b64 s[10:11], exec, s[10:11]
	s_cbranch_execz .LBB385_837
; %bb.715:
	v_bfe_u32 v3, v2, 20, 1
	s_mov_b32 s14, 0x487ffff
	v_add3_u32 v3, v2, v3, s14
	s_mov_b64 s[8:9], exec
	v_lshrrev_b32_e32 v3, 20, v3
	s_andn2_saveexec_b64 s[10:11], s[10:11]
	s_cbranch_execnz .LBB385_838
.LBB385_716:
	s_or_b64 exec, exec, s[10:11]
	v_mov_b32_e32 v5, 0
	s_and_saveexec_b64 s[10:11], s[8:9]
.LBB385_717:
	v_lshrrev_b32_e32 v2, 24, v2
	s_movk_i32 s8, 0x80
	v_and_or_b32 v5, v2, s8, v3
.LBB385_718:
	s_or_b64 exec, exec, s[10:11]
.LBB385_719:
	s_or_b64 exec, exec, s[6:7]
	global_store_byte v[0:1], v5, off
.LBB385_720:
	s_mov_b64 s[6:7], -1
.LBB385_721:
	s_mov_b64 s[8:9], 0
.LBB385_722:
	s_and_b64 vcc, exec, s[8:9]
	s_cbranch_vccz .LBB385_763
; %bb.723:
	s_cmp_gt_i32 s13, 22
	s_mov_b64 s[8:9], -1
	s_cbranch_scc0 .LBB385_755
; %bb.724:
	s_cmp_lt_i32 s13, 24
	s_mov_b64 s[6:7], -1
	s_cbranch_scc1 .LBB385_744
; %bb.725:
	s_cmp_gt_i32 s13, 24
	s_cbranch_scc0 .LBB385_733
; %bb.726:
	v_cvt_f32_i32_sdwa v2, sext(v4) dst_sel:DWORD dst_unused:UNUSED_PAD src0_sel:WORD_0
	s_mov_b32 s6, 0x47800000
	v_mov_b32_e32 v5, 0x80
	v_and_b32_e32 v3, 0x7fffffff, v2
	v_cmp_gt_u32_e32 vcc, s6, v3
	s_and_saveexec_b64 s[6:7], vcc
	s_cbranch_execz .LBB385_732
; %bb.727:
	s_mov_b32 s8, 0x37ffffff
	v_cmp_lt_u32_e32 vcc, s8, v3
	s_mov_b64 s[8:9], 0
                                        ; implicit-def: $vgpr3
	s_and_saveexec_b64 s[10:11], vcc
	s_xor_b64 s[10:11], exec, s[10:11]
	s_cbranch_execz .LBB385_840
; %bb.728:
	v_bfe_u32 v3, v2, 21, 1
	s_mov_b32 s14, 0x88fffff
	v_add3_u32 v3, v2, v3, s14
	s_mov_b64 s[8:9], exec
	v_lshrrev_b32_e32 v3, 21, v3
	s_andn2_saveexec_b64 s[10:11], s[10:11]
	s_cbranch_execnz .LBB385_841
.LBB385_729:
	s_or_b64 exec, exec, s[10:11]
	v_mov_b32_e32 v5, 0
	s_and_saveexec_b64 s[10:11], s[8:9]
.LBB385_730:
	v_lshrrev_b32_e32 v2, 24, v2
	s_movk_i32 s8, 0x80
	v_and_or_b32 v5, v2, s8, v3
.LBB385_731:
	s_or_b64 exec, exec, s[10:11]
.LBB385_732:
	s_or_b64 exec, exec, s[6:7]
	s_mov_b64 s[6:7], 0
	global_store_byte v[0:1], v5, off
.LBB385_733:
	s_and_b64 vcc, exec, s[6:7]
	s_cbranch_vccz .LBB385_743
; %bb.734:
	v_cvt_f32_i32_sdwa v2, sext(v4) dst_sel:DWORD dst_unused:UNUSED_PAD src0_sel:WORD_0
	s_mov_b32 s6, 0x43f00000
                                        ; implicit-def: $vgpr3
	v_and_b32_e32 v5, 0x7fffffff, v2
	v_cmp_gt_u32_e32 vcc, s6, v5
	s_and_saveexec_b64 s[6:7], vcc
	s_xor_b64 s[6:7], exec, s[6:7]
	s_cbranch_execz .LBB385_740
; %bb.735:
	s_mov_b32 s8, 0x3c7fffff
	v_cmp_lt_u32_e32 vcc, s8, v5
                                        ; implicit-def: $vgpr3
	s_and_saveexec_b64 s[8:9], vcc
	s_xor_b64 s[8:9], exec, s[8:9]
; %bb.736:
	v_bfe_u32 v3, v2, 20, 1
	s_mov_b32 s10, 0x407ffff
	v_add3_u32 v3, v2, v3, s10
	v_lshrrev_b32_e32 v5, 20, v3
	v_and_b32_e32 v3, 0xff00000, v3
	s_mov_b32 s10, 0x7f00000
	v_mov_b32_e32 v6, 0x7e
	v_cmp_ne_u32_e32 vcc, s10, v3
	s_nop 1
	v_cndmask_b32_e32 v3, v6, v5, vcc
; %bb.737:
	s_andn2_saveexec_b64 s[8:9], s[8:9]
; %bb.738:
	s_mov_b32 s10, 0x46800000
	v_add_f32_e64 v3, |v2|, s10
; %bb.739:
	s_or_b64 exec, exec, s[8:9]
                                        ; implicit-def: $vgpr5
.LBB385_740:
	s_andn2_saveexec_b64 s[6:7], s[6:7]
; %bb.741:
	s_mov_b32 s8, 0x7f800000
	v_mov_b32_e32 v3, 0x7e
	v_mov_b32_e32 v6, 0x7f
	v_cmp_lt_u32_e32 vcc, s8, v5
	s_nop 1
	v_cndmask_b32_e32 v3, v3, v6, vcc
; %bb.742:
	s_or_b64 exec, exec, s[6:7]
	v_lshrrev_b32_e32 v2, 24, v2
	s_movk_i32 s6, 0x80
	v_and_or_b32 v2, v2, s6, v3
	global_store_byte v[0:1], v2, off
.LBB385_743:
	s_mov_b64 s[6:7], 0
.LBB385_744:
	s_andn2_b64 vcc, exec, s[6:7]
	s_cbranch_vccnz .LBB385_754
; %bb.745:
	v_cvt_f32_i32_sdwa v2, sext(v4) dst_sel:DWORD dst_unused:UNUSED_PAD src0_sel:WORD_0
	s_mov_b32 s6, 0x47800000
                                        ; implicit-def: $vgpr3
	v_and_b32_e32 v5, 0x7fffffff, v2
	v_cmp_gt_u32_e32 vcc, s6, v5
	s_and_saveexec_b64 s[6:7], vcc
	s_xor_b64 s[6:7], exec, s[6:7]
	s_cbranch_execz .LBB385_751
; %bb.746:
	s_mov_b32 s8, 0x387fffff
	v_cmp_lt_u32_e32 vcc, s8, v5
                                        ; implicit-def: $vgpr3
	s_and_saveexec_b64 s[8:9], vcc
	s_xor_b64 s[8:9], exec, s[8:9]
; %bb.747:
	v_bfe_u32 v3, v2, 21, 1
	s_mov_b32 s10, 0x80fffff
	v_add3_u32 v3, v2, v3, s10
	v_lshrrev_b32_e32 v3, 21, v3
; %bb.748:
	s_andn2_saveexec_b64 s[8:9], s[8:9]
; %bb.749:
	s_mov_b32 s10, 0x43000000
	v_add_f32_e64 v3, |v2|, s10
; %bb.750:
	s_or_b64 exec, exec, s[8:9]
                                        ; implicit-def: $vgpr5
.LBB385_751:
	s_andn2_saveexec_b64 s[6:7], s[6:7]
; %bb.752:
	s_mov_b32 s8, 0x7f800000
	v_mov_b32_e32 v3, 0x7c
	v_mov_b32_e32 v6, 0x7f
	v_cmp_lt_u32_e32 vcc, s8, v5
	s_nop 1
	v_cndmask_b32_e32 v3, v3, v6, vcc
; %bb.753:
	s_or_b64 exec, exec, s[6:7]
	v_lshrrev_b32_e32 v2, 24, v2
	s_movk_i32 s6, 0x80
	v_and_or_b32 v2, v2, s6, v3
	global_store_byte v[0:1], v2, off
.LBB385_754:
	s_mov_b64 s[8:9], 0
	s_mov_b64 s[6:7], -1
.LBB385_755:
	s_andn2_b64 vcc, exec, s[8:9]
	s_cbranch_vccnz .LBB385_763
; %bb.756:
	s_cmp_gt_i32 s13, 14
	s_mov_b64 s[8:9], -1
	s_cbranch_scc0 .LBB385_760
; %bb.757:
	s_cmp_eq_u32 s13, 15
	s_mov_b64 s[2:3], -1
	s_cbranch_scc0 .LBB385_759
; %bb.758:
	v_cvt_f32_i32_sdwa v2, sext(v4) dst_sel:DWORD dst_unused:UNUSED_PAD src0_sel:WORD_0
	s_movk_i32 s2, 0x7fff
	s_mov_b64 s[6:7], -1
	v_bfe_u32 v3, v2, 16, 1
	v_add3_u32 v2, v2, v3, s2
	global_store_short_d16_hi v[0:1], v2, off
	s_mov_b64 s[2:3], 0
.LBB385_759:
	s_mov_b64 s[8:9], 0
.LBB385_760:
	s_and_b64 vcc, exec, s[8:9]
	s_cbranch_vccz .LBB385_763
; %bb.761:
	s_cmp_eq_u32 s13, 11
	s_mov_b64 s[2:3], -1
	s_cbranch_scc0 .LBB385_763
; %bb.762:
	v_cmp_ne_u16_e32 vcc, 0, v4
	s_mov_b64 s[6:7], -1
	s_mov_b64 s[2:3], 0
	v_cndmask_b32_e64 v2, 0, 1, vcc
	global_store_byte v[0:1], v2, off
.LBB385_763:
	s_mov_b64 s[8:9], 0
.LBB385_764:
	s_and_b64 vcc, exec, s[8:9]
	s_cbranch_vccz .LBB385_803
; %bb.765:
	s_and_b32 s8, 0xffff, s12
	s_cmp_lt_i32 s8, 5
	s_mov_b64 s[6:7], -1
	s_cbranch_scc1 .LBB385_786
; %bb.766:
	s_cmp_lt_i32 s8, 8
	s_cbranch_scc1 .LBB385_776
; %bb.767:
	s_cmp_lt_i32 s8, 9
	s_cbranch_scc1 .LBB385_773
; %bb.768:
	s_cmp_gt_i32 s8, 9
	s_cbranch_scc0 .LBB385_770
; %bb.769:
	v_bfe_i32 v2, v4, 0, 16
	v_mov_b32_e32 v12, 0
	v_cvt_f64_i32_e32 v[10:11], v2
	v_mov_b32_e32 v13, v12
	s_mov_b64 s[6:7], 0
	global_store_dwordx4 v[0:1], v[10:13], off
.LBB385_770:
	s_andn2_b64 vcc, exec, s[6:7]
	s_cbranch_vccnz .LBB385_772
; %bb.771:
	v_cvt_f32_i32_sdwa v2, sext(v4) dst_sel:DWORD dst_unused:UNUSED_PAD src0_sel:WORD_0
	v_mov_b32_e32 v3, 0
	global_store_dwordx2 v[0:1], v[2:3], off
.LBB385_772:
	s_mov_b64 s[6:7], 0
.LBB385_773:
	s_andn2_b64 vcc, exec, s[6:7]
	s_cbranch_vccnz .LBB385_775
; %bb.774:
	v_cvt_f16_i16_e32 v2, v4
	global_store_dword v[0:1], v2, off
.LBB385_775:
	s_mov_b64 s[6:7], 0
.LBB385_776:
	s_andn2_b64 vcc, exec, s[6:7]
	s_cbranch_vccnz .LBB385_785
; %bb.777:
	s_cmp_lt_i32 s8, 6
	s_mov_b64 s[6:7], -1
	s_cbranch_scc1 .LBB385_783
; %bb.778:
	s_cmp_gt_i32 s8, 6
	s_cbranch_scc0 .LBB385_780
; %bb.779:
	v_bfe_i32 v2, v4, 0, 16
	v_cvt_f64_i32_e32 v[2:3], v2
	s_mov_b64 s[6:7], 0
	global_store_dwordx2 v[0:1], v[2:3], off
.LBB385_780:
	s_andn2_b64 vcc, exec, s[6:7]
	s_cbranch_vccnz .LBB385_782
; %bb.781:
	v_cvt_f32_i32_sdwa v2, sext(v4) dst_sel:DWORD dst_unused:UNUSED_PAD src0_sel:WORD_0
	global_store_dword v[0:1], v2, off
.LBB385_782:
	s_mov_b64 s[6:7], 0
.LBB385_783:
	s_andn2_b64 vcc, exec, s[6:7]
	s_cbranch_vccnz .LBB385_785
; %bb.784:
	v_cvt_f16_i16_e32 v2, v4
	global_store_short v[0:1], v2, off
.LBB385_785:
	s_mov_b64 s[6:7], 0
.LBB385_786:
	s_andn2_b64 vcc, exec, s[6:7]
	s_cbranch_vccnz .LBB385_802
; %bb.787:
	s_cmp_lt_i32 s8, 2
	s_mov_b64 s[6:7], -1
	s_cbranch_scc1 .LBB385_797
; %bb.788:
	s_cmp_lt_i32 s8, 3
	s_cbranch_scc1 .LBB385_794
; %bb.789:
	s_cmp_gt_i32 s8, 3
	v_bfe_i32 v2, v4, 0, 16
	s_cbranch_scc0 .LBB385_791
; %bb.790:
	v_ashrrev_i32_e32 v3, 31, v2
	s_mov_b64 s[6:7], 0
	global_store_dwordx2 v[0:1], v[2:3], off
.LBB385_791:
	s_andn2_b64 vcc, exec, s[6:7]
	s_cbranch_vccnz .LBB385_793
; %bb.792:
	global_store_dword v[0:1], v2, off
.LBB385_793:
	s_mov_b64 s[6:7], 0
.LBB385_794:
	s_andn2_b64 vcc, exec, s[6:7]
	s_cbranch_vccnz .LBB385_796
; %bb.795:
	global_store_short v[0:1], v4, off
.LBB385_796:
	s_mov_b64 s[6:7], 0
.LBB385_797:
	s_andn2_b64 vcc, exec, s[6:7]
	s_cbranch_vccnz .LBB385_802
; %bb.798:
	s_cmp_gt_i32 s8, 0
	s_mov_b64 s[6:7], -1
	s_cbranch_scc0 .LBB385_800
; %bb.799:
	s_mov_b64 s[6:7], 0
	global_store_byte v[0:1], v4, off
.LBB385_800:
	s_andn2_b64 vcc, exec, s[6:7]
	s_cbranch_vccnz .LBB385_802
; %bb.801:
	global_store_byte v[0:1], v4, off
.LBB385_802:
	s_mov_b64 s[6:7], -1
.LBB385_803:
	s_andn2_b64 vcc, exec, s[6:7]
	s_cbranch_vccnz .LBB385_805
; %bb.804:
	v_add_u32_e32 v8, 0x80, v8
	s_mov_b64 s[6:7], -1
	s_branch .LBB385_807
.LBB385_805:
	s_mov_b64 s[6:7], 0
.LBB385_806:
                                        ; implicit-def: $vgpr8
.LBB385_807:
	s_andn2_b64 s[8:9], s[62:63], exec
	s_and_b64 s[2:3], s[2:3], exec
	s_or_b64 s[68:69], s[8:9], s[2:3]
	s_andn2_b64 s[2:3], s[60:61], exec
	s_and_b64 s[4:5], s[4:5], exec
	s_or_b64 s[2:3], s[2:3], s[4:5]
	s_orn2_b64 s[6:7], s[6:7], exec
.LBB385_808:
	s_or_b64 exec, exec, s[66:67]
	s_mov_b64 s[4:5], 0
	s_mov_b64 s[10:11], 0
	;; [unrolled: 1-line block ×3, first 2 shown]
                                        ; implicit-def: $vgpr2_vgpr3
                                        ; implicit-def: $vgpr0
                                        ; implicit-def: $vgpr4
	s_and_saveexec_b64 s[66:67], s[6:7]
	s_cbranch_execz .LBB385_904
; %bb.809:
	v_cmp_gt_i32_e32 vcc, s70, v8
	s_mov_b64 s[6:7], 0
	s_mov_b64 s[12:13], s[2:3]
                                        ; implicit-def: $vgpr2_vgpr3
                                        ; implicit-def: $vgpr0
                                        ; implicit-def: $vgpr4
	s_and_saveexec_b64 s[70:71], vcc
	s_cbranch_execz .LBB385_903
; %bb.810:
	s_andn2_b64 vcc, exec, s[42:43]
	s_cbranch_vccnz .LBB385_816
; %bb.811:
	s_andn2_b64 vcc, exec, s[52:53]
	s_cbranch_vccnz .LBB385_817
; %bb.812:
	s_add_i32 s77, s76, 1
	s_cmp_eq_u32 s72, 2
	s_cbranch_scc1 .LBB385_818
; %bb.813:
	s_and_b32 s76, s77, 28
	s_mov_b32 s78, 0
	v_mov_b32_e32 v0, 0
	v_mov_b32_e32 v2, 0
	s_mov_b64 s[52:53], s[34:35]
	s_waitcnt vmcnt(0)
	v_mov_b32_e32 v4, v8
.LBB385_814:                            ; =>This Inner Loop Header: Depth=1
	s_load_dwordx8 s[12:19], s[52:53], 0x4
	s_load_dwordx4 s[36:39], s[52:53], 0x24
	s_load_dwordx8 s[4:11], s[50:51], 0x0
	s_add_u32 s52, s52, 48
	s_addc_u32 s53, s53, 0
	s_waitcnt lgkmcnt(0)
	v_mul_hi_u32 v1, s13, v4
	v_add_u32_e32 v1, v4, v1
	v_lshrrev_b32_e32 v1, s14, v1
	v_mul_lo_u32 v3, v1, s12
	v_mul_hi_u32 v5, s16, v1
	v_sub_u32_e32 v3, v4, v3
	v_add_u32_e32 v4, v1, v5
	v_lshrrev_b32_e32 v4, s17, v4
	v_mul_lo_u32 v6, v4, s15
	v_mul_hi_u32 v7, s19, v4
	v_sub_u32_e32 v1, v1, v6
	v_add_u32_e32 v6, v4, v7
	v_mul_lo_u32 v5, v3, s5
	v_mul_lo_u32 v3, v3, s4
	;; [unrolled: 1-line block ×4, first 2 shown]
	v_lshrrev_b32_e32 v6, s36, v6
	v_add3_u32 v0, v3, v0, v1
	v_mul_hi_u32 v3, s38, v6
	v_add3_u32 v1, v5, v2, v7
	v_mul_lo_u32 v2, v6, s18
	v_add_u32_e32 v3, v6, v3
	v_sub_u32_e32 v2, v4, v2
	v_lshrrev_b32_e32 v4, s39, v3
	s_add_i32 s78, s78, 4
	v_mul_lo_u32 v3, v4, s37
	s_add_u32 s50, s50, 32
	v_sub_u32_e32 v3, v6, v3
	s_addc_u32 s51, s51, 0
	v_mul_lo_u32 v5, v2, s8
	v_mul_lo_u32 v2, v2, s9
	;; [unrolled: 1-line block ×4, first 2 shown]
	s_cmp_eq_u32 s76, s78
	v_add3_u32 v2, v2, v1, v3
	v_add3_u32 v0, v5, v0, v6
	s_cbranch_scc0 .LBB385_814
; %bb.815:
	v_mov_b32_e32 v1, v2
	s_branch .LBB385_819
.LBB385_816:
	s_mov_b64 s[4:5], -1
                                        ; implicit-def: $vgpr2
                                        ; implicit-def: $vgpr0
	s_branch .LBB385_823
.LBB385_817:
	v_mov_b32_e32 v2, 0
	v_mov_b32_e32 v0, 0
	s_branch .LBB385_822
.LBB385_818:
	v_mov_b32_e32 v0, 0
	s_mov_b32 s76, 0
	v_mov_b32_e32 v1, v0
                                        ; implicit-def: $vgpr2
	s_waitcnt vmcnt(0)
	v_mov_b32_e32 v4, v8
.LBB385_819:
	s_and_b32 s8, s77, 3
	s_cmp_eq_u32 s8, 0
	s_cbranch_scc1 .LBB385_822
; %bb.820:
	s_lshl_b32 s4, s76, 3
	s_add_u32 s4, s34, s4
	s_addc_u32 s5, s35, 0
	s_add_u32 s4, s4, 0xc4
	s_addc_u32 s5, s5, 0
	s_mul_i32 s6, s76, 12
	s_add_u32 s6, s34, s6
	s_addc_u32 s7, s35, 0
.LBB385_821:                            ; =>This Inner Loop Header: Depth=1
	s_load_dwordx2 s[10:11], s[6:7], 0x4
	s_load_dword s9, s[6:7], 0xc
	s_load_dwordx2 s[12:13], s[4:5], 0x0
	v_mov_b32_e32 v2, v1
	s_add_u32 s6, s6, 12
	s_waitcnt lgkmcnt(0)
	v_mul_hi_u32 v1, s11, v4
	v_add_u32_e32 v1, v4, v1
	v_lshrrev_b32_e32 v1, s9, v1
	s_addc_u32 s7, s7, 0
	v_mul_lo_u32 v3, v1, s10
	s_add_u32 s4, s4, 8
	v_sub_u32_e32 v5, v4, v3
	s_addc_u32 s5, s5, 0
	s_add_i32 s8, s8, -1
	v_mov_b32_e32 v4, v1
	v_mad_u64_u32 v[2:3], s[10:11], v5, s13, v[2:3]
	v_mad_u64_u32 v[0:1], s[10:11], v5, s12, v[0:1]
	s_cmp_lg_u32 s8, 0
	v_mov_b32_e32 v1, v2
	s_cbranch_scc1 .LBB385_821
.LBB385_822:
	s_mov_b64 s[4:5], 0
.LBB385_823:
	s_andn2_b64 vcc, exec, s[4:5]
	s_cbranch_vccnz .LBB385_826
; %bb.824:
	v_mul_hi_u32 v0, s25, v8
	v_add_u32_e32 v0, v8, v0
	v_lshrrev_b32_e32 v1, s26, v0
	v_mul_lo_u32 v0, v1, s24
	v_sub_u32_e32 v0, v8, v0
	v_mul_lo_u32 v2, v0, s29
	s_andn2_b64 vcc, exec, s[48:49]
	v_mul_lo_u32 v0, v0, s28
	s_cbranch_vccnz .LBB385_826
; %bb.825:
	v_mul_hi_u32 v3, s46, v1
	v_add_u32_e32 v3, v1, v3
	v_lshrrev_b32_e32 v3, s47, v3
	v_mul_lo_u32 v3, v3, s27
	v_sub_u32_e32 v3, v1, v3
	v_mad_u64_u32 v[0:1], s[4:5], v3, s30, v[0:1]
	v_mad_u64_u32 v[2:3], s[4:5], v3, s31, v[2:3]
.LBB385_826:
	v_mov_b32_e32 v3, 0
	s_and_b32 s12, 0xffff, s75
	s_cmp_lt_i32 s12, 11
	v_lshl_add_u64 v[2:3], s[22:23], 0, v[2:3]
	s_cbranch_scc1 .LBB385_833
; %bb.827:
	s_cmp_gt_i32 s12, 25
	s_mov_b64 s[6:7], 0
	s_cbranch_scc0 .LBB385_834
; %bb.828:
	s_cmp_gt_i32 s12, 28
	s_cbranch_scc0 .LBB385_835
; %bb.829:
	s_cmp_gt_i32 s12, 43
	;; [unrolled: 3-line block ×3, first 2 shown]
	s_cbranch_scc0 .LBB385_839
; %bb.831:
	s_cmp_eq_u32 s12, 46
	s_mov_b64 s[10:11], 0
	s_cbranch_scc0 .LBB385_842
; %bb.832:
	global_load_dword v1, v[2:3], off
	s_mov_b64 s[4:5], 0
	s_mov_b64 s[8:9], -1
	s_waitcnt vmcnt(0)
	v_lshlrev_b32_e32 v1, 16, v1
	v_cvt_i32_f32_e32 v4, v1
	s_branch .LBB385_843
.LBB385_833:
	s_mov_b64 s[10:11], -1
	s_mov_b64 s[8:9], 0
	s_mov_b64 s[6:7], 0
	;; [unrolled: 1-line block ×3, first 2 shown]
                                        ; implicit-def: $vgpr4
	s_branch .LBB385_902
.LBB385_834:
	s_mov_b64 s[10:11], -1
	s_mov_b64 s[8:9], 0
	s_mov_b64 s[4:5], s[2:3]
                                        ; implicit-def: $vgpr4
	s_branch .LBB385_870
.LBB385_835:
	s_mov_b64 s[10:11], -1
	s_mov_b64 s[8:9], 0
	s_mov_b64 s[4:5], s[2:3]
                                        ; implicit-def: $vgpr4
	s_branch .LBB385_853
.LBB385_836:
	s_mov_b64 s[10:11], -1
	s_mov_b64 s[8:9], 0
	s_mov_b64 s[4:5], s[2:3]
                                        ; implicit-def: $vgpr4
	s_branch .LBB385_848
.LBB385_837:
	s_andn2_saveexec_b64 s[10:11], s[10:11]
	s_cbranch_execz .LBB385_716
.LBB385_838:
	s_mov_b32 s14, 0x46000000
	v_add_f32_e64 v3, |v2|, s14
	v_and_b32_e32 v3, 0xff, v3
	v_cmp_ne_u32_e32 vcc, 0, v3
	s_andn2_b64 s[8:9], s[8:9], exec
	s_and_b64 s[14:15], vcc, exec
	s_or_b64 s[8:9], s[8:9], s[14:15]
	s_or_b64 exec, exec, s[10:11]
	v_mov_b32_e32 v5, 0
	s_and_saveexec_b64 s[10:11], s[8:9]
	s_cbranch_execnz .LBB385_717
	s_branch .LBB385_718
.LBB385_839:
	s_mov_b64 s[10:11], -1
	s_mov_b64 s[8:9], 0
	s_mov_b64 s[4:5], s[2:3]
                                        ; implicit-def: $vgpr4
	s_branch .LBB385_843
.LBB385_840:
	s_andn2_saveexec_b64 s[10:11], s[10:11]
	s_cbranch_execz .LBB385_729
.LBB385_841:
	s_mov_b32 s14, 0x42800000
	v_add_f32_e64 v3, |v2|, s14
	v_and_b32_e32 v3, 0xff, v3
	v_cmp_ne_u32_e32 vcc, 0, v3
	s_andn2_b64 s[8:9], s[8:9], exec
	s_and_b64 s[14:15], vcc, exec
	s_or_b64 s[8:9], s[8:9], s[14:15]
	s_or_b64 exec, exec, s[10:11]
	v_mov_b32_e32 v5, 0
	s_and_saveexec_b64 s[10:11], s[8:9]
	s_cbranch_execnz .LBB385_730
	s_branch .LBB385_731
.LBB385_842:
	s_mov_b64 s[4:5], -1
                                        ; implicit-def: $vgpr4
	s_mov_b64 s[8:9], 0
.LBB385_843:
	s_and_b64 vcc, exec, s[10:11]
	s_cbranch_vccz .LBB385_847
; %bb.844:
	s_cmp_eq_u32 s12, 44
	s_cbranch_scc0 .LBB385_846
; %bb.845:
	global_load_ubyte v1, v[2:3], off
	s_mov_b64 s[4:5], 0
	s_mov_b64 s[8:9], -1
	s_waitcnt vmcnt(0)
	v_lshlrev_b32_e32 v4, 23, v1
	v_cvt_i32_f32_e32 v4, v4
	v_cmp_ne_u32_e32 vcc, 0, v1
	s_nop 1
	v_cndmask_b32_e32 v4, 0, v4, vcc
	s_branch .LBB385_847
.LBB385_846:
	s_mov_b64 s[4:5], -1
                                        ; implicit-def: $vgpr4
.LBB385_847:
	s_mov_b64 s[10:11], 0
.LBB385_848:
	s_and_b64 vcc, exec, s[10:11]
	s_cbranch_vccz .LBB385_852
; %bb.849:
	s_cmp_eq_u32 s12, 29
	s_cbranch_scc0 .LBB385_851
; %bb.850:
	global_load_dwordx2 v[4:5], v[2:3], off
	s_mov_b64 s[4:5], 0
	s_mov_b64 s[8:9], -1
	s_branch .LBB385_852
.LBB385_851:
	s_mov_b64 s[4:5], -1
                                        ; implicit-def: $vgpr4
.LBB385_852:
	s_mov_b64 s[10:11], 0
.LBB385_853:
	s_and_b64 vcc, exec, s[10:11]
	s_cbranch_vccz .LBB385_869
; %bb.854:
	s_cmp_lt_i32 s12, 27
	s_cbranch_scc1 .LBB385_857
; %bb.855:
	s_cmp_gt_i32 s12, 27
	s_cbranch_scc0 .LBB385_858
; %bb.856:
	global_load_dword v4, v[2:3], off
	s_mov_b64 s[8:9], 0
	s_branch .LBB385_859
.LBB385_857:
	s_mov_b64 s[8:9], -1
                                        ; implicit-def: $vgpr4
	s_branch .LBB385_862
.LBB385_858:
	s_mov_b64 s[8:9], -1
                                        ; implicit-def: $vgpr4
.LBB385_859:
	s_andn2_b64 vcc, exec, s[8:9]
	s_cbranch_vccnz .LBB385_861
; %bb.860:
	global_load_ushort v4, v[2:3], off
.LBB385_861:
	s_mov_b64 s[8:9], 0
.LBB385_862:
	s_andn2_b64 vcc, exec, s[8:9]
	s_cbranch_vccnz .LBB385_868
; %bb.863:
	global_load_ubyte v1, v[2:3], off
	s_movk_i32 s8, 0x7f
	s_mov_b64 s[10:11], 0
	s_waitcnt vmcnt(0)
	v_cmp_lt_i16_e32 vcc, s8, v1
	s_and_saveexec_b64 s[8:9], vcc
	s_xor_b64 s[8:9], exec, s[8:9]
	s_cbranch_execz .LBB385_880
; %bb.864:
	s_movk_i32 s10, 0x80
	v_cmp_ne_u16_e32 vcc, s10, v1
	s_and_b64 s[10:11], vcc, exec
	s_andn2_saveexec_b64 s[8:9], s[8:9]
	s_cbranch_execnz .LBB385_881
.LBB385_865:
	s_or_b64 exec, exec, s[8:9]
	v_mov_b32_e32 v4, 0
	s_and_saveexec_b64 s[8:9], s[10:11]
	s_cbranch_execz .LBB385_867
.LBB385_866:
	v_lshlrev_b32_e32 v4, 24, v1
	v_and_b32_e32 v1, 0xffff, v1
	v_and_b32_e32 v5, 7, v1
	v_ffbh_u32_e32 v7, v5
	v_min_u32_e32 v7, 32, v7
	v_subrev_u32_e32 v8, 28, v7
	v_bfe_u32 v6, v1, 3, 4
	v_lshlrev_b32_e32 v1, v8, v1
	v_sub_u32_e32 v7, 29, v7
	v_and_b32_e32 v1, 7, v1
	v_cmp_eq_u32_e32 vcc, 0, v6
	v_and_b32_e32 v4, 0x80000000, v4
	s_nop 0
	v_cndmask_b32_e32 v6, v6, v7, vcc
	v_cndmask_b32_e32 v1, v5, v1, vcc
	v_mov_b32_e32 v5, 0x3b800000
	v_lshlrev_b32_e32 v1, 20, v1
	v_lshl_add_u32 v5, v6, 23, v5
	v_or3_b32 v1, v4, v5, v1
	v_cvt_i32_f32_e32 v4, v1
.LBB385_867:
	s_or_b64 exec, exec, s[8:9]
.LBB385_868:
	s_mov_b64 s[8:9], -1
.LBB385_869:
	s_mov_b64 s[10:11], 0
.LBB385_870:
	s_and_b64 vcc, exec, s[10:11]
	s_cbranch_vccz .LBB385_901
; %bb.871:
	s_cmp_gt_i32 s12, 22
	s_cbranch_scc0 .LBB385_879
; %bb.872:
	s_cmp_lt_i32 s12, 24
	s_cbranch_scc1 .LBB385_882
; %bb.873:
	s_cmp_gt_i32 s12, 24
	s_cbranch_scc0 .LBB385_883
; %bb.874:
	global_load_ubyte v1, v[2:3], off
	s_movk_i32 s6, 0x7f
	s_mov_b64 s[8:9], 0
	s_waitcnt vmcnt(0)
	v_cmp_lt_i16_e32 vcc, s6, v1
	s_and_saveexec_b64 s[6:7], vcc
	s_xor_b64 s[6:7], exec, s[6:7]
	s_cbranch_execz .LBB385_895
; %bb.875:
	s_movk_i32 s8, 0x80
	v_cmp_ne_u16_e32 vcc, s8, v1
	s_and_b64 s[8:9], vcc, exec
	s_andn2_saveexec_b64 s[6:7], s[6:7]
	s_cbranch_execnz .LBB385_896
.LBB385_876:
	s_or_b64 exec, exec, s[6:7]
	v_mov_b32_e32 v4, 0
	s_and_saveexec_b64 s[6:7], s[8:9]
	s_cbranch_execz .LBB385_878
.LBB385_877:
	v_lshlrev_b32_e32 v4, 24, v1
	v_and_b32_e32 v1, 0xffff, v1
	v_and_b32_e32 v5, 3, v1
	v_ffbh_u32_e32 v7, v5
	v_min_u32_e32 v7, 32, v7
	v_subrev_u32_e32 v8, 29, v7
	v_bfe_u32 v6, v1, 2, 5
	v_lshlrev_b32_e32 v1, v8, v1
	v_sub_u32_e32 v7, 30, v7
	v_and_b32_e32 v1, 3, v1
	v_cmp_eq_u32_e32 vcc, 0, v6
	v_and_b32_e32 v4, 0x80000000, v4
	s_nop 0
	v_cndmask_b32_e32 v6, v6, v7, vcc
	v_cndmask_b32_e32 v1, v5, v1, vcc
	v_mov_b32_e32 v5, 0x37800000
	v_lshlrev_b32_e32 v1, 21, v1
	v_lshl_add_u32 v5, v6, 23, v5
	v_or3_b32 v1, v4, v5, v1
	v_cvt_i32_f32_e32 v4, v1
.LBB385_878:
	s_or_b64 exec, exec, s[6:7]
	s_mov_b64 s[6:7], 0
	s_branch .LBB385_884
.LBB385_879:
	s_mov_b64 s[6:7], -1
                                        ; implicit-def: $vgpr4
	s_branch .LBB385_890
.LBB385_880:
	s_andn2_saveexec_b64 s[8:9], s[8:9]
	s_cbranch_execz .LBB385_865
.LBB385_881:
	v_cmp_ne_u16_e32 vcc, 0, v1
	s_andn2_b64 s[10:11], s[10:11], exec
	s_and_b64 s[14:15], vcc, exec
	s_or_b64 s[10:11], s[10:11], s[14:15]
	s_or_b64 exec, exec, s[8:9]
	v_mov_b32_e32 v4, 0
	s_and_saveexec_b64 s[8:9], s[10:11]
	s_cbranch_execnz .LBB385_866
	s_branch .LBB385_867
.LBB385_882:
	s_mov_b64 s[6:7], -1
                                        ; implicit-def: $vgpr4
	s_branch .LBB385_887
.LBB385_883:
	s_mov_b64 s[6:7], -1
                                        ; implicit-def: $vgpr4
.LBB385_884:
	s_and_b64 vcc, exec, s[6:7]
	s_cbranch_vccz .LBB385_886
; %bb.885:
	global_load_ubyte v1, v[2:3], off
	s_mov_b32 s6, 0x7f800000
	s_waitcnt vmcnt(0)
	v_lshlrev_b32_e32 v1, 24, v1
	v_and_b32_e32 v4, 0x7f000000, v1
	v_ffbh_u32_e32 v5, v4
	v_min_u32_e32 v5, 32, v5
	v_sub_u32_e64 v5, v5, 4 clamp
	v_lshlrev_b32_e32 v7, v5, v4
	v_lshlrev_b32_e32 v5, 23, v5
	v_lshrrev_b32_e32 v7, 4, v7
	v_add_u32_e32 v6, 0x1000000, v4
	v_sub_u32_e32 v5, v7, v5
	v_ashrrev_i32_e32 v6, 8, v6
	v_add_u32_e32 v5, 0x3c000000, v5
	v_and_or_b32 v5, v6, s6, v5
	v_cmp_ne_u32_e32 vcc, 0, v4
	s_brev_b32 s6, 1
	s_nop 0
	v_cndmask_b32_e32 v4, 0, v5, vcc
	v_and_or_b32 v1, v1, s6, v4
	v_cvt_i32_f32_e32 v4, v1
.LBB385_886:
	s_mov_b64 s[6:7], 0
.LBB385_887:
	s_andn2_b64 vcc, exec, s[6:7]
	s_cbranch_vccnz .LBB385_889
; %bb.888:
	global_load_ubyte v1, v[2:3], off
	s_movk_i32 s6, 0x7f00
	s_brev_b32 s7, 16
	s_waitcnt vmcnt(0)
	v_lshlrev_b16_e32 v4, 8, v1
	v_lshlrev_b32_e32 v1, 25, v1
	v_lshrrev_b32_e32 v5, 4, v1
	v_and_or_b32 v6, v4, s6, 0.5
	v_or_b32_e32 v5, 0x70000000, v5
	v_add_f32_e32 v6, -0.5, v6
	v_mul_f32_e32 v5, 0x7800000, v5
	v_cmp_gt_u32_e32 vcc, s7, v1
	v_bfe_i32 v4, v4, 0, 16
	s_brev_b32 s6, 1
	v_cndmask_b32_e32 v1, v5, v6, vcc
	v_and_or_b32 v1, v4, s6, v1
	v_cvt_i32_f32_e32 v4, v1
.LBB385_889:
	s_mov_b64 s[6:7], 0
	s_mov_b64 s[8:9], -1
.LBB385_890:
	s_andn2_b64 vcc, exec, s[6:7]
	s_mov_b64 s[6:7], 0
	s_cbranch_vccnz .LBB385_901
; %bb.891:
	s_cmp_gt_i32 s12, 14
	s_cbranch_scc0 .LBB385_894
; %bb.892:
	s_cmp_eq_u32 s12, 15
	s_cbranch_scc0 .LBB385_897
; %bb.893:
	global_load_ushort v1, v[2:3], off
	s_mov_b64 s[4:5], 0
	s_mov_b64 s[8:9], -1
	s_waitcnt vmcnt(0)
	v_lshlrev_b32_e32 v1, 16, v1
	v_cvt_i32_f32_e32 v4, v1
	s_branch .LBB385_898
.LBB385_894:
	s_mov_b64 s[10:11], -1
                                        ; implicit-def: $vgpr4
	s_branch .LBB385_899
.LBB385_895:
	s_andn2_saveexec_b64 s[6:7], s[6:7]
	s_cbranch_execz .LBB385_876
.LBB385_896:
	v_cmp_ne_u16_e32 vcc, 0, v1
	s_andn2_b64 s[8:9], s[8:9], exec
	s_and_b64 s[10:11], vcc, exec
	s_or_b64 s[8:9], s[8:9], s[10:11]
	s_or_b64 exec, exec, s[6:7]
	v_mov_b32_e32 v4, 0
	s_and_saveexec_b64 s[6:7], s[8:9]
	s_cbranch_execnz .LBB385_877
	s_branch .LBB385_878
.LBB385_897:
	s_mov_b64 s[4:5], -1
                                        ; implicit-def: $vgpr4
.LBB385_898:
	s_mov_b64 s[10:11], 0
.LBB385_899:
	s_and_b64 vcc, exec, s[10:11]
	s_cbranch_vccz .LBB385_901
; %bb.900:
	s_cmp_lg_u32 s12, 11
	s_cselect_b64 s[10:11], -1, 0
	s_andn2_b64 s[4:5], s[4:5], exec
	s_and_b64 s[10:11], s[10:11], exec
	s_mov_b64 s[6:7], -1
	s_or_b64 s[4:5], s[4:5], s[10:11]
.LBB385_901:
	s_mov_b64 s[10:11], 0
.LBB385_902:
	s_andn2_b64 s[12:13], s[2:3], exec
	s_and_b64 s[4:5], s[4:5], exec
	s_and_b64 s[8:9], s[8:9], exec
	;; [unrolled: 1-line block ×4, first 2 shown]
	s_or_b64 s[12:13], s[12:13], s[4:5]
.LBB385_903:
	s_or_b64 exec, exec, s[70:71]
	s_and_b64 s[4:5], s[6:7], exec
	s_andn2_b64 s[2:3], s[2:3], exec
	s_and_b64 s[6:7], s[12:13], exec
	s_and_b64 s[8:9], s[8:9], exec
	;; [unrolled: 1-line block ×3, first 2 shown]
	s_or_b64 s[2:3], s[2:3], s[6:7]
.LBB385_904:
	s_or_b64 exec, exec, s[66:67]
	s_andn2_b64 s[6:7], s[62:63], exec
	s_and_b64 s[12:13], s[68:69], exec
	s_or_b64 s[62:63], s[6:7], s[12:13]
	s_and_b64 s[6:7], s[10:11], exec
	s_andn2_b64 s[10:11], s[60:61], exec
	s_and_b64 s[2:3], s[2:3], exec
	s_and_b64 s[8:9], s[8:9], exec
	;; [unrolled: 1-line block ×3, first 2 shown]
	s_or_b64 s[60:61], s[10:11], s[2:3]
.LBB385_905:
	s_or_b64 exec, exec, s[64:65]
	s_andn2_b64 s[2:3], s[54:55], exec
	s_and_b64 s[10:11], s[62:63], exec
	s_or_b64 s[54:55], s[2:3], s[10:11]
	s_and_b64 s[2:3], s[8:9], exec
	s_and_b64 s[8:9], s[6:7], exec
	;; [unrolled: 1-line block ×3, first 2 shown]
	s_andn2_b64 s[4:5], s[56:57], exec
	s_and_b64 s[6:7], s[60:61], exec
	s_or_b64 s[56:57], s[4:5], s[6:7]
	s_or_b64 exec, exec, s[58:59]
	s_mov_b64 s[4:5], 0
	s_and_saveexec_b64 s[6:7], s[56:57]
	s_cbranch_execz .LBB385_272
.LBB385_906:
	s_mov_b64 s[4:5], exec
	s_andn2_b64 s[62:63], s[62:63], exec
	s_trap 2
	s_or_b64 exec, exec, s[6:7]
	s_and_saveexec_b64 s[6:7], s[62:63]
	s_xor_b64 s[6:7], exec, s[6:7]
	s_cbranch_execnz .LBB385_273
.LBB385_907:
	s_or_b64 exec, exec, s[6:7]
	s_and_saveexec_b64 s[6:7], s[8:9]
	s_cbranch_execz .LBB385_953
.LBB385_908:
	s_sext_i32_i16 s8, s75
	s_cmp_lt_i32 s8, 5
	s_cbranch_scc1 .LBB385_913
; %bb.909:
	s_cmp_lt_i32 s8, 8
	s_cbranch_scc1 .LBB385_914
; %bb.910:
	;; [unrolled: 3-line block ×3, first 2 shown]
	s_cmp_gt_i32 s8, 9
	s_cbranch_scc0 .LBB385_916
; %bb.912:
	global_load_dwordx2 v[4:5], v[2:3], off
	s_mov_b64 s[8:9], 0
	s_waitcnt vmcnt(0)
	v_cvt_i32_f64_e32 v4, v[4:5]
	s_branch .LBB385_917
.LBB385_913:
                                        ; implicit-def: $vgpr4
	s_branch .LBB385_934
.LBB385_914:
                                        ; implicit-def: $vgpr4
	s_branch .LBB385_923
.LBB385_915:
	s_mov_b64 s[8:9], -1
                                        ; implicit-def: $vgpr4
	s_branch .LBB385_920
.LBB385_916:
	s_mov_b64 s[8:9], -1
                                        ; implicit-def: $vgpr4
.LBB385_917:
	s_andn2_b64 vcc, exec, s[8:9]
	s_cbranch_vccnz .LBB385_919
; %bb.918:
	global_load_dword v1, v[2:3], off
	s_waitcnt vmcnt(0)
	v_cvt_i32_f32_e32 v4, v1
.LBB385_919:
	s_mov_b64 s[8:9], 0
.LBB385_920:
	s_andn2_b64 vcc, exec, s[8:9]
	s_cbranch_vccnz .LBB385_922
; %bb.921:
	global_load_dword v1, v[2:3], off
	s_waitcnt vmcnt(0)
	v_cvt_i16_f16_e32 v4, v1
.LBB385_922:
	s_cbranch_execnz .LBB385_933
.LBB385_923:
	s_sext_i32_i16 s8, s75
	s_cmp_lt_i32 s8, 6
	s_cbranch_scc1 .LBB385_926
; %bb.924:
	s_cmp_gt_i32 s8, 6
	s_cbranch_scc0 .LBB385_927
; %bb.925:
	global_load_dwordx2 v[4:5], v[2:3], off
	s_mov_b64 s[8:9], 0
	s_waitcnt vmcnt(0)
	v_cvt_i32_f64_e32 v4, v[4:5]
	s_branch .LBB385_928
.LBB385_926:
	s_mov_b64 s[8:9], -1
                                        ; implicit-def: $vgpr4
	s_branch .LBB385_931
.LBB385_927:
	s_mov_b64 s[8:9], -1
                                        ; implicit-def: $vgpr4
.LBB385_928:
	s_andn2_b64 vcc, exec, s[8:9]
	s_cbranch_vccnz .LBB385_930
; %bb.929:
	global_load_dword v1, v[2:3], off
	s_waitcnt vmcnt(0)
	v_cvt_i32_f32_e32 v4, v1
.LBB385_930:
	s_mov_b64 s[8:9], 0
.LBB385_931:
	s_andn2_b64 vcc, exec, s[8:9]
	s_cbranch_vccnz .LBB385_933
; %bb.932:
	global_load_ushort v1, v[2:3], off
	s_waitcnt vmcnt(0)
	v_cvt_i16_f16_e32 v4, v1
.LBB385_933:
	s_cbranch_execnz .LBB385_952
.LBB385_934:
	s_sext_i32_i16 s8, s75
	s_cmp_lt_i32 s8, 2
	s_cbranch_scc1 .LBB385_938
; %bb.935:
	s_cmp_lt_i32 s8, 3
	s_cbranch_scc1 .LBB385_939
; %bb.936:
	s_cmp_gt_i32 s8, 3
	s_cbranch_scc0 .LBB385_940
; %bb.937:
	global_load_dwordx2 v[4:5], v[2:3], off
	s_mov_b64 s[8:9], 0
	s_branch .LBB385_941
.LBB385_938:
                                        ; implicit-def: $vgpr4
	s_branch .LBB385_947
.LBB385_939:
	s_mov_b64 s[8:9], -1
                                        ; implicit-def: $vgpr4
	s_branch .LBB385_944
.LBB385_940:
	s_mov_b64 s[8:9], -1
                                        ; implicit-def: $vgpr4
.LBB385_941:
	s_andn2_b64 vcc, exec, s[8:9]
	s_cbranch_vccnz .LBB385_943
; %bb.942:
	global_load_dword v4, v[2:3], off
.LBB385_943:
	s_mov_b64 s[8:9], 0
.LBB385_944:
	s_andn2_b64 vcc, exec, s[8:9]
	s_cbranch_vccnz .LBB385_946
; %bb.945:
	global_load_ushort v4, v[2:3], off
.LBB385_946:
	s_cbranch_execnz .LBB385_952
.LBB385_947:
	s_sext_i32_i16 s8, s75
	s_cmp_gt_i32 s8, 0
	s_cbranch_scc0 .LBB385_949
; %bb.948:
	global_load_sbyte v4, v[2:3], off
	s_mov_b64 s[8:9], 0
	s_branch .LBB385_950
.LBB385_949:
	s_mov_b64 s[8:9], -1
                                        ; implicit-def: $vgpr4
.LBB385_950:
	s_andn2_b64 vcc, exec, s[8:9]
	s_cbranch_vccnz .LBB385_952
; %bb.951:
	global_load_ubyte v4, v[2:3], off
.LBB385_952:
	s_or_b64 s[2:3], s[2:3], exec
.LBB385_953:
	s_or_b64 exec, exec, s[6:7]
	s_mov_b64 s[10:11], 0
	s_mov_b64 s[8:9], 0
                                        ; implicit-def: $sgpr16
                                        ; implicit-def: $vgpr2_vgpr3
                                        ; implicit-def: $vgpr5
	s_and_saveexec_b64 s[6:7], s[2:3]
	s_cbranch_execz .LBB385_961
; %bb.954:
	v_mov_b32_e32 v1, 0
	s_and_b32 s16, s74, 0xff
	s_waitcnt vmcnt(0)
	v_max_i16_e32 v5, s73, v4
	s_cmp_lt_i32 s16, 11
	v_lshl_add_u64 v[2:3], s[20:21], 0, v[0:1]
	s_cbranch_scc1 .LBB385_964
; %bb.955:
	s_and_b32 s17, 0xffff, s16
	s_mov_b64 s[10:11], -1
	s_cmp_gt_i32 s17, 25
	s_mov_b64 s[2:3], s[54:55]
	s_cbranch_scc0 .LBB385_992
; %bb.956:
	s_mov_b64 s[8:9], -1
	s_cmp_gt_i32 s17, 28
	s_mov_b64 s[2:3], s[54:55]
	s_cbranch_scc0 .LBB385_976
; %bb.957:
	s_cmp_gt_i32 s17, 43
	s_mov_b64 s[2:3], s[54:55]
	s_cbranch_scc0 .LBB385_972
; %bb.958:
	;; [unrolled: 4-line block ×3, first 2 shown]
	s_cmp_eq_u32 s17, 46
	s_mov_b64 s[2:3], -1
	s_cbranch_scc0 .LBB385_965
; %bb.960:
	v_cvt_f32_i32_sdwa v0, sext(v5) dst_sel:DWORD dst_unused:UNUSED_PAD src0_sel:WORD_0
	s_movk_i32 s2, 0x7fff
	s_mov_b64 s[8:9], 0
	v_bfe_u32 v1, v0, 16, 1
	v_add3_u32 v0, v0, v1, s2
	v_lshrrev_b32_e32 v0, 16, v0
	global_store_dword v[2:3], v0, off
	s_mov_b64 s[2:3], 0
	s_branch .LBB385_966
.LBB385_961:
	s_or_b64 exec, exec, s[6:7]
	s_and_saveexec_b64 s[2:3], s[54:55]
	s_cbranch_execnz .LBB385_1034
.LBB385_962:
	s_or_b64 exec, exec, s[2:3]
	s_and_saveexec_b64 s[2:3], s[10:11]
	s_xor_b64 s[2:3], exec, s[2:3]
	s_cbranch_execz .LBB385_1035
.LBB385_963:
	s_waitcnt vmcnt(0)
	v_cmp_ne_u16_e32 vcc, 0, v5
	s_nop 1
	v_cndmask_b32_e64 v0, 0, 1, vcc
	global_store_byte v[2:3], v0, off
	s_or_b64 exec, exec, s[2:3]
	s_and_saveexec_b64 s[2:3], s[8:9]
	s_xor_b64 s[2:3], exec, s[2:3]
	s_cbranch_execz .LBB385_1073
	s_branch .LBB385_1036
.LBB385_964:
	s_mov_b64 s[8:9], -1
	s_mov_b64 s[2:3], s[54:55]
	s_branch .LBB385_1033
.LBB385_965:
	s_mov_b64 s[8:9], 0
.LBB385_966:
	s_and_b64 vcc, exec, s[8:9]
	s_cbranch_vccz .LBB385_971
; %bb.967:
	s_cmp_eq_u32 s17, 44
	s_mov_b64 s[2:3], -1
	s_cbranch_scc0 .LBB385_971
; %bb.968:
	v_cvt_f32_i32_sdwa v0, sext(v5) dst_sel:DWORD dst_unused:UNUSED_PAD src0_sel:WORD_0
	s_movk_i32 s2, 0xff
	v_mov_b32_e32 v4, 0xff
	v_bfe_u32 v1, v0, 23, 8
	v_cmp_ne_u32_e32 vcc, s2, v1
	s_and_saveexec_b64 s[8:9], vcc
; %bb.969:
	s_mov_b32 s2, 0x3fffff
	v_lshrrev_b32_e32 v4, 23, v0
	v_and_b32_e32 v6, 0x400000, v0
	v_and_or_b32 v0, v0, s2, v1
	v_cmp_ne_u32_e32 vcc, 0, v6
	v_cmp_ne_u32_e64 s[2:3], 0, v0
	s_and_b64 s[2:3], vcc, s[2:3]
	s_nop 0
	v_cndmask_b32_e64 v0, 0, 1, s[2:3]
	v_add_u32_e32 v4, v4, v0
; %bb.970:
	s_or_b64 exec, exec, s[8:9]
	s_mov_b64 s[2:3], 0
	global_store_byte v[2:3], v4, off
.LBB385_971:
	s_mov_b64 s[8:9], 0
.LBB385_972:
	s_and_b64 vcc, exec, s[8:9]
	s_cbranch_vccz .LBB385_975
; %bb.973:
	s_cmp_eq_u32 s17, 29
	s_mov_b64 s[2:3], -1
	s_cbranch_scc0 .LBB385_975
; %bb.974:
	v_bfe_i32 v0, v5, 0, 16
	v_ashrrev_i32_e32 v1, 31, v0
	global_store_dwordx2 v[2:3], v[0:1], off
	s_mov_b64 s[2:3], 0
.LBB385_975:
	s_mov_b64 s[8:9], 0
.LBB385_976:
	s_and_b64 vcc, exec, s[8:9]
	s_cbranch_vccz .LBB385_991
; %bb.977:
	s_cmp_lt_i32 s17, 27
	s_mov_b64 s[8:9], -1
	s_cbranch_scc1 .LBB385_983
; %bb.978:
	s_cmp_gt_i32 s17, 27
	s_cbranch_scc0 .LBB385_980
; %bb.979:
	v_bfe_i32 v0, v5, 0, 16
	s_mov_b64 s[8:9], 0
	global_store_dword v[2:3], v0, off
.LBB385_980:
	s_andn2_b64 vcc, exec, s[8:9]
	s_cbranch_vccnz .LBB385_982
; %bb.981:
	global_store_short v[2:3], v5, off
.LBB385_982:
	s_mov_b64 s[8:9], 0
.LBB385_983:
	s_andn2_b64 vcc, exec, s[8:9]
	s_cbranch_vccnz .LBB385_991
; %bb.984:
	v_cvt_f32_i32_sdwa v0, sext(v5) dst_sel:DWORD dst_unused:UNUSED_PAD src0_sel:WORD_0
	s_mov_b32 s8, 0x43800000
	v_mov_b32_e32 v4, 0x80
	v_and_b32_e32 v1, 0x7fffffff, v0
	v_cmp_gt_u32_e32 vcc, s8, v1
	s_and_saveexec_b64 s[8:9], vcc
	s_cbranch_execz .LBB385_990
; %bb.985:
	s_mov_b32 s10, 0x3bffffff
	v_cmp_lt_u32_e32 vcc, s10, v1
	s_mov_b64 s[10:11], 0
                                        ; implicit-def: $vgpr1
	s_and_saveexec_b64 s[12:13], vcc
	s_xor_b64 s[12:13], exec, s[12:13]
	s_cbranch_execz .LBB385_1144
; %bb.986:
	v_bfe_u32 v1, v0, 20, 1
	s_mov_b32 s14, 0x487ffff
	v_add3_u32 v1, v0, v1, s14
	s_mov_b64 s[10:11], exec
	v_lshrrev_b32_e32 v1, 20, v1
	s_andn2_saveexec_b64 s[12:13], s[12:13]
	s_cbranch_execnz .LBB385_1145
.LBB385_987:
	s_or_b64 exec, exec, s[12:13]
	v_mov_b32_e32 v4, 0
	s_and_saveexec_b64 s[12:13], s[10:11]
.LBB385_988:
	v_lshrrev_b32_e32 v0, 24, v0
	s_movk_i32 s10, 0x80
	v_and_or_b32 v4, v0, s10, v1
.LBB385_989:
	s_or_b64 exec, exec, s[12:13]
.LBB385_990:
	s_or_b64 exec, exec, s[8:9]
	global_store_byte v[2:3], v4, off
.LBB385_991:
	s_mov_b64 s[10:11], 0
.LBB385_992:
	s_mov_b64 s[8:9], 0
	s_and_b64 vcc, exec, s[10:11]
	s_cbranch_vccz .LBB385_1032
; %bb.993:
	s_cmp_gt_i32 s17, 22
	s_mov_b64 s[10:11], -1
	s_cbranch_scc0 .LBB385_1025
; %bb.994:
	s_cmp_lt_i32 s17, 24
	s_cbranch_scc1 .LBB385_1014
; %bb.995:
	s_cmp_gt_i32 s17, 24
	s_cbranch_scc0 .LBB385_1003
; %bb.996:
	v_cvt_f32_i32_sdwa v0, sext(v5) dst_sel:DWORD dst_unused:UNUSED_PAD src0_sel:WORD_0
	s_mov_b32 s10, 0x47800000
	v_mov_b32_e32 v4, 0x80
	v_and_b32_e32 v1, 0x7fffffff, v0
	v_cmp_gt_u32_e32 vcc, s10, v1
	s_and_saveexec_b64 s[10:11], vcc
	s_cbranch_execz .LBB385_1002
; %bb.997:
	s_mov_b32 s12, 0x37ffffff
	v_cmp_lt_u32_e32 vcc, s12, v1
	s_mov_b64 s[12:13], 0
                                        ; implicit-def: $vgpr1
	s_and_saveexec_b64 s[14:15], vcc
	s_xor_b64 s[14:15], exec, s[14:15]
	s_cbranch_execz .LBB385_1264
; %bb.998:
	v_bfe_u32 v1, v0, 21, 1
	s_mov_b32 s18, 0x88fffff
	v_add3_u32 v1, v0, v1, s18
	s_mov_b64 s[12:13], exec
	v_lshrrev_b32_e32 v1, 21, v1
	s_andn2_saveexec_b64 s[14:15], s[14:15]
	s_cbranch_execnz .LBB385_1265
.LBB385_999:
	s_or_b64 exec, exec, s[14:15]
	v_mov_b32_e32 v4, 0
	s_and_saveexec_b64 s[14:15], s[12:13]
.LBB385_1000:
	v_lshrrev_b32_e32 v0, 24, v0
	s_movk_i32 s12, 0x80
	v_and_or_b32 v4, v0, s12, v1
.LBB385_1001:
	s_or_b64 exec, exec, s[14:15]
.LBB385_1002:
	s_or_b64 exec, exec, s[10:11]
	s_mov_b64 s[10:11], 0
	global_store_byte v[2:3], v4, off
.LBB385_1003:
	s_and_b64 vcc, exec, s[10:11]
	s_cbranch_vccz .LBB385_1013
; %bb.1004:
	v_cvt_f32_i32_sdwa v0, sext(v5) dst_sel:DWORD dst_unused:UNUSED_PAD src0_sel:WORD_0
	s_mov_b32 s10, 0x43f00000
                                        ; implicit-def: $vgpr1
	v_and_b32_e32 v4, 0x7fffffff, v0
	v_cmp_gt_u32_e32 vcc, s10, v4
	s_and_saveexec_b64 s[10:11], vcc
	s_xor_b64 s[10:11], exec, s[10:11]
	s_cbranch_execz .LBB385_1010
; %bb.1005:
	s_mov_b32 s12, 0x3c7fffff
	v_cmp_lt_u32_e32 vcc, s12, v4
                                        ; implicit-def: $vgpr1
	s_and_saveexec_b64 s[12:13], vcc
	s_xor_b64 s[12:13], exec, s[12:13]
; %bb.1006:
	v_bfe_u32 v1, v0, 20, 1
	s_mov_b32 s14, 0x407ffff
	v_add3_u32 v1, v0, v1, s14
	v_lshrrev_b32_e32 v4, 20, v1
	v_and_b32_e32 v1, 0xff00000, v1
	s_mov_b32 s14, 0x7f00000
	v_mov_b32_e32 v6, 0x7e
	v_cmp_ne_u32_e32 vcc, s14, v1
	s_nop 1
	v_cndmask_b32_e32 v1, v6, v4, vcc
; %bb.1007:
	s_andn2_saveexec_b64 s[12:13], s[12:13]
; %bb.1008:
	s_mov_b32 s14, 0x46800000
	v_add_f32_e64 v1, |v0|, s14
; %bb.1009:
	s_or_b64 exec, exec, s[12:13]
                                        ; implicit-def: $vgpr4
.LBB385_1010:
	s_andn2_saveexec_b64 s[10:11], s[10:11]
; %bb.1011:
	s_mov_b32 s12, 0x7f800000
	v_mov_b32_e32 v1, 0x7e
	v_mov_b32_e32 v6, 0x7f
	v_cmp_lt_u32_e32 vcc, s12, v4
	s_nop 1
	v_cndmask_b32_e32 v1, v1, v6, vcc
; %bb.1012:
	s_or_b64 exec, exec, s[10:11]
	v_lshrrev_b32_e32 v0, 24, v0
	s_movk_i32 s10, 0x80
	v_and_or_b32 v0, v0, s10, v1
	global_store_byte v[2:3], v0, off
.LBB385_1013:
	s_mov_b64 s[10:11], 0
.LBB385_1014:
	s_andn2_b64 vcc, exec, s[10:11]
	s_cbranch_vccnz .LBB385_1024
; %bb.1015:
	v_cvt_f32_i32_sdwa v0, sext(v5) dst_sel:DWORD dst_unused:UNUSED_PAD src0_sel:WORD_0
	s_mov_b32 s10, 0x47800000
                                        ; implicit-def: $vgpr1
	v_and_b32_e32 v4, 0x7fffffff, v0
	v_cmp_gt_u32_e32 vcc, s10, v4
	s_and_saveexec_b64 s[10:11], vcc
	s_xor_b64 s[10:11], exec, s[10:11]
	s_cbranch_execz .LBB385_1021
; %bb.1016:
	s_mov_b32 s12, 0x387fffff
	v_cmp_lt_u32_e32 vcc, s12, v4
                                        ; implicit-def: $vgpr1
	s_and_saveexec_b64 s[12:13], vcc
	s_xor_b64 s[12:13], exec, s[12:13]
; %bb.1017:
	v_bfe_u32 v1, v0, 21, 1
	s_mov_b32 s14, 0x80fffff
	v_add3_u32 v1, v0, v1, s14
	v_lshrrev_b32_e32 v1, 21, v1
; %bb.1018:
	s_andn2_saveexec_b64 s[12:13], s[12:13]
; %bb.1019:
	s_mov_b32 s14, 0x43000000
	v_add_f32_e64 v1, |v0|, s14
; %bb.1020:
	s_or_b64 exec, exec, s[12:13]
                                        ; implicit-def: $vgpr4
.LBB385_1021:
	s_andn2_saveexec_b64 s[10:11], s[10:11]
; %bb.1022:
	s_mov_b32 s12, 0x7f800000
	v_mov_b32_e32 v1, 0x7c
	v_mov_b32_e32 v6, 0x7f
	v_cmp_lt_u32_e32 vcc, s12, v4
	s_nop 1
	v_cndmask_b32_e32 v1, v1, v6, vcc
; %bb.1023:
	s_or_b64 exec, exec, s[10:11]
	v_lshrrev_b32_e32 v0, 24, v0
	s_movk_i32 s10, 0x80
	v_and_or_b32 v0, v0, s10, v1
	global_store_byte v[2:3], v0, off
.LBB385_1024:
	s_mov_b64 s[10:11], 0
.LBB385_1025:
	s_andn2_b64 vcc, exec, s[10:11]
	s_mov_b64 s[10:11], 0
	s_cbranch_vccnz .LBB385_1033
; %bb.1026:
	s_cmp_gt_i32 s17, 14
	s_mov_b64 s[12:13], -1
	s_cbranch_scc0 .LBB385_1030
; %bb.1027:
	s_cmp_eq_u32 s17, 15
	s_mov_b64 s[2:3], -1
	s_cbranch_scc0 .LBB385_1029
; %bb.1028:
	v_cvt_f32_i32_sdwa v0, sext(v5) dst_sel:DWORD dst_unused:UNUSED_PAD src0_sel:WORD_0
	s_movk_i32 s2, 0x7fff
	v_bfe_u32 v1, v0, 16, 1
	v_add3_u32 v0, v0, v1, s2
	global_store_short_d16_hi v[2:3], v0, off
	s_mov_b64 s[2:3], 0
.LBB385_1029:
	s_mov_b64 s[12:13], 0
.LBB385_1030:
	s_and_b64 vcc, exec, s[12:13]
	s_cbranch_vccz .LBB385_1033
; %bb.1031:
	s_cmp_lg_u32 s17, 11
	s_cselect_b64 s[12:13], -1, 0
	s_andn2_b64 s[2:3], s[2:3], exec
	s_and_b64 s[12:13], s[12:13], exec
	s_mov_b64 s[10:11], -1
	s_or_b64 s[2:3], s[2:3], s[12:13]
	s_branch .LBB385_1033
.LBB385_1032:
	s_mov_b64 s[10:11], 0
.LBB385_1033:
	s_andn2_b64 s[12:13], s[54:55], exec
	s_and_b64 s[2:3], s[2:3], exec
	s_and_b64 s[8:9], s[8:9], exec
	;; [unrolled: 1-line block ×3, first 2 shown]
	s_or_b64 s[54:55], s[12:13], s[2:3]
	s_or_b64 exec, exec, s[6:7]
	s_and_saveexec_b64 s[2:3], s[54:55]
	s_cbranch_execz .LBB385_962
.LBB385_1034:
	s_or_b64 s[4:5], s[4:5], exec
	s_andn2_b64 s[10:11], s[10:11], exec
	s_trap 2
	s_or_b64 exec, exec, s[2:3]
	s_and_saveexec_b64 s[2:3], s[10:11]
	s_xor_b64 s[2:3], exec, s[2:3]
	s_cbranch_execnz .LBB385_963
.LBB385_1035:
	s_or_b64 exec, exec, s[2:3]
	s_and_saveexec_b64 s[2:3], s[8:9]
	s_xor_b64 s[2:3], exec, s[2:3]
	s_cbranch_execz .LBB385_1073
.LBB385_1036:
	s_sext_i32_i16 s8, s16
	s_cmp_lt_i32 s8, 5
	s_mov_b64 s[6:7], -1
	s_cbranch_scc1 .LBB385_1057
; %bb.1037:
	s_cmp_lt_i32 s8, 8
	s_cbranch_scc1 .LBB385_1047
; %bb.1038:
	s_cmp_lt_i32 s8, 9
	s_cbranch_scc1 .LBB385_1044
; %bb.1039:
	s_cmp_gt_i32 s8, 9
	s_cbranch_scc0 .LBB385_1041
; %bb.1040:
	s_waitcnt vmcnt(0)
	v_bfe_i32 v0, v5, 0, 16
	v_mov_b32_e32 v8, 0
	v_cvt_f64_i32_e32 v[6:7], v0
	v_mov_b32_e32 v9, v8
	s_mov_b64 s[6:7], 0
	global_store_dwordx4 v[2:3], v[6:9], off
.LBB385_1041:
	s_andn2_b64 vcc, exec, s[6:7]
	s_cbranch_vccnz .LBB385_1043
; %bb.1042:
	s_waitcnt vmcnt(0)
	v_cvt_f32_i32_sdwa v0, sext(v5) dst_sel:DWORD dst_unused:UNUSED_PAD src0_sel:WORD_0
	v_mov_b32_e32 v1, 0
	global_store_dwordx2 v[2:3], v[0:1], off
.LBB385_1043:
	s_mov_b64 s[6:7], 0
.LBB385_1044:
	s_andn2_b64 vcc, exec, s[6:7]
	s_cbranch_vccnz .LBB385_1046
; %bb.1045:
	s_waitcnt vmcnt(0)
	v_cvt_f16_i16_e32 v0, v5
	global_store_dword v[2:3], v0, off
.LBB385_1046:
	s_mov_b64 s[6:7], 0
.LBB385_1047:
	s_andn2_b64 vcc, exec, s[6:7]
	s_cbranch_vccnz .LBB385_1056
; %bb.1048:
	s_sext_i32_i16 s8, s16
	s_cmp_lt_i32 s8, 6
	s_mov_b64 s[6:7], -1
	s_cbranch_scc1 .LBB385_1054
; %bb.1049:
	s_cmp_gt_i32 s8, 6
	s_cbranch_scc0 .LBB385_1051
; %bb.1050:
	s_waitcnt vmcnt(0)
	v_bfe_i32 v0, v5, 0, 16
	v_cvt_f64_i32_e32 v[0:1], v0
	s_mov_b64 s[6:7], 0
	global_store_dwordx2 v[2:3], v[0:1], off
.LBB385_1051:
	s_andn2_b64 vcc, exec, s[6:7]
	s_cbranch_vccnz .LBB385_1053
; %bb.1052:
	s_waitcnt vmcnt(0)
	v_cvt_f32_i32_sdwa v0, sext(v5) dst_sel:DWORD dst_unused:UNUSED_PAD src0_sel:WORD_0
	global_store_dword v[2:3], v0, off
.LBB385_1053:
	s_mov_b64 s[6:7], 0
.LBB385_1054:
	s_andn2_b64 vcc, exec, s[6:7]
	s_cbranch_vccnz .LBB385_1056
; %bb.1055:
	s_waitcnt vmcnt(0)
	v_cvt_f16_i16_e32 v0, v5
	global_store_short v[2:3], v0, off
.LBB385_1056:
	s_mov_b64 s[6:7], 0
.LBB385_1057:
	s_andn2_b64 vcc, exec, s[6:7]
	s_cbranch_vccnz .LBB385_1073
; %bb.1058:
	s_sext_i32_i16 s8, s16
	s_cmp_lt_i32 s8, 2
	s_mov_b64 s[6:7], -1
	s_cbranch_scc1 .LBB385_1068
; %bb.1059:
	s_cmp_lt_i32 s8, 3
	s_cbranch_scc1 .LBB385_1065
; %bb.1060:
	s_cmp_gt_i32 s8, 3
	s_cbranch_scc0 .LBB385_1062
; %bb.1061:
	s_waitcnt vmcnt(0)
	v_bfe_i32 v0, v5, 0, 16
	v_ashrrev_i32_e32 v1, 31, v0
	s_mov_b64 s[6:7], 0
	global_store_dwordx2 v[2:3], v[0:1], off
.LBB385_1062:
	s_andn2_b64 vcc, exec, s[6:7]
	s_cbranch_vccnz .LBB385_1064
; %bb.1063:
	s_waitcnt vmcnt(0)
	v_bfe_i32 v0, v5, 0, 16
	global_store_dword v[2:3], v0, off
.LBB385_1064:
	s_mov_b64 s[6:7], 0
.LBB385_1065:
	s_andn2_b64 vcc, exec, s[6:7]
	s_cbranch_vccnz .LBB385_1067
; %bb.1066:
	s_waitcnt vmcnt(0)
	global_store_short v[2:3], v5, off
.LBB385_1067:
	s_mov_b64 s[6:7], 0
.LBB385_1068:
	s_andn2_b64 vcc, exec, s[6:7]
	s_cbranch_vccnz .LBB385_1073
; %bb.1069:
	s_sext_i32_i16 s6, s16
	s_cmp_gt_i32 s6, 0
	s_mov_b64 s[6:7], -1
	s_cbranch_scc0 .LBB385_1071
; %bb.1070:
	s_mov_b64 s[6:7], 0
	s_waitcnt vmcnt(0)
	global_store_byte v[2:3], v5, off
.LBB385_1071:
	s_andn2_b64 vcc, exec, s[6:7]
	s_cbranch_vccnz .LBB385_1073
; %bb.1072:
	s_waitcnt vmcnt(0)
	global_store_byte v[2:3], v5, off
.LBB385_1073:
	s_or_b64 exec, exec, s[2:3]
	s_and_b64 s[24:25], s[4:5], exec
                                        ; implicit-def: $vgpr16
                                        ; implicit-def: $vgpr8
.LBB385_1074:
	s_or_saveexec_b64 s[26:27], s[44:45]
	s_mov_b64 s[6:7], 0
                                        ; implicit-def: $vgpr0_vgpr1
                                        ; implicit-def: $sgpr14
                                        ; implicit-def: $vgpr2
	s_xor_b64 exec, exec, s[26:27]
	s_cbranch_execz .LBB385_2061
; %bb.1075:
	v_cndmask_b32_e64 v0, 0, 1, s[42:43]
	v_cmp_ne_u32_e64 s[2:3], 1, v0
	s_andn2_b64 vcc, exec, s[42:43]
	s_cbranch_vccnz .LBB385_1081
; %bb.1076:
	s_cmp_lg_u32 s33, 0
	s_mov_b32 s36, 0
	s_cbranch_scc0 .LBB385_1082
; %bb.1077:
	s_min_u32 s37, s72, 15
	s_add_i32 s37, s37, 1
	s_cmp_eq_u32 s72, 2
	s_cbranch_scc1 .LBB385_1083
; %bb.1078:
	s_and_b32 s36, s37, 28
	s_add_u32 s28, s34, 0xc4
	s_addc_u32 s29, s35, 0
	s_mov_b32 s38, 0
	v_mov_b32_e32 v6, 0
	v_mov_b32_e32 v14, 0
	s_mov_b64 s[30:31], s[34:35]
	v_mov_b32_e32 v0, v8
.LBB385_1079:                           ; =>This Inner Loop Header: Depth=1
	s_load_dwordx8 s[12:19], s[30:31], 0x4
	s_load_dwordx4 s[20:23], s[30:31], 0x24
	s_load_dwordx8 s[4:11], s[28:29], 0x0
	s_add_u32 s30, s30, 48
	s_addc_u32 s31, s31, 0
	s_waitcnt lgkmcnt(0)
	v_mul_hi_u32 v1, s13, v0
	v_add_u32_e32 v1, v0, v1
	v_lshrrev_b32_e32 v1, s14, v1
	v_mul_lo_u32 v2, v1, s12
	v_mul_hi_u32 v3, s16, v1
	v_sub_u32_e32 v0, v0, v2
	v_add_u32_e32 v2, v1, v3
	v_lshrrev_b32_e32 v2, s17, v2
	s_waitcnt vmcnt(0)
	v_mul_lo_u32 v4, v2, s15
	v_mul_hi_u32 v5, s19, v2
	v_sub_u32_e32 v1, v1, v4
	v_add_u32_e32 v4, v2, v5
	v_mul_lo_u32 v3, v0, s5
	v_mul_lo_u32 v0, v0, s4
	;; [unrolled: 1-line block ×4, first 2 shown]
	v_lshrrev_b32_e32 v4, s20, v4
	v_add3_u32 v1, v0, v6, v1
	v_add3_u32 v3, v3, v14, v5
	v_mul_lo_u32 v0, v4, s18
	v_mul_hi_u32 v5, s22, v4
	v_sub_u32_e32 v0, v2, v0
	v_add_u32_e32 v2, v4, v5
	v_mul_lo_u32 v5, v0, s8
	v_mul_lo_u32 v6, v0, s9
	v_lshrrev_b32_e32 v0, s23, v2
	s_add_i32 s38, s38, 4
	v_mul_lo_u32 v2, v0, s21
	s_add_u32 s28, s28, 32
	v_sub_u32_e32 v2, v4, v2
	s_addc_u32 s29, s29, 0
	v_mul_lo_u32 v4, v2, s10
	v_mul_lo_u32 v2, v2, s11
	s_cmp_lg_u32 s36, s38
	v_add3_u32 v14, v6, v3, v2
	v_add3_u32 v6, v5, v1, v4
	s_cbranch_scc1 .LBB385_1079
; %bb.1080:
	v_mov_b32_e32 v1, v14
	s_and_b32 s8, s37, 3
	s_cmp_eq_u32 s8, 0
	s_cbranch_scc0 .LBB385_1084
	s_branch .LBB385_1086
.LBB385_1081:
                                        ; implicit-def: $vgpr14
                                        ; implicit-def: $vgpr6
	s_branch .LBB385_1087
.LBB385_1082:
	v_mov_b32_e32 v14, 0
	v_mov_b32_e32 v6, 0
	s_branch .LBB385_1086
.LBB385_1083:
	v_mov_b32_e32 v6, 0
                                        ; implicit-def: $vgpr14
	v_mov_b32_e32 v1, v6
	v_mov_b32_e32 v0, v8
	s_and_b32 s8, s37, 3
	s_cmp_eq_u32 s8, 0
	s_cbranch_scc1 .LBB385_1086
.LBB385_1084:
	s_lshl_b32 s4, s36, 3
	s_add_u32 s4, s34, s4
	s_addc_u32 s5, s35, 0
	s_add_u32 s4, s4, 0xc4
	s_addc_u32 s5, s5, 0
	s_mul_i32 s6, s36, 12
	s_add_u32 s6, s34, s6
	s_addc_u32 s7, s35, 0
.LBB385_1085:                           ; =>This Inner Loop Header: Depth=1
	s_load_dwordx2 s[10:11], s[6:7], 0x4
	s_load_dword s9, s[6:7], 0xc
	s_load_dwordx2 s[12:13], s[4:5], 0x0
	v_mov_b32_e32 v2, v1
	s_add_u32 s6, s6, 12
	s_waitcnt lgkmcnt(0)
	v_mul_hi_u32 v1, s11, v0
	v_add_u32_e32 v1, v0, v1
	v_lshrrev_b32_e32 v1, s9, v1
	s_addc_u32 s7, s7, 0
	v_mul_lo_u32 v3, v1, s10
	s_add_u32 s4, s4, 8
	v_sub_u32_e32 v3, v0, v3
	s_addc_u32 s5, s5, 0
	s_add_i32 s8, s8, -1
	v_mad_u64_u32 v[14:15], s[10:11], v3, s13, v[2:3]
	s_cmp_lg_u32 s8, 0
	v_mov_b32_e32 v0, v1
	v_mad_u64_u32 v[6:7], s[10:11], v3, s12, v[6:7]
	v_mov_b32_e32 v1, v14
	s_cbranch_scc1 .LBB385_1085
.LBB385_1086:
	s_cbranch_execnz .LBB385_1089
.LBB385_1087:
	s_load_dwordx4 s[4:7], s[34:35], 0x4
	s_load_dwordx2 s[8:9], s[34:35], 0xc4
	s_cmp_lt_u32 s33, 2
	s_waitcnt lgkmcnt(0)
	v_mul_hi_u32 v0, s5, v8
	v_add_u32_e32 v0, v8, v0
	v_lshrrev_b32_e32 v0, s6, v0
	v_mul_lo_u32 v1, v0, s4
	v_sub_u32_e32 v1, v8, v1
	v_mul_lo_u32 v14, v1, s9
	v_mul_lo_u32 v6, v1, s8
	s_cbranch_scc1 .LBB385_1089
; %bb.1088:
	s_load_dwordx4 s[4:7], s[34:35], 0x10
	s_load_dwordx2 s[8:9], s[34:35], 0xcc
	s_waitcnt lgkmcnt(0)
	v_mul_hi_u32 v1, s5, v0
	v_add_u32_e32 v1, v0, v1
	v_lshrrev_b32_e32 v1, s6, v1
	v_mul_lo_u32 v1, v1, s4
	v_sub_u32_e32 v0, v0, v1
	v_mad_u64_u32 v[6:7], s[4:5], v0, s8, v[6:7]
	v_mad_u64_u32 v[14:15], s[4:5], v0, s9, v[14:15]
.LBB385_1089:
	s_and_b64 vcc, exec, s[2:3]
	v_add_u32_e32 v0, 0x80, v8
	s_cbranch_vccnz .LBB385_1095
; %bb.1090:
	s_cmp_lg_u32 s33, 0
	s_mov_b32 s36, 0
	s_cbranch_scc0 .LBB385_1096
; %bb.1091:
	s_min_u32 s37, s72, 15
	s_add_i32 s37, s37, 1
	s_cmp_eq_u32 s72, 2
	s_cbranch_scc1 .LBB385_1097
; %bb.1092:
	s_and_b32 s36, s37, 28
	s_add_u32 s28, s34, 0xc4
	s_addc_u32 s29, s35, 0
	s_mov_b32 s38, 0
	s_waitcnt vmcnt(0)
	v_mov_b32_e32 v4, 0
	v_mov_b32_e32 v12, 0
	s_mov_b64 s[30:31], s[34:35]
	v_mov_b32_e32 v2, v0
.LBB385_1093:                           ; =>This Inner Loop Header: Depth=1
	s_load_dwordx8 s[12:19], s[30:31], 0x4
	s_load_dwordx4 s[20:23], s[30:31], 0x24
	s_load_dwordx8 s[4:11], s[28:29], 0x0
	s_add_u32 s30, s30, 48
	s_addc_u32 s31, s31, 0
	s_waitcnt lgkmcnt(0)
	v_mul_hi_u32 v1, s13, v2
	v_add_u32_e32 v1, v2, v1
	v_lshrrev_b32_e32 v1, s14, v1
	v_mul_lo_u32 v3, v1, s12
	v_mul_hi_u32 v5, s16, v1
	v_sub_u32_e32 v2, v2, v3
	v_add_u32_e32 v3, v1, v5
	v_lshrrev_b32_e32 v3, s17, v3
	v_mul_lo_u32 v7, v3, s15
	v_mul_hi_u32 v9, s19, v3
	v_sub_u32_e32 v1, v1, v7
	v_add_u32_e32 v7, v3, v9
	v_mul_lo_u32 v5, v2, s5
	v_mul_lo_u32 v2, v2, s4
	;; [unrolled: 1-line block ×4, first 2 shown]
	v_lshrrev_b32_e32 v7, s20, v7
	v_add3_u32 v1, v2, v4, v1
	v_add3_u32 v4, v5, v12, v9
	v_mul_lo_u32 v2, v7, s18
	v_mul_hi_u32 v5, s22, v7
	v_sub_u32_e32 v2, v3, v2
	v_add_u32_e32 v3, v7, v5
	v_mul_lo_u32 v5, v2, s8
	v_mul_lo_u32 v9, v2, s9
	v_lshrrev_b32_e32 v2, s23, v3
	s_add_i32 s38, s38, 4
	v_mul_lo_u32 v3, v2, s21
	s_add_u32 s28, s28, 32
	v_sub_u32_e32 v3, v7, v3
	s_addc_u32 s29, s29, 0
	v_mul_lo_u32 v7, v3, s10
	v_mul_lo_u32 v3, v3, s11
	s_cmp_lg_u32 s36, s38
	v_add3_u32 v12, v9, v4, v3
	v_add3_u32 v4, v5, v1, v7
	s_cbranch_scc1 .LBB385_1093
; %bb.1094:
	v_mov_b32_e32 v1, v12
	s_and_b32 s8, s37, 3
	s_cmp_eq_u32 s8, 0
	s_cbranch_scc0 .LBB385_1098
	s_branch .LBB385_1100
.LBB385_1095:
                                        ; implicit-def: $vgpr12
                                        ; implicit-def: $vgpr4
	s_branch .LBB385_1101
.LBB385_1096:
	v_mov_b32_e32 v12, 0
	s_waitcnt vmcnt(0)
	v_mov_b32_e32 v4, 0
	s_branch .LBB385_1100
.LBB385_1097:
	s_waitcnt vmcnt(0)
	v_mov_b32_e32 v4, 0
                                        ; implicit-def: $vgpr12
	v_mov_b32_e32 v1, v4
	v_mov_b32_e32 v2, v0
	s_and_b32 s8, s37, 3
	s_cmp_eq_u32 s8, 0
	s_cbranch_scc1 .LBB385_1100
.LBB385_1098:
	s_lshl_b32 s4, s36, 3
	s_add_u32 s4, s34, s4
	s_addc_u32 s5, s35, 0
	s_add_u32 s4, s4, 0xc4
	s_addc_u32 s5, s5, 0
	s_mul_i32 s6, s36, 12
	s_add_u32 s6, s34, s6
	s_addc_u32 s7, s35, 0
.LBB385_1099:                           ; =>This Inner Loop Header: Depth=1
	s_load_dwordx2 s[10:11], s[6:7], 0x4
	s_load_dword s9, s[6:7], 0xc
	s_load_dwordx2 s[12:13], s[4:5], 0x0
	v_mov_b32_e32 v10, v1
	s_add_u32 s6, s6, 12
	s_waitcnt lgkmcnt(0)
	v_mul_hi_u32 v1, s11, v2
	v_add_u32_e32 v1, v2, v1
	v_lshrrev_b32_e32 v1, s9, v1
	s_addc_u32 s7, s7, 0
	v_mul_lo_u32 v3, v1, s10
	s_add_u32 s4, s4, 8
	v_sub_u32_e32 v3, v2, v3
	s_addc_u32 s5, s5, 0
	s_add_i32 s8, s8, -1
	v_mad_u64_u32 v[12:13], s[10:11], v3, s13, v[10:11]
	s_cmp_lg_u32 s8, 0
	v_mov_b32_e32 v2, v1
	v_mad_u64_u32 v[4:5], s[10:11], v3, s12, v[4:5]
	v_mov_b32_e32 v1, v12
	s_cbranch_scc1 .LBB385_1099
.LBB385_1100:
	s_cbranch_execnz .LBB385_1103
.LBB385_1101:
	s_load_dwordx4 s[4:7], s[34:35], 0x4
	s_load_dwordx2 s[8:9], s[34:35], 0xc4
	s_cmp_lt_u32 s33, 2
	s_waitcnt lgkmcnt(0)
	v_mul_hi_u32 v1, s5, v0
	v_add_u32_e32 v1, v0, v1
	v_lshrrev_b32_e32 v1, s6, v1
	v_mul_lo_u32 v2, v1, s4
	v_sub_u32_e32 v0, v0, v2
	v_mul_lo_u32 v12, v0, s9
	s_waitcnt vmcnt(0)
	v_mul_lo_u32 v4, v0, s8
	s_cbranch_scc1 .LBB385_1103
; %bb.1102:
	s_load_dwordx4 s[4:7], s[34:35], 0x10
	s_load_dwordx2 s[8:9], s[34:35], 0xcc
	s_waitcnt lgkmcnt(0)
	v_mul_hi_u32 v0, s5, v1
	v_add_u32_e32 v0, v1, v0
	v_lshrrev_b32_e32 v0, s6, v0
	v_mul_lo_u32 v0, v0, s4
	v_sub_u32_e32 v0, v1, v0
	v_mad_u64_u32 v[4:5], s[4:5], v0, s8, v[4:5]
	v_mad_u64_u32 v[12:13], s[4:5], v0, s9, v[12:13]
.LBB385_1103:
	s_and_b64 vcc, exec, s[2:3]
	v_add_u32_e32 v0, 0x100, v8
	s_cbranch_vccnz .LBB385_1109
; %bb.1104:
	s_cmp_lg_u32 s33, 0
	s_mov_b32 s36, 0
	s_cbranch_scc0 .LBB385_1110
; %bb.1105:
	s_min_u32 s37, s72, 15
	s_add_i32 s37, s37, 1
	s_cmp_eq_u32 s72, 2
	s_cbranch_scc1 .LBB385_1111
; %bb.1106:
	s_and_b32 s36, s37, 28
	s_add_u32 s28, s34, 0xc4
	s_addc_u32 s29, s35, 0
	s_mov_b32 s38, 0
	v_mov_b32_e32 v2, 0
	v_mov_b32_e32 v10, 0
	s_mov_b64 s[30:31], s[34:35]
	s_waitcnt vmcnt(0)
	v_mov_b32_e32 v5, v0
.LBB385_1107:                           ; =>This Inner Loop Header: Depth=1
	s_load_dwordx8 s[12:19], s[30:31], 0x4
	s_load_dwordx4 s[20:23], s[30:31], 0x24
	s_load_dwordx8 s[4:11], s[28:29], 0x0
	s_add_u32 s30, s30, 48
	s_addc_u32 s31, s31, 0
	s_waitcnt lgkmcnt(0)
	v_mul_hi_u32 v1, s13, v5
	v_add_u32_e32 v1, v5, v1
	v_lshrrev_b32_e32 v1, s14, v1
	v_mul_lo_u32 v3, v1, s12
	v_mul_hi_u32 v7, s16, v1
	v_sub_u32_e32 v3, v5, v3
	v_add_u32_e32 v5, v1, v7
	v_lshrrev_b32_e32 v5, s17, v5
	v_mul_lo_u32 v8, v5, s15
	v_mul_hi_u32 v9, s19, v5
	v_sub_u32_e32 v1, v1, v8
	v_add_u32_e32 v8, v5, v9
	v_mul_lo_u32 v7, v3, s5
	v_mul_lo_u32 v3, v3, s4
	v_mul_lo_u32 v9, v1, s7
	v_mul_lo_u32 v1, v1, s6
	v_lshrrev_b32_e32 v8, s20, v8
	v_add3_u32 v1, v3, v2, v1
	v_add3_u32 v2, v7, v10, v9
	v_mul_lo_u32 v3, v8, s18
	v_mul_hi_u32 v7, s22, v8
	v_sub_u32_e32 v3, v5, v3
	v_add_u32_e32 v5, v8, v7
	v_lshrrev_b32_e32 v5, s23, v5
	s_add_i32 s38, s38, 4
	v_mul_lo_u32 v9, v5, s21
	s_add_u32 s28, s28, 32
	v_sub_u32_e32 v8, v8, v9
	s_addc_u32 s29, s29, 0
	v_mul_lo_u32 v7, v3, s8
	v_mul_lo_u32 v3, v3, s9
	;; [unrolled: 1-line block ×4, first 2 shown]
	s_cmp_lg_u32 s36, s38
	v_add3_u32 v10, v3, v2, v8
	v_add3_u32 v2, v7, v1, v9
	s_cbranch_scc1 .LBB385_1107
; %bb.1108:
	v_mov_b32_e32 v1, v10
	s_and_b32 s8, s37, 3
	s_cmp_eq_u32 s8, 0
	s_cbranch_scc0 .LBB385_1112
	s_branch .LBB385_1114
.LBB385_1109:
                                        ; implicit-def: $vgpr10
                                        ; implicit-def: $vgpr2
	s_branch .LBB385_1115
.LBB385_1110:
	v_mov_b32_e32 v10, 0
	v_mov_b32_e32 v2, 0
	s_branch .LBB385_1114
.LBB385_1111:
	v_mov_b32_e32 v2, 0
                                        ; implicit-def: $vgpr10
	v_mov_b32_e32 v1, v2
	s_waitcnt vmcnt(0)
	v_mov_b32_e32 v5, v0
	s_and_b32 s8, s37, 3
	s_cmp_eq_u32 s8, 0
	s_cbranch_scc1 .LBB385_1114
.LBB385_1112:
	s_lshl_b32 s4, s36, 3
	s_add_u32 s4, s34, s4
	s_addc_u32 s5, s35, 0
	s_add_u32 s4, s4, 0xc4
	s_addc_u32 s5, s5, 0
	s_mul_i32 s6, s36, 12
	s_add_u32 s6, s34, s6
	s_addc_u32 s7, s35, 0
.LBB385_1113:                           ; =>This Inner Loop Header: Depth=1
	s_load_dwordx2 s[10:11], s[6:7], 0x4
	s_load_dword s9, s[6:7], 0xc
	s_load_dwordx2 s[12:13], s[4:5], 0x0
	v_mov_b32_e32 v8, v1
	s_add_u32 s6, s6, 12
	s_waitcnt lgkmcnt(0)
	v_mul_hi_u32 v1, s11, v5
	v_add_u32_e32 v1, v5, v1
	v_lshrrev_b32_e32 v1, s9, v1
	s_addc_u32 s7, s7, 0
	v_mul_lo_u32 v3, v1, s10
	s_add_u32 s4, s4, 8
	v_sub_u32_e32 v3, v5, v3
	s_addc_u32 s5, s5, 0
	s_add_i32 s8, s8, -1
	v_mad_u64_u32 v[10:11], s[10:11], v3, s13, v[8:9]
	s_cmp_lg_u32 s8, 0
	v_mov_b32_e32 v5, v1
	v_mad_u64_u32 v[2:3], s[10:11], v3, s12, v[2:3]
	v_mov_b32_e32 v1, v10
	s_cbranch_scc1 .LBB385_1113
.LBB385_1114:
	s_cbranch_execnz .LBB385_1117
.LBB385_1115:
	s_load_dwordx4 s[4:7], s[34:35], 0x4
	s_load_dwordx2 s[8:9], s[34:35], 0xc4
	s_cmp_lt_u32 s33, 2
	s_waitcnt lgkmcnt(0)
	v_mul_hi_u32 v1, s5, v0
	v_add_u32_e32 v1, v0, v1
	v_lshrrev_b32_e32 v1, s6, v1
	v_mul_lo_u32 v2, v1, s4
	v_sub_u32_e32 v0, v0, v2
	v_mul_lo_u32 v10, v0, s9
	v_mul_lo_u32 v2, v0, s8
	s_cbranch_scc1 .LBB385_1117
; %bb.1116:
	s_load_dwordx4 s[4:7], s[34:35], 0x10
	s_load_dwordx2 s[8:9], s[34:35], 0xcc
	s_waitcnt lgkmcnt(0)
	v_mul_hi_u32 v0, s5, v1
	v_add_u32_e32 v0, v1, v0
	v_lshrrev_b32_e32 v0, s6, v0
	v_mul_lo_u32 v0, v0, s4
	v_sub_u32_e32 v0, v1, v0
	v_mad_u64_u32 v[2:3], s[4:5], v0, s8, v[2:3]
	v_mad_u64_u32 v[10:11], s[4:5], v0, s9, v[10:11]
.LBB385_1117:
	s_and_b64 vcc, exec, s[2:3]
	s_cbranch_vccnz .LBB385_1123
; %bb.1118:
	s_cmp_lg_u32 s33, 0
	s_mov_b32 s30, 0
	s_cbranch_scc0 .LBB385_1124
; %bb.1119:
	s_min_u32 s31, s72, 15
	s_add_i32 s31, s31, 1
	s_cmp_eq_u32 s72, 2
	s_cbranch_scc1 .LBB385_1125
; %bb.1120:
	s_and_b32 s30, s31, 28
	s_add_u32 s2, s34, 0xc4
	s_addc_u32 s3, s35, 0
	s_mov_b32 s36, 0
	v_mov_b32_e32 v0, 0
	v_mov_b32_e32 v8, 0
	s_mov_b64 s[28:29], s[34:35]
	v_mov_b32_e32 v3, v16
.LBB385_1121:                           ; =>This Inner Loop Header: Depth=1
	s_load_dwordx8 s[12:19], s[28:29], 0x4
	s_load_dwordx4 s[20:23], s[28:29], 0x24
	s_load_dwordx8 s[4:11], s[2:3], 0x0
	s_add_u32 s28, s28, 48
	s_addc_u32 s29, s29, 0
	s_waitcnt lgkmcnt(0)
	v_mul_hi_u32 v1, s13, v3
	v_add_u32_e32 v1, v3, v1
	v_lshrrev_b32_e32 v1, s14, v1
	s_waitcnt vmcnt(0)
	v_mul_lo_u32 v5, v1, s12
	v_mul_hi_u32 v7, s16, v1
	v_sub_u32_e32 v3, v3, v5
	v_add_u32_e32 v5, v1, v7
	v_lshrrev_b32_e32 v5, s17, v5
	v_mul_lo_u32 v9, v5, s15
	v_mul_hi_u32 v11, s19, v5
	v_sub_u32_e32 v1, v1, v9
	v_add_u32_e32 v9, v5, v11
	v_mul_lo_u32 v7, v3, s5
	v_mul_lo_u32 v3, v3, s4
	;; [unrolled: 1-line block ×4, first 2 shown]
	v_lshrrev_b32_e32 v9, s20, v9
	v_add3_u32 v0, v3, v0, v1
	v_add3_u32 v1, v7, v8, v11
	v_mul_lo_u32 v3, v9, s18
	v_mul_hi_u32 v7, s22, v9
	v_sub_u32_e32 v3, v5, v3
	v_add_u32_e32 v5, v9, v7
	v_mul_lo_u32 v7, v3, s8
	v_mul_lo_u32 v8, v3, s9
	v_lshrrev_b32_e32 v3, s23, v5
	s_add_i32 s36, s36, 4
	v_mul_lo_u32 v5, v3, s21
	s_add_u32 s2, s2, 32
	v_sub_u32_e32 v5, v9, v5
	s_addc_u32 s3, s3, 0
	v_mul_lo_u32 v9, v5, s10
	v_mul_lo_u32 v5, v5, s11
	s_cmp_lg_u32 s30, s36
	v_add3_u32 v8, v8, v1, v5
	v_add3_u32 v0, v7, v0, v9
	s_cbranch_scc1 .LBB385_1121
; %bb.1122:
	v_mov_b32_e32 v1, v8
	s_and_b32 s6, s31, 3
	s_cmp_eq_u32 s6, 0
	s_cbranch_scc0 .LBB385_1126
	s_branch .LBB385_1128
.LBB385_1123:
                                        ; implicit-def: $vgpr8
                                        ; implicit-def: $vgpr0
	s_branch .LBB385_1129
.LBB385_1124:
	v_mov_b32_e32 v8, 0
	v_mov_b32_e32 v0, 0
	s_branch .LBB385_1128
.LBB385_1125:
	v_mov_b32_e32 v0, 0
                                        ; implicit-def: $vgpr8
	v_mov_b32_e32 v1, v0
	v_mov_b32_e32 v3, v16
	s_and_b32 s6, s31, 3
	s_cmp_eq_u32 s6, 0
	s_cbranch_scc1 .LBB385_1128
.LBB385_1126:
	s_lshl_b32 s2, s30, 3
	s_add_u32 s2, s34, s2
	s_addc_u32 s3, s35, 0
	s_add_u32 s2, s2, 0xc4
	s_addc_u32 s3, s3, 0
	s_mul_i32 s4, s30, 12
	s_add_u32 s4, s34, s4
	s_addc_u32 s5, s35, 0
.LBB385_1127:                           ; =>This Inner Loop Header: Depth=1
	s_load_dwordx2 s[8:9], s[4:5], 0x4
	s_load_dword s7, s[4:5], 0xc
	s_load_dwordx2 s[10:11], s[2:3], 0x0
	v_mov_b32_e32 v8, v1
	s_add_u32 s4, s4, 12
	s_waitcnt lgkmcnt(0)
	v_mul_hi_u32 v1, s9, v3
	v_add_u32_e32 v1, v3, v1
	v_lshrrev_b32_e32 v1, s7, v1
	s_addc_u32 s5, s5, 0
	s_waitcnt vmcnt(0)
	v_mul_lo_u32 v5, v1, s8
	s_add_u32 s2, s2, 8
	v_sub_u32_e32 v5, v3, v5
	s_addc_u32 s3, s3, 0
	s_add_i32 s6, s6, -1
	v_mov_b32_e32 v3, v1
	v_mad_u64_u32 v[8:9], s[8:9], v5, s11, v[8:9]
	v_mad_u64_u32 v[0:1], s[8:9], v5, s10, v[0:1]
	s_cmp_lg_u32 s6, 0
	v_mov_b32_e32 v1, v8
	s_cbranch_scc1 .LBB385_1127
.LBB385_1128:
	s_cbranch_execnz .LBB385_1131
.LBB385_1129:
	s_load_dwordx4 s[4:7], s[34:35], 0x4
	s_load_dwordx2 s[2:3], s[34:35], 0xc4
	s_cmp_lt_u32 s33, 2
	s_waitcnt lgkmcnt(0)
	v_mul_hi_u32 v0, s5, v16
	v_add_u32_e32 v0, v16, v0
	v_lshrrev_b32_e32 v1, s6, v0
	v_mul_lo_u32 v0, v1, s4
	v_sub_u32_e32 v0, v16, v0
	v_mul_lo_u32 v8, v0, s3
	v_mul_lo_u32 v0, v0, s2
	s_cbranch_scc1 .LBB385_1131
; %bb.1130:
	s_load_dwordx4 s[4:7], s[34:35], 0x10
	s_load_dwordx2 s[2:3], s[34:35], 0xcc
	s_waitcnt lgkmcnt(0)
	v_mul_hi_u32 v3, s5, v1
	v_add_u32_e32 v3, v1, v3
	v_lshrrev_b32_e32 v3, s6, v3
	v_mul_lo_u32 v3, v3, s4
	v_sub_u32_e32 v3, v1, v3
	v_mad_u64_u32 v[0:1], s[4:5], v3, s2, v[0:1]
	v_mad_u64_u32 v[8:9], s[2:3], v3, s3, v[8:9]
.LBB385_1131:
	s_load_dword s14, s[0:1], 0x160
	s_load_dwordx4 s[4:7], s[34:35], 0x148
	v_mov_b32_e32 v15, 0
	s_waitcnt lgkmcnt(0)
	s_lshr_b32 s12, s14, 24
	s_cmp_lt_i32 s12, 11
	v_lshl_add_u64 v[16:17], s[6:7], 0, v[14:15]
	s_cbranch_scc1 .LBB385_1138
; %bb.1132:
	s_and_b32 s13, 0xffff, s12
	s_cmp_gt_i32 s13, 25
	s_mov_b64 s[8:9], 0
	s_cbranch_scc0 .LBB385_1140
; %bb.1133:
	s_cmp_gt_i32 s13, 28
	s_cbranch_scc0 .LBB385_1141
; %bb.1134:
	s_cmp_gt_i32 s13, 43
	;; [unrolled: 3-line block ×3, first 2 shown]
	s_cbranch_scc0 .LBB385_1143
; %bb.1136:
	s_cmp_eq_u32 s13, 46
	s_mov_b64 s[2:3], 0
	s_cbranch_scc0 .LBB385_1146
; %bb.1137:
	global_load_dword v1, v[16:17], off
	s_mov_b64 s[0:1], 0
	s_mov_b64 s[10:11], -1
	s_waitcnt vmcnt(0)
	v_lshlrev_b32_e32 v1, 16, v1
	v_cvt_i32_f32_e32 v14, v1
	s_branch .LBB385_1147
.LBB385_1138:
	s_mov_b64 s[10:11], 0
                                        ; implicit-def: $vgpr14
	s_mov_b64 s[2:3], s[24:25]
	s_cbranch_execnz .LBB385_1205
.LBB385_1139:
	s_andn2_b64 vcc, exec, s[10:11]
	s_cbranch_vccz .LBB385_1250
	s_branch .LBB385_2059
.LBB385_1140:
	s_mov_b64 s[10:11], 0
	s_mov_b64 s[0:1], 0
                                        ; implicit-def: $vgpr14
	s_cbranch_execnz .LBB385_1172
	s_branch .LBB385_1201
.LBB385_1141:
	s_mov_b64 s[10:11], 0
	s_mov_b64 s[0:1], 0
                                        ; implicit-def: $vgpr14
	s_cbranch_execz .LBB385_1171
	s_branch .LBB385_1156
.LBB385_1142:
	s_mov_b64 s[10:11], 0
	s_mov_b64 s[0:1], 0
                                        ; implicit-def: $vgpr14
	s_cbranch_execnz .LBB385_1152
	s_branch .LBB385_1155
.LBB385_1143:
	s_mov_b64 s[2:3], -1
	s_mov_b64 s[10:11], 0
	s_mov_b64 s[0:1], 0
                                        ; implicit-def: $vgpr14
	s_branch .LBB385_1147
.LBB385_1144:
	s_andn2_saveexec_b64 s[12:13], s[12:13]
	s_cbranch_execz .LBB385_987
.LBB385_1145:
	s_mov_b32 s14, 0x46000000
	v_add_f32_e64 v1, |v0|, s14
	v_and_b32_e32 v1, 0xff, v1
	v_cmp_ne_u32_e32 vcc, 0, v1
	s_andn2_b64 s[10:11], s[10:11], exec
	s_and_b64 s[14:15], vcc, exec
	s_or_b64 s[10:11], s[10:11], s[14:15]
	s_or_b64 exec, exec, s[12:13]
	v_mov_b32_e32 v4, 0
	s_and_saveexec_b64 s[12:13], s[10:11]
	s_cbranch_execnz .LBB385_988
	s_branch .LBB385_989
.LBB385_1146:
	s_mov_b64 s[0:1], -1
                                        ; implicit-def: $vgpr14
	s_mov_b64 s[10:11], 0
.LBB385_1147:
	s_and_b64 vcc, exec, s[2:3]
	s_cbranch_vccz .LBB385_1150
; %bb.1148:
	s_cmp_eq_u32 s13, 44
	s_cbranch_scc0 .LBB385_1151
; %bb.1149:
	global_load_ubyte v1, v[16:17], off
	s_mov_b64 s[0:1], 0
	s_mov_b64 s[10:11], -1
	s_waitcnt vmcnt(0)
	v_lshlrev_b32_e32 v3, 23, v1
	v_cvt_i32_f32_e32 v3, v3
	v_cmp_ne_u32_e32 vcc, 0, v1
	s_nop 1
	v_cndmask_b32_e32 v14, 0, v3, vcc
.LBB385_1150:
	s_branch .LBB385_1155
.LBB385_1151:
	s_mov_b64 s[0:1], -1
                                        ; implicit-def: $vgpr14
	s_branch .LBB385_1155
.LBB385_1152:
	s_cmp_eq_u32 s13, 29
	s_cbranch_scc0 .LBB385_1154
; %bb.1153:
	global_load_dwordx2 v[14:15], v[16:17], off
	s_mov_b64 s[0:1], 0
	s_mov_b64 s[10:11], -1
	s_branch .LBB385_1155
.LBB385_1154:
	s_mov_b64 s[0:1], -1
                                        ; implicit-def: $vgpr14
.LBB385_1155:
	s_branch .LBB385_1171
.LBB385_1156:
	s_cmp_lt_i32 s13, 27
	s_cbranch_scc1 .LBB385_1159
; %bb.1157:
	s_cmp_gt_i32 s13, 27
	s_cbranch_scc0 .LBB385_1160
; %bb.1158:
	global_load_dword v14, v[16:17], off
	s_mov_b64 s[2:3], 0
	s_branch .LBB385_1161
.LBB385_1159:
	s_mov_b64 s[2:3], -1
                                        ; implicit-def: $vgpr14
	s_branch .LBB385_1164
.LBB385_1160:
	s_mov_b64 s[2:3], -1
                                        ; implicit-def: $vgpr14
.LBB385_1161:
	s_andn2_b64 vcc, exec, s[2:3]
	s_cbranch_vccnz .LBB385_1163
; %bb.1162:
	global_load_ushort v14, v[16:17], off
.LBB385_1163:
	s_mov_b64 s[2:3], 0
.LBB385_1164:
	s_andn2_b64 vcc, exec, s[2:3]
	s_cbranch_vccnz .LBB385_1170
; %bb.1165:
	global_load_ubyte v1, v[16:17], off
	s_movk_i32 s2, 0x7f
	s_mov_b64 s[10:11], 0
	s_waitcnt vmcnt(0)
	v_cmp_lt_i16_e32 vcc, s2, v1
	s_and_saveexec_b64 s[2:3], vcc
	s_xor_b64 s[2:3], exec, s[2:3]
	s_cbranch_execz .LBB385_1181
; %bb.1166:
	s_movk_i32 s10, 0x80
	v_cmp_ne_u16_e32 vcc, s10, v1
	s_and_b64 s[10:11], vcc, exec
	s_andn2_saveexec_b64 s[2:3], s[2:3]
	s_cbranch_execnz .LBB385_1182
.LBB385_1167:
	s_or_b64 exec, exec, s[2:3]
	v_mov_b32_e32 v14, 0
	s_and_saveexec_b64 s[2:3], s[10:11]
	s_cbranch_execz .LBB385_1169
.LBB385_1168:
	v_lshlrev_b32_e32 v3, 24, v1
	v_and_b32_e32 v1, 0xffff, v1
	v_and_b32_e32 v5, 7, v1
	v_ffbh_u32_e32 v9, v5
	v_min_u32_e32 v9, 32, v9
	v_subrev_u32_e32 v11, 28, v9
	v_bfe_u32 v7, v1, 3, 4
	v_lshlrev_b32_e32 v1, v11, v1
	v_sub_u32_e32 v9, 29, v9
	v_and_b32_e32 v1, 7, v1
	v_cmp_eq_u32_e32 vcc, 0, v7
	v_and_b32_e32 v3, 0x80000000, v3
	s_nop 0
	v_cndmask_b32_e32 v7, v7, v9, vcc
	v_cndmask_b32_e32 v1, v5, v1, vcc
	v_mov_b32_e32 v5, 0x3b800000
	v_lshlrev_b32_e32 v1, 20, v1
	v_lshl_add_u32 v5, v7, 23, v5
	v_or3_b32 v1, v3, v5, v1
	v_cvt_i32_f32_e32 v14, v1
.LBB385_1169:
	s_or_b64 exec, exec, s[2:3]
.LBB385_1170:
	s_mov_b64 s[10:11], -1
.LBB385_1171:
	s_branch .LBB385_1201
.LBB385_1172:
	s_cmp_gt_i32 s13, 22
	s_cbranch_scc0 .LBB385_1180
; %bb.1173:
	s_cmp_lt_i32 s13, 24
	s_cbranch_scc1 .LBB385_1183
; %bb.1174:
	s_cmp_gt_i32 s13, 24
	s_cbranch_scc0 .LBB385_1184
; %bb.1175:
	global_load_ubyte v1, v[16:17], off
	s_movk_i32 s2, 0x7f
	s_waitcnt vmcnt(0)
	v_cmp_lt_i16_e32 vcc, s2, v1
	s_and_saveexec_b64 s[2:3], vcc
	s_xor_b64 s[2:3], exec, s[2:3]
	s_cbranch_execz .LBB385_1195
; %bb.1176:
	s_movk_i32 s8, 0x80
	v_cmp_ne_u16_e32 vcc, s8, v1
	s_and_b64 s[8:9], vcc, exec
	s_andn2_saveexec_b64 s[2:3], s[2:3]
	s_cbranch_execnz .LBB385_1196
.LBB385_1177:
	s_or_b64 exec, exec, s[2:3]
	v_mov_b32_e32 v14, 0
	s_and_saveexec_b64 s[2:3], s[8:9]
	s_cbranch_execz .LBB385_1179
.LBB385_1178:
	v_lshlrev_b32_e32 v3, 24, v1
	v_and_b32_e32 v1, 0xffff, v1
	v_and_b32_e32 v5, 3, v1
	v_ffbh_u32_e32 v9, v5
	v_min_u32_e32 v9, 32, v9
	v_subrev_u32_e32 v11, 29, v9
	v_bfe_u32 v7, v1, 2, 5
	v_lshlrev_b32_e32 v1, v11, v1
	v_sub_u32_e32 v9, 30, v9
	v_and_b32_e32 v1, 3, v1
	v_cmp_eq_u32_e32 vcc, 0, v7
	v_and_b32_e32 v3, 0x80000000, v3
	s_nop 0
	v_cndmask_b32_e32 v7, v7, v9, vcc
	v_cndmask_b32_e32 v1, v5, v1, vcc
	v_mov_b32_e32 v5, 0x37800000
	v_lshlrev_b32_e32 v1, 21, v1
	v_lshl_add_u32 v5, v7, 23, v5
	v_or3_b32 v1, v3, v5, v1
	v_cvt_i32_f32_e32 v14, v1
.LBB385_1179:
	s_or_b64 exec, exec, s[2:3]
	s_mov_b64 s[2:3], 0
	s_branch .LBB385_1185
.LBB385_1180:
                                        ; implicit-def: $vgpr14
	s_mov_b64 s[8:9], 0
	s_branch .LBB385_1191
.LBB385_1181:
	s_andn2_saveexec_b64 s[2:3], s[2:3]
	s_cbranch_execz .LBB385_1167
.LBB385_1182:
	v_cmp_ne_u16_e32 vcc, 0, v1
	s_andn2_b64 s[10:11], s[10:11], exec
	s_and_b64 s[16:17], vcc, exec
	s_or_b64 s[10:11], s[10:11], s[16:17]
	s_or_b64 exec, exec, s[2:3]
	v_mov_b32_e32 v14, 0
	s_and_saveexec_b64 s[2:3], s[10:11]
	s_cbranch_execnz .LBB385_1168
	s_branch .LBB385_1169
.LBB385_1183:
	s_mov_b64 s[2:3], -1
                                        ; implicit-def: $vgpr14
	s_branch .LBB385_1188
.LBB385_1184:
	s_mov_b64 s[2:3], -1
                                        ; implicit-def: $vgpr14
.LBB385_1185:
	s_and_b64 vcc, exec, s[2:3]
	s_cbranch_vccz .LBB385_1187
; %bb.1186:
	global_load_ubyte v1, v[16:17], off
	s_mov_b32 s2, 0x7f800000
	s_waitcnt vmcnt(0)
	v_lshlrev_b32_e32 v1, 24, v1
	v_and_b32_e32 v3, 0x7f000000, v1
	v_ffbh_u32_e32 v5, v3
	v_min_u32_e32 v5, 32, v5
	v_sub_u32_e64 v5, v5, 4 clamp
	v_lshlrev_b32_e32 v9, v5, v3
	v_lshlrev_b32_e32 v5, 23, v5
	v_lshrrev_b32_e32 v9, 4, v9
	v_add_u32_e32 v7, 0x1000000, v3
	v_sub_u32_e32 v5, v9, v5
	v_ashrrev_i32_e32 v7, 8, v7
	v_add_u32_e32 v5, 0x3c000000, v5
	v_and_or_b32 v5, v7, s2, v5
	v_cmp_ne_u32_e32 vcc, 0, v3
	s_brev_b32 s2, 1
	s_nop 0
	v_cndmask_b32_e32 v3, 0, v5, vcc
	v_and_or_b32 v1, v1, s2, v3
	v_cvt_i32_f32_e32 v14, v1
.LBB385_1187:
	s_mov_b64 s[2:3], 0
.LBB385_1188:
	s_andn2_b64 vcc, exec, s[2:3]
	s_cbranch_vccnz .LBB385_1190
; %bb.1189:
	global_load_ubyte v1, v[16:17], off
	s_movk_i32 s2, 0x7f00
	s_brev_b32 s3, 16
	s_waitcnt vmcnt(0)
	v_lshlrev_b16_e32 v3, 8, v1
	v_lshlrev_b32_e32 v1, 25, v1
	v_lshrrev_b32_e32 v5, 4, v1
	v_and_or_b32 v7, v3, s2, 0.5
	v_or_b32_e32 v5, 0x70000000, v5
	v_add_f32_e32 v7, -0.5, v7
	v_mul_f32_e32 v5, 0x7800000, v5
	v_cmp_gt_u32_e32 vcc, s3, v1
	v_bfe_i32 v3, v3, 0, 16
	s_brev_b32 s2, 1
	v_cndmask_b32_e32 v1, v5, v7, vcc
	v_and_or_b32 v1, v3, s2, v1
	v_cvt_i32_f32_e32 v14, v1
.LBB385_1190:
	s_mov_b64 s[10:11], -1
	s_mov_b64 s[8:9], 0
	s_cbranch_execnz .LBB385_1201
.LBB385_1191:
	s_cmp_gt_i32 s13, 14
	s_cbranch_scc0 .LBB385_1194
; %bb.1192:
	s_cmp_eq_u32 s13, 15
	s_cbranch_scc0 .LBB385_1197
; %bb.1193:
	global_load_ushort v1, v[16:17], off
	s_mov_b64 s[0:1], 0
	s_mov_b64 s[10:11], -1
	s_waitcnt vmcnt(0)
	v_lshlrev_b32_e32 v1, 16, v1
	v_cvt_i32_f32_e32 v14, v1
	s_branch .LBB385_1198
.LBB385_1194:
	s_mov_b64 s[2:3], -1
                                        ; implicit-def: $vgpr14
	s_branch .LBB385_1199
.LBB385_1195:
	s_andn2_saveexec_b64 s[2:3], s[2:3]
	s_cbranch_execz .LBB385_1177
.LBB385_1196:
	v_cmp_ne_u16_e32 vcc, 0, v1
	s_andn2_b64 s[8:9], s[8:9], exec
	s_and_b64 s[10:11], vcc, exec
	s_or_b64 s[8:9], s[8:9], s[10:11]
	s_or_b64 exec, exec, s[2:3]
	v_mov_b32_e32 v14, 0
	s_and_saveexec_b64 s[2:3], s[8:9]
	s_cbranch_execnz .LBB385_1178
	s_branch .LBB385_1179
.LBB385_1197:
	s_mov_b64 s[0:1], -1
                                        ; implicit-def: $vgpr14
.LBB385_1198:
	s_mov_b64 s[2:3], 0
.LBB385_1199:
	s_and_b64 vcc, exec, s[2:3]
	s_cbranch_vccz .LBB385_1201
; %bb.1200:
	s_cmp_lg_u32 s13, 11
	s_mov_b64 s[8:9], -1
	s_cselect_b64 s[0:1], -1, 0
.LBB385_1201:
	s_and_b64 vcc, exec, s[0:1]
	s_mov_b64 s[2:3], s[24:25]
	s_cbranch_vccnz .LBB385_1262
; %bb.1202:
	s_andn2_b64 vcc, exec, s[8:9]
	s_cbranch_vccnz .LBB385_1204
.LBB385_1203:
	global_load_ubyte v1, v[16:17], off
	s_mov_b64 s[10:11], -1
	s_waitcnt vmcnt(0)
	v_cmp_ne_u16_e32 vcc, 0, v1
	s_nop 1
	v_cndmask_b32_e64 v14, 0, 1, vcc
.LBB385_1204:
	s_branch .LBB385_1139
.LBB385_1205:
	s_and_b32 s8, 0xffff, s12
	s_cmp_lt_i32 s8, 5
	s_cbranch_scc1 .LBB385_1210
; %bb.1206:
	s_cmp_lt_i32 s8, 8
	s_cbranch_scc1 .LBB385_1211
; %bb.1207:
	;; [unrolled: 3-line block ×3, first 2 shown]
	s_cmp_gt_i32 s8, 9
	s_cbranch_scc0 .LBB385_1213
; %bb.1209:
	global_load_dwordx2 v[14:15], v[16:17], off
	s_mov_b64 s[0:1], 0
	s_waitcnt vmcnt(0)
	v_cvt_i32_f64_e32 v14, v[14:15]
	s_branch .LBB385_1214
.LBB385_1210:
                                        ; implicit-def: $vgpr14
	s_branch .LBB385_1231
.LBB385_1211:
                                        ; implicit-def: $vgpr14
	s_branch .LBB385_1220
.LBB385_1212:
	s_mov_b64 s[0:1], -1
                                        ; implicit-def: $vgpr14
	s_branch .LBB385_1217
.LBB385_1213:
	s_mov_b64 s[0:1], -1
                                        ; implicit-def: $vgpr14
.LBB385_1214:
	s_andn2_b64 vcc, exec, s[0:1]
	s_cbranch_vccnz .LBB385_1216
; %bb.1215:
	global_load_dword v1, v[16:17], off
	s_waitcnt vmcnt(0)
	v_cvt_i32_f32_e32 v14, v1
.LBB385_1216:
	s_mov_b64 s[0:1], 0
.LBB385_1217:
	s_andn2_b64 vcc, exec, s[0:1]
	s_cbranch_vccnz .LBB385_1219
; %bb.1218:
	global_load_dword v1, v[16:17], off
	s_waitcnt vmcnt(0)
	v_cvt_i16_f16_e32 v14, v1
.LBB385_1219:
	s_cbranch_execnz .LBB385_1230
.LBB385_1220:
	s_cmp_lt_i32 s8, 6
	s_cbranch_scc1 .LBB385_1223
; %bb.1221:
	s_cmp_gt_i32 s8, 6
	s_cbranch_scc0 .LBB385_1224
; %bb.1222:
	global_load_dwordx2 v[14:15], v[16:17], off
	s_mov_b64 s[0:1], 0
	s_waitcnt vmcnt(0)
	v_cvt_i32_f64_e32 v14, v[14:15]
	s_branch .LBB385_1225
.LBB385_1223:
	s_mov_b64 s[0:1], -1
                                        ; implicit-def: $vgpr14
	s_branch .LBB385_1228
.LBB385_1224:
	s_mov_b64 s[0:1], -1
                                        ; implicit-def: $vgpr14
.LBB385_1225:
	s_andn2_b64 vcc, exec, s[0:1]
	s_cbranch_vccnz .LBB385_1227
; %bb.1226:
	global_load_dword v1, v[16:17], off
	s_waitcnt vmcnt(0)
	v_cvt_i32_f32_e32 v14, v1
.LBB385_1227:
	s_mov_b64 s[0:1], 0
.LBB385_1228:
	s_andn2_b64 vcc, exec, s[0:1]
	s_cbranch_vccnz .LBB385_1230
; %bb.1229:
	global_load_ushort v1, v[16:17], off
	s_waitcnt vmcnt(0)
	v_cvt_i16_f16_e32 v14, v1
.LBB385_1230:
	s_cbranch_execnz .LBB385_1249
.LBB385_1231:
	s_cmp_lt_i32 s8, 2
	s_cbranch_scc1 .LBB385_1235
; %bb.1232:
	s_cmp_lt_i32 s8, 3
	s_cbranch_scc1 .LBB385_1236
; %bb.1233:
	s_cmp_gt_i32 s8, 3
	s_cbranch_scc0 .LBB385_1237
; %bb.1234:
	global_load_dwordx2 v[14:15], v[16:17], off
	s_mov_b64 s[0:1], 0
	s_branch .LBB385_1238
.LBB385_1235:
                                        ; implicit-def: $vgpr14
	s_branch .LBB385_1244
.LBB385_1236:
	s_mov_b64 s[0:1], -1
                                        ; implicit-def: $vgpr14
	s_branch .LBB385_1241
.LBB385_1237:
	s_mov_b64 s[0:1], -1
                                        ; implicit-def: $vgpr14
.LBB385_1238:
	s_andn2_b64 vcc, exec, s[0:1]
	s_cbranch_vccnz .LBB385_1240
; %bb.1239:
	global_load_dword v14, v[16:17], off
.LBB385_1240:
	s_mov_b64 s[0:1], 0
.LBB385_1241:
	s_andn2_b64 vcc, exec, s[0:1]
	s_cbranch_vccnz .LBB385_1243
; %bb.1242:
	global_load_ushort v14, v[16:17], off
.LBB385_1243:
	s_cbranch_execnz .LBB385_1249
.LBB385_1244:
	s_cmp_gt_i32 s8, 0
	s_cbranch_scc0 .LBB385_1246
; %bb.1245:
	global_load_sbyte v14, v[16:17], off
	s_mov_b64 s[0:1], 0
	s_branch .LBB385_1247
.LBB385_1246:
	s_mov_b64 s[0:1], -1
                                        ; implicit-def: $vgpr14
.LBB385_1247:
	s_andn2_b64 vcc, exec, s[0:1]
	s_cbranch_vccnz .LBB385_1249
; %bb.1248:
	global_load_ubyte v14, v[16:17], off
.LBB385_1249:
.LBB385_1250:
	v_mov_b32_e32 v13, 0
	s_and_b32 s15, 0xffff, s12
	s_cmp_lt_i32 s15, 11
	v_lshl_add_u64 v[16:17], s[6:7], 0, v[12:13]
	s_cbranch_scc1 .LBB385_1257
; %bb.1251:
	s_cmp_gt_i32 s15, 25
	s_mov_b64 s[8:9], 0
	s_cbranch_scc0 .LBB385_1259
; %bb.1252:
	s_cmp_gt_i32 s15, 28
	s_cbranch_scc0 .LBB385_1260
; %bb.1253:
	s_cmp_gt_i32 s15, 43
	;; [unrolled: 3-line block ×3, first 2 shown]
	s_cbranch_scc0 .LBB385_1263
; %bb.1255:
	s_cmp_eq_u32 s15, 46
	s_mov_b64 s[12:13], 0
	s_cbranch_scc0 .LBB385_1266
; %bb.1256:
	global_load_dword v1, v[16:17], off
	s_mov_b64 s[0:1], 0
	s_mov_b64 s[10:11], -1
	s_waitcnt vmcnt(0)
	v_lshlrev_b32_e32 v1, 16, v1
	v_cvt_i32_f32_e32 v12, v1
	s_branch .LBB385_1267
.LBB385_1257:
	s_mov_b64 s[10:11], 0
                                        ; implicit-def: $vgpr12
	s_cbranch_execnz .LBB385_1328
.LBB385_1258:
	s_andn2_b64 vcc, exec, s[10:11]
	s_cbranch_vccnz .LBB385_2059
	s_branch .LBB385_1375
.LBB385_1259:
	s_mov_b64 s[10:11], 0
	s_mov_b64 s[0:1], 0
                                        ; implicit-def: $vgpr12
	s_cbranch_execnz .LBB385_1294
	s_branch .LBB385_1324
.LBB385_1260:
	s_mov_b64 s[12:13], -1
	s_mov_b64 s[10:11], 0
	s_mov_b64 s[0:1], 0
                                        ; implicit-def: $vgpr12
	s_branch .LBB385_1277
.LBB385_1261:
	s_mov_b64 s[12:13], -1
	s_mov_b64 s[10:11], 0
	s_mov_b64 s[0:1], 0
                                        ; implicit-def: $vgpr12
	s_branch .LBB385_1272
.LBB385_1262:
	s_or_b64 s[2:3], s[24:25], exec
	s_trap 2
	s_cbranch_execz .LBB385_1203
	s_branch .LBB385_1204
.LBB385_1263:
	s_mov_b64 s[12:13], -1
	s_mov_b64 s[10:11], 0
	s_mov_b64 s[0:1], 0
                                        ; implicit-def: $vgpr12
	s_branch .LBB385_1267
.LBB385_1264:
	s_andn2_saveexec_b64 s[14:15], s[14:15]
	s_cbranch_execz .LBB385_999
.LBB385_1265:
	s_mov_b32 s18, 0x42800000
	v_add_f32_e64 v1, |v0|, s18
	v_and_b32_e32 v1, 0xff, v1
	v_cmp_ne_u32_e32 vcc, 0, v1
	s_andn2_b64 s[12:13], s[12:13], exec
	s_and_b64 s[18:19], vcc, exec
	s_or_b64 s[12:13], s[12:13], s[18:19]
	s_or_b64 exec, exec, s[14:15]
	v_mov_b32_e32 v4, 0
	s_and_saveexec_b64 s[14:15], s[12:13]
	s_cbranch_execnz .LBB385_1000
	s_branch .LBB385_1001
.LBB385_1266:
	s_mov_b64 s[0:1], -1
                                        ; implicit-def: $vgpr12
	s_mov_b64 s[10:11], 0
.LBB385_1267:
	s_and_b64 vcc, exec, s[12:13]
	s_cbranch_vccz .LBB385_1271
; %bb.1268:
	s_cmp_eq_u32 s15, 44
	s_cbranch_scc0 .LBB385_1270
; %bb.1269:
	global_load_ubyte v1, v[16:17], off
	s_mov_b64 s[0:1], 0
	s_mov_b64 s[10:11], -1
	s_waitcnt vmcnt(0)
	v_lshlrev_b32_e32 v3, 23, v1
	v_cvt_i32_f32_e32 v3, v3
	v_cmp_ne_u32_e32 vcc, 0, v1
	s_nop 1
	v_cndmask_b32_e32 v12, 0, v3, vcc
	s_branch .LBB385_1271
.LBB385_1270:
	s_mov_b64 s[0:1], -1
                                        ; implicit-def: $vgpr12
.LBB385_1271:
	s_mov_b64 s[12:13], 0
.LBB385_1272:
	s_and_b64 vcc, exec, s[12:13]
	s_cbranch_vccz .LBB385_1276
; %bb.1273:
	s_cmp_eq_u32 s15, 29
	s_cbranch_scc0 .LBB385_1275
; %bb.1274:
	global_load_dwordx2 v[12:13], v[16:17], off
	s_mov_b64 s[0:1], 0
	s_mov_b64 s[10:11], -1
	s_branch .LBB385_1276
.LBB385_1275:
	s_mov_b64 s[0:1], -1
                                        ; implicit-def: $vgpr12
.LBB385_1276:
	s_mov_b64 s[12:13], 0
.LBB385_1277:
	s_and_b64 vcc, exec, s[12:13]
	s_cbranch_vccz .LBB385_1293
; %bb.1278:
	s_cmp_lt_i32 s15, 27
	s_cbranch_scc1 .LBB385_1281
; %bb.1279:
	s_cmp_gt_i32 s15, 27
	s_cbranch_scc0 .LBB385_1282
; %bb.1280:
	global_load_dword v12, v[16:17], off
	s_mov_b64 s[10:11], 0
	s_branch .LBB385_1283
.LBB385_1281:
	s_mov_b64 s[10:11], -1
                                        ; implicit-def: $vgpr12
	s_branch .LBB385_1286
.LBB385_1282:
	s_mov_b64 s[10:11], -1
                                        ; implicit-def: $vgpr12
.LBB385_1283:
	s_andn2_b64 vcc, exec, s[10:11]
	s_cbranch_vccnz .LBB385_1285
; %bb.1284:
	global_load_ushort v12, v[16:17], off
.LBB385_1285:
	s_mov_b64 s[10:11], 0
.LBB385_1286:
	s_andn2_b64 vcc, exec, s[10:11]
	s_cbranch_vccnz .LBB385_1292
; %bb.1287:
	global_load_ubyte v1, v[16:17], off
	s_movk_i32 s10, 0x7f
	s_mov_b64 s[12:13], 0
	s_waitcnt vmcnt(0)
	v_cmp_lt_i16_e32 vcc, s10, v1
	s_and_saveexec_b64 s[10:11], vcc
	s_xor_b64 s[10:11], exec, s[10:11]
	s_cbranch_execz .LBB385_1303
; %bb.1288:
	s_movk_i32 s12, 0x80
	v_cmp_ne_u16_e32 vcc, s12, v1
	s_and_b64 s[12:13], vcc, exec
	s_andn2_saveexec_b64 s[10:11], s[10:11]
	s_cbranch_execnz .LBB385_1304
.LBB385_1289:
	s_or_b64 exec, exec, s[10:11]
	v_mov_b32_e32 v12, 0
	s_and_saveexec_b64 s[10:11], s[12:13]
	s_cbranch_execz .LBB385_1291
.LBB385_1290:
	v_lshlrev_b32_e32 v3, 24, v1
	v_and_b32_e32 v1, 0xffff, v1
	v_and_b32_e32 v5, 7, v1
	v_ffbh_u32_e32 v9, v5
	v_min_u32_e32 v9, 32, v9
	v_subrev_u32_e32 v11, 28, v9
	v_bfe_u32 v7, v1, 3, 4
	v_lshlrev_b32_e32 v1, v11, v1
	v_sub_u32_e32 v9, 29, v9
	v_and_b32_e32 v1, 7, v1
	v_cmp_eq_u32_e32 vcc, 0, v7
	v_and_b32_e32 v3, 0x80000000, v3
	s_nop 0
	v_cndmask_b32_e32 v7, v7, v9, vcc
	v_cndmask_b32_e32 v1, v5, v1, vcc
	v_mov_b32_e32 v5, 0x3b800000
	v_lshlrev_b32_e32 v1, 20, v1
	v_lshl_add_u32 v5, v7, 23, v5
	v_or3_b32 v1, v3, v5, v1
	v_cvt_i32_f32_e32 v12, v1
.LBB385_1291:
	s_or_b64 exec, exec, s[10:11]
.LBB385_1292:
	s_mov_b64 s[10:11], -1
.LBB385_1293:
	s_branch .LBB385_1324
.LBB385_1294:
	s_cmp_gt_i32 s15, 22
	s_cbranch_scc0 .LBB385_1302
; %bb.1295:
	s_cmp_lt_i32 s15, 24
	s_cbranch_scc1 .LBB385_1305
; %bb.1296:
	s_cmp_gt_i32 s15, 24
	s_cbranch_scc0 .LBB385_1306
; %bb.1297:
	global_load_ubyte v1, v[16:17], off
	s_movk_i32 s8, 0x7f
	s_mov_b64 s[10:11], 0
	s_waitcnt vmcnt(0)
	v_cmp_lt_i16_e32 vcc, s8, v1
	s_and_saveexec_b64 s[8:9], vcc
	s_xor_b64 s[8:9], exec, s[8:9]
	s_cbranch_execz .LBB385_1318
; %bb.1298:
	s_movk_i32 s10, 0x80
	v_cmp_ne_u16_e32 vcc, s10, v1
	s_and_b64 s[10:11], vcc, exec
	s_andn2_saveexec_b64 s[8:9], s[8:9]
	s_cbranch_execnz .LBB385_1319
.LBB385_1299:
	s_or_b64 exec, exec, s[8:9]
	v_mov_b32_e32 v12, 0
	s_and_saveexec_b64 s[8:9], s[10:11]
	s_cbranch_execz .LBB385_1301
.LBB385_1300:
	v_lshlrev_b32_e32 v3, 24, v1
	v_and_b32_e32 v1, 0xffff, v1
	v_and_b32_e32 v5, 3, v1
	v_ffbh_u32_e32 v9, v5
	v_min_u32_e32 v9, 32, v9
	v_subrev_u32_e32 v11, 29, v9
	v_bfe_u32 v7, v1, 2, 5
	v_lshlrev_b32_e32 v1, v11, v1
	v_sub_u32_e32 v9, 30, v9
	v_and_b32_e32 v1, 3, v1
	v_cmp_eq_u32_e32 vcc, 0, v7
	v_and_b32_e32 v3, 0x80000000, v3
	s_nop 0
	v_cndmask_b32_e32 v7, v7, v9, vcc
	v_cndmask_b32_e32 v1, v5, v1, vcc
	v_mov_b32_e32 v5, 0x37800000
	v_lshlrev_b32_e32 v1, 21, v1
	v_lshl_add_u32 v5, v7, 23, v5
	v_or3_b32 v1, v3, v5, v1
	v_cvt_i32_f32_e32 v12, v1
.LBB385_1301:
	s_or_b64 exec, exec, s[8:9]
	s_mov_b64 s[8:9], 0
	s_branch .LBB385_1307
.LBB385_1302:
	s_mov_b64 s[8:9], -1
                                        ; implicit-def: $vgpr12
	s_branch .LBB385_1313
.LBB385_1303:
	s_andn2_saveexec_b64 s[10:11], s[10:11]
	s_cbranch_execz .LBB385_1289
.LBB385_1304:
	v_cmp_ne_u16_e32 vcc, 0, v1
	s_andn2_b64 s[12:13], s[12:13], exec
	s_and_b64 s[16:17], vcc, exec
	s_or_b64 s[12:13], s[12:13], s[16:17]
	s_or_b64 exec, exec, s[10:11]
	v_mov_b32_e32 v12, 0
	s_and_saveexec_b64 s[10:11], s[12:13]
	s_cbranch_execnz .LBB385_1290
	s_branch .LBB385_1291
.LBB385_1305:
	s_mov_b64 s[8:9], -1
                                        ; implicit-def: $vgpr12
	s_branch .LBB385_1310
.LBB385_1306:
	s_mov_b64 s[8:9], -1
                                        ; implicit-def: $vgpr12
.LBB385_1307:
	s_and_b64 vcc, exec, s[8:9]
	s_cbranch_vccz .LBB385_1309
; %bb.1308:
	global_load_ubyte v1, v[16:17], off
	s_mov_b32 s8, 0x7f800000
	s_waitcnt vmcnt(0)
	v_lshlrev_b32_e32 v1, 24, v1
	v_and_b32_e32 v3, 0x7f000000, v1
	v_ffbh_u32_e32 v5, v3
	v_min_u32_e32 v5, 32, v5
	v_sub_u32_e64 v5, v5, 4 clamp
	v_lshlrev_b32_e32 v9, v5, v3
	v_lshlrev_b32_e32 v5, 23, v5
	v_lshrrev_b32_e32 v9, 4, v9
	v_add_u32_e32 v7, 0x1000000, v3
	v_sub_u32_e32 v5, v9, v5
	v_ashrrev_i32_e32 v7, 8, v7
	v_add_u32_e32 v5, 0x3c000000, v5
	v_and_or_b32 v5, v7, s8, v5
	v_cmp_ne_u32_e32 vcc, 0, v3
	s_brev_b32 s8, 1
	s_nop 0
	v_cndmask_b32_e32 v3, 0, v5, vcc
	v_and_or_b32 v1, v1, s8, v3
	v_cvt_i32_f32_e32 v12, v1
.LBB385_1309:
	s_mov_b64 s[8:9], 0
.LBB385_1310:
	s_andn2_b64 vcc, exec, s[8:9]
	s_cbranch_vccnz .LBB385_1312
; %bb.1311:
	global_load_ubyte v1, v[16:17], off
	s_movk_i32 s8, 0x7f00
	s_brev_b32 s9, 16
	s_waitcnt vmcnt(0)
	v_lshlrev_b16_e32 v3, 8, v1
	v_lshlrev_b32_e32 v1, 25, v1
	v_lshrrev_b32_e32 v5, 4, v1
	v_and_or_b32 v7, v3, s8, 0.5
	v_or_b32_e32 v5, 0x70000000, v5
	v_add_f32_e32 v7, -0.5, v7
	v_mul_f32_e32 v5, 0x7800000, v5
	v_cmp_gt_u32_e32 vcc, s9, v1
	v_bfe_i32 v3, v3, 0, 16
	s_brev_b32 s8, 1
	v_cndmask_b32_e32 v1, v5, v7, vcc
	v_and_or_b32 v1, v3, s8, v1
	v_cvt_i32_f32_e32 v12, v1
.LBB385_1312:
	s_mov_b64 s[8:9], 0
	s_mov_b64 s[10:11], -1
.LBB385_1313:
	s_andn2_b64 vcc, exec, s[8:9]
	s_mov_b64 s[8:9], 0
	s_cbranch_vccnz .LBB385_1324
; %bb.1314:
	s_cmp_gt_i32 s15, 14
	s_cbranch_scc0 .LBB385_1317
; %bb.1315:
	s_cmp_eq_u32 s15, 15
	s_cbranch_scc0 .LBB385_1320
; %bb.1316:
	global_load_ushort v1, v[16:17], off
	s_mov_b64 s[0:1], 0
	s_mov_b64 s[10:11], -1
	s_waitcnt vmcnt(0)
	v_lshlrev_b32_e32 v1, 16, v1
	v_cvt_i32_f32_e32 v12, v1
	s_branch .LBB385_1321
.LBB385_1317:
	s_mov_b64 s[12:13], -1
                                        ; implicit-def: $vgpr12
	s_branch .LBB385_1322
.LBB385_1318:
	s_andn2_saveexec_b64 s[8:9], s[8:9]
	s_cbranch_execz .LBB385_1299
.LBB385_1319:
	v_cmp_ne_u16_e32 vcc, 0, v1
	s_andn2_b64 s[10:11], s[10:11], exec
	s_and_b64 s[12:13], vcc, exec
	s_or_b64 s[10:11], s[10:11], s[12:13]
	s_or_b64 exec, exec, s[8:9]
	v_mov_b32_e32 v12, 0
	s_and_saveexec_b64 s[8:9], s[10:11]
	s_cbranch_execnz .LBB385_1300
	s_branch .LBB385_1301
.LBB385_1320:
	s_mov_b64 s[0:1], -1
                                        ; implicit-def: $vgpr12
.LBB385_1321:
	s_mov_b64 s[12:13], 0
.LBB385_1322:
	s_and_b64 vcc, exec, s[12:13]
	s_cbranch_vccz .LBB385_1324
; %bb.1323:
	s_cmp_lg_u32 s15, 11
	s_mov_b64 s[8:9], -1
	s_cselect_b64 s[0:1], -1, 0
.LBB385_1324:
	s_and_b64 vcc, exec, s[0:1]
	s_cbranch_vccnz .LBB385_1387
; %bb.1325:
	s_andn2_b64 vcc, exec, s[8:9]
	s_cbranch_vccnz .LBB385_1327
.LBB385_1326:
	global_load_ubyte v1, v[16:17], off
	s_mov_b64 s[10:11], -1
	s_waitcnt vmcnt(0)
	v_cmp_ne_u16_e32 vcc, 0, v1
	s_nop 1
	v_cndmask_b32_e64 v12, 0, 1, vcc
.LBB385_1327:
	s_branch .LBB385_1258
.LBB385_1328:
	s_cmp_lt_i32 s15, 5
	s_cbranch_scc1 .LBB385_1333
; %bb.1329:
	s_cmp_lt_i32 s15, 8
	s_cbranch_scc1 .LBB385_1334
; %bb.1330:
	;; [unrolled: 3-line block ×3, first 2 shown]
	s_cmp_gt_i32 s15, 9
	s_cbranch_scc0 .LBB385_1336
; %bb.1332:
	global_load_dwordx2 v[12:13], v[16:17], off
	s_mov_b64 s[0:1], 0
	s_waitcnt vmcnt(0)
	v_cvt_i32_f64_e32 v12, v[12:13]
	s_branch .LBB385_1337
.LBB385_1333:
                                        ; implicit-def: $vgpr12
	s_branch .LBB385_1355
.LBB385_1334:
	s_mov_b64 s[0:1], -1
                                        ; implicit-def: $vgpr12
	s_branch .LBB385_1343
.LBB385_1335:
	s_mov_b64 s[0:1], -1
                                        ; implicit-def: $vgpr12
	s_branch .LBB385_1340
.LBB385_1336:
	s_mov_b64 s[0:1], -1
                                        ; implicit-def: $vgpr12
.LBB385_1337:
	s_andn2_b64 vcc, exec, s[0:1]
	s_cbranch_vccnz .LBB385_1339
; %bb.1338:
	global_load_dword v1, v[16:17], off
	s_waitcnt vmcnt(0)
	v_cvt_i32_f32_e32 v12, v1
.LBB385_1339:
	s_mov_b64 s[0:1], 0
.LBB385_1340:
	s_andn2_b64 vcc, exec, s[0:1]
	s_cbranch_vccnz .LBB385_1342
; %bb.1341:
	global_load_dword v1, v[16:17], off
	s_waitcnt vmcnt(0)
	v_cvt_i16_f16_e32 v12, v1
.LBB385_1342:
	s_mov_b64 s[0:1], 0
.LBB385_1343:
	s_andn2_b64 vcc, exec, s[0:1]
	s_cbranch_vccnz .LBB385_1354
; %bb.1344:
	s_cmp_lt_i32 s15, 6
	s_cbranch_scc1 .LBB385_1347
; %bb.1345:
	s_cmp_gt_i32 s15, 6
	s_cbranch_scc0 .LBB385_1348
; %bb.1346:
	global_load_dwordx2 v[12:13], v[16:17], off
	s_mov_b64 s[0:1], 0
	s_waitcnt vmcnt(0)
	v_cvt_i32_f64_e32 v12, v[12:13]
	s_branch .LBB385_1349
.LBB385_1347:
	s_mov_b64 s[0:1], -1
                                        ; implicit-def: $vgpr12
	s_branch .LBB385_1352
.LBB385_1348:
	s_mov_b64 s[0:1], -1
                                        ; implicit-def: $vgpr12
.LBB385_1349:
	s_andn2_b64 vcc, exec, s[0:1]
	s_cbranch_vccnz .LBB385_1351
; %bb.1350:
	global_load_dword v1, v[16:17], off
	s_waitcnt vmcnt(0)
	v_cvt_i32_f32_e32 v12, v1
.LBB385_1351:
	s_mov_b64 s[0:1], 0
.LBB385_1352:
	s_andn2_b64 vcc, exec, s[0:1]
	s_cbranch_vccnz .LBB385_1354
; %bb.1353:
	global_load_ushort v1, v[16:17], off
	s_waitcnt vmcnt(0)
	v_cvt_i16_f16_e32 v12, v1
.LBB385_1354:
	s_cbranch_execnz .LBB385_1374
.LBB385_1355:
	s_cmp_lt_i32 s15, 2
	s_cbranch_scc1 .LBB385_1359
; %bb.1356:
	s_cmp_lt_i32 s15, 3
	s_cbranch_scc1 .LBB385_1360
; %bb.1357:
	s_cmp_gt_i32 s15, 3
	s_cbranch_scc0 .LBB385_1361
; %bb.1358:
	global_load_dwordx2 v[12:13], v[16:17], off
	s_mov_b64 s[0:1], 0
	s_branch .LBB385_1362
.LBB385_1359:
	s_mov_b64 s[0:1], -1
                                        ; implicit-def: $vgpr12
	s_branch .LBB385_1368
.LBB385_1360:
	s_mov_b64 s[0:1], -1
                                        ; implicit-def: $vgpr12
	s_branch .LBB385_1365
.LBB385_1361:
	s_mov_b64 s[0:1], -1
                                        ; implicit-def: $vgpr12
.LBB385_1362:
	s_andn2_b64 vcc, exec, s[0:1]
	s_cbranch_vccnz .LBB385_1364
; %bb.1363:
	global_load_dword v12, v[16:17], off
.LBB385_1364:
	s_mov_b64 s[0:1], 0
.LBB385_1365:
	s_andn2_b64 vcc, exec, s[0:1]
	s_cbranch_vccnz .LBB385_1367
; %bb.1366:
	global_load_ushort v12, v[16:17], off
.LBB385_1367:
	s_mov_b64 s[0:1], 0
.LBB385_1368:
	s_andn2_b64 vcc, exec, s[0:1]
	s_cbranch_vccnz .LBB385_1374
; %bb.1369:
	s_cmp_gt_i32 s15, 0
	s_cbranch_scc0 .LBB385_1371
; %bb.1370:
	global_load_sbyte v12, v[16:17], off
	s_mov_b64 s[0:1], 0
	s_branch .LBB385_1372
.LBB385_1371:
	s_mov_b64 s[0:1], -1
                                        ; implicit-def: $vgpr12
.LBB385_1372:
	s_andn2_b64 vcc, exec, s[0:1]
	s_cbranch_vccnz .LBB385_1374
; %bb.1373:
	global_load_ubyte v12, v[16:17], off
.LBB385_1374:
.LBB385_1375:
	v_mov_b32_e32 v11, 0
	s_cmp_lt_i32 s15, 11
	v_lshl_add_u64 v[16:17], s[6:7], 0, v[10:11]
	s_cbranch_scc1 .LBB385_1382
; %bb.1376:
	s_cmp_gt_i32 s15, 25
	s_mov_b64 s[8:9], 0
	s_cbranch_scc0 .LBB385_1384
; %bb.1377:
	s_cmp_gt_i32 s15, 28
	s_cbranch_scc0 .LBB385_1385
; %bb.1378:
	s_cmp_gt_i32 s15, 43
	;; [unrolled: 3-line block ×3, first 2 shown]
	s_cbranch_scc0 .LBB385_1388
; %bb.1380:
	s_cmp_eq_u32 s15, 46
	s_mov_b64 s[12:13], 0
	s_cbranch_scc0 .LBB385_1389
; %bb.1381:
	global_load_dword v1, v[16:17], off
	s_mov_b64 s[0:1], 0
	s_mov_b64 s[10:11], -1
	s_waitcnt vmcnt(0)
	v_lshlrev_b32_e32 v1, 16, v1
	v_cvt_i32_f32_e32 v10, v1
	s_branch .LBB385_1390
.LBB385_1382:
	s_mov_b64 s[10:11], 0
                                        ; implicit-def: $vgpr10
	s_cbranch_execnz .LBB385_1452
.LBB385_1383:
	s_andn2_b64 vcc, exec, s[10:11]
	s_cbranch_vccnz .LBB385_2059
	s_branch .LBB385_1500
.LBB385_1384:
	s_mov_b64 s[12:13], -1
	s_mov_b64 s[10:11], 0
	s_mov_b64 s[0:1], 0
                                        ; implicit-def: $vgpr10
	s_branch .LBB385_1417
.LBB385_1385:
	s_mov_b64 s[12:13], -1
	s_mov_b64 s[10:11], 0
	s_mov_b64 s[0:1], 0
                                        ; implicit-def: $vgpr10
	s_branch .LBB385_1400
.LBB385_1386:
	s_mov_b64 s[12:13], -1
	s_mov_b64 s[10:11], 0
	s_mov_b64 s[0:1], 0
                                        ; implicit-def: $vgpr10
	s_branch .LBB385_1395
.LBB385_1387:
	s_trap 2
	s_or_b64 s[2:3], s[2:3], exec
	s_cbranch_execz .LBB385_1326
	s_branch .LBB385_1327
.LBB385_1388:
	s_mov_b64 s[12:13], -1
	s_mov_b64 s[10:11], 0
	s_mov_b64 s[0:1], 0
                                        ; implicit-def: $vgpr10
	s_branch .LBB385_1390
.LBB385_1389:
	s_mov_b64 s[0:1], -1
                                        ; implicit-def: $vgpr10
	s_mov_b64 s[10:11], 0
.LBB385_1390:
	s_and_b64 vcc, exec, s[12:13]
	s_cbranch_vccz .LBB385_1394
; %bb.1391:
	s_cmp_eq_u32 s15, 44
	s_cbranch_scc0 .LBB385_1393
; %bb.1392:
	global_load_ubyte v1, v[16:17], off
	s_mov_b64 s[0:1], 0
	s_mov_b64 s[10:11], -1
	s_waitcnt vmcnt(0)
	v_lshlrev_b32_e32 v3, 23, v1
	v_cvt_i32_f32_e32 v3, v3
	v_cmp_ne_u32_e32 vcc, 0, v1
	s_nop 1
	v_cndmask_b32_e32 v10, 0, v3, vcc
	s_branch .LBB385_1394
.LBB385_1393:
	s_mov_b64 s[0:1], -1
                                        ; implicit-def: $vgpr10
.LBB385_1394:
	s_mov_b64 s[12:13], 0
.LBB385_1395:
	s_and_b64 vcc, exec, s[12:13]
	s_cbranch_vccz .LBB385_1399
; %bb.1396:
	s_cmp_eq_u32 s15, 29
	s_cbranch_scc0 .LBB385_1398
; %bb.1397:
	global_load_dwordx2 v[10:11], v[16:17], off
	s_mov_b64 s[0:1], 0
	s_mov_b64 s[10:11], -1
	s_branch .LBB385_1399
.LBB385_1398:
	s_mov_b64 s[0:1], -1
                                        ; implicit-def: $vgpr10
.LBB385_1399:
	s_mov_b64 s[12:13], 0
.LBB385_1400:
	s_and_b64 vcc, exec, s[12:13]
	s_cbranch_vccz .LBB385_1416
; %bb.1401:
	s_cmp_lt_i32 s15, 27
	s_cbranch_scc1 .LBB385_1404
; %bb.1402:
	s_cmp_gt_i32 s15, 27
	s_cbranch_scc0 .LBB385_1405
; %bb.1403:
	global_load_dword v10, v[16:17], off
	s_mov_b64 s[10:11], 0
	s_branch .LBB385_1406
.LBB385_1404:
	s_mov_b64 s[10:11], -1
                                        ; implicit-def: $vgpr10
	s_branch .LBB385_1409
.LBB385_1405:
	s_mov_b64 s[10:11], -1
                                        ; implicit-def: $vgpr10
.LBB385_1406:
	s_andn2_b64 vcc, exec, s[10:11]
	s_cbranch_vccnz .LBB385_1408
; %bb.1407:
	global_load_ushort v10, v[16:17], off
.LBB385_1408:
	s_mov_b64 s[10:11], 0
.LBB385_1409:
	s_andn2_b64 vcc, exec, s[10:11]
	s_cbranch_vccnz .LBB385_1415
; %bb.1410:
	global_load_ubyte v1, v[16:17], off
	s_movk_i32 s10, 0x7f
	s_mov_b64 s[12:13], 0
	s_waitcnt vmcnt(0)
	v_cmp_lt_i16_e32 vcc, s10, v1
	s_and_saveexec_b64 s[10:11], vcc
	s_xor_b64 s[10:11], exec, s[10:11]
	s_cbranch_execz .LBB385_1427
; %bb.1411:
	s_movk_i32 s12, 0x80
	v_cmp_ne_u16_e32 vcc, s12, v1
	s_and_b64 s[12:13], vcc, exec
	s_andn2_saveexec_b64 s[10:11], s[10:11]
	s_cbranch_execnz .LBB385_1428
.LBB385_1412:
	s_or_b64 exec, exec, s[10:11]
	v_mov_b32_e32 v10, 0
	s_and_saveexec_b64 s[10:11], s[12:13]
	s_cbranch_execz .LBB385_1414
.LBB385_1413:
	v_lshlrev_b32_e32 v3, 24, v1
	v_and_b32_e32 v1, 0xffff, v1
	v_and_b32_e32 v5, 7, v1
	v_ffbh_u32_e32 v9, v5
	v_min_u32_e32 v9, 32, v9
	v_subrev_u32_e32 v10, 28, v9
	v_bfe_u32 v7, v1, 3, 4
	v_lshlrev_b32_e32 v1, v10, v1
	v_sub_u32_e32 v9, 29, v9
	v_and_b32_e32 v1, 7, v1
	v_cmp_eq_u32_e32 vcc, 0, v7
	v_and_b32_e32 v3, 0x80000000, v3
	s_nop 0
	v_cndmask_b32_e32 v7, v7, v9, vcc
	v_cndmask_b32_e32 v1, v5, v1, vcc
	v_mov_b32_e32 v5, 0x3b800000
	v_lshlrev_b32_e32 v1, 20, v1
	v_lshl_add_u32 v5, v7, 23, v5
	v_or3_b32 v1, v3, v5, v1
	v_cvt_i32_f32_e32 v10, v1
.LBB385_1414:
	s_or_b64 exec, exec, s[10:11]
.LBB385_1415:
	s_mov_b64 s[10:11], -1
.LBB385_1416:
	s_mov_b64 s[12:13], 0
.LBB385_1417:
	s_and_b64 vcc, exec, s[12:13]
	s_cbranch_vccz .LBB385_1448
; %bb.1418:
	s_cmp_gt_i32 s15, 22
	s_cbranch_scc0 .LBB385_1426
; %bb.1419:
	s_cmp_lt_i32 s15, 24
	s_cbranch_scc1 .LBB385_1429
; %bb.1420:
	s_cmp_gt_i32 s15, 24
	s_cbranch_scc0 .LBB385_1430
; %bb.1421:
	global_load_ubyte v1, v[16:17], off
	s_movk_i32 s8, 0x7f
	s_mov_b64 s[10:11], 0
	s_waitcnt vmcnt(0)
	v_cmp_lt_i16_e32 vcc, s8, v1
	s_and_saveexec_b64 s[8:9], vcc
	s_xor_b64 s[8:9], exec, s[8:9]
	s_cbranch_execz .LBB385_1442
; %bb.1422:
	s_movk_i32 s10, 0x80
	v_cmp_ne_u16_e32 vcc, s10, v1
	s_and_b64 s[10:11], vcc, exec
	s_andn2_saveexec_b64 s[8:9], s[8:9]
	s_cbranch_execnz .LBB385_1443
.LBB385_1423:
	s_or_b64 exec, exec, s[8:9]
	v_mov_b32_e32 v10, 0
	s_and_saveexec_b64 s[8:9], s[10:11]
	s_cbranch_execz .LBB385_1425
.LBB385_1424:
	v_lshlrev_b32_e32 v3, 24, v1
	v_and_b32_e32 v1, 0xffff, v1
	v_and_b32_e32 v5, 3, v1
	v_ffbh_u32_e32 v9, v5
	v_min_u32_e32 v9, 32, v9
	v_subrev_u32_e32 v10, 29, v9
	v_bfe_u32 v7, v1, 2, 5
	v_lshlrev_b32_e32 v1, v10, v1
	v_sub_u32_e32 v9, 30, v9
	v_and_b32_e32 v1, 3, v1
	v_cmp_eq_u32_e32 vcc, 0, v7
	v_and_b32_e32 v3, 0x80000000, v3
	s_nop 0
	v_cndmask_b32_e32 v7, v7, v9, vcc
	v_cndmask_b32_e32 v1, v5, v1, vcc
	v_mov_b32_e32 v5, 0x37800000
	v_lshlrev_b32_e32 v1, 21, v1
	v_lshl_add_u32 v5, v7, 23, v5
	v_or3_b32 v1, v3, v5, v1
	v_cvt_i32_f32_e32 v10, v1
.LBB385_1425:
	s_or_b64 exec, exec, s[8:9]
	s_mov_b64 s[8:9], 0
	s_branch .LBB385_1431
.LBB385_1426:
	s_mov_b64 s[8:9], -1
                                        ; implicit-def: $vgpr10
	s_branch .LBB385_1437
.LBB385_1427:
	s_andn2_saveexec_b64 s[10:11], s[10:11]
	s_cbranch_execz .LBB385_1412
.LBB385_1428:
	v_cmp_ne_u16_e32 vcc, 0, v1
	s_andn2_b64 s[12:13], s[12:13], exec
	s_and_b64 s[16:17], vcc, exec
	s_or_b64 s[12:13], s[12:13], s[16:17]
	s_or_b64 exec, exec, s[10:11]
	v_mov_b32_e32 v10, 0
	s_and_saveexec_b64 s[10:11], s[12:13]
	s_cbranch_execnz .LBB385_1413
	s_branch .LBB385_1414
.LBB385_1429:
	s_mov_b64 s[8:9], -1
                                        ; implicit-def: $vgpr10
	s_branch .LBB385_1434
.LBB385_1430:
	s_mov_b64 s[8:9], -1
                                        ; implicit-def: $vgpr10
.LBB385_1431:
	s_and_b64 vcc, exec, s[8:9]
	s_cbranch_vccz .LBB385_1433
; %bb.1432:
	global_load_ubyte v1, v[16:17], off
	s_mov_b32 s8, 0x7f800000
	s_waitcnt vmcnt(0)
	v_lshlrev_b32_e32 v1, 24, v1
	v_and_b32_e32 v3, 0x7f000000, v1
	v_ffbh_u32_e32 v5, v3
	v_min_u32_e32 v5, 32, v5
	v_sub_u32_e64 v5, v5, 4 clamp
	v_lshlrev_b32_e32 v9, v5, v3
	v_lshlrev_b32_e32 v5, 23, v5
	v_lshrrev_b32_e32 v9, 4, v9
	v_add_u32_e32 v7, 0x1000000, v3
	v_sub_u32_e32 v5, v9, v5
	v_ashrrev_i32_e32 v7, 8, v7
	v_add_u32_e32 v5, 0x3c000000, v5
	v_and_or_b32 v5, v7, s8, v5
	v_cmp_ne_u32_e32 vcc, 0, v3
	s_brev_b32 s8, 1
	s_nop 0
	v_cndmask_b32_e32 v3, 0, v5, vcc
	v_and_or_b32 v1, v1, s8, v3
	v_cvt_i32_f32_e32 v10, v1
.LBB385_1433:
	s_mov_b64 s[8:9], 0
.LBB385_1434:
	s_andn2_b64 vcc, exec, s[8:9]
	s_cbranch_vccnz .LBB385_1436
; %bb.1435:
	global_load_ubyte v1, v[16:17], off
	s_movk_i32 s8, 0x7f00
	s_brev_b32 s9, 16
	s_waitcnt vmcnt(0)
	v_lshlrev_b16_e32 v3, 8, v1
	v_lshlrev_b32_e32 v1, 25, v1
	v_lshrrev_b32_e32 v5, 4, v1
	v_and_or_b32 v7, v3, s8, 0.5
	v_or_b32_e32 v5, 0x70000000, v5
	v_add_f32_e32 v7, -0.5, v7
	v_mul_f32_e32 v5, 0x7800000, v5
	v_cmp_gt_u32_e32 vcc, s9, v1
	v_bfe_i32 v3, v3, 0, 16
	s_brev_b32 s8, 1
	v_cndmask_b32_e32 v1, v5, v7, vcc
	v_and_or_b32 v1, v3, s8, v1
	v_cvt_i32_f32_e32 v10, v1
.LBB385_1436:
	s_mov_b64 s[8:9], 0
	s_mov_b64 s[10:11], -1
.LBB385_1437:
	s_andn2_b64 vcc, exec, s[8:9]
	s_mov_b64 s[8:9], 0
	s_cbranch_vccnz .LBB385_1448
; %bb.1438:
	s_cmp_gt_i32 s15, 14
	s_cbranch_scc0 .LBB385_1441
; %bb.1439:
	s_cmp_eq_u32 s15, 15
	s_cbranch_scc0 .LBB385_1444
; %bb.1440:
	global_load_ushort v1, v[16:17], off
	s_mov_b64 s[0:1], 0
	s_mov_b64 s[10:11], -1
	s_waitcnt vmcnt(0)
	v_lshlrev_b32_e32 v1, 16, v1
	v_cvt_i32_f32_e32 v10, v1
	s_branch .LBB385_1445
.LBB385_1441:
	s_mov_b64 s[12:13], -1
                                        ; implicit-def: $vgpr10
	s_branch .LBB385_1446
.LBB385_1442:
	s_andn2_saveexec_b64 s[8:9], s[8:9]
	s_cbranch_execz .LBB385_1423
.LBB385_1443:
	v_cmp_ne_u16_e32 vcc, 0, v1
	s_andn2_b64 s[10:11], s[10:11], exec
	s_and_b64 s[12:13], vcc, exec
	s_or_b64 s[10:11], s[10:11], s[12:13]
	s_or_b64 exec, exec, s[8:9]
	v_mov_b32_e32 v10, 0
	s_and_saveexec_b64 s[8:9], s[10:11]
	s_cbranch_execnz .LBB385_1424
	s_branch .LBB385_1425
.LBB385_1444:
	s_mov_b64 s[0:1], -1
                                        ; implicit-def: $vgpr10
.LBB385_1445:
	s_mov_b64 s[12:13], 0
.LBB385_1446:
	s_and_b64 vcc, exec, s[12:13]
	s_cbranch_vccz .LBB385_1448
; %bb.1447:
	s_cmp_lg_u32 s15, 11
	s_mov_b64 s[8:9], -1
	s_cselect_b64 s[0:1], -1, 0
.LBB385_1448:
	s_and_b64 vcc, exec, s[0:1]
	s_cbranch_vccnz .LBB385_1511
; %bb.1449:
	s_andn2_b64 vcc, exec, s[8:9]
	s_cbranch_vccnz .LBB385_1451
.LBB385_1450:
	global_load_ubyte v1, v[16:17], off
	s_mov_b64 s[10:11], -1
	s_waitcnt vmcnt(0)
	v_cmp_ne_u16_e32 vcc, 0, v1
	s_nop 1
	v_cndmask_b32_e64 v10, 0, 1, vcc
.LBB385_1451:
	s_branch .LBB385_1383
.LBB385_1452:
	s_cmp_lt_i32 s15, 5
	s_cbranch_scc1 .LBB385_1457
; %bb.1453:
	s_cmp_lt_i32 s15, 8
	s_cbranch_scc1 .LBB385_1458
; %bb.1454:
	;; [unrolled: 3-line block ×3, first 2 shown]
	s_cmp_gt_i32 s15, 9
	s_cbranch_scc0 .LBB385_1460
; %bb.1456:
	global_load_dwordx2 v[10:11], v[16:17], off
	s_mov_b64 s[0:1], 0
	s_waitcnt vmcnt(0)
	v_cvt_i32_f64_e32 v10, v[10:11]
	s_branch .LBB385_1461
.LBB385_1457:
	s_mov_b64 s[0:1], -1
                                        ; implicit-def: $vgpr10
	s_branch .LBB385_1479
.LBB385_1458:
	s_mov_b64 s[0:1], -1
                                        ; implicit-def: $vgpr10
	s_branch .LBB385_1467
.LBB385_1459:
	s_mov_b64 s[0:1], -1
                                        ; implicit-def: $vgpr10
	s_branch .LBB385_1464
.LBB385_1460:
	s_mov_b64 s[0:1], -1
                                        ; implicit-def: $vgpr10
.LBB385_1461:
	s_andn2_b64 vcc, exec, s[0:1]
	s_cbranch_vccnz .LBB385_1463
; %bb.1462:
	global_load_dword v1, v[16:17], off
	s_waitcnt vmcnt(0)
	v_cvt_i32_f32_e32 v10, v1
.LBB385_1463:
	s_mov_b64 s[0:1], 0
.LBB385_1464:
	s_andn2_b64 vcc, exec, s[0:1]
	s_cbranch_vccnz .LBB385_1466
; %bb.1465:
	global_load_dword v1, v[16:17], off
	s_waitcnt vmcnt(0)
	v_cvt_i16_f16_e32 v10, v1
.LBB385_1466:
	s_mov_b64 s[0:1], 0
.LBB385_1467:
	s_andn2_b64 vcc, exec, s[0:1]
	s_cbranch_vccnz .LBB385_1478
; %bb.1468:
	s_cmp_lt_i32 s15, 6
	s_cbranch_scc1 .LBB385_1471
; %bb.1469:
	s_cmp_gt_i32 s15, 6
	s_cbranch_scc0 .LBB385_1472
; %bb.1470:
	global_load_dwordx2 v[10:11], v[16:17], off
	s_mov_b64 s[0:1], 0
	s_waitcnt vmcnt(0)
	v_cvt_i32_f64_e32 v10, v[10:11]
	s_branch .LBB385_1473
.LBB385_1471:
	s_mov_b64 s[0:1], -1
                                        ; implicit-def: $vgpr10
	s_branch .LBB385_1476
.LBB385_1472:
	s_mov_b64 s[0:1], -1
                                        ; implicit-def: $vgpr10
.LBB385_1473:
	s_andn2_b64 vcc, exec, s[0:1]
	s_cbranch_vccnz .LBB385_1475
; %bb.1474:
	global_load_dword v1, v[16:17], off
	s_waitcnt vmcnt(0)
	v_cvt_i32_f32_e32 v10, v1
.LBB385_1475:
	s_mov_b64 s[0:1], 0
.LBB385_1476:
	s_andn2_b64 vcc, exec, s[0:1]
	s_cbranch_vccnz .LBB385_1478
; %bb.1477:
	global_load_ushort v1, v[16:17], off
	s_waitcnt vmcnt(0)
	v_cvt_i16_f16_e32 v10, v1
.LBB385_1478:
	s_mov_b64 s[0:1], 0
.LBB385_1479:
	s_andn2_b64 vcc, exec, s[0:1]
	s_cbranch_vccnz .LBB385_1499
; %bb.1480:
	s_cmp_lt_i32 s15, 2
	s_cbranch_scc1 .LBB385_1484
; %bb.1481:
	s_cmp_lt_i32 s15, 3
	s_cbranch_scc1 .LBB385_1485
; %bb.1482:
	s_cmp_gt_i32 s15, 3
	s_cbranch_scc0 .LBB385_1486
; %bb.1483:
	global_load_dwordx2 v[10:11], v[16:17], off
	s_mov_b64 s[0:1], 0
	s_branch .LBB385_1487
.LBB385_1484:
	s_mov_b64 s[0:1], -1
                                        ; implicit-def: $vgpr10
	s_branch .LBB385_1493
.LBB385_1485:
	s_mov_b64 s[0:1], -1
                                        ; implicit-def: $vgpr10
	s_branch .LBB385_1490
.LBB385_1486:
	s_mov_b64 s[0:1], -1
                                        ; implicit-def: $vgpr10
.LBB385_1487:
	s_andn2_b64 vcc, exec, s[0:1]
	s_cbranch_vccnz .LBB385_1489
; %bb.1488:
	global_load_dword v10, v[16:17], off
.LBB385_1489:
	s_mov_b64 s[0:1], 0
.LBB385_1490:
	s_andn2_b64 vcc, exec, s[0:1]
	s_cbranch_vccnz .LBB385_1492
; %bb.1491:
	global_load_ushort v10, v[16:17], off
.LBB385_1492:
	s_mov_b64 s[0:1], 0
.LBB385_1493:
	s_andn2_b64 vcc, exec, s[0:1]
	s_cbranch_vccnz .LBB385_1499
; %bb.1494:
	s_cmp_gt_i32 s15, 0
	s_cbranch_scc0 .LBB385_1496
; %bb.1495:
	global_load_sbyte v10, v[16:17], off
	s_mov_b64 s[0:1], 0
	s_branch .LBB385_1497
.LBB385_1496:
	s_mov_b64 s[0:1], -1
                                        ; implicit-def: $vgpr10
.LBB385_1497:
	s_andn2_b64 vcc, exec, s[0:1]
	s_cbranch_vccnz .LBB385_1499
; %bb.1498:
	global_load_ubyte v10, v[16:17], off
.LBB385_1499:
.LBB385_1500:
	v_mov_b32_e32 v9, 0
	s_cmp_lt_i32 s15, 11
	v_lshl_add_u64 v[16:17], s[6:7], 0, v[8:9]
	s_cbranch_scc1 .LBB385_1507
; %bb.1501:
	s_cmp_gt_i32 s15, 25
	s_mov_b64 s[6:7], 0
	s_cbranch_scc0 .LBB385_1508
; %bb.1502:
	s_cmp_gt_i32 s15, 28
	s_cbranch_scc0 .LBB385_1509
; %bb.1503:
	s_cmp_gt_i32 s15, 43
	;; [unrolled: 3-line block ×3, first 2 shown]
	s_cbranch_scc0 .LBB385_1512
; %bb.1505:
	s_cmp_eq_u32 s15, 46
	s_mov_b64 s[10:11], 0
	s_cbranch_scc0 .LBB385_1513
; %bb.1506:
	global_load_dword v1, v[16:17], off
	s_mov_b64 s[0:1], 0
	s_mov_b64 s[8:9], -1
	s_waitcnt vmcnt(0)
	v_lshlrev_b32_e32 v1, 16, v1
	v_cvt_i32_f32_e32 v8, v1
	s_branch .LBB385_1514
.LBB385_1507:
	s_mov_b64 s[0:1], -1
	s_mov_b64 s[8:9], 0
                                        ; implicit-def: $vgpr8
	s_branch .LBB385_1576
.LBB385_1508:
	s_mov_b64 s[10:11], -1
	s_mov_b64 s[8:9], 0
	s_mov_b64 s[0:1], 0
                                        ; implicit-def: $vgpr8
	s_branch .LBB385_1541
.LBB385_1509:
	s_mov_b64 s[10:11], -1
	s_mov_b64 s[8:9], 0
	s_mov_b64 s[0:1], 0
                                        ; implicit-def: $vgpr8
	s_branch .LBB385_1524
.LBB385_1510:
	s_mov_b64 s[10:11], -1
	s_mov_b64 s[8:9], 0
	s_mov_b64 s[0:1], 0
                                        ; implicit-def: $vgpr8
	s_branch .LBB385_1519
.LBB385_1511:
	s_trap 2
	s_or_b64 s[2:3], s[2:3], exec
	s_cbranch_execz .LBB385_1450
	s_branch .LBB385_1451
.LBB385_1512:
	s_mov_b64 s[10:11], -1
	s_mov_b64 s[8:9], 0
	s_mov_b64 s[0:1], 0
                                        ; implicit-def: $vgpr8
	s_branch .LBB385_1514
.LBB385_1513:
	s_mov_b64 s[0:1], -1
                                        ; implicit-def: $vgpr8
	s_mov_b64 s[8:9], 0
.LBB385_1514:
	s_and_b64 vcc, exec, s[10:11]
	s_cbranch_vccz .LBB385_1518
; %bb.1515:
	s_cmp_eq_u32 s15, 44
	s_cbranch_scc0 .LBB385_1517
; %bb.1516:
	global_load_ubyte v1, v[16:17], off
	s_mov_b64 s[0:1], 0
	s_mov_b64 s[8:9], -1
	s_waitcnt vmcnt(0)
	v_lshlrev_b32_e32 v3, 23, v1
	v_cvt_i32_f32_e32 v3, v3
	v_cmp_ne_u32_e32 vcc, 0, v1
	s_nop 1
	v_cndmask_b32_e32 v8, 0, v3, vcc
	s_branch .LBB385_1518
.LBB385_1517:
	s_mov_b64 s[0:1], -1
                                        ; implicit-def: $vgpr8
.LBB385_1518:
	s_mov_b64 s[10:11], 0
.LBB385_1519:
	s_and_b64 vcc, exec, s[10:11]
	s_cbranch_vccz .LBB385_1523
; %bb.1520:
	s_cmp_eq_u32 s15, 29
	s_cbranch_scc0 .LBB385_1522
; %bb.1521:
	global_load_dwordx2 v[8:9], v[16:17], off
	s_mov_b64 s[0:1], 0
	s_mov_b64 s[8:9], -1
	s_branch .LBB385_1523
.LBB385_1522:
	s_mov_b64 s[0:1], -1
                                        ; implicit-def: $vgpr8
.LBB385_1523:
	s_mov_b64 s[10:11], 0
.LBB385_1524:
	s_and_b64 vcc, exec, s[10:11]
	s_cbranch_vccz .LBB385_1540
; %bb.1525:
	s_cmp_lt_i32 s15, 27
	s_cbranch_scc1 .LBB385_1528
; %bb.1526:
	s_cmp_gt_i32 s15, 27
	s_cbranch_scc0 .LBB385_1529
; %bb.1527:
	global_load_dword v8, v[16:17], off
	s_mov_b64 s[8:9], 0
	s_branch .LBB385_1530
.LBB385_1528:
	s_mov_b64 s[8:9], -1
                                        ; implicit-def: $vgpr8
	s_branch .LBB385_1533
.LBB385_1529:
	s_mov_b64 s[8:9], -1
                                        ; implicit-def: $vgpr8
.LBB385_1530:
	s_andn2_b64 vcc, exec, s[8:9]
	s_cbranch_vccnz .LBB385_1532
; %bb.1531:
	global_load_ushort v8, v[16:17], off
.LBB385_1532:
	s_mov_b64 s[8:9], 0
.LBB385_1533:
	s_andn2_b64 vcc, exec, s[8:9]
	s_cbranch_vccnz .LBB385_1539
; %bb.1534:
	global_load_ubyte v1, v[16:17], off
	s_movk_i32 s8, 0x7f
	s_mov_b64 s[10:11], 0
	s_waitcnt vmcnt(0)
	v_cmp_lt_i16_e32 vcc, s8, v1
	s_and_saveexec_b64 s[8:9], vcc
	s_xor_b64 s[8:9], exec, s[8:9]
	s_cbranch_execz .LBB385_1551
; %bb.1535:
	s_movk_i32 s10, 0x80
	v_cmp_ne_u16_e32 vcc, s10, v1
	s_and_b64 s[10:11], vcc, exec
	s_andn2_saveexec_b64 s[8:9], s[8:9]
	s_cbranch_execnz .LBB385_1552
.LBB385_1536:
	s_or_b64 exec, exec, s[8:9]
	v_mov_b32_e32 v8, 0
	s_and_saveexec_b64 s[8:9], s[10:11]
	s_cbranch_execz .LBB385_1538
.LBB385_1537:
	v_lshlrev_b32_e32 v3, 24, v1
	v_and_b32_e32 v1, 0xffff, v1
	v_and_b32_e32 v5, 7, v1
	v_ffbh_u32_e32 v8, v5
	v_min_u32_e32 v8, 32, v8
	v_subrev_u32_e32 v9, 28, v8
	v_bfe_u32 v7, v1, 3, 4
	v_lshlrev_b32_e32 v1, v9, v1
	v_sub_u32_e32 v8, 29, v8
	v_and_b32_e32 v1, 7, v1
	v_cmp_eq_u32_e32 vcc, 0, v7
	v_and_b32_e32 v3, 0x80000000, v3
	s_nop 0
	v_cndmask_b32_e32 v7, v7, v8, vcc
	v_cndmask_b32_e32 v1, v5, v1, vcc
	v_mov_b32_e32 v5, 0x3b800000
	v_lshlrev_b32_e32 v1, 20, v1
	v_lshl_add_u32 v5, v7, 23, v5
	v_or3_b32 v1, v3, v5, v1
	v_cvt_i32_f32_e32 v8, v1
.LBB385_1538:
	s_or_b64 exec, exec, s[8:9]
.LBB385_1539:
	s_mov_b64 s[8:9], -1
.LBB385_1540:
	s_mov_b64 s[10:11], 0
.LBB385_1541:
	s_and_b64 vcc, exec, s[10:11]
	s_cbranch_vccz .LBB385_1572
; %bb.1542:
	s_cmp_gt_i32 s15, 22
	s_cbranch_scc0 .LBB385_1550
; %bb.1543:
	s_cmp_lt_i32 s15, 24
	s_cbranch_scc1 .LBB385_1553
; %bb.1544:
	s_cmp_gt_i32 s15, 24
	s_cbranch_scc0 .LBB385_1554
; %bb.1545:
	global_load_ubyte v1, v[16:17], off
	s_movk_i32 s6, 0x7f
	s_mov_b64 s[8:9], 0
	s_waitcnt vmcnt(0)
	v_cmp_lt_i16_e32 vcc, s6, v1
	s_and_saveexec_b64 s[6:7], vcc
	s_xor_b64 s[6:7], exec, s[6:7]
	s_cbranch_execz .LBB385_1566
; %bb.1546:
	s_movk_i32 s8, 0x80
	v_cmp_ne_u16_e32 vcc, s8, v1
	s_and_b64 s[8:9], vcc, exec
	s_andn2_saveexec_b64 s[6:7], s[6:7]
	s_cbranch_execnz .LBB385_1567
.LBB385_1547:
	s_or_b64 exec, exec, s[6:7]
	v_mov_b32_e32 v8, 0
	s_and_saveexec_b64 s[6:7], s[8:9]
	s_cbranch_execz .LBB385_1549
.LBB385_1548:
	v_lshlrev_b32_e32 v3, 24, v1
	v_and_b32_e32 v1, 0xffff, v1
	v_and_b32_e32 v5, 3, v1
	v_ffbh_u32_e32 v8, v5
	v_min_u32_e32 v8, 32, v8
	v_subrev_u32_e32 v9, 29, v8
	v_bfe_u32 v7, v1, 2, 5
	v_lshlrev_b32_e32 v1, v9, v1
	v_sub_u32_e32 v8, 30, v8
	v_and_b32_e32 v1, 3, v1
	v_cmp_eq_u32_e32 vcc, 0, v7
	v_and_b32_e32 v3, 0x80000000, v3
	s_nop 0
	v_cndmask_b32_e32 v7, v7, v8, vcc
	v_cndmask_b32_e32 v1, v5, v1, vcc
	v_mov_b32_e32 v5, 0x37800000
	v_lshlrev_b32_e32 v1, 21, v1
	v_lshl_add_u32 v5, v7, 23, v5
	v_or3_b32 v1, v3, v5, v1
	v_cvt_i32_f32_e32 v8, v1
.LBB385_1549:
	s_or_b64 exec, exec, s[6:7]
	s_mov_b64 s[6:7], 0
	s_branch .LBB385_1555
.LBB385_1550:
	s_mov_b64 s[6:7], -1
                                        ; implicit-def: $vgpr8
	s_branch .LBB385_1561
.LBB385_1551:
	s_andn2_saveexec_b64 s[8:9], s[8:9]
	s_cbranch_execz .LBB385_1536
.LBB385_1552:
	v_cmp_ne_u16_e32 vcc, 0, v1
	s_andn2_b64 s[10:11], s[10:11], exec
	s_and_b64 s[12:13], vcc, exec
	s_or_b64 s[10:11], s[10:11], s[12:13]
	s_or_b64 exec, exec, s[8:9]
	v_mov_b32_e32 v8, 0
	s_and_saveexec_b64 s[8:9], s[10:11]
	s_cbranch_execnz .LBB385_1537
	s_branch .LBB385_1538
.LBB385_1553:
	s_mov_b64 s[6:7], -1
                                        ; implicit-def: $vgpr8
	s_branch .LBB385_1558
.LBB385_1554:
	s_mov_b64 s[6:7], -1
                                        ; implicit-def: $vgpr8
.LBB385_1555:
	s_and_b64 vcc, exec, s[6:7]
	s_cbranch_vccz .LBB385_1557
; %bb.1556:
	global_load_ubyte v1, v[16:17], off
	s_mov_b32 s6, 0x7f800000
	s_waitcnt vmcnt(0)
	v_lshlrev_b32_e32 v1, 24, v1
	v_and_b32_e32 v3, 0x7f000000, v1
	v_ffbh_u32_e32 v5, v3
	v_min_u32_e32 v5, 32, v5
	v_sub_u32_e64 v5, v5, 4 clamp
	v_lshlrev_b32_e32 v8, v5, v3
	v_lshlrev_b32_e32 v5, 23, v5
	v_lshrrev_b32_e32 v8, 4, v8
	v_add_u32_e32 v7, 0x1000000, v3
	v_sub_u32_e32 v5, v8, v5
	v_ashrrev_i32_e32 v7, 8, v7
	v_add_u32_e32 v5, 0x3c000000, v5
	v_and_or_b32 v5, v7, s6, v5
	v_cmp_ne_u32_e32 vcc, 0, v3
	s_brev_b32 s6, 1
	s_nop 0
	v_cndmask_b32_e32 v3, 0, v5, vcc
	v_and_or_b32 v1, v1, s6, v3
	v_cvt_i32_f32_e32 v8, v1
.LBB385_1557:
	s_mov_b64 s[6:7], 0
.LBB385_1558:
	s_andn2_b64 vcc, exec, s[6:7]
	s_cbranch_vccnz .LBB385_1560
; %bb.1559:
	global_load_ubyte v1, v[16:17], off
	s_movk_i32 s6, 0x7f00
	s_brev_b32 s7, 16
	s_waitcnt vmcnt(0)
	v_lshlrev_b16_e32 v3, 8, v1
	v_lshlrev_b32_e32 v1, 25, v1
	v_lshrrev_b32_e32 v5, 4, v1
	v_and_or_b32 v7, v3, s6, 0.5
	v_or_b32_e32 v5, 0x70000000, v5
	v_add_f32_e32 v7, -0.5, v7
	v_mul_f32_e32 v5, 0x7800000, v5
	v_cmp_gt_u32_e32 vcc, s7, v1
	v_bfe_i32 v3, v3, 0, 16
	s_brev_b32 s6, 1
	v_cndmask_b32_e32 v1, v5, v7, vcc
	v_and_or_b32 v1, v3, s6, v1
	v_cvt_i32_f32_e32 v8, v1
.LBB385_1560:
	s_mov_b64 s[6:7], 0
	s_mov_b64 s[8:9], -1
.LBB385_1561:
	s_andn2_b64 vcc, exec, s[6:7]
	s_mov_b64 s[6:7], 0
	s_cbranch_vccnz .LBB385_1572
; %bb.1562:
	s_cmp_gt_i32 s15, 14
	s_cbranch_scc0 .LBB385_1565
; %bb.1563:
	s_cmp_eq_u32 s15, 15
	s_cbranch_scc0 .LBB385_1568
; %bb.1564:
	global_load_ushort v1, v[16:17], off
	s_mov_b64 s[0:1], 0
	s_mov_b64 s[8:9], -1
	s_waitcnt vmcnt(0)
	v_lshlrev_b32_e32 v1, 16, v1
	v_cvt_i32_f32_e32 v8, v1
	s_branch .LBB385_1569
.LBB385_1565:
	s_mov_b64 s[10:11], -1
                                        ; implicit-def: $vgpr8
	s_branch .LBB385_1570
.LBB385_1566:
	s_andn2_saveexec_b64 s[6:7], s[6:7]
	s_cbranch_execz .LBB385_1547
.LBB385_1567:
	v_cmp_ne_u16_e32 vcc, 0, v1
	s_andn2_b64 s[8:9], s[8:9], exec
	s_and_b64 s[10:11], vcc, exec
	s_or_b64 s[8:9], s[8:9], s[10:11]
	s_or_b64 exec, exec, s[6:7]
	v_mov_b32_e32 v8, 0
	s_and_saveexec_b64 s[6:7], s[8:9]
	s_cbranch_execnz .LBB385_1548
	s_branch .LBB385_1549
.LBB385_1568:
	s_mov_b64 s[0:1], -1
                                        ; implicit-def: $vgpr8
.LBB385_1569:
	s_mov_b64 s[10:11], 0
.LBB385_1570:
	s_and_b64 vcc, exec, s[10:11]
	s_cbranch_vccz .LBB385_1572
; %bb.1571:
	s_cmp_lg_u32 s15, 11
	s_mov_b64 s[6:7], -1
	s_cselect_b64 s[0:1], -1, 0
.LBB385_1572:
	s_and_b64 vcc, exec, s[0:1]
	s_cbranch_vccnz .LBB385_2105
; %bb.1573:
	s_andn2_b64 vcc, exec, s[6:7]
	s_cbranch_vccnz .LBB385_1575
.LBB385_1574:
	global_load_ubyte v1, v[16:17], off
	s_mov_b64 s[8:9], -1
	s_waitcnt vmcnt(0)
	v_cmp_ne_u16_e32 vcc, 0, v1
	s_nop 1
	v_cndmask_b32_e64 v8, 0, 1, vcc
.LBB385_1575:
	s_mov_b64 s[0:1], 0
.LBB385_1576:
	s_and_b64 vcc, exec, s[0:1]
	s_cbranch_vccz .LBB385_1625
; %bb.1577:
	s_cmp_lt_i32 s15, 5
	s_cbranch_scc1 .LBB385_1582
; %bb.1578:
	s_cmp_lt_i32 s15, 8
	s_cbranch_scc1 .LBB385_1583
	;; [unrolled: 3-line block ×3, first 2 shown]
; %bb.1580:
	s_cmp_gt_i32 s15, 9
	s_cbranch_scc0 .LBB385_1585
; %bb.1581:
	global_load_dwordx2 v[8:9], v[16:17], off
	s_mov_b64 s[0:1], 0
	s_waitcnt vmcnt(0)
	v_cvt_i32_f64_e32 v8, v[8:9]
	s_branch .LBB385_1586
.LBB385_1582:
	s_mov_b64 s[0:1], -1
                                        ; implicit-def: $vgpr8
	s_branch .LBB385_1604
.LBB385_1583:
	s_mov_b64 s[0:1], -1
                                        ; implicit-def: $vgpr8
	s_branch .LBB385_1592
.LBB385_1584:
	s_mov_b64 s[0:1], -1
                                        ; implicit-def: $vgpr8
	s_branch .LBB385_1589
.LBB385_1585:
	s_mov_b64 s[0:1], -1
                                        ; implicit-def: $vgpr8
.LBB385_1586:
	s_andn2_b64 vcc, exec, s[0:1]
	s_cbranch_vccnz .LBB385_1588
; %bb.1587:
	global_load_dword v1, v[16:17], off
	s_waitcnt vmcnt(0)
	v_cvt_i32_f32_e32 v8, v1
.LBB385_1588:
	s_mov_b64 s[0:1], 0
.LBB385_1589:
	s_andn2_b64 vcc, exec, s[0:1]
	s_cbranch_vccnz .LBB385_1591
; %bb.1590:
	global_load_dword v1, v[16:17], off
	s_waitcnt vmcnt(0)
	v_cvt_i16_f16_e32 v8, v1
.LBB385_1591:
	s_mov_b64 s[0:1], 0
.LBB385_1592:
	s_andn2_b64 vcc, exec, s[0:1]
	s_cbranch_vccnz .LBB385_1603
; %bb.1593:
	s_cmp_lt_i32 s15, 6
	s_cbranch_scc1 .LBB385_1596
; %bb.1594:
	s_cmp_gt_i32 s15, 6
	s_cbranch_scc0 .LBB385_1597
; %bb.1595:
	global_load_dwordx2 v[8:9], v[16:17], off
	s_mov_b64 s[0:1], 0
	s_waitcnt vmcnt(0)
	v_cvt_i32_f64_e32 v8, v[8:9]
	s_branch .LBB385_1598
.LBB385_1596:
	s_mov_b64 s[0:1], -1
                                        ; implicit-def: $vgpr8
	s_branch .LBB385_1601
.LBB385_1597:
	s_mov_b64 s[0:1], -1
                                        ; implicit-def: $vgpr8
.LBB385_1598:
	s_andn2_b64 vcc, exec, s[0:1]
	s_cbranch_vccnz .LBB385_1600
; %bb.1599:
	global_load_dword v1, v[16:17], off
	s_waitcnt vmcnt(0)
	v_cvt_i32_f32_e32 v8, v1
.LBB385_1600:
	s_mov_b64 s[0:1], 0
.LBB385_1601:
	s_andn2_b64 vcc, exec, s[0:1]
	s_cbranch_vccnz .LBB385_1603
; %bb.1602:
	global_load_ushort v1, v[16:17], off
	s_waitcnt vmcnt(0)
	v_cvt_i16_f16_e32 v8, v1
.LBB385_1603:
	s_mov_b64 s[0:1], 0
.LBB385_1604:
	s_andn2_b64 vcc, exec, s[0:1]
	s_cbranch_vccnz .LBB385_1624
; %bb.1605:
	s_cmp_lt_i32 s15, 2
	s_cbranch_scc1 .LBB385_1609
; %bb.1606:
	s_cmp_lt_i32 s15, 3
	s_cbranch_scc1 .LBB385_1610
; %bb.1607:
	s_cmp_gt_i32 s15, 3
	s_cbranch_scc0 .LBB385_1611
; %bb.1608:
	global_load_dwordx2 v[8:9], v[16:17], off
	s_mov_b64 s[0:1], 0
	s_branch .LBB385_1612
.LBB385_1609:
	s_mov_b64 s[0:1], -1
                                        ; implicit-def: $vgpr8
	s_branch .LBB385_1618
.LBB385_1610:
	s_mov_b64 s[0:1], -1
                                        ; implicit-def: $vgpr8
	s_branch .LBB385_1615
.LBB385_1611:
	s_mov_b64 s[0:1], -1
                                        ; implicit-def: $vgpr8
.LBB385_1612:
	s_andn2_b64 vcc, exec, s[0:1]
	s_cbranch_vccnz .LBB385_1614
; %bb.1613:
	global_load_dword v8, v[16:17], off
.LBB385_1614:
	s_mov_b64 s[0:1], 0
.LBB385_1615:
	s_andn2_b64 vcc, exec, s[0:1]
	s_cbranch_vccnz .LBB385_1617
; %bb.1616:
	global_load_ushort v8, v[16:17], off
.LBB385_1617:
	s_mov_b64 s[0:1], 0
.LBB385_1618:
	s_andn2_b64 vcc, exec, s[0:1]
	s_cbranch_vccnz .LBB385_1624
; %bb.1619:
	s_cmp_gt_i32 s15, 0
	s_cbranch_scc0 .LBB385_1621
; %bb.1620:
	global_load_sbyte v8, v[16:17], off
	s_mov_b64 s[0:1], 0
	s_branch .LBB385_1622
.LBB385_1621:
	s_mov_b64 s[0:1], -1
                                        ; implicit-def: $vgpr8
.LBB385_1622:
	s_andn2_b64 vcc, exec, s[0:1]
	s_cbranch_vccnz .LBB385_1624
; %bb.1623:
	global_load_ubyte v8, v[16:17], off
.LBB385_1624:
	s_mov_b64 s[8:9], -1
.LBB385_1625:
	s_andn2_b64 vcc, exec, s[8:9]
	s_cbranch_vccnz .LBB385_2059
; %bb.1626:
	s_load_dword s15, s[34:35], 0x158
	s_bfe_u32 s16, s14, 0x80010
	v_mov_b32_e32 v7, 0
	s_cmp_lt_i32 s16, 11
	v_lshl_add_u64 v[6:7], s[4:5], 0, v[6:7]
	s_waitcnt vmcnt(0) lgkmcnt(0)
	v_max_i16_e32 v1, s15, v14
	s_cbranch_scc1 .LBB385_1704
; %bb.1627:
	s_and_b32 s17, 0xffff, s16
	s_mov_b64 s[10:11], -1
	s_mov_b64 s[6:7], 0
	s_cmp_gt_i32 s17, 25
	s_mov_b64 s[8:9], 0
	s_mov_b64 s[0:1], 0
	s_cbranch_scc0 .LBB385_1660
; %bb.1628:
	s_cmp_gt_i32 s17, 28
	s_cbranch_scc0 .LBB385_1643
; %bb.1629:
	s_cmp_gt_i32 s17, 43
	;; [unrolled: 3-line block ×3, first 2 shown]
	s_cbranch_scc0 .LBB385_1633
; %bb.1631:
	s_mov_b64 s[0:1], -1
	s_mov_b64 s[10:11], 0
	s_cmp_eq_u32 s17, 46
	s_cbranch_scc0 .LBB385_1633
; %bb.1632:
	v_cvt_f32_i32_sdwa v3, sext(v1) dst_sel:DWORD dst_unused:UNUSED_PAD src0_sel:WORD_0
	s_movk_i32 s8, 0x7fff
	s_mov_b64 s[0:1], 0
	v_bfe_u32 v5, v3, 16, 1
	v_add3_u32 v3, v3, v5, s8
	v_lshrrev_b32_e32 v3, 16, v3
	global_store_dword v[6:7], v3, off
	s_mov_b64 s[8:9], -1
.LBB385_1633:
	s_and_b64 vcc, exec, s[10:11]
	s_cbranch_vccz .LBB385_1638
; %bb.1634:
	s_cmp_eq_u32 s17, 44
	s_mov_b64 s[0:1], -1
	s_cbranch_scc0 .LBB385_1638
; %bb.1635:
	v_cvt_f32_i32_sdwa v3, sext(v1) dst_sel:DWORD dst_unused:UNUSED_PAD src0_sel:WORD_0
	s_movk_i32 s0, 0xff
	v_mov_b32_e32 v9, 0xff
	v_bfe_u32 v5, v3, 23, 8
	v_cmp_ne_u32_e32 vcc, s0, v5
	s_and_saveexec_b64 s[8:9], vcc
; %bb.1636:
	s_mov_b32 s0, 0x3fffff
	v_lshrrev_b32_e32 v9, 23, v3
	v_and_b32_e32 v11, 0x400000, v3
	v_and_or_b32 v3, v3, s0, v5
	v_cmp_ne_u32_e32 vcc, 0, v11
	v_cmp_ne_u32_e64 s[0:1], 0, v3
	s_and_b64 s[0:1], vcc, s[0:1]
	s_nop 0
	v_cndmask_b32_e64 v3, 0, 1, s[0:1]
	v_add_u32_e32 v9, v9, v3
; %bb.1637:
	s_or_b64 exec, exec, s[8:9]
	s_mov_b64 s[0:1], 0
	s_mov_b64 s[8:9], -1
	global_store_byte v[6:7], v9, off
.LBB385_1638:
	s_mov_b64 s[10:11], 0
.LBB385_1639:
	s_and_b64 vcc, exec, s[10:11]
	s_cbranch_vccz .LBB385_1642
; %bb.1640:
	s_cmp_eq_u32 s17, 29
	s_mov_b64 s[0:1], -1
	s_cbranch_scc0 .LBB385_1642
; %bb.1641:
	v_bfe_i32 v14, v1, 0, 16
	v_ashrrev_i32_e32 v15, 31, v14
	global_store_dwordx2 v[6:7], v[14:15], off
	s_mov_b64 s[0:1], 0
	s_mov_b64 s[8:9], -1
.LBB385_1642:
	s_mov_b64 s[10:11], 0
.LBB385_1643:
	s_and_b64 vcc, exec, s[10:11]
	s_cbranch_vccz .LBB385_1659
; %bb.1644:
	s_cmp_lt_i32 s17, 27
	s_mov_b64 s[8:9], -1
	s_cbranch_scc1 .LBB385_1650
; %bb.1645:
	s_cmp_gt_i32 s17, 27
	s_cbranch_scc0 .LBB385_1647
; %bb.1646:
	v_bfe_i32 v3, v1, 0, 16
	s_mov_b64 s[8:9], 0
	global_store_dword v[6:7], v3, off
.LBB385_1647:
	s_andn2_b64 vcc, exec, s[8:9]
	s_cbranch_vccnz .LBB385_1649
; %bb.1648:
	global_store_short v[6:7], v1, off
.LBB385_1649:
	s_mov_b64 s[8:9], 0
.LBB385_1650:
	s_andn2_b64 vcc, exec, s[8:9]
	s_cbranch_vccnz .LBB385_1658
; %bb.1651:
	v_cvt_f32_i32_sdwa v3, sext(v1) dst_sel:DWORD dst_unused:UNUSED_PAD src0_sel:WORD_0
	s_mov_b32 s8, 0x43800000
	v_mov_b32_e32 v9, 0x80
	v_and_b32_e32 v5, 0x7fffffff, v3
	v_cmp_gt_u32_e32 vcc, s8, v5
	s_and_saveexec_b64 s[8:9], vcc
	s_cbranch_execz .LBB385_1657
; %bb.1652:
	s_mov_b32 s10, 0x3bffffff
	v_cmp_lt_u32_e32 vcc, s10, v5
	s_mov_b64 s[10:11], 0
                                        ; implicit-def: $vgpr5
	s_and_saveexec_b64 s[12:13], vcc
	s_xor_b64 s[12:13], exec, s[12:13]
	s_cbranch_execz .LBB385_2106
; %bb.1653:
	v_bfe_u32 v5, v3, 20, 1
	s_mov_b32 s18, 0x487ffff
	v_add3_u32 v5, v3, v5, s18
	s_mov_b64 s[10:11], exec
	v_lshrrev_b32_e32 v5, 20, v5
	s_andn2_saveexec_b64 s[12:13], s[12:13]
	s_cbranch_execnz .LBB385_2107
.LBB385_1654:
	s_or_b64 exec, exec, s[12:13]
	v_mov_b32_e32 v9, 0
	s_and_saveexec_b64 s[12:13], s[10:11]
.LBB385_1655:
	v_lshrrev_b32_e32 v3, 24, v3
	s_movk_i32 s10, 0x80
	v_and_or_b32 v9, v3, s10, v5
.LBB385_1656:
	s_or_b64 exec, exec, s[12:13]
.LBB385_1657:
	s_or_b64 exec, exec, s[8:9]
	global_store_byte v[6:7], v9, off
.LBB385_1658:
	s_mov_b64 s[8:9], -1
.LBB385_1659:
	s_mov_b64 s[10:11], 0
.LBB385_1660:
	s_and_b64 vcc, exec, s[10:11]
	s_cbranch_vccz .LBB385_1700
; %bb.1661:
	s_cmp_gt_i32 s17, 22
	s_mov_b64 s[6:7], -1
	s_cbranch_scc0 .LBB385_1693
; %bb.1662:
	s_cmp_lt_i32 s17, 24
	s_cbranch_scc1 .LBB385_1682
; %bb.1663:
	s_cmp_gt_i32 s17, 24
	s_cbranch_scc0 .LBB385_1671
; %bb.1664:
	v_cvt_f32_i32_sdwa v3, sext(v1) dst_sel:DWORD dst_unused:UNUSED_PAD src0_sel:WORD_0
	s_mov_b32 s6, 0x47800000
	v_mov_b32_e32 v9, 0x80
	v_and_b32_e32 v5, 0x7fffffff, v3
	v_cmp_gt_u32_e32 vcc, s6, v5
	s_and_saveexec_b64 s[6:7], vcc
	s_cbranch_execz .LBB385_1670
; %bb.1665:
	s_mov_b32 s8, 0x37ffffff
	v_cmp_lt_u32_e32 vcc, s8, v5
	s_mov_b64 s[8:9], 0
                                        ; implicit-def: $vgpr5
	s_and_saveexec_b64 s[10:11], vcc
	s_xor_b64 s[10:11], exec, s[10:11]
	s_cbranch_execz .LBB385_2109
; %bb.1666:
	v_bfe_u32 v5, v3, 21, 1
	s_mov_b32 s12, 0x88fffff
	v_add3_u32 v5, v3, v5, s12
	s_mov_b64 s[8:9], exec
	v_lshrrev_b32_e32 v5, 21, v5
	s_andn2_saveexec_b64 s[10:11], s[10:11]
	s_cbranch_execnz .LBB385_2110
.LBB385_1667:
	s_or_b64 exec, exec, s[10:11]
	v_mov_b32_e32 v9, 0
	s_and_saveexec_b64 s[10:11], s[8:9]
.LBB385_1668:
	v_lshrrev_b32_e32 v3, 24, v3
	s_movk_i32 s8, 0x80
	v_and_or_b32 v9, v3, s8, v5
.LBB385_1669:
	s_or_b64 exec, exec, s[10:11]
.LBB385_1670:
	s_or_b64 exec, exec, s[6:7]
	s_mov_b64 s[6:7], 0
	global_store_byte v[6:7], v9, off
.LBB385_1671:
	s_and_b64 vcc, exec, s[6:7]
	s_cbranch_vccz .LBB385_1681
; %bb.1672:
	v_cvt_f32_i32_sdwa v3, sext(v1) dst_sel:DWORD dst_unused:UNUSED_PAD src0_sel:WORD_0
	s_mov_b32 s6, 0x43f00000
                                        ; implicit-def: $vgpr5
	v_and_b32_e32 v9, 0x7fffffff, v3
	v_cmp_gt_u32_e32 vcc, s6, v9
	s_and_saveexec_b64 s[6:7], vcc
	s_xor_b64 s[6:7], exec, s[6:7]
	s_cbranch_execz .LBB385_1678
; %bb.1673:
	s_mov_b32 s8, 0x3c7fffff
	v_cmp_lt_u32_e32 vcc, s8, v9
                                        ; implicit-def: $vgpr5
	s_and_saveexec_b64 s[8:9], vcc
	s_xor_b64 s[8:9], exec, s[8:9]
; %bb.1674:
	v_bfe_u32 v5, v3, 20, 1
	s_mov_b32 s10, 0x407ffff
	v_add3_u32 v5, v3, v5, s10
	v_lshrrev_b32_e32 v9, 20, v5
	v_and_b32_e32 v5, 0xff00000, v5
	s_mov_b32 s10, 0x7f00000
	v_mov_b32_e32 v11, 0x7e
	v_cmp_ne_u32_e32 vcc, s10, v5
	s_nop 1
	v_cndmask_b32_e32 v5, v11, v9, vcc
; %bb.1675:
	s_andn2_saveexec_b64 s[8:9], s[8:9]
; %bb.1676:
	s_mov_b32 s10, 0x46800000
	v_add_f32_e64 v5, |v3|, s10
; %bb.1677:
	s_or_b64 exec, exec, s[8:9]
                                        ; implicit-def: $vgpr9
.LBB385_1678:
	s_andn2_saveexec_b64 s[6:7], s[6:7]
; %bb.1679:
	s_mov_b32 s8, 0x7f800000
	v_mov_b32_e32 v5, 0x7e
	v_mov_b32_e32 v11, 0x7f
	v_cmp_lt_u32_e32 vcc, s8, v9
	s_nop 1
	v_cndmask_b32_e32 v5, v5, v11, vcc
; %bb.1680:
	s_or_b64 exec, exec, s[6:7]
	v_lshrrev_b32_e32 v3, 24, v3
	s_movk_i32 s6, 0x80
	v_and_or_b32 v3, v3, s6, v5
	global_store_byte v[6:7], v3, off
.LBB385_1681:
	s_mov_b64 s[6:7], 0
.LBB385_1682:
	s_andn2_b64 vcc, exec, s[6:7]
	s_cbranch_vccnz .LBB385_1692
; %bb.1683:
	v_cvt_f32_i32_sdwa v3, sext(v1) dst_sel:DWORD dst_unused:UNUSED_PAD src0_sel:WORD_0
	s_mov_b32 s6, 0x47800000
                                        ; implicit-def: $vgpr5
	v_and_b32_e32 v9, 0x7fffffff, v3
	v_cmp_gt_u32_e32 vcc, s6, v9
	s_and_saveexec_b64 s[6:7], vcc
	s_xor_b64 s[6:7], exec, s[6:7]
	s_cbranch_execz .LBB385_1689
; %bb.1684:
	s_mov_b32 s8, 0x387fffff
	v_cmp_lt_u32_e32 vcc, s8, v9
                                        ; implicit-def: $vgpr5
	s_and_saveexec_b64 s[8:9], vcc
	s_xor_b64 s[8:9], exec, s[8:9]
; %bb.1685:
	v_bfe_u32 v5, v3, 21, 1
	s_mov_b32 s10, 0x80fffff
	v_add3_u32 v5, v3, v5, s10
	v_lshrrev_b32_e32 v5, 21, v5
; %bb.1686:
	s_andn2_saveexec_b64 s[8:9], s[8:9]
; %bb.1687:
	s_mov_b32 s10, 0x43000000
	v_add_f32_e64 v5, |v3|, s10
; %bb.1688:
	s_or_b64 exec, exec, s[8:9]
                                        ; implicit-def: $vgpr9
.LBB385_1689:
	s_andn2_saveexec_b64 s[6:7], s[6:7]
; %bb.1690:
	s_mov_b32 s8, 0x7f800000
	v_mov_b32_e32 v5, 0x7c
	v_mov_b32_e32 v11, 0x7f
	v_cmp_lt_u32_e32 vcc, s8, v9
	s_nop 1
	v_cndmask_b32_e32 v5, v5, v11, vcc
; %bb.1691:
	s_or_b64 exec, exec, s[6:7]
	v_lshrrev_b32_e32 v3, 24, v3
	s_movk_i32 s6, 0x80
	v_and_or_b32 v3, v3, s6, v5
	global_store_byte v[6:7], v3, off
.LBB385_1692:
	s_mov_b64 s[6:7], 0
	s_mov_b64 s[8:9], -1
.LBB385_1693:
	s_andn2_b64 vcc, exec, s[6:7]
	s_mov_b64 s[6:7], 0
	s_cbranch_vccnz .LBB385_1700
; %bb.1694:
	s_cmp_gt_i32 s17, 14
	s_mov_b64 s[10:11], -1
	s_cbranch_scc0 .LBB385_1698
; %bb.1695:
	s_cmp_eq_u32 s17, 15
	s_mov_b64 s[0:1], -1
	s_cbranch_scc0 .LBB385_1697
; %bb.1696:
	v_cvt_f32_i32_sdwa v3, sext(v1) dst_sel:DWORD dst_unused:UNUSED_PAD src0_sel:WORD_0
	s_movk_i32 s6, 0x7fff
	s_mov_b64 s[0:1], 0
	s_mov_b64 s[8:9], -1
	v_bfe_u32 v5, v3, 16, 1
	v_add3_u32 v3, v3, v5, s6
	global_store_short_d16_hi v[6:7], v3, off
.LBB385_1697:
	s_mov_b64 s[10:11], 0
.LBB385_1698:
	s_mov_b64 s[6:7], 0
	s_and_b64 vcc, exec, s[10:11]
	s_cbranch_vccz .LBB385_1700
; %bb.1699:
	s_cmp_lg_u32 s17, 11
	s_mov_b64 s[6:7], -1
	s_cselect_b64 s[0:1], -1, 0
.LBB385_1700:
	s_and_b64 vcc, exec, s[0:1]
	s_cbranch_vccnz .LBB385_2108
; %bb.1701:
	s_andn2_b64 vcc, exec, s[6:7]
	s_cbranch_vccnz .LBB385_1703
.LBB385_1702:
	v_cmp_ne_u16_e32 vcc, 0, v1
	s_mov_b64 s[8:9], -1
	s_nop 0
	v_cndmask_b32_e64 v3, 0, 1, vcc
	global_store_byte v[6:7], v3, off
.LBB385_1703:
	s_mov_b64 s[0:1], 0
	s_branch .LBB385_1705
.LBB385_1704:
	s_mov_b64 s[0:1], -1
	s_mov_b64 s[8:9], 0
.LBB385_1705:
	s_and_b64 vcc, exec, s[0:1]
	s_cbranch_vccz .LBB385_1744
; %bb.1706:
	s_and_b32 s6, 0xffff, s16
	s_cmp_lt_i32 s6, 5
	s_mov_b64 s[0:1], -1
	s_cbranch_scc1 .LBB385_1727
; %bb.1707:
	s_cmp_lt_i32 s6, 8
	s_cbranch_scc1 .LBB385_1717
; %bb.1708:
	s_cmp_lt_i32 s6, 9
	s_cbranch_scc1 .LBB385_1714
; %bb.1709:
	s_cmp_gt_i32 s6, 9
	s_cbranch_scc0 .LBB385_1711
; %bb.1710:
	v_bfe_i32 v3, v1, 0, 16
	v_mov_b32_e32 v16, 0
	v_cvt_f64_i32_e32 v[14:15], v3
	v_mov_b32_e32 v17, v16
	global_store_dwordx4 v[6:7], v[14:17], off
	s_mov_b64 s[0:1], 0
.LBB385_1711:
	s_andn2_b64 vcc, exec, s[0:1]
	s_cbranch_vccnz .LBB385_1713
; %bb.1712:
	v_cvt_f32_i32_sdwa v14, sext(v1) dst_sel:DWORD dst_unused:UNUSED_PAD src0_sel:WORD_0
	v_mov_b32_e32 v15, 0
	global_store_dwordx2 v[6:7], v[14:15], off
.LBB385_1713:
	s_mov_b64 s[0:1], 0
.LBB385_1714:
	s_andn2_b64 vcc, exec, s[0:1]
	s_cbranch_vccnz .LBB385_1716
; %bb.1715:
	v_cvt_f16_i16_e32 v3, v1
	global_store_dword v[6:7], v3, off
.LBB385_1716:
	s_mov_b64 s[0:1], 0
.LBB385_1717:
	s_andn2_b64 vcc, exec, s[0:1]
	s_cbranch_vccnz .LBB385_1726
; %bb.1718:
	s_cmp_lt_i32 s6, 6
	s_mov_b64 s[0:1], -1
	s_cbranch_scc1 .LBB385_1724
; %bb.1719:
	s_cmp_gt_i32 s6, 6
	s_cbranch_scc0 .LBB385_1721
; %bb.1720:
	v_bfe_i32 v3, v1, 0, 16
	v_cvt_f64_i32_e32 v[14:15], v3
	global_store_dwordx2 v[6:7], v[14:15], off
	s_mov_b64 s[0:1], 0
.LBB385_1721:
	s_andn2_b64 vcc, exec, s[0:1]
	s_cbranch_vccnz .LBB385_1723
; %bb.1722:
	v_cvt_f32_i32_sdwa v3, sext(v1) dst_sel:DWORD dst_unused:UNUSED_PAD src0_sel:WORD_0
	global_store_dword v[6:7], v3, off
.LBB385_1723:
	s_mov_b64 s[0:1], 0
.LBB385_1724:
	s_andn2_b64 vcc, exec, s[0:1]
	s_cbranch_vccnz .LBB385_1726
; %bb.1725:
	v_cvt_f16_i16_e32 v3, v1
	global_store_short v[6:7], v3, off
.LBB385_1726:
	s_mov_b64 s[0:1], 0
.LBB385_1727:
	s_andn2_b64 vcc, exec, s[0:1]
	s_cbranch_vccnz .LBB385_1743
; %bb.1728:
	s_cmp_lt_i32 s6, 2
	s_mov_b64 s[0:1], -1
	s_cbranch_scc1 .LBB385_1738
; %bb.1729:
	s_cmp_lt_i32 s6, 3
	s_cbranch_scc1 .LBB385_1735
; %bb.1730:
	s_cmp_gt_i32 s6, 3
	v_bfe_i32 v14, v1, 0, 16
	s_cbranch_scc0 .LBB385_1732
; %bb.1731:
	v_ashrrev_i32_e32 v15, 31, v14
	global_store_dwordx2 v[6:7], v[14:15], off
	s_mov_b64 s[0:1], 0
.LBB385_1732:
	s_andn2_b64 vcc, exec, s[0:1]
	s_cbranch_vccnz .LBB385_1734
; %bb.1733:
	global_store_dword v[6:7], v14, off
.LBB385_1734:
	s_mov_b64 s[0:1], 0
.LBB385_1735:
	s_andn2_b64 vcc, exec, s[0:1]
	s_cbranch_vccnz .LBB385_1737
; %bb.1736:
	global_store_short v[6:7], v1, off
.LBB385_1737:
	s_mov_b64 s[0:1], 0
.LBB385_1738:
	s_andn2_b64 vcc, exec, s[0:1]
	s_cbranch_vccnz .LBB385_1743
; %bb.1739:
	s_cmp_gt_i32 s6, 0
	s_mov_b64 s[0:1], -1
	s_cbranch_scc0 .LBB385_1741
; %bb.1740:
	global_store_byte v[6:7], v1, off
	s_mov_b64 s[0:1], 0
.LBB385_1741:
	s_andn2_b64 vcc, exec, s[0:1]
	s_cbranch_vccnz .LBB385_1743
; %bb.1742:
	global_store_byte v[6:7], v1, off
.LBB385_1743:
	s_mov_b64 s[8:9], -1
.LBB385_1744:
	s_andn2_b64 vcc, exec, s[8:9]
	s_cbranch_vccnz .LBB385_2059
; %bb.1745:
	s_lshr_b32 s0, s14, 16
	s_and_b32 s14, s0, 0xff
	v_mov_b32_e32 v5, 0
	v_max_i16_e32 v1, s15, v12
	s_cmp_lt_i32 s14, 11
	v_lshl_add_u64 v[4:5], s[4:5], 0, v[4:5]
	s_cbranch_scc1 .LBB385_1823
; %bb.1746:
	s_and_b32 s16, 0xffff, s14
	s_mov_b64 s[10:11], -1
	s_mov_b64 s[6:7], 0
	s_cmp_gt_i32 s16, 25
	s_mov_b64 s[8:9], 0
	s_mov_b64 s[0:1], 0
	s_cbranch_scc0 .LBB385_1779
; %bb.1747:
	s_cmp_gt_i32 s16, 28
	s_cbranch_scc0 .LBB385_1762
; %bb.1748:
	s_cmp_gt_i32 s16, 43
	;; [unrolled: 3-line block ×3, first 2 shown]
	s_cbranch_scc0 .LBB385_1752
; %bb.1750:
	s_mov_b64 s[0:1], -1
	s_mov_b64 s[10:11], 0
	s_cmp_eq_u32 s16, 46
	s_cbranch_scc0 .LBB385_1752
; %bb.1751:
	v_cvt_f32_i32_sdwa v3, sext(v1) dst_sel:DWORD dst_unused:UNUSED_PAD src0_sel:WORD_0
	s_movk_i32 s8, 0x7fff
	s_mov_b64 s[0:1], 0
	v_bfe_u32 v6, v3, 16, 1
	v_add3_u32 v3, v3, v6, s8
	v_lshrrev_b32_e32 v3, 16, v3
	global_store_dword v[4:5], v3, off
	s_mov_b64 s[8:9], -1
.LBB385_1752:
	s_and_b64 vcc, exec, s[10:11]
	s_cbranch_vccz .LBB385_1757
; %bb.1753:
	s_cmp_eq_u32 s16, 44
	s_mov_b64 s[0:1], -1
	s_cbranch_scc0 .LBB385_1757
; %bb.1754:
	v_cvt_f32_i32_sdwa v3, sext(v1) dst_sel:DWORD dst_unused:UNUSED_PAD src0_sel:WORD_0
	s_movk_i32 s0, 0xff
	v_mov_b32_e32 v7, 0xff
	v_bfe_u32 v6, v3, 23, 8
	v_cmp_ne_u32_e32 vcc, s0, v6
	s_and_saveexec_b64 s[8:9], vcc
; %bb.1755:
	s_mov_b32 s0, 0x3fffff
	v_lshrrev_b32_e32 v7, 23, v3
	v_and_b32_e32 v9, 0x400000, v3
	v_and_or_b32 v3, v3, s0, v6
	v_cmp_ne_u32_e32 vcc, 0, v9
	v_cmp_ne_u32_e64 s[0:1], 0, v3
	s_and_b64 s[0:1], vcc, s[0:1]
	s_nop 0
	v_cndmask_b32_e64 v3, 0, 1, s[0:1]
	v_add_u32_e32 v7, v7, v3
; %bb.1756:
	s_or_b64 exec, exec, s[8:9]
	s_mov_b64 s[0:1], 0
	s_mov_b64 s[8:9], -1
	global_store_byte v[4:5], v7, off
.LBB385_1757:
	s_mov_b64 s[10:11], 0
.LBB385_1758:
	s_and_b64 vcc, exec, s[10:11]
	s_cbranch_vccz .LBB385_1761
; %bb.1759:
	s_cmp_eq_u32 s16, 29
	s_mov_b64 s[0:1], -1
	s_cbranch_scc0 .LBB385_1761
; %bb.1760:
	v_bfe_i32 v6, v1, 0, 16
	v_ashrrev_i32_e32 v7, 31, v6
	global_store_dwordx2 v[4:5], v[6:7], off
	s_mov_b64 s[0:1], 0
	s_mov_b64 s[8:9], -1
.LBB385_1761:
	s_mov_b64 s[10:11], 0
.LBB385_1762:
	s_and_b64 vcc, exec, s[10:11]
	s_cbranch_vccz .LBB385_1778
; %bb.1763:
	s_cmp_lt_i32 s16, 27
	s_mov_b64 s[8:9], -1
	s_cbranch_scc1 .LBB385_1769
; %bb.1764:
	s_cmp_gt_i32 s16, 27
	s_cbranch_scc0 .LBB385_1766
; %bb.1765:
	v_bfe_i32 v3, v1, 0, 16
	s_mov_b64 s[8:9], 0
	global_store_dword v[4:5], v3, off
.LBB385_1766:
	s_andn2_b64 vcc, exec, s[8:9]
	s_cbranch_vccnz .LBB385_1768
; %bb.1767:
	global_store_short v[4:5], v1, off
.LBB385_1768:
	s_mov_b64 s[8:9], 0
.LBB385_1769:
	s_andn2_b64 vcc, exec, s[8:9]
	s_cbranch_vccnz .LBB385_1777
; %bb.1770:
	v_cvt_f32_i32_sdwa v3, sext(v1) dst_sel:DWORD dst_unused:UNUSED_PAD src0_sel:WORD_0
	s_mov_b32 s8, 0x43800000
	v_mov_b32_e32 v7, 0x80
	v_and_b32_e32 v6, 0x7fffffff, v3
	v_cmp_gt_u32_e32 vcc, s8, v6
	s_and_saveexec_b64 s[8:9], vcc
	s_cbranch_execz .LBB385_1776
; %bb.1771:
	s_mov_b32 s10, 0x3bffffff
	v_cmp_lt_u32_e32 vcc, s10, v6
	s_mov_b64 s[10:11], 0
                                        ; implicit-def: $vgpr6
	s_and_saveexec_b64 s[12:13], vcc
	s_xor_b64 s[12:13], exec, s[12:13]
	s_cbranch_execz .LBB385_2111
; %bb.1772:
	v_bfe_u32 v6, v3, 20, 1
	s_mov_b32 s17, 0x487ffff
	v_add3_u32 v6, v3, v6, s17
	s_mov_b64 s[10:11], exec
	v_lshrrev_b32_e32 v6, 20, v6
	s_andn2_saveexec_b64 s[12:13], s[12:13]
	s_cbranch_execnz .LBB385_2112
.LBB385_1773:
	s_or_b64 exec, exec, s[12:13]
	v_mov_b32_e32 v7, 0
	s_and_saveexec_b64 s[12:13], s[10:11]
.LBB385_1774:
	v_lshrrev_b32_e32 v3, 24, v3
	s_movk_i32 s10, 0x80
	v_and_or_b32 v7, v3, s10, v6
.LBB385_1775:
	s_or_b64 exec, exec, s[12:13]
.LBB385_1776:
	s_or_b64 exec, exec, s[8:9]
	global_store_byte v[4:5], v7, off
.LBB385_1777:
	s_mov_b64 s[8:9], -1
.LBB385_1778:
	s_mov_b64 s[10:11], 0
.LBB385_1779:
	s_and_b64 vcc, exec, s[10:11]
	s_cbranch_vccz .LBB385_1819
; %bb.1780:
	s_cmp_gt_i32 s16, 22
	s_mov_b64 s[6:7], -1
	s_cbranch_scc0 .LBB385_1812
; %bb.1781:
	s_cmp_lt_i32 s16, 24
	s_cbranch_scc1 .LBB385_1801
; %bb.1782:
	s_cmp_gt_i32 s16, 24
	s_cbranch_scc0 .LBB385_1790
; %bb.1783:
	v_cvt_f32_i32_sdwa v3, sext(v1) dst_sel:DWORD dst_unused:UNUSED_PAD src0_sel:WORD_0
	s_mov_b32 s6, 0x47800000
	v_mov_b32_e32 v7, 0x80
	v_and_b32_e32 v6, 0x7fffffff, v3
	v_cmp_gt_u32_e32 vcc, s6, v6
	s_and_saveexec_b64 s[6:7], vcc
	s_cbranch_execz .LBB385_1789
; %bb.1784:
	s_mov_b32 s8, 0x37ffffff
	v_cmp_lt_u32_e32 vcc, s8, v6
	s_mov_b64 s[8:9], 0
                                        ; implicit-def: $vgpr6
	s_and_saveexec_b64 s[10:11], vcc
	s_xor_b64 s[10:11], exec, s[10:11]
	s_cbranch_execz .LBB385_2114
; %bb.1785:
	v_bfe_u32 v6, v3, 21, 1
	s_mov_b32 s12, 0x88fffff
	v_add3_u32 v6, v3, v6, s12
	s_mov_b64 s[8:9], exec
	v_lshrrev_b32_e32 v6, 21, v6
	s_andn2_saveexec_b64 s[10:11], s[10:11]
	s_cbranch_execnz .LBB385_2115
.LBB385_1786:
	s_or_b64 exec, exec, s[10:11]
	v_mov_b32_e32 v7, 0
	s_and_saveexec_b64 s[10:11], s[8:9]
.LBB385_1787:
	v_lshrrev_b32_e32 v3, 24, v3
	s_movk_i32 s8, 0x80
	v_and_or_b32 v7, v3, s8, v6
.LBB385_1788:
	s_or_b64 exec, exec, s[10:11]
.LBB385_1789:
	s_or_b64 exec, exec, s[6:7]
	s_mov_b64 s[6:7], 0
	global_store_byte v[4:5], v7, off
.LBB385_1790:
	s_and_b64 vcc, exec, s[6:7]
	s_cbranch_vccz .LBB385_1800
; %bb.1791:
	v_cvt_f32_i32_sdwa v3, sext(v1) dst_sel:DWORD dst_unused:UNUSED_PAD src0_sel:WORD_0
	s_mov_b32 s6, 0x43f00000
                                        ; implicit-def: $vgpr6
	v_and_b32_e32 v7, 0x7fffffff, v3
	v_cmp_gt_u32_e32 vcc, s6, v7
	s_and_saveexec_b64 s[6:7], vcc
	s_xor_b64 s[6:7], exec, s[6:7]
	s_cbranch_execz .LBB385_1797
; %bb.1792:
	s_mov_b32 s8, 0x3c7fffff
	v_cmp_lt_u32_e32 vcc, s8, v7
                                        ; implicit-def: $vgpr6
	s_and_saveexec_b64 s[8:9], vcc
	s_xor_b64 s[8:9], exec, s[8:9]
; %bb.1793:
	v_bfe_u32 v6, v3, 20, 1
	s_mov_b32 s10, 0x407ffff
	v_add3_u32 v6, v3, v6, s10
	v_lshrrev_b32_e32 v7, 20, v6
	v_and_b32_e32 v6, 0xff00000, v6
	s_mov_b32 s10, 0x7f00000
	v_mov_b32_e32 v9, 0x7e
	v_cmp_ne_u32_e32 vcc, s10, v6
	s_nop 1
	v_cndmask_b32_e32 v6, v9, v7, vcc
; %bb.1794:
	s_andn2_saveexec_b64 s[8:9], s[8:9]
; %bb.1795:
	s_mov_b32 s10, 0x46800000
	v_add_f32_e64 v6, |v3|, s10
; %bb.1796:
	s_or_b64 exec, exec, s[8:9]
                                        ; implicit-def: $vgpr7
.LBB385_1797:
	s_andn2_saveexec_b64 s[6:7], s[6:7]
; %bb.1798:
	s_mov_b32 s8, 0x7f800000
	v_mov_b32_e32 v6, 0x7e
	v_mov_b32_e32 v9, 0x7f
	v_cmp_lt_u32_e32 vcc, s8, v7
	s_nop 1
	v_cndmask_b32_e32 v6, v6, v9, vcc
; %bb.1799:
	s_or_b64 exec, exec, s[6:7]
	v_lshrrev_b32_e32 v3, 24, v3
	s_movk_i32 s6, 0x80
	v_and_or_b32 v3, v3, s6, v6
	global_store_byte v[4:5], v3, off
.LBB385_1800:
	s_mov_b64 s[6:7], 0
.LBB385_1801:
	s_andn2_b64 vcc, exec, s[6:7]
	s_cbranch_vccnz .LBB385_1811
; %bb.1802:
	v_cvt_f32_i32_sdwa v3, sext(v1) dst_sel:DWORD dst_unused:UNUSED_PAD src0_sel:WORD_0
	s_mov_b32 s6, 0x47800000
                                        ; implicit-def: $vgpr6
	v_and_b32_e32 v7, 0x7fffffff, v3
	v_cmp_gt_u32_e32 vcc, s6, v7
	s_and_saveexec_b64 s[6:7], vcc
	s_xor_b64 s[6:7], exec, s[6:7]
	s_cbranch_execz .LBB385_1808
; %bb.1803:
	s_mov_b32 s8, 0x387fffff
	v_cmp_lt_u32_e32 vcc, s8, v7
                                        ; implicit-def: $vgpr6
	s_and_saveexec_b64 s[8:9], vcc
	s_xor_b64 s[8:9], exec, s[8:9]
; %bb.1804:
	v_bfe_u32 v6, v3, 21, 1
	s_mov_b32 s10, 0x80fffff
	v_add3_u32 v6, v3, v6, s10
	v_lshrrev_b32_e32 v6, 21, v6
; %bb.1805:
	s_andn2_saveexec_b64 s[8:9], s[8:9]
; %bb.1806:
	s_mov_b32 s10, 0x43000000
	v_add_f32_e64 v6, |v3|, s10
; %bb.1807:
	s_or_b64 exec, exec, s[8:9]
                                        ; implicit-def: $vgpr7
.LBB385_1808:
	s_andn2_saveexec_b64 s[6:7], s[6:7]
; %bb.1809:
	s_mov_b32 s8, 0x7f800000
	v_mov_b32_e32 v6, 0x7c
	v_mov_b32_e32 v9, 0x7f
	v_cmp_lt_u32_e32 vcc, s8, v7
	s_nop 1
	v_cndmask_b32_e32 v6, v6, v9, vcc
; %bb.1810:
	s_or_b64 exec, exec, s[6:7]
	v_lshrrev_b32_e32 v3, 24, v3
	s_movk_i32 s6, 0x80
	v_and_or_b32 v3, v3, s6, v6
	global_store_byte v[4:5], v3, off
.LBB385_1811:
	s_mov_b64 s[6:7], 0
	s_mov_b64 s[8:9], -1
.LBB385_1812:
	s_andn2_b64 vcc, exec, s[6:7]
	s_mov_b64 s[6:7], 0
	s_cbranch_vccnz .LBB385_1819
; %bb.1813:
	s_cmp_gt_i32 s16, 14
	s_mov_b64 s[10:11], -1
	s_cbranch_scc0 .LBB385_1817
; %bb.1814:
	s_cmp_eq_u32 s16, 15
	s_mov_b64 s[0:1], -1
	s_cbranch_scc0 .LBB385_1816
; %bb.1815:
	v_cvt_f32_i32_sdwa v3, sext(v1) dst_sel:DWORD dst_unused:UNUSED_PAD src0_sel:WORD_0
	s_movk_i32 s6, 0x7fff
	s_mov_b64 s[0:1], 0
	s_mov_b64 s[8:9], -1
	v_bfe_u32 v6, v3, 16, 1
	v_add3_u32 v3, v3, v6, s6
	global_store_short_d16_hi v[4:5], v3, off
.LBB385_1816:
	s_mov_b64 s[10:11], 0
.LBB385_1817:
	s_mov_b64 s[6:7], 0
	s_and_b64 vcc, exec, s[10:11]
	s_cbranch_vccz .LBB385_1819
; %bb.1818:
	s_cmp_lg_u32 s16, 11
	s_mov_b64 s[6:7], -1
	s_cselect_b64 s[0:1], -1, 0
.LBB385_1819:
	s_and_b64 vcc, exec, s[0:1]
	s_cbranch_vccnz .LBB385_2113
; %bb.1820:
	s_andn2_b64 vcc, exec, s[6:7]
	s_cbranch_vccnz .LBB385_1822
.LBB385_1821:
	v_cmp_ne_u16_e32 vcc, 0, v1
	s_mov_b64 s[8:9], -1
	s_nop 0
	v_cndmask_b32_e64 v3, 0, 1, vcc
	global_store_byte v[4:5], v3, off
.LBB385_1822:
	s_mov_b64 s[0:1], 0
	s_branch .LBB385_1824
.LBB385_1823:
	s_mov_b64 s[0:1], -1
	s_mov_b64 s[8:9], 0
.LBB385_1824:
	s_and_b64 vcc, exec, s[0:1]
	s_cbranch_vccz .LBB385_1863
; %bb.1825:
	s_and_b32 s6, 0xffff, s14
	s_cmp_lt_i32 s6, 5
	s_mov_b64 s[0:1], -1
	s_cbranch_scc1 .LBB385_1846
; %bb.1826:
	s_cmp_lt_i32 s6, 8
	s_cbranch_scc1 .LBB385_1836
; %bb.1827:
	s_cmp_lt_i32 s6, 9
	s_cbranch_scc1 .LBB385_1833
; %bb.1828:
	s_cmp_gt_i32 s6, 9
	s_cbranch_scc0 .LBB385_1830
; %bb.1829:
	v_bfe_i32 v3, v1, 0, 16
	v_mov_b32_e32 v14, 0
	v_cvt_f64_i32_e32 v[12:13], v3
	v_mov_b32_e32 v15, v14
	global_store_dwordx4 v[4:5], v[12:15], off
	s_mov_b64 s[0:1], 0
.LBB385_1830:
	s_andn2_b64 vcc, exec, s[0:1]
	s_cbranch_vccnz .LBB385_1832
; %bb.1831:
	v_cvt_f32_i32_sdwa v6, sext(v1) dst_sel:DWORD dst_unused:UNUSED_PAD src0_sel:WORD_0
	v_mov_b32_e32 v7, 0
	global_store_dwordx2 v[4:5], v[6:7], off
.LBB385_1832:
	s_mov_b64 s[0:1], 0
.LBB385_1833:
	s_andn2_b64 vcc, exec, s[0:1]
	s_cbranch_vccnz .LBB385_1835
; %bb.1834:
	v_cvt_f16_i16_e32 v3, v1
	global_store_dword v[4:5], v3, off
.LBB385_1835:
	s_mov_b64 s[0:1], 0
.LBB385_1836:
	s_andn2_b64 vcc, exec, s[0:1]
	s_cbranch_vccnz .LBB385_1845
; %bb.1837:
	s_cmp_lt_i32 s6, 6
	s_mov_b64 s[0:1], -1
	s_cbranch_scc1 .LBB385_1843
; %bb.1838:
	s_cmp_gt_i32 s6, 6
	s_cbranch_scc0 .LBB385_1840
; %bb.1839:
	v_bfe_i32 v3, v1, 0, 16
	v_cvt_f64_i32_e32 v[6:7], v3
	global_store_dwordx2 v[4:5], v[6:7], off
	s_mov_b64 s[0:1], 0
.LBB385_1840:
	s_andn2_b64 vcc, exec, s[0:1]
	s_cbranch_vccnz .LBB385_1842
; %bb.1841:
	v_cvt_f32_i32_sdwa v3, sext(v1) dst_sel:DWORD dst_unused:UNUSED_PAD src0_sel:WORD_0
	global_store_dword v[4:5], v3, off
.LBB385_1842:
	s_mov_b64 s[0:1], 0
.LBB385_1843:
	s_andn2_b64 vcc, exec, s[0:1]
	s_cbranch_vccnz .LBB385_1845
; %bb.1844:
	v_cvt_f16_i16_e32 v3, v1
	global_store_short v[4:5], v3, off
.LBB385_1845:
	s_mov_b64 s[0:1], 0
.LBB385_1846:
	s_andn2_b64 vcc, exec, s[0:1]
	s_cbranch_vccnz .LBB385_1862
; %bb.1847:
	s_cmp_lt_i32 s6, 2
	s_mov_b64 s[0:1], -1
	s_cbranch_scc1 .LBB385_1857
; %bb.1848:
	s_cmp_lt_i32 s6, 3
	s_cbranch_scc1 .LBB385_1854
; %bb.1849:
	s_cmp_gt_i32 s6, 3
	s_cbranch_scc0 .LBB385_1851
; %bb.1850:
	v_bfe_i32 v6, v1, 0, 16
	v_ashrrev_i32_e32 v7, 31, v6
	global_store_dwordx2 v[4:5], v[6:7], off
	s_mov_b64 s[0:1], 0
.LBB385_1851:
	s_andn2_b64 vcc, exec, s[0:1]
	s_cbranch_vccnz .LBB385_1853
; %bb.1852:
	v_bfe_i32 v3, v1, 0, 16
	global_store_dword v[4:5], v3, off
.LBB385_1853:
	s_mov_b64 s[0:1], 0
.LBB385_1854:
	s_andn2_b64 vcc, exec, s[0:1]
	s_cbranch_vccnz .LBB385_1856
; %bb.1855:
	global_store_short v[4:5], v1, off
.LBB385_1856:
	s_mov_b64 s[0:1], 0
.LBB385_1857:
	s_andn2_b64 vcc, exec, s[0:1]
	s_cbranch_vccnz .LBB385_1862
; %bb.1858:
	s_cmp_gt_i32 s6, 0
	s_mov_b64 s[0:1], -1
	s_cbranch_scc0 .LBB385_1860
; %bb.1859:
	global_store_byte v[4:5], v1, off
	s_mov_b64 s[0:1], 0
.LBB385_1860:
	s_andn2_b64 vcc, exec, s[0:1]
	s_cbranch_vccnz .LBB385_1862
; %bb.1861:
	global_store_byte v[4:5], v1, off
.LBB385_1862:
	s_mov_b64 s[8:9], -1
.LBB385_1863:
	s_andn2_b64 vcc, exec, s[8:9]
	s_cbranch_vccnz .LBB385_2059
; %bb.1864:
	v_mov_b32_e32 v3, 0
	v_max_i16_e32 v1, s15, v10
	s_cmp_lt_i32 s14, 11
	v_lshl_add_u64 v[2:3], s[4:5], 0, v[2:3]
	s_cbranch_scc1 .LBB385_1942
; %bb.1865:
	s_and_b32 s16, 0xffff, s14
	s_mov_b64 s[10:11], -1
	s_mov_b64 s[6:7], 0
	s_cmp_gt_i32 s16, 25
	s_mov_b64 s[8:9], 0
	s_mov_b64 s[0:1], 0
	s_cbranch_scc0 .LBB385_1898
; %bb.1866:
	s_cmp_gt_i32 s16, 28
	s_cbranch_scc0 .LBB385_1881
; %bb.1867:
	s_cmp_gt_i32 s16, 43
	;; [unrolled: 3-line block ×3, first 2 shown]
	s_cbranch_scc0 .LBB385_1871
; %bb.1869:
	s_mov_b64 s[0:1], -1
	s_mov_b64 s[10:11], 0
	s_cmp_eq_u32 s16, 46
	s_cbranch_scc0 .LBB385_1871
; %bb.1870:
	v_cvt_f32_i32_sdwa v4, sext(v1) dst_sel:DWORD dst_unused:UNUSED_PAD src0_sel:WORD_0
	s_movk_i32 s8, 0x7fff
	s_mov_b64 s[0:1], 0
	v_bfe_u32 v5, v4, 16, 1
	v_add3_u32 v4, v4, v5, s8
	v_lshrrev_b32_e32 v4, 16, v4
	global_store_dword v[2:3], v4, off
	s_mov_b64 s[8:9], -1
.LBB385_1871:
	s_and_b64 vcc, exec, s[10:11]
	s_cbranch_vccz .LBB385_1876
; %bb.1872:
	s_cmp_eq_u32 s16, 44
	s_mov_b64 s[0:1], -1
	s_cbranch_scc0 .LBB385_1876
; %bb.1873:
	v_cvt_f32_i32_sdwa v4, sext(v1) dst_sel:DWORD dst_unused:UNUSED_PAD src0_sel:WORD_0
	s_movk_i32 s0, 0xff
	v_mov_b32_e32 v6, 0xff
	v_bfe_u32 v5, v4, 23, 8
	v_cmp_ne_u32_e32 vcc, s0, v5
	s_and_saveexec_b64 s[8:9], vcc
; %bb.1874:
	s_mov_b32 s0, 0x3fffff
	v_lshrrev_b32_e32 v6, 23, v4
	v_and_b32_e32 v7, 0x400000, v4
	v_and_or_b32 v4, v4, s0, v5
	v_cmp_ne_u32_e32 vcc, 0, v7
	v_cmp_ne_u32_e64 s[0:1], 0, v4
	s_and_b64 s[0:1], vcc, s[0:1]
	s_nop 0
	v_cndmask_b32_e64 v4, 0, 1, s[0:1]
	v_add_u32_e32 v6, v6, v4
; %bb.1875:
	s_or_b64 exec, exec, s[8:9]
	s_mov_b64 s[0:1], 0
	s_mov_b64 s[8:9], -1
	global_store_byte v[2:3], v6, off
.LBB385_1876:
	s_mov_b64 s[10:11], 0
.LBB385_1877:
	s_and_b64 vcc, exec, s[10:11]
	s_cbranch_vccz .LBB385_1880
; %bb.1878:
	s_cmp_eq_u32 s16, 29
	s_mov_b64 s[0:1], -1
	s_cbranch_scc0 .LBB385_1880
; %bb.1879:
	v_bfe_i32 v4, v1, 0, 16
	v_ashrrev_i32_e32 v5, 31, v4
	global_store_dwordx2 v[2:3], v[4:5], off
	s_mov_b64 s[0:1], 0
	s_mov_b64 s[8:9], -1
.LBB385_1880:
	s_mov_b64 s[10:11], 0
.LBB385_1881:
	s_and_b64 vcc, exec, s[10:11]
	s_cbranch_vccz .LBB385_1897
; %bb.1882:
	s_cmp_lt_i32 s16, 27
	s_mov_b64 s[8:9], -1
	s_cbranch_scc1 .LBB385_1888
; %bb.1883:
	s_cmp_gt_i32 s16, 27
	s_cbranch_scc0 .LBB385_1885
; %bb.1884:
	v_bfe_i32 v4, v1, 0, 16
	s_mov_b64 s[8:9], 0
	global_store_dword v[2:3], v4, off
.LBB385_1885:
	s_andn2_b64 vcc, exec, s[8:9]
	s_cbranch_vccnz .LBB385_1887
; %bb.1886:
	global_store_short v[2:3], v1, off
.LBB385_1887:
	s_mov_b64 s[8:9], 0
.LBB385_1888:
	s_andn2_b64 vcc, exec, s[8:9]
	s_cbranch_vccnz .LBB385_1896
; %bb.1889:
	v_cvt_f32_i32_sdwa v4, sext(v1) dst_sel:DWORD dst_unused:UNUSED_PAD src0_sel:WORD_0
	s_mov_b32 s8, 0x43800000
	v_mov_b32_e32 v6, 0x80
	v_and_b32_e32 v5, 0x7fffffff, v4
	v_cmp_gt_u32_e32 vcc, s8, v5
	s_and_saveexec_b64 s[8:9], vcc
	s_cbranch_execz .LBB385_1895
; %bb.1890:
	s_mov_b32 s10, 0x3bffffff
	v_cmp_lt_u32_e32 vcc, s10, v5
	s_mov_b64 s[10:11], 0
                                        ; implicit-def: $vgpr5
	s_and_saveexec_b64 s[12:13], vcc
	s_xor_b64 s[12:13], exec, s[12:13]
	s_cbranch_execz .LBB385_2116
; %bb.1891:
	v_bfe_u32 v5, v4, 20, 1
	s_mov_b32 s17, 0x487ffff
	v_add3_u32 v5, v4, v5, s17
	s_mov_b64 s[10:11], exec
	v_lshrrev_b32_e32 v5, 20, v5
	s_andn2_saveexec_b64 s[12:13], s[12:13]
	s_cbranch_execnz .LBB385_2117
.LBB385_1892:
	s_or_b64 exec, exec, s[12:13]
	v_mov_b32_e32 v6, 0
	s_and_saveexec_b64 s[12:13], s[10:11]
.LBB385_1893:
	v_lshrrev_b32_e32 v4, 24, v4
	s_movk_i32 s10, 0x80
	v_and_or_b32 v6, v4, s10, v5
.LBB385_1894:
	s_or_b64 exec, exec, s[12:13]
.LBB385_1895:
	s_or_b64 exec, exec, s[8:9]
	global_store_byte v[2:3], v6, off
.LBB385_1896:
	s_mov_b64 s[8:9], -1
.LBB385_1897:
	s_mov_b64 s[10:11], 0
.LBB385_1898:
	s_and_b64 vcc, exec, s[10:11]
	s_cbranch_vccz .LBB385_1938
; %bb.1899:
	s_cmp_gt_i32 s16, 22
	s_mov_b64 s[6:7], -1
	s_cbranch_scc0 .LBB385_1931
; %bb.1900:
	s_cmp_lt_i32 s16, 24
	s_cbranch_scc1 .LBB385_1920
; %bb.1901:
	s_cmp_gt_i32 s16, 24
	s_cbranch_scc0 .LBB385_1909
; %bb.1902:
	v_cvt_f32_i32_sdwa v4, sext(v1) dst_sel:DWORD dst_unused:UNUSED_PAD src0_sel:WORD_0
	s_mov_b32 s6, 0x47800000
	v_mov_b32_e32 v6, 0x80
	v_and_b32_e32 v5, 0x7fffffff, v4
	v_cmp_gt_u32_e32 vcc, s6, v5
	s_and_saveexec_b64 s[6:7], vcc
	s_cbranch_execz .LBB385_1908
; %bb.1903:
	s_mov_b32 s8, 0x37ffffff
	v_cmp_lt_u32_e32 vcc, s8, v5
	s_mov_b64 s[8:9], 0
                                        ; implicit-def: $vgpr5
	s_and_saveexec_b64 s[10:11], vcc
	s_xor_b64 s[10:11], exec, s[10:11]
	s_cbranch_execz .LBB385_2119
; %bb.1904:
	v_bfe_u32 v5, v4, 21, 1
	s_mov_b32 s12, 0x88fffff
	v_add3_u32 v5, v4, v5, s12
	s_mov_b64 s[8:9], exec
	v_lshrrev_b32_e32 v5, 21, v5
	s_andn2_saveexec_b64 s[10:11], s[10:11]
	s_cbranch_execnz .LBB385_2120
.LBB385_1905:
	s_or_b64 exec, exec, s[10:11]
	v_mov_b32_e32 v6, 0
	s_and_saveexec_b64 s[10:11], s[8:9]
.LBB385_1906:
	v_lshrrev_b32_e32 v4, 24, v4
	s_movk_i32 s8, 0x80
	v_and_or_b32 v6, v4, s8, v5
.LBB385_1907:
	s_or_b64 exec, exec, s[10:11]
.LBB385_1908:
	s_or_b64 exec, exec, s[6:7]
	s_mov_b64 s[6:7], 0
	global_store_byte v[2:3], v6, off
.LBB385_1909:
	s_and_b64 vcc, exec, s[6:7]
	s_cbranch_vccz .LBB385_1919
; %bb.1910:
	v_cvt_f32_i32_sdwa v4, sext(v1) dst_sel:DWORD dst_unused:UNUSED_PAD src0_sel:WORD_0
	s_mov_b32 s6, 0x43f00000
                                        ; implicit-def: $vgpr5
	v_and_b32_e32 v6, 0x7fffffff, v4
	v_cmp_gt_u32_e32 vcc, s6, v6
	s_and_saveexec_b64 s[6:7], vcc
	s_xor_b64 s[6:7], exec, s[6:7]
	s_cbranch_execz .LBB385_1916
; %bb.1911:
	s_mov_b32 s8, 0x3c7fffff
	v_cmp_lt_u32_e32 vcc, s8, v6
                                        ; implicit-def: $vgpr5
	s_and_saveexec_b64 s[8:9], vcc
	s_xor_b64 s[8:9], exec, s[8:9]
; %bb.1912:
	v_bfe_u32 v5, v4, 20, 1
	s_mov_b32 s10, 0x407ffff
	v_add3_u32 v5, v4, v5, s10
	v_lshrrev_b32_e32 v6, 20, v5
	v_and_b32_e32 v5, 0xff00000, v5
	s_mov_b32 s10, 0x7f00000
	v_mov_b32_e32 v7, 0x7e
	v_cmp_ne_u32_e32 vcc, s10, v5
	s_nop 1
	v_cndmask_b32_e32 v5, v7, v6, vcc
; %bb.1913:
	s_andn2_saveexec_b64 s[8:9], s[8:9]
; %bb.1914:
	s_mov_b32 s10, 0x46800000
	v_add_f32_e64 v5, |v4|, s10
; %bb.1915:
	s_or_b64 exec, exec, s[8:9]
                                        ; implicit-def: $vgpr6
.LBB385_1916:
	s_andn2_saveexec_b64 s[6:7], s[6:7]
; %bb.1917:
	s_mov_b32 s8, 0x7f800000
	v_mov_b32_e32 v5, 0x7e
	v_mov_b32_e32 v7, 0x7f
	v_cmp_lt_u32_e32 vcc, s8, v6
	s_nop 1
	v_cndmask_b32_e32 v5, v5, v7, vcc
; %bb.1918:
	s_or_b64 exec, exec, s[6:7]
	v_lshrrev_b32_e32 v4, 24, v4
	s_movk_i32 s6, 0x80
	v_and_or_b32 v4, v4, s6, v5
	global_store_byte v[2:3], v4, off
.LBB385_1919:
	s_mov_b64 s[6:7], 0
.LBB385_1920:
	s_andn2_b64 vcc, exec, s[6:7]
	s_cbranch_vccnz .LBB385_1930
; %bb.1921:
	v_cvt_f32_i32_sdwa v4, sext(v1) dst_sel:DWORD dst_unused:UNUSED_PAD src0_sel:WORD_0
	s_mov_b32 s6, 0x47800000
                                        ; implicit-def: $vgpr5
	v_and_b32_e32 v6, 0x7fffffff, v4
	v_cmp_gt_u32_e32 vcc, s6, v6
	s_and_saveexec_b64 s[6:7], vcc
	s_xor_b64 s[6:7], exec, s[6:7]
	s_cbranch_execz .LBB385_1927
; %bb.1922:
	s_mov_b32 s8, 0x387fffff
	v_cmp_lt_u32_e32 vcc, s8, v6
                                        ; implicit-def: $vgpr5
	s_and_saveexec_b64 s[8:9], vcc
	s_xor_b64 s[8:9], exec, s[8:9]
; %bb.1923:
	v_bfe_u32 v5, v4, 21, 1
	s_mov_b32 s10, 0x80fffff
	v_add3_u32 v5, v4, v5, s10
	v_lshrrev_b32_e32 v5, 21, v5
; %bb.1924:
	s_andn2_saveexec_b64 s[8:9], s[8:9]
; %bb.1925:
	s_mov_b32 s10, 0x43000000
	v_add_f32_e64 v5, |v4|, s10
; %bb.1926:
	s_or_b64 exec, exec, s[8:9]
                                        ; implicit-def: $vgpr6
.LBB385_1927:
	s_andn2_saveexec_b64 s[6:7], s[6:7]
; %bb.1928:
	s_mov_b32 s8, 0x7f800000
	v_mov_b32_e32 v5, 0x7c
	v_mov_b32_e32 v7, 0x7f
	v_cmp_lt_u32_e32 vcc, s8, v6
	s_nop 1
	v_cndmask_b32_e32 v5, v5, v7, vcc
; %bb.1929:
	s_or_b64 exec, exec, s[6:7]
	v_lshrrev_b32_e32 v4, 24, v4
	s_movk_i32 s6, 0x80
	v_and_or_b32 v4, v4, s6, v5
	global_store_byte v[2:3], v4, off
.LBB385_1930:
	s_mov_b64 s[6:7], 0
	s_mov_b64 s[8:9], -1
.LBB385_1931:
	s_andn2_b64 vcc, exec, s[6:7]
	s_mov_b64 s[6:7], 0
	s_cbranch_vccnz .LBB385_1938
; %bb.1932:
	s_cmp_gt_i32 s16, 14
	s_mov_b64 s[10:11], -1
	s_cbranch_scc0 .LBB385_1936
; %bb.1933:
	s_cmp_eq_u32 s16, 15
	s_mov_b64 s[0:1], -1
	s_cbranch_scc0 .LBB385_1935
; %bb.1934:
	v_cvt_f32_i32_sdwa v4, sext(v1) dst_sel:DWORD dst_unused:UNUSED_PAD src0_sel:WORD_0
	s_movk_i32 s6, 0x7fff
	s_mov_b64 s[0:1], 0
	s_mov_b64 s[8:9], -1
	v_bfe_u32 v5, v4, 16, 1
	v_add3_u32 v4, v4, v5, s6
	global_store_short_d16_hi v[2:3], v4, off
.LBB385_1935:
	s_mov_b64 s[10:11], 0
.LBB385_1936:
	s_mov_b64 s[6:7], 0
	s_and_b64 vcc, exec, s[10:11]
	s_cbranch_vccz .LBB385_1938
; %bb.1937:
	s_cmp_lg_u32 s16, 11
	s_mov_b64 s[6:7], -1
	s_cselect_b64 s[0:1], -1, 0
.LBB385_1938:
	s_and_b64 vcc, exec, s[0:1]
	s_cbranch_vccnz .LBB385_2118
; %bb.1939:
	s_andn2_b64 vcc, exec, s[6:7]
	s_cbranch_vccnz .LBB385_1941
.LBB385_1940:
	v_cmp_ne_u16_e32 vcc, 0, v1
	s_mov_b64 s[8:9], -1
	s_nop 0
	v_cndmask_b32_e64 v4, 0, 1, vcc
	global_store_byte v[2:3], v4, off
.LBB385_1941:
	s_mov_b64 s[0:1], 0
	s_branch .LBB385_1943
.LBB385_1942:
	s_mov_b64 s[0:1], -1
	s_mov_b64 s[8:9], 0
.LBB385_1943:
	s_and_b64 vcc, exec, s[0:1]
	s_cbranch_vccz .LBB385_1982
; %bb.1944:
	s_and_b32 s6, 0xffff, s14
	s_cmp_lt_i32 s6, 5
	s_mov_b64 s[0:1], -1
	s_cbranch_scc1 .LBB385_1965
; %bb.1945:
	s_cmp_lt_i32 s6, 8
	s_cbranch_scc1 .LBB385_1955
; %bb.1946:
	s_cmp_lt_i32 s6, 9
	s_cbranch_scc1 .LBB385_1952
; %bb.1947:
	s_cmp_gt_i32 s6, 9
	s_cbranch_scc0 .LBB385_1949
; %bb.1948:
	v_bfe_i32 v4, v1, 0, 16
	v_mov_b32_e32 v6, 0
	v_cvt_f64_i32_e32 v[4:5], v4
	v_mov_b32_e32 v7, v6
	global_store_dwordx4 v[2:3], v[4:7], off
	s_mov_b64 s[0:1], 0
.LBB385_1949:
	s_andn2_b64 vcc, exec, s[0:1]
	s_cbranch_vccnz .LBB385_1951
; %bb.1950:
	v_cvt_f32_i32_sdwa v4, sext(v1) dst_sel:DWORD dst_unused:UNUSED_PAD src0_sel:WORD_0
	v_mov_b32_e32 v5, 0
	global_store_dwordx2 v[2:3], v[4:5], off
.LBB385_1951:
	s_mov_b64 s[0:1], 0
.LBB385_1952:
	s_andn2_b64 vcc, exec, s[0:1]
	s_cbranch_vccnz .LBB385_1954
; %bb.1953:
	v_cvt_f16_i16_e32 v4, v1
	global_store_dword v[2:3], v4, off
.LBB385_1954:
	s_mov_b64 s[0:1], 0
.LBB385_1955:
	s_andn2_b64 vcc, exec, s[0:1]
	s_cbranch_vccnz .LBB385_1964
; %bb.1956:
	s_cmp_lt_i32 s6, 6
	s_mov_b64 s[0:1], -1
	s_cbranch_scc1 .LBB385_1962
; %bb.1957:
	s_cmp_gt_i32 s6, 6
	s_cbranch_scc0 .LBB385_1959
; %bb.1958:
	v_bfe_i32 v4, v1, 0, 16
	v_cvt_f64_i32_e32 v[4:5], v4
	global_store_dwordx2 v[2:3], v[4:5], off
	s_mov_b64 s[0:1], 0
.LBB385_1959:
	s_andn2_b64 vcc, exec, s[0:1]
	s_cbranch_vccnz .LBB385_1961
; %bb.1960:
	v_cvt_f32_i32_sdwa v4, sext(v1) dst_sel:DWORD dst_unused:UNUSED_PAD src0_sel:WORD_0
	global_store_dword v[2:3], v4, off
.LBB385_1961:
	s_mov_b64 s[0:1], 0
.LBB385_1962:
	s_andn2_b64 vcc, exec, s[0:1]
	s_cbranch_vccnz .LBB385_1964
; %bb.1963:
	v_cvt_f16_i16_e32 v4, v1
	global_store_short v[2:3], v4, off
.LBB385_1964:
	s_mov_b64 s[0:1], 0
.LBB385_1965:
	s_andn2_b64 vcc, exec, s[0:1]
	s_cbranch_vccnz .LBB385_1981
; %bb.1966:
	s_cmp_lt_i32 s6, 2
	s_mov_b64 s[0:1], -1
	s_cbranch_scc1 .LBB385_1976
; %bb.1967:
	s_cmp_lt_i32 s6, 3
	s_cbranch_scc1 .LBB385_1973
; %bb.1968:
	s_cmp_gt_i32 s6, 3
	v_bfe_i32 v4, v1, 0, 16
	s_cbranch_scc0 .LBB385_1970
; %bb.1969:
	v_ashrrev_i32_e32 v5, 31, v4
	global_store_dwordx2 v[2:3], v[4:5], off
	s_mov_b64 s[0:1], 0
.LBB385_1970:
	s_andn2_b64 vcc, exec, s[0:1]
	s_cbranch_vccnz .LBB385_1972
; %bb.1971:
	global_store_dword v[2:3], v4, off
.LBB385_1972:
	s_mov_b64 s[0:1], 0
.LBB385_1973:
	s_andn2_b64 vcc, exec, s[0:1]
	s_cbranch_vccnz .LBB385_1975
; %bb.1974:
	global_store_short v[2:3], v1, off
.LBB385_1975:
	s_mov_b64 s[0:1], 0
.LBB385_1976:
	s_andn2_b64 vcc, exec, s[0:1]
	s_cbranch_vccnz .LBB385_1981
; %bb.1977:
	s_cmp_gt_i32 s6, 0
	s_mov_b64 s[0:1], -1
	s_cbranch_scc0 .LBB385_1979
; %bb.1978:
	global_store_byte v[2:3], v1, off
	s_mov_b64 s[0:1], 0
.LBB385_1979:
	s_andn2_b64 vcc, exec, s[0:1]
	s_cbranch_vccnz .LBB385_1981
; %bb.1980:
	global_store_byte v[2:3], v1, off
.LBB385_1981:
	s_mov_b64 s[8:9], -1
.LBB385_1982:
	s_andn2_b64 vcc, exec, s[8:9]
	s_cbranch_vccnz .LBB385_2059
; %bb.1983:
	v_mov_b32_e32 v1, 0
	v_max_i16_e32 v2, s15, v8
	s_cmp_lt_i32 s14, 11
	v_lshl_add_u64 v[0:1], s[4:5], 0, v[0:1]
	s_cbranch_scc1 .LBB385_2104
; %bb.1984:
	s_and_b32 s12, 0xffff, s14
	s_mov_b64 s[6:7], -1
	s_mov_b64 s[4:5], 0
	s_cmp_gt_i32 s12, 25
	s_mov_b64 s[0:1], 0
	s_cbranch_scc0 .LBB385_2017
; %bb.1985:
	s_cmp_gt_i32 s12, 28
	s_cbranch_scc0 .LBB385_2001
; %bb.1986:
	s_cmp_gt_i32 s12, 43
	;; [unrolled: 3-line block ×3, first 2 shown]
	s_cbranch_scc0 .LBB385_1991
; %bb.1988:
	s_cmp_eq_u32 s12, 46
	s_mov_b64 s[0:1], -1
	s_cbranch_scc0 .LBB385_1990
; %bb.1989:
	v_cvt_f32_i32_sdwa v3, sext(v2) dst_sel:DWORD dst_unused:UNUSED_PAD src0_sel:WORD_0
	s_movk_i32 s0, 0x7fff
	v_bfe_u32 v4, v3, 16, 1
	v_add3_u32 v3, v3, v4, s0
	v_lshrrev_b32_e32 v3, 16, v3
	global_store_dword v[0:1], v3, off
	s_mov_b64 s[0:1], 0
.LBB385_1990:
	s_mov_b64 s[6:7], 0
.LBB385_1991:
	s_and_b64 vcc, exec, s[6:7]
	s_cbranch_vccz .LBB385_1996
; %bb.1992:
	s_cmp_eq_u32 s12, 44
	s_mov_b64 s[0:1], -1
	s_cbranch_scc0 .LBB385_1996
; %bb.1993:
	v_cvt_f32_i32_sdwa v3, sext(v2) dst_sel:DWORD dst_unused:UNUSED_PAD src0_sel:WORD_0
	s_movk_i32 s0, 0xff
	v_mov_b32_e32 v5, 0xff
	v_bfe_u32 v4, v3, 23, 8
	v_cmp_ne_u32_e32 vcc, s0, v4
	s_and_saveexec_b64 s[6:7], vcc
; %bb.1994:
	s_mov_b32 s0, 0x3fffff
	v_lshrrev_b32_e32 v5, 23, v3
	v_and_b32_e32 v6, 0x400000, v3
	v_and_or_b32 v3, v3, s0, v4
	v_cmp_ne_u32_e32 vcc, 0, v6
	v_cmp_ne_u32_e64 s[0:1], 0, v3
	s_and_b64 s[0:1], vcc, s[0:1]
	s_nop 0
	v_cndmask_b32_e64 v3, 0, 1, s[0:1]
	v_add_u32_e32 v5, v5, v3
; %bb.1995:
	s_or_b64 exec, exec, s[6:7]
	s_mov_b64 s[0:1], 0
	global_store_byte v[0:1], v5, off
.LBB385_1996:
	s_mov_b64 s[6:7], 0
.LBB385_1997:
	s_and_b64 vcc, exec, s[6:7]
	s_cbranch_vccz .LBB385_2000
; %bb.1998:
	s_cmp_eq_u32 s12, 29
	s_mov_b64 s[0:1], -1
	s_cbranch_scc0 .LBB385_2000
; %bb.1999:
	v_bfe_i32 v4, v2, 0, 16
	v_ashrrev_i32_e32 v5, 31, v4
	global_store_dwordx2 v[0:1], v[4:5], off
	s_mov_b64 s[0:1], 0
.LBB385_2000:
	s_mov_b64 s[6:7], 0
.LBB385_2001:
	s_and_b64 vcc, exec, s[6:7]
	s_cbranch_vccz .LBB385_2016
; %bb.2002:
	s_cmp_lt_i32 s12, 27
	s_mov_b64 s[6:7], -1
	s_cbranch_scc1 .LBB385_2008
; %bb.2003:
	s_cmp_gt_i32 s12, 27
	s_cbranch_scc0 .LBB385_2005
; %bb.2004:
	v_bfe_i32 v3, v2, 0, 16
	global_store_dword v[0:1], v3, off
	s_mov_b64 s[6:7], 0
.LBB385_2005:
	s_andn2_b64 vcc, exec, s[6:7]
	s_cbranch_vccnz .LBB385_2007
; %bb.2006:
	global_store_short v[0:1], v2, off
.LBB385_2007:
	s_mov_b64 s[6:7], 0
.LBB385_2008:
	s_andn2_b64 vcc, exec, s[6:7]
	s_cbranch_vccnz .LBB385_2016
; %bb.2009:
	v_cvt_f32_i32_sdwa v3, sext(v2) dst_sel:DWORD dst_unused:UNUSED_PAD src0_sel:WORD_0
	s_mov_b32 s6, 0x43800000
	v_mov_b32_e32 v5, 0x80
	v_and_b32_e32 v4, 0x7fffffff, v3
	v_cmp_gt_u32_e32 vcc, s6, v4
	s_and_saveexec_b64 s[6:7], vcc
	s_cbranch_execz .LBB385_2015
; %bb.2010:
	s_mov_b32 s8, 0x3bffffff
	v_cmp_lt_u32_e32 vcc, s8, v4
	s_mov_b64 s[8:9], 0
                                        ; implicit-def: $vgpr4
	s_and_saveexec_b64 s[10:11], vcc
	s_xor_b64 s[10:11], exec, s[10:11]
	s_cbranch_execz .LBB385_2121
; %bb.2011:
	v_bfe_u32 v4, v3, 20, 1
	s_mov_b32 s13, 0x487ffff
	v_add3_u32 v4, v3, v4, s13
	s_mov_b64 s[8:9], exec
	v_lshrrev_b32_e32 v4, 20, v4
	s_andn2_saveexec_b64 s[10:11], s[10:11]
	s_cbranch_execnz .LBB385_2122
.LBB385_2012:
	s_or_b64 exec, exec, s[10:11]
	v_mov_b32_e32 v5, 0
	s_and_saveexec_b64 s[10:11], s[8:9]
.LBB385_2013:
	v_lshrrev_b32_e32 v3, 24, v3
	s_movk_i32 s8, 0x80
	v_and_or_b32 v5, v3, s8, v4
.LBB385_2014:
	s_or_b64 exec, exec, s[10:11]
.LBB385_2015:
	s_or_b64 exec, exec, s[6:7]
	global_store_byte v[0:1], v5, off
.LBB385_2016:
	s_mov_b64 s[6:7], 0
.LBB385_2017:
	s_and_b64 vcc, exec, s[6:7]
	s_cbranch_vccz .LBB385_2057
; %bb.2018:
	s_cmp_gt_i32 s12, 22
	s_mov_b64 s[4:5], -1
	s_cbranch_scc0 .LBB385_2050
; %bb.2019:
	s_cmp_lt_i32 s12, 24
	s_cbranch_scc1 .LBB385_2039
; %bb.2020:
	s_cmp_gt_i32 s12, 24
	s_cbranch_scc0 .LBB385_2028
; %bb.2021:
	v_cvt_f32_i32_sdwa v3, sext(v2) dst_sel:DWORD dst_unused:UNUSED_PAD src0_sel:WORD_0
	s_mov_b32 s4, 0x47800000
	v_mov_b32_e32 v5, 0x80
	v_and_b32_e32 v4, 0x7fffffff, v3
	v_cmp_gt_u32_e32 vcc, s4, v4
	s_and_saveexec_b64 s[4:5], vcc
	s_cbranch_execz .LBB385_2027
; %bb.2022:
	s_mov_b32 s6, 0x37ffffff
	v_cmp_lt_u32_e32 vcc, s6, v4
	s_mov_b64 s[6:7], 0
                                        ; implicit-def: $vgpr4
	s_and_saveexec_b64 s[8:9], vcc
	s_xor_b64 s[8:9], exec, s[8:9]
	s_cbranch_execz .LBB385_2124
; %bb.2023:
	v_bfe_u32 v4, v3, 21, 1
	s_mov_b32 s10, 0x88fffff
	v_add3_u32 v4, v3, v4, s10
	s_mov_b64 s[6:7], exec
	v_lshrrev_b32_e32 v4, 21, v4
	s_andn2_saveexec_b64 s[8:9], s[8:9]
	s_cbranch_execnz .LBB385_2125
.LBB385_2024:
	s_or_b64 exec, exec, s[8:9]
	v_mov_b32_e32 v5, 0
	s_and_saveexec_b64 s[8:9], s[6:7]
.LBB385_2025:
	v_lshrrev_b32_e32 v3, 24, v3
	s_movk_i32 s6, 0x80
	v_and_or_b32 v5, v3, s6, v4
.LBB385_2026:
	s_or_b64 exec, exec, s[8:9]
.LBB385_2027:
	s_or_b64 exec, exec, s[4:5]
	s_mov_b64 s[4:5], 0
	global_store_byte v[0:1], v5, off
.LBB385_2028:
	s_and_b64 vcc, exec, s[4:5]
	s_cbranch_vccz .LBB385_2038
; %bb.2029:
	v_cvt_f32_i32_sdwa v3, sext(v2) dst_sel:DWORD dst_unused:UNUSED_PAD src0_sel:WORD_0
	s_mov_b32 s4, 0x43f00000
                                        ; implicit-def: $vgpr4
	v_and_b32_e32 v5, 0x7fffffff, v3
	v_cmp_gt_u32_e32 vcc, s4, v5
	s_and_saveexec_b64 s[4:5], vcc
	s_xor_b64 s[4:5], exec, s[4:5]
	s_cbranch_execz .LBB385_2035
; %bb.2030:
	s_mov_b32 s6, 0x3c7fffff
	v_cmp_lt_u32_e32 vcc, s6, v5
                                        ; implicit-def: $vgpr4
	s_and_saveexec_b64 s[6:7], vcc
	s_xor_b64 s[6:7], exec, s[6:7]
; %bb.2031:
	v_bfe_u32 v4, v3, 20, 1
	s_mov_b32 s8, 0x407ffff
	v_add3_u32 v4, v3, v4, s8
	v_lshrrev_b32_e32 v5, 20, v4
	v_and_b32_e32 v4, 0xff00000, v4
	s_mov_b32 s8, 0x7f00000
	v_mov_b32_e32 v6, 0x7e
	v_cmp_ne_u32_e32 vcc, s8, v4
	s_nop 1
	v_cndmask_b32_e32 v4, v6, v5, vcc
; %bb.2032:
	s_andn2_saveexec_b64 s[6:7], s[6:7]
; %bb.2033:
	s_mov_b32 s8, 0x46800000
	v_add_f32_e64 v4, |v3|, s8
; %bb.2034:
	s_or_b64 exec, exec, s[6:7]
                                        ; implicit-def: $vgpr5
.LBB385_2035:
	s_andn2_saveexec_b64 s[4:5], s[4:5]
; %bb.2036:
	s_mov_b32 s6, 0x7f800000
	v_mov_b32_e32 v4, 0x7e
	v_mov_b32_e32 v6, 0x7f
	v_cmp_lt_u32_e32 vcc, s6, v5
	s_nop 1
	v_cndmask_b32_e32 v4, v4, v6, vcc
; %bb.2037:
	s_or_b64 exec, exec, s[4:5]
	v_lshrrev_b32_e32 v3, 24, v3
	s_movk_i32 s4, 0x80
	v_and_or_b32 v3, v3, s4, v4
	global_store_byte v[0:1], v3, off
.LBB385_2038:
	s_mov_b64 s[4:5], 0
.LBB385_2039:
	s_andn2_b64 vcc, exec, s[4:5]
	s_cbranch_vccnz .LBB385_2049
; %bb.2040:
	v_cvt_f32_i32_sdwa v3, sext(v2) dst_sel:DWORD dst_unused:UNUSED_PAD src0_sel:WORD_0
	s_mov_b32 s4, 0x47800000
                                        ; implicit-def: $vgpr4
	v_and_b32_e32 v5, 0x7fffffff, v3
	v_cmp_gt_u32_e32 vcc, s4, v5
	s_and_saveexec_b64 s[4:5], vcc
	s_xor_b64 s[4:5], exec, s[4:5]
	s_cbranch_execz .LBB385_2046
; %bb.2041:
	s_mov_b32 s6, 0x387fffff
	v_cmp_lt_u32_e32 vcc, s6, v5
                                        ; implicit-def: $vgpr4
	s_and_saveexec_b64 s[6:7], vcc
	s_xor_b64 s[6:7], exec, s[6:7]
; %bb.2042:
	v_bfe_u32 v4, v3, 21, 1
	s_mov_b32 s8, 0x80fffff
	v_add3_u32 v4, v3, v4, s8
	v_lshrrev_b32_e32 v4, 21, v4
; %bb.2043:
	s_andn2_saveexec_b64 s[6:7], s[6:7]
; %bb.2044:
	s_mov_b32 s8, 0x43000000
	v_add_f32_e64 v4, |v3|, s8
; %bb.2045:
	s_or_b64 exec, exec, s[6:7]
                                        ; implicit-def: $vgpr5
.LBB385_2046:
	s_andn2_saveexec_b64 s[4:5], s[4:5]
; %bb.2047:
	s_mov_b32 s6, 0x7f800000
	v_mov_b32_e32 v4, 0x7c
	v_mov_b32_e32 v6, 0x7f
	v_cmp_lt_u32_e32 vcc, s6, v5
	s_nop 1
	v_cndmask_b32_e32 v4, v4, v6, vcc
; %bb.2048:
	s_or_b64 exec, exec, s[4:5]
	v_lshrrev_b32_e32 v3, 24, v3
	s_movk_i32 s4, 0x80
	v_and_or_b32 v3, v3, s4, v4
	global_store_byte v[0:1], v3, off
.LBB385_2049:
	s_mov_b64 s[4:5], 0
.LBB385_2050:
	s_andn2_b64 vcc, exec, s[4:5]
	s_mov_b64 s[4:5], 0
	s_cbranch_vccnz .LBB385_2057
; %bb.2051:
	s_cmp_gt_i32 s12, 14
	s_mov_b64 s[6:7], -1
	s_cbranch_scc0 .LBB385_2055
; %bb.2052:
	s_cmp_eq_u32 s12, 15
	s_mov_b64 s[0:1], -1
	s_cbranch_scc0 .LBB385_2054
; %bb.2053:
	v_cvt_f32_i32_sdwa v3, sext(v2) dst_sel:DWORD dst_unused:UNUSED_PAD src0_sel:WORD_0
	s_movk_i32 s0, 0x7fff
	v_bfe_u32 v4, v3, 16, 1
	v_add3_u32 v3, v3, v4, s0
	global_store_short_d16_hi v[0:1], v3, off
	s_mov_b64 s[0:1], 0
.LBB385_2054:
	s_mov_b64 s[6:7], 0
.LBB385_2055:
	s_and_b64 vcc, exec, s[6:7]
	s_cbranch_vccz .LBB385_2057
; %bb.2056:
	s_cmp_lg_u32 s12, 11
	s_mov_b64 s[4:5], -1
	s_cselect_b64 s[0:1], -1, 0
.LBB385_2057:
	s_and_b64 vcc, exec, s[0:1]
	s_cbranch_vccnz .LBB385_2123
.LBB385_2058:
	s_mov_b64 s[0:1], 0
	s_branch .LBB385_2060
.LBB385_2059:
	s_mov_b64 s[0:1], 0
	s_mov_b64 s[4:5], 0
                                        ; implicit-def: $vgpr0_vgpr1
                                        ; implicit-def: $sgpr14
                                        ; implicit-def: $vgpr2
.LBB385_2060:
	s_and_b64 s[6:7], s[0:1], exec
	s_andn2_b64 s[0:1], s[24:25], exec
	s_and_b64 s[2:3], s[2:3], exec
	s_and_b64 s[40:41], s[4:5], exec
	s_or_b64 s[24:25], s[0:1], s[2:3]
.LBB385_2061:
	s_or_b64 exec, exec, s[26:27]
	s_and_saveexec_b64 s[0:1], s[24:25]
	s_cbranch_execz .LBB385_2064
; %bb.2062:
	; divergent unreachable
	s_or_b64 exec, exec, s[0:1]
	s_and_saveexec_b64 s[0:1], s[40:41]
	s_xor_b64 s[0:1], exec, s[0:1]
	s_cbranch_execnz .LBB385_2065
.LBB385_2063:
	s_or_b64 exec, exec, s[0:1]
	s_and_saveexec_b64 s[0:1], s[6:7]
	s_cbranch_execnz .LBB385_2066
	s_branch .LBB385_2103
.LBB385_2064:
	s_or_b64 exec, exec, s[0:1]
	s_and_saveexec_b64 s[0:1], s[40:41]
	s_xor_b64 s[0:1], exec, s[0:1]
	s_cbranch_execz .LBB385_2063
.LBB385_2065:
	v_cmp_ne_u16_e32 vcc, 0, v2
	s_nop 1
	v_cndmask_b32_e64 v3, 0, 1, vcc
	global_store_byte v[0:1], v3, off
	s_or_b64 exec, exec, s[0:1]
	s_and_saveexec_b64 s[0:1], s[6:7]
	s_cbranch_execz .LBB385_2103
.LBB385_2066:
	s_sext_i32_i16 s2, s14
	s_cmp_lt_i32 s2, 5
	s_mov_b64 s[0:1], -1
	s_cbranch_scc1 .LBB385_2087
; %bb.2067:
	s_cmp_lt_i32 s2, 8
	s_cbranch_scc1 .LBB385_2077
; %bb.2068:
	s_cmp_lt_i32 s2, 9
	s_cbranch_scc1 .LBB385_2074
; %bb.2069:
	s_cmp_gt_i32 s2, 9
	s_cbranch_scc0 .LBB385_2071
; %bb.2070:
	v_bfe_i32 v3, v2, 0, 16
	v_mov_b32_e32 v6, 0
	s_waitcnt vmcnt(0)
	v_cvt_f64_i32_e32 v[4:5], v3
	v_mov_b32_e32 v7, v6
	global_store_dwordx4 v[0:1], v[4:7], off
	s_mov_b64 s[0:1], 0
.LBB385_2071:
	s_andn2_b64 vcc, exec, s[0:1]
	s_cbranch_vccnz .LBB385_2073
; %bb.2072:
	s_waitcnt vmcnt(0)
	v_cvt_f32_i32_sdwa v4, sext(v2) dst_sel:DWORD dst_unused:UNUSED_PAD src0_sel:WORD_0
	v_mov_b32_e32 v5, 0
	global_store_dwordx2 v[0:1], v[4:5], off
.LBB385_2073:
	s_mov_b64 s[0:1], 0
.LBB385_2074:
	s_andn2_b64 vcc, exec, s[0:1]
	s_cbranch_vccnz .LBB385_2076
; %bb.2075:
	v_cvt_f16_i16_e32 v3, v2
	global_store_dword v[0:1], v3, off
.LBB385_2076:
	s_mov_b64 s[0:1], 0
.LBB385_2077:
	s_andn2_b64 vcc, exec, s[0:1]
	s_cbranch_vccnz .LBB385_2086
; %bb.2078:
	s_sext_i32_i16 s2, s14
	s_cmp_lt_i32 s2, 6
	s_mov_b64 s[0:1], -1
	s_cbranch_scc1 .LBB385_2084
; %bb.2079:
	s_cmp_gt_i32 s2, 6
	s_cbranch_scc0 .LBB385_2081
; %bb.2080:
	v_bfe_i32 v3, v2, 0, 16
	s_waitcnt vmcnt(0)
	v_cvt_f64_i32_e32 v[4:5], v3
	global_store_dwordx2 v[0:1], v[4:5], off
	s_mov_b64 s[0:1], 0
.LBB385_2081:
	s_andn2_b64 vcc, exec, s[0:1]
	s_cbranch_vccnz .LBB385_2083
; %bb.2082:
	v_cvt_f32_i32_sdwa v3, sext(v2) dst_sel:DWORD dst_unused:UNUSED_PAD src0_sel:WORD_0
	global_store_dword v[0:1], v3, off
.LBB385_2083:
	s_mov_b64 s[0:1], 0
.LBB385_2084:
	s_andn2_b64 vcc, exec, s[0:1]
	s_cbranch_vccnz .LBB385_2086
; %bb.2085:
	v_cvt_f16_i16_e32 v3, v2
	global_store_short v[0:1], v3, off
.LBB385_2086:
	s_mov_b64 s[0:1], 0
.LBB385_2087:
	s_andn2_b64 vcc, exec, s[0:1]
	s_cbranch_vccnz .LBB385_2103
; %bb.2088:
	s_sext_i32_i16 s2, s14
	s_cmp_lt_i32 s2, 2
	s_mov_b64 s[0:1], -1
	s_cbranch_scc1 .LBB385_2098
; %bb.2089:
	s_cmp_lt_i32 s2, 3
	s_cbranch_scc1 .LBB385_2095
; %bb.2090:
	s_cmp_gt_i32 s2, 3
	s_cbranch_scc0 .LBB385_2092
; %bb.2091:
	s_waitcnt vmcnt(0)
	v_bfe_i32 v4, v2, 0, 16
	v_ashrrev_i32_e32 v5, 31, v4
	global_store_dwordx2 v[0:1], v[4:5], off
	s_mov_b64 s[0:1], 0
.LBB385_2092:
	s_andn2_b64 vcc, exec, s[0:1]
	s_cbranch_vccnz .LBB385_2094
; %bb.2093:
	v_bfe_i32 v3, v2, 0, 16
	global_store_dword v[0:1], v3, off
.LBB385_2094:
	s_mov_b64 s[0:1], 0
.LBB385_2095:
	s_andn2_b64 vcc, exec, s[0:1]
	s_cbranch_vccnz .LBB385_2097
; %bb.2096:
	global_store_short v[0:1], v2, off
.LBB385_2097:
	s_mov_b64 s[0:1], 0
.LBB385_2098:
	s_andn2_b64 vcc, exec, s[0:1]
	s_cbranch_vccnz .LBB385_2103
; %bb.2099:
	s_sext_i32_i16 s0, s14
	s_cmp_gt_i32 s0, 0
	s_mov_b64 s[0:1], -1
	s_cbranch_scc0 .LBB385_2101
; %bb.2100:
	global_store_byte v[0:1], v2, off
	s_mov_b64 s[0:1], 0
.LBB385_2101:
	s_andn2_b64 vcc, exec, s[0:1]
	s_cbranch_vccnz .LBB385_2103
; %bb.2102:
	global_store_byte v[0:1], v2, off
	s_endpgm
.LBB385_2103:
	s_endpgm
.LBB385_2104:
	s_mov_b64 s[4:5], 0
	s_mov_b64 s[0:1], -1
	s_branch .LBB385_2060
.LBB385_2105:
	s_trap 2
	s_or_b64 s[2:3], s[2:3], exec
	s_cbranch_execz .LBB385_1574
	s_branch .LBB385_1575
.LBB385_2106:
	s_andn2_saveexec_b64 s[12:13], s[12:13]
	s_cbranch_execz .LBB385_1654
.LBB385_2107:
	s_mov_b32 s18, 0x46000000
	v_add_f32_e64 v5, |v3|, s18
	v_and_b32_e32 v5, 0xff, v5
	v_cmp_ne_u32_e32 vcc, 0, v5
	s_andn2_b64 s[10:11], s[10:11], exec
	s_and_b64 s[18:19], vcc, exec
	s_or_b64 s[10:11], s[10:11], s[18:19]
	s_or_b64 exec, exec, s[12:13]
	v_mov_b32_e32 v9, 0
	s_and_saveexec_b64 s[12:13], s[10:11]
	s_cbranch_execnz .LBB385_1655
	s_branch .LBB385_1656
.LBB385_2108:
	s_trap 2
	s_or_b64 s[2:3], s[2:3], exec
	s_cbranch_execz .LBB385_1702
	s_branch .LBB385_1703
.LBB385_2109:
	s_andn2_saveexec_b64 s[10:11], s[10:11]
	s_cbranch_execz .LBB385_1667
.LBB385_2110:
	s_mov_b32 s12, 0x42800000
	v_add_f32_e64 v5, |v3|, s12
	v_and_b32_e32 v5, 0xff, v5
	v_cmp_ne_u32_e32 vcc, 0, v5
	s_andn2_b64 s[8:9], s[8:9], exec
	s_and_b64 s[12:13], vcc, exec
	s_or_b64 s[8:9], s[8:9], s[12:13]
	s_or_b64 exec, exec, s[10:11]
	v_mov_b32_e32 v9, 0
	s_and_saveexec_b64 s[10:11], s[8:9]
	s_cbranch_execnz .LBB385_1668
	s_branch .LBB385_1669
.LBB385_2111:
	s_andn2_saveexec_b64 s[12:13], s[12:13]
	s_cbranch_execz .LBB385_1773
.LBB385_2112:
	s_mov_b32 s17, 0x46000000
	v_add_f32_e64 v6, |v3|, s17
	v_and_b32_e32 v6, 0xff, v6
	v_cmp_ne_u32_e32 vcc, 0, v6
	s_andn2_b64 s[10:11], s[10:11], exec
	s_and_b64 s[18:19], vcc, exec
	s_or_b64 s[10:11], s[10:11], s[18:19]
	s_or_b64 exec, exec, s[12:13]
	v_mov_b32_e32 v7, 0
	s_and_saveexec_b64 s[12:13], s[10:11]
	s_cbranch_execnz .LBB385_1774
	s_branch .LBB385_1775
.LBB385_2113:
	s_trap 2
	s_or_b64 s[2:3], s[2:3], exec
	s_cbranch_execz .LBB385_1821
	s_branch .LBB385_1822
.LBB385_2114:
	s_andn2_saveexec_b64 s[10:11], s[10:11]
	s_cbranch_execz .LBB385_1786
.LBB385_2115:
	s_mov_b32 s12, 0x42800000
	v_add_f32_e64 v6, |v3|, s12
	v_and_b32_e32 v6, 0xff, v6
	v_cmp_ne_u32_e32 vcc, 0, v6
	s_andn2_b64 s[8:9], s[8:9], exec
	s_and_b64 s[12:13], vcc, exec
	s_or_b64 s[8:9], s[8:9], s[12:13]
	s_or_b64 exec, exec, s[10:11]
	v_mov_b32_e32 v7, 0
	s_and_saveexec_b64 s[10:11], s[8:9]
	s_cbranch_execnz .LBB385_1787
	s_branch .LBB385_1788
.LBB385_2116:
	s_andn2_saveexec_b64 s[12:13], s[12:13]
	s_cbranch_execz .LBB385_1892
.LBB385_2117:
	s_mov_b32 s17, 0x46000000
	v_add_f32_e64 v5, |v4|, s17
	v_and_b32_e32 v5, 0xff, v5
	v_cmp_ne_u32_e32 vcc, 0, v5
	s_andn2_b64 s[10:11], s[10:11], exec
	s_and_b64 s[18:19], vcc, exec
	s_or_b64 s[10:11], s[10:11], s[18:19]
	s_or_b64 exec, exec, s[12:13]
	v_mov_b32_e32 v6, 0
	s_and_saveexec_b64 s[12:13], s[10:11]
	s_cbranch_execnz .LBB385_1893
	s_branch .LBB385_1894
.LBB385_2118:
	s_trap 2
	s_or_b64 s[2:3], s[2:3], exec
	s_cbranch_execz .LBB385_1940
	s_branch .LBB385_1941
.LBB385_2119:
	s_andn2_saveexec_b64 s[10:11], s[10:11]
	s_cbranch_execz .LBB385_1905
.LBB385_2120:
	s_mov_b32 s12, 0x42800000
	v_add_f32_e64 v5, |v4|, s12
	v_and_b32_e32 v5, 0xff, v5
	v_cmp_ne_u32_e32 vcc, 0, v5
	s_andn2_b64 s[8:9], s[8:9], exec
	s_and_b64 s[12:13], vcc, exec
	s_or_b64 s[8:9], s[8:9], s[12:13]
	s_or_b64 exec, exec, s[10:11]
	v_mov_b32_e32 v6, 0
	s_and_saveexec_b64 s[10:11], s[8:9]
	s_cbranch_execnz .LBB385_1906
	s_branch .LBB385_1907
.LBB385_2121:
	s_andn2_saveexec_b64 s[10:11], s[10:11]
	s_cbranch_execz .LBB385_2012
.LBB385_2122:
	s_mov_b32 s13, 0x46000000
	v_add_f32_e64 v4, |v3|, s13
	v_and_b32_e32 v4, 0xff, v4
	v_cmp_ne_u32_e32 vcc, 0, v4
	s_andn2_b64 s[8:9], s[8:9], exec
	s_and_b64 s[16:17], vcc, exec
	s_or_b64 s[8:9], s[8:9], s[16:17]
	s_or_b64 exec, exec, s[10:11]
	v_mov_b32_e32 v5, 0
	s_and_saveexec_b64 s[10:11], s[8:9]
	s_cbranch_execnz .LBB385_2013
	s_branch .LBB385_2014
.LBB385_2123:
	s_mov_b64 s[4:5], 0
	s_or_b64 s[2:3], s[2:3], exec
	s_trap 2
	s_branch .LBB385_2058
.LBB385_2124:
	s_andn2_saveexec_b64 s[8:9], s[8:9]
	s_cbranch_execz .LBB385_2024
.LBB385_2125:
	s_mov_b32 s10, 0x42800000
	v_add_f32_e64 v4, |v3|, s10
	v_and_b32_e32 v4, 0xff, v4
	v_cmp_ne_u32_e32 vcc, 0, v4
	s_andn2_b64 s[6:7], s[6:7], exec
	s_and_b64 s[10:11], vcc, exec
	s_or_b64 s[6:7], s[6:7], s[10:11]
	s_or_b64 exec, exec, s[8:9]
	v_mov_b32_e32 v5, 0
	s_and_saveexec_b64 s[8:9], s[6:7]
	s_cbranch_execnz .LBB385_2025
	s_branch .LBB385_2026
	.section	.rodata,"a",@progbits
	.p2align	6, 0x0
	.amdhsa_kernel _ZN2at6native32elementwise_kernel_manual_unrollILi128ELi4EZNS0_15gpu_kernel_implIZZZNS0_21clamp_min_kernel_cudaERNS_18TensorIteratorBaseERKN3c106ScalarEENKUlvE_clEvENKUlvE3_clEvEUlsE_EEvS4_RKT_EUlibE0_EEviT1_
		.amdhsa_group_segment_fixed_size 0
		.amdhsa_private_segment_fixed_size 0
		.amdhsa_kernarg_size 360
		.amdhsa_user_sgpr_count 2
		.amdhsa_user_sgpr_dispatch_ptr 0
		.amdhsa_user_sgpr_queue_ptr 0
		.amdhsa_user_sgpr_kernarg_segment_ptr 1
		.amdhsa_user_sgpr_dispatch_id 0
		.amdhsa_user_sgpr_kernarg_preload_length 0
		.amdhsa_user_sgpr_kernarg_preload_offset 0
		.amdhsa_user_sgpr_private_segment_size 0
		.amdhsa_uses_dynamic_stack 0
		.amdhsa_enable_private_segment 0
		.amdhsa_system_sgpr_workgroup_id_x 1
		.amdhsa_system_sgpr_workgroup_id_y 0
		.amdhsa_system_sgpr_workgroup_id_z 0
		.amdhsa_system_sgpr_workgroup_info 0
		.amdhsa_system_vgpr_workitem_id 0
		.amdhsa_next_free_vgpr 18
		.amdhsa_next_free_sgpr 79
		.amdhsa_accum_offset 20
		.amdhsa_reserve_vcc 1
		.amdhsa_float_round_mode_32 0
		.amdhsa_float_round_mode_16_64 0
		.amdhsa_float_denorm_mode_32 3
		.amdhsa_float_denorm_mode_16_64 3
		.amdhsa_dx10_clamp 1
		.amdhsa_ieee_mode 1
		.amdhsa_fp16_overflow 0
		.amdhsa_tg_split 0
		.amdhsa_exception_fp_ieee_invalid_op 0
		.amdhsa_exception_fp_denorm_src 0
		.amdhsa_exception_fp_ieee_div_zero 0
		.amdhsa_exception_fp_ieee_overflow 0
		.amdhsa_exception_fp_ieee_underflow 0
		.amdhsa_exception_fp_ieee_inexact 0
		.amdhsa_exception_int_div_zero 0
	.end_amdhsa_kernel
	.section	.text._ZN2at6native32elementwise_kernel_manual_unrollILi128ELi4EZNS0_15gpu_kernel_implIZZZNS0_21clamp_min_kernel_cudaERNS_18TensorIteratorBaseERKN3c106ScalarEENKUlvE_clEvENKUlvE3_clEvEUlsE_EEvS4_RKT_EUlibE0_EEviT1_,"axG",@progbits,_ZN2at6native32elementwise_kernel_manual_unrollILi128ELi4EZNS0_15gpu_kernel_implIZZZNS0_21clamp_min_kernel_cudaERNS_18TensorIteratorBaseERKN3c106ScalarEENKUlvE_clEvENKUlvE3_clEvEUlsE_EEvS4_RKT_EUlibE0_EEviT1_,comdat
.Lfunc_end385:
	.size	_ZN2at6native32elementwise_kernel_manual_unrollILi128ELi4EZNS0_15gpu_kernel_implIZZZNS0_21clamp_min_kernel_cudaERNS_18TensorIteratorBaseERKN3c106ScalarEENKUlvE_clEvENKUlvE3_clEvEUlsE_EEvS4_RKT_EUlibE0_EEviT1_, .Lfunc_end385-_ZN2at6native32elementwise_kernel_manual_unrollILi128ELi4EZNS0_15gpu_kernel_implIZZZNS0_21clamp_min_kernel_cudaERNS_18TensorIteratorBaseERKN3c106ScalarEENKUlvE_clEvENKUlvE3_clEvEUlsE_EEvS4_RKT_EUlibE0_EEviT1_
                                        ; -- End function
	.set _ZN2at6native32elementwise_kernel_manual_unrollILi128ELi4EZNS0_15gpu_kernel_implIZZZNS0_21clamp_min_kernel_cudaERNS_18TensorIteratorBaseERKN3c106ScalarEENKUlvE_clEvENKUlvE3_clEvEUlsE_EEvS4_RKT_EUlibE0_EEviT1_.num_vgpr, 18
	.set _ZN2at6native32elementwise_kernel_manual_unrollILi128ELi4EZNS0_15gpu_kernel_implIZZZNS0_21clamp_min_kernel_cudaERNS_18TensorIteratorBaseERKN3c106ScalarEENKUlvE_clEvENKUlvE3_clEvEUlsE_EEvS4_RKT_EUlibE0_EEviT1_.num_agpr, 0
	.set _ZN2at6native32elementwise_kernel_manual_unrollILi128ELi4EZNS0_15gpu_kernel_implIZZZNS0_21clamp_min_kernel_cudaERNS_18TensorIteratorBaseERKN3c106ScalarEENKUlvE_clEvENKUlvE3_clEvEUlsE_EEvS4_RKT_EUlibE0_EEviT1_.numbered_sgpr, 79
	.set _ZN2at6native32elementwise_kernel_manual_unrollILi128ELi4EZNS0_15gpu_kernel_implIZZZNS0_21clamp_min_kernel_cudaERNS_18TensorIteratorBaseERKN3c106ScalarEENKUlvE_clEvENKUlvE3_clEvEUlsE_EEvS4_RKT_EUlibE0_EEviT1_.num_named_barrier, 0
	.set _ZN2at6native32elementwise_kernel_manual_unrollILi128ELi4EZNS0_15gpu_kernel_implIZZZNS0_21clamp_min_kernel_cudaERNS_18TensorIteratorBaseERKN3c106ScalarEENKUlvE_clEvENKUlvE3_clEvEUlsE_EEvS4_RKT_EUlibE0_EEviT1_.private_seg_size, 0
	.set _ZN2at6native32elementwise_kernel_manual_unrollILi128ELi4EZNS0_15gpu_kernel_implIZZZNS0_21clamp_min_kernel_cudaERNS_18TensorIteratorBaseERKN3c106ScalarEENKUlvE_clEvENKUlvE3_clEvEUlsE_EEvS4_RKT_EUlibE0_EEviT1_.uses_vcc, 1
	.set _ZN2at6native32elementwise_kernel_manual_unrollILi128ELi4EZNS0_15gpu_kernel_implIZZZNS0_21clamp_min_kernel_cudaERNS_18TensorIteratorBaseERKN3c106ScalarEENKUlvE_clEvENKUlvE3_clEvEUlsE_EEvS4_RKT_EUlibE0_EEviT1_.uses_flat_scratch, 0
	.set _ZN2at6native32elementwise_kernel_manual_unrollILi128ELi4EZNS0_15gpu_kernel_implIZZZNS0_21clamp_min_kernel_cudaERNS_18TensorIteratorBaseERKN3c106ScalarEENKUlvE_clEvENKUlvE3_clEvEUlsE_EEvS4_RKT_EUlibE0_EEviT1_.has_dyn_sized_stack, 0
	.set _ZN2at6native32elementwise_kernel_manual_unrollILi128ELi4EZNS0_15gpu_kernel_implIZZZNS0_21clamp_min_kernel_cudaERNS_18TensorIteratorBaseERKN3c106ScalarEENKUlvE_clEvENKUlvE3_clEvEUlsE_EEvS4_RKT_EUlibE0_EEviT1_.has_recursion, 0
	.set _ZN2at6native32elementwise_kernel_manual_unrollILi128ELi4EZNS0_15gpu_kernel_implIZZZNS0_21clamp_min_kernel_cudaERNS_18TensorIteratorBaseERKN3c106ScalarEENKUlvE_clEvENKUlvE3_clEvEUlsE_EEvS4_RKT_EUlibE0_EEviT1_.has_indirect_call, 0
	.section	.AMDGPU.csdata,"",@progbits
; Kernel info:
; codeLenInByte = 35460
; TotalNumSgprs: 85
; NumVgprs: 18
; NumAgprs: 0
; TotalNumVgprs: 18
; ScratchSize: 0
; MemoryBound: 1
; FloatMode: 240
; IeeeMode: 1
; LDSByteSize: 0 bytes/workgroup (compile time only)
; SGPRBlocks: 10
; VGPRBlocks: 2
; NumSGPRsForWavesPerEU: 85
; NumVGPRsForWavesPerEU: 18
; AccumOffset: 20
; Occupancy: 8
; WaveLimiterHint : 1
; COMPUTE_PGM_RSRC2:SCRATCH_EN: 0
; COMPUTE_PGM_RSRC2:USER_SGPR: 2
; COMPUTE_PGM_RSRC2:TRAP_HANDLER: 0
; COMPUTE_PGM_RSRC2:TGID_X_EN: 1
; COMPUTE_PGM_RSRC2:TGID_Y_EN: 0
; COMPUTE_PGM_RSRC2:TGID_Z_EN: 0
; COMPUTE_PGM_RSRC2:TIDIG_COMP_CNT: 0
; COMPUTE_PGM_RSRC3_GFX90A:ACCUM_OFFSET: 4
; COMPUTE_PGM_RSRC3_GFX90A:TG_SPLIT: 0
	.section	.text._ZN2at6native29vectorized_elementwise_kernelILi16EZZZNS0_21clamp_min_kernel_cudaERNS_18TensorIteratorBaseERKN3c106ScalarEENKUlvE_clEvENKUlvE4_clEvEUldE_St5arrayIPcLm2EEEEviT0_T1_,"axG",@progbits,_ZN2at6native29vectorized_elementwise_kernelILi16EZZZNS0_21clamp_min_kernel_cudaERNS_18TensorIteratorBaseERKN3c106ScalarEENKUlvE_clEvENKUlvE4_clEvEUldE_St5arrayIPcLm2EEEEviT0_T1_,comdat
	.globl	_ZN2at6native29vectorized_elementwise_kernelILi16EZZZNS0_21clamp_min_kernel_cudaERNS_18TensorIteratorBaseERKN3c106ScalarEENKUlvE_clEvENKUlvE4_clEvEUldE_St5arrayIPcLm2EEEEviT0_T1_ ; -- Begin function _ZN2at6native29vectorized_elementwise_kernelILi16EZZZNS0_21clamp_min_kernel_cudaERNS_18TensorIteratorBaseERKN3c106ScalarEENKUlvE_clEvENKUlvE4_clEvEUldE_St5arrayIPcLm2EEEEviT0_T1_
	.p2align	8
	.type	_ZN2at6native29vectorized_elementwise_kernelILi16EZZZNS0_21clamp_min_kernel_cudaERNS_18TensorIteratorBaseERKN3c106ScalarEENKUlvE_clEvENKUlvE4_clEvEUldE_St5arrayIPcLm2EEEEviT0_T1_,@function
_ZN2at6native29vectorized_elementwise_kernelILi16EZZZNS0_21clamp_min_kernel_cudaERNS_18TensorIteratorBaseERKN3c106ScalarEENKUlvE_clEvENKUlvE4_clEvEUldE_St5arrayIPcLm2EEEEviT0_T1_: ; @_ZN2at6native29vectorized_elementwise_kernelILi16EZZZNS0_21clamp_min_kernel_cudaERNS_18TensorIteratorBaseERKN3c106ScalarEENKUlvE_clEvENKUlvE4_clEvEUldE_St5arrayIPcLm2EEEEviT0_T1_
; %bb.0:
	s_load_dword s3, s[0:1], 0x0
	s_load_dwordx4 s[4:7], s[0:1], 0x8
	s_load_dwordx2 s[8:9], s[0:1], 0x18
	s_lshl_b32 s2, s2, 10
	s_mov_b64 s[0:1], -1
	s_waitcnt lgkmcnt(0)
	s_sub_i32 s10, s3, s2
	s_cmpk_gt_i32 s10, 0x3ff
	v_max_f64 v[2:3], s[4:5], s[4:5]
	s_cbranch_scc0 .LBB386_2
; %bb.1:
	s_ashr_i32 s3, s2, 31
	s_lshl_b64 s[0:1], s[2:3], 3
	s_add_u32 s4, s8, s0
	s_addc_u32 s5, s9, s1
	v_lshlrev_b32_e32 v1, 5, v0
	global_load_dwordx4 v[4:7], v1, s[4:5]
	global_load_dwordx4 v[8:11], v1, s[4:5] offset:16
	s_add_u32 s0, s6, s0
	s_addc_u32 s1, s7, s1
	s_waitcnt vmcnt(1)
	v_max_f64 v[12:13], v[4:5], v[4:5]
	v_max_f64 v[14:15], v[6:7], v[6:7]
	;; [unrolled: 1-line block ×3, first 2 shown]
	v_cmp_u_f64_e32 vcc, v[4:5], v[4:5]
	s_waitcnt vmcnt(0)
	v_max_f64 v[16:17], v[8:9], v[8:9]
	v_max_f64 v[14:15], v[14:15], v[2:3]
	v_cndmask_b32_e32 v5, v13, v5, vcc
	v_cndmask_b32_e32 v4, v12, v4, vcc
	v_cmp_u_f64_e32 vcc, v[6:7], v[6:7]
	v_max_f64 v[18:19], v[10:11], v[10:11]
	v_max_f64 v[16:17], v[16:17], v[2:3]
	v_cndmask_b32_e32 v7, v15, v7, vcc
	v_cndmask_b32_e32 v6, v14, v6, vcc
	v_cmp_u_f64_e32 vcc, v[8:9], v[8:9]
	v_max_f64 v[18:19], v[18:19], v[2:3]
	s_nop 0
	v_cndmask_b32_e32 v9, v17, v9, vcc
	v_cndmask_b32_e32 v8, v16, v8, vcc
	v_cmp_u_f64_e32 vcc, v[10:11], v[10:11]
	s_nop 1
	v_cndmask_b32_e32 v11, v19, v11, vcc
	v_cndmask_b32_e32 v10, v18, v10, vcc
	global_store_dwordx4 v1, v[4:7], s[0:1]
	global_store_dwordx4 v1, v[8:11], s[0:1] offset:16
	s_mov_b64 s[0:1], 0
.LBB386_2:
	s_andn2_b64 vcc, exec, s[0:1]
	s_cbranch_vccnz .LBB386_16
; %bb.3:
	v_cmp_gt_i32_e32 vcc, s10, v0
	v_mov_b64_e32 v[6:7], 0
	v_or_b32_e32 v4, s2, v0
	v_mov_b64_e32 v[8:9], 0
	v_mov_b32_e32 v1, v0
	s_and_saveexec_b64 s[0:1], vcc
	s_cbranch_execz .LBB386_5
; %bb.4:
	v_mov_b32_e32 v5, 0
	v_lshl_add_u64 v[8:9], v[4:5], 3, s[8:9]
	global_load_dwordx2 v[8:9], v[8:9], off
	v_or_b32_e32 v1, 0x100, v0
.LBB386_5:
	s_or_b64 exec, exec, s[0:1]
	v_cmp_gt_i32_e64 s[0:1], s10, v1
	s_and_saveexec_b64 s[4:5], s[0:1]
	s_cbranch_execz .LBB386_7
; %bb.6:
	v_add_u32_e32 v6, s2, v1
	v_mov_b32_e32 v7, 0
	v_lshl_add_u64 v[6:7], v[6:7], 3, s[8:9]
	global_load_dwordx2 v[6:7], v[6:7], off
	v_add_u32_e32 v1, 0x100, v1
.LBB386_7:
	s_or_b64 exec, exec, s[4:5]
	v_cmp_gt_i32_e64 s[0:1], s10, v1
	v_mov_b64_e32 v[10:11], 0
	v_mov_b64_e32 v[12:13], 0
	s_and_saveexec_b64 s[4:5], s[0:1]
	s_cbranch_execz .LBB386_9
; %bb.8:
	v_add_u32_e32 v12, s2, v1
	v_mov_b32_e32 v13, 0
	v_lshl_add_u64 v[12:13], v[12:13], 3, s[8:9]
	global_load_dwordx2 v[12:13], v[12:13], off
	v_add_u32_e32 v1, 0x100, v1
.LBB386_9:
	s_or_b64 exec, exec, s[4:5]
	v_cmp_gt_i32_e64 s[0:1], s10, v1
	s_and_saveexec_b64 s[4:5], s[0:1]
	s_cbranch_execz .LBB386_11
; %bb.10:
	v_add_u32_e32 v10, s2, v1
	v_mov_b32_e32 v11, 0
	v_lshl_add_u64 v[10:11], v[10:11], 3, s[8:9]
	global_load_dwordx2 v[10:11], v[10:11], off
.LBB386_11:
	s_or_b64 exec, exec, s[4:5]
	s_waitcnt vmcnt(0)
	v_max_f64 v[14:15], v[8:9], v[8:9]
	v_max_f64 v[14:15], v[14:15], v[2:3]
	v_cmp_u_f64_e64 s[0:1], v[8:9], v[8:9]
	s_nop 1
	v_cndmask_b32_e64 v1, v14, v8, s[0:1]
	v_cndmask_b32_e64 v5, v15, v9, s[0:1]
	v_max_f64 v[8:9], v[6:7], v[6:7]
	v_cndmask_b32_e32 v14, 0, v1, vcc
	v_or_b32_e32 v1, 0x100, v0
	v_max_f64 v[8:9], v[8:9], v[2:3]
	v_cmp_u_f64_e64 s[0:1], v[6:7], v[6:7]
	v_cndmask_b32_e32 v15, 0, v5, vcc
	s_nop 0
	v_cndmask_b32_e64 v5, v8, v6, s[0:1]
	v_cndmask_b32_e64 v6, v9, v7, s[0:1]
	v_cmp_gt_i32_e64 s[0:1], s10, v1
	s_nop 1
	v_cndmask_b32_e64 v9, 0, v6, s[0:1]
	v_max_f64 v[6:7], v[12:13], v[12:13]
	v_cndmask_b32_e64 v8, 0, v5, s[0:1]
	v_or_b32_e32 v5, 0x200, v0
	v_max_f64 v[6:7], v[6:7], v[2:3]
	v_cmp_u_f64_e64 s[0:1], v[12:13], v[12:13]
	s_nop 1
	v_cndmask_b32_e64 v6, v6, v12, s[0:1]
	v_cndmask_b32_e64 v7, v7, v13, s[0:1]
	v_cmp_gt_i32_e64 s[0:1], s10, v5
	v_max_f64 v[12:13], v[10:11], v[10:11]
	v_or_b32_e32 v5, 0x300, v0
	v_cndmask_b32_e64 v7, 0, v7, s[0:1]
	v_cndmask_b32_e64 v6, 0, v6, s[0:1]
	v_max_f64 v[2:3], v[12:13], v[2:3]
	v_cmp_u_f64_e64 s[0:1], v[10:11], v[10:11]
	s_nop 1
	v_cndmask_b32_e64 v2, v2, v10, s[0:1]
	v_cndmask_b32_e64 v3, v3, v11, s[0:1]
	v_cmp_gt_i32_e64 s[0:1], s10, v5
	s_nop 1
	v_cndmask_b32_e64 v3, 0, v3, s[0:1]
	v_cndmask_b32_e64 v2, 0, v2, s[0:1]
	s_and_saveexec_b64 s[0:1], vcc
	s_cbranch_execnz .LBB386_17
; %bb.12:
	s_or_b64 exec, exec, s[0:1]
	v_cmp_gt_i32_e32 vcc, s10, v0
	s_and_saveexec_b64 s[0:1], vcc
	s_cbranch_execnz .LBB386_18
.LBB386_13:
	s_or_b64 exec, exec, s[0:1]
	v_cmp_gt_i32_e32 vcc, s10, v0
	s_and_saveexec_b64 s[0:1], vcc
	s_cbranch_execnz .LBB386_19
.LBB386_14:
	s_or_b64 exec, exec, s[0:1]
	v_cmp_gt_i32_e32 vcc, s10, v0
	s_and_saveexec_b64 s[0:1], vcc
	s_cbranch_execz .LBB386_16
.LBB386_15:
	v_add_u32_e32 v0, s2, v0
	v_mov_b32_e32 v1, 0
	v_lshl_add_u64 v[0:1], v[0:1], 3, s[6:7]
	global_store_dwordx2 v[0:1], v[2:3], off
.LBB386_16:
	s_endpgm
.LBB386_17:
	v_mov_b32_e32 v5, 0
	v_lshl_add_u64 v[4:5], v[4:5], 3, s[6:7]
	v_mov_b32_e32 v0, v1
	global_store_dwordx2 v[4:5], v[14:15], off
	s_or_b64 exec, exec, s[0:1]
	v_cmp_gt_i32_e32 vcc, s10, v0
	s_and_saveexec_b64 s[0:1], vcc
	s_cbranch_execz .LBB386_13
.LBB386_18:
	v_add_u32_e32 v4, s2, v0
	v_mov_b32_e32 v5, 0
	v_lshl_add_u64 v[4:5], v[4:5], 3, s[6:7]
	v_add_u32_e32 v0, 0x100, v0
	global_store_dwordx2 v[4:5], v[8:9], off
	s_or_b64 exec, exec, s[0:1]
	v_cmp_gt_i32_e32 vcc, s10, v0
	s_and_saveexec_b64 s[0:1], vcc
	s_cbranch_execz .LBB386_14
.LBB386_19:
	v_add_u32_e32 v4, s2, v0
	v_mov_b32_e32 v5, 0
	v_lshl_add_u64 v[4:5], v[4:5], 3, s[6:7]
	v_add_u32_e32 v0, 0x100, v0
	global_store_dwordx2 v[4:5], v[6:7], off
	s_or_b64 exec, exec, s[0:1]
	v_cmp_gt_i32_e32 vcc, s10, v0
	s_and_saveexec_b64 s[0:1], vcc
	s_cbranch_execnz .LBB386_15
	s_branch .LBB386_16
	.section	.rodata,"a",@progbits
	.p2align	6, 0x0
	.amdhsa_kernel _ZN2at6native29vectorized_elementwise_kernelILi16EZZZNS0_21clamp_min_kernel_cudaERNS_18TensorIteratorBaseERKN3c106ScalarEENKUlvE_clEvENKUlvE4_clEvEUldE_St5arrayIPcLm2EEEEviT0_T1_
		.amdhsa_group_segment_fixed_size 0
		.amdhsa_private_segment_fixed_size 0
		.amdhsa_kernarg_size 32
		.amdhsa_user_sgpr_count 2
		.amdhsa_user_sgpr_dispatch_ptr 0
		.amdhsa_user_sgpr_queue_ptr 0
		.amdhsa_user_sgpr_kernarg_segment_ptr 1
		.amdhsa_user_sgpr_dispatch_id 0
		.amdhsa_user_sgpr_kernarg_preload_length 0
		.amdhsa_user_sgpr_kernarg_preload_offset 0
		.amdhsa_user_sgpr_private_segment_size 0
		.amdhsa_uses_dynamic_stack 0
		.amdhsa_enable_private_segment 0
		.amdhsa_system_sgpr_workgroup_id_x 1
		.amdhsa_system_sgpr_workgroup_id_y 0
		.amdhsa_system_sgpr_workgroup_id_z 0
		.amdhsa_system_sgpr_workgroup_info 0
		.amdhsa_system_vgpr_workitem_id 0
		.amdhsa_next_free_vgpr 20
		.amdhsa_next_free_sgpr 11
		.amdhsa_accum_offset 20
		.amdhsa_reserve_vcc 1
		.amdhsa_float_round_mode_32 0
		.amdhsa_float_round_mode_16_64 0
		.amdhsa_float_denorm_mode_32 3
		.amdhsa_float_denorm_mode_16_64 3
		.amdhsa_dx10_clamp 1
		.amdhsa_ieee_mode 1
		.amdhsa_fp16_overflow 0
		.amdhsa_tg_split 0
		.amdhsa_exception_fp_ieee_invalid_op 0
		.amdhsa_exception_fp_denorm_src 0
		.amdhsa_exception_fp_ieee_div_zero 0
		.amdhsa_exception_fp_ieee_overflow 0
		.amdhsa_exception_fp_ieee_underflow 0
		.amdhsa_exception_fp_ieee_inexact 0
		.amdhsa_exception_int_div_zero 0
	.end_amdhsa_kernel
	.section	.text._ZN2at6native29vectorized_elementwise_kernelILi16EZZZNS0_21clamp_min_kernel_cudaERNS_18TensorIteratorBaseERKN3c106ScalarEENKUlvE_clEvENKUlvE4_clEvEUldE_St5arrayIPcLm2EEEEviT0_T1_,"axG",@progbits,_ZN2at6native29vectorized_elementwise_kernelILi16EZZZNS0_21clamp_min_kernel_cudaERNS_18TensorIteratorBaseERKN3c106ScalarEENKUlvE_clEvENKUlvE4_clEvEUldE_St5arrayIPcLm2EEEEviT0_T1_,comdat
.Lfunc_end386:
	.size	_ZN2at6native29vectorized_elementwise_kernelILi16EZZZNS0_21clamp_min_kernel_cudaERNS_18TensorIteratorBaseERKN3c106ScalarEENKUlvE_clEvENKUlvE4_clEvEUldE_St5arrayIPcLm2EEEEviT0_T1_, .Lfunc_end386-_ZN2at6native29vectorized_elementwise_kernelILi16EZZZNS0_21clamp_min_kernel_cudaERNS_18TensorIteratorBaseERKN3c106ScalarEENKUlvE_clEvENKUlvE4_clEvEUldE_St5arrayIPcLm2EEEEviT0_T1_
                                        ; -- End function
	.set _ZN2at6native29vectorized_elementwise_kernelILi16EZZZNS0_21clamp_min_kernel_cudaERNS_18TensorIteratorBaseERKN3c106ScalarEENKUlvE_clEvENKUlvE4_clEvEUldE_St5arrayIPcLm2EEEEviT0_T1_.num_vgpr, 20
	.set _ZN2at6native29vectorized_elementwise_kernelILi16EZZZNS0_21clamp_min_kernel_cudaERNS_18TensorIteratorBaseERKN3c106ScalarEENKUlvE_clEvENKUlvE4_clEvEUldE_St5arrayIPcLm2EEEEviT0_T1_.num_agpr, 0
	.set _ZN2at6native29vectorized_elementwise_kernelILi16EZZZNS0_21clamp_min_kernel_cudaERNS_18TensorIteratorBaseERKN3c106ScalarEENKUlvE_clEvENKUlvE4_clEvEUldE_St5arrayIPcLm2EEEEviT0_T1_.numbered_sgpr, 11
	.set _ZN2at6native29vectorized_elementwise_kernelILi16EZZZNS0_21clamp_min_kernel_cudaERNS_18TensorIteratorBaseERKN3c106ScalarEENKUlvE_clEvENKUlvE4_clEvEUldE_St5arrayIPcLm2EEEEviT0_T1_.num_named_barrier, 0
	.set _ZN2at6native29vectorized_elementwise_kernelILi16EZZZNS0_21clamp_min_kernel_cudaERNS_18TensorIteratorBaseERKN3c106ScalarEENKUlvE_clEvENKUlvE4_clEvEUldE_St5arrayIPcLm2EEEEviT0_T1_.private_seg_size, 0
	.set _ZN2at6native29vectorized_elementwise_kernelILi16EZZZNS0_21clamp_min_kernel_cudaERNS_18TensorIteratorBaseERKN3c106ScalarEENKUlvE_clEvENKUlvE4_clEvEUldE_St5arrayIPcLm2EEEEviT0_T1_.uses_vcc, 1
	.set _ZN2at6native29vectorized_elementwise_kernelILi16EZZZNS0_21clamp_min_kernel_cudaERNS_18TensorIteratorBaseERKN3c106ScalarEENKUlvE_clEvENKUlvE4_clEvEUldE_St5arrayIPcLm2EEEEviT0_T1_.uses_flat_scratch, 0
	.set _ZN2at6native29vectorized_elementwise_kernelILi16EZZZNS0_21clamp_min_kernel_cudaERNS_18TensorIteratorBaseERKN3c106ScalarEENKUlvE_clEvENKUlvE4_clEvEUldE_St5arrayIPcLm2EEEEviT0_T1_.has_dyn_sized_stack, 0
	.set _ZN2at6native29vectorized_elementwise_kernelILi16EZZZNS0_21clamp_min_kernel_cudaERNS_18TensorIteratorBaseERKN3c106ScalarEENKUlvE_clEvENKUlvE4_clEvEUldE_St5arrayIPcLm2EEEEviT0_T1_.has_recursion, 0
	.set _ZN2at6native29vectorized_elementwise_kernelILi16EZZZNS0_21clamp_min_kernel_cudaERNS_18TensorIteratorBaseERKN3c106ScalarEENKUlvE_clEvENKUlvE4_clEvEUldE_St5arrayIPcLm2EEEEviT0_T1_.has_indirect_call, 0
	.section	.AMDGPU.csdata,"",@progbits
; Kernel info:
; codeLenInByte = 988
; TotalNumSgprs: 17
; NumVgprs: 20
; NumAgprs: 0
; TotalNumVgprs: 20
; ScratchSize: 0
; MemoryBound: 0
; FloatMode: 240
; IeeeMode: 1
; LDSByteSize: 0 bytes/workgroup (compile time only)
; SGPRBlocks: 2
; VGPRBlocks: 2
; NumSGPRsForWavesPerEU: 17
; NumVGPRsForWavesPerEU: 20
; AccumOffset: 20
; Occupancy: 8
; WaveLimiterHint : 0
; COMPUTE_PGM_RSRC2:SCRATCH_EN: 0
; COMPUTE_PGM_RSRC2:USER_SGPR: 2
; COMPUTE_PGM_RSRC2:TRAP_HANDLER: 0
; COMPUTE_PGM_RSRC2:TGID_X_EN: 1
; COMPUTE_PGM_RSRC2:TGID_Y_EN: 0
; COMPUTE_PGM_RSRC2:TGID_Z_EN: 0
; COMPUTE_PGM_RSRC2:TIDIG_COMP_CNT: 0
; COMPUTE_PGM_RSRC3_GFX90A:ACCUM_OFFSET: 4
; COMPUTE_PGM_RSRC3_GFX90A:TG_SPLIT: 0
	.section	.text._ZN2at6native29vectorized_elementwise_kernelILi8EZZZNS0_21clamp_min_kernel_cudaERNS_18TensorIteratorBaseERKN3c106ScalarEENKUlvE_clEvENKUlvE4_clEvEUldE_St5arrayIPcLm2EEEEviT0_T1_,"axG",@progbits,_ZN2at6native29vectorized_elementwise_kernelILi8EZZZNS0_21clamp_min_kernel_cudaERNS_18TensorIteratorBaseERKN3c106ScalarEENKUlvE_clEvENKUlvE4_clEvEUldE_St5arrayIPcLm2EEEEviT0_T1_,comdat
	.globl	_ZN2at6native29vectorized_elementwise_kernelILi8EZZZNS0_21clamp_min_kernel_cudaERNS_18TensorIteratorBaseERKN3c106ScalarEENKUlvE_clEvENKUlvE4_clEvEUldE_St5arrayIPcLm2EEEEviT0_T1_ ; -- Begin function _ZN2at6native29vectorized_elementwise_kernelILi8EZZZNS0_21clamp_min_kernel_cudaERNS_18TensorIteratorBaseERKN3c106ScalarEENKUlvE_clEvENKUlvE4_clEvEUldE_St5arrayIPcLm2EEEEviT0_T1_
	.p2align	8
	.type	_ZN2at6native29vectorized_elementwise_kernelILi8EZZZNS0_21clamp_min_kernel_cudaERNS_18TensorIteratorBaseERKN3c106ScalarEENKUlvE_clEvENKUlvE4_clEvEUldE_St5arrayIPcLm2EEEEviT0_T1_,@function
_ZN2at6native29vectorized_elementwise_kernelILi8EZZZNS0_21clamp_min_kernel_cudaERNS_18TensorIteratorBaseERKN3c106ScalarEENKUlvE_clEvENKUlvE4_clEvEUldE_St5arrayIPcLm2EEEEviT0_T1_: ; @_ZN2at6native29vectorized_elementwise_kernelILi8EZZZNS0_21clamp_min_kernel_cudaERNS_18TensorIteratorBaseERKN3c106ScalarEENKUlvE_clEvENKUlvE4_clEvEUldE_St5arrayIPcLm2EEEEviT0_T1_
; %bb.0:
	s_load_dword s3, s[0:1], 0x0
	s_load_dwordx4 s[4:7], s[0:1], 0x8
	s_load_dwordx2 s[8:9], s[0:1], 0x18
	s_lshl_b32 s2, s2, 10
	s_mov_b64 s[0:1], -1
	s_waitcnt lgkmcnt(0)
	s_sub_i32 s10, s3, s2
	s_cmpk_gt_i32 s10, 0x3ff
	v_max_f64 v[2:3], s[4:5], s[4:5]
	s_cbranch_scc0 .LBB387_2
; %bb.1:
	s_ashr_i32 s3, s2, 31
	s_lshl_b64 s[0:1], s[2:3], 3
	s_add_u32 s4, s8, s0
	s_addc_u32 s5, s9, s1
	v_lshlrev_b32_e32 v1, 5, v0
	global_load_dwordx4 v[4:7], v1, s[4:5]
	global_load_dwordx4 v[8:11], v1, s[4:5] offset:16
	s_add_u32 s0, s6, s0
	s_addc_u32 s1, s7, s1
	s_waitcnt vmcnt(1)
	v_max_f64 v[12:13], v[4:5], v[4:5]
	v_max_f64 v[14:15], v[6:7], v[6:7]
	;; [unrolled: 1-line block ×3, first 2 shown]
	v_cmp_u_f64_e32 vcc, v[4:5], v[4:5]
	s_waitcnt vmcnt(0)
	v_max_f64 v[16:17], v[8:9], v[8:9]
	v_max_f64 v[14:15], v[14:15], v[2:3]
	v_cndmask_b32_e32 v5, v13, v5, vcc
	v_cndmask_b32_e32 v4, v12, v4, vcc
	v_cmp_u_f64_e32 vcc, v[6:7], v[6:7]
	v_max_f64 v[18:19], v[10:11], v[10:11]
	v_max_f64 v[16:17], v[16:17], v[2:3]
	v_cndmask_b32_e32 v7, v15, v7, vcc
	v_cndmask_b32_e32 v6, v14, v6, vcc
	v_cmp_u_f64_e32 vcc, v[8:9], v[8:9]
	v_max_f64 v[18:19], v[18:19], v[2:3]
	s_nop 0
	v_cndmask_b32_e32 v9, v17, v9, vcc
	v_cndmask_b32_e32 v8, v16, v8, vcc
	v_cmp_u_f64_e32 vcc, v[10:11], v[10:11]
	s_nop 1
	v_cndmask_b32_e32 v11, v19, v11, vcc
	v_cndmask_b32_e32 v10, v18, v10, vcc
	global_store_dwordx4 v1, v[4:7], s[0:1]
	global_store_dwordx4 v1, v[8:11], s[0:1] offset:16
	s_mov_b64 s[0:1], 0
.LBB387_2:
	s_andn2_b64 vcc, exec, s[0:1]
	s_cbranch_vccnz .LBB387_16
; %bb.3:
	v_cmp_gt_i32_e32 vcc, s10, v0
	v_mov_b64_e32 v[6:7], 0
	v_or_b32_e32 v4, s2, v0
	v_mov_b64_e32 v[8:9], 0
	v_mov_b32_e32 v1, v0
	s_and_saveexec_b64 s[0:1], vcc
	s_cbranch_execz .LBB387_5
; %bb.4:
	v_mov_b32_e32 v5, 0
	v_lshl_add_u64 v[8:9], v[4:5], 3, s[8:9]
	global_load_dwordx2 v[8:9], v[8:9], off
	v_or_b32_e32 v1, 0x100, v0
.LBB387_5:
	s_or_b64 exec, exec, s[0:1]
	v_cmp_gt_i32_e64 s[0:1], s10, v1
	s_and_saveexec_b64 s[4:5], s[0:1]
	s_cbranch_execz .LBB387_7
; %bb.6:
	v_add_u32_e32 v6, s2, v1
	v_mov_b32_e32 v7, 0
	v_lshl_add_u64 v[6:7], v[6:7], 3, s[8:9]
	global_load_dwordx2 v[6:7], v[6:7], off
	v_add_u32_e32 v1, 0x100, v1
.LBB387_7:
	s_or_b64 exec, exec, s[4:5]
	v_cmp_gt_i32_e64 s[0:1], s10, v1
	v_mov_b64_e32 v[10:11], 0
	v_mov_b64_e32 v[12:13], 0
	s_and_saveexec_b64 s[4:5], s[0:1]
	s_cbranch_execz .LBB387_9
; %bb.8:
	v_add_u32_e32 v12, s2, v1
	v_mov_b32_e32 v13, 0
	v_lshl_add_u64 v[12:13], v[12:13], 3, s[8:9]
	global_load_dwordx2 v[12:13], v[12:13], off
	v_add_u32_e32 v1, 0x100, v1
.LBB387_9:
	s_or_b64 exec, exec, s[4:5]
	v_cmp_gt_i32_e64 s[0:1], s10, v1
	s_and_saveexec_b64 s[4:5], s[0:1]
	s_cbranch_execz .LBB387_11
; %bb.10:
	v_add_u32_e32 v10, s2, v1
	v_mov_b32_e32 v11, 0
	v_lshl_add_u64 v[10:11], v[10:11], 3, s[8:9]
	global_load_dwordx2 v[10:11], v[10:11], off
.LBB387_11:
	s_or_b64 exec, exec, s[4:5]
	s_waitcnt vmcnt(0)
	v_max_f64 v[14:15], v[8:9], v[8:9]
	v_max_f64 v[14:15], v[14:15], v[2:3]
	v_cmp_u_f64_e64 s[0:1], v[8:9], v[8:9]
	s_nop 1
	v_cndmask_b32_e64 v1, v14, v8, s[0:1]
	v_cndmask_b32_e64 v5, v15, v9, s[0:1]
	v_max_f64 v[8:9], v[6:7], v[6:7]
	v_cndmask_b32_e32 v14, 0, v1, vcc
	v_or_b32_e32 v1, 0x100, v0
	v_max_f64 v[8:9], v[8:9], v[2:3]
	v_cmp_u_f64_e64 s[0:1], v[6:7], v[6:7]
	v_cndmask_b32_e32 v15, 0, v5, vcc
	s_nop 0
	v_cndmask_b32_e64 v5, v8, v6, s[0:1]
	v_cndmask_b32_e64 v6, v9, v7, s[0:1]
	v_cmp_gt_i32_e64 s[0:1], s10, v1
	s_nop 1
	v_cndmask_b32_e64 v9, 0, v6, s[0:1]
	v_max_f64 v[6:7], v[12:13], v[12:13]
	v_cndmask_b32_e64 v8, 0, v5, s[0:1]
	v_or_b32_e32 v5, 0x200, v0
	v_max_f64 v[6:7], v[6:7], v[2:3]
	v_cmp_u_f64_e64 s[0:1], v[12:13], v[12:13]
	s_nop 1
	v_cndmask_b32_e64 v6, v6, v12, s[0:1]
	v_cndmask_b32_e64 v7, v7, v13, s[0:1]
	v_cmp_gt_i32_e64 s[0:1], s10, v5
	v_max_f64 v[12:13], v[10:11], v[10:11]
	v_or_b32_e32 v5, 0x300, v0
	v_cndmask_b32_e64 v7, 0, v7, s[0:1]
	v_cndmask_b32_e64 v6, 0, v6, s[0:1]
	v_max_f64 v[2:3], v[12:13], v[2:3]
	v_cmp_u_f64_e64 s[0:1], v[10:11], v[10:11]
	s_nop 1
	v_cndmask_b32_e64 v2, v2, v10, s[0:1]
	v_cndmask_b32_e64 v3, v3, v11, s[0:1]
	v_cmp_gt_i32_e64 s[0:1], s10, v5
	s_nop 1
	v_cndmask_b32_e64 v3, 0, v3, s[0:1]
	v_cndmask_b32_e64 v2, 0, v2, s[0:1]
	s_and_saveexec_b64 s[0:1], vcc
	s_cbranch_execnz .LBB387_17
; %bb.12:
	s_or_b64 exec, exec, s[0:1]
	v_cmp_gt_i32_e32 vcc, s10, v0
	s_and_saveexec_b64 s[0:1], vcc
	s_cbranch_execnz .LBB387_18
.LBB387_13:
	s_or_b64 exec, exec, s[0:1]
	v_cmp_gt_i32_e32 vcc, s10, v0
	s_and_saveexec_b64 s[0:1], vcc
	s_cbranch_execnz .LBB387_19
.LBB387_14:
	s_or_b64 exec, exec, s[0:1]
	v_cmp_gt_i32_e32 vcc, s10, v0
	s_and_saveexec_b64 s[0:1], vcc
	s_cbranch_execz .LBB387_16
.LBB387_15:
	v_add_u32_e32 v0, s2, v0
	v_mov_b32_e32 v1, 0
	v_lshl_add_u64 v[0:1], v[0:1], 3, s[6:7]
	global_store_dwordx2 v[0:1], v[2:3], off
.LBB387_16:
	s_endpgm
.LBB387_17:
	v_mov_b32_e32 v5, 0
	v_lshl_add_u64 v[4:5], v[4:5], 3, s[6:7]
	v_mov_b32_e32 v0, v1
	global_store_dwordx2 v[4:5], v[14:15], off
	s_or_b64 exec, exec, s[0:1]
	v_cmp_gt_i32_e32 vcc, s10, v0
	s_and_saveexec_b64 s[0:1], vcc
	s_cbranch_execz .LBB387_13
.LBB387_18:
	v_add_u32_e32 v4, s2, v0
	v_mov_b32_e32 v5, 0
	v_lshl_add_u64 v[4:5], v[4:5], 3, s[6:7]
	v_add_u32_e32 v0, 0x100, v0
	global_store_dwordx2 v[4:5], v[8:9], off
	s_or_b64 exec, exec, s[0:1]
	v_cmp_gt_i32_e32 vcc, s10, v0
	s_and_saveexec_b64 s[0:1], vcc
	s_cbranch_execz .LBB387_14
.LBB387_19:
	v_add_u32_e32 v4, s2, v0
	v_mov_b32_e32 v5, 0
	v_lshl_add_u64 v[4:5], v[4:5], 3, s[6:7]
	v_add_u32_e32 v0, 0x100, v0
	global_store_dwordx2 v[4:5], v[6:7], off
	s_or_b64 exec, exec, s[0:1]
	v_cmp_gt_i32_e32 vcc, s10, v0
	s_and_saveexec_b64 s[0:1], vcc
	s_cbranch_execnz .LBB387_15
	s_branch .LBB387_16
	.section	.rodata,"a",@progbits
	.p2align	6, 0x0
	.amdhsa_kernel _ZN2at6native29vectorized_elementwise_kernelILi8EZZZNS0_21clamp_min_kernel_cudaERNS_18TensorIteratorBaseERKN3c106ScalarEENKUlvE_clEvENKUlvE4_clEvEUldE_St5arrayIPcLm2EEEEviT0_T1_
		.amdhsa_group_segment_fixed_size 0
		.amdhsa_private_segment_fixed_size 0
		.amdhsa_kernarg_size 32
		.amdhsa_user_sgpr_count 2
		.amdhsa_user_sgpr_dispatch_ptr 0
		.amdhsa_user_sgpr_queue_ptr 0
		.amdhsa_user_sgpr_kernarg_segment_ptr 1
		.amdhsa_user_sgpr_dispatch_id 0
		.amdhsa_user_sgpr_kernarg_preload_length 0
		.amdhsa_user_sgpr_kernarg_preload_offset 0
		.amdhsa_user_sgpr_private_segment_size 0
		.amdhsa_uses_dynamic_stack 0
		.amdhsa_enable_private_segment 0
		.amdhsa_system_sgpr_workgroup_id_x 1
		.amdhsa_system_sgpr_workgroup_id_y 0
		.amdhsa_system_sgpr_workgroup_id_z 0
		.amdhsa_system_sgpr_workgroup_info 0
		.amdhsa_system_vgpr_workitem_id 0
		.amdhsa_next_free_vgpr 20
		.amdhsa_next_free_sgpr 11
		.amdhsa_accum_offset 20
		.amdhsa_reserve_vcc 1
		.amdhsa_float_round_mode_32 0
		.amdhsa_float_round_mode_16_64 0
		.amdhsa_float_denorm_mode_32 3
		.amdhsa_float_denorm_mode_16_64 3
		.amdhsa_dx10_clamp 1
		.amdhsa_ieee_mode 1
		.amdhsa_fp16_overflow 0
		.amdhsa_tg_split 0
		.amdhsa_exception_fp_ieee_invalid_op 0
		.amdhsa_exception_fp_denorm_src 0
		.amdhsa_exception_fp_ieee_div_zero 0
		.amdhsa_exception_fp_ieee_overflow 0
		.amdhsa_exception_fp_ieee_underflow 0
		.amdhsa_exception_fp_ieee_inexact 0
		.amdhsa_exception_int_div_zero 0
	.end_amdhsa_kernel
	.section	.text._ZN2at6native29vectorized_elementwise_kernelILi8EZZZNS0_21clamp_min_kernel_cudaERNS_18TensorIteratorBaseERKN3c106ScalarEENKUlvE_clEvENKUlvE4_clEvEUldE_St5arrayIPcLm2EEEEviT0_T1_,"axG",@progbits,_ZN2at6native29vectorized_elementwise_kernelILi8EZZZNS0_21clamp_min_kernel_cudaERNS_18TensorIteratorBaseERKN3c106ScalarEENKUlvE_clEvENKUlvE4_clEvEUldE_St5arrayIPcLm2EEEEviT0_T1_,comdat
.Lfunc_end387:
	.size	_ZN2at6native29vectorized_elementwise_kernelILi8EZZZNS0_21clamp_min_kernel_cudaERNS_18TensorIteratorBaseERKN3c106ScalarEENKUlvE_clEvENKUlvE4_clEvEUldE_St5arrayIPcLm2EEEEviT0_T1_, .Lfunc_end387-_ZN2at6native29vectorized_elementwise_kernelILi8EZZZNS0_21clamp_min_kernel_cudaERNS_18TensorIteratorBaseERKN3c106ScalarEENKUlvE_clEvENKUlvE4_clEvEUldE_St5arrayIPcLm2EEEEviT0_T1_
                                        ; -- End function
	.set _ZN2at6native29vectorized_elementwise_kernelILi8EZZZNS0_21clamp_min_kernel_cudaERNS_18TensorIteratorBaseERKN3c106ScalarEENKUlvE_clEvENKUlvE4_clEvEUldE_St5arrayIPcLm2EEEEviT0_T1_.num_vgpr, 20
	.set _ZN2at6native29vectorized_elementwise_kernelILi8EZZZNS0_21clamp_min_kernel_cudaERNS_18TensorIteratorBaseERKN3c106ScalarEENKUlvE_clEvENKUlvE4_clEvEUldE_St5arrayIPcLm2EEEEviT0_T1_.num_agpr, 0
	.set _ZN2at6native29vectorized_elementwise_kernelILi8EZZZNS0_21clamp_min_kernel_cudaERNS_18TensorIteratorBaseERKN3c106ScalarEENKUlvE_clEvENKUlvE4_clEvEUldE_St5arrayIPcLm2EEEEviT0_T1_.numbered_sgpr, 11
	.set _ZN2at6native29vectorized_elementwise_kernelILi8EZZZNS0_21clamp_min_kernel_cudaERNS_18TensorIteratorBaseERKN3c106ScalarEENKUlvE_clEvENKUlvE4_clEvEUldE_St5arrayIPcLm2EEEEviT0_T1_.num_named_barrier, 0
	.set _ZN2at6native29vectorized_elementwise_kernelILi8EZZZNS0_21clamp_min_kernel_cudaERNS_18TensorIteratorBaseERKN3c106ScalarEENKUlvE_clEvENKUlvE4_clEvEUldE_St5arrayIPcLm2EEEEviT0_T1_.private_seg_size, 0
	.set _ZN2at6native29vectorized_elementwise_kernelILi8EZZZNS0_21clamp_min_kernel_cudaERNS_18TensorIteratorBaseERKN3c106ScalarEENKUlvE_clEvENKUlvE4_clEvEUldE_St5arrayIPcLm2EEEEviT0_T1_.uses_vcc, 1
	.set _ZN2at6native29vectorized_elementwise_kernelILi8EZZZNS0_21clamp_min_kernel_cudaERNS_18TensorIteratorBaseERKN3c106ScalarEENKUlvE_clEvENKUlvE4_clEvEUldE_St5arrayIPcLm2EEEEviT0_T1_.uses_flat_scratch, 0
	.set _ZN2at6native29vectorized_elementwise_kernelILi8EZZZNS0_21clamp_min_kernel_cudaERNS_18TensorIteratorBaseERKN3c106ScalarEENKUlvE_clEvENKUlvE4_clEvEUldE_St5arrayIPcLm2EEEEviT0_T1_.has_dyn_sized_stack, 0
	.set _ZN2at6native29vectorized_elementwise_kernelILi8EZZZNS0_21clamp_min_kernel_cudaERNS_18TensorIteratorBaseERKN3c106ScalarEENKUlvE_clEvENKUlvE4_clEvEUldE_St5arrayIPcLm2EEEEviT0_T1_.has_recursion, 0
	.set _ZN2at6native29vectorized_elementwise_kernelILi8EZZZNS0_21clamp_min_kernel_cudaERNS_18TensorIteratorBaseERKN3c106ScalarEENKUlvE_clEvENKUlvE4_clEvEUldE_St5arrayIPcLm2EEEEviT0_T1_.has_indirect_call, 0
	.section	.AMDGPU.csdata,"",@progbits
; Kernel info:
; codeLenInByte = 988
; TotalNumSgprs: 17
; NumVgprs: 20
; NumAgprs: 0
; TotalNumVgprs: 20
; ScratchSize: 0
; MemoryBound: 0
; FloatMode: 240
; IeeeMode: 1
; LDSByteSize: 0 bytes/workgroup (compile time only)
; SGPRBlocks: 2
; VGPRBlocks: 2
; NumSGPRsForWavesPerEU: 17
; NumVGPRsForWavesPerEU: 20
; AccumOffset: 20
; Occupancy: 8
; WaveLimiterHint : 0
; COMPUTE_PGM_RSRC2:SCRATCH_EN: 0
; COMPUTE_PGM_RSRC2:USER_SGPR: 2
; COMPUTE_PGM_RSRC2:TRAP_HANDLER: 0
; COMPUTE_PGM_RSRC2:TGID_X_EN: 1
; COMPUTE_PGM_RSRC2:TGID_Y_EN: 0
; COMPUTE_PGM_RSRC2:TGID_Z_EN: 0
; COMPUTE_PGM_RSRC2:TIDIG_COMP_CNT: 0
; COMPUTE_PGM_RSRC3_GFX90A:ACCUM_OFFSET: 4
; COMPUTE_PGM_RSRC3_GFX90A:TG_SPLIT: 0
	.section	.text._ZN2at6native29vectorized_elementwise_kernelILi4EZZZNS0_21clamp_min_kernel_cudaERNS_18TensorIteratorBaseERKN3c106ScalarEENKUlvE_clEvENKUlvE4_clEvEUldE_St5arrayIPcLm2EEEEviT0_T1_,"axG",@progbits,_ZN2at6native29vectorized_elementwise_kernelILi4EZZZNS0_21clamp_min_kernel_cudaERNS_18TensorIteratorBaseERKN3c106ScalarEENKUlvE_clEvENKUlvE4_clEvEUldE_St5arrayIPcLm2EEEEviT0_T1_,comdat
	.globl	_ZN2at6native29vectorized_elementwise_kernelILi4EZZZNS0_21clamp_min_kernel_cudaERNS_18TensorIteratorBaseERKN3c106ScalarEENKUlvE_clEvENKUlvE4_clEvEUldE_St5arrayIPcLm2EEEEviT0_T1_ ; -- Begin function _ZN2at6native29vectorized_elementwise_kernelILi4EZZZNS0_21clamp_min_kernel_cudaERNS_18TensorIteratorBaseERKN3c106ScalarEENKUlvE_clEvENKUlvE4_clEvEUldE_St5arrayIPcLm2EEEEviT0_T1_
	.p2align	8
	.type	_ZN2at6native29vectorized_elementwise_kernelILi4EZZZNS0_21clamp_min_kernel_cudaERNS_18TensorIteratorBaseERKN3c106ScalarEENKUlvE_clEvENKUlvE4_clEvEUldE_St5arrayIPcLm2EEEEviT0_T1_,@function
_ZN2at6native29vectorized_elementwise_kernelILi4EZZZNS0_21clamp_min_kernel_cudaERNS_18TensorIteratorBaseERKN3c106ScalarEENKUlvE_clEvENKUlvE4_clEvEUldE_St5arrayIPcLm2EEEEviT0_T1_: ; @_ZN2at6native29vectorized_elementwise_kernelILi4EZZZNS0_21clamp_min_kernel_cudaERNS_18TensorIteratorBaseERKN3c106ScalarEENKUlvE_clEvENKUlvE4_clEvEUldE_St5arrayIPcLm2EEEEviT0_T1_
; %bb.0:
	s_load_dword s3, s[0:1], 0x0
	s_load_dwordx4 s[4:7], s[0:1], 0x8
	s_load_dwordx2 s[8:9], s[0:1], 0x18
	s_lshl_b32 s2, s2, 10
	s_mov_b64 s[0:1], -1
	s_waitcnt lgkmcnt(0)
	s_sub_i32 s10, s3, s2
	s_cmpk_gt_i32 s10, 0x3ff
	v_max_f64 v[2:3], s[4:5], s[4:5]
	s_cbranch_scc0 .LBB388_2
; %bb.1:
	s_ashr_i32 s3, s2, 31
	s_lshl_b64 s[0:1], s[2:3], 3
	s_add_u32 s4, s8, s0
	s_addc_u32 s5, s9, s1
	v_lshlrev_b32_e32 v1, 5, v0
	global_load_dwordx4 v[4:7], v1, s[4:5]
	global_load_dwordx4 v[8:11], v1, s[4:5] offset:16
	s_add_u32 s0, s6, s0
	s_addc_u32 s1, s7, s1
	s_waitcnt vmcnt(1)
	v_max_f64 v[12:13], v[4:5], v[4:5]
	v_max_f64 v[14:15], v[6:7], v[6:7]
	;; [unrolled: 1-line block ×3, first 2 shown]
	v_cmp_u_f64_e32 vcc, v[4:5], v[4:5]
	s_waitcnt vmcnt(0)
	v_max_f64 v[16:17], v[8:9], v[8:9]
	v_max_f64 v[14:15], v[14:15], v[2:3]
	v_cndmask_b32_e32 v5, v13, v5, vcc
	v_cndmask_b32_e32 v4, v12, v4, vcc
	v_cmp_u_f64_e32 vcc, v[6:7], v[6:7]
	v_max_f64 v[18:19], v[10:11], v[10:11]
	v_max_f64 v[16:17], v[16:17], v[2:3]
	v_cndmask_b32_e32 v7, v15, v7, vcc
	v_cndmask_b32_e32 v6, v14, v6, vcc
	v_cmp_u_f64_e32 vcc, v[8:9], v[8:9]
	v_max_f64 v[18:19], v[18:19], v[2:3]
	s_nop 0
	v_cndmask_b32_e32 v9, v17, v9, vcc
	v_cndmask_b32_e32 v8, v16, v8, vcc
	v_cmp_u_f64_e32 vcc, v[10:11], v[10:11]
	s_nop 1
	v_cndmask_b32_e32 v11, v19, v11, vcc
	v_cndmask_b32_e32 v10, v18, v10, vcc
	global_store_dwordx4 v1, v[4:7], s[0:1]
	global_store_dwordx4 v1, v[8:11], s[0:1] offset:16
	s_mov_b64 s[0:1], 0
.LBB388_2:
	s_andn2_b64 vcc, exec, s[0:1]
	s_cbranch_vccnz .LBB388_16
; %bb.3:
	v_cmp_gt_i32_e32 vcc, s10, v0
	v_mov_b64_e32 v[6:7], 0
	v_or_b32_e32 v4, s2, v0
	v_mov_b64_e32 v[8:9], 0
	v_mov_b32_e32 v1, v0
	s_and_saveexec_b64 s[0:1], vcc
	s_cbranch_execz .LBB388_5
; %bb.4:
	v_mov_b32_e32 v5, 0
	v_lshl_add_u64 v[8:9], v[4:5], 3, s[8:9]
	global_load_dwordx2 v[8:9], v[8:9], off
	v_or_b32_e32 v1, 0x100, v0
.LBB388_5:
	s_or_b64 exec, exec, s[0:1]
	v_cmp_gt_i32_e64 s[0:1], s10, v1
	s_and_saveexec_b64 s[4:5], s[0:1]
	s_cbranch_execz .LBB388_7
; %bb.6:
	v_add_u32_e32 v6, s2, v1
	v_mov_b32_e32 v7, 0
	v_lshl_add_u64 v[6:7], v[6:7], 3, s[8:9]
	global_load_dwordx2 v[6:7], v[6:7], off
	v_add_u32_e32 v1, 0x100, v1
.LBB388_7:
	s_or_b64 exec, exec, s[4:5]
	v_cmp_gt_i32_e64 s[0:1], s10, v1
	v_mov_b64_e32 v[10:11], 0
	v_mov_b64_e32 v[12:13], 0
	s_and_saveexec_b64 s[4:5], s[0:1]
	s_cbranch_execz .LBB388_9
; %bb.8:
	v_add_u32_e32 v12, s2, v1
	v_mov_b32_e32 v13, 0
	v_lshl_add_u64 v[12:13], v[12:13], 3, s[8:9]
	global_load_dwordx2 v[12:13], v[12:13], off
	v_add_u32_e32 v1, 0x100, v1
.LBB388_9:
	s_or_b64 exec, exec, s[4:5]
	v_cmp_gt_i32_e64 s[0:1], s10, v1
	s_and_saveexec_b64 s[4:5], s[0:1]
	s_cbranch_execz .LBB388_11
; %bb.10:
	v_add_u32_e32 v10, s2, v1
	v_mov_b32_e32 v11, 0
	v_lshl_add_u64 v[10:11], v[10:11], 3, s[8:9]
	global_load_dwordx2 v[10:11], v[10:11], off
.LBB388_11:
	s_or_b64 exec, exec, s[4:5]
	s_waitcnt vmcnt(0)
	v_max_f64 v[14:15], v[8:9], v[8:9]
	v_max_f64 v[14:15], v[14:15], v[2:3]
	v_cmp_u_f64_e64 s[0:1], v[8:9], v[8:9]
	s_nop 1
	v_cndmask_b32_e64 v1, v14, v8, s[0:1]
	v_cndmask_b32_e64 v5, v15, v9, s[0:1]
	v_max_f64 v[8:9], v[6:7], v[6:7]
	v_cndmask_b32_e32 v14, 0, v1, vcc
	v_or_b32_e32 v1, 0x100, v0
	v_max_f64 v[8:9], v[8:9], v[2:3]
	v_cmp_u_f64_e64 s[0:1], v[6:7], v[6:7]
	v_cndmask_b32_e32 v15, 0, v5, vcc
	s_nop 0
	v_cndmask_b32_e64 v5, v8, v6, s[0:1]
	v_cndmask_b32_e64 v6, v9, v7, s[0:1]
	v_cmp_gt_i32_e64 s[0:1], s10, v1
	s_nop 1
	v_cndmask_b32_e64 v9, 0, v6, s[0:1]
	v_max_f64 v[6:7], v[12:13], v[12:13]
	v_cndmask_b32_e64 v8, 0, v5, s[0:1]
	v_or_b32_e32 v5, 0x200, v0
	v_max_f64 v[6:7], v[6:7], v[2:3]
	v_cmp_u_f64_e64 s[0:1], v[12:13], v[12:13]
	s_nop 1
	v_cndmask_b32_e64 v6, v6, v12, s[0:1]
	v_cndmask_b32_e64 v7, v7, v13, s[0:1]
	v_cmp_gt_i32_e64 s[0:1], s10, v5
	v_max_f64 v[12:13], v[10:11], v[10:11]
	v_or_b32_e32 v5, 0x300, v0
	v_cndmask_b32_e64 v7, 0, v7, s[0:1]
	v_cndmask_b32_e64 v6, 0, v6, s[0:1]
	v_max_f64 v[2:3], v[12:13], v[2:3]
	v_cmp_u_f64_e64 s[0:1], v[10:11], v[10:11]
	s_nop 1
	v_cndmask_b32_e64 v2, v2, v10, s[0:1]
	v_cndmask_b32_e64 v3, v3, v11, s[0:1]
	v_cmp_gt_i32_e64 s[0:1], s10, v5
	s_nop 1
	v_cndmask_b32_e64 v3, 0, v3, s[0:1]
	v_cndmask_b32_e64 v2, 0, v2, s[0:1]
	s_and_saveexec_b64 s[0:1], vcc
	s_cbranch_execnz .LBB388_17
; %bb.12:
	s_or_b64 exec, exec, s[0:1]
	v_cmp_gt_i32_e32 vcc, s10, v0
	s_and_saveexec_b64 s[0:1], vcc
	s_cbranch_execnz .LBB388_18
.LBB388_13:
	s_or_b64 exec, exec, s[0:1]
	v_cmp_gt_i32_e32 vcc, s10, v0
	s_and_saveexec_b64 s[0:1], vcc
	s_cbranch_execnz .LBB388_19
.LBB388_14:
	s_or_b64 exec, exec, s[0:1]
	v_cmp_gt_i32_e32 vcc, s10, v0
	s_and_saveexec_b64 s[0:1], vcc
	s_cbranch_execz .LBB388_16
.LBB388_15:
	v_add_u32_e32 v0, s2, v0
	v_mov_b32_e32 v1, 0
	v_lshl_add_u64 v[0:1], v[0:1], 3, s[6:7]
	global_store_dwordx2 v[0:1], v[2:3], off
.LBB388_16:
	s_endpgm
.LBB388_17:
	v_mov_b32_e32 v5, 0
	v_lshl_add_u64 v[4:5], v[4:5], 3, s[6:7]
	v_mov_b32_e32 v0, v1
	global_store_dwordx2 v[4:5], v[14:15], off
	s_or_b64 exec, exec, s[0:1]
	v_cmp_gt_i32_e32 vcc, s10, v0
	s_and_saveexec_b64 s[0:1], vcc
	s_cbranch_execz .LBB388_13
.LBB388_18:
	v_add_u32_e32 v4, s2, v0
	v_mov_b32_e32 v5, 0
	v_lshl_add_u64 v[4:5], v[4:5], 3, s[6:7]
	v_add_u32_e32 v0, 0x100, v0
	global_store_dwordx2 v[4:5], v[8:9], off
	s_or_b64 exec, exec, s[0:1]
	v_cmp_gt_i32_e32 vcc, s10, v0
	s_and_saveexec_b64 s[0:1], vcc
	s_cbranch_execz .LBB388_14
.LBB388_19:
	v_add_u32_e32 v4, s2, v0
	v_mov_b32_e32 v5, 0
	v_lshl_add_u64 v[4:5], v[4:5], 3, s[6:7]
	v_add_u32_e32 v0, 0x100, v0
	global_store_dwordx2 v[4:5], v[6:7], off
	s_or_b64 exec, exec, s[0:1]
	v_cmp_gt_i32_e32 vcc, s10, v0
	s_and_saveexec_b64 s[0:1], vcc
	s_cbranch_execnz .LBB388_15
	s_branch .LBB388_16
	.section	.rodata,"a",@progbits
	.p2align	6, 0x0
	.amdhsa_kernel _ZN2at6native29vectorized_elementwise_kernelILi4EZZZNS0_21clamp_min_kernel_cudaERNS_18TensorIteratorBaseERKN3c106ScalarEENKUlvE_clEvENKUlvE4_clEvEUldE_St5arrayIPcLm2EEEEviT0_T1_
		.amdhsa_group_segment_fixed_size 0
		.amdhsa_private_segment_fixed_size 0
		.amdhsa_kernarg_size 32
		.amdhsa_user_sgpr_count 2
		.amdhsa_user_sgpr_dispatch_ptr 0
		.amdhsa_user_sgpr_queue_ptr 0
		.amdhsa_user_sgpr_kernarg_segment_ptr 1
		.amdhsa_user_sgpr_dispatch_id 0
		.amdhsa_user_sgpr_kernarg_preload_length 0
		.amdhsa_user_sgpr_kernarg_preload_offset 0
		.amdhsa_user_sgpr_private_segment_size 0
		.amdhsa_uses_dynamic_stack 0
		.amdhsa_enable_private_segment 0
		.amdhsa_system_sgpr_workgroup_id_x 1
		.amdhsa_system_sgpr_workgroup_id_y 0
		.amdhsa_system_sgpr_workgroup_id_z 0
		.amdhsa_system_sgpr_workgroup_info 0
		.amdhsa_system_vgpr_workitem_id 0
		.amdhsa_next_free_vgpr 20
		.amdhsa_next_free_sgpr 11
		.amdhsa_accum_offset 20
		.amdhsa_reserve_vcc 1
		.amdhsa_float_round_mode_32 0
		.amdhsa_float_round_mode_16_64 0
		.amdhsa_float_denorm_mode_32 3
		.amdhsa_float_denorm_mode_16_64 3
		.amdhsa_dx10_clamp 1
		.amdhsa_ieee_mode 1
		.amdhsa_fp16_overflow 0
		.amdhsa_tg_split 0
		.amdhsa_exception_fp_ieee_invalid_op 0
		.amdhsa_exception_fp_denorm_src 0
		.amdhsa_exception_fp_ieee_div_zero 0
		.amdhsa_exception_fp_ieee_overflow 0
		.amdhsa_exception_fp_ieee_underflow 0
		.amdhsa_exception_fp_ieee_inexact 0
		.amdhsa_exception_int_div_zero 0
	.end_amdhsa_kernel
	.section	.text._ZN2at6native29vectorized_elementwise_kernelILi4EZZZNS0_21clamp_min_kernel_cudaERNS_18TensorIteratorBaseERKN3c106ScalarEENKUlvE_clEvENKUlvE4_clEvEUldE_St5arrayIPcLm2EEEEviT0_T1_,"axG",@progbits,_ZN2at6native29vectorized_elementwise_kernelILi4EZZZNS0_21clamp_min_kernel_cudaERNS_18TensorIteratorBaseERKN3c106ScalarEENKUlvE_clEvENKUlvE4_clEvEUldE_St5arrayIPcLm2EEEEviT0_T1_,comdat
.Lfunc_end388:
	.size	_ZN2at6native29vectorized_elementwise_kernelILi4EZZZNS0_21clamp_min_kernel_cudaERNS_18TensorIteratorBaseERKN3c106ScalarEENKUlvE_clEvENKUlvE4_clEvEUldE_St5arrayIPcLm2EEEEviT0_T1_, .Lfunc_end388-_ZN2at6native29vectorized_elementwise_kernelILi4EZZZNS0_21clamp_min_kernel_cudaERNS_18TensorIteratorBaseERKN3c106ScalarEENKUlvE_clEvENKUlvE4_clEvEUldE_St5arrayIPcLm2EEEEviT0_T1_
                                        ; -- End function
	.set _ZN2at6native29vectorized_elementwise_kernelILi4EZZZNS0_21clamp_min_kernel_cudaERNS_18TensorIteratorBaseERKN3c106ScalarEENKUlvE_clEvENKUlvE4_clEvEUldE_St5arrayIPcLm2EEEEviT0_T1_.num_vgpr, 20
	.set _ZN2at6native29vectorized_elementwise_kernelILi4EZZZNS0_21clamp_min_kernel_cudaERNS_18TensorIteratorBaseERKN3c106ScalarEENKUlvE_clEvENKUlvE4_clEvEUldE_St5arrayIPcLm2EEEEviT0_T1_.num_agpr, 0
	.set _ZN2at6native29vectorized_elementwise_kernelILi4EZZZNS0_21clamp_min_kernel_cudaERNS_18TensorIteratorBaseERKN3c106ScalarEENKUlvE_clEvENKUlvE4_clEvEUldE_St5arrayIPcLm2EEEEviT0_T1_.numbered_sgpr, 11
	.set _ZN2at6native29vectorized_elementwise_kernelILi4EZZZNS0_21clamp_min_kernel_cudaERNS_18TensorIteratorBaseERKN3c106ScalarEENKUlvE_clEvENKUlvE4_clEvEUldE_St5arrayIPcLm2EEEEviT0_T1_.num_named_barrier, 0
	.set _ZN2at6native29vectorized_elementwise_kernelILi4EZZZNS0_21clamp_min_kernel_cudaERNS_18TensorIteratorBaseERKN3c106ScalarEENKUlvE_clEvENKUlvE4_clEvEUldE_St5arrayIPcLm2EEEEviT0_T1_.private_seg_size, 0
	.set _ZN2at6native29vectorized_elementwise_kernelILi4EZZZNS0_21clamp_min_kernel_cudaERNS_18TensorIteratorBaseERKN3c106ScalarEENKUlvE_clEvENKUlvE4_clEvEUldE_St5arrayIPcLm2EEEEviT0_T1_.uses_vcc, 1
	.set _ZN2at6native29vectorized_elementwise_kernelILi4EZZZNS0_21clamp_min_kernel_cudaERNS_18TensorIteratorBaseERKN3c106ScalarEENKUlvE_clEvENKUlvE4_clEvEUldE_St5arrayIPcLm2EEEEviT0_T1_.uses_flat_scratch, 0
	.set _ZN2at6native29vectorized_elementwise_kernelILi4EZZZNS0_21clamp_min_kernel_cudaERNS_18TensorIteratorBaseERKN3c106ScalarEENKUlvE_clEvENKUlvE4_clEvEUldE_St5arrayIPcLm2EEEEviT0_T1_.has_dyn_sized_stack, 0
	.set _ZN2at6native29vectorized_elementwise_kernelILi4EZZZNS0_21clamp_min_kernel_cudaERNS_18TensorIteratorBaseERKN3c106ScalarEENKUlvE_clEvENKUlvE4_clEvEUldE_St5arrayIPcLm2EEEEviT0_T1_.has_recursion, 0
	.set _ZN2at6native29vectorized_elementwise_kernelILi4EZZZNS0_21clamp_min_kernel_cudaERNS_18TensorIteratorBaseERKN3c106ScalarEENKUlvE_clEvENKUlvE4_clEvEUldE_St5arrayIPcLm2EEEEviT0_T1_.has_indirect_call, 0
	.section	.AMDGPU.csdata,"",@progbits
; Kernel info:
; codeLenInByte = 988
; TotalNumSgprs: 17
; NumVgprs: 20
; NumAgprs: 0
; TotalNumVgprs: 20
; ScratchSize: 0
; MemoryBound: 0
; FloatMode: 240
; IeeeMode: 1
; LDSByteSize: 0 bytes/workgroup (compile time only)
; SGPRBlocks: 2
; VGPRBlocks: 2
; NumSGPRsForWavesPerEU: 17
; NumVGPRsForWavesPerEU: 20
; AccumOffset: 20
; Occupancy: 8
; WaveLimiterHint : 0
; COMPUTE_PGM_RSRC2:SCRATCH_EN: 0
; COMPUTE_PGM_RSRC2:USER_SGPR: 2
; COMPUTE_PGM_RSRC2:TRAP_HANDLER: 0
; COMPUTE_PGM_RSRC2:TGID_X_EN: 1
; COMPUTE_PGM_RSRC2:TGID_Y_EN: 0
; COMPUTE_PGM_RSRC2:TGID_Z_EN: 0
; COMPUTE_PGM_RSRC2:TIDIG_COMP_CNT: 0
; COMPUTE_PGM_RSRC3_GFX90A:ACCUM_OFFSET: 4
; COMPUTE_PGM_RSRC3_GFX90A:TG_SPLIT: 0
	.section	.text._ZN2at6native29vectorized_elementwise_kernelILi2EZZZNS0_21clamp_min_kernel_cudaERNS_18TensorIteratorBaseERKN3c106ScalarEENKUlvE_clEvENKUlvE4_clEvEUldE_St5arrayIPcLm2EEEEviT0_T1_,"axG",@progbits,_ZN2at6native29vectorized_elementwise_kernelILi2EZZZNS0_21clamp_min_kernel_cudaERNS_18TensorIteratorBaseERKN3c106ScalarEENKUlvE_clEvENKUlvE4_clEvEUldE_St5arrayIPcLm2EEEEviT0_T1_,comdat
	.globl	_ZN2at6native29vectorized_elementwise_kernelILi2EZZZNS0_21clamp_min_kernel_cudaERNS_18TensorIteratorBaseERKN3c106ScalarEENKUlvE_clEvENKUlvE4_clEvEUldE_St5arrayIPcLm2EEEEviT0_T1_ ; -- Begin function _ZN2at6native29vectorized_elementwise_kernelILi2EZZZNS0_21clamp_min_kernel_cudaERNS_18TensorIteratorBaseERKN3c106ScalarEENKUlvE_clEvENKUlvE4_clEvEUldE_St5arrayIPcLm2EEEEviT0_T1_
	.p2align	8
	.type	_ZN2at6native29vectorized_elementwise_kernelILi2EZZZNS0_21clamp_min_kernel_cudaERNS_18TensorIteratorBaseERKN3c106ScalarEENKUlvE_clEvENKUlvE4_clEvEUldE_St5arrayIPcLm2EEEEviT0_T1_,@function
_ZN2at6native29vectorized_elementwise_kernelILi2EZZZNS0_21clamp_min_kernel_cudaERNS_18TensorIteratorBaseERKN3c106ScalarEENKUlvE_clEvENKUlvE4_clEvEUldE_St5arrayIPcLm2EEEEviT0_T1_: ; @_ZN2at6native29vectorized_elementwise_kernelILi2EZZZNS0_21clamp_min_kernel_cudaERNS_18TensorIteratorBaseERKN3c106ScalarEENKUlvE_clEvENKUlvE4_clEvEUldE_St5arrayIPcLm2EEEEviT0_T1_
; %bb.0:
	s_load_dword s3, s[0:1], 0x0
	s_load_dwordx4 s[4:7], s[0:1], 0x8
	s_load_dwordx2 s[8:9], s[0:1], 0x18
	s_lshl_b32 s2, s2, 10
	s_mov_b64 s[0:1], -1
	s_waitcnt lgkmcnt(0)
	s_sub_i32 s10, s3, s2
	s_cmpk_gt_i32 s10, 0x3ff
	v_max_f64 v[2:3], s[4:5], s[4:5]
	s_cbranch_scc0 .LBB389_2
; %bb.1:
	s_ashr_i32 s3, s2, 31
	s_lshl_b64 s[0:1], s[2:3], 3
	s_add_u32 s4, s8, s0
	s_addc_u32 s5, s9, s1
	v_lshlrev_b32_e32 v12, 4, v0
	v_mov_b32_e32 v13, 0
	global_load_dwordx4 v[4:7], v12, s[4:5]
	v_lshl_add_u64 v[8:9], s[4:5], 0, v[12:13]
	v_add_co_u32_e32 v8, vcc, 0x1000, v8
	s_add_u32 s0, s6, s0
	s_nop 0
	v_addc_co_u32_e32 v9, vcc, 0, v9, vcc
	global_load_dwordx4 v[8:11], v[8:9], off
	s_addc_u32 s1, s7, s1
	v_lshl_add_u64 v[14:15], s[0:1], 0, v[12:13]
	v_add_co_u32_e32 v14, vcc, 0x1000, v14
	s_waitcnt vmcnt(1)
	v_max_f64 v[16:17], v[4:5], v[4:5]
	v_addc_co_u32_e32 v15, vcc, 0, v15, vcc
	v_max_f64 v[18:19], v[6:7], v[6:7]
	v_max_f64 v[16:17], v[16:17], v[2:3]
	v_cmp_u_f64_e32 vcc, v[4:5], v[4:5]
	v_max_f64 v[18:19], v[18:19], v[2:3]
	s_nop 0
	v_cndmask_b32_e32 v5, v17, v5, vcc
	v_cndmask_b32_e32 v4, v16, v4, vcc
	v_cmp_u_f64_e32 vcc, v[6:7], v[6:7]
	s_waitcnt vmcnt(0)
	v_max_f64 v[16:17], v[8:9], v[8:9]
	v_cndmask_b32_e32 v7, v19, v7, vcc
	v_cndmask_b32_e32 v6, v18, v6, vcc
	v_max_f64 v[18:19], v[10:11], v[10:11]
	global_store_dwordx4 v12, v[4:7], s[0:1]
	v_cmp_u_f64_e32 vcc, v[8:9], v[8:9]
	s_mov_b64 s[0:1], 0
	v_max_f64 v[4:5], v[16:17], v[2:3]
	v_max_f64 v[6:7], v[18:19], v[2:3]
	v_cndmask_b32_e32 v5, v5, v9, vcc
	v_cndmask_b32_e32 v4, v4, v8, vcc
	v_cmp_u_f64_e32 vcc, v[10:11], v[10:11]
	s_nop 1
	v_cndmask_b32_e32 v7, v7, v11, vcc
	v_cndmask_b32_e32 v6, v6, v10, vcc
	global_store_dwordx4 v[14:15], v[4:7], off
.LBB389_2:
	s_andn2_b64 vcc, exec, s[0:1]
	s_cbranch_vccnz .LBB389_16
; %bb.3:
	v_cmp_gt_i32_e32 vcc, s10, v0
	v_mov_b64_e32 v[6:7], 0
	v_or_b32_e32 v4, s2, v0
	v_mov_b64_e32 v[8:9], 0
	v_mov_b32_e32 v1, v0
	s_and_saveexec_b64 s[0:1], vcc
	s_cbranch_execz .LBB389_5
; %bb.4:
	v_mov_b32_e32 v5, 0
	v_lshl_add_u64 v[8:9], v[4:5], 3, s[8:9]
	global_load_dwordx2 v[8:9], v[8:9], off
	v_or_b32_e32 v1, 0x100, v0
.LBB389_5:
	s_or_b64 exec, exec, s[0:1]
	v_cmp_gt_i32_e64 s[0:1], s10, v1
	s_and_saveexec_b64 s[4:5], s[0:1]
	s_cbranch_execz .LBB389_7
; %bb.6:
	v_add_u32_e32 v6, s2, v1
	v_mov_b32_e32 v7, 0
	v_lshl_add_u64 v[6:7], v[6:7], 3, s[8:9]
	global_load_dwordx2 v[6:7], v[6:7], off
	v_add_u32_e32 v1, 0x100, v1
.LBB389_7:
	s_or_b64 exec, exec, s[4:5]
	v_cmp_gt_i32_e64 s[0:1], s10, v1
	v_mov_b64_e32 v[10:11], 0
	v_mov_b64_e32 v[12:13], 0
	s_and_saveexec_b64 s[4:5], s[0:1]
	s_cbranch_execz .LBB389_9
; %bb.8:
	v_add_u32_e32 v12, s2, v1
	v_mov_b32_e32 v13, 0
	v_lshl_add_u64 v[12:13], v[12:13], 3, s[8:9]
	global_load_dwordx2 v[12:13], v[12:13], off
	v_add_u32_e32 v1, 0x100, v1
.LBB389_9:
	s_or_b64 exec, exec, s[4:5]
	v_cmp_gt_i32_e64 s[0:1], s10, v1
	s_and_saveexec_b64 s[4:5], s[0:1]
	s_cbranch_execz .LBB389_11
; %bb.10:
	v_add_u32_e32 v10, s2, v1
	v_mov_b32_e32 v11, 0
	v_lshl_add_u64 v[10:11], v[10:11], 3, s[8:9]
	global_load_dwordx2 v[10:11], v[10:11], off
.LBB389_11:
	s_or_b64 exec, exec, s[4:5]
	s_waitcnt vmcnt(0)
	v_max_f64 v[14:15], v[8:9], v[8:9]
	v_max_f64 v[14:15], v[14:15], v[2:3]
	v_cmp_u_f64_e64 s[0:1], v[8:9], v[8:9]
	s_nop 1
	v_cndmask_b32_e64 v1, v14, v8, s[0:1]
	v_cndmask_b32_e64 v5, v15, v9, s[0:1]
	v_max_f64 v[8:9], v[6:7], v[6:7]
	v_cndmask_b32_e32 v14, 0, v1, vcc
	v_or_b32_e32 v1, 0x100, v0
	v_max_f64 v[8:9], v[8:9], v[2:3]
	v_cmp_u_f64_e64 s[0:1], v[6:7], v[6:7]
	v_cndmask_b32_e32 v15, 0, v5, vcc
	s_nop 0
	v_cndmask_b32_e64 v5, v8, v6, s[0:1]
	v_cndmask_b32_e64 v6, v9, v7, s[0:1]
	v_cmp_gt_i32_e64 s[0:1], s10, v1
	s_nop 1
	v_cndmask_b32_e64 v9, 0, v6, s[0:1]
	v_max_f64 v[6:7], v[12:13], v[12:13]
	v_cndmask_b32_e64 v8, 0, v5, s[0:1]
	v_or_b32_e32 v5, 0x200, v0
	v_max_f64 v[6:7], v[6:7], v[2:3]
	v_cmp_u_f64_e64 s[0:1], v[12:13], v[12:13]
	s_nop 1
	v_cndmask_b32_e64 v6, v6, v12, s[0:1]
	v_cndmask_b32_e64 v7, v7, v13, s[0:1]
	v_cmp_gt_i32_e64 s[0:1], s10, v5
	v_max_f64 v[12:13], v[10:11], v[10:11]
	v_or_b32_e32 v5, 0x300, v0
	v_cndmask_b32_e64 v7, 0, v7, s[0:1]
	v_cndmask_b32_e64 v6, 0, v6, s[0:1]
	v_max_f64 v[2:3], v[12:13], v[2:3]
	v_cmp_u_f64_e64 s[0:1], v[10:11], v[10:11]
	s_nop 1
	v_cndmask_b32_e64 v2, v2, v10, s[0:1]
	v_cndmask_b32_e64 v3, v3, v11, s[0:1]
	v_cmp_gt_i32_e64 s[0:1], s10, v5
	s_nop 1
	v_cndmask_b32_e64 v3, 0, v3, s[0:1]
	v_cndmask_b32_e64 v2, 0, v2, s[0:1]
	s_and_saveexec_b64 s[0:1], vcc
	s_cbranch_execnz .LBB389_17
; %bb.12:
	s_or_b64 exec, exec, s[0:1]
	v_cmp_gt_i32_e32 vcc, s10, v0
	s_and_saveexec_b64 s[0:1], vcc
	s_cbranch_execnz .LBB389_18
.LBB389_13:
	s_or_b64 exec, exec, s[0:1]
	v_cmp_gt_i32_e32 vcc, s10, v0
	s_and_saveexec_b64 s[0:1], vcc
	s_cbranch_execnz .LBB389_19
.LBB389_14:
	s_or_b64 exec, exec, s[0:1]
	v_cmp_gt_i32_e32 vcc, s10, v0
	s_and_saveexec_b64 s[0:1], vcc
	s_cbranch_execz .LBB389_16
.LBB389_15:
	v_add_u32_e32 v0, s2, v0
	v_mov_b32_e32 v1, 0
	v_lshl_add_u64 v[0:1], v[0:1], 3, s[6:7]
	global_store_dwordx2 v[0:1], v[2:3], off
.LBB389_16:
	s_endpgm
.LBB389_17:
	v_mov_b32_e32 v5, 0
	v_lshl_add_u64 v[4:5], v[4:5], 3, s[6:7]
	v_mov_b32_e32 v0, v1
	global_store_dwordx2 v[4:5], v[14:15], off
	s_or_b64 exec, exec, s[0:1]
	v_cmp_gt_i32_e32 vcc, s10, v0
	s_and_saveexec_b64 s[0:1], vcc
	s_cbranch_execz .LBB389_13
.LBB389_18:
	v_add_u32_e32 v4, s2, v0
	v_mov_b32_e32 v5, 0
	v_lshl_add_u64 v[4:5], v[4:5], 3, s[6:7]
	v_add_u32_e32 v0, 0x100, v0
	global_store_dwordx2 v[4:5], v[8:9], off
	s_or_b64 exec, exec, s[0:1]
	v_cmp_gt_i32_e32 vcc, s10, v0
	s_and_saveexec_b64 s[0:1], vcc
	s_cbranch_execz .LBB389_14
.LBB389_19:
	v_add_u32_e32 v4, s2, v0
	v_mov_b32_e32 v5, 0
	v_lshl_add_u64 v[4:5], v[4:5], 3, s[6:7]
	v_add_u32_e32 v0, 0x100, v0
	global_store_dwordx2 v[4:5], v[6:7], off
	s_or_b64 exec, exec, s[0:1]
	v_cmp_gt_i32_e32 vcc, s10, v0
	s_and_saveexec_b64 s[0:1], vcc
	s_cbranch_execnz .LBB389_15
	s_branch .LBB389_16
	.section	.rodata,"a",@progbits
	.p2align	6, 0x0
	.amdhsa_kernel _ZN2at6native29vectorized_elementwise_kernelILi2EZZZNS0_21clamp_min_kernel_cudaERNS_18TensorIteratorBaseERKN3c106ScalarEENKUlvE_clEvENKUlvE4_clEvEUldE_St5arrayIPcLm2EEEEviT0_T1_
		.amdhsa_group_segment_fixed_size 0
		.amdhsa_private_segment_fixed_size 0
		.amdhsa_kernarg_size 32
		.amdhsa_user_sgpr_count 2
		.amdhsa_user_sgpr_dispatch_ptr 0
		.amdhsa_user_sgpr_queue_ptr 0
		.amdhsa_user_sgpr_kernarg_segment_ptr 1
		.amdhsa_user_sgpr_dispatch_id 0
		.amdhsa_user_sgpr_kernarg_preload_length 0
		.amdhsa_user_sgpr_kernarg_preload_offset 0
		.amdhsa_user_sgpr_private_segment_size 0
		.amdhsa_uses_dynamic_stack 0
		.amdhsa_enable_private_segment 0
		.amdhsa_system_sgpr_workgroup_id_x 1
		.amdhsa_system_sgpr_workgroup_id_y 0
		.amdhsa_system_sgpr_workgroup_id_z 0
		.amdhsa_system_sgpr_workgroup_info 0
		.amdhsa_system_vgpr_workitem_id 0
		.amdhsa_next_free_vgpr 20
		.amdhsa_next_free_sgpr 11
		.amdhsa_accum_offset 20
		.amdhsa_reserve_vcc 1
		.amdhsa_float_round_mode_32 0
		.amdhsa_float_round_mode_16_64 0
		.amdhsa_float_denorm_mode_32 3
		.amdhsa_float_denorm_mode_16_64 3
		.amdhsa_dx10_clamp 1
		.amdhsa_ieee_mode 1
		.amdhsa_fp16_overflow 0
		.amdhsa_tg_split 0
		.amdhsa_exception_fp_ieee_invalid_op 0
		.amdhsa_exception_fp_denorm_src 0
		.amdhsa_exception_fp_ieee_div_zero 0
		.amdhsa_exception_fp_ieee_overflow 0
		.amdhsa_exception_fp_ieee_underflow 0
		.amdhsa_exception_fp_ieee_inexact 0
		.amdhsa_exception_int_div_zero 0
	.end_amdhsa_kernel
	.section	.text._ZN2at6native29vectorized_elementwise_kernelILi2EZZZNS0_21clamp_min_kernel_cudaERNS_18TensorIteratorBaseERKN3c106ScalarEENKUlvE_clEvENKUlvE4_clEvEUldE_St5arrayIPcLm2EEEEviT0_T1_,"axG",@progbits,_ZN2at6native29vectorized_elementwise_kernelILi2EZZZNS0_21clamp_min_kernel_cudaERNS_18TensorIteratorBaseERKN3c106ScalarEENKUlvE_clEvENKUlvE4_clEvEUldE_St5arrayIPcLm2EEEEviT0_T1_,comdat
.Lfunc_end389:
	.size	_ZN2at6native29vectorized_elementwise_kernelILi2EZZZNS0_21clamp_min_kernel_cudaERNS_18TensorIteratorBaseERKN3c106ScalarEENKUlvE_clEvENKUlvE4_clEvEUldE_St5arrayIPcLm2EEEEviT0_T1_, .Lfunc_end389-_ZN2at6native29vectorized_elementwise_kernelILi2EZZZNS0_21clamp_min_kernel_cudaERNS_18TensorIteratorBaseERKN3c106ScalarEENKUlvE_clEvENKUlvE4_clEvEUldE_St5arrayIPcLm2EEEEviT0_T1_
                                        ; -- End function
	.set _ZN2at6native29vectorized_elementwise_kernelILi2EZZZNS0_21clamp_min_kernel_cudaERNS_18TensorIteratorBaseERKN3c106ScalarEENKUlvE_clEvENKUlvE4_clEvEUldE_St5arrayIPcLm2EEEEviT0_T1_.num_vgpr, 20
	.set _ZN2at6native29vectorized_elementwise_kernelILi2EZZZNS0_21clamp_min_kernel_cudaERNS_18TensorIteratorBaseERKN3c106ScalarEENKUlvE_clEvENKUlvE4_clEvEUldE_St5arrayIPcLm2EEEEviT0_T1_.num_agpr, 0
	.set _ZN2at6native29vectorized_elementwise_kernelILi2EZZZNS0_21clamp_min_kernel_cudaERNS_18TensorIteratorBaseERKN3c106ScalarEENKUlvE_clEvENKUlvE4_clEvEUldE_St5arrayIPcLm2EEEEviT0_T1_.numbered_sgpr, 11
	.set _ZN2at6native29vectorized_elementwise_kernelILi2EZZZNS0_21clamp_min_kernel_cudaERNS_18TensorIteratorBaseERKN3c106ScalarEENKUlvE_clEvENKUlvE4_clEvEUldE_St5arrayIPcLm2EEEEviT0_T1_.num_named_barrier, 0
	.set _ZN2at6native29vectorized_elementwise_kernelILi2EZZZNS0_21clamp_min_kernel_cudaERNS_18TensorIteratorBaseERKN3c106ScalarEENKUlvE_clEvENKUlvE4_clEvEUldE_St5arrayIPcLm2EEEEviT0_T1_.private_seg_size, 0
	.set _ZN2at6native29vectorized_elementwise_kernelILi2EZZZNS0_21clamp_min_kernel_cudaERNS_18TensorIteratorBaseERKN3c106ScalarEENKUlvE_clEvENKUlvE4_clEvEUldE_St5arrayIPcLm2EEEEviT0_T1_.uses_vcc, 1
	.set _ZN2at6native29vectorized_elementwise_kernelILi2EZZZNS0_21clamp_min_kernel_cudaERNS_18TensorIteratorBaseERKN3c106ScalarEENKUlvE_clEvENKUlvE4_clEvEUldE_St5arrayIPcLm2EEEEviT0_T1_.uses_flat_scratch, 0
	.set _ZN2at6native29vectorized_elementwise_kernelILi2EZZZNS0_21clamp_min_kernel_cudaERNS_18TensorIteratorBaseERKN3c106ScalarEENKUlvE_clEvENKUlvE4_clEvEUldE_St5arrayIPcLm2EEEEviT0_T1_.has_dyn_sized_stack, 0
	.set _ZN2at6native29vectorized_elementwise_kernelILi2EZZZNS0_21clamp_min_kernel_cudaERNS_18TensorIteratorBaseERKN3c106ScalarEENKUlvE_clEvENKUlvE4_clEvEUldE_St5arrayIPcLm2EEEEviT0_T1_.has_recursion, 0
	.set _ZN2at6native29vectorized_elementwise_kernelILi2EZZZNS0_21clamp_min_kernel_cudaERNS_18TensorIteratorBaseERKN3c106ScalarEENKUlvE_clEvENKUlvE4_clEvEUldE_St5arrayIPcLm2EEEEviT0_T1_.has_indirect_call, 0
	.section	.AMDGPU.csdata,"",@progbits
; Kernel info:
; codeLenInByte = 1036
; TotalNumSgprs: 17
; NumVgprs: 20
; NumAgprs: 0
; TotalNumVgprs: 20
; ScratchSize: 0
; MemoryBound: 0
; FloatMode: 240
; IeeeMode: 1
; LDSByteSize: 0 bytes/workgroup (compile time only)
; SGPRBlocks: 2
; VGPRBlocks: 2
; NumSGPRsForWavesPerEU: 17
; NumVGPRsForWavesPerEU: 20
; AccumOffset: 20
; Occupancy: 8
; WaveLimiterHint : 1
; COMPUTE_PGM_RSRC2:SCRATCH_EN: 0
; COMPUTE_PGM_RSRC2:USER_SGPR: 2
; COMPUTE_PGM_RSRC2:TRAP_HANDLER: 0
; COMPUTE_PGM_RSRC2:TGID_X_EN: 1
; COMPUTE_PGM_RSRC2:TGID_Y_EN: 0
; COMPUTE_PGM_RSRC2:TGID_Z_EN: 0
; COMPUTE_PGM_RSRC2:TIDIG_COMP_CNT: 0
; COMPUTE_PGM_RSRC3_GFX90A:ACCUM_OFFSET: 4
; COMPUTE_PGM_RSRC3_GFX90A:TG_SPLIT: 0
	.section	.text._ZN2at6native27unrolled_elementwise_kernelIZZZNS0_21clamp_min_kernel_cudaERNS_18TensorIteratorBaseERKN3c106ScalarEENKUlvE_clEvENKUlvE4_clEvEUldE_St5arrayIPcLm2EELi4E23TrivialOffsetCalculatorILi1EjESF_NS0_6memory15LoadWithoutCastENSG_16StoreWithoutCastEEEviT_T0_T2_T3_T4_T5_,"axG",@progbits,_ZN2at6native27unrolled_elementwise_kernelIZZZNS0_21clamp_min_kernel_cudaERNS_18TensorIteratorBaseERKN3c106ScalarEENKUlvE_clEvENKUlvE4_clEvEUldE_St5arrayIPcLm2EELi4E23TrivialOffsetCalculatorILi1EjESF_NS0_6memory15LoadWithoutCastENSG_16StoreWithoutCastEEEviT_T0_T2_T3_T4_T5_,comdat
	.globl	_ZN2at6native27unrolled_elementwise_kernelIZZZNS0_21clamp_min_kernel_cudaERNS_18TensorIteratorBaseERKN3c106ScalarEENKUlvE_clEvENKUlvE4_clEvEUldE_St5arrayIPcLm2EELi4E23TrivialOffsetCalculatorILi1EjESF_NS0_6memory15LoadWithoutCastENSG_16StoreWithoutCastEEEviT_T0_T2_T3_T4_T5_ ; -- Begin function _ZN2at6native27unrolled_elementwise_kernelIZZZNS0_21clamp_min_kernel_cudaERNS_18TensorIteratorBaseERKN3c106ScalarEENKUlvE_clEvENKUlvE4_clEvEUldE_St5arrayIPcLm2EELi4E23TrivialOffsetCalculatorILi1EjESF_NS0_6memory15LoadWithoutCastENSG_16StoreWithoutCastEEEviT_T0_T2_T3_T4_T5_
	.p2align	8
	.type	_ZN2at6native27unrolled_elementwise_kernelIZZZNS0_21clamp_min_kernel_cudaERNS_18TensorIteratorBaseERKN3c106ScalarEENKUlvE_clEvENKUlvE4_clEvEUldE_St5arrayIPcLm2EELi4E23TrivialOffsetCalculatorILi1EjESF_NS0_6memory15LoadWithoutCastENSG_16StoreWithoutCastEEEviT_T0_T2_T3_T4_T5_,@function
_ZN2at6native27unrolled_elementwise_kernelIZZZNS0_21clamp_min_kernel_cudaERNS_18TensorIteratorBaseERKN3c106ScalarEENKUlvE_clEvENKUlvE4_clEvEUldE_St5arrayIPcLm2EELi4E23TrivialOffsetCalculatorILi1EjESF_NS0_6memory15LoadWithoutCastENSG_16StoreWithoutCastEEEviT_T0_T2_T3_T4_T5_: ; @_ZN2at6native27unrolled_elementwise_kernelIZZZNS0_21clamp_min_kernel_cudaERNS_18TensorIteratorBaseERKN3c106ScalarEENKUlvE_clEvENKUlvE4_clEvEUldE_St5arrayIPcLm2EELi4E23TrivialOffsetCalculatorILi1EjESF_NS0_6memory15LoadWithoutCastENSG_16StoreWithoutCastEEEviT_T0_T2_T3_T4_T5_
; %bb.0:
	s_load_dword s3, s[0:1], 0x0
	s_load_dwordx2 s[8:9], s[0:1], 0x18
	s_lshl_b32 s10, s2, 10
	v_mov_b64_e32 v[4:5], 0
	v_or_b32_e32 v2, s10, v0
	s_waitcnt lgkmcnt(0)
	s_sub_i32 s11, s3, s10
	v_cmp_gt_i32_e32 vcc, s11, v0
	v_mov_b64_e32 v[6:7], 0
	v_mov_b32_e32 v1, v0
	s_and_saveexec_b64 s[2:3], vcc
	s_cbranch_execz .LBB390_2
; %bb.1:
	v_mov_b32_e32 v3, 0
	v_lshl_add_u64 v[6:7], v[2:3], 3, s[8:9]
	global_load_dwordx2 v[6:7], v[6:7], off
	v_or_b32_e32 v1, 0x100, v0
.LBB390_2:
	s_or_b64 exec, exec, s[2:3]
	s_load_dwordx4 s[4:7], s[0:1], 0x8
	v_cmp_gt_i32_e64 s[0:1], s11, v1
	s_and_saveexec_b64 s[2:3], s[0:1]
	s_cbranch_execz .LBB390_4
; %bb.3:
	v_add_u32_e32 v4, s10, v1
	v_mov_b32_e32 v5, 0
	v_lshl_add_u64 v[4:5], v[4:5], 3, s[8:9]
	global_load_dwordx2 v[4:5], v[4:5], off
	v_add_u32_e32 v1, 0x100, v1
.LBB390_4:
	s_or_b64 exec, exec, s[2:3]
	v_cmp_gt_i32_e64 s[0:1], s11, v1
	v_mov_b64_e32 v[8:9], 0
	v_mov_b64_e32 v[10:11], 0
	s_and_saveexec_b64 s[2:3], s[0:1]
	s_cbranch_execz .LBB390_6
; %bb.5:
	v_add_u32_e32 v10, s10, v1
	v_mov_b32_e32 v11, 0
	v_lshl_add_u64 v[10:11], v[10:11], 3, s[8:9]
	global_load_dwordx2 v[10:11], v[10:11], off
	v_add_u32_e32 v1, 0x100, v1
.LBB390_6:
	s_or_b64 exec, exec, s[2:3]
	v_cmp_gt_i32_e64 s[0:1], s11, v1
	s_and_saveexec_b64 s[2:3], s[0:1]
	s_cbranch_execz .LBB390_8
; %bb.7:
	v_add_u32_e32 v8, s10, v1
	v_mov_b32_e32 v9, 0
	v_lshl_add_u64 v[8:9], v[8:9], 3, s[8:9]
	global_load_dwordx2 v[8:9], v[8:9], off
.LBB390_8:
	s_or_b64 exec, exec, s[2:3]
	s_waitcnt lgkmcnt(0)
	v_max_f64 v[16:17], s[4:5], s[4:5]
	s_waitcnt vmcnt(0)
	v_max_f64 v[12:13], v[6:7], v[6:7]
	v_max_f64 v[12:13], v[12:13], v[16:17]
	v_cmp_u_f64_e64 s[0:1], v[6:7], v[6:7]
	s_nop 1
	v_cndmask_b32_e64 v1, v12, v6, s[0:1]
	v_cndmask_b32_e64 v3, v13, v7, s[0:1]
	v_max_f64 v[6:7], v[4:5], v[4:5]
	v_cndmask_b32_e32 v14, 0, v1, vcc
	v_or_b32_e32 v1, 0x100, v0
	v_max_f64 v[6:7], v[6:7], v[16:17]
	v_cmp_u_f64_e64 s[0:1], v[4:5], v[4:5]
	v_cndmask_b32_e32 v15, 0, v3, vcc
	s_nop 0
	v_cndmask_b32_e64 v3, v6, v4, s[0:1]
	v_cndmask_b32_e64 v4, v7, v5, s[0:1]
	v_cmp_gt_i32_e64 s[0:1], s11, v1
	s_nop 1
	v_cndmask_b32_e64 v13, 0, v4, s[0:1]
	v_max_f64 v[4:5], v[10:11], v[10:11]
	v_cndmask_b32_e64 v12, 0, v3, s[0:1]
	v_or_b32_e32 v3, 0x200, v0
	v_max_f64 v[4:5], v[4:5], v[16:17]
	v_cmp_u_f64_e64 s[0:1], v[10:11], v[10:11]
	s_nop 1
	v_cndmask_b32_e64 v4, v4, v10, s[0:1]
	v_cndmask_b32_e64 v5, v5, v11, s[0:1]
	v_cmp_gt_i32_e64 s[0:1], s11, v3
	v_or_b32_e32 v3, 0x300, v0
	s_nop 0
	v_cndmask_b32_e64 v7, 0, v5, s[0:1]
	v_cndmask_b32_e64 v6, 0, v4, s[0:1]
	v_max_f64 v[4:5], v[8:9], v[8:9]
	v_max_f64 v[4:5], v[4:5], v[16:17]
	v_cmp_u_f64_e64 s[0:1], v[8:9], v[8:9]
	s_nop 1
	v_cndmask_b32_e64 v4, v4, v8, s[0:1]
	v_cndmask_b32_e64 v5, v5, v9, s[0:1]
	v_cmp_gt_i32_e64 s[0:1], s11, v3
	s_nop 1
	v_cndmask_b32_e64 v5, 0, v5, s[0:1]
	v_cndmask_b32_e64 v4, 0, v4, s[0:1]
	s_and_saveexec_b64 s[0:1], vcc
	s_cbranch_execnz .LBB390_13
; %bb.9:
	s_or_b64 exec, exec, s[0:1]
	v_cmp_gt_i32_e32 vcc, s11, v0
	s_and_saveexec_b64 s[0:1], vcc
	s_cbranch_execnz .LBB390_14
.LBB390_10:
	s_or_b64 exec, exec, s[0:1]
	v_cmp_gt_i32_e32 vcc, s11, v0
	s_and_saveexec_b64 s[0:1], vcc
	s_cbranch_execnz .LBB390_15
.LBB390_11:
	s_or_b64 exec, exec, s[0:1]
	v_cmp_gt_i32_e32 vcc, s11, v0
	s_and_saveexec_b64 s[0:1], vcc
	s_cbranch_execnz .LBB390_16
.LBB390_12:
	s_endpgm
.LBB390_13:
	v_mov_b32_e32 v3, 0
	v_lshl_add_u64 v[2:3], v[2:3], 3, s[6:7]
	v_mov_b32_e32 v0, v1
	global_store_dwordx2 v[2:3], v[14:15], off
	s_or_b64 exec, exec, s[0:1]
	v_cmp_gt_i32_e32 vcc, s11, v0
	s_and_saveexec_b64 s[0:1], vcc
	s_cbranch_execz .LBB390_10
.LBB390_14:
	v_add_u32_e32 v2, 0x100, v0
	v_add_u32_e32 v0, s10, v0
	v_mov_b32_e32 v1, 0
	v_lshl_add_u64 v[0:1], v[0:1], 3, s[6:7]
	global_store_dwordx2 v[0:1], v[12:13], off
	v_mov_b32_e32 v0, v2
	s_or_b64 exec, exec, s[0:1]
	v_cmp_gt_i32_e32 vcc, s11, v0
	s_and_saveexec_b64 s[0:1], vcc
	s_cbranch_execz .LBB390_11
.LBB390_15:
	v_add_u32_e32 v2, 0x100, v0
	v_add_u32_e32 v0, s10, v0
	v_mov_b32_e32 v1, 0
	v_lshl_add_u64 v[0:1], v[0:1], 3, s[6:7]
	global_store_dwordx2 v[0:1], v[6:7], off
	v_mov_b32_e32 v0, v2
	s_or_b64 exec, exec, s[0:1]
	v_cmp_gt_i32_e32 vcc, s11, v0
	s_and_saveexec_b64 s[0:1], vcc
	s_cbranch_execz .LBB390_12
.LBB390_16:
	v_add_u32_e32 v0, s10, v0
	v_mov_b32_e32 v1, 0
	v_lshl_add_u64 v[0:1], v[0:1], 3, s[6:7]
	global_store_dwordx2 v[0:1], v[4:5], off
	s_endpgm
	.section	.rodata,"a",@progbits
	.p2align	6, 0x0
	.amdhsa_kernel _ZN2at6native27unrolled_elementwise_kernelIZZZNS0_21clamp_min_kernel_cudaERNS_18TensorIteratorBaseERKN3c106ScalarEENKUlvE_clEvENKUlvE4_clEvEUldE_St5arrayIPcLm2EELi4E23TrivialOffsetCalculatorILi1EjESF_NS0_6memory15LoadWithoutCastENSG_16StoreWithoutCastEEEviT_T0_T2_T3_T4_T5_
		.amdhsa_group_segment_fixed_size 0
		.amdhsa_private_segment_fixed_size 0
		.amdhsa_kernarg_size 36
		.amdhsa_user_sgpr_count 2
		.amdhsa_user_sgpr_dispatch_ptr 0
		.amdhsa_user_sgpr_queue_ptr 0
		.amdhsa_user_sgpr_kernarg_segment_ptr 1
		.amdhsa_user_sgpr_dispatch_id 0
		.amdhsa_user_sgpr_kernarg_preload_length 0
		.amdhsa_user_sgpr_kernarg_preload_offset 0
		.amdhsa_user_sgpr_private_segment_size 0
		.amdhsa_uses_dynamic_stack 0
		.amdhsa_enable_private_segment 0
		.amdhsa_system_sgpr_workgroup_id_x 1
		.amdhsa_system_sgpr_workgroup_id_y 0
		.amdhsa_system_sgpr_workgroup_id_z 0
		.amdhsa_system_sgpr_workgroup_info 0
		.amdhsa_system_vgpr_workitem_id 0
		.amdhsa_next_free_vgpr 18
		.amdhsa_next_free_sgpr 12
		.amdhsa_accum_offset 20
		.amdhsa_reserve_vcc 1
		.amdhsa_float_round_mode_32 0
		.amdhsa_float_round_mode_16_64 0
		.amdhsa_float_denorm_mode_32 3
		.amdhsa_float_denorm_mode_16_64 3
		.amdhsa_dx10_clamp 1
		.amdhsa_ieee_mode 1
		.amdhsa_fp16_overflow 0
		.amdhsa_tg_split 0
		.amdhsa_exception_fp_ieee_invalid_op 0
		.amdhsa_exception_fp_denorm_src 0
		.amdhsa_exception_fp_ieee_div_zero 0
		.amdhsa_exception_fp_ieee_overflow 0
		.amdhsa_exception_fp_ieee_underflow 0
		.amdhsa_exception_fp_ieee_inexact 0
		.amdhsa_exception_int_div_zero 0
	.end_amdhsa_kernel
	.section	.text._ZN2at6native27unrolled_elementwise_kernelIZZZNS0_21clamp_min_kernel_cudaERNS_18TensorIteratorBaseERKN3c106ScalarEENKUlvE_clEvENKUlvE4_clEvEUldE_St5arrayIPcLm2EELi4E23TrivialOffsetCalculatorILi1EjESF_NS0_6memory15LoadWithoutCastENSG_16StoreWithoutCastEEEviT_T0_T2_T3_T4_T5_,"axG",@progbits,_ZN2at6native27unrolled_elementwise_kernelIZZZNS0_21clamp_min_kernel_cudaERNS_18TensorIteratorBaseERKN3c106ScalarEENKUlvE_clEvENKUlvE4_clEvEUldE_St5arrayIPcLm2EELi4E23TrivialOffsetCalculatorILi1EjESF_NS0_6memory15LoadWithoutCastENSG_16StoreWithoutCastEEEviT_T0_T2_T3_T4_T5_,comdat
.Lfunc_end390:
	.size	_ZN2at6native27unrolled_elementwise_kernelIZZZNS0_21clamp_min_kernel_cudaERNS_18TensorIteratorBaseERKN3c106ScalarEENKUlvE_clEvENKUlvE4_clEvEUldE_St5arrayIPcLm2EELi4E23TrivialOffsetCalculatorILi1EjESF_NS0_6memory15LoadWithoutCastENSG_16StoreWithoutCastEEEviT_T0_T2_T3_T4_T5_, .Lfunc_end390-_ZN2at6native27unrolled_elementwise_kernelIZZZNS0_21clamp_min_kernel_cudaERNS_18TensorIteratorBaseERKN3c106ScalarEENKUlvE_clEvENKUlvE4_clEvEUldE_St5arrayIPcLm2EELi4E23TrivialOffsetCalculatorILi1EjESF_NS0_6memory15LoadWithoutCastENSG_16StoreWithoutCastEEEviT_T0_T2_T3_T4_T5_
                                        ; -- End function
	.set _ZN2at6native27unrolled_elementwise_kernelIZZZNS0_21clamp_min_kernel_cudaERNS_18TensorIteratorBaseERKN3c106ScalarEENKUlvE_clEvENKUlvE4_clEvEUldE_St5arrayIPcLm2EELi4E23TrivialOffsetCalculatorILi1EjESF_NS0_6memory15LoadWithoutCastENSG_16StoreWithoutCastEEEviT_T0_T2_T3_T4_T5_.num_vgpr, 18
	.set _ZN2at6native27unrolled_elementwise_kernelIZZZNS0_21clamp_min_kernel_cudaERNS_18TensorIteratorBaseERKN3c106ScalarEENKUlvE_clEvENKUlvE4_clEvEUldE_St5arrayIPcLm2EELi4E23TrivialOffsetCalculatorILi1EjESF_NS0_6memory15LoadWithoutCastENSG_16StoreWithoutCastEEEviT_T0_T2_T3_T4_T5_.num_agpr, 0
	.set _ZN2at6native27unrolled_elementwise_kernelIZZZNS0_21clamp_min_kernel_cudaERNS_18TensorIteratorBaseERKN3c106ScalarEENKUlvE_clEvENKUlvE4_clEvEUldE_St5arrayIPcLm2EELi4E23TrivialOffsetCalculatorILi1EjESF_NS0_6memory15LoadWithoutCastENSG_16StoreWithoutCastEEEviT_T0_T2_T3_T4_T5_.numbered_sgpr, 12
	.set _ZN2at6native27unrolled_elementwise_kernelIZZZNS0_21clamp_min_kernel_cudaERNS_18TensorIteratorBaseERKN3c106ScalarEENKUlvE_clEvENKUlvE4_clEvEUldE_St5arrayIPcLm2EELi4E23TrivialOffsetCalculatorILi1EjESF_NS0_6memory15LoadWithoutCastENSG_16StoreWithoutCastEEEviT_T0_T2_T3_T4_T5_.num_named_barrier, 0
	.set _ZN2at6native27unrolled_elementwise_kernelIZZZNS0_21clamp_min_kernel_cudaERNS_18TensorIteratorBaseERKN3c106ScalarEENKUlvE_clEvENKUlvE4_clEvEUldE_St5arrayIPcLm2EELi4E23TrivialOffsetCalculatorILi1EjESF_NS0_6memory15LoadWithoutCastENSG_16StoreWithoutCastEEEviT_T0_T2_T3_T4_T5_.private_seg_size, 0
	.set _ZN2at6native27unrolled_elementwise_kernelIZZZNS0_21clamp_min_kernel_cudaERNS_18TensorIteratorBaseERKN3c106ScalarEENKUlvE_clEvENKUlvE4_clEvEUldE_St5arrayIPcLm2EELi4E23TrivialOffsetCalculatorILi1EjESF_NS0_6memory15LoadWithoutCastENSG_16StoreWithoutCastEEEviT_T0_T2_T3_T4_T5_.uses_vcc, 1
	.set _ZN2at6native27unrolled_elementwise_kernelIZZZNS0_21clamp_min_kernel_cudaERNS_18TensorIteratorBaseERKN3c106ScalarEENKUlvE_clEvENKUlvE4_clEvEUldE_St5arrayIPcLm2EELi4E23TrivialOffsetCalculatorILi1EjESF_NS0_6memory15LoadWithoutCastENSG_16StoreWithoutCastEEEviT_T0_T2_T3_T4_T5_.uses_flat_scratch, 0
	.set _ZN2at6native27unrolled_elementwise_kernelIZZZNS0_21clamp_min_kernel_cudaERNS_18TensorIteratorBaseERKN3c106ScalarEENKUlvE_clEvENKUlvE4_clEvEUldE_St5arrayIPcLm2EELi4E23TrivialOffsetCalculatorILi1EjESF_NS0_6memory15LoadWithoutCastENSG_16StoreWithoutCastEEEviT_T0_T2_T3_T4_T5_.has_dyn_sized_stack, 0
	.set _ZN2at6native27unrolled_elementwise_kernelIZZZNS0_21clamp_min_kernel_cudaERNS_18TensorIteratorBaseERKN3c106ScalarEENKUlvE_clEvENKUlvE4_clEvEUldE_St5arrayIPcLm2EELi4E23TrivialOffsetCalculatorILi1EjESF_NS0_6memory15LoadWithoutCastENSG_16StoreWithoutCastEEEviT_T0_T2_T3_T4_T5_.has_recursion, 0
	.set _ZN2at6native27unrolled_elementwise_kernelIZZZNS0_21clamp_min_kernel_cudaERNS_18TensorIteratorBaseERKN3c106ScalarEENKUlvE_clEvENKUlvE4_clEvEUldE_St5arrayIPcLm2EELi4E23TrivialOffsetCalculatorILi1EjESF_NS0_6memory15LoadWithoutCastENSG_16StoreWithoutCastEEEviT_T0_T2_T3_T4_T5_.has_indirect_call, 0
	.section	.AMDGPU.csdata,"",@progbits
; Kernel info:
; codeLenInByte = 792
; TotalNumSgprs: 18
; NumVgprs: 18
; NumAgprs: 0
; TotalNumVgprs: 18
; ScratchSize: 0
; MemoryBound: 0
; FloatMode: 240
; IeeeMode: 1
; LDSByteSize: 0 bytes/workgroup (compile time only)
; SGPRBlocks: 2
; VGPRBlocks: 2
; NumSGPRsForWavesPerEU: 18
; NumVGPRsForWavesPerEU: 18
; AccumOffset: 20
; Occupancy: 8
; WaveLimiterHint : 0
; COMPUTE_PGM_RSRC2:SCRATCH_EN: 0
; COMPUTE_PGM_RSRC2:USER_SGPR: 2
; COMPUTE_PGM_RSRC2:TRAP_HANDLER: 0
; COMPUTE_PGM_RSRC2:TGID_X_EN: 1
; COMPUTE_PGM_RSRC2:TGID_Y_EN: 0
; COMPUTE_PGM_RSRC2:TGID_Z_EN: 0
; COMPUTE_PGM_RSRC2:TIDIG_COMP_CNT: 0
; COMPUTE_PGM_RSRC3_GFX90A:ACCUM_OFFSET: 4
; COMPUTE_PGM_RSRC3_GFX90A:TG_SPLIT: 0
	.section	.text._ZN2at6native32elementwise_kernel_manual_unrollILi128ELi4EZNS0_22gpu_kernel_impl_nocastIZZZNS0_21clamp_min_kernel_cudaERNS_18TensorIteratorBaseERKN3c106ScalarEENKUlvE_clEvENKUlvE4_clEvEUldE_EEvS4_RKT_EUlibE_EEviT1_,"axG",@progbits,_ZN2at6native32elementwise_kernel_manual_unrollILi128ELi4EZNS0_22gpu_kernel_impl_nocastIZZZNS0_21clamp_min_kernel_cudaERNS_18TensorIteratorBaseERKN3c106ScalarEENKUlvE_clEvENKUlvE4_clEvEUldE_EEvS4_RKT_EUlibE_EEviT1_,comdat
	.globl	_ZN2at6native32elementwise_kernel_manual_unrollILi128ELi4EZNS0_22gpu_kernel_impl_nocastIZZZNS0_21clamp_min_kernel_cudaERNS_18TensorIteratorBaseERKN3c106ScalarEENKUlvE_clEvENKUlvE4_clEvEUldE_EEvS4_RKT_EUlibE_EEviT1_ ; -- Begin function _ZN2at6native32elementwise_kernel_manual_unrollILi128ELi4EZNS0_22gpu_kernel_impl_nocastIZZZNS0_21clamp_min_kernel_cudaERNS_18TensorIteratorBaseERKN3c106ScalarEENKUlvE_clEvENKUlvE4_clEvEUldE_EEvS4_RKT_EUlibE_EEviT1_
	.p2align	8
	.type	_ZN2at6native32elementwise_kernel_manual_unrollILi128ELi4EZNS0_22gpu_kernel_impl_nocastIZZZNS0_21clamp_min_kernel_cudaERNS_18TensorIteratorBaseERKN3c106ScalarEENKUlvE_clEvENKUlvE4_clEvEUldE_EEvS4_RKT_EUlibE_EEviT1_,@function
_ZN2at6native32elementwise_kernel_manual_unrollILi128ELi4EZNS0_22gpu_kernel_impl_nocastIZZZNS0_21clamp_min_kernel_cudaERNS_18TensorIteratorBaseERKN3c106ScalarEENKUlvE_clEvENKUlvE4_clEvEUldE_EEvS4_RKT_EUlibE_EEviT1_: ; @_ZN2at6native32elementwise_kernel_manual_unrollILi128ELi4EZNS0_22gpu_kernel_impl_nocastIZZZNS0_21clamp_min_kernel_cudaERNS_18TensorIteratorBaseERKN3c106ScalarEENKUlvE_clEvENKUlvE4_clEvEUldE_EEvS4_RKT_EUlibE_EEviT1_
; %bb.0:
	s_load_dword s57, s[0:1], 0x0
	s_load_dword s33, s[0:1], 0x8
	s_add_u32 s34, s0, 8
	s_addc_u32 s35, s1, 0
	v_lshl_or_b32 v8, s2, 9, v0
	v_or_b32_e32 v16, 0x180, v8
	s_waitcnt lgkmcnt(0)
	s_add_i32 s56, s33, -1
	s_cmp_gt_u32 s56, 1
	v_cmp_le_i32_e32 vcc, s57, v16
	s_cselect_b64 s[36:37], -1, 0
	s_and_saveexec_b64 s[0:1], vcc
	s_xor_b64 s[38:39], exec, s[0:1]
	s_cbranch_execz .LBB391_8
; %bb.1:
	s_load_dwordx4 s[20:23], s[34:35], 0x4
	s_load_dwordx2 s[42:43], s[34:35], 0x14
	s_load_dwordx2 s[40:41], s[34:35], 0x158
	s_load_dwordx4 s[24:27], s[34:35], 0xc4
	s_load_dwordx4 s[16:19], s[34:35], 0x148
	s_cmp_lg_u32 s33, 0
	s_cselect_b64 s[48:49], -1, 0
	s_add_u32 s46, s34, 0xc4
	s_addc_u32 s47, s35, 0
	s_min_u32 s58, s56, 15
	s_cmp_gt_u32 s33, 1
	s_cselect_b64 s[44:45], -1, 0
	v_cmp_gt_i32_e32 vcc, s57, v8
	s_and_saveexec_b64 s[50:51], vcc
	s_cbranch_execz .LBB391_15
; %bb.2:
	s_andn2_b64 vcc, exec, s[36:37]
	s_cbranch_vccnz .LBB391_23
; %bb.3:
	s_andn2_b64 vcc, exec, s[48:49]
	s_cbranch_vccnz .LBB391_75
; %bb.4:
	s_add_i32 s60, s58, 1
	s_cmp_eq_u32 s56, 2
	s_cbranch_scc1 .LBB391_77
; %bb.5:
	s_and_b32 s59, s60, 28
	s_mov_b32 s61, 0
	v_mov_b32_e32 v0, 0
	v_mov_b32_e32 v2, 0
	s_mov_b64 s[52:53], s[34:35]
	s_mov_b64 s[54:55], s[46:47]
	v_mov_b32_e32 v4, v8
.LBB391_6:                              ; =>This Inner Loop Header: Depth=1
	s_load_dwordx8 s[8:15], s[52:53], 0x4
	s_load_dwordx4 s[28:31], s[52:53], 0x24
	s_load_dwordx8 s[0:7], s[54:55], 0x0
	s_add_u32 s52, s52, 48
	s_addc_u32 s53, s53, 0
	s_waitcnt lgkmcnt(0)
	v_mul_hi_u32 v1, s9, v4
	v_add_u32_e32 v1, v4, v1
	v_lshrrev_b32_e32 v1, s10, v1
	v_mul_lo_u32 v3, v1, s8
	v_mul_hi_u32 v5, s12, v1
	v_sub_u32_e32 v3, v4, v3
	v_add_u32_e32 v4, v1, v5
	v_lshrrev_b32_e32 v4, s13, v4
	v_mul_lo_u32 v6, v4, s11
	v_mul_hi_u32 v7, s15, v4
	v_sub_u32_e32 v1, v1, v6
	v_add_u32_e32 v6, v4, v7
	v_mul_lo_u32 v5, v3, s1
	v_mul_lo_u32 v3, v3, s0
	;; [unrolled: 1-line block ×4, first 2 shown]
	v_lshrrev_b32_e32 v6, s28, v6
	v_add3_u32 v0, v3, v0, v1
	v_mul_hi_u32 v3, s30, v6
	v_add3_u32 v1, v5, v2, v7
	v_mul_lo_u32 v2, v6, s14
	v_add_u32_e32 v3, v6, v3
	v_sub_u32_e32 v2, v4, v2
	v_lshrrev_b32_e32 v4, s31, v3
	s_add_i32 s61, s61, 4
	v_mul_lo_u32 v3, v4, s29
	s_add_u32 s54, s54, 32
	v_sub_u32_e32 v3, v6, v3
	s_addc_u32 s55, s55, 0
	v_mul_lo_u32 v5, v2, s4
	v_mul_lo_u32 v2, v2, s5
	;; [unrolled: 1-line block ×4, first 2 shown]
	s_cmp_lg_u32 s59, s61
	v_add3_u32 v2, v2, v1, v3
	v_add3_u32 v0, v5, v0, v6
	s_cbranch_scc1 .LBB391_6
; %bb.7:
	v_mov_b32_e32 v1, v2
	s_branch .LBB391_78
.LBB391_8:
	s_andn2_saveexec_b64 s[0:1], s[38:39]
	s_cbranch_execz .LBB391_104
.LBB391_9:
	v_cndmask_b32_e64 v0, 0, 1, s[36:37]
	v_cmp_ne_u32_e64 s[0:1], 1, v0
	s_andn2_b64 vcc, exec, s[36:37]
	s_cbranch_vccnz .LBB391_22
; %bb.10:
	s_cmp_lg_u32 s33, 0
	s_waitcnt lgkmcnt(0)
	s_mov_b32 s26, 0
	s_cbranch_scc0 .LBB391_25
; %bb.11:
	s_min_u32 s27, s56, 15
	s_add_i32 s27, s27, 1
	s_cmp_eq_u32 s56, 2
	s_cbranch_scc1 .LBB391_26
; %bb.12:
	s_and_b32 s26, s27, 28
	s_add_u32 s2, s34, 0xc4
	s_addc_u32 s3, s35, 0
	s_mov_b32 s28, 0
	v_mov_b32_e32 v0, 0
	v_mov_b32_e32 v2, 0
	s_mov_b64 s[24:25], s[34:35]
	v_mov_b32_e32 v4, v8
.LBB391_13:                             ; =>This Inner Loop Header: Depth=1
	s_load_dwordx8 s[12:19], s[24:25], 0x4
	s_load_dwordx4 s[20:23], s[24:25], 0x24
	s_load_dwordx8 s[4:11], s[2:3], 0x0
	s_add_u32 s24, s24, 48
	s_addc_u32 s25, s25, 0
	s_waitcnt lgkmcnt(0)
	v_mul_hi_u32 v1, s13, v4
	v_add_u32_e32 v1, v4, v1
	v_lshrrev_b32_e32 v1, s14, v1
	v_mul_lo_u32 v3, v1, s12
	v_mul_hi_u32 v5, s16, v1
	v_sub_u32_e32 v3, v4, v3
	v_add_u32_e32 v4, v1, v5
	v_lshrrev_b32_e32 v4, s17, v4
	v_mul_lo_u32 v6, v4, s15
	v_mul_hi_u32 v7, s19, v4
	v_sub_u32_e32 v1, v1, v6
	v_add_u32_e32 v6, v4, v7
	v_mul_lo_u32 v5, v3, s5
	v_mul_lo_u32 v3, v3, s4
	;; [unrolled: 1-line block ×4, first 2 shown]
	v_lshrrev_b32_e32 v6, s20, v6
	v_add3_u32 v0, v3, v0, v1
	v_mul_hi_u32 v3, s22, v6
	v_add3_u32 v1, v5, v2, v7
	v_mul_lo_u32 v2, v6, s18
	v_add_u32_e32 v3, v6, v3
	v_sub_u32_e32 v2, v4, v2
	v_lshrrev_b32_e32 v4, s23, v3
	s_add_i32 s28, s28, 4
	v_mul_lo_u32 v3, v4, s21
	s_add_u32 s2, s2, 32
	v_sub_u32_e32 v3, v6, v3
	s_addc_u32 s3, s3, 0
	v_mul_lo_u32 v5, v2, s8
	v_mul_lo_u32 v2, v2, s9
	;; [unrolled: 1-line block ×4, first 2 shown]
	s_cmp_lg_u32 s26, s28
	v_add3_u32 v2, v2, v1, v3
	v_add3_u32 v0, v5, v0, v6
	s_cbranch_scc1 .LBB391_13
; %bb.14:
	v_mov_b32_e32 v1, v2
	s_and_b32 s6, s27, 3
	s_cmp_eq_u32 s6, 0
	s_cbranch_scc0 .LBB391_27
	s_branch .LBB391_29
.LBB391_15:
	s_or_b64 exec, exec, s[50:51]
	v_cmp_gt_i32_e32 vcc, s57, v8
	s_and_saveexec_b64 s[50:51], vcc
	s_cbranch_execz .LBB391_85
.LBB391_16:
	s_andn2_b64 vcc, exec, s[36:37]
	s_cbranch_vccnz .LBB391_24
; %bb.17:
	s_andn2_b64 vcc, exec, s[48:49]
	s_cbranch_vccnz .LBB391_76
; %bb.18:
	s_add_i32 s60, s58, 1
	s_cmp_eq_u32 s56, 2
	s_cbranch_scc1 .LBB391_94
; %bb.19:
	s_and_b32 s59, s60, 28
	s_mov_b32 s61, 0
	v_mov_b32_e32 v0, 0
	v_mov_b32_e32 v2, 0
	s_mov_b64 s[52:53], s[34:35]
	s_mov_b64 s[54:55], s[46:47]
	v_mov_b32_e32 v4, v8
.LBB391_20:                             ; =>This Inner Loop Header: Depth=1
	s_load_dwordx8 s[8:15], s[52:53], 0x4
	s_load_dwordx4 s[28:31], s[52:53], 0x24
	s_load_dwordx8 s[0:7], s[54:55], 0x0
	s_add_u32 s52, s52, 48
	s_addc_u32 s53, s53, 0
	s_waitcnt lgkmcnt(0)
	v_mul_hi_u32 v1, s9, v4
	v_add_u32_e32 v1, v4, v1
	v_lshrrev_b32_e32 v1, s10, v1
	v_mul_lo_u32 v3, v1, s8
	v_mul_hi_u32 v5, s12, v1
	v_sub_u32_e32 v3, v4, v3
	v_add_u32_e32 v4, v1, v5
	v_lshrrev_b32_e32 v4, s13, v4
	v_mul_lo_u32 v6, v4, s11
	v_mul_hi_u32 v7, s15, v4
	v_sub_u32_e32 v1, v1, v6
	v_add_u32_e32 v6, v4, v7
	v_mul_lo_u32 v5, v3, s1
	v_mul_lo_u32 v3, v3, s0
	;; [unrolled: 1-line block ×4, first 2 shown]
	v_lshrrev_b32_e32 v6, s28, v6
	v_add3_u32 v0, v3, v0, v1
	v_mul_hi_u32 v3, s30, v6
	v_add3_u32 v1, v5, v2, v7
	v_mul_lo_u32 v2, v6, s14
	v_add_u32_e32 v3, v6, v3
	v_sub_u32_e32 v2, v4, v2
	v_lshrrev_b32_e32 v4, s31, v3
	s_add_i32 s61, s61, 4
	v_mul_lo_u32 v3, v4, s29
	s_add_u32 s54, s54, 32
	v_sub_u32_e32 v3, v6, v3
	s_addc_u32 s55, s55, 0
	v_mul_lo_u32 v5, v2, s4
	v_mul_lo_u32 v2, v2, s5
	;; [unrolled: 1-line block ×4, first 2 shown]
	s_cmp_eq_u32 s59, s61
	v_add3_u32 v2, v2, v1, v3
	v_add3_u32 v0, v5, v0, v6
	s_cbranch_scc0 .LBB391_20
; %bb.21:
	v_mov_b32_e32 v1, v2
	s_branch .LBB391_95
.LBB391_22:
                                        ; implicit-def: $vgpr2
                                        ; implicit-def: $vgpr0
	s_branch .LBB391_30
.LBB391_23:
                                        ; implicit-def: $vgpr2
                                        ; implicit-def: $vgpr0
	s_branch .LBB391_82
.LBB391_24:
                                        ; implicit-def: $vgpr2
                                        ; implicit-def: $vgpr0
	s_branch .LBB391_99
.LBB391_25:
	v_mov_b32_e32 v2, 0
	v_mov_b32_e32 v0, 0
	s_branch .LBB391_29
.LBB391_26:
	v_mov_b32_e32 v0, 0
                                        ; implicit-def: $vgpr2
	v_mov_b32_e32 v1, v0
	v_mov_b32_e32 v4, v8
	s_and_b32 s6, s27, 3
	s_cmp_eq_u32 s6, 0
	s_cbranch_scc1 .LBB391_29
.LBB391_27:
	s_lshl_b32 s2, s26, 3
	s_add_u32 s2, s34, s2
	s_addc_u32 s3, s35, 0
	s_add_u32 s2, s2, 0xc4
	s_addc_u32 s3, s3, 0
	s_mul_i32 s4, s26, 12
	s_add_u32 s4, s34, s4
	s_addc_u32 s5, s35, 0
.LBB391_28:                             ; =>This Inner Loop Header: Depth=1
	s_load_dwordx2 s[8:9], s[4:5], 0x4
	s_load_dword s7, s[4:5], 0xc
	s_load_dwordx2 s[10:11], s[2:3], 0x0
	v_mov_b32_e32 v2, v1
	s_add_u32 s4, s4, 12
	s_waitcnt lgkmcnt(0)
	v_mul_hi_u32 v1, s9, v4
	v_add_u32_e32 v1, v4, v1
	v_lshrrev_b32_e32 v1, s7, v1
	s_addc_u32 s5, s5, 0
	v_mul_lo_u32 v3, v1, s8
	s_add_u32 s2, s2, 8
	v_sub_u32_e32 v5, v4, v3
	s_addc_u32 s3, s3, 0
	s_add_i32 s6, s6, -1
	v_mov_b32_e32 v4, v1
	v_mad_u64_u32 v[2:3], s[8:9], v5, s11, v[2:3]
	v_mad_u64_u32 v[0:1], s[8:9], v5, s10, v[0:1]
	s_cmp_lg_u32 s6, 0
	v_mov_b32_e32 v1, v2
	s_cbranch_scc1 .LBB391_28
.LBB391_29:
	s_cbranch_execnz .LBB391_32
.LBB391_30:
	s_load_dwordx4 s[4:7], s[34:35], 0x4
	s_load_dwordx2 s[2:3], s[34:35], 0xc4
	s_cmp_lt_u32 s33, 2
	s_waitcnt lgkmcnt(0)
	v_mul_hi_u32 v0, s5, v8
	v_add_u32_e32 v0, v8, v0
	v_lshrrev_b32_e32 v1, s6, v0
	v_mul_lo_u32 v0, v1, s4
	v_sub_u32_e32 v0, v8, v0
	v_mul_lo_u32 v2, v0, s3
	v_mul_lo_u32 v0, v0, s2
	s_cbranch_scc1 .LBB391_32
; %bb.31:
	s_load_dwordx4 s[4:7], s[34:35], 0x10
	s_load_dwordx2 s[2:3], s[34:35], 0xcc
	s_waitcnt lgkmcnt(0)
	v_mul_hi_u32 v3, s5, v1
	v_add_u32_e32 v3, v1, v3
	v_lshrrev_b32_e32 v3, s6, v3
	v_mul_lo_u32 v3, v3, s4
	v_sub_u32_e32 v3, v1, v3
	v_mad_u64_u32 v[0:1], s[4:5], v3, s2, v[0:1]
	v_mad_u64_u32 v[2:3], s[2:3], v3, s3, v[2:3]
.LBB391_32:
	s_and_b64 vcc, exec, s[0:1]
	v_add_u32_e32 v3, 0x80, v8
	s_cbranch_vccnz .LBB391_38
; %bb.33:
	s_cmp_lg_u32 s33, 0
	s_waitcnt lgkmcnt(0)
	s_mov_b32 s26, 0
	s_cbranch_scc0 .LBB391_39
; %bb.34:
	s_min_u32 s27, s56, 15
	s_add_i32 s27, s27, 1
	s_cmp_eq_u32 s56, 2
	s_cbranch_scc1 .LBB391_40
; %bb.35:
	s_and_b32 s26, s27, 28
	s_add_u32 s2, s34, 0xc4
	s_addc_u32 s3, s35, 0
	s_mov_b32 s28, 0
	v_mov_b32_e32 v4, 0
	v_mov_b32_e32 v6, 0
	s_mov_b64 s[24:25], s[34:35]
	v_mov_b32_e32 v9, v3
.LBB391_36:                             ; =>This Inner Loop Header: Depth=1
	s_load_dwordx8 s[12:19], s[24:25], 0x4
	s_load_dwordx4 s[20:23], s[24:25], 0x24
	s_load_dwordx8 s[4:11], s[2:3], 0x0
	s_add_u32 s24, s24, 48
	s_addc_u32 s25, s25, 0
	s_waitcnt lgkmcnt(0)
	v_mul_hi_u32 v1, s13, v9
	v_add_u32_e32 v1, v9, v1
	v_lshrrev_b32_e32 v1, s14, v1
	v_mul_hi_u32 v7, s16, v1
	v_add_u32_e32 v7, v1, v7
	v_lshrrev_b32_e32 v7, s17, v7
	v_mul_lo_u32 v5, v1, s12
	v_mul_lo_u32 v10, v7, s15
	v_mul_hi_u32 v11, s19, v7
	v_sub_u32_e32 v5, v9, v5
	v_sub_u32_e32 v1, v1, v10
	v_add_u32_e32 v10, v7, v11
	v_mul_lo_u32 v9, v5, s5
	v_mul_lo_u32 v5, v5, s4
	;; [unrolled: 1-line block ×4, first 2 shown]
	v_lshrrev_b32_e32 v10, s20, v10
	v_add3_u32 v1, v5, v4, v1
	v_add3_u32 v4, v9, v6, v11
	v_mul_hi_u32 v6, s22, v10
	v_add_u32_e32 v6, v10, v6
	v_lshrrev_b32_e32 v9, s23, v6
	s_add_i32 s28, s28, 4
	v_mul_lo_u32 v5, v10, s18
	v_mul_lo_u32 v6, v9, s21
	s_add_u32 s2, s2, 32
	v_sub_u32_e32 v5, v7, v5
	v_sub_u32_e32 v6, v10, v6
	s_addc_u32 s3, s3, 0
	v_mul_lo_u32 v7, v5, s8
	v_mul_lo_u32 v5, v5, s9
	;; [unrolled: 1-line block ×4, first 2 shown]
	s_cmp_lg_u32 s26, s28
	v_add3_u32 v6, v5, v4, v6
	v_add3_u32 v4, v7, v1, v10
	s_cbranch_scc1 .LBB391_36
; %bb.37:
	v_mov_b32_e32 v1, v6
	s_and_b32 s6, s27, 3
	s_cmp_eq_u32 s6, 0
	s_cbranch_scc0 .LBB391_41
	s_branch .LBB391_43
.LBB391_38:
                                        ; implicit-def: $vgpr6
                                        ; implicit-def: $vgpr4
	s_branch .LBB391_44
.LBB391_39:
	v_mov_b32_e32 v6, 0
	v_mov_b32_e32 v4, 0
	s_branch .LBB391_43
.LBB391_40:
	v_mov_b32_e32 v4, 0
                                        ; implicit-def: $vgpr6
	v_mov_b32_e32 v1, v4
	v_mov_b32_e32 v9, v3
	s_and_b32 s6, s27, 3
	s_cmp_eq_u32 s6, 0
	s_cbranch_scc1 .LBB391_43
.LBB391_41:
	s_lshl_b32 s2, s26, 3
	s_add_u32 s2, s34, s2
	s_addc_u32 s3, s35, 0
	s_add_u32 s2, s2, 0xc4
	s_addc_u32 s3, s3, 0
	s_mul_i32 s4, s26, 12
	s_add_u32 s4, s34, s4
	s_addc_u32 s5, s35, 0
.LBB391_42:                             ; =>This Inner Loop Header: Depth=1
	s_load_dwordx2 s[8:9], s[4:5], 0x4
	s_load_dword s7, s[4:5], 0xc
	s_load_dwordx2 s[10:11], s[2:3], 0x0
	v_mov_b32_e32 v6, v1
	s_add_u32 s4, s4, 12
	s_waitcnt lgkmcnt(0)
	v_mul_hi_u32 v1, s9, v9
	v_add_u32_e32 v1, v9, v1
	v_lshrrev_b32_e32 v1, s7, v1
	s_addc_u32 s5, s5, 0
	v_mul_lo_u32 v5, v1, s8
	s_add_u32 s2, s2, 8
	v_sub_u32_e32 v5, v9, v5
	s_addc_u32 s3, s3, 0
	s_add_i32 s6, s6, -1
	v_mad_u64_u32 v[6:7], s[8:9], v5, s11, v[6:7]
	s_cmp_lg_u32 s6, 0
	v_mov_b32_e32 v9, v1
	v_mad_u64_u32 v[4:5], s[8:9], v5, s10, v[4:5]
	v_mov_b32_e32 v1, v6
	s_cbranch_scc1 .LBB391_42
.LBB391_43:
	s_cbranch_execnz .LBB391_46
.LBB391_44:
	s_load_dwordx4 s[4:7], s[34:35], 0x4
	s_load_dwordx2 s[2:3], s[34:35], 0xc4
	s_cmp_lt_u32 s33, 2
	s_waitcnt lgkmcnt(0)
	v_mul_hi_u32 v1, s5, v3
	v_add_u32_e32 v1, v3, v1
	v_lshrrev_b32_e32 v1, s6, v1
	v_mul_lo_u32 v4, v1, s4
	v_sub_u32_e32 v3, v3, v4
	v_mul_lo_u32 v6, v3, s3
	v_mul_lo_u32 v4, v3, s2
	s_cbranch_scc1 .LBB391_46
; %bb.45:
	s_load_dwordx4 s[4:7], s[34:35], 0x10
	s_load_dwordx2 s[2:3], s[34:35], 0xcc
	s_waitcnt lgkmcnt(0)
	v_mul_hi_u32 v3, s5, v1
	v_add_u32_e32 v3, v1, v3
	v_lshrrev_b32_e32 v3, s6, v3
	v_mul_lo_u32 v3, v3, s4
	v_sub_u32_e32 v1, v1, v3
	v_mad_u64_u32 v[4:5], s[4:5], v1, s2, v[4:5]
	v_mad_u64_u32 v[6:7], s[2:3], v1, s3, v[6:7]
.LBB391_46:
	s_and_b64 vcc, exec, s[0:1]
	v_add_u32_e32 v3, 0x100, v8
	s_cbranch_vccnz .LBB391_52
; %bb.47:
	s_cmp_lg_u32 s33, 0
	s_waitcnt lgkmcnt(0)
	s_mov_b32 s26, 0
	s_cbranch_scc0 .LBB391_53
; %bb.48:
	s_min_u32 s27, s56, 15
	s_add_i32 s27, s27, 1
	s_cmp_eq_u32 s56, 2
	s_cbranch_scc1 .LBB391_54
; %bb.49:
	s_and_b32 s26, s27, 28
	s_add_u32 s2, s34, 0xc4
	s_addc_u32 s3, s35, 0
	s_mov_b32 s28, 0
	v_mov_b32_e32 v8, 0
	v_mov_b32_e32 v10, 0
	s_mov_b64 s[24:25], s[34:35]
	v_mov_b32_e32 v5, v3
.LBB391_50:                             ; =>This Inner Loop Header: Depth=1
	s_load_dwordx8 s[12:19], s[24:25], 0x4
	s_load_dwordx4 s[20:23], s[24:25], 0x24
	s_load_dwordx8 s[4:11], s[2:3], 0x0
	s_add_u32 s24, s24, 48
	s_addc_u32 s25, s25, 0
	s_waitcnt lgkmcnt(0)
	v_mul_hi_u32 v1, s13, v5
	v_add_u32_e32 v1, v5, v1
	v_lshrrev_b32_e32 v1, s14, v1
	v_mul_lo_u32 v7, v1, s12
	v_mul_hi_u32 v9, s16, v1
	v_sub_u32_e32 v5, v5, v7
	v_add_u32_e32 v7, v1, v9
	v_lshrrev_b32_e32 v7, s17, v7
	v_mul_lo_u32 v11, v7, s15
	v_mul_hi_u32 v12, s19, v7
	v_sub_u32_e32 v1, v1, v11
	v_add_u32_e32 v11, v7, v12
	v_mul_lo_u32 v9, v5, s5
	v_mul_lo_u32 v5, v5, s4
	;; [unrolled: 1-line block ×4, first 2 shown]
	v_lshrrev_b32_e32 v11, s20, v11
	v_add3_u32 v1, v5, v8, v1
	v_add3_u32 v8, v9, v10, v12
	v_mul_lo_u32 v5, v11, s18
	v_mul_hi_u32 v9, s22, v11
	v_sub_u32_e32 v5, v7, v5
	v_add_u32_e32 v7, v11, v9
	v_mul_lo_u32 v9, v5, s8
	v_mul_lo_u32 v10, v5, s9
	v_lshrrev_b32_e32 v5, s23, v7
	s_add_i32 s28, s28, 4
	v_mul_lo_u32 v7, v5, s21
	s_add_u32 s2, s2, 32
	v_sub_u32_e32 v7, v11, v7
	s_addc_u32 s3, s3, 0
	v_mul_lo_u32 v11, v7, s10
	v_mul_lo_u32 v7, v7, s11
	s_cmp_lg_u32 s26, s28
	v_add3_u32 v10, v10, v8, v7
	v_add3_u32 v8, v9, v1, v11
	s_cbranch_scc1 .LBB391_50
; %bb.51:
	v_mov_b32_e32 v1, v10
	s_and_b32 s6, s27, 3
	s_cmp_eq_u32 s6, 0
	s_cbranch_scc0 .LBB391_55
	s_branch .LBB391_57
.LBB391_52:
                                        ; implicit-def: $vgpr10
                                        ; implicit-def: $vgpr8
	s_branch .LBB391_58
.LBB391_53:
	v_mov_b32_e32 v10, 0
	v_mov_b32_e32 v8, 0
	s_branch .LBB391_57
.LBB391_54:
	v_mov_b32_e32 v8, 0
                                        ; implicit-def: $vgpr10
	v_mov_b32_e32 v1, v8
	v_mov_b32_e32 v5, v3
	s_and_b32 s6, s27, 3
	s_cmp_eq_u32 s6, 0
	s_cbranch_scc1 .LBB391_57
.LBB391_55:
	s_lshl_b32 s2, s26, 3
	s_add_u32 s2, s34, s2
	s_addc_u32 s3, s35, 0
	s_add_u32 s2, s2, 0xc4
	s_addc_u32 s3, s3, 0
	s_mul_i32 s4, s26, 12
	s_add_u32 s4, s34, s4
	s_addc_u32 s5, s35, 0
.LBB391_56:                             ; =>This Inner Loop Header: Depth=1
	s_load_dwordx2 s[8:9], s[4:5], 0x4
	s_load_dword s7, s[4:5], 0xc
	s_load_dwordx2 s[10:11], s[2:3], 0x0
	v_mov_b32_e32 v10, v1
	s_add_u32 s4, s4, 12
	s_waitcnt lgkmcnt(0)
	v_mul_hi_u32 v1, s9, v5
	v_add_u32_e32 v1, v5, v1
	v_lshrrev_b32_e32 v1, s7, v1
	s_addc_u32 s5, s5, 0
	v_mul_lo_u32 v7, v1, s8
	s_add_u32 s2, s2, 8
	v_sub_u32_e32 v7, v5, v7
	s_addc_u32 s3, s3, 0
	s_add_i32 s6, s6, -1
	v_mad_u64_u32 v[10:11], s[8:9], v7, s11, v[10:11]
	s_cmp_lg_u32 s6, 0
	v_mov_b32_e32 v5, v1
	v_mad_u64_u32 v[8:9], s[8:9], v7, s10, v[8:9]
	v_mov_b32_e32 v1, v10
	s_cbranch_scc1 .LBB391_56
.LBB391_57:
	s_cbranch_execnz .LBB391_60
.LBB391_58:
	s_load_dwordx4 s[4:7], s[34:35], 0x4
	s_load_dwordx2 s[2:3], s[34:35], 0xc4
	s_cmp_lt_u32 s33, 2
	s_waitcnt lgkmcnt(0)
	v_mul_hi_u32 v1, s5, v3
	v_add_u32_e32 v1, v3, v1
	v_lshrrev_b32_e32 v1, s6, v1
	v_mul_lo_u32 v5, v1, s4
	v_sub_u32_e32 v3, v3, v5
	v_mul_lo_u32 v10, v3, s3
	v_mul_lo_u32 v8, v3, s2
	s_cbranch_scc1 .LBB391_60
; %bb.59:
	s_load_dwordx4 s[4:7], s[34:35], 0x10
	s_load_dwordx2 s[2:3], s[34:35], 0xcc
	s_waitcnt lgkmcnt(0)
	v_mul_hi_u32 v3, s5, v1
	v_add_u32_e32 v3, v1, v3
	v_lshrrev_b32_e32 v3, s6, v3
	v_mul_lo_u32 v3, v3, s4
	v_sub_u32_e32 v1, v1, v3
	v_mad_u64_u32 v[8:9], s[4:5], v1, s2, v[8:9]
	v_mad_u64_u32 v[10:11], s[2:3], v1, s3, v[10:11]
.LBB391_60:
	s_and_b64 vcc, exec, s[0:1]
	s_cbranch_vccnz .LBB391_66
; %bb.61:
	s_cmp_lg_u32 s33, 0
	s_waitcnt lgkmcnt(0)
	s_mov_b32 s24, 0
	s_cbranch_scc0 .LBB391_67
; %bb.62:
	s_min_u32 s25, s56, 15
	s_add_i32 s25, s25, 1
	s_cmp_eq_u32 s56, 2
	s_cbranch_scc1 .LBB391_68
; %bb.63:
	s_and_b32 s24, s25, 28
	s_add_u32 s20, s34, 0xc4
	s_addc_u32 s21, s35, 0
	s_mov_b32 s26, 0
	v_mov_b32_e32 v12, 0
	v_mov_b32_e32 v14, 0
	s_mov_b64 s[22:23], s[34:35]
	v_mov_b32_e32 v3, v16
.LBB391_64:                             ; =>This Inner Loop Header: Depth=1
	s_load_dwordx8 s[8:15], s[22:23], 0x4
	s_load_dwordx4 s[16:19], s[22:23], 0x24
	s_load_dwordx8 s[0:7], s[20:21], 0x0
	s_add_u32 s22, s22, 48
	s_addc_u32 s23, s23, 0
	s_waitcnt lgkmcnt(0)
	v_mul_hi_u32 v1, s9, v3
	v_add_u32_e32 v1, v3, v1
	v_lshrrev_b32_e32 v1, s10, v1
	v_mul_lo_u32 v5, v1, s8
	v_mul_hi_u32 v7, s12, v1
	v_sub_u32_e32 v3, v3, v5
	v_add_u32_e32 v5, v1, v7
	v_lshrrev_b32_e32 v5, s13, v5
	v_mul_lo_u32 v9, v5, s11
	v_mul_hi_u32 v11, s15, v5
	v_sub_u32_e32 v1, v1, v9
	v_add_u32_e32 v9, v5, v11
	v_mul_lo_u32 v7, v3, s1
	v_mul_lo_u32 v3, v3, s0
	;; [unrolled: 1-line block ×4, first 2 shown]
	v_lshrrev_b32_e32 v9, s16, v9
	v_add3_u32 v1, v3, v12, v1
	v_add3_u32 v7, v7, v14, v11
	v_mul_lo_u32 v3, v9, s14
	v_mul_hi_u32 v11, s18, v9
	v_sub_u32_e32 v3, v5, v3
	v_add_u32_e32 v5, v9, v11
	v_mul_lo_u32 v11, v3, s4
	v_mul_lo_u32 v12, v3, s5
	v_lshrrev_b32_e32 v3, s19, v5
	s_add_i32 s26, s26, 4
	v_mul_lo_u32 v5, v3, s17
	s_add_u32 s20, s20, 32
	v_sub_u32_e32 v5, v9, v5
	s_addc_u32 s21, s21, 0
	v_mul_lo_u32 v9, v5, s6
	v_mul_lo_u32 v5, v5, s7
	s_cmp_lg_u32 s24, s26
	v_add3_u32 v14, v12, v7, v5
	v_add3_u32 v12, v11, v1, v9
	s_cbranch_scc1 .LBB391_64
; %bb.65:
	v_mov_b32_e32 v1, v14
	s_and_b32 s4, s25, 3
	s_cmp_eq_u32 s4, 0
	s_cbranch_scc0 .LBB391_69
	s_branch .LBB391_71
.LBB391_66:
                                        ; implicit-def: $vgpr14
                                        ; implicit-def: $vgpr12
	s_branch .LBB391_72
.LBB391_67:
	v_mov_b32_e32 v14, 0
	v_mov_b32_e32 v12, 0
	s_branch .LBB391_71
.LBB391_68:
	v_mov_b32_e32 v12, 0
                                        ; implicit-def: $vgpr14
	v_mov_b32_e32 v1, v12
	v_mov_b32_e32 v3, v16
	s_and_b32 s4, s25, 3
	s_cmp_eq_u32 s4, 0
	s_cbranch_scc1 .LBB391_71
.LBB391_69:
	s_lshl_b32 s0, s24, 3
	s_add_u32 s0, s34, s0
	s_addc_u32 s1, s35, 0
	s_add_u32 s0, s0, 0xc4
	s_addc_u32 s1, s1, 0
	s_mul_i32 s2, s24, 12
	s_add_u32 s2, s34, s2
	s_addc_u32 s3, s35, 0
.LBB391_70:                             ; =>This Inner Loop Header: Depth=1
	s_load_dwordx2 s[6:7], s[2:3], 0x4
	s_load_dword s5, s[2:3], 0xc
	s_load_dwordx2 s[8:9], s[0:1], 0x0
	v_mov_b32_e32 v14, v1
	s_add_u32 s2, s2, 12
	s_waitcnt lgkmcnt(0)
	v_mul_hi_u32 v1, s7, v3
	v_add_u32_e32 v1, v3, v1
	v_lshrrev_b32_e32 v1, s5, v1
	s_addc_u32 s3, s3, 0
	v_mul_lo_u32 v5, v1, s6
	s_add_u32 s0, s0, 8
	v_sub_u32_e32 v5, v3, v5
	s_addc_u32 s1, s1, 0
	s_add_i32 s4, s4, -1
	v_mad_u64_u32 v[14:15], s[6:7], v5, s9, v[14:15]
	s_cmp_lg_u32 s4, 0
	v_mov_b32_e32 v3, v1
	v_mad_u64_u32 v[12:13], s[6:7], v5, s8, v[12:13]
	v_mov_b32_e32 v1, v14
	s_cbranch_scc1 .LBB391_70
.LBB391_71:
	s_cbranch_execnz .LBB391_74
.LBB391_72:
	s_load_dwordx4 s[0:3], s[34:35], 0x4
	s_load_dwordx2 s[4:5], s[34:35], 0xc4
	s_cmp_lt_u32 s33, 2
	s_waitcnt lgkmcnt(0)
	v_mul_hi_u32 v1, s1, v16
	v_add_u32_e32 v1, v16, v1
	v_lshrrev_b32_e32 v1, s2, v1
	v_mul_lo_u32 v3, v1, s0
	v_sub_u32_e32 v3, v16, v3
	v_mul_lo_u32 v14, v3, s5
	v_mul_lo_u32 v12, v3, s4
	s_cbranch_scc1 .LBB391_74
; %bb.73:
	s_load_dwordx4 s[0:3], s[34:35], 0x10
	s_load_dwordx2 s[4:5], s[34:35], 0xcc
	s_waitcnt lgkmcnt(0)
	v_mul_hi_u32 v3, s1, v1
	v_add_u32_e32 v3, v1, v3
	v_lshrrev_b32_e32 v3, s2, v3
	v_mul_lo_u32 v3, v3, s0
	v_sub_u32_e32 v1, v1, v3
	v_mad_u64_u32 v[12:13], s[0:1], v1, s4, v[12:13]
	v_mad_u64_u32 v[14:15], s[0:1], v1, s5, v[14:15]
.LBB391_74:
	s_load_dwordx4 s[0:3], s[34:35], 0x148
	s_load_dwordx2 s[4:5], s[34:35], 0x158
	s_waitcnt lgkmcnt(0)
	global_load_dwordx2 v[16:17], v2, s[2:3]
	global_load_dwordx2 v[18:19], v6, s[2:3]
	;; [unrolled: 1-line block ×4, first 2 shown]
	v_max_f64 v[2:3], s[4:5], s[4:5]
	s_waitcnt vmcnt(3)
	v_max_f64 v[6:7], v[16:17], v[16:17]
	s_waitcnt vmcnt(2)
	v_max_f64 v[10:11], v[18:19], v[18:19]
	v_max_f64 v[6:7], v[6:7], v[2:3]
	v_cmp_u_f64_e32 vcc, v[16:17], v[16:17]
	s_waitcnt vmcnt(1)
	v_max_f64 v[14:15], v[20:21], v[20:21]
	v_max_f64 v[10:11], v[10:11], v[2:3]
	v_cndmask_b32_e32 v7, v7, v17, vcc
	v_cndmask_b32_e32 v6, v6, v16, vcc
	v_cmp_u_f64_e32 vcc, v[18:19], v[18:19]
	s_waitcnt vmcnt(0)
	v_max_f64 v[24:25], v[22:23], v[22:23]
	v_max_f64 v[14:15], v[14:15], v[2:3]
	v_cndmask_b32_e32 v11, v11, v19, vcc
	v_cndmask_b32_e32 v10, v10, v18, vcc
	v_cmp_u_f64_e32 vcc, v[20:21], v[20:21]
	v_max_f64 v[2:3], v[24:25], v[2:3]
	s_nop 0
	v_cndmask_b32_e32 v15, v15, v21, vcc
	v_cndmask_b32_e32 v14, v14, v20, vcc
	v_cmp_u_f64_e32 vcc, v[22:23], v[22:23]
	s_nop 1
	v_cndmask_b32_e32 v3, v3, v23, vcc
	v_cndmask_b32_e32 v2, v2, v22, vcc
	global_store_dwordx2 v0, v[6:7], s[0:1]
	global_store_dwordx2 v4, v[10:11], s[0:1]
	;; [unrolled: 1-line block ×4, first 2 shown]
	s_endpgm
.LBB391_75:
	v_mov_b32_e32 v2, 0
	v_mov_b32_e32 v0, 0
	s_branch .LBB391_81
.LBB391_76:
	v_mov_b32_e32 v2, 0
	v_mov_b32_e32 v0, 0
	s_branch .LBB391_98
.LBB391_77:
	v_mov_b32_e32 v0, 0
	s_mov_b32 s59, 0
	v_mov_b32_e32 v1, v0
                                        ; implicit-def: $vgpr2
	v_mov_b32_e32 v4, v8
.LBB391_78:
	s_and_b32 s4, s60, 3
	s_cmp_eq_u32 s4, 0
	s_cbranch_scc1 .LBB391_81
; %bb.79:
	s_lshl_b32 s0, s59, 3
	s_add_u32 s0, s34, s0
	s_addc_u32 s1, s35, 0
	s_add_u32 s0, s0, 0xc4
	s_addc_u32 s1, s1, 0
	s_mul_i32 s2, s59, 12
	s_add_u32 s2, s34, s2
	s_addc_u32 s3, s35, 0
.LBB391_80:                             ; =>This Inner Loop Header: Depth=1
	s_load_dwordx2 s[6:7], s[2:3], 0x4
	s_load_dword s5, s[2:3], 0xc
	s_load_dwordx2 s[8:9], s[0:1], 0x0
	v_mov_b32_e32 v2, v1
	s_add_u32 s2, s2, 12
	s_waitcnt lgkmcnt(0)
	v_mul_hi_u32 v1, s7, v4
	v_add_u32_e32 v1, v4, v1
	v_lshrrev_b32_e32 v1, s5, v1
	s_addc_u32 s3, s3, 0
	v_mul_lo_u32 v3, v1, s6
	s_add_u32 s0, s0, 8
	v_sub_u32_e32 v5, v4, v3
	s_addc_u32 s1, s1, 0
	s_add_i32 s4, s4, -1
	v_mov_b32_e32 v4, v1
	v_mad_u64_u32 v[2:3], s[6:7], v5, s9, v[2:3]
	v_mad_u64_u32 v[0:1], s[6:7], v5, s8, v[0:1]
	s_cmp_lg_u32 s4, 0
	v_mov_b32_e32 v1, v2
	s_cbranch_scc1 .LBB391_80
.LBB391_81:
	s_cbranch_execnz .LBB391_84
.LBB391_82:
	s_waitcnt lgkmcnt(0)
	v_mul_hi_u32 v0, s21, v8
	v_add_u32_e32 v0, v8, v0
	v_lshrrev_b32_e32 v1, s22, v0
	v_mul_lo_u32 v0, v1, s20
	v_sub_u32_e32 v0, v8, v0
	v_mul_lo_u32 v2, v0, s25
	s_andn2_b64 vcc, exec, s[44:45]
	v_mul_lo_u32 v0, v0, s24
	s_cbranch_vccnz .LBB391_84
; %bb.83:
	v_mul_hi_u32 v3, s42, v1
	v_add_u32_e32 v3, v1, v3
	v_lshrrev_b32_e32 v3, s43, v3
	v_mul_lo_u32 v3, v3, s23
	v_sub_u32_e32 v3, v1, v3
	v_mad_u64_u32 v[0:1], s[0:1], v3, s26, v[0:1]
	v_mad_u64_u32 v[2:3], s[0:1], v3, s27, v[2:3]
.LBB391_84:
	s_waitcnt lgkmcnt(0)
	global_load_dwordx2 v[2:3], v2, s[18:19]
	v_max_f64 v[4:5], s[40:41], s[40:41]
	v_add_u32_e32 v8, 0x80, v8
	s_waitcnt vmcnt(0)
	v_max_f64 v[6:7], v[2:3], v[2:3]
	v_max_f64 v[4:5], v[6:7], v[4:5]
	v_cmp_u_f64_e32 vcc, v[2:3], v[2:3]
	s_nop 1
	v_cndmask_b32_e32 v3, v5, v3, vcc
	v_cndmask_b32_e32 v2, v4, v2, vcc
	global_store_dwordx2 v0, v[2:3], s[16:17]
	s_or_b64 exec, exec, s[50:51]
	v_cmp_gt_i32_e32 vcc, s57, v8
	s_and_saveexec_b64 s[50:51], vcc
	s_cbranch_execnz .LBB391_16
.LBB391_85:
	s_or_b64 exec, exec, s[50:51]
	v_cmp_gt_i32_e32 vcc, s57, v8
	s_and_saveexec_b64 s[50:51], vcc
	s_cbranch_execz .LBB391_102
.LBB391_86:
	s_andn2_b64 vcc, exec, s[36:37]
	s_cbranch_vccnz .LBB391_92
; %bb.87:
	s_andn2_b64 vcc, exec, s[48:49]
	s_cbranch_vccnz .LBB391_93
; %bb.88:
	s_add_i32 s60, s58, 1
	s_cmp_eq_u32 s56, 2
	s_cbranch_scc1 .LBB391_105
; %bb.89:
	s_and_b32 s59, s60, 28
	s_mov_b32 s61, 0
	v_mov_b32_e32 v0, 0
	v_mov_b32_e32 v2, 0
	s_mov_b64 s[52:53], s[34:35]
	s_mov_b64 s[54:55], s[46:47]
	v_mov_b32_e32 v4, v8
.LBB391_90:                             ; =>This Inner Loop Header: Depth=1
	s_load_dwordx8 s[8:15], s[52:53], 0x4
	s_load_dwordx4 s[28:31], s[52:53], 0x24
	s_load_dwordx8 s[0:7], s[54:55], 0x0
	s_add_u32 s52, s52, 48
	s_addc_u32 s53, s53, 0
	s_waitcnt lgkmcnt(0)
	v_mul_hi_u32 v1, s9, v4
	v_add_u32_e32 v1, v4, v1
	v_lshrrev_b32_e32 v1, s10, v1
	v_mul_lo_u32 v3, v1, s8
	v_mul_hi_u32 v5, s12, v1
	v_sub_u32_e32 v3, v4, v3
	v_add_u32_e32 v4, v1, v5
	v_lshrrev_b32_e32 v4, s13, v4
	v_mul_lo_u32 v6, v4, s11
	v_mul_hi_u32 v7, s15, v4
	v_sub_u32_e32 v1, v1, v6
	v_add_u32_e32 v6, v4, v7
	v_mul_lo_u32 v5, v3, s1
	v_mul_lo_u32 v3, v3, s0
	;; [unrolled: 1-line block ×4, first 2 shown]
	v_lshrrev_b32_e32 v6, s28, v6
	v_add3_u32 v0, v3, v0, v1
	v_mul_hi_u32 v3, s30, v6
	v_add3_u32 v1, v5, v2, v7
	v_mul_lo_u32 v2, v6, s14
	v_add_u32_e32 v3, v6, v3
	v_sub_u32_e32 v2, v4, v2
	v_lshrrev_b32_e32 v4, s31, v3
	s_add_i32 s61, s61, 4
	v_mul_lo_u32 v3, v4, s29
	s_add_u32 s54, s54, 32
	v_sub_u32_e32 v3, v6, v3
	s_addc_u32 s55, s55, 0
	v_mul_lo_u32 v5, v2, s4
	v_mul_lo_u32 v2, v2, s5
	v_mul_lo_u32 v6, v3, s6
	v_mul_lo_u32 v3, v3, s7
	s_cmp_eq_u32 s59, s61
	v_add3_u32 v2, v2, v1, v3
	v_add3_u32 v0, v5, v0, v6
	s_cbranch_scc0 .LBB391_90
; %bb.91:
	v_mov_b32_e32 v1, v2
	s_branch .LBB391_106
.LBB391_92:
                                        ; implicit-def: $vgpr2
                                        ; implicit-def: $vgpr0
	s_branch .LBB391_110
.LBB391_93:
	v_mov_b32_e32 v2, 0
	v_mov_b32_e32 v0, 0
	s_branch .LBB391_109
.LBB391_94:
	v_mov_b32_e32 v0, 0
	s_mov_b32 s59, 0
	v_mov_b32_e32 v1, v0
                                        ; implicit-def: $vgpr2
	v_mov_b32_e32 v4, v8
.LBB391_95:
	s_and_b32 s4, s60, 3
	s_cmp_eq_u32 s4, 0
	s_cbranch_scc1 .LBB391_98
; %bb.96:
	s_lshl_b32 s0, s59, 3
	s_add_u32 s0, s34, s0
	s_addc_u32 s1, s35, 0
	s_add_u32 s0, s0, 0xc4
	s_addc_u32 s1, s1, 0
	s_mul_i32 s2, s59, 12
	s_add_u32 s2, s34, s2
	s_addc_u32 s3, s35, 0
.LBB391_97:                             ; =>This Inner Loop Header: Depth=1
	s_load_dwordx2 s[6:7], s[2:3], 0x4
	s_load_dword s5, s[2:3], 0xc
	s_load_dwordx2 s[8:9], s[0:1], 0x0
	v_mov_b32_e32 v2, v1
	s_add_u32 s2, s2, 12
	s_waitcnt lgkmcnt(0)
	v_mul_hi_u32 v1, s7, v4
	v_add_u32_e32 v1, v4, v1
	v_lshrrev_b32_e32 v1, s5, v1
	s_addc_u32 s3, s3, 0
	v_mul_lo_u32 v3, v1, s6
	s_add_u32 s0, s0, 8
	v_sub_u32_e32 v5, v4, v3
	s_addc_u32 s1, s1, 0
	s_add_i32 s4, s4, -1
	v_mov_b32_e32 v4, v1
	v_mad_u64_u32 v[2:3], s[6:7], v5, s9, v[2:3]
	v_mad_u64_u32 v[0:1], s[6:7], v5, s8, v[0:1]
	s_cmp_lg_u32 s4, 0
	v_mov_b32_e32 v1, v2
	s_cbranch_scc1 .LBB391_97
.LBB391_98:
	s_cbranch_execnz .LBB391_101
.LBB391_99:
	s_waitcnt lgkmcnt(0)
	v_mul_hi_u32 v0, s21, v8
	v_add_u32_e32 v0, v8, v0
	v_lshrrev_b32_e32 v1, s22, v0
	v_mul_lo_u32 v0, v1, s20
	v_sub_u32_e32 v0, v8, v0
	v_mul_lo_u32 v2, v0, s25
	s_andn2_b64 vcc, exec, s[44:45]
	v_mul_lo_u32 v0, v0, s24
	s_cbranch_vccnz .LBB391_101
; %bb.100:
	v_mul_hi_u32 v3, s42, v1
	v_add_u32_e32 v3, v1, v3
	v_lshrrev_b32_e32 v3, s43, v3
	v_mul_lo_u32 v3, v3, s23
	v_sub_u32_e32 v3, v1, v3
	v_mad_u64_u32 v[0:1], s[0:1], v3, s26, v[0:1]
	v_mad_u64_u32 v[2:3], s[0:1], v3, s27, v[2:3]
.LBB391_101:
	s_waitcnt lgkmcnt(0)
	global_load_dwordx2 v[2:3], v2, s[18:19]
	v_max_f64 v[4:5], s[40:41], s[40:41]
	v_add_u32_e32 v8, 0x80, v8
	s_waitcnt vmcnt(0)
	v_max_f64 v[6:7], v[2:3], v[2:3]
	v_max_f64 v[4:5], v[6:7], v[4:5]
	v_cmp_u_f64_e32 vcc, v[2:3], v[2:3]
	s_nop 1
	v_cndmask_b32_e32 v3, v5, v3, vcc
	v_cndmask_b32_e32 v2, v4, v2, vcc
	global_store_dwordx2 v0, v[2:3], s[16:17]
	s_or_b64 exec, exec, s[50:51]
	v_cmp_gt_i32_e32 vcc, s57, v8
	s_and_saveexec_b64 s[50:51], vcc
	s_cbranch_execnz .LBB391_86
.LBB391_102:
	s_or_b64 exec, exec, s[50:51]
	v_cmp_gt_i32_e32 vcc, s57, v8
	s_and_saveexec_b64 s[50:51], vcc
	s_cbranch_execnz .LBB391_113
.LBB391_103:
	s_or_b64 exec, exec, s[50:51]
                                        ; implicit-def: $vgpr16
                                        ; implicit-def: $vgpr8
	s_andn2_saveexec_b64 s[0:1], s[38:39]
	s_cbranch_execnz .LBB391_9
.LBB391_104:
	s_endpgm
.LBB391_105:
	v_mov_b32_e32 v0, 0
	s_mov_b32 s59, 0
	v_mov_b32_e32 v1, v0
                                        ; implicit-def: $vgpr2
	v_mov_b32_e32 v4, v8
.LBB391_106:
	s_and_b32 s4, s60, 3
	s_cmp_eq_u32 s4, 0
	s_cbranch_scc1 .LBB391_109
; %bb.107:
	s_lshl_b32 s0, s59, 3
	s_add_u32 s0, s34, s0
	s_addc_u32 s1, s35, 0
	s_add_u32 s0, s0, 0xc4
	s_addc_u32 s1, s1, 0
	s_mul_i32 s2, s59, 12
	s_add_u32 s2, s34, s2
	s_addc_u32 s3, s35, 0
.LBB391_108:                            ; =>This Inner Loop Header: Depth=1
	s_load_dwordx2 s[6:7], s[2:3], 0x4
	s_load_dword s5, s[2:3], 0xc
	s_load_dwordx2 s[8:9], s[0:1], 0x0
	v_mov_b32_e32 v2, v1
	s_add_u32 s2, s2, 12
	s_waitcnt lgkmcnt(0)
	v_mul_hi_u32 v1, s7, v4
	v_add_u32_e32 v1, v4, v1
	v_lshrrev_b32_e32 v1, s5, v1
	s_addc_u32 s3, s3, 0
	v_mul_lo_u32 v3, v1, s6
	s_add_u32 s0, s0, 8
	v_sub_u32_e32 v5, v4, v3
	s_addc_u32 s1, s1, 0
	s_add_i32 s4, s4, -1
	v_mov_b32_e32 v4, v1
	v_mad_u64_u32 v[2:3], s[6:7], v5, s9, v[2:3]
	v_mad_u64_u32 v[0:1], s[6:7], v5, s8, v[0:1]
	s_cmp_lg_u32 s4, 0
	v_mov_b32_e32 v1, v2
	s_cbranch_scc1 .LBB391_108
.LBB391_109:
	s_cbranch_execnz .LBB391_112
.LBB391_110:
	s_waitcnt lgkmcnt(0)
	v_mul_hi_u32 v0, s21, v8
	v_add_u32_e32 v0, v8, v0
	v_lshrrev_b32_e32 v1, s22, v0
	v_mul_lo_u32 v0, v1, s20
	v_sub_u32_e32 v0, v8, v0
	v_mul_lo_u32 v2, v0, s25
	s_andn2_b64 vcc, exec, s[44:45]
	v_mul_lo_u32 v0, v0, s24
	s_cbranch_vccnz .LBB391_112
; %bb.111:
	v_mul_hi_u32 v3, s42, v1
	v_add_u32_e32 v3, v1, v3
	v_lshrrev_b32_e32 v3, s43, v3
	v_mul_lo_u32 v3, v3, s23
	v_sub_u32_e32 v3, v1, v3
	v_mad_u64_u32 v[0:1], s[0:1], v3, s26, v[0:1]
	v_mad_u64_u32 v[2:3], s[0:1], v3, s27, v[2:3]
.LBB391_112:
	s_waitcnt lgkmcnt(0)
	global_load_dwordx2 v[2:3], v2, s[18:19]
	v_max_f64 v[4:5], s[40:41], s[40:41]
	v_add_u32_e32 v8, 0x80, v8
	s_waitcnt vmcnt(0)
	v_max_f64 v[6:7], v[2:3], v[2:3]
	v_max_f64 v[4:5], v[6:7], v[4:5]
	v_cmp_u_f64_e32 vcc, v[2:3], v[2:3]
	s_nop 1
	v_cndmask_b32_e32 v3, v5, v3, vcc
	v_cndmask_b32_e32 v2, v4, v2, vcc
	global_store_dwordx2 v0, v[2:3], s[16:17]
	s_or_b64 exec, exec, s[50:51]
	v_cmp_gt_i32_e32 vcc, s57, v8
	s_and_saveexec_b64 s[50:51], vcc
	s_cbranch_execz .LBB391_103
.LBB391_113:
	s_andn2_b64 vcc, exec, s[36:37]
	s_cbranch_vccnz .LBB391_119
; %bb.114:
	s_andn2_b64 vcc, exec, s[48:49]
	s_cbranch_vccnz .LBB391_120
; %bb.115:
	s_add_i32 s58, s58, 1
	s_cmp_eq_u32 s56, 2
	s_cbranch_scc1 .LBB391_121
; %bb.116:
	s_and_b32 s52, s58, 28
	s_mov_b32 s53, 0
	v_mov_b32_e32 v0, 0
	v_mov_b32_e32 v2, 0
	s_mov_b64 s[48:49], s[34:35]
	v_mov_b32_e32 v4, v8
.LBB391_117:                            ; =>This Inner Loop Header: Depth=1
	s_load_dwordx8 s[8:15], s[48:49], 0x4
	s_load_dwordx4 s[28:31], s[48:49], 0x24
	s_load_dwordx8 s[0:7], s[46:47], 0x0
	s_add_u32 s48, s48, 48
	s_addc_u32 s49, s49, 0
	s_waitcnt lgkmcnt(0)
	v_mul_hi_u32 v1, s9, v4
	v_add_u32_e32 v1, v4, v1
	v_lshrrev_b32_e32 v1, s10, v1
	v_mul_lo_u32 v3, v1, s8
	v_mul_hi_u32 v5, s12, v1
	v_sub_u32_e32 v3, v4, v3
	v_add_u32_e32 v4, v1, v5
	v_lshrrev_b32_e32 v4, s13, v4
	v_mul_lo_u32 v6, v4, s11
	v_mul_hi_u32 v7, s15, v4
	v_sub_u32_e32 v1, v1, v6
	v_add_u32_e32 v6, v4, v7
	v_mul_lo_u32 v5, v3, s1
	v_mul_lo_u32 v3, v3, s0
	;; [unrolled: 1-line block ×4, first 2 shown]
	v_lshrrev_b32_e32 v6, s28, v6
	v_add3_u32 v0, v3, v0, v1
	v_mul_hi_u32 v3, s30, v6
	v_add3_u32 v1, v5, v2, v7
	v_mul_lo_u32 v2, v6, s14
	v_add_u32_e32 v3, v6, v3
	v_sub_u32_e32 v2, v4, v2
	v_lshrrev_b32_e32 v4, s31, v3
	s_add_i32 s53, s53, 4
	v_mul_lo_u32 v3, v4, s29
	s_add_u32 s46, s46, 32
	v_sub_u32_e32 v3, v6, v3
	s_addc_u32 s47, s47, 0
	v_mul_lo_u32 v5, v2, s4
	v_mul_lo_u32 v2, v2, s5
	;; [unrolled: 1-line block ×4, first 2 shown]
	s_cmp_eq_u32 s52, s53
	v_add3_u32 v2, v2, v1, v3
	v_add3_u32 v0, v5, v0, v6
	s_cbranch_scc0 .LBB391_117
; %bb.118:
	v_mov_b32_e32 v1, v2
	s_branch .LBB391_122
.LBB391_119:
                                        ; implicit-def: $vgpr2
                                        ; implicit-def: $vgpr0
	s_branch .LBB391_126
.LBB391_120:
	v_mov_b32_e32 v2, 0
	v_mov_b32_e32 v0, 0
	s_branch .LBB391_125
.LBB391_121:
	v_mov_b32_e32 v0, 0
	s_mov_b32 s52, 0
	v_mov_b32_e32 v1, v0
                                        ; implicit-def: $vgpr2
	v_mov_b32_e32 v4, v8
.LBB391_122:
	s_and_b32 s4, s58, 3
	s_cmp_eq_u32 s4, 0
	s_cbranch_scc1 .LBB391_125
; %bb.123:
	s_lshl_b32 s0, s52, 3
	s_add_u32 s0, s34, s0
	s_addc_u32 s1, s35, 0
	s_add_u32 s0, s0, 0xc4
	s_addc_u32 s1, s1, 0
	s_mul_i32 s2, s52, 12
	s_add_u32 s2, s34, s2
	s_addc_u32 s3, s35, 0
.LBB391_124:                            ; =>This Inner Loop Header: Depth=1
	s_load_dwordx2 s[6:7], s[2:3], 0x4
	s_load_dword s5, s[2:3], 0xc
	s_load_dwordx2 s[8:9], s[0:1], 0x0
	v_mov_b32_e32 v2, v1
	s_add_u32 s2, s2, 12
	s_waitcnt lgkmcnt(0)
	v_mul_hi_u32 v1, s7, v4
	v_add_u32_e32 v1, v4, v1
	v_lshrrev_b32_e32 v1, s5, v1
	s_addc_u32 s3, s3, 0
	v_mul_lo_u32 v3, v1, s6
	s_add_u32 s0, s0, 8
	v_sub_u32_e32 v5, v4, v3
	s_addc_u32 s1, s1, 0
	s_add_i32 s4, s4, -1
	v_mov_b32_e32 v4, v1
	v_mad_u64_u32 v[2:3], s[6:7], v5, s9, v[2:3]
	v_mad_u64_u32 v[0:1], s[6:7], v5, s8, v[0:1]
	s_cmp_lg_u32 s4, 0
	v_mov_b32_e32 v1, v2
	s_cbranch_scc1 .LBB391_124
.LBB391_125:
	s_cbranch_execnz .LBB391_128
.LBB391_126:
	s_waitcnt lgkmcnt(0)
	v_mul_hi_u32 v0, s21, v8
	v_add_u32_e32 v0, v8, v0
	v_lshrrev_b32_e32 v1, s22, v0
	v_mul_lo_u32 v0, v1, s20
	v_sub_u32_e32 v0, v8, v0
	v_mul_lo_u32 v2, v0, s25
	s_andn2_b64 vcc, exec, s[44:45]
	v_mul_lo_u32 v0, v0, s24
	s_cbranch_vccnz .LBB391_128
; %bb.127:
	v_mul_hi_u32 v3, s42, v1
	v_add_u32_e32 v3, v1, v3
	v_lshrrev_b32_e32 v3, s43, v3
	v_mul_lo_u32 v3, v3, s23
	v_sub_u32_e32 v3, v1, v3
	v_mad_u64_u32 v[0:1], s[0:1], v3, s26, v[0:1]
	v_mad_u64_u32 v[2:3], s[0:1], v3, s27, v[2:3]
.LBB391_128:
	s_waitcnt lgkmcnt(0)
	global_load_dwordx2 v[2:3], v2, s[18:19]
	v_max_f64 v[4:5], s[40:41], s[40:41]
	s_waitcnt vmcnt(0)
	v_max_f64 v[6:7], v[2:3], v[2:3]
	v_max_f64 v[4:5], v[6:7], v[4:5]
	v_cmp_u_f64_e32 vcc, v[2:3], v[2:3]
	s_nop 1
	v_cndmask_b32_e32 v3, v5, v3, vcc
	v_cndmask_b32_e32 v2, v4, v2, vcc
	global_store_dwordx2 v0, v[2:3], s[16:17]
	s_or_b64 exec, exec, s[50:51]
                                        ; implicit-def: $vgpr16
                                        ; implicit-def: $vgpr8
	s_andn2_saveexec_b64 s[0:1], s[38:39]
	s_cbranch_execz .LBB391_104
	s_branch .LBB391_9
	.section	.rodata,"a",@progbits
	.p2align	6, 0x0
	.amdhsa_kernel _ZN2at6native32elementwise_kernel_manual_unrollILi128ELi4EZNS0_22gpu_kernel_impl_nocastIZZZNS0_21clamp_min_kernel_cudaERNS_18TensorIteratorBaseERKN3c106ScalarEENKUlvE_clEvENKUlvE4_clEvEUldE_EEvS4_RKT_EUlibE_EEviT1_
		.amdhsa_group_segment_fixed_size 0
		.amdhsa_private_segment_fixed_size 0
		.amdhsa_kernarg_size 360
		.amdhsa_user_sgpr_count 2
		.amdhsa_user_sgpr_dispatch_ptr 0
		.amdhsa_user_sgpr_queue_ptr 0
		.amdhsa_user_sgpr_kernarg_segment_ptr 1
		.amdhsa_user_sgpr_dispatch_id 0
		.amdhsa_user_sgpr_kernarg_preload_length 0
		.amdhsa_user_sgpr_kernarg_preload_offset 0
		.amdhsa_user_sgpr_private_segment_size 0
		.amdhsa_uses_dynamic_stack 0
		.amdhsa_enable_private_segment 0
		.amdhsa_system_sgpr_workgroup_id_x 1
		.amdhsa_system_sgpr_workgroup_id_y 0
		.amdhsa_system_sgpr_workgroup_id_z 0
		.amdhsa_system_sgpr_workgroup_info 0
		.amdhsa_system_vgpr_workitem_id 0
		.amdhsa_next_free_vgpr 26
		.amdhsa_next_free_sgpr 62
		.amdhsa_accum_offset 28
		.amdhsa_reserve_vcc 1
		.amdhsa_float_round_mode_32 0
		.amdhsa_float_round_mode_16_64 0
		.amdhsa_float_denorm_mode_32 3
		.amdhsa_float_denorm_mode_16_64 3
		.amdhsa_dx10_clamp 1
		.amdhsa_ieee_mode 1
		.amdhsa_fp16_overflow 0
		.amdhsa_tg_split 0
		.amdhsa_exception_fp_ieee_invalid_op 0
		.amdhsa_exception_fp_denorm_src 0
		.amdhsa_exception_fp_ieee_div_zero 0
		.amdhsa_exception_fp_ieee_overflow 0
		.amdhsa_exception_fp_ieee_underflow 0
		.amdhsa_exception_fp_ieee_inexact 0
		.amdhsa_exception_int_div_zero 0
	.end_amdhsa_kernel
	.section	.text._ZN2at6native32elementwise_kernel_manual_unrollILi128ELi4EZNS0_22gpu_kernel_impl_nocastIZZZNS0_21clamp_min_kernel_cudaERNS_18TensorIteratorBaseERKN3c106ScalarEENKUlvE_clEvENKUlvE4_clEvEUldE_EEvS4_RKT_EUlibE_EEviT1_,"axG",@progbits,_ZN2at6native32elementwise_kernel_manual_unrollILi128ELi4EZNS0_22gpu_kernel_impl_nocastIZZZNS0_21clamp_min_kernel_cudaERNS_18TensorIteratorBaseERKN3c106ScalarEENKUlvE_clEvENKUlvE4_clEvEUldE_EEvS4_RKT_EUlibE_EEviT1_,comdat
.Lfunc_end391:
	.size	_ZN2at6native32elementwise_kernel_manual_unrollILi128ELi4EZNS0_22gpu_kernel_impl_nocastIZZZNS0_21clamp_min_kernel_cudaERNS_18TensorIteratorBaseERKN3c106ScalarEENKUlvE_clEvENKUlvE4_clEvEUldE_EEvS4_RKT_EUlibE_EEviT1_, .Lfunc_end391-_ZN2at6native32elementwise_kernel_manual_unrollILi128ELi4EZNS0_22gpu_kernel_impl_nocastIZZZNS0_21clamp_min_kernel_cudaERNS_18TensorIteratorBaseERKN3c106ScalarEENKUlvE_clEvENKUlvE4_clEvEUldE_EEvS4_RKT_EUlibE_EEviT1_
                                        ; -- End function
	.set _ZN2at6native32elementwise_kernel_manual_unrollILi128ELi4EZNS0_22gpu_kernel_impl_nocastIZZZNS0_21clamp_min_kernel_cudaERNS_18TensorIteratorBaseERKN3c106ScalarEENKUlvE_clEvENKUlvE4_clEvEUldE_EEvS4_RKT_EUlibE_EEviT1_.num_vgpr, 26
	.set _ZN2at6native32elementwise_kernel_manual_unrollILi128ELi4EZNS0_22gpu_kernel_impl_nocastIZZZNS0_21clamp_min_kernel_cudaERNS_18TensorIteratorBaseERKN3c106ScalarEENKUlvE_clEvENKUlvE4_clEvEUldE_EEvS4_RKT_EUlibE_EEviT1_.num_agpr, 0
	.set _ZN2at6native32elementwise_kernel_manual_unrollILi128ELi4EZNS0_22gpu_kernel_impl_nocastIZZZNS0_21clamp_min_kernel_cudaERNS_18TensorIteratorBaseERKN3c106ScalarEENKUlvE_clEvENKUlvE4_clEvEUldE_EEvS4_RKT_EUlibE_EEviT1_.numbered_sgpr, 62
	.set _ZN2at6native32elementwise_kernel_manual_unrollILi128ELi4EZNS0_22gpu_kernel_impl_nocastIZZZNS0_21clamp_min_kernel_cudaERNS_18TensorIteratorBaseERKN3c106ScalarEENKUlvE_clEvENKUlvE4_clEvEUldE_EEvS4_RKT_EUlibE_EEviT1_.num_named_barrier, 0
	.set _ZN2at6native32elementwise_kernel_manual_unrollILi128ELi4EZNS0_22gpu_kernel_impl_nocastIZZZNS0_21clamp_min_kernel_cudaERNS_18TensorIteratorBaseERKN3c106ScalarEENKUlvE_clEvENKUlvE4_clEvEUldE_EEvS4_RKT_EUlibE_EEviT1_.private_seg_size, 0
	.set _ZN2at6native32elementwise_kernel_manual_unrollILi128ELi4EZNS0_22gpu_kernel_impl_nocastIZZZNS0_21clamp_min_kernel_cudaERNS_18TensorIteratorBaseERKN3c106ScalarEENKUlvE_clEvENKUlvE4_clEvEUldE_EEvS4_RKT_EUlibE_EEviT1_.uses_vcc, 1
	.set _ZN2at6native32elementwise_kernel_manual_unrollILi128ELi4EZNS0_22gpu_kernel_impl_nocastIZZZNS0_21clamp_min_kernel_cudaERNS_18TensorIteratorBaseERKN3c106ScalarEENKUlvE_clEvENKUlvE4_clEvEUldE_EEvS4_RKT_EUlibE_EEviT1_.uses_flat_scratch, 0
	.set _ZN2at6native32elementwise_kernel_manual_unrollILi128ELi4EZNS0_22gpu_kernel_impl_nocastIZZZNS0_21clamp_min_kernel_cudaERNS_18TensorIteratorBaseERKN3c106ScalarEENKUlvE_clEvENKUlvE4_clEvEUldE_EEvS4_RKT_EUlibE_EEviT1_.has_dyn_sized_stack, 0
	.set _ZN2at6native32elementwise_kernel_manual_unrollILi128ELi4EZNS0_22gpu_kernel_impl_nocastIZZZNS0_21clamp_min_kernel_cudaERNS_18TensorIteratorBaseERKN3c106ScalarEENKUlvE_clEvENKUlvE4_clEvEUldE_EEvS4_RKT_EUlibE_EEviT1_.has_recursion, 0
	.set _ZN2at6native32elementwise_kernel_manual_unrollILi128ELi4EZNS0_22gpu_kernel_impl_nocastIZZZNS0_21clamp_min_kernel_cudaERNS_18TensorIteratorBaseERKN3c106ScalarEENKUlvE_clEvENKUlvE4_clEvEUldE_EEvS4_RKT_EUlibE_EEviT1_.has_indirect_call, 0
	.section	.AMDGPU.csdata,"",@progbits
; Kernel info:
; codeLenInByte = 6080
; TotalNumSgprs: 68
; NumVgprs: 26
; NumAgprs: 0
; TotalNumVgprs: 26
; ScratchSize: 0
; MemoryBound: 0
; FloatMode: 240
; IeeeMode: 1
; LDSByteSize: 0 bytes/workgroup (compile time only)
; SGPRBlocks: 8
; VGPRBlocks: 3
; NumSGPRsForWavesPerEU: 68
; NumVGPRsForWavesPerEU: 26
; AccumOffset: 28
; Occupancy: 8
; WaveLimiterHint : 1
; COMPUTE_PGM_RSRC2:SCRATCH_EN: 0
; COMPUTE_PGM_RSRC2:USER_SGPR: 2
; COMPUTE_PGM_RSRC2:TRAP_HANDLER: 0
; COMPUTE_PGM_RSRC2:TGID_X_EN: 1
; COMPUTE_PGM_RSRC2:TGID_Y_EN: 0
; COMPUTE_PGM_RSRC2:TGID_Z_EN: 0
; COMPUTE_PGM_RSRC2:TIDIG_COMP_CNT: 0
; COMPUTE_PGM_RSRC3_GFX90A:ACCUM_OFFSET: 6
; COMPUTE_PGM_RSRC3_GFX90A:TG_SPLIT: 0
	.section	.text._ZN2at6native32elementwise_kernel_manual_unrollILi128ELi4EZNS0_15gpu_kernel_implIZZZNS0_21clamp_min_kernel_cudaERNS_18TensorIteratorBaseERKN3c106ScalarEENKUlvE_clEvENKUlvE4_clEvEUldE_EEvS4_RKT_EUlibE_EEviT1_,"axG",@progbits,_ZN2at6native32elementwise_kernel_manual_unrollILi128ELi4EZNS0_15gpu_kernel_implIZZZNS0_21clamp_min_kernel_cudaERNS_18TensorIteratorBaseERKN3c106ScalarEENKUlvE_clEvENKUlvE4_clEvEUldE_EEvS4_RKT_EUlibE_EEviT1_,comdat
	.globl	_ZN2at6native32elementwise_kernel_manual_unrollILi128ELi4EZNS0_15gpu_kernel_implIZZZNS0_21clamp_min_kernel_cudaERNS_18TensorIteratorBaseERKN3c106ScalarEENKUlvE_clEvENKUlvE4_clEvEUldE_EEvS4_RKT_EUlibE_EEviT1_ ; -- Begin function _ZN2at6native32elementwise_kernel_manual_unrollILi128ELi4EZNS0_15gpu_kernel_implIZZZNS0_21clamp_min_kernel_cudaERNS_18TensorIteratorBaseERKN3c106ScalarEENKUlvE_clEvENKUlvE4_clEvEUldE_EEvS4_RKT_EUlibE_EEviT1_
	.p2align	8
	.type	_ZN2at6native32elementwise_kernel_manual_unrollILi128ELi4EZNS0_15gpu_kernel_implIZZZNS0_21clamp_min_kernel_cudaERNS_18TensorIteratorBaseERKN3c106ScalarEENKUlvE_clEvENKUlvE4_clEvEUldE_EEvS4_RKT_EUlibE_EEviT1_,@function
_ZN2at6native32elementwise_kernel_manual_unrollILi128ELi4EZNS0_15gpu_kernel_implIZZZNS0_21clamp_min_kernel_cudaERNS_18TensorIteratorBaseERKN3c106ScalarEENKUlvE_clEvENKUlvE4_clEvEUldE_EEvS4_RKT_EUlibE_EEviT1_: ; @_ZN2at6native32elementwise_kernel_manual_unrollILi128ELi4EZNS0_15gpu_kernel_implIZZZNS0_21clamp_min_kernel_cudaERNS_18TensorIteratorBaseERKN3c106ScalarEENKUlvE_clEvENKUlvE4_clEvEUldE_EEvS4_RKT_EUlibE_EEviT1_
; %bb.0:
	s_load_dword s33, s[0:1], 0x28
	s_load_dword s40, s[0:1], 0x0
	s_load_dwordx8 s[4:11], s[0:1], 0x8
	v_lshl_or_b32 v12, s2, 9, v0
	v_or_b32_e32 v0, 0x180, v12
	s_waitcnt lgkmcnt(0)
	s_bfe_u32 s44, s33, 0x80008
	v_cmp_le_i32_e32 vcc, s40, v0
	s_mov_b64 s[2:3], 0
	s_mov_b64 s[14:15], 0
	s_and_saveexec_b64 s[0:1], vcc
	s_xor_b64 s[12:13], exec, s[0:1]
	s_cbranch_execz .LBB392_1027
; %bb.1:
	v_cmp_gt_i32_e32 vcc, s40, v12
	s_mov_b64 s[20:21], -1
	s_mov_b64 s[22:23], 0
	s_mov_b64 s[16:17], 0
	s_and_saveexec_b64 s[18:19], vcc
	s_cbranch_execz .LBB392_252
; %bb.2:
	v_mul_lo_u32 v0, v12, s9
	v_ashrrev_i32_e32 v1, 31, v0
	s_and_b32 s24, 0xffff, s44
	s_cmp_lt_i32 s24, 11
	v_lshl_add_u64 v[0:1], s[6:7], 0, v[0:1]
	s_cbranch_scc1 .LBB392_9
; %bb.3:
	s_cmp_gt_i32 s24, 25
	s_cbranch_scc0 .LBB392_18
; %bb.4:
	s_cmp_gt_i32 s24, 28
	s_cbranch_scc0 .LBB392_22
	;; [unrolled: 3-line block ×4, first 2 shown]
; %bb.7:
	s_cmp_eq_u32 s24, 46
	s_cbranch_scc0 .LBB392_28
; %bb.8:
	global_load_dword v2, v[0:1], off
	s_mov_b64 s[0:1], -1
	s_waitcnt vmcnt(0)
	v_lshlrev_b32_e32 v2, 16, v2
	v_cvt_f64_f32_e32 v[2:3], v2
	s_branch .LBB392_30
.LBB392_9:
                                        ; implicit-def: $vgpr2_vgpr3
	s_mov_b64 s[0:1], 0
	s_cbranch_execnz .LBB392_203
.LBB392_10:
	s_andn2_b64 vcc, exec, s[0:1]
	s_cbranch_vccnz .LBB392_250
.LBB392_11:
	v_max_f64 v[0:1], s[10:11], s[10:11]
	s_waitcnt vmcnt(0)
	v_max_f64 v[4:5], v[2:3], v[2:3]
	v_max_f64 v[0:1], v[4:5], v[0:1]
	v_cmp_u_f64_e32 vcc, v[2:3], v[2:3]
	s_and_b32 s26, s33, 0xff
	s_cmp_lt_i32 s26, 11
	v_cndmask_b32_e32 v0, v0, v2, vcc
	v_mul_lo_u32 v2, v12, s8
	v_cndmask_b32_e32 v1, v1, v3, vcc
	v_ashrrev_i32_e32 v3, 31, v2
	v_lshl_add_u64 v[4:5], s[4:5], 0, v[2:3]
	s_cbranch_scc1 .LBB392_19
; %bb.12:
	s_and_b32 s27, 0xffff, s26
	s_cmp_gt_i32 s27, 25
	s_cbranch_scc0 .LBB392_23
; %bb.13:
	s_cmp_gt_i32 s27, 28
	s_cbranch_scc0 .LBB392_25
; %bb.14:
	;; [unrolled: 3-line block ×4, first 2 shown]
	s_mov_b64 s[20:21], 0
	s_mov_b64 s[0:1], -1
	s_cmp_eq_u32 s27, 46
	s_mov_b64 s[14:15], 0
	s_cbranch_scc0 .LBB392_34
; %bb.17:
	v_cvt_f32_f64_e32 v2, v[0:1]
	v_bfe_u32 v3, v2, 16, 1
	s_movk_i32 s0, 0x7fff
	v_add3_u32 v3, v2, v3, s0
	v_cmp_o_f32_e32 vcc, v2, v2
	v_mov_b32_e32 v2, 0x7fc0
	s_mov_b64 s[14:15], -1
	v_cndmask_b32_sdwa v2, v2, v3, vcc dst_sel:DWORD dst_unused:UNUSED_PAD src0_sel:DWORD src1_sel:WORD_1
	global_store_dword v[4:5], v2, off
	s_mov_b64 s[0:1], 0
	s_branch .LBB392_34
.LBB392_18:
	s_mov_b64 s[0:1], 0
                                        ; implicit-def: $vgpr2_vgpr3
	s_cbranch_execnz .LBB392_170
	s_branch .LBB392_202
.LBB392_19:
	s_mov_b64 s[0:1], 0
	s_mov_b64 s[14:15], 0
	s_cbranch_execnz .LBB392_103
.LBB392_20:
	s_andn2_b64 vcc, exec, s[14:15]
	s_cbranch_vccnz .LBB392_141
.LBB392_21:
	v_add_u32_e32 v12, 0x80, v12
	s_mov_b64 s[20:21], -1
	s_branch .LBB392_251
.LBB392_22:
	s_mov_b64 s[14:15], -1
	s_mov_b64 s[0:1], 0
                                        ; implicit-def: $vgpr2_vgpr3
	s_branch .LBB392_149
.LBB392_23:
	s_mov_b64 s[20:21], -1
	s_mov_b64 s[0:1], 0
	s_mov_b64 s[14:15], 0
	s_branch .LBB392_61
.LBB392_24:
	s_mov_b64 s[14:15], -1
	s_mov_b64 s[0:1], 0
                                        ; implicit-def: $vgpr2_vgpr3
	s_branch .LBB392_144
.LBB392_25:
	s_mov_b64 s[20:21], -1
	s_mov_b64 s[0:1], 0
	s_mov_b64 s[14:15], 0
	s_branch .LBB392_44
.LBB392_26:
	s_mov_b64 s[14:15], -1
	s_branch .LBB392_29
.LBB392_27:
	s_mov_b64 s[20:21], -1
	s_mov_b64 s[0:1], 0
	s_mov_b64 s[14:15], 0
	s_branch .LBB392_40
.LBB392_28:
	s_mov_b64 s[16:17], -1
.LBB392_29:
	s_mov_b64 s[0:1], 0
                                        ; implicit-def: $vgpr2_vgpr3
.LBB392_30:
	s_and_b64 vcc, exec, s[14:15]
	s_cbranch_vccz .LBB392_143
; %bb.31:
	s_cmp_eq_u32 s24, 44
	s_cbranch_scc0 .LBB392_142
; %bb.32:
	global_load_ubyte v4, v[0:1], off
	s_movk_i32 s14, 0xff
	v_bfrev_b32_e32 v5, 4
	v_mov_b32_e32 v6, 0x7ff80000
	v_bfrev_b32_e32 v7, 28
	s_mov_b64 s[0:1], -1
	s_mov_b64 s[16:17], 0
	s_waitcnt vmcnt(0)
	v_lshlrev_b32_e32 v2, 23, v4
	v_cvt_f64_f32_e32 v[2:3], v2
	v_cmp_ne_u32_e32 vcc, s14, v4
	s_nop 1
	v_cndmask_b32_e32 v2, v5, v2, vcc
	v_cndmask_b32_e32 v3, v6, v3, vcc
	v_cmp_ne_u32_e32 vcc, 0, v4
	s_nop 1
	v_cndmask_b32_e32 v3, v7, v3, vcc
	v_cndmask_b32_e32 v2, 0, v2, vcc
	s_branch .LBB392_143
.LBB392_33:
	s_mov_b64 s[20:21], -1
	s_mov_b64 s[0:1], 0
	s_mov_b64 s[14:15], 0
.LBB392_34:
	s_and_b64 vcc, exec, s[20:21]
	s_cbranch_vccz .LBB392_39
; %bb.35:
	s_cmp_eq_u32 s27, 44
	s_mov_b64 s[0:1], -1
	s_cbranch_scc0 .LBB392_39
; %bb.36:
	v_cvt_f32_f64_e32 v2, v[0:1]
	v_bfe_u32 v3, v2, 23, 8
	s_movk_i32 s0, 0xff
	v_cmp_ne_u32_e32 vcc, s0, v3
	v_mov_b32_e32 v6, 0xff
	s_and_saveexec_b64 s[14:15], vcc
; %bb.37:
	s_mov_b32 s0, 0x3fffff
	v_lshrrev_b32_e32 v6, 23, v2
	v_and_b32_e32 v7, 0x400000, v2
	v_and_or_b32 v2, v2, s0, v3
	v_cmp_ne_u32_e32 vcc, 0, v7
	v_cmp_ne_u32_e64 s[0:1], 0, v2
	s_and_b64 s[0:1], vcc, s[0:1]
	s_nop 0
	v_cndmask_b32_e64 v2, 0, 1, s[0:1]
	v_add_u32_e32 v6, v6, v2
; %bb.38:
	s_or_b64 exec, exec, s[14:15]
	s_mov_b64 s[14:15], -1
	s_mov_b64 s[0:1], 0
	global_store_byte v[4:5], v6, off
.LBB392_39:
	s_mov_b64 s[20:21], 0
.LBB392_40:
	s_and_b64 vcc, exec, s[20:21]
	s_cbranch_vccz .LBB392_43
; %bb.41:
	s_cmp_eq_u32 s27, 29
	s_mov_b64 s[0:1], -1
	s_cbranch_scc0 .LBB392_43
; %bb.42:
	v_trunc_f64_e32 v[2:3], v[0:1]
	s_movk_i32 s0, 0xffe0
	v_ldexp_f64 v[6:7], v[2:3], s0
	v_floor_f64_e32 v[6:7], v[6:7]
	v_fmac_f64_e32 v[2:3], 0xc1f00000, v[6:7]
	v_cvt_u32_f64_e32 v9, v[6:7]
	v_cvt_u32_f64_e32 v8, v[2:3]
	global_store_dwordx2 v[4:5], v[8:9], off
	s_mov_b64 s[14:15], -1
	s_mov_b64 s[0:1], 0
.LBB392_43:
	s_mov_b64 s[20:21], 0
.LBB392_44:
	s_and_b64 vcc, exec, s[20:21]
	s_cbranch_vccz .LBB392_60
; %bb.45:
	s_cmp_lt_i32 s27, 27
	s_mov_b64 s[14:15], -1
	s_cbranch_scc1 .LBB392_51
; %bb.46:
	s_cmp_gt_i32 s27, 27
	v_cvt_u32_f64_e32 v2, v[0:1]
	s_cbranch_scc0 .LBB392_48
; %bb.47:
	s_mov_b64 s[14:15], 0
	global_store_dword v[4:5], v2, off
.LBB392_48:
	s_andn2_b64 vcc, exec, s[14:15]
	s_cbranch_vccnz .LBB392_50
; %bb.49:
	global_store_short v[4:5], v2, off
.LBB392_50:
	s_mov_b64 s[14:15], 0
.LBB392_51:
	s_andn2_b64 vcc, exec, s[14:15]
	s_cbranch_vccnz .LBB392_59
; %bb.52:
	v_cvt_f32_f64_e32 v2, v[0:1]
	v_and_b32_e32 v3, 0x7fffffff, v2
	s_mov_b32 s14, 0x43800000
	v_cmp_gt_u32_e32 vcc, s14, v3
	v_mov_b32_e32 v6, 0x80
	s_and_saveexec_b64 s[14:15], vcc
	s_cbranch_execz .LBB392_58
; %bb.53:
	s_mov_b32 s20, 0x3bffffff
	v_cmp_lt_u32_e32 vcc, s20, v3
	s_mov_b64 s[20:21], 0
                                        ; implicit-def: $vgpr3
	s_and_saveexec_b64 s[24:25], vcc
	s_xor_b64 s[24:25], exec, s[24:25]
	s_cbranch_execz .LBB392_279
; %bb.54:
	v_bfe_u32 v3, v2, 20, 1
	s_mov_b32 s28, 0x487ffff
	v_add3_u32 v3, v2, v3, s28
	s_mov_b64 s[20:21], exec
	v_lshrrev_b32_e32 v3, 20, v3
	s_andn2_saveexec_b64 s[24:25], s[24:25]
	s_cbranch_execnz .LBB392_280
.LBB392_55:
	s_or_b64 exec, exec, s[24:25]
	v_mov_b32_e32 v6, 0
	s_and_saveexec_b64 s[24:25], s[20:21]
.LBB392_56:
	v_lshrrev_b32_e32 v2, 24, v2
	s_movk_i32 s20, 0x80
	v_and_or_b32 v6, v2, s20, v3
.LBB392_57:
	s_or_b64 exec, exec, s[24:25]
.LBB392_58:
	s_or_b64 exec, exec, s[14:15]
	global_store_byte v[4:5], v6, off
.LBB392_59:
	s_mov_b64 s[14:15], -1
.LBB392_60:
	s_mov_b64 s[20:21], 0
.LBB392_61:
	s_and_b64 vcc, exec, s[20:21]
	s_cbranch_vccz .LBB392_102
; %bb.62:
	s_cmp_gt_i32 s27, 22
	s_mov_b64 s[20:21], -1
	s_cbranch_scc0 .LBB392_94
; %bb.63:
	s_cmp_lt_i32 s27, 24
	s_mov_b64 s[14:15], -1
	s_cbranch_scc1 .LBB392_83
; %bb.64:
	s_cmp_gt_i32 s27, 24
	s_cbranch_scc0 .LBB392_72
; %bb.65:
	v_cvt_f32_f64_e32 v2, v[0:1]
	v_and_b32_e32 v3, 0x7fffffff, v2
	s_mov_b32 s14, 0x47800000
	v_cmp_gt_u32_e32 vcc, s14, v3
	v_mov_b32_e32 v6, 0x80
	s_and_saveexec_b64 s[14:15], vcc
	s_cbranch_execz .LBB392_71
; %bb.66:
	s_mov_b32 s20, 0x37ffffff
	v_cmp_lt_u32_e32 vcc, s20, v3
	s_mov_b64 s[20:21], 0
                                        ; implicit-def: $vgpr3
	s_and_saveexec_b64 s[24:25], vcc
	s_xor_b64 s[24:25], exec, s[24:25]
	s_cbranch_execz .LBB392_283
; %bb.67:
	v_bfe_u32 v3, v2, 21, 1
	s_mov_b32 s28, 0x88fffff
	v_add3_u32 v3, v2, v3, s28
	s_mov_b64 s[20:21], exec
	v_lshrrev_b32_e32 v3, 21, v3
	s_andn2_saveexec_b64 s[24:25], s[24:25]
	s_cbranch_execnz .LBB392_284
.LBB392_68:
	s_or_b64 exec, exec, s[24:25]
	v_mov_b32_e32 v6, 0
	s_and_saveexec_b64 s[24:25], s[20:21]
.LBB392_69:
	v_lshrrev_b32_e32 v2, 24, v2
	s_movk_i32 s20, 0x80
	v_and_or_b32 v6, v2, s20, v3
.LBB392_70:
	s_or_b64 exec, exec, s[24:25]
.LBB392_71:
	s_or_b64 exec, exec, s[14:15]
	s_mov_b64 s[14:15], 0
	global_store_byte v[4:5], v6, off
.LBB392_72:
	s_and_b64 vcc, exec, s[14:15]
	s_cbranch_vccz .LBB392_82
; %bb.73:
	v_cvt_f32_f64_e32 v2, v[0:1]
	v_and_b32_e32 v6, 0x7fffffff, v2
	s_mov_b32 s14, 0x43f00000
	v_cmp_gt_u32_e32 vcc, s14, v6
                                        ; implicit-def: $vgpr3
	s_and_saveexec_b64 s[14:15], vcc
	s_xor_b64 s[14:15], exec, s[14:15]
	s_cbranch_execz .LBB392_79
; %bb.74:
	s_mov_b32 s20, 0x3c7fffff
	v_cmp_lt_u32_e32 vcc, s20, v6
                                        ; implicit-def: $vgpr3
	s_and_saveexec_b64 s[20:21], vcc
	s_xor_b64 s[20:21], exec, s[20:21]
; %bb.75:
	v_bfe_u32 v3, v2, 20, 1
	s_mov_b32 s24, 0x407ffff
	v_add3_u32 v3, v2, v3, s24
	v_lshrrev_b32_e32 v6, 20, v3
	v_and_b32_e32 v3, 0xff00000, v3
	s_mov_b32 s24, 0x7f00000
	v_mov_b32_e32 v7, 0x7e
	v_cmp_ne_u32_e32 vcc, s24, v3
	s_nop 1
	v_cndmask_b32_e32 v3, v7, v6, vcc
; %bb.76:
	s_andn2_saveexec_b64 s[20:21], s[20:21]
; %bb.77:
	s_mov_b32 s24, 0x46800000
	v_add_f32_e64 v3, |v2|, s24
; %bb.78:
	s_or_b64 exec, exec, s[20:21]
                                        ; implicit-def: $vgpr6
.LBB392_79:
	s_andn2_saveexec_b64 s[14:15], s[14:15]
; %bb.80:
	s_mov_b32 s20, 0x7f800000
	v_mov_b32_e32 v3, 0x7e
	v_mov_b32_e32 v7, 0x7f
	v_cmp_lt_u32_e32 vcc, s20, v6
	s_nop 1
	v_cndmask_b32_e32 v3, v3, v7, vcc
; %bb.81:
	s_or_b64 exec, exec, s[14:15]
	v_lshrrev_b32_e32 v2, 24, v2
	s_movk_i32 s14, 0x80
	v_and_or_b32 v2, v2, s14, v3
	global_store_byte v[4:5], v2, off
.LBB392_82:
	s_mov_b64 s[14:15], 0
.LBB392_83:
	s_andn2_b64 vcc, exec, s[14:15]
	s_cbranch_vccnz .LBB392_93
; %bb.84:
	v_cvt_f32_f64_e32 v2, v[0:1]
	v_and_b32_e32 v6, 0x7fffffff, v2
	s_mov_b32 s14, 0x47800000
	v_cmp_gt_u32_e32 vcc, s14, v6
                                        ; implicit-def: $vgpr3
	s_and_saveexec_b64 s[14:15], vcc
	s_xor_b64 s[14:15], exec, s[14:15]
	s_cbranch_execz .LBB392_90
; %bb.85:
	s_mov_b32 s20, 0x387fffff
	v_cmp_lt_u32_e32 vcc, s20, v6
                                        ; implicit-def: $vgpr3
	s_and_saveexec_b64 s[20:21], vcc
	s_xor_b64 s[20:21], exec, s[20:21]
; %bb.86:
	v_bfe_u32 v3, v2, 21, 1
	s_mov_b32 s24, 0x80fffff
	v_add3_u32 v3, v2, v3, s24
	v_lshrrev_b32_e32 v3, 21, v3
; %bb.87:
	s_andn2_saveexec_b64 s[20:21], s[20:21]
; %bb.88:
	s_mov_b32 s24, 0x43000000
	v_add_f32_e64 v3, |v2|, s24
; %bb.89:
	s_or_b64 exec, exec, s[20:21]
                                        ; implicit-def: $vgpr6
.LBB392_90:
	s_andn2_saveexec_b64 s[14:15], s[14:15]
; %bb.91:
	s_mov_b32 s20, 0x7f800000
	v_mov_b32_e32 v3, 0x7c
	v_mov_b32_e32 v7, 0x7f
	v_cmp_lt_u32_e32 vcc, s20, v6
	s_nop 1
	v_cndmask_b32_e32 v3, v3, v7, vcc
; %bb.92:
	s_or_b64 exec, exec, s[14:15]
	v_lshrrev_b32_e32 v2, 24, v2
	s_movk_i32 s14, 0x80
	v_and_or_b32 v2, v2, s14, v3
	global_store_byte v[4:5], v2, off
.LBB392_93:
	s_mov_b64 s[20:21], 0
	s_mov_b64 s[14:15], -1
.LBB392_94:
	s_andn2_b64 vcc, exec, s[20:21]
	s_cbranch_vccnz .LBB392_102
; %bb.95:
	s_cmp_gt_i32 s27, 14
	s_mov_b64 s[20:21], -1
	s_cbranch_scc0 .LBB392_99
; %bb.96:
	s_cmp_eq_u32 s27, 15
	s_mov_b64 s[0:1], -1
	s_cbranch_scc0 .LBB392_98
; %bb.97:
	v_cvt_f32_f64_e32 v2, v[0:1]
	v_bfe_u32 v3, v2, 16, 1
	s_movk_i32 s0, 0x7fff
	v_add3_u32 v3, v2, v3, s0
	v_cmp_o_f32_e32 vcc, v2, v2
	v_mov_b32_e32 v2, 0x7fc0
	s_mov_b64 s[14:15], -1
	v_cndmask_b32_sdwa v2, v2, v3, vcc dst_sel:DWORD dst_unused:UNUSED_PAD src0_sel:DWORD src1_sel:WORD_1
	global_store_short v[4:5], v2, off
	s_mov_b64 s[0:1], 0
.LBB392_98:
	s_mov_b64 s[20:21], 0
.LBB392_99:
	s_and_b64 vcc, exec, s[20:21]
	s_cbranch_vccz .LBB392_102
; %bb.100:
	s_cmp_eq_u32 s27, 11
	s_mov_b64 s[0:1], -1
	s_cbranch_scc0 .LBB392_102
; %bb.101:
	v_cmp_neq_f64_e32 vcc, 0, v[0:1]
	s_mov_b64 s[0:1], 0
	s_mov_b64 s[14:15], -1
	v_cndmask_b32_e64 v2, 0, 1, vcc
	global_store_byte v[4:5], v2, off
.LBB392_102:
	s_branch .LBB392_20
.LBB392_103:
	s_and_b32 s20, 0xffff, s26
	s_cmp_lt_i32 s20, 5
	s_mov_b64 s[14:15], -1
	s_cbranch_scc1 .LBB392_124
; %bb.104:
	s_cmp_lt_i32 s20, 8
	s_cbranch_scc1 .LBB392_114
; %bb.105:
	s_cmp_lt_i32 s20, 9
	s_cbranch_scc1 .LBB392_111
; %bb.106:
	s_cmp_gt_i32 s20, 9
	s_cbranch_scc0 .LBB392_108
; %bb.107:
	v_mov_b32_e32 v2, 0
	v_mov_b32_e32 v3, v2
	global_store_dwordx4 v[4:5], v[0:3], off
	s_mov_b64 s[14:15], 0
.LBB392_108:
	s_andn2_b64 vcc, exec, s[14:15]
	s_cbranch_vccnz .LBB392_110
; %bb.109:
	v_cvt_f32_f64_e32 v2, v[0:1]
	v_mov_b32_e32 v3, 0
	global_store_dwordx2 v[4:5], v[2:3], off
.LBB392_110:
	s_mov_b64 s[14:15], 0
.LBB392_111:
	s_andn2_b64 vcc, exec, s[14:15]
	s_cbranch_vccnz .LBB392_113
; %bb.112:
	s_movk_i32 s14, 0x1ff
	v_and_or_b32 v2, v1, s14, v0
	v_cmp_ne_u32_e32 vcc, 0, v2
	v_lshrrev_b32_e32 v3, 8, v1
	s_movk_i32 s14, 0xffe
	v_cndmask_b32_e64 v2, 0, 1, vcc
	v_bfe_u32 v6, v1, 20, 11
	v_and_or_b32 v2, v3, s14, v2
	v_sub_u32_e32 v7, 0x3f1, v6
	v_or_b32_e32 v3, 0x1000, v2
	v_med3_i32 v7, v7, 0, 13
	v_lshrrev_b32_e32 v8, v7, v3
	v_lshlrev_b32_e32 v7, v7, v8
	v_cmp_ne_u32_e32 vcc, v7, v3
	v_add_u32_e32 v6, 0xfffffc10, v6
	v_lshl_or_b32 v7, v6, 12, v2
	v_cndmask_b32_e64 v3, 0, 1, vcc
	v_or_b32_e32 v3, v8, v3
	v_cmp_gt_i32_e32 vcc, 1, v6
	s_movk_i32 s14, 0x40f
	s_nop 0
	v_cndmask_b32_e32 v3, v7, v3, vcc
	v_and_b32_e32 v7, 7, v3
	v_cmp_lt_i32_e32 vcc, 5, v7
	v_lshrrev_b32_e32 v3, 2, v3
	s_nop 0
	v_cndmask_b32_e64 v8, 0, 1, vcc
	v_cmp_eq_u32_e32 vcc, 3, v7
	s_nop 1
	v_cndmask_b32_e64 v7, 0, 1, vcc
	v_or_b32_e32 v7, v7, v8
	v_add_u32_e32 v3, v3, v7
	v_mov_b32_e32 v7, 0x7c00
	v_cmp_gt_i32_e32 vcc, 31, v6
	v_mov_b32_e32 v8, 0x7e00
	s_nop 0
	v_cndmask_b32_e32 v3, v7, v3, vcc
	v_cmp_ne_u32_e32 vcc, 0, v2
	s_nop 1
	v_cndmask_b32_e32 v2, v7, v8, vcc
	v_cmp_eq_u32_e32 vcc, s14, v6
	s_mov_b32 s14, 0x8000
	s_nop 0
	v_cndmask_b32_e32 v2, v3, v2, vcc
	v_and_b32_sdwa v3, v1, s14 dst_sel:DWORD dst_unused:UNUSED_PAD src0_sel:WORD_1 src1_sel:DWORD
	s_mov_b32 s14, 0xffff
	v_bitop3_b32 v2, v3, s14, v2 bitop3:0xc8
	global_store_dword v[4:5], v2, off
.LBB392_113:
	s_mov_b64 s[14:15], 0
.LBB392_114:
	s_andn2_b64 vcc, exec, s[14:15]
	s_cbranch_vccnz .LBB392_123
; %bb.115:
	s_cmp_lt_i32 s20, 6
	s_mov_b64 s[14:15], -1
	s_cbranch_scc1 .LBB392_121
; %bb.116:
	s_cmp_gt_i32 s20, 6
	s_cbranch_scc0 .LBB392_118
; %bb.117:
	global_store_dwordx2 v[4:5], v[0:1], off
	s_mov_b64 s[14:15], 0
.LBB392_118:
	s_andn2_b64 vcc, exec, s[14:15]
	s_cbranch_vccnz .LBB392_120
; %bb.119:
	v_cvt_f32_f64_e32 v2, v[0:1]
	global_store_dword v[4:5], v2, off
.LBB392_120:
	s_mov_b64 s[14:15], 0
.LBB392_121:
	s_andn2_b64 vcc, exec, s[14:15]
	s_cbranch_vccnz .LBB392_123
; %bb.122:
	s_movk_i32 s14, 0x1ff
	v_and_or_b32 v2, v1, s14, v0
	v_cmp_ne_u32_e32 vcc, 0, v2
	v_lshrrev_b32_e32 v3, 8, v1
	s_movk_i32 s14, 0xffe
	v_cndmask_b32_e64 v2, 0, 1, vcc
	v_bfe_u32 v6, v1, 20, 11
	v_and_or_b32 v2, v3, s14, v2
	v_sub_u32_e32 v7, 0x3f1, v6
	v_or_b32_e32 v3, 0x1000, v2
	v_med3_i32 v7, v7, 0, 13
	v_lshrrev_b32_e32 v8, v7, v3
	v_lshlrev_b32_e32 v7, v7, v8
	v_cmp_ne_u32_e32 vcc, v7, v3
	v_add_u32_e32 v6, 0xfffffc10, v6
	v_lshl_or_b32 v7, v6, 12, v2
	v_cndmask_b32_e64 v3, 0, 1, vcc
	v_or_b32_e32 v3, v8, v3
	v_cmp_gt_i32_e32 vcc, 1, v6
	s_movk_i32 s14, 0x40f
	s_nop 0
	v_cndmask_b32_e32 v3, v7, v3, vcc
	v_and_b32_e32 v7, 7, v3
	v_cmp_lt_i32_e32 vcc, 5, v7
	v_lshrrev_b32_e32 v3, 2, v3
	s_nop 0
	v_cndmask_b32_e64 v8, 0, 1, vcc
	v_cmp_eq_u32_e32 vcc, 3, v7
	s_nop 1
	v_cndmask_b32_e64 v7, 0, 1, vcc
	v_or_b32_e32 v7, v7, v8
	v_add_u32_e32 v3, v3, v7
	v_mov_b32_e32 v7, 0x7c00
	v_cmp_gt_i32_e32 vcc, 31, v6
	v_mov_b32_e32 v8, 0x7e00
	s_nop 0
	v_cndmask_b32_e32 v3, v7, v3, vcc
	v_cmp_ne_u32_e32 vcc, 0, v2
	s_nop 1
	v_cndmask_b32_e32 v2, v7, v8, vcc
	v_cmp_eq_u32_e32 vcc, s14, v6
	s_mov_b32 s14, 0x8000
	s_nop 0
	v_cndmask_b32_e32 v2, v3, v2, vcc
	v_lshrrev_b32_e32 v3, 16, v1
	v_and_or_b32 v2, v3, s14, v2
	global_store_short v[4:5], v2, off
.LBB392_123:
	s_mov_b64 s[14:15], 0
.LBB392_124:
	s_andn2_b64 vcc, exec, s[14:15]
	s_cbranch_vccnz .LBB392_140
; %bb.125:
	s_cmp_lt_i32 s20, 2
	s_mov_b64 s[14:15], -1
	s_cbranch_scc1 .LBB392_135
; %bb.126:
	s_cmp_lt_i32 s20, 3
	s_cbranch_scc1 .LBB392_132
; %bb.127:
	s_cmp_gt_i32 s20, 3
	s_cbranch_scc0 .LBB392_129
; %bb.128:
	v_trunc_f64_e32 v[2:3], v[0:1]
	s_movk_i32 s14, 0xffe0
	v_ldexp_f64 v[6:7], v[2:3], s14
	v_floor_f64_e32 v[6:7], v[6:7]
	v_fmac_f64_e32 v[2:3], 0xc1f00000, v[6:7]
	v_cvt_i32_f64_e32 v9, v[6:7]
	v_cvt_u32_f64_e32 v8, v[2:3]
	global_store_dwordx2 v[4:5], v[8:9], off
	s_mov_b64 s[14:15], 0
.LBB392_129:
	s_andn2_b64 vcc, exec, s[14:15]
	s_cbranch_vccnz .LBB392_131
; %bb.130:
	v_cvt_i32_f64_e32 v2, v[0:1]
	global_store_dword v[4:5], v2, off
.LBB392_131:
	s_mov_b64 s[14:15], 0
.LBB392_132:
	s_andn2_b64 vcc, exec, s[14:15]
	s_cbranch_vccnz .LBB392_134
; %bb.133:
	v_cvt_i32_f64_e32 v2, v[0:1]
	global_store_short v[4:5], v2, off
.LBB392_134:
	s_mov_b64 s[14:15], 0
.LBB392_135:
	s_andn2_b64 vcc, exec, s[14:15]
	s_cbranch_vccnz .LBB392_140
; %bb.136:
	s_cmp_gt_i32 s20, 0
	s_mov_b64 s[14:15], -1
	s_cbranch_scc0 .LBB392_138
; %bb.137:
	v_cvt_i32_f64_e32 v2, v[0:1]
	global_store_byte v[4:5], v2, off
	s_mov_b64 s[14:15], 0
.LBB392_138:
	s_andn2_b64 vcc, exec, s[14:15]
	s_cbranch_vccnz .LBB392_140
; %bb.139:
	v_trunc_f64_e32 v[0:1], v[0:1]
	s_movk_i32 s14, 0xffe0
	v_ldexp_f64 v[2:3], v[0:1], s14
	v_floor_f64_e32 v[2:3], v[2:3]
	v_fmac_f64_e32 v[0:1], 0xc1f00000, v[2:3]
	v_cvt_u32_f64_e32 v0, v[0:1]
	global_store_byte v[4:5], v0, off
.LBB392_140:
	s_branch .LBB392_21
.LBB392_141:
	s_mov_b64 s[20:21], 0
                                        ; implicit-def: $vgpr12
	s_branch .LBB392_251
.LBB392_142:
	s_mov_b64 s[16:17], -1
                                        ; implicit-def: $vgpr2_vgpr3
.LBB392_143:
	s_mov_b64 s[14:15], 0
.LBB392_144:
	s_and_b64 vcc, exec, s[14:15]
	s_cbranch_vccz .LBB392_148
; %bb.145:
	s_cmp_eq_u32 s24, 29
	s_cbranch_scc0 .LBB392_147
; %bb.146:
	global_load_dwordx2 v[2:3], v[0:1], off
	s_mov_b64 s[0:1], -1
	s_mov_b64 s[16:17], 0
	s_mov_b64 s[14:15], 0
	s_waitcnt vmcnt(0)
	v_cvt_f64_u32_e32 v[4:5], v3
	v_cvt_f64_u32_e32 v[2:3], v2
	v_ldexp_f64 v[4:5], v[4:5], 32
	v_add_f64 v[2:3], v[4:5], v[2:3]
	s_branch .LBB392_149
.LBB392_147:
	s_mov_b64 s[16:17], -1
                                        ; implicit-def: $vgpr2_vgpr3
.LBB392_148:
	s_mov_b64 s[14:15], 0
.LBB392_149:
	s_and_b64 vcc, exec, s[14:15]
	s_cbranch_vccz .LBB392_169
; %bb.150:
	s_cmp_lt_i32 s24, 27
	s_cbranch_scc1 .LBB392_153
; %bb.151:
	s_cmp_gt_i32 s24, 27
	s_cbranch_scc0 .LBB392_154
; %bb.152:
	global_load_dword v2, v[0:1], off
	s_mov_b64 s[0:1], 0
	s_waitcnt vmcnt(0)
	v_cvt_f64_u32_e32 v[2:3], v2
	s_branch .LBB392_155
.LBB392_153:
	s_mov_b64 s[0:1], -1
                                        ; implicit-def: $vgpr2_vgpr3
	s_branch .LBB392_158
.LBB392_154:
	s_mov_b64 s[0:1], -1
                                        ; implicit-def: $vgpr2_vgpr3
.LBB392_155:
	s_andn2_b64 vcc, exec, s[0:1]
	s_cbranch_vccnz .LBB392_157
; %bb.156:
	global_load_ushort v2, v[0:1], off
	s_waitcnt vmcnt(0)
	v_cvt_f64_u32_e32 v[2:3], v2
.LBB392_157:
	s_mov_b64 s[0:1], 0
.LBB392_158:
	s_andn2_b64 vcc, exec, s[0:1]
	s_cbranch_vccnz .LBB392_168
; %bb.159:
	global_load_ubyte v4, v[0:1], off
	s_movk_i32 s0, 0x7f
	s_waitcnt vmcnt(0)
	v_cmp_lt_i16_e32 vcc, s0, v4
	s_mov_b64 s[0:1], 0
	s_and_saveexec_b64 s[14:15], vcc
	s_xor_b64 s[14:15], exec, s[14:15]
	s_cbranch_execz .LBB392_163
; %bb.160:
	s_movk_i32 s0, 0x80
	v_cmp_eq_u16_e32 vcc, s0, v4
	s_mov_b64 s[0:1], -1
	s_and_saveexec_b64 s[20:21], vcc
; %bb.161:
	s_xor_b64 s[0:1], exec, -1
; %bb.162:
	s_or_b64 exec, exec, s[20:21]
	s_and_b64 s[0:1], s[0:1], exec
.LBB392_163:
	s_or_saveexec_b64 s[14:15], s[14:15]
	v_bfrev_b32_e32 v2, 4
	v_mov_b32_e32 v3, 0x7ff80000
	s_xor_b64 exec, exec, s[14:15]
; %bb.164:
	v_cmp_ne_u16_e32 vcc, 0, v4
	s_andn2_b64 s[0:1], s[0:1], exec
	s_and_b64 s[20:21], vcc, exec
	v_mov_b64_e32 v[2:3], 0
	s_or_b64 s[0:1], s[0:1], s[20:21]
; %bb.165:
	s_or_b64 exec, exec, s[14:15]
	s_and_saveexec_b64 s[14:15], s[0:1]
	s_cbranch_execz .LBB392_167
; %bb.166:
	v_and_b32_e32 v3, 0xffff, v4
	v_lshlrev_b32_e32 v2, 24, v4
	v_and_b32_e32 v4, 7, v3
	v_ffbh_u32_e32 v6, v4
	v_min_u32_e32 v6, 32, v6
	v_subrev_u32_e32 v7, 28, v6
	v_bfe_u32 v5, v3, 3, 4
	v_lshlrev_b32_e32 v3, v7, v3
	v_sub_u32_e32 v6, 29, v6
	v_and_b32_e32 v3, 7, v3
	v_cmp_eq_u32_e32 vcc, 0, v5
	v_and_b32_e32 v2, 0x80000000, v2
	s_nop 0
	v_cndmask_b32_e32 v5, v5, v6, vcc
	v_cndmask_b32_e32 v3, v4, v3, vcc
	v_mov_b32_e32 v4, 0x3b800000
	v_lshlrev_b32_e32 v3, 20, v3
	v_lshl_add_u32 v4, v5, 23, v4
	v_or3_b32 v2, v2, v4, v3
	v_cvt_f64_f32_e32 v[2:3], v2
.LBB392_167:
	s_or_b64 exec, exec, s[14:15]
.LBB392_168:
	s_mov_b64 s[0:1], -1
.LBB392_169:
	s_branch .LBB392_202
.LBB392_170:
	s_cmp_gt_i32 s24, 22
	s_cbranch_scc0 .LBB392_182
; %bb.171:
	s_cmp_lt_i32 s24, 24
	s_cbranch_scc1 .LBB392_183
; %bb.172:
	s_cmp_gt_i32 s24, 24
	s_cbranch_scc0 .LBB392_184
; %bb.173:
	global_load_ubyte v4, v[0:1], off
	s_movk_i32 s0, 0x7f
	s_waitcnt vmcnt(0)
	v_cmp_lt_i16_e32 vcc, s0, v4
	s_mov_b64 s[0:1], 0
	s_and_saveexec_b64 s[14:15], vcc
	s_xor_b64 s[14:15], exec, s[14:15]
	s_cbranch_execz .LBB392_177
; %bb.174:
	s_movk_i32 s0, 0x80
	v_cmp_eq_u16_e32 vcc, s0, v4
	s_mov_b64 s[0:1], -1
	s_and_saveexec_b64 s[20:21], vcc
; %bb.175:
	s_xor_b64 s[0:1], exec, -1
; %bb.176:
	s_or_b64 exec, exec, s[20:21]
	s_and_b64 s[0:1], s[0:1], exec
.LBB392_177:
	s_or_saveexec_b64 s[14:15], s[14:15]
	v_bfrev_b32_e32 v2, 4
	v_mov_b32_e32 v3, 0x7ff80000
	s_xor_b64 exec, exec, s[14:15]
; %bb.178:
	v_cmp_ne_u16_e32 vcc, 0, v4
	s_andn2_b64 s[0:1], s[0:1], exec
	s_and_b64 s[20:21], vcc, exec
	v_mov_b64_e32 v[2:3], 0
	s_or_b64 s[0:1], s[0:1], s[20:21]
; %bb.179:
	s_or_b64 exec, exec, s[14:15]
	s_and_saveexec_b64 s[14:15], s[0:1]
	s_cbranch_execz .LBB392_181
; %bb.180:
	v_and_b32_e32 v3, 0xffff, v4
	v_lshlrev_b32_e32 v2, 24, v4
	v_and_b32_e32 v4, 3, v3
	v_ffbh_u32_e32 v6, v4
	v_min_u32_e32 v6, 32, v6
	v_subrev_u32_e32 v7, 29, v6
	v_bfe_u32 v5, v3, 2, 5
	v_lshlrev_b32_e32 v3, v7, v3
	v_sub_u32_e32 v6, 30, v6
	v_and_b32_e32 v3, 3, v3
	v_cmp_eq_u32_e32 vcc, 0, v5
	v_and_b32_e32 v2, 0x80000000, v2
	s_nop 0
	v_cndmask_b32_e32 v5, v5, v6, vcc
	v_cndmask_b32_e32 v3, v4, v3, vcc
	v_mov_b32_e32 v4, 0x37800000
	v_lshlrev_b32_e32 v3, 21, v3
	v_lshl_add_u32 v4, v5, 23, v4
	v_or3_b32 v2, v2, v4, v3
	v_cvt_f64_f32_e32 v[2:3], v2
.LBB392_181:
	s_or_b64 exec, exec, s[14:15]
	s_mov_b64 s[0:1], 0
	s_branch .LBB392_185
.LBB392_182:
	s_mov_b64 s[14:15], -1
                                        ; implicit-def: $vgpr2_vgpr3
	s_branch .LBB392_191
.LBB392_183:
	s_mov_b64 s[0:1], -1
                                        ; implicit-def: $vgpr2_vgpr3
	s_branch .LBB392_188
.LBB392_184:
	s_mov_b64 s[0:1], -1
                                        ; implicit-def: $vgpr2_vgpr3
.LBB392_185:
	s_and_b64 vcc, exec, s[0:1]
	s_cbranch_vccz .LBB392_187
; %bb.186:
	global_load_ubyte v2, v[0:1], off
	s_mov_b32 s0, 0x7f800000
	s_waitcnt vmcnt(0)
	v_lshlrev_b32_e32 v2, 24, v2
	v_and_b32_e32 v3, 0x7f000000, v2
	v_ffbh_u32_e32 v4, v3
	v_min_u32_e32 v4, 32, v4
	v_sub_u32_e64 v4, v4, 4 clamp
	v_lshlrev_b32_e32 v6, v4, v3
	v_lshlrev_b32_e32 v4, 23, v4
	v_lshrrev_b32_e32 v6, 4, v6
	v_add_u32_e32 v5, 0x1000000, v3
	v_sub_u32_e32 v4, v6, v4
	v_ashrrev_i32_e32 v5, 8, v5
	v_add_u32_e32 v4, 0x3c000000, v4
	v_and_or_b32 v4, v5, s0, v4
	v_cmp_ne_u32_e32 vcc, 0, v3
	s_brev_b32 s0, 1
	s_nop 0
	v_cndmask_b32_e32 v3, 0, v4, vcc
	v_and_or_b32 v2, v2, s0, v3
	v_cvt_f64_f32_e32 v[2:3], v2
.LBB392_187:
	s_mov_b64 s[0:1], 0
.LBB392_188:
	s_andn2_b64 vcc, exec, s[0:1]
	s_cbranch_vccnz .LBB392_190
; %bb.189:
	global_load_ubyte v2, v[0:1], off
	s_movk_i32 s0, 0x7f00
	s_brev_b32 s1, 16
	s_waitcnt vmcnt(0)
	v_lshlrev_b16_e32 v3, 8, v2
	v_lshlrev_b32_e32 v2, 25, v2
	v_lshrrev_b32_e32 v4, 4, v2
	v_and_or_b32 v5, v3, s0, 0.5
	v_or_b32_e32 v4, 0x70000000, v4
	v_add_f32_e32 v5, -0.5, v5
	v_mul_f32_e32 v4, 0x7800000, v4
	v_cmp_gt_u32_e32 vcc, s1, v2
	v_bfe_i32 v3, v3, 0, 16
	s_brev_b32 s0, 1
	v_cndmask_b32_e32 v2, v4, v5, vcc
	v_and_or_b32 v2, v3, s0, v2
	v_cvt_f64_f32_e32 v[2:3], v2
.LBB392_190:
	s_mov_b64 s[14:15], 0
	s_mov_b64 s[0:1], -1
.LBB392_191:
	s_andn2_b64 vcc, exec, s[14:15]
	s_cbranch_vccnz .LBB392_202
; %bb.192:
	s_cmp_gt_i32 s24, 14
	s_cbranch_scc0 .LBB392_195
; %bb.193:
	s_cmp_eq_u32 s24, 15
	s_cbranch_scc0 .LBB392_196
; %bb.194:
	global_load_ushort v2, v[0:1], off
	s_mov_b64 s[0:1], -1
	s_mov_b64 s[16:17], 0
	s_waitcnt vmcnt(0)
	v_lshlrev_b32_e32 v2, 16, v2
	v_cvt_f64_f32_e32 v[2:3], v2
	s_branch .LBB392_197
.LBB392_195:
	s_mov_b64 s[14:15], -1
                                        ; implicit-def: $vgpr2_vgpr3
	s_branch .LBB392_198
.LBB392_196:
	s_mov_b64 s[16:17], -1
                                        ; implicit-def: $vgpr2_vgpr3
.LBB392_197:
	s_mov_b64 s[14:15], 0
.LBB392_198:
	s_and_b64 vcc, exec, s[14:15]
	s_cbranch_vccz .LBB392_202
; %bb.199:
	s_cmp_eq_u32 s24, 11
	s_cbranch_scc0 .LBB392_201
; %bb.200:
	global_load_ubyte v3, v[0:1], off
	v_mov_b32_e32 v4, 0x3ff00000
	v_mov_b32_e32 v2, 0
	s_mov_b64 s[0:1], -1
	s_mov_b64 s[16:17], 0
	s_waitcnt vmcnt(0)
	v_cmp_ne_u16_e32 vcc, 0, v3
	s_nop 1
	v_cndmask_b32_e32 v3, 0, v4, vcc
	s_branch .LBB392_202
.LBB392_201:
	s_mov_b64 s[16:17], -1
                                        ; implicit-def: $vgpr2_vgpr3
.LBB392_202:
	s_branch .LBB392_10
.LBB392_203:
	s_cmp_lt_i32 s24, 5
	s_cbranch_scc1 .LBB392_208
; %bb.204:
	s_cmp_lt_i32 s24, 8
	s_cbranch_scc1 .LBB392_209
; %bb.205:
	;; [unrolled: 3-line block ×3, first 2 shown]
	s_cmp_gt_i32 s24, 9
	s_cbranch_scc0 .LBB392_211
; %bb.207:
	global_load_dwordx2 v[2:3], v[0:1], off
	s_mov_b64 s[0:1], 0
	s_branch .LBB392_212
.LBB392_208:
                                        ; implicit-def: $vgpr2_vgpr3
	s_branch .LBB392_230
.LBB392_209:
	s_mov_b64 s[0:1], -1
                                        ; implicit-def: $vgpr2_vgpr3
	s_branch .LBB392_218
.LBB392_210:
	s_mov_b64 s[0:1], -1
                                        ; implicit-def: $vgpr2_vgpr3
	s_branch .LBB392_215
.LBB392_211:
	s_mov_b64 s[0:1], -1
                                        ; implicit-def: $vgpr2_vgpr3
.LBB392_212:
	s_andn2_b64 vcc, exec, s[0:1]
	s_cbranch_vccnz .LBB392_214
; %bb.213:
	global_load_dword v2, v[0:1], off
	s_waitcnt vmcnt(0)
	v_cvt_f64_f32_e32 v[2:3], v2
.LBB392_214:
	s_mov_b64 s[0:1], 0
.LBB392_215:
	s_andn2_b64 vcc, exec, s[0:1]
	s_cbranch_vccnz .LBB392_217
; %bb.216:
	global_load_dword v2, v[0:1], off
	s_waitcnt vmcnt(0)
	v_cvt_f32_f16_e32 v2, v2
	v_cvt_f64_f32_e32 v[2:3], v2
.LBB392_217:
	s_mov_b64 s[0:1], 0
.LBB392_218:
	s_andn2_b64 vcc, exec, s[0:1]
	s_cbranch_vccnz .LBB392_229
; %bb.219:
	s_cmp_lt_i32 s24, 6
	s_cbranch_scc1 .LBB392_222
; %bb.220:
	s_cmp_gt_i32 s24, 6
	s_cbranch_scc0 .LBB392_223
; %bb.221:
	global_load_dwordx2 v[2:3], v[0:1], off
	s_mov_b64 s[0:1], 0
	s_branch .LBB392_224
.LBB392_222:
	s_mov_b64 s[0:1], -1
                                        ; implicit-def: $vgpr2_vgpr3
	s_branch .LBB392_227
.LBB392_223:
	s_mov_b64 s[0:1], -1
                                        ; implicit-def: $vgpr2_vgpr3
.LBB392_224:
	s_andn2_b64 vcc, exec, s[0:1]
	s_cbranch_vccnz .LBB392_226
; %bb.225:
	global_load_dword v2, v[0:1], off
	s_waitcnt vmcnt(0)
	v_cvt_f64_f32_e32 v[2:3], v2
.LBB392_226:
	s_mov_b64 s[0:1], 0
.LBB392_227:
	s_andn2_b64 vcc, exec, s[0:1]
	s_cbranch_vccnz .LBB392_229
; %bb.228:
	global_load_ushort v2, v[0:1], off
	s_waitcnt vmcnt(0)
	v_cvt_f32_f16_e32 v2, v2
	v_cvt_f64_f32_e32 v[2:3], v2
.LBB392_229:
	s_cbranch_execnz .LBB392_249
.LBB392_230:
	s_cmp_lt_i32 s24, 2
	s_cbranch_scc1 .LBB392_234
; %bb.231:
	s_cmp_lt_i32 s24, 3
	s_cbranch_scc1 .LBB392_235
; %bb.232:
	s_cmp_gt_i32 s24, 3
	s_cbranch_scc0 .LBB392_236
; %bb.233:
	global_load_dwordx2 v[2:3], v[0:1], off
	s_mov_b64 s[0:1], 0
	s_waitcnt vmcnt(0)
	v_cvt_f64_i32_e32 v[4:5], v3
	v_cvt_f64_u32_e32 v[2:3], v2
	v_ldexp_f64 v[4:5], v[4:5], 32
	v_add_f64 v[2:3], v[4:5], v[2:3]
	s_branch .LBB392_237
.LBB392_234:
	s_mov_b64 s[0:1], -1
                                        ; implicit-def: $vgpr2_vgpr3
	s_branch .LBB392_243
.LBB392_235:
	s_mov_b64 s[0:1], -1
                                        ; implicit-def: $vgpr2_vgpr3
	s_branch .LBB392_240
.LBB392_236:
	s_mov_b64 s[0:1], -1
                                        ; implicit-def: $vgpr2_vgpr3
.LBB392_237:
	s_andn2_b64 vcc, exec, s[0:1]
	s_cbranch_vccnz .LBB392_239
; %bb.238:
	global_load_dword v2, v[0:1], off
	s_waitcnt vmcnt(0)
	v_cvt_f64_i32_e32 v[2:3], v2
.LBB392_239:
	s_mov_b64 s[0:1], 0
.LBB392_240:
	s_andn2_b64 vcc, exec, s[0:1]
	s_cbranch_vccnz .LBB392_242
; %bb.241:
	global_load_sshort v2, v[0:1], off
	s_waitcnt vmcnt(0)
	v_cvt_f64_i32_e32 v[2:3], v2
.LBB392_242:
	s_mov_b64 s[0:1], 0
.LBB392_243:
	s_andn2_b64 vcc, exec, s[0:1]
	s_cbranch_vccnz .LBB392_249
; %bb.244:
	s_cmp_gt_i32 s24, 0
	s_cbranch_scc0 .LBB392_246
; %bb.245:
	global_load_sbyte v2, v[0:1], off
	s_mov_b64 s[0:1], 0
	s_waitcnt vmcnt(0)
	v_cvt_f64_i32_e32 v[2:3], v2
	s_branch .LBB392_247
.LBB392_246:
	s_mov_b64 s[0:1], -1
                                        ; implicit-def: $vgpr2_vgpr3
.LBB392_247:
	s_andn2_b64 vcc, exec, s[0:1]
	s_cbranch_vccnz .LBB392_249
; %bb.248:
	global_load_ubyte v0, v[0:1], off
	s_waitcnt vmcnt(0)
	v_cvt_f64_u32_e32 v[2:3], v0
.LBB392_249:
	s_branch .LBB392_11
.LBB392_250:
	s_mov_b64 s[0:1], 0
                                        ; implicit-def: $vgpr12
	s_mov_b64 s[20:21], 0
.LBB392_251:
	s_and_b64 s[14:15], s[0:1], exec
	s_and_b64 s[16:17], s[16:17], exec
	s_orn2_b64 s[20:21], s[20:21], exec
.LBB392_252:
	s_or_b64 exec, exec, s[18:19]
	s_mov_b64 s[24:25], 0
	s_mov_b64 s[0:1], 0
                                        ; implicit-def: $vgpr0_vgpr1
                                        ; implicit-def: $vgpr2_vgpr3
	s_and_saveexec_b64 s[18:19], s[20:21]
	s_cbranch_execz .LBB392_261
; %bb.253:
	v_cmp_gt_i32_e32 vcc, s40, v12
	s_mov_b64 s[0:1], -1
	s_mov_b64 s[20:21], s[16:17]
	s_mov_b64 s[22:23], s[14:15]
	s_and_saveexec_b64 s[24:25], vcc
	s_cbranch_execz .LBB392_513
; %bb.254:
	v_mul_lo_u32 v0, v12, s9
	v_ashrrev_i32_e32 v1, 31, v0
	s_and_b32 s28, 0xffff, s44
	s_cmp_lt_i32 s28, 11
	v_lshl_add_u64 v[0:1], s[6:7], 0, v[0:1]
	s_cbranch_scc1 .LBB392_264
; %bb.255:
	s_cmp_gt_i32 s28, 25
	s_cbranch_scc0 .LBB392_273
; %bb.256:
	s_cmp_gt_i32 s28, 28
	s_cbranch_scc0 .LBB392_275
	;; [unrolled: 3-line block ×4, first 2 shown]
; %bb.259:
	s_cmp_eq_u32 s28, 46
	s_mov_b64 s[22:23], 0
	s_cbranch_scc0 .LBB392_285
; %bb.260:
	global_load_dword v2, v[0:1], off
	s_mov_b64 s[20:21], 0
	s_waitcnt vmcnt(0)
	v_lshlrev_b32_e32 v2, 16, v2
	v_cvt_f64_f32_e32 v[2:3], v2
	s_branch .LBB392_286
.LBB392_261:
	s_or_b64 exec, exec, s[18:19]
	s_mov_b64 s[18:19], 0
	s_and_saveexec_b64 s[20:21], s[16:17]
	s_cbranch_execnz .LBB392_859
.LBB392_262:
	s_or_b64 exec, exec, s[20:21]
	s_and_saveexec_b64 s[16:17], s[22:23]
	s_xor_b64 s[16:17], exec, s[16:17]
	s_cbranch_execz .LBB392_860
.LBB392_263:
	global_load_ubyte v3, v[0:1], off
	v_mov_b32_e32 v4, 0x3ff00000
	s_waitcnt vmcnt(1)
	v_mov_b32_e32 v2, 0
	s_or_b64 s[0:1], s[0:1], exec
	s_waitcnt vmcnt(0)
	v_cmp_ne_u16_e32 vcc, 0, v3
	s_nop 1
	v_cndmask_b32_e32 v3, 0, v4, vcc
	s_or_b64 exec, exec, s[16:17]
	s_and_saveexec_b64 s[16:17], s[24:25]
	s_cbranch_execz .LBB392_906
	s_branch .LBB392_861
.LBB392_264:
	s_mov_b64 s[0:1], 0
                                        ; implicit-def: $vgpr2_vgpr3
	s_mov_b64 s[20:21], s[16:17]
	s_cbranch_execnz .LBB392_463
.LBB392_265:
	s_andn2_b64 vcc, exec, s[0:1]
	s_cbranch_vccnz .LBB392_511
.LBB392_266:
	v_max_f64 v[0:1], s[10:11], s[10:11]
	s_waitcnt vmcnt(0)
	v_max_f64 v[4:5], v[2:3], v[2:3]
	v_max_f64 v[0:1], v[4:5], v[0:1]
	v_cmp_u_f64_e32 vcc, v[2:3], v[2:3]
	s_and_b32 s30, s33, 0xff
	s_cmp_lt_i32 s30, 11
	v_cndmask_b32_e32 v0, v0, v2, vcc
	v_mul_lo_u32 v2, v12, s8
	v_cndmask_b32_e32 v1, v1, v3, vcc
	v_ashrrev_i32_e32 v3, 31, v2
	v_lshl_add_u64 v[4:5], s[4:5], 0, v[2:3]
	s_cbranch_scc1 .LBB392_274
; %bb.267:
	s_and_b32 s31, 0xffff, s30
	s_cmp_gt_i32 s31, 25
	s_cbranch_scc0 .LBB392_276
; %bb.268:
	s_cmp_gt_i32 s31, 28
	s_cbranch_scc0 .LBB392_278
; %bb.269:
	;; [unrolled: 3-line block ×4, first 2 shown]
	s_mov_b64 s[26:27], 0
	s_mov_b64 s[0:1], -1
	s_cmp_eq_u32 s31, 46
	s_mov_b64 s[22:23], 0
	s_cbranch_scc0 .LBB392_290
; %bb.272:
	v_cvt_f32_f64_e32 v2, v[0:1]
	v_bfe_u32 v3, v2, 16, 1
	s_movk_i32 s0, 0x7fff
	v_add3_u32 v3, v2, v3, s0
	v_cmp_o_f32_e32 vcc, v2, v2
	v_mov_b32_e32 v2, 0x7fc0
	s_mov_b64 s[22:23], -1
	v_cndmask_b32_sdwa v2, v2, v3, vcc dst_sel:DWORD dst_unused:UNUSED_PAD src0_sel:DWORD src1_sel:WORD_1
	global_store_dword v[4:5], v2, off
	s_mov_b64 s[0:1], 0
	s_branch .LBB392_290
.LBB392_273:
	s_mov_b64 s[22:23], -1
	s_mov_b64 s[0:1], 0
	s_mov_b64 s[20:21], s[16:17]
                                        ; implicit-def: $vgpr2_vgpr3
	s_branch .LBB392_429
.LBB392_274:
	s_mov_b64 s[26:27], -1
	s_mov_b64 s[22:23], 0
	s_mov_b64 s[0:1], s[14:15]
	s_branch .LBB392_359
.LBB392_275:
	s_mov_b64 s[22:23], -1
	s_mov_b64 s[0:1], 0
	s_mov_b64 s[20:21], s[16:17]
                                        ; implicit-def: $vgpr2_vgpr3
	s_branch .LBB392_408
.LBB392_276:
	s_mov_b64 s[26:27], -1
	s_mov_b64 s[22:23], 0
	s_mov_b64 s[0:1], s[14:15]
	s_branch .LBB392_317
.LBB392_277:
	s_mov_b64 s[22:23], -1
	s_mov_b64 s[0:1], 0
	s_mov_b64 s[20:21], s[16:17]
                                        ; implicit-def: $vgpr2_vgpr3
	s_branch .LBB392_403
.LBB392_278:
	s_mov_b64 s[26:27], -1
	s_mov_b64 s[22:23], 0
	s_mov_b64 s[0:1], s[14:15]
	s_branch .LBB392_300
.LBB392_279:
	s_andn2_saveexec_b64 s[24:25], s[24:25]
	s_cbranch_execz .LBB392_55
.LBB392_280:
	s_mov_b32 s28, 0x46000000
	v_add_f32_e64 v3, |v2|, s28
	v_and_b32_e32 v3, 0xff, v3
	v_cmp_ne_u32_e32 vcc, 0, v3
	s_andn2_b64 s[20:21], s[20:21], exec
	s_and_b64 s[28:29], vcc, exec
	s_or_b64 s[20:21], s[20:21], s[28:29]
	s_or_b64 exec, exec, s[24:25]
	v_mov_b32_e32 v6, 0
	s_and_saveexec_b64 s[24:25], s[20:21]
	s_cbranch_execnz .LBB392_56
	s_branch .LBB392_57
.LBB392_281:
	s_mov_b64 s[22:23], -1
	s_mov_b64 s[0:1], 0
	s_mov_b64 s[20:21], s[16:17]
                                        ; implicit-def: $vgpr2_vgpr3
	s_branch .LBB392_286
.LBB392_282:
	s_mov_b64 s[26:27], -1
	s_mov_b64 s[22:23], 0
	s_mov_b64 s[0:1], s[14:15]
	s_branch .LBB392_296
.LBB392_283:
	s_andn2_saveexec_b64 s[24:25], s[24:25]
	s_cbranch_execz .LBB392_68
.LBB392_284:
	s_mov_b32 s28, 0x42800000
	v_add_f32_e64 v3, |v2|, s28
	v_and_b32_e32 v3, 0xff, v3
	v_cmp_ne_u32_e32 vcc, 0, v3
	s_andn2_b64 s[20:21], s[20:21], exec
	s_and_b64 s[28:29], vcc, exec
	s_or_b64 s[20:21], s[20:21], s[28:29]
	s_or_b64 exec, exec, s[24:25]
	v_mov_b32_e32 v6, 0
	s_and_saveexec_b64 s[24:25], s[20:21]
	s_cbranch_execnz .LBB392_69
	s_branch .LBB392_70
.LBB392_285:
	s_mov_b64 s[20:21], -1
                                        ; implicit-def: $vgpr2_vgpr3
	s_mov_b64 s[0:1], 0
.LBB392_286:
	s_and_b64 vcc, exec, s[22:23]
	s_cbranch_vccz .LBB392_402
; %bb.287:
	s_cmp_eq_u32 s28, 44
	s_cbranch_scc0 .LBB392_401
; %bb.288:
	global_load_ubyte v4, v[0:1], off
	s_movk_i32 s20, 0xff
	v_bfrev_b32_e32 v5, 4
	v_mov_b32_e32 v6, 0x7ff80000
	v_bfrev_b32_e32 v7, 28
	s_mov_b64 s[0:1], -1
	s_waitcnt vmcnt(0)
	v_lshlrev_b32_e32 v2, 23, v4
	v_cvt_f64_f32_e32 v[2:3], v2
	v_cmp_ne_u32_e32 vcc, s20, v4
	s_mov_b64 s[20:21], 0
	s_nop 0
	v_cndmask_b32_e32 v2, v5, v2, vcc
	v_cndmask_b32_e32 v3, v6, v3, vcc
	v_cmp_ne_u32_e32 vcc, 0, v4
	s_nop 1
	v_cndmask_b32_e32 v3, v7, v3, vcc
	v_cndmask_b32_e32 v2, 0, v2, vcc
	s_branch .LBB392_402
.LBB392_289:
	s_mov_b64 s[26:27], -1
	s_mov_b64 s[22:23], 0
	s_mov_b64 s[0:1], s[14:15]
.LBB392_290:
	s_and_b64 vcc, exec, s[26:27]
	s_cbranch_vccz .LBB392_295
; %bb.291:
	s_cmp_eq_u32 s31, 44
	s_mov_b64 s[0:1], -1
	s_cbranch_scc0 .LBB392_295
; %bb.292:
	v_cvt_f32_f64_e32 v2, v[0:1]
	v_bfe_u32 v3, v2, 23, 8
	s_movk_i32 s0, 0xff
	v_cmp_ne_u32_e32 vcc, s0, v3
	v_mov_b32_e32 v6, 0xff
	s_and_saveexec_b64 s[22:23], vcc
; %bb.293:
	s_mov_b32 s0, 0x3fffff
	v_lshrrev_b32_e32 v6, 23, v2
	v_and_b32_e32 v7, 0x400000, v2
	v_and_or_b32 v2, v2, s0, v3
	v_cmp_ne_u32_e32 vcc, 0, v7
	v_cmp_ne_u32_e64 s[0:1], 0, v2
	s_and_b64 s[0:1], vcc, s[0:1]
	s_nop 0
	v_cndmask_b32_e64 v2, 0, 1, s[0:1]
	v_add_u32_e32 v6, v6, v2
; %bb.294:
	s_or_b64 exec, exec, s[22:23]
	s_mov_b64 s[22:23], -1
	s_mov_b64 s[0:1], 0
	global_store_byte v[4:5], v6, off
.LBB392_295:
	s_mov_b64 s[26:27], 0
.LBB392_296:
	s_and_b64 vcc, exec, s[26:27]
	s_cbranch_vccz .LBB392_299
; %bb.297:
	s_cmp_eq_u32 s31, 29
	s_mov_b64 s[0:1], -1
	s_cbranch_scc0 .LBB392_299
; %bb.298:
	v_trunc_f64_e32 v[2:3], v[0:1]
	s_movk_i32 s0, 0xffe0
	v_ldexp_f64 v[6:7], v[2:3], s0
	v_floor_f64_e32 v[6:7], v[6:7]
	v_fmac_f64_e32 v[2:3], 0xc1f00000, v[6:7]
	v_cvt_u32_f64_e32 v9, v[6:7]
	v_cvt_u32_f64_e32 v8, v[2:3]
	global_store_dwordx2 v[4:5], v[8:9], off
	s_mov_b64 s[22:23], -1
	s_mov_b64 s[0:1], 0
.LBB392_299:
	s_mov_b64 s[26:27], 0
.LBB392_300:
	s_and_b64 vcc, exec, s[26:27]
	s_cbranch_vccz .LBB392_316
; %bb.301:
	s_cmp_lt_i32 s31, 27
	s_mov_b64 s[22:23], -1
	s_cbranch_scc1 .LBB392_307
; %bb.302:
	s_cmp_gt_i32 s31, 27
	v_cvt_u32_f64_e32 v2, v[0:1]
	s_cbranch_scc0 .LBB392_304
; %bb.303:
	s_mov_b64 s[22:23], 0
	global_store_dword v[4:5], v2, off
.LBB392_304:
	s_andn2_b64 vcc, exec, s[22:23]
	s_cbranch_vccnz .LBB392_306
; %bb.305:
	global_store_short v[4:5], v2, off
.LBB392_306:
	s_mov_b64 s[22:23], 0
.LBB392_307:
	s_andn2_b64 vcc, exec, s[22:23]
	s_cbranch_vccnz .LBB392_315
; %bb.308:
	v_cvt_f32_f64_e32 v2, v[0:1]
	v_and_b32_e32 v3, 0x7fffffff, v2
	s_mov_b32 s22, 0x43800000
	v_cmp_gt_u32_e32 vcc, s22, v3
	v_mov_b32_e32 v6, 0x80
	s_and_saveexec_b64 s[22:23], vcc
	s_cbranch_execz .LBB392_314
; %bb.309:
	s_mov_b32 s26, 0x3bffffff
	v_cmp_lt_u32_e32 vcc, s26, v3
	s_mov_b64 s[26:27], 0
                                        ; implicit-def: $vgpr3
	s_and_saveexec_b64 s[28:29], vcc
	s_xor_b64 s[28:29], exec, s[28:29]
	s_cbranch_execz .LBB392_526
; %bb.310:
	v_bfe_u32 v3, v2, 20, 1
	s_mov_b32 s34, 0x487ffff
	v_add3_u32 v3, v2, v3, s34
	s_mov_b64 s[26:27], exec
	v_lshrrev_b32_e32 v3, 20, v3
	s_andn2_saveexec_b64 s[28:29], s[28:29]
	s_cbranch_execnz .LBB392_527
.LBB392_311:
	s_or_b64 exec, exec, s[28:29]
	v_mov_b32_e32 v6, 0
	s_and_saveexec_b64 s[28:29], s[26:27]
.LBB392_312:
	v_lshrrev_b32_e32 v2, 24, v2
	s_movk_i32 s26, 0x80
	v_and_or_b32 v6, v2, s26, v3
.LBB392_313:
	s_or_b64 exec, exec, s[28:29]
.LBB392_314:
	s_or_b64 exec, exec, s[22:23]
	global_store_byte v[4:5], v6, off
.LBB392_315:
	s_mov_b64 s[22:23], -1
.LBB392_316:
	s_mov_b64 s[26:27], 0
.LBB392_317:
	s_and_b64 vcc, exec, s[26:27]
	s_cbranch_vccz .LBB392_358
; %bb.318:
	s_cmp_gt_i32 s31, 22
	s_mov_b64 s[26:27], -1
	s_cbranch_scc0 .LBB392_350
; %bb.319:
	s_cmp_lt_i32 s31, 24
	s_mov_b64 s[22:23], -1
	s_cbranch_scc1 .LBB392_339
; %bb.320:
	s_cmp_gt_i32 s31, 24
	s_cbranch_scc0 .LBB392_328
; %bb.321:
	v_cvt_f32_f64_e32 v2, v[0:1]
	v_and_b32_e32 v3, 0x7fffffff, v2
	s_mov_b32 s22, 0x47800000
	v_cmp_gt_u32_e32 vcc, s22, v3
	v_mov_b32_e32 v6, 0x80
	s_and_saveexec_b64 s[22:23], vcc
	s_cbranch_execz .LBB392_327
; %bb.322:
	s_mov_b32 s26, 0x37ffffff
	v_cmp_lt_u32_e32 vcc, s26, v3
	s_mov_b64 s[26:27], 0
                                        ; implicit-def: $vgpr3
	s_and_saveexec_b64 s[28:29], vcc
	s_xor_b64 s[28:29], exec, s[28:29]
	s_cbranch_execz .LBB392_529
; %bb.323:
	v_bfe_u32 v3, v2, 21, 1
	s_mov_b32 s34, 0x88fffff
	v_add3_u32 v3, v2, v3, s34
	s_mov_b64 s[26:27], exec
	v_lshrrev_b32_e32 v3, 21, v3
	s_andn2_saveexec_b64 s[28:29], s[28:29]
	s_cbranch_execnz .LBB392_530
.LBB392_324:
	s_or_b64 exec, exec, s[28:29]
	v_mov_b32_e32 v6, 0
	s_and_saveexec_b64 s[28:29], s[26:27]
.LBB392_325:
	v_lshrrev_b32_e32 v2, 24, v2
	s_movk_i32 s26, 0x80
	v_and_or_b32 v6, v2, s26, v3
.LBB392_326:
	s_or_b64 exec, exec, s[28:29]
.LBB392_327:
	s_or_b64 exec, exec, s[22:23]
	s_mov_b64 s[22:23], 0
	global_store_byte v[4:5], v6, off
.LBB392_328:
	s_and_b64 vcc, exec, s[22:23]
	s_cbranch_vccz .LBB392_338
; %bb.329:
	v_cvt_f32_f64_e32 v2, v[0:1]
	v_and_b32_e32 v6, 0x7fffffff, v2
	s_mov_b32 s22, 0x43f00000
	v_cmp_gt_u32_e32 vcc, s22, v6
                                        ; implicit-def: $vgpr3
	s_and_saveexec_b64 s[22:23], vcc
	s_xor_b64 s[22:23], exec, s[22:23]
	s_cbranch_execz .LBB392_335
; %bb.330:
	s_mov_b32 s26, 0x3c7fffff
	v_cmp_lt_u32_e32 vcc, s26, v6
                                        ; implicit-def: $vgpr3
	s_and_saveexec_b64 s[26:27], vcc
	s_xor_b64 s[26:27], exec, s[26:27]
; %bb.331:
	v_bfe_u32 v3, v2, 20, 1
	s_mov_b32 s28, 0x407ffff
	v_add3_u32 v3, v2, v3, s28
	v_lshrrev_b32_e32 v6, 20, v3
	v_and_b32_e32 v3, 0xff00000, v3
	s_mov_b32 s28, 0x7f00000
	v_mov_b32_e32 v7, 0x7e
	v_cmp_ne_u32_e32 vcc, s28, v3
	s_nop 1
	v_cndmask_b32_e32 v3, v7, v6, vcc
; %bb.332:
	s_andn2_saveexec_b64 s[26:27], s[26:27]
; %bb.333:
	s_mov_b32 s28, 0x46800000
	v_add_f32_e64 v3, |v2|, s28
; %bb.334:
	s_or_b64 exec, exec, s[26:27]
                                        ; implicit-def: $vgpr6
.LBB392_335:
	s_andn2_saveexec_b64 s[22:23], s[22:23]
; %bb.336:
	s_mov_b32 s26, 0x7f800000
	v_mov_b32_e32 v3, 0x7e
	v_mov_b32_e32 v7, 0x7f
	v_cmp_lt_u32_e32 vcc, s26, v6
	s_nop 1
	v_cndmask_b32_e32 v3, v3, v7, vcc
; %bb.337:
	s_or_b64 exec, exec, s[22:23]
	v_lshrrev_b32_e32 v2, 24, v2
	s_movk_i32 s22, 0x80
	v_and_or_b32 v2, v2, s22, v3
	global_store_byte v[4:5], v2, off
.LBB392_338:
	s_mov_b64 s[22:23], 0
.LBB392_339:
	s_andn2_b64 vcc, exec, s[22:23]
	s_cbranch_vccnz .LBB392_349
; %bb.340:
	v_cvt_f32_f64_e32 v2, v[0:1]
	v_and_b32_e32 v6, 0x7fffffff, v2
	s_mov_b32 s22, 0x47800000
	v_cmp_gt_u32_e32 vcc, s22, v6
                                        ; implicit-def: $vgpr3
	s_and_saveexec_b64 s[22:23], vcc
	s_xor_b64 s[22:23], exec, s[22:23]
	s_cbranch_execz .LBB392_346
; %bb.341:
	s_mov_b32 s26, 0x387fffff
	v_cmp_lt_u32_e32 vcc, s26, v6
                                        ; implicit-def: $vgpr3
	s_and_saveexec_b64 s[26:27], vcc
	s_xor_b64 s[26:27], exec, s[26:27]
; %bb.342:
	v_bfe_u32 v3, v2, 21, 1
	s_mov_b32 s28, 0x80fffff
	v_add3_u32 v3, v2, v3, s28
	v_lshrrev_b32_e32 v3, 21, v3
; %bb.343:
	s_andn2_saveexec_b64 s[26:27], s[26:27]
; %bb.344:
	s_mov_b32 s28, 0x43000000
	v_add_f32_e64 v3, |v2|, s28
; %bb.345:
	s_or_b64 exec, exec, s[26:27]
                                        ; implicit-def: $vgpr6
.LBB392_346:
	s_andn2_saveexec_b64 s[22:23], s[22:23]
; %bb.347:
	s_mov_b32 s26, 0x7f800000
	v_mov_b32_e32 v3, 0x7c
	v_mov_b32_e32 v7, 0x7f
	v_cmp_lt_u32_e32 vcc, s26, v6
	s_nop 1
	v_cndmask_b32_e32 v3, v3, v7, vcc
; %bb.348:
	s_or_b64 exec, exec, s[22:23]
	v_lshrrev_b32_e32 v2, 24, v2
	s_movk_i32 s22, 0x80
	v_and_or_b32 v2, v2, s22, v3
	global_store_byte v[4:5], v2, off
.LBB392_349:
	s_mov_b64 s[26:27], 0
	s_mov_b64 s[22:23], -1
.LBB392_350:
	s_andn2_b64 vcc, exec, s[26:27]
	s_cbranch_vccnz .LBB392_358
; %bb.351:
	s_cmp_gt_i32 s31, 14
	s_mov_b64 s[26:27], -1
	s_cbranch_scc0 .LBB392_355
; %bb.352:
	s_cmp_eq_u32 s31, 15
	s_mov_b64 s[0:1], -1
	s_cbranch_scc0 .LBB392_354
; %bb.353:
	v_cvt_f32_f64_e32 v2, v[0:1]
	v_bfe_u32 v3, v2, 16, 1
	s_movk_i32 s0, 0x7fff
	v_add3_u32 v3, v2, v3, s0
	v_cmp_o_f32_e32 vcc, v2, v2
	v_mov_b32_e32 v2, 0x7fc0
	s_mov_b64 s[22:23], -1
	v_cndmask_b32_sdwa v2, v2, v3, vcc dst_sel:DWORD dst_unused:UNUSED_PAD src0_sel:DWORD src1_sel:WORD_1
	global_store_short v[4:5], v2, off
	s_mov_b64 s[0:1], 0
.LBB392_354:
	s_mov_b64 s[26:27], 0
.LBB392_355:
	s_and_b64 vcc, exec, s[26:27]
	s_cbranch_vccz .LBB392_358
; %bb.356:
	s_cmp_eq_u32 s31, 11
	s_mov_b64 s[0:1], -1
	s_cbranch_scc0 .LBB392_358
; %bb.357:
	v_cmp_neq_f64_e32 vcc, 0, v[0:1]
	s_mov_b64 s[0:1], 0
	s_mov_b64 s[22:23], -1
	v_cndmask_b32_e64 v2, 0, 1, vcc
	global_store_byte v[4:5], v2, off
.LBB392_358:
	s_mov_b64 s[26:27], 0
.LBB392_359:
	s_and_b64 vcc, exec, s[26:27]
	s_cbranch_vccz .LBB392_398
; %bb.360:
	s_and_b32 s26, 0xffff, s30
	s_cmp_lt_i32 s26, 5
	s_mov_b64 s[22:23], -1
	s_cbranch_scc1 .LBB392_381
; %bb.361:
	s_cmp_lt_i32 s26, 8
	s_cbranch_scc1 .LBB392_371
; %bb.362:
	s_cmp_lt_i32 s26, 9
	s_cbranch_scc1 .LBB392_368
; %bb.363:
	s_cmp_gt_i32 s26, 9
	s_cbranch_scc0 .LBB392_365
; %bb.364:
	v_mov_b32_e32 v2, 0
	v_mov_b32_e32 v3, v2
	s_mov_b64 s[22:23], 0
	global_store_dwordx4 v[4:5], v[0:3], off
.LBB392_365:
	s_andn2_b64 vcc, exec, s[22:23]
	s_cbranch_vccnz .LBB392_367
; %bb.366:
	v_cvt_f32_f64_e32 v2, v[0:1]
	v_mov_b32_e32 v3, 0
	global_store_dwordx2 v[4:5], v[2:3], off
.LBB392_367:
	s_mov_b64 s[22:23], 0
.LBB392_368:
	s_andn2_b64 vcc, exec, s[22:23]
	s_cbranch_vccnz .LBB392_370
; %bb.369:
	s_movk_i32 s22, 0x1ff
	v_and_or_b32 v2, v1, s22, v0
	v_cmp_ne_u32_e32 vcc, 0, v2
	v_lshrrev_b32_e32 v3, 8, v1
	s_movk_i32 s22, 0xffe
	v_cndmask_b32_e64 v2, 0, 1, vcc
	v_bfe_u32 v6, v1, 20, 11
	v_and_or_b32 v2, v3, s22, v2
	v_sub_u32_e32 v7, 0x3f1, v6
	v_or_b32_e32 v3, 0x1000, v2
	v_med3_i32 v7, v7, 0, 13
	v_lshrrev_b32_e32 v8, v7, v3
	v_lshlrev_b32_e32 v7, v7, v8
	v_cmp_ne_u32_e32 vcc, v7, v3
	v_add_u32_e32 v6, 0xfffffc10, v6
	v_lshl_or_b32 v7, v6, 12, v2
	v_cndmask_b32_e64 v3, 0, 1, vcc
	v_or_b32_e32 v3, v8, v3
	v_cmp_gt_i32_e32 vcc, 1, v6
	s_movk_i32 s22, 0x40f
	s_nop 0
	v_cndmask_b32_e32 v3, v7, v3, vcc
	v_and_b32_e32 v7, 7, v3
	v_cmp_lt_i32_e32 vcc, 5, v7
	v_lshrrev_b32_e32 v3, 2, v3
	s_nop 0
	v_cndmask_b32_e64 v8, 0, 1, vcc
	v_cmp_eq_u32_e32 vcc, 3, v7
	s_nop 1
	v_cndmask_b32_e64 v7, 0, 1, vcc
	v_or_b32_e32 v7, v7, v8
	v_add_u32_e32 v3, v3, v7
	v_mov_b32_e32 v7, 0x7c00
	v_cmp_gt_i32_e32 vcc, 31, v6
	v_mov_b32_e32 v8, 0x7e00
	s_nop 0
	v_cndmask_b32_e32 v3, v7, v3, vcc
	v_cmp_ne_u32_e32 vcc, 0, v2
	s_nop 1
	v_cndmask_b32_e32 v2, v7, v8, vcc
	v_cmp_eq_u32_e32 vcc, s22, v6
	s_mov_b32 s22, 0x8000
	s_nop 0
	v_cndmask_b32_e32 v2, v3, v2, vcc
	v_and_b32_sdwa v3, v1, s22 dst_sel:DWORD dst_unused:UNUSED_PAD src0_sel:WORD_1 src1_sel:DWORD
	s_mov_b32 s22, 0xffff
	v_bitop3_b32 v2, v3, s22, v2 bitop3:0xc8
	global_store_dword v[4:5], v2, off
.LBB392_370:
	s_mov_b64 s[22:23], 0
.LBB392_371:
	s_andn2_b64 vcc, exec, s[22:23]
	s_cbranch_vccnz .LBB392_380
; %bb.372:
	s_cmp_lt_i32 s26, 6
	s_mov_b64 s[22:23], -1
	s_cbranch_scc1 .LBB392_378
; %bb.373:
	s_cmp_gt_i32 s26, 6
	s_cbranch_scc0 .LBB392_375
; %bb.374:
	s_mov_b64 s[22:23], 0
	global_store_dwordx2 v[4:5], v[0:1], off
.LBB392_375:
	s_andn2_b64 vcc, exec, s[22:23]
	s_cbranch_vccnz .LBB392_377
; %bb.376:
	v_cvt_f32_f64_e32 v2, v[0:1]
	global_store_dword v[4:5], v2, off
.LBB392_377:
	s_mov_b64 s[22:23], 0
.LBB392_378:
	s_andn2_b64 vcc, exec, s[22:23]
	s_cbranch_vccnz .LBB392_380
; %bb.379:
	s_movk_i32 s22, 0x1ff
	v_and_or_b32 v2, v1, s22, v0
	v_cmp_ne_u32_e32 vcc, 0, v2
	v_lshrrev_b32_e32 v3, 8, v1
	s_movk_i32 s22, 0xffe
	v_cndmask_b32_e64 v2, 0, 1, vcc
	v_bfe_u32 v6, v1, 20, 11
	v_and_or_b32 v2, v3, s22, v2
	v_sub_u32_e32 v7, 0x3f1, v6
	v_or_b32_e32 v3, 0x1000, v2
	v_med3_i32 v7, v7, 0, 13
	v_lshrrev_b32_e32 v8, v7, v3
	v_lshlrev_b32_e32 v7, v7, v8
	v_cmp_ne_u32_e32 vcc, v7, v3
	v_add_u32_e32 v6, 0xfffffc10, v6
	v_lshl_or_b32 v7, v6, 12, v2
	v_cndmask_b32_e64 v3, 0, 1, vcc
	v_or_b32_e32 v3, v8, v3
	v_cmp_gt_i32_e32 vcc, 1, v6
	s_movk_i32 s22, 0x40f
	s_nop 0
	v_cndmask_b32_e32 v3, v7, v3, vcc
	v_and_b32_e32 v7, 7, v3
	v_cmp_lt_i32_e32 vcc, 5, v7
	v_lshrrev_b32_e32 v3, 2, v3
	s_nop 0
	v_cndmask_b32_e64 v8, 0, 1, vcc
	v_cmp_eq_u32_e32 vcc, 3, v7
	s_nop 1
	v_cndmask_b32_e64 v7, 0, 1, vcc
	v_or_b32_e32 v7, v7, v8
	v_add_u32_e32 v3, v3, v7
	v_mov_b32_e32 v7, 0x7c00
	v_cmp_gt_i32_e32 vcc, 31, v6
	v_mov_b32_e32 v8, 0x7e00
	s_nop 0
	v_cndmask_b32_e32 v3, v7, v3, vcc
	v_cmp_ne_u32_e32 vcc, 0, v2
	s_nop 1
	v_cndmask_b32_e32 v2, v7, v8, vcc
	v_cmp_eq_u32_e32 vcc, s22, v6
	s_mov_b32 s22, 0x8000
	s_nop 0
	v_cndmask_b32_e32 v2, v3, v2, vcc
	v_lshrrev_b32_e32 v3, 16, v1
	v_and_or_b32 v2, v3, s22, v2
	global_store_short v[4:5], v2, off
.LBB392_380:
	s_mov_b64 s[22:23], 0
.LBB392_381:
	s_andn2_b64 vcc, exec, s[22:23]
	s_cbranch_vccnz .LBB392_397
; %bb.382:
	s_cmp_lt_i32 s26, 2
	s_mov_b64 s[22:23], -1
	s_cbranch_scc1 .LBB392_392
; %bb.383:
	s_cmp_lt_i32 s26, 3
	s_cbranch_scc1 .LBB392_389
; %bb.384:
	s_cmp_gt_i32 s26, 3
	s_cbranch_scc0 .LBB392_386
; %bb.385:
	v_trunc_f64_e32 v[2:3], v[0:1]
	s_movk_i32 s22, 0xffe0
	v_ldexp_f64 v[6:7], v[2:3], s22
	v_floor_f64_e32 v[6:7], v[6:7]
	v_fmac_f64_e32 v[2:3], 0xc1f00000, v[6:7]
	v_cvt_i32_f64_e32 v9, v[6:7]
	v_cvt_u32_f64_e32 v8, v[2:3]
	s_mov_b64 s[22:23], 0
	global_store_dwordx2 v[4:5], v[8:9], off
.LBB392_386:
	s_andn2_b64 vcc, exec, s[22:23]
	s_cbranch_vccnz .LBB392_388
; %bb.387:
	v_cvt_i32_f64_e32 v2, v[0:1]
	global_store_dword v[4:5], v2, off
.LBB392_388:
	s_mov_b64 s[22:23], 0
.LBB392_389:
	s_andn2_b64 vcc, exec, s[22:23]
	s_cbranch_vccnz .LBB392_391
; %bb.390:
	v_cvt_i32_f64_e32 v2, v[0:1]
	global_store_short v[4:5], v2, off
.LBB392_391:
	s_mov_b64 s[22:23], 0
.LBB392_392:
	s_andn2_b64 vcc, exec, s[22:23]
	s_cbranch_vccnz .LBB392_397
; %bb.393:
	s_cmp_gt_i32 s26, 0
	s_mov_b64 s[22:23], -1
	s_cbranch_scc0 .LBB392_395
; %bb.394:
	v_cvt_i32_f64_e32 v2, v[0:1]
	s_mov_b64 s[22:23], 0
	global_store_byte v[4:5], v2, off
.LBB392_395:
	s_andn2_b64 vcc, exec, s[22:23]
	s_cbranch_vccnz .LBB392_397
; %bb.396:
	v_trunc_f64_e32 v[0:1], v[0:1]
	s_movk_i32 s22, 0xffe0
	v_ldexp_f64 v[2:3], v[0:1], s22
	v_floor_f64_e32 v[2:3], v[2:3]
	v_fmac_f64_e32 v[0:1], 0xc1f00000, v[2:3]
	v_cvt_u32_f64_e32 v0, v[0:1]
	global_store_byte v[4:5], v0, off
.LBB392_397:
	s_mov_b64 s[22:23], -1
.LBB392_398:
	s_andn2_b64 vcc, exec, s[22:23]
	s_cbranch_vccnz .LBB392_400
; %bb.399:
	v_add_u32_e32 v12, 0x80, v12
	s_mov_b64 s[26:27], -1
	s_branch .LBB392_512
.LBB392_400:
	s_mov_b64 s[26:27], 0
                                        ; implicit-def: $vgpr12
	s_branch .LBB392_512
.LBB392_401:
	s_mov_b64 s[20:21], -1
                                        ; implicit-def: $vgpr2_vgpr3
.LBB392_402:
	s_mov_b64 s[22:23], 0
.LBB392_403:
	s_and_b64 vcc, exec, s[22:23]
	s_cbranch_vccz .LBB392_407
; %bb.404:
	s_cmp_eq_u32 s28, 29
	s_cbranch_scc0 .LBB392_406
; %bb.405:
	global_load_dwordx2 v[2:3], v[0:1], off
	s_mov_b64 s[0:1], -1
	s_mov_b64 s[20:21], 0
	s_mov_b64 s[22:23], 0
	s_waitcnt vmcnt(0)
	v_cvt_f64_u32_e32 v[4:5], v3
	v_cvt_f64_u32_e32 v[2:3], v2
	v_ldexp_f64 v[4:5], v[4:5], 32
	v_add_f64 v[2:3], v[4:5], v[2:3]
	s_branch .LBB392_408
.LBB392_406:
	s_mov_b64 s[20:21], -1
                                        ; implicit-def: $vgpr2_vgpr3
.LBB392_407:
	s_mov_b64 s[22:23], 0
.LBB392_408:
	s_and_b64 vcc, exec, s[22:23]
	s_cbranch_vccz .LBB392_428
; %bb.409:
	s_cmp_lt_i32 s28, 27
	s_cbranch_scc1 .LBB392_412
; %bb.410:
	s_cmp_gt_i32 s28, 27
	s_cbranch_scc0 .LBB392_413
; %bb.411:
	global_load_dword v2, v[0:1], off
	s_mov_b64 s[0:1], 0
	s_waitcnt vmcnt(0)
	v_cvt_f64_u32_e32 v[2:3], v2
	s_branch .LBB392_414
.LBB392_412:
	s_mov_b64 s[0:1], -1
                                        ; implicit-def: $vgpr2_vgpr3
	s_branch .LBB392_417
.LBB392_413:
	s_mov_b64 s[0:1], -1
                                        ; implicit-def: $vgpr2_vgpr3
.LBB392_414:
	s_andn2_b64 vcc, exec, s[0:1]
	s_cbranch_vccnz .LBB392_416
; %bb.415:
	global_load_ushort v2, v[0:1], off
	s_waitcnt vmcnt(0)
	v_cvt_f64_u32_e32 v[2:3], v2
.LBB392_416:
	s_mov_b64 s[0:1], 0
.LBB392_417:
	s_andn2_b64 vcc, exec, s[0:1]
	s_cbranch_vccnz .LBB392_427
; %bb.418:
	global_load_ubyte v4, v[0:1], off
	s_movk_i32 s0, 0x7f
	s_waitcnt vmcnt(0)
	v_cmp_lt_i16_e32 vcc, s0, v4
	s_mov_b64 s[0:1], 0
	s_and_saveexec_b64 s[22:23], vcc
	s_xor_b64 s[22:23], exec, s[22:23]
	s_cbranch_execz .LBB392_422
; %bb.419:
	s_movk_i32 s0, 0x80
	v_cmp_eq_u16_e32 vcc, s0, v4
	s_mov_b64 s[0:1], -1
	s_and_saveexec_b64 s[26:27], vcc
; %bb.420:
	s_xor_b64 s[0:1], exec, -1
; %bb.421:
	s_or_b64 exec, exec, s[26:27]
	s_and_b64 s[0:1], s[0:1], exec
.LBB392_422:
	s_or_saveexec_b64 s[22:23], s[22:23]
	v_bfrev_b32_e32 v2, 4
	v_mov_b32_e32 v3, 0x7ff80000
	s_xor_b64 exec, exec, s[22:23]
; %bb.423:
	v_cmp_ne_u16_e32 vcc, 0, v4
	s_andn2_b64 s[0:1], s[0:1], exec
	s_and_b64 s[26:27], vcc, exec
	v_mov_b64_e32 v[2:3], 0
	s_or_b64 s[0:1], s[0:1], s[26:27]
; %bb.424:
	s_or_b64 exec, exec, s[22:23]
	s_and_saveexec_b64 s[22:23], s[0:1]
	s_cbranch_execz .LBB392_426
; %bb.425:
	v_and_b32_e32 v3, 0xffff, v4
	v_lshlrev_b32_e32 v2, 24, v4
	v_and_b32_e32 v4, 7, v3
	v_ffbh_u32_e32 v6, v4
	v_min_u32_e32 v6, 32, v6
	v_subrev_u32_e32 v7, 28, v6
	v_bfe_u32 v5, v3, 3, 4
	v_lshlrev_b32_e32 v3, v7, v3
	v_sub_u32_e32 v6, 29, v6
	v_and_b32_e32 v3, 7, v3
	v_cmp_eq_u32_e32 vcc, 0, v5
	v_and_b32_e32 v2, 0x80000000, v2
	s_nop 0
	v_cndmask_b32_e32 v5, v5, v6, vcc
	v_cndmask_b32_e32 v3, v4, v3, vcc
	v_mov_b32_e32 v4, 0x3b800000
	v_lshlrev_b32_e32 v3, 20, v3
	v_lshl_add_u32 v4, v5, 23, v4
	v_or3_b32 v2, v2, v4, v3
	v_cvt_f64_f32_e32 v[2:3], v2
.LBB392_426:
	s_or_b64 exec, exec, s[22:23]
.LBB392_427:
	s_mov_b64 s[0:1], -1
.LBB392_428:
	s_mov_b64 s[22:23], 0
.LBB392_429:
	s_and_b64 vcc, exec, s[22:23]
	s_cbranch_vccz .LBB392_462
; %bb.430:
	s_cmp_gt_i32 s28, 22
	s_cbranch_scc0 .LBB392_442
; %bb.431:
	s_cmp_lt_i32 s28, 24
	s_cbranch_scc1 .LBB392_443
; %bb.432:
	s_cmp_gt_i32 s28, 24
	s_cbranch_scc0 .LBB392_444
; %bb.433:
	global_load_ubyte v4, v[0:1], off
	s_movk_i32 s0, 0x7f
	s_waitcnt vmcnt(0)
	v_cmp_lt_i16_e32 vcc, s0, v4
	s_mov_b64 s[0:1], 0
	s_and_saveexec_b64 s[22:23], vcc
	s_xor_b64 s[22:23], exec, s[22:23]
	s_cbranch_execz .LBB392_437
; %bb.434:
	s_movk_i32 s0, 0x80
	v_cmp_eq_u16_e32 vcc, s0, v4
	s_mov_b64 s[0:1], -1
	s_and_saveexec_b64 s[26:27], vcc
; %bb.435:
	s_xor_b64 s[0:1], exec, -1
; %bb.436:
	s_or_b64 exec, exec, s[26:27]
	s_and_b64 s[0:1], s[0:1], exec
.LBB392_437:
	s_or_saveexec_b64 s[22:23], s[22:23]
	v_bfrev_b32_e32 v2, 4
	v_mov_b32_e32 v3, 0x7ff80000
	s_xor_b64 exec, exec, s[22:23]
; %bb.438:
	v_cmp_ne_u16_e32 vcc, 0, v4
	s_andn2_b64 s[0:1], s[0:1], exec
	s_and_b64 s[26:27], vcc, exec
	v_mov_b64_e32 v[2:3], 0
	s_or_b64 s[0:1], s[0:1], s[26:27]
; %bb.439:
	s_or_b64 exec, exec, s[22:23]
	s_and_saveexec_b64 s[22:23], s[0:1]
	s_cbranch_execz .LBB392_441
; %bb.440:
	v_and_b32_e32 v3, 0xffff, v4
	v_lshlrev_b32_e32 v2, 24, v4
	v_and_b32_e32 v4, 3, v3
	v_ffbh_u32_e32 v6, v4
	v_min_u32_e32 v6, 32, v6
	v_subrev_u32_e32 v7, 29, v6
	v_bfe_u32 v5, v3, 2, 5
	v_lshlrev_b32_e32 v3, v7, v3
	v_sub_u32_e32 v6, 30, v6
	v_and_b32_e32 v3, 3, v3
	v_cmp_eq_u32_e32 vcc, 0, v5
	v_and_b32_e32 v2, 0x80000000, v2
	s_nop 0
	v_cndmask_b32_e32 v5, v5, v6, vcc
	v_cndmask_b32_e32 v3, v4, v3, vcc
	v_mov_b32_e32 v4, 0x37800000
	v_lshlrev_b32_e32 v3, 21, v3
	v_lshl_add_u32 v4, v5, 23, v4
	v_or3_b32 v2, v2, v4, v3
	v_cvt_f64_f32_e32 v[2:3], v2
.LBB392_441:
	s_or_b64 exec, exec, s[22:23]
	s_mov_b64 s[0:1], 0
	s_branch .LBB392_445
.LBB392_442:
	s_mov_b64 s[22:23], -1
                                        ; implicit-def: $vgpr2_vgpr3
	s_branch .LBB392_451
.LBB392_443:
	s_mov_b64 s[0:1], -1
                                        ; implicit-def: $vgpr2_vgpr3
	s_branch .LBB392_448
.LBB392_444:
	s_mov_b64 s[0:1], -1
                                        ; implicit-def: $vgpr2_vgpr3
.LBB392_445:
	s_and_b64 vcc, exec, s[0:1]
	s_cbranch_vccz .LBB392_447
; %bb.446:
	global_load_ubyte v2, v[0:1], off
	s_mov_b32 s0, 0x7f800000
	s_waitcnt vmcnt(0)
	v_lshlrev_b32_e32 v2, 24, v2
	v_and_b32_e32 v3, 0x7f000000, v2
	v_ffbh_u32_e32 v4, v3
	v_min_u32_e32 v4, 32, v4
	v_sub_u32_e64 v4, v4, 4 clamp
	v_lshlrev_b32_e32 v6, v4, v3
	v_lshlrev_b32_e32 v4, 23, v4
	v_lshrrev_b32_e32 v6, 4, v6
	v_add_u32_e32 v5, 0x1000000, v3
	v_sub_u32_e32 v4, v6, v4
	v_ashrrev_i32_e32 v5, 8, v5
	v_add_u32_e32 v4, 0x3c000000, v4
	v_and_or_b32 v4, v5, s0, v4
	v_cmp_ne_u32_e32 vcc, 0, v3
	s_brev_b32 s0, 1
	s_nop 0
	v_cndmask_b32_e32 v3, 0, v4, vcc
	v_and_or_b32 v2, v2, s0, v3
	v_cvt_f64_f32_e32 v[2:3], v2
.LBB392_447:
	s_mov_b64 s[0:1], 0
.LBB392_448:
	s_andn2_b64 vcc, exec, s[0:1]
	s_cbranch_vccnz .LBB392_450
; %bb.449:
	global_load_ubyte v2, v[0:1], off
	s_movk_i32 s0, 0x7f00
	s_brev_b32 s1, 16
	s_waitcnt vmcnt(0)
	v_lshlrev_b16_e32 v3, 8, v2
	v_lshlrev_b32_e32 v2, 25, v2
	v_lshrrev_b32_e32 v4, 4, v2
	v_and_or_b32 v5, v3, s0, 0.5
	v_or_b32_e32 v4, 0x70000000, v4
	v_add_f32_e32 v5, -0.5, v5
	v_mul_f32_e32 v4, 0x7800000, v4
	v_cmp_gt_u32_e32 vcc, s1, v2
	v_bfe_i32 v3, v3, 0, 16
	s_brev_b32 s0, 1
	v_cndmask_b32_e32 v2, v4, v5, vcc
	v_and_or_b32 v2, v3, s0, v2
	v_cvt_f64_f32_e32 v[2:3], v2
.LBB392_450:
	s_mov_b64 s[22:23], 0
	s_mov_b64 s[0:1], -1
.LBB392_451:
	s_andn2_b64 vcc, exec, s[22:23]
	s_cbranch_vccnz .LBB392_462
; %bb.452:
	s_cmp_gt_i32 s28, 14
	s_cbranch_scc0 .LBB392_455
; %bb.453:
	s_cmp_eq_u32 s28, 15
	s_cbranch_scc0 .LBB392_456
; %bb.454:
	global_load_ushort v2, v[0:1], off
	s_mov_b64 s[0:1], -1
	s_mov_b64 s[20:21], 0
	s_waitcnt vmcnt(0)
	v_lshlrev_b32_e32 v2, 16, v2
	v_cvt_f64_f32_e32 v[2:3], v2
	s_branch .LBB392_457
.LBB392_455:
	s_mov_b64 s[22:23], -1
                                        ; implicit-def: $vgpr2_vgpr3
	s_branch .LBB392_458
.LBB392_456:
	s_mov_b64 s[20:21], -1
                                        ; implicit-def: $vgpr2_vgpr3
.LBB392_457:
	s_mov_b64 s[22:23], 0
.LBB392_458:
	s_and_b64 vcc, exec, s[22:23]
	s_cbranch_vccz .LBB392_462
; %bb.459:
	s_cmp_eq_u32 s28, 11
	s_cbranch_scc0 .LBB392_461
; %bb.460:
	global_load_ubyte v3, v[0:1], off
	v_mov_b32_e32 v4, 0x3ff00000
	s_waitcnt vmcnt(1)
	v_mov_b32_e32 v2, 0
	s_mov_b64 s[0:1], -1
	s_mov_b64 s[20:21], 0
	s_waitcnt vmcnt(0)
	v_cmp_ne_u16_e32 vcc, 0, v3
	s_nop 1
	v_cndmask_b32_e32 v3, 0, v4, vcc
	s_branch .LBB392_462
.LBB392_461:
	s_mov_b64 s[20:21], -1
                                        ; implicit-def: $vgpr2_vgpr3
.LBB392_462:
	s_branch .LBB392_265
.LBB392_463:
	s_cmp_lt_i32 s28, 5
	s_cbranch_scc1 .LBB392_468
; %bb.464:
	s_cmp_lt_i32 s28, 8
	s_cbranch_scc1 .LBB392_469
; %bb.465:
	;; [unrolled: 3-line block ×3, first 2 shown]
	s_cmp_gt_i32 s28, 9
	s_cbranch_scc0 .LBB392_471
; %bb.467:
	global_load_dwordx2 v[2:3], v[0:1], off
	s_mov_b64 s[0:1], 0
	s_branch .LBB392_472
.LBB392_468:
	s_mov_b64 s[0:1], -1
                                        ; implicit-def: $vgpr2_vgpr3
	s_branch .LBB392_490
.LBB392_469:
	s_mov_b64 s[0:1], -1
                                        ; implicit-def: $vgpr2_vgpr3
	s_branch .LBB392_478
.LBB392_470:
	s_mov_b64 s[0:1], -1
                                        ; implicit-def: $vgpr2_vgpr3
	s_branch .LBB392_475
.LBB392_471:
	s_mov_b64 s[0:1], -1
                                        ; implicit-def: $vgpr2_vgpr3
.LBB392_472:
	s_andn2_b64 vcc, exec, s[0:1]
	s_cbranch_vccnz .LBB392_474
; %bb.473:
	global_load_dword v2, v[0:1], off
	s_waitcnt vmcnt(0)
	v_cvt_f64_f32_e32 v[2:3], v2
.LBB392_474:
	s_mov_b64 s[0:1], 0
.LBB392_475:
	s_andn2_b64 vcc, exec, s[0:1]
	s_cbranch_vccnz .LBB392_477
; %bb.476:
	global_load_dword v2, v[0:1], off
	s_waitcnt vmcnt(0)
	v_cvt_f32_f16_e32 v2, v2
	v_cvt_f64_f32_e32 v[2:3], v2
.LBB392_477:
	s_mov_b64 s[0:1], 0
.LBB392_478:
	s_andn2_b64 vcc, exec, s[0:1]
	s_cbranch_vccnz .LBB392_489
; %bb.479:
	s_cmp_lt_i32 s28, 6
	s_cbranch_scc1 .LBB392_482
; %bb.480:
	s_cmp_gt_i32 s28, 6
	s_cbranch_scc0 .LBB392_483
; %bb.481:
	global_load_dwordx2 v[2:3], v[0:1], off
	s_mov_b64 s[0:1], 0
	s_branch .LBB392_484
.LBB392_482:
	s_mov_b64 s[0:1], -1
                                        ; implicit-def: $vgpr2_vgpr3
	s_branch .LBB392_487
.LBB392_483:
	s_mov_b64 s[0:1], -1
                                        ; implicit-def: $vgpr2_vgpr3
.LBB392_484:
	s_andn2_b64 vcc, exec, s[0:1]
	s_cbranch_vccnz .LBB392_486
; %bb.485:
	global_load_dword v2, v[0:1], off
	s_waitcnt vmcnt(0)
	v_cvt_f64_f32_e32 v[2:3], v2
.LBB392_486:
	s_mov_b64 s[0:1], 0
.LBB392_487:
	s_andn2_b64 vcc, exec, s[0:1]
	s_cbranch_vccnz .LBB392_489
; %bb.488:
	global_load_ushort v2, v[0:1], off
	s_waitcnt vmcnt(0)
	v_cvt_f32_f16_e32 v2, v2
	v_cvt_f64_f32_e32 v[2:3], v2
.LBB392_489:
	s_mov_b64 s[0:1], 0
.LBB392_490:
	s_andn2_b64 vcc, exec, s[0:1]
	s_cbranch_vccnz .LBB392_510
; %bb.491:
	s_cmp_lt_i32 s28, 2
	s_cbranch_scc1 .LBB392_495
; %bb.492:
	s_cmp_lt_i32 s28, 3
	s_cbranch_scc1 .LBB392_496
; %bb.493:
	s_cmp_gt_i32 s28, 3
	s_cbranch_scc0 .LBB392_497
; %bb.494:
	global_load_dwordx2 v[2:3], v[0:1], off
	s_mov_b64 s[0:1], 0
	s_waitcnt vmcnt(0)
	v_cvt_f64_i32_e32 v[4:5], v3
	v_cvt_f64_u32_e32 v[2:3], v2
	v_ldexp_f64 v[4:5], v[4:5], 32
	v_add_f64 v[2:3], v[4:5], v[2:3]
	s_branch .LBB392_498
.LBB392_495:
	s_mov_b64 s[0:1], -1
                                        ; implicit-def: $vgpr2_vgpr3
	s_branch .LBB392_504
.LBB392_496:
	s_mov_b64 s[0:1], -1
                                        ; implicit-def: $vgpr2_vgpr3
	s_branch .LBB392_501
.LBB392_497:
	s_mov_b64 s[0:1], -1
                                        ; implicit-def: $vgpr2_vgpr3
.LBB392_498:
	s_andn2_b64 vcc, exec, s[0:1]
	s_cbranch_vccnz .LBB392_500
; %bb.499:
	global_load_dword v2, v[0:1], off
	s_waitcnt vmcnt(0)
	v_cvt_f64_i32_e32 v[2:3], v2
.LBB392_500:
	s_mov_b64 s[0:1], 0
.LBB392_501:
	s_andn2_b64 vcc, exec, s[0:1]
	s_cbranch_vccnz .LBB392_503
; %bb.502:
	global_load_sshort v2, v[0:1], off
	s_waitcnt vmcnt(0)
	v_cvt_f64_i32_e32 v[2:3], v2
.LBB392_503:
	s_mov_b64 s[0:1], 0
.LBB392_504:
	s_andn2_b64 vcc, exec, s[0:1]
	s_cbranch_vccnz .LBB392_510
; %bb.505:
	s_cmp_gt_i32 s28, 0
	s_cbranch_scc0 .LBB392_507
; %bb.506:
	global_load_sbyte v2, v[0:1], off
	s_mov_b64 s[0:1], 0
	s_waitcnt vmcnt(0)
	v_cvt_f64_i32_e32 v[2:3], v2
	s_branch .LBB392_508
.LBB392_507:
	s_mov_b64 s[0:1], -1
                                        ; implicit-def: $vgpr2_vgpr3
.LBB392_508:
	s_andn2_b64 vcc, exec, s[0:1]
	s_cbranch_vccnz .LBB392_510
; %bb.509:
	global_load_ubyte v0, v[0:1], off
	s_waitcnt vmcnt(0)
	v_cvt_f64_u32_e32 v[2:3], v0
.LBB392_510:
	s_branch .LBB392_266
.LBB392_511:
	s_mov_b64 s[26:27], 0
                                        ; implicit-def: $vgpr12
	s_mov_b64 s[0:1], s[14:15]
.LBB392_512:
	s_andn2_b64 s[22:23], s[14:15], exec
	s_and_b64 s[0:1], s[0:1], exec
	s_or_b64 s[22:23], s[22:23], s[0:1]
	s_andn2_b64 s[0:1], s[16:17], exec
	s_and_b64 s[20:21], s[20:21], exec
	s_or_b64 s[20:21], s[0:1], s[20:21]
	s_orn2_b64 s[0:1], s[26:27], exec
.LBB392_513:
	s_or_b64 exec, exec, s[24:25]
	s_mov_b64 s[26:27], 0
	s_mov_b64 s[28:29], 0
	;; [unrolled: 1-line block ×3, first 2 shown]
                                        ; implicit-def: $vgpr0_vgpr1
                                        ; implicit-def: $vgpr2_vgpr3
	s_and_saveexec_b64 s[24:25], s[0:1]
	s_cbranch_execz .LBB392_858
; %bb.514:
	v_cmp_gt_i32_e32 vcc, s40, v12
	s_mov_b64 s[36:37], -1
	s_mov_b64 s[0:1], s[20:21]
	s_mov_b64 s[30:31], s[22:23]
	s_and_saveexec_b64 s[26:27], vcc
	s_cbranch_execz .LBB392_772
; %bb.515:
	v_mul_lo_u32 v0, v12, s9
	v_ashrrev_i32_e32 v1, 31, v0
	s_and_b32 s36, 0xffff, s44
	s_cmp_lt_i32 s36, 11
	v_lshl_add_u64 v[0:1], s[6:7], 0, v[0:1]
	s_cbranch_scc1 .LBB392_522
; %bb.516:
	s_cmp_gt_i32 s36, 25
	s_cbranch_scc0 .LBB392_523
; %bb.517:
	s_cmp_gt_i32 s36, 28
	s_cbranch_scc0 .LBB392_524
	;; [unrolled: 3-line block ×4, first 2 shown]
; %bb.520:
	s_cmp_eq_u32 s36, 46
	s_mov_b64 s[30:31], 0
	s_cbranch_scc0 .LBB392_531
; %bb.521:
	global_load_dword v2, v[0:1], off
	s_mov_b64 s[0:1], -1
	s_waitcnt vmcnt(0)
	v_lshlrev_b32_e32 v2, 16, v2
	v_cvt_f64_f32_e32 v[2:3], v2
	s_branch .LBB392_532
.LBB392_522:
	s_mov_b64 s[30:31], -1
	s_mov_b64 s[0:1], 0
                                        ; implicit-def: $vgpr2_vgpr3
	s_mov_b64 s[28:29], s[20:21]
	s_branch .LBB392_597
.LBB392_523:
	s_mov_b64 s[30:31], -1
	s_mov_b64 s[0:1], 0
	s_mov_b64 s[28:29], s[20:21]
                                        ; implicit-def: $vgpr2_vgpr3
	s_branch .LBB392_563
.LBB392_524:
	s_mov_b64 s[30:31], -1
	s_mov_b64 s[0:1], 0
	s_mov_b64 s[28:29], s[20:21]
                                        ; implicit-def: $vgpr2_vgpr3
	s_branch .LBB392_542
.LBB392_525:
	s_mov_b64 s[30:31], -1
	s_mov_b64 s[0:1], 0
	s_mov_b64 s[28:29], s[20:21]
                                        ; implicit-def: $vgpr2_vgpr3
	s_branch .LBB392_537
.LBB392_526:
	s_andn2_saveexec_b64 s[28:29], s[28:29]
	s_cbranch_execz .LBB392_311
.LBB392_527:
	s_mov_b32 s34, 0x46000000
	v_add_f32_e64 v3, |v2|, s34
	v_and_b32_e32 v3, 0xff, v3
	v_cmp_ne_u32_e32 vcc, 0, v3
	s_andn2_b64 s[26:27], s[26:27], exec
	s_and_b64 s[34:35], vcc, exec
	s_or_b64 s[26:27], s[26:27], s[34:35]
	s_or_b64 exec, exec, s[28:29]
	v_mov_b32_e32 v6, 0
	s_and_saveexec_b64 s[28:29], s[26:27]
	s_cbranch_execnz .LBB392_312
	s_branch .LBB392_313
.LBB392_528:
	s_mov_b64 s[30:31], -1
	s_mov_b64 s[0:1], 0
	s_mov_b64 s[28:29], s[20:21]
                                        ; implicit-def: $vgpr2_vgpr3
	s_branch .LBB392_532
.LBB392_529:
	s_andn2_saveexec_b64 s[28:29], s[28:29]
	s_cbranch_execz .LBB392_324
.LBB392_530:
	s_mov_b32 s34, 0x42800000
	v_add_f32_e64 v3, |v2|, s34
	v_and_b32_e32 v3, 0xff, v3
	v_cmp_ne_u32_e32 vcc, 0, v3
	s_andn2_b64 s[26:27], s[26:27], exec
	s_and_b64 s[34:35], vcc, exec
	s_or_b64 s[26:27], s[26:27], s[34:35]
	s_or_b64 exec, exec, s[28:29]
	v_mov_b32_e32 v6, 0
	s_and_saveexec_b64 s[28:29], s[26:27]
	s_cbranch_execnz .LBB392_325
	s_branch .LBB392_326
.LBB392_531:
	s_mov_b64 s[28:29], -1
                                        ; implicit-def: $vgpr2_vgpr3
	s_mov_b64 s[0:1], 0
.LBB392_532:
	s_and_b64 vcc, exec, s[30:31]
	s_cbranch_vccz .LBB392_536
; %bb.533:
	s_cmp_eq_u32 s36, 44
	s_cbranch_scc0 .LBB392_535
; %bb.534:
	global_load_ubyte v4, v[0:1], off
	s_movk_i32 s28, 0xff
	v_bfrev_b32_e32 v5, 4
	v_mov_b32_e32 v6, 0x7ff80000
	v_bfrev_b32_e32 v7, 28
	s_mov_b64 s[0:1], -1
	s_waitcnt vmcnt(0)
	v_lshlrev_b32_e32 v2, 23, v4
	v_cvt_f64_f32_e32 v[2:3], v2
	v_cmp_ne_u32_e32 vcc, s28, v4
	s_mov_b64 s[28:29], 0
	s_nop 0
	v_cndmask_b32_e32 v2, v5, v2, vcc
	v_cndmask_b32_e32 v3, v6, v3, vcc
	v_cmp_ne_u32_e32 vcc, 0, v4
	s_nop 1
	v_cndmask_b32_e32 v3, v7, v3, vcc
	v_cndmask_b32_e32 v2, 0, v2, vcc
	s_branch .LBB392_536
.LBB392_535:
	s_mov_b64 s[28:29], -1
                                        ; implicit-def: $vgpr2_vgpr3
.LBB392_536:
	s_mov_b64 s[30:31], 0
.LBB392_537:
	s_and_b64 vcc, exec, s[30:31]
	s_cbranch_vccz .LBB392_541
; %bb.538:
	s_cmp_eq_u32 s36, 29
	s_cbranch_scc0 .LBB392_540
; %bb.539:
	global_load_dwordx2 v[2:3], v[0:1], off
	s_mov_b64 s[0:1], -1
	s_mov_b64 s[28:29], 0
	s_mov_b64 s[30:31], 0
	s_waitcnt vmcnt(0)
	v_cvt_f64_u32_e32 v[4:5], v3
	v_cvt_f64_u32_e32 v[2:3], v2
	v_ldexp_f64 v[4:5], v[4:5], 32
	v_add_f64 v[2:3], v[4:5], v[2:3]
	s_branch .LBB392_542
.LBB392_540:
	s_mov_b64 s[28:29], -1
                                        ; implicit-def: $vgpr2_vgpr3
.LBB392_541:
	s_mov_b64 s[30:31], 0
.LBB392_542:
	s_and_b64 vcc, exec, s[30:31]
	s_cbranch_vccz .LBB392_562
; %bb.543:
	s_cmp_lt_i32 s36, 27
	s_cbranch_scc1 .LBB392_546
; %bb.544:
	s_cmp_gt_i32 s36, 27
	s_cbranch_scc0 .LBB392_547
; %bb.545:
	global_load_dword v2, v[0:1], off
	s_mov_b64 s[0:1], 0
	s_waitcnt vmcnt(0)
	v_cvt_f64_u32_e32 v[2:3], v2
	s_branch .LBB392_548
.LBB392_546:
	s_mov_b64 s[0:1], -1
                                        ; implicit-def: $vgpr2_vgpr3
	s_branch .LBB392_551
.LBB392_547:
	s_mov_b64 s[0:1], -1
                                        ; implicit-def: $vgpr2_vgpr3
.LBB392_548:
	s_andn2_b64 vcc, exec, s[0:1]
	s_cbranch_vccnz .LBB392_550
; %bb.549:
	global_load_ushort v2, v[0:1], off
	s_waitcnt vmcnt(0)
	v_cvt_f64_u32_e32 v[2:3], v2
.LBB392_550:
	s_mov_b64 s[0:1], 0
.LBB392_551:
	s_andn2_b64 vcc, exec, s[0:1]
	s_cbranch_vccnz .LBB392_561
; %bb.552:
	global_load_ubyte v4, v[0:1], off
	s_movk_i32 s0, 0x7f
	s_waitcnt vmcnt(0)
	v_cmp_lt_i16_e32 vcc, s0, v4
	s_mov_b64 s[0:1], 0
	s_and_saveexec_b64 s[30:31], vcc
	s_xor_b64 s[30:31], exec, s[30:31]
	s_cbranch_execz .LBB392_556
; %bb.553:
	s_movk_i32 s0, 0x80
	v_cmp_eq_u16_e32 vcc, s0, v4
	s_mov_b64 s[0:1], -1
	s_and_saveexec_b64 s[34:35], vcc
; %bb.554:
	s_xor_b64 s[0:1], exec, -1
; %bb.555:
	s_or_b64 exec, exec, s[34:35]
	s_and_b64 s[0:1], s[0:1], exec
.LBB392_556:
	s_or_saveexec_b64 s[30:31], s[30:31]
	v_bfrev_b32_e32 v2, 4
	v_mov_b32_e32 v3, 0x7ff80000
	s_xor_b64 exec, exec, s[30:31]
; %bb.557:
	v_cmp_ne_u16_e32 vcc, 0, v4
	s_andn2_b64 s[0:1], s[0:1], exec
	s_and_b64 s[34:35], vcc, exec
	v_mov_b64_e32 v[2:3], 0
	s_or_b64 s[0:1], s[0:1], s[34:35]
; %bb.558:
	s_or_b64 exec, exec, s[30:31]
	s_and_saveexec_b64 s[30:31], s[0:1]
	s_cbranch_execz .LBB392_560
; %bb.559:
	v_and_b32_e32 v3, 0xffff, v4
	v_lshlrev_b32_e32 v2, 24, v4
	v_and_b32_e32 v4, 7, v3
	v_ffbh_u32_e32 v6, v4
	v_min_u32_e32 v6, 32, v6
	v_subrev_u32_e32 v7, 28, v6
	v_bfe_u32 v5, v3, 3, 4
	v_lshlrev_b32_e32 v3, v7, v3
	v_sub_u32_e32 v6, 29, v6
	v_and_b32_e32 v3, 7, v3
	v_cmp_eq_u32_e32 vcc, 0, v5
	v_and_b32_e32 v2, 0x80000000, v2
	s_nop 0
	v_cndmask_b32_e32 v5, v5, v6, vcc
	v_cndmask_b32_e32 v3, v4, v3, vcc
	v_mov_b32_e32 v4, 0x3b800000
	v_lshlrev_b32_e32 v3, 20, v3
	v_lshl_add_u32 v4, v5, 23, v4
	v_or3_b32 v2, v2, v4, v3
	v_cvt_f64_f32_e32 v[2:3], v2
.LBB392_560:
	s_or_b64 exec, exec, s[30:31]
.LBB392_561:
	s_mov_b64 s[0:1], -1
.LBB392_562:
	s_mov_b64 s[30:31], 0
.LBB392_563:
	s_and_b64 vcc, exec, s[30:31]
	s_cbranch_vccz .LBB392_596
; %bb.564:
	s_cmp_gt_i32 s36, 22
	s_cbranch_scc0 .LBB392_576
; %bb.565:
	s_cmp_lt_i32 s36, 24
	s_cbranch_scc1 .LBB392_577
; %bb.566:
	s_cmp_gt_i32 s36, 24
	s_cbranch_scc0 .LBB392_578
; %bb.567:
	global_load_ubyte v4, v[0:1], off
	s_movk_i32 s0, 0x7f
	s_waitcnt vmcnt(0)
	v_cmp_lt_i16_e32 vcc, s0, v4
	s_mov_b64 s[0:1], 0
	s_and_saveexec_b64 s[30:31], vcc
	s_xor_b64 s[30:31], exec, s[30:31]
	s_cbranch_execz .LBB392_571
; %bb.568:
	s_movk_i32 s0, 0x80
	v_cmp_eq_u16_e32 vcc, s0, v4
	s_mov_b64 s[0:1], -1
	s_and_saveexec_b64 s[34:35], vcc
; %bb.569:
	s_xor_b64 s[0:1], exec, -1
; %bb.570:
	s_or_b64 exec, exec, s[34:35]
	s_and_b64 s[0:1], s[0:1], exec
.LBB392_571:
	s_or_saveexec_b64 s[30:31], s[30:31]
	v_bfrev_b32_e32 v2, 4
	v_mov_b32_e32 v3, 0x7ff80000
	s_xor_b64 exec, exec, s[30:31]
; %bb.572:
	v_cmp_ne_u16_e32 vcc, 0, v4
	s_andn2_b64 s[0:1], s[0:1], exec
	s_and_b64 s[34:35], vcc, exec
	v_mov_b64_e32 v[2:3], 0
	s_or_b64 s[0:1], s[0:1], s[34:35]
; %bb.573:
	s_or_b64 exec, exec, s[30:31]
	s_and_saveexec_b64 s[30:31], s[0:1]
	s_cbranch_execz .LBB392_575
; %bb.574:
	v_and_b32_e32 v3, 0xffff, v4
	v_lshlrev_b32_e32 v2, 24, v4
	v_and_b32_e32 v4, 3, v3
	v_ffbh_u32_e32 v6, v4
	v_min_u32_e32 v6, 32, v6
	v_subrev_u32_e32 v7, 29, v6
	v_bfe_u32 v5, v3, 2, 5
	v_lshlrev_b32_e32 v3, v7, v3
	v_sub_u32_e32 v6, 30, v6
	v_and_b32_e32 v3, 3, v3
	v_cmp_eq_u32_e32 vcc, 0, v5
	v_and_b32_e32 v2, 0x80000000, v2
	s_nop 0
	v_cndmask_b32_e32 v5, v5, v6, vcc
	v_cndmask_b32_e32 v3, v4, v3, vcc
	v_mov_b32_e32 v4, 0x37800000
	v_lshlrev_b32_e32 v3, 21, v3
	v_lshl_add_u32 v4, v5, 23, v4
	v_or3_b32 v2, v2, v4, v3
	v_cvt_f64_f32_e32 v[2:3], v2
.LBB392_575:
	s_or_b64 exec, exec, s[30:31]
	s_mov_b64 s[0:1], 0
	s_branch .LBB392_579
.LBB392_576:
	s_mov_b64 s[30:31], -1
                                        ; implicit-def: $vgpr2_vgpr3
	s_branch .LBB392_585
.LBB392_577:
	s_mov_b64 s[0:1], -1
                                        ; implicit-def: $vgpr2_vgpr3
	s_branch .LBB392_582
.LBB392_578:
	s_mov_b64 s[0:1], -1
                                        ; implicit-def: $vgpr2_vgpr3
.LBB392_579:
	s_and_b64 vcc, exec, s[0:1]
	s_cbranch_vccz .LBB392_581
; %bb.580:
	global_load_ubyte v2, v[0:1], off
	s_mov_b32 s0, 0x7f800000
	s_waitcnt vmcnt(0)
	v_lshlrev_b32_e32 v2, 24, v2
	v_and_b32_e32 v3, 0x7f000000, v2
	v_ffbh_u32_e32 v4, v3
	v_min_u32_e32 v4, 32, v4
	v_sub_u32_e64 v4, v4, 4 clamp
	v_lshlrev_b32_e32 v6, v4, v3
	v_lshlrev_b32_e32 v4, 23, v4
	v_lshrrev_b32_e32 v6, 4, v6
	v_add_u32_e32 v5, 0x1000000, v3
	v_sub_u32_e32 v4, v6, v4
	v_ashrrev_i32_e32 v5, 8, v5
	v_add_u32_e32 v4, 0x3c000000, v4
	v_and_or_b32 v4, v5, s0, v4
	v_cmp_ne_u32_e32 vcc, 0, v3
	s_brev_b32 s0, 1
	s_nop 0
	v_cndmask_b32_e32 v3, 0, v4, vcc
	v_and_or_b32 v2, v2, s0, v3
	v_cvt_f64_f32_e32 v[2:3], v2
.LBB392_581:
	s_mov_b64 s[0:1], 0
.LBB392_582:
	s_andn2_b64 vcc, exec, s[0:1]
	s_cbranch_vccnz .LBB392_584
; %bb.583:
	global_load_ubyte v2, v[0:1], off
	s_movk_i32 s0, 0x7f00
	s_brev_b32 s1, 16
	s_waitcnt vmcnt(0)
	v_lshlrev_b16_e32 v3, 8, v2
	v_lshlrev_b32_e32 v2, 25, v2
	v_lshrrev_b32_e32 v4, 4, v2
	v_and_or_b32 v5, v3, s0, 0.5
	v_or_b32_e32 v4, 0x70000000, v4
	v_add_f32_e32 v5, -0.5, v5
	v_mul_f32_e32 v4, 0x7800000, v4
	v_cmp_gt_u32_e32 vcc, s1, v2
	v_bfe_i32 v3, v3, 0, 16
	s_brev_b32 s0, 1
	v_cndmask_b32_e32 v2, v4, v5, vcc
	v_and_or_b32 v2, v3, s0, v2
	v_cvt_f64_f32_e32 v[2:3], v2
.LBB392_584:
	s_mov_b64 s[30:31], 0
	s_mov_b64 s[0:1], -1
.LBB392_585:
	s_andn2_b64 vcc, exec, s[30:31]
	s_cbranch_vccnz .LBB392_596
; %bb.586:
	s_cmp_gt_i32 s36, 14
	s_cbranch_scc0 .LBB392_589
; %bb.587:
	s_cmp_eq_u32 s36, 15
	s_cbranch_scc0 .LBB392_590
; %bb.588:
	global_load_ushort v2, v[0:1], off
	s_mov_b64 s[0:1], -1
	s_mov_b64 s[28:29], 0
	s_waitcnt vmcnt(0)
	v_lshlrev_b32_e32 v2, 16, v2
	v_cvt_f64_f32_e32 v[2:3], v2
	s_branch .LBB392_591
.LBB392_589:
	s_mov_b64 s[30:31], -1
                                        ; implicit-def: $vgpr2_vgpr3
	s_branch .LBB392_592
.LBB392_590:
	s_mov_b64 s[28:29], -1
                                        ; implicit-def: $vgpr2_vgpr3
.LBB392_591:
	s_mov_b64 s[30:31], 0
.LBB392_592:
	s_and_b64 vcc, exec, s[30:31]
	s_cbranch_vccz .LBB392_596
; %bb.593:
	s_cmp_eq_u32 s36, 11
	s_cbranch_scc0 .LBB392_595
; %bb.594:
	global_load_ubyte v3, v[0:1], off
	v_mov_b32_e32 v4, 0x3ff00000
	s_waitcnt vmcnt(1)
	v_mov_b32_e32 v2, 0
	s_mov_b64 s[0:1], -1
	s_mov_b64 s[28:29], 0
	s_waitcnt vmcnt(0)
	v_cmp_ne_u16_e32 vcc, 0, v3
	s_nop 1
	v_cndmask_b32_e32 v3, 0, v4, vcc
	s_branch .LBB392_596
.LBB392_595:
	s_mov_b64 s[28:29], -1
                                        ; implicit-def: $vgpr2_vgpr3
.LBB392_596:
	s_mov_b64 s[30:31], 0
.LBB392_597:
	s_and_b64 vcc, exec, s[30:31]
	s_cbranch_vccz .LBB392_646
; %bb.598:
	s_cmp_lt_i32 s36, 5
	s_cbranch_scc1 .LBB392_603
; %bb.599:
	s_cmp_lt_i32 s36, 8
	s_cbranch_scc1 .LBB392_604
	;; [unrolled: 3-line block ×3, first 2 shown]
; %bb.601:
	s_cmp_gt_i32 s36, 9
	s_cbranch_scc0 .LBB392_606
; %bb.602:
	global_load_dwordx2 v[2:3], v[0:1], off
	s_mov_b64 s[0:1], 0
	s_branch .LBB392_607
.LBB392_603:
	s_mov_b64 s[0:1], -1
                                        ; implicit-def: $vgpr2_vgpr3
	s_branch .LBB392_625
.LBB392_604:
	s_mov_b64 s[0:1], -1
                                        ; implicit-def: $vgpr2_vgpr3
	s_branch .LBB392_613
.LBB392_605:
	s_mov_b64 s[0:1], -1
                                        ; implicit-def: $vgpr2_vgpr3
	s_branch .LBB392_610
.LBB392_606:
	s_mov_b64 s[0:1], -1
                                        ; implicit-def: $vgpr2_vgpr3
.LBB392_607:
	s_andn2_b64 vcc, exec, s[0:1]
	s_cbranch_vccnz .LBB392_609
; %bb.608:
	global_load_dword v2, v[0:1], off
	s_waitcnt vmcnt(0)
	v_cvt_f64_f32_e32 v[2:3], v2
.LBB392_609:
	s_mov_b64 s[0:1], 0
.LBB392_610:
	s_andn2_b64 vcc, exec, s[0:1]
	s_cbranch_vccnz .LBB392_612
; %bb.611:
	global_load_dword v2, v[0:1], off
	s_waitcnt vmcnt(0)
	v_cvt_f32_f16_e32 v2, v2
	v_cvt_f64_f32_e32 v[2:3], v2
.LBB392_612:
	s_mov_b64 s[0:1], 0
.LBB392_613:
	s_andn2_b64 vcc, exec, s[0:1]
	s_cbranch_vccnz .LBB392_624
; %bb.614:
	s_cmp_lt_i32 s36, 6
	s_cbranch_scc1 .LBB392_617
; %bb.615:
	s_cmp_gt_i32 s36, 6
	s_cbranch_scc0 .LBB392_618
; %bb.616:
	global_load_dwordx2 v[2:3], v[0:1], off
	s_mov_b64 s[0:1], 0
	s_branch .LBB392_619
.LBB392_617:
	s_mov_b64 s[0:1], -1
                                        ; implicit-def: $vgpr2_vgpr3
	s_branch .LBB392_622
.LBB392_618:
	s_mov_b64 s[0:1], -1
                                        ; implicit-def: $vgpr2_vgpr3
.LBB392_619:
	s_andn2_b64 vcc, exec, s[0:1]
	s_cbranch_vccnz .LBB392_621
; %bb.620:
	global_load_dword v2, v[0:1], off
	s_waitcnt vmcnt(0)
	v_cvt_f64_f32_e32 v[2:3], v2
.LBB392_621:
	s_mov_b64 s[0:1], 0
.LBB392_622:
	s_andn2_b64 vcc, exec, s[0:1]
	s_cbranch_vccnz .LBB392_624
; %bb.623:
	global_load_ushort v2, v[0:1], off
	s_waitcnt vmcnt(0)
	v_cvt_f32_f16_e32 v2, v2
	v_cvt_f64_f32_e32 v[2:3], v2
.LBB392_624:
	s_mov_b64 s[0:1], 0
.LBB392_625:
	s_andn2_b64 vcc, exec, s[0:1]
	s_cbranch_vccnz .LBB392_645
; %bb.626:
	s_cmp_lt_i32 s36, 2
	s_cbranch_scc1 .LBB392_630
; %bb.627:
	s_cmp_lt_i32 s36, 3
	s_cbranch_scc1 .LBB392_631
; %bb.628:
	s_cmp_gt_i32 s36, 3
	s_cbranch_scc0 .LBB392_632
; %bb.629:
	global_load_dwordx2 v[2:3], v[0:1], off
	s_mov_b64 s[0:1], 0
	s_waitcnt vmcnt(0)
	v_cvt_f64_i32_e32 v[4:5], v3
	v_cvt_f64_u32_e32 v[2:3], v2
	v_ldexp_f64 v[4:5], v[4:5], 32
	v_add_f64 v[2:3], v[4:5], v[2:3]
	s_branch .LBB392_633
.LBB392_630:
	s_mov_b64 s[0:1], -1
                                        ; implicit-def: $vgpr2_vgpr3
	s_branch .LBB392_639
.LBB392_631:
	s_mov_b64 s[0:1], -1
                                        ; implicit-def: $vgpr2_vgpr3
	s_branch .LBB392_636
.LBB392_632:
	s_mov_b64 s[0:1], -1
                                        ; implicit-def: $vgpr2_vgpr3
.LBB392_633:
	s_andn2_b64 vcc, exec, s[0:1]
	s_cbranch_vccnz .LBB392_635
; %bb.634:
	global_load_dword v2, v[0:1], off
	s_waitcnt vmcnt(0)
	v_cvt_f64_i32_e32 v[2:3], v2
.LBB392_635:
	s_mov_b64 s[0:1], 0
.LBB392_636:
	s_andn2_b64 vcc, exec, s[0:1]
	s_cbranch_vccnz .LBB392_638
; %bb.637:
	global_load_sshort v2, v[0:1], off
	s_waitcnt vmcnt(0)
	v_cvt_f64_i32_e32 v[2:3], v2
.LBB392_638:
	s_mov_b64 s[0:1], 0
.LBB392_639:
	s_andn2_b64 vcc, exec, s[0:1]
	s_cbranch_vccnz .LBB392_645
; %bb.640:
	s_cmp_gt_i32 s36, 0
	s_cbranch_scc0 .LBB392_642
; %bb.641:
	global_load_sbyte v2, v[0:1], off
	s_mov_b64 s[0:1], 0
	s_waitcnt vmcnt(0)
	v_cvt_f64_i32_e32 v[2:3], v2
	s_branch .LBB392_643
.LBB392_642:
	s_mov_b64 s[0:1], -1
                                        ; implicit-def: $vgpr2_vgpr3
.LBB392_643:
	s_andn2_b64 vcc, exec, s[0:1]
	s_cbranch_vccnz .LBB392_645
; %bb.644:
	global_load_ubyte v0, v[0:1], off
	s_waitcnt vmcnt(0)
	v_cvt_f64_u32_e32 v[2:3], v0
.LBB392_645:
	s_mov_b64 s[0:1], -1
.LBB392_646:
	s_andn2_b64 vcc, exec, s[0:1]
	s_cbranch_vccnz .LBB392_654
; %bb.647:
	v_max_f64 v[0:1], s[10:11], s[10:11]
	s_waitcnt vmcnt(0)
	v_max_f64 v[4:5], v[2:3], v[2:3]
	v_max_f64 v[0:1], v[4:5], v[0:1]
	v_cmp_u_f64_e32 vcc, v[2:3], v[2:3]
	s_and_b32 s38, s33, 0xff
	s_cmp_lt_i32 s38, 11
	v_cndmask_b32_e32 v0, v0, v2, vcc
	v_mul_lo_u32 v2, v12, s8
	v_cndmask_b32_e32 v1, v1, v3, vcc
	v_ashrrev_i32_e32 v3, 31, v2
	v_lshl_add_u64 v[4:5], s[4:5], 0, v[2:3]
	s_cbranch_scc1 .LBB392_655
; %bb.648:
	s_and_b32 s39, 0xffff, s38
	s_cmp_gt_i32 s39, 25
	s_cbranch_scc0 .LBB392_656
; %bb.649:
	s_cmp_gt_i32 s39, 28
	s_cbranch_scc0 .LBB392_657
; %bb.650:
	;; [unrolled: 3-line block ×4, first 2 shown]
	s_mov_b64 s[34:35], 0
	s_mov_b64 s[0:1], -1
	s_cmp_eq_u32 s39, 46
	s_mov_b64 s[30:31], 0
	s_cbranch_scc0 .LBB392_660
; %bb.653:
	v_cvt_f32_f64_e32 v2, v[0:1]
	v_bfe_u32 v3, v2, 16, 1
	s_movk_i32 s0, 0x7fff
	v_add3_u32 v3, v2, v3, s0
	v_cmp_o_f32_e32 vcc, v2, v2
	v_mov_b32_e32 v2, 0x7fc0
	s_mov_b64 s[30:31], -1
	v_cndmask_b32_sdwa v2, v2, v3, vcc dst_sel:DWORD dst_unused:UNUSED_PAD src0_sel:DWORD src1_sel:WORD_1
	global_store_dword v[4:5], v2, off
	s_mov_b64 s[0:1], 0
	s_branch .LBB392_660
.LBB392_654:
	s_mov_b64 s[34:35], 0
                                        ; implicit-def: $vgpr12
	s_mov_b64 s[0:1], s[22:23]
	s_branch .LBB392_771
.LBB392_655:
	s_mov_b64 s[34:35], -1
	s_mov_b64 s[30:31], 0
	s_mov_b64 s[0:1], s[22:23]
	s_branch .LBB392_729
.LBB392_656:
	s_mov_b64 s[34:35], -1
	s_mov_b64 s[30:31], 0
	s_mov_b64 s[0:1], s[22:23]
	s_branch .LBB392_687
.LBB392_657:
	s_mov_b64 s[34:35], -1
	s_mov_b64 s[30:31], 0
	s_mov_b64 s[0:1], s[22:23]
	s_branch .LBB392_670
.LBB392_658:
	s_mov_b64 s[34:35], -1
	s_mov_b64 s[30:31], 0
	s_mov_b64 s[0:1], s[22:23]
	s_branch .LBB392_666
.LBB392_659:
	s_mov_b64 s[34:35], -1
	s_mov_b64 s[30:31], 0
	s_mov_b64 s[0:1], s[22:23]
.LBB392_660:
	s_and_b64 vcc, exec, s[34:35]
	s_cbranch_vccz .LBB392_665
; %bb.661:
	s_cmp_eq_u32 s39, 44
	s_mov_b64 s[0:1], -1
	s_cbranch_scc0 .LBB392_665
; %bb.662:
	v_cvt_f32_f64_e32 v2, v[0:1]
	v_bfe_u32 v3, v2, 23, 8
	s_movk_i32 s0, 0xff
	v_cmp_ne_u32_e32 vcc, s0, v3
	v_mov_b32_e32 v6, 0xff
	s_and_saveexec_b64 s[30:31], vcc
; %bb.663:
	s_mov_b32 s0, 0x3fffff
	v_lshrrev_b32_e32 v6, 23, v2
	v_and_b32_e32 v7, 0x400000, v2
	v_and_or_b32 v2, v2, s0, v3
	v_cmp_ne_u32_e32 vcc, 0, v7
	v_cmp_ne_u32_e64 s[0:1], 0, v2
	s_and_b64 s[0:1], vcc, s[0:1]
	s_nop 0
	v_cndmask_b32_e64 v2, 0, 1, s[0:1]
	v_add_u32_e32 v6, v6, v2
; %bb.664:
	s_or_b64 exec, exec, s[30:31]
	s_mov_b64 s[30:31], -1
	s_mov_b64 s[0:1], 0
	global_store_byte v[4:5], v6, off
.LBB392_665:
	s_mov_b64 s[34:35], 0
.LBB392_666:
	s_and_b64 vcc, exec, s[34:35]
	s_cbranch_vccz .LBB392_669
; %bb.667:
	s_cmp_eq_u32 s39, 29
	s_mov_b64 s[0:1], -1
	s_cbranch_scc0 .LBB392_669
; %bb.668:
	v_trunc_f64_e32 v[2:3], v[0:1]
	s_movk_i32 s0, 0xffe0
	v_ldexp_f64 v[6:7], v[2:3], s0
	v_floor_f64_e32 v[6:7], v[6:7]
	v_fmac_f64_e32 v[2:3], 0xc1f00000, v[6:7]
	v_cvt_u32_f64_e32 v9, v[6:7]
	v_cvt_u32_f64_e32 v8, v[2:3]
	global_store_dwordx2 v[4:5], v[8:9], off
	s_mov_b64 s[30:31], -1
	s_mov_b64 s[0:1], 0
.LBB392_669:
	s_mov_b64 s[34:35], 0
.LBB392_670:
	s_and_b64 vcc, exec, s[34:35]
	s_cbranch_vccz .LBB392_686
; %bb.671:
	s_cmp_lt_i32 s39, 27
	s_mov_b64 s[30:31], -1
	s_cbranch_scc1 .LBB392_677
; %bb.672:
	s_cmp_gt_i32 s39, 27
	v_cvt_u32_f64_e32 v2, v[0:1]
	s_cbranch_scc0 .LBB392_674
; %bb.673:
	s_mov_b64 s[30:31], 0
	global_store_dword v[4:5], v2, off
.LBB392_674:
	s_andn2_b64 vcc, exec, s[30:31]
	s_cbranch_vccnz .LBB392_676
; %bb.675:
	global_store_short v[4:5], v2, off
.LBB392_676:
	s_mov_b64 s[30:31], 0
.LBB392_677:
	s_andn2_b64 vcc, exec, s[30:31]
	s_cbranch_vccnz .LBB392_685
; %bb.678:
	v_cvt_f32_f64_e32 v2, v[0:1]
	v_and_b32_e32 v3, 0x7fffffff, v2
	s_mov_b32 s30, 0x43800000
	v_cmp_gt_u32_e32 vcc, s30, v3
	v_mov_b32_e32 v6, 0x80
	s_and_saveexec_b64 s[30:31], vcc
	s_cbranch_execz .LBB392_684
; %bb.679:
	s_mov_b32 s34, 0x3bffffff
	v_cmp_lt_u32_e32 vcc, s34, v3
	s_mov_b64 s[34:35], 0
                                        ; implicit-def: $vgpr3
	s_and_saveexec_b64 s[36:37], vcc
	s_xor_b64 s[36:37], exec, s[36:37]
	s_cbranch_execz .LBB392_785
; %bb.680:
	v_bfe_u32 v3, v2, 20, 1
	s_mov_b32 s41, 0x487ffff
	v_add3_u32 v3, v2, v3, s41
	s_mov_b64 s[34:35], exec
	v_lshrrev_b32_e32 v3, 20, v3
	s_andn2_saveexec_b64 s[36:37], s[36:37]
	s_cbranch_execnz .LBB392_786
.LBB392_681:
	s_or_b64 exec, exec, s[36:37]
	v_mov_b32_e32 v6, 0
	s_and_saveexec_b64 s[36:37], s[34:35]
.LBB392_682:
	v_lshrrev_b32_e32 v2, 24, v2
	s_movk_i32 s34, 0x80
	v_and_or_b32 v6, v2, s34, v3
.LBB392_683:
	s_or_b64 exec, exec, s[36:37]
.LBB392_684:
	s_or_b64 exec, exec, s[30:31]
	global_store_byte v[4:5], v6, off
.LBB392_685:
	s_mov_b64 s[30:31], -1
.LBB392_686:
	s_mov_b64 s[34:35], 0
.LBB392_687:
	s_and_b64 vcc, exec, s[34:35]
	s_cbranch_vccz .LBB392_728
; %bb.688:
	s_cmp_gt_i32 s39, 22
	s_mov_b64 s[34:35], -1
	s_cbranch_scc0 .LBB392_720
; %bb.689:
	s_cmp_lt_i32 s39, 24
	s_mov_b64 s[30:31], -1
	s_cbranch_scc1 .LBB392_709
; %bb.690:
	s_cmp_gt_i32 s39, 24
	s_cbranch_scc0 .LBB392_698
; %bb.691:
	v_cvt_f32_f64_e32 v2, v[0:1]
	v_and_b32_e32 v3, 0x7fffffff, v2
	s_mov_b32 s30, 0x47800000
	v_cmp_gt_u32_e32 vcc, s30, v3
	v_mov_b32_e32 v6, 0x80
	s_and_saveexec_b64 s[30:31], vcc
	s_cbranch_execz .LBB392_697
; %bb.692:
	s_mov_b32 s34, 0x37ffffff
	v_cmp_lt_u32_e32 vcc, s34, v3
	s_mov_b64 s[34:35], 0
                                        ; implicit-def: $vgpr3
	s_and_saveexec_b64 s[36:37], vcc
	s_xor_b64 s[36:37], exec, s[36:37]
	s_cbranch_execz .LBB392_788
; %bb.693:
	v_bfe_u32 v3, v2, 21, 1
	s_mov_b32 s41, 0x88fffff
	v_add3_u32 v3, v2, v3, s41
	s_mov_b64 s[34:35], exec
	v_lshrrev_b32_e32 v3, 21, v3
	s_andn2_saveexec_b64 s[36:37], s[36:37]
	s_cbranch_execnz .LBB392_789
.LBB392_694:
	s_or_b64 exec, exec, s[36:37]
	v_mov_b32_e32 v6, 0
	s_and_saveexec_b64 s[36:37], s[34:35]
.LBB392_695:
	v_lshrrev_b32_e32 v2, 24, v2
	s_movk_i32 s34, 0x80
	v_and_or_b32 v6, v2, s34, v3
.LBB392_696:
	s_or_b64 exec, exec, s[36:37]
.LBB392_697:
	s_or_b64 exec, exec, s[30:31]
	s_mov_b64 s[30:31], 0
	global_store_byte v[4:5], v6, off
.LBB392_698:
	s_and_b64 vcc, exec, s[30:31]
	s_cbranch_vccz .LBB392_708
; %bb.699:
	v_cvt_f32_f64_e32 v2, v[0:1]
	v_and_b32_e32 v6, 0x7fffffff, v2
	s_mov_b32 s30, 0x43f00000
	v_cmp_gt_u32_e32 vcc, s30, v6
                                        ; implicit-def: $vgpr3
	s_and_saveexec_b64 s[30:31], vcc
	s_xor_b64 s[30:31], exec, s[30:31]
	s_cbranch_execz .LBB392_705
; %bb.700:
	s_mov_b32 s34, 0x3c7fffff
	v_cmp_lt_u32_e32 vcc, s34, v6
                                        ; implicit-def: $vgpr3
	s_and_saveexec_b64 s[34:35], vcc
	s_xor_b64 s[34:35], exec, s[34:35]
; %bb.701:
	v_bfe_u32 v3, v2, 20, 1
	s_mov_b32 s36, 0x407ffff
	v_add3_u32 v3, v2, v3, s36
	v_lshrrev_b32_e32 v6, 20, v3
	v_and_b32_e32 v3, 0xff00000, v3
	s_mov_b32 s36, 0x7f00000
	v_mov_b32_e32 v7, 0x7e
	v_cmp_ne_u32_e32 vcc, s36, v3
	s_nop 1
	v_cndmask_b32_e32 v3, v7, v6, vcc
; %bb.702:
	s_andn2_saveexec_b64 s[34:35], s[34:35]
; %bb.703:
	s_mov_b32 s36, 0x46800000
	v_add_f32_e64 v3, |v2|, s36
; %bb.704:
	s_or_b64 exec, exec, s[34:35]
                                        ; implicit-def: $vgpr6
.LBB392_705:
	s_andn2_saveexec_b64 s[30:31], s[30:31]
; %bb.706:
	s_mov_b32 s34, 0x7f800000
	v_mov_b32_e32 v3, 0x7e
	v_mov_b32_e32 v7, 0x7f
	v_cmp_lt_u32_e32 vcc, s34, v6
	s_nop 1
	v_cndmask_b32_e32 v3, v3, v7, vcc
; %bb.707:
	s_or_b64 exec, exec, s[30:31]
	v_lshrrev_b32_e32 v2, 24, v2
	s_movk_i32 s30, 0x80
	v_and_or_b32 v2, v2, s30, v3
	global_store_byte v[4:5], v2, off
.LBB392_708:
	s_mov_b64 s[30:31], 0
.LBB392_709:
	s_andn2_b64 vcc, exec, s[30:31]
	s_cbranch_vccnz .LBB392_719
; %bb.710:
	v_cvt_f32_f64_e32 v2, v[0:1]
	v_and_b32_e32 v6, 0x7fffffff, v2
	s_mov_b32 s30, 0x47800000
	v_cmp_gt_u32_e32 vcc, s30, v6
                                        ; implicit-def: $vgpr3
	s_and_saveexec_b64 s[30:31], vcc
	s_xor_b64 s[30:31], exec, s[30:31]
	s_cbranch_execz .LBB392_716
; %bb.711:
	s_mov_b32 s34, 0x387fffff
	v_cmp_lt_u32_e32 vcc, s34, v6
                                        ; implicit-def: $vgpr3
	s_and_saveexec_b64 s[34:35], vcc
	s_xor_b64 s[34:35], exec, s[34:35]
; %bb.712:
	v_bfe_u32 v3, v2, 21, 1
	s_mov_b32 s36, 0x80fffff
	v_add3_u32 v3, v2, v3, s36
	v_lshrrev_b32_e32 v3, 21, v3
; %bb.713:
	s_andn2_saveexec_b64 s[34:35], s[34:35]
; %bb.714:
	s_mov_b32 s36, 0x43000000
	v_add_f32_e64 v3, |v2|, s36
; %bb.715:
	s_or_b64 exec, exec, s[34:35]
                                        ; implicit-def: $vgpr6
.LBB392_716:
	s_andn2_saveexec_b64 s[30:31], s[30:31]
; %bb.717:
	s_mov_b32 s34, 0x7f800000
	v_mov_b32_e32 v3, 0x7c
	v_mov_b32_e32 v7, 0x7f
	v_cmp_lt_u32_e32 vcc, s34, v6
	s_nop 1
	v_cndmask_b32_e32 v3, v3, v7, vcc
; %bb.718:
	s_or_b64 exec, exec, s[30:31]
	v_lshrrev_b32_e32 v2, 24, v2
	s_movk_i32 s30, 0x80
	v_and_or_b32 v2, v2, s30, v3
	global_store_byte v[4:5], v2, off
.LBB392_719:
	s_mov_b64 s[34:35], 0
	s_mov_b64 s[30:31], -1
.LBB392_720:
	s_andn2_b64 vcc, exec, s[34:35]
	s_cbranch_vccnz .LBB392_728
; %bb.721:
	s_cmp_gt_i32 s39, 14
	s_mov_b64 s[34:35], -1
	s_cbranch_scc0 .LBB392_725
; %bb.722:
	s_cmp_eq_u32 s39, 15
	s_mov_b64 s[0:1], -1
	s_cbranch_scc0 .LBB392_724
; %bb.723:
	v_cvt_f32_f64_e32 v2, v[0:1]
	v_bfe_u32 v3, v2, 16, 1
	s_movk_i32 s0, 0x7fff
	v_add3_u32 v3, v2, v3, s0
	v_cmp_o_f32_e32 vcc, v2, v2
	v_mov_b32_e32 v2, 0x7fc0
	s_mov_b64 s[30:31], -1
	v_cndmask_b32_sdwa v2, v2, v3, vcc dst_sel:DWORD dst_unused:UNUSED_PAD src0_sel:DWORD src1_sel:WORD_1
	global_store_short v[4:5], v2, off
	s_mov_b64 s[0:1], 0
.LBB392_724:
	s_mov_b64 s[34:35], 0
.LBB392_725:
	s_and_b64 vcc, exec, s[34:35]
	s_cbranch_vccz .LBB392_728
; %bb.726:
	s_cmp_eq_u32 s39, 11
	s_mov_b64 s[0:1], -1
	s_cbranch_scc0 .LBB392_728
; %bb.727:
	v_cmp_neq_f64_e32 vcc, 0, v[0:1]
	s_mov_b64 s[0:1], 0
	s_mov_b64 s[30:31], -1
	v_cndmask_b32_e64 v2, 0, 1, vcc
	global_store_byte v[4:5], v2, off
.LBB392_728:
	s_mov_b64 s[34:35], 0
.LBB392_729:
	s_and_b64 vcc, exec, s[34:35]
	s_cbranch_vccz .LBB392_768
; %bb.730:
	s_and_b32 s34, 0xffff, s38
	s_cmp_lt_i32 s34, 5
	s_mov_b64 s[30:31], -1
	s_cbranch_scc1 .LBB392_751
; %bb.731:
	s_cmp_lt_i32 s34, 8
	s_cbranch_scc1 .LBB392_741
; %bb.732:
	s_cmp_lt_i32 s34, 9
	s_cbranch_scc1 .LBB392_738
; %bb.733:
	s_cmp_gt_i32 s34, 9
	s_cbranch_scc0 .LBB392_735
; %bb.734:
	v_mov_b32_e32 v2, 0
	v_mov_b32_e32 v3, v2
	s_mov_b64 s[30:31], 0
	global_store_dwordx4 v[4:5], v[0:3], off
.LBB392_735:
	s_andn2_b64 vcc, exec, s[30:31]
	s_cbranch_vccnz .LBB392_737
; %bb.736:
	v_cvt_f32_f64_e32 v2, v[0:1]
	v_mov_b32_e32 v3, 0
	global_store_dwordx2 v[4:5], v[2:3], off
.LBB392_737:
	s_mov_b64 s[30:31], 0
.LBB392_738:
	s_andn2_b64 vcc, exec, s[30:31]
	s_cbranch_vccnz .LBB392_740
; %bb.739:
	s_movk_i32 s30, 0x1ff
	v_and_or_b32 v2, v1, s30, v0
	v_cmp_ne_u32_e32 vcc, 0, v2
	v_lshrrev_b32_e32 v3, 8, v1
	s_movk_i32 s30, 0xffe
	v_cndmask_b32_e64 v2, 0, 1, vcc
	v_bfe_u32 v6, v1, 20, 11
	v_and_or_b32 v2, v3, s30, v2
	v_sub_u32_e32 v7, 0x3f1, v6
	v_or_b32_e32 v3, 0x1000, v2
	v_med3_i32 v7, v7, 0, 13
	v_lshrrev_b32_e32 v8, v7, v3
	v_lshlrev_b32_e32 v7, v7, v8
	v_cmp_ne_u32_e32 vcc, v7, v3
	v_add_u32_e32 v6, 0xfffffc10, v6
	v_lshl_or_b32 v7, v6, 12, v2
	v_cndmask_b32_e64 v3, 0, 1, vcc
	v_or_b32_e32 v3, v8, v3
	v_cmp_gt_i32_e32 vcc, 1, v6
	s_movk_i32 s30, 0x40f
	s_nop 0
	v_cndmask_b32_e32 v3, v7, v3, vcc
	v_and_b32_e32 v7, 7, v3
	v_cmp_lt_i32_e32 vcc, 5, v7
	v_lshrrev_b32_e32 v3, 2, v3
	s_nop 0
	v_cndmask_b32_e64 v8, 0, 1, vcc
	v_cmp_eq_u32_e32 vcc, 3, v7
	s_nop 1
	v_cndmask_b32_e64 v7, 0, 1, vcc
	v_or_b32_e32 v7, v7, v8
	v_add_u32_e32 v3, v3, v7
	v_mov_b32_e32 v7, 0x7c00
	v_cmp_gt_i32_e32 vcc, 31, v6
	v_mov_b32_e32 v8, 0x7e00
	s_nop 0
	v_cndmask_b32_e32 v3, v7, v3, vcc
	v_cmp_ne_u32_e32 vcc, 0, v2
	s_nop 1
	v_cndmask_b32_e32 v2, v7, v8, vcc
	v_cmp_eq_u32_e32 vcc, s30, v6
	s_mov_b32 s30, 0x8000
	s_nop 0
	v_cndmask_b32_e32 v2, v3, v2, vcc
	v_and_b32_sdwa v3, v1, s30 dst_sel:DWORD dst_unused:UNUSED_PAD src0_sel:WORD_1 src1_sel:DWORD
	s_mov_b32 s30, 0xffff
	v_bitop3_b32 v2, v3, s30, v2 bitop3:0xc8
	global_store_dword v[4:5], v2, off
.LBB392_740:
	s_mov_b64 s[30:31], 0
.LBB392_741:
	s_andn2_b64 vcc, exec, s[30:31]
	s_cbranch_vccnz .LBB392_750
; %bb.742:
	s_cmp_lt_i32 s34, 6
	s_mov_b64 s[30:31], -1
	s_cbranch_scc1 .LBB392_748
; %bb.743:
	s_cmp_gt_i32 s34, 6
	s_cbranch_scc0 .LBB392_745
; %bb.744:
	s_mov_b64 s[30:31], 0
	global_store_dwordx2 v[4:5], v[0:1], off
.LBB392_745:
	s_andn2_b64 vcc, exec, s[30:31]
	s_cbranch_vccnz .LBB392_747
; %bb.746:
	v_cvt_f32_f64_e32 v2, v[0:1]
	global_store_dword v[4:5], v2, off
.LBB392_747:
	s_mov_b64 s[30:31], 0
.LBB392_748:
	s_andn2_b64 vcc, exec, s[30:31]
	s_cbranch_vccnz .LBB392_750
; %bb.749:
	s_movk_i32 s30, 0x1ff
	v_and_or_b32 v2, v1, s30, v0
	v_cmp_ne_u32_e32 vcc, 0, v2
	v_lshrrev_b32_e32 v3, 8, v1
	s_movk_i32 s30, 0xffe
	v_cndmask_b32_e64 v2, 0, 1, vcc
	v_bfe_u32 v6, v1, 20, 11
	v_and_or_b32 v2, v3, s30, v2
	v_sub_u32_e32 v7, 0x3f1, v6
	v_or_b32_e32 v3, 0x1000, v2
	v_med3_i32 v7, v7, 0, 13
	v_lshrrev_b32_e32 v8, v7, v3
	v_lshlrev_b32_e32 v7, v7, v8
	v_cmp_ne_u32_e32 vcc, v7, v3
	v_add_u32_e32 v6, 0xfffffc10, v6
	v_lshl_or_b32 v7, v6, 12, v2
	v_cndmask_b32_e64 v3, 0, 1, vcc
	v_or_b32_e32 v3, v8, v3
	v_cmp_gt_i32_e32 vcc, 1, v6
	s_movk_i32 s30, 0x40f
	s_nop 0
	v_cndmask_b32_e32 v3, v7, v3, vcc
	v_and_b32_e32 v7, 7, v3
	v_cmp_lt_i32_e32 vcc, 5, v7
	v_lshrrev_b32_e32 v3, 2, v3
	s_nop 0
	v_cndmask_b32_e64 v8, 0, 1, vcc
	v_cmp_eq_u32_e32 vcc, 3, v7
	s_nop 1
	v_cndmask_b32_e64 v7, 0, 1, vcc
	v_or_b32_e32 v7, v7, v8
	v_add_u32_e32 v3, v3, v7
	v_mov_b32_e32 v7, 0x7c00
	v_cmp_gt_i32_e32 vcc, 31, v6
	v_mov_b32_e32 v8, 0x7e00
	s_nop 0
	v_cndmask_b32_e32 v3, v7, v3, vcc
	v_cmp_ne_u32_e32 vcc, 0, v2
	s_nop 1
	v_cndmask_b32_e32 v2, v7, v8, vcc
	v_cmp_eq_u32_e32 vcc, s30, v6
	s_mov_b32 s30, 0x8000
	s_nop 0
	v_cndmask_b32_e32 v2, v3, v2, vcc
	v_lshrrev_b32_e32 v3, 16, v1
	v_and_or_b32 v2, v3, s30, v2
	global_store_short v[4:5], v2, off
.LBB392_750:
	s_mov_b64 s[30:31], 0
.LBB392_751:
	s_andn2_b64 vcc, exec, s[30:31]
	s_cbranch_vccnz .LBB392_767
; %bb.752:
	s_cmp_lt_i32 s34, 2
	s_mov_b64 s[30:31], -1
	s_cbranch_scc1 .LBB392_762
; %bb.753:
	s_cmp_lt_i32 s34, 3
	s_cbranch_scc1 .LBB392_759
; %bb.754:
	s_cmp_gt_i32 s34, 3
	s_cbranch_scc0 .LBB392_756
; %bb.755:
	v_trunc_f64_e32 v[2:3], v[0:1]
	s_movk_i32 s30, 0xffe0
	v_ldexp_f64 v[6:7], v[2:3], s30
	v_floor_f64_e32 v[6:7], v[6:7]
	v_fmac_f64_e32 v[2:3], 0xc1f00000, v[6:7]
	v_cvt_i32_f64_e32 v9, v[6:7]
	v_cvt_u32_f64_e32 v8, v[2:3]
	s_mov_b64 s[30:31], 0
	global_store_dwordx2 v[4:5], v[8:9], off
.LBB392_756:
	s_andn2_b64 vcc, exec, s[30:31]
	s_cbranch_vccnz .LBB392_758
; %bb.757:
	v_cvt_i32_f64_e32 v2, v[0:1]
	global_store_dword v[4:5], v2, off
.LBB392_758:
	s_mov_b64 s[30:31], 0
.LBB392_759:
	s_andn2_b64 vcc, exec, s[30:31]
	s_cbranch_vccnz .LBB392_761
; %bb.760:
	v_cvt_i32_f64_e32 v2, v[0:1]
	global_store_short v[4:5], v2, off
.LBB392_761:
	s_mov_b64 s[30:31], 0
.LBB392_762:
	s_andn2_b64 vcc, exec, s[30:31]
	s_cbranch_vccnz .LBB392_767
; %bb.763:
	s_cmp_gt_i32 s34, 0
	s_mov_b64 s[30:31], -1
	s_cbranch_scc0 .LBB392_765
; %bb.764:
	v_cvt_i32_f64_e32 v2, v[0:1]
	s_mov_b64 s[30:31], 0
	global_store_byte v[4:5], v2, off
.LBB392_765:
	s_andn2_b64 vcc, exec, s[30:31]
	s_cbranch_vccnz .LBB392_767
; %bb.766:
	v_trunc_f64_e32 v[0:1], v[0:1]
	s_movk_i32 s30, 0xffe0
	v_ldexp_f64 v[2:3], v[0:1], s30
	v_floor_f64_e32 v[2:3], v[2:3]
	v_fmac_f64_e32 v[0:1], 0xc1f00000, v[2:3]
	v_cvt_u32_f64_e32 v0, v[0:1]
	global_store_byte v[4:5], v0, off
.LBB392_767:
	s_mov_b64 s[30:31], -1
.LBB392_768:
	s_andn2_b64 vcc, exec, s[30:31]
	s_cbranch_vccnz .LBB392_770
; %bb.769:
	v_add_u32_e32 v12, 0x80, v12
	s_mov_b64 s[34:35], -1
	s_branch .LBB392_771
.LBB392_770:
	s_mov_b64 s[34:35], 0
                                        ; implicit-def: $vgpr12
.LBB392_771:
	s_andn2_b64 s[30:31], s[22:23], exec
	s_and_b64 s[0:1], s[0:1], exec
	s_or_b64 s[30:31], s[30:31], s[0:1]
	s_andn2_b64 s[0:1], s[20:21], exec
	s_and_b64 s[28:29], s[28:29], exec
	s_or_b64 s[0:1], s[0:1], s[28:29]
	s_orn2_b64 s[36:37], s[34:35], exec
.LBB392_772:
	s_or_b64 exec, exec, s[26:27]
	s_mov_b64 s[34:35], 0
	s_mov_b64 s[28:29], 0
	;; [unrolled: 1-line block ×3, first 2 shown]
                                        ; implicit-def: $vgpr0_vgpr1
                                        ; implicit-def: $vgpr2_vgpr3
	s_and_saveexec_b64 s[26:27], s[36:37]
	s_cbranch_execz .LBB392_857
; %bb.773:
	v_cmp_gt_i32_e32 vcc, s40, v12
	s_mov_b64 s[36:37], 0
	s_mov_b64 s[40:41], s[0:1]
	;; [unrolled: 1-line block ×3, first 2 shown]
                                        ; implicit-def: $vgpr0_vgpr1
                                        ; implicit-def: $vgpr2_vgpr3
	s_and_saveexec_b64 s[28:29], vcc
	s_cbranch_execz .LBB392_856
; %bb.774:
	v_mul_lo_u32 v0, v12, s9
	v_ashrrev_i32_e32 v1, 31, v0
	s_and_b32 s45, 0xffff, s44
	s_cmp_lt_i32 s45, 11
	v_lshl_add_u64 v[0:1], s[6:7], 0, v[0:1]
	s_cbranch_scc1 .LBB392_781
; %bb.775:
	s_cmp_gt_i32 s45, 25
	s_cbranch_scc0 .LBB392_782
; %bb.776:
	s_cmp_gt_i32 s45, 28
	s_cbranch_scc0 .LBB392_783
	;; [unrolled: 3-line block ×4, first 2 shown]
; %bb.779:
	s_cmp_eq_u32 s45, 46
	s_mov_b64 s[40:41], 0
	s_cbranch_scc0 .LBB392_790
; %bb.780:
	global_load_dword v2, v[0:1], off
	s_mov_b64 s[38:39], -1
	s_waitcnt vmcnt(0)
	v_lshlrev_b32_e32 v2, 16, v2
	v_cvt_f64_f32_e32 v[2:3], v2
	s_branch .LBB392_792
.LBB392_781:
	s_mov_b64 s[40:41], -1
                                        ; implicit-def: $vgpr2_vgpr3
	s_mov_b64 s[34:35], s[0:1]
	s_branch .LBB392_855
.LBB392_782:
	s_mov_b64 s[40:41], -1
	s_mov_b64 s[34:35], s[0:1]
                                        ; implicit-def: $vgpr2_vgpr3
	s_branch .LBB392_823
.LBB392_783:
	s_mov_b64 s[40:41], -1
	s_mov_b64 s[34:35], s[0:1]
                                        ; implicit-def: $vgpr2_vgpr3
	s_branch .LBB392_802
.LBB392_784:
	s_mov_b64 s[40:41], -1
	s_mov_b64 s[34:35], s[0:1]
                                        ; implicit-def: $vgpr2_vgpr3
	s_branch .LBB392_797
.LBB392_785:
	s_andn2_saveexec_b64 s[36:37], s[36:37]
	s_cbranch_execz .LBB392_681
.LBB392_786:
	s_mov_b32 s41, 0x46000000
	v_add_f32_e64 v3, |v2|, s41
	v_and_b32_e32 v3, 0xff, v3
	v_cmp_ne_u32_e32 vcc, 0, v3
	s_andn2_b64 s[34:35], s[34:35], exec
	s_and_b64 s[42:43], vcc, exec
	s_or_b64 s[34:35], s[34:35], s[42:43]
	s_or_b64 exec, exec, s[36:37]
	v_mov_b32_e32 v6, 0
	s_and_saveexec_b64 s[36:37], s[34:35]
	s_cbranch_execnz .LBB392_682
	s_branch .LBB392_683
.LBB392_787:
	s_mov_b64 s[40:41], -1
	s_mov_b64 s[34:35], s[0:1]
	s_branch .LBB392_791
.LBB392_788:
	s_andn2_saveexec_b64 s[36:37], s[36:37]
	s_cbranch_execz .LBB392_694
.LBB392_789:
	s_mov_b32 s41, 0x42800000
	v_add_f32_e64 v3, |v2|, s41
	v_and_b32_e32 v3, 0xff, v3
	v_cmp_ne_u32_e32 vcc, 0, v3
	s_andn2_b64 s[34:35], s[34:35], exec
	s_and_b64 s[42:43], vcc, exec
	s_or_b64 s[34:35], s[34:35], s[42:43]
	s_or_b64 exec, exec, s[36:37]
	v_mov_b32_e32 v6, 0
	s_and_saveexec_b64 s[36:37], s[34:35]
	s_cbranch_execnz .LBB392_695
	s_branch .LBB392_696
.LBB392_790:
	s_mov_b64 s[34:35], -1
.LBB392_791:
                                        ; implicit-def: $vgpr2_vgpr3
.LBB392_792:
	s_and_b64 vcc, exec, s[40:41]
	s_cbranch_vccz .LBB392_796
; %bb.793:
	s_cmp_eq_u32 s45, 44
	s_cbranch_scc0 .LBB392_795
; %bb.794:
	global_load_ubyte v4, v[0:1], off
	s_movk_i32 s38, 0xff
	v_bfrev_b32_e32 v5, 4
	v_mov_b32_e32 v6, 0x7ff80000
	v_bfrev_b32_e32 v7, 28
	s_mov_b64 s[34:35], 0
	s_waitcnt vmcnt(0)
	v_lshlrev_b32_e32 v2, 23, v4
	v_cvt_f64_f32_e32 v[2:3], v2
	v_cmp_ne_u32_e32 vcc, s38, v4
	s_mov_b64 s[38:39], -1
	s_nop 0
	v_cndmask_b32_e32 v2, v5, v2, vcc
	v_cndmask_b32_e32 v3, v6, v3, vcc
	v_cmp_ne_u32_e32 vcc, 0, v4
	s_nop 1
	v_cndmask_b32_e32 v3, v7, v3, vcc
	v_cndmask_b32_e32 v2, 0, v2, vcc
	s_branch .LBB392_796
.LBB392_795:
	s_mov_b64 s[34:35], -1
                                        ; implicit-def: $vgpr2_vgpr3
.LBB392_796:
	s_mov_b64 s[40:41], 0
.LBB392_797:
	s_and_b64 vcc, exec, s[40:41]
	s_cbranch_vccz .LBB392_801
; %bb.798:
	s_cmp_eq_u32 s45, 29
	s_cbranch_scc0 .LBB392_800
; %bb.799:
	global_load_dwordx2 v[2:3], v[0:1], off
	s_mov_b64 s[34:35], 0
	s_mov_b64 s[38:39], -1
	s_mov_b64 s[40:41], 0
	s_waitcnt vmcnt(0)
	v_cvt_f64_u32_e32 v[4:5], v3
	v_cvt_f64_u32_e32 v[2:3], v2
	v_ldexp_f64 v[4:5], v[4:5], 32
	v_add_f64 v[2:3], v[4:5], v[2:3]
	s_branch .LBB392_802
.LBB392_800:
	s_mov_b64 s[34:35], -1
                                        ; implicit-def: $vgpr2_vgpr3
.LBB392_801:
	s_mov_b64 s[40:41], 0
.LBB392_802:
	s_and_b64 vcc, exec, s[40:41]
	s_cbranch_vccz .LBB392_822
; %bb.803:
	s_cmp_lt_i32 s45, 27
	s_cbranch_scc1 .LBB392_806
; %bb.804:
	s_cmp_gt_i32 s45, 27
	s_cbranch_scc0 .LBB392_807
; %bb.805:
	global_load_dword v2, v[0:1], off
	s_mov_b64 s[38:39], 0
	s_waitcnt vmcnt(0)
	v_cvt_f64_u32_e32 v[2:3], v2
	s_branch .LBB392_808
.LBB392_806:
	s_mov_b64 s[38:39], -1
                                        ; implicit-def: $vgpr2_vgpr3
	s_branch .LBB392_811
.LBB392_807:
	s_mov_b64 s[38:39], -1
                                        ; implicit-def: $vgpr2_vgpr3
.LBB392_808:
	s_andn2_b64 vcc, exec, s[38:39]
	s_cbranch_vccnz .LBB392_810
; %bb.809:
	global_load_ushort v2, v[0:1], off
	s_waitcnt vmcnt(0)
	v_cvt_f64_u32_e32 v[2:3], v2
.LBB392_810:
	s_mov_b64 s[38:39], 0
.LBB392_811:
	s_andn2_b64 vcc, exec, s[38:39]
	s_cbranch_vccnz .LBB392_821
; %bb.812:
	global_load_ubyte v4, v[0:1], off
	s_movk_i32 s38, 0x7f
	s_waitcnt vmcnt(0)
	v_cmp_lt_i16_e32 vcc, s38, v4
	s_mov_b64 s[38:39], 0
	s_and_saveexec_b64 s[40:41], vcc
	s_xor_b64 s[40:41], exec, s[40:41]
	s_cbranch_execz .LBB392_816
; %bb.813:
	s_movk_i32 s38, 0x80
	v_cmp_eq_u16_e32 vcc, s38, v4
	s_mov_b64 s[38:39], -1
	s_and_saveexec_b64 s[42:43], vcc
; %bb.814:
	s_xor_b64 s[38:39], exec, -1
; %bb.815:
	s_or_b64 exec, exec, s[42:43]
	s_and_b64 s[38:39], s[38:39], exec
.LBB392_816:
	s_or_saveexec_b64 s[40:41], s[40:41]
	v_bfrev_b32_e32 v2, 4
	v_mov_b32_e32 v3, 0x7ff80000
	s_xor_b64 exec, exec, s[40:41]
; %bb.817:
	v_cmp_ne_u16_e32 vcc, 0, v4
	s_andn2_b64 s[38:39], s[38:39], exec
	s_and_b64 s[42:43], vcc, exec
	v_mov_b64_e32 v[2:3], 0
	s_or_b64 s[38:39], s[38:39], s[42:43]
; %bb.818:
	s_or_b64 exec, exec, s[40:41]
	s_and_saveexec_b64 s[40:41], s[38:39]
	s_cbranch_execz .LBB392_820
; %bb.819:
	v_and_b32_e32 v3, 0xffff, v4
	v_lshlrev_b32_e32 v2, 24, v4
	v_and_b32_e32 v4, 7, v3
	v_ffbh_u32_e32 v6, v4
	v_min_u32_e32 v6, 32, v6
	v_subrev_u32_e32 v7, 28, v6
	v_bfe_u32 v5, v3, 3, 4
	v_lshlrev_b32_e32 v3, v7, v3
	v_sub_u32_e32 v6, 29, v6
	v_and_b32_e32 v3, 7, v3
	v_cmp_eq_u32_e32 vcc, 0, v5
	v_and_b32_e32 v2, 0x80000000, v2
	s_nop 0
	v_cndmask_b32_e32 v5, v5, v6, vcc
	v_cndmask_b32_e32 v3, v4, v3, vcc
	v_mov_b32_e32 v4, 0x3b800000
	v_lshlrev_b32_e32 v3, 20, v3
	v_lshl_add_u32 v4, v5, 23, v4
	v_or3_b32 v2, v2, v4, v3
	v_cvt_f64_f32_e32 v[2:3], v2
.LBB392_820:
	s_or_b64 exec, exec, s[40:41]
.LBB392_821:
	s_mov_b64 s[38:39], -1
.LBB392_822:
	s_mov_b64 s[40:41], 0
.LBB392_823:
	s_and_b64 vcc, exec, s[40:41]
	s_cbranch_vccz .LBB392_854
; %bb.824:
	s_cmp_gt_i32 s45, 22
	s_cbranch_scc0 .LBB392_836
; %bb.825:
	s_cmp_lt_i32 s45, 24
	s_cbranch_scc1 .LBB392_837
; %bb.826:
	s_cmp_gt_i32 s45, 24
	s_cbranch_scc0 .LBB392_838
; %bb.827:
	global_load_ubyte v4, v[0:1], off
	s_movk_i32 s36, 0x7f
	s_waitcnt vmcnt(0)
	v_cmp_lt_i16_e32 vcc, s36, v4
	s_mov_b64 s[36:37], 0
	s_and_saveexec_b64 s[38:39], vcc
	s_xor_b64 s[38:39], exec, s[38:39]
	s_cbranch_execz .LBB392_831
; %bb.828:
	s_movk_i32 s36, 0x80
	v_cmp_eq_u16_e32 vcc, s36, v4
	s_mov_b64 s[36:37], -1
	s_and_saveexec_b64 s[40:41], vcc
; %bb.829:
	s_xor_b64 s[36:37], exec, -1
; %bb.830:
	s_or_b64 exec, exec, s[40:41]
	s_and_b64 s[36:37], s[36:37], exec
.LBB392_831:
	s_or_saveexec_b64 s[38:39], s[38:39]
	v_bfrev_b32_e32 v2, 4
	v_mov_b32_e32 v3, 0x7ff80000
	s_xor_b64 exec, exec, s[38:39]
; %bb.832:
	v_cmp_ne_u16_e32 vcc, 0, v4
	s_andn2_b64 s[36:37], s[36:37], exec
	s_and_b64 s[40:41], vcc, exec
	v_mov_b64_e32 v[2:3], 0
	s_or_b64 s[36:37], s[36:37], s[40:41]
; %bb.833:
	s_or_b64 exec, exec, s[38:39]
	s_and_saveexec_b64 s[38:39], s[36:37]
	s_cbranch_execz .LBB392_835
; %bb.834:
	v_and_b32_e32 v3, 0xffff, v4
	v_lshlrev_b32_e32 v2, 24, v4
	v_and_b32_e32 v4, 3, v3
	v_ffbh_u32_e32 v6, v4
	v_min_u32_e32 v6, 32, v6
	v_subrev_u32_e32 v7, 29, v6
	v_bfe_u32 v5, v3, 2, 5
	v_lshlrev_b32_e32 v3, v7, v3
	v_sub_u32_e32 v6, 30, v6
	v_and_b32_e32 v3, 3, v3
	v_cmp_eq_u32_e32 vcc, 0, v5
	v_and_b32_e32 v2, 0x80000000, v2
	s_nop 0
	v_cndmask_b32_e32 v5, v5, v6, vcc
	v_cndmask_b32_e32 v3, v4, v3, vcc
	v_mov_b32_e32 v4, 0x37800000
	v_lshlrev_b32_e32 v3, 21, v3
	v_lshl_add_u32 v4, v5, 23, v4
	v_or3_b32 v2, v2, v4, v3
	v_cvt_f64_f32_e32 v[2:3], v2
.LBB392_835:
	s_or_b64 exec, exec, s[38:39]
	s_mov_b64 s[36:37], 0
	s_branch .LBB392_839
.LBB392_836:
	s_mov_b64 s[36:37], -1
                                        ; implicit-def: $vgpr2_vgpr3
	s_branch .LBB392_845
.LBB392_837:
	s_mov_b64 s[36:37], -1
                                        ; implicit-def: $vgpr2_vgpr3
	s_branch .LBB392_842
.LBB392_838:
	s_mov_b64 s[36:37], -1
                                        ; implicit-def: $vgpr2_vgpr3
.LBB392_839:
	s_and_b64 vcc, exec, s[36:37]
	s_cbranch_vccz .LBB392_841
; %bb.840:
	global_load_ubyte v2, v[0:1], off
	s_mov_b32 s36, 0x7f800000
	s_waitcnt vmcnt(0)
	v_lshlrev_b32_e32 v2, 24, v2
	v_and_b32_e32 v3, 0x7f000000, v2
	v_ffbh_u32_e32 v4, v3
	v_min_u32_e32 v4, 32, v4
	v_sub_u32_e64 v4, v4, 4 clamp
	v_lshlrev_b32_e32 v6, v4, v3
	v_lshlrev_b32_e32 v4, 23, v4
	v_lshrrev_b32_e32 v6, 4, v6
	v_add_u32_e32 v5, 0x1000000, v3
	v_sub_u32_e32 v4, v6, v4
	v_ashrrev_i32_e32 v5, 8, v5
	v_add_u32_e32 v4, 0x3c000000, v4
	v_and_or_b32 v4, v5, s36, v4
	v_cmp_ne_u32_e32 vcc, 0, v3
	s_brev_b32 s36, 1
	s_nop 0
	v_cndmask_b32_e32 v3, 0, v4, vcc
	v_and_or_b32 v2, v2, s36, v3
	v_cvt_f64_f32_e32 v[2:3], v2
.LBB392_841:
	s_mov_b64 s[36:37], 0
.LBB392_842:
	s_andn2_b64 vcc, exec, s[36:37]
	s_cbranch_vccnz .LBB392_844
; %bb.843:
	global_load_ubyte v2, v[0:1], off
	s_movk_i32 s36, 0x7f00
	s_brev_b32 s37, 16
	s_waitcnt vmcnt(0)
	v_lshlrev_b16_e32 v3, 8, v2
	v_lshlrev_b32_e32 v2, 25, v2
	v_lshrrev_b32_e32 v4, 4, v2
	v_and_or_b32 v5, v3, s36, 0.5
	v_or_b32_e32 v4, 0x70000000, v4
	v_add_f32_e32 v5, -0.5, v5
	v_mul_f32_e32 v4, 0x7800000, v4
	v_cmp_gt_u32_e32 vcc, s37, v2
	v_bfe_i32 v3, v3, 0, 16
	s_brev_b32 s36, 1
	v_cndmask_b32_e32 v2, v4, v5, vcc
	v_and_or_b32 v2, v3, s36, v2
	v_cvt_f64_f32_e32 v[2:3], v2
.LBB392_844:
	s_mov_b64 s[36:37], 0
	s_mov_b64 s[38:39], -1
.LBB392_845:
	s_andn2_b64 vcc, exec, s[36:37]
	s_mov_b64 s[36:37], 0
	s_cbranch_vccnz .LBB392_854
; %bb.846:
	s_cmp_gt_i32 s45, 14
	s_cbranch_scc0 .LBB392_849
; %bb.847:
	s_cmp_eq_u32 s45, 15
	s_cbranch_scc0 .LBB392_850
; %bb.848:
	global_load_ushort v2, v[0:1], off
	s_mov_b64 s[34:35], 0
	s_mov_b64 s[38:39], -1
	s_waitcnt vmcnt(0)
	v_lshlrev_b32_e32 v2, 16, v2
	v_cvt_f64_f32_e32 v[2:3], v2
	s_branch .LBB392_851
.LBB392_849:
	s_mov_b64 s[40:41], -1
                                        ; implicit-def: $vgpr2_vgpr3
	s_branch .LBB392_852
.LBB392_850:
	s_mov_b64 s[34:35], -1
                                        ; implicit-def: $vgpr2_vgpr3
.LBB392_851:
	s_mov_b64 s[40:41], 0
.LBB392_852:
	s_and_b64 vcc, exec, s[40:41]
	s_cbranch_vccz .LBB392_854
; %bb.853:
	s_cmp_lg_u32 s45, 11
	s_cselect_b64 s[40:41], -1, 0
	s_andn2_b64 s[34:35], s[34:35], exec
	s_and_b64 s[40:41], s[40:41], exec
	s_mov_b64 s[36:37], -1
	s_or_b64 s[34:35], s[34:35], s[40:41]
.LBB392_854:
	s_mov_b64 s[40:41], 0
.LBB392_855:
	s_and_b64 s[42:43], s[40:41], exec
	s_andn2_b64 s[40:41], s[0:1], exec
	s_and_b64 s[34:35], s[34:35], exec
	s_and_b64 s[38:39], s[38:39], exec
	;; [unrolled: 1-line block ×3, first 2 shown]
	s_or_b64 s[40:41], s[40:41], s[34:35]
.LBB392_856:
	s_or_b64 exec, exec, s[28:29]
	s_and_b64 s[34:35], s[36:37], exec
	s_andn2_b64 s[0:1], s[0:1], exec
	s_and_b64 s[36:37], s[40:41], exec
	s_and_b64 s[38:39], s[38:39], exec
	;; [unrolled: 1-line block ×3, first 2 shown]
	s_or_b64 s[0:1], s[0:1], s[36:37]
.LBB392_857:
	s_or_b64 exec, exec, s[26:27]
	s_andn2_b64 s[22:23], s[22:23], exec
	s_and_b64 s[26:27], s[30:31], exec
	s_andn2_b64 s[20:21], s[20:21], exec
	s_and_b64 s[0:1], s[0:1], exec
	s_or_b64 s[22:23], s[22:23], s[26:27]
	s_and_b64 s[30:31], s[38:39], exec
	s_and_b64 s[28:29], s[28:29], exec
	;; [unrolled: 1-line block ×3, first 2 shown]
	s_or_b64 s[20:21], s[20:21], s[0:1]
.LBB392_858:
	s_or_b64 exec, exec, s[24:25]
	s_andn2_b64 s[0:1], s[14:15], exec
	s_and_b64 s[14:15], s[22:23], exec
	s_andn2_b64 s[16:17], s[16:17], exec
	s_and_b64 s[20:21], s[20:21], exec
	s_or_b64 s[14:15], s[0:1], s[14:15]
	s_and_b64 s[0:1], s[30:31], exec
	s_and_b64 s[24:25], s[28:29], exec
	;; [unrolled: 1-line block ×3, first 2 shown]
	s_or_b64 s[16:17], s[16:17], s[20:21]
	s_or_b64 exec, exec, s[18:19]
	s_mov_b64 s[18:19], 0
	s_and_saveexec_b64 s[20:21], s[16:17]
	s_cbranch_execz .LBB392_262
.LBB392_859:
	s_mov_b64 s[18:19], exec
	s_andn2_b64 s[22:23], s[22:23], exec
	s_trap 2
	s_or_b64 exec, exec, s[20:21]
	s_and_saveexec_b64 s[16:17], s[22:23]
	s_xor_b64 s[16:17], exec, s[16:17]
	s_cbranch_execnz .LBB392_263
.LBB392_860:
	s_or_b64 exec, exec, s[16:17]
	s_and_saveexec_b64 s[16:17], s[24:25]
	s_cbranch_execz .LBB392_906
.LBB392_861:
	s_sext_i32_i16 s20, s44
	s_cmp_lt_i32 s20, 5
	s_cbranch_scc1 .LBB392_866
; %bb.862:
	s_cmp_lt_i32 s20, 8
	s_cbranch_scc1 .LBB392_867
; %bb.863:
	;; [unrolled: 3-line block ×3, first 2 shown]
	s_cmp_gt_i32 s20, 9
	s_cbranch_scc0 .LBB392_869
; %bb.865:
	global_load_dwordx2 v[2:3], v[0:1], off
	s_mov_b64 s[20:21], 0
	s_branch .LBB392_870
.LBB392_866:
                                        ; implicit-def: $vgpr2_vgpr3
	s_branch .LBB392_887
.LBB392_867:
                                        ; implicit-def: $vgpr2_vgpr3
	s_branch .LBB392_876
.LBB392_868:
	s_mov_b64 s[20:21], -1
                                        ; implicit-def: $vgpr2_vgpr3
	s_branch .LBB392_873
.LBB392_869:
	s_mov_b64 s[20:21], -1
                                        ; implicit-def: $vgpr2_vgpr3
.LBB392_870:
	s_andn2_b64 vcc, exec, s[20:21]
	s_cbranch_vccnz .LBB392_872
; %bb.871:
	global_load_dword v2, v[0:1], off
	s_waitcnt vmcnt(0)
	v_cvt_f64_f32_e32 v[2:3], v2
.LBB392_872:
	s_mov_b64 s[20:21], 0
.LBB392_873:
	s_andn2_b64 vcc, exec, s[20:21]
	s_cbranch_vccnz .LBB392_875
; %bb.874:
	global_load_dword v2, v[0:1], off
	s_waitcnt vmcnt(0)
	v_cvt_f32_f16_e32 v2, v2
	v_cvt_f64_f32_e32 v[2:3], v2
.LBB392_875:
	s_cbranch_execnz .LBB392_886
.LBB392_876:
	s_sext_i32_i16 s20, s44
	s_cmp_lt_i32 s20, 6
	s_cbranch_scc1 .LBB392_879
; %bb.877:
	s_cmp_gt_i32 s20, 6
	s_cbranch_scc0 .LBB392_880
; %bb.878:
	global_load_dwordx2 v[2:3], v[0:1], off
	s_mov_b64 s[20:21], 0
	s_branch .LBB392_881
.LBB392_879:
	s_mov_b64 s[20:21], -1
                                        ; implicit-def: $vgpr2_vgpr3
	s_branch .LBB392_884
.LBB392_880:
	s_mov_b64 s[20:21], -1
                                        ; implicit-def: $vgpr2_vgpr3
.LBB392_881:
	s_andn2_b64 vcc, exec, s[20:21]
	s_cbranch_vccnz .LBB392_883
; %bb.882:
	global_load_dword v2, v[0:1], off
	s_waitcnt vmcnt(0)
	v_cvt_f64_f32_e32 v[2:3], v2
.LBB392_883:
	s_mov_b64 s[20:21], 0
.LBB392_884:
	s_andn2_b64 vcc, exec, s[20:21]
	s_cbranch_vccnz .LBB392_886
; %bb.885:
	global_load_ushort v2, v[0:1], off
	s_waitcnt vmcnt(0)
	v_cvt_f32_f16_e32 v2, v2
	v_cvt_f64_f32_e32 v[2:3], v2
.LBB392_886:
	s_cbranch_execnz .LBB392_905
.LBB392_887:
	s_sext_i32_i16 s20, s44
	s_cmp_lt_i32 s20, 2
	s_cbranch_scc1 .LBB392_891
; %bb.888:
	s_cmp_lt_i32 s20, 3
	s_cbranch_scc1 .LBB392_892
; %bb.889:
	s_cmp_gt_i32 s20, 3
	s_cbranch_scc0 .LBB392_893
; %bb.890:
	global_load_dwordx2 v[2:3], v[0:1], off
	s_mov_b64 s[20:21], 0
	s_waitcnt vmcnt(0)
	v_cvt_f64_i32_e32 v[4:5], v3
	v_cvt_f64_u32_e32 v[2:3], v2
	v_ldexp_f64 v[4:5], v[4:5], 32
	v_add_f64 v[2:3], v[4:5], v[2:3]
	s_branch .LBB392_894
.LBB392_891:
                                        ; implicit-def: $vgpr2_vgpr3
	s_branch .LBB392_900
.LBB392_892:
	s_mov_b64 s[20:21], -1
                                        ; implicit-def: $vgpr2_vgpr3
	s_branch .LBB392_897
.LBB392_893:
	s_mov_b64 s[20:21], -1
                                        ; implicit-def: $vgpr2_vgpr3
.LBB392_894:
	s_andn2_b64 vcc, exec, s[20:21]
	s_cbranch_vccnz .LBB392_896
; %bb.895:
	global_load_dword v2, v[0:1], off
	s_waitcnt vmcnt(0)
	v_cvt_f64_i32_e32 v[2:3], v2
.LBB392_896:
	s_mov_b64 s[20:21], 0
.LBB392_897:
	s_andn2_b64 vcc, exec, s[20:21]
	s_cbranch_vccnz .LBB392_899
; %bb.898:
	global_load_sshort v2, v[0:1], off
	s_waitcnt vmcnt(0)
	v_cvt_f64_i32_e32 v[2:3], v2
.LBB392_899:
	s_cbranch_execnz .LBB392_905
.LBB392_900:
	s_sext_i32_i16 s20, s44
	s_cmp_gt_i32 s20, 0
	s_cbranch_scc0 .LBB392_902
; %bb.901:
	global_load_sbyte v2, v[0:1], off
	s_mov_b64 s[20:21], 0
	s_waitcnt vmcnt(0)
	v_cvt_f64_i32_e32 v[2:3], v2
	s_branch .LBB392_903
.LBB392_902:
	s_mov_b64 s[20:21], -1
                                        ; implicit-def: $vgpr2_vgpr3
.LBB392_903:
	s_andn2_b64 vcc, exec, s[20:21]
	s_cbranch_vccnz .LBB392_905
; %bb.904:
	global_load_ubyte v0, v[0:1], off
	s_waitcnt vmcnt(0)
	v_cvt_f64_u32_e32 v[2:3], v0
.LBB392_905:
	s_or_b64 s[0:1], s[0:1], exec
.LBB392_906:
	s_or_b64 exec, exec, s[16:17]
	s_mov_b64 s[22:23], 0
	s_mov_b64 s[20:21], 0
                                        ; implicit-def: $sgpr28
                                        ; implicit-def: $vgpr4_vgpr5
                                        ; implicit-def: $vgpr0_vgpr1
	s_and_saveexec_b64 s[16:17], s[0:1]
	s_cbranch_execz .LBB392_981
; %bb.907:
	v_max_f64 v[0:1], s[10:11], s[10:11]
	s_waitcnt vmcnt(0)
	v_max_f64 v[4:5], v[2:3], v[2:3]
	v_max_f64 v[0:1], v[4:5], v[0:1]
	v_cmp_u_f64_e32 vcc, v[2:3], v[2:3]
	s_and_b32 s28, s33, 0xff
	s_cmp_lt_i32 s28, 11
	v_cndmask_b32_e32 v0, v0, v2, vcc
	v_mul_lo_u32 v2, v12, s8
	v_cndmask_b32_e32 v1, v1, v3, vcc
	v_ashrrev_i32_e32 v3, 31, v2
	v_lshl_add_u64 v[4:5], s[4:5], 0, v[2:3]
	s_cbranch_scc1 .LBB392_984
; %bb.908:
	s_and_b32 s29, 0xffff, s28
	s_mov_b64 s[22:23], -1
	s_cmp_gt_i32 s29, 25
	s_mov_b64 s[0:1], s[14:15]
	s_cbranch_scc0 .LBB392_941
; %bb.909:
	s_mov_b64 s[20:21], -1
	s_cmp_gt_i32 s29, 28
	s_mov_b64 s[0:1], s[14:15]
	s_cbranch_scc0 .LBB392_925
; %bb.910:
	s_cmp_gt_i32 s29, 43
	s_mov_b64 s[0:1], s[14:15]
	s_cbranch_scc0 .LBB392_921
; %bb.911:
	;; [unrolled: 4-line block ×3, first 2 shown]
	s_cmp_eq_u32 s29, 46
	s_mov_b64 s[0:1], -1
	s_cbranch_scc0 .LBB392_914
; %bb.913:
	v_cvt_f32_f64_e32 v2, v[0:1]
	v_bfe_u32 v3, v2, 16, 1
	s_movk_i32 s0, 0x7fff
	v_add3_u32 v3, v2, v3, s0
	v_cmp_o_f32_e32 vcc, v2, v2
	v_mov_b32_e32 v2, 0x7fc0
	s_mov_b64 s[0:1], 0
	v_cndmask_b32_sdwa v2, v2, v3, vcc dst_sel:DWORD dst_unused:UNUSED_PAD src0_sel:DWORD src1_sel:WORD_1
	global_store_dword v[4:5], v2, off
.LBB392_914:
	s_mov_b64 s[20:21], 0
.LBB392_915:
	s_and_b64 vcc, exec, s[20:21]
	s_cbranch_vccz .LBB392_920
; %bb.916:
	s_cmp_eq_u32 s29, 44
	s_mov_b64 s[0:1], -1
	s_cbranch_scc0 .LBB392_920
; %bb.917:
	v_cvt_f32_f64_e32 v2, v[0:1]
	v_bfe_u32 v3, v2, 23, 8
	s_movk_i32 s0, 0xff
	v_cmp_ne_u32_e32 vcc, s0, v3
	v_mov_b32_e32 v6, 0xff
	s_and_saveexec_b64 s[20:21], vcc
; %bb.918:
	s_mov_b32 s0, 0x3fffff
	v_lshrrev_b32_e32 v6, 23, v2
	v_and_b32_e32 v7, 0x400000, v2
	v_and_or_b32 v2, v2, s0, v3
	v_cmp_ne_u32_e32 vcc, 0, v7
	v_cmp_ne_u32_e64 s[0:1], 0, v2
	s_and_b64 s[0:1], vcc, s[0:1]
	s_nop 0
	v_cndmask_b32_e64 v2, 0, 1, s[0:1]
	v_add_u32_e32 v6, v6, v2
; %bb.919:
	s_or_b64 exec, exec, s[20:21]
	s_mov_b64 s[0:1], 0
	global_store_byte v[4:5], v6, off
.LBB392_920:
	s_mov_b64 s[20:21], 0
.LBB392_921:
	s_and_b64 vcc, exec, s[20:21]
	s_cbranch_vccz .LBB392_924
; %bb.922:
	s_cmp_eq_u32 s29, 29
	s_mov_b64 s[0:1], -1
	s_cbranch_scc0 .LBB392_924
; %bb.923:
	v_trunc_f64_e32 v[2:3], v[0:1]
	s_movk_i32 s0, 0xffe0
	v_ldexp_f64 v[6:7], v[2:3], s0
	v_floor_f64_e32 v[6:7], v[6:7]
	v_fmac_f64_e32 v[2:3], 0xc1f00000, v[6:7]
	v_cvt_u32_f64_e32 v9, v[6:7]
	v_cvt_u32_f64_e32 v8, v[2:3]
	global_store_dwordx2 v[4:5], v[8:9], off
	s_mov_b64 s[0:1], 0
.LBB392_924:
	s_mov_b64 s[20:21], 0
.LBB392_925:
	s_and_b64 vcc, exec, s[20:21]
	s_cbranch_vccz .LBB392_940
; %bb.926:
	s_cmp_lt_i32 s29, 27
	s_mov_b64 s[20:21], -1
	s_cbranch_scc1 .LBB392_932
; %bb.927:
	s_cmp_gt_i32 s29, 27
	v_cvt_u32_f64_e32 v2, v[0:1]
	s_cbranch_scc0 .LBB392_929
; %bb.928:
	s_mov_b64 s[20:21], 0
	global_store_dword v[4:5], v2, off
.LBB392_929:
	s_andn2_b64 vcc, exec, s[20:21]
	s_cbranch_vccnz .LBB392_931
; %bb.930:
	global_store_short v[4:5], v2, off
.LBB392_931:
	s_mov_b64 s[20:21], 0
.LBB392_932:
	s_andn2_b64 vcc, exec, s[20:21]
	s_cbranch_vccnz .LBB392_940
; %bb.933:
	v_cvt_f32_f64_e32 v2, v[0:1]
	v_and_b32_e32 v3, 0x7fffffff, v2
	s_mov_b32 s20, 0x43800000
	v_cmp_gt_u32_e32 vcc, s20, v3
	v_mov_b32_e32 v6, 0x80
	s_and_saveexec_b64 s[20:21], vcc
	s_cbranch_execz .LBB392_939
; %bb.934:
	s_mov_b32 s22, 0x3bffffff
	v_cmp_lt_u32_e32 vcc, s22, v3
	s_mov_b64 s[22:23], 0
                                        ; implicit-def: $vgpr3
	s_and_saveexec_b64 s[24:25], vcc
	s_xor_b64 s[24:25], exec, s[24:25]
	s_cbranch_execz .LBB392_1041
; %bb.935:
	v_bfe_u32 v3, v2, 20, 1
	s_mov_b32 s26, 0x487ffff
	v_add3_u32 v3, v2, v3, s26
	s_mov_b64 s[22:23], exec
	v_lshrrev_b32_e32 v3, 20, v3
	s_andn2_saveexec_b64 s[24:25], s[24:25]
	s_cbranch_execnz .LBB392_1042
.LBB392_936:
	s_or_b64 exec, exec, s[24:25]
	v_mov_b32_e32 v6, 0
	s_and_saveexec_b64 s[24:25], s[22:23]
.LBB392_937:
	v_lshrrev_b32_e32 v2, 24, v2
	s_movk_i32 s22, 0x80
	v_and_or_b32 v6, v2, s22, v3
.LBB392_938:
	s_or_b64 exec, exec, s[24:25]
.LBB392_939:
	s_or_b64 exec, exec, s[20:21]
	global_store_byte v[4:5], v6, off
.LBB392_940:
	s_mov_b64 s[22:23], 0
.LBB392_941:
	s_mov_b64 s[20:21], 0
	s_and_b64 vcc, exec, s[22:23]
	s_cbranch_vccz .LBB392_985
; %bb.942:
	s_cmp_gt_i32 s29, 22
	s_mov_b64 s[22:23], -1
	s_cbranch_scc0 .LBB392_974
; %bb.943:
	s_cmp_lt_i32 s29, 24
	s_cbranch_scc1 .LBB392_963
; %bb.944:
	s_cmp_gt_i32 s29, 24
	s_cbranch_scc0 .LBB392_952
; %bb.945:
	v_cvt_f32_f64_e32 v2, v[0:1]
	v_and_b32_e32 v3, 0x7fffffff, v2
	s_mov_b32 s22, 0x47800000
	v_cmp_gt_u32_e32 vcc, s22, v3
	v_mov_b32_e32 v6, 0x80
	s_and_saveexec_b64 s[22:23], vcc
	s_cbranch_execz .LBB392_951
; %bb.946:
	s_mov_b32 s24, 0x37ffffff
	v_cmp_lt_u32_e32 vcc, s24, v3
	s_mov_b64 s[24:25], 0
                                        ; implicit-def: $vgpr3
	s_and_saveexec_b64 s[26:27], vcc
	s_xor_b64 s[26:27], exec, s[26:27]
	s_cbranch_execz .LBB392_1166
; %bb.947:
	v_bfe_u32 v3, v2, 21, 1
	s_mov_b32 s30, 0x88fffff
	v_add3_u32 v3, v2, v3, s30
	s_mov_b64 s[24:25], exec
	v_lshrrev_b32_e32 v3, 21, v3
	s_andn2_saveexec_b64 s[26:27], s[26:27]
	s_cbranch_execnz .LBB392_1167
.LBB392_948:
	s_or_b64 exec, exec, s[26:27]
	v_mov_b32_e32 v6, 0
	s_and_saveexec_b64 s[26:27], s[24:25]
.LBB392_949:
	v_lshrrev_b32_e32 v2, 24, v2
	s_movk_i32 s24, 0x80
	v_and_or_b32 v6, v2, s24, v3
.LBB392_950:
	s_or_b64 exec, exec, s[26:27]
.LBB392_951:
	s_or_b64 exec, exec, s[22:23]
	s_mov_b64 s[22:23], 0
	global_store_byte v[4:5], v6, off
.LBB392_952:
	s_and_b64 vcc, exec, s[22:23]
	s_cbranch_vccz .LBB392_962
; %bb.953:
	v_cvt_f32_f64_e32 v2, v[0:1]
	v_and_b32_e32 v6, 0x7fffffff, v2
	s_mov_b32 s22, 0x43f00000
	v_cmp_gt_u32_e32 vcc, s22, v6
                                        ; implicit-def: $vgpr3
	s_and_saveexec_b64 s[22:23], vcc
	s_xor_b64 s[22:23], exec, s[22:23]
	s_cbranch_execz .LBB392_959
; %bb.954:
	s_mov_b32 s24, 0x3c7fffff
	v_cmp_lt_u32_e32 vcc, s24, v6
                                        ; implicit-def: $vgpr3
	s_and_saveexec_b64 s[24:25], vcc
	s_xor_b64 s[24:25], exec, s[24:25]
; %bb.955:
	v_bfe_u32 v3, v2, 20, 1
	s_mov_b32 s26, 0x407ffff
	v_add3_u32 v3, v2, v3, s26
	v_lshrrev_b32_e32 v6, 20, v3
	v_and_b32_e32 v3, 0xff00000, v3
	s_mov_b32 s26, 0x7f00000
	v_mov_b32_e32 v7, 0x7e
	v_cmp_ne_u32_e32 vcc, s26, v3
	s_nop 1
	v_cndmask_b32_e32 v3, v7, v6, vcc
; %bb.956:
	s_andn2_saveexec_b64 s[24:25], s[24:25]
; %bb.957:
	s_mov_b32 s26, 0x46800000
	v_add_f32_e64 v3, |v2|, s26
; %bb.958:
	s_or_b64 exec, exec, s[24:25]
                                        ; implicit-def: $vgpr6
.LBB392_959:
	s_andn2_saveexec_b64 s[22:23], s[22:23]
; %bb.960:
	s_mov_b32 s24, 0x7f800000
	v_mov_b32_e32 v3, 0x7e
	v_mov_b32_e32 v7, 0x7f
	v_cmp_lt_u32_e32 vcc, s24, v6
	s_nop 1
	v_cndmask_b32_e32 v3, v3, v7, vcc
; %bb.961:
	s_or_b64 exec, exec, s[22:23]
	v_lshrrev_b32_e32 v2, 24, v2
	s_movk_i32 s22, 0x80
	v_and_or_b32 v2, v2, s22, v3
	global_store_byte v[4:5], v2, off
.LBB392_962:
	s_mov_b64 s[22:23], 0
.LBB392_963:
	s_andn2_b64 vcc, exec, s[22:23]
	s_cbranch_vccnz .LBB392_973
; %bb.964:
	v_cvt_f32_f64_e32 v2, v[0:1]
	v_and_b32_e32 v6, 0x7fffffff, v2
	s_mov_b32 s22, 0x47800000
	v_cmp_gt_u32_e32 vcc, s22, v6
                                        ; implicit-def: $vgpr3
	s_and_saveexec_b64 s[22:23], vcc
	s_xor_b64 s[22:23], exec, s[22:23]
	s_cbranch_execz .LBB392_970
; %bb.965:
	s_mov_b32 s24, 0x387fffff
	v_cmp_lt_u32_e32 vcc, s24, v6
                                        ; implicit-def: $vgpr3
	s_and_saveexec_b64 s[24:25], vcc
	s_xor_b64 s[24:25], exec, s[24:25]
; %bb.966:
	v_bfe_u32 v3, v2, 21, 1
	s_mov_b32 s26, 0x80fffff
	v_add3_u32 v3, v2, v3, s26
	v_lshrrev_b32_e32 v3, 21, v3
; %bb.967:
	s_andn2_saveexec_b64 s[24:25], s[24:25]
; %bb.968:
	s_mov_b32 s26, 0x43000000
	v_add_f32_e64 v3, |v2|, s26
; %bb.969:
	s_or_b64 exec, exec, s[24:25]
                                        ; implicit-def: $vgpr6
.LBB392_970:
	s_andn2_saveexec_b64 s[22:23], s[22:23]
; %bb.971:
	s_mov_b32 s24, 0x7f800000
	v_mov_b32_e32 v3, 0x7c
	v_mov_b32_e32 v7, 0x7f
	v_cmp_lt_u32_e32 vcc, s24, v6
	s_nop 1
	v_cndmask_b32_e32 v3, v3, v7, vcc
; %bb.972:
	s_or_b64 exec, exec, s[22:23]
	v_lshrrev_b32_e32 v2, 24, v2
	s_movk_i32 s22, 0x80
	v_and_or_b32 v2, v2, s22, v3
	global_store_byte v[4:5], v2, off
.LBB392_973:
	s_mov_b64 s[22:23], 0
.LBB392_974:
	s_andn2_b64 vcc, exec, s[22:23]
	s_mov_b64 s[22:23], 0
	s_cbranch_vccnz .LBB392_986
; %bb.975:
	s_cmp_gt_i32 s29, 14
	s_mov_b64 s[24:25], -1
	s_cbranch_scc0 .LBB392_979
; %bb.976:
	s_cmp_eq_u32 s29, 15
	s_mov_b64 s[0:1], -1
	s_cbranch_scc0 .LBB392_978
; %bb.977:
	v_cvt_f32_f64_e32 v2, v[0:1]
	v_bfe_u32 v3, v2, 16, 1
	s_movk_i32 s0, 0x7fff
	v_add3_u32 v3, v2, v3, s0
	v_cmp_o_f32_e32 vcc, v2, v2
	v_mov_b32_e32 v2, 0x7fc0
	s_mov_b64 s[0:1], 0
	v_cndmask_b32_sdwa v2, v2, v3, vcc dst_sel:DWORD dst_unused:UNUSED_PAD src0_sel:DWORD src1_sel:WORD_1
	global_store_short v[4:5], v2, off
.LBB392_978:
	s_mov_b64 s[24:25], 0
.LBB392_979:
	s_and_b64 vcc, exec, s[24:25]
	s_cbranch_vccz .LBB392_986
; %bb.980:
	s_cmp_lg_u32 s29, 11
	s_cselect_b64 s[24:25], -1, 0
	s_andn2_b64 s[0:1], s[0:1], exec
	s_and_b64 s[24:25], s[24:25], exec
	s_mov_b64 s[22:23], -1
	s_or_b64 s[0:1], s[0:1], s[24:25]
	s_branch .LBB392_986
.LBB392_981:
	s_or_b64 exec, exec, s[16:17]
	s_and_saveexec_b64 s[0:1], s[14:15]
	s_cbranch_execnz .LBB392_987
.LBB392_982:
	s_or_b64 exec, exec, s[0:1]
	s_and_saveexec_b64 s[0:1], s[22:23]
	s_xor_b64 s[0:1], exec, s[0:1]
	s_cbranch_execz .LBB392_988
.LBB392_983:
	v_cmp_neq_f64_e32 vcc, 0, v[0:1]
	s_waitcnt vmcnt(0)
	s_nop 0
	v_cndmask_b32_e64 v2, 0, 1, vcc
	global_store_byte v[4:5], v2, off
	s_or_b64 exec, exec, s[0:1]
	s_and_saveexec_b64 s[0:1], s[20:21]
	s_xor_b64 s[0:1], exec, s[0:1]
	s_cbranch_execz .LBB392_1026
	s_branch .LBB392_989
.LBB392_984:
	s_mov_b64 s[20:21], -1
	s_mov_b64 s[0:1], s[14:15]
	s_branch .LBB392_986
.LBB392_985:
	s_mov_b64 s[22:23], 0
.LBB392_986:
	s_andn2_b64 s[14:15], s[14:15], exec
	s_and_b64 s[0:1], s[0:1], exec
	s_and_b64 s[20:21], s[20:21], exec
	;; [unrolled: 1-line block ×3, first 2 shown]
	s_or_b64 s[14:15], s[14:15], s[0:1]
	s_or_b64 exec, exec, s[16:17]
	s_and_saveexec_b64 s[0:1], s[14:15]
	s_cbranch_execz .LBB392_982
.LBB392_987:
	s_or_b64 s[18:19], s[18:19], exec
	s_andn2_b64 s[22:23], s[22:23], exec
	s_trap 2
	s_or_b64 exec, exec, s[0:1]
	s_and_saveexec_b64 s[0:1], s[22:23]
	s_xor_b64 s[0:1], exec, s[0:1]
	s_cbranch_execnz .LBB392_983
.LBB392_988:
	s_or_b64 exec, exec, s[0:1]
	s_and_saveexec_b64 s[0:1], s[20:21]
	s_xor_b64 s[0:1], exec, s[0:1]
	s_cbranch_execz .LBB392_1026
.LBB392_989:
	s_sext_i32_i16 s16, s28
	s_cmp_lt_i32 s16, 5
	s_mov_b64 s[14:15], -1
	s_cbranch_scc1 .LBB392_1010
; %bb.990:
	s_cmp_lt_i32 s16, 8
	s_cbranch_scc1 .LBB392_1000
; %bb.991:
	s_cmp_lt_i32 s16, 9
	s_cbranch_scc1 .LBB392_997
; %bb.992:
	s_cmp_gt_i32 s16, 9
	s_cbranch_scc0 .LBB392_994
; %bb.993:
	s_waitcnt vmcnt(0)
	v_mov_b32_e32 v2, 0
	v_mov_b32_e32 v3, v2
	s_mov_b64 s[14:15], 0
	global_store_dwordx4 v[4:5], v[0:3], off
.LBB392_994:
	s_andn2_b64 vcc, exec, s[14:15]
	s_cbranch_vccnz .LBB392_996
; %bb.995:
	s_waitcnt vmcnt(0)
	v_cvt_f32_f64_e32 v2, v[0:1]
	v_mov_b32_e32 v3, 0
	global_store_dwordx2 v[4:5], v[2:3], off
.LBB392_996:
	s_mov_b64 s[14:15], 0
.LBB392_997:
	s_andn2_b64 vcc, exec, s[14:15]
	s_cbranch_vccnz .LBB392_999
; %bb.998:
	s_movk_i32 s14, 0x1ff
	s_waitcnt vmcnt(0)
	v_and_or_b32 v2, v1, s14, v0
	v_cmp_ne_u32_e32 vcc, 0, v2
	v_lshrrev_b32_e32 v3, 8, v1
	s_movk_i32 s14, 0xffe
	v_cndmask_b32_e64 v2, 0, 1, vcc
	v_bfe_u32 v6, v1, 20, 11
	v_and_or_b32 v2, v3, s14, v2
	v_sub_u32_e32 v7, 0x3f1, v6
	v_or_b32_e32 v3, 0x1000, v2
	v_med3_i32 v7, v7, 0, 13
	v_lshrrev_b32_e32 v8, v7, v3
	v_lshlrev_b32_e32 v7, v7, v8
	v_cmp_ne_u32_e32 vcc, v7, v3
	v_add_u32_e32 v6, 0xfffffc10, v6
	v_lshl_or_b32 v7, v6, 12, v2
	v_cndmask_b32_e64 v3, 0, 1, vcc
	v_or_b32_e32 v3, v8, v3
	v_cmp_gt_i32_e32 vcc, 1, v6
	s_movk_i32 s14, 0x40f
	s_nop 0
	v_cndmask_b32_e32 v3, v7, v3, vcc
	v_and_b32_e32 v7, 7, v3
	v_cmp_lt_i32_e32 vcc, 5, v7
	v_lshrrev_b32_e32 v3, 2, v3
	s_nop 0
	v_cndmask_b32_e64 v8, 0, 1, vcc
	v_cmp_eq_u32_e32 vcc, 3, v7
	s_nop 1
	v_cndmask_b32_e64 v7, 0, 1, vcc
	v_or_b32_e32 v7, v7, v8
	v_add_u32_e32 v3, v3, v7
	v_mov_b32_e32 v7, 0x7c00
	v_cmp_gt_i32_e32 vcc, 31, v6
	v_mov_b32_e32 v8, 0x7e00
	s_nop 0
	v_cndmask_b32_e32 v3, v7, v3, vcc
	v_cmp_ne_u32_e32 vcc, 0, v2
	s_nop 1
	v_cndmask_b32_e32 v2, v7, v8, vcc
	v_cmp_eq_u32_e32 vcc, s14, v6
	s_mov_b32 s14, 0x8000
	s_nop 0
	v_cndmask_b32_e32 v2, v3, v2, vcc
	v_and_b32_sdwa v3, v1, s14 dst_sel:DWORD dst_unused:UNUSED_PAD src0_sel:WORD_1 src1_sel:DWORD
	s_mov_b32 s14, 0xffff
	v_bitop3_b32 v2, v3, s14, v2 bitop3:0xc8
	global_store_dword v[4:5], v2, off
.LBB392_999:
	s_mov_b64 s[14:15], 0
.LBB392_1000:
	s_andn2_b64 vcc, exec, s[14:15]
	s_cbranch_vccnz .LBB392_1009
; %bb.1001:
	s_sext_i32_i16 s16, s28
	s_cmp_lt_i32 s16, 6
	s_mov_b64 s[14:15], -1
	s_cbranch_scc1 .LBB392_1007
; %bb.1002:
	s_cmp_gt_i32 s16, 6
	s_cbranch_scc0 .LBB392_1004
; %bb.1003:
	s_mov_b64 s[14:15], 0
	global_store_dwordx2 v[4:5], v[0:1], off
.LBB392_1004:
	s_andn2_b64 vcc, exec, s[14:15]
	s_cbranch_vccnz .LBB392_1006
; %bb.1005:
	s_waitcnt vmcnt(0)
	v_cvt_f32_f64_e32 v2, v[0:1]
	global_store_dword v[4:5], v2, off
.LBB392_1006:
	s_mov_b64 s[14:15], 0
.LBB392_1007:
	s_andn2_b64 vcc, exec, s[14:15]
	s_cbranch_vccnz .LBB392_1009
; %bb.1008:
	s_movk_i32 s14, 0x1ff
	s_waitcnt vmcnt(0)
	v_and_or_b32 v2, v1, s14, v0
	v_cmp_ne_u32_e32 vcc, 0, v2
	v_lshrrev_b32_e32 v3, 8, v1
	s_movk_i32 s14, 0xffe
	v_cndmask_b32_e64 v2, 0, 1, vcc
	v_bfe_u32 v6, v1, 20, 11
	v_and_or_b32 v2, v3, s14, v2
	v_sub_u32_e32 v7, 0x3f1, v6
	v_or_b32_e32 v3, 0x1000, v2
	v_med3_i32 v7, v7, 0, 13
	v_lshrrev_b32_e32 v8, v7, v3
	v_lshlrev_b32_e32 v7, v7, v8
	v_cmp_ne_u32_e32 vcc, v7, v3
	v_add_u32_e32 v6, 0xfffffc10, v6
	v_lshl_or_b32 v7, v6, 12, v2
	v_cndmask_b32_e64 v3, 0, 1, vcc
	v_or_b32_e32 v3, v8, v3
	v_cmp_gt_i32_e32 vcc, 1, v6
	s_movk_i32 s14, 0x40f
	s_nop 0
	v_cndmask_b32_e32 v3, v7, v3, vcc
	v_and_b32_e32 v7, 7, v3
	v_cmp_lt_i32_e32 vcc, 5, v7
	v_lshrrev_b32_e32 v3, 2, v3
	s_nop 0
	v_cndmask_b32_e64 v8, 0, 1, vcc
	v_cmp_eq_u32_e32 vcc, 3, v7
	s_nop 1
	v_cndmask_b32_e64 v7, 0, 1, vcc
	v_or_b32_e32 v7, v7, v8
	v_add_u32_e32 v3, v3, v7
	v_mov_b32_e32 v7, 0x7c00
	v_cmp_gt_i32_e32 vcc, 31, v6
	v_mov_b32_e32 v8, 0x7e00
	s_nop 0
	v_cndmask_b32_e32 v3, v7, v3, vcc
	v_cmp_ne_u32_e32 vcc, 0, v2
	s_nop 1
	v_cndmask_b32_e32 v2, v7, v8, vcc
	v_cmp_eq_u32_e32 vcc, s14, v6
	s_mov_b32 s14, 0x8000
	s_nop 0
	v_cndmask_b32_e32 v2, v3, v2, vcc
	v_lshrrev_b32_e32 v3, 16, v1
	v_and_or_b32 v2, v3, s14, v2
	global_store_short v[4:5], v2, off
.LBB392_1009:
	s_mov_b64 s[14:15], 0
.LBB392_1010:
	s_andn2_b64 vcc, exec, s[14:15]
	s_cbranch_vccnz .LBB392_1026
; %bb.1011:
	s_sext_i32_i16 s16, s28
	s_cmp_lt_i32 s16, 2
	s_mov_b64 s[14:15], -1
	s_cbranch_scc1 .LBB392_1021
; %bb.1012:
	s_cmp_lt_i32 s16, 3
	s_cbranch_scc1 .LBB392_1018
; %bb.1013:
	s_cmp_gt_i32 s16, 3
	s_cbranch_scc0 .LBB392_1015
; %bb.1014:
	s_waitcnt vmcnt(0)
	v_trunc_f64_e32 v[2:3], v[0:1]
	s_movk_i32 s14, 0xffe0
	v_ldexp_f64 v[6:7], v[2:3], s14
	v_floor_f64_e32 v[6:7], v[6:7]
	v_fmac_f64_e32 v[2:3], 0xc1f00000, v[6:7]
	v_cvt_i32_f64_e32 v9, v[6:7]
	v_cvt_u32_f64_e32 v8, v[2:3]
	s_mov_b64 s[14:15], 0
	global_store_dwordx2 v[4:5], v[8:9], off
.LBB392_1015:
	s_andn2_b64 vcc, exec, s[14:15]
	s_cbranch_vccnz .LBB392_1017
; %bb.1016:
	s_waitcnt vmcnt(0)
	v_cvt_i32_f64_e32 v2, v[0:1]
	global_store_dword v[4:5], v2, off
.LBB392_1017:
	s_mov_b64 s[14:15], 0
.LBB392_1018:
	s_andn2_b64 vcc, exec, s[14:15]
	s_cbranch_vccnz .LBB392_1020
; %bb.1019:
	s_waitcnt vmcnt(0)
	v_cvt_i32_f64_e32 v2, v[0:1]
	global_store_short v[4:5], v2, off
.LBB392_1020:
	s_mov_b64 s[14:15], 0
.LBB392_1021:
	s_andn2_b64 vcc, exec, s[14:15]
	s_cbranch_vccnz .LBB392_1026
; %bb.1022:
	s_sext_i32_i16 s14, s28
	s_cmp_gt_i32 s14, 0
	s_mov_b64 s[14:15], -1
	s_cbranch_scc0 .LBB392_1024
; %bb.1023:
	s_waitcnt vmcnt(0)
	v_cvt_i32_f64_e32 v2, v[0:1]
	s_mov_b64 s[14:15], 0
	global_store_byte v[4:5], v2, off
.LBB392_1024:
	s_andn2_b64 vcc, exec, s[14:15]
	s_cbranch_vccnz .LBB392_1026
; %bb.1025:
	v_trunc_f64_e32 v[0:1], v[0:1]
	s_movk_i32 s14, 0xffe0
	s_waitcnt vmcnt(0)
	v_ldexp_f64 v[2:3], v[0:1], s14
	v_floor_f64_e32 v[2:3], v[2:3]
	v_fmac_f64_e32 v[0:1], 0xc1f00000, v[2:3]
	v_cvt_u32_f64_e32 v0, v[0:1]
	global_store_byte v[4:5], v0, off
.LBB392_1026:
	s_or_b64 exec, exec, s[0:1]
	s_and_b64 s[14:15], s[18:19], exec
                                        ; implicit-def: $vgpr12
.LBB392_1027:
	s_or_saveexec_b64 s[12:13], s[12:13]
	s_mov_b64 s[0:1], 0
                                        ; implicit-def: $sgpr20
                                        ; implicit-def: $vgpr4_vgpr5
                                        ; implicit-def: $vgpr0_vgpr1
	s_xor_b64 exec, exec, s[12:13]
	s_cbranch_execz .LBB392_1975
; %bb.1028:
	s_waitcnt vmcnt(0)
	v_mul_lo_u32 v2, s9, v12
	v_ashrrev_i32_e32 v3, 31, v2
	s_and_b32 s24, 0xffff, s44
	s_cmp_lt_i32 s24, 11
	v_lshl_add_u64 v[4:5], s[6:7], 0, v[2:3]
	s_cbranch_scc1 .LBB392_1035
; %bb.1029:
	s_cmp_gt_i32 s24, 25
	s_cbranch_scc0 .LBB392_1037
; %bb.1030:
	s_cmp_gt_i32 s24, 28
	s_cbranch_scc0 .LBB392_1038
	;; [unrolled: 3-line block ×4, first 2 shown]
; %bb.1033:
	s_cmp_eq_u32 s24, 46
	s_mov_b64 s[16:17], 0
	s_cbranch_scc0 .LBB392_1043
; %bb.1034:
	global_load_dword v0, v[4:5], off
	s_mov_b64 s[18:19], -1
	s_waitcnt vmcnt(0)
	v_lshlrev_b32_e32 v0, 16, v0
	v_cvt_f64_f32_e32 v[0:1], v0
	s_branch .LBB392_1044
.LBB392_1035:
	s_mov_b64 s[18:19], 0
                                        ; implicit-def: $vgpr0_vgpr1
	s_mov_b64 s[16:17], s[14:15]
	s_cbranch_execnz .LBB392_1107
.LBB392_1036:
	s_andn2_b64 vcc, exec, s[18:19]
	s_cbranch_vccz .LBB392_1152
	s_branch .LBB392_1973
.LBB392_1037:
	s_mov_b64 s[18:19], 0
                                        ; implicit-def: $vgpr0_vgpr1
	s_cbranch_execnz .LBB392_1074
	s_branch .LBB392_1103
.LBB392_1038:
	s_mov_b64 s[16:17], -1
	s_mov_b64 s[18:19], 0
                                        ; implicit-def: $vgpr0_vgpr1
	s_branch .LBB392_1053
.LBB392_1039:
	s_mov_b64 s[18:19], 0
                                        ; implicit-def: $vgpr0_vgpr1
	s_cbranch_execnz .LBB392_1049
	s_branch .LBB392_1052
.LBB392_1040:
	s_mov_b64 s[16:17], -1
	s_mov_b64 s[18:19], 0
                                        ; implicit-def: $vgpr0_vgpr1
	s_branch .LBB392_1044
.LBB392_1041:
	s_andn2_saveexec_b64 s[24:25], s[24:25]
	s_cbranch_execz .LBB392_936
.LBB392_1042:
	s_mov_b32 s26, 0x46000000
	v_add_f32_e64 v3, |v2|, s26
	v_and_b32_e32 v3, 0xff, v3
	v_cmp_ne_u32_e32 vcc, 0, v3
	s_andn2_b64 s[22:23], s[22:23], exec
	s_and_b64 s[26:27], vcc, exec
	s_or_b64 s[22:23], s[22:23], s[26:27]
	s_or_b64 exec, exec, s[24:25]
	v_mov_b32_e32 v6, 0
	s_and_saveexec_b64 s[24:25], s[22:23]
	s_cbranch_execnz .LBB392_937
	s_branch .LBB392_938
.LBB392_1043:
	s_mov_b64 s[0:1], -1
                                        ; implicit-def: $vgpr0_vgpr1
	s_mov_b64 s[18:19], 0
.LBB392_1044:
	s_and_b64 vcc, exec, s[16:17]
	s_cbranch_vccz .LBB392_1047
; %bb.1045:
	s_cmp_eq_u32 s24, 44
	s_cbranch_scc0 .LBB392_1048
; %bb.1046:
	global_load_ubyte v3, v[4:5], off
	s_movk_i32 s16, 0xff
	v_bfrev_b32_e32 v6, 4
	v_mov_b32_e32 v7, 0x7ff80000
	v_bfrev_b32_e32 v8, 28
	s_mov_b64 s[0:1], 0
	s_mov_b64 s[18:19], -1
	s_waitcnt vmcnt(0)
	v_lshlrev_b32_e32 v0, 23, v3
	v_cvt_f64_f32_e32 v[0:1], v0
	v_cmp_ne_u32_e32 vcc, s16, v3
	s_nop 1
	v_cndmask_b32_e32 v0, v6, v0, vcc
	v_cndmask_b32_e32 v1, v7, v1, vcc
	v_cmp_ne_u32_e32 vcc, 0, v3
	s_nop 1
	v_cndmask_b32_e32 v1, v8, v1, vcc
	v_cndmask_b32_e32 v0, 0, v0, vcc
.LBB392_1047:
	s_branch .LBB392_1052
.LBB392_1048:
	s_mov_b64 s[0:1], -1
                                        ; implicit-def: $vgpr0_vgpr1
	s_branch .LBB392_1052
.LBB392_1049:
	s_cmp_eq_u32 s24, 29
	s_cbranch_scc0 .LBB392_1051
; %bb.1050:
	global_load_dwordx2 v[0:1], v[4:5], off
	s_mov_b64 s[0:1], 0
	s_mov_b64 s[18:19], -1
	s_mov_b64 s[16:17], 0
	s_waitcnt vmcnt(0)
	v_cvt_f64_u32_e32 v[6:7], v1
	v_cvt_f64_u32_e32 v[0:1], v0
	v_ldexp_f64 v[6:7], v[6:7], 32
	v_add_f64 v[0:1], v[6:7], v[0:1]
	s_branch .LBB392_1053
.LBB392_1051:
	s_mov_b64 s[0:1], -1
                                        ; implicit-def: $vgpr0_vgpr1
.LBB392_1052:
	s_mov_b64 s[16:17], 0
.LBB392_1053:
	s_and_b64 vcc, exec, s[16:17]
	s_cbranch_vccz .LBB392_1073
; %bb.1054:
	s_cmp_lt_i32 s24, 27
	s_cbranch_scc1 .LBB392_1057
; %bb.1055:
	s_cmp_gt_i32 s24, 27
	s_cbranch_scc0 .LBB392_1058
; %bb.1056:
	global_load_dword v0, v[4:5], off
	s_mov_b64 s[16:17], 0
	s_waitcnt vmcnt(0)
	v_cvt_f64_u32_e32 v[0:1], v0
	s_branch .LBB392_1059
.LBB392_1057:
	s_mov_b64 s[16:17], -1
                                        ; implicit-def: $vgpr0_vgpr1
	s_branch .LBB392_1062
.LBB392_1058:
	s_mov_b64 s[16:17], -1
                                        ; implicit-def: $vgpr0_vgpr1
.LBB392_1059:
	s_andn2_b64 vcc, exec, s[16:17]
	s_cbranch_vccnz .LBB392_1061
; %bb.1060:
	global_load_ushort v0, v[4:5], off
	s_waitcnt vmcnt(0)
	v_cvt_f64_u32_e32 v[0:1], v0
.LBB392_1061:
	s_mov_b64 s[16:17], 0
.LBB392_1062:
	s_andn2_b64 vcc, exec, s[16:17]
	s_cbranch_vccnz .LBB392_1072
; %bb.1063:
	global_load_ubyte v3, v[4:5], off
	s_movk_i32 s16, 0x7f
	s_waitcnt vmcnt(0)
	v_cmp_lt_i16_e32 vcc, s16, v3
	s_mov_b64 s[16:17], 0
	s_and_saveexec_b64 s[18:19], vcc
	s_xor_b64 s[18:19], exec, s[18:19]
	s_cbranch_execz .LBB392_1067
; %bb.1064:
	s_movk_i32 s16, 0x80
	v_cmp_eq_u16_e32 vcc, s16, v3
	s_mov_b64 s[16:17], -1
	s_and_saveexec_b64 s[20:21], vcc
; %bb.1065:
	s_xor_b64 s[16:17], exec, -1
; %bb.1066:
	s_or_b64 exec, exec, s[20:21]
	s_and_b64 s[16:17], s[16:17], exec
.LBB392_1067:
	s_or_saveexec_b64 s[18:19], s[18:19]
	v_bfrev_b32_e32 v0, 4
	v_mov_b32_e32 v1, 0x7ff80000
	s_xor_b64 exec, exec, s[18:19]
; %bb.1068:
	v_cmp_ne_u16_e32 vcc, 0, v3
	s_andn2_b64 s[16:17], s[16:17], exec
	s_and_b64 s[20:21], vcc, exec
	v_mov_b64_e32 v[0:1], 0
	s_or_b64 s[16:17], s[16:17], s[20:21]
; %bb.1069:
	s_or_b64 exec, exec, s[18:19]
	s_and_saveexec_b64 s[18:19], s[16:17]
	s_cbranch_execz .LBB392_1071
; %bb.1070:
	v_and_b32_e32 v1, 0xffff, v3
	v_lshlrev_b32_e32 v0, 24, v3
	v_and_b32_e32 v3, 7, v1
	v_ffbh_u32_e32 v7, v3
	v_min_u32_e32 v7, 32, v7
	v_subrev_u32_e32 v8, 28, v7
	v_bfe_u32 v6, v1, 3, 4
	v_lshlrev_b32_e32 v1, v8, v1
	v_sub_u32_e32 v7, 29, v7
	v_and_b32_e32 v1, 7, v1
	v_cmp_eq_u32_e32 vcc, 0, v6
	v_and_b32_e32 v0, 0x80000000, v0
	s_nop 0
	v_cndmask_b32_e32 v6, v6, v7, vcc
	v_cndmask_b32_e32 v1, v3, v1, vcc
	v_mov_b32_e32 v3, 0x3b800000
	v_lshlrev_b32_e32 v1, 20, v1
	v_lshl_add_u32 v3, v6, 23, v3
	v_or3_b32 v0, v0, v3, v1
	v_cvt_f64_f32_e32 v[0:1], v0
.LBB392_1071:
	s_or_b64 exec, exec, s[18:19]
.LBB392_1072:
	s_mov_b64 s[18:19], -1
.LBB392_1073:
	s_branch .LBB392_1103
.LBB392_1074:
	s_cmp_gt_i32 s24, 22
	s_cbranch_scc0 .LBB392_1086
; %bb.1075:
	s_cmp_lt_i32 s24, 24
	s_cbranch_scc1 .LBB392_1087
; %bb.1076:
	s_cmp_gt_i32 s24, 24
	s_cbranch_scc0 .LBB392_1088
; %bb.1077:
	global_load_ubyte v3, v[4:5], off
	s_movk_i32 s2, 0x7f
	s_waitcnt vmcnt(0)
	v_cmp_lt_i16_e32 vcc, s2, v3
	s_mov_b64 s[2:3], 0
	s_and_saveexec_b64 s[16:17], vcc
	s_xor_b64 s[16:17], exec, s[16:17]
	s_cbranch_execz .LBB392_1081
; %bb.1078:
	s_movk_i32 s2, 0x80
	v_cmp_eq_u16_e32 vcc, s2, v3
	s_mov_b64 s[2:3], -1
	s_and_saveexec_b64 s[18:19], vcc
; %bb.1079:
	s_xor_b64 s[2:3], exec, -1
; %bb.1080:
	s_or_b64 exec, exec, s[18:19]
	s_and_b64 s[2:3], s[2:3], exec
.LBB392_1081:
	s_or_saveexec_b64 s[16:17], s[16:17]
	v_bfrev_b32_e32 v0, 4
	v_mov_b32_e32 v1, 0x7ff80000
	s_xor_b64 exec, exec, s[16:17]
; %bb.1082:
	v_cmp_ne_u16_e32 vcc, 0, v3
	s_andn2_b64 s[2:3], s[2:3], exec
	s_and_b64 s[18:19], vcc, exec
	v_mov_b64_e32 v[0:1], 0
	s_or_b64 s[2:3], s[2:3], s[18:19]
; %bb.1083:
	s_or_b64 exec, exec, s[16:17]
	s_and_saveexec_b64 s[16:17], s[2:3]
	s_cbranch_execz .LBB392_1085
; %bb.1084:
	v_and_b32_e32 v1, 0xffff, v3
	v_lshlrev_b32_e32 v0, 24, v3
	v_and_b32_e32 v3, 3, v1
	v_ffbh_u32_e32 v7, v3
	v_min_u32_e32 v7, 32, v7
	v_subrev_u32_e32 v8, 29, v7
	v_bfe_u32 v6, v1, 2, 5
	v_lshlrev_b32_e32 v1, v8, v1
	v_sub_u32_e32 v7, 30, v7
	v_and_b32_e32 v1, 3, v1
	v_cmp_eq_u32_e32 vcc, 0, v6
	v_and_b32_e32 v0, 0x80000000, v0
	s_nop 0
	v_cndmask_b32_e32 v6, v6, v7, vcc
	v_cndmask_b32_e32 v1, v3, v1, vcc
	v_mov_b32_e32 v3, 0x37800000
	v_lshlrev_b32_e32 v1, 21, v1
	v_lshl_add_u32 v3, v6, 23, v3
	v_or3_b32 v0, v0, v3, v1
	v_cvt_f64_f32_e32 v[0:1], v0
.LBB392_1085:
	s_or_b64 exec, exec, s[16:17]
	s_mov_b64 s[2:3], 0
	s_branch .LBB392_1089
.LBB392_1086:
                                        ; implicit-def: $vgpr0_vgpr1
	s_mov_b64 s[2:3], 0
	s_branch .LBB392_1095
.LBB392_1087:
	s_mov_b64 s[2:3], -1
                                        ; implicit-def: $vgpr0_vgpr1
	s_branch .LBB392_1092
.LBB392_1088:
	s_mov_b64 s[2:3], -1
                                        ; implicit-def: $vgpr0_vgpr1
.LBB392_1089:
	s_and_b64 vcc, exec, s[2:3]
	s_cbranch_vccz .LBB392_1091
; %bb.1090:
	global_load_ubyte v0, v[4:5], off
	s_mov_b32 s2, 0x7f800000
	s_waitcnt vmcnt(0)
	v_lshlrev_b32_e32 v0, 24, v0
	v_and_b32_e32 v1, 0x7f000000, v0
	v_ffbh_u32_e32 v3, v1
	v_min_u32_e32 v3, 32, v3
	v_sub_u32_e64 v3, v3, 4 clamp
	v_lshlrev_b32_e32 v7, v3, v1
	v_lshlrev_b32_e32 v3, 23, v3
	v_lshrrev_b32_e32 v7, 4, v7
	v_add_u32_e32 v6, 0x1000000, v1
	v_sub_u32_e32 v3, v7, v3
	v_ashrrev_i32_e32 v6, 8, v6
	v_add_u32_e32 v3, 0x3c000000, v3
	v_and_or_b32 v3, v6, s2, v3
	v_cmp_ne_u32_e32 vcc, 0, v1
	s_brev_b32 s2, 1
	s_nop 0
	v_cndmask_b32_e32 v1, 0, v3, vcc
	v_and_or_b32 v0, v0, s2, v1
	v_cvt_f64_f32_e32 v[0:1], v0
.LBB392_1091:
	s_mov_b64 s[2:3], 0
.LBB392_1092:
	s_andn2_b64 vcc, exec, s[2:3]
	s_cbranch_vccnz .LBB392_1094
; %bb.1093:
	global_load_ubyte v0, v[4:5], off
	s_movk_i32 s2, 0x7f00
	s_brev_b32 s3, 16
	s_waitcnt vmcnt(0)
	v_lshlrev_b16_e32 v1, 8, v0
	v_lshlrev_b32_e32 v0, 25, v0
	v_lshrrev_b32_e32 v3, 4, v0
	v_and_or_b32 v6, v1, s2, 0.5
	v_or_b32_e32 v3, 0x70000000, v3
	v_add_f32_e32 v6, -0.5, v6
	v_mul_f32_e32 v3, 0x7800000, v3
	v_cmp_gt_u32_e32 vcc, s3, v0
	v_bfe_i32 v1, v1, 0, 16
	s_brev_b32 s2, 1
	v_cndmask_b32_e32 v0, v3, v6, vcc
	v_and_or_b32 v0, v1, s2, v0
	v_cvt_f64_f32_e32 v[0:1], v0
.LBB392_1094:
	s_mov_b64 s[18:19], -1
	s_mov_b64 s[2:3], 0
	s_cbranch_execnz .LBB392_1103
.LBB392_1095:
	s_cmp_gt_i32 s24, 14
	s_cbranch_scc0 .LBB392_1098
; %bb.1096:
	s_cmp_eq_u32 s24, 15
	s_cbranch_scc0 .LBB392_1099
; %bb.1097:
	global_load_ushort v0, v[4:5], off
	s_mov_b64 s[0:1], 0
	s_mov_b64 s[18:19], -1
	s_waitcnt vmcnt(0)
	v_lshlrev_b32_e32 v0, 16, v0
	v_cvt_f64_f32_e32 v[0:1], v0
	s_branch .LBB392_1100
.LBB392_1098:
	s_mov_b64 s[16:17], -1
                                        ; implicit-def: $vgpr0_vgpr1
	s_branch .LBB392_1101
.LBB392_1099:
	s_mov_b64 s[0:1], -1
                                        ; implicit-def: $vgpr0_vgpr1
.LBB392_1100:
	s_mov_b64 s[16:17], 0
.LBB392_1101:
	s_and_b64 vcc, exec, s[16:17]
	s_cbranch_vccz .LBB392_1103
; %bb.1102:
	s_cmp_lg_u32 s24, 11
	s_mov_b64 s[2:3], -1
	s_cselect_b64 s[0:1], -1, 0
.LBB392_1103:
	s_and_b64 vcc, exec, s[0:1]
	s_mov_b64 s[16:17], s[14:15]
	s_cbranch_vccnz .LBB392_1164
; %bb.1104:
	s_andn2_b64 vcc, exec, s[2:3]
	s_cbranch_vccnz .LBB392_1106
.LBB392_1105:
	global_load_ubyte v1, v[4:5], off
	v_mov_b32_e32 v3, 0x3ff00000
	v_mov_b32_e32 v0, 0
	s_mov_b64 s[18:19], -1
	s_waitcnt vmcnt(0)
	v_cmp_ne_u16_e32 vcc, 0, v1
	s_nop 1
	v_cndmask_b32_e32 v1, 0, v3, vcc
.LBB392_1106:
	s_branch .LBB392_1036
.LBB392_1107:
	s_cmp_lt_i32 s24, 5
	s_cbranch_scc1 .LBB392_1112
; %bb.1108:
	s_cmp_lt_i32 s24, 8
	s_cbranch_scc1 .LBB392_1113
; %bb.1109:
	;; [unrolled: 3-line block ×3, first 2 shown]
	s_cmp_gt_i32 s24, 9
	s_cbranch_scc0 .LBB392_1115
; %bb.1111:
	global_load_dwordx2 v[0:1], v[4:5], off
	s_mov_b64 s[0:1], 0
	s_branch .LBB392_1116
.LBB392_1112:
                                        ; implicit-def: $vgpr0_vgpr1
	s_branch .LBB392_1133
.LBB392_1113:
                                        ; implicit-def: $vgpr0_vgpr1
	s_branch .LBB392_1122
.LBB392_1114:
	s_mov_b64 s[0:1], -1
                                        ; implicit-def: $vgpr0_vgpr1
	s_branch .LBB392_1119
.LBB392_1115:
	s_mov_b64 s[0:1], -1
                                        ; implicit-def: $vgpr0_vgpr1
.LBB392_1116:
	s_andn2_b64 vcc, exec, s[0:1]
	s_cbranch_vccnz .LBB392_1118
; %bb.1117:
	global_load_dword v0, v[4:5], off
	s_waitcnt vmcnt(0)
	v_cvt_f64_f32_e32 v[0:1], v0
.LBB392_1118:
	s_mov_b64 s[0:1], 0
.LBB392_1119:
	s_andn2_b64 vcc, exec, s[0:1]
	s_cbranch_vccnz .LBB392_1121
; %bb.1120:
	global_load_dword v0, v[4:5], off
	s_waitcnt vmcnt(0)
	v_cvt_f32_f16_e32 v0, v0
	v_cvt_f64_f32_e32 v[0:1], v0
.LBB392_1121:
	s_cbranch_execnz .LBB392_1132
.LBB392_1122:
	s_cmp_lt_i32 s24, 6
	s_cbranch_scc1 .LBB392_1125
; %bb.1123:
	s_cmp_gt_i32 s24, 6
	s_cbranch_scc0 .LBB392_1126
; %bb.1124:
	global_load_dwordx2 v[0:1], v[4:5], off
	s_mov_b64 s[0:1], 0
	s_branch .LBB392_1127
.LBB392_1125:
	s_mov_b64 s[0:1], -1
                                        ; implicit-def: $vgpr0_vgpr1
	s_branch .LBB392_1130
.LBB392_1126:
	s_mov_b64 s[0:1], -1
                                        ; implicit-def: $vgpr0_vgpr1
.LBB392_1127:
	s_andn2_b64 vcc, exec, s[0:1]
	s_cbranch_vccnz .LBB392_1129
; %bb.1128:
	global_load_dword v0, v[4:5], off
	s_waitcnt vmcnt(0)
	v_cvt_f64_f32_e32 v[0:1], v0
.LBB392_1129:
	s_mov_b64 s[0:1], 0
.LBB392_1130:
	s_andn2_b64 vcc, exec, s[0:1]
	s_cbranch_vccnz .LBB392_1132
; %bb.1131:
	global_load_ushort v0, v[4:5], off
	s_waitcnt vmcnt(0)
	v_cvt_f32_f16_e32 v0, v0
	v_cvt_f64_f32_e32 v[0:1], v0
.LBB392_1132:
	s_cbranch_execnz .LBB392_1151
.LBB392_1133:
	s_cmp_lt_i32 s24, 2
	s_cbranch_scc1 .LBB392_1137
; %bb.1134:
	s_cmp_lt_i32 s24, 3
	s_cbranch_scc1 .LBB392_1138
; %bb.1135:
	s_cmp_gt_i32 s24, 3
	s_cbranch_scc0 .LBB392_1139
; %bb.1136:
	global_load_dwordx2 v[0:1], v[4:5], off
	s_mov_b64 s[0:1], 0
	s_waitcnt vmcnt(0)
	v_cvt_f64_i32_e32 v[6:7], v1
	v_cvt_f64_u32_e32 v[0:1], v0
	v_ldexp_f64 v[6:7], v[6:7], 32
	v_add_f64 v[0:1], v[6:7], v[0:1]
	s_branch .LBB392_1140
.LBB392_1137:
                                        ; implicit-def: $vgpr0_vgpr1
	s_branch .LBB392_1146
.LBB392_1138:
	s_mov_b64 s[0:1], -1
                                        ; implicit-def: $vgpr0_vgpr1
	s_branch .LBB392_1143
.LBB392_1139:
	s_mov_b64 s[0:1], -1
                                        ; implicit-def: $vgpr0_vgpr1
.LBB392_1140:
	s_andn2_b64 vcc, exec, s[0:1]
	s_cbranch_vccnz .LBB392_1142
; %bb.1141:
	global_load_dword v0, v[4:5], off
	s_waitcnt vmcnt(0)
	v_cvt_f64_i32_e32 v[0:1], v0
.LBB392_1142:
	s_mov_b64 s[0:1], 0
.LBB392_1143:
	s_andn2_b64 vcc, exec, s[0:1]
	s_cbranch_vccnz .LBB392_1145
; %bb.1144:
	global_load_sshort v0, v[4:5], off
	s_waitcnt vmcnt(0)
	v_cvt_f64_i32_e32 v[0:1], v0
.LBB392_1145:
	s_cbranch_execnz .LBB392_1151
.LBB392_1146:
	s_cmp_gt_i32 s24, 0
	s_cbranch_scc0 .LBB392_1148
; %bb.1147:
	global_load_sbyte v0, v[4:5], off
	s_mov_b64 s[0:1], 0
	s_waitcnt vmcnt(0)
	v_cvt_f64_i32_e32 v[0:1], v0
	s_branch .LBB392_1149
.LBB392_1148:
	s_mov_b64 s[0:1], -1
                                        ; implicit-def: $vgpr0_vgpr1
.LBB392_1149:
	s_andn2_b64 vcc, exec, s[0:1]
	s_cbranch_vccnz .LBB392_1151
; %bb.1150:
	global_load_ubyte v0, v[4:5], off
	s_waitcnt vmcnt(0)
	v_cvt_f64_u32_e32 v[0:1], v0
.LBB392_1151:
.LBB392_1152:
	s_lshl_b32 s9, s9, 7
	v_add_u32_e32 v2, s9, v2
	v_ashrrev_i32_e32 v3, 31, v2
	s_cmp_lt_i32 s24, 11
	v_lshl_add_u64 v[4:5], s[6:7], 0, v[2:3]
	s_cbranch_scc1 .LBB392_1159
; %bb.1153:
	s_cmp_gt_i32 s24, 25
	s_mov_b64 s[2:3], 0
	s_cbranch_scc0 .LBB392_1161
; %bb.1154:
	s_cmp_gt_i32 s24, 28
	s_cbranch_scc0 .LBB392_1162
; %bb.1155:
	s_cmp_gt_i32 s24, 43
	;; [unrolled: 3-line block ×3, first 2 shown]
	s_cbranch_scc0 .LBB392_1165
; %bb.1157:
	s_cmp_eq_u32 s24, 46
	s_mov_b64 s[20:21], 0
	s_cbranch_scc0 .LBB392_1168
; %bb.1158:
	global_load_dword v3, v[4:5], off
	s_mov_b64 s[0:1], 0
	s_mov_b64 s[18:19], -1
	s_waitcnt vmcnt(0)
	v_lshlrev_b32_e32 v3, 16, v3
	v_cvt_f64_f32_e32 v[8:9], v3
	s_branch .LBB392_1169
.LBB392_1159:
	s_mov_b64 s[18:19], 0
                                        ; implicit-def: $vgpr8_vgpr9
	s_cbranch_execnz .LBB392_1234
.LBB392_1160:
	s_andn2_b64 vcc, exec, s[18:19]
	s_cbranch_vccnz .LBB392_1973
	s_branch .LBB392_1281
.LBB392_1161:
	s_mov_b64 s[18:19], 0
	s_mov_b64 s[0:1], 0
                                        ; implicit-def: $vgpr8_vgpr9
	s_cbranch_execnz .LBB392_1200
	s_branch .LBB392_1230
.LBB392_1162:
	s_mov_b64 s[20:21], -1
	s_mov_b64 s[18:19], 0
	s_mov_b64 s[0:1], 0
                                        ; implicit-def: $vgpr8_vgpr9
	s_branch .LBB392_1179
.LBB392_1163:
	s_mov_b64 s[20:21], -1
	s_mov_b64 s[18:19], 0
	s_mov_b64 s[0:1], 0
                                        ; implicit-def: $vgpr8_vgpr9
	s_branch .LBB392_1174
.LBB392_1164:
	s_or_b64 s[16:17], s[14:15], exec
	s_trap 2
	s_cbranch_execz .LBB392_1105
	s_branch .LBB392_1106
.LBB392_1165:
	s_mov_b64 s[20:21], -1
	s_mov_b64 s[18:19], 0
	s_mov_b64 s[0:1], 0
                                        ; implicit-def: $vgpr8_vgpr9
	s_branch .LBB392_1169
.LBB392_1166:
	s_andn2_saveexec_b64 s[26:27], s[26:27]
	s_cbranch_execz .LBB392_948
.LBB392_1167:
	s_mov_b32 s30, 0x42800000
	v_add_f32_e64 v3, |v2|, s30
	v_and_b32_e32 v3, 0xff, v3
	v_cmp_ne_u32_e32 vcc, 0, v3
	s_andn2_b64 s[24:25], s[24:25], exec
	s_and_b64 s[30:31], vcc, exec
	s_or_b64 s[24:25], s[24:25], s[30:31]
	s_or_b64 exec, exec, s[26:27]
	v_mov_b32_e32 v6, 0
	s_and_saveexec_b64 s[26:27], s[24:25]
	s_cbranch_execnz .LBB392_949
	s_branch .LBB392_950
.LBB392_1168:
	s_mov_b64 s[0:1], -1
                                        ; implicit-def: $vgpr8_vgpr9
	s_mov_b64 s[18:19], 0
.LBB392_1169:
	s_and_b64 vcc, exec, s[20:21]
	s_cbranch_vccz .LBB392_1173
; %bb.1170:
	s_cmp_eq_u32 s24, 44
	s_cbranch_scc0 .LBB392_1172
; %bb.1171:
	global_load_ubyte v3, v[4:5], off
	s_movk_i32 s18, 0xff
	v_bfrev_b32_e32 v8, 4
	v_mov_b32_e32 v9, 0x7ff80000
	v_bfrev_b32_e32 v10, 28
	s_mov_b64 s[0:1], 0
	s_waitcnt vmcnt(0)
	v_lshlrev_b32_e32 v6, 23, v3
	v_cvt_f64_f32_e32 v[6:7], v6
	v_cmp_ne_u32_e32 vcc, s18, v3
	s_mov_b64 s[18:19], -1
	s_nop 0
	v_cndmask_b32_e32 v6, v8, v6, vcc
	v_cndmask_b32_e32 v7, v9, v7, vcc
	v_cmp_ne_u32_e32 vcc, 0, v3
	s_nop 1
	v_cndmask_b32_e32 v9, v10, v7, vcc
	v_cndmask_b32_e32 v8, 0, v6, vcc
	s_branch .LBB392_1173
.LBB392_1172:
	s_mov_b64 s[0:1], -1
                                        ; implicit-def: $vgpr8_vgpr9
.LBB392_1173:
	s_mov_b64 s[20:21], 0
.LBB392_1174:
	s_and_b64 vcc, exec, s[20:21]
	s_cbranch_vccz .LBB392_1178
; %bb.1175:
	s_cmp_eq_u32 s24, 29
	s_cbranch_scc0 .LBB392_1177
; %bb.1176:
	global_load_dwordx2 v[6:7], v[4:5], off
	s_mov_b64 s[0:1], 0
	s_mov_b64 s[18:19], -1
	s_mov_b64 s[20:21], 0
	s_waitcnt vmcnt(0)
	v_cvt_f64_u32_e32 v[8:9], v7
	v_cvt_f64_u32_e32 v[6:7], v6
	v_ldexp_f64 v[8:9], v[8:9], 32
	v_add_f64 v[8:9], v[8:9], v[6:7]
	s_branch .LBB392_1179
.LBB392_1177:
	s_mov_b64 s[0:1], -1
                                        ; implicit-def: $vgpr8_vgpr9
.LBB392_1178:
	s_mov_b64 s[20:21], 0
.LBB392_1179:
	s_and_b64 vcc, exec, s[20:21]
	s_cbranch_vccz .LBB392_1199
; %bb.1180:
	s_cmp_lt_i32 s24, 27
	s_cbranch_scc1 .LBB392_1183
; %bb.1181:
	s_cmp_gt_i32 s24, 27
	s_cbranch_scc0 .LBB392_1184
; %bb.1182:
	global_load_dword v3, v[4:5], off
	s_mov_b64 s[18:19], 0
	s_waitcnt vmcnt(0)
	v_cvt_f64_u32_e32 v[8:9], v3
	s_branch .LBB392_1185
.LBB392_1183:
	s_mov_b64 s[18:19], -1
                                        ; implicit-def: $vgpr8_vgpr9
	s_branch .LBB392_1188
.LBB392_1184:
	s_mov_b64 s[18:19], -1
                                        ; implicit-def: $vgpr8_vgpr9
.LBB392_1185:
	s_andn2_b64 vcc, exec, s[18:19]
	s_cbranch_vccnz .LBB392_1187
; %bb.1186:
	global_load_ushort v3, v[4:5], off
	s_waitcnt vmcnt(0)
	v_cvt_f64_u32_e32 v[8:9], v3
.LBB392_1187:
	s_mov_b64 s[18:19], 0
.LBB392_1188:
	s_andn2_b64 vcc, exec, s[18:19]
	s_cbranch_vccnz .LBB392_1198
; %bb.1189:
	global_load_ubyte v3, v[4:5], off
	s_movk_i32 s18, 0x7f
	s_waitcnt vmcnt(0)
	v_cmp_lt_i16_e32 vcc, s18, v3
	s_mov_b64 s[18:19], 0
	s_and_saveexec_b64 s[20:21], vcc
	s_xor_b64 s[20:21], exec, s[20:21]
	s_cbranch_execz .LBB392_1193
; %bb.1190:
	s_movk_i32 s18, 0x80
	v_cmp_eq_u16_e32 vcc, s18, v3
	s_mov_b64 s[18:19], -1
	s_and_saveexec_b64 s[22:23], vcc
; %bb.1191:
	s_xor_b64 s[18:19], exec, -1
; %bb.1192:
	s_or_b64 exec, exec, s[22:23]
	s_and_b64 s[18:19], s[18:19], exec
.LBB392_1193:
	s_or_saveexec_b64 s[20:21], s[20:21]
	v_bfrev_b32_e32 v8, 4
	v_mov_b32_e32 v9, 0x7ff80000
	s_xor_b64 exec, exec, s[20:21]
; %bb.1194:
	v_cmp_ne_u16_e32 vcc, 0, v3
	s_andn2_b64 s[18:19], s[18:19], exec
	s_and_b64 s[22:23], vcc, exec
	v_mov_b64_e32 v[8:9], 0
	s_or_b64 s[18:19], s[18:19], s[22:23]
; %bb.1195:
	s_or_b64 exec, exec, s[20:21]
	s_and_saveexec_b64 s[20:21], s[18:19]
	s_cbranch_execz .LBB392_1197
; %bb.1196:
	v_lshlrev_b32_e32 v6, 24, v3
	v_and_b32_e32 v3, 0xffff, v3
	v_and_b32_e32 v7, 7, v3
	v_ffbh_u32_e32 v9, v7
	v_min_u32_e32 v9, 32, v9
	v_subrev_u32_e32 v10, 28, v9
	v_bfe_u32 v8, v3, 3, 4
	v_lshlrev_b32_e32 v3, v10, v3
	v_sub_u32_e32 v9, 29, v9
	v_and_b32_e32 v3, 7, v3
	v_cmp_eq_u32_e32 vcc, 0, v8
	v_and_b32_e32 v6, 0x80000000, v6
	s_nop 0
	v_cndmask_b32_e32 v8, v8, v9, vcc
	v_cndmask_b32_e32 v3, v7, v3, vcc
	v_mov_b32_e32 v7, 0x3b800000
	v_lshlrev_b32_e32 v3, 20, v3
	v_lshl_add_u32 v7, v8, 23, v7
	v_or3_b32 v3, v6, v7, v3
	v_cvt_f64_f32_e32 v[8:9], v3
.LBB392_1197:
	s_or_b64 exec, exec, s[20:21]
.LBB392_1198:
	s_mov_b64 s[18:19], -1
.LBB392_1199:
	s_branch .LBB392_1230
.LBB392_1200:
	s_cmp_gt_i32 s24, 22
	s_cbranch_scc0 .LBB392_1212
; %bb.1201:
	s_cmp_lt_i32 s24, 24
	s_cbranch_scc1 .LBB392_1213
; %bb.1202:
	s_cmp_gt_i32 s24, 24
	s_cbranch_scc0 .LBB392_1214
; %bb.1203:
	global_load_ubyte v3, v[4:5], off
	s_movk_i32 s2, 0x7f
	s_waitcnt vmcnt(0)
	v_cmp_lt_i16_e32 vcc, s2, v3
	s_mov_b64 s[2:3], 0
	s_and_saveexec_b64 s[18:19], vcc
	s_xor_b64 s[18:19], exec, s[18:19]
	s_cbranch_execz .LBB392_1207
; %bb.1204:
	s_movk_i32 s2, 0x80
	v_cmp_eq_u16_e32 vcc, s2, v3
	s_mov_b64 s[2:3], -1
	s_and_saveexec_b64 s[20:21], vcc
; %bb.1205:
	s_xor_b64 s[2:3], exec, -1
; %bb.1206:
	s_or_b64 exec, exec, s[20:21]
	s_and_b64 s[2:3], s[2:3], exec
.LBB392_1207:
	s_or_saveexec_b64 s[18:19], s[18:19]
	v_bfrev_b32_e32 v8, 4
	v_mov_b32_e32 v9, 0x7ff80000
	s_xor_b64 exec, exec, s[18:19]
; %bb.1208:
	v_cmp_ne_u16_e32 vcc, 0, v3
	s_andn2_b64 s[2:3], s[2:3], exec
	s_and_b64 s[20:21], vcc, exec
	v_mov_b64_e32 v[8:9], 0
	s_or_b64 s[2:3], s[2:3], s[20:21]
; %bb.1209:
	s_or_b64 exec, exec, s[18:19]
	s_and_saveexec_b64 s[18:19], s[2:3]
	s_cbranch_execz .LBB392_1211
; %bb.1210:
	v_lshlrev_b32_e32 v6, 24, v3
	v_and_b32_e32 v3, 0xffff, v3
	v_and_b32_e32 v7, 3, v3
	v_ffbh_u32_e32 v9, v7
	v_min_u32_e32 v9, 32, v9
	v_subrev_u32_e32 v10, 29, v9
	v_bfe_u32 v8, v3, 2, 5
	v_lshlrev_b32_e32 v3, v10, v3
	v_sub_u32_e32 v9, 30, v9
	v_and_b32_e32 v3, 3, v3
	v_cmp_eq_u32_e32 vcc, 0, v8
	v_and_b32_e32 v6, 0x80000000, v6
	s_nop 0
	v_cndmask_b32_e32 v8, v8, v9, vcc
	v_cndmask_b32_e32 v3, v7, v3, vcc
	v_mov_b32_e32 v7, 0x37800000
	v_lshlrev_b32_e32 v3, 21, v3
	v_lshl_add_u32 v7, v8, 23, v7
	v_or3_b32 v3, v6, v7, v3
	v_cvt_f64_f32_e32 v[8:9], v3
.LBB392_1211:
	s_or_b64 exec, exec, s[18:19]
	s_mov_b64 s[2:3], 0
	s_branch .LBB392_1215
.LBB392_1212:
	s_mov_b64 s[2:3], -1
                                        ; implicit-def: $vgpr8_vgpr9
	s_branch .LBB392_1221
.LBB392_1213:
	s_mov_b64 s[2:3], -1
                                        ; implicit-def: $vgpr8_vgpr9
	s_branch .LBB392_1218
.LBB392_1214:
	s_mov_b64 s[2:3], -1
                                        ; implicit-def: $vgpr8_vgpr9
.LBB392_1215:
	s_and_b64 vcc, exec, s[2:3]
	s_cbranch_vccz .LBB392_1217
; %bb.1216:
	global_load_ubyte v3, v[4:5], off
	s_mov_b32 s2, 0x7f800000
	s_waitcnt vmcnt(0)
	v_lshlrev_b32_e32 v3, 24, v3
	v_and_b32_e32 v6, 0x7f000000, v3
	v_ffbh_u32_e32 v7, v6
	v_min_u32_e32 v7, 32, v7
	v_sub_u32_e64 v7, v7, 4 clamp
	v_lshlrev_b32_e32 v9, v7, v6
	v_lshlrev_b32_e32 v7, 23, v7
	v_lshrrev_b32_e32 v9, 4, v9
	v_add_u32_e32 v8, 0x1000000, v6
	v_sub_u32_e32 v7, v9, v7
	v_ashrrev_i32_e32 v8, 8, v8
	v_add_u32_e32 v7, 0x3c000000, v7
	v_and_or_b32 v7, v8, s2, v7
	v_cmp_ne_u32_e32 vcc, 0, v6
	s_brev_b32 s2, 1
	s_nop 0
	v_cndmask_b32_e32 v6, 0, v7, vcc
	v_and_or_b32 v3, v3, s2, v6
	v_cvt_f64_f32_e32 v[8:9], v3
.LBB392_1217:
	s_mov_b64 s[2:3], 0
.LBB392_1218:
	s_andn2_b64 vcc, exec, s[2:3]
	s_cbranch_vccnz .LBB392_1220
; %bb.1219:
	global_load_ubyte v3, v[4:5], off
	s_movk_i32 s2, 0x7f00
	s_brev_b32 s3, 16
	s_waitcnt vmcnt(0)
	v_lshlrev_b16_e32 v6, 8, v3
	v_lshlrev_b32_e32 v3, 25, v3
	v_lshrrev_b32_e32 v7, 4, v3
	v_and_or_b32 v8, v6, s2, 0.5
	v_or_b32_e32 v7, 0x70000000, v7
	v_add_f32_e32 v8, -0.5, v8
	v_mul_f32_e32 v7, 0x7800000, v7
	v_cmp_gt_u32_e32 vcc, s3, v3
	v_bfe_i32 v6, v6, 0, 16
	s_brev_b32 s2, 1
	v_cndmask_b32_e32 v3, v7, v8, vcc
	v_and_or_b32 v3, v6, s2, v3
	v_cvt_f64_f32_e32 v[8:9], v3
.LBB392_1220:
	s_mov_b64 s[2:3], 0
	s_mov_b64 s[18:19], -1
.LBB392_1221:
	s_andn2_b64 vcc, exec, s[2:3]
	s_mov_b64 s[2:3], 0
	s_cbranch_vccnz .LBB392_1230
; %bb.1222:
	s_cmp_gt_i32 s24, 14
	s_cbranch_scc0 .LBB392_1225
; %bb.1223:
	s_cmp_eq_u32 s24, 15
	s_cbranch_scc0 .LBB392_1226
; %bb.1224:
	global_load_ushort v3, v[4:5], off
	s_mov_b64 s[0:1], 0
	s_mov_b64 s[18:19], -1
	s_waitcnt vmcnt(0)
	v_lshlrev_b32_e32 v3, 16, v3
	v_cvt_f64_f32_e32 v[8:9], v3
	s_branch .LBB392_1227
.LBB392_1225:
	s_mov_b64 s[20:21], -1
                                        ; implicit-def: $vgpr8_vgpr9
	s_branch .LBB392_1228
.LBB392_1226:
	s_mov_b64 s[0:1], -1
                                        ; implicit-def: $vgpr8_vgpr9
.LBB392_1227:
	s_mov_b64 s[20:21], 0
.LBB392_1228:
	s_and_b64 vcc, exec, s[20:21]
	s_cbranch_vccz .LBB392_1230
; %bb.1229:
	s_cmp_lg_u32 s24, 11
	s_mov_b64 s[2:3], -1
	s_cselect_b64 s[0:1], -1, 0
.LBB392_1230:
	s_and_b64 vcc, exec, s[0:1]
	s_cbranch_vccnz .LBB392_1293
; %bb.1231:
	s_andn2_b64 vcc, exec, s[2:3]
	s_cbranch_vccnz .LBB392_1233
.LBB392_1232:
	global_load_ubyte v3, v[4:5], off
	v_mov_b32_e32 v6, 0x3ff00000
	v_mov_b32_e32 v8, 0
	s_mov_b64 s[18:19], -1
	s_waitcnt vmcnt(0)
	v_cmp_ne_u16_e32 vcc, 0, v3
	s_nop 1
	v_cndmask_b32_e32 v9, 0, v6, vcc
.LBB392_1233:
	s_branch .LBB392_1160
.LBB392_1234:
	s_cmp_lt_i32 s24, 5
	s_cbranch_scc1 .LBB392_1239
; %bb.1235:
	s_cmp_lt_i32 s24, 8
	s_cbranch_scc1 .LBB392_1240
; %bb.1236:
	;; [unrolled: 3-line block ×3, first 2 shown]
	s_cmp_gt_i32 s24, 9
	s_cbranch_scc0 .LBB392_1242
; %bb.1238:
	global_load_dwordx2 v[8:9], v[4:5], off
	s_mov_b64 s[0:1], 0
	s_branch .LBB392_1243
.LBB392_1239:
                                        ; implicit-def: $vgpr8_vgpr9
	s_branch .LBB392_1261
.LBB392_1240:
	s_mov_b64 s[0:1], -1
                                        ; implicit-def: $vgpr8_vgpr9
	s_branch .LBB392_1249
.LBB392_1241:
	s_mov_b64 s[0:1], -1
                                        ; implicit-def: $vgpr8_vgpr9
	s_branch .LBB392_1246
.LBB392_1242:
	s_mov_b64 s[0:1], -1
                                        ; implicit-def: $vgpr8_vgpr9
.LBB392_1243:
	s_andn2_b64 vcc, exec, s[0:1]
	s_cbranch_vccnz .LBB392_1245
; %bb.1244:
	global_load_dword v3, v[4:5], off
	s_waitcnt vmcnt(0)
	v_cvt_f64_f32_e32 v[8:9], v3
.LBB392_1245:
	s_mov_b64 s[0:1], 0
.LBB392_1246:
	s_andn2_b64 vcc, exec, s[0:1]
	s_cbranch_vccnz .LBB392_1248
; %bb.1247:
	global_load_dword v3, v[4:5], off
	s_waitcnt vmcnt(0)
	v_cvt_f32_f16_e32 v3, v3
	v_cvt_f64_f32_e32 v[8:9], v3
.LBB392_1248:
	s_mov_b64 s[0:1], 0
.LBB392_1249:
	s_andn2_b64 vcc, exec, s[0:1]
	s_cbranch_vccnz .LBB392_1260
; %bb.1250:
	s_cmp_lt_i32 s24, 6
	s_cbranch_scc1 .LBB392_1253
; %bb.1251:
	s_cmp_gt_i32 s24, 6
	s_cbranch_scc0 .LBB392_1254
; %bb.1252:
	global_load_dwordx2 v[8:9], v[4:5], off
	s_mov_b64 s[0:1], 0
	s_branch .LBB392_1255
.LBB392_1253:
	s_mov_b64 s[0:1], -1
                                        ; implicit-def: $vgpr8_vgpr9
	s_branch .LBB392_1258
.LBB392_1254:
	s_mov_b64 s[0:1], -1
                                        ; implicit-def: $vgpr8_vgpr9
.LBB392_1255:
	s_andn2_b64 vcc, exec, s[0:1]
	s_cbranch_vccnz .LBB392_1257
; %bb.1256:
	global_load_dword v3, v[4:5], off
	s_waitcnt vmcnt(0)
	v_cvt_f64_f32_e32 v[8:9], v3
.LBB392_1257:
	s_mov_b64 s[0:1], 0
.LBB392_1258:
	s_andn2_b64 vcc, exec, s[0:1]
	s_cbranch_vccnz .LBB392_1260
; %bb.1259:
	global_load_ushort v3, v[4:5], off
	s_waitcnt vmcnt(0)
	v_cvt_f32_f16_e32 v3, v3
	v_cvt_f64_f32_e32 v[8:9], v3
.LBB392_1260:
	s_cbranch_execnz .LBB392_1280
.LBB392_1261:
	s_cmp_lt_i32 s24, 2
	s_cbranch_scc1 .LBB392_1265
; %bb.1262:
	s_cmp_lt_i32 s24, 3
	s_cbranch_scc1 .LBB392_1266
; %bb.1263:
	s_cmp_gt_i32 s24, 3
	s_cbranch_scc0 .LBB392_1267
; %bb.1264:
	global_load_dwordx2 v[6:7], v[4:5], off
	s_mov_b64 s[0:1], 0
	s_waitcnt vmcnt(0)
	v_cvt_f64_i32_e32 v[8:9], v7
	v_cvt_f64_u32_e32 v[6:7], v6
	v_ldexp_f64 v[8:9], v[8:9], 32
	v_add_f64 v[8:9], v[8:9], v[6:7]
	s_branch .LBB392_1268
.LBB392_1265:
	s_mov_b64 s[0:1], -1
                                        ; implicit-def: $vgpr8_vgpr9
	s_branch .LBB392_1274
.LBB392_1266:
	s_mov_b64 s[0:1], -1
                                        ; implicit-def: $vgpr8_vgpr9
	s_branch .LBB392_1271
.LBB392_1267:
	s_mov_b64 s[0:1], -1
                                        ; implicit-def: $vgpr8_vgpr9
.LBB392_1268:
	s_andn2_b64 vcc, exec, s[0:1]
	s_cbranch_vccnz .LBB392_1270
; %bb.1269:
	global_load_dword v3, v[4:5], off
	s_waitcnt vmcnt(0)
	v_cvt_f64_i32_e32 v[8:9], v3
.LBB392_1270:
	s_mov_b64 s[0:1], 0
.LBB392_1271:
	s_andn2_b64 vcc, exec, s[0:1]
	s_cbranch_vccnz .LBB392_1273
; %bb.1272:
	global_load_sshort v3, v[4:5], off
	s_waitcnt vmcnt(0)
	v_cvt_f64_i32_e32 v[8:9], v3
.LBB392_1273:
	s_mov_b64 s[0:1], 0
.LBB392_1274:
	s_andn2_b64 vcc, exec, s[0:1]
	s_cbranch_vccnz .LBB392_1280
; %bb.1275:
	s_cmp_gt_i32 s24, 0
	s_cbranch_scc0 .LBB392_1277
; %bb.1276:
	global_load_sbyte v3, v[4:5], off
	s_mov_b64 s[0:1], 0
	s_waitcnt vmcnt(0)
	v_cvt_f64_i32_e32 v[8:9], v3
	s_branch .LBB392_1278
.LBB392_1277:
	s_mov_b64 s[0:1], -1
                                        ; implicit-def: $vgpr8_vgpr9
.LBB392_1278:
	s_andn2_b64 vcc, exec, s[0:1]
	s_cbranch_vccnz .LBB392_1280
; %bb.1279:
	global_load_ubyte v3, v[4:5], off
	s_waitcnt vmcnt(0)
	v_cvt_f64_u32_e32 v[8:9], v3
.LBB392_1280:
.LBB392_1281:
	v_add_u32_e32 v2, s9, v2
	v_ashrrev_i32_e32 v3, 31, v2
	s_cmp_lt_i32 s24, 11
	v_lshl_add_u64 v[4:5], s[6:7], 0, v[2:3]
	s_cbranch_scc1 .LBB392_1288
; %bb.1282:
	s_cmp_gt_i32 s24, 25
	s_mov_b64 s[2:3], 0
	s_cbranch_scc0 .LBB392_1290
; %bb.1283:
	s_cmp_gt_i32 s24, 28
	s_cbranch_scc0 .LBB392_1291
; %bb.1284:
	s_cmp_gt_i32 s24, 43
	;; [unrolled: 3-line block ×3, first 2 shown]
	s_cbranch_scc0 .LBB392_1294
; %bb.1286:
	s_cmp_eq_u32 s24, 46
	s_mov_b64 s[20:21], 0
	s_cbranch_scc0 .LBB392_1295
; %bb.1287:
	global_load_dword v3, v[4:5], off
	s_mov_b64 s[0:1], 0
	s_mov_b64 s[18:19], -1
	s_waitcnt vmcnt(0)
	v_lshlrev_b32_e32 v3, 16, v3
	v_cvt_f64_f32_e32 v[6:7], v3
	s_branch .LBB392_1296
.LBB392_1288:
	s_mov_b64 s[18:19], 0
                                        ; implicit-def: $vgpr6_vgpr7
	s_cbranch_execnz .LBB392_1362
.LBB392_1289:
	s_andn2_b64 vcc, exec, s[18:19]
	s_cbranch_vccnz .LBB392_1973
	s_branch .LBB392_1410
.LBB392_1290:
	s_mov_b64 s[20:21], -1
	s_mov_b64 s[18:19], 0
	s_mov_b64 s[0:1], 0
                                        ; implicit-def: $vgpr6_vgpr7
	s_branch .LBB392_1327
.LBB392_1291:
	s_mov_b64 s[20:21], -1
	s_mov_b64 s[18:19], 0
	s_mov_b64 s[0:1], 0
                                        ; implicit-def: $vgpr6_vgpr7
	s_branch .LBB392_1306
.LBB392_1292:
	s_mov_b64 s[20:21], -1
	s_mov_b64 s[18:19], 0
	s_mov_b64 s[0:1], 0
                                        ; implicit-def: $vgpr6_vgpr7
	s_branch .LBB392_1301
.LBB392_1293:
	s_trap 2
	s_or_b64 s[16:17], s[16:17], exec
	s_cbranch_execz .LBB392_1232
	s_branch .LBB392_1233
.LBB392_1294:
	s_mov_b64 s[20:21], -1
	s_mov_b64 s[18:19], 0
	s_mov_b64 s[0:1], 0
                                        ; implicit-def: $vgpr6_vgpr7
	s_branch .LBB392_1296
.LBB392_1295:
	s_mov_b64 s[0:1], -1
                                        ; implicit-def: $vgpr6_vgpr7
	s_mov_b64 s[18:19], 0
.LBB392_1296:
	s_and_b64 vcc, exec, s[20:21]
	s_cbranch_vccz .LBB392_1300
; %bb.1297:
	s_cmp_eq_u32 s24, 44
	s_cbranch_scc0 .LBB392_1299
; %bb.1298:
	global_load_ubyte v3, v[4:5], off
	s_movk_i32 s18, 0xff
	v_bfrev_b32_e32 v10, 4
	v_mov_b32_e32 v11, 0x7ff80000
	v_bfrev_b32_e32 v13, 28
	s_mov_b64 s[0:1], 0
	s_waitcnt vmcnt(0)
	v_lshlrev_b32_e32 v6, 23, v3
	v_cvt_f64_f32_e32 v[6:7], v6
	v_cmp_ne_u32_e32 vcc, s18, v3
	s_mov_b64 s[18:19], -1
	s_nop 0
	v_cndmask_b32_e32 v6, v10, v6, vcc
	v_cndmask_b32_e32 v7, v11, v7, vcc
	v_cmp_ne_u32_e32 vcc, 0, v3
	s_nop 1
	v_cndmask_b32_e32 v7, v13, v7, vcc
	v_cndmask_b32_e32 v6, 0, v6, vcc
	s_branch .LBB392_1300
.LBB392_1299:
	s_mov_b64 s[0:1], -1
                                        ; implicit-def: $vgpr6_vgpr7
.LBB392_1300:
	s_mov_b64 s[20:21], 0
.LBB392_1301:
	s_and_b64 vcc, exec, s[20:21]
	s_cbranch_vccz .LBB392_1305
; %bb.1302:
	s_cmp_eq_u32 s24, 29
	s_cbranch_scc0 .LBB392_1304
; %bb.1303:
	global_load_dwordx2 v[6:7], v[4:5], off
	s_mov_b64 s[0:1], 0
	s_mov_b64 s[18:19], -1
	s_mov_b64 s[20:21], 0
	s_waitcnt vmcnt(0)
	v_cvt_f64_u32_e32 v[10:11], v7
	v_cvt_f64_u32_e32 v[6:7], v6
	v_ldexp_f64 v[10:11], v[10:11], 32
	v_add_f64 v[6:7], v[10:11], v[6:7]
	s_branch .LBB392_1306
.LBB392_1304:
	s_mov_b64 s[0:1], -1
                                        ; implicit-def: $vgpr6_vgpr7
.LBB392_1305:
	s_mov_b64 s[20:21], 0
.LBB392_1306:
	s_and_b64 vcc, exec, s[20:21]
	s_cbranch_vccz .LBB392_1326
; %bb.1307:
	s_cmp_lt_i32 s24, 27
	s_cbranch_scc1 .LBB392_1310
; %bb.1308:
	s_cmp_gt_i32 s24, 27
	s_cbranch_scc0 .LBB392_1311
; %bb.1309:
	global_load_dword v3, v[4:5], off
	s_mov_b64 s[18:19], 0
	s_waitcnt vmcnt(0)
	v_cvt_f64_u32_e32 v[6:7], v3
	s_branch .LBB392_1312
.LBB392_1310:
	s_mov_b64 s[18:19], -1
                                        ; implicit-def: $vgpr6_vgpr7
	s_branch .LBB392_1315
.LBB392_1311:
	s_mov_b64 s[18:19], -1
                                        ; implicit-def: $vgpr6_vgpr7
.LBB392_1312:
	s_andn2_b64 vcc, exec, s[18:19]
	s_cbranch_vccnz .LBB392_1314
; %bb.1313:
	global_load_ushort v3, v[4:5], off
	s_waitcnt vmcnt(0)
	v_cvt_f64_u32_e32 v[6:7], v3
.LBB392_1314:
	s_mov_b64 s[18:19], 0
.LBB392_1315:
	s_andn2_b64 vcc, exec, s[18:19]
	s_cbranch_vccnz .LBB392_1325
; %bb.1316:
	global_load_ubyte v3, v[4:5], off
	s_movk_i32 s18, 0x7f
	s_waitcnt vmcnt(0)
	v_cmp_lt_i16_e32 vcc, s18, v3
	s_mov_b64 s[18:19], 0
	s_and_saveexec_b64 s[20:21], vcc
	s_xor_b64 s[20:21], exec, s[20:21]
	s_cbranch_execz .LBB392_1320
; %bb.1317:
	s_movk_i32 s18, 0x80
	v_cmp_eq_u16_e32 vcc, s18, v3
	s_mov_b64 s[18:19], -1
	s_and_saveexec_b64 s[22:23], vcc
; %bb.1318:
	s_xor_b64 s[18:19], exec, -1
; %bb.1319:
	s_or_b64 exec, exec, s[22:23]
	s_and_b64 s[18:19], s[18:19], exec
.LBB392_1320:
	s_or_saveexec_b64 s[20:21], s[20:21]
	v_bfrev_b32_e32 v6, 4
	v_mov_b32_e32 v7, 0x7ff80000
	s_xor_b64 exec, exec, s[20:21]
; %bb.1321:
	v_cmp_ne_u16_e32 vcc, 0, v3
	s_andn2_b64 s[18:19], s[18:19], exec
	s_and_b64 s[22:23], vcc, exec
	v_mov_b64_e32 v[6:7], 0
	s_or_b64 s[18:19], s[18:19], s[22:23]
; %bb.1322:
	s_or_b64 exec, exec, s[20:21]
	s_and_saveexec_b64 s[20:21], s[18:19]
	s_cbranch_execz .LBB392_1324
; %bb.1323:
	v_lshlrev_b32_e32 v6, 24, v3
	v_and_b32_e32 v3, 0xffff, v3
	v_and_b32_e32 v7, 7, v3
	v_ffbh_u32_e32 v11, v7
	v_min_u32_e32 v11, 32, v11
	v_subrev_u32_e32 v13, 28, v11
	v_bfe_u32 v10, v3, 3, 4
	v_lshlrev_b32_e32 v3, v13, v3
	v_sub_u32_e32 v11, 29, v11
	v_and_b32_e32 v3, 7, v3
	v_cmp_eq_u32_e32 vcc, 0, v10
	v_and_b32_e32 v6, 0x80000000, v6
	s_nop 0
	v_cndmask_b32_e32 v10, v10, v11, vcc
	v_cndmask_b32_e32 v3, v7, v3, vcc
	v_mov_b32_e32 v7, 0x3b800000
	v_lshlrev_b32_e32 v3, 20, v3
	v_lshl_add_u32 v7, v10, 23, v7
	v_or3_b32 v3, v6, v7, v3
	v_cvt_f64_f32_e32 v[6:7], v3
.LBB392_1324:
	s_or_b64 exec, exec, s[20:21]
.LBB392_1325:
	s_mov_b64 s[18:19], -1
.LBB392_1326:
	s_mov_b64 s[20:21], 0
.LBB392_1327:
	s_and_b64 vcc, exec, s[20:21]
	s_cbranch_vccz .LBB392_1358
; %bb.1328:
	s_cmp_gt_i32 s24, 22
	s_cbranch_scc0 .LBB392_1340
; %bb.1329:
	s_cmp_lt_i32 s24, 24
	s_cbranch_scc1 .LBB392_1341
; %bb.1330:
	s_cmp_gt_i32 s24, 24
	s_cbranch_scc0 .LBB392_1342
; %bb.1331:
	global_load_ubyte v3, v[4:5], off
	s_movk_i32 s2, 0x7f
	s_waitcnt vmcnt(0)
	v_cmp_lt_i16_e32 vcc, s2, v3
	s_mov_b64 s[2:3], 0
	s_and_saveexec_b64 s[18:19], vcc
	s_xor_b64 s[18:19], exec, s[18:19]
	s_cbranch_execz .LBB392_1335
; %bb.1332:
	s_movk_i32 s2, 0x80
	v_cmp_eq_u16_e32 vcc, s2, v3
	s_mov_b64 s[2:3], -1
	s_and_saveexec_b64 s[20:21], vcc
; %bb.1333:
	s_xor_b64 s[2:3], exec, -1
; %bb.1334:
	s_or_b64 exec, exec, s[20:21]
	s_and_b64 s[2:3], s[2:3], exec
.LBB392_1335:
	s_or_saveexec_b64 s[18:19], s[18:19]
	v_bfrev_b32_e32 v6, 4
	v_mov_b32_e32 v7, 0x7ff80000
	s_xor_b64 exec, exec, s[18:19]
; %bb.1336:
	v_cmp_ne_u16_e32 vcc, 0, v3
	s_andn2_b64 s[2:3], s[2:3], exec
	s_and_b64 s[20:21], vcc, exec
	v_mov_b64_e32 v[6:7], 0
	s_or_b64 s[2:3], s[2:3], s[20:21]
; %bb.1337:
	s_or_b64 exec, exec, s[18:19]
	s_and_saveexec_b64 s[18:19], s[2:3]
	s_cbranch_execz .LBB392_1339
; %bb.1338:
	v_lshlrev_b32_e32 v6, 24, v3
	v_and_b32_e32 v3, 0xffff, v3
	v_and_b32_e32 v7, 3, v3
	v_ffbh_u32_e32 v11, v7
	v_min_u32_e32 v11, 32, v11
	v_subrev_u32_e32 v13, 29, v11
	v_bfe_u32 v10, v3, 2, 5
	v_lshlrev_b32_e32 v3, v13, v3
	v_sub_u32_e32 v11, 30, v11
	v_and_b32_e32 v3, 3, v3
	v_cmp_eq_u32_e32 vcc, 0, v10
	v_and_b32_e32 v6, 0x80000000, v6
	s_nop 0
	v_cndmask_b32_e32 v10, v10, v11, vcc
	v_cndmask_b32_e32 v3, v7, v3, vcc
	v_mov_b32_e32 v7, 0x37800000
	v_lshlrev_b32_e32 v3, 21, v3
	v_lshl_add_u32 v7, v10, 23, v7
	v_or3_b32 v3, v6, v7, v3
	v_cvt_f64_f32_e32 v[6:7], v3
.LBB392_1339:
	s_or_b64 exec, exec, s[18:19]
	s_mov_b64 s[2:3], 0
	s_branch .LBB392_1343
.LBB392_1340:
	s_mov_b64 s[2:3], -1
                                        ; implicit-def: $vgpr6_vgpr7
	s_branch .LBB392_1349
.LBB392_1341:
	s_mov_b64 s[2:3], -1
                                        ; implicit-def: $vgpr6_vgpr7
	s_branch .LBB392_1346
.LBB392_1342:
	s_mov_b64 s[2:3], -1
                                        ; implicit-def: $vgpr6_vgpr7
.LBB392_1343:
	s_and_b64 vcc, exec, s[2:3]
	s_cbranch_vccz .LBB392_1345
; %bb.1344:
	global_load_ubyte v3, v[4:5], off
	s_mov_b32 s2, 0x7f800000
	s_waitcnt vmcnt(0)
	v_lshlrev_b32_e32 v3, 24, v3
	v_and_b32_e32 v6, 0x7f000000, v3
	v_ffbh_u32_e32 v7, v6
	v_min_u32_e32 v7, 32, v7
	v_sub_u32_e64 v7, v7, 4 clamp
	v_lshlrev_b32_e32 v11, v7, v6
	v_lshlrev_b32_e32 v7, 23, v7
	v_lshrrev_b32_e32 v11, 4, v11
	v_add_u32_e32 v10, 0x1000000, v6
	v_sub_u32_e32 v7, v11, v7
	v_ashrrev_i32_e32 v10, 8, v10
	v_add_u32_e32 v7, 0x3c000000, v7
	v_and_or_b32 v7, v10, s2, v7
	v_cmp_ne_u32_e32 vcc, 0, v6
	s_brev_b32 s2, 1
	s_nop 0
	v_cndmask_b32_e32 v6, 0, v7, vcc
	v_and_or_b32 v3, v3, s2, v6
	v_cvt_f64_f32_e32 v[6:7], v3
.LBB392_1345:
	s_mov_b64 s[2:3], 0
.LBB392_1346:
	s_andn2_b64 vcc, exec, s[2:3]
	s_cbranch_vccnz .LBB392_1348
; %bb.1347:
	global_load_ubyte v3, v[4:5], off
	s_movk_i32 s2, 0x7f00
	s_brev_b32 s3, 16
	s_waitcnt vmcnt(0)
	v_lshlrev_b16_e32 v6, 8, v3
	v_lshlrev_b32_e32 v3, 25, v3
	v_lshrrev_b32_e32 v7, 4, v3
	v_and_or_b32 v10, v6, s2, 0.5
	v_or_b32_e32 v7, 0x70000000, v7
	v_add_f32_e32 v10, -0.5, v10
	v_mul_f32_e32 v7, 0x7800000, v7
	v_cmp_gt_u32_e32 vcc, s3, v3
	v_bfe_i32 v6, v6, 0, 16
	s_brev_b32 s2, 1
	v_cndmask_b32_e32 v3, v7, v10, vcc
	v_and_or_b32 v3, v6, s2, v3
	v_cvt_f64_f32_e32 v[6:7], v3
.LBB392_1348:
	s_mov_b64 s[2:3], 0
	s_mov_b64 s[18:19], -1
.LBB392_1349:
	s_andn2_b64 vcc, exec, s[2:3]
	s_mov_b64 s[2:3], 0
	s_cbranch_vccnz .LBB392_1358
; %bb.1350:
	s_cmp_gt_i32 s24, 14
	s_cbranch_scc0 .LBB392_1353
; %bb.1351:
	s_cmp_eq_u32 s24, 15
	s_cbranch_scc0 .LBB392_1354
; %bb.1352:
	global_load_ushort v3, v[4:5], off
	s_mov_b64 s[0:1], 0
	s_mov_b64 s[18:19], -1
	s_waitcnt vmcnt(0)
	v_lshlrev_b32_e32 v3, 16, v3
	v_cvt_f64_f32_e32 v[6:7], v3
	s_branch .LBB392_1355
.LBB392_1353:
	s_mov_b64 s[20:21], -1
                                        ; implicit-def: $vgpr6_vgpr7
	s_branch .LBB392_1356
.LBB392_1354:
	s_mov_b64 s[0:1], -1
                                        ; implicit-def: $vgpr6_vgpr7
.LBB392_1355:
	s_mov_b64 s[20:21], 0
.LBB392_1356:
	s_and_b64 vcc, exec, s[20:21]
	s_cbranch_vccz .LBB392_1358
; %bb.1357:
	s_cmp_lg_u32 s24, 11
	s_mov_b64 s[2:3], -1
	s_cselect_b64 s[0:1], -1, 0
.LBB392_1358:
	s_and_b64 vcc, exec, s[0:1]
	s_cbranch_vccnz .LBB392_1421
; %bb.1359:
	s_andn2_b64 vcc, exec, s[2:3]
	s_cbranch_vccnz .LBB392_1361
.LBB392_1360:
	global_load_ubyte v3, v[4:5], off
	v_mov_b32_e32 v7, 0x3ff00000
	v_mov_b32_e32 v6, 0
	s_mov_b64 s[18:19], -1
	s_waitcnt vmcnt(0)
	v_cmp_ne_u16_e32 vcc, 0, v3
	s_nop 1
	v_cndmask_b32_e32 v7, 0, v7, vcc
.LBB392_1361:
	s_branch .LBB392_1289
.LBB392_1362:
	s_cmp_lt_i32 s24, 5
	s_cbranch_scc1 .LBB392_1367
; %bb.1363:
	s_cmp_lt_i32 s24, 8
	s_cbranch_scc1 .LBB392_1368
; %bb.1364:
	;; [unrolled: 3-line block ×3, first 2 shown]
	s_cmp_gt_i32 s24, 9
	s_cbranch_scc0 .LBB392_1370
; %bb.1366:
	global_load_dwordx2 v[6:7], v[4:5], off
	s_mov_b64 s[0:1], 0
	s_branch .LBB392_1371
.LBB392_1367:
	s_mov_b64 s[0:1], -1
                                        ; implicit-def: $vgpr6_vgpr7
	s_branch .LBB392_1389
.LBB392_1368:
	s_mov_b64 s[0:1], -1
                                        ; implicit-def: $vgpr6_vgpr7
	s_branch .LBB392_1377
.LBB392_1369:
	s_mov_b64 s[0:1], -1
                                        ; implicit-def: $vgpr6_vgpr7
	s_branch .LBB392_1374
.LBB392_1370:
	s_mov_b64 s[0:1], -1
                                        ; implicit-def: $vgpr6_vgpr7
.LBB392_1371:
	s_andn2_b64 vcc, exec, s[0:1]
	s_cbranch_vccnz .LBB392_1373
; %bb.1372:
	global_load_dword v3, v[4:5], off
	s_waitcnt vmcnt(0)
	v_cvt_f64_f32_e32 v[6:7], v3
.LBB392_1373:
	s_mov_b64 s[0:1], 0
.LBB392_1374:
	s_andn2_b64 vcc, exec, s[0:1]
	s_cbranch_vccnz .LBB392_1376
; %bb.1375:
	global_load_dword v3, v[4:5], off
	s_waitcnt vmcnt(0)
	v_cvt_f32_f16_e32 v3, v3
	v_cvt_f64_f32_e32 v[6:7], v3
.LBB392_1376:
	s_mov_b64 s[0:1], 0
.LBB392_1377:
	s_andn2_b64 vcc, exec, s[0:1]
	s_cbranch_vccnz .LBB392_1388
; %bb.1378:
	s_cmp_lt_i32 s24, 6
	s_cbranch_scc1 .LBB392_1381
; %bb.1379:
	s_cmp_gt_i32 s24, 6
	s_cbranch_scc0 .LBB392_1382
; %bb.1380:
	global_load_dwordx2 v[6:7], v[4:5], off
	s_mov_b64 s[0:1], 0
	s_branch .LBB392_1383
.LBB392_1381:
	s_mov_b64 s[0:1], -1
                                        ; implicit-def: $vgpr6_vgpr7
	s_branch .LBB392_1386
.LBB392_1382:
	s_mov_b64 s[0:1], -1
                                        ; implicit-def: $vgpr6_vgpr7
.LBB392_1383:
	s_andn2_b64 vcc, exec, s[0:1]
	s_cbranch_vccnz .LBB392_1385
; %bb.1384:
	global_load_dword v3, v[4:5], off
	s_waitcnt vmcnt(0)
	v_cvt_f64_f32_e32 v[6:7], v3
.LBB392_1385:
	s_mov_b64 s[0:1], 0
.LBB392_1386:
	s_andn2_b64 vcc, exec, s[0:1]
	s_cbranch_vccnz .LBB392_1388
; %bb.1387:
	global_load_ushort v3, v[4:5], off
	s_waitcnt vmcnt(0)
	v_cvt_f32_f16_e32 v3, v3
	v_cvt_f64_f32_e32 v[6:7], v3
.LBB392_1388:
	s_mov_b64 s[0:1], 0
.LBB392_1389:
	s_andn2_b64 vcc, exec, s[0:1]
	s_cbranch_vccnz .LBB392_1409
; %bb.1390:
	s_cmp_lt_i32 s24, 2
	s_cbranch_scc1 .LBB392_1394
; %bb.1391:
	s_cmp_lt_i32 s24, 3
	s_cbranch_scc1 .LBB392_1395
; %bb.1392:
	s_cmp_gt_i32 s24, 3
	s_cbranch_scc0 .LBB392_1396
; %bb.1393:
	global_load_dwordx2 v[6:7], v[4:5], off
	s_mov_b64 s[0:1], 0
	s_waitcnt vmcnt(0)
	v_cvt_f64_i32_e32 v[10:11], v7
	v_cvt_f64_u32_e32 v[6:7], v6
	v_ldexp_f64 v[10:11], v[10:11], 32
	v_add_f64 v[6:7], v[10:11], v[6:7]
	s_branch .LBB392_1397
.LBB392_1394:
	s_mov_b64 s[0:1], -1
                                        ; implicit-def: $vgpr6_vgpr7
	s_branch .LBB392_1403
.LBB392_1395:
	s_mov_b64 s[0:1], -1
                                        ; implicit-def: $vgpr6_vgpr7
	s_branch .LBB392_1400
.LBB392_1396:
	s_mov_b64 s[0:1], -1
                                        ; implicit-def: $vgpr6_vgpr7
.LBB392_1397:
	s_andn2_b64 vcc, exec, s[0:1]
	s_cbranch_vccnz .LBB392_1399
; %bb.1398:
	global_load_dword v3, v[4:5], off
	s_waitcnt vmcnt(0)
	v_cvt_f64_i32_e32 v[6:7], v3
.LBB392_1399:
	s_mov_b64 s[0:1], 0
.LBB392_1400:
	s_andn2_b64 vcc, exec, s[0:1]
	s_cbranch_vccnz .LBB392_1402
; %bb.1401:
	global_load_sshort v3, v[4:5], off
	s_waitcnt vmcnt(0)
	v_cvt_f64_i32_e32 v[6:7], v3
.LBB392_1402:
	s_mov_b64 s[0:1], 0
.LBB392_1403:
	s_andn2_b64 vcc, exec, s[0:1]
	s_cbranch_vccnz .LBB392_1409
; %bb.1404:
	s_cmp_gt_i32 s24, 0
	s_cbranch_scc0 .LBB392_1406
; %bb.1405:
	global_load_sbyte v3, v[4:5], off
	s_mov_b64 s[0:1], 0
	s_waitcnt vmcnt(0)
	v_cvt_f64_i32_e32 v[6:7], v3
	s_branch .LBB392_1407
.LBB392_1406:
	s_mov_b64 s[0:1], -1
                                        ; implicit-def: $vgpr6_vgpr7
.LBB392_1407:
	s_andn2_b64 vcc, exec, s[0:1]
	s_cbranch_vccnz .LBB392_1409
; %bb.1408:
	global_load_ubyte v3, v[4:5], off
	s_waitcnt vmcnt(0)
	v_cvt_f64_u32_e32 v[6:7], v3
.LBB392_1409:
.LBB392_1410:
	v_add_u32_e32 v2, s9, v2
	v_ashrrev_i32_e32 v3, 31, v2
	s_cmp_lt_i32 s24, 11
	v_lshl_add_u64 v[2:3], s[6:7], 0, v[2:3]
	s_cbranch_scc1 .LBB392_1417
; %bb.1411:
	s_cmp_gt_i32 s24, 25
	s_mov_b64 s[2:3], 0
	s_cbranch_scc0 .LBB392_1418
; %bb.1412:
	s_cmp_gt_i32 s24, 28
	s_cbranch_scc0 .LBB392_1419
; %bb.1413:
	s_cmp_gt_i32 s24, 43
	s_cbranch_scc0 .LBB392_1420
; %bb.1414:
	s_cmp_gt_i32 s24, 45
	s_cbranch_scc0 .LBB392_1422
; %bb.1415:
	s_cmp_eq_u32 s24, 46
	s_mov_b64 s[18:19], 0
	s_cbranch_scc0 .LBB392_1423
; %bb.1416:
	global_load_dword v4, v[2:3], off
	s_mov_b64 s[0:1], 0
	s_mov_b64 s[6:7], -1
	s_waitcnt vmcnt(0)
	v_lshlrev_b32_e32 v4, 16, v4
	v_cvt_f64_f32_e32 v[4:5], v4
	s_branch .LBB392_1424
.LBB392_1417:
	s_mov_b64 s[0:1], -1
	s_mov_b64 s[6:7], 0
                                        ; implicit-def: $vgpr4_vgpr5
	s_branch .LBB392_1490
.LBB392_1418:
	s_mov_b64 s[18:19], -1
	s_mov_b64 s[6:7], 0
	s_mov_b64 s[0:1], 0
                                        ; implicit-def: $vgpr4_vgpr5
	s_branch .LBB392_1455
.LBB392_1419:
	s_mov_b64 s[18:19], -1
	s_mov_b64 s[6:7], 0
	s_mov_b64 s[0:1], 0
                                        ; implicit-def: $vgpr4_vgpr5
	s_branch .LBB392_1434
.LBB392_1420:
	s_mov_b64 s[18:19], -1
	s_mov_b64 s[6:7], 0
	s_mov_b64 s[0:1], 0
                                        ; implicit-def: $vgpr4_vgpr5
	s_branch .LBB392_1429
.LBB392_1421:
	s_trap 2
	s_or_b64 s[16:17], s[16:17], exec
	s_cbranch_execz .LBB392_1360
	s_branch .LBB392_1361
.LBB392_1422:
	s_mov_b64 s[18:19], -1
	s_mov_b64 s[6:7], 0
	s_mov_b64 s[0:1], 0
                                        ; implicit-def: $vgpr4_vgpr5
	s_branch .LBB392_1424
.LBB392_1423:
	s_mov_b64 s[0:1], -1
                                        ; implicit-def: $vgpr4_vgpr5
	s_mov_b64 s[6:7], 0
.LBB392_1424:
	s_and_b64 vcc, exec, s[18:19]
	s_cbranch_vccz .LBB392_1428
; %bb.1425:
	s_cmp_eq_u32 s24, 44
	s_cbranch_scc0 .LBB392_1427
; %bb.1426:
	global_load_ubyte v10, v[2:3], off
	s_movk_i32 s6, 0xff
	v_bfrev_b32_e32 v11, 4
	v_mov_b32_e32 v13, 0x7ff80000
	v_bfrev_b32_e32 v14, 28
	s_mov_b64 s[0:1], 0
	s_waitcnt vmcnt(0)
	v_lshlrev_b32_e32 v4, 23, v10
	v_cvt_f64_f32_e32 v[4:5], v4
	v_cmp_ne_u32_e32 vcc, s6, v10
	s_mov_b64 s[6:7], -1
	s_nop 0
	v_cndmask_b32_e32 v4, v11, v4, vcc
	v_cndmask_b32_e32 v5, v13, v5, vcc
	v_cmp_ne_u32_e32 vcc, 0, v10
	s_nop 1
	v_cndmask_b32_e32 v5, v14, v5, vcc
	v_cndmask_b32_e32 v4, 0, v4, vcc
	s_branch .LBB392_1428
.LBB392_1427:
	s_mov_b64 s[0:1], -1
                                        ; implicit-def: $vgpr4_vgpr5
.LBB392_1428:
	s_mov_b64 s[18:19], 0
.LBB392_1429:
	s_and_b64 vcc, exec, s[18:19]
	s_cbranch_vccz .LBB392_1433
; %bb.1430:
	s_cmp_eq_u32 s24, 29
	s_cbranch_scc0 .LBB392_1432
; %bb.1431:
	global_load_dwordx2 v[4:5], v[2:3], off
	s_mov_b64 s[0:1], 0
	s_mov_b64 s[6:7], -1
	s_mov_b64 s[18:19], 0
	s_waitcnt vmcnt(0)
	v_cvt_f64_u32_e32 v[10:11], v5
	v_cvt_f64_u32_e32 v[4:5], v4
	v_ldexp_f64 v[10:11], v[10:11], 32
	v_add_f64 v[4:5], v[10:11], v[4:5]
	s_branch .LBB392_1434
.LBB392_1432:
	s_mov_b64 s[0:1], -1
                                        ; implicit-def: $vgpr4_vgpr5
.LBB392_1433:
	s_mov_b64 s[18:19], 0
.LBB392_1434:
	s_and_b64 vcc, exec, s[18:19]
	s_cbranch_vccz .LBB392_1454
; %bb.1435:
	s_cmp_lt_i32 s24, 27
	s_cbranch_scc1 .LBB392_1438
; %bb.1436:
	s_cmp_gt_i32 s24, 27
	s_cbranch_scc0 .LBB392_1439
; %bb.1437:
	global_load_dword v4, v[2:3], off
	s_mov_b64 s[6:7], 0
	s_waitcnt vmcnt(0)
	v_cvt_f64_u32_e32 v[4:5], v4
	s_branch .LBB392_1440
.LBB392_1438:
	s_mov_b64 s[6:7], -1
                                        ; implicit-def: $vgpr4_vgpr5
	s_branch .LBB392_1443
.LBB392_1439:
	s_mov_b64 s[6:7], -1
                                        ; implicit-def: $vgpr4_vgpr5
.LBB392_1440:
	s_andn2_b64 vcc, exec, s[6:7]
	s_cbranch_vccnz .LBB392_1442
; %bb.1441:
	global_load_ushort v4, v[2:3], off
	s_waitcnt vmcnt(0)
	v_cvt_f64_u32_e32 v[4:5], v4
.LBB392_1442:
	s_mov_b64 s[6:7], 0
.LBB392_1443:
	s_andn2_b64 vcc, exec, s[6:7]
	s_cbranch_vccnz .LBB392_1453
; %bb.1444:
	global_load_ubyte v10, v[2:3], off
	s_movk_i32 s6, 0x7f
	s_waitcnt vmcnt(0)
	v_cmp_lt_i16_e32 vcc, s6, v10
	s_mov_b64 s[6:7], 0
	s_and_saveexec_b64 s[18:19], vcc
	s_xor_b64 s[18:19], exec, s[18:19]
	s_cbranch_execz .LBB392_1448
; %bb.1445:
	s_movk_i32 s6, 0x80
	v_cmp_eq_u16_e32 vcc, s6, v10
	s_mov_b64 s[6:7], -1
	s_and_saveexec_b64 s[20:21], vcc
; %bb.1446:
	s_xor_b64 s[6:7], exec, -1
; %bb.1447:
	s_or_b64 exec, exec, s[20:21]
	s_and_b64 s[6:7], s[6:7], exec
.LBB392_1448:
	s_or_saveexec_b64 s[18:19], s[18:19]
	v_bfrev_b32_e32 v4, 4
	v_mov_b32_e32 v5, 0x7ff80000
	s_xor_b64 exec, exec, s[18:19]
; %bb.1449:
	v_cmp_ne_u16_e32 vcc, 0, v10
	s_andn2_b64 s[6:7], s[6:7], exec
	s_and_b64 s[20:21], vcc, exec
	v_mov_b64_e32 v[4:5], 0
	s_or_b64 s[6:7], s[6:7], s[20:21]
; %bb.1450:
	s_or_b64 exec, exec, s[18:19]
	s_and_saveexec_b64 s[18:19], s[6:7]
	s_cbranch_execz .LBB392_1452
; %bb.1451:
	v_and_b32_e32 v5, 0xffff, v10
	v_lshlrev_b32_e32 v4, 24, v10
	v_and_b32_e32 v10, 7, v5
	v_ffbh_u32_e32 v13, v10
	v_min_u32_e32 v13, 32, v13
	v_subrev_u32_e32 v14, 28, v13
	v_bfe_u32 v11, v5, 3, 4
	v_lshlrev_b32_e32 v5, v14, v5
	v_sub_u32_e32 v13, 29, v13
	v_and_b32_e32 v5, 7, v5
	v_cmp_eq_u32_e32 vcc, 0, v11
	v_and_b32_e32 v4, 0x80000000, v4
	s_nop 0
	v_cndmask_b32_e32 v11, v11, v13, vcc
	v_cndmask_b32_e32 v5, v10, v5, vcc
	v_mov_b32_e32 v10, 0x3b800000
	v_lshlrev_b32_e32 v5, 20, v5
	v_lshl_add_u32 v10, v11, 23, v10
	v_or3_b32 v4, v4, v10, v5
	v_cvt_f64_f32_e32 v[4:5], v4
.LBB392_1452:
	s_or_b64 exec, exec, s[18:19]
.LBB392_1453:
	s_mov_b64 s[6:7], -1
.LBB392_1454:
	s_mov_b64 s[18:19], 0
.LBB392_1455:
	s_and_b64 vcc, exec, s[18:19]
	s_cbranch_vccz .LBB392_1486
; %bb.1456:
	s_cmp_gt_i32 s24, 22
	s_cbranch_scc0 .LBB392_1468
; %bb.1457:
	s_cmp_lt_i32 s24, 24
	s_cbranch_scc1 .LBB392_1469
; %bb.1458:
	s_cmp_gt_i32 s24, 24
	s_cbranch_scc0 .LBB392_1470
; %bb.1459:
	global_load_ubyte v10, v[2:3], off
	s_movk_i32 s2, 0x7f
	s_waitcnt vmcnt(0)
	v_cmp_lt_i16_e32 vcc, s2, v10
	s_mov_b64 s[2:3], 0
	s_and_saveexec_b64 s[6:7], vcc
	s_xor_b64 s[6:7], exec, s[6:7]
	s_cbranch_execz .LBB392_1463
; %bb.1460:
	s_movk_i32 s2, 0x80
	v_cmp_eq_u16_e32 vcc, s2, v10
	s_mov_b64 s[2:3], -1
	s_and_saveexec_b64 s[18:19], vcc
; %bb.1461:
	s_xor_b64 s[2:3], exec, -1
; %bb.1462:
	s_or_b64 exec, exec, s[18:19]
	s_and_b64 s[2:3], s[2:3], exec
.LBB392_1463:
	s_or_saveexec_b64 s[6:7], s[6:7]
	v_bfrev_b32_e32 v4, 4
	v_mov_b32_e32 v5, 0x7ff80000
	s_xor_b64 exec, exec, s[6:7]
; %bb.1464:
	v_cmp_ne_u16_e32 vcc, 0, v10
	s_andn2_b64 s[2:3], s[2:3], exec
	s_and_b64 s[18:19], vcc, exec
	v_mov_b64_e32 v[4:5], 0
	s_or_b64 s[2:3], s[2:3], s[18:19]
; %bb.1465:
	s_or_b64 exec, exec, s[6:7]
	s_and_saveexec_b64 s[6:7], s[2:3]
	s_cbranch_execz .LBB392_1467
; %bb.1466:
	v_and_b32_e32 v5, 0xffff, v10
	v_lshlrev_b32_e32 v4, 24, v10
	v_and_b32_e32 v10, 3, v5
	v_ffbh_u32_e32 v13, v10
	v_min_u32_e32 v13, 32, v13
	v_subrev_u32_e32 v14, 29, v13
	v_bfe_u32 v11, v5, 2, 5
	v_lshlrev_b32_e32 v5, v14, v5
	v_sub_u32_e32 v13, 30, v13
	v_and_b32_e32 v5, 3, v5
	v_cmp_eq_u32_e32 vcc, 0, v11
	v_and_b32_e32 v4, 0x80000000, v4
	s_nop 0
	v_cndmask_b32_e32 v11, v11, v13, vcc
	v_cndmask_b32_e32 v5, v10, v5, vcc
	v_mov_b32_e32 v10, 0x37800000
	v_lshlrev_b32_e32 v5, 21, v5
	v_lshl_add_u32 v10, v11, 23, v10
	v_or3_b32 v4, v4, v10, v5
	v_cvt_f64_f32_e32 v[4:5], v4
.LBB392_1467:
	s_or_b64 exec, exec, s[6:7]
	s_mov_b64 s[2:3], 0
	s_branch .LBB392_1471
.LBB392_1468:
	s_mov_b64 s[2:3], -1
                                        ; implicit-def: $vgpr4_vgpr5
	s_branch .LBB392_1477
.LBB392_1469:
	s_mov_b64 s[2:3], -1
                                        ; implicit-def: $vgpr4_vgpr5
	s_branch .LBB392_1474
.LBB392_1470:
	s_mov_b64 s[2:3], -1
                                        ; implicit-def: $vgpr4_vgpr5
.LBB392_1471:
	s_and_b64 vcc, exec, s[2:3]
	s_cbranch_vccz .LBB392_1473
; %bb.1472:
	global_load_ubyte v4, v[2:3], off
	s_mov_b32 s2, 0x7f800000
	s_waitcnt vmcnt(0)
	v_lshlrev_b32_e32 v4, 24, v4
	v_and_b32_e32 v5, 0x7f000000, v4
	v_ffbh_u32_e32 v10, v5
	v_min_u32_e32 v10, 32, v10
	v_sub_u32_e64 v10, v10, 4 clamp
	v_lshlrev_b32_e32 v13, v10, v5
	v_lshlrev_b32_e32 v10, 23, v10
	v_lshrrev_b32_e32 v13, 4, v13
	v_add_u32_e32 v11, 0x1000000, v5
	v_sub_u32_e32 v10, v13, v10
	v_ashrrev_i32_e32 v11, 8, v11
	v_add_u32_e32 v10, 0x3c000000, v10
	v_and_or_b32 v10, v11, s2, v10
	v_cmp_ne_u32_e32 vcc, 0, v5
	s_brev_b32 s2, 1
	s_nop 0
	v_cndmask_b32_e32 v5, 0, v10, vcc
	v_and_or_b32 v4, v4, s2, v5
	v_cvt_f64_f32_e32 v[4:5], v4
.LBB392_1473:
	s_mov_b64 s[2:3], 0
.LBB392_1474:
	s_andn2_b64 vcc, exec, s[2:3]
	s_cbranch_vccnz .LBB392_1476
; %bb.1475:
	global_load_ubyte v4, v[2:3], off
	s_movk_i32 s2, 0x7f00
	s_brev_b32 s3, 16
	s_waitcnt vmcnt(0)
	v_lshlrev_b16_e32 v5, 8, v4
	v_lshlrev_b32_e32 v4, 25, v4
	v_lshrrev_b32_e32 v10, 4, v4
	v_and_or_b32 v11, v5, s2, 0.5
	v_or_b32_e32 v10, 0x70000000, v10
	v_add_f32_e32 v11, -0.5, v11
	v_mul_f32_e32 v10, 0x7800000, v10
	v_cmp_gt_u32_e32 vcc, s3, v4
	v_bfe_i32 v5, v5, 0, 16
	s_brev_b32 s2, 1
	v_cndmask_b32_e32 v4, v10, v11, vcc
	v_and_or_b32 v4, v5, s2, v4
	v_cvt_f64_f32_e32 v[4:5], v4
.LBB392_1476:
	s_mov_b64 s[2:3], 0
	s_mov_b64 s[6:7], -1
.LBB392_1477:
	s_andn2_b64 vcc, exec, s[2:3]
	s_mov_b64 s[2:3], 0
	s_cbranch_vccnz .LBB392_1486
; %bb.1478:
	s_cmp_gt_i32 s24, 14
	s_cbranch_scc0 .LBB392_1481
; %bb.1479:
	s_cmp_eq_u32 s24, 15
	s_cbranch_scc0 .LBB392_1482
; %bb.1480:
	global_load_ushort v4, v[2:3], off
	s_mov_b64 s[0:1], 0
	s_mov_b64 s[6:7], -1
	s_waitcnt vmcnt(0)
	v_lshlrev_b32_e32 v4, 16, v4
	v_cvt_f64_f32_e32 v[4:5], v4
	s_branch .LBB392_1483
.LBB392_1481:
	s_mov_b64 s[18:19], -1
                                        ; implicit-def: $vgpr4_vgpr5
	s_branch .LBB392_1484
.LBB392_1482:
	s_mov_b64 s[0:1], -1
                                        ; implicit-def: $vgpr4_vgpr5
.LBB392_1483:
	s_mov_b64 s[18:19], 0
.LBB392_1484:
	s_and_b64 vcc, exec, s[18:19]
	s_cbranch_vccz .LBB392_1486
; %bb.1485:
	s_cmp_lg_u32 s24, 11
	s_mov_b64 s[2:3], -1
	s_cselect_b64 s[0:1], -1, 0
.LBB392_1486:
	s_and_b64 vcc, exec, s[0:1]
	s_cbranch_vccnz .LBB392_2019
; %bb.1487:
	s_andn2_b64 vcc, exec, s[2:3]
	s_cbranch_vccnz .LBB392_1489
.LBB392_1488:
	global_load_ubyte v5, v[2:3], off
	v_mov_b32_e32 v10, 0x3ff00000
	v_mov_b32_e32 v4, 0
	s_mov_b64 s[6:7], -1
	s_waitcnt vmcnt(0)
	v_cmp_ne_u16_e32 vcc, 0, v5
	s_nop 1
	v_cndmask_b32_e32 v5, 0, v10, vcc
.LBB392_1489:
	s_mov_b64 s[0:1], 0
.LBB392_1490:
	s_and_b64 vcc, exec, s[0:1]
	s_cbranch_vccz .LBB392_1539
; %bb.1491:
	s_cmp_lt_i32 s24, 5
	s_cbranch_scc1 .LBB392_1496
; %bb.1492:
	s_cmp_lt_i32 s24, 8
	s_cbranch_scc1 .LBB392_1497
	;; [unrolled: 3-line block ×3, first 2 shown]
; %bb.1494:
	s_cmp_gt_i32 s24, 9
	s_cbranch_scc0 .LBB392_1499
; %bb.1495:
	global_load_dwordx2 v[4:5], v[2:3], off
	s_mov_b64 s[0:1], 0
	s_branch .LBB392_1500
.LBB392_1496:
	s_mov_b64 s[0:1], -1
                                        ; implicit-def: $vgpr4_vgpr5
	s_branch .LBB392_1518
.LBB392_1497:
	s_mov_b64 s[0:1], -1
                                        ; implicit-def: $vgpr4_vgpr5
	s_branch .LBB392_1506
.LBB392_1498:
	s_mov_b64 s[0:1], -1
                                        ; implicit-def: $vgpr4_vgpr5
	s_branch .LBB392_1503
.LBB392_1499:
	s_mov_b64 s[0:1], -1
                                        ; implicit-def: $vgpr4_vgpr5
.LBB392_1500:
	s_andn2_b64 vcc, exec, s[0:1]
	s_cbranch_vccnz .LBB392_1502
; %bb.1501:
	global_load_dword v4, v[2:3], off
	s_waitcnt vmcnt(0)
	v_cvt_f64_f32_e32 v[4:5], v4
.LBB392_1502:
	s_mov_b64 s[0:1], 0
.LBB392_1503:
	s_andn2_b64 vcc, exec, s[0:1]
	s_cbranch_vccnz .LBB392_1505
; %bb.1504:
	global_load_dword v4, v[2:3], off
	s_waitcnt vmcnt(0)
	v_cvt_f32_f16_e32 v4, v4
	v_cvt_f64_f32_e32 v[4:5], v4
.LBB392_1505:
	s_mov_b64 s[0:1], 0
.LBB392_1506:
	s_andn2_b64 vcc, exec, s[0:1]
	s_cbranch_vccnz .LBB392_1517
; %bb.1507:
	s_cmp_lt_i32 s24, 6
	s_cbranch_scc1 .LBB392_1510
; %bb.1508:
	s_cmp_gt_i32 s24, 6
	s_cbranch_scc0 .LBB392_1511
; %bb.1509:
	global_load_dwordx2 v[4:5], v[2:3], off
	s_mov_b64 s[0:1], 0
	s_branch .LBB392_1512
.LBB392_1510:
	s_mov_b64 s[0:1], -1
                                        ; implicit-def: $vgpr4_vgpr5
	s_branch .LBB392_1515
.LBB392_1511:
	s_mov_b64 s[0:1], -1
                                        ; implicit-def: $vgpr4_vgpr5
.LBB392_1512:
	s_andn2_b64 vcc, exec, s[0:1]
	s_cbranch_vccnz .LBB392_1514
; %bb.1513:
	global_load_dword v4, v[2:3], off
	s_waitcnt vmcnt(0)
	v_cvt_f64_f32_e32 v[4:5], v4
.LBB392_1514:
	s_mov_b64 s[0:1], 0
.LBB392_1515:
	s_andn2_b64 vcc, exec, s[0:1]
	s_cbranch_vccnz .LBB392_1517
; %bb.1516:
	global_load_ushort v4, v[2:3], off
	s_waitcnt vmcnt(0)
	v_cvt_f32_f16_e32 v4, v4
	v_cvt_f64_f32_e32 v[4:5], v4
.LBB392_1517:
	s_mov_b64 s[0:1], 0
.LBB392_1518:
	s_andn2_b64 vcc, exec, s[0:1]
	s_cbranch_vccnz .LBB392_1538
; %bb.1519:
	s_cmp_lt_i32 s24, 2
	s_cbranch_scc1 .LBB392_1523
; %bb.1520:
	s_cmp_lt_i32 s24, 3
	s_cbranch_scc1 .LBB392_1524
; %bb.1521:
	s_cmp_gt_i32 s24, 3
	s_cbranch_scc0 .LBB392_1525
; %bb.1522:
	global_load_dwordx2 v[4:5], v[2:3], off
	s_mov_b64 s[0:1], 0
	s_waitcnt vmcnt(0)
	v_cvt_f64_i32_e32 v[10:11], v5
	v_cvt_f64_u32_e32 v[4:5], v4
	v_ldexp_f64 v[10:11], v[10:11], 32
	v_add_f64 v[4:5], v[10:11], v[4:5]
	s_branch .LBB392_1526
.LBB392_1523:
	s_mov_b64 s[0:1], -1
                                        ; implicit-def: $vgpr4_vgpr5
	s_branch .LBB392_1532
.LBB392_1524:
	s_mov_b64 s[0:1], -1
                                        ; implicit-def: $vgpr4_vgpr5
	s_branch .LBB392_1529
.LBB392_1525:
	s_mov_b64 s[0:1], -1
                                        ; implicit-def: $vgpr4_vgpr5
.LBB392_1526:
	s_andn2_b64 vcc, exec, s[0:1]
	s_cbranch_vccnz .LBB392_1528
; %bb.1527:
	global_load_dword v4, v[2:3], off
	s_waitcnt vmcnt(0)
	v_cvt_f64_i32_e32 v[4:5], v4
.LBB392_1528:
	s_mov_b64 s[0:1], 0
.LBB392_1529:
	s_andn2_b64 vcc, exec, s[0:1]
	s_cbranch_vccnz .LBB392_1531
; %bb.1530:
	global_load_sshort v4, v[2:3], off
	s_waitcnt vmcnt(0)
	v_cvt_f64_i32_e32 v[4:5], v4
.LBB392_1531:
	s_mov_b64 s[0:1], 0
.LBB392_1532:
	s_andn2_b64 vcc, exec, s[0:1]
	s_cbranch_vccnz .LBB392_1538
; %bb.1533:
	s_cmp_gt_i32 s24, 0
	s_cbranch_scc0 .LBB392_1535
; %bb.1534:
	global_load_sbyte v4, v[2:3], off
	s_mov_b64 s[0:1], 0
	s_waitcnt vmcnt(0)
	v_cvt_f64_i32_e32 v[4:5], v4
	s_branch .LBB392_1536
.LBB392_1535:
	s_mov_b64 s[0:1], -1
                                        ; implicit-def: $vgpr4_vgpr5
.LBB392_1536:
	s_andn2_b64 vcc, exec, s[0:1]
	s_cbranch_vccnz .LBB392_1538
; %bb.1537:
	global_load_ubyte v2, v[2:3], off
	s_waitcnt vmcnt(0)
	v_cvt_f64_u32_e32 v[4:5], v2
.LBB392_1538:
	s_mov_b64 s[6:7], -1
.LBB392_1539:
	s_andn2_b64 vcc, exec, s[6:7]
	s_cbranch_vccnz .LBB392_1973
; %bb.1540:
	v_max_f64 v[10:11], s[10:11], s[10:11]
	s_waitcnt vmcnt(0)
	v_max_f64 v[2:3], v[0:1], v[0:1]
	v_mul_lo_u32 v12, s8, v12
	v_max_f64 v[2:3], v[2:3], v[10:11]
	v_cmp_u_f64_e32 vcc, v[0:1], v[0:1]
	v_ashrrev_i32_e32 v13, 31, v12
	s_and_b32 s20, s33, 0xff
	v_cndmask_b32_e32 v1, v3, v1, vcc
	v_cndmask_b32_e32 v0, v2, v0, vcc
	s_cmp_lt_i32 s20, 11
	v_lshl_add_u64 v[14:15], s[4:5], 0, v[12:13]
	s_cbranch_scc1 .LBB392_1618
; %bb.1541:
	s_and_b32 s9, 0xffff, s20
	s_mov_b64 s[10:11], -1
	s_mov_b64 s[2:3], 0
	s_cmp_gt_i32 s9, 25
	s_mov_b64 s[6:7], 0
	s_mov_b64 s[0:1], 0
	s_cbranch_scc0 .LBB392_1574
; %bb.1542:
	s_cmp_gt_i32 s9, 28
	s_cbranch_scc0 .LBB392_1557
; %bb.1543:
	s_cmp_gt_i32 s9, 43
	;; [unrolled: 3-line block ×3, first 2 shown]
	s_cbranch_scc0 .LBB392_1547
; %bb.1545:
	s_mov_b64 s[0:1], -1
	s_mov_b64 s[10:11], 0
	s_cmp_eq_u32 s9, 46
	s_cbranch_scc0 .LBB392_1547
; %bb.1546:
	v_cvt_f32_f64_e32 v2, v[0:1]
	v_bfe_u32 v3, v2, 16, 1
	s_movk_i32 s0, 0x7fff
	v_add3_u32 v3, v2, v3, s0
	v_cmp_o_f32_e32 vcc, v2, v2
	v_mov_b32_e32 v2, 0x7fc0
	s_mov_b64 s[0:1], 0
	v_cndmask_b32_sdwa v2, v2, v3, vcc dst_sel:DWORD dst_unused:UNUSED_PAD src0_sel:DWORD src1_sel:WORD_1
	global_store_dword v[14:15], v2, off
	s_mov_b64 s[6:7], -1
.LBB392_1547:
	s_and_b64 vcc, exec, s[10:11]
	s_cbranch_vccz .LBB392_1552
; %bb.1548:
	s_cmp_eq_u32 s9, 44
	s_mov_b64 s[0:1], -1
	s_cbranch_scc0 .LBB392_1552
; %bb.1549:
	v_cvt_f32_f64_e32 v2, v[0:1]
	v_bfe_u32 v3, v2, 23, 8
	s_movk_i32 s0, 0xff
	v_cmp_ne_u32_e32 vcc, s0, v3
	v_mov_b32_e32 v13, 0xff
	s_and_saveexec_b64 s[6:7], vcc
; %bb.1550:
	s_mov_b32 s0, 0x3fffff
	v_lshrrev_b32_e32 v13, 23, v2
	v_and_b32_e32 v16, 0x400000, v2
	v_and_or_b32 v2, v2, s0, v3
	v_cmp_ne_u32_e32 vcc, 0, v16
	v_cmp_ne_u32_e64 s[0:1], 0, v2
	s_and_b64 s[0:1], vcc, s[0:1]
	s_nop 0
	v_cndmask_b32_e64 v2, 0, 1, s[0:1]
	v_add_u32_e32 v13, v13, v2
; %bb.1551:
	s_or_b64 exec, exec, s[6:7]
	s_mov_b64 s[0:1], 0
	s_mov_b64 s[6:7], -1
	global_store_byte v[14:15], v13, off
.LBB392_1552:
	s_mov_b64 s[10:11], 0
.LBB392_1553:
	s_and_b64 vcc, exec, s[10:11]
	s_cbranch_vccz .LBB392_1556
; %bb.1554:
	s_cmp_eq_u32 s9, 29
	s_mov_b64 s[0:1], -1
	s_cbranch_scc0 .LBB392_1556
; %bb.1555:
	v_trunc_f64_e32 v[2:3], v[0:1]
	s_movk_i32 s0, 0xffe0
	v_ldexp_f64 v[16:17], v[2:3], s0
	v_floor_f64_e32 v[16:17], v[16:17]
	v_fmac_f64_e32 v[2:3], 0xc1f00000, v[16:17]
	v_cvt_u32_f64_e32 v19, v[16:17]
	v_cvt_u32_f64_e32 v18, v[2:3]
	global_store_dwordx2 v[14:15], v[18:19], off
	s_mov_b64 s[0:1], 0
	s_mov_b64 s[6:7], -1
.LBB392_1556:
	s_mov_b64 s[10:11], 0
.LBB392_1557:
	s_and_b64 vcc, exec, s[10:11]
	s_cbranch_vccz .LBB392_1573
; %bb.1558:
	s_cmp_lt_i32 s9, 27
	s_mov_b64 s[6:7], -1
	s_cbranch_scc1 .LBB392_1564
; %bb.1559:
	s_cmp_gt_i32 s9, 27
	v_cvt_u32_f64_e32 v2, v[0:1]
	s_cbranch_scc0 .LBB392_1561
; %bb.1560:
	s_mov_b64 s[6:7], 0
	global_store_dword v[14:15], v2, off
.LBB392_1561:
	s_andn2_b64 vcc, exec, s[6:7]
	s_cbranch_vccnz .LBB392_1563
; %bb.1562:
	global_store_short v[14:15], v2, off
.LBB392_1563:
	s_mov_b64 s[6:7], 0
.LBB392_1564:
	s_andn2_b64 vcc, exec, s[6:7]
	s_cbranch_vccnz .LBB392_1572
; %bb.1565:
	v_cvt_f32_f64_e32 v2, v[0:1]
	v_and_b32_e32 v3, 0x7fffffff, v2
	s_mov_b32 s6, 0x43800000
	v_cmp_gt_u32_e32 vcc, s6, v3
	v_mov_b32_e32 v13, 0x80
	s_and_saveexec_b64 s[6:7], vcc
	s_cbranch_execz .LBB392_1571
; %bb.1566:
	s_mov_b32 s10, 0x3bffffff
	v_cmp_lt_u32_e32 vcc, s10, v3
	s_mov_b64 s[10:11], 0
                                        ; implicit-def: $vgpr3
	s_and_saveexec_b64 s[18:19], vcc
	s_xor_b64 s[18:19], exec, s[18:19]
	s_cbranch_execz .LBB392_2020
; %bb.1567:
	v_bfe_u32 v3, v2, 20, 1
	s_mov_b32 s21, 0x487ffff
	v_add3_u32 v3, v2, v3, s21
	s_mov_b64 s[10:11], exec
	v_lshrrev_b32_e32 v3, 20, v3
	s_andn2_saveexec_b64 s[18:19], s[18:19]
	s_cbranch_execnz .LBB392_2021
.LBB392_1568:
	s_or_b64 exec, exec, s[18:19]
	v_mov_b32_e32 v13, 0
	s_and_saveexec_b64 s[18:19], s[10:11]
.LBB392_1569:
	v_lshrrev_b32_e32 v2, 24, v2
	s_movk_i32 s10, 0x80
	v_and_or_b32 v13, v2, s10, v3
.LBB392_1570:
	s_or_b64 exec, exec, s[18:19]
.LBB392_1571:
	s_or_b64 exec, exec, s[6:7]
	global_store_byte v[14:15], v13, off
.LBB392_1572:
	s_mov_b64 s[6:7], -1
.LBB392_1573:
	s_mov_b64 s[10:11], 0
.LBB392_1574:
	s_and_b64 vcc, exec, s[10:11]
	s_cbranch_vccz .LBB392_1614
; %bb.1575:
	s_cmp_gt_i32 s9, 22
	s_mov_b64 s[2:3], -1
	s_cbranch_scc0 .LBB392_1607
; %bb.1576:
	s_cmp_lt_i32 s9, 24
	s_cbranch_scc1 .LBB392_1596
; %bb.1577:
	s_cmp_gt_i32 s9, 24
	s_cbranch_scc0 .LBB392_1585
; %bb.1578:
	v_cvt_f32_f64_e32 v2, v[0:1]
	v_and_b32_e32 v3, 0x7fffffff, v2
	s_mov_b32 s2, 0x47800000
	v_cmp_gt_u32_e32 vcc, s2, v3
	v_mov_b32_e32 v13, 0x80
	s_and_saveexec_b64 s[2:3], vcc
	s_cbranch_execz .LBB392_1584
; %bb.1579:
	s_mov_b32 s6, 0x37ffffff
	v_cmp_lt_u32_e32 vcc, s6, v3
	s_mov_b64 s[6:7], 0
                                        ; implicit-def: $vgpr3
	s_and_saveexec_b64 s[10:11], vcc
	s_xor_b64 s[10:11], exec, s[10:11]
	s_cbranch_execz .LBB392_2023
; %bb.1580:
	v_bfe_u32 v3, v2, 21, 1
	s_mov_b32 s18, 0x88fffff
	v_add3_u32 v3, v2, v3, s18
	s_mov_b64 s[6:7], exec
	v_lshrrev_b32_e32 v3, 21, v3
	s_andn2_saveexec_b64 s[10:11], s[10:11]
	s_cbranch_execnz .LBB392_2024
.LBB392_1581:
	s_or_b64 exec, exec, s[10:11]
	v_mov_b32_e32 v13, 0
	s_and_saveexec_b64 s[10:11], s[6:7]
.LBB392_1582:
	v_lshrrev_b32_e32 v2, 24, v2
	s_movk_i32 s6, 0x80
	v_and_or_b32 v13, v2, s6, v3
.LBB392_1583:
	s_or_b64 exec, exec, s[10:11]
.LBB392_1584:
	s_or_b64 exec, exec, s[2:3]
	s_mov_b64 s[2:3], 0
	global_store_byte v[14:15], v13, off
.LBB392_1585:
	s_and_b64 vcc, exec, s[2:3]
	s_cbranch_vccz .LBB392_1595
; %bb.1586:
	v_cvt_f32_f64_e32 v2, v[0:1]
	v_and_b32_e32 v13, 0x7fffffff, v2
	s_mov_b32 s2, 0x43f00000
	v_cmp_gt_u32_e32 vcc, s2, v13
                                        ; implicit-def: $vgpr3
	s_and_saveexec_b64 s[2:3], vcc
	s_xor_b64 s[2:3], exec, s[2:3]
	s_cbranch_execz .LBB392_1592
; %bb.1587:
	s_mov_b32 s6, 0x3c7fffff
	v_cmp_lt_u32_e32 vcc, s6, v13
                                        ; implicit-def: $vgpr3
	s_and_saveexec_b64 s[6:7], vcc
	s_xor_b64 s[6:7], exec, s[6:7]
; %bb.1588:
	v_bfe_u32 v3, v2, 20, 1
	s_mov_b32 s10, 0x407ffff
	v_add3_u32 v3, v2, v3, s10
	v_lshrrev_b32_e32 v13, 20, v3
	v_and_b32_e32 v3, 0xff00000, v3
	s_mov_b32 s10, 0x7f00000
	v_mov_b32_e32 v16, 0x7e
	v_cmp_ne_u32_e32 vcc, s10, v3
	s_nop 1
	v_cndmask_b32_e32 v3, v16, v13, vcc
; %bb.1589:
	s_andn2_saveexec_b64 s[6:7], s[6:7]
; %bb.1590:
	s_mov_b32 s10, 0x46800000
	v_add_f32_e64 v3, |v2|, s10
; %bb.1591:
	s_or_b64 exec, exec, s[6:7]
                                        ; implicit-def: $vgpr13
.LBB392_1592:
	s_andn2_saveexec_b64 s[2:3], s[2:3]
; %bb.1593:
	s_mov_b32 s6, 0x7f800000
	v_mov_b32_e32 v3, 0x7e
	v_mov_b32_e32 v16, 0x7f
	v_cmp_lt_u32_e32 vcc, s6, v13
	s_nop 1
	v_cndmask_b32_e32 v3, v3, v16, vcc
; %bb.1594:
	s_or_b64 exec, exec, s[2:3]
	v_lshrrev_b32_e32 v2, 24, v2
	s_movk_i32 s2, 0x80
	v_and_or_b32 v2, v2, s2, v3
	global_store_byte v[14:15], v2, off
.LBB392_1595:
	s_mov_b64 s[2:3], 0
.LBB392_1596:
	s_andn2_b64 vcc, exec, s[2:3]
	s_cbranch_vccnz .LBB392_1606
; %bb.1597:
	v_cvt_f32_f64_e32 v2, v[0:1]
	v_and_b32_e32 v13, 0x7fffffff, v2
	s_mov_b32 s2, 0x47800000
	v_cmp_gt_u32_e32 vcc, s2, v13
                                        ; implicit-def: $vgpr3
	s_and_saveexec_b64 s[2:3], vcc
	s_xor_b64 s[2:3], exec, s[2:3]
	s_cbranch_execz .LBB392_1603
; %bb.1598:
	s_mov_b32 s6, 0x387fffff
	v_cmp_lt_u32_e32 vcc, s6, v13
                                        ; implicit-def: $vgpr3
	s_and_saveexec_b64 s[6:7], vcc
	s_xor_b64 s[6:7], exec, s[6:7]
; %bb.1599:
	v_bfe_u32 v3, v2, 21, 1
	s_mov_b32 s10, 0x80fffff
	v_add3_u32 v3, v2, v3, s10
	v_lshrrev_b32_e32 v3, 21, v3
; %bb.1600:
	s_andn2_saveexec_b64 s[6:7], s[6:7]
; %bb.1601:
	s_mov_b32 s10, 0x43000000
	v_add_f32_e64 v3, |v2|, s10
; %bb.1602:
	s_or_b64 exec, exec, s[6:7]
                                        ; implicit-def: $vgpr13
.LBB392_1603:
	s_andn2_saveexec_b64 s[2:3], s[2:3]
; %bb.1604:
	s_mov_b32 s6, 0x7f800000
	v_mov_b32_e32 v3, 0x7c
	v_mov_b32_e32 v16, 0x7f
	v_cmp_lt_u32_e32 vcc, s6, v13
	s_nop 1
	v_cndmask_b32_e32 v3, v3, v16, vcc
; %bb.1605:
	s_or_b64 exec, exec, s[2:3]
	v_lshrrev_b32_e32 v2, 24, v2
	s_movk_i32 s2, 0x80
	v_and_or_b32 v2, v2, s2, v3
	global_store_byte v[14:15], v2, off
.LBB392_1606:
	s_mov_b64 s[2:3], 0
	s_mov_b64 s[6:7], -1
.LBB392_1607:
	s_andn2_b64 vcc, exec, s[2:3]
	s_mov_b64 s[2:3], 0
	s_cbranch_vccnz .LBB392_1614
; %bb.1608:
	s_cmp_gt_i32 s9, 14
	s_mov_b64 s[10:11], -1
	s_cbranch_scc0 .LBB392_1612
; %bb.1609:
	s_cmp_eq_u32 s9, 15
	s_mov_b64 s[0:1], -1
	s_cbranch_scc0 .LBB392_1611
; %bb.1610:
	v_cvt_f32_f64_e32 v2, v[0:1]
	v_bfe_u32 v3, v2, 16, 1
	s_movk_i32 s0, 0x7fff
	v_add3_u32 v3, v2, v3, s0
	v_cmp_o_f32_e32 vcc, v2, v2
	v_mov_b32_e32 v2, 0x7fc0
	s_mov_b64 s[0:1], 0
	v_cndmask_b32_sdwa v2, v2, v3, vcc dst_sel:DWORD dst_unused:UNUSED_PAD src0_sel:DWORD src1_sel:WORD_1
	global_store_short v[14:15], v2, off
	s_mov_b64 s[6:7], -1
.LBB392_1611:
	s_mov_b64 s[10:11], 0
.LBB392_1612:
	s_and_b64 vcc, exec, s[10:11]
	s_cbranch_vccz .LBB392_1614
; %bb.1613:
	s_cmp_lg_u32 s9, 11
	s_mov_b64 s[2:3], -1
	s_cselect_b64 s[0:1], -1, 0
.LBB392_1614:
	s_and_b64 vcc, exec, s[0:1]
	s_cbranch_vccnz .LBB392_2022
; %bb.1615:
	s_andn2_b64 vcc, exec, s[2:3]
	s_cbranch_vccnz .LBB392_1617
.LBB392_1616:
	v_cmp_neq_f64_e32 vcc, 0, v[0:1]
	s_mov_b64 s[6:7], -1
	s_nop 0
	v_cndmask_b32_e64 v2, 0, 1, vcc
	global_store_byte v[14:15], v2, off
.LBB392_1617:
	s_mov_b64 s[0:1], 0
	s_branch .LBB392_1619
.LBB392_1618:
	s_mov_b64 s[0:1], -1
	s_mov_b64 s[6:7], 0
.LBB392_1619:
	s_and_b64 vcc, exec, s[0:1]
	s_cbranch_vccz .LBB392_1658
; %bb.1620:
	s_and_b32 s2, 0xffff, s20
	s_cmp_lt_i32 s2, 5
	s_mov_b64 s[0:1], -1
	s_cbranch_scc1 .LBB392_1641
; %bb.1621:
	s_cmp_lt_i32 s2, 8
	s_cbranch_scc1 .LBB392_1631
; %bb.1622:
	s_cmp_lt_i32 s2, 9
	s_cbranch_scc1 .LBB392_1628
; %bb.1623:
	s_cmp_gt_i32 s2, 9
	s_cbranch_scc0 .LBB392_1625
; %bb.1624:
	v_mov_b32_e32 v2, 0
	v_mov_b32_e32 v3, v2
	global_store_dwordx4 v[14:15], v[0:3], off
	s_mov_b64 s[0:1], 0
.LBB392_1625:
	s_andn2_b64 vcc, exec, s[0:1]
	s_cbranch_vccnz .LBB392_1627
; %bb.1626:
	v_cvt_f32_f64_e32 v2, v[0:1]
	v_mov_b32_e32 v3, 0
	global_store_dwordx2 v[14:15], v[2:3], off
.LBB392_1627:
	s_mov_b64 s[0:1], 0
.LBB392_1628:
	s_andn2_b64 vcc, exec, s[0:1]
	s_cbranch_vccnz .LBB392_1630
; %bb.1629:
	s_movk_i32 s0, 0x1ff
	v_and_or_b32 v2, v1, s0, v0
	v_cmp_ne_u32_e32 vcc, 0, v2
	v_lshrrev_b32_e32 v3, 8, v1
	s_movk_i32 s0, 0xffe
	v_cndmask_b32_e64 v2, 0, 1, vcc
	v_bfe_u32 v13, v1, 20, 11
	v_and_or_b32 v2, v3, s0, v2
	v_sub_u32_e32 v16, 0x3f1, v13
	v_or_b32_e32 v3, 0x1000, v2
	v_med3_i32 v16, v16, 0, 13
	v_lshrrev_b32_e32 v17, v16, v3
	v_lshlrev_b32_e32 v16, v16, v17
	v_cmp_ne_u32_e32 vcc, v16, v3
	v_add_u32_e32 v13, 0xfffffc10, v13
	v_lshl_or_b32 v16, v13, 12, v2
	v_cndmask_b32_e64 v3, 0, 1, vcc
	v_or_b32_e32 v3, v17, v3
	v_cmp_gt_i32_e32 vcc, 1, v13
	s_movk_i32 s0, 0x40f
	s_nop 0
	v_cndmask_b32_e32 v3, v16, v3, vcc
	v_and_b32_e32 v16, 7, v3
	v_cmp_lt_i32_e32 vcc, 5, v16
	v_lshrrev_b32_e32 v3, 2, v3
	s_nop 0
	v_cndmask_b32_e64 v17, 0, 1, vcc
	v_cmp_eq_u32_e32 vcc, 3, v16
	s_nop 1
	v_cndmask_b32_e64 v16, 0, 1, vcc
	v_or_b32_e32 v16, v16, v17
	v_add_u32_e32 v3, v3, v16
	v_mov_b32_e32 v16, 0x7c00
	v_cmp_gt_i32_e32 vcc, 31, v13
	v_mov_b32_e32 v17, 0x7e00
	s_nop 0
	v_cndmask_b32_e32 v3, v16, v3, vcc
	v_cmp_ne_u32_e32 vcc, 0, v2
	s_nop 1
	v_cndmask_b32_e32 v2, v16, v17, vcc
	v_cmp_eq_u32_e32 vcc, s0, v13
	s_mov_b32 s0, 0x8000
	s_nop 0
	v_cndmask_b32_e32 v2, v3, v2, vcc
	v_and_b32_sdwa v3, v1, s0 dst_sel:DWORD dst_unused:UNUSED_PAD src0_sel:WORD_1 src1_sel:DWORD
	s_mov_b32 s0, 0xffff
	v_bitop3_b32 v2, v3, s0, v2 bitop3:0xc8
	global_store_dword v[14:15], v2, off
.LBB392_1630:
	s_mov_b64 s[0:1], 0
.LBB392_1631:
	s_andn2_b64 vcc, exec, s[0:1]
	s_cbranch_vccnz .LBB392_1640
; %bb.1632:
	s_cmp_lt_i32 s2, 6
	s_mov_b64 s[0:1], -1
	s_cbranch_scc1 .LBB392_1638
; %bb.1633:
	s_cmp_gt_i32 s2, 6
	s_cbranch_scc0 .LBB392_1635
; %bb.1634:
	global_store_dwordx2 v[14:15], v[0:1], off
	s_mov_b64 s[0:1], 0
.LBB392_1635:
	s_andn2_b64 vcc, exec, s[0:1]
	s_cbranch_vccnz .LBB392_1637
; %bb.1636:
	v_cvt_f32_f64_e32 v2, v[0:1]
	global_store_dword v[14:15], v2, off
.LBB392_1637:
	s_mov_b64 s[0:1], 0
.LBB392_1638:
	s_andn2_b64 vcc, exec, s[0:1]
	s_cbranch_vccnz .LBB392_1640
; %bb.1639:
	s_movk_i32 s0, 0x1ff
	v_and_or_b32 v2, v1, s0, v0
	v_cmp_ne_u32_e32 vcc, 0, v2
	v_lshrrev_b32_e32 v3, 8, v1
	s_movk_i32 s0, 0xffe
	v_cndmask_b32_e64 v2, 0, 1, vcc
	v_bfe_u32 v13, v1, 20, 11
	v_and_or_b32 v2, v3, s0, v2
	v_sub_u32_e32 v16, 0x3f1, v13
	v_or_b32_e32 v3, 0x1000, v2
	v_med3_i32 v16, v16, 0, 13
	v_lshrrev_b32_e32 v17, v16, v3
	v_lshlrev_b32_e32 v16, v16, v17
	v_cmp_ne_u32_e32 vcc, v16, v3
	v_add_u32_e32 v13, 0xfffffc10, v13
	v_lshl_or_b32 v16, v13, 12, v2
	v_cndmask_b32_e64 v3, 0, 1, vcc
	v_or_b32_e32 v3, v17, v3
	v_cmp_gt_i32_e32 vcc, 1, v13
	s_movk_i32 s0, 0x40f
	s_nop 0
	v_cndmask_b32_e32 v3, v16, v3, vcc
	v_and_b32_e32 v16, 7, v3
	v_cmp_lt_i32_e32 vcc, 5, v16
	v_lshrrev_b32_e32 v3, 2, v3
	s_nop 0
	v_cndmask_b32_e64 v17, 0, 1, vcc
	v_cmp_eq_u32_e32 vcc, 3, v16
	s_nop 1
	v_cndmask_b32_e64 v16, 0, 1, vcc
	v_or_b32_e32 v16, v16, v17
	v_add_u32_e32 v3, v3, v16
	v_mov_b32_e32 v16, 0x7c00
	v_cmp_gt_i32_e32 vcc, 31, v13
	v_mov_b32_e32 v17, 0x7e00
	s_nop 0
	v_cndmask_b32_e32 v3, v16, v3, vcc
	v_cmp_ne_u32_e32 vcc, 0, v2
	s_nop 1
	v_cndmask_b32_e32 v2, v16, v17, vcc
	v_cmp_eq_u32_e32 vcc, s0, v13
	s_mov_b32 s0, 0x8000
	s_nop 0
	v_cndmask_b32_e32 v2, v3, v2, vcc
	v_lshrrev_b32_e32 v3, 16, v1
	v_and_or_b32 v2, v3, s0, v2
	global_store_short v[14:15], v2, off
.LBB392_1640:
	s_mov_b64 s[0:1], 0
.LBB392_1641:
	s_andn2_b64 vcc, exec, s[0:1]
	s_cbranch_vccnz .LBB392_1657
; %bb.1642:
	s_cmp_lt_i32 s2, 2
	s_mov_b64 s[0:1], -1
	s_cbranch_scc1 .LBB392_1652
; %bb.1643:
	s_cmp_lt_i32 s2, 3
	s_cbranch_scc1 .LBB392_1649
; %bb.1644:
	s_cmp_gt_i32 s2, 3
	s_cbranch_scc0 .LBB392_1646
; %bb.1645:
	v_trunc_f64_e32 v[2:3], v[0:1]
	s_movk_i32 s0, 0xffe0
	v_ldexp_f64 v[16:17], v[2:3], s0
	v_floor_f64_e32 v[16:17], v[16:17]
	v_fmac_f64_e32 v[2:3], 0xc1f00000, v[16:17]
	v_cvt_i32_f64_e32 v19, v[16:17]
	v_cvt_u32_f64_e32 v18, v[2:3]
	global_store_dwordx2 v[14:15], v[18:19], off
	s_mov_b64 s[0:1], 0
.LBB392_1646:
	s_andn2_b64 vcc, exec, s[0:1]
	s_cbranch_vccnz .LBB392_1648
; %bb.1647:
	v_cvt_i32_f64_e32 v2, v[0:1]
	global_store_dword v[14:15], v2, off
.LBB392_1648:
	s_mov_b64 s[0:1], 0
.LBB392_1649:
	s_andn2_b64 vcc, exec, s[0:1]
	s_cbranch_vccnz .LBB392_1651
; %bb.1650:
	v_cvt_i32_f64_e32 v2, v[0:1]
	global_store_short v[14:15], v2, off
.LBB392_1651:
	s_mov_b64 s[0:1], 0
.LBB392_1652:
	s_andn2_b64 vcc, exec, s[0:1]
	s_cbranch_vccnz .LBB392_1657
; %bb.1653:
	s_cmp_gt_i32 s2, 0
	s_mov_b64 s[0:1], -1
	s_cbranch_scc0 .LBB392_1655
; %bb.1654:
	v_cvt_i32_f64_e32 v2, v[0:1]
	global_store_byte v[14:15], v2, off
	s_mov_b64 s[0:1], 0
.LBB392_1655:
	s_andn2_b64 vcc, exec, s[0:1]
	s_cbranch_vccnz .LBB392_1657
; %bb.1656:
	v_trunc_f64_e32 v[0:1], v[0:1]
	s_movk_i32 s0, 0xffe0
	v_ldexp_f64 v[2:3], v[0:1], s0
	v_floor_f64_e32 v[2:3], v[2:3]
	v_fmac_f64_e32 v[0:1], 0xc1f00000, v[2:3]
	v_cvt_u32_f64_e32 v0, v[0:1]
	global_store_byte v[14:15], v0, off
.LBB392_1657:
	s_mov_b64 s[6:7], -1
.LBB392_1658:
	s_andn2_b64 vcc, exec, s[6:7]
	s_cbranch_vccnz .LBB392_1973
; %bb.1659:
	v_max_f64 v[0:1], v[8:9], v[8:9]
	v_max_f64 v[0:1], v[0:1], v[10:11]
	v_cmp_u_f64_e32 vcc, v[8:9], v[8:9]
	s_lshl_b32 s18, s8, 7
	s_cmp_lt_i32 s20, 11
	v_cndmask_b32_e32 v0, v0, v8, vcc
	v_add_u32_e32 v8, s18, v12
	v_cndmask_b32_e32 v1, v1, v9, vcc
	v_ashrrev_i32_e32 v9, 31, v8
	v_lshl_add_u64 v[12:13], s[4:5], 0, v[8:9]
	s_cbranch_scc1 .LBB392_1737
; %bb.1660:
	s_and_b32 s19, 0xffff, s20
	s_mov_b64 s[8:9], -1
	s_mov_b64 s[2:3], 0
	s_cmp_gt_i32 s19, 25
	s_mov_b64 s[6:7], 0
	s_mov_b64 s[0:1], 0
	s_cbranch_scc0 .LBB392_1693
; %bb.1661:
	s_cmp_gt_i32 s19, 28
	s_cbranch_scc0 .LBB392_1676
; %bb.1662:
	s_cmp_gt_i32 s19, 43
	;; [unrolled: 3-line block ×3, first 2 shown]
	s_cbranch_scc0 .LBB392_1666
; %bb.1664:
	s_mov_b64 s[0:1], -1
	s_mov_b64 s[8:9], 0
	s_cmp_eq_u32 s19, 46
	s_cbranch_scc0 .LBB392_1666
; %bb.1665:
	v_cvt_f32_f64_e32 v2, v[0:1]
	v_bfe_u32 v3, v2, 16, 1
	s_movk_i32 s0, 0x7fff
	v_add3_u32 v3, v2, v3, s0
	v_cmp_o_f32_e32 vcc, v2, v2
	v_mov_b32_e32 v2, 0x7fc0
	s_mov_b64 s[0:1], 0
	v_cndmask_b32_sdwa v2, v2, v3, vcc dst_sel:DWORD dst_unused:UNUSED_PAD src0_sel:DWORD src1_sel:WORD_1
	global_store_dword v[12:13], v2, off
	s_mov_b64 s[6:7], -1
.LBB392_1666:
	s_and_b64 vcc, exec, s[8:9]
	s_cbranch_vccz .LBB392_1671
; %bb.1667:
	s_cmp_eq_u32 s19, 44
	s_mov_b64 s[0:1], -1
	s_cbranch_scc0 .LBB392_1671
; %bb.1668:
	v_cvt_f32_f64_e32 v2, v[0:1]
	v_bfe_u32 v3, v2, 23, 8
	s_movk_i32 s0, 0xff
	v_cmp_ne_u32_e32 vcc, s0, v3
	v_mov_b32_e32 v9, 0xff
	s_and_saveexec_b64 s[6:7], vcc
; %bb.1669:
	s_mov_b32 s0, 0x3fffff
	v_lshrrev_b32_e32 v9, 23, v2
	v_and_b32_e32 v14, 0x400000, v2
	v_and_or_b32 v2, v2, s0, v3
	v_cmp_ne_u32_e32 vcc, 0, v14
	v_cmp_ne_u32_e64 s[0:1], 0, v2
	s_and_b64 s[0:1], vcc, s[0:1]
	s_nop 0
	v_cndmask_b32_e64 v2, 0, 1, s[0:1]
	v_add_u32_e32 v9, v9, v2
; %bb.1670:
	s_or_b64 exec, exec, s[6:7]
	s_mov_b64 s[0:1], 0
	s_mov_b64 s[6:7], -1
	global_store_byte v[12:13], v9, off
.LBB392_1671:
	s_mov_b64 s[8:9], 0
.LBB392_1672:
	s_and_b64 vcc, exec, s[8:9]
	s_cbranch_vccz .LBB392_1675
; %bb.1673:
	s_cmp_eq_u32 s19, 29
	s_mov_b64 s[0:1], -1
	s_cbranch_scc0 .LBB392_1675
; %bb.1674:
	v_trunc_f64_e32 v[2:3], v[0:1]
	s_movk_i32 s0, 0xffe0
	v_ldexp_f64 v[14:15], v[2:3], s0
	v_floor_f64_e32 v[14:15], v[14:15]
	v_fmac_f64_e32 v[2:3], 0xc1f00000, v[14:15]
	v_cvt_u32_f64_e32 v17, v[14:15]
	v_cvt_u32_f64_e32 v16, v[2:3]
	global_store_dwordx2 v[12:13], v[16:17], off
	s_mov_b64 s[0:1], 0
	s_mov_b64 s[6:7], -1
.LBB392_1675:
	s_mov_b64 s[8:9], 0
.LBB392_1676:
	s_and_b64 vcc, exec, s[8:9]
	s_cbranch_vccz .LBB392_1692
; %bb.1677:
	s_cmp_lt_i32 s19, 27
	s_mov_b64 s[6:7], -1
	s_cbranch_scc1 .LBB392_1683
; %bb.1678:
	s_cmp_gt_i32 s19, 27
	v_cvt_u32_f64_e32 v2, v[0:1]
	s_cbranch_scc0 .LBB392_1680
; %bb.1679:
	s_mov_b64 s[6:7], 0
	global_store_dword v[12:13], v2, off
.LBB392_1680:
	s_andn2_b64 vcc, exec, s[6:7]
	s_cbranch_vccnz .LBB392_1682
; %bb.1681:
	global_store_short v[12:13], v2, off
.LBB392_1682:
	s_mov_b64 s[6:7], 0
.LBB392_1683:
	s_andn2_b64 vcc, exec, s[6:7]
	s_cbranch_vccnz .LBB392_1691
; %bb.1684:
	v_cvt_f32_f64_e32 v2, v[0:1]
	v_and_b32_e32 v3, 0x7fffffff, v2
	s_mov_b32 s6, 0x43800000
	v_cmp_gt_u32_e32 vcc, s6, v3
	v_mov_b32_e32 v9, 0x80
	s_and_saveexec_b64 s[6:7], vcc
	s_cbranch_execz .LBB392_1690
; %bb.1685:
	s_mov_b32 s8, 0x3bffffff
	v_cmp_lt_u32_e32 vcc, s8, v3
	s_mov_b64 s[8:9], 0
                                        ; implicit-def: $vgpr3
	s_and_saveexec_b64 s[10:11], vcc
	s_xor_b64 s[10:11], exec, s[10:11]
	s_cbranch_execz .LBB392_2025
; %bb.1686:
	v_bfe_u32 v3, v2, 20, 1
	s_mov_b32 s21, 0x487ffff
	v_add3_u32 v3, v2, v3, s21
	s_mov_b64 s[8:9], exec
	v_lshrrev_b32_e32 v3, 20, v3
	s_andn2_saveexec_b64 s[10:11], s[10:11]
	s_cbranch_execnz .LBB392_2026
.LBB392_1687:
	s_or_b64 exec, exec, s[10:11]
	v_mov_b32_e32 v9, 0
	s_and_saveexec_b64 s[10:11], s[8:9]
.LBB392_1688:
	v_lshrrev_b32_e32 v2, 24, v2
	s_movk_i32 s8, 0x80
	v_and_or_b32 v9, v2, s8, v3
.LBB392_1689:
	s_or_b64 exec, exec, s[10:11]
.LBB392_1690:
	s_or_b64 exec, exec, s[6:7]
	global_store_byte v[12:13], v9, off
.LBB392_1691:
	s_mov_b64 s[6:7], -1
.LBB392_1692:
	s_mov_b64 s[8:9], 0
.LBB392_1693:
	s_and_b64 vcc, exec, s[8:9]
	s_cbranch_vccz .LBB392_1733
; %bb.1694:
	s_cmp_gt_i32 s19, 22
	s_mov_b64 s[2:3], -1
	s_cbranch_scc0 .LBB392_1726
; %bb.1695:
	s_cmp_lt_i32 s19, 24
	s_cbranch_scc1 .LBB392_1715
; %bb.1696:
	s_cmp_gt_i32 s19, 24
	s_cbranch_scc0 .LBB392_1704
; %bb.1697:
	v_cvt_f32_f64_e32 v2, v[0:1]
	v_and_b32_e32 v3, 0x7fffffff, v2
	s_mov_b32 s2, 0x47800000
	v_cmp_gt_u32_e32 vcc, s2, v3
	v_mov_b32_e32 v9, 0x80
	s_and_saveexec_b64 s[2:3], vcc
	s_cbranch_execz .LBB392_1703
; %bb.1698:
	s_mov_b32 s6, 0x37ffffff
	v_cmp_lt_u32_e32 vcc, s6, v3
	s_mov_b64 s[6:7], 0
                                        ; implicit-def: $vgpr3
	s_and_saveexec_b64 s[8:9], vcc
	s_xor_b64 s[8:9], exec, s[8:9]
	s_cbranch_execz .LBB392_2028
; %bb.1699:
	v_bfe_u32 v3, v2, 21, 1
	s_mov_b32 s10, 0x88fffff
	v_add3_u32 v3, v2, v3, s10
	s_mov_b64 s[6:7], exec
	v_lshrrev_b32_e32 v3, 21, v3
	s_andn2_saveexec_b64 s[8:9], s[8:9]
	s_cbranch_execnz .LBB392_2029
.LBB392_1700:
	s_or_b64 exec, exec, s[8:9]
	v_mov_b32_e32 v9, 0
	s_and_saveexec_b64 s[8:9], s[6:7]
.LBB392_1701:
	v_lshrrev_b32_e32 v2, 24, v2
	s_movk_i32 s6, 0x80
	v_and_or_b32 v9, v2, s6, v3
.LBB392_1702:
	s_or_b64 exec, exec, s[8:9]
.LBB392_1703:
	s_or_b64 exec, exec, s[2:3]
	s_mov_b64 s[2:3], 0
	global_store_byte v[12:13], v9, off
.LBB392_1704:
	s_and_b64 vcc, exec, s[2:3]
	s_cbranch_vccz .LBB392_1714
; %bb.1705:
	v_cvt_f32_f64_e32 v2, v[0:1]
	v_and_b32_e32 v9, 0x7fffffff, v2
	s_mov_b32 s2, 0x43f00000
	v_cmp_gt_u32_e32 vcc, s2, v9
                                        ; implicit-def: $vgpr3
	s_and_saveexec_b64 s[2:3], vcc
	s_xor_b64 s[2:3], exec, s[2:3]
	s_cbranch_execz .LBB392_1711
; %bb.1706:
	s_mov_b32 s6, 0x3c7fffff
	v_cmp_lt_u32_e32 vcc, s6, v9
                                        ; implicit-def: $vgpr3
	s_and_saveexec_b64 s[6:7], vcc
	s_xor_b64 s[6:7], exec, s[6:7]
; %bb.1707:
	v_bfe_u32 v3, v2, 20, 1
	s_mov_b32 s8, 0x407ffff
	v_add3_u32 v3, v2, v3, s8
	v_lshrrev_b32_e32 v9, 20, v3
	v_and_b32_e32 v3, 0xff00000, v3
	s_mov_b32 s8, 0x7f00000
	v_mov_b32_e32 v14, 0x7e
	v_cmp_ne_u32_e32 vcc, s8, v3
	s_nop 1
	v_cndmask_b32_e32 v3, v14, v9, vcc
; %bb.1708:
	s_andn2_saveexec_b64 s[6:7], s[6:7]
; %bb.1709:
	s_mov_b32 s8, 0x46800000
	v_add_f32_e64 v3, |v2|, s8
; %bb.1710:
	s_or_b64 exec, exec, s[6:7]
                                        ; implicit-def: $vgpr9
.LBB392_1711:
	s_andn2_saveexec_b64 s[2:3], s[2:3]
; %bb.1712:
	s_mov_b32 s6, 0x7f800000
	v_mov_b32_e32 v3, 0x7e
	v_mov_b32_e32 v14, 0x7f
	v_cmp_lt_u32_e32 vcc, s6, v9
	s_nop 1
	v_cndmask_b32_e32 v3, v3, v14, vcc
; %bb.1713:
	s_or_b64 exec, exec, s[2:3]
	v_lshrrev_b32_e32 v2, 24, v2
	s_movk_i32 s2, 0x80
	v_and_or_b32 v2, v2, s2, v3
	global_store_byte v[12:13], v2, off
.LBB392_1714:
	s_mov_b64 s[2:3], 0
.LBB392_1715:
	s_andn2_b64 vcc, exec, s[2:3]
	s_cbranch_vccnz .LBB392_1725
; %bb.1716:
	v_cvt_f32_f64_e32 v2, v[0:1]
	v_and_b32_e32 v9, 0x7fffffff, v2
	s_mov_b32 s2, 0x47800000
	v_cmp_gt_u32_e32 vcc, s2, v9
                                        ; implicit-def: $vgpr3
	s_and_saveexec_b64 s[2:3], vcc
	s_xor_b64 s[2:3], exec, s[2:3]
	s_cbranch_execz .LBB392_1722
; %bb.1717:
	s_mov_b32 s6, 0x387fffff
	v_cmp_lt_u32_e32 vcc, s6, v9
                                        ; implicit-def: $vgpr3
	s_and_saveexec_b64 s[6:7], vcc
	s_xor_b64 s[6:7], exec, s[6:7]
; %bb.1718:
	v_bfe_u32 v3, v2, 21, 1
	s_mov_b32 s8, 0x80fffff
	v_add3_u32 v3, v2, v3, s8
	v_lshrrev_b32_e32 v3, 21, v3
; %bb.1719:
	s_andn2_saveexec_b64 s[6:7], s[6:7]
; %bb.1720:
	s_mov_b32 s8, 0x43000000
	v_add_f32_e64 v3, |v2|, s8
; %bb.1721:
	s_or_b64 exec, exec, s[6:7]
                                        ; implicit-def: $vgpr9
.LBB392_1722:
	s_andn2_saveexec_b64 s[2:3], s[2:3]
; %bb.1723:
	s_mov_b32 s6, 0x7f800000
	v_mov_b32_e32 v3, 0x7c
	v_mov_b32_e32 v14, 0x7f
	v_cmp_lt_u32_e32 vcc, s6, v9
	s_nop 1
	v_cndmask_b32_e32 v3, v3, v14, vcc
; %bb.1724:
	s_or_b64 exec, exec, s[2:3]
	v_lshrrev_b32_e32 v2, 24, v2
	s_movk_i32 s2, 0x80
	v_and_or_b32 v2, v2, s2, v3
	global_store_byte v[12:13], v2, off
.LBB392_1725:
	s_mov_b64 s[2:3], 0
	s_mov_b64 s[6:7], -1
.LBB392_1726:
	s_andn2_b64 vcc, exec, s[2:3]
	s_mov_b64 s[2:3], 0
	s_cbranch_vccnz .LBB392_1733
; %bb.1727:
	s_cmp_gt_i32 s19, 14
	s_mov_b64 s[8:9], -1
	s_cbranch_scc0 .LBB392_1731
; %bb.1728:
	s_cmp_eq_u32 s19, 15
	s_mov_b64 s[0:1], -1
	s_cbranch_scc0 .LBB392_1730
; %bb.1729:
	v_cvt_f32_f64_e32 v2, v[0:1]
	v_bfe_u32 v3, v2, 16, 1
	s_movk_i32 s0, 0x7fff
	v_add3_u32 v3, v2, v3, s0
	v_cmp_o_f32_e32 vcc, v2, v2
	v_mov_b32_e32 v2, 0x7fc0
	s_mov_b64 s[0:1], 0
	v_cndmask_b32_sdwa v2, v2, v3, vcc dst_sel:DWORD dst_unused:UNUSED_PAD src0_sel:DWORD src1_sel:WORD_1
	global_store_short v[12:13], v2, off
	s_mov_b64 s[6:7], -1
.LBB392_1730:
	s_mov_b64 s[8:9], 0
.LBB392_1731:
	s_and_b64 vcc, exec, s[8:9]
	s_cbranch_vccz .LBB392_1733
; %bb.1732:
	s_cmp_lg_u32 s19, 11
	s_mov_b64 s[2:3], -1
	s_cselect_b64 s[0:1], -1, 0
.LBB392_1733:
	s_and_b64 vcc, exec, s[0:1]
	s_cbranch_vccnz .LBB392_2027
; %bb.1734:
	s_andn2_b64 vcc, exec, s[2:3]
	s_cbranch_vccnz .LBB392_1736
.LBB392_1735:
	v_cmp_neq_f64_e32 vcc, 0, v[0:1]
	s_mov_b64 s[6:7], -1
	s_nop 0
	v_cndmask_b32_e64 v2, 0, 1, vcc
	global_store_byte v[12:13], v2, off
.LBB392_1736:
	s_mov_b64 s[0:1], 0
	s_branch .LBB392_1738
.LBB392_1737:
	s_mov_b64 s[0:1], -1
	s_mov_b64 s[6:7], 0
.LBB392_1738:
	s_and_b64 vcc, exec, s[0:1]
	s_cbranch_vccz .LBB392_1777
; %bb.1739:
	s_and_b32 s2, 0xffff, s20
	s_cmp_lt_i32 s2, 5
	s_mov_b64 s[0:1], -1
	s_cbranch_scc1 .LBB392_1760
; %bb.1740:
	s_cmp_lt_i32 s2, 8
	s_cbranch_scc1 .LBB392_1750
; %bb.1741:
	s_cmp_lt_i32 s2, 9
	s_cbranch_scc1 .LBB392_1747
; %bb.1742:
	s_cmp_gt_i32 s2, 9
	s_cbranch_scc0 .LBB392_1744
; %bb.1743:
	v_mov_b32_e32 v2, 0
	v_mov_b32_e32 v3, v2
	global_store_dwordx4 v[12:13], v[0:3], off
	s_mov_b64 s[0:1], 0
.LBB392_1744:
	s_andn2_b64 vcc, exec, s[0:1]
	s_cbranch_vccnz .LBB392_1746
; %bb.1745:
	v_cvt_f32_f64_e32 v2, v[0:1]
	v_mov_b32_e32 v3, 0
	global_store_dwordx2 v[12:13], v[2:3], off
.LBB392_1746:
	s_mov_b64 s[0:1], 0
.LBB392_1747:
	s_andn2_b64 vcc, exec, s[0:1]
	s_cbranch_vccnz .LBB392_1749
; %bb.1748:
	s_movk_i32 s0, 0x1ff
	v_and_or_b32 v2, v1, s0, v0
	v_cmp_ne_u32_e32 vcc, 0, v2
	v_lshrrev_b32_e32 v3, 8, v1
	s_movk_i32 s0, 0xffe
	v_cndmask_b32_e64 v2, 0, 1, vcc
	v_bfe_u32 v9, v1, 20, 11
	v_and_or_b32 v2, v3, s0, v2
	v_sub_u32_e32 v14, 0x3f1, v9
	v_or_b32_e32 v3, 0x1000, v2
	v_med3_i32 v14, v14, 0, 13
	v_lshrrev_b32_e32 v15, v14, v3
	v_lshlrev_b32_e32 v14, v14, v15
	v_cmp_ne_u32_e32 vcc, v14, v3
	v_add_u32_e32 v9, 0xfffffc10, v9
	v_lshl_or_b32 v14, v9, 12, v2
	v_cndmask_b32_e64 v3, 0, 1, vcc
	v_or_b32_e32 v3, v15, v3
	v_cmp_gt_i32_e32 vcc, 1, v9
	s_movk_i32 s0, 0x40f
	s_nop 0
	v_cndmask_b32_e32 v3, v14, v3, vcc
	v_and_b32_e32 v14, 7, v3
	v_cmp_lt_i32_e32 vcc, 5, v14
	v_lshrrev_b32_e32 v3, 2, v3
	s_nop 0
	v_cndmask_b32_e64 v15, 0, 1, vcc
	v_cmp_eq_u32_e32 vcc, 3, v14
	s_nop 1
	v_cndmask_b32_e64 v14, 0, 1, vcc
	v_or_b32_e32 v14, v14, v15
	v_add_u32_e32 v3, v3, v14
	v_mov_b32_e32 v14, 0x7c00
	v_cmp_gt_i32_e32 vcc, 31, v9
	v_mov_b32_e32 v15, 0x7e00
	s_nop 0
	v_cndmask_b32_e32 v3, v14, v3, vcc
	v_cmp_ne_u32_e32 vcc, 0, v2
	s_nop 1
	v_cndmask_b32_e32 v2, v14, v15, vcc
	v_cmp_eq_u32_e32 vcc, s0, v9
	s_mov_b32 s0, 0x8000
	s_nop 0
	v_cndmask_b32_e32 v2, v3, v2, vcc
	v_and_b32_sdwa v3, v1, s0 dst_sel:DWORD dst_unused:UNUSED_PAD src0_sel:WORD_1 src1_sel:DWORD
	s_mov_b32 s0, 0xffff
	v_bitop3_b32 v2, v3, s0, v2 bitop3:0xc8
	global_store_dword v[12:13], v2, off
.LBB392_1749:
	s_mov_b64 s[0:1], 0
.LBB392_1750:
	s_andn2_b64 vcc, exec, s[0:1]
	s_cbranch_vccnz .LBB392_1759
; %bb.1751:
	s_cmp_lt_i32 s2, 6
	s_mov_b64 s[0:1], -1
	s_cbranch_scc1 .LBB392_1757
; %bb.1752:
	s_cmp_gt_i32 s2, 6
	s_cbranch_scc0 .LBB392_1754
; %bb.1753:
	global_store_dwordx2 v[12:13], v[0:1], off
	s_mov_b64 s[0:1], 0
.LBB392_1754:
	s_andn2_b64 vcc, exec, s[0:1]
	s_cbranch_vccnz .LBB392_1756
; %bb.1755:
	v_cvt_f32_f64_e32 v2, v[0:1]
	global_store_dword v[12:13], v2, off
.LBB392_1756:
	s_mov_b64 s[0:1], 0
.LBB392_1757:
	s_andn2_b64 vcc, exec, s[0:1]
	s_cbranch_vccnz .LBB392_1759
; %bb.1758:
	s_movk_i32 s0, 0x1ff
	v_and_or_b32 v2, v1, s0, v0
	v_cmp_ne_u32_e32 vcc, 0, v2
	v_lshrrev_b32_e32 v3, 8, v1
	s_movk_i32 s0, 0xffe
	v_cndmask_b32_e64 v2, 0, 1, vcc
	v_bfe_u32 v9, v1, 20, 11
	v_and_or_b32 v2, v3, s0, v2
	v_sub_u32_e32 v14, 0x3f1, v9
	v_or_b32_e32 v3, 0x1000, v2
	v_med3_i32 v14, v14, 0, 13
	v_lshrrev_b32_e32 v15, v14, v3
	v_lshlrev_b32_e32 v14, v14, v15
	v_cmp_ne_u32_e32 vcc, v14, v3
	v_add_u32_e32 v9, 0xfffffc10, v9
	v_lshl_or_b32 v14, v9, 12, v2
	v_cndmask_b32_e64 v3, 0, 1, vcc
	v_or_b32_e32 v3, v15, v3
	v_cmp_gt_i32_e32 vcc, 1, v9
	s_movk_i32 s0, 0x40f
	s_nop 0
	v_cndmask_b32_e32 v3, v14, v3, vcc
	v_and_b32_e32 v14, 7, v3
	v_cmp_lt_i32_e32 vcc, 5, v14
	v_lshrrev_b32_e32 v3, 2, v3
	s_nop 0
	v_cndmask_b32_e64 v15, 0, 1, vcc
	v_cmp_eq_u32_e32 vcc, 3, v14
	s_nop 1
	v_cndmask_b32_e64 v14, 0, 1, vcc
	v_or_b32_e32 v14, v14, v15
	v_add_u32_e32 v3, v3, v14
	v_mov_b32_e32 v14, 0x7c00
	v_cmp_gt_i32_e32 vcc, 31, v9
	v_mov_b32_e32 v15, 0x7e00
	s_nop 0
	v_cndmask_b32_e32 v3, v14, v3, vcc
	v_cmp_ne_u32_e32 vcc, 0, v2
	s_nop 1
	v_cndmask_b32_e32 v2, v14, v15, vcc
	v_cmp_eq_u32_e32 vcc, s0, v9
	s_mov_b32 s0, 0x8000
	s_nop 0
	v_cndmask_b32_e32 v2, v3, v2, vcc
	v_lshrrev_b32_e32 v3, 16, v1
	v_and_or_b32 v2, v3, s0, v2
	global_store_short v[12:13], v2, off
.LBB392_1759:
	s_mov_b64 s[0:1], 0
.LBB392_1760:
	s_andn2_b64 vcc, exec, s[0:1]
	s_cbranch_vccnz .LBB392_1776
; %bb.1761:
	s_cmp_lt_i32 s2, 2
	s_mov_b64 s[0:1], -1
	s_cbranch_scc1 .LBB392_1771
; %bb.1762:
	s_cmp_lt_i32 s2, 3
	s_cbranch_scc1 .LBB392_1768
; %bb.1763:
	s_cmp_gt_i32 s2, 3
	s_cbranch_scc0 .LBB392_1765
; %bb.1764:
	v_trunc_f64_e32 v[2:3], v[0:1]
	s_movk_i32 s0, 0xffe0
	v_ldexp_f64 v[14:15], v[2:3], s0
	v_floor_f64_e32 v[14:15], v[14:15]
	v_fmac_f64_e32 v[2:3], 0xc1f00000, v[14:15]
	v_cvt_i32_f64_e32 v17, v[14:15]
	v_cvt_u32_f64_e32 v16, v[2:3]
	global_store_dwordx2 v[12:13], v[16:17], off
	s_mov_b64 s[0:1], 0
.LBB392_1765:
	s_andn2_b64 vcc, exec, s[0:1]
	s_cbranch_vccnz .LBB392_1767
; %bb.1766:
	v_cvt_i32_f64_e32 v2, v[0:1]
	global_store_dword v[12:13], v2, off
.LBB392_1767:
	s_mov_b64 s[0:1], 0
.LBB392_1768:
	s_andn2_b64 vcc, exec, s[0:1]
	s_cbranch_vccnz .LBB392_1770
; %bb.1769:
	v_cvt_i32_f64_e32 v2, v[0:1]
	global_store_short v[12:13], v2, off
.LBB392_1770:
	s_mov_b64 s[0:1], 0
.LBB392_1771:
	s_andn2_b64 vcc, exec, s[0:1]
	s_cbranch_vccnz .LBB392_1776
; %bb.1772:
	s_cmp_gt_i32 s2, 0
	s_mov_b64 s[0:1], -1
	s_cbranch_scc0 .LBB392_1774
; %bb.1773:
	v_cvt_i32_f64_e32 v2, v[0:1]
	global_store_byte v[12:13], v2, off
	s_mov_b64 s[0:1], 0
.LBB392_1774:
	s_andn2_b64 vcc, exec, s[0:1]
	s_cbranch_vccnz .LBB392_1776
; %bb.1775:
	v_trunc_f64_e32 v[0:1], v[0:1]
	s_movk_i32 s0, 0xffe0
	v_ldexp_f64 v[2:3], v[0:1], s0
	v_floor_f64_e32 v[2:3], v[2:3]
	v_fmac_f64_e32 v[0:1], 0xc1f00000, v[2:3]
	v_cvt_u32_f64_e32 v0, v[0:1]
	global_store_byte v[12:13], v0, off
.LBB392_1776:
	s_mov_b64 s[6:7], -1
.LBB392_1777:
	s_andn2_b64 vcc, exec, s[6:7]
	s_cbranch_vccnz .LBB392_1973
; %bb.1778:
	v_max_f64 v[0:1], v[6:7], v[6:7]
	v_max_f64 v[0:1], v[0:1], v[10:11]
	v_cmp_u_f64_e32 vcc, v[6:7], v[6:7]
	s_cmp_lt_i32 s20, 11
	s_nop 0
	v_cndmask_b32_e32 v0, v0, v6, vcc
	v_add_u32_e32 v6, s18, v8
	v_cndmask_b32_e32 v1, v1, v7, vcc
	v_ashrrev_i32_e32 v7, 31, v6
	v_lshl_add_u64 v[8:9], s[4:5], 0, v[6:7]
	s_cbranch_scc1 .LBB392_1856
; %bb.1779:
	s_and_b32 s19, 0xffff, s20
	s_mov_b64 s[8:9], -1
	s_mov_b64 s[2:3], 0
	s_cmp_gt_i32 s19, 25
	s_mov_b64 s[6:7], 0
	s_mov_b64 s[0:1], 0
	s_cbranch_scc0 .LBB392_1812
; %bb.1780:
	s_cmp_gt_i32 s19, 28
	s_cbranch_scc0 .LBB392_1795
; %bb.1781:
	s_cmp_gt_i32 s19, 43
	;; [unrolled: 3-line block ×3, first 2 shown]
	s_cbranch_scc0 .LBB392_1785
; %bb.1783:
	s_mov_b64 s[0:1], -1
	s_mov_b64 s[8:9], 0
	s_cmp_eq_u32 s19, 46
	s_cbranch_scc0 .LBB392_1785
; %bb.1784:
	v_cvt_f32_f64_e32 v2, v[0:1]
	v_bfe_u32 v3, v2, 16, 1
	s_movk_i32 s0, 0x7fff
	v_add3_u32 v3, v2, v3, s0
	v_cmp_o_f32_e32 vcc, v2, v2
	v_mov_b32_e32 v2, 0x7fc0
	s_mov_b64 s[0:1], 0
	v_cndmask_b32_sdwa v2, v2, v3, vcc dst_sel:DWORD dst_unused:UNUSED_PAD src0_sel:DWORD src1_sel:WORD_1
	global_store_dword v[8:9], v2, off
	s_mov_b64 s[6:7], -1
.LBB392_1785:
	s_and_b64 vcc, exec, s[8:9]
	s_cbranch_vccz .LBB392_1790
; %bb.1786:
	s_cmp_eq_u32 s19, 44
	s_mov_b64 s[0:1], -1
	s_cbranch_scc0 .LBB392_1790
; %bb.1787:
	v_cvt_f32_f64_e32 v2, v[0:1]
	v_bfe_u32 v3, v2, 23, 8
	s_movk_i32 s0, 0xff
	v_cmp_ne_u32_e32 vcc, s0, v3
	v_mov_b32_e32 v7, 0xff
	s_and_saveexec_b64 s[6:7], vcc
; %bb.1788:
	s_mov_b32 s0, 0x3fffff
	v_lshrrev_b32_e32 v7, 23, v2
	v_and_b32_e32 v12, 0x400000, v2
	v_and_or_b32 v2, v2, s0, v3
	v_cmp_ne_u32_e32 vcc, 0, v12
	v_cmp_ne_u32_e64 s[0:1], 0, v2
	s_and_b64 s[0:1], vcc, s[0:1]
	s_nop 0
	v_cndmask_b32_e64 v2, 0, 1, s[0:1]
	v_add_u32_e32 v7, v7, v2
; %bb.1789:
	s_or_b64 exec, exec, s[6:7]
	s_mov_b64 s[0:1], 0
	s_mov_b64 s[6:7], -1
	global_store_byte v[8:9], v7, off
.LBB392_1790:
	s_mov_b64 s[8:9], 0
.LBB392_1791:
	s_and_b64 vcc, exec, s[8:9]
	s_cbranch_vccz .LBB392_1794
; %bb.1792:
	s_cmp_eq_u32 s19, 29
	s_mov_b64 s[0:1], -1
	s_cbranch_scc0 .LBB392_1794
; %bb.1793:
	v_trunc_f64_e32 v[2:3], v[0:1]
	s_movk_i32 s0, 0xffe0
	v_ldexp_f64 v[12:13], v[2:3], s0
	v_floor_f64_e32 v[12:13], v[12:13]
	v_fmac_f64_e32 v[2:3], 0xc1f00000, v[12:13]
	v_cvt_u32_f64_e32 v15, v[12:13]
	v_cvt_u32_f64_e32 v14, v[2:3]
	global_store_dwordx2 v[8:9], v[14:15], off
	s_mov_b64 s[0:1], 0
	s_mov_b64 s[6:7], -1
.LBB392_1794:
	s_mov_b64 s[8:9], 0
.LBB392_1795:
	s_and_b64 vcc, exec, s[8:9]
	s_cbranch_vccz .LBB392_1811
; %bb.1796:
	s_cmp_lt_i32 s19, 27
	s_mov_b64 s[6:7], -1
	s_cbranch_scc1 .LBB392_1802
; %bb.1797:
	s_cmp_gt_i32 s19, 27
	v_cvt_u32_f64_e32 v2, v[0:1]
	s_cbranch_scc0 .LBB392_1799
; %bb.1798:
	s_mov_b64 s[6:7], 0
	global_store_dword v[8:9], v2, off
.LBB392_1799:
	s_andn2_b64 vcc, exec, s[6:7]
	s_cbranch_vccnz .LBB392_1801
; %bb.1800:
	global_store_short v[8:9], v2, off
.LBB392_1801:
	s_mov_b64 s[6:7], 0
.LBB392_1802:
	s_andn2_b64 vcc, exec, s[6:7]
	s_cbranch_vccnz .LBB392_1810
; %bb.1803:
	v_cvt_f32_f64_e32 v2, v[0:1]
	v_and_b32_e32 v3, 0x7fffffff, v2
	s_mov_b32 s6, 0x43800000
	v_cmp_gt_u32_e32 vcc, s6, v3
	v_mov_b32_e32 v7, 0x80
	s_and_saveexec_b64 s[6:7], vcc
	s_cbranch_execz .LBB392_1809
; %bb.1804:
	s_mov_b32 s8, 0x3bffffff
	v_cmp_lt_u32_e32 vcc, s8, v3
	s_mov_b64 s[8:9], 0
                                        ; implicit-def: $vgpr3
	s_and_saveexec_b64 s[10:11], vcc
	s_xor_b64 s[10:11], exec, s[10:11]
	s_cbranch_execz .LBB392_2030
; %bb.1805:
	v_bfe_u32 v3, v2, 20, 1
	s_mov_b32 s21, 0x487ffff
	v_add3_u32 v3, v2, v3, s21
	s_mov_b64 s[8:9], exec
	v_lshrrev_b32_e32 v3, 20, v3
	s_andn2_saveexec_b64 s[10:11], s[10:11]
	s_cbranch_execnz .LBB392_2031
.LBB392_1806:
	s_or_b64 exec, exec, s[10:11]
	v_mov_b32_e32 v7, 0
	s_and_saveexec_b64 s[10:11], s[8:9]
.LBB392_1807:
	v_lshrrev_b32_e32 v2, 24, v2
	s_movk_i32 s8, 0x80
	v_and_or_b32 v7, v2, s8, v3
.LBB392_1808:
	s_or_b64 exec, exec, s[10:11]
.LBB392_1809:
	s_or_b64 exec, exec, s[6:7]
	global_store_byte v[8:9], v7, off
.LBB392_1810:
	s_mov_b64 s[6:7], -1
.LBB392_1811:
	s_mov_b64 s[8:9], 0
.LBB392_1812:
	s_and_b64 vcc, exec, s[8:9]
	s_cbranch_vccz .LBB392_1852
; %bb.1813:
	s_cmp_gt_i32 s19, 22
	s_mov_b64 s[2:3], -1
	s_cbranch_scc0 .LBB392_1845
; %bb.1814:
	s_cmp_lt_i32 s19, 24
	s_cbranch_scc1 .LBB392_1834
; %bb.1815:
	s_cmp_gt_i32 s19, 24
	s_cbranch_scc0 .LBB392_1823
; %bb.1816:
	v_cvt_f32_f64_e32 v2, v[0:1]
	v_and_b32_e32 v3, 0x7fffffff, v2
	s_mov_b32 s2, 0x47800000
	v_cmp_gt_u32_e32 vcc, s2, v3
	v_mov_b32_e32 v7, 0x80
	s_and_saveexec_b64 s[2:3], vcc
	s_cbranch_execz .LBB392_1822
; %bb.1817:
	s_mov_b32 s6, 0x37ffffff
	v_cmp_lt_u32_e32 vcc, s6, v3
	s_mov_b64 s[6:7], 0
                                        ; implicit-def: $vgpr3
	s_and_saveexec_b64 s[8:9], vcc
	s_xor_b64 s[8:9], exec, s[8:9]
	s_cbranch_execz .LBB392_2033
; %bb.1818:
	v_bfe_u32 v3, v2, 21, 1
	s_mov_b32 s10, 0x88fffff
	v_add3_u32 v3, v2, v3, s10
	s_mov_b64 s[6:7], exec
	v_lshrrev_b32_e32 v3, 21, v3
	s_andn2_saveexec_b64 s[8:9], s[8:9]
	s_cbranch_execnz .LBB392_2034
.LBB392_1819:
	s_or_b64 exec, exec, s[8:9]
	v_mov_b32_e32 v7, 0
	s_and_saveexec_b64 s[8:9], s[6:7]
.LBB392_1820:
	v_lshrrev_b32_e32 v2, 24, v2
	s_movk_i32 s6, 0x80
	v_and_or_b32 v7, v2, s6, v3
.LBB392_1821:
	s_or_b64 exec, exec, s[8:9]
.LBB392_1822:
	s_or_b64 exec, exec, s[2:3]
	s_mov_b64 s[2:3], 0
	global_store_byte v[8:9], v7, off
.LBB392_1823:
	s_and_b64 vcc, exec, s[2:3]
	s_cbranch_vccz .LBB392_1833
; %bb.1824:
	v_cvt_f32_f64_e32 v2, v[0:1]
	v_and_b32_e32 v7, 0x7fffffff, v2
	s_mov_b32 s2, 0x43f00000
	v_cmp_gt_u32_e32 vcc, s2, v7
                                        ; implicit-def: $vgpr3
	s_and_saveexec_b64 s[2:3], vcc
	s_xor_b64 s[2:3], exec, s[2:3]
	s_cbranch_execz .LBB392_1830
; %bb.1825:
	s_mov_b32 s6, 0x3c7fffff
	v_cmp_lt_u32_e32 vcc, s6, v7
                                        ; implicit-def: $vgpr3
	s_and_saveexec_b64 s[6:7], vcc
	s_xor_b64 s[6:7], exec, s[6:7]
; %bb.1826:
	v_bfe_u32 v3, v2, 20, 1
	s_mov_b32 s8, 0x407ffff
	v_add3_u32 v3, v2, v3, s8
	v_lshrrev_b32_e32 v7, 20, v3
	v_and_b32_e32 v3, 0xff00000, v3
	s_mov_b32 s8, 0x7f00000
	v_mov_b32_e32 v12, 0x7e
	v_cmp_ne_u32_e32 vcc, s8, v3
	s_nop 1
	v_cndmask_b32_e32 v3, v12, v7, vcc
; %bb.1827:
	s_andn2_saveexec_b64 s[6:7], s[6:7]
; %bb.1828:
	s_mov_b32 s8, 0x46800000
	v_add_f32_e64 v3, |v2|, s8
; %bb.1829:
	s_or_b64 exec, exec, s[6:7]
                                        ; implicit-def: $vgpr7
.LBB392_1830:
	s_andn2_saveexec_b64 s[2:3], s[2:3]
; %bb.1831:
	s_mov_b32 s6, 0x7f800000
	v_mov_b32_e32 v3, 0x7e
	v_mov_b32_e32 v12, 0x7f
	v_cmp_lt_u32_e32 vcc, s6, v7
	s_nop 1
	v_cndmask_b32_e32 v3, v3, v12, vcc
; %bb.1832:
	s_or_b64 exec, exec, s[2:3]
	v_lshrrev_b32_e32 v2, 24, v2
	s_movk_i32 s2, 0x80
	v_and_or_b32 v2, v2, s2, v3
	global_store_byte v[8:9], v2, off
.LBB392_1833:
	s_mov_b64 s[2:3], 0
.LBB392_1834:
	s_andn2_b64 vcc, exec, s[2:3]
	s_cbranch_vccnz .LBB392_1844
; %bb.1835:
	v_cvt_f32_f64_e32 v2, v[0:1]
	v_and_b32_e32 v7, 0x7fffffff, v2
	s_mov_b32 s2, 0x47800000
	v_cmp_gt_u32_e32 vcc, s2, v7
                                        ; implicit-def: $vgpr3
	s_and_saveexec_b64 s[2:3], vcc
	s_xor_b64 s[2:3], exec, s[2:3]
	s_cbranch_execz .LBB392_1841
; %bb.1836:
	s_mov_b32 s6, 0x387fffff
	v_cmp_lt_u32_e32 vcc, s6, v7
                                        ; implicit-def: $vgpr3
	s_and_saveexec_b64 s[6:7], vcc
	s_xor_b64 s[6:7], exec, s[6:7]
; %bb.1837:
	v_bfe_u32 v3, v2, 21, 1
	s_mov_b32 s8, 0x80fffff
	v_add3_u32 v3, v2, v3, s8
	v_lshrrev_b32_e32 v3, 21, v3
; %bb.1838:
	s_andn2_saveexec_b64 s[6:7], s[6:7]
; %bb.1839:
	s_mov_b32 s8, 0x43000000
	v_add_f32_e64 v3, |v2|, s8
; %bb.1840:
	s_or_b64 exec, exec, s[6:7]
                                        ; implicit-def: $vgpr7
.LBB392_1841:
	s_andn2_saveexec_b64 s[2:3], s[2:3]
; %bb.1842:
	s_mov_b32 s6, 0x7f800000
	v_mov_b32_e32 v3, 0x7c
	v_mov_b32_e32 v12, 0x7f
	v_cmp_lt_u32_e32 vcc, s6, v7
	s_nop 1
	v_cndmask_b32_e32 v3, v3, v12, vcc
; %bb.1843:
	s_or_b64 exec, exec, s[2:3]
	v_lshrrev_b32_e32 v2, 24, v2
	s_movk_i32 s2, 0x80
	v_and_or_b32 v2, v2, s2, v3
	global_store_byte v[8:9], v2, off
.LBB392_1844:
	s_mov_b64 s[2:3], 0
	s_mov_b64 s[6:7], -1
.LBB392_1845:
	s_andn2_b64 vcc, exec, s[2:3]
	s_mov_b64 s[2:3], 0
	s_cbranch_vccnz .LBB392_1852
; %bb.1846:
	s_cmp_gt_i32 s19, 14
	s_mov_b64 s[8:9], -1
	s_cbranch_scc0 .LBB392_1850
; %bb.1847:
	s_cmp_eq_u32 s19, 15
	s_mov_b64 s[0:1], -1
	s_cbranch_scc0 .LBB392_1849
; %bb.1848:
	v_cvt_f32_f64_e32 v2, v[0:1]
	v_bfe_u32 v3, v2, 16, 1
	s_movk_i32 s0, 0x7fff
	v_add3_u32 v3, v2, v3, s0
	v_cmp_o_f32_e32 vcc, v2, v2
	v_mov_b32_e32 v2, 0x7fc0
	s_mov_b64 s[0:1], 0
	v_cndmask_b32_sdwa v2, v2, v3, vcc dst_sel:DWORD dst_unused:UNUSED_PAD src0_sel:DWORD src1_sel:WORD_1
	global_store_short v[8:9], v2, off
	s_mov_b64 s[6:7], -1
.LBB392_1849:
	s_mov_b64 s[8:9], 0
.LBB392_1850:
	s_and_b64 vcc, exec, s[8:9]
	s_cbranch_vccz .LBB392_1852
; %bb.1851:
	s_cmp_lg_u32 s19, 11
	s_mov_b64 s[2:3], -1
	s_cselect_b64 s[0:1], -1, 0
.LBB392_1852:
	s_and_b64 vcc, exec, s[0:1]
	s_cbranch_vccnz .LBB392_2032
; %bb.1853:
	s_andn2_b64 vcc, exec, s[2:3]
	s_cbranch_vccnz .LBB392_1855
.LBB392_1854:
	v_cmp_neq_f64_e32 vcc, 0, v[0:1]
	s_mov_b64 s[6:7], -1
	s_nop 0
	v_cndmask_b32_e64 v2, 0, 1, vcc
	global_store_byte v[8:9], v2, off
.LBB392_1855:
	s_mov_b64 s[0:1], 0
	s_branch .LBB392_1857
.LBB392_1856:
	s_mov_b64 s[0:1], -1
	s_mov_b64 s[6:7], 0
.LBB392_1857:
	s_and_b64 vcc, exec, s[0:1]
	s_cbranch_vccz .LBB392_1896
; %bb.1858:
	s_and_b32 s2, 0xffff, s20
	s_cmp_lt_i32 s2, 5
	s_mov_b64 s[0:1], -1
	s_cbranch_scc1 .LBB392_1879
; %bb.1859:
	s_cmp_lt_i32 s2, 8
	s_cbranch_scc1 .LBB392_1869
; %bb.1860:
	s_cmp_lt_i32 s2, 9
	s_cbranch_scc1 .LBB392_1866
; %bb.1861:
	s_cmp_gt_i32 s2, 9
	s_cbranch_scc0 .LBB392_1863
; %bb.1862:
	v_mov_b32_e32 v2, 0
	v_mov_b32_e32 v3, v2
	global_store_dwordx4 v[8:9], v[0:3], off
	s_mov_b64 s[0:1], 0
.LBB392_1863:
	s_andn2_b64 vcc, exec, s[0:1]
	s_cbranch_vccnz .LBB392_1865
; %bb.1864:
	v_cvt_f32_f64_e32 v2, v[0:1]
	v_mov_b32_e32 v3, 0
	global_store_dwordx2 v[8:9], v[2:3], off
.LBB392_1865:
	s_mov_b64 s[0:1], 0
.LBB392_1866:
	s_andn2_b64 vcc, exec, s[0:1]
	s_cbranch_vccnz .LBB392_1868
; %bb.1867:
	s_movk_i32 s0, 0x1ff
	v_and_or_b32 v2, v1, s0, v0
	v_cmp_ne_u32_e32 vcc, 0, v2
	v_lshrrev_b32_e32 v3, 8, v1
	s_movk_i32 s0, 0xffe
	v_cndmask_b32_e64 v2, 0, 1, vcc
	v_bfe_u32 v7, v1, 20, 11
	v_and_or_b32 v2, v3, s0, v2
	v_sub_u32_e32 v12, 0x3f1, v7
	v_or_b32_e32 v3, 0x1000, v2
	v_med3_i32 v12, v12, 0, 13
	v_lshrrev_b32_e32 v13, v12, v3
	v_lshlrev_b32_e32 v12, v12, v13
	v_cmp_ne_u32_e32 vcc, v12, v3
	v_add_u32_e32 v7, 0xfffffc10, v7
	v_lshl_or_b32 v12, v7, 12, v2
	v_cndmask_b32_e64 v3, 0, 1, vcc
	v_or_b32_e32 v3, v13, v3
	v_cmp_gt_i32_e32 vcc, 1, v7
	s_movk_i32 s0, 0x40f
	s_nop 0
	v_cndmask_b32_e32 v3, v12, v3, vcc
	v_and_b32_e32 v12, 7, v3
	v_cmp_lt_i32_e32 vcc, 5, v12
	v_lshrrev_b32_e32 v3, 2, v3
	s_nop 0
	v_cndmask_b32_e64 v13, 0, 1, vcc
	v_cmp_eq_u32_e32 vcc, 3, v12
	s_nop 1
	v_cndmask_b32_e64 v12, 0, 1, vcc
	v_or_b32_e32 v12, v12, v13
	v_add_u32_e32 v3, v3, v12
	v_mov_b32_e32 v12, 0x7c00
	v_cmp_gt_i32_e32 vcc, 31, v7
	v_mov_b32_e32 v13, 0x7e00
	s_nop 0
	v_cndmask_b32_e32 v3, v12, v3, vcc
	v_cmp_ne_u32_e32 vcc, 0, v2
	s_nop 1
	v_cndmask_b32_e32 v2, v12, v13, vcc
	v_cmp_eq_u32_e32 vcc, s0, v7
	s_mov_b32 s0, 0x8000
	s_nop 0
	v_cndmask_b32_e32 v2, v3, v2, vcc
	v_and_b32_sdwa v3, v1, s0 dst_sel:DWORD dst_unused:UNUSED_PAD src0_sel:WORD_1 src1_sel:DWORD
	s_mov_b32 s0, 0xffff
	v_bitop3_b32 v2, v3, s0, v2 bitop3:0xc8
	global_store_dword v[8:9], v2, off
.LBB392_1868:
	s_mov_b64 s[0:1], 0
.LBB392_1869:
	s_andn2_b64 vcc, exec, s[0:1]
	s_cbranch_vccnz .LBB392_1878
; %bb.1870:
	s_cmp_lt_i32 s2, 6
	s_mov_b64 s[0:1], -1
	s_cbranch_scc1 .LBB392_1876
; %bb.1871:
	s_cmp_gt_i32 s2, 6
	s_cbranch_scc0 .LBB392_1873
; %bb.1872:
	global_store_dwordx2 v[8:9], v[0:1], off
	s_mov_b64 s[0:1], 0
.LBB392_1873:
	s_andn2_b64 vcc, exec, s[0:1]
	s_cbranch_vccnz .LBB392_1875
; %bb.1874:
	v_cvt_f32_f64_e32 v2, v[0:1]
	global_store_dword v[8:9], v2, off
.LBB392_1875:
	s_mov_b64 s[0:1], 0
.LBB392_1876:
	s_andn2_b64 vcc, exec, s[0:1]
	s_cbranch_vccnz .LBB392_1878
; %bb.1877:
	s_movk_i32 s0, 0x1ff
	v_and_or_b32 v2, v1, s0, v0
	v_cmp_ne_u32_e32 vcc, 0, v2
	v_lshrrev_b32_e32 v3, 8, v1
	s_movk_i32 s0, 0xffe
	v_cndmask_b32_e64 v2, 0, 1, vcc
	v_bfe_u32 v7, v1, 20, 11
	v_and_or_b32 v2, v3, s0, v2
	v_sub_u32_e32 v12, 0x3f1, v7
	v_or_b32_e32 v3, 0x1000, v2
	v_med3_i32 v12, v12, 0, 13
	v_lshrrev_b32_e32 v13, v12, v3
	v_lshlrev_b32_e32 v12, v12, v13
	v_cmp_ne_u32_e32 vcc, v12, v3
	v_add_u32_e32 v7, 0xfffffc10, v7
	v_lshl_or_b32 v12, v7, 12, v2
	v_cndmask_b32_e64 v3, 0, 1, vcc
	v_or_b32_e32 v3, v13, v3
	v_cmp_gt_i32_e32 vcc, 1, v7
	s_movk_i32 s0, 0x40f
	s_nop 0
	v_cndmask_b32_e32 v3, v12, v3, vcc
	v_and_b32_e32 v12, 7, v3
	v_cmp_lt_i32_e32 vcc, 5, v12
	v_lshrrev_b32_e32 v3, 2, v3
	s_nop 0
	v_cndmask_b32_e64 v13, 0, 1, vcc
	v_cmp_eq_u32_e32 vcc, 3, v12
	s_nop 1
	v_cndmask_b32_e64 v12, 0, 1, vcc
	v_or_b32_e32 v12, v12, v13
	v_add_u32_e32 v3, v3, v12
	v_mov_b32_e32 v12, 0x7c00
	v_cmp_gt_i32_e32 vcc, 31, v7
	v_mov_b32_e32 v13, 0x7e00
	s_nop 0
	v_cndmask_b32_e32 v3, v12, v3, vcc
	v_cmp_ne_u32_e32 vcc, 0, v2
	s_nop 1
	v_cndmask_b32_e32 v2, v12, v13, vcc
	v_cmp_eq_u32_e32 vcc, s0, v7
	s_mov_b32 s0, 0x8000
	s_nop 0
	v_cndmask_b32_e32 v2, v3, v2, vcc
	v_lshrrev_b32_e32 v3, 16, v1
	v_and_or_b32 v2, v3, s0, v2
	global_store_short v[8:9], v2, off
.LBB392_1878:
	s_mov_b64 s[0:1], 0
.LBB392_1879:
	s_andn2_b64 vcc, exec, s[0:1]
	s_cbranch_vccnz .LBB392_1895
; %bb.1880:
	s_cmp_lt_i32 s2, 2
	s_mov_b64 s[0:1], -1
	s_cbranch_scc1 .LBB392_1890
; %bb.1881:
	s_cmp_lt_i32 s2, 3
	s_cbranch_scc1 .LBB392_1887
; %bb.1882:
	s_cmp_gt_i32 s2, 3
	s_cbranch_scc0 .LBB392_1884
; %bb.1883:
	v_trunc_f64_e32 v[2:3], v[0:1]
	s_movk_i32 s0, 0xffe0
	v_ldexp_f64 v[12:13], v[2:3], s0
	v_floor_f64_e32 v[12:13], v[12:13]
	v_fmac_f64_e32 v[2:3], 0xc1f00000, v[12:13]
	v_cvt_i32_f64_e32 v15, v[12:13]
	v_cvt_u32_f64_e32 v14, v[2:3]
	global_store_dwordx2 v[8:9], v[14:15], off
	s_mov_b64 s[0:1], 0
.LBB392_1884:
	s_andn2_b64 vcc, exec, s[0:1]
	s_cbranch_vccnz .LBB392_1886
; %bb.1885:
	v_cvt_i32_f64_e32 v2, v[0:1]
	global_store_dword v[8:9], v2, off
.LBB392_1886:
	s_mov_b64 s[0:1], 0
.LBB392_1887:
	s_andn2_b64 vcc, exec, s[0:1]
	s_cbranch_vccnz .LBB392_1889
; %bb.1888:
	v_cvt_i32_f64_e32 v2, v[0:1]
	global_store_short v[8:9], v2, off
.LBB392_1889:
	s_mov_b64 s[0:1], 0
.LBB392_1890:
	s_andn2_b64 vcc, exec, s[0:1]
	s_cbranch_vccnz .LBB392_1895
; %bb.1891:
	s_cmp_gt_i32 s2, 0
	s_mov_b64 s[0:1], -1
	s_cbranch_scc0 .LBB392_1893
; %bb.1892:
	v_cvt_i32_f64_e32 v2, v[0:1]
	global_store_byte v[8:9], v2, off
	s_mov_b64 s[0:1], 0
.LBB392_1893:
	s_andn2_b64 vcc, exec, s[0:1]
	s_cbranch_vccnz .LBB392_1895
; %bb.1894:
	v_trunc_f64_e32 v[0:1], v[0:1]
	s_movk_i32 s0, 0xffe0
	v_ldexp_f64 v[2:3], v[0:1], s0
	v_floor_f64_e32 v[2:3], v[2:3]
	v_fmac_f64_e32 v[0:1], 0xc1f00000, v[2:3]
	v_cvt_u32_f64_e32 v0, v[0:1]
	global_store_byte v[8:9], v0, off
.LBB392_1895:
	s_mov_b64 s[6:7], -1
.LBB392_1896:
	s_andn2_b64 vcc, exec, s[6:7]
	s_cbranch_vccnz .LBB392_1973
; %bb.1897:
	v_max_f64 v[0:1], v[4:5], v[4:5]
	v_add_u32_e32 v2, s18, v6
	v_max_f64 v[0:1], v[0:1], v[10:11]
	v_cmp_u_f64_e32 vcc, v[4:5], v[4:5]
	v_ashrrev_i32_e32 v3, 31, v2
	s_cmp_lt_i32 s20, 11
	v_cndmask_b32_e32 v1, v1, v5, vcc
	v_cndmask_b32_e32 v0, v0, v4, vcc
	v_lshl_add_u64 v[4:5], s[4:5], 0, v[2:3]
	s_cbranch_scc1 .LBB392_2018
; %bb.1898:
	s_and_b32 s10, 0xffff, s20
	s_mov_b64 s[4:5], -1
	s_mov_b64 s[2:3], 0
	s_cmp_gt_i32 s10, 25
	s_mov_b64 s[0:1], 0
	s_cbranch_scc0 .LBB392_1931
; %bb.1899:
	s_cmp_gt_i32 s10, 28
	s_cbranch_scc0 .LBB392_1915
; %bb.1900:
	s_cmp_gt_i32 s10, 43
	;; [unrolled: 3-line block ×3, first 2 shown]
	s_cbranch_scc0 .LBB392_1905
; %bb.1902:
	s_cmp_eq_u32 s10, 46
	s_mov_b64 s[0:1], -1
	s_cbranch_scc0 .LBB392_1904
; %bb.1903:
	v_cvt_f32_f64_e32 v2, v[0:1]
	v_bfe_u32 v3, v2, 16, 1
	s_movk_i32 s0, 0x7fff
	v_add3_u32 v3, v2, v3, s0
	v_cmp_o_f32_e32 vcc, v2, v2
	v_mov_b32_e32 v2, 0x7fc0
	s_mov_b64 s[0:1], 0
	v_cndmask_b32_sdwa v2, v2, v3, vcc dst_sel:DWORD dst_unused:UNUSED_PAD src0_sel:DWORD src1_sel:WORD_1
	global_store_dword v[4:5], v2, off
.LBB392_1904:
	s_mov_b64 s[4:5], 0
.LBB392_1905:
	s_and_b64 vcc, exec, s[4:5]
	s_cbranch_vccz .LBB392_1910
; %bb.1906:
	s_cmp_eq_u32 s10, 44
	s_mov_b64 s[0:1], -1
	s_cbranch_scc0 .LBB392_1910
; %bb.1907:
	v_cvt_f32_f64_e32 v2, v[0:1]
	v_bfe_u32 v3, v2, 23, 8
	s_movk_i32 s0, 0xff
	v_cmp_ne_u32_e32 vcc, s0, v3
	v_mov_b32_e32 v6, 0xff
	s_and_saveexec_b64 s[4:5], vcc
; %bb.1908:
	s_mov_b32 s0, 0x3fffff
	v_lshrrev_b32_e32 v6, 23, v2
	v_and_b32_e32 v7, 0x400000, v2
	v_and_or_b32 v2, v2, s0, v3
	v_cmp_ne_u32_e32 vcc, 0, v7
	v_cmp_ne_u32_e64 s[0:1], 0, v2
	s_and_b64 s[0:1], vcc, s[0:1]
	s_nop 0
	v_cndmask_b32_e64 v2, 0, 1, s[0:1]
	v_add_u32_e32 v6, v6, v2
; %bb.1909:
	s_or_b64 exec, exec, s[4:5]
	s_mov_b64 s[0:1], 0
	global_store_byte v[4:5], v6, off
.LBB392_1910:
	s_mov_b64 s[4:5], 0
.LBB392_1911:
	s_and_b64 vcc, exec, s[4:5]
	s_cbranch_vccz .LBB392_1914
; %bb.1912:
	s_cmp_eq_u32 s10, 29
	s_mov_b64 s[0:1], -1
	s_cbranch_scc0 .LBB392_1914
; %bb.1913:
	v_trunc_f64_e32 v[2:3], v[0:1]
	s_movk_i32 s0, 0xffe0
	v_ldexp_f64 v[6:7], v[2:3], s0
	v_floor_f64_e32 v[6:7], v[6:7]
	v_fmac_f64_e32 v[2:3], 0xc1f00000, v[6:7]
	v_cvt_u32_f64_e32 v9, v[6:7]
	v_cvt_u32_f64_e32 v8, v[2:3]
	global_store_dwordx2 v[4:5], v[8:9], off
	s_mov_b64 s[0:1], 0
.LBB392_1914:
	s_mov_b64 s[4:5], 0
.LBB392_1915:
	s_and_b64 vcc, exec, s[4:5]
	s_cbranch_vccz .LBB392_1930
; %bb.1916:
	s_cmp_lt_i32 s10, 27
	s_mov_b64 s[4:5], -1
	s_cbranch_scc1 .LBB392_1922
; %bb.1917:
	s_cmp_gt_i32 s10, 27
	v_cvt_u32_f64_e32 v2, v[0:1]
	s_cbranch_scc0 .LBB392_1919
; %bb.1918:
	global_store_dword v[4:5], v2, off
	s_mov_b64 s[4:5], 0
.LBB392_1919:
	s_andn2_b64 vcc, exec, s[4:5]
	s_cbranch_vccnz .LBB392_1921
; %bb.1920:
	global_store_short v[4:5], v2, off
.LBB392_1921:
	s_mov_b64 s[4:5], 0
.LBB392_1922:
	s_andn2_b64 vcc, exec, s[4:5]
	s_cbranch_vccnz .LBB392_1930
; %bb.1923:
	v_cvt_f32_f64_e32 v2, v[0:1]
	v_and_b32_e32 v3, 0x7fffffff, v2
	s_mov_b32 s4, 0x43800000
	v_cmp_gt_u32_e32 vcc, s4, v3
	v_mov_b32_e32 v6, 0x80
	s_and_saveexec_b64 s[4:5], vcc
	s_cbranch_execz .LBB392_1929
; %bb.1924:
	s_mov_b32 s6, 0x3bffffff
	v_cmp_lt_u32_e32 vcc, s6, v3
	s_mov_b64 s[6:7], 0
                                        ; implicit-def: $vgpr3
	s_and_saveexec_b64 s[8:9], vcc
	s_xor_b64 s[8:9], exec, s[8:9]
	s_cbranch_execz .LBB392_2035
; %bb.1925:
	v_bfe_u32 v3, v2, 20, 1
	s_mov_b32 s11, 0x487ffff
	v_add3_u32 v3, v2, v3, s11
	s_mov_b64 s[6:7], exec
	v_lshrrev_b32_e32 v3, 20, v3
	s_andn2_saveexec_b64 s[8:9], s[8:9]
	s_cbranch_execnz .LBB392_2036
.LBB392_1926:
	s_or_b64 exec, exec, s[8:9]
	v_mov_b32_e32 v6, 0
	s_and_saveexec_b64 s[8:9], s[6:7]
.LBB392_1927:
	v_lshrrev_b32_e32 v2, 24, v2
	s_movk_i32 s6, 0x80
	v_and_or_b32 v6, v2, s6, v3
.LBB392_1928:
	s_or_b64 exec, exec, s[8:9]
.LBB392_1929:
	s_or_b64 exec, exec, s[4:5]
	global_store_byte v[4:5], v6, off
.LBB392_1930:
	s_mov_b64 s[4:5], 0
.LBB392_1931:
	s_and_b64 vcc, exec, s[4:5]
	s_cbranch_vccz .LBB392_1971
; %bb.1932:
	s_cmp_gt_i32 s10, 22
	s_mov_b64 s[2:3], -1
	s_cbranch_scc0 .LBB392_1964
; %bb.1933:
	s_cmp_lt_i32 s10, 24
	s_cbranch_scc1 .LBB392_1953
; %bb.1934:
	s_cmp_gt_i32 s10, 24
	s_cbranch_scc0 .LBB392_1942
; %bb.1935:
	v_cvt_f32_f64_e32 v2, v[0:1]
	v_and_b32_e32 v3, 0x7fffffff, v2
	s_mov_b32 s2, 0x47800000
	v_cmp_gt_u32_e32 vcc, s2, v3
	v_mov_b32_e32 v6, 0x80
	s_and_saveexec_b64 s[2:3], vcc
	s_cbranch_execz .LBB392_1941
; %bb.1936:
	s_mov_b32 s4, 0x37ffffff
	v_cmp_lt_u32_e32 vcc, s4, v3
	s_mov_b64 s[4:5], 0
                                        ; implicit-def: $vgpr3
	s_and_saveexec_b64 s[6:7], vcc
	s_xor_b64 s[6:7], exec, s[6:7]
	s_cbranch_execz .LBB392_2038
; %bb.1937:
	v_bfe_u32 v3, v2, 21, 1
	s_mov_b32 s8, 0x88fffff
	v_add3_u32 v3, v2, v3, s8
	s_mov_b64 s[4:5], exec
	v_lshrrev_b32_e32 v3, 21, v3
	s_andn2_saveexec_b64 s[6:7], s[6:7]
	s_cbranch_execnz .LBB392_2039
.LBB392_1938:
	s_or_b64 exec, exec, s[6:7]
	v_mov_b32_e32 v6, 0
	s_and_saveexec_b64 s[6:7], s[4:5]
.LBB392_1939:
	v_lshrrev_b32_e32 v2, 24, v2
	s_movk_i32 s4, 0x80
	v_and_or_b32 v6, v2, s4, v3
.LBB392_1940:
	s_or_b64 exec, exec, s[6:7]
.LBB392_1941:
	s_or_b64 exec, exec, s[2:3]
	s_mov_b64 s[2:3], 0
	global_store_byte v[4:5], v6, off
.LBB392_1942:
	s_and_b64 vcc, exec, s[2:3]
	s_cbranch_vccz .LBB392_1952
; %bb.1943:
	v_cvt_f32_f64_e32 v2, v[0:1]
	v_and_b32_e32 v6, 0x7fffffff, v2
	s_mov_b32 s2, 0x43f00000
	v_cmp_gt_u32_e32 vcc, s2, v6
                                        ; implicit-def: $vgpr3
	s_and_saveexec_b64 s[2:3], vcc
	s_xor_b64 s[2:3], exec, s[2:3]
	s_cbranch_execz .LBB392_1949
; %bb.1944:
	s_mov_b32 s4, 0x3c7fffff
	v_cmp_lt_u32_e32 vcc, s4, v6
                                        ; implicit-def: $vgpr3
	s_and_saveexec_b64 s[4:5], vcc
	s_xor_b64 s[4:5], exec, s[4:5]
; %bb.1945:
	v_bfe_u32 v3, v2, 20, 1
	s_mov_b32 s6, 0x407ffff
	v_add3_u32 v3, v2, v3, s6
	v_lshrrev_b32_e32 v6, 20, v3
	v_and_b32_e32 v3, 0xff00000, v3
	s_mov_b32 s6, 0x7f00000
	v_mov_b32_e32 v7, 0x7e
	v_cmp_ne_u32_e32 vcc, s6, v3
	s_nop 1
	v_cndmask_b32_e32 v3, v7, v6, vcc
; %bb.1946:
	s_andn2_saveexec_b64 s[4:5], s[4:5]
; %bb.1947:
	s_mov_b32 s6, 0x46800000
	v_add_f32_e64 v3, |v2|, s6
; %bb.1948:
	s_or_b64 exec, exec, s[4:5]
                                        ; implicit-def: $vgpr6
.LBB392_1949:
	s_andn2_saveexec_b64 s[2:3], s[2:3]
; %bb.1950:
	s_mov_b32 s4, 0x7f800000
	v_mov_b32_e32 v3, 0x7e
	v_mov_b32_e32 v7, 0x7f
	v_cmp_lt_u32_e32 vcc, s4, v6
	s_nop 1
	v_cndmask_b32_e32 v3, v3, v7, vcc
; %bb.1951:
	s_or_b64 exec, exec, s[2:3]
	v_lshrrev_b32_e32 v2, 24, v2
	s_movk_i32 s2, 0x80
	v_and_or_b32 v2, v2, s2, v3
	global_store_byte v[4:5], v2, off
.LBB392_1952:
	s_mov_b64 s[2:3], 0
.LBB392_1953:
	s_andn2_b64 vcc, exec, s[2:3]
	s_cbranch_vccnz .LBB392_1963
; %bb.1954:
	v_cvt_f32_f64_e32 v2, v[0:1]
	v_and_b32_e32 v6, 0x7fffffff, v2
	s_mov_b32 s2, 0x47800000
	v_cmp_gt_u32_e32 vcc, s2, v6
                                        ; implicit-def: $vgpr3
	s_and_saveexec_b64 s[2:3], vcc
	s_xor_b64 s[2:3], exec, s[2:3]
	s_cbranch_execz .LBB392_1960
; %bb.1955:
	s_mov_b32 s4, 0x387fffff
	v_cmp_lt_u32_e32 vcc, s4, v6
                                        ; implicit-def: $vgpr3
	s_and_saveexec_b64 s[4:5], vcc
	s_xor_b64 s[4:5], exec, s[4:5]
; %bb.1956:
	v_bfe_u32 v3, v2, 21, 1
	s_mov_b32 s6, 0x80fffff
	v_add3_u32 v3, v2, v3, s6
	v_lshrrev_b32_e32 v3, 21, v3
; %bb.1957:
	s_andn2_saveexec_b64 s[4:5], s[4:5]
; %bb.1958:
	s_mov_b32 s6, 0x43000000
	v_add_f32_e64 v3, |v2|, s6
; %bb.1959:
	s_or_b64 exec, exec, s[4:5]
                                        ; implicit-def: $vgpr6
.LBB392_1960:
	s_andn2_saveexec_b64 s[2:3], s[2:3]
; %bb.1961:
	s_mov_b32 s4, 0x7f800000
	v_mov_b32_e32 v3, 0x7c
	v_mov_b32_e32 v7, 0x7f
	v_cmp_lt_u32_e32 vcc, s4, v6
	s_nop 1
	v_cndmask_b32_e32 v3, v3, v7, vcc
; %bb.1962:
	s_or_b64 exec, exec, s[2:3]
	v_lshrrev_b32_e32 v2, 24, v2
	s_movk_i32 s2, 0x80
	v_and_or_b32 v2, v2, s2, v3
	global_store_byte v[4:5], v2, off
.LBB392_1963:
	s_mov_b64 s[2:3], 0
.LBB392_1964:
	s_andn2_b64 vcc, exec, s[2:3]
	s_mov_b64 s[2:3], 0
	s_cbranch_vccnz .LBB392_1971
; %bb.1965:
	s_cmp_gt_i32 s10, 14
	s_mov_b64 s[4:5], -1
	s_cbranch_scc0 .LBB392_1969
; %bb.1966:
	s_cmp_eq_u32 s10, 15
	s_mov_b64 s[0:1], -1
	s_cbranch_scc0 .LBB392_1968
; %bb.1967:
	v_cvt_f32_f64_e32 v2, v[0:1]
	v_bfe_u32 v3, v2, 16, 1
	s_movk_i32 s0, 0x7fff
	v_add3_u32 v3, v2, v3, s0
	v_cmp_o_f32_e32 vcc, v2, v2
	v_mov_b32_e32 v2, 0x7fc0
	s_mov_b64 s[0:1], 0
	v_cndmask_b32_sdwa v2, v2, v3, vcc dst_sel:DWORD dst_unused:UNUSED_PAD src0_sel:DWORD src1_sel:WORD_1
	global_store_short v[4:5], v2, off
.LBB392_1968:
	s_mov_b64 s[4:5], 0
.LBB392_1969:
	s_and_b64 vcc, exec, s[4:5]
	s_cbranch_vccz .LBB392_1971
; %bb.1970:
	s_cmp_lg_u32 s10, 11
	s_mov_b64 s[2:3], -1
	s_cselect_b64 s[0:1], -1, 0
.LBB392_1971:
	s_and_b64 vcc, exec, s[0:1]
	s_cbranch_vccnz .LBB392_2037
.LBB392_1972:
	s_mov_b64 s[0:1], 0
	s_branch .LBB392_1974
.LBB392_1973:
	s_mov_b64 s[0:1], 0
	s_mov_b64 s[2:3], 0
                                        ; implicit-def: $sgpr20
                                        ; implicit-def: $vgpr4_vgpr5
                                        ; implicit-def: $vgpr0_vgpr1
.LBB392_1974:
	s_andn2_b64 s[4:5], s[14:15], exec
	s_and_b64 s[6:7], s[16:17], exec
	s_and_b64 s[0:1], s[0:1], exec
	;; [unrolled: 1-line block ×3, first 2 shown]
	s_or_b64 s[14:15], s[4:5], s[6:7]
.LBB392_1975:
	s_or_b64 exec, exec, s[12:13]
	s_and_saveexec_b64 s[4:5], s[14:15]
	s_cbranch_execz .LBB392_1978
; %bb.1976:
	; divergent unreachable
	s_or_b64 exec, exec, s[4:5]
	s_and_saveexec_b64 s[4:5], s[2:3]
	s_xor_b64 s[2:3], exec, s[4:5]
	s_cbranch_execnz .LBB392_1979
.LBB392_1977:
	s_or_b64 exec, exec, s[2:3]
	s_and_saveexec_b64 s[2:3], s[0:1]
	s_cbranch_execnz .LBB392_1980
	s_branch .LBB392_2017
.LBB392_1978:
	s_or_b64 exec, exec, s[4:5]
	s_and_saveexec_b64 s[4:5], s[2:3]
	s_xor_b64 s[2:3], exec, s[4:5]
	s_cbranch_execz .LBB392_1977
.LBB392_1979:
	s_waitcnt vmcnt(0)
	v_cmp_neq_f64_e32 vcc, 0, v[0:1]
	s_nop 1
	v_cndmask_b32_e64 v2, 0, 1, vcc
	global_store_byte v[4:5], v2, off
	s_or_b64 exec, exec, s[2:3]
	s_and_saveexec_b64 s[2:3], s[0:1]
	s_cbranch_execz .LBB392_2017
.LBB392_1980:
	s_sext_i32_i16 s2, s20
	s_cmp_lt_i32 s2, 5
	s_mov_b64 s[0:1], -1
	s_cbranch_scc1 .LBB392_2001
; %bb.1981:
	s_cmp_lt_i32 s2, 8
	s_cbranch_scc1 .LBB392_1991
; %bb.1982:
	s_cmp_lt_i32 s2, 9
	s_cbranch_scc1 .LBB392_1988
; %bb.1983:
	s_cmp_gt_i32 s2, 9
	s_cbranch_scc0 .LBB392_1985
; %bb.1984:
	s_waitcnt vmcnt(0)
	v_mov_b32_e32 v2, 0
	v_mov_b32_e32 v3, v2
	global_store_dwordx4 v[4:5], v[0:3], off
	s_mov_b64 s[0:1], 0
.LBB392_1985:
	s_andn2_b64 vcc, exec, s[0:1]
	s_cbranch_vccnz .LBB392_1987
; %bb.1986:
	s_waitcnt vmcnt(0)
	v_cvt_f32_f64_e32 v2, v[0:1]
	v_mov_b32_e32 v3, 0
	global_store_dwordx2 v[4:5], v[2:3], off
.LBB392_1987:
	s_mov_b64 s[0:1], 0
.LBB392_1988:
	s_andn2_b64 vcc, exec, s[0:1]
	s_cbranch_vccnz .LBB392_1990
; %bb.1989:
	s_movk_i32 s0, 0x1ff
	s_waitcnt vmcnt(0)
	v_and_or_b32 v2, v1, s0, v0
	v_cmp_ne_u32_e32 vcc, 0, v2
	v_lshrrev_b32_e32 v3, 8, v1
	s_movk_i32 s0, 0xffe
	v_cndmask_b32_e64 v2, 0, 1, vcc
	v_bfe_u32 v6, v1, 20, 11
	v_and_or_b32 v2, v3, s0, v2
	v_sub_u32_e32 v7, 0x3f1, v6
	v_or_b32_e32 v3, 0x1000, v2
	v_med3_i32 v7, v7, 0, 13
	v_lshrrev_b32_e32 v8, v7, v3
	v_lshlrev_b32_e32 v7, v7, v8
	v_cmp_ne_u32_e32 vcc, v7, v3
	v_add_u32_e32 v6, 0xfffffc10, v6
	v_lshl_or_b32 v7, v6, 12, v2
	v_cndmask_b32_e64 v3, 0, 1, vcc
	v_or_b32_e32 v3, v8, v3
	v_cmp_gt_i32_e32 vcc, 1, v6
	s_movk_i32 s0, 0x40f
	s_nop 0
	v_cndmask_b32_e32 v3, v7, v3, vcc
	v_and_b32_e32 v7, 7, v3
	v_cmp_lt_i32_e32 vcc, 5, v7
	v_lshrrev_b32_e32 v3, 2, v3
	s_nop 0
	v_cndmask_b32_e64 v8, 0, 1, vcc
	v_cmp_eq_u32_e32 vcc, 3, v7
	s_nop 1
	v_cndmask_b32_e64 v7, 0, 1, vcc
	v_or_b32_e32 v7, v7, v8
	v_add_u32_e32 v3, v3, v7
	v_mov_b32_e32 v7, 0x7c00
	v_cmp_gt_i32_e32 vcc, 31, v6
	v_mov_b32_e32 v8, 0x7e00
	s_nop 0
	v_cndmask_b32_e32 v3, v7, v3, vcc
	v_cmp_ne_u32_e32 vcc, 0, v2
	s_nop 1
	v_cndmask_b32_e32 v2, v7, v8, vcc
	v_cmp_eq_u32_e32 vcc, s0, v6
	s_mov_b32 s0, 0x8000
	s_nop 0
	v_cndmask_b32_e32 v2, v3, v2, vcc
	v_and_b32_sdwa v3, v1, s0 dst_sel:DWORD dst_unused:UNUSED_PAD src0_sel:WORD_1 src1_sel:DWORD
	s_mov_b32 s0, 0xffff
	v_bitop3_b32 v2, v3, s0, v2 bitop3:0xc8
	global_store_dword v[4:5], v2, off
.LBB392_1990:
	s_mov_b64 s[0:1], 0
.LBB392_1991:
	s_andn2_b64 vcc, exec, s[0:1]
	s_cbranch_vccnz .LBB392_2000
; %bb.1992:
	s_sext_i32_i16 s2, s20
	s_cmp_lt_i32 s2, 6
	s_mov_b64 s[0:1], -1
	s_cbranch_scc1 .LBB392_1998
; %bb.1993:
	s_cmp_gt_i32 s2, 6
	s_cbranch_scc0 .LBB392_1995
; %bb.1994:
	s_waitcnt vmcnt(0)
	global_store_dwordx2 v[4:5], v[0:1], off
	s_mov_b64 s[0:1], 0
.LBB392_1995:
	s_andn2_b64 vcc, exec, s[0:1]
	s_cbranch_vccnz .LBB392_1997
; %bb.1996:
	s_waitcnt vmcnt(0)
	v_cvt_f32_f64_e32 v2, v[0:1]
	global_store_dword v[4:5], v2, off
.LBB392_1997:
	s_mov_b64 s[0:1], 0
.LBB392_1998:
	s_andn2_b64 vcc, exec, s[0:1]
	s_cbranch_vccnz .LBB392_2000
; %bb.1999:
	s_movk_i32 s0, 0x1ff
	s_waitcnt vmcnt(0)
	v_and_or_b32 v2, v1, s0, v0
	v_cmp_ne_u32_e32 vcc, 0, v2
	v_lshrrev_b32_e32 v3, 8, v1
	s_movk_i32 s0, 0xffe
	v_cndmask_b32_e64 v2, 0, 1, vcc
	v_bfe_u32 v6, v1, 20, 11
	v_and_or_b32 v2, v3, s0, v2
	v_sub_u32_e32 v7, 0x3f1, v6
	v_or_b32_e32 v3, 0x1000, v2
	v_med3_i32 v7, v7, 0, 13
	v_lshrrev_b32_e32 v8, v7, v3
	v_lshlrev_b32_e32 v7, v7, v8
	v_cmp_ne_u32_e32 vcc, v7, v3
	v_add_u32_e32 v6, 0xfffffc10, v6
	v_lshl_or_b32 v7, v6, 12, v2
	v_cndmask_b32_e64 v3, 0, 1, vcc
	v_or_b32_e32 v3, v8, v3
	v_cmp_gt_i32_e32 vcc, 1, v6
	s_movk_i32 s0, 0x40f
	s_nop 0
	v_cndmask_b32_e32 v3, v7, v3, vcc
	v_and_b32_e32 v7, 7, v3
	v_cmp_lt_i32_e32 vcc, 5, v7
	v_lshrrev_b32_e32 v3, 2, v3
	s_nop 0
	v_cndmask_b32_e64 v8, 0, 1, vcc
	v_cmp_eq_u32_e32 vcc, 3, v7
	s_nop 1
	v_cndmask_b32_e64 v7, 0, 1, vcc
	v_or_b32_e32 v7, v7, v8
	v_add_u32_e32 v3, v3, v7
	v_mov_b32_e32 v7, 0x7c00
	v_cmp_gt_i32_e32 vcc, 31, v6
	v_mov_b32_e32 v8, 0x7e00
	s_nop 0
	v_cndmask_b32_e32 v3, v7, v3, vcc
	v_cmp_ne_u32_e32 vcc, 0, v2
	s_nop 1
	v_cndmask_b32_e32 v2, v7, v8, vcc
	v_cmp_eq_u32_e32 vcc, s0, v6
	s_mov_b32 s0, 0x8000
	s_nop 0
	v_cndmask_b32_e32 v2, v3, v2, vcc
	v_lshrrev_b32_e32 v3, 16, v1
	v_and_or_b32 v2, v3, s0, v2
	global_store_short v[4:5], v2, off
.LBB392_2000:
	s_mov_b64 s[0:1], 0
.LBB392_2001:
	s_andn2_b64 vcc, exec, s[0:1]
	s_cbranch_vccnz .LBB392_2017
; %bb.2002:
	s_sext_i32_i16 s2, s20
	s_cmp_lt_i32 s2, 2
	s_mov_b64 s[0:1], -1
	s_cbranch_scc1 .LBB392_2012
; %bb.2003:
	s_cmp_lt_i32 s2, 3
	s_cbranch_scc1 .LBB392_2009
; %bb.2004:
	s_cmp_gt_i32 s2, 3
	s_cbranch_scc0 .LBB392_2006
; %bb.2005:
	s_waitcnt vmcnt(0)
	v_trunc_f64_e32 v[2:3], v[0:1]
	s_movk_i32 s0, 0xffe0
	v_ldexp_f64 v[6:7], v[2:3], s0
	v_floor_f64_e32 v[6:7], v[6:7]
	v_fmac_f64_e32 v[2:3], 0xc1f00000, v[6:7]
	v_cvt_i32_f64_e32 v9, v[6:7]
	v_cvt_u32_f64_e32 v8, v[2:3]
	global_store_dwordx2 v[4:5], v[8:9], off
	s_mov_b64 s[0:1], 0
.LBB392_2006:
	s_andn2_b64 vcc, exec, s[0:1]
	s_cbranch_vccnz .LBB392_2008
; %bb.2007:
	s_waitcnt vmcnt(0)
	v_cvt_i32_f64_e32 v2, v[0:1]
	global_store_dword v[4:5], v2, off
.LBB392_2008:
	s_mov_b64 s[0:1], 0
.LBB392_2009:
	s_andn2_b64 vcc, exec, s[0:1]
	s_cbranch_vccnz .LBB392_2011
; %bb.2010:
	s_waitcnt vmcnt(0)
	v_cvt_i32_f64_e32 v2, v[0:1]
	global_store_short v[4:5], v2, off
.LBB392_2011:
	s_mov_b64 s[0:1], 0
.LBB392_2012:
	s_andn2_b64 vcc, exec, s[0:1]
	s_cbranch_vccnz .LBB392_2017
; %bb.2013:
	s_sext_i32_i16 s0, s20
	s_cmp_gt_i32 s0, 0
	s_mov_b64 s[0:1], -1
	s_cbranch_scc0 .LBB392_2015
; %bb.2014:
	s_waitcnt vmcnt(0)
	v_cvt_i32_f64_e32 v2, v[0:1]
	global_store_byte v[4:5], v2, off
	s_mov_b64 s[0:1], 0
.LBB392_2015:
	s_andn2_b64 vcc, exec, s[0:1]
	s_cbranch_vccnz .LBB392_2017
; %bb.2016:
	s_waitcnt vmcnt(0)
	v_trunc_f64_e32 v[0:1], v[0:1]
	s_movk_i32 s0, 0xffe0
	v_ldexp_f64 v[2:3], v[0:1], s0
	v_floor_f64_e32 v[2:3], v[2:3]
	v_fmac_f64_e32 v[0:1], 0xc1f00000, v[2:3]
	v_cvt_u32_f64_e32 v0, v[0:1]
	global_store_byte v[4:5], v0, off
	s_endpgm
.LBB392_2017:
	s_endpgm
.LBB392_2018:
	s_mov_b64 s[2:3], 0
	s_mov_b64 s[0:1], -1
	s_branch .LBB392_1974
.LBB392_2019:
	s_trap 2
	s_or_b64 s[16:17], s[16:17], exec
	s_cbranch_execz .LBB392_1488
	s_branch .LBB392_1489
.LBB392_2020:
	s_andn2_saveexec_b64 s[18:19], s[18:19]
	s_cbranch_execz .LBB392_1568
.LBB392_2021:
	s_mov_b32 s21, 0x46000000
	v_add_f32_e64 v3, |v2|, s21
	v_and_b32_e32 v3, 0xff, v3
	v_cmp_ne_u32_e32 vcc, 0, v3
	s_andn2_b64 s[10:11], s[10:11], exec
	s_and_b64 s[22:23], vcc, exec
	s_or_b64 s[10:11], s[10:11], s[22:23]
	s_or_b64 exec, exec, s[18:19]
	v_mov_b32_e32 v13, 0
	s_and_saveexec_b64 s[18:19], s[10:11]
	s_cbranch_execnz .LBB392_1569
	s_branch .LBB392_1570
.LBB392_2022:
	s_trap 2
	s_or_b64 s[16:17], s[16:17], exec
	s_cbranch_execz .LBB392_1616
	s_branch .LBB392_1617
.LBB392_2023:
	s_andn2_saveexec_b64 s[10:11], s[10:11]
	s_cbranch_execz .LBB392_1581
.LBB392_2024:
	s_mov_b32 s18, 0x42800000
	v_add_f32_e64 v3, |v2|, s18
	v_and_b32_e32 v3, 0xff, v3
	v_cmp_ne_u32_e32 vcc, 0, v3
	s_andn2_b64 s[6:7], s[6:7], exec
	s_and_b64 s[18:19], vcc, exec
	s_or_b64 s[6:7], s[6:7], s[18:19]
	s_or_b64 exec, exec, s[10:11]
	v_mov_b32_e32 v13, 0
	s_and_saveexec_b64 s[10:11], s[6:7]
	s_cbranch_execnz .LBB392_1582
	s_branch .LBB392_1583
.LBB392_2025:
	s_andn2_saveexec_b64 s[10:11], s[10:11]
	s_cbranch_execz .LBB392_1687
.LBB392_2026:
	s_mov_b32 s21, 0x46000000
	v_add_f32_e64 v3, |v2|, s21
	v_and_b32_e32 v3, 0xff, v3
	v_cmp_ne_u32_e32 vcc, 0, v3
	s_andn2_b64 s[8:9], s[8:9], exec
	s_and_b64 s[22:23], vcc, exec
	s_or_b64 s[8:9], s[8:9], s[22:23]
	s_or_b64 exec, exec, s[10:11]
	v_mov_b32_e32 v9, 0
	s_and_saveexec_b64 s[10:11], s[8:9]
	s_cbranch_execnz .LBB392_1688
	s_branch .LBB392_1689
.LBB392_2027:
	s_trap 2
	s_or_b64 s[16:17], s[16:17], exec
	s_cbranch_execz .LBB392_1735
	s_branch .LBB392_1736
.LBB392_2028:
	s_andn2_saveexec_b64 s[8:9], s[8:9]
	s_cbranch_execz .LBB392_1700
.LBB392_2029:
	s_mov_b32 s10, 0x42800000
	v_add_f32_e64 v3, |v2|, s10
	v_and_b32_e32 v3, 0xff, v3
	v_cmp_ne_u32_e32 vcc, 0, v3
	s_andn2_b64 s[6:7], s[6:7], exec
	s_and_b64 s[10:11], vcc, exec
	s_or_b64 s[6:7], s[6:7], s[10:11]
	s_or_b64 exec, exec, s[8:9]
	v_mov_b32_e32 v9, 0
	s_and_saveexec_b64 s[8:9], s[6:7]
	s_cbranch_execnz .LBB392_1701
	s_branch .LBB392_1702
.LBB392_2030:
	s_andn2_saveexec_b64 s[10:11], s[10:11]
	s_cbranch_execz .LBB392_1806
.LBB392_2031:
	s_mov_b32 s21, 0x46000000
	v_add_f32_e64 v3, |v2|, s21
	v_and_b32_e32 v3, 0xff, v3
	v_cmp_ne_u32_e32 vcc, 0, v3
	s_andn2_b64 s[8:9], s[8:9], exec
	s_and_b64 s[22:23], vcc, exec
	s_or_b64 s[8:9], s[8:9], s[22:23]
	s_or_b64 exec, exec, s[10:11]
	v_mov_b32_e32 v7, 0
	s_and_saveexec_b64 s[10:11], s[8:9]
	s_cbranch_execnz .LBB392_1807
	s_branch .LBB392_1808
.LBB392_2032:
	s_trap 2
	s_or_b64 s[16:17], s[16:17], exec
	s_cbranch_execz .LBB392_1854
	s_branch .LBB392_1855
.LBB392_2033:
	s_andn2_saveexec_b64 s[8:9], s[8:9]
	s_cbranch_execz .LBB392_1819
.LBB392_2034:
	s_mov_b32 s10, 0x42800000
	v_add_f32_e64 v3, |v2|, s10
	v_and_b32_e32 v3, 0xff, v3
	v_cmp_ne_u32_e32 vcc, 0, v3
	s_andn2_b64 s[6:7], s[6:7], exec
	s_and_b64 s[10:11], vcc, exec
	s_or_b64 s[6:7], s[6:7], s[10:11]
	s_or_b64 exec, exec, s[8:9]
	v_mov_b32_e32 v7, 0
	s_and_saveexec_b64 s[8:9], s[6:7]
	s_cbranch_execnz .LBB392_1820
	s_branch .LBB392_1821
.LBB392_2035:
	s_andn2_saveexec_b64 s[8:9], s[8:9]
	s_cbranch_execz .LBB392_1926
.LBB392_2036:
	s_mov_b32 s11, 0x46000000
	v_add_f32_e64 v3, |v2|, s11
	v_and_b32_e32 v3, 0xff, v3
	v_cmp_ne_u32_e32 vcc, 0, v3
	s_andn2_b64 s[6:7], s[6:7], exec
	s_and_b64 s[18:19], vcc, exec
	s_or_b64 s[6:7], s[6:7], s[18:19]
	s_or_b64 exec, exec, s[8:9]
	v_mov_b32_e32 v6, 0
	s_and_saveexec_b64 s[8:9], s[6:7]
	s_cbranch_execnz .LBB392_1927
	s_branch .LBB392_1928
.LBB392_2037:
	s_mov_b64 s[2:3], 0
	s_or_b64 s[16:17], s[16:17], exec
	s_trap 2
	s_branch .LBB392_1972
.LBB392_2038:
	s_andn2_saveexec_b64 s[6:7], s[6:7]
	s_cbranch_execz .LBB392_1938
.LBB392_2039:
	s_mov_b32 s8, 0x42800000
	v_add_f32_e64 v3, |v2|, s8
	v_and_b32_e32 v3, 0xff, v3
	v_cmp_ne_u32_e32 vcc, 0, v3
	s_andn2_b64 s[4:5], s[4:5], exec
	s_and_b64 s[8:9], vcc, exec
	s_or_b64 s[4:5], s[4:5], s[8:9]
	s_or_b64 exec, exec, s[6:7]
	v_mov_b32_e32 v6, 0
	s_and_saveexec_b64 s[6:7], s[4:5]
	s_cbranch_execnz .LBB392_1939
	s_branch .LBB392_1940
	.section	.rodata,"a",@progbits
	.p2align	6, 0x0
	.amdhsa_kernel _ZN2at6native32elementwise_kernel_manual_unrollILi128ELi4EZNS0_15gpu_kernel_implIZZZNS0_21clamp_min_kernel_cudaERNS_18TensorIteratorBaseERKN3c106ScalarEENKUlvE_clEvENKUlvE4_clEvEUldE_EEvS4_RKT_EUlibE_EEviT1_
		.amdhsa_group_segment_fixed_size 0
		.amdhsa_private_segment_fixed_size 0
		.amdhsa_kernarg_size 48
		.amdhsa_user_sgpr_count 2
		.amdhsa_user_sgpr_dispatch_ptr 0
		.amdhsa_user_sgpr_queue_ptr 0
		.amdhsa_user_sgpr_kernarg_segment_ptr 1
		.amdhsa_user_sgpr_dispatch_id 0
		.amdhsa_user_sgpr_kernarg_preload_length 0
		.amdhsa_user_sgpr_kernarg_preload_offset 0
		.amdhsa_user_sgpr_private_segment_size 0
		.amdhsa_uses_dynamic_stack 0
		.amdhsa_enable_private_segment 0
		.amdhsa_system_sgpr_workgroup_id_x 1
		.amdhsa_system_sgpr_workgroup_id_y 0
		.amdhsa_system_sgpr_workgroup_id_z 0
		.amdhsa_system_sgpr_workgroup_info 0
		.amdhsa_system_vgpr_workitem_id 0
		.amdhsa_next_free_vgpr 20
		.amdhsa_next_free_sgpr 46
		.amdhsa_accum_offset 20
		.amdhsa_reserve_vcc 1
		.amdhsa_float_round_mode_32 0
		.amdhsa_float_round_mode_16_64 0
		.amdhsa_float_denorm_mode_32 3
		.amdhsa_float_denorm_mode_16_64 3
		.amdhsa_dx10_clamp 1
		.amdhsa_ieee_mode 1
		.amdhsa_fp16_overflow 0
		.amdhsa_tg_split 0
		.amdhsa_exception_fp_ieee_invalid_op 0
		.amdhsa_exception_fp_denorm_src 0
		.amdhsa_exception_fp_ieee_div_zero 0
		.amdhsa_exception_fp_ieee_overflow 0
		.amdhsa_exception_fp_ieee_underflow 0
		.amdhsa_exception_fp_ieee_inexact 0
		.amdhsa_exception_int_div_zero 0
	.end_amdhsa_kernel
	.section	.text._ZN2at6native32elementwise_kernel_manual_unrollILi128ELi4EZNS0_15gpu_kernel_implIZZZNS0_21clamp_min_kernel_cudaERNS_18TensorIteratorBaseERKN3c106ScalarEENKUlvE_clEvENKUlvE4_clEvEUldE_EEvS4_RKT_EUlibE_EEviT1_,"axG",@progbits,_ZN2at6native32elementwise_kernel_manual_unrollILi128ELi4EZNS0_15gpu_kernel_implIZZZNS0_21clamp_min_kernel_cudaERNS_18TensorIteratorBaseERKN3c106ScalarEENKUlvE_clEvENKUlvE4_clEvEUldE_EEvS4_RKT_EUlibE_EEviT1_,comdat
.Lfunc_end392:
	.size	_ZN2at6native32elementwise_kernel_manual_unrollILi128ELi4EZNS0_15gpu_kernel_implIZZZNS0_21clamp_min_kernel_cudaERNS_18TensorIteratorBaseERKN3c106ScalarEENKUlvE_clEvENKUlvE4_clEvEUldE_EEvS4_RKT_EUlibE_EEviT1_, .Lfunc_end392-_ZN2at6native32elementwise_kernel_manual_unrollILi128ELi4EZNS0_15gpu_kernel_implIZZZNS0_21clamp_min_kernel_cudaERNS_18TensorIteratorBaseERKN3c106ScalarEENKUlvE_clEvENKUlvE4_clEvEUldE_EEvS4_RKT_EUlibE_EEviT1_
                                        ; -- End function
	.set _ZN2at6native32elementwise_kernel_manual_unrollILi128ELi4EZNS0_15gpu_kernel_implIZZZNS0_21clamp_min_kernel_cudaERNS_18TensorIteratorBaseERKN3c106ScalarEENKUlvE_clEvENKUlvE4_clEvEUldE_EEvS4_RKT_EUlibE_EEviT1_.num_vgpr, 20
	.set _ZN2at6native32elementwise_kernel_manual_unrollILi128ELi4EZNS0_15gpu_kernel_implIZZZNS0_21clamp_min_kernel_cudaERNS_18TensorIteratorBaseERKN3c106ScalarEENKUlvE_clEvENKUlvE4_clEvEUldE_EEvS4_RKT_EUlibE_EEviT1_.num_agpr, 0
	.set _ZN2at6native32elementwise_kernel_manual_unrollILi128ELi4EZNS0_15gpu_kernel_implIZZZNS0_21clamp_min_kernel_cudaERNS_18TensorIteratorBaseERKN3c106ScalarEENKUlvE_clEvENKUlvE4_clEvEUldE_EEvS4_RKT_EUlibE_EEviT1_.numbered_sgpr, 46
	.set _ZN2at6native32elementwise_kernel_manual_unrollILi128ELi4EZNS0_15gpu_kernel_implIZZZNS0_21clamp_min_kernel_cudaERNS_18TensorIteratorBaseERKN3c106ScalarEENKUlvE_clEvENKUlvE4_clEvEUldE_EEvS4_RKT_EUlibE_EEviT1_.num_named_barrier, 0
	.set _ZN2at6native32elementwise_kernel_manual_unrollILi128ELi4EZNS0_15gpu_kernel_implIZZZNS0_21clamp_min_kernel_cudaERNS_18TensorIteratorBaseERKN3c106ScalarEENKUlvE_clEvENKUlvE4_clEvEUldE_EEvS4_RKT_EUlibE_EEviT1_.private_seg_size, 0
	.set _ZN2at6native32elementwise_kernel_manual_unrollILi128ELi4EZNS0_15gpu_kernel_implIZZZNS0_21clamp_min_kernel_cudaERNS_18TensorIteratorBaseERKN3c106ScalarEENKUlvE_clEvENKUlvE4_clEvEUldE_EEvS4_RKT_EUlibE_EEviT1_.uses_vcc, 1
	.set _ZN2at6native32elementwise_kernel_manual_unrollILi128ELi4EZNS0_15gpu_kernel_implIZZZNS0_21clamp_min_kernel_cudaERNS_18TensorIteratorBaseERKN3c106ScalarEENKUlvE_clEvENKUlvE4_clEvEUldE_EEvS4_RKT_EUlibE_EEviT1_.uses_flat_scratch, 0
	.set _ZN2at6native32elementwise_kernel_manual_unrollILi128ELi4EZNS0_15gpu_kernel_implIZZZNS0_21clamp_min_kernel_cudaERNS_18TensorIteratorBaseERKN3c106ScalarEENKUlvE_clEvENKUlvE4_clEvEUldE_EEvS4_RKT_EUlibE_EEviT1_.has_dyn_sized_stack, 0
	.set _ZN2at6native32elementwise_kernel_manual_unrollILi128ELi4EZNS0_15gpu_kernel_implIZZZNS0_21clamp_min_kernel_cudaERNS_18TensorIteratorBaseERKN3c106ScalarEENKUlvE_clEvENKUlvE4_clEvEUldE_EEvS4_RKT_EUlibE_EEviT1_.has_recursion, 0
	.set _ZN2at6native32elementwise_kernel_manual_unrollILi128ELi4EZNS0_15gpu_kernel_implIZZZNS0_21clamp_min_kernel_cudaERNS_18TensorIteratorBaseERKN3c106ScalarEENKUlvE_clEvENKUlvE4_clEvEUldE_EEvS4_RKT_EUlibE_EEviT1_.has_indirect_call, 0
	.section	.AMDGPU.csdata,"",@progbits
; Kernel info:
; codeLenInByte = 35936
; TotalNumSgprs: 52
; NumVgprs: 20
; NumAgprs: 0
; TotalNumVgprs: 20
; ScratchSize: 0
; MemoryBound: 1
; FloatMode: 240
; IeeeMode: 1
; LDSByteSize: 0 bytes/workgroup (compile time only)
; SGPRBlocks: 6
; VGPRBlocks: 2
; NumSGPRsForWavesPerEU: 52
; NumVGPRsForWavesPerEU: 20
; AccumOffset: 20
; Occupancy: 8
; WaveLimiterHint : 0
; COMPUTE_PGM_RSRC2:SCRATCH_EN: 0
; COMPUTE_PGM_RSRC2:USER_SGPR: 2
; COMPUTE_PGM_RSRC2:TRAP_HANDLER: 0
; COMPUTE_PGM_RSRC2:TGID_X_EN: 1
; COMPUTE_PGM_RSRC2:TGID_Y_EN: 0
; COMPUTE_PGM_RSRC2:TGID_Z_EN: 0
; COMPUTE_PGM_RSRC2:TIDIG_COMP_CNT: 0
; COMPUTE_PGM_RSRC3_GFX90A:ACCUM_OFFSET: 4
; COMPUTE_PGM_RSRC3_GFX90A:TG_SPLIT: 0
	.section	.text._ZN2at6native32elementwise_kernel_manual_unrollILi128ELi4EZNS0_15gpu_kernel_implIZZZNS0_21clamp_min_kernel_cudaERNS_18TensorIteratorBaseERKN3c106ScalarEENKUlvE_clEvENKUlvE4_clEvEUldE_EEvS4_RKT_EUlibE0_EEviT1_,"axG",@progbits,_ZN2at6native32elementwise_kernel_manual_unrollILi128ELi4EZNS0_15gpu_kernel_implIZZZNS0_21clamp_min_kernel_cudaERNS_18TensorIteratorBaseERKN3c106ScalarEENKUlvE_clEvENKUlvE4_clEvEUldE_EEvS4_RKT_EUlibE0_EEviT1_,comdat
	.globl	_ZN2at6native32elementwise_kernel_manual_unrollILi128ELi4EZNS0_15gpu_kernel_implIZZZNS0_21clamp_min_kernel_cudaERNS_18TensorIteratorBaseERKN3c106ScalarEENKUlvE_clEvENKUlvE4_clEvEUldE_EEvS4_RKT_EUlibE0_EEviT1_ ; -- Begin function _ZN2at6native32elementwise_kernel_manual_unrollILi128ELi4EZNS0_15gpu_kernel_implIZZZNS0_21clamp_min_kernel_cudaERNS_18TensorIteratorBaseERKN3c106ScalarEENKUlvE_clEvENKUlvE4_clEvEUldE_EEvS4_RKT_EUlibE0_EEviT1_
	.p2align	8
	.type	_ZN2at6native32elementwise_kernel_manual_unrollILi128ELi4EZNS0_15gpu_kernel_implIZZZNS0_21clamp_min_kernel_cudaERNS_18TensorIteratorBaseERKN3c106ScalarEENKUlvE_clEvENKUlvE4_clEvEUldE_EEvS4_RKT_EUlibE0_EEviT1_,@function
_ZN2at6native32elementwise_kernel_manual_unrollILi128ELi4EZNS0_15gpu_kernel_implIZZZNS0_21clamp_min_kernel_cudaERNS_18TensorIteratorBaseERKN3c106ScalarEENKUlvE_clEvENKUlvE4_clEvEUldE_EEvS4_RKT_EUlibE0_EEviT1_: ; @_ZN2at6native32elementwise_kernel_manual_unrollILi128ELi4EZNS0_15gpu_kernel_implIZZZNS0_21clamp_min_kernel_cudaERNS_18TensorIteratorBaseERKN3c106ScalarEENKUlvE_clEvENKUlvE4_clEvEUldE_EEvS4_RKT_EUlibE0_EEviT1_
; %bb.0:
	s_load_dword s72, s[0:1], 0x0
	s_load_dword s33, s[0:1], 0x8
	s_add_u32 s34, s0, 8
	s_addc_u32 s35, s1, 0
	v_lshl_or_b32 v10, s2, 9, v0
	v_or_b32_e32 v16, 0x180, v10
	s_waitcnt lgkmcnt(0)
	s_add_i32 s74, s33, -1
	s_cmp_gt_u32 s74, 1
	v_cmp_le_i32_e32 vcc, s72, v16
	s_cselect_b64 s[42:43], -1, 0
	s_mov_b64 s[40:41], 0
	s_mov_b64 s[24:25], 0
	s_and_saveexec_b64 s[2:3], vcc
	s_xor_b64 s[44:45], exec, s[2:3]
	s_cbranch_execz .LBB393_1090
; %bb.1:
	s_load_dwordx4 s[24:27], s[34:35], 0x4
	s_load_dwordx2 s[48:49], s[34:35], 0x14
	s_load_dwordx2 s[46:47], s[34:35], 0x158
	s_load_dword s75, s[34:35], 0x160
	s_cmp_lg_u32 s33, 0
	s_load_dwordx4 s[28:31], s[34:35], 0xc4
	s_load_dwordx4 s[20:23], s[34:35], 0x148
	s_cselect_b64 s[54:55], -1, 0
	s_add_u32 s52, s34, 0xc4
	s_addc_u32 s53, s35, 0
	s_min_u32 s77, s74, 15
	s_cmp_gt_u32 s33, 1
	s_cselect_b64 s[50:51], -1, 0
	s_waitcnt lgkmcnt(0)
	s_bfe_u32 s76, s75, 0x80008
	v_cmp_gt_i32_e32 vcc, s72, v10
	s_mov_b64 s[4:5], -1
	s_mov_b64 s[64:65], 0
	s_mov_b64 s[58:59], 0
	;; [unrolled: 1-line block ×3, first 2 shown]
	s_and_saveexec_b64 s[60:61], vcc
	s_cbranch_execz .LBB393_267
; %bb.2:
	s_andn2_b64 vcc, exec, s[42:43]
	s_cbranch_vccnz .LBB393_8
; %bb.3:
	s_andn2_b64 vcc, exec, s[54:55]
	s_cbranch_vccnz .LBB393_9
; %bb.4:
	s_add_i32 s59, s77, 1
	s_cmp_eq_u32 s74, 2
	s_cbranch_scc1 .LBB393_10
; %bb.5:
	s_and_b32 s58, s59, 28
	s_mov_b32 s62, 0
	v_mov_b32_e32 v2, 0
	v_mov_b32_e32 v0, 0
	s_mov_b64 s[2:3], s[34:35]
	s_mov_b64 s[56:57], s[52:53]
	v_mov_b32_e32 v4, v10
.LBB393_6:                              ; =>This Inner Loop Header: Depth=1
	s_load_dwordx8 s[12:19], s[2:3], 0x4
	s_load_dwordx4 s[36:39], s[2:3], 0x24
	s_load_dwordx8 s[4:11], s[56:57], 0x0
	s_add_u32 s2, s2, 48
	s_addc_u32 s3, s3, 0
	s_waitcnt lgkmcnt(0)
	v_mul_hi_u32 v1, s13, v4
	v_add_u32_e32 v1, v4, v1
	v_lshrrev_b32_e32 v1, s14, v1
	v_mul_lo_u32 v3, v1, s12
	v_mul_hi_u32 v5, s16, v1
	v_sub_u32_e32 v3, v4, v3
	v_add_u32_e32 v4, v1, v5
	v_lshrrev_b32_e32 v4, s17, v4
	v_mul_lo_u32 v6, v4, s15
	v_mul_hi_u32 v7, s19, v4
	v_sub_u32_e32 v1, v1, v6
	v_add_u32_e32 v6, v4, v7
	v_mul_lo_u32 v5, v3, s5
	v_mul_lo_u32 v3, v3, s4
	;; [unrolled: 1-line block ×4, first 2 shown]
	v_lshrrev_b32_e32 v6, s36, v6
	v_add3_u32 v1, v3, v2, v1
	v_mul_hi_u32 v3, s38, v6
	v_mul_lo_u32 v2, v6, s18
	v_add_u32_e32 v3, v6, v3
	v_sub_u32_e32 v2, v4, v2
	v_lshrrev_b32_e32 v4, s39, v3
	s_add_i32 s62, s62, 4
	v_mul_lo_u32 v3, v4, s37
	s_add_u32 s56, s56, 32
	v_sub_u32_e32 v3, v6, v3
	s_addc_u32 s57, s57, 0
	v_add3_u32 v0, v5, v0, v7
	v_mul_lo_u32 v5, v2, s8
	v_mul_lo_u32 v2, v2, s9
	;; [unrolled: 1-line block ×4, first 2 shown]
	s_cmp_lg_u32 s58, s62
	v_add3_u32 v0, v2, v0, v3
	v_add3_u32 v2, v5, v1, v6
	s_cbranch_scc1 .LBB393_6
; %bb.7:
	v_mov_b32_e32 v1, v0
	s_branch .LBB393_11
.LBB393_8:
                                        ; implicit-def: $vgpr0
                                        ; implicit-def: $vgpr2
	s_branch .LBB393_15
.LBB393_9:
	v_mov_b32_e32 v0, 0
	v_mov_b32_e32 v2, 0
	s_branch .LBB393_14
.LBB393_10:
	v_mov_b32_e32 v2, 0
	s_mov_b32 s58, 0
	v_mov_b32_e32 v1, v2
                                        ; implicit-def: $vgpr0
	v_mov_b32_e32 v4, v10
.LBB393_11:
	s_and_b32 s6, s59, 3
	s_cmp_eq_u32 s6, 0
	s_cbranch_scc1 .LBB393_14
; %bb.12:
	s_lshl_b32 s2, s58, 3
	s_add_u32 s2, s34, s2
	s_addc_u32 s3, s35, 0
	s_add_u32 s2, s2, 0xc4
	s_addc_u32 s3, s3, 0
	s_mul_i32 s4, s58, 12
	s_add_u32 s4, s34, s4
	s_addc_u32 s5, s35, 0
.LBB393_13:                             ; =>This Inner Loop Header: Depth=1
	s_load_dwordx2 s[8:9], s[4:5], 0x4
	s_load_dword s7, s[4:5], 0xc
	s_load_dwordx2 s[10:11], s[2:3], 0x0
	v_mov_b32_e32 v0, v1
	s_add_u32 s4, s4, 12
	s_waitcnt lgkmcnt(0)
	v_mul_hi_u32 v1, s9, v4
	v_add_u32_e32 v1, v4, v1
	v_lshrrev_b32_e32 v1, s7, v1
	s_addc_u32 s5, s5, 0
	v_mul_lo_u32 v3, v1, s8
	s_add_u32 s2, s2, 8
	v_sub_u32_e32 v3, v4, v3
	s_addc_u32 s3, s3, 0
	s_add_i32 s6, s6, -1
	v_mov_b32_e32 v4, v1
	v_mad_u64_u32 v[0:1], s[8:9], v3, s11, v[0:1]
	s_cmp_lg_u32 s6, 0
	v_mad_u64_u32 v[2:3], s[8:9], v3, s10, v[2:3]
	v_mov_b32_e32 v1, v0
	s_cbranch_scc1 .LBB393_13
.LBB393_14:
	s_cbranch_execnz .LBB393_17
.LBB393_15:
	v_mul_hi_u32 v0, s25, v10
	v_add_u32_e32 v0, v10, v0
	v_lshrrev_b32_e32 v1, s26, v0
	v_mul_lo_u32 v0, v1, s24
	v_sub_u32_e32 v2, v10, v0
	v_mul_lo_u32 v0, v2, s29
	s_andn2_b64 vcc, exec, s[50:51]
	v_mul_lo_u32 v2, v2, s28
	s_cbranch_vccnz .LBB393_17
; %bb.16:
	v_mul_hi_u32 v3, s48, v1
	v_add_u32_e32 v3, v1, v3
	v_lshrrev_b32_e32 v3, s49, v3
	v_mul_lo_u32 v3, v3, s27
	v_sub_u32_e32 v1, v1, v3
	v_mad_u64_u32 v[2:3], s[2:3], v1, s30, v[2:3]
	v_mad_u64_u32 v[0:1], s[2:3], v1, s31, v[0:1]
.LBB393_17:
	v_mov_b32_e32 v1, 0
	s_and_b32 s10, 0xffff, s76
	s_cmp_lt_i32 s10, 11
	v_lshl_add_u64 v[0:1], s[22:23], 0, v[0:1]
	s_cbranch_scc1 .LBB393_24
; %bb.18:
	s_cmp_gt_i32 s10, 25
	s_cbranch_scc0 .LBB393_33
; %bb.19:
	s_cmp_gt_i32 s10, 28
	s_cbranch_scc0 .LBB393_36
; %bb.20:
	s_cmp_gt_i32 s10, 43
	s_cbranch_scc0 .LBB393_38
; %bb.21:
	s_cmp_gt_i32 s10, 45
	s_cbranch_scc0 .LBB393_40
; %bb.22:
	s_cmp_eq_u32 s10, 46
	s_mov_b64 s[6:7], 0
	s_cbranch_scc0 .LBB393_42
; %bb.23:
	global_load_dword v3, v[0:1], off
	s_mov_b64 s[2:3], -1
	s_mov_b64 s[4:5], 0
	s_waitcnt vmcnt(0)
	v_lshlrev_b32_e32 v3, 16, v3
	v_cvt_f64_f32_e32 v[4:5], v3
	s_branch .LBB393_44
.LBB393_24:
	s_mov_b64 s[4:5], 0
                                        ; implicit-def: $vgpr4_vgpr5
	s_mov_b64 s[2:3], 0
	s_cbranch_execnz .LBB393_217
.LBB393_25:
	s_andn2_b64 vcc, exec, s[2:3]
	s_cbranch_vccnz .LBB393_264
.LBB393_26:
	v_max_f64 v[0:1], s[46:47], s[46:47]
	s_waitcnt vmcnt(0)
	v_max_f64 v[6:7], v[4:5], v[4:5]
	v_max_f64 v[0:1], v[6:7], v[0:1]
	v_cmp_u_f64_e32 vcc, v[4:5], v[4:5]
	v_mov_b32_e32 v3, 0
	s_and_b32 s12, s75, 0xff
	v_cndmask_b32_e32 v1, v1, v5, vcc
	v_cndmask_b32_e32 v0, v0, v4, vcc
	s_cmp_lt_i32 s12, 11
	v_lshl_add_u64 v[4:5], s[20:21], 0, v[2:3]
	s_cbranch_scc1 .LBB393_34
; %bb.27:
	s_and_b32 s13, 0xffff, s12
	s_cmp_gt_i32 s13, 25
	s_cbranch_scc0 .LBB393_37
; %bb.28:
	s_cmp_gt_i32 s13, 28
	s_cbranch_scc0 .LBB393_39
; %bb.29:
	;; [unrolled: 3-line block ×4, first 2 shown]
	s_mov_b64 s[8:9], 0
	s_mov_b64 s[2:3], -1
	s_cmp_eq_u32 s13, 46
	s_mov_b64 s[6:7], 0
	s_cbranch_scc0 .LBB393_48
; %bb.32:
	v_cvt_f32_f64_e32 v2, v[0:1]
	v_bfe_u32 v3, v2, 16, 1
	s_movk_i32 s2, 0x7fff
	v_add3_u32 v3, v2, v3, s2
	v_cmp_o_f32_e32 vcc, v2, v2
	v_mov_b32_e32 v2, 0x7fc0
	s_mov_b64 s[6:7], -1
	v_cndmask_b32_sdwa v2, v2, v3, vcc dst_sel:DWORD dst_unused:UNUSED_PAD src0_sel:DWORD src1_sel:WORD_1
	global_store_dword v[4:5], v2, off
	s_mov_b64 s[2:3], 0
	s_branch .LBB393_48
.LBB393_33:
	s_mov_b64 s[4:5], 0
	s_mov_b64 s[2:3], 0
                                        ; implicit-def: $vgpr4_vgpr5
	s_cbranch_execnz .LBB393_184
	s_branch .LBB393_216
.LBB393_34:
	s_mov_b64 s[2:3], 0
	s_mov_b64 s[6:7], 0
	s_cbranch_execnz .LBB393_117
.LBB393_35:
	s_andn2_b64 vcc, exec, s[6:7]
	s_cbranch_vccnz .LBB393_265
	s_branch .LBB393_155
.LBB393_36:
	s_mov_b64 s[6:7], -1
	s_mov_b64 s[4:5], 0
	s_mov_b64 s[2:3], 0
                                        ; implicit-def: $vgpr4_vgpr5
	s_branch .LBB393_163
.LBB393_37:
	s_mov_b64 s[8:9], -1
	s_mov_b64 s[2:3], 0
	s_mov_b64 s[6:7], 0
	s_branch .LBB393_75
.LBB393_38:
	s_mov_b64 s[6:7], -1
	s_mov_b64 s[4:5], 0
	s_mov_b64 s[2:3], 0
                                        ; implicit-def: $vgpr4_vgpr5
	s_branch .LBB393_158
.LBB393_39:
	s_mov_b64 s[8:9], -1
	s_mov_b64 s[2:3], 0
	s_mov_b64 s[6:7], 0
	s_branch .LBB393_58
.LBB393_40:
	s_mov_b64 s[6:7], -1
	s_mov_b64 s[4:5], 0
	s_branch .LBB393_43
.LBB393_41:
	s_mov_b64 s[8:9], -1
	s_mov_b64 s[2:3], 0
	s_mov_b64 s[6:7], 0
	s_branch .LBB393_54
.LBB393_42:
	s_mov_b64 s[4:5], -1
.LBB393_43:
	s_mov_b64 s[2:3], 0
                                        ; implicit-def: $vgpr4_vgpr5
.LBB393_44:
	s_and_b64 vcc, exec, s[6:7]
	s_cbranch_vccz .LBB393_157
; %bb.45:
	s_cmp_eq_u32 s10, 44
	s_cbranch_scc0 .LBB393_156
; %bb.46:
	global_load_ubyte v3, v[0:1], off
	s_movk_i32 s4, 0xff
	v_bfrev_b32_e32 v6, 4
	v_mov_b32_e32 v7, 0x7ff80000
	v_bfrev_b32_e32 v8, 28
	s_mov_b64 s[2:3], -1
	s_waitcnt vmcnt(0)
	v_lshlrev_b32_e32 v4, 23, v3
	v_cvt_f64_f32_e32 v[4:5], v4
	v_cmp_ne_u32_e32 vcc, s4, v3
	s_mov_b64 s[4:5], 0
	s_nop 0
	v_cndmask_b32_e32 v4, v6, v4, vcc
	v_cndmask_b32_e32 v5, v7, v5, vcc
	v_cmp_ne_u32_e32 vcc, 0, v3
	s_nop 1
	v_cndmask_b32_e32 v5, v8, v5, vcc
	v_cndmask_b32_e32 v4, 0, v4, vcc
	s_branch .LBB393_157
.LBB393_47:
	s_mov_b64 s[8:9], -1
	s_mov_b64 s[2:3], 0
	s_mov_b64 s[6:7], 0
.LBB393_48:
	s_and_b64 vcc, exec, s[8:9]
	s_cbranch_vccz .LBB393_53
; %bb.49:
	s_cmp_eq_u32 s13, 44
	s_mov_b64 s[2:3], -1
	s_cbranch_scc0 .LBB393_53
; %bb.50:
	v_cvt_f32_f64_e32 v2, v[0:1]
	v_bfe_u32 v3, v2, 23, 8
	s_movk_i32 s2, 0xff
	v_cmp_ne_u32_e32 vcc, s2, v3
	v_mov_b32_e32 v6, 0xff
	s_and_saveexec_b64 s[6:7], vcc
; %bb.51:
	s_mov_b32 s2, 0x3fffff
	v_lshrrev_b32_e32 v6, 23, v2
	v_and_b32_e32 v7, 0x400000, v2
	v_and_or_b32 v2, v2, s2, v3
	v_cmp_ne_u32_e32 vcc, 0, v7
	v_cmp_ne_u32_e64 s[2:3], 0, v2
	s_and_b64 s[2:3], vcc, s[2:3]
	s_nop 0
	v_cndmask_b32_e64 v2, 0, 1, s[2:3]
	v_add_u32_e32 v6, v6, v2
; %bb.52:
	s_or_b64 exec, exec, s[6:7]
	s_mov_b64 s[6:7], -1
	s_mov_b64 s[2:3], 0
	global_store_byte v[4:5], v6, off
.LBB393_53:
	s_mov_b64 s[8:9], 0
.LBB393_54:
	s_and_b64 vcc, exec, s[8:9]
	s_cbranch_vccz .LBB393_57
; %bb.55:
	s_cmp_eq_u32 s13, 29
	s_mov_b64 s[2:3], -1
	s_cbranch_scc0 .LBB393_57
; %bb.56:
	v_trunc_f64_e32 v[2:3], v[0:1]
	s_movk_i32 s2, 0xffe0
	v_ldexp_f64 v[6:7], v[2:3], s2
	v_floor_f64_e32 v[6:7], v[6:7]
	v_fmac_f64_e32 v[2:3], 0xc1f00000, v[6:7]
	v_cvt_u32_f64_e32 v9, v[6:7]
	v_cvt_u32_f64_e32 v8, v[2:3]
	global_store_dwordx2 v[4:5], v[8:9], off
	s_mov_b64 s[6:7], -1
	s_mov_b64 s[2:3], 0
.LBB393_57:
	s_mov_b64 s[8:9], 0
.LBB393_58:
	s_and_b64 vcc, exec, s[8:9]
	s_cbranch_vccz .LBB393_74
; %bb.59:
	s_cmp_lt_i32 s13, 27
	s_mov_b64 s[6:7], -1
	s_cbranch_scc1 .LBB393_65
; %bb.60:
	s_cmp_gt_i32 s13, 27
	v_cvt_u32_f64_e32 v2, v[0:1]
	s_cbranch_scc0 .LBB393_62
; %bb.61:
	s_mov_b64 s[6:7], 0
	global_store_dword v[4:5], v2, off
.LBB393_62:
	s_andn2_b64 vcc, exec, s[6:7]
	s_cbranch_vccnz .LBB393_64
; %bb.63:
	global_store_short v[4:5], v2, off
.LBB393_64:
	s_mov_b64 s[6:7], 0
.LBB393_65:
	s_andn2_b64 vcc, exec, s[6:7]
	s_cbranch_vccnz .LBB393_73
; %bb.66:
	v_cvt_f32_f64_e32 v2, v[0:1]
	v_and_b32_e32 v3, 0x7fffffff, v2
	s_mov_b32 s6, 0x43800000
	v_cmp_gt_u32_e32 vcc, s6, v3
	v_mov_b32_e32 v6, 0x80
	s_and_saveexec_b64 s[6:7], vcc
	s_cbranch_execz .LBB393_72
; %bb.67:
	s_mov_b32 s8, 0x3bffffff
	v_cmp_lt_u32_e32 vcc, s8, v3
	s_mov_b64 s[8:9], 0
                                        ; implicit-def: $vgpr3
	s_and_saveexec_b64 s[10:11], vcc
	s_xor_b64 s[10:11], exec, s[10:11]
	s_cbranch_execz .LBB393_309
; %bb.68:
	v_bfe_u32 v3, v2, 20, 1
	s_mov_b32 s14, 0x487ffff
	v_add3_u32 v3, v2, v3, s14
	s_mov_b64 s[8:9], exec
	v_lshrrev_b32_e32 v3, 20, v3
	s_andn2_saveexec_b64 s[10:11], s[10:11]
	s_cbranch_execnz .LBB393_310
.LBB393_69:
	s_or_b64 exec, exec, s[10:11]
	v_mov_b32_e32 v6, 0
	s_and_saveexec_b64 s[10:11], s[8:9]
.LBB393_70:
	v_lshrrev_b32_e32 v2, 24, v2
	s_movk_i32 s8, 0x80
	v_and_or_b32 v6, v2, s8, v3
.LBB393_71:
	s_or_b64 exec, exec, s[10:11]
.LBB393_72:
	s_or_b64 exec, exec, s[6:7]
	global_store_byte v[4:5], v6, off
.LBB393_73:
	s_mov_b64 s[6:7], -1
.LBB393_74:
	s_mov_b64 s[8:9], 0
.LBB393_75:
	s_and_b64 vcc, exec, s[8:9]
	s_cbranch_vccz .LBB393_116
; %bb.76:
	s_cmp_gt_i32 s13, 22
	s_mov_b64 s[8:9], -1
	s_cbranch_scc0 .LBB393_108
; %bb.77:
	s_cmp_lt_i32 s13, 24
	s_mov_b64 s[6:7], -1
	s_cbranch_scc1 .LBB393_97
; %bb.78:
	s_cmp_gt_i32 s13, 24
	s_cbranch_scc0 .LBB393_86
; %bb.79:
	v_cvt_f32_f64_e32 v2, v[0:1]
	v_and_b32_e32 v3, 0x7fffffff, v2
	s_mov_b32 s6, 0x47800000
	v_cmp_gt_u32_e32 vcc, s6, v3
	v_mov_b32_e32 v6, 0x80
	s_and_saveexec_b64 s[6:7], vcc
	s_cbranch_execz .LBB393_85
; %bb.80:
	s_mov_b32 s8, 0x37ffffff
	v_cmp_lt_u32_e32 vcc, s8, v3
	s_mov_b64 s[8:9], 0
                                        ; implicit-def: $vgpr3
	s_and_saveexec_b64 s[10:11], vcc
	s_xor_b64 s[10:11], exec, s[10:11]
	s_cbranch_execz .LBB393_313
; %bb.81:
	v_bfe_u32 v3, v2, 21, 1
	s_mov_b32 s14, 0x88fffff
	v_add3_u32 v3, v2, v3, s14
	s_mov_b64 s[8:9], exec
	v_lshrrev_b32_e32 v3, 21, v3
	s_andn2_saveexec_b64 s[10:11], s[10:11]
	s_cbranch_execnz .LBB393_314
.LBB393_82:
	s_or_b64 exec, exec, s[10:11]
	v_mov_b32_e32 v6, 0
	s_and_saveexec_b64 s[10:11], s[8:9]
.LBB393_83:
	v_lshrrev_b32_e32 v2, 24, v2
	s_movk_i32 s8, 0x80
	v_and_or_b32 v6, v2, s8, v3
.LBB393_84:
	s_or_b64 exec, exec, s[10:11]
.LBB393_85:
	s_or_b64 exec, exec, s[6:7]
	s_mov_b64 s[6:7], 0
	global_store_byte v[4:5], v6, off
.LBB393_86:
	s_and_b64 vcc, exec, s[6:7]
	s_cbranch_vccz .LBB393_96
; %bb.87:
	v_cvt_f32_f64_e32 v2, v[0:1]
	v_and_b32_e32 v6, 0x7fffffff, v2
	s_mov_b32 s6, 0x43f00000
	v_cmp_gt_u32_e32 vcc, s6, v6
                                        ; implicit-def: $vgpr3
	s_and_saveexec_b64 s[6:7], vcc
	s_xor_b64 s[6:7], exec, s[6:7]
	s_cbranch_execz .LBB393_93
; %bb.88:
	s_mov_b32 s8, 0x3c7fffff
	v_cmp_lt_u32_e32 vcc, s8, v6
                                        ; implicit-def: $vgpr3
	s_and_saveexec_b64 s[8:9], vcc
	s_xor_b64 s[8:9], exec, s[8:9]
; %bb.89:
	v_bfe_u32 v3, v2, 20, 1
	s_mov_b32 s10, 0x407ffff
	v_add3_u32 v3, v2, v3, s10
	v_lshrrev_b32_e32 v6, 20, v3
	v_and_b32_e32 v3, 0xff00000, v3
	s_mov_b32 s10, 0x7f00000
	v_mov_b32_e32 v7, 0x7e
	v_cmp_ne_u32_e32 vcc, s10, v3
	s_nop 1
	v_cndmask_b32_e32 v3, v7, v6, vcc
; %bb.90:
	s_andn2_saveexec_b64 s[8:9], s[8:9]
; %bb.91:
	s_mov_b32 s10, 0x46800000
	v_add_f32_e64 v3, |v2|, s10
; %bb.92:
	s_or_b64 exec, exec, s[8:9]
                                        ; implicit-def: $vgpr6
.LBB393_93:
	s_andn2_saveexec_b64 s[6:7], s[6:7]
; %bb.94:
	s_mov_b32 s8, 0x7f800000
	v_mov_b32_e32 v3, 0x7e
	v_mov_b32_e32 v7, 0x7f
	v_cmp_lt_u32_e32 vcc, s8, v6
	s_nop 1
	v_cndmask_b32_e32 v3, v3, v7, vcc
; %bb.95:
	s_or_b64 exec, exec, s[6:7]
	v_lshrrev_b32_e32 v2, 24, v2
	s_movk_i32 s6, 0x80
	v_and_or_b32 v2, v2, s6, v3
	global_store_byte v[4:5], v2, off
.LBB393_96:
	s_mov_b64 s[6:7], 0
.LBB393_97:
	s_andn2_b64 vcc, exec, s[6:7]
	s_cbranch_vccnz .LBB393_107
; %bb.98:
	v_cvt_f32_f64_e32 v2, v[0:1]
	v_and_b32_e32 v6, 0x7fffffff, v2
	s_mov_b32 s6, 0x47800000
	v_cmp_gt_u32_e32 vcc, s6, v6
                                        ; implicit-def: $vgpr3
	s_and_saveexec_b64 s[6:7], vcc
	s_xor_b64 s[6:7], exec, s[6:7]
	s_cbranch_execz .LBB393_104
; %bb.99:
	s_mov_b32 s8, 0x387fffff
	v_cmp_lt_u32_e32 vcc, s8, v6
                                        ; implicit-def: $vgpr3
	s_and_saveexec_b64 s[8:9], vcc
	s_xor_b64 s[8:9], exec, s[8:9]
; %bb.100:
	v_bfe_u32 v3, v2, 21, 1
	s_mov_b32 s10, 0x80fffff
	v_add3_u32 v3, v2, v3, s10
	v_lshrrev_b32_e32 v3, 21, v3
; %bb.101:
	s_andn2_saveexec_b64 s[8:9], s[8:9]
; %bb.102:
	s_mov_b32 s10, 0x43000000
	v_add_f32_e64 v3, |v2|, s10
; %bb.103:
	s_or_b64 exec, exec, s[8:9]
                                        ; implicit-def: $vgpr6
.LBB393_104:
	s_andn2_saveexec_b64 s[6:7], s[6:7]
; %bb.105:
	s_mov_b32 s8, 0x7f800000
	v_mov_b32_e32 v3, 0x7c
	v_mov_b32_e32 v7, 0x7f
	v_cmp_lt_u32_e32 vcc, s8, v6
	s_nop 1
	v_cndmask_b32_e32 v3, v3, v7, vcc
; %bb.106:
	s_or_b64 exec, exec, s[6:7]
	v_lshrrev_b32_e32 v2, 24, v2
	s_movk_i32 s6, 0x80
	v_and_or_b32 v2, v2, s6, v3
	global_store_byte v[4:5], v2, off
.LBB393_107:
	s_mov_b64 s[8:9], 0
	s_mov_b64 s[6:7], -1
.LBB393_108:
	s_andn2_b64 vcc, exec, s[8:9]
	s_cbranch_vccnz .LBB393_116
; %bb.109:
	s_cmp_gt_i32 s13, 14
	s_mov_b64 s[8:9], -1
	s_cbranch_scc0 .LBB393_113
; %bb.110:
	s_cmp_eq_u32 s13, 15
	s_mov_b64 s[2:3], -1
	s_cbranch_scc0 .LBB393_112
; %bb.111:
	v_cvt_f32_f64_e32 v2, v[0:1]
	v_bfe_u32 v3, v2, 16, 1
	s_movk_i32 s2, 0x7fff
	v_add3_u32 v3, v2, v3, s2
	v_cmp_o_f32_e32 vcc, v2, v2
	v_mov_b32_e32 v2, 0x7fc0
	s_mov_b64 s[6:7], -1
	v_cndmask_b32_sdwa v2, v2, v3, vcc dst_sel:DWORD dst_unused:UNUSED_PAD src0_sel:DWORD src1_sel:WORD_1
	global_store_short v[4:5], v2, off
	s_mov_b64 s[2:3], 0
.LBB393_112:
	s_mov_b64 s[8:9], 0
.LBB393_113:
	s_and_b64 vcc, exec, s[8:9]
	s_cbranch_vccz .LBB393_116
; %bb.114:
	s_cmp_eq_u32 s13, 11
	s_mov_b64 s[2:3], -1
	s_cbranch_scc0 .LBB393_116
; %bb.115:
	v_cmp_neq_f64_e32 vcc, 0, v[0:1]
	s_mov_b64 s[2:3], 0
	s_mov_b64 s[6:7], -1
	v_cndmask_b32_e64 v2, 0, 1, vcc
	global_store_byte v[4:5], v2, off
.LBB393_116:
	s_branch .LBB393_35
.LBB393_117:
	s_and_b32 s8, 0xffff, s12
	s_cmp_lt_i32 s8, 5
	s_mov_b64 s[6:7], -1
	s_cbranch_scc1 .LBB393_138
; %bb.118:
	s_cmp_lt_i32 s8, 8
	s_cbranch_scc1 .LBB393_128
; %bb.119:
	s_cmp_lt_i32 s8, 9
	s_cbranch_scc1 .LBB393_125
; %bb.120:
	s_cmp_gt_i32 s8, 9
	s_cbranch_scc0 .LBB393_122
; %bb.121:
	v_mov_b32_e32 v2, 0
	v_mov_b32_e32 v3, v2
	global_store_dwordx4 v[4:5], v[0:3], off
	s_mov_b64 s[6:7], 0
.LBB393_122:
	s_andn2_b64 vcc, exec, s[6:7]
	s_cbranch_vccnz .LBB393_124
; %bb.123:
	v_cvt_f32_f64_e32 v2, v[0:1]
	v_mov_b32_e32 v3, 0
	global_store_dwordx2 v[4:5], v[2:3], off
.LBB393_124:
	s_mov_b64 s[6:7], 0
.LBB393_125:
	s_andn2_b64 vcc, exec, s[6:7]
	s_cbranch_vccnz .LBB393_127
; %bb.126:
	s_movk_i32 s6, 0x1ff
	v_and_or_b32 v2, v1, s6, v0
	v_cmp_ne_u32_e32 vcc, 0, v2
	v_lshrrev_b32_e32 v3, 8, v1
	s_movk_i32 s6, 0xffe
	v_cndmask_b32_e64 v2, 0, 1, vcc
	v_bfe_u32 v6, v1, 20, 11
	v_and_or_b32 v2, v3, s6, v2
	v_sub_u32_e32 v7, 0x3f1, v6
	v_or_b32_e32 v3, 0x1000, v2
	v_med3_i32 v7, v7, 0, 13
	v_lshrrev_b32_e32 v8, v7, v3
	v_lshlrev_b32_e32 v7, v7, v8
	v_cmp_ne_u32_e32 vcc, v7, v3
	v_add_u32_e32 v6, 0xfffffc10, v6
	v_lshl_or_b32 v7, v6, 12, v2
	v_cndmask_b32_e64 v3, 0, 1, vcc
	v_or_b32_e32 v3, v8, v3
	v_cmp_gt_i32_e32 vcc, 1, v6
	s_movk_i32 s6, 0x40f
	s_nop 0
	v_cndmask_b32_e32 v3, v7, v3, vcc
	v_and_b32_e32 v7, 7, v3
	v_cmp_lt_i32_e32 vcc, 5, v7
	v_lshrrev_b32_e32 v3, 2, v3
	s_nop 0
	v_cndmask_b32_e64 v8, 0, 1, vcc
	v_cmp_eq_u32_e32 vcc, 3, v7
	s_nop 1
	v_cndmask_b32_e64 v7, 0, 1, vcc
	v_or_b32_e32 v7, v7, v8
	v_add_u32_e32 v3, v3, v7
	v_mov_b32_e32 v7, 0x7c00
	v_cmp_gt_i32_e32 vcc, 31, v6
	v_mov_b32_e32 v8, 0x7e00
	s_nop 0
	v_cndmask_b32_e32 v3, v7, v3, vcc
	v_cmp_ne_u32_e32 vcc, 0, v2
	s_nop 1
	v_cndmask_b32_e32 v2, v7, v8, vcc
	v_cmp_eq_u32_e32 vcc, s6, v6
	s_mov_b32 s6, 0x8000
	s_nop 0
	v_cndmask_b32_e32 v2, v3, v2, vcc
	v_and_b32_sdwa v3, v1, s6 dst_sel:DWORD dst_unused:UNUSED_PAD src0_sel:WORD_1 src1_sel:DWORD
	s_mov_b32 s6, 0xffff
	v_bitop3_b32 v2, v3, s6, v2 bitop3:0xc8
	global_store_dword v[4:5], v2, off
.LBB393_127:
	s_mov_b64 s[6:7], 0
.LBB393_128:
	s_andn2_b64 vcc, exec, s[6:7]
	s_cbranch_vccnz .LBB393_137
; %bb.129:
	s_cmp_lt_i32 s8, 6
	s_mov_b64 s[6:7], -1
	s_cbranch_scc1 .LBB393_135
; %bb.130:
	s_cmp_gt_i32 s8, 6
	s_cbranch_scc0 .LBB393_132
; %bb.131:
	global_store_dwordx2 v[4:5], v[0:1], off
	s_mov_b64 s[6:7], 0
.LBB393_132:
	s_andn2_b64 vcc, exec, s[6:7]
	s_cbranch_vccnz .LBB393_134
; %bb.133:
	v_cvt_f32_f64_e32 v2, v[0:1]
	global_store_dword v[4:5], v2, off
.LBB393_134:
	s_mov_b64 s[6:7], 0
.LBB393_135:
	s_andn2_b64 vcc, exec, s[6:7]
	s_cbranch_vccnz .LBB393_137
; %bb.136:
	s_movk_i32 s6, 0x1ff
	v_and_or_b32 v2, v1, s6, v0
	v_cmp_ne_u32_e32 vcc, 0, v2
	v_lshrrev_b32_e32 v3, 8, v1
	s_movk_i32 s6, 0xffe
	v_cndmask_b32_e64 v2, 0, 1, vcc
	v_bfe_u32 v6, v1, 20, 11
	v_and_or_b32 v2, v3, s6, v2
	v_sub_u32_e32 v7, 0x3f1, v6
	v_or_b32_e32 v3, 0x1000, v2
	v_med3_i32 v7, v7, 0, 13
	v_lshrrev_b32_e32 v8, v7, v3
	v_lshlrev_b32_e32 v7, v7, v8
	v_cmp_ne_u32_e32 vcc, v7, v3
	v_add_u32_e32 v6, 0xfffffc10, v6
	v_lshl_or_b32 v7, v6, 12, v2
	v_cndmask_b32_e64 v3, 0, 1, vcc
	v_or_b32_e32 v3, v8, v3
	v_cmp_gt_i32_e32 vcc, 1, v6
	s_movk_i32 s6, 0x40f
	s_nop 0
	v_cndmask_b32_e32 v3, v7, v3, vcc
	v_and_b32_e32 v7, 7, v3
	v_cmp_lt_i32_e32 vcc, 5, v7
	v_lshrrev_b32_e32 v3, 2, v3
	s_nop 0
	v_cndmask_b32_e64 v8, 0, 1, vcc
	v_cmp_eq_u32_e32 vcc, 3, v7
	s_nop 1
	v_cndmask_b32_e64 v7, 0, 1, vcc
	v_or_b32_e32 v7, v7, v8
	v_add_u32_e32 v3, v3, v7
	v_mov_b32_e32 v7, 0x7c00
	v_cmp_gt_i32_e32 vcc, 31, v6
	v_mov_b32_e32 v8, 0x7e00
	s_nop 0
	v_cndmask_b32_e32 v3, v7, v3, vcc
	v_cmp_ne_u32_e32 vcc, 0, v2
	s_nop 1
	v_cndmask_b32_e32 v2, v7, v8, vcc
	v_cmp_eq_u32_e32 vcc, s6, v6
	s_mov_b32 s6, 0x8000
	s_nop 0
	v_cndmask_b32_e32 v2, v3, v2, vcc
	v_lshrrev_b32_e32 v3, 16, v1
	v_and_or_b32 v2, v3, s6, v2
	global_store_short v[4:5], v2, off
.LBB393_137:
	s_mov_b64 s[6:7], 0
.LBB393_138:
	s_andn2_b64 vcc, exec, s[6:7]
	s_cbranch_vccnz .LBB393_154
; %bb.139:
	s_cmp_lt_i32 s8, 2
	s_mov_b64 s[6:7], -1
	s_cbranch_scc1 .LBB393_149
; %bb.140:
	s_cmp_lt_i32 s8, 3
	s_cbranch_scc1 .LBB393_146
; %bb.141:
	s_cmp_gt_i32 s8, 3
	s_cbranch_scc0 .LBB393_143
; %bb.142:
	v_trunc_f64_e32 v[2:3], v[0:1]
	s_movk_i32 s6, 0xffe0
	v_ldexp_f64 v[6:7], v[2:3], s6
	v_floor_f64_e32 v[6:7], v[6:7]
	v_fmac_f64_e32 v[2:3], 0xc1f00000, v[6:7]
	v_cvt_i32_f64_e32 v9, v[6:7]
	v_cvt_u32_f64_e32 v8, v[2:3]
	global_store_dwordx2 v[4:5], v[8:9], off
	s_mov_b64 s[6:7], 0
.LBB393_143:
	s_andn2_b64 vcc, exec, s[6:7]
	s_cbranch_vccnz .LBB393_145
; %bb.144:
	v_cvt_i32_f64_e32 v2, v[0:1]
	global_store_dword v[4:5], v2, off
.LBB393_145:
	s_mov_b64 s[6:7], 0
.LBB393_146:
	s_andn2_b64 vcc, exec, s[6:7]
	s_cbranch_vccnz .LBB393_148
; %bb.147:
	v_cvt_i32_f64_e32 v2, v[0:1]
	global_store_short v[4:5], v2, off
.LBB393_148:
	s_mov_b64 s[6:7], 0
.LBB393_149:
	s_andn2_b64 vcc, exec, s[6:7]
	s_cbranch_vccnz .LBB393_154
; %bb.150:
	s_cmp_gt_i32 s8, 0
	s_mov_b64 s[6:7], -1
	s_cbranch_scc0 .LBB393_152
; %bb.151:
	v_cvt_i32_f64_e32 v2, v[0:1]
	global_store_byte v[4:5], v2, off
	s_mov_b64 s[6:7], 0
.LBB393_152:
	s_andn2_b64 vcc, exec, s[6:7]
	s_cbranch_vccnz .LBB393_154
; %bb.153:
	v_trunc_f64_e32 v[0:1], v[0:1]
	s_movk_i32 s6, 0xffe0
	v_ldexp_f64 v[2:3], v[0:1], s6
	v_floor_f64_e32 v[2:3], v[2:3]
	v_fmac_f64_e32 v[0:1], 0xc1f00000, v[2:3]
	v_cvt_u32_f64_e32 v0, v[0:1]
	global_store_byte v[4:5], v0, off
.LBB393_154:
.LBB393_155:
	v_add_u32_e32 v10, 0x80, v10
	s_mov_b64 s[6:7], -1
	s_branch .LBB393_266
.LBB393_156:
	s_mov_b64 s[4:5], -1
                                        ; implicit-def: $vgpr4_vgpr5
.LBB393_157:
	s_mov_b64 s[6:7], 0
.LBB393_158:
	s_and_b64 vcc, exec, s[6:7]
	s_cbranch_vccz .LBB393_162
; %bb.159:
	s_cmp_eq_u32 s10, 29
	s_cbranch_scc0 .LBB393_161
; %bb.160:
	global_load_dwordx2 v[4:5], v[0:1], off
	s_mov_b64 s[2:3], -1
	s_mov_b64 s[4:5], 0
	s_mov_b64 s[6:7], 0
	s_waitcnt vmcnt(0)
	v_cvt_f64_u32_e32 v[6:7], v5
	v_cvt_f64_u32_e32 v[4:5], v4
	v_ldexp_f64 v[6:7], v[6:7], 32
	v_add_f64 v[4:5], v[6:7], v[4:5]
	s_branch .LBB393_163
.LBB393_161:
	s_mov_b64 s[4:5], -1
                                        ; implicit-def: $vgpr4_vgpr5
.LBB393_162:
	s_mov_b64 s[6:7], 0
.LBB393_163:
	s_and_b64 vcc, exec, s[6:7]
	s_cbranch_vccz .LBB393_183
; %bb.164:
	s_cmp_lt_i32 s10, 27
	s_cbranch_scc1 .LBB393_167
; %bb.165:
	s_cmp_gt_i32 s10, 27
	s_cbranch_scc0 .LBB393_168
; %bb.166:
	global_load_dword v3, v[0:1], off
	s_mov_b64 s[2:3], 0
	s_waitcnt vmcnt(0)
	v_cvt_f64_u32_e32 v[4:5], v3
	s_branch .LBB393_169
.LBB393_167:
	s_mov_b64 s[2:3], -1
                                        ; implicit-def: $vgpr4_vgpr5
	s_branch .LBB393_172
.LBB393_168:
	s_mov_b64 s[2:3], -1
                                        ; implicit-def: $vgpr4_vgpr5
.LBB393_169:
	s_andn2_b64 vcc, exec, s[2:3]
	s_cbranch_vccnz .LBB393_171
; %bb.170:
	global_load_ushort v3, v[0:1], off
	s_waitcnt vmcnt(0)
	v_cvt_f64_u32_e32 v[4:5], v3
.LBB393_171:
	s_mov_b64 s[2:3], 0
.LBB393_172:
	s_andn2_b64 vcc, exec, s[2:3]
	s_cbranch_vccnz .LBB393_182
; %bb.173:
	global_load_ubyte v3, v[0:1], off
	s_movk_i32 s2, 0x7f
	s_waitcnt vmcnt(0)
	v_cmp_lt_i16_e32 vcc, s2, v3
	s_mov_b64 s[2:3], 0
	s_and_saveexec_b64 s[6:7], vcc
	s_xor_b64 s[6:7], exec, s[6:7]
	s_cbranch_execz .LBB393_177
; %bb.174:
	s_movk_i32 s2, 0x80
	v_cmp_eq_u16_e32 vcc, s2, v3
	s_mov_b64 s[2:3], -1
	s_and_saveexec_b64 s[8:9], vcc
; %bb.175:
	s_xor_b64 s[2:3], exec, -1
; %bb.176:
	s_or_b64 exec, exec, s[8:9]
	s_and_b64 s[2:3], s[2:3], exec
.LBB393_177:
	s_or_saveexec_b64 s[6:7], s[6:7]
	v_bfrev_b32_e32 v4, 4
	v_mov_b32_e32 v5, 0x7ff80000
	s_xor_b64 exec, exec, s[6:7]
; %bb.178:
	v_cmp_ne_u16_e32 vcc, 0, v3
	s_andn2_b64 s[2:3], s[2:3], exec
	s_and_b64 s[8:9], vcc, exec
	v_mov_b64_e32 v[4:5], 0
	s_or_b64 s[2:3], s[2:3], s[8:9]
; %bb.179:
	s_or_b64 exec, exec, s[6:7]
	s_and_saveexec_b64 s[6:7], s[2:3]
	s_cbranch_execz .LBB393_181
; %bb.180:
	v_lshlrev_b32_e32 v4, 24, v3
	v_and_b32_e32 v3, 0xffff, v3
	v_and_b32_e32 v5, 7, v3
	v_ffbh_u32_e32 v7, v5
	v_min_u32_e32 v7, 32, v7
	v_subrev_u32_e32 v8, 28, v7
	v_bfe_u32 v6, v3, 3, 4
	v_lshlrev_b32_e32 v3, v8, v3
	v_sub_u32_e32 v7, 29, v7
	v_and_b32_e32 v3, 7, v3
	v_cmp_eq_u32_e32 vcc, 0, v6
	v_and_b32_e32 v4, 0x80000000, v4
	s_nop 0
	v_cndmask_b32_e32 v6, v6, v7, vcc
	v_cndmask_b32_e32 v3, v5, v3, vcc
	v_mov_b32_e32 v5, 0x3b800000
	v_lshlrev_b32_e32 v3, 20, v3
	v_lshl_add_u32 v5, v6, 23, v5
	v_or3_b32 v3, v4, v5, v3
	v_cvt_f64_f32_e32 v[4:5], v3
.LBB393_181:
	s_or_b64 exec, exec, s[6:7]
.LBB393_182:
	s_mov_b64 s[2:3], -1
.LBB393_183:
	s_branch .LBB393_216
.LBB393_184:
	s_cmp_gt_i32 s10, 22
	s_cbranch_scc0 .LBB393_196
; %bb.185:
	s_cmp_lt_i32 s10, 24
	s_cbranch_scc1 .LBB393_197
; %bb.186:
	s_cmp_gt_i32 s10, 24
	s_cbranch_scc0 .LBB393_198
; %bb.187:
	global_load_ubyte v3, v[0:1], off
	s_movk_i32 s2, 0x7f
	s_waitcnt vmcnt(0)
	v_cmp_lt_i16_e32 vcc, s2, v3
	s_mov_b64 s[2:3], 0
	s_and_saveexec_b64 s[6:7], vcc
	s_xor_b64 s[6:7], exec, s[6:7]
	s_cbranch_execz .LBB393_191
; %bb.188:
	s_movk_i32 s2, 0x80
	v_cmp_eq_u16_e32 vcc, s2, v3
	s_mov_b64 s[2:3], -1
	s_and_saveexec_b64 s[8:9], vcc
; %bb.189:
	s_xor_b64 s[2:3], exec, -1
; %bb.190:
	s_or_b64 exec, exec, s[8:9]
	s_and_b64 s[2:3], s[2:3], exec
.LBB393_191:
	s_or_saveexec_b64 s[6:7], s[6:7]
	v_bfrev_b32_e32 v4, 4
	v_mov_b32_e32 v5, 0x7ff80000
	s_xor_b64 exec, exec, s[6:7]
; %bb.192:
	v_cmp_ne_u16_e32 vcc, 0, v3
	s_andn2_b64 s[2:3], s[2:3], exec
	s_and_b64 s[8:9], vcc, exec
	v_mov_b64_e32 v[4:5], 0
	s_or_b64 s[2:3], s[2:3], s[8:9]
; %bb.193:
	s_or_b64 exec, exec, s[6:7]
	s_and_saveexec_b64 s[6:7], s[2:3]
	s_cbranch_execz .LBB393_195
; %bb.194:
	v_lshlrev_b32_e32 v4, 24, v3
	v_and_b32_e32 v3, 0xffff, v3
	v_and_b32_e32 v5, 3, v3
	v_ffbh_u32_e32 v7, v5
	v_min_u32_e32 v7, 32, v7
	v_subrev_u32_e32 v8, 29, v7
	v_bfe_u32 v6, v3, 2, 5
	v_lshlrev_b32_e32 v3, v8, v3
	v_sub_u32_e32 v7, 30, v7
	v_and_b32_e32 v3, 3, v3
	v_cmp_eq_u32_e32 vcc, 0, v6
	v_and_b32_e32 v4, 0x80000000, v4
	s_nop 0
	v_cndmask_b32_e32 v6, v6, v7, vcc
	v_cndmask_b32_e32 v3, v5, v3, vcc
	v_mov_b32_e32 v5, 0x37800000
	v_lshlrev_b32_e32 v3, 21, v3
	v_lshl_add_u32 v5, v6, 23, v5
	v_or3_b32 v3, v4, v5, v3
	v_cvt_f64_f32_e32 v[4:5], v3
.LBB393_195:
	s_or_b64 exec, exec, s[6:7]
	s_mov_b64 s[2:3], 0
	s_branch .LBB393_199
.LBB393_196:
	s_mov_b64 s[6:7], -1
                                        ; implicit-def: $vgpr4_vgpr5
	s_branch .LBB393_205
.LBB393_197:
	s_mov_b64 s[2:3], -1
                                        ; implicit-def: $vgpr4_vgpr5
	s_branch .LBB393_202
.LBB393_198:
	s_mov_b64 s[2:3], -1
                                        ; implicit-def: $vgpr4_vgpr5
.LBB393_199:
	s_and_b64 vcc, exec, s[2:3]
	s_cbranch_vccz .LBB393_201
; %bb.200:
	global_load_ubyte v3, v[0:1], off
	s_mov_b32 s2, 0x7f800000
	s_waitcnt vmcnt(0)
	v_lshlrev_b32_e32 v3, 24, v3
	v_and_b32_e32 v4, 0x7f000000, v3
	v_ffbh_u32_e32 v5, v4
	v_min_u32_e32 v5, 32, v5
	v_sub_u32_e64 v5, v5, 4 clamp
	v_lshlrev_b32_e32 v7, v5, v4
	v_lshlrev_b32_e32 v5, 23, v5
	v_lshrrev_b32_e32 v7, 4, v7
	v_add_u32_e32 v6, 0x1000000, v4
	v_sub_u32_e32 v5, v7, v5
	v_ashrrev_i32_e32 v6, 8, v6
	v_add_u32_e32 v5, 0x3c000000, v5
	v_and_or_b32 v5, v6, s2, v5
	v_cmp_ne_u32_e32 vcc, 0, v4
	s_brev_b32 s2, 1
	s_nop 0
	v_cndmask_b32_e32 v4, 0, v5, vcc
	v_and_or_b32 v3, v3, s2, v4
	v_cvt_f64_f32_e32 v[4:5], v3
.LBB393_201:
	s_mov_b64 s[2:3], 0
.LBB393_202:
	s_andn2_b64 vcc, exec, s[2:3]
	s_cbranch_vccnz .LBB393_204
; %bb.203:
	global_load_ubyte v3, v[0:1], off
	s_movk_i32 s2, 0x7f00
	s_brev_b32 s3, 16
	s_waitcnt vmcnt(0)
	v_lshlrev_b16_e32 v4, 8, v3
	v_lshlrev_b32_e32 v3, 25, v3
	v_lshrrev_b32_e32 v5, 4, v3
	v_and_or_b32 v6, v4, s2, 0.5
	v_or_b32_e32 v5, 0x70000000, v5
	v_add_f32_e32 v6, -0.5, v6
	v_mul_f32_e32 v5, 0x7800000, v5
	v_cmp_gt_u32_e32 vcc, s3, v3
	v_bfe_i32 v4, v4, 0, 16
	s_brev_b32 s2, 1
	v_cndmask_b32_e32 v3, v5, v6, vcc
	v_and_or_b32 v3, v4, s2, v3
	v_cvt_f64_f32_e32 v[4:5], v3
.LBB393_204:
	s_mov_b64 s[6:7], 0
	s_mov_b64 s[2:3], -1
.LBB393_205:
	s_andn2_b64 vcc, exec, s[6:7]
	s_cbranch_vccnz .LBB393_216
; %bb.206:
	s_cmp_gt_i32 s10, 14
	s_cbranch_scc0 .LBB393_209
; %bb.207:
	s_cmp_eq_u32 s10, 15
	s_cbranch_scc0 .LBB393_210
; %bb.208:
	global_load_ushort v3, v[0:1], off
	s_mov_b64 s[2:3], -1
	s_mov_b64 s[4:5], 0
	s_waitcnt vmcnt(0)
	v_lshlrev_b32_e32 v3, 16, v3
	v_cvt_f64_f32_e32 v[4:5], v3
	s_branch .LBB393_211
.LBB393_209:
	s_mov_b64 s[6:7], -1
                                        ; implicit-def: $vgpr4_vgpr5
	s_branch .LBB393_212
.LBB393_210:
	s_mov_b64 s[4:5], -1
                                        ; implicit-def: $vgpr4_vgpr5
.LBB393_211:
	s_mov_b64 s[6:7], 0
.LBB393_212:
	s_and_b64 vcc, exec, s[6:7]
	s_cbranch_vccz .LBB393_216
; %bb.213:
	s_cmp_eq_u32 s10, 11
	s_cbranch_scc0 .LBB393_215
; %bb.214:
	global_load_ubyte v3, v[0:1], off
	v_mov_b32_e32 v5, 0x3ff00000
	v_mov_b32_e32 v4, 0
	s_mov_b64 s[2:3], -1
	s_mov_b64 s[4:5], 0
	s_waitcnt vmcnt(0)
	v_cmp_ne_u16_e32 vcc, 0, v3
	s_nop 1
	v_cndmask_b32_e32 v5, 0, v5, vcc
	s_branch .LBB393_216
.LBB393_215:
	s_mov_b64 s[4:5], -1
                                        ; implicit-def: $vgpr4_vgpr5
.LBB393_216:
	s_branch .LBB393_25
.LBB393_217:
	s_cmp_lt_i32 s10, 5
	s_cbranch_scc1 .LBB393_222
; %bb.218:
	s_cmp_lt_i32 s10, 8
	s_cbranch_scc1 .LBB393_223
; %bb.219:
	s_cmp_lt_i32 s10, 9
	s_cbranch_scc1 .LBB393_224
; %bb.220:
	s_cmp_gt_i32 s10, 9
	s_cbranch_scc0 .LBB393_225
; %bb.221:
	global_load_dwordx2 v[4:5], v[0:1], off
	s_mov_b64 s[2:3], 0
	s_branch .LBB393_226
.LBB393_222:
                                        ; implicit-def: $vgpr4_vgpr5
	s_branch .LBB393_244
.LBB393_223:
	s_mov_b64 s[2:3], -1
                                        ; implicit-def: $vgpr4_vgpr5
	s_branch .LBB393_232
.LBB393_224:
	s_mov_b64 s[2:3], -1
                                        ; implicit-def: $vgpr4_vgpr5
	s_branch .LBB393_229
.LBB393_225:
	s_mov_b64 s[2:3], -1
                                        ; implicit-def: $vgpr4_vgpr5
.LBB393_226:
	s_andn2_b64 vcc, exec, s[2:3]
	s_cbranch_vccnz .LBB393_228
; %bb.227:
	global_load_dword v3, v[0:1], off
	s_waitcnt vmcnt(0)
	v_cvt_f64_f32_e32 v[4:5], v3
.LBB393_228:
	s_mov_b64 s[2:3], 0
.LBB393_229:
	s_andn2_b64 vcc, exec, s[2:3]
	s_cbranch_vccnz .LBB393_231
; %bb.230:
	global_load_dword v3, v[0:1], off
	s_waitcnt vmcnt(0)
	v_cvt_f32_f16_e32 v3, v3
	v_cvt_f64_f32_e32 v[4:5], v3
.LBB393_231:
	s_mov_b64 s[2:3], 0
.LBB393_232:
	s_andn2_b64 vcc, exec, s[2:3]
	s_cbranch_vccnz .LBB393_243
; %bb.233:
	s_cmp_lt_i32 s10, 6
	s_cbranch_scc1 .LBB393_236
; %bb.234:
	s_cmp_gt_i32 s10, 6
	s_cbranch_scc0 .LBB393_237
; %bb.235:
	global_load_dwordx2 v[4:5], v[0:1], off
	s_mov_b64 s[2:3], 0
	s_branch .LBB393_238
.LBB393_236:
	s_mov_b64 s[2:3], -1
                                        ; implicit-def: $vgpr4_vgpr5
	s_branch .LBB393_241
.LBB393_237:
	s_mov_b64 s[2:3], -1
                                        ; implicit-def: $vgpr4_vgpr5
.LBB393_238:
	s_andn2_b64 vcc, exec, s[2:3]
	s_cbranch_vccnz .LBB393_240
; %bb.239:
	global_load_dword v3, v[0:1], off
	s_waitcnt vmcnt(0)
	v_cvt_f64_f32_e32 v[4:5], v3
.LBB393_240:
	s_mov_b64 s[2:3], 0
.LBB393_241:
	s_andn2_b64 vcc, exec, s[2:3]
	s_cbranch_vccnz .LBB393_243
; %bb.242:
	global_load_ushort v3, v[0:1], off
	s_waitcnt vmcnt(0)
	v_cvt_f32_f16_e32 v3, v3
	v_cvt_f64_f32_e32 v[4:5], v3
.LBB393_243:
	s_cbranch_execnz .LBB393_263
.LBB393_244:
	s_cmp_lt_i32 s10, 2
	s_cbranch_scc1 .LBB393_248
; %bb.245:
	s_cmp_lt_i32 s10, 3
	s_cbranch_scc1 .LBB393_249
; %bb.246:
	s_cmp_gt_i32 s10, 3
	s_cbranch_scc0 .LBB393_250
; %bb.247:
	global_load_dwordx2 v[4:5], v[0:1], off
	s_mov_b64 s[2:3], 0
	s_waitcnt vmcnt(0)
	v_cvt_f64_i32_e32 v[6:7], v5
	v_cvt_f64_u32_e32 v[4:5], v4
	v_ldexp_f64 v[6:7], v[6:7], 32
	v_add_f64 v[4:5], v[6:7], v[4:5]
	s_branch .LBB393_251
.LBB393_248:
	s_mov_b64 s[2:3], -1
                                        ; implicit-def: $vgpr4_vgpr5
	s_branch .LBB393_257
.LBB393_249:
	s_mov_b64 s[2:3], -1
                                        ; implicit-def: $vgpr4_vgpr5
	s_branch .LBB393_254
.LBB393_250:
	s_mov_b64 s[2:3], -1
                                        ; implicit-def: $vgpr4_vgpr5
.LBB393_251:
	s_andn2_b64 vcc, exec, s[2:3]
	s_cbranch_vccnz .LBB393_253
; %bb.252:
	global_load_dword v3, v[0:1], off
	s_waitcnt vmcnt(0)
	v_cvt_f64_i32_e32 v[4:5], v3
.LBB393_253:
	s_mov_b64 s[2:3], 0
.LBB393_254:
	s_andn2_b64 vcc, exec, s[2:3]
	s_cbranch_vccnz .LBB393_256
; %bb.255:
	global_load_sshort v3, v[0:1], off
	s_waitcnt vmcnt(0)
	v_cvt_f64_i32_e32 v[4:5], v3
.LBB393_256:
	s_mov_b64 s[2:3], 0
.LBB393_257:
	s_andn2_b64 vcc, exec, s[2:3]
	s_cbranch_vccnz .LBB393_263
; %bb.258:
	s_cmp_gt_i32 s10, 0
	s_cbranch_scc0 .LBB393_260
; %bb.259:
	global_load_sbyte v3, v[0:1], off
	s_mov_b64 s[2:3], 0
	s_waitcnt vmcnt(0)
	v_cvt_f64_i32_e32 v[4:5], v3
	s_branch .LBB393_261
.LBB393_260:
	s_mov_b64 s[2:3], -1
                                        ; implicit-def: $vgpr4_vgpr5
.LBB393_261:
	s_andn2_b64 vcc, exec, s[2:3]
	s_cbranch_vccnz .LBB393_263
; %bb.262:
	global_load_ubyte v0, v[0:1], off
	s_waitcnt vmcnt(0)
	v_cvt_f64_u32_e32 v[4:5], v0
.LBB393_263:
	s_branch .LBB393_26
.LBB393_264:
	s_mov_b64 s[2:3], 0
.LBB393_265:
	s_mov_b64 s[6:7], 0
                                        ; implicit-def: $vgpr10
.LBB393_266:
	s_and_b64 s[56:57], s[2:3], exec
	s_and_b64 s[58:59], s[4:5], exec
	s_orn2_b64 s[4:5], s[6:7], exec
.LBB393_267:
	s_or_b64 exec, exec, s[60:61]
	s_mov_b64 s[8:9], 0
	s_mov_b64 s[2:3], 0
                                        ; implicit-def: $vgpr0_vgpr1
                                        ; implicit-def: $vgpr2
                                        ; implicit-def: $vgpr6_vgpr7
	s_and_saveexec_b64 s[60:61], s[4:5]
	s_cbranch_execz .LBB393_275
; %bb.268:
	v_cmp_gt_i32_e32 vcc, s72, v10
	s_mov_b64 s[2:3], -1
	s_mov_b64 s[62:63], s[58:59]
	s_mov_b64 s[64:65], s[56:57]
	s_and_saveexec_b64 s[66:67], vcc
	s_cbranch_execz .LBB393_544
; %bb.269:
	s_andn2_b64 vcc, exec, s[42:43]
	s_cbranch_vccnz .LBB393_278
; %bb.270:
	s_andn2_b64 vcc, exec, s[54:55]
	s_cbranch_vccnz .LBB393_279
; %bb.271:
	s_add_i32 s65, s77, 1
	s_cmp_eq_u32 s74, 2
	s_cbranch_scc1 .LBB393_280
; %bb.272:
	s_and_b32 s64, s65, 28
	s_mov_b32 s68, 0
	v_mov_b32_e32 v2, 0
	v_mov_b32_e32 v0, 0
	s_mov_b64 s[2:3], s[34:35]
	s_mov_b64 s[62:63], s[52:53]
	s_waitcnt vmcnt(0)
	v_mov_b32_e32 v4, v10
.LBB393_273:                            ; =>This Inner Loop Header: Depth=1
	s_load_dwordx8 s[12:19], s[2:3], 0x4
	s_load_dwordx4 s[36:39], s[2:3], 0x24
	s_load_dwordx8 s[4:11], s[62:63], 0x0
	s_add_u32 s2, s2, 48
	s_addc_u32 s3, s3, 0
	s_waitcnt lgkmcnt(0)
	v_mul_hi_u32 v1, s13, v4
	v_add_u32_e32 v1, v4, v1
	v_lshrrev_b32_e32 v1, s14, v1
	v_mul_lo_u32 v3, v1, s12
	v_mul_hi_u32 v5, s16, v1
	v_sub_u32_e32 v3, v4, v3
	v_add_u32_e32 v4, v1, v5
	v_lshrrev_b32_e32 v4, s17, v4
	v_mul_lo_u32 v6, v4, s15
	v_mul_hi_u32 v7, s19, v4
	v_sub_u32_e32 v1, v1, v6
	v_add_u32_e32 v6, v4, v7
	v_mul_lo_u32 v5, v3, s5
	v_mul_lo_u32 v3, v3, s4
	;; [unrolled: 1-line block ×4, first 2 shown]
	v_lshrrev_b32_e32 v6, s36, v6
	v_add3_u32 v1, v3, v2, v1
	v_mul_hi_u32 v3, s38, v6
	v_mul_lo_u32 v2, v6, s18
	v_add_u32_e32 v3, v6, v3
	v_sub_u32_e32 v2, v4, v2
	v_lshrrev_b32_e32 v4, s39, v3
	s_add_i32 s68, s68, 4
	v_mul_lo_u32 v3, v4, s37
	s_add_u32 s62, s62, 32
	v_sub_u32_e32 v3, v6, v3
	s_addc_u32 s63, s63, 0
	v_add3_u32 v0, v5, v0, v7
	v_mul_lo_u32 v5, v2, s8
	v_mul_lo_u32 v2, v2, s9
	v_mul_lo_u32 v6, v3, s10
	v_mul_lo_u32 v3, v3, s11
	s_cmp_eq_u32 s64, s68
	v_add3_u32 v0, v2, v0, v3
	v_add3_u32 v2, v5, v1, v6
	s_cbranch_scc0 .LBB393_273
; %bb.274:
	v_mov_b32_e32 v1, v0
	s_branch .LBB393_281
.LBB393_275:
	s_or_b64 exec, exec, s[60:61]
	s_mov_b64 s[4:5], 0
	s_and_saveexec_b64 s[6:7], s[58:59]
	s_cbranch_execnz .LBB393_922
.LBB393_276:
	s_or_b64 exec, exec, s[6:7]
	s_and_saveexec_b64 s[6:7], s[64:65]
	s_xor_b64 s[6:7], exec, s[6:7]
	s_cbranch_execz .LBB393_923
.LBB393_277:
	global_load_ubyte v3, v[0:1], off
	s_waitcnt vmcnt(1)
	v_mov_b32_e32 v4, 0x3ff00000
	v_mov_b32_e32 v6, 0
	s_or_b64 s[2:3], s[2:3], exec
	s_waitcnt vmcnt(0)
	v_cmp_ne_u16_e32 vcc, 0, v3
	s_nop 1
	v_cndmask_b32_e32 v7, 0, v4, vcc
	s_or_b64 exec, exec, s[6:7]
	s_and_saveexec_b64 s[6:7], s[8:9]
	s_cbranch_execz .LBB393_969
	s_branch .LBB393_924
.LBB393_278:
                                        ; implicit-def: $vgpr0
                                        ; implicit-def: $vgpr2
	s_andn2_b64 vcc, exec, s[2:3]
	s_cbranch_vccz .LBB393_285
	s_branch .LBB393_287
.LBB393_279:
	v_mov_b32_e32 v0, 0
	v_mov_b32_e32 v2, 0
	s_branch .LBB393_284
.LBB393_280:
	v_mov_b32_e32 v2, 0
	s_mov_b32 s64, 0
	v_mov_b32_e32 v1, v2
                                        ; implicit-def: $vgpr0
	s_waitcnt vmcnt(0)
	v_mov_b32_e32 v4, v10
.LBB393_281:
	s_and_b32 s6, s65, 3
	s_cmp_eq_u32 s6, 0
	s_cbranch_scc1 .LBB393_284
; %bb.282:
	s_lshl_b32 s2, s64, 3
	s_add_u32 s2, s34, s2
	s_addc_u32 s3, s35, 0
	s_add_u32 s2, s2, 0xc4
	s_addc_u32 s3, s3, 0
	s_mul_i32 s4, s64, 12
	s_add_u32 s4, s34, s4
	s_addc_u32 s5, s35, 0
.LBB393_283:                            ; =>This Inner Loop Header: Depth=1
	s_load_dwordx2 s[8:9], s[4:5], 0x4
	s_load_dword s7, s[4:5], 0xc
	s_load_dwordx2 s[10:11], s[2:3], 0x0
	v_mov_b32_e32 v0, v1
	s_add_u32 s4, s4, 12
	s_waitcnt lgkmcnt(0)
	v_mul_hi_u32 v1, s9, v4
	v_add_u32_e32 v1, v4, v1
	v_lshrrev_b32_e32 v1, s7, v1
	s_addc_u32 s5, s5, 0
	v_mul_lo_u32 v3, v1, s8
	s_add_u32 s2, s2, 8
	v_sub_u32_e32 v3, v4, v3
	s_addc_u32 s3, s3, 0
	s_add_i32 s6, s6, -1
	v_mov_b32_e32 v4, v1
	v_mad_u64_u32 v[0:1], s[8:9], v3, s11, v[0:1]
	s_cmp_lg_u32 s6, 0
	v_mad_u64_u32 v[2:3], s[8:9], v3, s10, v[2:3]
	v_mov_b32_e32 v1, v0
	s_cbranch_scc1 .LBB393_283
.LBB393_284:
	s_cbranch_execnz .LBB393_287
.LBB393_285:
	v_mul_hi_u32 v0, s25, v10
	v_add_u32_e32 v0, v10, v0
	v_lshrrev_b32_e32 v1, s26, v0
	v_mul_lo_u32 v0, v1, s24
	v_sub_u32_e32 v2, v10, v0
	v_mul_lo_u32 v0, v2, s29
	s_andn2_b64 vcc, exec, s[50:51]
	v_mul_lo_u32 v2, v2, s28
	s_cbranch_vccnz .LBB393_287
; %bb.286:
	v_mul_hi_u32 v3, s48, v1
	v_add_u32_e32 v3, v1, v3
	v_lshrrev_b32_e32 v3, s49, v3
	v_mul_lo_u32 v3, v3, s27
	v_sub_u32_e32 v1, v1, v3
	v_mad_u64_u32 v[2:3], s[2:3], v1, s30, v[2:3]
	v_mad_u64_u32 v[0:1], s[2:3], v1, s31, v[0:1]
.LBB393_287:
	v_mov_b32_e32 v1, 0
	s_and_b32 s10, 0xffff, s76
	s_cmp_lt_i32 s10, 11
	v_lshl_add_u64 v[0:1], s[22:23], 0, v[0:1]
	s_cbranch_scc1 .LBB393_294
; %bb.288:
	s_cmp_gt_i32 s10, 25
	s_cbranch_scc0 .LBB393_303
; %bb.289:
	s_cmp_gt_i32 s10, 28
	s_cbranch_scc0 .LBB393_305
	;; [unrolled: 3-line block ×4, first 2 shown]
; %bb.292:
	s_cmp_eq_u32 s10, 46
	s_mov_b64 s[6:7], 0
	s_cbranch_scc0 .LBB393_315
; %bb.293:
	global_load_dword v3, v[0:1], off
	s_mov_b64 s[2:3], -1
	s_mov_b64 s[4:5], 0
	s_waitcnt vmcnt(0)
	v_lshlrev_b32_e32 v3, 16, v3
	v_cvt_f64_f32_e32 v[4:5], v3
	s_branch .LBB393_316
.LBB393_294:
	s_mov_b64 s[2:3], 0
                                        ; implicit-def: $vgpr4_vgpr5
	s_mov_b64 s[4:5], s[58:59]
	s_cbranch_execnz .LBB393_493
.LBB393_295:
	s_andn2_b64 vcc, exec, s[2:3]
	s_cbranch_vccnz .LBB393_541
.LBB393_296:
	v_max_f64 v[0:1], s[46:47], s[46:47]
	s_waitcnt vmcnt(0)
	v_max_f64 v[6:7], v[4:5], v[4:5]
	v_max_f64 v[0:1], v[6:7], v[0:1]
	v_cmp_u_f64_e32 vcc, v[4:5], v[4:5]
	v_mov_b32_e32 v3, 0
	s_and_b32 s12, s75, 0xff
	v_cndmask_b32_e32 v1, v1, v5, vcc
	v_cndmask_b32_e32 v0, v0, v4, vcc
	s_cmp_lt_i32 s12, 11
	v_lshl_add_u64 v[4:5], s[20:21], 0, v[2:3]
	s_cbranch_scc1 .LBB393_304
; %bb.297:
	s_and_b32 s13, 0xffff, s12
	s_cmp_gt_i32 s13, 25
	s_cbranch_scc0 .LBB393_306
; %bb.298:
	s_cmp_gt_i32 s13, 28
	s_cbranch_scc0 .LBB393_308
; %bb.299:
	;; [unrolled: 3-line block ×4, first 2 shown]
	s_mov_b64 s[8:9], 0
	s_mov_b64 s[2:3], -1
	s_cmp_eq_u32 s13, 46
	s_mov_b64 s[6:7], 0
	s_cbranch_scc0 .LBB393_320
; %bb.302:
	v_cvt_f32_f64_e32 v2, v[0:1]
	v_bfe_u32 v3, v2, 16, 1
	s_movk_i32 s2, 0x7fff
	v_add3_u32 v3, v2, v3, s2
	v_cmp_o_f32_e32 vcc, v2, v2
	v_mov_b32_e32 v2, 0x7fc0
	s_mov_b64 s[6:7], -1
	v_cndmask_b32_sdwa v2, v2, v3, vcc dst_sel:DWORD dst_unused:UNUSED_PAD src0_sel:DWORD src1_sel:WORD_1
	global_store_dword v[4:5], v2, off
	s_mov_b64 s[2:3], 0
	s_branch .LBB393_320
.LBB393_303:
	s_mov_b64 s[6:7], -1
	s_mov_b64 s[2:3], 0
	s_mov_b64 s[4:5], s[58:59]
                                        ; implicit-def: $vgpr4_vgpr5
	s_branch .LBB393_459
.LBB393_304:
	s_mov_b64 s[8:9], -1
	s_mov_b64 s[6:7], 0
	s_mov_b64 s[2:3], s[56:57]
	s_branch .LBB393_389
.LBB393_305:
	s_mov_b64 s[6:7], -1
	s_mov_b64 s[2:3], 0
	s_mov_b64 s[4:5], s[58:59]
                                        ; implicit-def: $vgpr4_vgpr5
	s_branch .LBB393_438
.LBB393_306:
	s_mov_b64 s[8:9], -1
	s_mov_b64 s[6:7], 0
	s_mov_b64 s[2:3], s[56:57]
	s_branch .LBB393_347
.LBB393_307:
	s_mov_b64 s[6:7], -1
	s_mov_b64 s[2:3], 0
	s_mov_b64 s[4:5], s[58:59]
                                        ; implicit-def: $vgpr4_vgpr5
	s_branch .LBB393_433
.LBB393_308:
	s_mov_b64 s[8:9], -1
	s_mov_b64 s[6:7], 0
	s_mov_b64 s[2:3], s[56:57]
	s_branch .LBB393_330
.LBB393_309:
	s_andn2_saveexec_b64 s[10:11], s[10:11]
	s_cbranch_execz .LBB393_69
.LBB393_310:
	s_mov_b32 s14, 0x46000000
	v_add_f32_e64 v3, |v2|, s14
	v_and_b32_e32 v3, 0xff, v3
	v_cmp_ne_u32_e32 vcc, 0, v3
	s_andn2_b64 s[8:9], s[8:9], exec
	s_and_b64 s[14:15], vcc, exec
	s_or_b64 s[8:9], s[8:9], s[14:15]
	s_or_b64 exec, exec, s[10:11]
	v_mov_b32_e32 v6, 0
	s_and_saveexec_b64 s[10:11], s[8:9]
	s_cbranch_execnz .LBB393_70
	s_branch .LBB393_71
.LBB393_311:
	s_mov_b64 s[6:7], -1
	s_mov_b64 s[2:3], 0
	s_mov_b64 s[4:5], s[58:59]
                                        ; implicit-def: $vgpr4_vgpr5
	s_branch .LBB393_316
.LBB393_312:
	s_mov_b64 s[8:9], -1
	s_mov_b64 s[6:7], 0
	s_mov_b64 s[2:3], s[56:57]
	s_branch .LBB393_326
.LBB393_313:
	s_andn2_saveexec_b64 s[10:11], s[10:11]
	s_cbranch_execz .LBB393_82
.LBB393_314:
	s_mov_b32 s14, 0x42800000
	v_add_f32_e64 v3, |v2|, s14
	v_and_b32_e32 v3, 0xff, v3
	v_cmp_ne_u32_e32 vcc, 0, v3
	s_andn2_b64 s[8:9], s[8:9], exec
	s_and_b64 s[14:15], vcc, exec
	s_or_b64 s[8:9], s[8:9], s[14:15]
	s_or_b64 exec, exec, s[10:11]
	v_mov_b32_e32 v6, 0
	s_and_saveexec_b64 s[10:11], s[8:9]
	s_cbranch_execnz .LBB393_83
	s_branch .LBB393_84
.LBB393_315:
	s_mov_b64 s[4:5], -1
                                        ; implicit-def: $vgpr4_vgpr5
	s_mov_b64 s[2:3], 0
.LBB393_316:
	s_and_b64 vcc, exec, s[6:7]
	s_cbranch_vccz .LBB393_432
; %bb.317:
	s_cmp_eq_u32 s10, 44
	s_cbranch_scc0 .LBB393_431
; %bb.318:
	global_load_ubyte v3, v[0:1], off
	s_movk_i32 s4, 0xff
	v_bfrev_b32_e32 v6, 4
	v_mov_b32_e32 v7, 0x7ff80000
	v_bfrev_b32_e32 v8, 28
	s_mov_b64 s[2:3], -1
	s_waitcnt vmcnt(0)
	v_lshlrev_b32_e32 v4, 23, v3
	v_cvt_f64_f32_e32 v[4:5], v4
	v_cmp_ne_u32_e32 vcc, s4, v3
	s_mov_b64 s[4:5], 0
	s_nop 0
	v_cndmask_b32_e32 v4, v6, v4, vcc
	v_cndmask_b32_e32 v5, v7, v5, vcc
	v_cmp_ne_u32_e32 vcc, 0, v3
	s_nop 1
	v_cndmask_b32_e32 v5, v8, v5, vcc
	v_cndmask_b32_e32 v4, 0, v4, vcc
	s_branch .LBB393_432
.LBB393_319:
	s_mov_b64 s[8:9], -1
	s_mov_b64 s[6:7], 0
	s_mov_b64 s[2:3], s[56:57]
.LBB393_320:
	s_and_b64 vcc, exec, s[8:9]
	s_cbranch_vccz .LBB393_325
; %bb.321:
	s_cmp_eq_u32 s13, 44
	s_mov_b64 s[2:3], -1
	s_cbranch_scc0 .LBB393_325
; %bb.322:
	v_cvt_f32_f64_e32 v2, v[0:1]
	v_bfe_u32 v3, v2, 23, 8
	s_movk_i32 s2, 0xff
	v_cmp_ne_u32_e32 vcc, s2, v3
	v_mov_b32_e32 v6, 0xff
	s_and_saveexec_b64 s[6:7], vcc
; %bb.323:
	s_mov_b32 s2, 0x3fffff
	v_lshrrev_b32_e32 v6, 23, v2
	v_and_b32_e32 v7, 0x400000, v2
	v_and_or_b32 v2, v2, s2, v3
	v_cmp_ne_u32_e32 vcc, 0, v7
	v_cmp_ne_u32_e64 s[2:3], 0, v2
	s_and_b64 s[2:3], vcc, s[2:3]
	s_nop 0
	v_cndmask_b32_e64 v2, 0, 1, s[2:3]
	v_add_u32_e32 v6, v6, v2
; %bb.324:
	s_or_b64 exec, exec, s[6:7]
	s_mov_b64 s[6:7], -1
	s_mov_b64 s[2:3], 0
	global_store_byte v[4:5], v6, off
.LBB393_325:
	s_mov_b64 s[8:9], 0
.LBB393_326:
	s_and_b64 vcc, exec, s[8:9]
	s_cbranch_vccz .LBB393_329
; %bb.327:
	s_cmp_eq_u32 s13, 29
	s_mov_b64 s[2:3], -1
	s_cbranch_scc0 .LBB393_329
; %bb.328:
	v_trunc_f64_e32 v[2:3], v[0:1]
	s_movk_i32 s2, 0xffe0
	v_ldexp_f64 v[6:7], v[2:3], s2
	v_floor_f64_e32 v[6:7], v[6:7]
	v_fmac_f64_e32 v[2:3], 0xc1f00000, v[6:7]
	v_cvt_u32_f64_e32 v9, v[6:7]
	v_cvt_u32_f64_e32 v8, v[2:3]
	global_store_dwordx2 v[4:5], v[8:9], off
	s_mov_b64 s[6:7], -1
	s_mov_b64 s[2:3], 0
.LBB393_329:
	s_mov_b64 s[8:9], 0
.LBB393_330:
	s_and_b64 vcc, exec, s[8:9]
	s_cbranch_vccz .LBB393_346
; %bb.331:
	s_cmp_lt_i32 s13, 27
	s_mov_b64 s[6:7], -1
	s_cbranch_scc1 .LBB393_337
; %bb.332:
	s_cmp_gt_i32 s13, 27
	v_cvt_u32_f64_e32 v2, v[0:1]
	s_cbranch_scc0 .LBB393_334
; %bb.333:
	s_mov_b64 s[6:7], 0
	global_store_dword v[4:5], v2, off
.LBB393_334:
	s_andn2_b64 vcc, exec, s[6:7]
	s_cbranch_vccnz .LBB393_336
; %bb.335:
	global_store_short v[4:5], v2, off
.LBB393_336:
	s_mov_b64 s[6:7], 0
.LBB393_337:
	s_andn2_b64 vcc, exec, s[6:7]
	s_cbranch_vccnz .LBB393_345
; %bb.338:
	v_cvt_f32_f64_e32 v2, v[0:1]
	v_and_b32_e32 v3, 0x7fffffff, v2
	s_mov_b32 s6, 0x43800000
	v_cmp_gt_u32_e32 vcc, s6, v3
	v_mov_b32_e32 v6, 0x80
	s_and_saveexec_b64 s[6:7], vcc
	s_cbranch_execz .LBB393_344
; %bb.339:
	s_mov_b32 s8, 0x3bffffff
	v_cmp_lt_u32_e32 vcc, s8, v3
	s_mov_b64 s[8:9], 0
                                        ; implicit-def: $vgpr3
	s_and_saveexec_b64 s[10:11], vcc
	s_xor_b64 s[10:11], exec, s[10:11]
	s_cbranch_execz .LBB393_573
; %bb.340:
	v_bfe_u32 v3, v2, 20, 1
	s_mov_b32 s14, 0x487ffff
	v_add3_u32 v3, v2, v3, s14
	s_mov_b64 s[8:9], exec
	v_lshrrev_b32_e32 v3, 20, v3
	s_andn2_saveexec_b64 s[10:11], s[10:11]
	s_cbranch_execnz .LBB393_574
.LBB393_341:
	s_or_b64 exec, exec, s[10:11]
	v_mov_b32_e32 v6, 0
	s_and_saveexec_b64 s[10:11], s[8:9]
.LBB393_342:
	v_lshrrev_b32_e32 v2, 24, v2
	s_movk_i32 s8, 0x80
	v_and_or_b32 v6, v2, s8, v3
.LBB393_343:
	s_or_b64 exec, exec, s[10:11]
.LBB393_344:
	s_or_b64 exec, exec, s[6:7]
	global_store_byte v[4:5], v6, off
.LBB393_345:
	s_mov_b64 s[6:7], -1
.LBB393_346:
	s_mov_b64 s[8:9], 0
.LBB393_347:
	s_and_b64 vcc, exec, s[8:9]
	s_cbranch_vccz .LBB393_388
; %bb.348:
	s_cmp_gt_i32 s13, 22
	s_mov_b64 s[8:9], -1
	s_cbranch_scc0 .LBB393_380
; %bb.349:
	s_cmp_lt_i32 s13, 24
	s_mov_b64 s[6:7], -1
	s_cbranch_scc1 .LBB393_369
; %bb.350:
	s_cmp_gt_i32 s13, 24
	s_cbranch_scc0 .LBB393_358
; %bb.351:
	v_cvt_f32_f64_e32 v2, v[0:1]
	v_and_b32_e32 v3, 0x7fffffff, v2
	s_mov_b32 s6, 0x47800000
	v_cmp_gt_u32_e32 vcc, s6, v3
	v_mov_b32_e32 v6, 0x80
	s_and_saveexec_b64 s[6:7], vcc
	s_cbranch_execz .LBB393_357
; %bb.352:
	s_mov_b32 s8, 0x37ffffff
	v_cmp_lt_u32_e32 vcc, s8, v3
	s_mov_b64 s[8:9], 0
                                        ; implicit-def: $vgpr3
	s_and_saveexec_b64 s[10:11], vcc
	s_xor_b64 s[10:11], exec, s[10:11]
	s_cbranch_execz .LBB393_576
; %bb.353:
	v_bfe_u32 v3, v2, 21, 1
	s_mov_b32 s14, 0x88fffff
	v_add3_u32 v3, v2, v3, s14
	s_mov_b64 s[8:9], exec
	v_lshrrev_b32_e32 v3, 21, v3
	s_andn2_saveexec_b64 s[10:11], s[10:11]
	s_cbranch_execnz .LBB393_577
.LBB393_354:
	s_or_b64 exec, exec, s[10:11]
	v_mov_b32_e32 v6, 0
	s_and_saveexec_b64 s[10:11], s[8:9]
.LBB393_355:
	v_lshrrev_b32_e32 v2, 24, v2
	s_movk_i32 s8, 0x80
	v_and_or_b32 v6, v2, s8, v3
.LBB393_356:
	s_or_b64 exec, exec, s[10:11]
.LBB393_357:
	s_or_b64 exec, exec, s[6:7]
	s_mov_b64 s[6:7], 0
	global_store_byte v[4:5], v6, off
.LBB393_358:
	s_and_b64 vcc, exec, s[6:7]
	s_cbranch_vccz .LBB393_368
; %bb.359:
	v_cvt_f32_f64_e32 v2, v[0:1]
	v_and_b32_e32 v6, 0x7fffffff, v2
	s_mov_b32 s6, 0x43f00000
	v_cmp_gt_u32_e32 vcc, s6, v6
                                        ; implicit-def: $vgpr3
	s_and_saveexec_b64 s[6:7], vcc
	s_xor_b64 s[6:7], exec, s[6:7]
	s_cbranch_execz .LBB393_365
; %bb.360:
	s_mov_b32 s8, 0x3c7fffff
	v_cmp_lt_u32_e32 vcc, s8, v6
                                        ; implicit-def: $vgpr3
	s_and_saveexec_b64 s[8:9], vcc
	s_xor_b64 s[8:9], exec, s[8:9]
; %bb.361:
	v_bfe_u32 v3, v2, 20, 1
	s_mov_b32 s10, 0x407ffff
	v_add3_u32 v3, v2, v3, s10
	v_lshrrev_b32_e32 v6, 20, v3
	v_and_b32_e32 v3, 0xff00000, v3
	s_mov_b32 s10, 0x7f00000
	v_mov_b32_e32 v7, 0x7e
	v_cmp_ne_u32_e32 vcc, s10, v3
	s_nop 1
	v_cndmask_b32_e32 v3, v7, v6, vcc
; %bb.362:
	s_andn2_saveexec_b64 s[8:9], s[8:9]
; %bb.363:
	s_mov_b32 s10, 0x46800000
	v_add_f32_e64 v3, |v2|, s10
; %bb.364:
	s_or_b64 exec, exec, s[8:9]
                                        ; implicit-def: $vgpr6
.LBB393_365:
	s_andn2_saveexec_b64 s[6:7], s[6:7]
; %bb.366:
	s_mov_b32 s8, 0x7f800000
	v_mov_b32_e32 v3, 0x7e
	v_mov_b32_e32 v7, 0x7f
	v_cmp_lt_u32_e32 vcc, s8, v6
	s_nop 1
	v_cndmask_b32_e32 v3, v3, v7, vcc
; %bb.367:
	s_or_b64 exec, exec, s[6:7]
	v_lshrrev_b32_e32 v2, 24, v2
	s_movk_i32 s6, 0x80
	v_and_or_b32 v2, v2, s6, v3
	global_store_byte v[4:5], v2, off
.LBB393_368:
	s_mov_b64 s[6:7], 0
.LBB393_369:
	s_andn2_b64 vcc, exec, s[6:7]
	s_cbranch_vccnz .LBB393_379
; %bb.370:
	v_cvt_f32_f64_e32 v2, v[0:1]
	v_and_b32_e32 v6, 0x7fffffff, v2
	s_mov_b32 s6, 0x47800000
	v_cmp_gt_u32_e32 vcc, s6, v6
                                        ; implicit-def: $vgpr3
	s_and_saveexec_b64 s[6:7], vcc
	s_xor_b64 s[6:7], exec, s[6:7]
	s_cbranch_execz .LBB393_376
; %bb.371:
	s_mov_b32 s8, 0x387fffff
	v_cmp_lt_u32_e32 vcc, s8, v6
                                        ; implicit-def: $vgpr3
	s_and_saveexec_b64 s[8:9], vcc
	s_xor_b64 s[8:9], exec, s[8:9]
; %bb.372:
	v_bfe_u32 v3, v2, 21, 1
	s_mov_b32 s10, 0x80fffff
	v_add3_u32 v3, v2, v3, s10
	v_lshrrev_b32_e32 v3, 21, v3
; %bb.373:
	s_andn2_saveexec_b64 s[8:9], s[8:9]
; %bb.374:
	s_mov_b32 s10, 0x43000000
	v_add_f32_e64 v3, |v2|, s10
; %bb.375:
	s_or_b64 exec, exec, s[8:9]
                                        ; implicit-def: $vgpr6
.LBB393_376:
	s_andn2_saveexec_b64 s[6:7], s[6:7]
; %bb.377:
	s_mov_b32 s8, 0x7f800000
	v_mov_b32_e32 v3, 0x7c
	v_mov_b32_e32 v7, 0x7f
	v_cmp_lt_u32_e32 vcc, s8, v6
	s_nop 1
	v_cndmask_b32_e32 v3, v3, v7, vcc
; %bb.378:
	s_or_b64 exec, exec, s[6:7]
	v_lshrrev_b32_e32 v2, 24, v2
	s_movk_i32 s6, 0x80
	v_and_or_b32 v2, v2, s6, v3
	global_store_byte v[4:5], v2, off
.LBB393_379:
	s_mov_b64 s[8:9], 0
	s_mov_b64 s[6:7], -1
.LBB393_380:
	s_andn2_b64 vcc, exec, s[8:9]
	s_cbranch_vccnz .LBB393_388
; %bb.381:
	s_cmp_gt_i32 s13, 14
	s_mov_b64 s[8:9], -1
	s_cbranch_scc0 .LBB393_385
; %bb.382:
	s_cmp_eq_u32 s13, 15
	s_mov_b64 s[2:3], -1
	s_cbranch_scc0 .LBB393_384
; %bb.383:
	v_cvt_f32_f64_e32 v2, v[0:1]
	v_bfe_u32 v3, v2, 16, 1
	s_movk_i32 s2, 0x7fff
	v_add3_u32 v3, v2, v3, s2
	v_cmp_o_f32_e32 vcc, v2, v2
	v_mov_b32_e32 v2, 0x7fc0
	s_mov_b64 s[6:7], -1
	v_cndmask_b32_sdwa v2, v2, v3, vcc dst_sel:DWORD dst_unused:UNUSED_PAD src0_sel:DWORD src1_sel:WORD_1
	global_store_short v[4:5], v2, off
	s_mov_b64 s[2:3], 0
.LBB393_384:
	s_mov_b64 s[8:9], 0
.LBB393_385:
	s_and_b64 vcc, exec, s[8:9]
	s_cbranch_vccz .LBB393_388
; %bb.386:
	s_cmp_eq_u32 s13, 11
	s_mov_b64 s[2:3], -1
	s_cbranch_scc0 .LBB393_388
; %bb.387:
	v_cmp_neq_f64_e32 vcc, 0, v[0:1]
	s_mov_b64 s[2:3], 0
	s_mov_b64 s[6:7], -1
	v_cndmask_b32_e64 v2, 0, 1, vcc
	global_store_byte v[4:5], v2, off
.LBB393_388:
	s_mov_b64 s[8:9], 0
.LBB393_389:
	s_and_b64 vcc, exec, s[8:9]
	s_cbranch_vccz .LBB393_428
; %bb.390:
	s_and_b32 s8, 0xffff, s12
	s_cmp_lt_i32 s8, 5
	s_mov_b64 s[6:7], -1
	s_cbranch_scc1 .LBB393_411
; %bb.391:
	s_cmp_lt_i32 s8, 8
	s_cbranch_scc1 .LBB393_401
; %bb.392:
	s_cmp_lt_i32 s8, 9
	s_cbranch_scc1 .LBB393_398
; %bb.393:
	s_cmp_gt_i32 s8, 9
	s_cbranch_scc0 .LBB393_395
; %bb.394:
	v_mov_b32_e32 v2, 0
	v_mov_b32_e32 v3, v2
	s_mov_b64 s[6:7], 0
	global_store_dwordx4 v[4:5], v[0:3], off
.LBB393_395:
	s_andn2_b64 vcc, exec, s[6:7]
	s_cbranch_vccnz .LBB393_397
; %bb.396:
	v_cvt_f32_f64_e32 v2, v[0:1]
	v_mov_b32_e32 v3, 0
	global_store_dwordx2 v[4:5], v[2:3], off
.LBB393_397:
	s_mov_b64 s[6:7], 0
.LBB393_398:
	s_andn2_b64 vcc, exec, s[6:7]
	s_cbranch_vccnz .LBB393_400
; %bb.399:
	s_movk_i32 s6, 0x1ff
	v_and_or_b32 v2, v1, s6, v0
	v_cmp_ne_u32_e32 vcc, 0, v2
	v_lshrrev_b32_e32 v3, 8, v1
	s_movk_i32 s6, 0xffe
	v_cndmask_b32_e64 v2, 0, 1, vcc
	v_bfe_u32 v6, v1, 20, 11
	v_and_or_b32 v2, v3, s6, v2
	v_sub_u32_e32 v7, 0x3f1, v6
	v_or_b32_e32 v3, 0x1000, v2
	v_med3_i32 v7, v7, 0, 13
	v_lshrrev_b32_e32 v8, v7, v3
	v_lshlrev_b32_e32 v7, v7, v8
	v_cmp_ne_u32_e32 vcc, v7, v3
	v_add_u32_e32 v6, 0xfffffc10, v6
	v_lshl_or_b32 v7, v6, 12, v2
	v_cndmask_b32_e64 v3, 0, 1, vcc
	v_or_b32_e32 v3, v8, v3
	v_cmp_gt_i32_e32 vcc, 1, v6
	s_movk_i32 s6, 0x40f
	s_nop 0
	v_cndmask_b32_e32 v3, v7, v3, vcc
	v_and_b32_e32 v7, 7, v3
	v_cmp_lt_i32_e32 vcc, 5, v7
	v_lshrrev_b32_e32 v3, 2, v3
	s_nop 0
	v_cndmask_b32_e64 v8, 0, 1, vcc
	v_cmp_eq_u32_e32 vcc, 3, v7
	s_nop 1
	v_cndmask_b32_e64 v7, 0, 1, vcc
	v_or_b32_e32 v7, v7, v8
	v_add_u32_e32 v3, v3, v7
	v_mov_b32_e32 v7, 0x7c00
	v_cmp_gt_i32_e32 vcc, 31, v6
	v_mov_b32_e32 v8, 0x7e00
	s_nop 0
	v_cndmask_b32_e32 v3, v7, v3, vcc
	v_cmp_ne_u32_e32 vcc, 0, v2
	s_nop 1
	v_cndmask_b32_e32 v2, v7, v8, vcc
	v_cmp_eq_u32_e32 vcc, s6, v6
	s_mov_b32 s6, 0x8000
	s_nop 0
	v_cndmask_b32_e32 v2, v3, v2, vcc
	v_and_b32_sdwa v3, v1, s6 dst_sel:DWORD dst_unused:UNUSED_PAD src0_sel:WORD_1 src1_sel:DWORD
	s_mov_b32 s6, 0xffff
	v_bitop3_b32 v2, v3, s6, v2 bitop3:0xc8
	global_store_dword v[4:5], v2, off
.LBB393_400:
	s_mov_b64 s[6:7], 0
.LBB393_401:
	s_andn2_b64 vcc, exec, s[6:7]
	s_cbranch_vccnz .LBB393_410
; %bb.402:
	s_cmp_lt_i32 s8, 6
	s_mov_b64 s[6:7], -1
	s_cbranch_scc1 .LBB393_408
; %bb.403:
	s_cmp_gt_i32 s8, 6
	s_cbranch_scc0 .LBB393_405
; %bb.404:
	s_mov_b64 s[6:7], 0
	global_store_dwordx2 v[4:5], v[0:1], off
.LBB393_405:
	s_andn2_b64 vcc, exec, s[6:7]
	s_cbranch_vccnz .LBB393_407
; %bb.406:
	v_cvt_f32_f64_e32 v2, v[0:1]
	global_store_dword v[4:5], v2, off
.LBB393_407:
	s_mov_b64 s[6:7], 0
.LBB393_408:
	s_andn2_b64 vcc, exec, s[6:7]
	s_cbranch_vccnz .LBB393_410
; %bb.409:
	s_movk_i32 s6, 0x1ff
	v_and_or_b32 v2, v1, s6, v0
	v_cmp_ne_u32_e32 vcc, 0, v2
	v_lshrrev_b32_e32 v3, 8, v1
	s_movk_i32 s6, 0xffe
	v_cndmask_b32_e64 v2, 0, 1, vcc
	v_bfe_u32 v6, v1, 20, 11
	v_and_or_b32 v2, v3, s6, v2
	v_sub_u32_e32 v7, 0x3f1, v6
	v_or_b32_e32 v3, 0x1000, v2
	v_med3_i32 v7, v7, 0, 13
	v_lshrrev_b32_e32 v8, v7, v3
	v_lshlrev_b32_e32 v7, v7, v8
	v_cmp_ne_u32_e32 vcc, v7, v3
	v_add_u32_e32 v6, 0xfffffc10, v6
	v_lshl_or_b32 v7, v6, 12, v2
	v_cndmask_b32_e64 v3, 0, 1, vcc
	v_or_b32_e32 v3, v8, v3
	v_cmp_gt_i32_e32 vcc, 1, v6
	s_movk_i32 s6, 0x40f
	s_nop 0
	v_cndmask_b32_e32 v3, v7, v3, vcc
	v_and_b32_e32 v7, 7, v3
	v_cmp_lt_i32_e32 vcc, 5, v7
	v_lshrrev_b32_e32 v3, 2, v3
	s_nop 0
	v_cndmask_b32_e64 v8, 0, 1, vcc
	v_cmp_eq_u32_e32 vcc, 3, v7
	s_nop 1
	v_cndmask_b32_e64 v7, 0, 1, vcc
	v_or_b32_e32 v7, v7, v8
	v_add_u32_e32 v3, v3, v7
	v_mov_b32_e32 v7, 0x7c00
	v_cmp_gt_i32_e32 vcc, 31, v6
	v_mov_b32_e32 v8, 0x7e00
	s_nop 0
	v_cndmask_b32_e32 v3, v7, v3, vcc
	v_cmp_ne_u32_e32 vcc, 0, v2
	s_nop 1
	v_cndmask_b32_e32 v2, v7, v8, vcc
	v_cmp_eq_u32_e32 vcc, s6, v6
	s_mov_b32 s6, 0x8000
	s_nop 0
	v_cndmask_b32_e32 v2, v3, v2, vcc
	v_lshrrev_b32_e32 v3, 16, v1
	v_and_or_b32 v2, v3, s6, v2
	global_store_short v[4:5], v2, off
.LBB393_410:
	s_mov_b64 s[6:7], 0
.LBB393_411:
	s_andn2_b64 vcc, exec, s[6:7]
	s_cbranch_vccnz .LBB393_427
; %bb.412:
	s_cmp_lt_i32 s8, 2
	s_mov_b64 s[6:7], -1
	s_cbranch_scc1 .LBB393_422
; %bb.413:
	s_cmp_lt_i32 s8, 3
	s_cbranch_scc1 .LBB393_419
; %bb.414:
	s_cmp_gt_i32 s8, 3
	s_cbranch_scc0 .LBB393_416
; %bb.415:
	v_trunc_f64_e32 v[2:3], v[0:1]
	s_movk_i32 s6, 0xffe0
	v_ldexp_f64 v[6:7], v[2:3], s6
	v_floor_f64_e32 v[6:7], v[6:7]
	v_fmac_f64_e32 v[2:3], 0xc1f00000, v[6:7]
	v_cvt_i32_f64_e32 v9, v[6:7]
	v_cvt_u32_f64_e32 v8, v[2:3]
	s_mov_b64 s[6:7], 0
	global_store_dwordx2 v[4:5], v[8:9], off
.LBB393_416:
	s_andn2_b64 vcc, exec, s[6:7]
	s_cbranch_vccnz .LBB393_418
; %bb.417:
	v_cvt_i32_f64_e32 v2, v[0:1]
	global_store_dword v[4:5], v2, off
.LBB393_418:
	s_mov_b64 s[6:7], 0
.LBB393_419:
	s_andn2_b64 vcc, exec, s[6:7]
	s_cbranch_vccnz .LBB393_421
; %bb.420:
	v_cvt_i32_f64_e32 v2, v[0:1]
	global_store_short v[4:5], v2, off
.LBB393_421:
	s_mov_b64 s[6:7], 0
.LBB393_422:
	s_andn2_b64 vcc, exec, s[6:7]
	s_cbranch_vccnz .LBB393_427
; %bb.423:
	s_cmp_gt_i32 s8, 0
	s_mov_b64 s[6:7], -1
	s_cbranch_scc0 .LBB393_425
; %bb.424:
	v_cvt_i32_f64_e32 v2, v[0:1]
	s_mov_b64 s[6:7], 0
	global_store_byte v[4:5], v2, off
.LBB393_425:
	s_andn2_b64 vcc, exec, s[6:7]
	s_cbranch_vccnz .LBB393_427
; %bb.426:
	v_trunc_f64_e32 v[0:1], v[0:1]
	s_movk_i32 s6, 0xffe0
	v_ldexp_f64 v[2:3], v[0:1], s6
	v_floor_f64_e32 v[2:3], v[2:3]
	v_fmac_f64_e32 v[0:1], 0xc1f00000, v[2:3]
	v_cvt_u32_f64_e32 v0, v[0:1]
	global_store_byte v[4:5], v0, off
.LBB393_427:
	s_mov_b64 s[6:7], -1
.LBB393_428:
	s_andn2_b64 vcc, exec, s[6:7]
	s_cbranch_vccnz .LBB393_430
; %bb.429:
	v_add_u32_e32 v10, 0x80, v10
	s_mov_b64 s[6:7], -1
	s_branch .LBB393_543
.LBB393_430:
	s_mov_b64 s[6:7], 0
	s_branch .LBB393_542
.LBB393_431:
	s_mov_b64 s[4:5], -1
                                        ; implicit-def: $vgpr4_vgpr5
.LBB393_432:
	s_mov_b64 s[6:7], 0
.LBB393_433:
	s_and_b64 vcc, exec, s[6:7]
	s_cbranch_vccz .LBB393_437
; %bb.434:
	s_cmp_eq_u32 s10, 29
	s_cbranch_scc0 .LBB393_436
; %bb.435:
	global_load_dwordx2 v[4:5], v[0:1], off
	s_mov_b64 s[2:3], -1
	s_mov_b64 s[4:5], 0
	s_mov_b64 s[6:7], 0
	s_waitcnt vmcnt(0)
	v_cvt_f64_u32_e32 v[6:7], v5
	v_cvt_f64_u32_e32 v[4:5], v4
	v_ldexp_f64 v[6:7], v[6:7], 32
	v_add_f64 v[4:5], v[6:7], v[4:5]
	s_branch .LBB393_438
.LBB393_436:
	s_mov_b64 s[4:5], -1
                                        ; implicit-def: $vgpr4_vgpr5
.LBB393_437:
	s_mov_b64 s[6:7], 0
.LBB393_438:
	s_and_b64 vcc, exec, s[6:7]
	s_cbranch_vccz .LBB393_458
; %bb.439:
	s_cmp_lt_i32 s10, 27
	s_cbranch_scc1 .LBB393_442
; %bb.440:
	s_cmp_gt_i32 s10, 27
	s_cbranch_scc0 .LBB393_443
; %bb.441:
	global_load_dword v3, v[0:1], off
	s_mov_b64 s[2:3], 0
	s_waitcnt vmcnt(0)
	v_cvt_f64_u32_e32 v[4:5], v3
	s_branch .LBB393_444
.LBB393_442:
	s_mov_b64 s[2:3], -1
                                        ; implicit-def: $vgpr4_vgpr5
	s_branch .LBB393_447
.LBB393_443:
	s_mov_b64 s[2:3], -1
                                        ; implicit-def: $vgpr4_vgpr5
.LBB393_444:
	s_andn2_b64 vcc, exec, s[2:3]
	s_cbranch_vccnz .LBB393_446
; %bb.445:
	global_load_ushort v3, v[0:1], off
	s_waitcnt vmcnt(0)
	v_cvt_f64_u32_e32 v[4:5], v3
.LBB393_446:
	s_mov_b64 s[2:3], 0
.LBB393_447:
	s_andn2_b64 vcc, exec, s[2:3]
	s_cbranch_vccnz .LBB393_457
; %bb.448:
	global_load_ubyte v3, v[0:1], off
	s_movk_i32 s2, 0x7f
	s_waitcnt vmcnt(0)
	v_cmp_lt_i16_e32 vcc, s2, v3
	s_mov_b64 s[2:3], 0
	s_and_saveexec_b64 s[6:7], vcc
	s_xor_b64 s[6:7], exec, s[6:7]
	s_cbranch_execz .LBB393_452
; %bb.449:
	s_movk_i32 s2, 0x80
	v_cmp_eq_u16_e32 vcc, s2, v3
	s_mov_b64 s[2:3], -1
	s_and_saveexec_b64 s[8:9], vcc
; %bb.450:
	s_xor_b64 s[2:3], exec, -1
; %bb.451:
	s_or_b64 exec, exec, s[8:9]
	s_and_b64 s[2:3], s[2:3], exec
.LBB393_452:
	s_or_saveexec_b64 s[6:7], s[6:7]
	v_bfrev_b32_e32 v4, 4
	v_mov_b32_e32 v5, 0x7ff80000
	s_xor_b64 exec, exec, s[6:7]
; %bb.453:
	v_cmp_ne_u16_e32 vcc, 0, v3
	s_andn2_b64 s[2:3], s[2:3], exec
	s_and_b64 s[8:9], vcc, exec
	v_mov_b64_e32 v[4:5], 0
	s_or_b64 s[2:3], s[2:3], s[8:9]
; %bb.454:
	s_or_b64 exec, exec, s[6:7]
	s_and_saveexec_b64 s[6:7], s[2:3]
	s_cbranch_execz .LBB393_456
; %bb.455:
	v_lshlrev_b32_e32 v4, 24, v3
	v_and_b32_e32 v3, 0xffff, v3
	v_and_b32_e32 v5, 7, v3
	v_ffbh_u32_e32 v7, v5
	v_min_u32_e32 v7, 32, v7
	v_subrev_u32_e32 v8, 28, v7
	v_bfe_u32 v6, v3, 3, 4
	v_lshlrev_b32_e32 v3, v8, v3
	v_sub_u32_e32 v7, 29, v7
	v_and_b32_e32 v3, 7, v3
	v_cmp_eq_u32_e32 vcc, 0, v6
	v_and_b32_e32 v4, 0x80000000, v4
	s_nop 0
	v_cndmask_b32_e32 v6, v6, v7, vcc
	v_cndmask_b32_e32 v3, v5, v3, vcc
	v_mov_b32_e32 v5, 0x3b800000
	v_lshlrev_b32_e32 v3, 20, v3
	v_lshl_add_u32 v5, v6, 23, v5
	v_or3_b32 v3, v4, v5, v3
	v_cvt_f64_f32_e32 v[4:5], v3
.LBB393_456:
	s_or_b64 exec, exec, s[6:7]
.LBB393_457:
	s_mov_b64 s[2:3], -1
.LBB393_458:
	s_mov_b64 s[6:7], 0
.LBB393_459:
	s_and_b64 vcc, exec, s[6:7]
	s_cbranch_vccz .LBB393_492
; %bb.460:
	s_cmp_gt_i32 s10, 22
	s_cbranch_scc0 .LBB393_472
; %bb.461:
	s_cmp_lt_i32 s10, 24
	s_cbranch_scc1 .LBB393_473
; %bb.462:
	s_cmp_gt_i32 s10, 24
	s_cbranch_scc0 .LBB393_474
; %bb.463:
	global_load_ubyte v3, v[0:1], off
	s_movk_i32 s2, 0x7f
	s_waitcnt vmcnt(0)
	v_cmp_lt_i16_e32 vcc, s2, v3
	s_mov_b64 s[2:3], 0
	s_and_saveexec_b64 s[6:7], vcc
	s_xor_b64 s[6:7], exec, s[6:7]
	s_cbranch_execz .LBB393_467
; %bb.464:
	s_movk_i32 s2, 0x80
	v_cmp_eq_u16_e32 vcc, s2, v3
	s_mov_b64 s[2:3], -1
	s_and_saveexec_b64 s[8:9], vcc
; %bb.465:
	s_xor_b64 s[2:3], exec, -1
; %bb.466:
	s_or_b64 exec, exec, s[8:9]
	s_and_b64 s[2:3], s[2:3], exec
.LBB393_467:
	s_or_saveexec_b64 s[6:7], s[6:7]
	v_bfrev_b32_e32 v4, 4
	v_mov_b32_e32 v5, 0x7ff80000
	s_xor_b64 exec, exec, s[6:7]
; %bb.468:
	v_cmp_ne_u16_e32 vcc, 0, v3
	s_andn2_b64 s[2:3], s[2:3], exec
	s_and_b64 s[8:9], vcc, exec
	v_mov_b64_e32 v[4:5], 0
	s_or_b64 s[2:3], s[2:3], s[8:9]
; %bb.469:
	s_or_b64 exec, exec, s[6:7]
	s_and_saveexec_b64 s[6:7], s[2:3]
	s_cbranch_execz .LBB393_471
; %bb.470:
	v_lshlrev_b32_e32 v4, 24, v3
	v_and_b32_e32 v3, 0xffff, v3
	v_and_b32_e32 v5, 3, v3
	v_ffbh_u32_e32 v7, v5
	v_min_u32_e32 v7, 32, v7
	v_subrev_u32_e32 v8, 29, v7
	v_bfe_u32 v6, v3, 2, 5
	v_lshlrev_b32_e32 v3, v8, v3
	v_sub_u32_e32 v7, 30, v7
	v_and_b32_e32 v3, 3, v3
	v_cmp_eq_u32_e32 vcc, 0, v6
	v_and_b32_e32 v4, 0x80000000, v4
	s_nop 0
	v_cndmask_b32_e32 v6, v6, v7, vcc
	v_cndmask_b32_e32 v3, v5, v3, vcc
	v_mov_b32_e32 v5, 0x37800000
	v_lshlrev_b32_e32 v3, 21, v3
	v_lshl_add_u32 v5, v6, 23, v5
	v_or3_b32 v3, v4, v5, v3
	v_cvt_f64_f32_e32 v[4:5], v3
.LBB393_471:
	s_or_b64 exec, exec, s[6:7]
	s_mov_b64 s[2:3], 0
	s_branch .LBB393_475
.LBB393_472:
	s_mov_b64 s[6:7], -1
                                        ; implicit-def: $vgpr4_vgpr5
	s_branch .LBB393_481
.LBB393_473:
	s_mov_b64 s[2:3], -1
                                        ; implicit-def: $vgpr4_vgpr5
	s_branch .LBB393_478
.LBB393_474:
	s_mov_b64 s[2:3], -1
                                        ; implicit-def: $vgpr4_vgpr5
.LBB393_475:
	s_and_b64 vcc, exec, s[2:3]
	s_cbranch_vccz .LBB393_477
; %bb.476:
	global_load_ubyte v3, v[0:1], off
	s_mov_b32 s2, 0x7f800000
	s_waitcnt vmcnt(0)
	v_lshlrev_b32_e32 v3, 24, v3
	v_and_b32_e32 v4, 0x7f000000, v3
	v_ffbh_u32_e32 v5, v4
	v_min_u32_e32 v5, 32, v5
	v_sub_u32_e64 v5, v5, 4 clamp
	v_lshlrev_b32_e32 v7, v5, v4
	v_lshlrev_b32_e32 v5, 23, v5
	v_lshrrev_b32_e32 v7, 4, v7
	v_add_u32_e32 v6, 0x1000000, v4
	v_sub_u32_e32 v5, v7, v5
	v_ashrrev_i32_e32 v6, 8, v6
	v_add_u32_e32 v5, 0x3c000000, v5
	v_and_or_b32 v5, v6, s2, v5
	v_cmp_ne_u32_e32 vcc, 0, v4
	s_brev_b32 s2, 1
	s_nop 0
	v_cndmask_b32_e32 v4, 0, v5, vcc
	v_and_or_b32 v3, v3, s2, v4
	v_cvt_f64_f32_e32 v[4:5], v3
.LBB393_477:
	s_mov_b64 s[2:3], 0
.LBB393_478:
	s_andn2_b64 vcc, exec, s[2:3]
	s_cbranch_vccnz .LBB393_480
; %bb.479:
	global_load_ubyte v3, v[0:1], off
	s_movk_i32 s2, 0x7f00
	s_brev_b32 s3, 16
	s_waitcnt vmcnt(0)
	v_lshlrev_b16_e32 v4, 8, v3
	v_lshlrev_b32_e32 v3, 25, v3
	v_lshrrev_b32_e32 v5, 4, v3
	v_and_or_b32 v6, v4, s2, 0.5
	v_or_b32_e32 v5, 0x70000000, v5
	v_add_f32_e32 v6, -0.5, v6
	v_mul_f32_e32 v5, 0x7800000, v5
	v_cmp_gt_u32_e32 vcc, s3, v3
	v_bfe_i32 v4, v4, 0, 16
	s_brev_b32 s2, 1
	v_cndmask_b32_e32 v3, v5, v6, vcc
	v_and_or_b32 v3, v4, s2, v3
	v_cvt_f64_f32_e32 v[4:5], v3
.LBB393_480:
	s_mov_b64 s[6:7], 0
	s_mov_b64 s[2:3], -1
.LBB393_481:
	s_andn2_b64 vcc, exec, s[6:7]
	s_cbranch_vccnz .LBB393_492
; %bb.482:
	s_cmp_gt_i32 s10, 14
	s_cbranch_scc0 .LBB393_485
; %bb.483:
	s_cmp_eq_u32 s10, 15
	s_cbranch_scc0 .LBB393_486
; %bb.484:
	global_load_ushort v3, v[0:1], off
	s_mov_b64 s[2:3], -1
	s_mov_b64 s[4:5], 0
	s_waitcnt vmcnt(0)
	v_lshlrev_b32_e32 v3, 16, v3
	v_cvt_f64_f32_e32 v[4:5], v3
	s_branch .LBB393_487
.LBB393_485:
	s_mov_b64 s[6:7], -1
                                        ; implicit-def: $vgpr4_vgpr5
	s_branch .LBB393_488
.LBB393_486:
	s_mov_b64 s[4:5], -1
                                        ; implicit-def: $vgpr4_vgpr5
.LBB393_487:
	s_mov_b64 s[6:7], 0
.LBB393_488:
	s_and_b64 vcc, exec, s[6:7]
	s_cbranch_vccz .LBB393_492
; %bb.489:
	s_cmp_eq_u32 s10, 11
	s_cbranch_scc0 .LBB393_491
; %bb.490:
	global_load_ubyte v3, v[0:1], off
	s_waitcnt vmcnt(1)
	v_mov_b32_e32 v5, 0x3ff00000
	v_mov_b32_e32 v4, 0
	s_mov_b64 s[2:3], -1
	s_mov_b64 s[4:5], 0
	s_waitcnt vmcnt(0)
	v_cmp_ne_u16_e32 vcc, 0, v3
	s_nop 1
	v_cndmask_b32_e32 v5, 0, v5, vcc
	s_branch .LBB393_492
.LBB393_491:
	s_mov_b64 s[4:5], -1
                                        ; implicit-def: $vgpr4_vgpr5
.LBB393_492:
	s_branch .LBB393_295
.LBB393_493:
	s_cmp_lt_i32 s10, 5
	s_cbranch_scc1 .LBB393_498
; %bb.494:
	s_cmp_lt_i32 s10, 8
	s_cbranch_scc1 .LBB393_499
; %bb.495:
	;; [unrolled: 3-line block ×3, first 2 shown]
	s_cmp_gt_i32 s10, 9
	s_cbranch_scc0 .LBB393_501
; %bb.497:
	global_load_dwordx2 v[4:5], v[0:1], off
	s_mov_b64 s[2:3], 0
	s_branch .LBB393_502
.LBB393_498:
	s_mov_b64 s[2:3], -1
                                        ; implicit-def: $vgpr4_vgpr5
	s_branch .LBB393_520
.LBB393_499:
	s_mov_b64 s[2:3], -1
                                        ; implicit-def: $vgpr4_vgpr5
	s_branch .LBB393_508
.LBB393_500:
	s_mov_b64 s[2:3], -1
                                        ; implicit-def: $vgpr4_vgpr5
	s_branch .LBB393_505
.LBB393_501:
	s_mov_b64 s[2:3], -1
                                        ; implicit-def: $vgpr4_vgpr5
.LBB393_502:
	s_andn2_b64 vcc, exec, s[2:3]
	s_cbranch_vccnz .LBB393_504
; %bb.503:
	global_load_dword v3, v[0:1], off
	s_waitcnt vmcnt(0)
	v_cvt_f64_f32_e32 v[4:5], v3
.LBB393_504:
	s_mov_b64 s[2:3], 0
.LBB393_505:
	s_andn2_b64 vcc, exec, s[2:3]
	s_cbranch_vccnz .LBB393_507
; %bb.506:
	global_load_dword v3, v[0:1], off
	s_waitcnt vmcnt(0)
	v_cvt_f32_f16_e32 v3, v3
	v_cvt_f64_f32_e32 v[4:5], v3
.LBB393_507:
	s_mov_b64 s[2:3], 0
.LBB393_508:
	s_andn2_b64 vcc, exec, s[2:3]
	s_cbranch_vccnz .LBB393_519
; %bb.509:
	s_cmp_lt_i32 s10, 6
	s_cbranch_scc1 .LBB393_512
; %bb.510:
	s_cmp_gt_i32 s10, 6
	s_cbranch_scc0 .LBB393_513
; %bb.511:
	global_load_dwordx2 v[4:5], v[0:1], off
	s_mov_b64 s[2:3], 0
	s_branch .LBB393_514
.LBB393_512:
	s_mov_b64 s[2:3], -1
                                        ; implicit-def: $vgpr4_vgpr5
	s_branch .LBB393_517
.LBB393_513:
	s_mov_b64 s[2:3], -1
                                        ; implicit-def: $vgpr4_vgpr5
.LBB393_514:
	s_andn2_b64 vcc, exec, s[2:3]
	s_cbranch_vccnz .LBB393_516
; %bb.515:
	global_load_dword v3, v[0:1], off
	s_waitcnt vmcnt(0)
	v_cvt_f64_f32_e32 v[4:5], v3
.LBB393_516:
	s_mov_b64 s[2:3], 0
.LBB393_517:
	s_andn2_b64 vcc, exec, s[2:3]
	s_cbranch_vccnz .LBB393_519
; %bb.518:
	global_load_ushort v3, v[0:1], off
	s_waitcnt vmcnt(0)
	v_cvt_f32_f16_e32 v3, v3
	v_cvt_f64_f32_e32 v[4:5], v3
.LBB393_519:
	s_mov_b64 s[2:3], 0
.LBB393_520:
	s_andn2_b64 vcc, exec, s[2:3]
	s_cbranch_vccnz .LBB393_540
; %bb.521:
	s_cmp_lt_i32 s10, 2
	s_cbranch_scc1 .LBB393_525
; %bb.522:
	s_cmp_lt_i32 s10, 3
	s_cbranch_scc1 .LBB393_526
; %bb.523:
	s_cmp_gt_i32 s10, 3
	s_cbranch_scc0 .LBB393_527
; %bb.524:
	global_load_dwordx2 v[4:5], v[0:1], off
	s_mov_b64 s[2:3], 0
	s_waitcnt vmcnt(0)
	v_cvt_f64_i32_e32 v[6:7], v5
	v_cvt_f64_u32_e32 v[4:5], v4
	v_ldexp_f64 v[6:7], v[6:7], 32
	v_add_f64 v[4:5], v[6:7], v[4:5]
	s_branch .LBB393_528
.LBB393_525:
	s_mov_b64 s[2:3], -1
                                        ; implicit-def: $vgpr4_vgpr5
	s_branch .LBB393_534
.LBB393_526:
	s_mov_b64 s[2:3], -1
                                        ; implicit-def: $vgpr4_vgpr5
	s_branch .LBB393_531
.LBB393_527:
	s_mov_b64 s[2:3], -1
                                        ; implicit-def: $vgpr4_vgpr5
.LBB393_528:
	s_andn2_b64 vcc, exec, s[2:3]
	s_cbranch_vccnz .LBB393_530
; %bb.529:
	global_load_dword v3, v[0:1], off
	s_waitcnt vmcnt(0)
	v_cvt_f64_i32_e32 v[4:5], v3
.LBB393_530:
	s_mov_b64 s[2:3], 0
.LBB393_531:
	s_andn2_b64 vcc, exec, s[2:3]
	s_cbranch_vccnz .LBB393_533
; %bb.532:
	global_load_sshort v3, v[0:1], off
	s_waitcnt vmcnt(0)
	v_cvt_f64_i32_e32 v[4:5], v3
.LBB393_533:
	s_mov_b64 s[2:3], 0
.LBB393_534:
	s_andn2_b64 vcc, exec, s[2:3]
	s_cbranch_vccnz .LBB393_540
; %bb.535:
	s_cmp_gt_i32 s10, 0
	s_cbranch_scc0 .LBB393_537
; %bb.536:
	global_load_sbyte v3, v[0:1], off
	s_mov_b64 s[2:3], 0
	s_waitcnt vmcnt(0)
	v_cvt_f64_i32_e32 v[4:5], v3
	s_branch .LBB393_538
.LBB393_537:
	s_mov_b64 s[2:3], -1
                                        ; implicit-def: $vgpr4_vgpr5
.LBB393_538:
	s_andn2_b64 vcc, exec, s[2:3]
	s_cbranch_vccnz .LBB393_540
; %bb.539:
	global_load_ubyte v0, v[0:1], off
	s_waitcnt vmcnt(0)
	v_cvt_f64_u32_e32 v[4:5], v0
.LBB393_540:
	s_branch .LBB393_296
.LBB393_541:
	s_mov_b64 s[6:7], 0
	s_mov_b64 s[2:3], s[56:57]
.LBB393_542:
                                        ; implicit-def: $vgpr10
.LBB393_543:
	s_andn2_b64 s[8:9], s[56:57], exec
	s_and_b64 s[2:3], s[2:3], exec
	s_or_b64 s[64:65], s[8:9], s[2:3]
	s_andn2_b64 s[2:3], s[58:59], exec
	s_and_b64 s[4:5], s[4:5], exec
	s_or_b64 s[62:63], s[2:3], s[4:5]
	s_orn2_b64 s[2:3], s[6:7], exec
.LBB393_544:
	s_or_b64 exec, exec, s[66:67]
	s_mov_b64 s[4:5], 0
	s_mov_b64 s[6:7], 0
	;; [unrolled: 1-line block ×3, first 2 shown]
                                        ; implicit-def: $vgpr0_vgpr1
                                        ; implicit-def: $vgpr2
                                        ; implicit-def: $vgpr6_vgpr7
	s_and_saveexec_b64 s[66:67], s[2:3]
	s_cbranch_execz .LBB393_921
; %bb.545:
	v_cmp_gt_i32_e32 vcc, s72, v10
	s_mov_b64 s[6:7], -1
	s_mov_b64 s[2:3], s[62:63]
	s_mov_b64 s[70:71], s[64:65]
	s_and_saveexec_b64 s[68:69], vcc
	s_cbranch_execz .LBB393_820
; %bb.546:
	s_andn2_b64 vcc, exec, s[42:43]
	s_cbranch_vccnz .LBB393_552
; %bb.547:
	s_andn2_b64 vcc, exec, s[54:55]
	s_cbranch_vccnz .LBB393_553
; %bb.548:
	s_add_i32 s78, s77, 1
	s_cmp_eq_u32 s74, 2
	s_cbranch_scc1 .LBB393_554
; %bb.549:
	s_and_b32 s73, s78, 28
	s_mov_b32 s79, 0
	v_mov_b32_e32 v2, 0
	v_mov_b32_e32 v0, 0
	s_mov_b64 s[2:3], s[34:35]
	s_mov_b64 s[70:71], s[52:53]
	s_waitcnt vmcnt(0)
	v_mov_b32_e32 v4, v10
.LBB393_550:                            ; =>This Inner Loop Header: Depth=1
	s_load_dwordx8 s[12:19], s[2:3], 0x4
	s_load_dwordx4 s[36:39], s[2:3], 0x24
	s_load_dwordx8 s[4:11], s[70:71], 0x0
	s_add_u32 s2, s2, 48
	s_addc_u32 s3, s3, 0
	s_waitcnt lgkmcnt(0)
	v_mul_hi_u32 v1, s13, v4
	v_add_u32_e32 v1, v4, v1
	v_lshrrev_b32_e32 v1, s14, v1
	v_mul_lo_u32 v3, v1, s12
	v_mul_hi_u32 v5, s16, v1
	v_sub_u32_e32 v3, v4, v3
	v_add_u32_e32 v4, v1, v5
	v_lshrrev_b32_e32 v4, s17, v4
	v_mul_lo_u32 v6, v4, s15
	v_mul_hi_u32 v7, s19, v4
	v_sub_u32_e32 v1, v1, v6
	v_add_u32_e32 v6, v4, v7
	v_mul_lo_u32 v5, v3, s5
	v_mul_lo_u32 v3, v3, s4
	;; [unrolled: 1-line block ×4, first 2 shown]
	v_lshrrev_b32_e32 v6, s36, v6
	v_add3_u32 v1, v3, v2, v1
	v_mul_hi_u32 v3, s38, v6
	v_mul_lo_u32 v2, v6, s18
	v_add_u32_e32 v3, v6, v3
	v_sub_u32_e32 v2, v4, v2
	v_lshrrev_b32_e32 v4, s39, v3
	s_add_i32 s79, s79, 4
	v_mul_lo_u32 v3, v4, s37
	s_add_u32 s70, s70, 32
	v_sub_u32_e32 v3, v6, v3
	s_addc_u32 s71, s71, 0
	v_add3_u32 v0, v5, v0, v7
	v_mul_lo_u32 v5, v2, s8
	v_mul_lo_u32 v2, v2, s9
	;; [unrolled: 1-line block ×4, first 2 shown]
	s_cmp_eq_u32 s73, s79
	v_add3_u32 v0, v2, v0, v3
	v_add3_u32 v2, v5, v1, v6
	s_cbranch_scc0 .LBB393_550
; %bb.551:
	v_mov_b32_e32 v1, v0
	s_branch .LBB393_555
.LBB393_552:
	s_mov_b64 s[2:3], -1
                                        ; implicit-def: $vgpr0
                                        ; implicit-def: $vgpr2
	s_branch .LBB393_559
.LBB393_553:
	v_mov_b32_e32 v0, 0
	v_mov_b32_e32 v2, 0
	s_branch .LBB393_558
.LBB393_554:
	v_mov_b32_e32 v2, 0
	s_mov_b32 s73, 0
	v_mov_b32_e32 v1, v2
                                        ; implicit-def: $vgpr0
	s_waitcnt vmcnt(0)
	v_mov_b32_e32 v4, v10
.LBB393_555:
	s_and_b32 s6, s78, 3
	s_cmp_eq_u32 s6, 0
	s_cbranch_scc1 .LBB393_558
; %bb.556:
	s_lshl_b32 s2, s73, 3
	s_add_u32 s2, s34, s2
	s_addc_u32 s3, s35, 0
	s_add_u32 s2, s2, 0xc4
	s_addc_u32 s3, s3, 0
	s_mul_i32 s4, s73, 12
	s_add_u32 s4, s34, s4
	s_addc_u32 s5, s35, 0
.LBB393_557:                            ; =>This Inner Loop Header: Depth=1
	s_load_dwordx2 s[8:9], s[4:5], 0x4
	s_load_dword s7, s[4:5], 0xc
	s_load_dwordx2 s[10:11], s[2:3], 0x0
	v_mov_b32_e32 v0, v1
	s_add_u32 s4, s4, 12
	s_waitcnt lgkmcnt(0)
	v_mul_hi_u32 v1, s9, v4
	v_add_u32_e32 v1, v4, v1
	v_lshrrev_b32_e32 v1, s7, v1
	s_addc_u32 s5, s5, 0
	v_mul_lo_u32 v3, v1, s8
	s_add_u32 s2, s2, 8
	v_sub_u32_e32 v3, v4, v3
	s_addc_u32 s3, s3, 0
	s_add_i32 s6, s6, -1
	v_mov_b32_e32 v4, v1
	v_mad_u64_u32 v[0:1], s[8:9], v3, s11, v[0:1]
	s_cmp_lg_u32 s6, 0
	v_mad_u64_u32 v[2:3], s[8:9], v3, s10, v[2:3]
	v_mov_b32_e32 v1, v0
	s_cbranch_scc1 .LBB393_557
.LBB393_558:
	s_mov_b64 s[2:3], 0
.LBB393_559:
	s_andn2_b64 vcc, exec, s[2:3]
	s_cbranch_vccnz .LBB393_562
; %bb.560:
	v_mul_hi_u32 v0, s25, v10
	v_add_u32_e32 v0, v10, v0
	v_lshrrev_b32_e32 v1, s26, v0
	v_mul_lo_u32 v0, v1, s24
	v_sub_u32_e32 v2, v10, v0
	v_mul_lo_u32 v0, v2, s29
	s_andn2_b64 vcc, exec, s[50:51]
	v_mul_lo_u32 v2, v2, s28
	s_cbranch_vccnz .LBB393_562
; %bb.561:
	v_mul_hi_u32 v3, s48, v1
	v_add_u32_e32 v3, v1, v3
	v_lshrrev_b32_e32 v3, s49, v3
	v_mul_lo_u32 v3, v3, s27
	v_sub_u32_e32 v1, v1, v3
	v_mad_u64_u32 v[2:3], s[2:3], v1, s30, v[2:3]
	v_mad_u64_u32 v[0:1], s[2:3], v1, s31, v[0:1]
.LBB393_562:
	v_mov_b32_e32 v1, 0
	s_and_b32 s10, 0xffff, s76
	s_cmp_lt_i32 s10, 11
	v_lshl_add_u64 v[0:1], s[22:23], 0, v[0:1]
	s_cbranch_scc1 .LBB393_569
; %bb.563:
	s_cmp_gt_i32 s10, 25
	s_cbranch_scc0 .LBB393_570
; %bb.564:
	s_cmp_gt_i32 s10, 28
	s_cbranch_scc0 .LBB393_571
; %bb.565:
	s_cmp_gt_i32 s10, 43
	s_cbranch_scc0 .LBB393_572
; %bb.566:
	s_cmp_gt_i32 s10, 45
	s_cbranch_scc0 .LBB393_575
; %bb.567:
	s_cmp_eq_u32 s10, 46
	s_mov_b64 s[6:7], 0
	s_cbranch_scc0 .LBB393_578
; %bb.568:
	global_load_dword v3, v[0:1], off
	s_mov_b64 s[2:3], -1
	s_mov_b64 s[4:5], 0
	s_waitcnt vmcnt(0)
	v_lshlrev_b32_e32 v3, 16, v3
	v_cvt_f64_f32_e32 v[4:5], v3
	s_branch .LBB393_579
.LBB393_569:
	s_mov_b64 s[6:7], -1
	s_mov_b64 s[2:3], 0
                                        ; implicit-def: $vgpr4_vgpr5
	s_mov_b64 s[4:5], s[62:63]
	s_branch .LBB393_644
.LBB393_570:
	s_mov_b64 s[6:7], -1
	s_mov_b64 s[2:3], 0
	s_mov_b64 s[4:5], s[62:63]
                                        ; implicit-def: $vgpr4_vgpr5
	s_branch .LBB393_610
.LBB393_571:
	s_mov_b64 s[6:7], -1
	s_mov_b64 s[2:3], 0
	s_mov_b64 s[4:5], s[62:63]
                                        ; implicit-def: $vgpr4_vgpr5
	s_branch .LBB393_589
.LBB393_572:
	s_mov_b64 s[6:7], -1
	s_mov_b64 s[2:3], 0
	s_mov_b64 s[4:5], s[62:63]
                                        ; implicit-def: $vgpr4_vgpr5
	s_branch .LBB393_584
.LBB393_573:
	s_andn2_saveexec_b64 s[10:11], s[10:11]
	s_cbranch_execz .LBB393_341
.LBB393_574:
	s_mov_b32 s14, 0x46000000
	v_add_f32_e64 v3, |v2|, s14
	v_and_b32_e32 v3, 0xff, v3
	v_cmp_ne_u32_e32 vcc, 0, v3
	s_andn2_b64 s[8:9], s[8:9], exec
	s_and_b64 s[14:15], vcc, exec
	s_or_b64 s[8:9], s[8:9], s[14:15]
	s_or_b64 exec, exec, s[10:11]
	v_mov_b32_e32 v6, 0
	s_and_saveexec_b64 s[10:11], s[8:9]
	s_cbranch_execnz .LBB393_342
	s_branch .LBB393_343
.LBB393_575:
	s_mov_b64 s[6:7], -1
	s_mov_b64 s[2:3], 0
	s_mov_b64 s[4:5], s[62:63]
                                        ; implicit-def: $vgpr4_vgpr5
	s_branch .LBB393_579
.LBB393_576:
	s_andn2_saveexec_b64 s[10:11], s[10:11]
	s_cbranch_execz .LBB393_354
.LBB393_577:
	s_mov_b32 s14, 0x42800000
	v_add_f32_e64 v3, |v2|, s14
	v_and_b32_e32 v3, 0xff, v3
	v_cmp_ne_u32_e32 vcc, 0, v3
	s_andn2_b64 s[8:9], s[8:9], exec
	s_and_b64 s[14:15], vcc, exec
	s_or_b64 s[8:9], s[8:9], s[14:15]
	s_or_b64 exec, exec, s[10:11]
	v_mov_b32_e32 v6, 0
	s_and_saveexec_b64 s[10:11], s[8:9]
	s_cbranch_execnz .LBB393_355
	s_branch .LBB393_356
.LBB393_578:
	s_mov_b64 s[4:5], -1
                                        ; implicit-def: $vgpr4_vgpr5
	s_mov_b64 s[2:3], 0
.LBB393_579:
	s_and_b64 vcc, exec, s[6:7]
	s_cbranch_vccz .LBB393_583
; %bb.580:
	s_cmp_eq_u32 s10, 44
	s_cbranch_scc0 .LBB393_582
; %bb.581:
	global_load_ubyte v3, v[0:1], off
	s_movk_i32 s4, 0xff
	v_bfrev_b32_e32 v6, 4
	v_mov_b32_e32 v7, 0x7ff80000
	v_bfrev_b32_e32 v8, 28
	s_mov_b64 s[2:3], -1
	s_waitcnt vmcnt(0)
	v_lshlrev_b32_e32 v4, 23, v3
	v_cvt_f64_f32_e32 v[4:5], v4
	v_cmp_ne_u32_e32 vcc, s4, v3
	s_mov_b64 s[4:5], 0
	s_nop 0
	v_cndmask_b32_e32 v4, v6, v4, vcc
	v_cndmask_b32_e32 v5, v7, v5, vcc
	v_cmp_ne_u32_e32 vcc, 0, v3
	s_nop 1
	v_cndmask_b32_e32 v5, v8, v5, vcc
	v_cndmask_b32_e32 v4, 0, v4, vcc
	s_branch .LBB393_583
.LBB393_582:
	s_mov_b64 s[4:5], -1
                                        ; implicit-def: $vgpr4_vgpr5
.LBB393_583:
	s_mov_b64 s[6:7], 0
.LBB393_584:
	s_and_b64 vcc, exec, s[6:7]
	s_cbranch_vccz .LBB393_588
; %bb.585:
	s_cmp_eq_u32 s10, 29
	s_cbranch_scc0 .LBB393_587
; %bb.586:
	global_load_dwordx2 v[4:5], v[0:1], off
	s_mov_b64 s[2:3], -1
	s_mov_b64 s[4:5], 0
	s_mov_b64 s[6:7], 0
	s_waitcnt vmcnt(0)
	v_cvt_f64_u32_e32 v[6:7], v5
	v_cvt_f64_u32_e32 v[4:5], v4
	v_ldexp_f64 v[6:7], v[6:7], 32
	v_add_f64 v[4:5], v[6:7], v[4:5]
	s_branch .LBB393_589
.LBB393_587:
	s_mov_b64 s[4:5], -1
                                        ; implicit-def: $vgpr4_vgpr5
.LBB393_588:
	s_mov_b64 s[6:7], 0
.LBB393_589:
	s_and_b64 vcc, exec, s[6:7]
	s_cbranch_vccz .LBB393_609
; %bb.590:
	s_cmp_lt_i32 s10, 27
	s_cbranch_scc1 .LBB393_593
; %bb.591:
	s_cmp_gt_i32 s10, 27
	s_cbranch_scc0 .LBB393_594
; %bb.592:
	global_load_dword v3, v[0:1], off
	s_mov_b64 s[2:3], 0
	s_waitcnt vmcnt(0)
	v_cvt_f64_u32_e32 v[4:5], v3
	s_branch .LBB393_595
.LBB393_593:
	s_mov_b64 s[2:3], -1
                                        ; implicit-def: $vgpr4_vgpr5
	s_branch .LBB393_598
.LBB393_594:
	s_mov_b64 s[2:3], -1
                                        ; implicit-def: $vgpr4_vgpr5
.LBB393_595:
	s_andn2_b64 vcc, exec, s[2:3]
	s_cbranch_vccnz .LBB393_597
; %bb.596:
	global_load_ushort v3, v[0:1], off
	s_waitcnt vmcnt(0)
	v_cvt_f64_u32_e32 v[4:5], v3
.LBB393_597:
	s_mov_b64 s[2:3], 0
.LBB393_598:
	s_andn2_b64 vcc, exec, s[2:3]
	s_cbranch_vccnz .LBB393_608
; %bb.599:
	global_load_ubyte v3, v[0:1], off
	s_movk_i32 s2, 0x7f
	s_waitcnt vmcnt(0)
	v_cmp_lt_i16_e32 vcc, s2, v3
	s_mov_b64 s[2:3], 0
	s_and_saveexec_b64 s[6:7], vcc
	s_xor_b64 s[6:7], exec, s[6:7]
	s_cbranch_execz .LBB393_603
; %bb.600:
	s_movk_i32 s2, 0x80
	v_cmp_eq_u16_e32 vcc, s2, v3
	s_mov_b64 s[2:3], -1
	s_and_saveexec_b64 s[8:9], vcc
; %bb.601:
	s_xor_b64 s[2:3], exec, -1
; %bb.602:
	s_or_b64 exec, exec, s[8:9]
	s_and_b64 s[2:3], s[2:3], exec
.LBB393_603:
	s_or_saveexec_b64 s[6:7], s[6:7]
	v_bfrev_b32_e32 v4, 4
	v_mov_b32_e32 v5, 0x7ff80000
	s_xor_b64 exec, exec, s[6:7]
; %bb.604:
	v_cmp_ne_u16_e32 vcc, 0, v3
	s_andn2_b64 s[2:3], s[2:3], exec
	s_and_b64 s[8:9], vcc, exec
	v_mov_b64_e32 v[4:5], 0
	s_or_b64 s[2:3], s[2:3], s[8:9]
; %bb.605:
	s_or_b64 exec, exec, s[6:7]
	s_and_saveexec_b64 s[6:7], s[2:3]
	s_cbranch_execz .LBB393_607
; %bb.606:
	v_lshlrev_b32_e32 v4, 24, v3
	v_and_b32_e32 v3, 0xffff, v3
	v_and_b32_e32 v5, 7, v3
	v_ffbh_u32_e32 v7, v5
	v_min_u32_e32 v7, 32, v7
	v_subrev_u32_e32 v8, 28, v7
	v_bfe_u32 v6, v3, 3, 4
	v_lshlrev_b32_e32 v3, v8, v3
	v_sub_u32_e32 v7, 29, v7
	v_and_b32_e32 v3, 7, v3
	v_cmp_eq_u32_e32 vcc, 0, v6
	v_and_b32_e32 v4, 0x80000000, v4
	s_nop 0
	v_cndmask_b32_e32 v6, v6, v7, vcc
	v_cndmask_b32_e32 v3, v5, v3, vcc
	v_mov_b32_e32 v5, 0x3b800000
	v_lshlrev_b32_e32 v3, 20, v3
	v_lshl_add_u32 v5, v6, 23, v5
	v_or3_b32 v3, v4, v5, v3
	v_cvt_f64_f32_e32 v[4:5], v3
.LBB393_607:
	s_or_b64 exec, exec, s[6:7]
.LBB393_608:
	s_mov_b64 s[2:3], -1
.LBB393_609:
	s_mov_b64 s[6:7], 0
.LBB393_610:
	s_and_b64 vcc, exec, s[6:7]
	s_cbranch_vccz .LBB393_643
; %bb.611:
	s_cmp_gt_i32 s10, 22
	s_cbranch_scc0 .LBB393_623
; %bb.612:
	s_cmp_lt_i32 s10, 24
	s_cbranch_scc1 .LBB393_624
; %bb.613:
	s_cmp_gt_i32 s10, 24
	s_cbranch_scc0 .LBB393_625
; %bb.614:
	global_load_ubyte v3, v[0:1], off
	s_movk_i32 s2, 0x7f
	s_waitcnt vmcnt(0)
	v_cmp_lt_i16_e32 vcc, s2, v3
	s_mov_b64 s[2:3], 0
	s_and_saveexec_b64 s[6:7], vcc
	s_xor_b64 s[6:7], exec, s[6:7]
	s_cbranch_execz .LBB393_618
; %bb.615:
	s_movk_i32 s2, 0x80
	v_cmp_eq_u16_e32 vcc, s2, v3
	s_mov_b64 s[2:3], -1
	s_and_saveexec_b64 s[8:9], vcc
; %bb.616:
	s_xor_b64 s[2:3], exec, -1
; %bb.617:
	s_or_b64 exec, exec, s[8:9]
	s_and_b64 s[2:3], s[2:3], exec
.LBB393_618:
	s_or_saveexec_b64 s[6:7], s[6:7]
	v_bfrev_b32_e32 v4, 4
	v_mov_b32_e32 v5, 0x7ff80000
	s_xor_b64 exec, exec, s[6:7]
; %bb.619:
	v_cmp_ne_u16_e32 vcc, 0, v3
	s_andn2_b64 s[2:3], s[2:3], exec
	s_and_b64 s[8:9], vcc, exec
	v_mov_b64_e32 v[4:5], 0
	s_or_b64 s[2:3], s[2:3], s[8:9]
; %bb.620:
	s_or_b64 exec, exec, s[6:7]
	s_and_saveexec_b64 s[6:7], s[2:3]
	s_cbranch_execz .LBB393_622
; %bb.621:
	v_lshlrev_b32_e32 v4, 24, v3
	v_and_b32_e32 v3, 0xffff, v3
	v_and_b32_e32 v5, 3, v3
	v_ffbh_u32_e32 v7, v5
	v_min_u32_e32 v7, 32, v7
	v_subrev_u32_e32 v8, 29, v7
	v_bfe_u32 v6, v3, 2, 5
	v_lshlrev_b32_e32 v3, v8, v3
	v_sub_u32_e32 v7, 30, v7
	v_and_b32_e32 v3, 3, v3
	v_cmp_eq_u32_e32 vcc, 0, v6
	v_and_b32_e32 v4, 0x80000000, v4
	s_nop 0
	v_cndmask_b32_e32 v6, v6, v7, vcc
	v_cndmask_b32_e32 v3, v5, v3, vcc
	v_mov_b32_e32 v5, 0x37800000
	v_lshlrev_b32_e32 v3, 21, v3
	v_lshl_add_u32 v5, v6, 23, v5
	v_or3_b32 v3, v4, v5, v3
	v_cvt_f64_f32_e32 v[4:5], v3
.LBB393_622:
	s_or_b64 exec, exec, s[6:7]
	s_mov_b64 s[2:3], 0
	s_branch .LBB393_626
.LBB393_623:
	s_mov_b64 s[6:7], -1
                                        ; implicit-def: $vgpr4_vgpr5
	s_branch .LBB393_632
.LBB393_624:
	s_mov_b64 s[2:3], -1
                                        ; implicit-def: $vgpr4_vgpr5
	s_branch .LBB393_629
.LBB393_625:
	s_mov_b64 s[2:3], -1
                                        ; implicit-def: $vgpr4_vgpr5
.LBB393_626:
	s_and_b64 vcc, exec, s[2:3]
	s_cbranch_vccz .LBB393_628
; %bb.627:
	global_load_ubyte v3, v[0:1], off
	s_mov_b32 s2, 0x7f800000
	s_waitcnt vmcnt(0)
	v_lshlrev_b32_e32 v3, 24, v3
	v_and_b32_e32 v4, 0x7f000000, v3
	v_ffbh_u32_e32 v5, v4
	v_min_u32_e32 v5, 32, v5
	v_sub_u32_e64 v5, v5, 4 clamp
	v_lshlrev_b32_e32 v7, v5, v4
	v_lshlrev_b32_e32 v5, 23, v5
	v_lshrrev_b32_e32 v7, 4, v7
	v_add_u32_e32 v6, 0x1000000, v4
	v_sub_u32_e32 v5, v7, v5
	v_ashrrev_i32_e32 v6, 8, v6
	v_add_u32_e32 v5, 0x3c000000, v5
	v_and_or_b32 v5, v6, s2, v5
	v_cmp_ne_u32_e32 vcc, 0, v4
	s_brev_b32 s2, 1
	s_nop 0
	v_cndmask_b32_e32 v4, 0, v5, vcc
	v_and_or_b32 v3, v3, s2, v4
	v_cvt_f64_f32_e32 v[4:5], v3
.LBB393_628:
	s_mov_b64 s[2:3], 0
.LBB393_629:
	s_andn2_b64 vcc, exec, s[2:3]
	s_cbranch_vccnz .LBB393_631
; %bb.630:
	global_load_ubyte v3, v[0:1], off
	s_movk_i32 s2, 0x7f00
	s_brev_b32 s3, 16
	s_waitcnt vmcnt(0)
	v_lshlrev_b16_e32 v4, 8, v3
	v_lshlrev_b32_e32 v3, 25, v3
	v_lshrrev_b32_e32 v5, 4, v3
	v_and_or_b32 v6, v4, s2, 0.5
	v_or_b32_e32 v5, 0x70000000, v5
	v_add_f32_e32 v6, -0.5, v6
	v_mul_f32_e32 v5, 0x7800000, v5
	v_cmp_gt_u32_e32 vcc, s3, v3
	v_bfe_i32 v4, v4, 0, 16
	s_brev_b32 s2, 1
	v_cndmask_b32_e32 v3, v5, v6, vcc
	v_and_or_b32 v3, v4, s2, v3
	v_cvt_f64_f32_e32 v[4:5], v3
.LBB393_631:
	s_mov_b64 s[6:7], 0
	s_mov_b64 s[2:3], -1
.LBB393_632:
	s_andn2_b64 vcc, exec, s[6:7]
	s_cbranch_vccnz .LBB393_643
; %bb.633:
	s_cmp_gt_i32 s10, 14
	s_cbranch_scc0 .LBB393_636
; %bb.634:
	s_cmp_eq_u32 s10, 15
	s_cbranch_scc0 .LBB393_637
; %bb.635:
	global_load_ushort v3, v[0:1], off
	s_mov_b64 s[2:3], -1
	s_mov_b64 s[4:5], 0
	s_waitcnt vmcnt(0)
	v_lshlrev_b32_e32 v3, 16, v3
	v_cvt_f64_f32_e32 v[4:5], v3
	s_branch .LBB393_638
.LBB393_636:
	s_mov_b64 s[6:7], -1
                                        ; implicit-def: $vgpr4_vgpr5
	s_branch .LBB393_639
.LBB393_637:
	s_mov_b64 s[4:5], -1
                                        ; implicit-def: $vgpr4_vgpr5
.LBB393_638:
	s_mov_b64 s[6:7], 0
.LBB393_639:
	s_and_b64 vcc, exec, s[6:7]
	s_cbranch_vccz .LBB393_643
; %bb.640:
	s_cmp_eq_u32 s10, 11
	s_cbranch_scc0 .LBB393_642
; %bb.641:
	global_load_ubyte v3, v[0:1], off
	s_waitcnt vmcnt(1)
	v_mov_b32_e32 v5, 0x3ff00000
	v_mov_b32_e32 v4, 0
	s_mov_b64 s[2:3], -1
	s_mov_b64 s[4:5], 0
	s_waitcnt vmcnt(0)
	v_cmp_ne_u16_e32 vcc, 0, v3
	s_nop 1
	v_cndmask_b32_e32 v5, 0, v5, vcc
	s_branch .LBB393_643
.LBB393_642:
	s_mov_b64 s[4:5], -1
                                        ; implicit-def: $vgpr4_vgpr5
.LBB393_643:
	s_mov_b64 s[6:7], 0
.LBB393_644:
	s_and_b64 vcc, exec, s[6:7]
	s_cbranch_vccz .LBB393_693
; %bb.645:
	s_cmp_lt_i32 s10, 5
	s_cbranch_scc1 .LBB393_650
; %bb.646:
	s_cmp_lt_i32 s10, 8
	s_cbranch_scc1 .LBB393_651
	;; [unrolled: 3-line block ×3, first 2 shown]
; %bb.648:
	s_cmp_gt_i32 s10, 9
	s_cbranch_scc0 .LBB393_653
; %bb.649:
	global_load_dwordx2 v[4:5], v[0:1], off
	s_mov_b64 s[2:3], 0
	s_branch .LBB393_654
.LBB393_650:
	s_mov_b64 s[2:3], -1
                                        ; implicit-def: $vgpr4_vgpr5
	s_branch .LBB393_672
.LBB393_651:
	s_mov_b64 s[2:3], -1
                                        ; implicit-def: $vgpr4_vgpr5
	s_branch .LBB393_660
.LBB393_652:
	s_mov_b64 s[2:3], -1
                                        ; implicit-def: $vgpr4_vgpr5
	s_branch .LBB393_657
.LBB393_653:
	s_mov_b64 s[2:3], -1
                                        ; implicit-def: $vgpr4_vgpr5
.LBB393_654:
	s_andn2_b64 vcc, exec, s[2:3]
	s_cbranch_vccnz .LBB393_656
; %bb.655:
	global_load_dword v3, v[0:1], off
	s_waitcnt vmcnt(0)
	v_cvt_f64_f32_e32 v[4:5], v3
.LBB393_656:
	s_mov_b64 s[2:3], 0
.LBB393_657:
	s_andn2_b64 vcc, exec, s[2:3]
	s_cbranch_vccnz .LBB393_659
; %bb.658:
	global_load_dword v3, v[0:1], off
	s_waitcnt vmcnt(0)
	v_cvt_f32_f16_e32 v3, v3
	v_cvt_f64_f32_e32 v[4:5], v3
.LBB393_659:
	s_mov_b64 s[2:3], 0
.LBB393_660:
	s_andn2_b64 vcc, exec, s[2:3]
	s_cbranch_vccnz .LBB393_671
; %bb.661:
	s_cmp_lt_i32 s10, 6
	s_cbranch_scc1 .LBB393_664
; %bb.662:
	s_cmp_gt_i32 s10, 6
	s_cbranch_scc0 .LBB393_665
; %bb.663:
	global_load_dwordx2 v[4:5], v[0:1], off
	s_mov_b64 s[2:3], 0
	s_branch .LBB393_666
.LBB393_664:
	s_mov_b64 s[2:3], -1
                                        ; implicit-def: $vgpr4_vgpr5
	s_branch .LBB393_669
.LBB393_665:
	s_mov_b64 s[2:3], -1
                                        ; implicit-def: $vgpr4_vgpr5
.LBB393_666:
	s_andn2_b64 vcc, exec, s[2:3]
	s_cbranch_vccnz .LBB393_668
; %bb.667:
	global_load_dword v3, v[0:1], off
	s_waitcnt vmcnt(0)
	v_cvt_f64_f32_e32 v[4:5], v3
.LBB393_668:
	s_mov_b64 s[2:3], 0
.LBB393_669:
	s_andn2_b64 vcc, exec, s[2:3]
	s_cbranch_vccnz .LBB393_671
; %bb.670:
	global_load_ushort v3, v[0:1], off
	s_waitcnt vmcnt(0)
	v_cvt_f32_f16_e32 v3, v3
	v_cvt_f64_f32_e32 v[4:5], v3
.LBB393_671:
	s_mov_b64 s[2:3], 0
.LBB393_672:
	s_andn2_b64 vcc, exec, s[2:3]
	s_cbranch_vccnz .LBB393_692
; %bb.673:
	s_cmp_lt_i32 s10, 2
	s_cbranch_scc1 .LBB393_677
; %bb.674:
	s_cmp_lt_i32 s10, 3
	s_cbranch_scc1 .LBB393_678
; %bb.675:
	s_cmp_gt_i32 s10, 3
	s_cbranch_scc0 .LBB393_679
; %bb.676:
	global_load_dwordx2 v[4:5], v[0:1], off
	s_mov_b64 s[2:3], 0
	s_waitcnt vmcnt(0)
	v_cvt_f64_i32_e32 v[6:7], v5
	v_cvt_f64_u32_e32 v[4:5], v4
	v_ldexp_f64 v[6:7], v[6:7], 32
	v_add_f64 v[4:5], v[6:7], v[4:5]
	s_branch .LBB393_680
.LBB393_677:
	s_mov_b64 s[2:3], -1
                                        ; implicit-def: $vgpr4_vgpr5
	s_branch .LBB393_686
.LBB393_678:
	s_mov_b64 s[2:3], -1
                                        ; implicit-def: $vgpr4_vgpr5
	s_branch .LBB393_683
.LBB393_679:
	s_mov_b64 s[2:3], -1
                                        ; implicit-def: $vgpr4_vgpr5
.LBB393_680:
	s_andn2_b64 vcc, exec, s[2:3]
	s_cbranch_vccnz .LBB393_682
; %bb.681:
	global_load_dword v3, v[0:1], off
	s_waitcnt vmcnt(0)
	v_cvt_f64_i32_e32 v[4:5], v3
.LBB393_682:
	s_mov_b64 s[2:3], 0
.LBB393_683:
	s_andn2_b64 vcc, exec, s[2:3]
	s_cbranch_vccnz .LBB393_685
; %bb.684:
	global_load_sshort v3, v[0:1], off
	s_waitcnt vmcnt(0)
	v_cvt_f64_i32_e32 v[4:5], v3
.LBB393_685:
	s_mov_b64 s[2:3], 0
.LBB393_686:
	s_andn2_b64 vcc, exec, s[2:3]
	s_cbranch_vccnz .LBB393_692
; %bb.687:
	s_cmp_gt_i32 s10, 0
	s_cbranch_scc0 .LBB393_689
; %bb.688:
	global_load_sbyte v3, v[0:1], off
	s_mov_b64 s[2:3], 0
	s_waitcnt vmcnt(0)
	v_cvt_f64_i32_e32 v[4:5], v3
	s_branch .LBB393_690
.LBB393_689:
	s_mov_b64 s[2:3], -1
                                        ; implicit-def: $vgpr4_vgpr5
.LBB393_690:
	s_andn2_b64 vcc, exec, s[2:3]
	s_cbranch_vccnz .LBB393_692
; %bb.691:
	global_load_ubyte v0, v[0:1], off
	s_waitcnt vmcnt(0)
	v_cvt_f64_u32_e32 v[4:5], v0
.LBB393_692:
	s_mov_b64 s[2:3], -1
.LBB393_693:
	s_andn2_b64 vcc, exec, s[2:3]
	s_cbranch_vccnz .LBB393_701
; %bb.694:
	v_max_f64 v[0:1], s[46:47], s[46:47]
	s_waitcnt vmcnt(0)
	v_max_f64 v[6:7], v[4:5], v[4:5]
	v_max_f64 v[0:1], v[6:7], v[0:1]
	v_cmp_u_f64_e32 vcc, v[4:5], v[4:5]
	v_mov_b32_e32 v3, 0
	s_and_b32 s12, s75, 0xff
	v_cndmask_b32_e32 v1, v1, v5, vcc
	v_cndmask_b32_e32 v0, v0, v4, vcc
	s_cmp_lt_i32 s12, 11
	v_lshl_add_u64 v[4:5], s[20:21], 0, v[2:3]
	s_cbranch_scc1 .LBB393_702
; %bb.695:
	s_and_b32 s13, 0xffff, s12
	s_cmp_gt_i32 s13, 25
	s_cbranch_scc0 .LBB393_703
; %bb.696:
	s_cmp_gt_i32 s13, 28
	s_cbranch_scc0 .LBB393_704
; %bb.697:
	;; [unrolled: 3-line block ×4, first 2 shown]
	s_mov_b64 s[8:9], 0
	s_mov_b64 s[2:3], -1
	s_cmp_eq_u32 s13, 46
	s_mov_b64 s[6:7], 0
	s_cbranch_scc0 .LBB393_707
; %bb.700:
	v_cvt_f32_f64_e32 v2, v[0:1]
	v_bfe_u32 v3, v2, 16, 1
	s_movk_i32 s2, 0x7fff
	v_add3_u32 v3, v2, v3, s2
	v_cmp_o_f32_e32 vcc, v2, v2
	v_mov_b32_e32 v2, 0x7fc0
	s_mov_b64 s[6:7], -1
	v_cndmask_b32_sdwa v2, v2, v3, vcc dst_sel:DWORD dst_unused:UNUSED_PAD src0_sel:DWORD src1_sel:WORD_1
	global_store_dword v[4:5], v2, off
	s_mov_b64 s[2:3], 0
	s_branch .LBB393_707
.LBB393_701:
	s_mov_b64 s[6:7], 0
	s_mov_b64 s[2:3], s[64:65]
	s_branch .LBB393_818
.LBB393_702:
	s_mov_b64 s[8:9], -1
	s_mov_b64 s[6:7], 0
	s_mov_b64 s[2:3], s[64:65]
	s_branch .LBB393_776
.LBB393_703:
	s_mov_b64 s[8:9], -1
	s_mov_b64 s[6:7], 0
	s_mov_b64 s[2:3], s[64:65]
	s_branch .LBB393_734
.LBB393_704:
	s_mov_b64 s[8:9], -1
	s_mov_b64 s[6:7], 0
	s_mov_b64 s[2:3], s[64:65]
	s_branch .LBB393_717
.LBB393_705:
	s_mov_b64 s[8:9], -1
	s_mov_b64 s[6:7], 0
	s_mov_b64 s[2:3], s[64:65]
	s_branch .LBB393_713
.LBB393_706:
	s_mov_b64 s[8:9], -1
	s_mov_b64 s[6:7], 0
	s_mov_b64 s[2:3], s[64:65]
.LBB393_707:
	s_and_b64 vcc, exec, s[8:9]
	s_cbranch_vccz .LBB393_712
; %bb.708:
	s_cmp_eq_u32 s13, 44
	s_mov_b64 s[2:3], -1
	s_cbranch_scc0 .LBB393_712
; %bb.709:
	v_cvt_f32_f64_e32 v2, v[0:1]
	v_bfe_u32 v3, v2, 23, 8
	s_movk_i32 s2, 0xff
	v_cmp_ne_u32_e32 vcc, s2, v3
	v_mov_b32_e32 v6, 0xff
	s_and_saveexec_b64 s[6:7], vcc
; %bb.710:
	s_mov_b32 s2, 0x3fffff
	v_lshrrev_b32_e32 v6, 23, v2
	v_and_b32_e32 v7, 0x400000, v2
	v_and_or_b32 v2, v2, s2, v3
	v_cmp_ne_u32_e32 vcc, 0, v7
	v_cmp_ne_u32_e64 s[2:3], 0, v2
	s_and_b64 s[2:3], vcc, s[2:3]
	s_nop 0
	v_cndmask_b32_e64 v2, 0, 1, s[2:3]
	v_add_u32_e32 v6, v6, v2
; %bb.711:
	s_or_b64 exec, exec, s[6:7]
	s_mov_b64 s[6:7], -1
	s_mov_b64 s[2:3], 0
	global_store_byte v[4:5], v6, off
.LBB393_712:
	s_mov_b64 s[8:9], 0
.LBB393_713:
	s_and_b64 vcc, exec, s[8:9]
	s_cbranch_vccz .LBB393_716
; %bb.714:
	s_cmp_eq_u32 s13, 29
	s_mov_b64 s[2:3], -1
	s_cbranch_scc0 .LBB393_716
; %bb.715:
	v_trunc_f64_e32 v[2:3], v[0:1]
	s_movk_i32 s2, 0xffe0
	v_ldexp_f64 v[6:7], v[2:3], s2
	v_floor_f64_e32 v[6:7], v[6:7]
	v_fmac_f64_e32 v[2:3], 0xc1f00000, v[6:7]
	v_cvt_u32_f64_e32 v9, v[6:7]
	v_cvt_u32_f64_e32 v8, v[2:3]
	global_store_dwordx2 v[4:5], v[8:9], off
	s_mov_b64 s[6:7], -1
	s_mov_b64 s[2:3], 0
.LBB393_716:
	s_mov_b64 s[8:9], 0
.LBB393_717:
	s_and_b64 vcc, exec, s[8:9]
	s_cbranch_vccz .LBB393_733
; %bb.718:
	s_cmp_lt_i32 s13, 27
	s_mov_b64 s[6:7], -1
	s_cbranch_scc1 .LBB393_724
; %bb.719:
	s_cmp_gt_i32 s13, 27
	v_cvt_u32_f64_e32 v2, v[0:1]
	s_cbranch_scc0 .LBB393_721
; %bb.720:
	s_mov_b64 s[6:7], 0
	global_store_dword v[4:5], v2, off
.LBB393_721:
	s_andn2_b64 vcc, exec, s[6:7]
	s_cbranch_vccnz .LBB393_723
; %bb.722:
	global_store_short v[4:5], v2, off
.LBB393_723:
	s_mov_b64 s[6:7], 0
.LBB393_724:
	s_andn2_b64 vcc, exec, s[6:7]
	s_cbranch_vccnz .LBB393_732
; %bb.725:
	v_cvt_f32_f64_e32 v2, v[0:1]
	v_and_b32_e32 v3, 0x7fffffff, v2
	s_mov_b32 s6, 0x43800000
	v_cmp_gt_u32_e32 vcc, s6, v3
	v_mov_b32_e32 v6, 0x80
	s_and_saveexec_b64 s[6:7], vcc
	s_cbranch_execz .LBB393_731
; %bb.726:
	s_mov_b32 s8, 0x3bffffff
	v_cmp_lt_u32_e32 vcc, s8, v3
	s_mov_b64 s[8:9], 0
                                        ; implicit-def: $vgpr3
	s_and_saveexec_b64 s[10:11], vcc
	s_xor_b64 s[10:11], exec, s[10:11]
	s_cbranch_execz .LBB393_849
; %bb.727:
	v_bfe_u32 v3, v2, 20, 1
	s_mov_b32 s14, 0x487ffff
	v_add3_u32 v3, v2, v3, s14
	s_mov_b64 s[8:9], exec
	v_lshrrev_b32_e32 v3, 20, v3
	s_andn2_saveexec_b64 s[10:11], s[10:11]
	s_cbranch_execnz .LBB393_850
.LBB393_728:
	s_or_b64 exec, exec, s[10:11]
	v_mov_b32_e32 v6, 0
	s_and_saveexec_b64 s[10:11], s[8:9]
.LBB393_729:
	v_lshrrev_b32_e32 v2, 24, v2
	s_movk_i32 s8, 0x80
	v_and_or_b32 v6, v2, s8, v3
.LBB393_730:
	s_or_b64 exec, exec, s[10:11]
.LBB393_731:
	s_or_b64 exec, exec, s[6:7]
	global_store_byte v[4:5], v6, off
.LBB393_732:
	s_mov_b64 s[6:7], -1
.LBB393_733:
	s_mov_b64 s[8:9], 0
.LBB393_734:
	s_and_b64 vcc, exec, s[8:9]
	s_cbranch_vccz .LBB393_775
; %bb.735:
	s_cmp_gt_i32 s13, 22
	s_mov_b64 s[8:9], -1
	s_cbranch_scc0 .LBB393_767
; %bb.736:
	s_cmp_lt_i32 s13, 24
	s_mov_b64 s[6:7], -1
	s_cbranch_scc1 .LBB393_756
; %bb.737:
	s_cmp_gt_i32 s13, 24
	s_cbranch_scc0 .LBB393_745
; %bb.738:
	v_cvt_f32_f64_e32 v2, v[0:1]
	v_and_b32_e32 v3, 0x7fffffff, v2
	s_mov_b32 s6, 0x47800000
	v_cmp_gt_u32_e32 vcc, s6, v3
	v_mov_b32_e32 v6, 0x80
	s_and_saveexec_b64 s[6:7], vcc
	s_cbranch_execz .LBB393_744
; %bb.739:
	s_mov_b32 s8, 0x37ffffff
	v_cmp_lt_u32_e32 vcc, s8, v3
	s_mov_b64 s[8:9], 0
                                        ; implicit-def: $vgpr3
	s_and_saveexec_b64 s[10:11], vcc
	s_xor_b64 s[10:11], exec, s[10:11]
	s_cbranch_execz .LBB393_852
; %bb.740:
	v_bfe_u32 v3, v2, 21, 1
	s_mov_b32 s14, 0x88fffff
	v_add3_u32 v3, v2, v3, s14
	s_mov_b64 s[8:9], exec
	v_lshrrev_b32_e32 v3, 21, v3
	s_andn2_saveexec_b64 s[10:11], s[10:11]
	s_cbranch_execnz .LBB393_853
.LBB393_741:
	s_or_b64 exec, exec, s[10:11]
	v_mov_b32_e32 v6, 0
	s_and_saveexec_b64 s[10:11], s[8:9]
.LBB393_742:
	v_lshrrev_b32_e32 v2, 24, v2
	s_movk_i32 s8, 0x80
	v_and_or_b32 v6, v2, s8, v3
.LBB393_743:
	s_or_b64 exec, exec, s[10:11]
.LBB393_744:
	s_or_b64 exec, exec, s[6:7]
	s_mov_b64 s[6:7], 0
	global_store_byte v[4:5], v6, off
.LBB393_745:
	s_and_b64 vcc, exec, s[6:7]
	s_cbranch_vccz .LBB393_755
; %bb.746:
	v_cvt_f32_f64_e32 v2, v[0:1]
	v_and_b32_e32 v6, 0x7fffffff, v2
	s_mov_b32 s6, 0x43f00000
	v_cmp_gt_u32_e32 vcc, s6, v6
                                        ; implicit-def: $vgpr3
	s_and_saveexec_b64 s[6:7], vcc
	s_xor_b64 s[6:7], exec, s[6:7]
	s_cbranch_execz .LBB393_752
; %bb.747:
	s_mov_b32 s8, 0x3c7fffff
	v_cmp_lt_u32_e32 vcc, s8, v6
                                        ; implicit-def: $vgpr3
	s_and_saveexec_b64 s[8:9], vcc
	s_xor_b64 s[8:9], exec, s[8:9]
; %bb.748:
	v_bfe_u32 v3, v2, 20, 1
	s_mov_b32 s10, 0x407ffff
	v_add3_u32 v3, v2, v3, s10
	v_lshrrev_b32_e32 v6, 20, v3
	v_and_b32_e32 v3, 0xff00000, v3
	s_mov_b32 s10, 0x7f00000
	v_mov_b32_e32 v7, 0x7e
	v_cmp_ne_u32_e32 vcc, s10, v3
	s_nop 1
	v_cndmask_b32_e32 v3, v7, v6, vcc
; %bb.749:
	s_andn2_saveexec_b64 s[8:9], s[8:9]
; %bb.750:
	s_mov_b32 s10, 0x46800000
	v_add_f32_e64 v3, |v2|, s10
; %bb.751:
	s_or_b64 exec, exec, s[8:9]
                                        ; implicit-def: $vgpr6
.LBB393_752:
	s_andn2_saveexec_b64 s[6:7], s[6:7]
; %bb.753:
	s_mov_b32 s8, 0x7f800000
	v_mov_b32_e32 v3, 0x7e
	v_mov_b32_e32 v7, 0x7f
	v_cmp_lt_u32_e32 vcc, s8, v6
	s_nop 1
	v_cndmask_b32_e32 v3, v3, v7, vcc
; %bb.754:
	s_or_b64 exec, exec, s[6:7]
	v_lshrrev_b32_e32 v2, 24, v2
	s_movk_i32 s6, 0x80
	v_and_or_b32 v2, v2, s6, v3
	global_store_byte v[4:5], v2, off
.LBB393_755:
	s_mov_b64 s[6:7], 0
.LBB393_756:
	s_andn2_b64 vcc, exec, s[6:7]
	s_cbranch_vccnz .LBB393_766
; %bb.757:
	v_cvt_f32_f64_e32 v2, v[0:1]
	v_and_b32_e32 v6, 0x7fffffff, v2
	s_mov_b32 s6, 0x47800000
	v_cmp_gt_u32_e32 vcc, s6, v6
                                        ; implicit-def: $vgpr3
	s_and_saveexec_b64 s[6:7], vcc
	s_xor_b64 s[6:7], exec, s[6:7]
	s_cbranch_execz .LBB393_763
; %bb.758:
	s_mov_b32 s8, 0x387fffff
	v_cmp_lt_u32_e32 vcc, s8, v6
                                        ; implicit-def: $vgpr3
	s_and_saveexec_b64 s[8:9], vcc
	s_xor_b64 s[8:9], exec, s[8:9]
; %bb.759:
	v_bfe_u32 v3, v2, 21, 1
	s_mov_b32 s10, 0x80fffff
	v_add3_u32 v3, v2, v3, s10
	v_lshrrev_b32_e32 v3, 21, v3
; %bb.760:
	s_andn2_saveexec_b64 s[8:9], s[8:9]
; %bb.761:
	s_mov_b32 s10, 0x43000000
	v_add_f32_e64 v3, |v2|, s10
; %bb.762:
	s_or_b64 exec, exec, s[8:9]
                                        ; implicit-def: $vgpr6
.LBB393_763:
	s_andn2_saveexec_b64 s[6:7], s[6:7]
; %bb.764:
	s_mov_b32 s8, 0x7f800000
	v_mov_b32_e32 v3, 0x7c
	v_mov_b32_e32 v7, 0x7f
	v_cmp_lt_u32_e32 vcc, s8, v6
	s_nop 1
	v_cndmask_b32_e32 v3, v3, v7, vcc
; %bb.765:
	s_or_b64 exec, exec, s[6:7]
	v_lshrrev_b32_e32 v2, 24, v2
	s_movk_i32 s6, 0x80
	v_and_or_b32 v2, v2, s6, v3
	global_store_byte v[4:5], v2, off
.LBB393_766:
	s_mov_b64 s[8:9], 0
	s_mov_b64 s[6:7], -1
.LBB393_767:
	s_andn2_b64 vcc, exec, s[8:9]
	s_cbranch_vccnz .LBB393_775
; %bb.768:
	s_cmp_gt_i32 s13, 14
	s_mov_b64 s[8:9], -1
	s_cbranch_scc0 .LBB393_772
; %bb.769:
	s_cmp_eq_u32 s13, 15
	s_mov_b64 s[2:3], -1
	s_cbranch_scc0 .LBB393_771
; %bb.770:
	v_cvt_f32_f64_e32 v2, v[0:1]
	v_bfe_u32 v3, v2, 16, 1
	s_movk_i32 s2, 0x7fff
	v_add3_u32 v3, v2, v3, s2
	v_cmp_o_f32_e32 vcc, v2, v2
	v_mov_b32_e32 v2, 0x7fc0
	s_mov_b64 s[6:7], -1
	v_cndmask_b32_sdwa v2, v2, v3, vcc dst_sel:DWORD dst_unused:UNUSED_PAD src0_sel:DWORD src1_sel:WORD_1
	global_store_short v[4:5], v2, off
	s_mov_b64 s[2:3], 0
.LBB393_771:
	s_mov_b64 s[8:9], 0
.LBB393_772:
	s_and_b64 vcc, exec, s[8:9]
	s_cbranch_vccz .LBB393_775
; %bb.773:
	s_cmp_eq_u32 s13, 11
	s_mov_b64 s[2:3], -1
	s_cbranch_scc0 .LBB393_775
; %bb.774:
	v_cmp_neq_f64_e32 vcc, 0, v[0:1]
	s_mov_b64 s[2:3], 0
	s_mov_b64 s[6:7], -1
	v_cndmask_b32_e64 v2, 0, 1, vcc
	global_store_byte v[4:5], v2, off
.LBB393_775:
	s_mov_b64 s[8:9], 0
.LBB393_776:
	s_and_b64 vcc, exec, s[8:9]
	s_cbranch_vccz .LBB393_815
; %bb.777:
	s_and_b32 s8, 0xffff, s12
	s_cmp_lt_i32 s8, 5
	s_mov_b64 s[6:7], -1
	s_cbranch_scc1 .LBB393_798
; %bb.778:
	s_cmp_lt_i32 s8, 8
	s_cbranch_scc1 .LBB393_788
; %bb.779:
	s_cmp_lt_i32 s8, 9
	s_cbranch_scc1 .LBB393_785
; %bb.780:
	s_cmp_gt_i32 s8, 9
	s_cbranch_scc0 .LBB393_782
; %bb.781:
	v_mov_b32_e32 v2, 0
	v_mov_b32_e32 v3, v2
	s_mov_b64 s[6:7], 0
	global_store_dwordx4 v[4:5], v[0:3], off
.LBB393_782:
	s_andn2_b64 vcc, exec, s[6:7]
	s_cbranch_vccnz .LBB393_784
; %bb.783:
	v_cvt_f32_f64_e32 v2, v[0:1]
	v_mov_b32_e32 v3, 0
	global_store_dwordx2 v[4:5], v[2:3], off
.LBB393_784:
	s_mov_b64 s[6:7], 0
.LBB393_785:
	s_andn2_b64 vcc, exec, s[6:7]
	s_cbranch_vccnz .LBB393_787
; %bb.786:
	s_movk_i32 s6, 0x1ff
	v_and_or_b32 v2, v1, s6, v0
	v_cmp_ne_u32_e32 vcc, 0, v2
	v_lshrrev_b32_e32 v3, 8, v1
	s_movk_i32 s6, 0xffe
	v_cndmask_b32_e64 v2, 0, 1, vcc
	v_bfe_u32 v6, v1, 20, 11
	v_and_or_b32 v2, v3, s6, v2
	v_sub_u32_e32 v7, 0x3f1, v6
	v_or_b32_e32 v3, 0x1000, v2
	v_med3_i32 v7, v7, 0, 13
	v_lshrrev_b32_e32 v8, v7, v3
	v_lshlrev_b32_e32 v7, v7, v8
	v_cmp_ne_u32_e32 vcc, v7, v3
	v_add_u32_e32 v6, 0xfffffc10, v6
	v_lshl_or_b32 v7, v6, 12, v2
	v_cndmask_b32_e64 v3, 0, 1, vcc
	v_or_b32_e32 v3, v8, v3
	v_cmp_gt_i32_e32 vcc, 1, v6
	s_movk_i32 s6, 0x40f
	s_nop 0
	v_cndmask_b32_e32 v3, v7, v3, vcc
	v_and_b32_e32 v7, 7, v3
	v_cmp_lt_i32_e32 vcc, 5, v7
	v_lshrrev_b32_e32 v3, 2, v3
	s_nop 0
	v_cndmask_b32_e64 v8, 0, 1, vcc
	v_cmp_eq_u32_e32 vcc, 3, v7
	s_nop 1
	v_cndmask_b32_e64 v7, 0, 1, vcc
	v_or_b32_e32 v7, v7, v8
	v_add_u32_e32 v3, v3, v7
	v_mov_b32_e32 v7, 0x7c00
	v_cmp_gt_i32_e32 vcc, 31, v6
	v_mov_b32_e32 v8, 0x7e00
	s_nop 0
	v_cndmask_b32_e32 v3, v7, v3, vcc
	v_cmp_ne_u32_e32 vcc, 0, v2
	s_nop 1
	v_cndmask_b32_e32 v2, v7, v8, vcc
	v_cmp_eq_u32_e32 vcc, s6, v6
	s_mov_b32 s6, 0x8000
	s_nop 0
	v_cndmask_b32_e32 v2, v3, v2, vcc
	v_and_b32_sdwa v3, v1, s6 dst_sel:DWORD dst_unused:UNUSED_PAD src0_sel:WORD_1 src1_sel:DWORD
	s_mov_b32 s6, 0xffff
	v_bitop3_b32 v2, v3, s6, v2 bitop3:0xc8
	global_store_dword v[4:5], v2, off
.LBB393_787:
	s_mov_b64 s[6:7], 0
.LBB393_788:
	s_andn2_b64 vcc, exec, s[6:7]
	s_cbranch_vccnz .LBB393_797
; %bb.789:
	s_cmp_lt_i32 s8, 6
	s_mov_b64 s[6:7], -1
	s_cbranch_scc1 .LBB393_795
; %bb.790:
	s_cmp_gt_i32 s8, 6
	s_cbranch_scc0 .LBB393_792
; %bb.791:
	s_mov_b64 s[6:7], 0
	global_store_dwordx2 v[4:5], v[0:1], off
.LBB393_792:
	s_andn2_b64 vcc, exec, s[6:7]
	s_cbranch_vccnz .LBB393_794
; %bb.793:
	v_cvt_f32_f64_e32 v2, v[0:1]
	global_store_dword v[4:5], v2, off
.LBB393_794:
	s_mov_b64 s[6:7], 0
.LBB393_795:
	s_andn2_b64 vcc, exec, s[6:7]
	s_cbranch_vccnz .LBB393_797
; %bb.796:
	s_movk_i32 s6, 0x1ff
	v_and_or_b32 v2, v1, s6, v0
	v_cmp_ne_u32_e32 vcc, 0, v2
	v_lshrrev_b32_e32 v3, 8, v1
	s_movk_i32 s6, 0xffe
	v_cndmask_b32_e64 v2, 0, 1, vcc
	v_bfe_u32 v6, v1, 20, 11
	v_and_or_b32 v2, v3, s6, v2
	v_sub_u32_e32 v7, 0x3f1, v6
	v_or_b32_e32 v3, 0x1000, v2
	v_med3_i32 v7, v7, 0, 13
	v_lshrrev_b32_e32 v8, v7, v3
	v_lshlrev_b32_e32 v7, v7, v8
	v_cmp_ne_u32_e32 vcc, v7, v3
	v_add_u32_e32 v6, 0xfffffc10, v6
	v_lshl_or_b32 v7, v6, 12, v2
	v_cndmask_b32_e64 v3, 0, 1, vcc
	v_or_b32_e32 v3, v8, v3
	v_cmp_gt_i32_e32 vcc, 1, v6
	s_movk_i32 s6, 0x40f
	s_nop 0
	v_cndmask_b32_e32 v3, v7, v3, vcc
	v_and_b32_e32 v7, 7, v3
	v_cmp_lt_i32_e32 vcc, 5, v7
	v_lshrrev_b32_e32 v3, 2, v3
	s_nop 0
	v_cndmask_b32_e64 v8, 0, 1, vcc
	v_cmp_eq_u32_e32 vcc, 3, v7
	s_nop 1
	v_cndmask_b32_e64 v7, 0, 1, vcc
	v_or_b32_e32 v7, v7, v8
	v_add_u32_e32 v3, v3, v7
	v_mov_b32_e32 v7, 0x7c00
	v_cmp_gt_i32_e32 vcc, 31, v6
	v_mov_b32_e32 v8, 0x7e00
	s_nop 0
	v_cndmask_b32_e32 v3, v7, v3, vcc
	v_cmp_ne_u32_e32 vcc, 0, v2
	s_nop 1
	v_cndmask_b32_e32 v2, v7, v8, vcc
	v_cmp_eq_u32_e32 vcc, s6, v6
	s_mov_b32 s6, 0x8000
	s_nop 0
	v_cndmask_b32_e32 v2, v3, v2, vcc
	v_lshrrev_b32_e32 v3, 16, v1
	v_and_or_b32 v2, v3, s6, v2
	global_store_short v[4:5], v2, off
.LBB393_797:
	s_mov_b64 s[6:7], 0
.LBB393_798:
	s_andn2_b64 vcc, exec, s[6:7]
	s_cbranch_vccnz .LBB393_814
; %bb.799:
	s_cmp_lt_i32 s8, 2
	s_mov_b64 s[6:7], -1
	s_cbranch_scc1 .LBB393_809
; %bb.800:
	s_cmp_lt_i32 s8, 3
	s_cbranch_scc1 .LBB393_806
; %bb.801:
	s_cmp_gt_i32 s8, 3
	s_cbranch_scc0 .LBB393_803
; %bb.802:
	v_trunc_f64_e32 v[2:3], v[0:1]
	s_movk_i32 s6, 0xffe0
	v_ldexp_f64 v[6:7], v[2:3], s6
	v_floor_f64_e32 v[6:7], v[6:7]
	v_fmac_f64_e32 v[2:3], 0xc1f00000, v[6:7]
	v_cvt_i32_f64_e32 v9, v[6:7]
	v_cvt_u32_f64_e32 v8, v[2:3]
	s_mov_b64 s[6:7], 0
	global_store_dwordx2 v[4:5], v[8:9], off
.LBB393_803:
	s_andn2_b64 vcc, exec, s[6:7]
	s_cbranch_vccnz .LBB393_805
; %bb.804:
	v_cvt_i32_f64_e32 v2, v[0:1]
	global_store_dword v[4:5], v2, off
.LBB393_805:
	s_mov_b64 s[6:7], 0
.LBB393_806:
	s_andn2_b64 vcc, exec, s[6:7]
	s_cbranch_vccnz .LBB393_808
; %bb.807:
	v_cvt_i32_f64_e32 v2, v[0:1]
	global_store_short v[4:5], v2, off
.LBB393_808:
	s_mov_b64 s[6:7], 0
.LBB393_809:
	s_andn2_b64 vcc, exec, s[6:7]
	s_cbranch_vccnz .LBB393_814
; %bb.810:
	s_cmp_gt_i32 s8, 0
	s_mov_b64 s[6:7], -1
	s_cbranch_scc0 .LBB393_812
; %bb.811:
	v_cvt_i32_f64_e32 v2, v[0:1]
	s_mov_b64 s[6:7], 0
	global_store_byte v[4:5], v2, off
.LBB393_812:
	s_andn2_b64 vcc, exec, s[6:7]
	s_cbranch_vccnz .LBB393_814
; %bb.813:
	v_trunc_f64_e32 v[0:1], v[0:1]
	s_movk_i32 s6, 0xffe0
	v_ldexp_f64 v[2:3], v[0:1], s6
	v_floor_f64_e32 v[2:3], v[2:3]
	v_fmac_f64_e32 v[0:1], 0xc1f00000, v[2:3]
	v_cvt_u32_f64_e32 v0, v[0:1]
	global_store_byte v[4:5], v0, off
.LBB393_814:
	s_mov_b64 s[6:7], -1
.LBB393_815:
	s_andn2_b64 vcc, exec, s[6:7]
	s_cbranch_vccnz .LBB393_817
; %bb.816:
	v_add_u32_e32 v10, 0x80, v10
	s_mov_b64 s[6:7], -1
	s_branch .LBB393_819
.LBB393_817:
	s_mov_b64 s[6:7], 0
.LBB393_818:
                                        ; implicit-def: $vgpr10
.LBB393_819:
	s_andn2_b64 s[8:9], s[64:65], exec
	s_and_b64 s[2:3], s[2:3], exec
	s_or_b64 s[70:71], s[8:9], s[2:3]
	s_andn2_b64 s[2:3], s[62:63], exec
	s_and_b64 s[4:5], s[4:5], exec
	s_or_b64 s[2:3], s[2:3], s[4:5]
	s_orn2_b64 s[6:7], s[6:7], exec
.LBB393_820:
	s_or_b64 exec, exec, s[68:69]
	s_mov_b64 s[4:5], 0
	s_mov_b64 s[10:11], 0
	;; [unrolled: 1-line block ×3, first 2 shown]
                                        ; implicit-def: $vgpr0_vgpr1
                                        ; implicit-def: $vgpr2
                                        ; implicit-def: $vgpr6_vgpr7
	s_and_saveexec_b64 s[68:69], s[6:7]
	s_cbranch_execz .LBB393_920
; %bb.821:
	v_cmp_gt_i32_e32 vcc, s72, v10
	s_mov_b64 s[6:7], 0
	s_mov_b64 s[12:13], s[2:3]
                                        ; implicit-def: $vgpr0_vgpr1
                                        ; implicit-def: $vgpr2
                                        ; implicit-def: $vgpr6_vgpr7
	s_and_saveexec_b64 s[72:73], vcc
	s_cbranch_execz .LBB393_919
; %bb.822:
	s_andn2_b64 vcc, exec, s[42:43]
	s_cbranch_vccnz .LBB393_828
; %bb.823:
	s_andn2_b64 vcc, exec, s[54:55]
	s_cbranch_vccnz .LBB393_829
; %bb.824:
	s_add_i32 s78, s77, 1
	s_cmp_eq_u32 s74, 2
	s_cbranch_scc1 .LBB393_830
; %bb.825:
	s_and_b32 s77, s78, 28
	s_mov_b32 s79, 0
	v_mov_b32_e32 v2, 0
	v_mov_b32_e32 v0, 0
	s_mov_b64 s[54:55], s[34:35]
	s_waitcnt vmcnt(0)
	v_mov_b32_e32 v4, v10
.LBB393_826:                            ; =>This Inner Loop Header: Depth=1
	s_load_dwordx8 s[12:19], s[54:55], 0x4
	s_load_dwordx4 s[36:39], s[54:55], 0x24
	s_load_dwordx8 s[4:11], s[52:53], 0x0
	s_add_u32 s54, s54, 48
	s_addc_u32 s55, s55, 0
	s_waitcnt lgkmcnt(0)
	v_mul_hi_u32 v1, s13, v4
	v_add_u32_e32 v1, v4, v1
	v_lshrrev_b32_e32 v1, s14, v1
	v_mul_lo_u32 v3, v1, s12
	v_mul_hi_u32 v5, s16, v1
	v_sub_u32_e32 v3, v4, v3
	v_add_u32_e32 v4, v1, v5
	v_lshrrev_b32_e32 v4, s17, v4
	v_mul_lo_u32 v6, v4, s15
	v_mul_hi_u32 v7, s19, v4
	v_sub_u32_e32 v1, v1, v6
	v_add_u32_e32 v6, v4, v7
	v_mul_lo_u32 v5, v3, s5
	v_mul_lo_u32 v3, v3, s4
	v_mul_lo_u32 v7, v1, s7
	v_mul_lo_u32 v1, v1, s6
	v_lshrrev_b32_e32 v6, s36, v6
	v_add3_u32 v1, v3, v2, v1
	v_mul_hi_u32 v3, s38, v6
	v_mul_lo_u32 v2, v6, s18
	v_add_u32_e32 v3, v6, v3
	v_sub_u32_e32 v2, v4, v2
	v_lshrrev_b32_e32 v4, s39, v3
	s_add_i32 s79, s79, 4
	v_mul_lo_u32 v3, v4, s37
	s_add_u32 s52, s52, 32
	v_sub_u32_e32 v3, v6, v3
	s_addc_u32 s53, s53, 0
	v_add3_u32 v0, v5, v0, v7
	v_mul_lo_u32 v5, v2, s8
	v_mul_lo_u32 v2, v2, s9
	;; [unrolled: 1-line block ×4, first 2 shown]
	s_cmp_eq_u32 s77, s79
	v_add3_u32 v0, v2, v0, v3
	v_add3_u32 v2, v5, v1, v6
	s_cbranch_scc0 .LBB393_826
; %bb.827:
	v_mov_b32_e32 v1, v0
	s_branch .LBB393_831
.LBB393_828:
	s_mov_b64 s[4:5], -1
                                        ; implicit-def: $vgpr0
                                        ; implicit-def: $vgpr2
	s_branch .LBB393_835
.LBB393_829:
	v_mov_b32_e32 v0, 0
	v_mov_b32_e32 v2, 0
	s_branch .LBB393_834
.LBB393_830:
	v_mov_b32_e32 v2, 0
	s_mov_b32 s77, 0
	v_mov_b32_e32 v1, v2
                                        ; implicit-def: $vgpr0
	s_waitcnt vmcnt(0)
	v_mov_b32_e32 v4, v10
.LBB393_831:
	s_and_b32 s8, s78, 3
	s_cmp_eq_u32 s8, 0
	s_cbranch_scc1 .LBB393_834
; %bb.832:
	s_lshl_b32 s4, s77, 3
	s_add_u32 s4, s34, s4
	s_addc_u32 s5, s35, 0
	s_add_u32 s4, s4, 0xc4
	s_addc_u32 s5, s5, 0
	s_mul_i32 s6, s77, 12
	s_add_u32 s6, s34, s6
	s_addc_u32 s7, s35, 0
.LBB393_833:                            ; =>This Inner Loop Header: Depth=1
	s_load_dwordx2 s[10:11], s[6:7], 0x4
	s_load_dword s9, s[6:7], 0xc
	s_load_dwordx2 s[12:13], s[4:5], 0x0
	v_mov_b32_e32 v0, v1
	s_add_u32 s6, s6, 12
	s_waitcnt lgkmcnt(0)
	v_mul_hi_u32 v1, s11, v4
	v_add_u32_e32 v1, v4, v1
	v_lshrrev_b32_e32 v1, s9, v1
	s_addc_u32 s7, s7, 0
	v_mul_lo_u32 v3, v1, s10
	s_add_u32 s4, s4, 8
	v_sub_u32_e32 v3, v4, v3
	s_addc_u32 s5, s5, 0
	s_add_i32 s8, s8, -1
	v_mov_b32_e32 v4, v1
	v_mad_u64_u32 v[0:1], s[10:11], v3, s13, v[0:1]
	s_cmp_lg_u32 s8, 0
	v_mad_u64_u32 v[2:3], s[10:11], v3, s12, v[2:3]
	v_mov_b32_e32 v1, v0
	s_cbranch_scc1 .LBB393_833
.LBB393_834:
	s_mov_b64 s[4:5], 0
.LBB393_835:
	s_andn2_b64 vcc, exec, s[4:5]
	s_cbranch_vccnz .LBB393_838
; %bb.836:
	v_mul_hi_u32 v0, s25, v10
	v_add_u32_e32 v0, v10, v0
	v_lshrrev_b32_e32 v1, s26, v0
	v_mul_lo_u32 v0, v1, s24
	v_sub_u32_e32 v2, v10, v0
	v_mul_lo_u32 v0, v2, s29
	s_andn2_b64 vcc, exec, s[50:51]
	v_mul_lo_u32 v2, v2, s28
	s_cbranch_vccnz .LBB393_838
; %bb.837:
	v_mul_hi_u32 v3, s48, v1
	v_add_u32_e32 v3, v1, v3
	v_lshrrev_b32_e32 v3, s49, v3
	v_mul_lo_u32 v3, v3, s27
	v_sub_u32_e32 v1, v1, v3
	v_mad_u64_u32 v[2:3], s[4:5], v1, s30, v[2:3]
	v_mad_u64_u32 v[0:1], s[4:5], v1, s31, v[0:1]
.LBB393_838:
	v_mov_b32_e32 v1, 0
	s_and_b32 s14, 0xffff, s76
	s_cmp_lt_i32 s14, 11
	v_lshl_add_u64 v[0:1], s[22:23], 0, v[0:1]
	s_cbranch_scc1 .LBB393_845
; %bb.839:
	s_cmp_gt_i32 s14, 25
	s_mov_b64 s[6:7], 0
	s_cbranch_scc0 .LBB393_846
; %bb.840:
	s_cmp_gt_i32 s14, 28
	s_cbranch_scc0 .LBB393_847
; %bb.841:
	s_cmp_gt_i32 s14, 43
	;; [unrolled: 3-line block ×3, first 2 shown]
	s_cbranch_scc0 .LBB393_851
; %bb.843:
	s_cmp_eq_u32 s14, 46
	s_mov_b64 s[10:11], 0
	s_cbranch_scc0 .LBB393_854
; %bb.844:
	global_load_dword v3, v[0:1], off
	s_mov_b64 s[4:5], 0
	s_mov_b64 s[8:9], -1
	s_waitcnt vmcnt(0)
	v_lshlrev_b32_e32 v3, 16, v3
	v_cvt_f64_f32_e32 v[6:7], v3
	s_branch .LBB393_855
.LBB393_845:
	s_mov_b64 s[10:11], -1
	s_mov_b64 s[8:9], 0
	s_mov_b64 s[6:7], 0
	;; [unrolled: 1-line block ×3, first 2 shown]
                                        ; implicit-def: $vgpr6_vgpr7
	s_branch .LBB393_918
.LBB393_846:
	s_mov_b64 s[10:11], -1
	s_mov_b64 s[8:9], 0
	s_mov_b64 s[4:5], s[2:3]
                                        ; implicit-def: $vgpr6_vgpr7
	s_branch .LBB393_886
.LBB393_847:
	s_mov_b64 s[10:11], -1
	s_mov_b64 s[8:9], 0
	s_mov_b64 s[4:5], s[2:3]
                                        ; implicit-def: $vgpr6_vgpr7
	s_branch .LBB393_865
.LBB393_848:
	s_mov_b64 s[10:11], -1
	s_mov_b64 s[8:9], 0
	s_mov_b64 s[4:5], s[2:3]
                                        ; implicit-def: $vgpr6_vgpr7
	s_branch .LBB393_860
.LBB393_849:
	s_andn2_saveexec_b64 s[10:11], s[10:11]
	s_cbranch_execz .LBB393_728
.LBB393_850:
	s_mov_b32 s14, 0x46000000
	v_add_f32_e64 v3, |v2|, s14
	v_and_b32_e32 v3, 0xff, v3
	v_cmp_ne_u32_e32 vcc, 0, v3
	s_andn2_b64 s[8:9], s[8:9], exec
	s_and_b64 s[14:15], vcc, exec
	s_or_b64 s[8:9], s[8:9], s[14:15]
	s_or_b64 exec, exec, s[10:11]
	v_mov_b32_e32 v6, 0
	s_and_saveexec_b64 s[10:11], s[8:9]
	s_cbranch_execnz .LBB393_729
	s_branch .LBB393_730
.LBB393_851:
	s_mov_b64 s[10:11], -1
	s_mov_b64 s[8:9], 0
	s_mov_b64 s[4:5], s[2:3]
                                        ; implicit-def: $vgpr6_vgpr7
	s_branch .LBB393_855
.LBB393_852:
	s_andn2_saveexec_b64 s[10:11], s[10:11]
	s_cbranch_execz .LBB393_741
.LBB393_853:
	s_mov_b32 s14, 0x42800000
	v_add_f32_e64 v3, |v2|, s14
	v_and_b32_e32 v3, 0xff, v3
	v_cmp_ne_u32_e32 vcc, 0, v3
	s_andn2_b64 s[8:9], s[8:9], exec
	s_and_b64 s[14:15], vcc, exec
	s_or_b64 s[8:9], s[8:9], s[14:15]
	s_or_b64 exec, exec, s[10:11]
	v_mov_b32_e32 v6, 0
	s_and_saveexec_b64 s[10:11], s[8:9]
	s_cbranch_execnz .LBB393_742
	s_branch .LBB393_743
.LBB393_854:
	s_mov_b64 s[4:5], -1
                                        ; implicit-def: $vgpr6_vgpr7
	s_mov_b64 s[8:9], 0
.LBB393_855:
	s_and_b64 vcc, exec, s[10:11]
	s_cbranch_vccz .LBB393_859
; %bb.856:
	s_cmp_eq_u32 s14, 44
	s_cbranch_scc0 .LBB393_858
; %bb.857:
	global_load_ubyte v3, v[0:1], off
	s_movk_i32 s8, 0xff
	v_bfrev_b32_e32 v6, 4
	v_mov_b32_e32 v7, 0x7ff80000
	v_bfrev_b32_e32 v8, 28
	s_mov_b64 s[4:5], 0
	s_waitcnt vmcnt(0)
	v_lshlrev_b32_e32 v4, 23, v3
	v_cvt_f64_f32_e32 v[4:5], v4
	v_cmp_ne_u32_e32 vcc, s8, v3
	s_mov_b64 s[8:9], -1
	s_nop 0
	v_cndmask_b32_e32 v4, v6, v4, vcc
	v_cndmask_b32_e32 v5, v7, v5, vcc
	v_cmp_ne_u32_e32 vcc, 0, v3
	s_nop 1
	v_cndmask_b32_e32 v7, v8, v5, vcc
	v_cndmask_b32_e32 v6, 0, v4, vcc
	s_branch .LBB393_859
.LBB393_858:
	s_mov_b64 s[4:5], -1
                                        ; implicit-def: $vgpr6_vgpr7
.LBB393_859:
	s_mov_b64 s[10:11], 0
.LBB393_860:
	s_and_b64 vcc, exec, s[10:11]
	s_cbranch_vccz .LBB393_864
; %bb.861:
	s_cmp_eq_u32 s14, 29
	s_cbranch_scc0 .LBB393_863
; %bb.862:
	global_load_dwordx2 v[4:5], v[0:1], off
	s_mov_b64 s[4:5], 0
	s_mov_b64 s[8:9], -1
	s_mov_b64 s[10:11], 0
	s_waitcnt vmcnt(0)
	v_cvt_f64_u32_e32 v[6:7], v5
	v_cvt_f64_u32_e32 v[4:5], v4
	v_ldexp_f64 v[6:7], v[6:7], 32
	v_add_f64 v[6:7], v[6:7], v[4:5]
	s_branch .LBB393_865
.LBB393_863:
	s_mov_b64 s[4:5], -1
                                        ; implicit-def: $vgpr6_vgpr7
.LBB393_864:
	s_mov_b64 s[10:11], 0
.LBB393_865:
	s_and_b64 vcc, exec, s[10:11]
	s_cbranch_vccz .LBB393_885
; %bb.866:
	s_cmp_lt_i32 s14, 27
	s_cbranch_scc1 .LBB393_869
; %bb.867:
	s_cmp_gt_i32 s14, 27
	s_cbranch_scc0 .LBB393_870
; %bb.868:
	global_load_dword v3, v[0:1], off
	s_mov_b64 s[8:9], 0
	s_waitcnt vmcnt(0)
	v_cvt_f64_u32_e32 v[6:7], v3
	s_branch .LBB393_871
.LBB393_869:
	s_mov_b64 s[8:9], -1
                                        ; implicit-def: $vgpr6_vgpr7
	s_branch .LBB393_874
.LBB393_870:
	s_mov_b64 s[8:9], -1
                                        ; implicit-def: $vgpr6_vgpr7
.LBB393_871:
	s_andn2_b64 vcc, exec, s[8:9]
	s_cbranch_vccnz .LBB393_873
; %bb.872:
	global_load_ushort v3, v[0:1], off
	s_waitcnt vmcnt(0)
	v_cvt_f64_u32_e32 v[6:7], v3
.LBB393_873:
	s_mov_b64 s[8:9], 0
.LBB393_874:
	s_andn2_b64 vcc, exec, s[8:9]
	s_cbranch_vccnz .LBB393_884
; %bb.875:
	global_load_ubyte v3, v[0:1], off
	s_movk_i32 s8, 0x7f
	s_waitcnt vmcnt(0)
	v_cmp_lt_i16_e32 vcc, s8, v3
	s_mov_b64 s[8:9], 0
	s_and_saveexec_b64 s[10:11], vcc
	s_xor_b64 s[10:11], exec, s[10:11]
	s_cbranch_execz .LBB393_879
; %bb.876:
	s_movk_i32 s8, 0x80
	v_cmp_eq_u16_e32 vcc, s8, v3
	s_mov_b64 s[8:9], -1
	s_and_saveexec_b64 s[12:13], vcc
; %bb.877:
	s_xor_b64 s[8:9], exec, -1
; %bb.878:
	s_or_b64 exec, exec, s[12:13]
	s_and_b64 s[8:9], s[8:9], exec
.LBB393_879:
	s_or_saveexec_b64 s[10:11], s[10:11]
	v_bfrev_b32_e32 v6, 4
	v_mov_b32_e32 v7, 0x7ff80000
	s_xor_b64 exec, exec, s[10:11]
; %bb.880:
	v_cmp_ne_u16_e32 vcc, 0, v3
	s_andn2_b64 s[8:9], s[8:9], exec
	s_and_b64 s[12:13], vcc, exec
	v_mov_b64_e32 v[6:7], 0
	s_or_b64 s[8:9], s[8:9], s[12:13]
; %bb.881:
	s_or_b64 exec, exec, s[10:11]
	s_and_saveexec_b64 s[10:11], s[8:9]
	s_cbranch_execz .LBB393_883
; %bb.882:
	v_lshlrev_b32_e32 v4, 24, v3
	v_and_b32_e32 v3, 0xffff, v3
	v_and_b32_e32 v5, 7, v3
	v_ffbh_u32_e32 v7, v5
	v_min_u32_e32 v7, 32, v7
	v_subrev_u32_e32 v8, 28, v7
	v_bfe_u32 v6, v3, 3, 4
	v_lshlrev_b32_e32 v3, v8, v3
	v_sub_u32_e32 v7, 29, v7
	v_and_b32_e32 v3, 7, v3
	v_cmp_eq_u32_e32 vcc, 0, v6
	v_and_b32_e32 v4, 0x80000000, v4
	s_nop 0
	v_cndmask_b32_e32 v6, v6, v7, vcc
	v_cndmask_b32_e32 v3, v5, v3, vcc
	v_mov_b32_e32 v5, 0x3b800000
	v_lshlrev_b32_e32 v3, 20, v3
	v_lshl_add_u32 v5, v6, 23, v5
	v_or3_b32 v3, v4, v5, v3
	v_cvt_f64_f32_e32 v[6:7], v3
.LBB393_883:
	s_or_b64 exec, exec, s[10:11]
.LBB393_884:
	s_mov_b64 s[8:9], -1
.LBB393_885:
	s_mov_b64 s[10:11], 0
.LBB393_886:
	s_and_b64 vcc, exec, s[10:11]
	s_cbranch_vccz .LBB393_917
; %bb.887:
	s_cmp_gt_i32 s14, 22
	s_cbranch_scc0 .LBB393_899
; %bb.888:
	s_cmp_lt_i32 s14, 24
	s_cbranch_scc1 .LBB393_900
; %bb.889:
	s_cmp_gt_i32 s14, 24
	s_cbranch_scc0 .LBB393_901
; %bb.890:
	global_load_ubyte v3, v[0:1], off
	s_movk_i32 s6, 0x7f
	s_waitcnt vmcnt(0)
	v_cmp_lt_i16_e32 vcc, s6, v3
	s_mov_b64 s[6:7], 0
	s_and_saveexec_b64 s[8:9], vcc
	s_xor_b64 s[8:9], exec, s[8:9]
	s_cbranch_execz .LBB393_894
; %bb.891:
	s_movk_i32 s6, 0x80
	v_cmp_eq_u16_e32 vcc, s6, v3
	s_mov_b64 s[6:7], -1
	s_and_saveexec_b64 s[10:11], vcc
; %bb.892:
	s_xor_b64 s[6:7], exec, -1
; %bb.893:
	s_or_b64 exec, exec, s[10:11]
	s_and_b64 s[6:7], s[6:7], exec
.LBB393_894:
	s_or_saveexec_b64 s[8:9], s[8:9]
	v_bfrev_b32_e32 v6, 4
	v_mov_b32_e32 v7, 0x7ff80000
	s_xor_b64 exec, exec, s[8:9]
; %bb.895:
	v_cmp_ne_u16_e32 vcc, 0, v3
	s_andn2_b64 s[6:7], s[6:7], exec
	s_and_b64 s[10:11], vcc, exec
	v_mov_b64_e32 v[6:7], 0
	s_or_b64 s[6:7], s[6:7], s[10:11]
; %bb.896:
	s_or_b64 exec, exec, s[8:9]
	s_and_saveexec_b64 s[8:9], s[6:7]
	s_cbranch_execz .LBB393_898
; %bb.897:
	v_lshlrev_b32_e32 v4, 24, v3
	v_and_b32_e32 v3, 0xffff, v3
	v_and_b32_e32 v5, 3, v3
	v_ffbh_u32_e32 v7, v5
	v_min_u32_e32 v7, 32, v7
	v_subrev_u32_e32 v8, 29, v7
	v_bfe_u32 v6, v3, 2, 5
	v_lshlrev_b32_e32 v3, v8, v3
	v_sub_u32_e32 v7, 30, v7
	v_and_b32_e32 v3, 3, v3
	v_cmp_eq_u32_e32 vcc, 0, v6
	v_and_b32_e32 v4, 0x80000000, v4
	s_nop 0
	v_cndmask_b32_e32 v6, v6, v7, vcc
	v_cndmask_b32_e32 v3, v5, v3, vcc
	v_mov_b32_e32 v5, 0x37800000
	v_lshlrev_b32_e32 v3, 21, v3
	v_lshl_add_u32 v5, v6, 23, v5
	v_or3_b32 v3, v4, v5, v3
	v_cvt_f64_f32_e32 v[6:7], v3
.LBB393_898:
	s_or_b64 exec, exec, s[8:9]
	s_mov_b64 s[6:7], 0
	s_branch .LBB393_902
.LBB393_899:
	s_mov_b64 s[6:7], -1
                                        ; implicit-def: $vgpr6_vgpr7
	s_branch .LBB393_908
.LBB393_900:
	s_mov_b64 s[6:7], -1
                                        ; implicit-def: $vgpr6_vgpr7
	s_branch .LBB393_905
.LBB393_901:
	s_mov_b64 s[6:7], -1
                                        ; implicit-def: $vgpr6_vgpr7
.LBB393_902:
	s_and_b64 vcc, exec, s[6:7]
	s_cbranch_vccz .LBB393_904
; %bb.903:
	global_load_ubyte v3, v[0:1], off
	s_mov_b32 s6, 0x7f800000
	s_waitcnt vmcnt(0)
	v_lshlrev_b32_e32 v3, 24, v3
	v_and_b32_e32 v4, 0x7f000000, v3
	v_ffbh_u32_e32 v5, v4
	v_min_u32_e32 v5, 32, v5
	v_sub_u32_e64 v5, v5, 4 clamp
	v_lshlrev_b32_e32 v7, v5, v4
	v_lshlrev_b32_e32 v5, 23, v5
	v_lshrrev_b32_e32 v7, 4, v7
	v_add_u32_e32 v6, 0x1000000, v4
	v_sub_u32_e32 v5, v7, v5
	v_ashrrev_i32_e32 v6, 8, v6
	v_add_u32_e32 v5, 0x3c000000, v5
	v_and_or_b32 v5, v6, s6, v5
	v_cmp_ne_u32_e32 vcc, 0, v4
	s_brev_b32 s6, 1
	s_nop 0
	v_cndmask_b32_e32 v4, 0, v5, vcc
	v_and_or_b32 v3, v3, s6, v4
	v_cvt_f64_f32_e32 v[6:7], v3
.LBB393_904:
	s_mov_b64 s[6:7], 0
.LBB393_905:
	s_andn2_b64 vcc, exec, s[6:7]
	s_cbranch_vccnz .LBB393_907
; %bb.906:
	global_load_ubyte v3, v[0:1], off
	s_movk_i32 s6, 0x7f00
	s_brev_b32 s7, 16
	s_waitcnt vmcnt(0)
	v_lshlrev_b16_e32 v4, 8, v3
	v_lshlrev_b32_e32 v3, 25, v3
	v_lshrrev_b32_e32 v5, 4, v3
	v_and_or_b32 v6, v4, s6, 0.5
	v_or_b32_e32 v5, 0x70000000, v5
	v_add_f32_e32 v6, -0.5, v6
	v_mul_f32_e32 v5, 0x7800000, v5
	v_cmp_gt_u32_e32 vcc, s7, v3
	v_bfe_i32 v4, v4, 0, 16
	s_brev_b32 s6, 1
	v_cndmask_b32_e32 v3, v5, v6, vcc
	v_and_or_b32 v3, v4, s6, v3
	v_cvt_f64_f32_e32 v[6:7], v3
.LBB393_907:
	s_mov_b64 s[6:7], 0
	s_mov_b64 s[8:9], -1
.LBB393_908:
	s_andn2_b64 vcc, exec, s[6:7]
	s_mov_b64 s[6:7], 0
	s_cbranch_vccnz .LBB393_917
; %bb.909:
	s_cmp_gt_i32 s14, 14
	s_cbranch_scc0 .LBB393_912
; %bb.910:
	s_cmp_eq_u32 s14, 15
	s_cbranch_scc0 .LBB393_913
; %bb.911:
	global_load_ushort v3, v[0:1], off
	s_mov_b64 s[4:5], 0
	s_mov_b64 s[8:9], -1
	s_waitcnt vmcnt(0)
	v_lshlrev_b32_e32 v3, 16, v3
	v_cvt_f64_f32_e32 v[6:7], v3
	s_branch .LBB393_914
.LBB393_912:
	s_mov_b64 s[10:11], -1
                                        ; implicit-def: $vgpr6_vgpr7
	s_branch .LBB393_915
.LBB393_913:
	s_mov_b64 s[4:5], -1
                                        ; implicit-def: $vgpr6_vgpr7
.LBB393_914:
	s_mov_b64 s[10:11], 0
.LBB393_915:
	s_and_b64 vcc, exec, s[10:11]
	s_cbranch_vccz .LBB393_917
; %bb.916:
	s_cmp_lg_u32 s14, 11
	s_cselect_b64 s[10:11], -1, 0
	s_andn2_b64 s[4:5], s[4:5], exec
	s_and_b64 s[10:11], s[10:11], exec
	s_mov_b64 s[6:7], -1
	s_or_b64 s[4:5], s[4:5], s[10:11]
.LBB393_917:
	s_mov_b64 s[10:11], 0
.LBB393_918:
	s_andn2_b64 s[12:13], s[2:3], exec
	s_and_b64 s[4:5], s[4:5], exec
	s_and_b64 s[8:9], s[8:9], exec
	;; [unrolled: 1-line block ×4, first 2 shown]
	s_or_b64 s[12:13], s[12:13], s[4:5]
.LBB393_919:
	s_or_b64 exec, exec, s[72:73]
	s_and_b64 s[4:5], s[6:7], exec
	s_andn2_b64 s[2:3], s[2:3], exec
	s_and_b64 s[6:7], s[12:13], exec
	s_and_b64 s[8:9], s[8:9], exec
	;; [unrolled: 1-line block ×3, first 2 shown]
	s_or_b64 s[2:3], s[2:3], s[6:7]
.LBB393_920:
	s_or_b64 exec, exec, s[68:69]
	s_andn2_b64 s[6:7], s[64:65], exec
	s_and_b64 s[12:13], s[70:71], exec
	s_or_b64 s[64:65], s[6:7], s[12:13]
	s_and_b64 s[6:7], s[10:11], exec
	s_andn2_b64 s[10:11], s[62:63], exec
	s_and_b64 s[2:3], s[2:3], exec
	s_and_b64 s[8:9], s[8:9], exec
	;; [unrolled: 1-line block ×3, first 2 shown]
	s_or_b64 s[62:63], s[10:11], s[2:3]
.LBB393_921:
	s_or_b64 exec, exec, s[66:67]
	s_andn2_b64 s[2:3], s[56:57], exec
	s_and_b64 s[10:11], s[64:65], exec
	s_or_b64 s[56:57], s[2:3], s[10:11]
	s_and_b64 s[2:3], s[8:9], exec
	s_and_b64 s[8:9], s[6:7], exec
	;; [unrolled: 1-line block ×3, first 2 shown]
	s_andn2_b64 s[4:5], s[58:59], exec
	s_and_b64 s[6:7], s[62:63], exec
	s_or_b64 s[58:59], s[4:5], s[6:7]
	s_or_b64 exec, exec, s[60:61]
	s_mov_b64 s[4:5], 0
	s_and_saveexec_b64 s[6:7], s[58:59]
	s_cbranch_execz .LBB393_276
.LBB393_922:
	s_mov_b64 s[4:5], exec
	s_andn2_b64 s[64:65], s[64:65], exec
	s_trap 2
	s_or_b64 exec, exec, s[6:7]
	s_and_saveexec_b64 s[6:7], s[64:65]
	s_xor_b64 s[6:7], exec, s[6:7]
	s_cbranch_execnz .LBB393_277
.LBB393_923:
	s_or_b64 exec, exec, s[6:7]
	s_and_saveexec_b64 s[6:7], s[8:9]
	s_cbranch_execz .LBB393_969
.LBB393_924:
	s_sext_i32_i16 s8, s76
	s_cmp_lt_i32 s8, 5
	s_cbranch_scc1 .LBB393_929
; %bb.925:
	s_cmp_lt_i32 s8, 8
	s_cbranch_scc1 .LBB393_930
; %bb.926:
	;; [unrolled: 3-line block ×3, first 2 shown]
	s_cmp_gt_i32 s8, 9
	s_cbranch_scc0 .LBB393_932
; %bb.928:
	global_load_dwordx2 v[6:7], v[0:1], off
	s_mov_b64 s[8:9], 0
	s_branch .LBB393_933
.LBB393_929:
                                        ; implicit-def: $vgpr6_vgpr7
	s_branch .LBB393_950
.LBB393_930:
                                        ; implicit-def: $vgpr6_vgpr7
	s_branch .LBB393_939
.LBB393_931:
	s_mov_b64 s[8:9], -1
                                        ; implicit-def: $vgpr6_vgpr7
	s_branch .LBB393_936
.LBB393_932:
	s_mov_b64 s[8:9], -1
                                        ; implicit-def: $vgpr6_vgpr7
.LBB393_933:
	s_andn2_b64 vcc, exec, s[8:9]
	s_cbranch_vccnz .LBB393_935
; %bb.934:
	global_load_dword v3, v[0:1], off
	s_waitcnt vmcnt(0)
	v_cvt_f64_f32_e32 v[6:7], v3
.LBB393_935:
	s_mov_b64 s[8:9], 0
.LBB393_936:
	s_andn2_b64 vcc, exec, s[8:9]
	s_cbranch_vccnz .LBB393_938
; %bb.937:
	global_load_dword v3, v[0:1], off
	s_waitcnt vmcnt(0)
	v_cvt_f32_f16_e32 v3, v3
	v_cvt_f64_f32_e32 v[6:7], v3
.LBB393_938:
	s_cbranch_execnz .LBB393_949
.LBB393_939:
	s_sext_i32_i16 s8, s76
	s_cmp_lt_i32 s8, 6
	s_cbranch_scc1 .LBB393_942
; %bb.940:
	s_cmp_gt_i32 s8, 6
	s_cbranch_scc0 .LBB393_943
; %bb.941:
	global_load_dwordx2 v[6:7], v[0:1], off
	s_mov_b64 s[8:9], 0
	s_branch .LBB393_944
.LBB393_942:
	s_mov_b64 s[8:9], -1
                                        ; implicit-def: $vgpr6_vgpr7
	s_branch .LBB393_947
.LBB393_943:
	s_mov_b64 s[8:9], -1
                                        ; implicit-def: $vgpr6_vgpr7
.LBB393_944:
	s_andn2_b64 vcc, exec, s[8:9]
	s_cbranch_vccnz .LBB393_946
; %bb.945:
	global_load_dword v3, v[0:1], off
	s_waitcnt vmcnt(0)
	v_cvt_f64_f32_e32 v[6:7], v3
.LBB393_946:
	s_mov_b64 s[8:9], 0
.LBB393_947:
	s_andn2_b64 vcc, exec, s[8:9]
	s_cbranch_vccnz .LBB393_949
; %bb.948:
	global_load_ushort v3, v[0:1], off
	s_waitcnt vmcnt(0)
	v_cvt_f32_f16_e32 v3, v3
	v_cvt_f64_f32_e32 v[6:7], v3
.LBB393_949:
	s_cbranch_execnz .LBB393_968
.LBB393_950:
	s_sext_i32_i16 s8, s76
	s_cmp_lt_i32 s8, 2
	s_cbranch_scc1 .LBB393_954
; %bb.951:
	s_cmp_lt_i32 s8, 3
	s_cbranch_scc1 .LBB393_955
; %bb.952:
	s_cmp_gt_i32 s8, 3
	s_cbranch_scc0 .LBB393_956
; %bb.953:
	global_load_dwordx2 v[4:5], v[0:1], off
	s_mov_b64 s[8:9], 0
	s_waitcnt vmcnt(0)
	v_cvt_f64_i32_e32 v[6:7], v5
	v_cvt_f64_u32_e32 v[4:5], v4
	v_ldexp_f64 v[6:7], v[6:7], 32
	v_add_f64 v[6:7], v[6:7], v[4:5]
	s_branch .LBB393_957
.LBB393_954:
                                        ; implicit-def: $vgpr6_vgpr7
	s_branch .LBB393_963
.LBB393_955:
	s_mov_b64 s[8:9], -1
                                        ; implicit-def: $vgpr6_vgpr7
	s_branch .LBB393_960
.LBB393_956:
	s_mov_b64 s[8:9], -1
                                        ; implicit-def: $vgpr6_vgpr7
.LBB393_957:
	s_andn2_b64 vcc, exec, s[8:9]
	s_cbranch_vccnz .LBB393_959
; %bb.958:
	global_load_dword v3, v[0:1], off
	s_waitcnt vmcnt(0)
	v_cvt_f64_i32_e32 v[6:7], v3
.LBB393_959:
	s_mov_b64 s[8:9], 0
.LBB393_960:
	s_andn2_b64 vcc, exec, s[8:9]
	s_cbranch_vccnz .LBB393_962
; %bb.961:
	global_load_sshort v3, v[0:1], off
	s_waitcnt vmcnt(0)
	v_cvt_f64_i32_e32 v[6:7], v3
.LBB393_962:
	s_cbranch_execnz .LBB393_968
.LBB393_963:
	s_sext_i32_i16 s8, s76
	s_cmp_gt_i32 s8, 0
	s_cbranch_scc0 .LBB393_965
; %bb.964:
	global_load_sbyte v3, v[0:1], off
	s_mov_b64 s[8:9], 0
	s_waitcnt vmcnt(0)
	v_cvt_f64_i32_e32 v[6:7], v3
	s_branch .LBB393_966
.LBB393_965:
	s_mov_b64 s[8:9], -1
                                        ; implicit-def: $vgpr6_vgpr7
.LBB393_966:
	s_andn2_b64 vcc, exec, s[8:9]
	s_cbranch_vccnz .LBB393_968
; %bb.967:
	global_load_ubyte v0, v[0:1], off
	s_waitcnt vmcnt(0)
	v_cvt_f64_u32_e32 v[6:7], v0
.LBB393_968:
	s_or_b64 s[2:3], s[2:3], exec
.LBB393_969:
	s_or_b64 exec, exec, s[6:7]
	s_mov_b64 s[10:11], 0
	s_mov_b64 s[8:9], 0
                                        ; implicit-def: $sgpr16
                                        ; implicit-def: $vgpr4_vgpr5
                                        ; implicit-def: $vgpr0_vgpr1
	s_and_saveexec_b64 s[6:7], s[2:3]
	s_cbranch_execz .LBB393_1044
; %bb.970:
	v_max_f64 v[0:1], s[46:47], s[46:47]
	s_waitcnt vmcnt(0)
	v_max_f64 v[4:5], v[6:7], v[6:7]
	v_max_f64 v[0:1], v[4:5], v[0:1]
	v_cmp_u_f64_e32 vcc, v[6:7], v[6:7]
	v_mov_b32_e32 v3, 0
	s_and_b32 s16, s75, 0xff
	v_cndmask_b32_e32 v1, v1, v7, vcc
	v_cndmask_b32_e32 v0, v0, v6, vcc
	s_cmp_lt_i32 s16, 11
	v_lshl_add_u64 v[4:5], s[20:21], 0, v[2:3]
	s_cbranch_scc1 .LBB393_1047
; %bb.971:
	s_and_b32 s17, 0xffff, s16
	s_mov_b64 s[10:11], -1
	s_cmp_gt_i32 s17, 25
	s_mov_b64 s[2:3], s[56:57]
	s_cbranch_scc0 .LBB393_1004
; %bb.972:
	s_mov_b64 s[8:9], -1
	s_cmp_gt_i32 s17, 28
	s_mov_b64 s[2:3], s[56:57]
	s_cbranch_scc0 .LBB393_988
; %bb.973:
	s_cmp_gt_i32 s17, 43
	s_mov_b64 s[2:3], s[56:57]
	s_cbranch_scc0 .LBB393_984
; %bb.974:
	;; [unrolled: 4-line block ×3, first 2 shown]
	s_cmp_eq_u32 s17, 46
	s_mov_b64 s[2:3], -1
	s_cbranch_scc0 .LBB393_977
; %bb.976:
	v_cvt_f32_f64_e32 v2, v[0:1]
	v_bfe_u32 v3, v2, 16, 1
	s_movk_i32 s2, 0x7fff
	v_add3_u32 v3, v2, v3, s2
	v_cmp_o_f32_e32 vcc, v2, v2
	v_mov_b32_e32 v2, 0x7fc0
	s_mov_b64 s[2:3], 0
	v_cndmask_b32_sdwa v2, v2, v3, vcc dst_sel:DWORD dst_unused:UNUSED_PAD src0_sel:DWORD src1_sel:WORD_1
	global_store_dword v[4:5], v2, off
.LBB393_977:
	s_mov_b64 s[8:9], 0
.LBB393_978:
	s_and_b64 vcc, exec, s[8:9]
	s_cbranch_vccz .LBB393_983
; %bb.979:
	s_cmp_eq_u32 s17, 44
	s_mov_b64 s[2:3], -1
	s_cbranch_scc0 .LBB393_983
; %bb.980:
	v_cvt_f32_f64_e32 v2, v[0:1]
	v_bfe_u32 v3, v2, 23, 8
	s_movk_i32 s2, 0xff
	v_cmp_ne_u32_e32 vcc, s2, v3
	v_mov_b32_e32 v6, 0xff
	s_and_saveexec_b64 s[8:9], vcc
; %bb.981:
	s_mov_b32 s2, 0x3fffff
	v_lshrrev_b32_e32 v6, 23, v2
	v_and_b32_e32 v7, 0x400000, v2
	v_and_or_b32 v2, v2, s2, v3
	v_cmp_ne_u32_e32 vcc, 0, v7
	v_cmp_ne_u32_e64 s[2:3], 0, v2
	s_and_b64 s[2:3], vcc, s[2:3]
	s_nop 0
	v_cndmask_b32_e64 v2, 0, 1, s[2:3]
	v_add_u32_e32 v6, v6, v2
; %bb.982:
	s_or_b64 exec, exec, s[8:9]
	s_mov_b64 s[2:3], 0
	global_store_byte v[4:5], v6, off
.LBB393_983:
	s_mov_b64 s[8:9], 0
.LBB393_984:
	s_and_b64 vcc, exec, s[8:9]
	s_cbranch_vccz .LBB393_987
; %bb.985:
	s_cmp_eq_u32 s17, 29
	s_mov_b64 s[2:3], -1
	s_cbranch_scc0 .LBB393_987
; %bb.986:
	v_trunc_f64_e32 v[2:3], v[0:1]
	s_movk_i32 s2, 0xffe0
	v_ldexp_f64 v[6:7], v[2:3], s2
	v_floor_f64_e32 v[6:7], v[6:7]
	v_fmac_f64_e32 v[2:3], 0xc1f00000, v[6:7]
	v_cvt_u32_f64_e32 v9, v[6:7]
	v_cvt_u32_f64_e32 v8, v[2:3]
	global_store_dwordx2 v[4:5], v[8:9], off
	s_mov_b64 s[2:3], 0
.LBB393_987:
	s_mov_b64 s[8:9], 0
.LBB393_988:
	s_and_b64 vcc, exec, s[8:9]
	s_cbranch_vccz .LBB393_1003
; %bb.989:
	s_cmp_lt_i32 s17, 27
	s_mov_b64 s[8:9], -1
	s_cbranch_scc1 .LBB393_995
; %bb.990:
	s_cmp_gt_i32 s17, 27
	s_cbranch_scc0 .LBB393_992
; %bb.991:
	v_cvt_u32_f64_e32 v2, v[0:1]
	s_mov_b64 s[8:9], 0
	global_store_dword v[4:5], v2, off
.LBB393_992:
	s_andn2_b64 vcc, exec, s[8:9]
	s_cbranch_vccnz .LBB393_994
; %bb.993:
	v_cvt_u32_f64_e32 v2, v[0:1]
	global_store_short v[4:5], v2, off
.LBB393_994:
	s_mov_b64 s[8:9], 0
.LBB393_995:
	s_andn2_b64 vcc, exec, s[8:9]
	s_cbranch_vccnz .LBB393_1003
; %bb.996:
	v_cvt_f32_f64_e32 v2, v[0:1]
	v_and_b32_e32 v3, 0x7fffffff, v2
	s_mov_b32 s8, 0x43800000
	v_cmp_gt_u32_e32 vcc, s8, v3
	v_mov_b32_e32 v6, 0x80
	s_and_saveexec_b64 s[8:9], vcc
	s_cbranch_execz .LBB393_1002
; %bb.997:
	s_mov_b32 s10, 0x3bffffff
	v_cmp_lt_u32_e32 vcc, s10, v3
	s_mov_b64 s[10:11], 0
                                        ; implicit-def: $vgpr3
	s_and_saveexec_b64 s[12:13], vcc
	s_xor_b64 s[12:13], exec, s[12:13]
	s_cbranch_execz .LBB393_1160
; %bb.998:
	v_bfe_u32 v3, v2, 20, 1
	s_mov_b32 s14, 0x487ffff
	v_add3_u32 v3, v2, v3, s14
	s_mov_b64 s[10:11], exec
	v_lshrrev_b32_e32 v3, 20, v3
	s_andn2_saveexec_b64 s[12:13], s[12:13]
	s_cbranch_execnz .LBB393_1161
.LBB393_999:
	s_or_b64 exec, exec, s[12:13]
	v_mov_b32_e32 v6, 0
	s_and_saveexec_b64 s[12:13], s[10:11]
.LBB393_1000:
	v_lshrrev_b32_e32 v2, 24, v2
	s_movk_i32 s10, 0x80
	v_and_or_b32 v6, v2, s10, v3
.LBB393_1001:
	s_or_b64 exec, exec, s[12:13]
.LBB393_1002:
	s_or_b64 exec, exec, s[8:9]
	global_store_byte v[4:5], v6, off
.LBB393_1003:
	s_mov_b64 s[10:11], 0
.LBB393_1004:
	s_mov_b64 s[8:9], 0
	s_and_b64 vcc, exec, s[10:11]
	s_cbranch_vccz .LBB393_1048
; %bb.1005:
	s_cmp_gt_i32 s17, 22
	s_mov_b64 s[10:11], -1
	s_cbranch_scc0 .LBB393_1037
; %bb.1006:
	s_cmp_lt_i32 s17, 24
	s_cbranch_scc1 .LBB393_1026
; %bb.1007:
	s_cmp_gt_i32 s17, 24
	s_cbranch_scc0 .LBB393_1015
; %bb.1008:
	v_cvt_f32_f64_e32 v2, v[0:1]
	v_and_b32_e32 v3, 0x7fffffff, v2
	s_mov_b32 s10, 0x47800000
	v_cmp_gt_u32_e32 vcc, s10, v3
	v_mov_b32_e32 v6, 0x80
	s_and_saveexec_b64 s[10:11], vcc
	s_cbranch_execz .LBB393_1014
; %bb.1009:
	s_mov_b32 s12, 0x37ffffff
	v_cmp_lt_u32_e32 vcc, s12, v3
	s_mov_b64 s[12:13], 0
                                        ; implicit-def: $vgpr3
	s_and_saveexec_b64 s[14:15], vcc
	s_xor_b64 s[14:15], exec, s[14:15]
	s_cbranch_execz .LBB393_1285
; %bb.1010:
	v_bfe_u32 v3, v2, 21, 1
	s_mov_b32 s18, 0x88fffff
	v_add3_u32 v3, v2, v3, s18
	s_mov_b64 s[12:13], exec
	v_lshrrev_b32_e32 v3, 21, v3
	s_andn2_saveexec_b64 s[14:15], s[14:15]
	s_cbranch_execnz .LBB393_1286
.LBB393_1011:
	s_or_b64 exec, exec, s[14:15]
	v_mov_b32_e32 v6, 0
	s_and_saveexec_b64 s[14:15], s[12:13]
.LBB393_1012:
	v_lshrrev_b32_e32 v2, 24, v2
	s_movk_i32 s12, 0x80
	v_and_or_b32 v6, v2, s12, v3
.LBB393_1013:
	s_or_b64 exec, exec, s[14:15]
.LBB393_1014:
	s_or_b64 exec, exec, s[10:11]
	s_mov_b64 s[10:11], 0
	global_store_byte v[4:5], v6, off
.LBB393_1015:
	s_and_b64 vcc, exec, s[10:11]
	s_cbranch_vccz .LBB393_1025
; %bb.1016:
	v_cvt_f32_f64_e32 v2, v[0:1]
	v_and_b32_e32 v6, 0x7fffffff, v2
	s_mov_b32 s10, 0x43f00000
	v_cmp_gt_u32_e32 vcc, s10, v6
                                        ; implicit-def: $vgpr3
	s_and_saveexec_b64 s[10:11], vcc
	s_xor_b64 s[10:11], exec, s[10:11]
	s_cbranch_execz .LBB393_1022
; %bb.1017:
	s_mov_b32 s12, 0x3c7fffff
	v_cmp_lt_u32_e32 vcc, s12, v6
                                        ; implicit-def: $vgpr3
	s_and_saveexec_b64 s[12:13], vcc
	s_xor_b64 s[12:13], exec, s[12:13]
; %bb.1018:
	v_bfe_u32 v3, v2, 20, 1
	s_mov_b32 s14, 0x407ffff
	v_add3_u32 v3, v2, v3, s14
	v_lshrrev_b32_e32 v6, 20, v3
	v_and_b32_e32 v3, 0xff00000, v3
	s_mov_b32 s14, 0x7f00000
	v_mov_b32_e32 v7, 0x7e
	v_cmp_ne_u32_e32 vcc, s14, v3
	s_nop 1
	v_cndmask_b32_e32 v3, v7, v6, vcc
; %bb.1019:
	s_andn2_saveexec_b64 s[12:13], s[12:13]
; %bb.1020:
	s_mov_b32 s14, 0x46800000
	v_add_f32_e64 v3, |v2|, s14
; %bb.1021:
	s_or_b64 exec, exec, s[12:13]
                                        ; implicit-def: $vgpr6
.LBB393_1022:
	s_andn2_saveexec_b64 s[10:11], s[10:11]
; %bb.1023:
	s_mov_b32 s12, 0x7f800000
	v_mov_b32_e32 v3, 0x7e
	v_mov_b32_e32 v7, 0x7f
	v_cmp_lt_u32_e32 vcc, s12, v6
	s_nop 1
	v_cndmask_b32_e32 v3, v3, v7, vcc
; %bb.1024:
	s_or_b64 exec, exec, s[10:11]
	v_lshrrev_b32_e32 v2, 24, v2
	s_movk_i32 s10, 0x80
	v_and_or_b32 v2, v2, s10, v3
	global_store_byte v[4:5], v2, off
.LBB393_1025:
	s_mov_b64 s[10:11], 0
.LBB393_1026:
	s_andn2_b64 vcc, exec, s[10:11]
	s_cbranch_vccnz .LBB393_1036
; %bb.1027:
	v_cvt_f32_f64_e32 v2, v[0:1]
	v_and_b32_e32 v6, 0x7fffffff, v2
	s_mov_b32 s10, 0x47800000
	v_cmp_gt_u32_e32 vcc, s10, v6
                                        ; implicit-def: $vgpr3
	s_and_saveexec_b64 s[10:11], vcc
	s_xor_b64 s[10:11], exec, s[10:11]
	s_cbranch_execz .LBB393_1033
; %bb.1028:
	s_mov_b32 s12, 0x387fffff
	v_cmp_lt_u32_e32 vcc, s12, v6
                                        ; implicit-def: $vgpr3
	s_and_saveexec_b64 s[12:13], vcc
	s_xor_b64 s[12:13], exec, s[12:13]
; %bb.1029:
	v_bfe_u32 v3, v2, 21, 1
	s_mov_b32 s14, 0x80fffff
	v_add3_u32 v3, v2, v3, s14
	v_lshrrev_b32_e32 v3, 21, v3
; %bb.1030:
	s_andn2_saveexec_b64 s[12:13], s[12:13]
; %bb.1031:
	s_mov_b32 s14, 0x43000000
	v_add_f32_e64 v3, |v2|, s14
; %bb.1032:
	s_or_b64 exec, exec, s[12:13]
                                        ; implicit-def: $vgpr6
.LBB393_1033:
	s_andn2_saveexec_b64 s[10:11], s[10:11]
; %bb.1034:
	s_mov_b32 s12, 0x7f800000
	v_mov_b32_e32 v3, 0x7c
	v_mov_b32_e32 v7, 0x7f
	v_cmp_lt_u32_e32 vcc, s12, v6
	s_nop 1
	v_cndmask_b32_e32 v3, v3, v7, vcc
; %bb.1035:
	s_or_b64 exec, exec, s[10:11]
	v_lshrrev_b32_e32 v2, 24, v2
	s_movk_i32 s10, 0x80
	v_and_or_b32 v2, v2, s10, v3
	global_store_byte v[4:5], v2, off
.LBB393_1036:
	s_mov_b64 s[10:11], 0
.LBB393_1037:
	s_andn2_b64 vcc, exec, s[10:11]
	s_mov_b64 s[10:11], 0
	s_cbranch_vccnz .LBB393_1049
; %bb.1038:
	s_cmp_gt_i32 s17, 14
	s_mov_b64 s[12:13], -1
	s_cbranch_scc0 .LBB393_1042
; %bb.1039:
	s_cmp_eq_u32 s17, 15
	s_mov_b64 s[2:3], -1
	s_cbranch_scc0 .LBB393_1041
; %bb.1040:
	v_cvt_f32_f64_e32 v2, v[0:1]
	v_bfe_u32 v3, v2, 16, 1
	s_movk_i32 s2, 0x7fff
	v_add3_u32 v3, v2, v3, s2
	v_cmp_o_f32_e32 vcc, v2, v2
	v_mov_b32_e32 v2, 0x7fc0
	s_mov_b64 s[2:3], 0
	v_cndmask_b32_sdwa v2, v2, v3, vcc dst_sel:DWORD dst_unused:UNUSED_PAD src0_sel:DWORD src1_sel:WORD_1
	global_store_short v[4:5], v2, off
.LBB393_1041:
	s_mov_b64 s[12:13], 0
.LBB393_1042:
	s_and_b64 vcc, exec, s[12:13]
	s_cbranch_vccz .LBB393_1049
; %bb.1043:
	s_cmp_lg_u32 s17, 11
	s_cselect_b64 s[12:13], -1, 0
	s_andn2_b64 s[2:3], s[2:3], exec
	s_and_b64 s[12:13], s[12:13], exec
	s_mov_b64 s[10:11], -1
	s_or_b64 s[2:3], s[2:3], s[12:13]
	s_branch .LBB393_1049
.LBB393_1044:
	s_or_b64 exec, exec, s[6:7]
	s_and_saveexec_b64 s[2:3], s[56:57]
	s_cbranch_execnz .LBB393_1050
.LBB393_1045:
	s_or_b64 exec, exec, s[2:3]
	s_and_saveexec_b64 s[2:3], s[10:11]
	s_xor_b64 s[2:3], exec, s[2:3]
	s_cbranch_execz .LBB393_1051
.LBB393_1046:
	v_cmp_neq_f64_e32 vcc, 0, v[0:1]
	s_nop 1
	v_cndmask_b32_e64 v2, 0, 1, vcc
	s_waitcnt vmcnt(0)
	global_store_byte v[4:5], v2, off
	s_or_b64 exec, exec, s[2:3]
	s_and_saveexec_b64 s[2:3], s[8:9]
	s_xor_b64 s[2:3], exec, s[2:3]
	s_cbranch_execz .LBB393_1089
	s_branch .LBB393_1052
.LBB393_1047:
	s_mov_b64 s[8:9], -1
	s_mov_b64 s[2:3], s[56:57]
	s_branch .LBB393_1049
.LBB393_1048:
	s_mov_b64 s[10:11], 0
.LBB393_1049:
	s_andn2_b64 s[12:13], s[56:57], exec
	s_and_b64 s[2:3], s[2:3], exec
	s_and_b64 s[8:9], s[8:9], exec
	;; [unrolled: 1-line block ×3, first 2 shown]
	s_or_b64 s[56:57], s[12:13], s[2:3]
	s_or_b64 exec, exec, s[6:7]
	s_and_saveexec_b64 s[2:3], s[56:57]
	s_cbranch_execz .LBB393_1045
.LBB393_1050:
	s_or_b64 s[4:5], s[4:5], exec
	s_andn2_b64 s[10:11], s[10:11], exec
	s_trap 2
	s_or_b64 exec, exec, s[2:3]
	s_and_saveexec_b64 s[2:3], s[10:11]
	s_xor_b64 s[2:3], exec, s[2:3]
	s_cbranch_execnz .LBB393_1046
.LBB393_1051:
	s_or_b64 exec, exec, s[2:3]
	s_and_saveexec_b64 s[2:3], s[8:9]
	s_xor_b64 s[2:3], exec, s[2:3]
	s_cbranch_execz .LBB393_1089
.LBB393_1052:
	s_sext_i32_i16 s8, s16
	s_cmp_lt_i32 s8, 5
	s_mov_b64 s[6:7], -1
	s_cbranch_scc1 .LBB393_1073
; %bb.1053:
	s_cmp_lt_i32 s8, 8
	s_cbranch_scc1 .LBB393_1063
; %bb.1054:
	s_cmp_lt_i32 s8, 9
	s_cbranch_scc1 .LBB393_1060
; %bb.1055:
	s_cmp_gt_i32 s8, 9
	s_cbranch_scc0 .LBB393_1057
; %bb.1056:
	v_mov_b32_e32 v2, 0
	v_mov_b32_e32 v3, v2
	s_mov_b64 s[6:7], 0
	s_waitcnt vmcnt(0)
	global_store_dwordx4 v[4:5], v[0:3], off
.LBB393_1057:
	s_andn2_b64 vcc, exec, s[6:7]
	s_cbranch_vccnz .LBB393_1059
; %bb.1058:
	v_cvt_f32_f64_e32 v2, v[0:1]
	v_mov_b32_e32 v3, 0
	s_waitcnt vmcnt(0)
	global_store_dwordx2 v[4:5], v[2:3], off
.LBB393_1059:
	s_mov_b64 s[6:7], 0
.LBB393_1060:
	s_andn2_b64 vcc, exec, s[6:7]
	s_cbranch_vccnz .LBB393_1062
; %bb.1061:
	s_movk_i32 s6, 0x1ff
	v_and_or_b32 v2, v1, s6, v0
	v_cmp_ne_u32_e32 vcc, 0, v2
	v_lshrrev_b32_e32 v3, 8, v1
	s_movk_i32 s6, 0xffe
	v_cndmask_b32_e64 v2, 0, 1, vcc
	s_waitcnt vmcnt(0)
	v_bfe_u32 v6, v1, 20, 11
	v_and_or_b32 v2, v3, s6, v2
	v_sub_u32_e32 v7, 0x3f1, v6
	v_or_b32_e32 v3, 0x1000, v2
	v_med3_i32 v7, v7, 0, 13
	v_lshrrev_b32_e32 v8, v7, v3
	v_lshlrev_b32_e32 v7, v7, v8
	v_cmp_ne_u32_e32 vcc, v7, v3
	v_add_u32_e32 v6, 0xfffffc10, v6
	v_lshl_or_b32 v7, v6, 12, v2
	v_cndmask_b32_e64 v3, 0, 1, vcc
	v_or_b32_e32 v3, v8, v3
	v_cmp_gt_i32_e32 vcc, 1, v6
	s_movk_i32 s6, 0x40f
	s_nop 0
	v_cndmask_b32_e32 v3, v7, v3, vcc
	v_and_b32_e32 v7, 7, v3
	v_cmp_lt_i32_e32 vcc, 5, v7
	v_lshrrev_b32_e32 v3, 2, v3
	s_nop 0
	v_cndmask_b32_e64 v8, 0, 1, vcc
	v_cmp_eq_u32_e32 vcc, 3, v7
	s_nop 1
	v_cndmask_b32_e64 v7, 0, 1, vcc
	v_or_b32_e32 v7, v7, v8
	v_add_u32_e32 v3, v3, v7
	v_mov_b32_e32 v7, 0x7c00
	v_cmp_gt_i32_e32 vcc, 31, v6
	v_mov_b32_e32 v8, 0x7e00
	s_nop 0
	v_cndmask_b32_e32 v3, v7, v3, vcc
	v_cmp_ne_u32_e32 vcc, 0, v2
	s_nop 1
	v_cndmask_b32_e32 v2, v7, v8, vcc
	v_cmp_eq_u32_e32 vcc, s6, v6
	s_mov_b32 s6, 0x8000
	s_nop 0
	v_cndmask_b32_e32 v2, v3, v2, vcc
	v_and_b32_sdwa v3, v1, s6 dst_sel:DWORD dst_unused:UNUSED_PAD src0_sel:WORD_1 src1_sel:DWORD
	s_mov_b32 s6, 0xffff
	v_bitop3_b32 v2, v3, s6, v2 bitop3:0xc8
	global_store_dword v[4:5], v2, off
.LBB393_1062:
	s_mov_b64 s[6:7], 0
.LBB393_1063:
	s_andn2_b64 vcc, exec, s[6:7]
	s_cbranch_vccnz .LBB393_1072
; %bb.1064:
	s_sext_i32_i16 s8, s16
	s_cmp_lt_i32 s8, 6
	s_mov_b64 s[6:7], -1
	s_cbranch_scc1 .LBB393_1070
; %bb.1065:
	s_cmp_gt_i32 s8, 6
	s_cbranch_scc0 .LBB393_1067
; %bb.1066:
	s_mov_b64 s[6:7], 0
	s_waitcnt vmcnt(0)
	global_store_dwordx2 v[4:5], v[0:1], off
.LBB393_1067:
	s_andn2_b64 vcc, exec, s[6:7]
	s_cbranch_vccnz .LBB393_1069
; %bb.1068:
	v_cvt_f32_f64_e32 v2, v[0:1]
	s_waitcnt vmcnt(0)
	global_store_dword v[4:5], v2, off
.LBB393_1069:
	s_mov_b64 s[6:7], 0
.LBB393_1070:
	s_andn2_b64 vcc, exec, s[6:7]
	s_cbranch_vccnz .LBB393_1072
; %bb.1071:
	s_movk_i32 s6, 0x1ff
	v_and_or_b32 v2, v1, s6, v0
	v_cmp_ne_u32_e32 vcc, 0, v2
	v_lshrrev_b32_e32 v3, 8, v1
	s_movk_i32 s6, 0xffe
	v_cndmask_b32_e64 v2, 0, 1, vcc
	s_waitcnt vmcnt(0)
	v_bfe_u32 v6, v1, 20, 11
	v_and_or_b32 v2, v3, s6, v2
	v_sub_u32_e32 v7, 0x3f1, v6
	v_or_b32_e32 v3, 0x1000, v2
	v_med3_i32 v7, v7, 0, 13
	v_lshrrev_b32_e32 v8, v7, v3
	v_lshlrev_b32_e32 v7, v7, v8
	v_cmp_ne_u32_e32 vcc, v7, v3
	v_add_u32_e32 v6, 0xfffffc10, v6
	v_lshl_or_b32 v7, v6, 12, v2
	v_cndmask_b32_e64 v3, 0, 1, vcc
	v_or_b32_e32 v3, v8, v3
	v_cmp_gt_i32_e32 vcc, 1, v6
	s_movk_i32 s6, 0x40f
	s_nop 0
	v_cndmask_b32_e32 v3, v7, v3, vcc
	v_and_b32_e32 v7, 7, v3
	v_cmp_lt_i32_e32 vcc, 5, v7
	v_lshrrev_b32_e32 v3, 2, v3
	s_nop 0
	v_cndmask_b32_e64 v8, 0, 1, vcc
	v_cmp_eq_u32_e32 vcc, 3, v7
	s_nop 1
	v_cndmask_b32_e64 v7, 0, 1, vcc
	v_or_b32_e32 v7, v7, v8
	v_add_u32_e32 v3, v3, v7
	v_mov_b32_e32 v7, 0x7c00
	v_cmp_gt_i32_e32 vcc, 31, v6
	v_mov_b32_e32 v8, 0x7e00
	s_nop 0
	v_cndmask_b32_e32 v3, v7, v3, vcc
	v_cmp_ne_u32_e32 vcc, 0, v2
	s_nop 1
	v_cndmask_b32_e32 v2, v7, v8, vcc
	v_cmp_eq_u32_e32 vcc, s6, v6
	s_mov_b32 s6, 0x8000
	s_nop 0
	v_cndmask_b32_e32 v2, v3, v2, vcc
	v_lshrrev_b32_e32 v3, 16, v1
	v_and_or_b32 v2, v3, s6, v2
	global_store_short v[4:5], v2, off
.LBB393_1072:
	s_mov_b64 s[6:7], 0
.LBB393_1073:
	s_andn2_b64 vcc, exec, s[6:7]
	s_cbranch_vccnz .LBB393_1089
; %bb.1074:
	s_sext_i32_i16 s8, s16
	s_cmp_lt_i32 s8, 2
	s_mov_b64 s[6:7], -1
	s_cbranch_scc1 .LBB393_1084
; %bb.1075:
	s_cmp_lt_i32 s8, 3
	s_cbranch_scc1 .LBB393_1081
; %bb.1076:
	s_cmp_gt_i32 s8, 3
	s_cbranch_scc0 .LBB393_1078
; %bb.1077:
	v_trunc_f64_e32 v[2:3], v[0:1]
	s_movk_i32 s6, 0xffe0
	s_waitcnt vmcnt(0)
	v_ldexp_f64 v[6:7], v[2:3], s6
	v_floor_f64_e32 v[6:7], v[6:7]
	v_fmac_f64_e32 v[2:3], 0xc1f00000, v[6:7]
	v_cvt_i32_f64_e32 v9, v[6:7]
	v_cvt_u32_f64_e32 v8, v[2:3]
	s_mov_b64 s[6:7], 0
	global_store_dwordx2 v[4:5], v[8:9], off
.LBB393_1078:
	s_andn2_b64 vcc, exec, s[6:7]
	s_cbranch_vccnz .LBB393_1080
; %bb.1079:
	v_cvt_i32_f64_e32 v2, v[0:1]
	s_waitcnt vmcnt(0)
	global_store_dword v[4:5], v2, off
.LBB393_1080:
	s_mov_b64 s[6:7], 0
.LBB393_1081:
	s_andn2_b64 vcc, exec, s[6:7]
	s_cbranch_vccnz .LBB393_1083
; %bb.1082:
	v_cvt_i32_f64_e32 v2, v[0:1]
	s_waitcnt vmcnt(0)
	global_store_short v[4:5], v2, off
.LBB393_1083:
	s_mov_b64 s[6:7], 0
.LBB393_1084:
	s_andn2_b64 vcc, exec, s[6:7]
	s_cbranch_vccnz .LBB393_1089
; %bb.1085:
	s_sext_i32_i16 s6, s16
	s_cmp_gt_i32 s6, 0
	s_mov_b64 s[6:7], -1
	s_cbranch_scc0 .LBB393_1087
; %bb.1086:
	v_cvt_i32_f64_e32 v2, v[0:1]
	s_mov_b64 s[6:7], 0
	s_waitcnt vmcnt(0)
	global_store_byte v[4:5], v2, off
.LBB393_1087:
	s_andn2_b64 vcc, exec, s[6:7]
	s_cbranch_vccnz .LBB393_1089
; %bb.1088:
	v_trunc_f64_e32 v[0:1], v[0:1]
	s_movk_i32 s6, 0xffe0
	v_ldexp_f64 v[2:3], v[0:1], s6
	v_floor_f64_e32 v[2:3], v[2:3]
	v_fmac_f64_e32 v[0:1], 0xc1f00000, v[2:3]
	v_cvt_u32_f64_e32 v0, v[0:1]
	s_waitcnt vmcnt(0)
	global_store_byte v[4:5], v0, off
.LBB393_1089:
	s_or_b64 exec, exec, s[2:3]
	s_and_b64 s[24:25], s[4:5], exec
                                        ; implicit-def: $vgpr16
                                        ; implicit-def: $vgpr10
.LBB393_1090:
	s_or_saveexec_b64 s[26:27], s[44:45]
	s_mov_b64 s[6:7], 0
                                        ; implicit-def: $vgpr4_vgpr5
                                        ; implicit-def: $sgpr14
                                        ; implicit-def: $vgpr0_vgpr1
	s_xor_b64 exec, exec, s[26:27]
	s_cbranch_execz .LBB393_2094
; %bb.1091:
	v_cndmask_b32_e64 v0, 0, 1, s[42:43]
	v_cmp_ne_u32_e64 s[2:3], 1, v0
	s_andn2_b64 vcc, exec, s[42:43]
	s_cbranch_vccnz .LBB393_1097
; %bb.1092:
	s_cmp_lg_u32 s33, 0
	s_mov_b32 s36, 0
	s_cbranch_scc0 .LBB393_1098
; %bb.1093:
	s_min_u32 s37, s74, 15
	s_add_i32 s37, s37, 1
	s_cmp_eq_u32 s74, 2
	s_cbranch_scc1 .LBB393_1099
; %bb.1094:
	s_and_b32 s36, s37, 28
	s_add_u32 s28, s34, 0xc4
	s_addc_u32 s29, s35, 0
	s_mov_b32 s38, 0
	v_mov_b32_e32 v2, 0
	v_mov_b32_e32 v0, 0
	s_mov_b64 s[30:31], s[34:35]
	s_waitcnt vmcnt(0)
	v_mov_b32_e32 v4, v10
.LBB393_1095:                           ; =>This Inner Loop Header: Depth=1
	s_load_dwordx8 s[12:19], s[30:31], 0x4
	s_load_dwordx4 s[20:23], s[30:31], 0x24
	s_load_dwordx8 s[4:11], s[28:29], 0x0
	s_add_u32 s30, s30, 48
	s_addc_u32 s31, s31, 0
	s_waitcnt lgkmcnt(0)
	v_mul_hi_u32 v1, s13, v4
	v_add_u32_e32 v1, v4, v1
	v_lshrrev_b32_e32 v1, s14, v1
	v_mul_lo_u32 v3, v1, s12
	v_mul_hi_u32 v5, s16, v1
	v_sub_u32_e32 v3, v4, v3
	v_add_u32_e32 v4, v1, v5
	v_lshrrev_b32_e32 v4, s17, v4
	v_mul_lo_u32 v6, v4, s15
	v_mul_hi_u32 v7, s19, v4
	v_sub_u32_e32 v1, v1, v6
	v_add_u32_e32 v6, v4, v7
	v_mul_lo_u32 v5, v3, s5
	v_mul_lo_u32 v3, v3, s4
	;; [unrolled: 1-line block ×4, first 2 shown]
	v_lshrrev_b32_e32 v6, s20, v6
	v_add3_u32 v1, v3, v2, v1
	v_mul_hi_u32 v3, s22, v6
	v_mul_lo_u32 v2, v6, s18
	v_add_u32_e32 v3, v6, v3
	v_sub_u32_e32 v2, v4, v2
	v_lshrrev_b32_e32 v4, s23, v3
	s_add_i32 s38, s38, 4
	v_mul_lo_u32 v3, v4, s21
	s_add_u32 s28, s28, 32
	v_sub_u32_e32 v3, v6, v3
	s_addc_u32 s29, s29, 0
	v_add3_u32 v0, v5, v0, v7
	v_mul_lo_u32 v5, v2, s8
	v_mul_lo_u32 v2, v2, s9
	;; [unrolled: 1-line block ×4, first 2 shown]
	s_cmp_lg_u32 s36, s38
	v_add3_u32 v0, v2, v0, v3
	v_add3_u32 v2, v5, v1, v6
	s_cbranch_scc1 .LBB393_1095
; %bb.1096:
	v_mov_b32_e32 v1, v0
	s_and_b32 s8, s37, 3
	s_cmp_eq_u32 s8, 0
	s_cbranch_scc0 .LBB393_1100
	s_branch .LBB393_1102
.LBB393_1097:
                                        ; implicit-def: $vgpr0
                                        ; implicit-def: $vgpr2
	s_branch .LBB393_1103
.LBB393_1098:
	v_mov_b32_e32 v0, 0
	v_mov_b32_e32 v2, 0
	s_branch .LBB393_1102
.LBB393_1099:
	v_mov_b32_e32 v2, 0
                                        ; implicit-def: $vgpr0
	v_mov_b32_e32 v1, v2
	s_waitcnt vmcnt(0)
	v_mov_b32_e32 v4, v10
	s_and_b32 s8, s37, 3
	s_cmp_eq_u32 s8, 0
	s_cbranch_scc1 .LBB393_1102
.LBB393_1100:
	s_lshl_b32 s4, s36, 3
	s_add_u32 s4, s34, s4
	s_addc_u32 s5, s35, 0
	s_add_u32 s4, s4, 0xc4
	s_addc_u32 s5, s5, 0
	s_mul_i32 s6, s36, 12
	s_add_u32 s6, s34, s6
	s_addc_u32 s7, s35, 0
.LBB393_1101:                           ; =>This Inner Loop Header: Depth=1
	s_load_dwordx2 s[10:11], s[6:7], 0x4
	s_load_dword s9, s[6:7], 0xc
	s_load_dwordx2 s[12:13], s[4:5], 0x0
	v_mov_b32_e32 v0, v1
	s_add_u32 s6, s6, 12
	s_waitcnt lgkmcnt(0)
	v_mul_hi_u32 v1, s11, v4
	v_add_u32_e32 v1, v4, v1
	v_lshrrev_b32_e32 v1, s9, v1
	s_addc_u32 s7, s7, 0
	v_mul_lo_u32 v3, v1, s10
	s_add_u32 s4, s4, 8
	v_sub_u32_e32 v3, v4, v3
	s_addc_u32 s5, s5, 0
	s_add_i32 s8, s8, -1
	v_mov_b32_e32 v4, v1
	v_mad_u64_u32 v[0:1], s[10:11], v3, s13, v[0:1]
	s_cmp_lg_u32 s8, 0
	v_mad_u64_u32 v[2:3], s[10:11], v3, s12, v[2:3]
	v_mov_b32_e32 v1, v0
	s_cbranch_scc1 .LBB393_1101
.LBB393_1102:
	s_cbranch_execnz .LBB393_1105
.LBB393_1103:
	s_load_dwordx4 s[4:7], s[34:35], 0x4
	s_load_dwordx2 s[8:9], s[34:35], 0xc4
	s_cmp_lt_u32 s33, 2
	s_waitcnt lgkmcnt(0)
	v_mul_hi_u32 v0, s5, v10
	v_add_u32_e32 v0, v10, v0
	v_lshrrev_b32_e32 v1, s6, v0
	v_mul_lo_u32 v0, v1, s4
	v_sub_u32_e32 v2, v10, v0
	v_mul_lo_u32 v0, v2, s9
	v_mul_lo_u32 v2, v2, s8
	s_cbranch_scc1 .LBB393_1105
; %bb.1104:
	s_load_dwordx4 s[4:7], s[34:35], 0x10
	s_load_dwordx2 s[8:9], s[34:35], 0xcc
	s_waitcnt lgkmcnt(0)
	v_mul_hi_u32 v3, s5, v1
	v_add_u32_e32 v3, v1, v3
	v_lshrrev_b32_e32 v3, s6, v3
	v_mul_lo_u32 v3, v3, s4
	v_sub_u32_e32 v1, v1, v3
	v_mad_u64_u32 v[2:3], s[4:5], v1, s8, v[2:3]
	v_mad_u64_u32 v[0:1], s[4:5], v1, s9, v[0:1]
.LBB393_1105:
	s_and_b64 vcc, exec, s[2:3]
	v_add_u32_e32 v3, 0x80, v10
	s_cbranch_vccnz .LBB393_1111
; %bb.1106:
	s_cmp_lg_u32 s33, 0
	s_mov_b32 s36, 0
	s_cbranch_scc0 .LBB393_1112
; %bb.1107:
	s_min_u32 s37, s74, 15
	s_add_i32 s37, s37, 1
	s_cmp_eq_u32 s74, 2
	s_cbranch_scc1 .LBB393_1113
; %bb.1108:
	s_and_b32 s36, s37, 28
	s_add_u32 s28, s34, 0xc4
	s_addc_u32 s29, s35, 0
	s_mov_b32 s38, 0
	v_mov_b32_e32 v8, 0
	v_mov_b32_e32 v14, 0
	s_mov_b64 s[30:31], s[34:35]
	s_waitcnt vmcnt(0)
	v_mov_b32_e32 v4, v3
.LBB393_1109:                           ; =>This Inner Loop Header: Depth=1
	s_load_dwordx8 s[12:19], s[30:31], 0x4
	s_load_dwordx4 s[20:23], s[30:31], 0x24
	s_load_dwordx8 s[4:11], s[28:29], 0x0
	s_add_u32 s30, s30, 48
	s_addc_u32 s31, s31, 0
	s_waitcnt lgkmcnt(0)
	v_mul_hi_u32 v1, s13, v4
	v_add_u32_e32 v1, v4, v1
	v_lshrrev_b32_e32 v1, s14, v1
	v_mul_lo_u32 v5, v1, s12
	v_mul_hi_u32 v6, s16, v1
	v_sub_u32_e32 v4, v4, v5
	v_add_u32_e32 v5, v1, v6
	v_lshrrev_b32_e32 v5, s17, v5
	v_mul_lo_u32 v7, v5, s15
	v_mul_hi_u32 v9, s19, v5
	v_sub_u32_e32 v1, v1, v7
	v_add_u32_e32 v7, v5, v9
	v_mul_lo_u32 v6, v4, s5
	v_mul_lo_u32 v4, v4, s4
	;; [unrolled: 1-line block ×4, first 2 shown]
	v_lshrrev_b32_e32 v7, s20, v7
	v_add3_u32 v1, v4, v8, v1
	v_mul_lo_u32 v4, v7, s18
	v_mul_hi_u32 v8, s22, v7
	v_sub_u32_e32 v4, v5, v4
	v_add_u32_e32 v5, v7, v8
	v_add3_u32 v6, v6, v14, v9
	v_mul_lo_u32 v8, v4, s8
	v_mul_lo_u32 v9, v4, s9
	v_lshrrev_b32_e32 v4, s23, v5
	s_add_i32 s38, s38, 4
	v_mul_lo_u32 v5, v4, s21
	s_add_u32 s28, s28, 32
	v_sub_u32_e32 v5, v7, v5
	s_addc_u32 s29, s29, 0
	v_mul_lo_u32 v7, v5, s10
	v_mul_lo_u32 v5, v5, s11
	s_cmp_lg_u32 s36, s38
	v_add3_u32 v14, v9, v6, v5
	v_add3_u32 v8, v8, v1, v7
	s_cbranch_scc1 .LBB393_1109
; %bb.1110:
	v_mov_b32_e32 v1, v14
	s_and_b32 s8, s37, 3
	s_cmp_eq_u32 s8, 0
	s_cbranch_scc0 .LBB393_1114
	s_branch .LBB393_1116
.LBB393_1111:
                                        ; implicit-def: $vgpr14
                                        ; implicit-def: $vgpr8
	s_branch .LBB393_1117
.LBB393_1112:
	v_mov_b32_e32 v14, 0
	v_mov_b32_e32 v8, 0
	s_branch .LBB393_1116
.LBB393_1113:
	v_mov_b32_e32 v8, 0
                                        ; implicit-def: $vgpr14
	v_mov_b32_e32 v1, v8
	s_waitcnt vmcnt(0)
	v_mov_b32_e32 v4, v3
	s_and_b32 s8, s37, 3
	s_cmp_eq_u32 s8, 0
	s_cbranch_scc1 .LBB393_1116
.LBB393_1114:
	s_lshl_b32 s4, s36, 3
	s_add_u32 s4, s34, s4
	s_addc_u32 s5, s35, 0
	s_add_u32 s4, s4, 0xc4
	s_addc_u32 s5, s5, 0
	s_mul_i32 s6, s36, 12
	s_add_u32 s6, s34, s6
	s_addc_u32 s7, s35, 0
.LBB393_1115:                           ; =>This Inner Loop Header: Depth=1
	s_load_dwordx2 s[10:11], s[6:7], 0x4
	s_load_dword s9, s[6:7], 0xc
	s_load_dwordx2 s[12:13], s[4:5], 0x0
	v_mov_b32_e32 v6, v1
	s_add_u32 s6, s6, 12
	s_waitcnt lgkmcnt(0)
	v_mul_hi_u32 v1, s11, v4
	v_add_u32_e32 v1, v4, v1
	v_lshrrev_b32_e32 v1, s9, v1
	s_addc_u32 s7, s7, 0
	v_mul_lo_u32 v5, v1, s10
	s_add_u32 s4, s4, 8
	v_sub_u32_e32 v5, v4, v5
	s_addc_u32 s5, s5, 0
	s_add_i32 s8, s8, -1
	v_mad_u64_u32 v[14:15], s[10:11], v5, s13, v[6:7]
	s_cmp_lg_u32 s8, 0
	v_mov_b32_e32 v4, v1
	v_mad_u64_u32 v[8:9], s[10:11], v5, s12, v[8:9]
	v_mov_b32_e32 v1, v14
	s_cbranch_scc1 .LBB393_1115
.LBB393_1116:
	s_cbranch_execnz .LBB393_1119
.LBB393_1117:
	s_load_dwordx4 s[4:7], s[34:35], 0x4
	s_load_dwordx2 s[8:9], s[34:35], 0xc4
	s_cmp_lt_u32 s33, 2
	s_waitcnt lgkmcnt(0)
	v_mul_hi_u32 v1, s5, v3
	v_add_u32_e32 v1, v3, v1
	v_lshrrev_b32_e32 v1, s6, v1
	s_waitcnt vmcnt(0)
	v_mul_lo_u32 v4, v1, s4
	v_sub_u32_e32 v3, v3, v4
	v_mul_lo_u32 v14, v3, s9
	v_mul_lo_u32 v8, v3, s8
	s_cbranch_scc1 .LBB393_1119
; %bb.1118:
	s_load_dwordx4 s[4:7], s[34:35], 0x10
	s_load_dwordx2 s[8:9], s[34:35], 0xcc
	s_waitcnt lgkmcnt(0)
	v_mul_hi_u32 v3, s5, v1
	v_add_u32_e32 v3, v1, v3
	v_lshrrev_b32_e32 v3, s6, v3
	v_mul_lo_u32 v3, v3, s4
	v_sub_u32_e32 v1, v1, v3
	v_mad_u64_u32 v[8:9], s[4:5], v1, s8, v[8:9]
	v_mad_u64_u32 v[14:15], s[4:5], v1, s9, v[14:15]
.LBB393_1119:
	s_and_b64 vcc, exec, s[2:3]
	v_add_u32_e32 v3, 0x100, v10
	s_cbranch_vccnz .LBB393_1125
; %bb.1120:
	s_cmp_lg_u32 s33, 0
	s_mov_b32 s36, 0
	s_cbranch_scc0 .LBB393_1126
; %bb.1121:
	s_min_u32 s37, s74, 15
	s_add_i32 s37, s37, 1
	s_cmp_eq_u32 s74, 2
	s_cbranch_scc1 .LBB393_1127
; %bb.1122:
	s_and_b32 s36, s37, 28
	s_add_u32 s28, s34, 0xc4
	s_addc_u32 s29, s35, 0
	s_mov_b32 s38, 0
	s_waitcnt vmcnt(0)
	v_mov_b32_e32 v6, 0
	v_mov_b32_e32 v12, 0
	s_mov_b64 s[30:31], s[34:35]
	v_mov_b32_e32 v4, v3
.LBB393_1123:                           ; =>This Inner Loop Header: Depth=1
	s_load_dwordx8 s[12:19], s[30:31], 0x4
	s_load_dwordx4 s[20:23], s[30:31], 0x24
	s_load_dwordx8 s[4:11], s[28:29], 0x0
	s_add_u32 s30, s30, 48
	s_addc_u32 s31, s31, 0
	s_waitcnt lgkmcnt(0)
	v_mul_hi_u32 v1, s13, v4
	v_add_u32_e32 v1, v4, v1
	v_lshrrev_b32_e32 v1, s14, v1
	v_mul_lo_u32 v5, v1, s12
	v_mul_hi_u32 v7, s16, v1
	v_sub_u32_e32 v4, v4, v5
	v_add_u32_e32 v5, v1, v7
	v_lshrrev_b32_e32 v5, s17, v5
	v_mul_lo_u32 v9, v5, s15
	v_mul_hi_u32 v10, s19, v5
	v_sub_u32_e32 v1, v1, v9
	v_add_u32_e32 v9, v5, v10
	v_mul_lo_u32 v7, v4, s5
	v_mul_lo_u32 v4, v4, s4
	;; [unrolled: 1-line block ×4, first 2 shown]
	v_lshrrev_b32_e32 v9, s20, v9
	v_add3_u32 v1, v4, v6, v1
	v_add3_u32 v6, v7, v12, v10
	v_mul_lo_u32 v4, v9, s18
	v_mul_hi_u32 v7, s22, v9
	v_sub_u32_e32 v4, v5, v4
	v_add_u32_e32 v5, v9, v7
	v_mul_lo_u32 v7, v4, s8
	v_mul_lo_u32 v10, v4, s9
	v_lshrrev_b32_e32 v4, s23, v5
	s_add_i32 s38, s38, 4
	v_mul_lo_u32 v5, v4, s21
	s_add_u32 s28, s28, 32
	v_sub_u32_e32 v5, v9, v5
	s_addc_u32 s29, s29, 0
	v_mul_lo_u32 v9, v5, s10
	v_mul_lo_u32 v5, v5, s11
	s_cmp_lg_u32 s36, s38
	v_add3_u32 v12, v10, v6, v5
	v_add3_u32 v6, v7, v1, v9
	s_cbranch_scc1 .LBB393_1123
; %bb.1124:
	v_mov_b32_e32 v1, v12
	s_and_b32 s8, s37, 3
	s_cmp_eq_u32 s8, 0
	s_cbranch_scc0 .LBB393_1128
	s_branch .LBB393_1130
.LBB393_1125:
                                        ; implicit-def: $vgpr12
                                        ; implicit-def: $vgpr6
	s_branch .LBB393_1131
.LBB393_1126:
	v_mov_b32_e32 v12, 0
	s_waitcnt vmcnt(0)
	v_mov_b32_e32 v6, 0
	s_branch .LBB393_1130
.LBB393_1127:
	s_waitcnt vmcnt(0)
	v_mov_b32_e32 v6, 0
                                        ; implicit-def: $vgpr12
	v_mov_b32_e32 v1, v6
	v_mov_b32_e32 v4, v3
	s_and_b32 s8, s37, 3
	s_cmp_eq_u32 s8, 0
	s_cbranch_scc1 .LBB393_1130
.LBB393_1128:
	s_lshl_b32 s4, s36, 3
	s_add_u32 s4, s34, s4
	s_addc_u32 s5, s35, 0
	s_add_u32 s4, s4, 0xc4
	s_addc_u32 s5, s5, 0
	s_mul_i32 s6, s36, 12
	s_add_u32 s6, s34, s6
	s_addc_u32 s7, s35, 0
.LBB393_1129:                           ; =>This Inner Loop Header: Depth=1
	s_load_dwordx2 s[10:11], s[6:7], 0x4
	s_load_dword s9, s[6:7], 0xc
	s_load_dwordx2 s[12:13], s[4:5], 0x0
	v_mov_b32_e32 v10, v1
	s_add_u32 s6, s6, 12
	s_waitcnt lgkmcnt(0)
	v_mul_hi_u32 v1, s11, v4
	v_add_u32_e32 v1, v4, v1
	v_lshrrev_b32_e32 v1, s9, v1
	s_addc_u32 s7, s7, 0
	v_mul_lo_u32 v5, v1, s10
	s_add_u32 s4, s4, 8
	v_sub_u32_e32 v5, v4, v5
	s_addc_u32 s5, s5, 0
	s_add_i32 s8, s8, -1
	v_mad_u64_u32 v[12:13], s[10:11], v5, s13, v[10:11]
	s_cmp_lg_u32 s8, 0
	v_mov_b32_e32 v4, v1
	v_mad_u64_u32 v[6:7], s[10:11], v5, s12, v[6:7]
	v_mov_b32_e32 v1, v12
	s_cbranch_scc1 .LBB393_1129
.LBB393_1130:
	s_cbranch_execnz .LBB393_1133
.LBB393_1131:
	s_load_dwordx4 s[4:7], s[34:35], 0x4
	s_load_dwordx2 s[8:9], s[34:35], 0xc4
	s_cmp_lt_u32 s33, 2
	s_waitcnt lgkmcnt(0)
	v_mul_hi_u32 v1, s5, v3
	v_add_u32_e32 v1, v3, v1
	v_lshrrev_b32_e32 v1, s6, v1
	s_waitcnt vmcnt(0)
	v_mul_lo_u32 v4, v1, s4
	v_sub_u32_e32 v3, v3, v4
	v_mul_lo_u32 v12, v3, s9
	v_mul_lo_u32 v6, v3, s8
	s_cbranch_scc1 .LBB393_1133
; %bb.1132:
	s_load_dwordx4 s[4:7], s[34:35], 0x10
	s_load_dwordx2 s[8:9], s[34:35], 0xcc
	s_waitcnt lgkmcnt(0)
	v_mul_hi_u32 v3, s5, v1
	v_add_u32_e32 v3, v1, v3
	v_lshrrev_b32_e32 v3, s6, v3
	v_mul_lo_u32 v3, v3, s4
	v_sub_u32_e32 v1, v1, v3
	v_mad_u64_u32 v[6:7], s[4:5], v1, s8, v[6:7]
	v_mad_u64_u32 v[12:13], s[4:5], v1, s9, v[12:13]
.LBB393_1133:
	s_and_b64 vcc, exec, s[2:3]
	s_cbranch_vccnz .LBB393_1139
; %bb.1134:
	s_cmp_lg_u32 s33, 0
	s_mov_b32 s30, 0
	s_cbranch_scc0 .LBB393_1140
; %bb.1135:
	s_min_u32 s31, s74, 15
	s_add_i32 s31, s31, 1
	s_cmp_eq_u32 s74, 2
	s_cbranch_scc1 .LBB393_1141
; %bb.1136:
	s_and_b32 s30, s31, 28
	s_add_u32 s2, s34, 0xc4
	s_addc_u32 s3, s35, 0
	s_mov_b32 s36, 0
	s_waitcnt vmcnt(0)
	v_mov_b32_e32 v4, 0
	v_mov_b32_e32 v10, 0
	s_mov_b64 s[28:29], s[34:35]
	v_mov_b32_e32 v3, v16
.LBB393_1137:                           ; =>This Inner Loop Header: Depth=1
	s_load_dwordx8 s[12:19], s[28:29], 0x4
	s_load_dwordx4 s[20:23], s[28:29], 0x24
	s_load_dwordx8 s[4:11], s[2:3], 0x0
	s_add_u32 s28, s28, 48
	s_addc_u32 s29, s29, 0
	s_waitcnt lgkmcnt(0)
	v_mul_hi_u32 v1, s13, v3
	v_add_u32_e32 v1, v3, v1
	v_lshrrev_b32_e32 v1, s14, v1
	v_mul_lo_u32 v5, v1, s12
	v_mul_hi_u32 v7, s16, v1
	v_sub_u32_e32 v3, v3, v5
	v_add_u32_e32 v5, v1, v7
	v_lshrrev_b32_e32 v5, s17, v5
	v_mul_lo_u32 v9, v5, s15
	v_mul_hi_u32 v11, s19, v5
	v_sub_u32_e32 v1, v1, v9
	v_add_u32_e32 v9, v5, v11
	v_mul_lo_u32 v7, v3, s5
	v_mul_lo_u32 v3, v3, s4
	;; [unrolled: 1-line block ×4, first 2 shown]
	v_lshrrev_b32_e32 v9, s20, v9
	v_add3_u32 v1, v3, v4, v1
	v_add3_u32 v4, v7, v10, v11
	v_mul_lo_u32 v3, v9, s18
	v_mul_hi_u32 v7, s22, v9
	v_sub_u32_e32 v3, v5, v3
	v_add_u32_e32 v5, v9, v7
	v_mul_lo_u32 v7, v3, s8
	v_mul_lo_u32 v10, v3, s9
	v_lshrrev_b32_e32 v3, s23, v5
	s_add_i32 s36, s36, 4
	v_mul_lo_u32 v5, v3, s21
	s_add_u32 s2, s2, 32
	v_sub_u32_e32 v5, v9, v5
	s_addc_u32 s3, s3, 0
	v_mul_lo_u32 v9, v5, s10
	v_mul_lo_u32 v5, v5, s11
	s_cmp_lg_u32 s30, s36
	v_add3_u32 v10, v10, v4, v5
	v_add3_u32 v4, v7, v1, v9
	s_cbranch_scc1 .LBB393_1137
; %bb.1138:
	v_mov_b32_e32 v1, v10
	s_and_b32 s6, s31, 3
	s_cmp_eq_u32 s6, 0
	s_cbranch_scc0 .LBB393_1142
	s_branch .LBB393_1144
.LBB393_1139:
                                        ; implicit-def: $vgpr10
                                        ; implicit-def: $vgpr4
	s_branch .LBB393_1145
.LBB393_1140:
	v_mov_b32_e32 v10, 0
	s_waitcnt vmcnt(0)
	v_mov_b32_e32 v4, 0
	s_branch .LBB393_1144
.LBB393_1141:
	s_waitcnt vmcnt(0)
	v_mov_b32_e32 v4, 0
                                        ; implicit-def: $vgpr10
	v_mov_b32_e32 v1, v4
	v_mov_b32_e32 v3, v16
	s_and_b32 s6, s31, 3
	s_cmp_eq_u32 s6, 0
	s_cbranch_scc1 .LBB393_1144
.LBB393_1142:
	s_lshl_b32 s2, s30, 3
	s_add_u32 s2, s34, s2
	s_addc_u32 s3, s35, 0
	s_add_u32 s2, s2, 0xc4
	s_addc_u32 s3, s3, 0
	s_mul_i32 s4, s30, 12
	s_add_u32 s4, s34, s4
	s_addc_u32 s5, s35, 0
.LBB393_1143:                           ; =>This Inner Loop Header: Depth=1
	s_load_dwordx2 s[8:9], s[4:5], 0x4
	s_load_dword s7, s[4:5], 0xc
	s_load_dwordx2 s[10:11], s[2:3], 0x0
	v_mov_b32_e32 v10, v1
	s_add_u32 s4, s4, 12
	s_waitcnt lgkmcnt(0)
	v_mul_hi_u32 v1, s9, v3
	v_add_u32_e32 v1, v3, v1
	v_lshrrev_b32_e32 v1, s7, v1
	s_addc_u32 s5, s5, 0
	v_mul_lo_u32 v5, v1, s8
	s_add_u32 s2, s2, 8
	v_sub_u32_e32 v5, v3, v5
	s_addc_u32 s3, s3, 0
	s_add_i32 s6, s6, -1
	v_mad_u64_u32 v[10:11], s[8:9], v5, s11, v[10:11]
	s_cmp_lg_u32 s6, 0
	v_mov_b32_e32 v3, v1
	v_mad_u64_u32 v[4:5], s[8:9], v5, s10, v[4:5]
	v_mov_b32_e32 v1, v10
	s_cbranch_scc1 .LBB393_1143
.LBB393_1144:
	s_cbranch_execnz .LBB393_1147
.LBB393_1145:
	s_load_dwordx4 s[4:7], s[34:35], 0x4
	s_load_dwordx2 s[2:3], s[34:35], 0xc4
	s_cmp_lt_u32 s33, 2
	s_waitcnt lgkmcnt(0)
	v_mul_hi_u32 v1, s5, v16
	v_add_u32_e32 v1, v16, v1
	v_lshrrev_b32_e32 v1, s6, v1
	v_mul_lo_u32 v3, v1, s4
	v_sub_u32_e32 v3, v16, v3
	v_mul_lo_u32 v10, v3, s3
	s_waitcnt vmcnt(0)
	v_mul_lo_u32 v4, v3, s2
	s_cbranch_scc1 .LBB393_1147
; %bb.1146:
	s_load_dwordx4 s[4:7], s[34:35], 0x10
	s_load_dwordx2 s[2:3], s[34:35], 0xcc
	s_waitcnt lgkmcnt(0)
	v_mul_hi_u32 v3, s5, v1
	v_add_u32_e32 v3, v1, v3
	v_lshrrev_b32_e32 v3, s6, v3
	v_mul_lo_u32 v3, v3, s4
	v_sub_u32_e32 v1, v1, v3
	v_mad_u64_u32 v[4:5], s[4:5], v1, s2, v[4:5]
	v_mad_u64_u32 v[10:11], s[2:3], v1, s3, v[10:11]
.LBB393_1147:
	s_load_dword s14, s[0:1], 0x168
	s_load_dwordx4 s[4:7], s[34:35], 0x148
	v_mov_b32_e32 v1, 0
	s_waitcnt lgkmcnt(0)
	s_bfe_u32 s15, s14, 0x80008
	s_cmp_lt_i32 s15, 11
	v_lshl_add_u64 v[16:17], s[6:7], 0, v[0:1]
	s_cbranch_scc1 .LBB393_1154
; %bb.1148:
	s_and_b32 s16, 0xffff, s15
	s_cmp_gt_i32 s16, 25
	s_mov_b64 s[8:9], 0
	s_cbranch_scc0 .LBB393_1156
; %bb.1149:
	s_cmp_gt_i32 s16, 28
	s_cbranch_scc0 .LBB393_1157
; %bb.1150:
	s_cmp_gt_i32 s16, 43
	;; [unrolled: 3-line block ×3, first 2 shown]
	s_cbranch_scc0 .LBB393_1159
; %bb.1152:
	s_cmp_eq_u32 s16, 46
	s_mov_b64 s[2:3], 0
	s_cbranch_scc0 .LBB393_1162
; %bb.1153:
	global_load_dword v0, v[16:17], off
	s_mov_b64 s[0:1], 0
	s_mov_b64 s[10:11], -1
	s_waitcnt vmcnt(0)
	v_lshlrev_b32_e32 v0, 16, v0
	v_cvt_f64_f32_e32 v[0:1], v0
	s_branch .LBB393_1163
.LBB393_1154:
	s_mov_b64 s[10:11], 0
                                        ; implicit-def: $vgpr0_vgpr1
	s_mov_b64 s[2:3], s[24:25]
	s_cbranch_execnz .LBB393_1226
.LBB393_1155:
	s_andn2_b64 vcc, exec, s[10:11]
	s_cbranch_vccz .LBB393_1271
	s_branch .LBB393_2092
.LBB393_1156:
	s_mov_b64 s[10:11], 0
	s_mov_b64 s[0:1], 0
                                        ; implicit-def: $vgpr0_vgpr1
	s_cbranch_execnz .LBB393_1193
	s_branch .LBB393_1222
.LBB393_1157:
	s_mov_b64 s[2:3], -1
	s_mov_b64 s[10:11], 0
	s_mov_b64 s[0:1], 0
                                        ; implicit-def: $vgpr0_vgpr1
	s_branch .LBB393_1172
.LBB393_1158:
	s_mov_b64 s[10:11], 0
	s_mov_b64 s[0:1], 0
                                        ; implicit-def: $vgpr0_vgpr1
	s_cbranch_execnz .LBB393_1168
	s_branch .LBB393_1171
.LBB393_1159:
	s_mov_b64 s[2:3], -1
	s_mov_b64 s[10:11], 0
	s_mov_b64 s[0:1], 0
                                        ; implicit-def: $vgpr0_vgpr1
	s_branch .LBB393_1163
.LBB393_1160:
	s_andn2_saveexec_b64 s[12:13], s[12:13]
	s_cbranch_execz .LBB393_999
.LBB393_1161:
	s_mov_b32 s14, 0x46000000
	v_add_f32_e64 v3, |v2|, s14
	v_and_b32_e32 v3, 0xff, v3
	v_cmp_ne_u32_e32 vcc, 0, v3
	s_andn2_b64 s[10:11], s[10:11], exec
	s_and_b64 s[14:15], vcc, exec
	s_or_b64 s[10:11], s[10:11], s[14:15]
	s_or_b64 exec, exec, s[12:13]
	v_mov_b32_e32 v6, 0
	s_and_saveexec_b64 s[12:13], s[10:11]
	s_cbranch_execnz .LBB393_1000
	s_branch .LBB393_1001
.LBB393_1162:
	s_mov_b64 s[0:1], -1
                                        ; implicit-def: $vgpr0_vgpr1
	s_mov_b64 s[10:11], 0
.LBB393_1163:
	s_and_b64 vcc, exec, s[2:3]
	s_cbranch_vccz .LBB393_1166
; %bb.1164:
	s_cmp_eq_u32 s16, 44
	s_cbranch_scc0 .LBB393_1167
; %bb.1165:
	global_load_ubyte v3, v[16:17], off
	s_movk_i32 s2, 0xff
	s_waitcnt vmcnt(1)
	v_bfrev_b32_e32 v5, 4
	v_mov_b32_e32 v7, 0x7ff80000
	v_bfrev_b32_e32 v9, 28
	s_mov_b64 s[0:1], 0
	s_mov_b64 s[10:11], -1
	s_waitcnt vmcnt(0)
	v_lshlrev_b32_e32 v0, 23, v3
	v_cvt_f64_f32_e32 v[0:1], v0
	v_cmp_ne_u32_e32 vcc, s2, v3
	s_nop 1
	v_cndmask_b32_e32 v0, v5, v0, vcc
	v_cndmask_b32_e32 v1, v7, v1, vcc
	v_cmp_ne_u32_e32 vcc, 0, v3
	s_nop 1
	v_cndmask_b32_e32 v1, v9, v1, vcc
	v_cndmask_b32_e32 v0, 0, v0, vcc
.LBB393_1166:
	s_branch .LBB393_1171
.LBB393_1167:
	s_mov_b64 s[0:1], -1
                                        ; implicit-def: $vgpr0_vgpr1
	s_branch .LBB393_1171
.LBB393_1168:
	s_cmp_eq_u32 s16, 29
	s_cbranch_scc0 .LBB393_1170
; %bb.1169:
	global_load_dwordx2 v[0:1], v[16:17], off
	s_mov_b64 s[0:1], 0
	s_mov_b64 s[10:11], -1
	s_mov_b64 s[2:3], 0
	s_waitcnt vmcnt(0)
	v_cvt_f64_u32_e32 v[18:19], v1
	v_cvt_f64_u32_e32 v[0:1], v0
	v_ldexp_f64 v[18:19], v[18:19], 32
	v_add_f64 v[0:1], v[18:19], v[0:1]
	s_branch .LBB393_1172
.LBB393_1170:
	s_mov_b64 s[0:1], -1
                                        ; implicit-def: $vgpr0_vgpr1
.LBB393_1171:
	s_mov_b64 s[2:3], 0
.LBB393_1172:
	s_and_b64 vcc, exec, s[2:3]
	s_cbranch_vccz .LBB393_1192
; %bb.1173:
	s_cmp_lt_i32 s16, 27
	s_cbranch_scc1 .LBB393_1176
; %bb.1174:
	s_cmp_gt_i32 s16, 27
	s_cbranch_scc0 .LBB393_1177
; %bb.1175:
	global_load_dword v0, v[16:17], off
	s_mov_b64 s[2:3], 0
	s_waitcnt vmcnt(0)
	v_cvt_f64_u32_e32 v[0:1], v0
	s_branch .LBB393_1178
.LBB393_1176:
	s_mov_b64 s[2:3], -1
                                        ; implicit-def: $vgpr0_vgpr1
	s_branch .LBB393_1181
.LBB393_1177:
	s_mov_b64 s[2:3], -1
                                        ; implicit-def: $vgpr0_vgpr1
.LBB393_1178:
	s_andn2_b64 vcc, exec, s[2:3]
	s_cbranch_vccnz .LBB393_1180
; %bb.1179:
	global_load_ushort v0, v[16:17], off
	s_waitcnt vmcnt(0)
	v_cvt_f64_u32_e32 v[0:1], v0
.LBB393_1180:
	s_mov_b64 s[2:3], 0
.LBB393_1181:
	s_andn2_b64 vcc, exec, s[2:3]
	s_cbranch_vccnz .LBB393_1191
; %bb.1182:
	global_load_ubyte v3, v[16:17], off
	s_movk_i32 s2, 0x7f
	s_waitcnt vmcnt(0)
	v_cmp_lt_i16_e32 vcc, s2, v3
	s_mov_b64 s[2:3], 0
	s_and_saveexec_b64 s[10:11], vcc
	s_xor_b64 s[10:11], exec, s[10:11]
	s_cbranch_execz .LBB393_1186
; %bb.1183:
	s_movk_i32 s2, 0x80
	v_cmp_eq_u16_e32 vcc, s2, v3
	s_mov_b64 s[2:3], -1
	s_and_saveexec_b64 s[12:13], vcc
; %bb.1184:
	s_xor_b64 s[2:3], exec, -1
; %bb.1185:
	s_or_b64 exec, exec, s[12:13]
	s_and_b64 s[2:3], s[2:3], exec
.LBB393_1186:
	s_or_saveexec_b64 s[10:11], s[10:11]
	v_bfrev_b32_e32 v0, 4
	v_mov_b32_e32 v1, 0x7ff80000
	s_xor_b64 exec, exec, s[10:11]
; %bb.1187:
	v_cmp_ne_u16_e32 vcc, 0, v3
	s_andn2_b64 s[2:3], s[2:3], exec
	s_and_b64 s[12:13], vcc, exec
	v_mov_b64_e32 v[0:1], 0
	s_or_b64 s[2:3], s[2:3], s[12:13]
; %bb.1188:
	s_or_b64 exec, exec, s[10:11]
	s_and_saveexec_b64 s[10:11], s[2:3]
	s_cbranch_execz .LBB393_1190
; %bb.1189:
	v_and_b32_e32 v1, 0xffff, v3
	v_lshlrev_b32_e32 v0, 24, v3
	v_and_b32_e32 v3, 7, v1
	v_ffbh_u32_e32 v7, v3
	v_min_u32_e32 v7, 32, v7
	v_subrev_u32_e32 v9, 28, v7
	v_bfe_u32 v5, v1, 3, 4
	v_lshlrev_b32_e32 v1, v9, v1
	v_sub_u32_e32 v7, 29, v7
	v_and_b32_e32 v1, 7, v1
	v_cmp_eq_u32_e32 vcc, 0, v5
	v_and_b32_e32 v0, 0x80000000, v0
	s_nop 0
	v_cndmask_b32_e32 v5, v5, v7, vcc
	v_cndmask_b32_e32 v1, v3, v1, vcc
	v_mov_b32_e32 v3, 0x3b800000
	v_lshlrev_b32_e32 v1, 20, v1
	v_lshl_add_u32 v3, v5, 23, v3
	v_or3_b32 v0, v0, v3, v1
	v_cvt_f64_f32_e32 v[0:1], v0
.LBB393_1190:
	s_or_b64 exec, exec, s[10:11]
.LBB393_1191:
	s_mov_b64 s[10:11], -1
.LBB393_1192:
	s_branch .LBB393_1222
.LBB393_1193:
	s_cmp_gt_i32 s16, 22
	s_cbranch_scc0 .LBB393_1205
; %bb.1194:
	s_cmp_lt_i32 s16, 24
	s_cbranch_scc1 .LBB393_1206
; %bb.1195:
	s_cmp_gt_i32 s16, 24
	s_cbranch_scc0 .LBB393_1207
; %bb.1196:
	global_load_ubyte v3, v[16:17], off
	s_movk_i32 s2, 0x7f
	s_waitcnt vmcnt(0)
	v_cmp_lt_i16_e32 vcc, s2, v3
	s_mov_b64 s[2:3], 0
	s_and_saveexec_b64 s[8:9], vcc
	s_xor_b64 s[8:9], exec, s[8:9]
	s_cbranch_execz .LBB393_1200
; %bb.1197:
	s_movk_i32 s2, 0x80
	v_cmp_eq_u16_e32 vcc, s2, v3
	s_mov_b64 s[2:3], -1
	s_and_saveexec_b64 s[10:11], vcc
; %bb.1198:
	s_xor_b64 s[2:3], exec, -1
; %bb.1199:
	s_or_b64 exec, exec, s[10:11]
	s_and_b64 s[2:3], s[2:3], exec
.LBB393_1200:
	s_or_saveexec_b64 s[8:9], s[8:9]
	v_bfrev_b32_e32 v0, 4
	v_mov_b32_e32 v1, 0x7ff80000
	s_xor_b64 exec, exec, s[8:9]
; %bb.1201:
	v_cmp_ne_u16_e32 vcc, 0, v3
	s_andn2_b64 s[2:3], s[2:3], exec
	s_and_b64 s[10:11], vcc, exec
	v_mov_b64_e32 v[0:1], 0
	s_or_b64 s[2:3], s[2:3], s[10:11]
; %bb.1202:
	s_or_b64 exec, exec, s[8:9]
	s_and_saveexec_b64 s[8:9], s[2:3]
	s_cbranch_execz .LBB393_1204
; %bb.1203:
	v_and_b32_e32 v1, 0xffff, v3
	v_lshlrev_b32_e32 v0, 24, v3
	v_and_b32_e32 v3, 3, v1
	v_ffbh_u32_e32 v7, v3
	v_min_u32_e32 v7, 32, v7
	v_subrev_u32_e32 v9, 29, v7
	v_bfe_u32 v5, v1, 2, 5
	v_lshlrev_b32_e32 v1, v9, v1
	v_sub_u32_e32 v7, 30, v7
	v_and_b32_e32 v1, 3, v1
	v_cmp_eq_u32_e32 vcc, 0, v5
	v_and_b32_e32 v0, 0x80000000, v0
	s_nop 0
	v_cndmask_b32_e32 v5, v5, v7, vcc
	v_cndmask_b32_e32 v1, v3, v1, vcc
	v_mov_b32_e32 v3, 0x37800000
	v_lshlrev_b32_e32 v1, 21, v1
	v_lshl_add_u32 v3, v5, 23, v3
	v_or3_b32 v0, v0, v3, v1
	v_cvt_f64_f32_e32 v[0:1], v0
.LBB393_1204:
	s_or_b64 exec, exec, s[8:9]
	s_mov_b64 s[2:3], 0
	s_branch .LBB393_1208
.LBB393_1205:
                                        ; implicit-def: $vgpr0_vgpr1
	s_mov_b64 s[8:9], 0
	s_branch .LBB393_1214
.LBB393_1206:
	s_mov_b64 s[2:3], -1
                                        ; implicit-def: $vgpr0_vgpr1
	s_branch .LBB393_1211
.LBB393_1207:
	s_mov_b64 s[2:3], -1
                                        ; implicit-def: $vgpr0_vgpr1
.LBB393_1208:
	s_and_b64 vcc, exec, s[2:3]
	s_cbranch_vccz .LBB393_1210
; %bb.1209:
	global_load_ubyte v0, v[16:17], off
	s_mov_b32 s2, 0x7f800000
	s_waitcnt vmcnt(0)
	v_lshlrev_b32_e32 v0, 24, v0
	v_and_b32_e32 v1, 0x7f000000, v0
	v_ffbh_u32_e32 v3, v1
	v_min_u32_e32 v3, 32, v3
	v_sub_u32_e64 v3, v3, 4 clamp
	v_lshlrev_b32_e32 v7, v3, v1
	v_lshlrev_b32_e32 v3, 23, v3
	v_lshrrev_b32_e32 v7, 4, v7
	v_add_u32_e32 v5, 0x1000000, v1
	v_sub_u32_e32 v3, v7, v3
	v_ashrrev_i32_e32 v5, 8, v5
	v_add_u32_e32 v3, 0x3c000000, v3
	v_and_or_b32 v3, v5, s2, v3
	v_cmp_ne_u32_e32 vcc, 0, v1
	s_brev_b32 s2, 1
	s_nop 0
	v_cndmask_b32_e32 v1, 0, v3, vcc
	v_and_or_b32 v0, v0, s2, v1
	v_cvt_f64_f32_e32 v[0:1], v0
.LBB393_1210:
	s_mov_b64 s[2:3], 0
.LBB393_1211:
	s_andn2_b64 vcc, exec, s[2:3]
	s_cbranch_vccnz .LBB393_1213
; %bb.1212:
	global_load_ubyte v0, v[16:17], off
	s_movk_i32 s2, 0x7f00
	s_brev_b32 s3, 16
	s_waitcnt vmcnt(0)
	v_lshlrev_b16_e32 v1, 8, v0
	v_lshlrev_b32_e32 v0, 25, v0
	v_lshrrev_b32_e32 v3, 4, v0
	v_and_or_b32 v5, v1, s2, 0.5
	v_or_b32_e32 v3, 0x70000000, v3
	v_add_f32_e32 v5, -0.5, v5
	v_mul_f32_e32 v3, 0x7800000, v3
	v_cmp_gt_u32_e32 vcc, s3, v0
	v_bfe_i32 v1, v1, 0, 16
	s_brev_b32 s2, 1
	v_cndmask_b32_e32 v0, v3, v5, vcc
	v_and_or_b32 v0, v1, s2, v0
	v_cvt_f64_f32_e32 v[0:1], v0
.LBB393_1213:
	s_mov_b64 s[10:11], -1
	s_mov_b64 s[8:9], 0
	s_cbranch_execnz .LBB393_1222
.LBB393_1214:
	s_cmp_gt_i32 s16, 14
	s_cbranch_scc0 .LBB393_1217
; %bb.1215:
	s_cmp_eq_u32 s16, 15
	s_cbranch_scc0 .LBB393_1218
; %bb.1216:
	global_load_ushort v0, v[16:17], off
	s_mov_b64 s[0:1], 0
	s_mov_b64 s[10:11], -1
	s_waitcnt vmcnt(0)
	v_lshlrev_b32_e32 v0, 16, v0
	v_cvt_f64_f32_e32 v[0:1], v0
	s_branch .LBB393_1219
.LBB393_1217:
	s_mov_b64 s[2:3], -1
                                        ; implicit-def: $vgpr0_vgpr1
	s_branch .LBB393_1220
.LBB393_1218:
	s_mov_b64 s[0:1], -1
                                        ; implicit-def: $vgpr0_vgpr1
.LBB393_1219:
	s_mov_b64 s[2:3], 0
.LBB393_1220:
	s_and_b64 vcc, exec, s[2:3]
	s_cbranch_vccz .LBB393_1222
; %bb.1221:
	s_cmp_lg_u32 s16, 11
	s_mov_b64 s[8:9], -1
	s_cselect_b64 s[0:1], -1, 0
.LBB393_1222:
	s_and_b64 vcc, exec, s[0:1]
	s_mov_b64 s[2:3], s[24:25]
	s_cbranch_vccnz .LBB393_1283
; %bb.1223:
	s_andn2_b64 vcc, exec, s[8:9]
	s_cbranch_vccnz .LBB393_1225
.LBB393_1224:
	global_load_ubyte v1, v[16:17], off
	v_mov_b32_e32 v3, 0x3ff00000
	v_mov_b32_e32 v0, 0
	s_mov_b64 s[10:11], -1
	s_waitcnt vmcnt(0)
	v_cmp_ne_u16_e32 vcc, 0, v1
	s_nop 1
	v_cndmask_b32_e32 v1, 0, v3, vcc
.LBB393_1225:
	s_branch .LBB393_1155
.LBB393_1226:
	s_and_b32 s8, 0xffff, s15
	s_cmp_lt_i32 s8, 5
	s_cbranch_scc1 .LBB393_1231
; %bb.1227:
	s_cmp_lt_i32 s8, 8
	s_cbranch_scc1 .LBB393_1232
; %bb.1228:
	s_cmp_lt_i32 s8, 9
	s_cbranch_scc1 .LBB393_1233
; %bb.1229:
	s_cmp_gt_i32 s8, 9
	s_cbranch_scc0 .LBB393_1234
; %bb.1230:
	global_load_dwordx2 v[0:1], v[16:17], off
	s_mov_b64 s[0:1], 0
	s_branch .LBB393_1235
.LBB393_1231:
                                        ; implicit-def: $vgpr0_vgpr1
	s_branch .LBB393_1252
.LBB393_1232:
                                        ; implicit-def: $vgpr0_vgpr1
	s_branch .LBB393_1241
.LBB393_1233:
	s_mov_b64 s[0:1], -1
                                        ; implicit-def: $vgpr0_vgpr1
	s_branch .LBB393_1238
.LBB393_1234:
	s_mov_b64 s[0:1], -1
                                        ; implicit-def: $vgpr0_vgpr1
.LBB393_1235:
	s_andn2_b64 vcc, exec, s[0:1]
	s_cbranch_vccnz .LBB393_1237
; %bb.1236:
	global_load_dword v0, v[16:17], off
	s_waitcnt vmcnt(0)
	v_cvt_f64_f32_e32 v[0:1], v0
.LBB393_1237:
	s_mov_b64 s[0:1], 0
.LBB393_1238:
	s_andn2_b64 vcc, exec, s[0:1]
	s_cbranch_vccnz .LBB393_1240
; %bb.1239:
	global_load_dword v0, v[16:17], off
	s_waitcnt vmcnt(0)
	v_cvt_f32_f16_e32 v0, v0
	v_cvt_f64_f32_e32 v[0:1], v0
.LBB393_1240:
	s_cbranch_execnz .LBB393_1251
.LBB393_1241:
	s_cmp_lt_i32 s8, 6
	s_cbranch_scc1 .LBB393_1244
; %bb.1242:
	s_cmp_gt_i32 s8, 6
	s_cbranch_scc0 .LBB393_1245
; %bb.1243:
	global_load_dwordx2 v[0:1], v[16:17], off
	s_mov_b64 s[0:1], 0
	s_branch .LBB393_1246
.LBB393_1244:
	s_mov_b64 s[0:1], -1
                                        ; implicit-def: $vgpr0_vgpr1
	s_branch .LBB393_1249
.LBB393_1245:
	s_mov_b64 s[0:1], -1
                                        ; implicit-def: $vgpr0_vgpr1
.LBB393_1246:
	s_andn2_b64 vcc, exec, s[0:1]
	s_cbranch_vccnz .LBB393_1248
; %bb.1247:
	global_load_dword v0, v[16:17], off
	s_waitcnt vmcnt(0)
	v_cvt_f64_f32_e32 v[0:1], v0
.LBB393_1248:
	s_mov_b64 s[0:1], 0
.LBB393_1249:
	s_andn2_b64 vcc, exec, s[0:1]
	s_cbranch_vccnz .LBB393_1251
; %bb.1250:
	global_load_ushort v0, v[16:17], off
	s_waitcnt vmcnt(0)
	v_cvt_f32_f16_e32 v0, v0
	v_cvt_f64_f32_e32 v[0:1], v0
.LBB393_1251:
	s_cbranch_execnz .LBB393_1270
.LBB393_1252:
	s_cmp_lt_i32 s8, 2
	s_cbranch_scc1 .LBB393_1256
; %bb.1253:
	s_cmp_lt_i32 s8, 3
	s_cbranch_scc1 .LBB393_1257
; %bb.1254:
	s_cmp_gt_i32 s8, 3
	s_cbranch_scc0 .LBB393_1258
; %bb.1255:
	global_load_dwordx2 v[0:1], v[16:17], off
	s_mov_b64 s[0:1], 0
	s_waitcnt vmcnt(0)
	v_cvt_f64_i32_e32 v[18:19], v1
	v_cvt_f64_u32_e32 v[0:1], v0
	v_ldexp_f64 v[18:19], v[18:19], 32
	v_add_f64 v[0:1], v[18:19], v[0:1]
	s_branch .LBB393_1259
.LBB393_1256:
                                        ; implicit-def: $vgpr0_vgpr1
	s_branch .LBB393_1265
.LBB393_1257:
	s_mov_b64 s[0:1], -1
                                        ; implicit-def: $vgpr0_vgpr1
	s_branch .LBB393_1262
.LBB393_1258:
	s_mov_b64 s[0:1], -1
                                        ; implicit-def: $vgpr0_vgpr1
.LBB393_1259:
	s_andn2_b64 vcc, exec, s[0:1]
	s_cbranch_vccnz .LBB393_1261
; %bb.1260:
	global_load_dword v0, v[16:17], off
	s_waitcnt vmcnt(0)
	v_cvt_f64_i32_e32 v[0:1], v0
.LBB393_1261:
	s_mov_b64 s[0:1], 0
.LBB393_1262:
	s_andn2_b64 vcc, exec, s[0:1]
	s_cbranch_vccnz .LBB393_1264
; %bb.1263:
	global_load_sshort v0, v[16:17], off
	s_waitcnt vmcnt(0)
	v_cvt_f64_i32_e32 v[0:1], v0
.LBB393_1264:
	s_cbranch_execnz .LBB393_1270
.LBB393_1265:
	s_cmp_gt_i32 s8, 0
	s_cbranch_scc0 .LBB393_1267
; %bb.1266:
	global_load_sbyte v0, v[16:17], off
	s_mov_b64 s[0:1], 0
	s_waitcnt vmcnt(0)
	v_cvt_f64_i32_e32 v[0:1], v0
	s_branch .LBB393_1268
.LBB393_1267:
	s_mov_b64 s[0:1], -1
                                        ; implicit-def: $vgpr0_vgpr1
.LBB393_1268:
	s_andn2_b64 vcc, exec, s[0:1]
	s_cbranch_vccnz .LBB393_1270
; %bb.1269:
	global_load_ubyte v0, v[16:17], off
	s_waitcnt vmcnt(0)
	v_cvt_f64_u32_e32 v[0:1], v0
.LBB393_1270:
.LBB393_1271:
	s_lshr_b32 s0, s14, 8
	v_mov_b32_e32 v15, 0
	s_and_b32 s16, s0, 0xff
	s_cmp_lt_i32 s16, 11
	v_lshl_add_u64 v[16:17], s[6:7], 0, v[14:15]
	s_cbranch_scc1 .LBB393_1278
; %bb.1272:
	s_and_b32 s17, 0xffff, s16
	s_cmp_gt_i32 s17, 25
	s_mov_b64 s[8:9], 0
	s_cbranch_scc0 .LBB393_1280
; %bb.1273:
	s_cmp_gt_i32 s17, 28
	s_cbranch_scc0 .LBB393_1281
; %bb.1274:
	s_cmp_gt_i32 s17, 43
	s_cbranch_scc0 .LBB393_1282
; %bb.1275:
	s_cmp_gt_i32 s17, 45
	s_cbranch_scc0 .LBB393_1284
; %bb.1276:
	s_cmp_eq_u32 s17, 46
	s_mov_b64 s[12:13], 0
	s_cbranch_scc0 .LBB393_1287
; %bb.1277:
	global_load_dword v3, v[16:17], off
	s_mov_b64 s[0:1], 0
	s_mov_b64 s[10:11], -1
	s_waitcnt vmcnt(0)
	v_lshlrev_b32_e32 v3, 16, v3
	v_cvt_f64_f32_e32 v[14:15], v3
	s_branch .LBB393_1288
.LBB393_1278:
	s_mov_b64 s[10:11], 0
                                        ; implicit-def: $vgpr14_vgpr15
	s_cbranch_execnz .LBB393_1353
.LBB393_1279:
	s_andn2_b64 vcc, exec, s[10:11]
	s_cbranch_vccnz .LBB393_2092
	s_branch .LBB393_1400
.LBB393_1280:
	s_mov_b64 s[10:11], 0
	s_mov_b64 s[0:1], 0
                                        ; implicit-def: $vgpr14_vgpr15
	s_cbranch_execnz .LBB393_1319
	s_branch .LBB393_1349
.LBB393_1281:
	s_mov_b64 s[12:13], -1
	s_mov_b64 s[10:11], 0
	s_mov_b64 s[0:1], 0
                                        ; implicit-def: $vgpr14_vgpr15
	s_branch .LBB393_1298
.LBB393_1282:
	s_mov_b64 s[12:13], -1
	s_mov_b64 s[10:11], 0
	s_mov_b64 s[0:1], 0
                                        ; implicit-def: $vgpr14_vgpr15
	s_branch .LBB393_1293
.LBB393_1283:
	s_or_b64 s[2:3], s[24:25], exec
	s_trap 2
	s_cbranch_execz .LBB393_1224
	s_branch .LBB393_1225
.LBB393_1284:
	s_mov_b64 s[12:13], -1
	s_mov_b64 s[10:11], 0
	s_mov_b64 s[0:1], 0
                                        ; implicit-def: $vgpr14_vgpr15
	s_branch .LBB393_1288
.LBB393_1285:
	s_andn2_saveexec_b64 s[14:15], s[14:15]
	s_cbranch_execz .LBB393_1011
.LBB393_1286:
	s_mov_b32 s18, 0x42800000
	v_add_f32_e64 v3, |v2|, s18
	v_and_b32_e32 v3, 0xff, v3
	v_cmp_ne_u32_e32 vcc, 0, v3
	s_andn2_b64 s[12:13], s[12:13], exec
	s_and_b64 s[18:19], vcc, exec
	s_or_b64 s[12:13], s[12:13], s[18:19]
	s_or_b64 exec, exec, s[14:15]
	v_mov_b32_e32 v6, 0
	s_and_saveexec_b64 s[14:15], s[12:13]
	s_cbranch_execnz .LBB393_1012
	s_branch .LBB393_1013
.LBB393_1287:
	s_mov_b64 s[0:1], -1
                                        ; implicit-def: $vgpr14_vgpr15
	s_mov_b64 s[10:11], 0
.LBB393_1288:
	s_and_b64 vcc, exec, s[12:13]
	s_cbranch_vccz .LBB393_1292
; %bb.1289:
	s_cmp_eq_u32 s17, 44
	s_cbranch_scc0 .LBB393_1291
; %bb.1290:
	global_load_ubyte v3, v[16:17], off
	s_movk_i32 s10, 0xff
	s_waitcnt vmcnt(1)
	v_bfrev_b32_e32 v5, 4
	v_mov_b32_e32 v7, 0x7ff80000
	v_bfrev_b32_e32 v9, 28
	s_mov_b64 s[0:1], 0
	s_waitcnt vmcnt(0)
	v_lshlrev_b32_e32 v11, 23, v3
	v_cvt_f64_f32_e32 v[14:15], v11
	v_cmp_ne_u32_e32 vcc, s10, v3
	s_mov_b64 s[10:11], -1
	s_nop 0
	v_cndmask_b32_e32 v5, v5, v14, vcc
	v_cndmask_b32_e32 v7, v7, v15, vcc
	v_cmp_ne_u32_e32 vcc, 0, v3
	s_nop 1
	v_cndmask_b32_e32 v15, v9, v7, vcc
	v_cndmask_b32_e32 v14, 0, v5, vcc
	s_branch .LBB393_1292
.LBB393_1291:
	s_mov_b64 s[0:1], -1
                                        ; implicit-def: $vgpr14_vgpr15
.LBB393_1292:
	s_mov_b64 s[12:13], 0
.LBB393_1293:
	s_and_b64 vcc, exec, s[12:13]
	s_cbranch_vccz .LBB393_1297
; %bb.1294:
	s_cmp_eq_u32 s17, 29
	s_cbranch_scc0 .LBB393_1296
; %bb.1295:
	global_load_dwordx2 v[14:15], v[16:17], off
	s_mov_b64 s[0:1], 0
	s_mov_b64 s[10:11], -1
	s_mov_b64 s[12:13], 0
	s_waitcnt vmcnt(0)
	v_cvt_f64_u32_e32 v[18:19], v15
	v_cvt_f64_u32_e32 v[14:15], v14
	v_ldexp_f64 v[18:19], v[18:19], 32
	v_add_f64 v[14:15], v[18:19], v[14:15]
	s_branch .LBB393_1298
.LBB393_1296:
	s_mov_b64 s[0:1], -1
                                        ; implicit-def: $vgpr14_vgpr15
.LBB393_1297:
	s_mov_b64 s[12:13], 0
.LBB393_1298:
	s_and_b64 vcc, exec, s[12:13]
	s_cbranch_vccz .LBB393_1318
; %bb.1299:
	s_cmp_lt_i32 s17, 27
	s_cbranch_scc1 .LBB393_1302
; %bb.1300:
	s_cmp_gt_i32 s17, 27
	s_cbranch_scc0 .LBB393_1303
; %bb.1301:
	global_load_dword v3, v[16:17], off
	s_mov_b64 s[10:11], 0
	s_waitcnt vmcnt(0)
	v_cvt_f64_u32_e32 v[14:15], v3
	s_branch .LBB393_1304
.LBB393_1302:
	s_mov_b64 s[10:11], -1
                                        ; implicit-def: $vgpr14_vgpr15
	s_branch .LBB393_1307
.LBB393_1303:
	s_mov_b64 s[10:11], -1
                                        ; implicit-def: $vgpr14_vgpr15
.LBB393_1304:
	s_andn2_b64 vcc, exec, s[10:11]
	s_cbranch_vccnz .LBB393_1306
; %bb.1305:
	global_load_ushort v3, v[16:17], off
	s_waitcnt vmcnt(0)
	v_cvt_f64_u32_e32 v[14:15], v3
.LBB393_1306:
	s_mov_b64 s[10:11], 0
.LBB393_1307:
	s_andn2_b64 vcc, exec, s[10:11]
	s_cbranch_vccnz .LBB393_1317
; %bb.1308:
	global_load_ubyte v3, v[16:17], off
	s_movk_i32 s10, 0x7f
	s_waitcnt vmcnt(0)
	v_cmp_lt_i16_e32 vcc, s10, v3
	s_mov_b64 s[10:11], 0
	s_and_saveexec_b64 s[12:13], vcc
	s_xor_b64 s[12:13], exec, s[12:13]
	s_cbranch_execz .LBB393_1312
; %bb.1309:
	s_movk_i32 s10, 0x80
	v_cmp_eq_u16_e32 vcc, s10, v3
	s_mov_b64 s[10:11], -1
	s_and_saveexec_b64 s[14:15], vcc
; %bb.1310:
	s_xor_b64 s[10:11], exec, -1
; %bb.1311:
	s_or_b64 exec, exec, s[14:15]
	s_and_b64 s[10:11], s[10:11], exec
.LBB393_1312:
	s_or_saveexec_b64 s[12:13], s[12:13]
	v_bfrev_b32_e32 v14, 4
	v_mov_b32_e32 v15, 0x7ff80000
	s_xor_b64 exec, exec, s[12:13]
; %bb.1313:
	v_cmp_ne_u16_e32 vcc, 0, v3
	s_andn2_b64 s[10:11], s[10:11], exec
	s_and_b64 s[14:15], vcc, exec
	v_mov_b64_e32 v[14:15], 0
	s_or_b64 s[10:11], s[10:11], s[14:15]
; %bb.1314:
	s_or_b64 exec, exec, s[12:13]
	s_and_saveexec_b64 s[12:13], s[10:11]
	s_cbranch_execz .LBB393_1316
; %bb.1315:
	v_lshlrev_b32_e32 v5, 24, v3
	v_and_b32_e32 v3, 0xffff, v3
	v_and_b32_e32 v7, 7, v3
	v_ffbh_u32_e32 v11, v7
	v_min_u32_e32 v11, 32, v11
	v_subrev_u32_e32 v13, 28, v11
	v_bfe_u32 v9, v3, 3, 4
	v_lshlrev_b32_e32 v3, v13, v3
	v_sub_u32_e32 v11, 29, v11
	v_and_b32_e32 v3, 7, v3
	v_cmp_eq_u32_e32 vcc, 0, v9
	v_and_b32_e32 v5, 0x80000000, v5
	s_nop 0
	v_cndmask_b32_e32 v9, v9, v11, vcc
	v_cndmask_b32_e32 v3, v7, v3, vcc
	v_mov_b32_e32 v7, 0x3b800000
	v_lshlrev_b32_e32 v3, 20, v3
	v_lshl_add_u32 v7, v9, 23, v7
	v_or3_b32 v3, v5, v7, v3
	v_cvt_f64_f32_e32 v[14:15], v3
.LBB393_1316:
	s_or_b64 exec, exec, s[12:13]
.LBB393_1317:
	s_mov_b64 s[10:11], -1
.LBB393_1318:
	s_branch .LBB393_1349
.LBB393_1319:
	s_cmp_gt_i32 s17, 22
	s_cbranch_scc0 .LBB393_1331
; %bb.1320:
	s_cmp_lt_i32 s17, 24
	s_cbranch_scc1 .LBB393_1332
; %bb.1321:
	s_cmp_gt_i32 s17, 24
	s_cbranch_scc0 .LBB393_1333
; %bb.1322:
	global_load_ubyte v3, v[16:17], off
	s_movk_i32 s8, 0x7f
	s_waitcnt vmcnt(0)
	v_cmp_lt_i16_e32 vcc, s8, v3
	s_mov_b64 s[8:9], 0
	s_and_saveexec_b64 s[10:11], vcc
	s_xor_b64 s[10:11], exec, s[10:11]
	s_cbranch_execz .LBB393_1326
; %bb.1323:
	s_movk_i32 s8, 0x80
	v_cmp_eq_u16_e32 vcc, s8, v3
	s_mov_b64 s[8:9], -1
	s_and_saveexec_b64 s[12:13], vcc
; %bb.1324:
	s_xor_b64 s[8:9], exec, -1
; %bb.1325:
	s_or_b64 exec, exec, s[12:13]
	s_and_b64 s[8:9], s[8:9], exec
.LBB393_1326:
	s_or_saveexec_b64 s[10:11], s[10:11]
	v_bfrev_b32_e32 v14, 4
	v_mov_b32_e32 v15, 0x7ff80000
	s_xor_b64 exec, exec, s[10:11]
; %bb.1327:
	v_cmp_ne_u16_e32 vcc, 0, v3
	s_andn2_b64 s[8:9], s[8:9], exec
	s_and_b64 s[12:13], vcc, exec
	v_mov_b64_e32 v[14:15], 0
	s_or_b64 s[8:9], s[8:9], s[12:13]
; %bb.1328:
	s_or_b64 exec, exec, s[10:11]
	s_and_saveexec_b64 s[10:11], s[8:9]
	s_cbranch_execz .LBB393_1330
; %bb.1329:
	v_lshlrev_b32_e32 v5, 24, v3
	v_and_b32_e32 v3, 0xffff, v3
	v_and_b32_e32 v7, 3, v3
	v_ffbh_u32_e32 v11, v7
	v_min_u32_e32 v11, 32, v11
	v_subrev_u32_e32 v13, 29, v11
	v_bfe_u32 v9, v3, 2, 5
	v_lshlrev_b32_e32 v3, v13, v3
	v_sub_u32_e32 v11, 30, v11
	v_and_b32_e32 v3, 3, v3
	v_cmp_eq_u32_e32 vcc, 0, v9
	v_and_b32_e32 v5, 0x80000000, v5
	s_nop 0
	v_cndmask_b32_e32 v9, v9, v11, vcc
	v_cndmask_b32_e32 v3, v7, v3, vcc
	v_mov_b32_e32 v7, 0x37800000
	v_lshlrev_b32_e32 v3, 21, v3
	v_lshl_add_u32 v7, v9, 23, v7
	v_or3_b32 v3, v5, v7, v3
	v_cvt_f64_f32_e32 v[14:15], v3
.LBB393_1330:
	s_or_b64 exec, exec, s[10:11]
	s_mov_b64 s[8:9], 0
	s_branch .LBB393_1334
.LBB393_1331:
	s_mov_b64 s[8:9], -1
                                        ; implicit-def: $vgpr14_vgpr15
	s_branch .LBB393_1340
.LBB393_1332:
	s_mov_b64 s[8:9], -1
                                        ; implicit-def: $vgpr14_vgpr15
	s_branch .LBB393_1337
.LBB393_1333:
	s_mov_b64 s[8:9], -1
                                        ; implicit-def: $vgpr14_vgpr15
.LBB393_1334:
	s_and_b64 vcc, exec, s[8:9]
	s_cbranch_vccz .LBB393_1336
; %bb.1335:
	global_load_ubyte v3, v[16:17], off
	s_mov_b32 s8, 0x7f800000
	s_waitcnt vmcnt(0)
	v_lshlrev_b32_e32 v3, 24, v3
	v_and_b32_e32 v5, 0x7f000000, v3
	v_ffbh_u32_e32 v7, v5
	v_min_u32_e32 v7, 32, v7
	v_sub_u32_e64 v7, v7, 4 clamp
	v_lshlrev_b32_e32 v11, v7, v5
	v_lshlrev_b32_e32 v7, 23, v7
	v_lshrrev_b32_e32 v11, 4, v11
	v_add_u32_e32 v9, 0x1000000, v5
	v_sub_u32_e32 v7, v11, v7
	v_ashrrev_i32_e32 v9, 8, v9
	v_add_u32_e32 v7, 0x3c000000, v7
	v_and_or_b32 v7, v9, s8, v7
	v_cmp_ne_u32_e32 vcc, 0, v5
	s_brev_b32 s8, 1
	s_nop 0
	v_cndmask_b32_e32 v5, 0, v7, vcc
	v_and_or_b32 v3, v3, s8, v5
	v_cvt_f64_f32_e32 v[14:15], v3
.LBB393_1336:
	s_mov_b64 s[8:9], 0
.LBB393_1337:
	s_andn2_b64 vcc, exec, s[8:9]
	s_cbranch_vccnz .LBB393_1339
; %bb.1338:
	global_load_ubyte v3, v[16:17], off
	s_movk_i32 s8, 0x7f00
	s_brev_b32 s9, 16
	s_waitcnt vmcnt(0)
	v_lshlrev_b16_e32 v5, 8, v3
	v_lshlrev_b32_e32 v3, 25, v3
	v_lshrrev_b32_e32 v7, 4, v3
	v_and_or_b32 v9, v5, s8, 0.5
	v_or_b32_e32 v7, 0x70000000, v7
	v_add_f32_e32 v9, -0.5, v9
	v_mul_f32_e32 v7, 0x7800000, v7
	v_cmp_gt_u32_e32 vcc, s9, v3
	v_bfe_i32 v5, v5, 0, 16
	s_brev_b32 s8, 1
	v_cndmask_b32_e32 v3, v7, v9, vcc
	v_and_or_b32 v3, v5, s8, v3
	v_cvt_f64_f32_e32 v[14:15], v3
.LBB393_1339:
	s_mov_b64 s[8:9], 0
	s_mov_b64 s[10:11], -1
.LBB393_1340:
	s_andn2_b64 vcc, exec, s[8:9]
	s_mov_b64 s[8:9], 0
	s_cbranch_vccnz .LBB393_1349
; %bb.1341:
	s_cmp_gt_i32 s17, 14
	s_cbranch_scc0 .LBB393_1344
; %bb.1342:
	s_cmp_eq_u32 s17, 15
	s_cbranch_scc0 .LBB393_1345
; %bb.1343:
	global_load_ushort v3, v[16:17], off
	s_mov_b64 s[0:1], 0
	s_mov_b64 s[10:11], -1
	s_waitcnt vmcnt(0)
	v_lshlrev_b32_e32 v3, 16, v3
	v_cvt_f64_f32_e32 v[14:15], v3
	s_branch .LBB393_1346
.LBB393_1344:
	s_mov_b64 s[12:13], -1
                                        ; implicit-def: $vgpr14_vgpr15
	s_branch .LBB393_1347
.LBB393_1345:
	s_mov_b64 s[0:1], -1
                                        ; implicit-def: $vgpr14_vgpr15
.LBB393_1346:
	s_mov_b64 s[12:13], 0
.LBB393_1347:
	s_and_b64 vcc, exec, s[12:13]
	s_cbranch_vccz .LBB393_1349
; %bb.1348:
	s_cmp_lg_u32 s17, 11
	s_mov_b64 s[8:9], -1
	s_cselect_b64 s[0:1], -1, 0
.LBB393_1349:
	s_and_b64 vcc, exec, s[0:1]
	s_cbranch_vccnz .LBB393_1412
; %bb.1350:
	s_andn2_b64 vcc, exec, s[8:9]
	s_cbranch_vccnz .LBB393_1352
.LBB393_1351:
	global_load_ubyte v3, v[16:17], off
	s_waitcnt vmcnt(1)
	v_mov_b32_e32 v5, 0x3ff00000
	v_mov_b32_e32 v14, 0
	s_mov_b64 s[10:11], -1
	s_waitcnt vmcnt(0)
	v_cmp_ne_u16_e32 vcc, 0, v3
	s_nop 1
	v_cndmask_b32_e32 v15, 0, v5, vcc
.LBB393_1352:
	s_branch .LBB393_1279
.LBB393_1353:
	s_and_b32 s8, 0xffff, s16
	s_cmp_lt_i32 s8, 5
	s_cbranch_scc1 .LBB393_1358
; %bb.1354:
	s_cmp_lt_i32 s8, 8
	s_cbranch_scc1 .LBB393_1359
; %bb.1355:
	;; [unrolled: 3-line block ×3, first 2 shown]
	s_cmp_gt_i32 s8, 9
	s_cbranch_scc0 .LBB393_1361
; %bb.1357:
	global_load_dwordx2 v[14:15], v[16:17], off
	s_mov_b64 s[0:1], 0
	s_branch .LBB393_1362
.LBB393_1358:
                                        ; implicit-def: $vgpr14_vgpr15
	s_branch .LBB393_1380
.LBB393_1359:
	s_mov_b64 s[0:1], -1
                                        ; implicit-def: $vgpr14_vgpr15
	s_branch .LBB393_1368
.LBB393_1360:
	s_mov_b64 s[0:1], -1
                                        ; implicit-def: $vgpr14_vgpr15
	s_branch .LBB393_1365
.LBB393_1361:
	s_mov_b64 s[0:1], -1
                                        ; implicit-def: $vgpr14_vgpr15
.LBB393_1362:
	s_andn2_b64 vcc, exec, s[0:1]
	s_cbranch_vccnz .LBB393_1364
; %bb.1363:
	global_load_dword v3, v[16:17], off
	s_waitcnt vmcnt(0)
	v_cvt_f64_f32_e32 v[14:15], v3
.LBB393_1364:
	s_mov_b64 s[0:1], 0
.LBB393_1365:
	s_andn2_b64 vcc, exec, s[0:1]
	s_cbranch_vccnz .LBB393_1367
; %bb.1366:
	global_load_dword v3, v[16:17], off
	s_waitcnt vmcnt(0)
	v_cvt_f32_f16_e32 v3, v3
	v_cvt_f64_f32_e32 v[14:15], v3
.LBB393_1367:
	s_mov_b64 s[0:1], 0
.LBB393_1368:
	s_andn2_b64 vcc, exec, s[0:1]
	s_cbranch_vccnz .LBB393_1379
; %bb.1369:
	s_cmp_lt_i32 s8, 6
	s_cbranch_scc1 .LBB393_1372
; %bb.1370:
	s_cmp_gt_i32 s8, 6
	s_cbranch_scc0 .LBB393_1373
; %bb.1371:
	global_load_dwordx2 v[14:15], v[16:17], off
	s_mov_b64 s[0:1], 0
	s_branch .LBB393_1374
.LBB393_1372:
	s_mov_b64 s[0:1], -1
                                        ; implicit-def: $vgpr14_vgpr15
	s_branch .LBB393_1377
.LBB393_1373:
	s_mov_b64 s[0:1], -1
                                        ; implicit-def: $vgpr14_vgpr15
.LBB393_1374:
	s_andn2_b64 vcc, exec, s[0:1]
	s_cbranch_vccnz .LBB393_1376
; %bb.1375:
	global_load_dword v3, v[16:17], off
	s_waitcnt vmcnt(0)
	v_cvt_f64_f32_e32 v[14:15], v3
.LBB393_1376:
	s_mov_b64 s[0:1], 0
.LBB393_1377:
	s_andn2_b64 vcc, exec, s[0:1]
	s_cbranch_vccnz .LBB393_1379
; %bb.1378:
	global_load_ushort v3, v[16:17], off
	s_waitcnt vmcnt(0)
	v_cvt_f32_f16_e32 v3, v3
	v_cvt_f64_f32_e32 v[14:15], v3
.LBB393_1379:
	s_cbranch_execnz .LBB393_1399
.LBB393_1380:
	s_cmp_lt_i32 s8, 2
	s_cbranch_scc1 .LBB393_1384
; %bb.1381:
	s_cmp_lt_i32 s8, 3
	s_cbranch_scc1 .LBB393_1385
; %bb.1382:
	s_cmp_gt_i32 s8, 3
	s_cbranch_scc0 .LBB393_1386
; %bb.1383:
	global_load_dwordx2 v[14:15], v[16:17], off
	s_mov_b64 s[0:1], 0
	s_waitcnt vmcnt(0)
	v_cvt_f64_i32_e32 v[18:19], v15
	v_cvt_f64_u32_e32 v[14:15], v14
	v_ldexp_f64 v[18:19], v[18:19], 32
	v_add_f64 v[14:15], v[18:19], v[14:15]
	s_branch .LBB393_1387
.LBB393_1384:
	s_mov_b64 s[0:1], -1
                                        ; implicit-def: $vgpr14_vgpr15
	s_branch .LBB393_1393
.LBB393_1385:
	s_mov_b64 s[0:1], -1
                                        ; implicit-def: $vgpr14_vgpr15
	s_branch .LBB393_1390
.LBB393_1386:
	s_mov_b64 s[0:1], -1
                                        ; implicit-def: $vgpr14_vgpr15
.LBB393_1387:
	s_andn2_b64 vcc, exec, s[0:1]
	s_cbranch_vccnz .LBB393_1389
; %bb.1388:
	global_load_dword v3, v[16:17], off
	s_waitcnt vmcnt(0)
	v_cvt_f64_i32_e32 v[14:15], v3
.LBB393_1389:
	s_mov_b64 s[0:1], 0
.LBB393_1390:
	s_andn2_b64 vcc, exec, s[0:1]
	s_cbranch_vccnz .LBB393_1392
; %bb.1391:
	global_load_sshort v3, v[16:17], off
	s_waitcnt vmcnt(0)
	v_cvt_f64_i32_e32 v[14:15], v3
.LBB393_1392:
	s_mov_b64 s[0:1], 0
.LBB393_1393:
	s_andn2_b64 vcc, exec, s[0:1]
	s_cbranch_vccnz .LBB393_1399
; %bb.1394:
	s_cmp_gt_i32 s8, 0
	s_cbranch_scc0 .LBB393_1396
; %bb.1395:
	global_load_sbyte v3, v[16:17], off
	s_mov_b64 s[0:1], 0
	s_waitcnt vmcnt(0)
	v_cvt_f64_i32_e32 v[14:15], v3
	s_branch .LBB393_1397
.LBB393_1396:
	s_mov_b64 s[0:1], -1
                                        ; implicit-def: $vgpr14_vgpr15
.LBB393_1397:
	s_andn2_b64 vcc, exec, s[0:1]
	s_cbranch_vccnz .LBB393_1399
; %bb.1398:
	global_load_ubyte v3, v[16:17], off
	s_waitcnt vmcnt(0)
	v_cvt_f64_u32_e32 v[14:15], v3
.LBB393_1399:
.LBB393_1400:
	v_mov_b32_e32 v13, 0
	s_cmp_lt_i32 s16, 11
	v_lshl_add_u64 v[16:17], s[6:7], 0, v[12:13]
	s_cbranch_scc1 .LBB393_1407
; %bb.1401:
	s_and_b32 s17, 0xffff, s16
	s_cmp_gt_i32 s17, 25
	s_mov_b64 s[8:9], 0
	s_cbranch_scc0 .LBB393_1409
; %bb.1402:
	s_cmp_gt_i32 s17, 28
	s_cbranch_scc0 .LBB393_1410
; %bb.1403:
	s_cmp_gt_i32 s17, 43
	;; [unrolled: 3-line block ×3, first 2 shown]
	s_cbranch_scc0 .LBB393_1413
; %bb.1405:
	s_cmp_eq_u32 s17, 46
	s_mov_b64 s[12:13], 0
	s_cbranch_scc0 .LBB393_1414
; %bb.1406:
	global_load_dword v3, v[16:17], off
	s_mov_b64 s[0:1], 0
	s_mov_b64 s[10:11], -1
	s_waitcnt vmcnt(0)
	v_lshlrev_b32_e32 v3, 16, v3
	v_cvt_f64_f32_e32 v[12:13], v3
	s_branch .LBB393_1415
.LBB393_1407:
	s_mov_b64 s[10:11], 0
                                        ; implicit-def: $vgpr12_vgpr13
	s_cbranch_execnz .LBB393_1481
.LBB393_1408:
	s_andn2_b64 vcc, exec, s[10:11]
	s_cbranch_vccnz .LBB393_2092
	s_branch .LBB393_1529
.LBB393_1409:
	s_mov_b64 s[12:13], -1
	s_mov_b64 s[10:11], 0
	s_mov_b64 s[0:1], 0
                                        ; implicit-def: $vgpr12_vgpr13
	s_branch .LBB393_1446
.LBB393_1410:
	s_mov_b64 s[12:13], -1
	s_mov_b64 s[10:11], 0
	s_mov_b64 s[0:1], 0
                                        ; implicit-def: $vgpr12_vgpr13
	s_branch .LBB393_1425
.LBB393_1411:
	s_mov_b64 s[12:13], -1
	s_mov_b64 s[10:11], 0
	s_mov_b64 s[0:1], 0
                                        ; implicit-def: $vgpr12_vgpr13
	s_branch .LBB393_1420
.LBB393_1412:
	s_trap 2
	s_or_b64 s[2:3], s[2:3], exec
	s_cbranch_execz .LBB393_1351
	s_branch .LBB393_1352
.LBB393_1413:
	s_mov_b64 s[12:13], -1
	s_mov_b64 s[10:11], 0
	s_mov_b64 s[0:1], 0
                                        ; implicit-def: $vgpr12_vgpr13
	s_branch .LBB393_1415
.LBB393_1414:
	s_mov_b64 s[0:1], -1
                                        ; implicit-def: $vgpr12_vgpr13
	s_mov_b64 s[10:11], 0
.LBB393_1415:
	s_and_b64 vcc, exec, s[12:13]
	s_cbranch_vccz .LBB393_1419
; %bb.1416:
	s_cmp_eq_u32 s17, 44
	s_cbranch_scc0 .LBB393_1418
; %bb.1417:
	global_load_ubyte v3, v[16:17], off
	s_movk_i32 s10, 0xff
	s_waitcnt vmcnt(1)
	v_bfrev_b32_e32 v5, 4
	v_mov_b32_e32 v7, 0x7ff80000
	v_bfrev_b32_e32 v9, 28
	s_mov_b64 s[0:1], 0
	s_waitcnt vmcnt(0)
	v_lshlrev_b32_e32 v11, 23, v3
	v_cvt_f64_f32_e32 v[12:13], v11
	v_cmp_ne_u32_e32 vcc, s10, v3
	s_mov_b64 s[10:11], -1
	s_nop 0
	v_cndmask_b32_e32 v5, v5, v12, vcc
	v_cndmask_b32_e32 v7, v7, v13, vcc
	v_cmp_ne_u32_e32 vcc, 0, v3
	s_nop 1
	v_cndmask_b32_e32 v13, v9, v7, vcc
	v_cndmask_b32_e32 v12, 0, v5, vcc
	s_branch .LBB393_1419
.LBB393_1418:
	s_mov_b64 s[0:1], -1
                                        ; implicit-def: $vgpr12_vgpr13
.LBB393_1419:
	s_mov_b64 s[12:13], 0
.LBB393_1420:
	s_and_b64 vcc, exec, s[12:13]
	s_cbranch_vccz .LBB393_1424
; %bb.1421:
	s_cmp_eq_u32 s17, 29
	s_cbranch_scc0 .LBB393_1423
; %bb.1422:
	global_load_dwordx2 v[12:13], v[16:17], off
	s_mov_b64 s[0:1], 0
	s_mov_b64 s[10:11], -1
	s_mov_b64 s[12:13], 0
	s_waitcnt vmcnt(0)
	v_cvt_f64_u32_e32 v[18:19], v13
	v_cvt_f64_u32_e32 v[12:13], v12
	v_ldexp_f64 v[18:19], v[18:19], 32
	v_add_f64 v[12:13], v[18:19], v[12:13]
	s_branch .LBB393_1425
.LBB393_1423:
	s_mov_b64 s[0:1], -1
                                        ; implicit-def: $vgpr12_vgpr13
.LBB393_1424:
	s_mov_b64 s[12:13], 0
.LBB393_1425:
	s_and_b64 vcc, exec, s[12:13]
	s_cbranch_vccz .LBB393_1445
; %bb.1426:
	s_cmp_lt_i32 s17, 27
	s_cbranch_scc1 .LBB393_1429
; %bb.1427:
	s_cmp_gt_i32 s17, 27
	s_cbranch_scc0 .LBB393_1430
; %bb.1428:
	global_load_dword v3, v[16:17], off
	s_mov_b64 s[10:11], 0
	s_waitcnt vmcnt(0)
	v_cvt_f64_u32_e32 v[12:13], v3
	s_branch .LBB393_1431
.LBB393_1429:
	s_mov_b64 s[10:11], -1
                                        ; implicit-def: $vgpr12_vgpr13
	s_branch .LBB393_1434
.LBB393_1430:
	s_mov_b64 s[10:11], -1
                                        ; implicit-def: $vgpr12_vgpr13
.LBB393_1431:
	s_andn2_b64 vcc, exec, s[10:11]
	s_cbranch_vccnz .LBB393_1433
; %bb.1432:
	global_load_ushort v3, v[16:17], off
	s_waitcnt vmcnt(0)
	v_cvt_f64_u32_e32 v[12:13], v3
.LBB393_1433:
	s_mov_b64 s[10:11], 0
.LBB393_1434:
	s_andn2_b64 vcc, exec, s[10:11]
	s_cbranch_vccnz .LBB393_1444
; %bb.1435:
	global_load_ubyte v3, v[16:17], off
	s_movk_i32 s10, 0x7f
	s_waitcnt vmcnt(0)
	v_cmp_lt_i16_e32 vcc, s10, v3
	s_mov_b64 s[10:11], 0
	s_and_saveexec_b64 s[12:13], vcc
	s_xor_b64 s[12:13], exec, s[12:13]
	s_cbranch_execz .LBB393_1439
; %bb.1436:
	s_movk_i32 s10, 0x80
	v_cmp_eq_u16_e32 vcc, s10, v3
	s_mov_b64 s[10:11], -1
	s_and_saveexec_b64 s[14:15], vcc
; %bb.1437:
	s_xor_b64 s[10:11], exec, -1
; %bb.1438:
	s_or_b64 exec, exec, s[14:15]
	s_and_b64 s[10:11], s[10:11], exec
.LBB393_1439:
	s_or_saveexec_b64 s[12:13], s[12:13]
	v_bfrev_b32_e32 v12, 4
	v_mov_b32_e32 v13, 0x7ff80000
	s_xor_b64 exec, exec, s[12:13]
; %bb.1440:
	v_cmp_ne_u16_e32 vcc, 0, v3
	s_andn2_b64 s[10:11], s[10:11], exec
	s_and_b64 s[14:15], vcc, exec
	v_mov_b64_e32 v[12:13], 0
	s_or_b64 s[10:11], s[10:11], s[14:15]
; %bb.1441:
	s_or_b64 exec, exec, s[12:13]
	s_and_saveexec_b64 s[12:13], s[10:11]
	s_cbranch_execz .LBB393_1443
; %bb.1442:
	v_lshlrev_b32_e32 v5, 24, v3
	v_and_b32_e32 v3, 0xffff, v3
	v_and_b32_e32 v7, 7, v3
	v_ffbh_u32_e32 v11, v7
	v_min_u32_e32 v11, 32, v11
	v_subrev_u32_e32 v12, 28, v11
	v_bfe_u32 v9, v3, 3, 4
	v_lshlrev_b32_e32 v3, v12, v3
	v_sub_u32_e32 v11, 29, v11
	v_and_b32_e32 v3, 7, v3
	v_cmp_eq_u32_e32 vcc, 0, v9
	v_and_b32_e32 v5, 0x80000000, v5
	s_nop 0
	v_cndmask_b32_e32 v9, v9, v11, vcc
	v_cndmask_b32_e32 v3, v7, v3, vcc
	v_mov_b32_e32 v7, 0x3b800000
	v_lshlrev_b32_e32 v3, 20, v3
	v_lshl_add_u32 v7, v9, 23, v7
	v_or3_b32 v3, v5, v7, v3
	v_cvt_f64_f32_e32 v[12:13], v3
.LBB393_1443:
	s_or_b64 exec, exec, s[12:13]
.LBB393_1444:
	s_mov_b64 s[10:11], -1
.LBB393_1445:
	s_mov_b64 s[12:13], 0
.LBB393_1446:
	s_and_b64 vcc, exec, s[12:13]
	s_cbranch_vccz .LBB393_1477
; %bb.1447:
	s_cmp_gt_i32 s17, 22
	s_cbranch_scc0 .LBB393_1459
; %bb.1448:
	s_cmp_lt_i32 s17, 24
	s_cbranch_scc1 .LBB393_1460
; %bb.1449:
	s_cmp_gt_i32 s17, 24
	s_cbranch_scc0 .LBB393_1461
; %bb.1450:
	global_load_ubyte v3, v[16:17], off
	s_movk_i32 s8, 0x7f
	s_waitcnt vmcnt(0)
	v_cmp_lt_i16_e32 vcc, s8, v3
	s_mov_b64 s[8:9], 0
	s_and_saveexec_b64 s[10:11], vcc
	s_xor_b64 s[10:11], exec, s[10:11]
	s_cbranch_execz .LBB393_1454
; %bb.1451:
	s_movk_i32 s8, 0x80
	v_cmp_eq_u16_e32 vcc, s8, v3
	s_mov_b64 s[8:9], -1
	s_and_saveexec_b64 s[12:13], vcc
; %bb.1452:
	s_xor_b64 s[8:9], exec, -1
; %bb.1453:
	s_or_b64 exec, exec, s[12:13]
	s_and_b64 s[8:9], s[8:9], exec
.LBB393_1454:
	s_or_saveexec_b64 s[10:11], s[10:11]
	v_bfrev_b32_e32 v12, 4
	v_mov_b32_e32 v13, 0x7ff80000
	s_xor_b64 exec, exec, s[10:11]
; %bb.1455:
	v_cmp_ne_u16_e32 vcc, 0, v3
	s_andn2_b64 s[8:9], s[8:9], exec
	s_and_b64 s[12:13], vcc, exec
	v_mov_b64_e32 v[12:13], 0
	s_or_b64 s[8:9], s[8:9], s[12:13]
; %bb.1456:
	s_or_b64 exec, exec, s[10:11]
	s_and_saveexec_b64 s[10:11], s[8:9]
	s_cbranch_execz .LBB393_1458
; %bb.1457:
	v_lshlrev_b32_e32 v5, 24, v3
	v_and_b32_e32 v3, 0xffff, v3
	v_and_b32_e32 v7, 3, v3
	v_ffbh_u32_e32 v11, v7
	v_min_u32_e32 v11, 32, v11
	v_subrev_u32_e32 v12, 29, v11
	v_bfe_u32 v9, v3, 2, 5
	v_lshlrev_b32_e32 v3, v12, v3
	v_sub_u32_e32 v11, 30, v11
	v_and_b32_e32 v3, 3, v3
	v_cmp_eq_u32_e32 vcc, 0, v9
	v_and_b32_e32 v5, 0x80000000, v5
	s_nop 0
	v_cndmask_b32_e32 v9, v9, v11, vcc
	v_cndmask_b32_e32 v3, v7, v3, vcc
	v_mov_b32_e32 v7, 0x37800000
	v_lshlrev_b32_e32 v3, 21, v3
	v_lshl_add_u32 v7, v9, 23, v7
	v_or3_b32 v3, v5, v7, v3
	v_cvt_f64_f32_e32 v[12:13], v3
.LBB393_1458:
	s_or_b64 exec, exec, s[10:11]
	s_mov_b64 s[8:9], 0
	s_branch .LBB393_1462
.LBB393_1459:
	s_mov_b64 s[8:9], -1
                                        ; implicit-def: $vgpr12_vgpr13
	s_branch .LBB393_1468
.LBB393_1460:
	s_mov_b64 s[8:9], -1
                                        ; implicit-def: $vgpr12_vgpr13
	s_branch .LBB393_1465
.LBB393_1461:
	s_mov_b64 s[8:9], -1
                                        ; implicit-def: $vgpr12_vgpr13
.LBB393_1462:
	s_and_b64 vcc, exec, s[8:9]
	s_cbranch_vccz .LBB393_1464
; %bb.1463:
	global_load_ubyte v3, v[16:17], off
	s_mov_b32 s8, 0x7f800000
	s_waitcnt vmcnt(0)
	v_lshlrev_b32_e32 v3, 24, v3
	v_and_b32_e32 v5, 0x7f000000, v3
	v_ffbh_u32_e32 v7, v5
	v_min_u32_e32 v7, 32, v7
	v_sub_u32_e64 v7, v7, 4 clamp
	v_lshlrev_b32_e32 v11, v7, v5
	v_lshlrev_b32_e32 v7, 23, v7
	v_lshrrev_b32_e32 v11, 4, v11
	v_add_u32_e32 v9, 0x1000000, v5
	v_sub_u32_e32 v7, v11, v7
	v_ashrrev_i32_e32 v9, 8, v9
	v_add_u32_e32 v7, 0x3c000000, v7
	v_and_or_b32 v7, v9, s8, v7
	v_cmp_ne_u32_e32 vcc, 0, v5
	s_brev_b32 s8, 1
	s_nop 0
	v_cndmask_b32_e32 v5, 0, v7, vcc
	v_and_or_b32 v3, v3, s8, v5
	v_cvt_f64_f32_e32 v[12:13], v3
.LBB393_1464:
	s_mov_b64 s[8:9], 0
.LBB393_1465:
	s_andn2_b64 vcc, exec, s[8:9]
	s_cbranch_vccnz .LBB393_1467
; %bb.1466:
	global_load_ubyte v3, v[16:17], off
	s_movk_i32 s8, 0x7f00
	s_brev_b32 s9, 16
	s_waitcnt vmcnt(0)
	v_lshlrev_b16_e32 v5, 8, v3
	v_lshlrev_b32_e32 v3, 25, v3
	v_lshrrev_b32_e32 v7, 4, v3
	v_and_or_b32 v9, v5, s8, 0.5
	v_or_b32_e32 v7, 0x70000000, v7
	v_add_f32_e32 v9, -0.5, v9
	v_mul_f32_e32 v7, 0x7800000, v7
	v_cmp_gt_u32_e32 vcc, s9, v3
	v_bfe_i32 v5, v5, 0, 16
	s_brev_b32 s8, 1
	v_cndmask_b32_e32 v3, v7, v9, vcc
	v_and_or_b32 v3, v5, s8, v3
	v_cvt_f64_f32_e32 v[12:13], v3
.LBB393_1467:
	s_mov_b64 s[8:9], 0
	s_mov_b64 s[10:11], -1
.LBB393_1468:
	s_andn2_b64 vcc, exec, s[8:9]
	s_mov_b64 s[8:9], 0
	s_cbranch_vccnz .LBB393_1477
; %bb.1469:
	s_cmp_gt_i32 s17, 14
	s_cbranch_scc0 .LBB393_1472
; %bb.1470:
	s_cmp_eq_u32 s17, 15
	s_cbranch_scc0 .LBB393_1473
; %bb.1471:
	global_load_ushort v3, v[16:17], off
	s_mov_b64 s[0:1], 0
	s_mov_b64 s[10:11], -1
	s_waitcnt vmcnt(0)
	v_lshlrev_b32_e32 v3, 16, v3
	v_cvt_f64_f32_e32 v[12:13], v3
	s_branch .LBB393_1474
.LBB393_1472:
	s_mov_b64 s[12:13], -1
                                        ; implicit-def: $vgpr12_vgpr13
	s_branch .LBB393_1475
.LBB393_1473:
	s_mov_b64 s[0:1], -1
                                        ; implicit-def: $vgpr12_vgpr13
.LBB393_1474:
	s_mov_b64 s[12:13], 0
.LBB393_1475:
	s_and_b64 vcc, exec, s[12:13]
	s_cbranch_vccz .LBB393_1477
; %bb.1476:
	s_cmp_lg_u32 s17, 11
	s_mov_b64 s[8:9], -1
	s_cselect_b64 s[0:1], -1, 0
.LBB393_1477:
	s_and_b64 vcc, exec, s[0:1]
	s_cbranch_vccnz .LBB393_1540
; %bb.1478:
	s_andn2_b64 vcc, exec, s[8:9]
	s_cbranch_vccnz .LBB393_1480
.LBB393_1479:
	global_load_ubyte v3, v[16:17], off
	s_waitcnt vmcnt(1)
	v_mov_b32_e32 v5, 0x3ff00000
	v_mov_b32_e32 v12, 0
	s_mov_b64 s[10:11], -1
	s_waitcnt vmcnt(0)
	v_cmp_ne_u16_e32 vcc, 0, v3
	s_nop 1
	v_cndmask_b32_e32 v13, 0, v5, vcc
.LBB393_1480:
	s_branch .LBB393_1408
.LBB393_1481:
	s_and_b32 s8, 0xffff, s16
	s_cmp_lt_i32 s8, 5
	s_cbranch_scc1 .LBB393_1486
; %bb.1482:
	s_cmp_lt_i32 s8, 8
	s_cbranch_scc1 .LBB393_1487
; %bb.1483:
	;; [unrolled: 3-line block ×3, first 2 shown]
	s_cmp_gt_i32 s8, 9
	s_cbranch_scc0 .LBB393_1489
; %bb.1485:
	global_load_dwordx2 v[12:13], v[16:17], off
	s_mov_b64 s[0:1], 0
	s_branch .LBB393_1490
.LBB393_1486:
	s_mov_b64 s[0:1], -1
                                        ; implicit-def: $vgpr12_vgpr13
	s_branch .LBB393_1508
.LBB393_1487:
	s_mov_b64 s[0:1], -1
                                        ; implicit-def: $vgpr12_vgpr13
	s_branch .LBB393_1496
.LBB393_1488:
	s_mov_b64 s[0:1], -1
                                        ; implicit-def: $vgpr12_vgpr13
	s_branch .LBB393_1493
.LBB393_1489:
	s_mov_b64 s[0:1], -1
                                        ; implicit-def: $vgpr12_vgpr13
.LBB393_1490:
	s_andn2_b64 vcc, exec, s[0:1]
	s_cbranch_vccnz .LBB393_1492
; %bb.1491:
	global_load_dword v3, v[16:17], off
	s_waitcnt vmcnt(0)
	v_cvt_f64_f32_e32 v[12:13], v3
.LBB393_1492:
	s_mov_b64 s[0:1], 0
.LBB393_1493:
	s_andn2_b64 vcc, exec, s[0:1]
	s_cbranch_vccnz .LBB393_1495
; %bb.1494:
	global_load_dword v3, v[16:17], off
	s_waitcnt vmcnt(0)
	v_cvt_f32_f16_e32 v3, v3
	v_cvt_f64_f32_e32 v[12:13], v3
.LBB393_1495:
	s_mov_b64 s[0:1], 0
.LBB393_1496:
	s_andn2_b64 vcc, exec, s[0:1]
	s_cbranch_vccnz .LBB393_1507
; %bb.1497:
	s_cmp_lt_i32 s8, 6
	s_cbranch_scc1 .LBB393_1500
; %bb.1498:
	s_cmp_gt_i32 s8, 6
	s_cbranch_scc0 .LBB393_1501
; %bb.1499:
	global_load_dwordx2 v[12:13], v[16:17], off
	s_mov_b64 s[0:1], 0
	s_branch .LBB393_1502
.LBB393_1500:
	s_mov_b64 s[0:1], -1
                                        ; implicit-def: $vgpr12_vgpr13
	s_branch .LBB393_1505
.LBB393_1501:
	s_mov_b64 s[0:1], -1
                                        ; implicit-def: $vgpr12_vgpr13
.LBB393_1502:
	s_andn2_b64 vcc, exec, s[0:1]
	s_cbranch_vccnz .LBB393_1504
; %bb.1503:
	global_load_dword v3, v[16:17], off
	s_waitcnt vmcnt(0)
	v_cvt_f64_f32_e32 v[12:13], v3
.LBB393_1504:
	s_mov_b64 s[0:1], 0
.LBB393_1505:
	s_andn2_b64 vcc, exec, s[0:1]
	s_cbranch_vccnz .LBB393_1507
; %bb.1506:
	global_load_ushort v3, v[16:17], off
	s_waitcnt vmcnt(0)
	v_cvt_f32_f16_e32 v3, v3
	v_cvt_f64_f32_e32 v[12:13], v3
.LBB393_1507:
	s_mov_b64 s[0:1], 0
.LBB393_1508:
	s_andn2_b64 vcc, exec, s[0:1]
	s_cbranch_vccnz .LBB393_1528
; %bb.1509:
	s_cmp_lt_i32 s8, 2
	s_cbranch_scc1 .LBB393_1513
; %bb.1510:
	s_cmp_lt_i32 s8, 3
	s_cbranch_scc1 .LBB393_1514
; %bb.1511:
	s_cmp_gt_i32 s8, 3
	s_cbranch_scc0 .LBB393_1515
; %bb.1512:
	global_load_dwordx2 v[12:13], v[16:17], off
	s_mov_b64 s[0:1], 0
	s_waitcnt vmcnt(0)
	v_cvt_f64_i32_e32 v[18:19], v13
	v_cvt_f64_u32_e32 v[12:13], v12
	v_ldexp_f64 v[18:19], v[18:19], 32
	v_add_f64 v[12:13], v[18:19], v[12:13]
	s_branch .LBB393_1516
.LBB393_1513:
	s_mov_b64 s[0:1], -1
                                        ; implicit-def: $vgpr12_vgpr13
	s_branch .LBB393_1522
.LBB393_1514:
	s_mov_b64 s[0:1], -1
                                        ; implicit-def: $vgpr12_vgpr13
	s_branch .LBB393_1519
.LBB393_1515:
	s_mov_b64 s[0:1], -1
                                        ; implicit-def: $vgpr12_vgpr13
.LBB393_1516:
	s_andn2_b64 vcc, exec, s[0:1]
	s_cbranch_vccnz .LBB393_1518
; %bb.1517:
	global_load_dword v3, v[16:17], off
	s_waitcnt vmcnt(0)
	v_cvt_f64_i32_e32 v[12:13], v3
.LBB393_1518:
	s_mov_b64 s[0:1], 0
.LBB393_1519:
	s_andn2_b64 vcc, exec, s[0:1]
	s_cbranch_vccnz .LBB393_1521
; %bb.1520:
	global_load_sshort v3, v[16:17], off
	s_waitcnt vmcnt(0)
	v_cvt_f64_i32_e32 v[12:13], v3
.LBB393_1521:
	s_mov_b64 s[0:1], 0
.LBB393_1522:
	s_andn2_b64 vcc, exec, s[0:1]
	s_cbranch_vccnz .LBB393_1528
; %bb.1523:
	s_cmp_gt_i32 s8, 0
	s_cbranch_scc0 .LBB393_1525
; %bb.1524:
	global_load_sbyte v3, v[16:17], off
	s_mov_b64 s[0:1], 0
	s_waitcnt vmcnt(0)
	v_cvt_f64_i32_e32 v[12:13], v3
	s_branch .LBB393_1526
.LBB393_1525:
	s_mov_b64 s[0:1], -1
                                        ; implicit-def: $vgpr12_vgpr13
.LBB393_1526:
	s_andn2_b64 vcc, exec, s[0:1]
	s_cbranch_vccnz .LBB393_1528
; %bb.1527:
	global_load_ubyte v3, v[16:17], off
	s_waitcnt vmcnt(0)
	v_cvt_f64_u32_e32 v[12:13], v3
.LBB393_1528:
.LBB393_1529:
	v_mov_b32_e32 v11, 0
	s_cmp_lt_i32 s16, 11
	v_lshl_add_u64 v[16:17], s[6:7], 0, v[10:11]
	s_cbranch_scc1 .LBB393_1536
; %bb.1530:
	s_and_b32 s14, 0xffff, s16
	s_cmp_gt_i32 s14, 25
	s_mov_b64 s[6:7], 0
	s_cbranch_scc0 .LBB393_1537
; %bb.1531:
	s_cmp_gt_i32 s14, 28
	s_cbranch_scc0 .LBB393_1538
; %bb.1532:
	s_cmp_gt_i32 s14, 43
	;; [unrolled: 3-line block ×3, first 2 shown]
	s_cbranch_scc0 .LBB393_1541
; %bb.1534:
	s_cmp_eq_u32 s14, 46
	s_mov_b64 s[10:11], 0
	s_cbranch_scc0 .LBB393_1542
; %bb.1535:
	global_load_dword v3, v[16:17], off
	s_mov_b64 s[0:1], 0
	s_mov_b64 s[8:9], -1
	s_waitcnt vmcnt(0)
	v_lshlrev_b32_e32 v3, 16, v3
	v_cvt_f64_f32_e32 v[10:11], v3
	s_branch .LBB393_1543
.LBB393_1536:
	s_mov_b64 s[0:1], -1
	s_mov_b64 s[8:9], 0
                                        ; implicit-def: $vgpr10_vgpr11
	s_branch .LBB393_1609
.LBB393_1537:
	s_mov_b64 s[10:11], -1
	s_mov_b64 s[8:9], 0
	s_mov_b64 s[0:1], 0
                                        ; implicit-def: $vgpr10_vgpr11
	s_branch .LBB393_1574
.LBB393_1538:
	s_mov_b64 s[10:11], -1
	s_mov_b64 s[8:9], 0
	s_mov_b64 s[0:1], 0
                                        ; implicit-def: $vgpr10_vgpr11
	s_branch .LBB393_1553
.LBB393_1539:
	s_mov_b64 s[10:11], -1
	s_mov_b64 s[8:9], 0
	s_mov_b64 s[0:1], 0
                                        ; implicit-def: $vgpr10_vgpr11
	s_branch .LBB393_1548
.LBB393_1540:
	s_trap 2
	s_or_b64 s[2:3], s[2:3], exec
	s_cbranch_execz .LBB393_1479
	s_branch .LBB393_1480
.LBB393_1541:
	s_mov_b64 s[10:11], -1
	s_mov_b64 s[8:9], 0
	s_mov_b64 s[0:1], 0
                                        ; implicit-def: $vgpr10_vgpr11
	s_branch .LBB393_1543
.LBB393_1542:
	s_mov_b64 s[0:1], -1
                                        ; implicit-def: $vgpr10_vgpr11
	s_mov_b64 s[8:9], 0
.LBB393_1543:
	s_and_b64 vcc, exec, s[10:11]
	s_cbranch_vccz .LBB393_1547
; %bb.1544:
	s_cmp_eq_u32 s14, 44
	s_cbranch_scc0 .LBB393_1546
; %bb.1545:
	global_load_ubyte v3, v[16:17], off
	s_movk_i32 s8, 0xff
	s_waitcnt vmcnt(1)
	v_bfrev_b32_e32 v5, 4
	v_mov_b32_e32 v7, 0x7ff80000
	v_bfrev_b32_e32 v9, 28
	s_mov_b64 s[0:1], 0
	s_waitcnt vmcnt(0)
	v_lshlrev_b32_e32 v10, 23, v3
	v_cvt_f64_f32_e32 v[10:11], v10
	v_cmp_ne_u32_e32 vcc, s8, v3
	s_mov_b64 s[8:9], -1
	s_nop 0
	v_cndmask_b32_e32 v5, v5, v10, vcc
	v_cndmask_b32_e32 v7, v7, v11, vcc
	v_cmp_ne_u32_e32 vcc, 0, v3
	s_nop 1
	v_cndmask_b32_e32 v11, v9, v7, vcc
	v_cndmask_b32_e32 v10, 0, v5, vcc
	s_branch .LBB393_1547
.LBB393_1546:
	s_mov_b64 s[0:1], -1
                                        ; implicit-def: $vgpr10_vgpr11
.LBB393_1547:
	s_mov_b64 s[10:11], 0
.LBB393_1548:
	s_and_b64 vcc, exec, s[10:11]
	s_cbranch_vccz .LBB393_1552
; %bb.1549:
	s_cmp_eq_u32 s14, 29
	s_cbranch_scc0 .LBB393_1551
; %bb.1550:
	global_load_dwordx2 v[10:11], v[16:17], off
	s_mov_b64 s[0:1], 0
	s_mov_b64 s[8:9], -1
	s_mov_b64 s[10:11], 0
	s_waitcnt vmcnt(0)
	v_cvt_f64_u32_e32 v[18:19], v11
	v_cvt_f64_u32_e32 v[10:11], v10
	v_ldexp_f64 v[18:19], v[18:19], 32
	v_add_f64 v[10:11], v[18:19], v[10:11]
	s_branch .LBB393_1553
.LBB393_1551:
	s_mov_b64 s[0:1], -1
                                        ; implicit-def: $vgpr10_vgpr11
.LBB393_1552:
	s_mov_b64 s[10:11], 0
.LBB393_1553:
	s_and_b64 vcc, exec, s[10:11]
	s_cbranch_vccz .LBB393_1573
; %bb.1554:
	s_cmp_lt_i32 s14, 27
	s_cbranch_scc1 .LBB393_1557
; %bb.1555:
	s_cmp_gt_i32 s14, 27
	s_cbranch_scc0 .LBB393_1558
; %bb.1556:
	global_load_dword v3, v[16:17], off
	s_mov_b64 s[8:9], 0
	s_waitcnt vmcnt(0)
	v_cvt_f64_u32_e32 v[10:11], v3
	s_branch .LBB393_1559
.LBB393_1557:
	s_mov_b64 s[8:9], -1
                                        ; implicit-def: $vgpr10_vgpr11
	s_branch .LBB393_1562
.LBB393_1558:
	s_mov_b64 s[8:9], -1
                                        ; implicit-def: $vgpr10_vgpr11
.LBB393_1559:
	s_andn2_b64 vcc, exec, s[8:9]
	s_cbranch_vccnz .LBB393_1561
; %bb.1560:
	global_load_ushort v3, v[16:17], off
	s_waitcnt vmcnt(0)
	v_cvt_f64_u32_e32 v[10:11], v3
.LBB393_1561:
	s_mov_b64 s[8:9], 0
.LBB393_1562:
	s_andn2_b64 vcc, exec, s[8:9]
	s_cbranch_vccnz .LBB393_1572
; %bb.1563:
	global_load_ubyte v3, v[16:17], off
	s_movk_i32 s8, 0x7f
	s_waitcnt vmcnt(0)
	v_cmp_lt_i16_e32 vcc, s8, v3
	s_mov_b64 s[8:9], 0
	s_and_saveexec_b64 s[10:11], vcc
	s_xor_b64 s[10:11], exec, s[10:11]
	s_cbranch_execz .LBB393_1567
; %bb.1564:
	s_movk_i32 s8, 0x80
	v_cmp_eq_u16_e32 vcc, s8, v3
	s_mov_b64 s[8:9], -1
	s_and_saveexec_b64 s[12:13], vcc
; %bb.1565:
	s_xor_b64 s[8:9], exec, -1
; %bb.1566:
	s_or_b64 exec, exec, s[12:13]
	s_and_b64 s[8:9], s[8:9], exec
.LBB393_1567:
	s_or_saveexec_b64 s[10:11], s[10:11]
	v_bfrev_b32_e32 v10, 4
	v_mov_b32_e32 v11, 0x7ff80000
	s_xor_b64 exec, exec, s[10:11]
; %bb.1568:
	v_cmp_ne_u16_e32 vcc, 0, v3
	s_andn2_b64 s[8:9], s[8:9], exec
	s_and_b64 s[12:13], vcc, exec
	v_mov_b64_e32 v[10:11], 0
	s_or_b64 s[8:9], s[8:9], s[12:13]
; %bb.1569:
	s_or_b64 exec, exec, s[10:11]
	s_and_saveexec_b64 s[10:11], s[8:9]
	s_cbranch_execz .LBB393_1571
; %bb.1570:
	v_lshlrev_b32_e32 v5, 24, v3
	v_and_b32_e32 v3, 0xffff, v3
	v_and_b32_e32 v7, 7, v3
	v_ffbh_u32_e32 v10, v7
	v_min_u32_e32 v10, 32, v10
	v_subrev_u32_e32 v11, 28, v10
	v_bfe_u32 v9, v3, 3, 4
	v_lshlrev_b32_e32 v3, v11, v3
	v_sub_u32_e32 v10, 29, v10
	v_and_b32_e32 v3, 7, v3
	v_cmp_eq_u32_e32 vcc, 0, v9
	v_and_b32_e32 v5, 0x80000000, v5
	s_nop 0
	v_cndmask_b32_e32 v9, v9, v10, vcc
	v_cndmask_b32_e32 v3, v7, v3, vcc
	v_mov_b32_e32 v7, 0x3b800000
	v_lshlrev_b32_e32 v3, 20, v3
	v_lshl_add_u32 v7, v9, 23, v7
	v_or3_b32 v3, v5, v7, v3
	v_cvt_f64_f32_e32 v[10:11], v3
.LBB393_1571:
	s_or_b64 exec, exec, s[10:11]
.LBB393_1572:
	s_mov_b64 s[8:9], -1
.LBB393_1573:
	s_mov_b64 s[10:11], 0
.LBB393_1574:
	s_and_b64 vcc, exec, s[10:11]
	s_cbranch_vccz .LBB393_1605
; %bb.1575:
	s_cmp_gt_i32 s14, 22
	s_cbranch_scc0 .LBB393_1587
; %bb.1576:
	s_cmp_lt_i32 s14, 24
	s_cbranch_scc1 .LBB393_1588
; %bb.1577:
	s_cmp_gt_i32 s14, 24
	s_cbranch_scc0 .LBB393_1589
; %bb.1578:
	global_load_ubyte v3, v[16:17], off
	s_movk_i32 s6, 0x7f
	s_waitcnt vmcnt(0)
	v_cmp_lt_i16_e32 vcc, s6, v3
	s_mov_b64 s[6:7], 0
	s_and_saveexec_b64 s[8:9], vcc
	s_xor_b64 s[8:9], exec, s[8:9]
	s_cbranch_execz .LBB393_1582
; %bb.1579:
	s_movk_i32 s6, 0x80
	v_cmp_eq_u16_e32 vcc, s6, v3
	s_mov_b64 s[6:7], -1
	s_and_saveexec_b64 s[10:11], vcc
; %bb.1580:
	s_xor_b64 s[6:7], exec, -1
; %bb.1581:
	s_or_b64 exec, exec, s[10:11]
	s_and_b64 s[6:7], s[6:7], exec
.LBB393_1582:
	s_or_saveexec_b64 s[8:9], s[8:9]
	v_bfrev_b32_e32 v10, 4
	v_mov_b32_e32 v11, 0x7ff80000
	s_xor_b64 exec, exec, s[8:9]
; %bb.1583:
	v_cmp_ne_u16_e32 vcc, 0, v3
	s_andn2_b64 s[6:7], s[6:7], exec
	s_and_b64 s[10:11], vcc, exec
	v_mov_b64_e32 v[10:11], 0
	s_or_b64 s[6:7], s[6:7], s[10:11]
; %bb.1584:
	s_or_b64 exec, exec, s[8:9]
	s_and_saveexec_b64 s[8:9], s[6:7]
	s_cbranch_execz .LBB393_1586
; %bb.1585:
	v_lshlrev_b32_e32 v5, 24, v3
	v_and_b32_e32 v3, 0xffff, v3
	v_and_b32_e32 v7, 3, v3
	v_ffbh_u32_e32 v10, v7
	v_min_u32_e32 v10, 32, v10
	v_subrev_u32_e32 v11, 29, v10
	v_bfe_u32 v9, v3, 2, 5
	v_lshlrev_b32_e32 v3, v11, v3
	v_sub_u32_e32 v10, 30, v10
	v_and_b32_e32 v3, 3, v3
	v_cmp_eq_u32_e32 vcc, 0, v9
	v_and_b32_e32 v5, 0x80000000, v5
	s_nop 0
	v_cndmask_b32_e32 v9, v9, v10, vcc
	v_cndmask_b32_e32 v3, v7, v3, vcc
	v_mov_b32_e32 v7, 0x37800000
	v_lshlrev_b32_e32 v3, 21, v3
	v_lshl_add_u32 v7, v9, 23, v7
	v_or3_b32 v3, v5, v7, v3
	v_cvt_f64_f32_e32 v[10:11], v3
.LBB393_1586:
	s_or_b64 exec, exec, s[8:9]
	s_mov_b64 s[6:7], 0
	s_branch .LBB393_1590
.LBB393_1587:
	s_mov_b64 s[6:7], -1
                                        ; implicit-def: $vgpr10_vgpr11
	s_branch .LBB393_1596
.LBB393_1588:
	s_mov_b64 s[6:7], -1
                                        ; implicit-def: $vgpr10_vgpr11
	s_branch .LBB393_1593
.LBB393_1589:
	s_mov_b64 s[6:7], -1
                                        ; implicit-def: $vgpr10_vgpr11
.LBB393_1590:
	s_and_b64 vcc, exec, s[6:7]
	s_cbranch_vccz .LBB393_1592
; %bb.1591:
	global_load_ubyte v3, v[16:17], off
	s_mov_b32 s6, 0x7f800000
	s_waitcnt vmcnt(0)
	v_lshlrev_b32_e32 v3, 24, v3
	v_and_b32_e32 v5, 0x7f000000, v3
	v_ffbh_u32_e32 v7, v5
	v_min_u32_e32 v7, 32, v7
	v_sub_u32_e64 v7, v7, 4 clamp
	v_lshlrev_b32_e32 v10, v7, v5
	v_lshlrev_b32_e32 v7, 23, v7
	v_lshrrev_b32_e32 v10, 4, v10
	v_add_u32_e32 v9, 0x1000000, v5
	v_sub_u32_e32 v7, v10, v7
	v_ashrrev_i32_e32 v9, 8, v9
	v_add_u32_e32 v7, 0x3c000000, v7
	v_and_or_b32 v7, v9, s6, v7
	v_cmp_ne_u32_e32 vcc, 0, v5
	s_brev_b32 s6, 1
	s_nop 0
	v_cndmask_b32_e32 v5, 0, v7, vcc
	v_and_or_b32 v3, v3, s6, v5
	v_cvt_f64_f32_e32 v[10:11], v3
.LBB393_1592:
	s_mov_b64 s[6:7], 0
.LBB393_1593:
	s_andn2_b64 vcc, exec, s[6:7]
	s_cbranch_vccnz .LBB393_1595
; %bb.1594:
	global_load_ubyte v3, v[16:17], off
	s_movk_i32 s6, 0x7f00
	s_brev_b32 s7, 16
	s_waitcnt vmcnt(0)
	v_lshlrev_b16_e32 v5, 8, v3
	v_lshlrev_b32_e32 v3, 25, v3
	v_lshrrev_b32_e32 v7, 4, v3
	v_and_or_b32 v9, v5, s6, 0.5
	v_or_b32_e32 v7, 0x70000000, v7
	v_add_f32_e32 v9, -0.5, v9
	v_mul_f32_e32 v7, 0x7800000, v7
	v_cmp_gt_u32_e32 vcc, s7, v3
	v_bfe_i32 v5, v5, 0, 16
	s_brev_b32 s6, 1
	v_cndmask_b32_e32 v3, v7, v9, vcc
	v_and_or_b32 v3, v5, s6, v3
	v_cvt_f64_f32_e32 v[10:11], v3
.LBB393_1595:
	s_mov_b64 s[6:7], 0
	s_mov_b64 s[8:9], -1
.LBB393_1596:
	s_andn2_b64 vcc, exec, s[6:7]
	s_mov_b64 s[6:7], 0
	s_cbranch_vccnz .LBB393_1605
; %bb.1597:
	s_cmp_gt_i32 s14, 14
	s_cbranch_scc0 .LBB393_1600
; %bb.1598:
	s_cmp_eq_u32 s14, 15
	s_cbranch_scc0 .LBB393_1601
; %bb.1599:
	global_load_ushort v3, v[16:17], off
	s_mov_b64 s[0:1], 0
	s_mov_b64 s[8:9], -1
	s_waitcnt vmcnt(0)
	v_lshlrev_b32_e32 v3, 16, v3
	v_cvt_f64_f32_e32 v[10:11], v3
	s_branch .LBB393_1602
.LBB393_1600:
	s_mov_b64 s[10:11], -1
                                        ; implicit-def: $vgpr10_vgpr11
	s_branch .LBB393_1603
.LBB393_1601:
	s_mov_b64 s[0:1], -1
                                        ; implicit-def: $vgpr10_vgpr11
.LBB393_1602:
	s_mov_b64 s[10:11], 0
.LBB393_1603:
	s_and_b64 vcc, exec, s[10:11]
	s_cbranch_vccz .LBB393_1605
; %bb.1604:
	s_cmp_lg_u32 s14, 11
	s_mov_b64 s[6:7], -1
	s_cselect_b64 s[0:1], -1, 0
.LBB393_1605:
	s_and_b64 vcc, exec, s[0:1]
	s_cbranch_vccnz .LBB393_2138
; %bb.1606:
	s_andn2_b64 vcc, exec, s[6:7]
	s_cbranch_vccnz .LBB393_1608
.LBB393_1607:
	global_load_ubyte v3, v[16:17], off
	s_waitcnt vmcnt(1)
	v_mov_b32_e32 v5, 0x3ff00000
	v_mov_b32_e32 v10, 0
	s_mov_b64 s[8:9], -1
	s_waitcnt vmcnt(0)
	v_cmp_ne_u16_e32 vcc, 0, v3
	s_nop 1
	v_cndmask_b32_e32 v11, 0, v5, vcc
.LBB393_1608:
	s_mov_b64 s[0:1], 0
.LBB393_1609:
	s_and_b64 vcc, exec, s[0:1]
	s_cbranch_vccz .LBB393_1658
; %bb.1610:
	s_and_b32 s6, 0xffff, s16
	s_cmp_lt_i32 s6, 5
	s_cbranch_scc1 .LBB393_1615
; %bb.1611:
	s_cmp_lt_i32 s6, 8
	s_cbranch_scc1 .LBB393_1616
; %bb.1612:
	;; [unrolled: 3-line block ×3, first 2 shown]
	s_cmp_gt_i32 s6, 9
	s_cbranch_scc0 .LBB393_1618
; %bb.1614:
	global_load_dwordx2 v[10:11], v[16:17], off
	s_mov_b64 s[0:1], 0
	s_branch .LBB393_1619
.LBB393_1615:
	s_mov_b64 s[0:1], -1
                                        ; implicit-def: $vgpr10_vgpr11
	s_branch .LBB393_1637
.LBB393_1616:
	s_mov_b64 s[0:1], -1
                                        ; implicit-def: $vgpr10_vgpr11
	s_branch .LBB393_1625
.LBB393_1617:
	s_mov_b64 s[0:1], -1
                                        ; implicit-def: $vgpr10_vgpr11
	s_branch .LBB393_1622
.LBB393_1618:
	s_mov_b64 s[0:1], -1
                                        ; implicit-def: $vgpr10_vgpr11
.LBB393_1619:
	s_andn2_b64 vcc, exec, s[0:1]
	s_cbranch_vccnz .LBB393_1621
; %bb.1620:
	global_load_dword v3, v[16:17], off
	s_waitcnt vmcnt(0)
	v_cvt_f64_f32_e32 v[10:11], v3
.LBB393_1621:
	s_mov_b64 s[0:1], 0
.LBB393_1622:
	s_andn2_b64 vcc, exec, s[0:1]
	s_cbranch_vccnz .LBB393_1624
; %bb.1623:
	global_load_dword v3, v[16:17], off
	s_waitcnt vmcnt(0)
	v_cvt_f32_f16_e32 v3, v3
	v_cvt_f64_f32_e32 v[10:11], v3
.LBB393_1624:
	s_mov_b64 s[0:1], 0
.LBB393_1625:
	s_andn2_b64 vcc, exec, s[0:1]
	s_cbranch_vccnz .LBB393_1636
; %bb.1626:
	s_cmp_lt_i32 s6, 6
	s_cbranch_scc1 .LBB393_1629
; %bb.1627:
	s_cmp_gt_i32 s6, 6
	s_cbranch_scc0 .LBB393_1630
; %bb.1628:
	global_load_dwordx2 v[10:11], v[16:17], off
	s_mov_b64 s[0:1], 0
	s_branch .LBB393_1631
.LBB393_1629:
	s_mov_b64 s[0:1], -1
                                        ; implicit-def: $vgpr10_vgpr11
	s_branch .LBB393_1634
.LBB393_1630:
	s_mov_b64 s[0:1], -1
                                        ; implicit-def: $vgpr10_vgpr11
.LBB393_1631:
	s_andn2_b64 vcc, exec, s[0:1]
	s_cbranch_vccnz .LBB393_1633
; %bb.1632:
	global_load_dword v3, v[16:17], off
	s_waitcnt vmcnt(0)
	v_cvt_f64_f32_e32 v[10:11], v3
.LBB393_1633:
	s_mov_b64 s[0:1], 0
.LBB393_1634:
	s_andn2_b64 vcc, exec, s[0:1]
	s_cbranch_vccnz .LBB393_1636
; %bb.1635:
	global_load_ushort v3, v[16:17], off
	s_waitcnt vmcnt(0)
	v_cvt_f32_f16_e32 v3, v3
	v_cvt_f64_f32_e32 v[10:11], v3
.LBB393_1636:
	s_mov_b64 s[0:1], 0
.LBB393_1637:
	s_andn2_b64 vcc, exec, s[0:1]
	s_cbranch_vccnz .LBB393_1657
; %bb.1638:
	s_cmp_lt_i32 s6, 2
	s_cbranch_scc1 .LBB393_1642
; %bb.1639:
	s_cmp_lt_i32 s6, 3
	s_cbranch_scc1 .LBB393_1643
; %bb.1640:
	s_cmp_gt_i32 s6, 3
	s_cbranch_scc0 .LBB393_1644
; %bb.1641:
	global_load_dwordx2 v[10:11], v[16:17], off
	s_mov_b64 s[0:1], 0
	s_waitcnt vmcnt(0)
	v_cvt_f64_i32_e32 v[18:19], v11
	v_cvt_f64_u32_e32 v[10:11], v10
	v_ldexp_f64 v[18:19], v[18:19], 32
	v_add_f64 v[10:11], v[18:19], v[10:11]
	s_branch .LBB393_1645
.LBB393_1642:
	s_mov_b64 s[0:1], -1
                                        ; implicit-def: $vgpr10_vgpr11
	s_branch .LBB393_1651
.LBB393_1643:
	s_mov_b64 s[0:1], -1
                                        ; implicit-def: $vgpr10_vgpr11
	s_branch .LBB393_1648
.LBB393_1644:
	s_mov_b64 s[0:1], -1
                                        ; implicit-def: $vgpr10_vgpr11
.LBB393_1645:
	s_andn2_b64 vcc, exec, s[0:1]
	s_cbranch_vccnz .LBB393_1647
; %bb.1646:
	global_load_dword v3, v[16:17], off
	s_waitcnt vmcnt(0)
	v_cvt_f64_i32_e32 v[10:11], v3
.LBB393_1647:
	s_mov_b64 s[0:1], 0
.LBB393_1648:
	s_andn2_b64 vcc, exec, s[0:1]
	s_cbranch_vccnz .LBB393_1650
; %bb.1649:
	global_load_sshort v3, v[16:17], off
	s_waitcnt vmcnt(0)
	v_cvt_f64_i32_e32 v[10:11], v3
.LBB393_1650:
	s_mov_b64 s[0:1], 0
.LBB393_1651:
	s_andn2_b64 vcc, exec, s[0:1]
	s_cbranch_vccnz .LBB393_1657
; %bb.1652:
	s_cmp_gt_i32 s6, 0
	s_cbranch_scc0 .LBB393_1654
; %bb.1653:
	global_load_sbyte v3, v[16:17], off
	s_mov_b64 s[0:1], 0
	s_waitcnt vmcnt(0)
	v_cvt_f64_i32_e32 v[10:11], v3
	s_branch .LBB393_1655
.LBB393_1654:
	s_mov_b64 s[0:1], -1
                                        ; implicit-def: $vgpr10_vgpr11
.LBB393_1655:
	s_andn2_b64 vcc, exec, s[0:1]
	s_cbranch_vccnz .LBB393_1657
; %bb.1656:
	global_load_ubyte v3, v[16:17], off
	s_waitcnt vmcnt(0)
	v_cvt_f64_u32_e32 v[10:11], v3
.LBB393_1657:
	s_mov_b64 s[8:9], -1
.LBB393_1658:
	s_andn2_b64 vcc, exec, s[8:9]
	s_cbranch_vccnz .LBB393_2092
; %bb.1659:
	s_load_dword s6, s[34:35], 0x160
	s_load_dwordx2 s[0:1], s[34:35], 0x158
	s_waitcnt vmcnt(0)
	v_max_f64 v[18:19], v[0:1], v[0:1]
	v_cmp_u_f64_e32 vcc, v[0:1], v[0:1]
	v_mov_b32_e32 v3, 0
	s_waitcnt lgkmcnt(0)
	s_and_b32 s14, s6, 0xff
	v_max_f64 v[16:17], s[0:1], s[0:1]
	v_max_f64 v[18:19], v[18:19], v[16:17]
	v_cndmask_b32_e32 v1, v19, v1, vcc
	v_cndmask_b32_e32 v0, v18, v0, vcc
	s_cmp_lt_i32 s14, 11
	v_lshl_add_u64 v[18:19], s[4:5], 0, v[2:3]
	s_cbranch_scc1 .LBB393_1737
; %bb.1660:
	s_and_b32 s15, 0xffff, s14
	s_mov_b64 s[10:11], -1
	s_mov_b64 s[6:7], 0
	s_cmp_gt_i32 s15, 25
	s_mov_b64 s[8:9], 0
	s_mov_b64 s[0:1], 0
	s_cbranch_scc0 .LBB393_1693
; %bb.1661:
	s_cmp_gt_i32 s15, 28
	s_cbranch_scc0 .LBB393_1676
; %bb.1662:
	s_cmp_gt_i32 s15, 43
	s_cbranch_scc0 .LBB393_1672
; %bb.1663:
	s_cmp_gt_i32 s15, 45
	s_cbranch_scc0 .LBB393_1666
; %bb.1664:
	s_mov_b64 s[0:1], -1
	s_mov_b64 s[10:11], 0
	s_cmp_eq_u32 s15, 46
	s_cbranch_scc0 .LBB393_1666
; %bb.1665:
	v_cvt_f32_f64_e32 v2, v[0:1]
	v_bfe_u32 v3, v2, 16, 1
	s_movk_i32 s0, 0x7fff
	v_add3_u32 v3, v2, v3, s0
	v_cmp_o_f32_e32 vcc, v2, v2
	v_mov_b32_e32 v2, 0x7fc0
	s_mov_b64 s[0:1], 0
	v_cndmask_b32_sdwa v2, v2, v3, vcc dst_sel:DWORD dst_unused:UNUSED_PAD src0_sel:DWORD src1_sel:WORD_1
	global_store_dword v[18:19], v2, off
	s_mov_b64 s[8:9], -1
.LBB393_1666:
	s_and_b64 vcc, exec, s[10:11]
	s_cbranch_vccz .LBB393_1671
; %bb.1667:
	s_cmp_eq_u32 s15, 44
	s_mov_b64 s[0:1], -1
	s_cbranch_scc0 .LBB393_1671
; %bb.1668:
	v_cvt_f32_f64_e32 v2, v[0:1]
	v_bfe_u32 v3, v2, 23, 8
	s_movk_i32 s0, 0xff
	v_cmp_ne_u32_e32 vcc, s0, v3
	v_mov_b32_e32 v5, 0xff
	s_and_saveexec_b64 s[8:9], vcc
; %bb.1669:
	s_mov_b32 s0, 0x3fffff
	v_lshrrev_b32_e32 v5, 23, v2
	v_and_b32_e32 v7, 0x400000, v2
	v_and_or_b32 v2, v2, s0, v3
	v_cmp_ne_u32_e32 vcc, 0, v7
	v_cmp_ne_u32_e64 s[0:1], 0, v2
	s_and_b64 s[0:1], vcc, s[0:1]
	s_nop 0
	v_cndmask_b32_e64 v2, 0, 1, s[0:1]
	v_add_u32_e32 v5, v5, v2
; %bb.1670:
	s_or_b64 exec, exec, s[8:9]
	s_mov_b64 s[0:1], 0
	s_mov_b64 s[8:9], -1
	global_store_byte v[18:19], v5, off
.LBB393_1671:
	s_mov_b64 s[10:11], 0
.LBB393_1672:
	s_and_b64 vcc, exec, s[10:11]
	s_cbranch_vccz .LBB393_1675
; %bb.1673:
	s_cmp_eq_u32 s15, 29
	s_mov_b64 s[0:1], -1
	s_cbranch_scc0 .LBB393_1675
; %bb.1674:
	v_trunc_f64_e32 v[2:3], v[0:1]
	s_movk_i32 s0, 0xffe0
	v_ldexp_f64 v[20:21], v[2:3], s0
	v_floor_f64_e32 v[20:21], v[20:21]
	v_fmac_f64_e32 v[2:3], 0xc1f00000, v[20:21]
	v_cvt_u32_f64_e32 v23, v[20:21]
	v_cvt_u32_f64_e32 v22, v[2:3]
	global_store_dwordx2 v[18:19], v[22:23], off
	s_mov_b64 s[0:1], 0
	s_mov_b64 s[8:9], -1
.LBB393_1675:
	s_mov_b64 s[10:11], 0
.LBB393_1676:
	s_and_b64 vcc, exec, s[10:11]
	s_cbranch_vccz .LBB393_1692
; %bb.1677:
	s_cmp_lt_i32 s15, 27
	s_mov_b64 s[8:9], -1
	s_cbranch_scc1 .LBB393_1683
; %bb.1678:
	s_cmp_gt_i32 s15, 27
	v_cvt_u32_f64_e32 v2, v[0:1]
	s_cbranch_scc0 .LBB393_1680
; %bb.1679:
	s_mov_b64 s[8:9], 0
	global_store_dword v[18:19], v2, off
.LBB393_1680:
	s_andn2_b64 vcc, exec, s[8:9]
	s_cbranch_vccnz .LBB393_1682
; %bb.1681:
	global_store_short v[18:19], v2, off
.LBB393_1682:
	s_mov_b64 s[8:9], 0
.LBB393_1683:
	s_andn2_b64 vcc, exec, s[8:9]
	s_cbranch_vccnz .LBB393_1691
; %bb.1684:
	v_cvt_f32_f64_e32 v2, v[0:1]
	v_and_b32_e32 v3, 0x7fffffff, v2
	s_mov_b32 s8, 0x43800000
	v_cmp_gt_u32_e32 vcc, s8, v3
	v_mov_b32_e32 v5, 0x80
	s_and_saveexec_b64 s[8:9], vcc
	s_cbranch_execz .LBB393_1690
; %bb.1685:
	s_mov_b32 s10, 0x3bffffff
	v_cmp_lt_u32_e32 vcc, s10, v3
	s_mov_b64 s[10:11], 0
                                        ; implicit-def: $vgpr3
	s_and_saveexec_b64 s[12:13], vcc
	s_xor_b64 s[12:13], exec, s[12:13]
	s_cbranch_execz .LBB393_2139
; %bb.1686:
	v_bfe_u32 v3, v2, 20, 1
	s_mov_b32 s16, 0x487ffff
	v_add3_u32 v3, v2, v3, s16
	s_mov_b64 s[10:11], exec
	v_lshrrev_b32_e32 v3, 20, v3
	s_andn2_saveexec_b64 s[12:13], s[12:13]
	s_cbranch_execnz .LBB393_2140
.LBB393_1687:
	s_or_b64 exec, exec, s[12:13]
	v_mov_b32_e32 v5, 0
	s_and_saveexec_b64 s[12:13], s[10:11]
.LBB393_1688:
	v_lshrrev_b32_e32 v2, 24, v2
	s_movk_i32 s10, 0x80
	v_and_or_b32 v5, v2, s10, v3
.LBB393_1689:
	s_or_b64 exec, exec, s[12:13]
.LBB393_1690:
	s_or_b64 exec, exec, s[8:9]
	global_store_byte v[18:19], v5, off
.LBB393_1691:
	s_mov_b64 s[8:9], -1
.LBB393_1692:
	s_mov_b64 s[10:11], 0
.LBB393_1693:
	s_and_b64 vcc, exec, s[10:11]
	s_cbranch_vccz .LBB393_1733
; %bb.1694:
	s_cmp_gt_i32 s15, 22
	s_mov_b64 s[6:7], -1
	s_cbranch_scc0 .LBB393_1726
; %bb.1695:
	s_cmp_lt_i32 s15, 24
	s_cbranch_scc1 .LBB393_1715
; %bb.1696:
	s_cmp_gt_i32 s15, 24
	s_cbranch_scc0 .LBB393_1704
; %bb.1697:
	v_cvt_f32_f64_e32 v2, v[0:1]
	v_and_b32_e32 v3, 0x7fffffff, v2
	s_mov_b32 s6, 0x47800000
	v_cmp_gt_u32_e32 vcc, s6, v3
	v_mov_b32_e32 v5, 0x80
	s_and_saveexec_b64 s[6:7], vcc
	s_cbranch_execz .LBB393_1703
; %bb.1698:
	s_mov_b32 s8, 0x37ffffff
	v_cmp_lt_u32_e32 vcc, s8, v3
	s_mov_b64 s[8:9], 0
                                        ; implicit-def: $vgpr3
	s_and_saveexec_b64 s[10:11], vcc
	s_xor_b64 s[10:11], exec, s[10:11]
	s_cbranch_execz .LBB393_2142
; %bb.1699:
	v_bfe_u32 v3, v2, 21, 1
	s_mov_b32 s12, 0x88fffff
	v_add3_u32 v3, v2, v3, s12
	s_mov_b64 s[8:9], exec
	v_lshrrev_b32_e32 v3, 21, v3
	s_andn2_saveexec_b64 s[10:11], s[10:11]
	s_cbranch_execnz .LBB393_2143
.LBB393_1700:
	s_or_b64 exec, exec, s[10:11]
	v_mov_b32_e32 v5, 0
	s_and_saveexec_b64 s[10:11], s[8:9]
.LBB393_1701:
	v_lshrrev_b32_e32 v2, 24, v2
	s_movk_i32 s8, 0x80
	v_and_or_b32 v5, v2, s8, v3
.LBB393_1702:
	s_or_b64 exec, exec, s[10:11]
.LBB393_1703:
	s_or_b64 exec, exec, s[6:7]
	s_mov_b64 s[6:7], 0
	global_store_byte v[18:19], v5, off
.LBB393_1704:
	s_and_b64 vcc, exec, s[6:7]
	s_cbranch_vccz .LBB393_1714
; %bb.1705:
	v_cvt_f32_f64_e32 v2, v[0:1]
	v_and_b32_e32 v5, 0x7fffffff, v2
	s_mov_b32 s6, 0x43f00000
	v_cmp_gt_u32_e32 vcc, s6, v5
                                        ; implicit-def: $vgpr3
	s_and_saveexec_b64 s[6:7], vcc
	s_xor_b64 s[6:7], exec, s[6:7]
	s_cbranch_execz .LBB393_1711
; %bb.1706:
	s_mov_b32 s8, 0x3c7fffff
	v_cmp_lt_u32_e32 vcc, s8, v5
                                        ; implicit-def: $vgpr3
	s_and_saveexec_b64 s[8:9], vcc
	s_xor_b64 s[8:9], exec, s[8:9]
; %bb.1707:
	v_bfe_u32 v3, v2, 20, 1
	s_mov_b32 s10, 0x407ffff
	v_add3_u32 v3, v2, v3, s10
	v_lshrrev_b32_e32 v5, 20, v3
	v_and_b32_e32 v3, 0xff00000, v3
	s_mov_b32 s10, 0x7f00000
	v_mov_b32_e32 v7, 0x7e
	v_cmp_ne_u32_e32 vcc, s10, v3
	s_nop 1
	v_cndmask_b32_e32 v3, v7, v5, vcc
; %bb.1708:
	s_andn2_saveexec_b64 s[8:9], s[8:9]
; %bb.1709:
	s_mov_b32 s10, 0x46800000
	v_add_f32_e64 v3, |v2|, s10
; %bb.1710:
	s_or_b64 exec, exec, s[8:9]
                                        ; implicit-def: $vgpr5
.LBB393_1711:
	s_andn2_saveexec_b64 s[6:7], s[6:7]
; %bb.1712:
	s_mov_b32 s8, 0x7f800000
	v_mov_b32_e32 v3, 0x7e
	v_mov_b32_e32 v7, 0x7f
	v_cmp_lt_u32_e32 vcc, s8, v5
	s_nop 1
	v_cndmask_b32_e32 v3, v3, v7, vcc
; %bb.1713:
	s_or_b64 exec, exec, s[6:7]
	v_lshrrev_b32_e32 v2, 24, v2
	s_movk_i32 s6, 0x80
	v_and_or_b32 v2, v2, s6, v3
	global_store_byte v[18:19], v2, off
.LBB393_1714:
	s_mov_b64 s[6:7], 0
.LBB393_1715:
	s_andn2_b64 vcc, exec, s[6:7]
	s_cbranch_vccnz .LBB393_1725
; %bb.1716:
	v_cvt_f32_f64_e32 v2, v[0:1]
	v_and_b32_e32 v5, 0x7fffffff, v2
	s_mov_b32 s6, 0x47800000
	v_cmp_gt_u32_e32 vcc, s6, v5
                                        ; implicit-def: $vgpr3
	s_and_saveexec_b64 s[6:7], vcc
	s_xor_b64 s[6:7], exec, s[6:7]
	s_cbranch_execz .LBB393_1722
; %bb.1717:
	s_mov_b32 s8, 0x387fffff
	v_cmp_lt_u32_e32 vcc, s8, v5
                                        ; implicit-def: $vgpr3
	s_and_saveexec_b64 s[8:9], vcc
	s_xor_b64 s[8:9], exec, s[8:9]
; %bb.1718:
	v_bfe_u32 v3, v2, 21, 1
	s_mov_b32 s10, 0x80fffff
	v_add3_u32 v3, v2, v3, s10
	v_lshrrev_b32_e32 v3, 21, v3
; %bb.1719:
	s_andn2_saveexec_b64 s[8:9], s[8:9]
; %bb.1720:
	s_mov_b32 s10, 0x43000000
	v_add_f32_e64 v3, |v2|, s10
; %bb.1721:
	s_or_b64 exec, exec, s[8:9]
                                        ; implicit-def: $vgpr5
.LBB393_1722:
	s_andn2_saveexec_b64 s[6:7], s[6:7]
; %bb.1723:
	s_mov_b32 s8, 0x7f800000
	v_mov_b32_e32 v3, 0x7c
	v_mov_b32_e32 v7, 0x7f
	v_cmp_lt_u32_e32 vcc, s8, v5
	s_nop 1
	v_cndmask_b32_e32 v3, v3, v7, vcc
; %bb.1724:
	s_or_b64 exec, exec, s[6:7]
	v_lshrrev_b32_e32 v2, 24, v2
	s_movk_i32 s6, 0x80
	v_and_or_b32 v2, v2, s6, v3
	global_store_byte v[18:19], v2, off
.LBB393_1725:
	s_mov_b64 s[6:7], 0
	s_mov_b64 s[8:9], -1
.LBB393_1726:
	s_andn2_b64 vcc, exec, s[6:7]
	s_mov_b64 s[6:7], 0
	s_cbranch_vccnz .LBB393_1733
; %bb.1727:
	s_cmp_gt_i32 s15, 14
	s_mov_b64 s[10:11], -1
	s_cbranch_scc0 .LBB393_1731
; %bb.1728:
	s_cmp_eq_u32 s15, 15
	s_mov_b64 s[0:1], -1
	s_cbranch_scc0 .LBB393_1730
; %bb.1729:
	v_cvt_f32_f64_e32 v2, v[0:1]
	v_bfe_u32 v3, v2, 16, 1
	s_movk_i32 s0, 0x7fff
	v_add3_u32 v3, v2, v3, s0
	v_cmp_o_f32_e32 vcc, v2, v2
	v_mov_b32_e32 v2, 0x7fc0
	s_mov_b64 s[0:1], 0
	v_cndmask_b32_sdwa v2, v2, v3, vcc dst_sel:DWORD dst_unused:UNUSED_PAD src0_sel:DWORD src1_sel:WORD_1
	global_store_short v[18:19], v2, off
	s_mov_b64 s[8:9], -1
.LBB393_1730:
	s_mov_b64 s[10:11], 0
.LBB393_1731:
	s_and_b64 vcc, exec, s[10:11]
	s_cbranch_vccz .LBB393_1733
; %bb.1732:
	s_cmp_lg_u32 s15, 11
	s_mov_b64 s[6:7], -1
	s_cselect_b64 s[0:1], -1, 0
.LBB393_1733:
	s_and_b64 vcc, exec, s[0:1]
	s_cbranch_vccnz .LBB393_2141
; %bb.1734:
	s_andn2_b64 vcc, exec, s[6:7]
	s_cbranch_vccnz .LBB393_1736
.LBB393_1735:
	v_cmp_neq_f64_e32 vcc, 0, v[0:1]
	s_mov_b64 s[8:9], -1
	s_nop 0
	v_cndmask_b32_e64 v2, 0, 1, vcc
	global_store_byte v[18:19], v2, off
.LBB393_1736:
	s_mov_b64 s[0:1], 0
	s_branch .LBB393_1738
.LBB393_1737:
	s_mov_b64 s[0:1], -1
	s_mov_b64 s[8:9], 0
.LBB393_1738:
	s_and_b64 vcc, exec, s[0:1]
	s_cbranch_vccz .LBB393_1777
; %bb.1739:
	s_and_b32 s6, 0xffff, s14
	s_cmp_lt_i32 s6, 5
	s_mov_b64 s[0:1], -1
	s_cbranch_scc1 .LBB393_1760
; %bb.1740:
	s_cmp_lt_i32 s6, 8
	s_cbranch_scc1 .LBB393_1750
; %bb.1741:
	s_cmp_lt_i32 s6, 9
	s_cbranch_scc1 .LBB393_1747
; %bb.1742:
	s_cmp_gt_i32 s6, 9
	s_cbranch_scc0 .LBB393_1744
; %bb.1743:
	v_mov_b32_e32 v2, 0
	v_mov_b32_e32 v3, v2
	global_store_dwordx4 v[18:19], v[0:3], off
	s_mov_b64 s[0:1], 0
.LBB393_1744:
	s_andn2_b64 vcc, exec, s[0:1]
	s_cbranch_vccnz .LBB393_1746
; %bb.1745:
	v_cvt_f32_f64_e32 v2, v[0:1]
	v_mov_b32_e32 v3, 0
	global_store_dwordx2 v[18:19], v[2:3], off
.LBB393_1746:
	s_mov_b64 s[0:1], 0
.LBB393_1747:
	s_andn2_b64 vcc, exec, s[0:1]
	s_cbranch_vccnz .LBB393_1749
; %bb.1748:
	s_movk_i32 s0, 0x1ff
	v_and_or_b32 v2, v1, s0, v0
	v_cmp_ne_u32_e32 vcc, 0, v2
	v_lshrrev_b32_e32 v3, 8, v1
	s_movk_i32 s0, 0xffe
	v_cndmask_b32_e64 v2, 0, 1, vcc
	v_bfe_u32 v5, v1, 20, 11
	v_and_or_b32 v2, v3, s0, v2
	v_sub_u32_e32 v7, 0x3f1, v5
	v_or_b32_e32 v3, 0x1000, v2
	v_med3_i32 v7, v7, 0, 13
	v_lshrrev_b32_e32 v9, v7, v3
	v_lshlrev_b32_e32 v7, v7, v9
	v_cmp_ne_u32_e32 vcc, v7, v3
	v_add_u32_e32 v5, 0xfffffc10, v5
	v_lshl_or_b32 v7, v5, 12, v2
	v_cndmask_b32_e64 v3, 0, 1, vcc
	v_or_b32_e32 v3, v9, v3
	v_cmp_gt_i32_e32 vcc, 1, v5
	s_movk_i32 s0, 0x40f
	s_nop 0
	v_cndmask_b32_e32 v3, v7, v3, vcc
	v_and_b32_e32 v7, 7, v3
	v_cmp_lt_i32_e32 vcc, 5, v7
	v_lshrrev_b32_e32 v3, 2, v3
	s_nop 0
	v_cndmask_b32_e64 v9, 0, 1, vcc
	v_cmp_eq_u32_e32 vcc, 3, v7
	s_nop 1
	v_cndmask_b32_e64 v7, 0, 1, vcc
	v_or_b32_e32 v7, v7, v9
	v_add_u32_e32 v3, v3, v7
	v_mov_b32_e32 v7, 0x7c00
	v_cmp_gt_i32_e32 vcc, 31, v5
	v_mov_b32_e32 v9, 0x7e00
	s_nop 0
	v_cndmask_b32_e32 v3, v7, v3, vcc
	v_cmp_ne_u32_e32 vcc, 0, v2
	s_nop 1
	v_cndmask_b32_e32 v2, v7, v9, vcc
	v_cmp_eq_u32_e32 vcc, s0, v5
	s_mov_b32 s0, 0x8000
	s_nop 0
	v_cndmask_b32_e32 v2, v3, v2, vcc
	v_and_b32_sdwa v3, v1, s0 dst_sel:DWORD dst_unused:UNUSED_PAD src0_sel:WORD_1 src1_sel:DWORD
	s_mov_b32 s0, 0xffff
	v_bitop3_b32 v2, v3, s0, v2 bitop3:0xc8
	global_store_dword v[18:19], v2, off
.LBB393_1749:
	s_mov_b64 s[0:1], 0
.LBB393_1750:
	s_andn2_b64 vcc, exec, s[0:1]
	s_cbranch_vccnz .LBB393_1759
; %bb.1751:
	s_cmp_lt_i32 s6, 6
	s_mov_b64 s[0:1], -1
	s_cbranch_scc1 .LBB393_1757
; %bb.1752:
	s_cmp_gt_i32 s6, 6
	s_cbranch_scc0 .LBB393_1754
; %bb.1753:
	global_store_dwordx2 v[18:19], v[0:1], off
	s_mov_b64 s[0:1], 0
.LBB393_1754:
	s_andn2_b64 vcc, exec, s[0:1]
	s_cbranch_vccnz .LBB393_1756
; %bb.1755:
	v_cvt_f32_f64_e32 v2, v[0:1]
	global_store_dword v[18:19], v2, off
.LBB393_1756:
	s_mov_b64 s[0:1], 0
.LBB393_1757:
	s_andn2_b64 vcc, exec, s[0:1]
	s_cbranch_vccnz .LBB393_1759
; %bb.1758:
	s_movk_i32 s0, 0x1ff
	v_and_or_b32 v2, v1, s0, v0
	v_cmp_ne_u32_e32 vcc, 0, v2
	v_lshrrev_b32_e32 v3, 8, v1
	s_movk_i32 s0, 0xffe
	v_cndmask_b32_e64 v2, 0, 1, vcc
	v_bfe_u32 v5, v1, 20, 11
	v_and_or_b32 v2, v3, s0, v2
	v_sub_u32_e32 v7, 0x3f1, v5
	v_or_b32_e32 v3, 0x1000, v2
	v_med3_i32 v7, v7, 0, 13
	v_lshrrev_b32_e32 v9, v7, v3
	v_lshlrev_b32_e32 v7, v7, v9
	v_cmp_ne_u32_e32 vcc, v7, v3
	v_add_u32_e32 v5, 0xfffffc10, v5
	v_lshl_or_b32 v7, v5, 12, v2
	v_cndmask_b32_e64 v3, 0, 1, vcc
	v_or_b32_e32 v3, v9, v3
	v_cmp_gt_i32_e32 vcc, 1, v5
	s_movk_i32 s0, 0x40f
	s_nop 0
	v_cndmask_b32_e32 v3, v7, v3, vcc
	v_and_b32_e32 v7, 7, v3
	v_cmp_lt_i32_e32 vcc, 5, v7
	v_lshrrev_b32_e32 v3, 2, v3
	s_nop 0
	v_cndmask_b32_e64 v9, 0, 1, vcc
	v_cmp_eq_u32_e32 vcc, 3, v7
	s_nop 1
	v_cndmask_b32_e64 v7, 0, 1, vcc
	v_or_b32_e32 v7, v7, v9
	v_add_u32_e32 v3, v3, v7
	v_mov_b32_e32 v7, 0x7c00
	v_cmp_gt_i32_e32 vcc, 31, v5
	v_mov_b32_e32 v9, 0x7e00
	s_nop 0
	v_cndmask_b32_e32 v3, v7, v3, vcc
	v_cmp_ne_u32_e32 vcc, 0, v2
	s_nop 1
	v_cndmask_b32_e32 v2, v7, v9, vcc
	v_cmp_eq_u32_e32 vcc, s0, v5
	s_mov_b32 s0, 0x8000
	s_nop 0
	v_cndmask_b32_e32 v2, v3, v2, vcc
	v_lshrrev_b32_e32 v3, 16, v1
	v_and_or_b32 v2, v3, s0, v2
	global_store_short v[18:19], v2, off
.LBB393_1759:
	s_mov_b64 s[0:1], 0
.LBB393_1760:
	s_andn2_b64 vcc, exec, s[0:1]
	s_cbranch_vccnz .LBB393_1776
; %bb.1761:
	s_cmp_lt_i32 s6, 2
	s_mov_b64 s[0:1], -1
	s_cbranch_scc1 .LBB393_1771
; %bb.1762:
	s_cmp_lt_i32 s6, 3
	s_cbranch_scc1 .LBB393_1768
; %bb.1763:
	s_cmp_gt_i32 s6, 3
	s_cbranch_scc0 .LBB393_1765
; %bb.1764:
	v_trunc_f64_e32 v[2:3], v[0:1]
	s_movk_i32 s0, 0xffe0
	v_ldexp_f64 v[20:21], v[2:3], s0
	v_floor_f64_e32 v[20:21], v[20:21]
	v_fmac_f64_e32 v[2:3], 0xc1f00000, v[20:21]
	v_cvt_i32_f64_e32 v23, v[20:21]
	v_cvt_u32_f64_e32 v22, v[2:3]
	global_store_dwordx2 v[18:19], v[22:23], off
	s_mov_b64 s[0:1], 0
.LBB393_1765:
	s_andn2_b64 vcc, exec, s[0:1]
	s_cbranch_vccnz .LBB393_1767
; %bb.1766:
	v_cvt_i32_f64_e32 v2, v[0:1]
	global_store_dword v[18:19], v2, off
.LBB393_1767:
	s_mov_b64 s[0:1], 0
.LBB393_1768:
	s_andn2_b64 vcc, exec, s[0:1]
	s_cbranch_vccnz .LBB393_1770
; %bb.1769:
	v_cvt_i32_f64_e32 v2, v[0:1]
	global_store_short v[18:19], v2, off
.LBB393_1770:
	s_mov_b64 s[0:1], 0
.LBB393_1771:
	s_andn2_b64 vcc, exec, s[0:1]
	s_cbranch_vccnz .LBB393_1776
; %bb.1772:
	s_cmp_gt_i32 s6, 0
	s_mov_b64 s[0:1], -1
	s_cbranch_scc0 .LBB393_1774
; %bb.1773:
	v_cvt_i32_f64_e32 v2, v[0:1]
	global_store_byte v[18:19], v2, off
	s_mov_b64 s[0:1], 0
.LBB393_1774:
	s_andn2_b64 vcc, exec, s[0:1]
	s_cbranch_vccnz .LBB393_1776
; %bb.1775:
	v_trunc_f64_e32 v[0:1], v[0:1]
	s_movk_i32 s0, 0xffe0
	v_ldexp_f64 v[2:3], v[0:1], s0
	v_floor_f64_e32 v[2:3], v[2:3]
	v_fmac_f64_e32 v[0:1], 0xc1f00000, v[2:3]
	v_cvt_u32_f64_e32 v0, v[0:1]
	global_store_byte v[18:19], v0, off
.LBB393_1776:
	s_mov_b64 s[8:9], -1
.LBB393_1777:
	s_andn2_b64 vcc, exec, s[8:9]
	s_cbranch_vccnz .LBB393_2092
; %bb.1778:
	v_max_f64 v[0:1], v[14:15], v[14:15]
	v_max_f64 v[0:1], v[0:1], v[16:17]
	v_cmp_u_f64_e32 vcc, v[14:15], v[14:15]
	v_mov_b32_e32 v9, 0
	s_and_b32 s15, 0xffff, s14
	v_cndmask_b32_e32 v1, v1, v15, vcc
	v_cndmask_b32_e32 v0, v0, v14, vcc
	s_cmp_lt_i32 s15, 11
	v_lshl_add_u64 v[8:9], s[4:5], 0, v[8:9]
	s_cbranch_scc1 .LBB393_1856
; %bb.1779:
	s_mov_b64 s[10:11], -1
	s_mov_b64 s[6:7], 0
	s_cmp_gt_i32 s15, 25
	s_mov_b64 s[8:9], 0
	s_mov_b64 s[0:1], 0
	s_cbranch_scc0 .LBB393_1812
; %bb.1780:
	s_cmp_gt_i32 s15, 28
	s_cbranch_scc0 .LBB393_1795
; %bb.1781:
	s_cmp_gt_i32 s15, 43
	;; [unrolled: 3-line block ×3, first 2 shown]
	s_cbranch_scc0 .LBB393_1785
; %bb.1783:
	s_mov_b64 s[0:1], -1
	s_mov_b64 s[10:11], 0
	s_cmp_eq_u32 s15, 46
	s_cbranch_scc0 .LBB393_1785
; %bb.1784:
	v_cvt_f32_f64_e32 v2, v[0:1]
	v_bfe_u32 v3, v2, 16, 1
	s_movk_i32 s0, 0x7fff
	v_add3_u32 v3, v2, v3, s0
	v_cmp_o_f32_e32 vcc, v2, v2
	v_mov_b32_e32 v2, 0x7fc0
	s_mov_b64 s[0:1], 0
	v_cndmask_b32_sdwa v2, v2, v3, vcc dst_sel:DWORD dst_unused:UNUSED_PAD src0_sel:DWORD src1_sel:WORD_1
	global_store_dword v[8:9], v2, off
	s_mov_b64 s[8:9], -1
.LBB393_1785:
	s_and_b64 vcc, exec, s[10:11]
	s_cbranch_vccz .LBB393_1790
; %bb.1786:
	s_cmp_eq_u32 s15, 44
	s_mov_b64 s[0:1], -1
	s_cbranch_scc0 .LBB393_1790
; %bb.1787:
	v_cvt_f32_f64_e32 v2, v[0:1]
	v_bfe_u32 v3, v2, 23, 8
	s_movk_i32 s0, 0xff
	v_cmp_ne_u32_e32 vcc, s0, v3
	v_mov_b32_e32 v5, 0xff
	s_and_saveexec_b64 s[8:9], vcc
; %bb.1788:
	s_mov_b32 s0, 0x3fffff
	v_lshrrev_b32_e32 v5, 23, v2
	v_and_b32_e32 v7, 0x400000, v2
	v_and_or_b32 v2, v2, s0, v3
	v_cmp_ne_u32_e32 vcc, 0, v7
	v_cmp_ne_u32_e64 s[0:1], 0, v2
	s_and_b64 s[0:1], vcc, s[0:1]
	s_nop 0
	v_cndmask_b32_e64 v2, 0, 1, s[0:1]
	v_add_u32_e32 v5, v5, v2
; %bb.1789:
	s_or_b64 exec, exec, s[8:9]
	s_mov_b64 s[0:1], 0
	s_mov_b64 s[8:9], -1
	global_store_byte v[8:9], v5, off
.LBB393_1790:
	s_mov_b64 s[10:11], 0
.LBB393_1791:
	s_and_b64 vcc, exec, s[10:11]
	s_cbranch_vccz .LBB393_1794
; %bb.1792:
	s_cmp_eq_u32 s15, 29
	s_mov_b64 s[0:1], -1
	s_cbranch_scc0 .LBB393_1794
; %bb.1793:
	v_trunc_f64_e32 v[2:3], v[0:1]
	s_movk_i32 s0, 0xffe0
	v_ldexp_f64 v[14:15], v[2:3], s0
	v_floor_f64_e32 v[14:15], v[14:15]
	v_fmac_f64_e32 v[2:3], 0xc1f00000, v[14:15]
	v_cvt_u32_f64_e32 v19, v[14:15]
	v_cvt_u32_f64_e32 v18, v[2:3]
	global_store_dwordx2 v[8:9], v[18:19], off
	s_mov_b64 s[0:1], 0
	s_mov_b64 s[8:9], -1
.LBB393_1794:
	s_mov_b64 s[10:11], 0
.LBB393_1795:
	s_and_b64 vcc, exec, s[10:11]
	s_cbranch_vccz .LBB393_1811
; %bb.1796:
	s_cmp_lt_i32 s15, 27
	s_mov_b64 s[8:9], -1
	s_cbranch_scc1 .LBB393_1802
; %bb.1797:
	s_cmp_gt_i32 s15, 27
	s_cbranch_scc0 .LBB393_1799
; %bb.1798:
	v_cvt_u32_f64_e32 v2, v[0:1]
	s_mov_b64 s[8:9], 0
	global_store_dword v[8:9], v2, off
.LBB393_1799:
	s_andn2_b64 vcc, exec, s[8:9]
	s_cbranch_vccnz .LBB393_1801
; %bb.1800:
	v_cvt_u32_f64_e32 v2, v[0:1]
	global_store_short v[8:9], v2, off
.LBB393_1801:
	s_mov_b64 s[8:9], 0
.LBB393_1802:
	s_andn2_b64 vcc, exec, s[8:9]
	s_cbranch_vccnz .LBB393_1810
; %bb.1803:
	v_cvt_f32_f64_e32 v2, v[0:1]
	v_and_b32_e32 v3, 0x7fffffff, v2
	s_mov_b32 s8, 0x43800000
	v_cmp_gt_u32_e32 vcc, s8, v3
	v_mov_b32_e32 v5, 0x80
	s_and_saveexec_b64 s[8:9], vcc
	s_cbranch_execz .LBB393_1809
; %bb.1804:
	s_mov_b32 s10, 0x3bffffff
	v_cmp_lt_u32_e32 vcc, s10, v3
	s_mov_b64 s[10:11], 0
                                        ; implicit-def: $vgpr3
	s_and_saveexec_b64 s[12:13], vcc
	s_xor_b64 s[12:13], exec, s[12:13]
	s_cbranch_execz .LBB393_2144
; %bb.1805:
	v_bfe_u32 v3, v2, 20, 1
	s_mov_b32 s16, 0x487ffff
	v_add3_u32 v3, v2, v3, s16
	s_mov_b64 s[10:11], exec
	v_lshrrev_b32_e32 v3, 20, v3
	s_andn2_saveexec_b64 s[12:13], s[12:13]
	s_cbranch_execnz .LBB393_2145
.LBB393_1806:
	s_or_b64 exec, exec, s[12:13]
	v_mov_b32_e32 v5, 0
	s_and_saveexec_b64 s[12:13], s[10:11]
.LBB393_1807:
	v_lshrrev_b32_e32 v2, 24, v2
	s_movk_i32 s10, 0x80
	v_and_or_b32 v5, v2, s10, v3
.LBB393_1808:
	s_or_b64 exec, exec, s[12:13]
.LBB393_1809:
	s_or_b64 exec, exec, s[8:9]
	global_store_byte v[8:9], v5, off
.LBB393_1810:
	s_mov_b64 s[8:9], -1
.LBB393_1811:
	s_mov_b64 s[10:11], 0
.LBB393_1812:
	s_and_b64 vcc, exec, s[10:11]
	s_cbranch_vccz .LBB393_1852
; %bb.1813:
	s_cmp_gt_i32 s15, 22
	s_mov_b64 s[6:7], -1
	s_cbranch_scc0 .LBB393_1845
; %bb.1814:
	s_cmp_lt_i32 s15, 24
	s_cbranch_scc1 .LBB393_1834
; %bb.1815:
	s_cmp_gt_i32 s15, 24
	s_cbranch_scc0 .LBB393_1823
; %bb.1816:
	v_cvt_f32_f64_e32 v2, v[0:1]
	v_and_b32_e32 v3, 0x7fffffff, v2
	s_mov_b32 s6, 0x47800000
	v_cmp_gt_u32_e32 vcc, s6, v3
	v_mov_b32_e32 v5, 0x80
	s_and_saveexec_b64 s[6:7], vcc
	s_cbranch_execz .LBB393_1822
; %bb.1817:
	s_mov_b32 s8, 0x37ffffff
	v_cmp_lt_u32_e32 vcc, s8, v3
	s_mov_b64 s[8:9], 0
                                        ; implicit-def: $vgpr3
	s_and_saveexec_b64 s[10:11], vcc
	s_xor_b64 s[10:11], exec, s[10:11]
	s_cbranch_execz .LBB393_2147
; %bb.1818:
	v_bfe_u32 v3, v2, 21, 1
	s_mov_b32 s12, 0x88fffff
	v_add3_u32 v3, v2, v3, s12
	s_mov_b64 s[8:9], exec
	v_lshrrev_b32_e32 v3, 21, v3
	s_andn2_saveexec_b64 s[10:11], s[10:11]
	s_cbranch_execnz .LBB393_2148
.LBB393_1819:
	s_or_b64 exec, exec, s[10:11]
	v_mov_b32_e32 v5, 0
	s_and_saveexec_b64 s[10:11], s[8:9]
.LBB393_1820:
	v_lshrrev_b32_e32 v2, 24, v2
	s_movk_i32 s8, 0x80
	v_and_or_b32 v5, v2, s8, v3
.LBB393_1821:
	s_or_b64 exec, exec, s[10:11]
.LBB393_1822:
	s_or_b64 exec, exec, s[6:7]
	s_mov_b64 s[6:7], 0
	global_store_byte v[8:9], v5, off
.LBB393_1823:
	s_and_b64 vcc, exec, s[6:7]
	s_cbranch_vccz .LBB393_1833
; %bb.1824:
	v_cvt_f32_f64_e32 v2, v[0:1]
	v_and_b32_e32 v5, 0x7fffffff, v2
	s_mov_b32 s6, 0x43f00000
	v_cmp_gt_u32_e32 vcc, s6, v5
                                        ; implicit-def: $vgpr3
	s_and_saveexec_b64 s[6:7], vcc
	s_xor_b64 s[6:7], exec, s[6:7]
	s_cbranch_execz .LBB393_1830
; %bb.1825:
	s_mov_b32 s8, 0x3c7fffff
	v_cmp_lt_u32_e32 vcc, s8, v5
                                        ; implicit-def: $vgpr3
	s_and_saveexec_b64 s[8:9], vcc
	s_xor_b64 s[8:9], exec, s[8:9]
; %bb.1826:
	v_bfe_u32 v3, v2, 20, 1
	s_mov_b32 s10, 0x407ffff
	v_add3_u32 v3, v2, v3, s10
	v_lshrrev_b32_e32 v5, 20, v3
	v_and_b32_e32 v3, 0xff00000, v3
	s_mov_b32 s10, 0x7f00000
	v_mov_b32_e32 v7, 0x7e
	v_cmp_ne_u32_e32 vcc, s10, v3
	s_nop 1
	v_cndmask_b32_e32 v3, v7, v5, vcc
; %bb.1827:
	s_andn2_saveexec_b64 s[8:9], s[8:9]
; %bb.1828:
	s_mov_b32 s10, 0x46800000
	v_add_f32_e64 v3, |v2|, s10
; %bb.1829:
	s_or_b64 exec, exec, s[8:9]
                                        ; implicit-def: $vgpr5
.LBB393_1830:
	s_andn2_saveexec_b64 s[6:7], s[6:7]
; %bb.1831:
	s_mov_b32 s8, 0x7f800000
	v_mov_b32_e32 v3, 0x7e
	v_mov_b32_e32 v7, 0x7f
	v_cmp_lt_u32_e32 vcc, s8, v5
	s_nop 1
	v_cndmask_b32_e32 v3, v3, v7, vcc
; %bb.1832:
	s_or_b64 exec, exec, s[6:7]
	v_lshrrev_b32_e32 v2, 24, v2
	s_movk_i32 s6, 0x80
	v_and_or_b32 v2, v2, s6, v3
	global_store_byte v[8:9], v2, off
.LBB393_1833:
	s_mov_b64 s[6:7], 0
.LBB393_1834:
	s_andn2_b64 vcc, exec, s[6:7]
	s_cbranch_vccnz .LBB393_1844
; %bb.1835:
	v_cvt_f32_f64_e32 v2, v[0:1]
	v_and_b32_e32 v5, 0x7fffffff, v2
	s_mov_b32 s6, 0x47800000
	v_cmp_gt_u32_e32 vcc, s6, v5
                                        ; implicit-def: $vgpr3
	s_and_saveexec_b64 s[6:7], vcc
	s_xor_b64 s[6:7], exec, s[6:7]
	s_cbranch_execz .LBB393_1841
; %bb.1836:
	s_mov_b32 s8, 0x387fffff
	v_cmp_lt_u32_e32 vcc, s8, v5
                                        ; implicit-def: $vgpr3
	s_and_saveexec_b64 s[8:9], vcc
	s_xor_b64 s[8:9], exec, s[8:9]
; %bb.1837:
	v_bfe_u32 v3, v2, 21, 1
	s_mov_b32 s10, 0x80fffff
	v_add3_u32 v3, v2, v3, s10
	v_lshrrev_b32_e32 v3, 21, v3
; %bb.1838:
	s_andn2_saveexec_b64 s[8:9], s[8:9]
; %bb.1839:
	s_mov_b32 s10, 0x43000000
	v_add_f32_e64 v3, |v2|, s10
; %bb.1840:
	s_or_b64 exec, exec, s[8:9]
                                        ; implicit-def: $vgpr5
.LBB393_1841:
	s_andn2_saveexec_b64 s[6:7], s[6:7]
; %bb.1842:
	s_mov_b32 s8, 0x7f800000
	v_mov_b32_e32 v3, 0x7c
	v_mov_b32_e32 v7, 0x7f
	v_cmp_lt_u32_e32 vcc, s8, v5
	s_nop 1
	v_cndmask_b32_e32 v3, v3, v7, vcc
; %bb.1843:
	s_or_b64 exec, exec, s[6:7]
	v_lshrrev_b32_e32 v2, 24, v2
	s_movk_i32 s6, 0x80
	v_and_or_b32 v2, v2, s6, v3
	global_store_byte v[8:9], v2, off
.LBB393_1844:
	s_mov_b64 s[6:7], 0
	s_mov_b64 s[8:9], -1
.LBB393_1845:
	s_andn2_b64 vcc, exec, s[6:7]
	s_mov_b64 s[6:7], 0
	s_cbranch_vccnz .LBB393_1852
; %bb.1846:
	s_cmp_gt_i32 s15, 14
	s_mov_b64 s[10:11], -1
	s_cbranch_scc0 .LBB393_1850
; %bb.1847:
	s_cmp_eq_u32 s15, 15
	s_mov_b64 s[0:1], -1
	s_cbranch_scc0 .LBB393_1849
; %bb.1848:
	v_cvt_f32_f64_e32 v2, v[0:1]
	v_bfe_u32 v3, v2, 16, 1
	s_movk_i32 s0, 0x7fff
	v_add3_u32 v3, v2, v3, s0
	v_cmp_o_f32_e32 vcc, v2, v2
	v_mov_b32_e32 v2, 0x7fc0
	s_mov_b64 s[0:1], 0
	v_cndmask_b32_sdwa v2, v2, v3, vcc dst_sel:DWORD dst_unused:UNUSED_PAD src0_sel:DWORD src1_sel:WORD_1
	global_store_short v[8:9], v2, off
	s_mov_b64 s[8:9], -1
.LBB393_1849:
	s_mov_b64 s[10:11], 0
.LBB393_1850:
	s_and_b64 vcc, exec, s[10:11]
	s_cbranch_vccz .LBB393_1852
; %bb.1851:
	s_cmp_lg_u32 s15, 11
	s_mov_b64 s[6:7], -1
	s_cselect_b64 s[0:1], -1, 0
.LBB393_1852:
	s_and_b64 vcc, exec, s[0:1]
	s_cbranch_vccnz .LBB393_2146
; %bb.1853:
	s_andn2_b64 vcc, exec, s[6:7]
	s_cbranch_vccnz .LBB393_1855
.LBB393_1854:
	v_cmp_neq_f64_e32 vcc, 0, v[0:1]
	s_mov_b64 s[8:9], -1
	s_nop 0
	v_cndmask_b32_e64 v2, 0, 1, vcc
	global_store_byte v[8:9], v2, off
.LBB393_1855:
	s_mov_b64 s[0:1], 0
	s_branch .LBB393_1857
.LBB393_1856:
	s_mov_b64 s[0:1], -1
	s_mov_b64 s[8:9], 0
.LBB393_1857:
	s_and_b64 vcc, exec, s[0:1]
	s_cbranch_vccz .LBB393_1896
; %bb.1858:
	s_cmp_lt_i32 s15, 5
	s_mov_b64 s[0:1], -1
	s_cbranch_scc1 .LBB393_1879
; %bb.1859:
	s_cmp_lt_i32 s15, 8
	s_cbranch_scc1 .LBB393_1869
; %bb.1860:
	s_cmp_lt_i32 s15, 9
	s_cbranch_scc1 .LBB393_1866
; %bb.1861:
	s_cmp_gt_i32 s15, 9
	s_cbranch_scc0 .LBB393_1863
; %bb.1862:
	v_mov_b32_e32 v2, 0
	v_mov_b32_e32 v3, v2
	global_store_dwordx4 v[8:9], v[0:3], off
	s_mov_b64 s[0:1], 0
.LBB393_1863:
	s_andn2_b64 vcc, exec, s[0:1]
	s_cbranch_vccnz .LBB393_1865
; %bb.1864:
	v_cvt_f32_f64_e32 v2, v[0:1]
	v_mov_b32_e32 v3, 0
	global_store_dwordx2 v[8:9], v[2:3], off
.LBB393_1865:
	s_mov_b64 s[0:1], 0
.LBB393_1866:
	s_andn2_b64 vcc, exec, s[0:1]
	s_cbranch_vccnz .LBB393_1868
; %bb.1867:
	s_movk_i32 s0, 0x1ff
	v_and_or_b32 v2, v1, s0, v0
	v_cmp_ne_u32_e32 vcc, 0, v2
	v_lshrrev_b32_e32 v3, 8, v1
	s_movk_i32 s0, 0xffe
	v_cndmask_b32_e64 v2, 0, 1, vcc
	v_bfe_u32 v5, v1, 20, 11
	v_and_or_b32 v2, v3, s0, v2
	v_sub_u32_e32 v7, 0x3f1, v5
	v_or_b32_e32 v3, 0x1000, v2
	v_med3_i32 v7, v7, 0, 13
	v_lshrrev_b32_e32 v14, v7, v3
	v_lshlrev_b32_e32 v7, v7, v14
	v_cmp_ne_u32_e32 vcc, v7, v3
	v_add_u32_e32 v5, 0xfffffc10, v5
	v_lshl_or_b32 v7, v5, 12, v2
	v_cndmask_b32_e64 v3, 0, 1, vcc
	v_or_b32_e32 v3, v14, v3
	v_cmp_gt_i32_e32 vcc, 1, v5
	s_movk_i32 s0, 0x40f
	s_nop 0
	v_cndmask_b32_e32 v3, v7, v3, vcc
	v_and_b32_e32 v7, 7, v3
	v_cmp_lt_i32_e32 vcc, 5, v7
	v_lshrrev_b32_e32 v3, 2, v3
	s_nop 0
	v_cndmask_b32_e64 v14, 0, 1, vcc
	v_cmp_eq_u32_e32 vcc, 3, v7
	s_nop 1
	v_cndmask_b32_e64 v7, 0, 1, vcc
	v_or_b32_e32 v7, v7, v14
	v_add_u32_e32 v3, v3, v7
	v_mov_b32_e32 v7, 0x7c00
	v_cmp_gt_i32_e32 vcc, 31, v5
	v_mov_b32_e32 v14, 0x7e00
	s_nop 0
	v_cndmask_b32_e32 v3, v7, v3, vcc
	v_cmp_ne_u32_e32 vcc, 0, v2
	s_nop 1
	v_cndmask_b32_e32 v2, v7, v14, vcc
	v_cmp_eq_u32_e32 vcc, s0, v5
	s_mov_b32 s0, 0x8000
	s_nop 0
	v_cndmask_b32_e32 v2, v3, v2, vcc
	v_and_b32_sdwa v3, v1, s0 dst_sel:DWORD dst_unused:UNUSED_PAD src0_sel:WORD_1 src1_sel:DWORD
	s_mov_b32 s0, 0xffff
	v_bitop3_b32 v2, v3, s0, v2 bitop3:0xc8
	global_store_dword v[8:9], v2, off
.LBB393_1868:
	s_mov_b64 s[0:1], 0
.LBB393_1869:
	s_andn2_b64 vcc, exec, s[0:1]
	s_cbranch_vccnz .LBB393_1878
; %bb.1870:
	s_cmp_lt_i32 s15, 6
	s_mov_b64 s[0:1], -1
	s_cbranch_scc1 .LBB393_1876
; %bb.1871:
	s_cmp_gt_i32 s15, 6
	s_cbranch_scc0 .LBB393_1873
; %bb.1872:
	global_store_dwordx2 v[8:9], v[0:1], off
	s_mov_b64 s[0:1], 0
.LBB393_1873:
	s_andn2_b64 vcc, exec, s[0:1]
	s_cbranch_vccnz .LBB393_1875
; %bb.1874:
	v_cvt_f32_f64_e32 v2, v[0:1]
	global_store_dword v[8:9], v2, off
.LBB393_1875:
	s_mov_b64 s[0:1], 0
.LBB393_1876:
	s_andn2_b64 vcc, exec, s[0:1]
	s_cbranch_vccnz .LBB393_1878
; %bb.1877:
	s_movk_i32 s0, 0x1ff
	v_and_or_b32 v2, v1, s0, v0
	v_cmp_ne_u32_e32 vcc, 0, v2
	v_lshrrev_b32_e32 v3, 8, v1
	s_movk_i32 s0, 0xffe
	v_cndmask_b32_e64 v2, 0, 1, vcc
	v_bfe_u32 v5, v1, 20, 11
	v_and_or_b32 v2, v3, s0, v2
	v_sub_u32_e32 v7, 0x3f1, v5
	v_or_b32_e32 v3, 0x1000, v2
	v_med3_i32 v7, v7, 0, 13
	v_lshrrev_b32_e32 v14, v7, v3
	v_lshlrev_b32_e32 v7, v7, v14
	v_cmp_ne_u32_e32 vcc, v7, v3
	v_add_u32_e32 v5, 0xfffffc10, v5
	v_lshl_or_b32 v7, v5, 12, v2
	v_cndmask_b32_e64 v3, 0, 1, vcc
	v_or_b32_e32 v3, v14, v3
	v_cmp_gt_i32_e32 vcc, 1, v5
	s_movk_i32 s0, 0x40f
	s_nop 0
	v_cndmask_b32_e32 v3, v7, v3, vcc
	v_and_b32_e32 v7, 7, v3
	v_cmp_lt_i32_e32 vcc, 5, v7
	v_lshrrev_b32_e32 v3, 2, v3
	s_nop 0
	v_cndmask_b32_e64 v14, 0, 1, vcc
	v_cmp_eq_u32_e32 vcc, 3, v7
	s_nop 1
	v_cndmask_b32_e64 v7, 0, 1, vcc
	v_or_b32_e32 v7, v7, v14
	v_add_u32_e32 v3, v3, v7
	v_mov_b32_e32 v7, 0x7c00
	v_cmp_gt_i32_e32 vcc, 31, v5
	v_mov_b32_e32 v14, 0x7e00
	s_nop 0
	v_cndmask_b32_e32 v3, v7, v3, vcc
	v_cmp_ne_u32_e32 vcc, 0, v2
	s_nop 1
	v_cndmask_b32_e32 v2, v7, v14, vcc
	v_cmp_eq_u32_e32 vcc, s0, v5
	s_mov_b32 s0, 0x8000
	s_nop 0
	v_cndmask_b32_e32 v2, v3, v2, vcc
	v_lshrrev_b32_e32 v3, 16, v1
	v_and_or_b32 v2, v3, s0, v2
	global_store_short v[8:9], v2, off
.LBB393_1878:
	s_mov_b64 s[0:1], 0
.LBB393_1879:
	s_andn2_b64 vcc, exec, s[0:1]
	s_cbranch_vccnz .LBB393_1895
; %bb.1880:
	s_cmp_lt_i32 s15, 2
	s_mov_b64 s[0:1], -1
	s_cbranch_scc1 .LBB393_1890
; %bb.1881:
	s_cmp_lt_i32 s15, 3
	s_cbranch_scc1 .LBB393_1887
; %bb.1882:
	s_cmp_gt_i32 s15, 3
	s_cbranch_scc0 .LBB393_1884
; %bb.1883:
	v_trunc_f64_e32 v[2:3], v[0:1]
	s_movk_i32 s0, 0xffe0
	v_ldexp_f64 v[14:15], v[2:3], s0
	v_floor_f64_e32 v[14:15], v[14:15]
	v_fmac_f64_e32 v[2:3], 0xc1f00000, v[14:15]
	v_cvt_i32_f64_e32 v19, v[14:15]
	v_cvt_u32_f64_e32 v18, v[2:3]
	global_store_dwordx2 v[8:9], v[18:19], off
	s_mov_b64 s[0:1], 0
.LBB393_1884:
	s_andn2_b64 vcc, exec, s[0:1]
	s_cbranch_vccnz .LBB393_1886
; %bb.1885:
	v_cvt_i32_f64_e32 v2, v[0:1]
	global_store_dword v[8:9], v2, off
.LBB393_1886:
	s_mov_b64 s[0:1], 0
.LBB393_1887:
	s_andn2_b64 vcc, exec, s[0:1]
	s_cbranch_vccnz .LBB393_1889
; %bb.1888:
	v_cvt_i32_f64_e32 v2, v[0:1]
	global_store_short v[8:9], v2, off
.LBB393_1889:
	s_mov_b64 s[0:1], 0
.LBB393_1890:
	s_andn2_b64 vcc, exec, s[0:1]
	s_cbranch_vccnz .LBB393_1895
; %bb.1891:
	s_cmp_gt_i32 s15, 0
	s_mov_b64 s[0:1], -1
	s_cbranch_scc0 .LBB393_1893
; %bb.1892:
	v_cvt_i32_f64_e32 v2, v[0:1]
	global_store_byte v[8:9], v2, off
	s_mov_b64 s[0:1], 0
.LBB393_1893:
	s_andn2_b64 vcc, exec, s[0:1]
	s_cbranch_vccnz .LBB393_1895
; %bb.1894:
	v_trunc_f64_e32 v[0:1], v[0:1]
	s_movk_i32 s0, 0xffe0
	v_ldexp_f64 v[2:3], v[0:1], s0
	v_floor_f64_e32 v[2:3], v[2:3]
	v_fmac_f64_e32 v[0:1], 0xc1f00000, v[2:3]
	v_cvt_u32_f64_e32 v0, v[0:1]
	global_store_byte v[8:9], v0, off
.LBB393_1895:
	s_mov_b64 s[8:9], -1
.LBB393_1896:
	s_andn2_b64 vcc, exec, s[8:9]
	s_cbranch_vccnz .LBB393_2092
; %bb.1897:
	v_max_f64 v[0:1], v[12:13], v[12:13]
	v_max_f64 v[0:1], v[0:1], v[16:17]
	v_cmp_u_f64_e32 vcc, v[12:13], v[12:13]
	v_mov_b32_e32 v7, 0
	s_cmp_lt_i32 s15, 11
	v_cndmask_b32_e32 v1, v1, v13, vcc
	v_cndmask_b32_e32 v0, v0, v12, vcc
	v_lshl_add_u64 v[6:7], s[4:5], 0, v[6:7]
	s_cbranch_scc1 .LBB393_1975
; %bb.1898:
	s_mov_b64 s[10:11], -1
	s_mov_b64 s[6:7], 0
	s_cmp_gt_i32 s15, 25
	s_mov_b64 s[8:9], 0
	s_mov_b64 s[0:1], 0
	s_cbranch_scc0 .LBB393_1931
; %bb.1899:
	s_cmp_gt_i32 s15, 28
	s_cbranch_scc0 .LBB393_1914
; %bb.1900:
	s_cmp_gt_i32 s15, 43
	s_cbranch_scc0 .LBB393_1910
; %bb.1901:
	s_cmp_gt_i32 s15, 45
	s_cbranch_scc0 .LBB393_1904
; %bb.1902:
	s_mov_b64 s[0:1], -1
	s_mov_b64 s[10:11], 0
	s_cmp_eq_u32 s15, 46
	s_cbranch_scc0 .LBB393_1904
; %bb.1903:
	v_cvt_f32_f64_e32 v2, v[0:1]
	v_bfe_u32 v3, v2, 16, 1
	s_movk_i32 s0, 0x7fff
	v_add3_u32 v3, v2, v3, s0
	v_cmp_o_f32_e32 vcc, v2, v2
	v_mov_b32_e32 v2, 0x7fc0
	s_mov_b64 s[0:1], 0
	v_cndmask_b32_sdwa v2, v2, v3, vcc dst_sel:DWORD dst_unused:UNUSED_PAD src0_sel:DWORD src1_sel:WORD_1
	global_store_dword v[6:7], v2, off
	s_mov_b64 s[8:9], -1
.LBB393_1904:
	s_and_b64 vcc, exec, s[10:11]
	s_cbranch_vccz .LBB393_1909
; %bb.1905:
	s_cmp_eq_u32 s15, 44
	s_mov_b64 s[0:1], -1
	s_cbranch_scc0 .LBB393_1909
; %bb.1906:
	v_cvt_f32_f64_e32 v2, v[0:1]
	v_bfe_u32 v3, v2, 23, 8
	s_movk_i32 s0, 0xff
	v_cmp_ne_u32_e32 vcc, s0, v3
	v_mov_b32_e32 v5, 0xff
	s_and_saveexec_b64 s[8:9], vcc
; %bb.1907:
	s_mov_b32 s0, 0x3fffff
	v_lshrrev_b32_e32 v5, 23, v2
	v_and_b32_e32 v8, 0x400000, v2
	v_and_or_b32 v2, v2, s0, v3
	v_cmp_ne_u32_e32 vcc, 0, v8
	v_cmp_ne_u32_e64 s[0:1], 0, v2
	s_and_b64 s[0:1], vcc, s[0:1]
	s_nop 0
	v_cndmask_b32_e64 v2, 0, 1, s[0:1]
	v_add_u32_e32 v5, v5, v2
; %bb.1908:
	s_or_b64 exec, exec, s[8:9]
	s_mov_b64 s[0:1], 0
	s_mov_b64 s[8:9], -1
	global_store_byte v[6:7], v5, off
.LBB393_1909:
	s_mov_b64 s[10:11], 0
.LBB393_1910:
	s_and_b64 vcc, exec, s[10:11]
	s_cbranch_vccz .LBB393_1913
; %bb.1911:
	s_cmp_eq_u32 s15, 29
	s_mov_b64 s[0:1], -1
	s_cbranch_scc0 .LBB393_1913
; %bb.1912:
	v_trunc_f64_e32 v[2:3], v[0:1]
	s_movk_i32 s0, 0xffe0
	v_ldexp_f64 v[8:9], v[2:3], s0
	v_floor_f64_e32 v[8:9], v[8:9]
	v_fmac_f64_e32 v[2:3], 0xc1f00000, v[8:9]
	v_cvt_u32_f64_e32 v13, v[8:9]
	v_cvt_u32_f64_e32 v12, v[2:3]
	global_store_dwordx2 v[6:7], v[12:13], off
	s_mov_b64 s[0:1], 0
	s_mov_b64 s[8:9], -1
.LBB393_1913:
	s_mov_b64 s[10:11], 0
.LBB393_1914:
	s_and_b64 vcc, exec, s[10:11]
	s_cbranch_vccz .LBB393_1930
; %bb.1915:
	s_cmp_lt_i32 s15, 27
	s_mov_b64 s[8:9], -1
	s_cbranch_scc1 .LBB393_1921
; %bb.1916:
	s_cmp_gt_i32 s15, 27
	v_cvt_u32_f64_e32 v2, v[0:1]
	s_cbranch_scc0 .LBB393_1918
; %bb.1917:
	s_mov_b64 s[8:9], 0
	global_store_dword v[6:7], v2, off
.LBB393_1918:
	s_andn2_b64 vcc, exec, s[8:9]
	s_cbranch_vccnz .LBB393_1920
; %bb.1919:
	global_store_short v[6:7], v2, off
.LBB393_1920:
	s_mov_b64 s[8:9], 0
.LBB393_1921:
	s_andn2_b64 vcc, exec, s[8:9]
	s_cbranch_vccnz .LBB393_1929
; %bb.1922:
	v_cvt_f32_f64_e32 v2, v[0:1]
	v_and_b32_e32 v3, 0x7fffffff, v2
	s_mov_b32 s8, 0x43800000
	v_cmp_gt_u32_e32 vcc, s8, v3
	v_mov_b32_e32 v5, 0x80
	s_and_saveexec_b64 s[8:9], vcc
	s_cbranch_execz .LBB393_1928
; %bb.1923:
	s_mov_b32 s10, 0x3bffffff
	v_cmp_lt_u32_e32 vcc, s10, v3
	s_mov_b64 s[10:11], 0
                                        ; implicit-def: $vgpr3
	s_and_saveexec_b64 s[12:13], vcc
	s_xor_b64 s[12:13], exec, s[12:13]
	s_cbranch_execz .LBB393_2149
; %bb.1924:
	v_bfe_u32 v3, v2, 20, 1
	s_mov_b32 s16, 0x487ffff
	v_add3_u32 v3, v2, v3, s16
	s_mov_b64 s[10:11], exec
	v_lshrrev_b32_e32 v3, 20, v3
	s_andn2_saveexec_b64 s[12:13], s[12:13]
	s_cbranch_execnz .LBB393_2150
.LBB393_1925:
	s_or_b64 exec, exec, s[12:13]
	v_mov_b32_e32 v5, 0
	s_and_saveexec_b64 s[12:13], s[10:11]
.LBB393_1926:
	v_lshrrev_b32_e32 v2, 24, v2
	s_movk_i32 s10, 0x80
	v_and_or_b32 v5, v2, s10, v3
.LBB393_1927:
	s_or_b64 exec, exec, s[12:13]
.LBB393_1928:
	s_or_b64 exec, exec, s[8:9]
	global_store_byte v[6:7], v5, off
.LBB393_1929:
	s_mov_b64 s[8:9], -1
.LBB393_1930:
	s_mov_b64 s[10:11], 0
.LBB393_1931:
	s_and_b64 vcc, exec, s[10:11]
	s_cbranch_vccz .LBB393_1971
; %bb.1932:
	s_cmp_gt_i32 s15, 22
	s_mov_b64 s[6:7], -1
	s_cbranch_scc0 .LBB393_1964
; %bb.1933:
	s_cmp_lt_i32 s15, 24
	s_cbranch_scc1 .LBB393_1953
; %bb.1934:
	s_cmp_gt_i32 s15, 24
	s_cbranch_scc0 .LBB393_1942
; %bb.1935:
	v_cvt_f32_f64_e32 v2, v[0:1]
	v_and_b32_e32 v3, 0x7fffffff, v2
	s_mov_b32 s6, 0x47800000
	v_cmp_gt_u32_e32 vcc, s6, v3
	v_mov_b32_e32 v5, 0x80
	s_and_saveexec_b64 s[6:7], vcc
	s_cbranch_execz .LBB393_1941
; %bb.1936:
	s_mov_b32 s8, 0x37ffffff
	v_cmp_lt_u32_e32 vcc, s8, v3
	s_mov_b64 s[8:9], 0
                                        ; implicit-def: $vgpr3
	s_and_saveexec_b64 s[10:11], vcc
	s_xor_b64 s[10:11], exec, s[10:11]
	s_cbranch_execz .LBB393_2152
; %bb.1937:
	v_bfe_u32 v3, v2, 21, 1
	s_mov_b32 s12, 0x88fffff
	v_add3_u32 v3, v2, v3, s12
	s_mov_b64 s[8:9], exec
	v_lshrrev_b32_e32 v3, 21, v3
	s_andn2_saveexec_b64 s[10:11], s[10:11]
	s_cbranch_execnz .LBB393_2153
.LBB393_1938:
	s_or_b64 exec, exec, s[10:11]
	v_mov_b32_e32 v5, 0
	s_and_saveexec_b64 s[10:11], s[8:9]
.LBB393_1939:
	v_lshrrev_b32_e32 v2, 24, v2
	s_movk_i32 s8, 0x80
	v_and_or_b32 v5, v2, s8, v3
.LBB393_1940:
	s_or_b64 exec, exec, s[10:11]
.LBB393_1941:
	s_or_b64 exec, exec, s[6:7]
	s_mov_b64 s[6:7], 0
	global_store_byte v[6:7], v5, off
.LBB393_1942:
	s_and_b64 vcc, exec, s[6:7]
	s_cbranch_vccz .LBB393_1952
; %bb.1943:
	v_cvt_f32_f64_e32 v2, v[0:1]
	v_and_b32_e32 v5, 0x7fffffff, v2
	s_mov_b32 s6, 0x43f00000
	v_cmp_gt_u32_e32 vcc, s6, v5
                                        ; implicit-def: $vgpr3
	s_and_saveexec_b64 s[6:7], vcc
	s_xor_b64 s[6:7], exec, s[6:7]
	s_cbranch_execz .LBB393_1949
; %bb.1944:
	s_mov_b32 s8, 0x3c7fffff
	v_cmp_lt_u32_e32 vcc, s8, v5
                                        ; implicit-def: $vgpr3
	s_and_saveexec_b64 s[8:9], vcc
	s_xor_b64 s[8:9], exec, s[8:9]
; %bb.1945:
	v_bfe_u32 v3, v2, 20, 1
	s_mov_b32 s10, 0x407ffff
	v_add3_u32 v3, v2, v3, s10
	v_lshrrev_b32_e32 v5, 20, v3
	v_and_b32_e32 v3, 0xff00000, v3
	s_mov_b32 s10, 0x7f00000
	v_mov_b32_e32 v8, 0x7e
	v_cmp_ne_u32_e32 vcc, s10, v3
	s_nop 1
	v_cndmask_b32_e32 v3, v8, v5, vcc
; %bb.1946:
	s_andn2_saveexec_b64 s[8:9], s[8:9]
; %bb.1947:
	s_mov_b32 s10, 0x46800000
	v_add_f32_e64 v3, |v2|, s10
; %bb.1948:
	s_or_b64 exec, exec, s[8:9]
                                        ; implicit-def: $vgpr5
.LBB393_1949:
	s_andn2_saveexec_b64 s[6:7], s[6:7]
; %bb.1950:
	s_mov_b32 s8, 0x7f800000
	v_mov_b32_e32 v3, 0x7e
	v_mov_b32_e32 v8, 0x7f
	v_cmp_lt_u32_e32 vcc, s8, v5
	s_nop 1
	v_cndmask_b32_e32 v3, v3, v8, vcc
; %bb.1951:
	s_or_b64 exec, exec, s[6:7]
	v_lshrrev_b32_e32 v2, 24, v2
	s_movk_i32 s6, 0x80
	v_and_or_b32 v2, v2, s6, v3
	global_store_byte v[6:7], v2, off
.LBB393_1952:
	s_mov_b64 s[6:7], 0
.LBB393_1953:
	s_andn2_b64 vcc, exec, s[6:7]
	s_cbranch_vccnz .LBB393_1963
; %bb.1954:
	v_cvt_f32_f64_e32 v2, v[0:1]
	v_and_b32_e32 v5, 0x7fffffff, v2
	s_mov_b32 s6, 0x47800000
	v_cmp_gt_u32_e32 vcc, s6, v5
                                        ; implicit-def: $vgpr3
	s_and_saveexec_b64 s[6:7], vcc
	s_xor_b64 s[6:7], exec, s[6:7]
	s_cbranch_execz .LBB393_1960
; %bb.1955:
	s_mov_b32 s8, 0x387fffff
	v_cmp_lt_u32_e32 vcc, s8, v5
                                        ; implicit-def: $vgpr3
	s_and_saveexec_b64 s[8:9], vcc
	s_xor_b64 s[8:9], exec, s[8:9]
; %bb.1956:
	v_bfe_u32 v3, v2, 21, 1
	s_mov_b32 s10, 0x80fffff
	v_add3_u32 v3, v2, v3, s10
	v_lshrrev_b32_e32 v3, 21, v3
; %bb.1957:
	s_andn2_saveexec_b64 s[8:9], s[8:9]
; %bb.1958:
	s_mov_b32 s10, 0x43000000
	v_add_f32_e64 v3, |v2|, s10
; %bb.1959:
	s_or_b64 exec, exec, s[8:9]
                                        ; implicit-def: $vgpr5
.LBB393_1960:
	s_andn2_saveexec_b64 s[6:7], s[6:7]
; %bb.1961:
	s_mov_b32 s8, 0x7f800000
	v_mov_b32_e32 v3, 0x7c
	v_mov_b32_e32 v8, 0x7f
	v_cmp_lt_u32_e32 vcc, s8, v5
	s_nop 1
	v_cndmask_b32_e32 v3, v3, v8, vcc
; %bb.1962:
	s_or_b64 exec, exec, s[6:7]
	v_lshrrev_b32_e32 v2, 24, v2
	s_movk_i32 s6, 0x80
	v_and_or_b32 v2, v2, s6, v3
	global_store_byte v[6:7], v2, off
.LBB393_1963:
	s_mov_b64 s[6:7], 0
	s_mov_b64 s[8:9], -1
.LBB393_1964:
	s_andn2_b64 vcc, exec, s[6:7]
	s_mov_b64 s[6:7], 0
	s_cbranch_vccnz .LBB393_1971
; %bb.1965:
	s_cmp_gt_i32 s15, 14
	s_mov_b64 s[10:11], -1
	s_cbranch_scc0 .LBB393_1969
; %bb.1966:
	s_cmp_eq_u32 s15, 15
	s_mov_b64 s[0:1], -1
	s_cbranch_scc0 .LBB393_1968
; %bb.1967:
	v_cvt_f32_f64_e32 v2, v[0:1]
	v_bfe_u32 v3, v2, 16, 1
	s_movk_i32 s0, 0x7fff
	v_add3_u32 v3, v2, v3, s0
	v_cmp_o_f32_e32 vcc, v2, v2
	v_mov_b32_e32 v2, 0x7fc0
	s_mov_b64 s[0:1], 0
	v_cndmask_b32_sdwa v2, v2, v3, vcc dst_sel:DWORD dst_unused:UNUSED_PAD src0_sel:DWORD src1_sel:WORD_1
	global_store_short v[6:7], v2, off
	s_mov_b64 s[8:9], -1
.LBB393_1968:
	s_mov_b64 s[10:11], 0
.LBB393_1969:
	s_and_b64 vcc, exec, s[10:11]
	s_cbranch_vccz .LBB393_1971
; %bb.1970:
	s_cmp_lg_u32 s15, 11
	s_mov_b64 s[6:7], -1
	s_cselect_b64 s[0:1], -1, 0
.LBB393_1971:
	s_and_b64 vcc, exec, s[0:1]
	s_cbranch_vccnz .LBB393_2151
; %bb.1972:
	s_andn2_b64 vcc, exec, s[6:7]
	s_cbranch_vccnz .LBB393_1974
.LBB393_1973:
	v_cmp_neq_f64_e32 vcc, 0, v[0:1]
	s_mov_b64 s[8:9], -1
	s_nop 0
	v_cndmask_b32_e64 v2, 0, 1, vcc
	global_store_byte v[6:7], v2, off
.LBB393_1974:
	s_mov_b64 s[0:1], 0
	s_branch .LBB393_1976
.LBB393_1975:
	s_mov_b64 s[0:1], -1
	s_mov_b64 s[8:9], 0
.LBB393_1976:
	s_and_b64 vcc, exec, s[0:1]
	s_cbranch_vccz .LBB393_2015
; %bb.1977:
	s_cmp_lt_i32 s15, 5
	s_mov_b64 s[0:1], -1
	s_cbranch_scc1 .LBB393_1998
; %bb.1978:
	s_cmp_lt_i32 s15, 8
	s_cbranch_scc1 .LBB393_1988
; %bb.1979:
	s_cmp_lt_i32 s15, 9
	s_cbranch_scc1 .LBB393_1985
; %bb.1980:
	s_cmp_gt_i32 s15, 9
	s_cbranch_scc0 .LBB393_1982
; %bb.1981:
	v_mov_b32_e32 v2, 0
	v_mov_b32_e32 v3, v2
	global_store_dwordx4 v[6:7], v[0:3], off
	s_mov_b64 s[0:1], 0
.LBB393_1982:
	s_andn2_b64 vcc, exec, s[0:1]
	s_cbranch_vccnz .LBB393_1984
; %bb.1983:
	v_cvt_f32_f64_e32 v2, v[0:1]
	v_mov_b32_e32 v3, 0
	global_store_dwordx2 v[6:7], v[2:3], off
.LBB393_1984:
	s_mov_b64 s[0:1], 0
.LBB393_1985:
	s_andn2_b64 vcc, exec, s[0:1]
	s_cbranch_vccnz .LBB393_1987
; %bb.1986:
	s_movk_i32 s0, 0x1ff
	v_and_or_b32 v2, v1, s0, v0
	v_cmp_ne_u32_e32 vcc, 0, v2
	v_lshrrev_b32_e32 v3, 8, v1
	s_movk_i32 s0, 0xffe
	v_cndmask_b32_e64 v2, 0, 1, vcc
	v_bfe_u32 v5, v1, 20, 11
	v_and_or_b32 v2, v3, s0, v2
	v_sub_u32_e32 v8, 0x3f1, v5
	v_or_b32_e32 v3, 0x1000, v2
	v_med3_i32 v8, v8, 0, 13
	v_lshrrev_b32_e32 v9, v8, v3
	v_lshlrev_b32_e32 v8, v8, v9
	v_cmp_ne_u32_e32 vcc, v8, v3
	v_add_u32_e32 v5, 0xfffffc10, v5
	v_lshl_or_b32 v8, v5, 12, v2
	v_cndmask_b32_e64 v3, 0, 1, vcc
	v_or_b32_e32 v3, v9, v3
	v_cmp_gt_i32_e32 vcc, 1, v5
	s_movk_i32 s0, 0x40f
	s_nop 0
	v_cndmask_b32_e32 v3, v8, v3, vcc
	v_and_b32_e32 v8, 7, v3
	v_cmp_lt_i32_e32 vcc, 5, v8
	v_lshrrev_b32_e32 v3, 2, v3
	s_nop 0
	v_cndmask_b32_e64 v9, 0, 1, vcc
	v_cmp_eq_u32_e32 vcc, 3, v8
	s_nop 1
	v_cndmask_b32_e64 v8, 0, 1, vcc
	v_or_b32_e32 v8, v8, v9
	v_add_u32_e32 v3, v3, v8
	v_mov_b32_e32 v8, 0x7c00
	v_cmp_gt_i32_e32 vcc, 31, v5
	v_mov_b32_e32 v9, 0x7e00
	s_nop 0
	v_cndmask_b32_e32 v3, v8, v3, vcc
	v_cmp_ne_u32_e32 vcc, 0, v2
	s_nop 1
	v_cndmask_b32_e32 v2, v8, v9, vcc
	v_cmp_eq_u32_e32 vcc, s0, v5
	s_mov_b32 s0, 0x8000
	s_nop 0
	v_cndmask_b32_e32 v2, v3, v2, vcc
	v_and_b32_sdwa v3, v1, s0 dst_sel:DWORD dst_unused:UNUSED_PAD src0_sel:WORD_1 src1_sel:DWORD
	s_mov_b32 s0, 0xffff
	v_bitop3_b32 v2, v3, s0, v2 bitop3:0xc8
	global_store_dword v[6:7], v2, off
.LBB393_1987:
	s_mov_b64 s[0:1], 0
.LBB393_1988:
	s_andn2_b64 vcc, exec, s[0:1]
	s_cbranch_vccnz .LBB393_1997
; %bb.1989:
	s_cmp_lt_i32 s15, 6
	s_mov_b64 s[0:1], -1
	s_cbranch_scc1 .LBB393_1995
; %bb.1990:
	s_cmp_gt_i32 s15, 6
	s_cbranch_scc0 .LBB393_1992
; %bb.1991:
	global_store_dwordx2 v[6:7], v[0:1], off
	s_mov_b64 s[0:1], 0
.LBB393_1992:
	s_andn2_b64 vcc, exec, s[0:1]
	s_cbranch_vccnz .LBB393_1994
; %bb.1993:
	v_cvt_f32_f64_e32 v2, v[0:1]
	global_store_dword v[6:7], v2, off
.LBB393_1994:
	s_mov_b64 s[0:1], 0
.LBB393_1995:
	s_andn2_b64 vcc, exec, s[0:1]
	s_cbranch_vccnz .LBB393_1997
; %bb.1996:
	s_movk_i32 s0, 0x1ff
	v_and_or_b32 v2, v1, s0, v0
	v_cmp_ne_u32_e32 vcc, 0, v2
	v_lshrrev_b32_e32 v3, 8, v1
	s_movk_i32 s0, 0xffe
	v_cndmask_b32_e64 v2, 0, 1, vcc
	v_bfe_u32 v5, v1, 20, 11
	v_and_or_b32 v2, v3, s0, v2
	v_sub_u32_e32 v8, 0x3f1, v5
	v_or_b32_e32 v3, 0x1000, v2
	v_med3_i32 v8, v8, 0, 13
	v_lshrrev_b32_e32 v9, v8, v3
	v_lshlrev_b32_e32 v8, v8, v9
	v_cmp_ne_u32_e32 vcc, v8, v3
	v_add_u32_e32 v5, 0xfffffc10, v5
	v_lshl_or_b32 v8, v5, 12, v2
	v_cndmask_b32_e64 v3, 0, 1, vcc
	v_or_b32_e32 v3, v9, v3
	v_cmp_gt_i32_e32 vcc, 1, v5
	s_movk_i32 s0, 0x40f
	s_nop 0
	v_cndmask_b32_e32 v3, v8, v3, vcc
	v_and_b32_e32 v8, 7, v3
	v_cmp_lt_i32_e32 vcc, 5, v8
	v_lshrrev_b32_e32 v3, 2, v3
	s_nop 0
	v_cndmask_b32_e64 v9, 0, 1, vcc
	v_cmp_eq_u32_e32 vcc, 3, v8
	s_nop 1
	v_cndmask_b32_e64 v8, 0, 1, vcc
	v_or_b32_e32 v8, v8, v9
	v_add_u32_e32 v3, v3, v8
	v_mov_b32_e32 v8, 0x7c00
	v_cmp_gt_i32_e32 vcc, 31, v5
	v_mov_b32_e32 v9, 0x7e00
	s_nop 0
	v_cndmask_b32_e32 v3, v8, v3, vcc
	v_cmp_ne_u32_e32 vcc, 0, v2
	s_nop 1
	v_cndmask_b32_e32 v2, v8, v9, vcc
	v_cmp_eq_u32_e32 vcc, s0, v5
	s_mov_b32 s0, 0x8000
	s_nop 0
	v_cndmask_b32_e32 v2, v3, v2, vcc
	v_lshrrev_b32_e32 v3, 16, v1
	v_and_or_b32 v2, v3, s0, v2
	global_store_short v[6:7], v2, off
.LBB393_1997:
	s_mov_b64 s[0:1], 0
.LBB393_1998:
	s_andn2_b64 vcc, exec, s[0:1]
	s_cbranch_vccnz .LBB393_2014
; %bb.1999:
	s_cmp_lt_i32 s15, 2
	s_mov_b64 s[0:1], -1
	s_cbranch_scc1 .LBB393_2009
; %bb.2000:
	s_cmp_lt_i32 s15, 3
	s_cbranch_scc1 .LBB393_2006
; %bb.2001:
	s_cmp_gt_i32 s15, 3
	s_cbranch_scc0 .LBB393_2003
; %bb.2002:
	v_trunc_f64_e32 v[2:3], v[0:1]
	s_movk_i32 s0, 0xffe0
	v_ldexp_f64 v[8:9], v[2:3], s0
	v_floor_f64_e32 v[8:9], v[8:9]
	v_fmac_f64_e32 v[2:3], 0xc1f00000, v[8:9]
	v_cvt_i32_f64_e32 v13, v[8:9]
	v_cvt_u32_f64_e32 v12, v[2:3]
	global_store_dwordx2 v[6:7], v[12:13], off
	s_mov_b64 s[0:1], 0
.LBB393_2003:
	s_andn2_b64 vcc, exec, s[0:1]
	s_cbranch_vccnz .LBB393_2005
; %bb.2004:
	v_cvt_i32_f64_e32 v2, v[0:1]
	global_store_dword v[6:7], v2, off
.LBB393_2005:
	s_mov_b64 s[0:1], 0
.LBB393_2006:
	s_andn2_b64 vcc, exec, s[0:1]
	s_cbranch_vccnz .LBB393_2008
; %bb.2007:
	v_cvt_i32_f64_e32 v2, v[0:1]
	global_store_short v[6:7], v2, off
.LBB393_2008:
	s_mov_b64 s[0:1], 0
.LBB393_2009:
	s_andn2_b64 vcc, exec, s[0:1]
	s_cbranch_vccnz .LBB393_2014
; %bb.2010:
	s_cmp_gt_i32 s15, 0
	s_mov_b64 s[0:1], -1
	s_cbranch_scc0 .LBB393_2012
; %bb.2011:
	v_cvt_i32_f64_e32 v2, v[0:1]
	global_store_byte v[6:7], v2, off
	s_mov_b64 s[0:1], 0
.LBB393_2012:
	s_andn2_b64 vcc, exec, s[0:1]
	s_cbranch_vccnz .LBB393_2014
; %bb.2013:
	v_trunc_f64_e32 v[0:1], v[0:1]
	s_movk_i32 s0, 0xffe0
	v_ldexp_f64 v[2:3], v[0:1], s0
	v_floor_f64_e32 v[2:3], v[2:3]
	v_fmac_f64_e32 v[0:1], 0xc1f00000, v[2:3]
	v_cvt_u32_f64_e32 v0, v[0:1]
	global_store_byte v[6:7], v0, off
.LBB393_2014:
	s_mov_b64 s[8:9], -1
.LBB393_2015:
	s_andn2_b64 vcc, exec, s[8:9]
	s_cbranch_vccnz .LBB393_2092
; %bb.2016:
	v_max_f64 v[0:1], v[10:11], v[10:11]
	v_max_f64 v[0:1], v[0:1], v[16:17]
	v_cmp_u_f64_e32 vcc, v[10:11], v[10:11]
	v_mov_b32_e32 v5, 0
	s_cmp_lt_i32 s15, 11
	v_cndmask_b32_e32 v1, v1, v11, vcc
	v_cndmask_b32_e32 v0, v0, v10, vcc
	v_lshl_add_u64 v[4:5], s[4:5], 0, v[4:5]
	s_cbranch_scc1 .LBB393_2137
; %bb.2017:
	s_mov_b64 s[6:7], -1
	s_mov_b64 s[4:5], 0
	s_cmp_gt_i32 s15, 25
	s_mov_b64 s[0:1], 0
	s_cbranch_scc0 .LBB393_2050
; %bb.2018:
	s_cmp_gt_i32 s15, 28
	s_cbranch_scc0 .LBB393_2034
; %bb.2019:
	s_cmp_gt_i32 s15, 43
	;; [unrolled: 3-line block ×3, first 2 shown]
	s_cbranch_scc0 .LBB393_2024
; %bb.2021:
	s_cmp_eq_u32 s15, 46
	s_mov_b64 s[0:1], -1
	s_cbranch_scc0 .LBB393_2023
; %bb.2022:
	v_cvt_f32_f64_e32 v2, v[0:1]
	v_bfe_u32 v3, v2, 16, 1
	s_movk_i32 s0, 0x7fff
	v_add3_u32 v3, v2, v3, s0
	v_cmp_o_f32_e32 vcc, v2, v2
	v_mov_b32_e32 v2, 0x7fc0
	s_mov_b64 s[0:1], 0
	v_cndmask_b32_sdwa v2, v2, v3, vcc dst_sel:DWORD dst_unused:UNUSED_PAD src0_sel:DWORD src1_sel:WORD_1
	global_store_dword v[4:5], v2, off
.LBB393_2023:
	s_mov_b64 s[6:7], 0
.LBB393_2024:
	s_and_b64 vcc, exec, s[6:7]
	s_cbranch_vccz .LBB393_2029
; %bb.2025:
	s_cmp_eq_u32 s15, 44
	s_mov_b64 s[0:1], -1
	s_cbranch_scc0 .LBB393_2029
; %bb.2026:
	v_cvt_f32_f64_e32 v2, v[0:1]
	v_bfe_u32 v3, v2, 23, 8
	s_movk_i32 s0, 0xff
	v_cmp_ne_u32_e32 vcc, s0, v3
	v_mov_b32_e32 v6, 0xff
	s_and_saveexec_b64 s[6:7], vcc
; %bb.2027:
	s_mov_b32 s0, 0x3fffff
	v_lshrrev_b32_e32 v6, 23, v2
	v_and_b32_e32 v7, 0x400000, v2
	v_and_or_b32 v2, v2, s0, v3
	v_cmp_ne_u32_e32 vcc, 0, v7
	v_cmp_ne_u32_e64 s[0:1], 0, v2
	s_and_b64 s[0:1], vcc, s[0:1]
	s_nop 0
	v_cndmask_b32_e64 v2, 0, 1, s[0:1]
	v_add_u32_e32 v6, v6, v2
; %bb.2028:
	s_or_b64 exec, exec, s[6:7]
	s_mov_b64 s[0:1], 0
	global_store_byte v[4:5], v6, off
.LBB393_2029:
	s_mov_b64 s[6:7], 0
.LBB393_2030:
	s_and_b64 vcc, exec, s[6:7]
	s_cbranch_vccz .LBB393_2033
; %bb.2031:
	s_cmp_eq_u32 s15, 29
	s_mov_b64 s[0:1], -1
	s_cbranch_scc0 .LBB393_2033
; %bb.2032:
	v_trunc_f64_e32 v[2:3], v[0:1]
	s_movk_i32 s0, 0xffe0
	v_ldexp_f64 v[6:7], v[2:3], s0
	v_floor_f64_e32 v[6:7], v[6:7]
	v_fmac_f64_e32 v[2:3], 0xc1f00000, v[6:7]
	v_cvt_u32_f64_e32 v9, v[6:7]
	v_cvt_u32_f64_e32 v8, v[2:3]
	global_store_dwordx2 v[4:5], v[8:9], off
	s_mov_b64 s[0:1], 0
.LBB393_2033:
	s_mov_b64 s[6:7], 0
.LBB393_2034:
	s_and_b64 vcc, exec, s[6:7]
	s_cbranch_vccz .LBB393_2049
; %bb.2035:
	s_cmp_lt_i32 s15, 27
	s_mov_b64 s[6:7], -1
	s_cbranch_scc1 .LBB393_2041
; %bb.2036:
	s_cmp_gt_i32 s15, 27
	s_cbranch_scc0 .LBB393_2038
; %bb.2037:
	v_cvt_u32_f64_e32 v2, v[0:1]
	global_store_dword v[4:5], v2, off
	s_mov_b64 s[6:7], 0
.LBB393_2038:
	s_andn2_b64 vcc, exec, s[6:7]
	s_cbranch_vccnz .LBB393_2040
; %bb.2039:
	v_cvt_u32_f64_e32 v2, v[0:1]
	global_store_short v[4:5], v2, off
.LBB393_2040:
	s_mov_b64 s[6:7], 0
.LBB393_2041:
	s_andn2_b64 vcc, exec, s[6:7]
	s_cbranch_vccnz .LBB393_2049
; %bb.2042:
	v_cvt_f32_f64_e32 v2, v[0:1]
	v_and_b32_e32 v3, 0x7fffffff, v2
	s_mov_b32 s6, 0x43800000
	v_cmp_gt_u32_e32 vcc, s6, v3
	v_mov_b32_e32 v6, 0x80
	s_and_saveexec_b64 s[6:7], vcc
	s_cbranch_execz .LBB393_2048
; %bb.2043:
	s_mov_b32 s8, 0x3bffffff
	v_cmp_lt_u32_e32 vcc, s8, v3
	s_mov_b64 s[8:9], 0
                                        ; implicit-def: $vgpr3
	s_and_saveexec_b64 s[10:11], vcc
	s_xor_b64 s[10:11], exec, s[10:11]
	s_cbranch_execz .LBB393_2154
; %bb.2044:
	v_bfe_u32 v3, v2, 20, 1
	s_mov_b32 s12, 0x487ffff
	v_add3_u32 v3, v2, v3, s12
	s_mov_b64 s[8:9], exec
	v_lshrrev_b32_e32 v3, 20, v3
	s_andn2_saveexec_b64 s[10:11], s[10:11]
	s_cbranch_execnz .LBB393_2155
.LBB393_2045:
	s_or_b64 exec, exec, s[10:11]
	v_mov_b32_e32 v6, 0
	s_and_saveexec_b64 s[10:11], s[8:9]
.LBB393_2046:
	v_lshrrev_b32_e32 v2, 24, v2
	s_movk_i32 s8, 0x80
	v_and_or_b32 v6, v2, s8, v3
.LBB393_2047:
	s_or_b64 exec, exec, s[10:11]
.LBB393_2048:
	s_or_b64 exec, exec, s[6:7]
	global_store_byte v[4:5], v6, off
.LBB393_2049:
	s_mov_b64 s[6:7], 0
.LBB393_2050:
	s_and_b64 vcc, exec, s[6:7]
	s_cbranch_vccz .LBB393_2090
; %bb.2051:
	s_cmp_gt_i32 s15, 22
	s_mov_b64 s[4:5], -1
	s_cbranch_scc0 .LBB393_2083
; %bb.2052:
	s_cmp_lt_i32 s15, 24
	s_cbranch_scc1 .LBB393_2072
; %bb.2053:
	s_cmp_gt_i32 s15, 24
	s_cbranch_scc0 .LBB393_2061
; %bb.2054:
	v_cvt_f32_f64_e32 v2, v[0:1]
	v_and_b32_e32 v3, 0x7fffffff, v2
	s_mov_b32 s4, 0x47800000
	v_cmp_gt_u32_e32 vcc, s4, v3
	v_mov_b32_e32 v6, 0x80
	s_and_saveexec_b64 s[4:5], vcc
	s_cbranch_execz .LBB393_2060
; %bb.2055:
	s_mov_b32 s6, 0x37ffffff
	v_cmp_lt_u32_e32 vcc, s6, v3
	s_mov_b64 s[6:7], 0
                                        ; implicit-def: $vgpr3
	s_and_saveexec_b64 s[8:9], vcc
	s_xor_b64 s[8:9], exec, s[8:9]
	s_cbranch_execz .LBB393_2157
; %bb.2056:
	v_bfe_u32 v3, v2, 21, 1
	s_mov_b32 s10, 0x88fffff
	v_add3_u32 v3, v2, v3, s10
	s_mov_b64 s[6:7], exec
	v_lshrrev_b32_e32 v3, 21, v3
	s_andn2_saveexec_b64 s[8:9], s[8:9]
	s_cbranch_execnz .LBB393_2158
.LBB393_2057:
	s_or_b64 exec, exec, s[8:9]
	v_mov_b32_e32 v6, 0
	s_and_saveexec_b64 s[8:9], s[6:7]
.LBB393_2058:
	v_lshrrev_b32_e32 v2, 24, v2
	s_movk_i32 s6, 0x80
	v_and_or_b32 v6, v2, s6, v3
.LBB393_2059:
	s_or_b64 exec, exec, s[8:9]
.LBB393_2060:
	s_or_b64 exec, exec, s[4:5]
	s_mov_b64 s[4:5], 0
	global_store_byte v[4:5], v6, off
.LBB393_2061:
	s_and_b64 vcc, exec, s[4:5]
	s_cbranch_vccz .LBB393_2071
; %bb.2062:
	v_cvt_f32_f64_e32 v2, v[0:1]
	v_and_b32_e32 v6, 0x7fffffff, v2
	s_mov_b32 s4, 0x43f00000
	v_cmp_gt_u32_e32 vcc, s4, v6
                                        ; implicit-def: $vgpr3
	s_and_saveexec_b64 s[4:5], vcc
	s_xor_b64 s[4:5], exec, s[4:5]
	s_cbranch_execz .LBB393_2068
; %bb.2063:
	s_mov_b32 s6, 0x3c7fffff
	v_cmp_lt_u32_e32 vcc, s6, v6
                                        ; implicit-def: $vgpr3
	s_and_saveexec_b64 s[6:7], vcc
	s_xor_b64 s[6:7], exec, s[6:7]
; %bb.2064:
	v_bfe_u32 v3, v2, 20, 1
	s_mov_b32 s8, 0x407ffff
	v_add3_u32 v3, v2, v3, s8
	v_lshrrev_b32_e32 v6, 20, v3
	v_and_b32_e32 v3, 0xff00000, v3
	s_mov_b32 s8, 0x7f00000
	v_mov_b32_e32 v7, 0x7e
	v_cmp_ne_u32_e32 vcc, s8, v3
	s_nop 1
	v_cndmask_b32_e32 v3, v7, v6, vcc
; %bb.2065:
	s_andn2_saveexec_b64 s[6:7], s[6:7]
; %bb.2066:
	s_mov_b32 s8, 0x46800000
	v_add_f32_e64 v3, |v2|, s8
; %bb.2067:
	s_or_b64 exec, exec, s[6:7]
                                        ; implicit-def: $vgpr6
.LBB393_2068:
	s_andn2_saveexec_b64 s[4:5], s[4:5]
; %bb.2069:
	s_mov_b32 s6, 0x7f800000
	v_mov_b32_e32 v3, 0x7e
	v_mov_b32_e32 v7, 0x7f
	v_cmp_lt_u32_e32 vcc, s6, v6
	s_nop 1
	v_cndmask_b32_e32 v3, v3, v7, vcc
; %bb.2070:
	s_or_b64 exec, exec, s[4:5]
	v_lshrrev_b32_e32 v2, 24, v2
	s_movk_i32 s4, 0x80
	v_and_or_b32 v2, v2, s4, v3
	global_store_byte v[4:5], v2, off
.LBB393_2071:
	s_mov_b64 s[4:5], 0
.LBB393_2072:
	s_andn2_b64 vcc, exec, s[4:5]
	s_cbranch_vccnz .LBB393_2082
; %bb.2073:
	v_cvt_f32_f64_e32 v2, v[0:1]
	v_and_b32_e32 v6, 0x7fffffff, v2
	s_mov_b32 s4, 0x47800000
	v_cmp_gt_u32_e32 vcc, s4, v6
                                        ; implicit-def: $vgpr3
	s_and_saveexec_b64 s[4:5], vcc
	s_xor_b64 s[4:5], exec, s[4:5]
	s_cbranch_execz .LBB393_2079
; %bb.2074:
	s_mov_b32 s6, 0x387fffff
	v_cmp_lt_u32_e32 vcc, s6, v6
                                        ; implicit-def: $vgpr3
	s_and_saveexec_b64 s[6:7], vcc
	s_xor_b64 s[6:7], exec, s[6:7]
; %bb.2075:
	v_bfe_u32 v3, v2, 21, 1
	s_mov_b32 s8, 0x80fffff
	v_add3_u32 v3, v2, v3, s8
	v_lshrrev_b32_e32 v3, 21, v3
; %bb.2076:
	s_andn2_saveexec_b64 s[6:7], s[6:7]
; %bb.2077:
	s_mov_b32 s8, 0x43000000
	v_add_f32_e64 v3, |v2|, s8
; %bb.2078:
	s_or_b64 exec, exec, s[6:7]
                                        ; implicit-def: $vgpr6
.LBB393_2079:
	s_andn2_saveexec_b64 s[4:5], s[4:5]
; %bb.2080:
	s_mov_b32 s6, 0x7f800000
	v_mov_b32_e32 v3, 0x7c
	v_mov_b32_e32 v7, 0x7f
	v_cmp_lt_u32_e32 vcc, s6, v6
	s_nop 1
	v_cndmask_b32_e32 v3, v3, v7, vcc
; %bb.2081:
	s_or_b64 exec, exec, s[4:5]
	v_lshrrev_b32_e32 v2, 24, v2
	s_movk_i32 s4, 0x80
	v_and_or_b32 v2, v2, s4, v3
	global_store_byte v[4:5], v2, off
.LBB393_2082:
	s_mov_b64 s[4:5], 0
.LBB393_2083:
	s_andn2_b64 vcc, exec, s[4:5]
	s_mov_b64 s[4:5], 0
	s_cbranch_vccnz .LBB393_2090
; %bb.2084:
	s_cmp_gt_i32 s15, 14
	s_mov_b64 s[6:7], -1
	s_cbranch_scc0 .LBB393_2088
; %bb.2085:
	s_cmp_eq_u32 s15, 15
	s_mov_b64 s[0:1], -1
	s_cbranch_scc0 .LBB393_2087
; %bb.2086:
	v_cvt_f32_f64_e32 v2, v[0:1]
	v_bfe_u32 v3, v2, 16, 1
	s_movk_i32 s0, 0x7fff
	v_add3_u32 v3, v2, v3, s0
	v_cmp_o_f32_e32 vcc, v2, v2
	v_mov_b32_e32 v2, 0x7fc0
	s_mov_b64 s[0:1], 0
	v_cndmask_b32_sdwa v2, v2, v3, vcc dst_sel:DWORD dst_unused:UNUSED_PAD src0_sel:DWORD src1_sel:WORD_1
	global_store_short v[4:5], v2, off
.LBB393_2087:
	s_mov_b64 s[6:7], 0
.LBB393_2088:
	s_and_b64 vcc, exec, s[6:7]
	s_cbranch_vccz .LBB393_2090
; %bb.2089:
	s_cmp_lg_u32 s15, 11
	s_mov_b64 s[4:5], -1
	s_cselect_b64 s[0:1], -1, 0
.LBB393_2090:
	s_and_b64 vcc, exec, s[0:1]
	s_cbranch_vccnz .LBB393_2156
.LBB393_2091:
	s_mov_b64 s[0:1], 0
	s_branch .LBB393_2093
.LBB393_2092:
	s_mov_b64 s[0:1], 0
	s_mov_b64 s[4:5], 0
                                        ; implicit-def: $vgpr4_vgpr5
                                        ; implicit-def: $sgpr14
                                        ; implicit-def: $vgpr0_vgpr1
.LBB393_2093:
	s_and_b64 s[6:7], s[0:1], exec
	s_andn2_b64 s[0:1], s[24:25], exec
	s_and_b64 s[2:3], s[2:3], exec
	s_and_b64 s[40:41], s[4:5], exec
	s_or_b64 s[24:25], s[0:1], s[2:3]
.LBB393_2094:
	s_or_b64 exec, exec, s[26:27]
	s_and_saveexec_b64 s[0:1], s[24:25]
	s_cbranch_execz .LBB393_2097
; %bb.2095:
	; divergent unreachable
	s_or_b64 exec, exec, s[0:1]
	s_and_saveexec_b64 s[0:1], s[40:41]
	s_xor_b64 s[0:1], exec, s[0:1]
	s_cbranch_execnz .LBB393_2098
.LBB393_2096:
	s_or_b64 exec, exec, s[0:1]
	s_and_saveexec_b64 s[0:1], s[6:7]
	s_cbranch_execnz .LBB393_2099
	s_branch .LBB393_2136
.LBB393_2097:
	s_or_b64 exec, exec, s[0:1]
	s_and_saveexec_b64 s[0:1], s[40:41]
	s_xor_b64 s[0:1], exec, s[0:1]
	s_cbranch_execz .LBB393_2096
.LBB393_2098:
	s_waitcnt vmcnt(0)
	v_cmp_neq_f64_e32 vcc, 0, v[0:1]
	s_nop 1
	v_cndmask_b32_e64 v2, 0, 1, vcc
	global_store_byte v[4:5], v2, off
	s_or_b64 exec, exec, s[0:1]
	s_and_saveexec_b64 s[0:1], s[6:7]
	s_cbranch_execz .LBB393_2136
.LBB393_2099:
	s_sext_i32_i16 s2, s14
	s_cmp_lt_i32 s2, 5
	s_mov_b64 s[0:1], -1
	s_cbranch_scc1 .LBB393_2120
; %bb.2100:
	s_cmp_lt_i32 s2, 8
	s_cbranch_scc1 .LBB393_2110
; %bb.2101:
	s_cmp_lt_i32 s2, 9
	s_cbranch_scc1 .LBB393_2107
; %bb.2102:
	s_cmp_gt_i32 s2, 9
	s_cbranch_scc0 .LBB393_2104
; %bb.2103:
	v_mov_b32_e32 v2, 0
	v_mov_b32_e32 v3, v2
	s_waitcnt vmcnt(0)
	global_store_dwordx4 v[4:5], v[0:3], off
	s_mov_b64 s[0:1], 0
.LBB393_2104:
	s_andn2_b64 vcc, exec, s[0:1]
	s_cbranch_vccnz .LBB393_2106
; %bb.2105:
	s_waitcnt vmcnt(0)
	v_cvt_f32_f64_e32 v2, v[0:1]
	v_mov_b32_e32 v3, 0
	global_store_dwordx2 v[4:5], v[2:3], off
.LBB393_2106:
	s_mov_b64 s[0:1], 0
.LBB393_2107:
	s_andn2_b64 vcc, exec, s[0:1]
	s_cbranch_vccnz .LBB393_2109
; %bb.2108:
	s_movk_i32 s0, 0x1ff
	s_waitcnt vmcnt(0)
	v_and_or_b32 v2, v1, s0, v0
	v_cmp_ne_u32_e32 vcc, 0, v2
	v_lshrrev_b32_e32 v3, 8, v1
	s_movk_i32 s0, 0xffe
	v_cndmask_b32_e64 v2, 0, 1, vcc
	v_bfe_u32 v6, v1, 20, 11
	v_and_or_b32 v2, v3, s0, v2
	v_sub_u32_e32 v7, 0x3f1, v6
	v_or_b32_e32 v3, 0x1000, v2
	v_med3_i32 v7, v7, 0, 13
	v_lshrrev_b32_e32 v8, v7, v3
	v_lshlrev_b32_e32 v7, v7, v8
	v_cmp_ne_u32_e32 vcc, v7, v3
	v_add_u32_e32 v6, 0xfffffc10, v6
	v_lshl_or_b32 v7, v6, 12, v2
	v_cndmask_b32_e64 v3, 0, 1, vcc
	v_or_b32_e32 v3, v8, v3
	v_cmp_gt_i32_e32 vcc, 1, v6
	s_movk_i32 s0, 0x40f
	s_nop 0
	v_cndmask_b32_e32 v3, v7, v3, vcc
	v_and_b32_e32 v7, 7, v3
	v_cmp_lt_i32_e32 vcc, 5, v7
	v_lshrrev_b32_e32 v3, 2, v3
	s_nop 0
	v_cndmask_b32_e64 v8, 0, 1, vcc
	v_cmp_eq_u32_e32 vcc, 3, v7
	s_nop 1
	v_cndmask_b32_e64 v7, 0, 1, vcc
	v_or_b32_e32 v7, v7, v8
	v_add_u32_e32 v3, v3, v7
	v_mov_b32_e32 v7, 0x7c00
	v_cmp_gt_i32_e32 vcc, 31, v6
	v_mov_b32_e32 v8, 0x7e00
	s_nop 0
	v_cndmask_b32_e32 v3, v7, v3, vcc
	v_cmp_ne_u32_e32 vcc, 0, v2
	s_nop 1
	v_cndmask_b32_e32 v2, v7, v8, vcc
	v_cmp_eq_u32_e32 vcc, s0, v6
	s_mov_b32 s0, 0x8000
	s_nop 0
	v_cndmask_b32_e32 v2, v3, v2, vcc
	v_and_b32_sdwa v3, v1, s0 dst_sel:DWORD dst_unused:UNUSED_PAD src0_sel:WORD_1 src1_sel:DWORD
	s_mov_b32 s0, 0xffff
	v_bitop3_b32 v2, v3, s0, v2 bitop3:0xc8
	global_store_dword v[4:5], v2, off
.LBB393_2109:
	s_mov_b64 s[0:1], 0
.LBB393_2110:
	s_andn2_b64 vcc, exec, s[0:1]
	s_cbranch_vccnz .LBB393_2119
; %bb.2111:
	s_sext_i32_i16 s2, s14
	s_cmp_lt_i32 s2, 6
	s_mov_b64 s[0:1], -1
	s_cbranch_scc1 .LBB393_2117
; %bb.2112:
	s_cmp_gt_i32 s2, 6
	s_cbranch_scc0 .LBB393_2114
; %bb.2113:
	s_waitcnt vmcnt(0)
	global_store_dwordx2 v[4:5], v[0:1], off
	s_mov_b64 s[0:1], 0
.LBB393_2114:
	s_andn2_b64 vcc, exec, s[0:1]
	s_cbranch_vccnz .LBB393_2116
; %bb.2115:
	s_waitcnt vmcnt(0)
	v_cvt_f32_f64_e32 v2, v[0:1]
	global_store_dword v[4:5], v2, off
.LBB393_2116:
	s_mov_b64 s[0:1], 0
.LBB393_2117:
	s_andn2_b64 vcc, exec, s[0:1]
	s_cbranch_vccnz .LBB393_2119
; %bb.2118:
	s_movk_i32 s0, 0x1ff
	s_waitcnt vmcnt(0)
	v_and_or_b32 v2, v1, s0, v0
	v_cmp_ne_u32_e32 vcc, 0, v2
	v_lshrrev_b32_e32 v3, 8, v1
	s_movk_i32 s0, 0xffe
	v_cndmask_b32_e64 v2, 0, 1, vcc
	v_bfe_u32 v6, v1, 20, 11
	v_and_or_b32 v2, v3, s0, v2
	v_sub_u32_e32 v7, 0x3f1, v6
	v_or_b32_e32 v3, 0x1000, v2
	v_med3_i32 v7, v7, 0, 13
	v_lshrrev_b32_e32 v8, v7, v3
	v_lshlrev_b32_e32 v7, v7, v8
	v_cmp_ne_u32_e32 vcc, v7, v3
	v_add_u32_e32 v6, 0xfffffc10, v6
	v_lshl_or_b32 v7, v6, 12, v2
	v_cndmask_b32_e64 v3, 0, 1, vcc
	v_or_b32_e32 v3, v8, v3
	v_cmp_gt_i32_e32 vcc, 1, v6
	s_movk_i32 s0, 0x40f
	s_nop 0
	v_cndmask_b32_e32 v3, v7, v3, vcc
	v_and_b32_e32 v7, 7, v3
	v_cmp_lt_i32_e32 vcc, 5, v7
	v_lshrrev_b32_e32 v3, 2, v3
	s_nop 0
	v_cndmask_b32_e64 v8, 0, 1, vcc
	v_cmp_eq_u32_e32 vcc, 3, v7
	s_nop 1
	v_cndmask_b32_e64 v7, 0, 1, vcc
	v_or_b32_e32 v7, v7, v8
	v_add_u32_e32 v3, v3, v7
	v_mov_b32_e32 v7, 0x7c00
	v_cmp_gt_i32_e32 vcc, 31, v6
	v_mov_b32_e32 v8, 0x7e00
	s_nop 0
	v_cndmask_b32_e32 v3, v7, v3, vcc
	v_cmp_ne_u32_e32 vcc, 0, v2
	s_nop 1
	v_cndmask_b32_e32 v2, v7, v8, vcc
	v_cmp_eq_u32_e32 vcc, s0, v6
	s_mov_b32 s0, 0x8000
	s_nop 0
	v_cndmask_b32_e32 v2, v3, v2, vcc
	v_lshrrev_b32_e32 v3, 16, v1
	v_and_or_b32 v2, v3, s0, v2
	global_store_short v[4:5], v2, off
.LBB393_2119:
	s_mov_b64 s[0:1], 0
.LBB393_2120:
	s_andn2_b64 vcc, exec, s[0:1]
	s_cbranch_vccnz .LBB393_2136
; %bb.2121:
	s_sext_i32_i16 s2, s14
	s_cmp_lt_i32 s2, 2
	s_mov_b64 s[0:1], -1
	s_cbranch_scc1 .LBB393_2131
; %bb.2122:
	s_cmp_lt_i32 s2, 3
	s_cbranch_scc1 .LBB393_2128
; %bb.2123:
	s_cmp_gt_i32 s2, 3
	s_cbranch_scc0 .LBB393_2125
; %bb.2124:
	s_waitcnt vmcnt(0)
	v_trunc_f64_e32 v[2:3], v[0:1]
	s_movk_i32 s0, 0xffe0
	v_ldexp_f64 v[6:7], v[2:3], s0
	v_floor_f64_e32 v[6:7], v[6:7]
	v_fmac_f64_e32 v[2:3], 0xc1f00000, v[6:7]
	v_cvt_i32_f64_e32 v9, v[6:7]
	v_cvt_u32_f64_e32 v8, v[2:3]
	global_store_dwordx2 v[4:5], v[8:9], off
	s_mov_b64 s[0:1], 0
.LBB393_2125:
	s_andn2_b64 vcc, exec, s[0:1]
	s_cbranch_vccnz .LBB393_2127
; %bb.2126:
	s_waitcnt vmcnt(0)
	v_cvt_i32_f64_e32 v2, v[0:1]
	global_store_dword v[4:5], v2, off
.LBB393_2127:
	s_mov_b64 s[0:1], 0
.LBB393_2128:
	s_andn2_b64 vcc, exec, s[0:1]
	s_cbranch_vccnz .LBB393_2130
; %bb.2129:
	s_waitcnt vmcnt(0)
	v_cvt_i32_f64_e32 v2, v[0:1]
	global_store_short v[4:5], v2, off
.LBB393_2130:
	s_mov_b64 s[0:1], 0
.LBB393_2131:
	s_andn2_b64 vcc, exec, s[0:1]
	s_cbranch_vccnz .LBB393_2136
; %bb.2132:
	s_sext_i32_i16 s0, s14
	s_cmp_gt_i32 s0, 0
	s_mov_b64 s[0:1], -1
	s_cbranch_scc0 .LBB393_2134
; %bb.2133:
	s_waitcnt vmcnt(0)
	v_cvt_i32_f64_e32 v2, v[0:1]
	global_store_byte v[4:5], v2, off
	s_mov_b64 s[0:1], 0
.LBB393_2134:
	s_andn2_b64 vcc, exec, s[0:1]
	s_cbranch_vccnz .LBB393_2136
; %bb.2135:
	s_waitcnt vmcnt(0)
	v_trunc_f64_e32 v[0:1], v[0:1]
	s_movk_i32 s0, 0xffe0
	v_ldexp_f64 v[2:3], v[0:1], s0
	v_floor_f64_e32 v[2:3], v[2:3]
	v_fmac_f64_e32 v[0:1], 0xc1f00000, v[2:3]
	v_cvt_u32_f64_e32 v0, v[0:1]
	global_store_byte v[4:5], v0, off
	s_endpgm
.LBB393_2136:
	s_endpgm
.LBB393_2137:
	s_mov_b64 s[4:5], 0
	s_mov_b64 s[0:1], -1
	s_branch .LBB393_2093
.LBB393_2138:
	s_trap 2
	s_or_b64 s[2:3], s[2:3], exec
	s_cbranch_execz .LBB393_1607
	s_branch .LBB393_1608
.LBB393_2139:
	s_andn2_saveexec_b64 s[12:13], s[12:13]
	s_cbranch_execz .LBB393_1687
.LBB393_2140:
	s_mov_b32 s16, 0x46000000
	v_add_f32_e64 v3, |v2|, s16
	v_and_b32_e32 v3, 0xff, v3
	v_cmp_ne_u32_e32 vcc, 0, v3
	s_andn2_b64 s[10:11], s[10:11], exec
	s_and_b64 s[16:17], vcc, exec
	s_or_b64 s[10:11], s[10:11], s[16:17]
	s_or_b64 exec, exec, s[12:13]
	v_mov_b32_e32 v5, 0
	s_and_saveexec_b64 s[12:13], s[10:11]
	s_cbranch_execnz .LBB393_1688
	s_branch .LBB393_1689
.LBB393_2141:
	s_trap 2
	s_or_b64 s[2:3], s[2:3], exec
	s_cbranch_execz .LBB393_1735
	s_branch .LBB393_1736
.LBB393_2142:
	s_andn2_saveexec_b64 s[10:11], s[10:11]
	s_cbranch_execz .LBB393_1700
.LBB393_2143:
	s_mov_b32 s12, 0x42800000
	v_add_f32_e64 v3, |v2|, s12
	v_and_b32_e32 v3, 0xff, v3
	v_cmp_ne_u32_e32 vcc, 0, v3
	s_andn2_b64 s[8:9], s[8:9], exec
	s_and_b64 s[12:13], vcc, exec
	s_or_b64 s[8:9], s[8:9], s[12:13]
	s_or_b64 exec, exec, s[10:11]
	v_mov_b32_e32 v5, 0
	s_and_saveexec_b64 s[10:11], s[8:9]
	s_cbranch_execnz .LBB393_1701
	s_branch .LBB393_1702
.LBB393_2144:
	s_andn2_saveexec_b64 s[12:13], s[12:13]
	s_cbranch_execz .LBB393_1806
.LBB393_2145:
	s_mov_b32 s16, 0x46000000
	v_add_f32_e64 v3, |v2|, s16
	v_and_b32_e32 v3, 0xff, v3
	v_cmp_ne_u32_e32 vcc, 0, v3
	s_andn2_b64 s[10:11], s[10:11], exec
	s_and_b64 s[16:17], vcc, exec
	s_or_b64 s[10:11], s[10:11], s[16:17]
	s_or_b64 exec, exec, s[12:13]
	v_mov_b32_e32 v5, 0
	s_and_saveexec_b64 s[12:13], s[10:11]
	s_cbranch_execnz .LBB393_1807
	s_branch .LBB393_1808
.LBB393_2146:
	s_trap 2
	s_or_b64 s[2:3], s[2:3], exec
	s_cbranch_execz .LBB393_1854
	s_branch .LBB393_1855
.LBB393_2147:
	s_andn2_saveexec_b64 s[10:11], s[10:11]
	s_cbranch_execz .LBB393_1819
.LBB393_2148:
	s_mov_b32 s12, 0x42800000
	v_add_f32_e64 v3, |v2|, s12
	v_and_b32_e32 v3, 0xff, v3
	v_cmp_ne_u32_e32 vcc, 0, v3
	s_andn2_b64 s[8:9], s[8:9], exec
	s_and_b64 s[12:13], vcc, exec
	s_or_b64 s[8:9], s[8:9], s[12:13]
	s_or_b64 exec, exec, s[10:11]
	v_mov_b32_e32 v5, 0
	s_and_saveexec_b64 s[10:11], s[8:9]
	s_cbranch_execnz .LBB393_1820
	s_branch .LBB393_1821
.LBB393_2149:
	s_andn2_saveexec_b64 s[12:13], s[12:13]
	s_cbranch_execz .LBB393_1925
.LBB393_2150:
	s_mov_b32 s16, 0x46000000
	v_add_f32_e64 v3, |v2|, s16
	v_and_b32_e32 v3, 0xff, v3
	v_cmp_ne_u32_e32 vcc, 0, v3
	s_andn2_b64 s[10:11], s[10:11], exec
	s_and_b64 s[16:17], vcc, exec
	s_or_b64 s[10:11], s[10:11], s[16:17]
	s_or_b64 exec, exec, s[12:13]
	v_mov_b32_e32 v5, 0
	s_and_saveexec_b64 s[12:13], s[10:11]
	s_cbranch_execnz .LBB393_1926
	s_branch .LBB393_1927
.LBB393_2151:
	s_trap 2
	s_or_b64 s[2:3], s[2:3], exec
	s_cbranch_execz .LBB393_1973
	s_branch .LBB393_1974
.LBB393_2152:
	s_andn2_saveexec_b64 s[10:11], s[10:11]
	s_cbranch_execz .LBB393_1938
.LBB393_2153:
	s_mov_b32 s12, 0x42800000
	v_add_f32_e64 v3, |v2|, s12
	v_and_b32_e32 v3, 0xff, v3
	v_cmp_ne_u32_e32 vcc, 0, v3
	s_andn2_b64 s[8:9], s[8:9], exec
	s_and_b64 s[12:13], vcc, exec
	s_or_b64 s[8:9], s[8:9], s[12:13]
	s_or_b64 exec, exec, s[10:11]
	v_mov_b32_e32 v5, 0
	s_and_saveexec_b64 s[10:11], s[8:9]
	s_cbranch_execnz .LBB393_1939
	s_branch .LBB393_1940
.LBB393_2154:
	s_andn2_saveexec_b64 s[10:11], s[10:11]
	s_cbranch_execz .LBB393_2045
.LBB393_2155:
	s_mov_b32 s12, 0x46000000
	v_add_f32_e64 v3, |v2|, s12
	v_and_b32_e32 v3, 0xff, v3
	v_cmp_ne_u32_e32 vcc, 0, v3
	s_andn2_b64 s[8:9], s[8:9], exec
	s_and_b64 s[12:13], vcc, exec
	s_or_b64 s[8:9], s[8:9], s[12:13]
	s_or_b64 exec, exec, s[10:11]
	v_mov_b32_e32 v6, 0
	s_and_saveexec_b64 s[10:11], s[8:9]
	s_cbranch_execnz .LBB393_2046
	s_branch .LBB393_2047
.LBB393_2156:
	s_mov_b64 s[4:5], 0
	s_or_b64 s[2:3], s[2:3], exec
	s_trap 2
	s_branch .LBB393_2091
.LBB393_2157:
	s_andn2_saveexec_b64 s[8:9], s[8:9]
	s_cbranch_execz .LBB393_2057
.LBB393_2158:
	s_mov_b32 s10, 0x42800000
	v_add_f32_e64 v3, |v2|, s10
	v_and_b32_e32 v3, 0xff, v3
	v_cmp_ne_u32_e32 vcc, 0, v3
	s_andn2_b64 s[6:7], s[6:7], exec
	s_and_b64 s[10:11], vcc, exec
	s_or_b64 s[6:7], s[6:7], s[10:11]
	s_or_b64 exec, exec, s[8:9]
	v_mov_b32_e32 v6, 0
	s_and_saveexec_b64 s[8:9], s[6:7]
	s_cbranch_execnz .LBB393_2058
	s_branch .LBB393_2059
	.section	.rodata,"a",@progbits
	.p2align	6, 0x0
	.amdhsa_kernel _ZN2at6native32elementwise_kernel_manual_unrollILi128ELi4EZNS0_15gpu_kernel_implIZZZNS0_21clamp_min_kernel_cudaERNS_18TensorIteratorBaseERKN3c106ScalarEENKUlvE_clEvENKUlvE4_clEvEUldE_EEvS4_RKT_EUlibE0_EEviT1_
		.amdhsa_group_segment_fixed_size 0
		.amdhsa_private_segment_fixed_size 0
		.amdhsa_kernarg_size 368
		.amdhsa_user_sgpr_count 2
		.amdhsa_user_sgpr_dispatch_ptr 0
		.amdhsa_user_sgpr_queue_ptr 0
		.amdhsa_user_sgpr_kernarg_segment_ptr 1
		.amdhsa_user_sgpr_dispatch_id 0
		.amdhsa_user_sgpr_kernarg_preload_length 0
		.amdhsa_user_sgpr_kernarg_preload_offset 0
		.amdhsa_user_sgpr_private_segment_size 0
		.amdhsa_uses_dynamic_stack 0
		.amdhsa_enable_private_segment 0
		.amdhsa_system_sgpr_workgroup_id_x 1
		.amdhsa_system_sgpr_workgroup_id_y 0
		.amdhsa_system_sgpr_workgroup_id_z 0
		.amdhsa_system_sgpr_workgroup_info 0
		.amdhsa_system_vgpr_workitem_id 0
		.amdhsa_next_free_vgpr 24
		.amdhsa_next_free_sgpr 80
		.amdhsa_accum_offset 24
		.amdhsa_reserve_vcc 1
		.amdhsa_float_round_mode_32 0
		.amdhsa_float_round_mode_16_64 0
		.amdhsa_float_denorm_mode_32 3
		.amdhsa_float_denorm_mode_16_64 3
		.amdhsa_dx10_clamp 1
		.amdhsa_ieee_mode 1
		.amdhsa_fp16_overflow 0
		.amdhsa_tg_split 0
		.amdhsa_exception_fp_ieee_invalid_op 0
		.amdhsa_exception_fp_denorm_src 0
		.amdhsa_exception_fp_ieee_div_zero 0
		.amdhsa_exception_fp_ieee_overflow 0
		.amdhsa_exception_fp_ieee_underflow 0
		.amdhsa_exception_fp_ieee_inexact 0
		.amdhsa_exception_int_div_zero 0
	.end_amdhsa_kernel
	.section	.text._ZN2at6native32elementwise_kernel_manual_unrollILi128ELi4EZNS0_15gpu_kernel_implIZZZNS0_21clamp_min_kernel_cudaERNS_18TensorIteratorBaseERKN3c106ScalarEENKUlvE_clEvENKUlvE4_clEvEUldE_EEvS4_RKT_EUlibE0_EEviT1_,"axG",@progbits,_ZN2at6native32elementwise_kernel_manual_unrollILi128ELi4EZNS0_15gpu_kernel_implIZZZNS0_21clamp_min_kernel_cudaERNS_18TensorIteratorBaseERKN3c106ScalarEENKUlvE_clEvENKUlvE4_clEvEUldE_EEvS4_RKT_EUlibE0_EEviT1_,comdat
.Lfunc_end393:
	.size	_ZN2at6native32elementwise_kernel_manual_unrollILi128ELi4EZNS0_15gpu_kernel_implIZZZNS0_21clamp_min_kernel_cudaERNS_18TensorIteratorBaseERKN3c106ScalarEENKUlvE_clEvENKUlvE4_clEvEUldE_EEvS4_RKT_EUlibE0_EEviT1_, .Lfunc_end393-_ZN2at6native32elementwise_kernel_manual_unrollILi128ELi4EZNS0_15gpu_kernel_implIZZZNS0_21clamp_min_kernel_cudaERNS_18TensorIteratorBaseERKN3c106ScalarEENKUlvE_clEvENKUlvE4_clEvEUldE_EEvS4_RKT_EUlibE0_EEviT1_
                                        ; -- End function
	.set _ZN2at6native32elementwise_kernel_manual_unrollILi128ELi4EZNS0_15gpu_kernel_implIZZZNS0_21clamp_min_kernel_cudaERNS_18TensorIteratorBaseERKN3c106ScalarEENKUlvE_clEvENKUlvE4_clEvEUldE_EEvS4_RKT_EUlibE0_EEviT1_.num_vgpr, 24
	.set _ZN2at6native32elementwise_kernel_manual_unrollILi128ELi4EZNS0_15gpu_kernel_implIZZZNS0_21clamp_min_kernel_cudaERNS_18TensorIteratorBaseERKN3c106ScalarEENKUlvE_clEvENKUlvE4_clEvEUldE_EEvS4_RKT_EUlibE0_EEviT1_.num_agpr, 0
	.set _ZN2at6native32elementwise_kernel_manual_unrollILi128ELi4EZNS0_15gpu_kernel_implIZZZNS0_21clamp_min_kernel_cudaERNS_18TensorIteratorBaseERKN3c106ScalarEENKUlvE_clEvENKUlvE4_clEvEUldE_EEvS4_RKT_EUlibE0_EEviT1_.numbered_sgpr, 80
	.set _ZN2at6native32elementwise_kernel_manual_unrollILi128ELi4EZNS0_15gpu_kernel_implIZZZNS0_21clamp_min_kernel_cudaERNS_18TensorIteratorBaseERKN3c106ScalarEENKUlvE_clEvENKUlvE4_clEvEUldE_EEvS4_RKT_EUlibE0_EEviT1_.num_named_barrier, 0
	.set _ZN2at6native32elementwise_kernel_manual_unrollILi128ELi4EZNS0_15gpu_kernel_implIZZZNS0_21clamp_min_kernel_cudaERNS_18TensorIteratorBaseERKN3c106ScalarEENKUlvE_clEvENKUlvE4_clEvEUldE_EEvS4_RKT_EUlibE0_EEviT1_.private_seg_size, 0
	.set _ZN2at6native32elementwise_kernel_manual_unrollILi128ELi4EZNS0_15gpu_kernel_implIZZZNS0_21clamp_min_kernel_cudaERNS_18TensorIteratorBaseERKN3c106ScalarEENKUlvE_clEvENKUlvE4_clEvEUldE_EEvS4_RKT_EUlibE0_EEviT1_.uses_vcc, 1
	.set _ZN2at6native32elementwise_kernel_manual_unrollILi128ELi4EZNS0_15gpu_kernel_implIZZZNS0_21clamp_min_kernel_cudaERNS_18TensorIteratorBaseERKN3c106ScalarEENKUlvE_clEvENKUlvE4_clEvEUldE_EEvS4_RKT_EUlibE0_EEviT1_.uses_flat_scratch, 0
	.set _ZN2at6native32elementwise_kernel_manual_unrollILi128ELi4EZNS0_15gpu_kernel_implIZZZNS0_21clamp_min_kernel_cudaERNS_18TensorIteratorBaseERKN3c106ScalarEENKUlvE_clEvENKUlvE4_clEvEUldE_EEvS4_RKT_EUlibE0_EEviT1_.has_dyn_sized_stack, 0
	.set _ZN2at6native32elementwise_kernel_manual_unrollILi128ELi4EZNS0_15gpu_kernel_implIZZZNS0_21clamp_min_kernel_cudaERNS_18TensorIteratorBaseERKN3c106ScalarEENKUlvE_clEvENKUlvE4_clEvEUldE_EEvS4_RKT_EUlibE0_EEviT1_.has_recursion, 0
	.set _ZN2at6native32elementwise_kernel_manual_unrollILi128ELi4EZNS0_15gpu_kernel_implIZZZNS0_21clamp_min_kernel_cudaERNS_18TensorIteratorBaseERKN3c106ScalarEENKUlvE_clEvENKUlvE4_clEvEUldE_EEvS4_RKT_EUlibE0_EEviT1_.has_indirect_call, 0
	.section	.AMDGPU.csdata,"",@progbits
; Kernel info:
; codeLenInByte = 41480
; TotalNumSgprs: 86
; NumVgprs: 24
; NumAgprs: 0
; TotalNumVgprs: 24
; ScratchSize: 0
; MemoryBound: 1
; FloatMode: 240
; IeeeMode: 1
; LDSByteSize: 0 bytes/workgroup (compile time only)
; SGPRBlocks: 10
; VGPRBlocks: 2
; NumSGPRsForWavesPerEU: 86
; NumVGPRsForWavesPerEU: 24
; AccumOffset: 24
; Occupancy: 8
; WaveLimiterHint : 1
; COMPUTE_PGM_RSRC2:SCRATCH_EN: 0
; COMPUTE_PGM_RSRC2:USER_SGPR: 2
; COMPUTE_PGM_RSRC2:TRAP_HANDLER: 0
; COMPUTE_PGM_RSRC2:TGID_X_EN: 1
; COMPUTE_PGM_RSRC2:TGID_Y_EN: 0
; COMPUTE_PGM_RSRC2:TGID_Z_EN: 0
; COMPUTE_PGM_RSRC2:TIDIG_COMP_CNT: 0
; COMPUTE_PGM_RSRC3_GFX90A:ACCUM_OFFSET: 5
; COMPUTE_PGM_RSRC3_GFX90A:TG_SPLIT: 0
	.section	.text._ZN2at6native29vectorized_elementwise_kernelILi16EZZZNS0_21clamp_min_kernel_cudaERNS_18TensorIteratorBaseERKN3c106ScalarEENKUlvE_clEvENKUlvE5_clEvEUlfE_St5arrayIPcLm2EEEEviT0_T1_,"axG",@progbits,_ZN2at6native29vectorized_elementwise_kernelILi16EZZZNS0_21clamp_min_kernel_cudaERNS_18TensorIteratorBaseERKN3c106ScalarEENKUlvE_clEvENKUlvE5_clEvEUlfE_St5arrayIPcLm2EEEEviT0_T1_,comdat
	.globl	_ZN2at6native29vectorized_elementwise_kernelILi16EZZZNS0_21clamp_min_kernel_cudaERNS_18TensorIteratorBaseERKN3c106ScalarEENKUlvE_clEvENKUlvE5_clEvEUlfE_St5arrayIPcLm2EEEEviT0_T1_ ; -- Begin function _ZN2at6native29vectorized_elementwise_kernelILi16EZZZNS0_21clamp_min_kernel_cudaERNS_18TensorIteratorBaseERKN3c106ScalarEENKUlvE_clEvENKUlvE5_clEvEUlfE_St5arrayIPcLm2EEEEviT0_T1_
	.p2align	8
	.type	_ZN2at6native29vectorized_elementwise_kernelILi16EZZZNS0_21clamp_min_kernel_cudaERNS_18TensorIteratorBaseERKN3c106ScalarEENKUlvE_clEvENKUlvE5_clEvEUlfE_St5arrayIPcLm2EEEEviT0_T1_,@function
_ZN2at6native29vectorized_elementwise_kernelILi16EZZZNS0_21clamp_min_kernel_cudaERNS_18TensorIteratorBaseERKN3c106ScalarEENKUlvE_clEvENKUlvE5_clEvEUlfE_St5arrayIPcLm2EEEEviT0_T1_: ; @_ZN2at6native29vectorized_elementwise_kernelILi16EZZZNS0_21clamp_min_kernel_cudaERNS_18TensorIteratorBaseERKN3c106ScalarEENKUlvE_clEvENKUlvE5_clEvEUlfE_St5arrayIPcLm2EEEEviT0_T1_
; %bb.0:
	s_load_dwordx2 s[8:9], s[0:1], 0x0
	s_load_dwordx4 s[4:7], s[0:1], 0x8
	s_lshl_b32 s2, s2, 10
	s_mov_b64 s[0:1], -1
	s_waitcnt lgkmcnt(0)
	s_sub_i32 s10, s8, s2
	s_cmpk_gt_i32 s10, 0x3ff
	v_max_f32_e64 v1, s9, s9
	s_cbranch_scc0 .LBB394_2
; %bb.1:
	s_ashr_i32 s3, s2, 31
	s_lshl_b64 s[0:1], s[2:3], 2
	s_add_u32 s8, s6, s0
	s_addc_u32 s9, s7, s1
	v_lshlrev_b32_e32 v6, 4, v0
	global_load_dwordx4 v[2:5], v6, s[8:9]
	s_add_u32 s0, s4, s0
	s_addc_u32 s1, s5, s1
	s_waitcnt vmcnt(0)
	v_max_f32_e32 v8, v3, v3
	v_max_f32_e32 v7, v2, v2
	;; [unrolled: 1-line block ×3, first 2 shown]
	v_cmp_u_f32_e32 vcc, v3, v3
	v_max_f32_e32 v10, v5, v5
	v_max_f32_e32 v7, v7, v1
	v_cndmask_b32_e32 v3, v8, v3, vcc
	v_cmp_u_f32_e32 vcc, v2, v2
	v_max_f32_e32 v9, v4, v4
	v_max_f32_e32 v10, v10, v1
	v_cndmask_b32_e32 v2, v7, v2, vcc
	v_cmp_u_f32_e32 vcc, v5, v5
	v_max_f32_e32 v9, v9, v1
	s_nop 0
	v_cndmask_b32_e32 v5, v10, v5, vcc
	v_cmp_u_f32_e32 vcc, v4, v4
	s_nop 1
	v_cndmask_b32_e32 v4, v9, v4, vcc
	global_store_dwordx4 v6, v[2:5], s[0:1]
	s_mov_b64 s[0:1], 0
.LBB394_2:
	s_andn2_b64 vcc, exec, s[0:1]
	s_cbranch_vccnz .LBB394_16
; %bb.3:
	v_cmp_gt_i32_e32 vcc, s10, v0
	v_mov_b32_e32 v4, 0
	v_or_b32_e32 v2, s2, v0
	v_mov_b32_e32 v3, 0
	v_mov_b32_e32 v5, v0
	s_and_saveexec_b64 s[0:1], vcc
	s_cbranch_execz .LBB394_5
; %bb.4:
	v_mov_b32_e32 v3, 0
	v_lshl_add_u64 v[6:7], v[2:3], 2, s[6:7]
	global_load_dword v3, v[6:7], off
	v_or_b32_e32 v5, 0x100, v0
.LBB394_5:
	s_or_b64 exec, exec, s[0:1]
	v_cmp_gt_i32_e64 s[0:1], s10, v5
	s_and_saveexec_b64 s[8:9], s[0:1]
	s_cbranch_execz .LBB394_7
; %bb.6:
	v_add_u32_e32 v6, s2, v5
	v_mov_b32_e32 v7, 0
	v_lshl_add_u64 v[6:7], v[6:7], 2, s[6:7]
	global_load_dword v4, v[6:7], off
	v_add_u32_e32 v5, 0x100, v5
.LBB394_7:
	s_or_b64 exec, exec, s[8:9]
	v_cmp_gt_i32_e64 s[0:1], s10, v5
	v_mov_b32_e32 v6, 0
	v_mov_b32_e32 v7, 0
	s_and_saveexec_b64 s[8:9], s[0:1]
	s_cbranch_execz .LBB394_9
; %bb.8:
	v_add_u32_e32 v8, s2, v5
	v_mov_b32_e32 v9, 0
	v_lshl_add_u64 v[8:9], v[8:9], 2, s[6:7]
	global_load_dword v7, v[8:9], off
	v_add_u32_e32 v5, 0x100, v5
.LBB394_9:
	s_or_b64 exec, exec, s[8:9]
	v_cmp_gt_i32_e64 s[0:1], s10, v5
	s_and_saveexec_b64 s[8:9], s[0:1]
	s_cbranch_execz .LBB394_11
; %bb.10:
	v_add_u32_e32 v8, s2, v5
	v_mov_b32_e32 v9, 0
	v_lshl_add_u64 v[8:9], v[8:9], 2, s[6:7]
	global_load_dword v6, v[8:9], off
.LBB394_11:
	s_or_b64 exec, exec, s[8:9]
	s_waitcnt vmcnt(0)
	v_max_f32_e32 v5, v3, v3
	v_max_f32_e32 v5, v5, v1
	v_cmp_u_f32_e64 s[0:1], v3, v3
	v_or_b32_e32 v8, 0x100, v0
	s_nop 0
	v_cndmask_b32_e64 v3, v5, v3, s[0:1]
	v_cndmask_b32_e32 v9, 0, v3, vcc
	v_max_f32_e32 v3, v4, v4
	v_max_f32_e32 v3, v3, v1
	v_cmp_u_f32_e64 s[0:1], v4, v4
	s_nop 1
	v_cndmask_b32_e64 v3, v3, v4, s[0:1]
	v_cmp_gt_i32_e64 s[0:1], s10, v8
	v_max_f32_e32 v4, v7, v7
	v_max_f32_e32 v4, v4, v1
	v_cndmask_b32_e64 v5, 0, v3, s[0:1]
	v_or_b32_e32 v3, 0x200, v0
	v_cmp_u_f32_e64 s[0:1], v7, v7
	s_nop 1
	v_cndmask_b32_e64 v4, v4, v7, s[0:1]
	v_cmp_gt_i32_e64 s[0:1], s10, v3
	v_max_f32_e32 v7, v6, v6
	v_or_b32_e32 v3, 0x300, v0
	v_cndmask_b32_e64 v4, 0, v4, s[0:1]
	v_max_f32_e32 v1, v7, v1
	v_cmp_u_f32_e64 s[0:1], v6, v6
	s_nop 1
	v_cndmask_b32_e64 v1, v1, v6, s[0:1]
	v_cmp_gt_i32_e64 s[0:1], s10, v3
	s_nop 1
	v_cndmask_b32_e64 v1, 0, v1, s[0:1]
	s_and_saveexec_b64 s[0:1], vcc
	s_cbranch_execnz .LBB394_17
; %bb.12:
	s_or_b64 exec, exec, s[0:1]
	v_cmp_gt_i32_e32 vcc, s10, v0
	s_and_saveexec_b64 s[0:1], vcc
	s_cbranch_execnz .LBB394_18
.LBB394_13:
	s_or_b64 exec, exec, s[0:1]
	v_cmp_gt_i32_e32 vcc, s10, v0
	s_and_saveexec_b64 s[0:1], vcc
	s_cbranch_execnz .LBB394_19
.LBB394_14:
	s_or_b64 exec, exec, s[0:1]
	v_cmp_gt_i32_e32 vcc, s10, v0
	s_and_saveexec_b64 s[0:1], vcc
	s_cbranch_execz .LBB394_16
.LBB394_15:
	v_add_u32_e32 v2, s2, v0
	v_mov_b32_e32 v3, 0
	v_lshl_add_u64 v[2:3], v[2:3], 2, s[4:5]
	global_store_dword v[2:3], v1, off
.LBB394_16:
	s_endpgm
.LBB394_17:
	v_mov_b32_e32 v3, 0
	v_lshl_add_u64 v[2:3], v[2:3], 2, s[4:5]
	v_mov_b32_e32 v0, v8
	global_store_dword v[2:3], v9, off
	s_or_b64 exec, exec, s[0:1]
	v_cmp_gt_i32_e32 vcc, s10, v0
	s_and_saveexec_b64 s[0:1], vcc
	s_cbranch_execz .LBB394_13
.LBB394_18:
	v_add_u32_e32 v2, s2, v0
	v_mov_b32_e32 v3, 0
	v_lshl_add_u64 v[2:3], v[2:3], 2, s[4:5]
	v_add_u32_e32 v0, 0x100, v0
	global_store_dword v[2:3], v5, off
	s_or_b64 exec, exec, s[0:1]
	v_cmp_gt_i32_e32 vcc, s10, v0
	s_and_saveexec_b64 s[0:1], vcc
	s_cbranch_execz .LBB394_14
.LBB394_19:
	v_add_u32_e32 v2, s2, v0
	v_mov_b32_e32 v3, 0
	v_lshl_add_u64 v[2:3], v[2:3], 2, s[4:5]
	v_add_u32_e32 v0, 0x100, v0
	global_store_dword v[2:3], v4, off
	s_or_b64 exec, exec, s[0:1]
	v_cmp_gt_i32_e32 vcc, s10, v0
	s_and_saveexec_b64 s[0:1], vcc
	s_cbranch_execnz .LBB394_15
	s_branch .LBB394_16
	.section	.rodata,"a",@progbits
	.p2align	6, 0x0
	.amdhsa_kernel _ZN2at6native29vectorized_elementwise_kernelILi16EZZZNS0_21clamp_min_kernel_cudaERNS_18TensorIteratorBaseERKN3c106ScalarEENKUlvE_clEvENKUlvE5_clEvEUlfE_St5arrayIPcLm2EEEEviT0_T1_
		.amdhsa_group_segment_fixed_size 0
		.amdhsa_private_segment_fixed_size 0
		.amdhsa_kernarg_size 24
		.amdhsa_user_sgpr_count 2
		.amdhsa_user_sgpr_dispatch_ptr 0
		.amdhsa_user_sgpr_queue_ptr 0
		.amdhsa_user_sgpr_kernarg_segment_ptr 1
		.amdhsa_user_sgpr_dispatch_id 0
		.amdhsa_user_sgpr_kernarg_preload_length 0
		.amdhsa_user_sgpr_kernarg_preload_offset 0
		.amdhsa_user_sgpr_private_segment_size 0
		.amdhsa_uses_dynamic_stack 0
		.amdhsa_enable_private_segment 0
		.amdhsa_system_sgpr_workgroup_id_x 1
		.amdhsa_system_sgpr_workgroup_id_y 0
		.amdhsa_system_sgpr_workgroup_id_z 0
		.amdhsa_system_sgpr_workgroup_info 0
		.amdhsa_system_vgpr_workitem_id 0
		.amdhsa_next_free_vgpr 11
		.amdhsa_next_free_sgpr 11
		.amdhsa_accum_offset 12
		.amdhsa_reserve_vcc 1
		.amdhsa_float_round_mode_32 0
		.amdhsa_float_round_mode_16_64 0
		.amdhsa_float_denorm_mode_32 3
		.amdhsa_float_denorm_mode_16_64 3
		.amdhsa_dx10_clamp 1
		.amdhsa_ieee_mode 1
		.amdhsa_fp16_overflow 0
		.amdhsa_tg_split 0
		.amdhsa_exception_fp_ieee_invalid_op 0
		.amdhsa_exception_fp_denorm_src 0
		.amdhsa_exception_fp_ieee_div_zero 0
		.amdhsa_exception_fp_ieee_overflow 0
		.amdhsa_exception_fp_ieee_underflow 0
		.amdhsa_exception_fp_ieee_inexact 0
		.amdhsa_exception_int_div_zero 0
	.end_amdhsa_kernel
	.section	.text._ZN2at6native29vectorized_elementwise_kernelILi16EZZZNS0_21clamp_min_kernel_cudaERNS_18TensorIteratorBaseERKN3c106ScalarEENKUlvE_clEvENKUlvE5_clEvEUlfE_St5arrayIPcLm2EEEEviT0_T1_,"axG",@progbits,_ZN2at6native29vectorized_elementwise_kernelILi16EZZZNS0_21clamp_min_kernel_cudaERNS_18TensorIteratorBaseERKN3c106ScalarEENKUlvE_clEvENKUlvE5_clEvEUlfE_St5arrayIPcLm2EEEEviT0_T1_,comdat
.Lfunc_end394:
	.size	_ZN2at6native29vectorized_elementwise_kernelILi16EZZZNS0_21clamp_min_kernel_cudaERNS_18TensorIteratorBaseERKN3c106ScalarEENKUlvE_clEvENKUlvE5_clEvEUlfE_St5arrayIPcLm2EEEEviT0_T1_, .Lfunc_end394-_ZN2at6native29vectorized_elementwise_kernelILi16EZZZNS0_21clamp_min_kernel_cudaERNS_18TensorIteratorBaseERKN3c106ScalarEENKUlvE_clEvENKUlvE5_clEvEUlfE_St5arrayIPcLm2EEEEviT0_T1_
                                        ; -- End function
	.set _ZN2at6native29vectorized_elementwise_kernelILi16EZZZNS0_21clamp_min_kernel_cudaERNS_18TensorIteratorBaseERKN3c106ScalarEENKUlvE_clEvENKUlvE5_clEvEUlfE_St5arrayIPcLm2EEEEviT0_T1_.num_vgpr, 11
	.set _ZN2at6native29vectorized_elementwise_kernelILi16EZZZNS0_21clamp_min_kernel_cudaERNS_18TensorIteratorBaseERKN3c106ScalarEENKUlvE_clEvENKUlvE5_clEvEUlfE_St5arrayIPcLm2EEEEviT0_T1_.num_agpr, 0
	.set _ZN2at6native29vectorized_elementwise_kernelILi16EZZZNS0_21clamp_min_kernel_cudaERNS_18TensorIteratorBaseERKN3c106ScalarEENKUlvE_clEvENKUlvE5_clEvEUlfE_St5arrayIPcLm2EEEEviT0_T1_.numbered_sgpr, 11
	.set _ZN2at6native29vectorized_elementwise_kernelILi16EZZZNS0_21clamp_min_kernel_cudaERNS_18TensorIteratorBaseERKN3c106ScalarEENKUlvE_clEvENKUlvE5_clEvEUlfE_St5arrayIPcLm2EEEEviT0_T1_.num_named_barrier, 0
	.set _ZN2at6native29vectorized_elementwise_kernelILi16EZZZNS0_21clamp_min_kernel_cudaERNS_18TensorIteratorBaseERKN3c106ScalarEENKUlvE_clEvENKUlvE5_clEvEUlfE_St5arrayIPcLm2EEEEviT0_T1_.private_seg_size, 0
	.set _ZN2at6native29vectorized_elementwise_kernelILi16EZZZNS0_21clamp_min_kernel_cudaERNS_18TensorIteratorBaseERKN3c106ScalarEENKUlvE_clEvENKUlvE5_clEvEUlfE_St5arrayIPcLm2EEEEviT0_T1_.uses_vcc, 1
	.set _ZN2at6native29vectorized_elementwise_kernelILi16EZZZNS0_21clamp_min_kernel_cudaERNS_18TensorIteratorBaseERKN3c106ScalarEENKUlvE_clEvENKUlvE5_clEvEUlfE_St5arrayIPcLm2EEEEviT0_T1_.uses_flat_scratch, 0
	.set _ZN2at6native29vectorized_elementwise_kernelILi16EZZZNS0_21clamp_min_kernel_cudaERNS_18TensorIteratorBaseERKN3c106ScalarEENKUlvE_clEvENKUlvE5_clEvEUlfE_St5arrayIPcLm2EEEEviT0_T1_.has_dyn_sized_stack, 0
	.set _ZN2at6native29vectorized_elementwise_kernelILi16EZZZNS0_21clamp_min_kernel_cudaERNS_18TensorIteratorBaseERKN3c106ScalarEENKUlvE_clEvENKUlvE5_clEvEUlfE_St5arrayIPcLm2EEEEviT0_T1_.has_recursion, 0
	.set _ZN2at6native29vectorized_elementwise_kernelILi16EZZZNS0_21clamp_min_kernel_cudaERNS_18TensorIteratorBaseERKN3c106ScalarEENKUlvE_clEvENKUlvE5_clEvEUlfE_St5arrayIPcLm2EEEEviT0_T1_.has_indirect_call, 0
	.section	.AMDGPU.csdata,"",@progbits
; Kernel info:
; codeLenInByte = 816
; TotalNumSgprs: 17
; NumVgprs: 11
; NumAgprs: 0
; TotalNumVgprs: 11
; ScratchSize: 0
; MemoryBound: 0
; FloatMode: 240
; IeeeMode: 1
; LDSByteSize: 0 bytes/workgroup (compile time only)
; SGPRBlocks: 2
; VGPRBlocks: 1
; NumSGPRsForWavesPerEU: 17
; NumVGPRsForWavesPerEU: 11
; AccumOffset: 12
; Occupancy: 8
; WaveLimiterHint : 0
; COMPUTE_PGM_RSRC2:SCRATCH_EN: 0
; COMPUTE_PGM_RSRC2:USER_SGPR: 2
; COMPUTE_PGM_RSRC2:TRAP_HANDLER: 0
; COMPUTE_PGM_RSRC2:TGID_X_EN: 1
; COMPUTE_PGM_RSRC2:TGID_Y_EN: 0
; COMPUTE_PGM_RSRC2:TGID_Z_EN: 0
; COMPUTE_PGM_RSRC2:TIDIG_COMP_CNT: 0
; COMPUTE_PGM_RSRC3_GFX90A:ACCUM_OFFSET: 2
; COMPUTE_PGM_RSRC3_GFX90A:TG_SPLIT: 0
	.section	.text._ZN2at6native29vectorized_elementwise_kernelILi8EZZZNS0_21clamp_min_kernel_cudaERNS_18TensorIteratorBaseERKN3c106ScalarEENKUlvE_clEvENKUlvE5_clEvEUlfE_St5arrayIPcLm2EEEEviT0_T1_,"axG",@progbits,_ZN2at6native29vectorized_elementwise_kernelILi8EZZZNS0_21clamp_min_kernel_cudaERNS_18TensorIteratorBaseERKN3c106ScalarEENKUlvE_clEvENKUlvE5_clEvEUlfE_St5arrayIPcLm2EEEEviT0_T1_,comdat
	.globl	_ZN2at6native29vectorized_elementwise_kernelILi8EZZZNS0_21clamp_min_kernel_cudaERNS_18TensorIteratorBaseERKN3c106ScalarEENKUlvE_clEvENKUlvE5_clEvEUlfE_St5arrayIPcLm2EEEEviT0_T1_ ; -- Begin function _ZN2at6native29vectorized_elementwise_kernelILi8EZZZNS0_21clamp_min_kernel_cudaERNS_18TensorIteratorBaseERKN3c106ScalarEENKUlvE_clEvENKUlvE5_clEvEUlfE_St5arrayIPcLm2EEEEviT0_T1_
	.p2align	8
	.type	_ZN2at6native29vectorized_elementwise_kernelILi8EZZZNS0_21clamp_min_kernel_cudaERNS_18TensorIteratorBaseERKN3c106ScalarEENKUlvE_clEvENKUlvE5_clEvEUlfE_St5arrayIPcLm2EEEEviT0_T1_,@function
_ZN2at6native29vectorized_elementwise_kernelILi8EZZZNS0_21clamp_min_kernel_cudaERNS_18TensorIteratorBaseERKN3c106ScalarEENKUlvE_clEvENKUlvE5_clEvEUlfE_St5arrayIPcLm2EEEEviT0_T1_: ; @_ZN2at6native29vectorized_elementwise_kernelILi8EZZZNS0_21clamp_min_kernel_cudaERNS_18TensorIteratorBaseERKN3c106ScalarEENKUlvE_clEvENKUlvE5_clEvEUlfE_St5arrayIPcLm2EEEEviT0_T1_
; %bb.0:
	s_load_dwordx2 s[8:9], s[0:1], 0x0
	s_load_dwordx4 s[4:7], s[0:1], 0x8
	s_lshl_b32 s2, s2, 10
	s_mov_b64 s[0:1], -1
	s_waitcnt lgkmcnt(0)
	s_sub_i32 s10, s8, s2
	s_cmpk_gt_i32 s10, 0x3ff
	v_max_f32_e64 v1, s9, s9
	s_cbranch_scc0 .LBB395_2
; %bb.1:
	s_ashr_i32 s3, s2, 31
	s_lshl_b64 s[0:1], s[2:3], 2
	s_add_u32 s8, s6, s0
	s_addc_u32 s9, s7, s1
	v_lshlrev_b32_e32 v6, 4, v0
	global_load_dwordx4 v[2:5], v6, s[8:9]
	s_add_u32 s0, s4, s0
	s_addc_u32 s1, s5, s1
	s_waitcnt vmcnt(0)
	v_max_f32_e32 v8, v3, v3
	v_max_f32_e32 v7, v2, v2
	;; [unrolled: 1-line block ×3, first 2 shown]
	v_cmp_u_f32_e32 vcc, v3, v3
	v_max_f32_e32 v10, v5, v5
	v_max_f32_e32 v7, v7, v1
	v_cndmask_b32_e32 v3, v8, v3, vcc
	v_cmp_u_f32_e32 vcc, v2, v2
	v_max_f32_e32 v9, v4, v4
	v_max_f32_e32 v10, v10, v1
	v_cndmask_b32_e32 v2, v7, v2, vcc
	v_cmp_u_f32_e32 vcc, v5, v5
	v_max_f32_e32 v9, v9, v1
	s_nop 0
	v_cndmask_b32_e32 v5, v10, v5, vcc
	v_cmp_u_f32_e32 vcc, v4, v4
	s_nop 1
	v_cndmask_b32_e32 v4, v9, v4, vcc
	global_store_dwordx4 v6, v[2:5], s[0:1]
	s_mov_b64 s[0:1], 0
.LBB395_2:
	s_andn2_b64 vcc, exec, s[0:1]
	s_cbranch_vccnz .LBB395_16
; %bb.3:
	v_cmp_gt_i32_e32 vcc, s10, v0
	v_mov_b32_e32 v4, 0
	v_or_b32_e32 v2, s2, v0
	v_mov_b32_e32 v3, 0
	v_mov_b32_e32 v5, v0
	s_and_saveexec_b64 s[0:1], vcc
	s_cbranch_execz .LBB395_5
; %bb.4:
	v_mov_b32_e32 v3, 0
	v_lshl_add_u64 v[6:7], v[2:3], 2, s[6:7]
	global_load_dword v3, v[6:7], off
	v_or_b32_e32 v5, 0x100, v0
.LBB395_5:
	s_or_b64 exec, exec, s[0:1]
	v_cmp_gt_i32_e64 s[0:1], s10, v5
	s_and_saveexec_b64 s[8:9], s[0:1]
	s_cbranch_execz .LBB395_7
; %bb.6:
	v_add_u32_e32 v6, s2, v5
	v_mov_b32_e32 v7, 0
	v_lshl_add_u64 v[6:7], v[6:7], 2, s[6:7]
	global_load_dword v4, v[6:7], off
	v_add_u32_e32 v5, 0x100, v5
.LBB395_7:
	s_or_b64 exec, exec, s[8:9]
	v_cmp_gt_i32_e64 s[0:1], s10, v5
	v_mov_b32_e32 v6, 0
	v_mov_b32_e32 v7, 0
	s_and_saveexec_b64 s[8:9], s[0:1]
	s_cbranch_execz .LBB395_9
; %bb.8:
	v_add_u32_e32 v8, s2, v5
	v_mov_b32_e32 v9, 0
	v_lshl_add_u64 v[8:9], v[8:9], 2, s[6:7]
	global_load_dword v7, v[8:9], off
	v_add_u32_e32 v5, 0x100, v5
.LBB395_9:
	s_or_b64 exec, exec, s[8:9]
	v_cmp_gt_i32_e64 s[0:1], s10, v5
	s_and_saveexec_b64 s[8:9], s[0:1]
	s_cbranch_execz .LBB395_11
; %bb.10:
	v_add_u32_e32 v8, s2, v5
	v_mov_b32_e32 v9, 0
	v_lshl_add_u64 v[8:9], v[8:9], 2, s[6:7]
	global_load_dword v6, v[8:9], off
.LBB395_11:
	s_or_b64 exec, exec, s[8:9]
	s_waitcnt vmcnt(0)
	v_max_f32_e32 v5, v3, v3
	v_max_f32_e32 v5, v5, v1
	v_cmp_u_f32_e64 s[0:1], v3, v3
	v_or_b32_e32 v8, 0x100, v0
	s_nop 0
	v_cndmask_b32_e64 v3, v5, v3, s[0:1]
	v_cndmask_b32_e32 v9, 0, v3, vcc
	v_max_f32_e32 v3, v4, v4
	v_max_f32_e32 v3, v3, v1
	v_cmp_u_f32_e64 s[0:1], v4, v4
	s_nop 1
	v_cndmask_b32_e64 v3, v3, v4, s[0:1]
	v_cmp_gt_i32_e64 s[0:1], s10, v8
	v_max_f32_e32 v4, v7, v7
	v_max_f32_e32 v4, v4, v1
	v_cndmask_b32_e64 v5, 0, v3, s[0:1]
	v_or_b32_e32 v3, 0x200, v0
	v_cmp_u_f32_e64 s[0:1], v7, v7
	s_nop 1
	v_cndmask_b32_e64 v4, v4, v7, s[0:1]
	v_cmp_gt_i32_e64 s[0:1], s10, v3
	v_max_f32_e32 v7, v6, v6
	v_or_b32_e32 v3, 0x300, v0
	v_cndmask_b32_e64 v4, 0, v4, s[0:1]
	v_max_f32_e32 v1, v7, v1
	v_cmp_u_f32_e64 s[0:1], v6, v6
	s_nop 1
	v_cndmask_b32_e64 v1, v1, v6, s[0:1]
	v_cmp_gt_i32_e64 s[0:1], s10, v3
	s_nop 1
	v_cndmask_b32_e64 v1, 0, v1, s[0:1]
	s_and_saveexec_b64 s[0:1], vcc
	s_cbranch_execnz .LBB395_17
; %bb.12:
	s_or_b64 exec, exec, s[0:1]
	v_cmp_gt_i32_e32 vcc, s10, v0
	s_and_saveexec_b64 s[0:1], vcc
	s_cbranch_execnz .LBB395_18
.LBB395_13:
	s_or_b64 exec, exec, s[0:1]
	v_cmp_gt_i32_e32 vcc, s10, v0
	s_and_saveexec_b64 s[0:1], vcc
	s_cbranch_execnz .LBB395_19
.LBB395_14:
	s_or_b64 exec, exec, s[0:1]
	v_cmp_gt_i32_e32 vcc, s10, v0
	s_and_saveexec_b64 s[0:1], vcc
	s_cbranch_execz .LBB395_16
.LBB395_15:
	v_add_u32_e32 v2, s2, v0
	v_mov_b32_e32 v3, 0
	v_lshl_add_u64 v[2:3], v[2:3], 2, s[4:5]
	global_store_dword v[2:3], v1, off
.LBB395_16:
	s_endpgm
.LBB395_17:
	v_mov_b32_e32 v3, 0
	v_lshl_add_u64 v[2:3], v[2:3], 2, s[4:5]
	v_mov_b32_e32 v0, v8
	global_store_dword v[2:3], v9, off
	s_or_b64 exec, exec, s[0:1]
	v_cmp_gt_i32_e32 vcc, s10, v0
	s_and_saveexec_b64 s[0:1], vcc
	s_cbranch_execz .LBB395_13
.LBB395_18:
	v_add_u32_e32 v2, s2, v0
	v_mov_b32_e32 v3, 0
	v_lshl_add_u64 v[2:3], v[2:3], 2, s[4:5]
	v_add_u32_e32 v0, 0x100, v0
	global_store_dword v[2:3], v5, off
	s_or_b64 exec, exec, s[0:1]
	v_cmp_gt_i32_e32 vcc, s10, v0
	s_and_saveexec_b64 s[0:1], vcc
	s_cbranch_execz .LBB395_14
.LBB395_19:
	v_add_u32_e32 v2, s2, v0
	v_mov_b32_e32 v3, 0
	v_lshl_add_u64 v[2:3], v[2:3], 2, s[4:5]
	v_add_u32_e32 v0, 0x100, v0
	global_store_dword v[2:3], v4, off
	s_or_b64 exec, exec, s[0:1]
	v_cmp_gt_i32_e32 vcc, s10, v0
	s_and_saveexec_b64 s[0:1], vcc
	s_cbranch_execnz .LBB395_15
	s_branch .LBB395_16
	.section	.rodata,"a",@progbits
	.p2align	6, 0x0
	.amdhsa_kernel _ZN2at6native29vectorized_elementwise_kernelILi8EZZZNS0_21clamp_min_kernel_cudaERNS_18TensorIteratorBaseERKN3c106ScalarEENKUlvE_clEvENKUlvE5_clEvEUlfE_St5arrayIPcLm2EEEEviT0_T1_
		.amdhsa_group_segment_fixed_size 0
		.amdhsa_private_segment_fixed_size 0
		.amdhsa_kernarg_size 24
		.amdhsa_user_sgpr_count 2
		.amdhsa_user_sgpr_dispatch_ptr 0
		.amdhsa_user_sgpr_queue_ptr 0
		.amdhsa_user_sgpr_kernarg_segment_ptr 1
		.amdhsa_user_sgpr_dispatch_id 0
		.amdhsa_user_sgpr_kernarg_preload_length 0
		.amdhsa_user_sgpr_kernarg_preload_offset 0
		.amdhsa_user_sgpr_private_segment_size 0
		.amdhsa_uses_dynamic_stack 0
		.amdhsa_enable_private_segment 0
		.amdhsa_system_sgpr_workgroup_id_x 1
		.amdhsa_system_sgpr_workgroup_id_y 0
		.amdhsa_system_sgpr_workgroup_id_z 0
		.amdhsa_system_sgpr_workgroup_info 0
		.amdhsa_system_vgpr_workitem_id 0
		.amdhsa_next_free_vgpr 11
		.amdhsa_next_free_sgpr 11
		.amdhsa_accum_offset 12
		.amdhsa_reserve_vcc 1
		.amdhsa_float_round_mode_32 0
		.amdhsa_float_round_mode_16_64 0
		.amdhsa_float_denorm_mode_32 3
		.amdhsa_float_denorm_mode_16_64 3
		.amdhsa_dx10_clamp 1
		.amdhsa_ieee_mode 1
		.amdhsa_fp16_overflow 0
		.amdhsa_tg_split 0
		.amdhsa_exception_fp_ieee_invalid_op 0
		.amdhsa_exception_fp_denorm_src 0
		.amdhsa_exception_fp_ieee_div_zero 0
		.amdhsa_exception_fp_ieee_overflow 0
		.amdhsa_exception_fp_ieee_underflow 0
		.amdhsa_exception_fp_ieee_inexact 0
		.amdhsa_exception_int_div_zero 0
	.end_amdhsa_kernel
	.section	.text._ZN2at6native29vectorized_elementwise_kernelILi8EZZZNS0_21clamp_min_kernel_cudaERNS_18TensorIteratorBaseERKN3c106ScalarEENKUlvE_clEvENKUlvE5_clEvEUlfE_St5arrayIPcLm2EEEEviT0_T1_,"axG",@progbits,_ZN2at6native29vectorized_elementwise_kernelILi8EZZZNS0_21clamp_min_kernel_cudaERNS_18TensorIteratorBaseERKN3c106ScalarEENKUlvE_clEvENKUlvE5_clEvEUlfE_St5arrayIPcLm2EEEEviT0_T1_,comdat
.Lfunc_end395:
	.size	_ZN2at6native29vectorized_elementwise_kernelILi8EZZZNS0_21clamp_min_kernel_cudaERNS_18TensorIteratorBaseERKN3c106ScalarEENKUlvE_clEvENKUlvE5_clEvEUlfE_St5arrayIPcLm2EEEEviT0_T1_, .Lfunc_end395-_ZN2at6native29vectorized_elementwise_kernelILi8EZZZNS0_21clamp_min_kernel_cudaERNS_18TensorIteratorBaseERKN3c106ScalarEENKUlvE_clEvENKUlvE5_clEvEUlfE_St5arrayIPcLm2EEEEviT0_T1_
                                        ; -- End function
	.set _ZN2at6native29vectorized_elementwise_kernelILi8EZZZNS0_21clamp_min_kernel_cudaERNS_18TensorIteratorBaseERKN3c106ScalarEENKUlvE_clEvENKUlvE5_clEvEUlfE_St5arrayIPcLm2EEEEviT0_T1_.num_vgpr, 11
	.set _ZN2at6native29vectorized_elementwise_kernelILi8EZZZNS0_21clamp_min_kernel_cudaERNS_18TensorIteratorBaseERKN3c106ScalarEENKUlvE_clEvENKUlvE5_clEvEUlfE_St5arrayIPcLm2EEEEviT0_T1_.num_agpr, 0
	.set _ZN2at6native29vectorized_elementwise_kernelILi8EZZZNS0_21clamp_min_kernel_cudaERNS_18TensorIteratorBaseERKN3c106ScalarEENKUlvE_clEvENKUlvE5_clEvEUlfE_St5arrayIPcLm2EEEEviT0_T1_.numbered_sgpr, 11
	.set _ZN2at6native29vectorized_elementwise_kernelILi8EZZZNS0_21clamp_min_kernel_cudaERNS_18TensorIteratorBaseERKN3c106ScalarEENKUlvE_clEvENKUlvE5_clEvEUlfE_St5arrayIPcLm2EEEEviT0_T1_.num_named_barrier, 0
	.set _ZN2at6native29vectorized_elementwise_kernelILi8EZZZNS0_21clamp_min_kernel_cudaERNS_18TensorIteratorBaseERKN3c106ScalarEENKUlvE_clEvENKUlvE5_clEvEUlfE_St5arrayIPcLm2EEEEviT0_T1_.private_seg_size, 0
	.set _ZN2at6native29vectorized_elementwise_kernelILi8EZZZNS0_21clamp_min_kernel_cudaERNS_18TensorIteratorBaseERKN3c106ScalarEENKUlvE_clEvENKUlvE5_clEvEUlfE_St5arrayIPcLm2EEEEviT0_T1_.uses_vcc, 1
	.set _ZN2at6native29vectorized_elementwise_kernelILi8EZZZNS0_21clamp_min_kernel_cudaERNS_18TensorIteratorBaseERKN3c106ScalarEENKUlvE_clEvENKUlvE5_clEvEUlfE_St5arrayIPcLm2EEEEviT0_T1_.uses_flat_scratch, 0
	.set _ZN2at6native29vectorized_elementwise_kernelILi8EZZZNS0_21clamp_min_kernel_cudaERNS_18TensorIteratorBaseERKN3c106ScalarEENKUlvE_clEvENKUlvE5_clEvEUlfE_St5arrayIPcLm2EEEEviT0_T1_.has_dyn_sized_stack, 0
	.set _ZN2at6native29vectorized_elementwise_kernelILi8EZZZNS0_21clamp_min_kernel_cudaERNS_18TensorIteratorBaseERKN3c106ScalarEENKUlvE_clEvENKUlvE5_clEvEUlfE_St5arrayIPcLm2EEEEviT0_T1_.has_recursion, 0
	.set _ZN2at6native29vectorized_elementwise_kernelILi8EZZZNS0_21clamp_min_kernel_cudaERNS_18TensorIteratorBaseERKN3c106ScalarEENKUlvE_clEvENKUlvE5_clEvEUlfE_St5arrayIPcLm2EEEEviT0_T1_.has_indirect_call, 0
	.section	.AMDGPU.csdata,"",@progbits
; Kernel info:
; codeLenInByte = 816
; TotalNumSgprs: 17
; NumVgprs: 11
; NumAgprs: 0
; TotalNumVgprs: 11
; ScratchSize: 0
; MemoryBound: 0
; FloatMode: 240
; IeeeMode: 1
; LDSByteSize: 0 bytes/workgroup (compile time only)
; SGPRBlocks: 2
; VGPRBlocks: 1
; NumSGPRsForWavesPerEU: 17
; NumVGPRsForWavesPerEU: 11
; AccumOffset: 12
; Occupancy: 8
; WaveLimiterHint : 0
; COMPUTE_PGM_RSRC2:SCRATCH_EN: 0
; COMPUTE_PGM_RSRC2:USER_SGPR: 2
; COMPUTE_PGM_RSRC2:TRAP_HANDLER: 0
; COMPUTE_PGM_RSRC2:TGID_X_EN: 1
; COMPUTE_PGM_RSRC2:TGID_Y_EN: 0
; COMPUTE_PGM_RSRC2:TGID_Z_EN: 0
; COMPUTE_PGM_RSRC2:TIDIG_COMP_CNT: 0
; COMPUTE_PGM_RSRC3_GFX90A:ACCUM_OFFSET: 2
; COMPUTE_PGM_RSRC3_GFX90A:TG_SPLIT: 0
	.section	.text._ZN2at6native29vectorized_elementwise_kernelILi4EZZZNS0_21clamp_min_kernel_cudaERNS_18TensorIteratorBaseERKN3c106ScalarEENKUlvE_clEvENKUlvE5_clEvEUlfE_St5arrayIPcLm2EEEEviT0_T1_,"axG",@progbits,_ZN2at6native29vectorized_elementwise_kernelILi4EZZZNS0_21clamp_min_kernel_cudaERNS_18TensorIteratorBaseERKN3c106ScalarEENKUlvE_clEvENKUlvE5_clEvEUlfE_St5arrayIPcLm2EEEEviT0_T1_,comdat
	.globl	_ZN2at6native29vectorized_elementwise_kernelILi4EZZZNS0_21clamp_min_kernel_cudaERNS_18TensorIteratorBaseERKN3c106ScalarEENKUlvE_clEvENKUlvE5_clEvEUlfE_St5arrayIPcLm2EEEEviT0_T1_ ; -- Begin function _ZN2at6native29vectorized_elementwise_kernelILi4EZZZNS0_21clamp_min_kernel_cudaERNS_18TensorIteratorBaseERKN3c106ScalarEENKUlvE_clEvENKUlvE5_clEvEUlfE_St5arrayIPcLm2EEEEviT0_T1_
	.p2align	8
	.type	_ZN2at6native29vectorized_elementwise_kernelILi4EZZZNS0_21clamp_min_kernel_cudaERNS_18TensorIteratorBaseERKN3c106ScalarEENKUlvE_clEvENKUlvE5_clEvEUlfE_St5arrayIPcLm2EEEEviT0_T1_,@function
_ZN2at6native29vectorized_elementwise_kernelILi4EZZZNS0_21clamp_min_kernel_cudaERNS_18TensorIteratorBaseERKN3c106ScalarEENKUlvE_clEvENKUlvE5_clEvEUlfE_St5arrayIPcLm2EEEEviT0_T1_: ; @_ZN2at6native29vectorized_elementwise_kernelILi4EZZZNS0_21clamp_min_kernel_cudaERNS_18TensorIteratorBaseERKN3c106ScalarEENKUlvE_clEvENKUlvE5_clEvEUlfE_St5arrayIPcLm2EEEEviT0_T1_
; %bb.0:
	s_load_dwordx2 s[8:9], s[0:1], 0x0
	s_load_dwordx4 s[4:7], s[0:1], 0x8
	s_lshl_b32 s2, s2, 10
	s_mov_b64 s[0:1], -1
	s_waitcnt lgkmcnt(0)
	s_sub_i32 s10, s8, s2
	s_cmpk_gt_i32 s10, 0x3ff
	v_max_f32_e64 v1, s9, s9
	s_cbranch_scc0 .LBB396_2
; %bb.1:
	s_ashr_i32 s3, s2, 31
	s_lshl_b64 s[0:1], s[2:3], 2
	s_add_u32 s8, s6, s0
	s_addc_u32 s9, s7, s1
	v_lshlrev_b32_e32 v6, 4, v0
	global_load_dwordx4 v[2:5], v6, s[8:9]
	s_add_u32 s0, s4, s0
	s_addc_u32 s1, s5, s1
	s_waitcnt vmcnt(0)
	v_max_f32_e32 v8, v3, v3
	v_max_f32_e32 v7, v2, v2
	;; [unrolled: 1-line block ×3, first 2 shown]
	v_cmp_u_f32_e32 vcc, v3, v3
	v_max_f32_e32 v10, v5, v5
	v_max_f32_e32 v7, v7, v1
	v_cndmask_b32_e32 v3, v8, v3, vcc
	v_cmp_u_f32_e32 vcc, v2, v2
	v_max_f32_e32 v9, v4, v4
	v_max_f32_e32 v10, v10, v1
	v_cndmask_b32_e32 v2, v7, v2, vcc
	v_cmp_u_f32_e32 vcc, v5, v5
	v_max_f32_e32 v9, v9, v1
	s_nop 0
	v_cndmask_b32_e32 v5, v10, v5, vcc
	v_cmp_u_f32_e32 vcc, v4, v4
	s_nop 1
	v_cndmask_b32_e32 v4, v9, v4, vcc
	global_store_dwordx4 v6, v[2:5], s[0:1]
	s_mov_b64 s[0:1], 0
.LBB396_2:
	s_andn2_b64 vcc, exec, s[0:1]
	s_cbranch_vccnz .LBB396_16
; %bb.3:
	v_cmp_gt_i32_e32 vcc, s10, v0
	v_mov_b32_e32 v4, 0
	v_or_b32_e32 v2, s2, v0
	v_mov_b32_e32 v3, 0
	v_mov_b32_e32 v5, v0
	s_and_saveexec_b64 s[0:1], vcc
	s_cbranch_execz .LBB396_5
; %bb.4:
	v_mov_b32_e32 v3, 0
	v_lshl_add_u64 v[6:7], v[2:3], 2, s[6:7]
	global_load_dword v3, v[6:7], off
	v_or_b32_e32 v5, 0x100, v0
.LBB396_5:
	s_or_b64 exec, exec, s[0:1]
	v_cmp_gt_i32_e64 s[0:1], s10, v5
	s_and_saveexec_b64 s[8:9], s[0:1]
	s_cbranch_execz .LBB396_7
; %bb.6:
	v_add_u32_e32 v6, s2, v5
	v_mov_b32_e32 v7, 0
	v_lshl_add_u64 v[6:7], v[6:7], 2, s[6:7]
	global_load_dword v4, v[6:7], off
	v_add_u32_e32 v5, 0x100, v5
.LBB396_7:
	s_or_b64 exec, exec, s[8:9]
	v_cmp_gt_i32_e64 s[0:1], s10, v5
	v_mov_b32_e32 v6, 0
	v_mov_b32_e32 v7, 0
	s_and_saveexec_b64 s[8:9], s[0:1]
	s_cbranch_execz .LBB396_9
; %bb.8:
	v_add_u32_e32 v8, s2, v5
	v_mov_b32_e32 v9, 0
	v_lshl_add_u64 v[8:9], v[8:9], 2, s[6:7]
	global_load_dword v7, v[8:9], off
	v_add_u32_e32 v5, 0x100, v5
.LBB396_9:
	s_or_b64 exec, exec, s[8:9]
	v_cmp_gt_i32_e64 s[0:1], s10, v5
	s_and_saveexec_b64 s[8:9], s[0:1]
	s_cbranch_execz .LBB396_11
; %bb.10:
	v_add_u32_e32 v8, s2, v5
	v_mov_b32_e32 v9, 0
	v_lshl_add_u64 v[8:9], v[8:9], 2, s[6:7]
	global_load_dword v6, v[8:9], off
.LBB396_11:
	s_or_b64 exec, exec, s[8:9]
	s_waitcnt vmcnt(0)
	v_max_f32_e32 v5, v3, v3
	v_max_f32_e32 v5, v5, v1
	v_cmp_u_f32_e64 s[0:1], v3, v3
	v_or_b32_e32 v8, 0x100, v0
	s_nop 0
	v_cndmask_b32_e64 v3, v5, v3, s[0:1]
	v_cndmask_b32_e32 v9, 0, v3, vcc
	v_max_f32_e32 v3, v4, v4
	v_max_f32_e32 v3, v3, v1
	v_cmp_u_f32_e64 s[0:1], v4, v4
	s_nop 1
	v_cndmask_b32_e64 v3, v3, v4, s[0:1]
	v_cmp_gt_i32_e64 s[0:1], s10, v8
	v_max_f32_e32 v4, v7, v7
	v_max_f32_e32 v4, v4, v1
	v_cndmask_b32_e64 v5, 0, v3, s[0:1]
	v_or_b32_e32 v3, 0x200, v0
	v_cmp_u_f32_e64 s[0:1], v7, v7
	s_nop 1
	v_cndmask_b32_e64 v4, v4, v7, s[0:1]
	v_cmp_gt_i32_e64 s[0:1], s10, v3
	v_max_f32_e32 v7, v6, v6
	v_or_b32_e32 v3, 0x300, v0
	v_cndmask_b32_e64 v4, 0, v4, s[0:1]
	v_max_f32_e32 v1, v7, v1
	v_cmp_u_f32_e64 s[0:1], v6, v6
	s_nop 1
	v_cndmask_b32_e64 v1, v1, v6, s[0:1]
	v_cmp_gt_i32_e64 s[0:1], s10, v3
	s_nop 1
	v_cndmask_b32_e64 v1, 0, v1, s[0:1]
	s_and_saveexec_b64 s[0:1], vcc
	s_cbranch_execnz .LBB396_17
; %bb.12:
	s_or_b64 exec, exec, s[0:1]
	v_cmp_gt_i32_e32 vcc, s10, v0
	s_and_saveexec_b64 s[0:1], vcc
	s_cbranch_execnz .LBB396_18
.LBB396_13:
	s_or_b64 exec, exec, s[0:1]
	v_cmp_gt_i32_e32 vcc, s10, v0
	s_and_saveexec_b64 s[0:1], vcc
	s_cbranch_execnz .LBB396_19
.LBB396_14:
	s_or_b64 exec, exec, s[0:1]
	v_cmp_gt_i32_e32 vcc, s10, v0
	s_and_saveexec_b64 s[0:1], vcc
	s_cbranch_execz .LBB396_16
.LBB396_15:
	v_add_u32_e32 v2, s2, v0
	v_mov_b32_e32 v3, 0
	v_lshl_add_u64 v[2:3], v[2:3], 2, s[4:5]
	global_store_dword v[2:3], v1, off
.LBB396_16:
	s_endpgm
.LBB396_17:
	v_mov_b32_e32 v3, 0
	v_lshl_add_u64 v[2:3], v[2:3], 2, s[4:5]
	v_mov_b32_e32 v0, v8
	global_store_dword v[2:3], v9, off
	s_or_b64 exec, exec, s[0:1]
	v_cmp_gt_i32_e32 vcc, s10, v0
	s_and_saveexec_b64 s[0:1], vcc
	s_cbranch_execz .LBB396_13
.LBB396_18:
	v_add_u32_e32 v2, s2, v0
	v_mov_b32_e32 v3, 0
	v_lshl_add_u64 v[2:3], v[2:3], 2, s[4:5]
	v_add_u32_e32 v0, 0x100, v0
	global_store_dword v[2:3], v5, off
	s_or_b64 exec, exec, s[0:1]
	v_cmp_gt_i32_e32 vcc, s10, v0
	s_and_saveexec_b64 s[0:1], vcc
	s_cbranch_execz .LBB396_14
.LBB396_19:
	v_add_u32_e32 v2, s2, v0
	v_mov_b32_e32 v3, 0
	v_lshl_add_u64 v[2:3], v[2:3], 2, s[4:5]
	v_add_u32_e32 v0, 0x100, v0
	global_store_dword v[2:3], v4, off
	s_or_b64 exec, exec, s[0:1]
	v_cmp_gt_i32_e32 vcc, s10, v0
	s_and_saveexec_b64 s[0:1], vcc
	s_cbranch_execnz .LBB396_15
	s_branch .LBB396_16
	.section	.rodata,"a",@progbits
	.p2align	6, 0x0
	.amdhsa_kernel _ZN2at6native29vectorized_elementwise_kernelILi4EZZZNS0_21clamp_min_kernel_cudaERNS_18TensorIteratorBaseERKN3c106ScalarEENKUlvE_clEvENKUlvE5_clEvEUlfE_St5arrayIPcLm2EEEEviT0_T1_
		.amdhsa_group_segment_fixed_size 0
		.amdhsa_private_segment_fixed_size 0
		.amdhsa_kernarg_size 24
		.amdhsa_user_sgpr_count 2
		.amdhsa_user_sgpr_dispatch_ptr 0
		.amdhsa_user_sgpr_queue_ptr 0
		.amdhsa_user_sgpr_kernarg_segment_ptr 1
		.amdhsa_user_sgpr_dispatch_id 0
		.amdhsa_user_sgpr_kernarg_preload_length 0
		.amdhsa_user_sgpr_kernarg_preload_offset 0
		.amdhsa_user_sgpr_private_segment_size 0
		.amdhsa_uses_dynamic_stack 0
		.amdhsa_enable_private_segment 0
		.amdhsa_system_sgpr_workgroup_id_x 1
		.amdhsa_system_sgpr_workgroup_id_y 0
		.amdhsa_system_sgpr_workgroup_id_z 0
		.amdhsa_system_sgpr_workgroup_info 0
		.amdhsa_system_vgpr_workitem_id 0
		.amdhsa_next_free_vgpr 11
		.amdhsa_next_free_sgpr 11
		.amdhsa_accum_offset 12
		.amdhsa_reserve_vcc 1
		.amdhsa_float_round_mode_32 0
		.amdhsa_float_round_mode_16_64 0
		.amdhsa_float_denorm_mode_32 3
		.amdhsa_float_denorm_mode_16_64 3
		.amdhsa_dx10_clamp 1
		.amdhsa_ieee_mode 1
		.amdhsa_fp16_overflow 0
		.amdhsa_tg_split 0
		.amdhsa_exception_fp_ieee_invalid_op 0
		.amdhsa_exception_fp_denorm_src 0
		.amdhsa_exception_fp_ieee_div_zero 0
		.amdhsa_exception_fp_ieee_overflow 0
		.amdhsa_exception_fp_ieee_underflow 0
		.amdhsa_exception_fp_ieee_inexact 0
		.amdhsa_exception_int_div_zero 0
	.end_amdhsa_kernel
	.section	.text._ZN2at6native29vectorized_elementwise_kernelILi4EZZZNS0_21clamp_min_kernel_cudaERNS_18TensorIteratorBaseERKN3c106ScalarEENKUlvE_clEvENKUlvE5_clEvEUlfE_St5arrayIPcLm2EEEEviT0_T1_,"axG",@progbits,_ZN2at6native29vectorized_elementwise_kernelILi4EZZZNS0_21clamp_min_kernel_cudaERNS_18TensorIteratorBaseERKN3c106ScalarEENKUlvE_clEvENKUlvE5_clEvEUlfE_St5arrayIPcLm2EEEEviT0_T1_,comdat
.Lfunc_end396:
	.size	_ZN2at6native29vectorized_elementwise_kernelILi4EZZZNS0_21clamp_min_kernel_cudaERNS_18TensorIteratorBaseERKN3c106ScalarEENKUlvE_clEvENKUlvE5_clEvEUlfE_St5arrayIPcLm2EEEEviT0_T1_, .Lfunc_end396-_ZN2at6native29vectorized_elementwise_kernelILi4EZZZNS0_21clamp_min_kernel_cudaERNS_18TensorIteratorBaseERKN3c106ScalarEENKUlvE_clEvENKUlvE5_clEvEUlfE_St5arrayIPcLm2EEEEviT0_T1_
                                        ; -- End function
	.set _ZN2at6native29vectorized_elementwise_kernelILi4EZZZNS0_21clamp_min_kernel_cudaERNS_18TensorIteratorBaseERKN3c106ScalarEENKUlvE_clEvENKUlvE5_clEvEUlfE_St5arrayIPcLm2EEEEviT0_T1_.num_vgpr, 11
	.set _ZN2at6native29vectorized_elementwise_kernelILi4EZZZNS0_21clamp_min_kernel_cudaERNS_18TensorIteratorBaseERKN3c106ScalarEENKUlvE_clEvENKUlvE5_clEvEUlfE_St5arrayIPcLm2EEEEviT0_T1_.num_agpr, 0
	.set _ZN2at6native29vectorized_elementwise_kernelILi4EZZZNS0_21clamp_min_kernel_cudaERNS_18TensorIteratorBaseERKN3c106ScalarEENKUlvE_clEvENKUlvE5_clEvEUlfE_St5arrayIPcLm2EEEEviT0_T1_.numbered_sgpr, 11
	.set _ZN2at6native29vectorized_elementwise_kernelILi4EZZZNS0_21clamp_min_kernel_cudaERNS_18TensorIteratorBaseERKN3c106ScalarEENKUlvE_clEvENKUlvE5_clEvEUlfE_St5arrayIPcLm2EEEEviT0_T1_.num_named_barrier, 0
	.set _ZN2at6native29vectorized_elementwise_kernelILi4EZZZNS0_21clamp_min_kernel_cudaERNS_18TensorIteratorBaseERKN3c106ScalarEENKUlvE_clEvENKUlvE5_clEvEUlfE_St5arrayIPcLm2EEEEviT0_T1_.private_seg_size, 0
	.set _ZN2at6native29vectorized_elementwise_kernelILi4EZZZNS0_21clamp_min_kernel_cudaERNS_18TensorIteratorBaseERKN3c106ScalarEENKUlvE_clEvENKUlvE5_clEvEUlfE_St5arrayIPcLm2EEEEviT0_T1_.uses_vcc, 1
	.set _ZN2at6native29vectorized_elementwise_kernelILi4EZZZNS0_21clamp_min_kernel_cudaERNS_18TensorIteratorBaseERKN3c106ScalarEENKUlvE_clEvENKUlvE5_clEvEUlfE_St5arrayIPcLm2EEEEviT0_T1_.uses_flat_scratch, 0
	.set _ZN2at6native29vectorized_elementwise_kernelILi4EZZZNS0_21clamp_min_kernel_cudaERNS_18TensorIteratorBaseERKN3c106ScalarEENKUlvE_clEvENKUlvE5_clEvEUlfE_St5arrayIPcLm2EEEEviT0_T1_.has_dyn_sized_stack, 0
	.set _ZN2at6native29vectorized_elementwise_kernelILi4EZZZNS0_21clamp_min_kernel_cudaERNS_18TensorIteratorBaseERKN3c106ScalarEENKUlvE_clEvENKUlvE5_clEvEUlfE_St5arrayIPcLm2EEEEviT0_T1_.has_recursion, 0
	.set _ZN2at6native29vectorized_elementwise_kernelILi4EZZZNS0_21clamp_min_kernel_cudaERNS_18TensorIteratorBaseERKN3c106ScalarEENKUlvE_clEvENKUlvE5_clEvEUlfE_St5arrayIPcLm2EEEEviT0_T1_.has_indirect_call, 0
	.section	.AMDGPU.csdata,"",@progbits
; Kernel info:
; codeLenInByte = 816
; TotalNumSgprs: 17
; NumVgprs: 11
; NumAgprs: 0
; TotalNumVgprs: 11
; ScratchSize: 0
; MemoryBound: 0
; FloatMode: 240
; IeeeMode: 1
; LDSByteSize: 0 bytes/workgroup (compile time only)
; SGPRBlocks: 2
; VGPRBlocks: 1
; NumSGPRsForWavesPerEU: 17
; NumVGPRsForWavesPerEU: 11
; AccumOffset: 12
; Occupancy: 8
; WaveLimiterHint : 0
; COMPUTE_PGM_RSRC2:SCRATCH_EN: 0
; COMPUTE_PGM_RSRC2:USER_SGPR: 2
; COMPUTE_PGM_RSRC2:TRAP_HANDLER: 0
; COMPUTE_PGM_RSRC2:TGID_X_EN: 1
; COMPUTE_PGM_RSRC2:TGID_Y_EN: 0
; COMPUTE_PGM_RSRC2:TGID_Z_EN: 0
; COMPUTE_PGM_RSRC2:TIDIG_COMP_CNT: 0
; COMPUTE_PGM_RSRC3_GFX90A:ACCUM_OFFSET: 2
; COMPUTE_PGM_RSRC3_GFX90A:TG_SPLIT: 0
	.section	.text._ZN2at6native29vectorized_elementwise_kernelILi2EZZZNS0_21clamp_min_kernel_cudaERNS_18TensorIteratorBaseERKN3c106ScalarEENKUlvE_clEvENKUlvE5_clEvEUlfE_St5arrayIPcLm2EEEEviT0_T1_,"axG",@progbits,_ZN2at6native29vectorized_elementwise_kernelILi2EZZZNS0_21clamp_min_kernel_cudaERNS_18TensorIteratorBaseERKN3c106ScalarEENKUlvE_clEvENKUlvE5_clEvEUlfE_St5arrayIPcLm2EEEEviT0_T1_,comdat
	.globl	_ZN2at6native29vectorized_elementwise_kernelILi2EZZZNS0_21clamp_min_kernel_cudaERNS_18TensorIteratorBaseERKN3c106ScalarEENKUlvE_clEvENKUlvE5_clEvEUlfE_St5arrayIPcLm2EEEEviT0_T1_ ; -- Begin function _ZN2at6native29vectorized_elementwise_kernelILi2EZZZNS0_21clamp_min_kernel_cudaERNS_18TensorIteratorBaseERKN3c106ScalarEENKUlvE_clEvENKUlvE5_clEvEUlfE_St5arrayIPcLm2EEEEviT0_T1_
	.p2align	8
	.type	_ZN2at6native29vectorized_elementwise_kernelILi2EZZZNS0_21clamp_min_kernel_cudaERNS_18TensorIteratorBaseERKN3c106ScalarEENKUlvE_clEvENKUlvE5_clEvEUlfE_St5arrayIPcLm2EEEEviT0_T1_,@function
_ZN2at6native29vectorized_elementwise_kernelILi2EZZZNS0_21clamp_min_kernel_cudaERNS_18TensorIteratorBaseERKN3c106ScalarEENKUlvE_clEvENKUlvE5_clEvEUlfE_St5arrayIPcLm2EEEEviT0_T1_: ; @_ZN2at6native29vectorized_elementwise_kernelILi2EZZZNS0_21clamp_min_kernel_cudaERNS_18TensorIteratorBaseERKN3c106ScalarEENKUlvE_clEvENKUlvE5_clEvEUlfE_St5arrayIPcLm2EEEEviT0_T1_
; %bb.0:
	s_load_dwordx2 s[8:9], s[0:1], 0x0
	s_load_dwordx4 s[4:7], s[0:1], 0x8
	s_lshl_b32 s2, s2, 10
	s_mov_b64 s[0:1], -1
	s_waitcnt lgkmcnt(0)
	s_sub_i32 s10, s8, s2
	s_cmpk_gt_i32 s10, 0x3ff
	v_max_f32_e64 v1, s9, s9
	s_cbranch_scc0 .LBB397_2
; %bb.1:
	s_ashr_i32 s3, s2, 31
	s_lshl_b64 s[0:1], s[2:3], 2
	s_add_u32 s8, s6, s0
	s_addc_u32 s9, s7, s1
	v_lshlrev_b32_e32 v6, 3, v0
	global_load_dwordx2 v[2:3], v6, s[8:9]
	global_load_dwordx2 v[4:5], v6, s[8:9] offset:2048
	s_add_u32 s0, s4, s0
	s_addc_u32 s1, s5, s1
	s_waitcnt vmcnt(1)
	v_max_f32_e32 v8, v3, v3
	v_max_f32_e32 v7, v2, v2
	;; [unrolled: 1-line block ×3, first 2 shown]
	v_cmp_u_f32_e32 vcc, v3, v3
	s_waitcnt vmcnt(0)
	v_max_f32_e32 v10, v5, v5
	v_max_f32_e32 v7, v7, v1
	v_cndmask_b32_e32 v3, v8, v3, vcc
	v_cmp_u_f32_e32 vcc, v2, v2
	v_max_f32_e32 v9, v4, v4
	v_max_f32_e32 v10, v10, v1
	v_cndmask_b32_e32 v2, v7, v2, vcc
	v_cmp_u_f32_e32 vcc, v5, v5
	v_max_f32_e32 v9, v9, v1
	s_nop 0
	v_cndmask_b32_e32 v5, v10, v5, vcc
	v_cmp_u_f32_e32 vcc, v4, v4
	s_nop 1
	v_cndmask_b32_e32 v4, v9, v4, vcc
	global_store_dwordx2 v6, v[2:3], s[0:1]
	global_store_dwordx2 v6, v[4:5], s[0:1] offset:2048
	s_mov_b64 s[0:1], 0
.LBB397_2:
	s_andn2_b64 vcc, exec, s[0:1]
	s_cbranch_vccnz .LBB397_16
; %bb.3:
	v_cmp_gt_i32_e32 vcc, s10, v0
	v_mov_b32_e32 v4, 0
	v_or_b32_e32 v2, s2, v0
	v_mov_b32_e32 v3, 0
	v_mov_b32_e32 v5, v0
	s_and_saveexec_b64 s[0:1], vcc
	s_cbranch_execz .LBB397_5
; %bb.4:
	v_mov_b32_e32 v3, 0
	v_lshl_add_u64 v[6:7], v[2:3], 2, s[6:7]
	global_load_dword v3, v[6:7], off
	v_or_b32_e32 v5, 0x100, v0
.LBB397_5:
	s_or_b64 exec, exec, s[0:1]
	v_cmp_gt_i32_e64 s[0:1], s10, v5
	s_and_saveexec_b64 s[8:9], s[0:1]
	s_cbranch_execz .LBB397_7
; %bb.6:
	v_add_u32_e32 v6, s2, v5
	v_mov_b32_e32 v7, 0
	v_lshl_add_u64 v[6:7], v[6:7], 2, s[6:7]
	global_load_dword v4, v[6:7], off
	v_add_u32_e32 v5, 0x100, v5
.LBB397_7:
	s_or_b64 exec, exec, s[8:9]
	v_cmp_gt_i32_e64 s[0:1], s10, v5
	v_mov_b32_e32 v6, 0
	v_mov_b32_e32 v7, 0
	s_and_saveexec_b64 s[8:9], s[0:1]
	s_cbranch_execz .LBB397_9
; %bb.8:
	v_add_u32_e32 v8, s2, v5
	v_mov_b32_e32 v9, 0
	v_lshl_add_u64 v[8:9], v[8:9], 2, s[6:7]
	global_load_dword v7, v[8:9], off
	v_add_u32_e32 v5, 0x100, v5
.LBB397_9:
	s_or_b64 exec, exec, s[8:9]
	v_cmp_gt_i32_e64 s[0:1], s10, v5
	s_and_saveexec_b64 s[8:9], s[0:1]
	s_cbranch_execz .LBB397_11
; %bb.10:
	v_add_u32_e32 v8, s2, v5
	v_mov_b32_e32 v9, 0
	v_lshl_add_u64 v[8:9], v[8:9], 2, s[6:7]
	global_load_dword v6, v[8:9], off
.LBB397_11:
	s_or_b64 exec, exec, s[8:9]
	s_waitcnt vmcnt(0)
	v_max_f32_e32 v5, v3, v3
	v_max_f32_e32 v5, v5, v1
	v_cmp_u_f32_e64 s[0:1], v3, v3
	v_or_b32_e32 v8, 0x100, v0
	s_nop 0
	v_cndmask_b32_e64 v3, v5, v3, s[0:1]
	v_cndmask_b32_e32 v9, 0, v3, vcc
	v_max_f32_e32 v3, v4, v4
	v_max_f32_e32 v3, v3, v1
	v_cmp_u_f32_e64 s[0:1], v4, v4
	s_nop 1
	v_cndmask_b32_e64 v3, v3, v4, s[0:1]
	v_cmp_gt_i32_e64 s[0:1], s10, v8
	v_max_f32_e32 v4, v7, v7
	v_max_f32_e32 v4, v4, v1
	v_cndmask_b32_e64 v5, 0, v3, s[0:1]
	v_or_b32_e32 v3, 0x200, v0
	v_cmp_u_f32_e64 s[0:1], v7, v7
	s_nop 1
	v_cndmask_b32_e64 v4, v4, v7, s[0:1]
	v_cmp_gt_i32_e64 s[0:1], s10, v3
	v_max_f32_e32 v7, v6, v6
	v_or_b32_e32 v3, 0x300, v0
	v_cndmask_b32_e64 v4, 0, v4, s[0:1]
	v_max_f32_e32 v1, v7, v1
	v_cmp_u_f32_e64 s[0:1], v6, v6
	s_nop 1
	v_cndmask_b32_e64 v1, v1, v6, s[0:1]
	v_cmp_gt_i32_e64 s[0:1], s10, v3
	s_nop 1
	v_cndmask_b32_e64 v1, 0, v1, s[0:1]
	s_and_saveexec_b64 s[0:1], vcc
	s_cbranch_execnz .LBB397_17
; %bb.12:
	s_or_b64 exec, exec, s[0:1]
	v_cmp_gt_i32_e32 vcc, s10, v0
	s_and_saveexec_b64 s[0:1], vcc
	s_cbranch_execnz .LBB397_18
.LBB397_13:
	s_or_b64 exec, exec, s[0:1]
	v_cmp_gt_i32_e32 vcc, s10, v0
	s_and_saveexec_b64 s[0:1], vcc
	s_cbranch_execnz .LBB397_19
.LBB397_14:
	s_or_b64 exec, exec, s[0:1]
	v_cmp_gt_i32_e32 vcc, s10, v0
	s_and_saveexec_b64 s[0:1], vcc
	s_cbranch_execz .LBB397_16
.LBB397_15:
	v_add_u32_e32 v2, s2, v0
	v_mov_b32_e32 v3, 0
	v_lshl_add_u64 v[2:3], v[2:3], 2, s[4:5]
	global_store_dword v[2:3], v1, off
.LBB397_16:
	s_endpgm
.LBB397_17:
	v_mov_b32_e32 v3, 0
	v_lshl_add_u64 v[2:3], v[2:3], 2, s[4:5]
	v_mov_b32_e32 v0, v8
	global_store_dword v[2:3], v9, off
	s_or_b64 exec, exec, s[0:1]
	v_cmp_gt_i32_e32 vcc, s10, v0
	s_and_saveexec_b64 s[0:1], vcc
	s_cbranch_execz .LBB397_13
.LBB397_18:
	v_add_u32_e32 v2, s2, v0
	v_mov_b32_e32 v3, 0
	v_lshl_add_u64 v[2:3], v[2:3], 2, s[4:5]
	v_add_u32_e32 v0, 0x100, v0
	global_store_dword v[2:3], v5, off
	s_or_b64 exec, exec, s[0:1]
	v_cmp_gt_i32_e32 vcc, s10, v0
	s_and_saveexec_b64 s[0:1], vcc
	s_cbranch_execz .LBB397_14
.LBB397_19:
	v_add_u32_e32 v2, s2, v0
	v_mov_b32_e32 v3, 0
	v_lshl_add_u64 v[2:3], v[2:3], 2, s[4:5]
	v_add_u32_e32 v0, 0x100, v0
	global_store_dword v[2:3], v4, off
	s_or_b64 exec, exec, s[0:1]
	v_cmp_gt_i32_e32 vcc, s10, v0
	s_and_saveexec_b64 s[0:1], vcc
	s_cbranch_execnz .LBB397_15
	s_branch .LBB397_16
	.section	.rodata,"a",@progbits
	.p2align	6, 0x0
	.amdhsa_kernel _ZN2at6native29vectorized_elementwise_kernelILi2EZZZNS0_21clamp_min_kernel_cudaERNS_18TensorIteratorBaseERKN3c106ScalarEENKUlvE_clEvENKUlvE5_clEvEUlfE_St5arrayIPcLm2EEEEviT0_T1_
		.amdhsa_group_segment_fixed_size 0
		.amdhsa_private_segment_fixed_size 0
		.amdhsa_kernarg_size 24
		.amdhsa_user_sgpr_count 2
		.amdhsa_user_sgpr_dispatch_ptr 0
		.amdhsa_user_sgpr_queue_ptr 0
		.amdhsa_user_sgpr_kernarg_segment_ptr 1
		.amdhsa_user_sgpr_dispatch_id 0
		.amdhsa_user_sgpr_kernarg_preload_length 0
		.amdhsa_user_sgpr_kernarg_preload_offset 0
		.amdhsa_user_sgpr_private_segment_size 0
		.amdhsa_uses_dynamic_stack 0
		.amdhsa_enable_private_segment 0
		.amdhsa_system_sgpr_workgroup_id_x 1
		.amdhsa_system_sgpr_workgroup_id_y 0
		.amdhsa_system_sgpr_workgroup_id_z 0
		.amdhsa_system_sgpr_workgroup_info 0
		.amdhsa_system_vgpr_workitem_id 0
		.amdhsa_next_free_vgpr 11
		.amdhsa_next_free_sgpr 11
		.amdhsa_accum_offset 12
		.amdhsa_reserve_vcc 1
		.amdhsa_float_round_mode_32 0
		.amdhsa_float_round_mode_16_64 0
		.amdhsa_float_denorm_mode_32 3
		.amdhsa_float_denorm_mode_16_64 3
		.amdhsa_dx10_clamp 1
		.amdhsa_ieee_mode 1
		.amdhsa_fp16_overflow 0
		.amdhsa_tg_split 0
		.amdhsa_exception_fp_ieee_invalid_op 0
		.amdhsa_exception_fp_denorm_src 0
		.amdhsa_exception_fp_ieee_div_zero 0
		.amdhsa_exception_fp_ieee_overflow 0
		.amdhsa_exception_fp_ieee_underflow 0
		.amdhsa_exception_fp_ieee_inexact 0
		.amdhsa_exception_int_div_zero 0
	.end_amdhsa_kernel
	.section	.text._ZN2at6native29vectorized_elementwise_kernelILi2EZZZNS0_21clamp_min_kernel_cudaERNS_18TensorIteratorBaseERKN3c106ScalarEENKUlvE_clEvENKUlvE5_clEvEUlfE_St5arrayIPcLm2EEEEviT0_T1_,"axG",@progbits,_ZN2at6native29vectorized_elementwise_kernelILi2EZZZNS0_21clamp_min_kernel_cudaERNS_18TensorIteratorBaseERKN3c106ScalarEENKUlvE_clEvENKUlvE5_clEvEUlfE_St5arrayIPcLm2EEEEviT0_T1_,comdat
.Lfunc_end397:
	.size	_ZN2at6native29vectorized_elementwise_kernelILi2EZZZNS0_21clamp_min_kernel_cudaERNS_18TensorIteratorBaseERKN3c106ScalarEENKUlvE_clEvENKUlvE5_clEvEUlfE_St5arrayIPcLm2EEEEviT0_T1_, .Lfunc_end397-_ZN2at6native29vectorized_elementwise_kernelILi2EZZZNS0_21clamp_min_kernel_cudaERNS_18TensorIteratorBaseERKN3c106ScalarEENKUlvE_clEvENKUlvE5_clEvEUlfE_St5arrayIPcLm2EEEEviT0_T1_
                                        ; -- End function
	.set _ZN2at6native29vectorized_elementwise_kernelILi2EZZZNS0_21clamp_min_kernel_cudaERNS_18TensorIteratorBaseERKN3c106ScalarEENKUlvE_clEvENKUlvE5_clEvEUlfE_St5arrayIPcLm2EEEEviT0_T1_.num_vgpr, 11
	.set _ZN2at6native29vectorized_elementwise_kernelILi2EZZZNS0_21clamp_min_kernel_cudaERNS_18TensorIteratorBaseERKN3c106ScalarEENKUlvE_clEvENKUlvE5_clEvEUlfE_St5arrayIPcLm2EEEEviT0_T1_.num_agpr, 0
	.set _ZN2at6native29vectorized_elementwise_kernelILi2EZZZNS0_21clamp_min_kernel_cudaERNS_18TensorIteratorBaseERKN3c106ScalarEENKUlvE_clEvENKUlvE5_clEvEUlfE_St5arrayIPcLm2EEEEviT0_T1_.numbered_sgpr, 11
	.set _ZN2at6native29vectorized_elementwise_kernelILi2EZZZNS0_21clamp_min_kernel_cudaERNS_18TensorIteratorBaseERKN3c106ScalarEENKUlvE_clEvENKUlvE5_clEvEUlfE_St5arrayIPcLm2EEEEviT0_T1_.num_named_barrier, 0
	.set _ZN2at6native29vectorized_elementwise_kernelILi2EZZZNS0_21clamp_min_kernel_cudaERNS_18TensorIteratorBaseERKN3c106ScalarEENKUlvE_clEvENKUlvE5_clEvEUlfE_St5arrayIPcLm2EEEEviT0_T1_.private_seg_size, 0
	.set _ZN2at6native29vectorized_elementwise_kernelILi2EZZZNS0_21clamp_min_kernel_cudaERNS_18TensorIteratorBaseERKN3c106ScalarEENKUlvE_clEvENKUlvE5_clEvEUlfE_St5arrayIPcLm2EEEEviT0_T1_.uses_vcc, 1
	.set _ZN2at6native29vectorized_elementwise_kernelILi2EZZZNS0_21clamp_min_kernel_cudaERNS_18TensorIteratorBaseERKN3c106ScalarEENKUlvE_clEvENKUlvE5_clEvEUlfE_St5arrayIPcLm2EEEEviT0_T1_.uses_flat_scratch, 0
	.set _ZN2at6native29vectorized_elementwise_kernelILi2EZZZNS0_21clamp_min_kernel_cudaERNS_18TensorIteratorBaseERKN3c106ScalarEENKUlvE_clEvENKUlvE5_clEvEUlfE_St5arrayIPcLm2EEEEviT0_T1_.has_dyn_sized_stack, 0
	.set _ZN2at6native29vectorized_elementwise_kernelILi2EZZZNS0_21clamp_min_kernel_cudaERNS_18TensorIteratorBaseERKN3c106ScalarEENKUlvE_clEvENKUlvE5_clEvEUlfE_St5arrayIPcLm2EEEEviT0_T1_.has_recursion, 0
	.set _ZN2at6native29vectorized_elementwise_kernelILi2EZZZNS0_21clamp_min_kernel_cudaERNS_18TensorIteratorBaseERKN3c106ScalarEENKUlvE_clEvENKUlvE5_clEvEUlfE_St5arrayIPcLm2EEEEviT0_T1_.has_indirect_call, 0
	.section	.AMDGPU.csdata,"",@progbits
; Kernel info:
; codeLenInByte = 836
; TotalNumSgprs: 17
; NumVgprs: 11
; NumAgprs: 0
; TotalNumVgprs: 11
; ScratchSize: 0
; MemoryBound: 0
; FloatMode: 240
; IeeeMode: 1
; LDSByteSize: 0 bytes/workgroup (compile time only)
; SGPRBlocks: 2
; VGPRBlocks: 1
; NumSGPRsForWavesPerEU: 17
; NumVGPRsForWavesPerEU: 11
; AccumOffset: 12
; Occupancy: 8
; WaveLimiterHint : 1
; COMPUTE_PGM_RSRC2:SCRATCH_EN: 0
; COMPUTE_PGM_RSRC2:USER_SGPR: 2
; COMPUTE_PGM_RSRC2:TRAP_HANDLER: 0
; COMPUTE_PGM_RSRC2:TGID_X_EN: 1
; COMPUTE_PGM_RSRC2:TGID_Y_EN: 0
; COMPUTE_PGM_RSRC2:TGID_Z_EN: 0
; COMPUTE_PGM_RSRC2:TIDIG_COMP_CNT: 0
; COMPUTE_PGM_RSRC3_GFX90A:ACCUM_OFFSET: 2
; COMPUTE_PGM_RSRC3_GFX90A:TG_SPLIT: 0
	.section	.text._ZN2at6native27unrolled_elementwise_kernelIZZZNS0_21clamp_min_kernel_cudaERNS_18TensorIteratorBaseERKN3c106ScalarEENKUlvE_clEvENKUlvE5_clEvEUlfE_St5arrayIPcLm2EELi4E23TrivialOffsetCalculatorILi1EjESF_NS0_6memory15LoadWithoutCastENSG_16StoreWithoutCastEEEviT_T0_T2_T3_T4_T5_,"axG",@progbits,_ZN2at6native27unrolled_elementwise_kernelIZZZNS0_21clamp_min_kernel_cudaERNS_18TensorIteratorBaseERKN3c106ScalarEENKUlvE_clEvENKUlvE5_clEvEUlfE_St5arrayIPcLm2EELi4E23TrivialOffsetCalculatorILi1EjESF_NS0_6memory15LoadWithoutCastENSG_16StoreWithoutCastEEEviT_T0_T2_T3_T4_T5_,comdat
	.globl	_ZN2at6native27unrolled_elementwise_kernelIZZZNS0_21clamp_min_kernel_cudaERNS_18TensorIteratorBaseERKN3c106ScalarEENKUlvE_clEvENKUlvE5_clEvEUlfE_St5arrayIPcLm2EELi4E23TrivialOffsetCalculatorILi1EjESF_NS0_6memory15LoadWithoutCastENSG_16StoreWithoutCastEEEviT_T0_T2_T3_T4_T5_ ; -- Begin function _ZN2at6native27unrolled_elementwise_kernelIZZZNS0_21clamp_min_kernel_cudaERNS_18TensorIteratorBaseERKN3c106ScalarEENKUlvE_clEvENKUlvE5_clEvEUlfE_St5arrayIPcLm2EELi4E23TrivialOffsetCalculatorILi1EjESF_NS0_6memory15LoadWithoutCastENSG_16StoreWithoutCastEEEviT_T0_T2_T3_T4_T5_
	.p2align	8
	.type	_ZN2at6native27unrolled_elementwise_kernelIZZZNS0_21clamp_min_kernel_cudaERNS_18TensorIteratorBaseERKN3c106ScalarEENKUlvE_clEvENKUlvE5_clEvEUlfE_St5arrayIPcLm2EELi4E23TrivialOffsetCalculatorILi1EjESF_NS0_6memory15LoadWithoutCastENSG_16StoreWithoutCastEEEviT_T0_T2_T3_T4_T5_,@function
_ZN2at6native27unrolled_elementwise_kernelIZZZNS0_21clamp_min_kernel_cudaERNS_18TensorIteratorBaseERKN3c106ScalarEENKUlvE_clEvENKUlvE5_clEvEUlfE_St5arrayIPcLm2EELi4E23TrivialOffsetCalculatorILi1EjESF_NS0_6memory15LoadWithoutCastENSG_16StoreWithoutCastEEEviT_T0_T2_T3_T4_T5_: ; @_ZN2at6native27unrolled_elementwise_kernelIZZZNS0_21clamp_min_kernel_cudaERNS_18TensorIteratorBaseERKN3c106ScalarEENKUlvE_clEvENKUlvE5_clEvEUlfE_St5arrayIPcLm2EELi4E23TrivialOffsetCalculatorILi1EjESF_NS0_6memory15LoadWithoutCastENSG_16StoreWithoutCastEEEviT_T0_T2_T3_T4_T5_
; %bb.0:
	s_load_dwordx2 s[8:9], s[0:1], 0x0
	s_load_dwordx4 s[4:7], s[0:1], 0x8
	s_lshl_b32 s10, s2, 10
	v_mov_b32_e32 v1, 0
	v_or_b32_e32 v2, s10, v0
	s_waitcnt lgkmcnt(0)
	s_sub_i32 s8, s8, s10
	v_cmp_gt_i32_e32 vcc, s8, v0
	v_mov_b32_e32 v3, 0
	v_mov_b32_e32 v5, v0
	s_and_saveexec_b64 s[0:1], vcc
	s_cbranch_execz .LBB398_2
; %bb.1:
	v_mov_b32_e32 v3, 0
	v_lshl_add_u64 v[4:5], v[2:3], 2, s[6:7]
	global_load_dword v3, v[4:5], off
	v_or_b32_e32 v5, 0x100, v0
.LBB398_2:
	s_or_b64 exec, exec, s[0:1]
	v_cmp_gt_i32_e64 s[0:1], s8, v5
	s_and_saveexec_b64 s[2:3], s[0:1]
	s_cbranch_execz .LBB398_4
; %bb.3:
	v_add_u32_e32 v6, s10, v5
	v_mov_b32_e32 v7, 0
	v_lshl_add_u64 v[6:7], v[6:7], 2, s[6:7]
	global_load_dword v1, v[6:7], off
	v_add_u32_e32 v5, 0x100, v5
.LBB398_4:
	s_or_b64 exec, exec, s[2:3]
	v_cmp_gt_i32_e64 s[0:1], s8, v5
	v_mov_b32_e32 v4, 0
	v_mov_b32_e32 v6, 0
	s_and_saveexec_b64 s[2:3], s[0:1]
	s_cbranch_execz .LBB398_6
; %bb.5:
	v_add_u32_e32 v6, s10, v5
	v_mov_b32_e32 v7, 0
	v_lshl_add_u64 v[6:7], v[6:7], 2, s[6:7]
	global_load_dword v6, v[6:7], off
	v_add_u32_e32 v5, 0x100, v5
.LBB398_6:
	s_or_b64 exec, exec, s[2:3]
	v_cmp_gt_i32_e64 s[0:1], s8, v5
	s_and_saveexec_b64 s[2:3], s[0:1]
	s_cbranch_execz .LBB398_8
; %bb.7:
	v_add_u32_e32 v4, s10, v5
	v_mov_b32_e32 v5, 0
	v_lshl_add_u64 v[4:5], v[4:5], 2, s[6:7]
	global_load_dword v4, v[4:5], off
.LBB398_8:
	s_or_b64 exec, exec, s[2:3]
	s_waitcnt vmcnt(0)
	v_max_f32_e32 v5, v3, v3
	v_max_f32_e64 v10, s9, s9
	v_max_f32_e32 v5, v5, v10
	v_cmp_u_f32_e64 s[0:1], v3, v3
	v_or_b32_e32 v8, 0x100, v0
	s_nop 0
	v_cndmask_b32_e64 v3, v5, v3, s[0:1]
	v_cndmask_b32_e32 v9, 0, v3, vcc
	v_max_f32_e32 v3, v1, v1
	v_max_f32_e32 v3, v3, v10
	v_cmp_u_f32_e64 s[0:1], v1, v1
	s_nop 1
	v_cndmask_b32_e64 v1, v3, v1, s[0:1]
	v_cmp_gt_i32_e64 s[0:1], s8, v8
	v_max_f32_e32 v3, v6, v6
	v_max_f32_e32 v3, v3, v10
	v_cndmask_b32_e64 v7, 0, v1, s[0:1]
	v_or_b32_e32 v1, 0x200, v0
	v_cmp_u_f32_e64 s[0:1], v6, v6
	s_nop 1
	v_cndmask_b32_e64 v3, v3, v6, s[0:1]
	v_cmp_gt_i32_e64 s[0:1], s8, v1
	v_or_b32_e32 v1, 0x300, v0
	s_nop 0
	v_cndmask_b32_e64 v5, 0, v3, s[0:1]
	v_max_f32_e32 v3, v4, v4
	v_max_f32_e32 v3, v3, v10
	v_cmp_u_f32_e64 s[0:1], v4, v4
	s_nop 1
	v_cndmask_b32_e64 v3, v3, v4, s[0:1]
	v_cmp_gt_i32_e64 s[0:1], s8, v1
	s_nop 1
	v_cndmask_b32_e64 v1, 0, v3, s[0:1]
	s_and_saveexec_b64 s[0:1], vcc
	s_cbranch_execnz .LBB398_13
; %bb.9:
	s_or_b64 exec, exec, s[0:1]
	v_cmp_gt_i32_e32 vcc, s8, v0
	s_and_saveexec_b64 s[0:1], vcc
	s_cbranch_execnz .LBB398_14
.LBB398_10:
	s_or_b64 exec, exec, s[0:1]
	v_cmp_gt_i32_e32 vcc, s8, v0
	s_and_saveexec_b64 s[0:1], vcc
	s_cbranch_execnz .LBB398_15
.LBB398_11:
	s_or_b64 exec, exec, s[0:1]
	v_cmp_gt_i32_e32 vcc, s8, v0
	s_and_saveexec_b64 s[0:1], vcc
	s_cbranch_execnz .LBB398_16
.LBB398_12:
	s_endpgm
.LBB398_13:
	v_mov_b32_e32 v3, 0
	v_lshl_add_u64 v[2:3], v[2:3], 2, s[4:5]
	v_mov_b32_e32 v0, v8
	global_store_dword v[2:3], v9, off
	s_or_b64 exec, exec, s[0:1]
	v_cmp_gt_i32_e32 vcc, s8, v0
	s_and_saveexec_b64 s[0:1], vcc
	s_cbranch_execz .LBB398_10
.LBB398_14:
	v_add_u32_e32 v4, 0x100, v0
	v_add_u32_e32 v2, s10, v0
	v_mov_b32_e32 v3, 0
	v_lshl_add_u64 v[2:3], v[2:3], 2, s[4:5]
	v_mov_b32_e32 v0, v4
	global_store_dword v[2:3], v7, off
	s_or_b64 exec, exec, s[0:1]
	v_cmp_gt_i32_e32 vcc, s8, v0
	s_and_saveexec_b64 s[0:1], vcc
	s_cbranch_execz .LBB398_11
.LBB398_15:
	v_add_u32_e32 v4, 0x100, v0
	v_add_u32_e32 v2, s10, v0
	v_mov_b32_e32 v3, 0
	v_lshl_add_u64 v[2:3], v[2:3], 2, s[4:5]
	v_mov_b32_e32 v0, v4
	global_store_dword v[2:3], v5, off
	s_or_b64 exec, exec, s[0:1]
	v_cmp_gt_i32_e32 vcc, s8, v0
	s_and_saveexec_b64 s[0:1], vcc
	s_cbranch_execz .LBB398_12
.LBB398_16:
	v_add_u32_e32 v2, s10, v0
	v_mov_b32_e32 v3, 0
	v_lshl_add_u64 v[2:3], v[2:3], 2, s[4:5]
	global_store_dword v[2:3], v1, off
	s_endpgm
	.section	.rodata,"a",@progbits
	.p2align	6, 0x0
	.amdhsa_kernel _ZN2at6native27unrolled_elementwise_kernelIZZZNS0_21clamp_min_kernel_cudaERNS_18TensorIteratorBaseERKN3c106ScalarEENKUlvE_clEvENKUlvE5_clEvEUlfE_St5arrayIPcLm2EELi4E23TrivialOffsetCalculatorILi1EjESF_NS0_6memory15LoadWithoutCastENSG_16StoreWithoutCastEEEviT_T0_T2_T3_T4_T5_
		.amdhsa_group_segment_fixed_size 0
		.amdhsa_private_segment_fixed_size 0
		.amdhsa_kernarg_size 28
		.amdhsa_user_sgpr_count 2
		.amdhsa_user_sgpr_dispatch_ptr 0
		.amdhsa_user_sgpr_queue_ptr 0
		.amdhsa_user_sgpr_kernarg_segment_ptr 1
		.amdhsa_user_sgpr_dispatch_id 0
		.amdhsa_user_sgpr_kernarg_preload_length 0
		.amdhsa_user_sgpr_kernarg_preload_offset 0
		.amdhsa_user_sgpr_private_segment_size 0
		.amdhsa_uses_dynamic_stack 0
		.amdhsa_enable_private_segment 0
		.amdhsa_system_sgpr_workgroup_id_x 1
		.amdhsa_system_sgpr_workgroup_id_y 0
		.amdhsa_system_sgpr_workgroup_id_z 0
		.amdhsa_system_sgpr_workgroup_info 0
		.amdhsa_system_vgpr_workitem_id 0
		.amdhsa_next_free_vgpr 11
		.amdhsa_next_free_sgpr 11
		.amdhsa_accum_offset 12
		.amdhsa_reserve_vcc 1
		.amdhsa_float_round_mode_32 0
		.amdhsa_float_round_mode_16_64 0
		.amdhsa_float_denorm_mode_32 3
		.amdhsa_float_denorm_mode_16_64 3
		.amdhsa_dx10_clamp 1
		.amdhsa_ieee_mode 1
		.amdhsa_fp16_overflow 0
		.amdhsa_tg_split 0
		.amdhsa_exception_fp_ieee_invalid_op 0
		.amdhsa_exception_fp_denorm_src 0
		.amdhsa_exception_fp_ieee_div_zero 0
		.amdhsa_exception_fp_ieee_overflow 0
		.amdhsa_exception_fp_ieee_underflow 0
		.amdhsa_exception_fp_ieee_inexact 0
		.amdhsa_exception_int_div_zero 0
	.end_amdhsa_kernel
	.section	.text._ZN2at6native27unrolled_elementwise_kernelIZZZNS0_21clamp_min_kernel_cudaERNS_18TensorIteratorBaseERKN3c106ScalarEENKUlvE_clEvENKUlvE5_clEvEUlfE_St5arrayIPcLm2EELi4E23TrivialOffsetCalculatorILi1EjESF_NS0_6memory15LoadWithoutCastENSG_16StoreWithoutCastEEEviT_T0_T2_T3_T4_T5_,"axG",@progbits,_ZN2at6native27unrolled_elementwise_kernelIZZZNS0_21clamp_min_kernel_cudaERNS_18TensorIteratorBaseERKN3c106ScalarEENKUlvE_clEvENKUlvE5_clEvEUlfE_St5arrayIPcLm2EELi4E23TrivialOffsetCalculatorILi1EjESF_NS0_6memory15LoadWithoutCastENSG_16StoreWithoutCastEEEviT_T0_T2_T3_T4_T5_,comdat
.Lfunc_end398:
	.size	_ZN2at6native27unrolled_elementwise_kernelIZZZNS0_21clamp_min_kernel_cudaERNS_18TensorIteratorBaseERKN3c106ScalarEENKUlvE_clEvENKUlvE5_clEvEUlfE_St5arrayIPcLm2EELi4E23TrivialOffsetCalculatorILi1EjESF_NS0_6memory15LoadWithoutCastENSG_16StoreWithoutCastEEEviT_T0_T2_T3_T4_T5_, .Lfunc_end398-_ZN2at6native27unrolled_elementwise_kernelIZZZNS0_21clamp_min_kernel_cudaERNS_18TensorIteratorBaseERKN3c106ScalarEENKUlvE_clEvENKUlvE5_clEvEUlfE_St5arrayIPcLm2EELi4E23TrivialOffsetCalculatorILi1EjESF_NS0_6memory15LoadWithoutCastENSG_16StoreWithoutCastEEEviT_T0_T2_T3_T4_T5_
                                        ; -- End function
	.set _ZN2at6native27unrolled_elementwise_kernelIZZZNS0_21clamp_min_kernel_cudaERNS_18TensorIteratorBaseERKN3c106ScalarEENKUlvE_clEvENKUlvE5_clEvEUlfE_St5arrayIPcLm2EELi4E23TrivialOffsetCalculatorILi1EjESF_NS0_6memory15LoadWithoutCastENSG_16StoreWithoutCastEEEviT_T0_T2_T3_T4_T5_.num_vgpr, 11
	.set _ZN2at6native27unrolled_elementwise_kernelIZZZNS0_21clamp_min_kernel_cudaERNS_18TensorIteratorBaseERKN3c106ScalarEENKUlvE_clEvENKUlvE5_clEvEUlfE_St5arrayIPcLm2EELi4E23TrivialOffsetCalculatorILi1EjESF_NS0_6memory15LoadWithoutCastENSG_16StoreWithoutCastEEEviT_T0_T2_T3_T4_T5_.num_agpr, 0
	.set _ZN2at6native27unrolled_elementwise_kernelIZZZNS0_21clamp_min_kernel_cudaERNS_18TensorIteratorBaseERKN3c106ScalarEENKUlvE_clEvENKUlvE5_clEvEUlfE_St5arrayIPcLm2EELi4E23TrivialOffsetCalculatorILi1EjESF_NS0_6memory15LoadWithoutCastENSG_16StoreWithoutCastEEEviT_T0_T2_T3_T4_T5_.numbered_sgpr, 11
	.set _ZN2at6native27unrolled_elementwise_kernelIZZZNS0_21clamp_min_kernel_cudaERNS_18TensorIteratorBaseERKN3c106ScalarEENKUlvE_clEvENKUlvE5_clEvEUlfE_St5arrayIPcLm2EELi4E23TrivialOffsetCalculatorILi1EjESF_NS0_6memory15LoadWithoutCastENSG_16StoreWithoutCastEEEviT_T0_T2_T3_T4_T5_.num_named_barrier, 0
	.set _ZN2at6native27unrolled_elementwise_kernelIZZZNS0_21clamp_min_kernel_cudaERNS_18TensorIteratorBaseERKN3c106ScalarEENKUlvE_clEvENKUlvE5_clEvEUlfE_St5arrayIPcLm2EELi4E23TrivialOffsetCalculatorILi1EjESF_NS0_6memory15LoadWithoutCastENSG_16StoreWithoutCastEEEviT_T0_T2_T3_T4_T5_.private_seg_size, 0
	.set _ZN2at6native27unrolled_elementwise_kernelIZZZNS0_21clamp_min_kernel_cudaERNS_18TensorIteratorBaseERKN3c106ScalarEENKUlvE_clEvENKUlvE5_clEvEUlfE_St5arrayIPcLm2EELi4E23TrivialOffsetCalculatorILi1EjESF_NS0_6memory15LoadWithoutCastENSG_16StoreWithoutCastEEEviT_T0_T2_T3_T4_T5_.uses_vcc, 1
	.set _ZN2at6native27unrolled_elementwise_kernelIZZZNS0_21clamp_min_kernel_cudaERNS_18TensorIteratorBaseERKN3c106ScalarEENKUlvE_clEvENKUlvE5_clEvEUlfE_St5arrayIPcLm2EELi4E23TrivialOffsetCalculatorILi1EjESF_NS0_6memory15LoadWithoutCastENSG_16StoreWithoutCastEEEviT_T0_T2_T3_T4_T5_.uses_flat_scratch, 0
	.set _ZN2at6native27unrolled_elementwise_kernelIZZZNS0_21clamp_min_kernel_cudaERNS_18TensorIteratorBaseERKN3c106ScalarEENKUlvE_clEvENKUlvE5_clEvEUlfE_St5arrayIPcLm2EELi4E23TrivialOffsetCalculatorILi1EjESF_NS0_6memory15LoadWithoutCastENSG_16StoreWithoutCastEEEviT_T0_T2_T3_T4_T5_.has_dyn_sized_stack, 0
	.set _ZN2at6native27unrolled_elementwise_kernelIZZZNS0_21clamp_min_kernel_cudaERNS_18TensorIteratorBaseERKN3c106ScalarEENKUlvE_clEvENKUlvE5_clEvEUlfE_St5arrayIPcLm2EELi4E23TrivialOffsetCalculatorILi1EjESF_NS0_6memory15LoadWithoutCastENSG_16StoreWithoutCastEEEviT_T0_T2_T3_T4_T5_.has_recursion, 0
	.set _ZN2at6native27unrolled_elementwise_kernelIZZZNS0_21clamp_min_kernel_cudaERNS_18TensorIteratorBaseERKN3c106ScalarEENKUlvE_clEvENKUlvE5_clEvEUlfE_St5arrayIPcLm2EELi4E23TrivialOffsetCalculatorILi1EjESF_NS0_6memory15LoadWithoutCastENSG_16StoreWithoutCastEEEviT_T0_T2_T3_T4_T5_.has_indirect_call, 0
	.section	.AMDGPU.csdata,"",@progbits
; Kernel info:
; codeLenInByte = 684
; TotalNumSgprs: 17
; NumVgprs: 11
; NumAgprs: 0
; TotalNumVgprs: 11
; ScratchSize: 0
; MemoryBound: 0
; FloatMode: 240
; IeeeMode: 1
; LDSByteSize: 0 bytes/workgroup (compile time only)
; SGPRBlocks: 2
; VGPRBlocks: 1
; NumSGPRsForWavesPerEU: 17
; NumVGPRsForWavesPerEU: 11
; AccumOffset: 12
; Occupancy: 8
; WaveLimiterHint : 0
; COMPUTE_PGM_RSRC2:SCRATCH_EN: 0
; COMPUTE_PGM_RSRC2:USER_SGPR: 2
; COMPUTE_PGM_RSRC2:TRAP_HANDLER: 0
; COMPUTE_PGM_RSRC2:TGID_X_EN: 1
; COMPUTE_PGM_RSRC2:TGID_Y_EN: 0
; COMPUTE_PGM_RSRC2:TGID_Z_EN: 0
; COMPUTE_PGM_RSRC2:TIDIG_COMP_CNT: 0
; COMPUTE_PGM_RSRC3_GFX90A:ACCUM_OFFSET: 2
; COMPUTE_PGM_RSRC3_GFX90A:TG_SPLIT: 0
	.section	.text._ZN2at6native32elementwise_kernel_manual_unrollILi128ELi4EZNS0_22gpu_kernel_impl_nocastIZZZNS0_21clamp_min_kernel_cudaERNS_18TensorIteratorBaseERKN3c106ScalarEENKUlvE_clEvENKUlvE5_clEvEUlfE_EEvS4_RKT_EUlibE_EEviT1_,"axG",@progbits,_ZN2at6native32elementwise_kernel_manual_unrollILi128ELi4EZNS0_22gpu_kernel_impl_nocastIZZZNS0_21clamp_min_kernel_cudaERNS_18TensorIteratorBaseERKN3c106ScalarEENKUlvE_clEvENKUlvE5_clEvEUlfE_EEvS4_RKT_EUlibE_EEviT1_,comdat
	.globl	_ZN2at6native32elementwise_kernel_manual_unrollILi128ELi4EZNS0_22gpu_kernel_impl_nocastIZZZNS0_21clamp_min_kernel_cudaERNS_18TensorIteratorBaseERKN3c106ScalarEENKUlvE_clEvENKUlvE5_clEvEUlfE_EEvS4_RKT_EUlibE_EEviT1_ ; -- Begin function _ZN2at6native32elementwise_kernel_manual_unrollILi128ELi4EZNS0_22gpu_kernel_impl_nocastIZZZNS0_21clamp_min_kernel_cudaERNS_18TensorIteratorBaseERKN3c106ScalarEENKUlvE_clEvENKUlvE5_clEvEUlfE_EEvS4_RKT_EUlibE_EEviT1_
	.p2align	8
	.type	_ZN2at6native32elementwise_kernel_manual_unrollILi128ELi4EZNS0_22gpu_kernel_impl_nocastIZZZNS0_21clamp_min_kernel_cudaERNS_18TensorIteratorBaseERKN3c106ScalarEENKUlvE_clEvENKUlvE5_clEvEUlfE_EEvS4_RKT_EUlibE_EEviT1_,@function
_ZN2at6native32elementwise_kernel_manual_unrollILi128ELi4EZNS0_22gpu_kernel_impl_nocastIZZZNS0_21clamp_min_kernel_cudaERNS_18TensorIteratorBaseERKN3c106ScalarEENKUlvE_clEvENKUlvE5_clEvEUlfE_EEvS4_RKT_EUlibE_EEviT1_: ; @_ZN2at6native32elementwise_kernel_manual_unrollILi128ELi4EZNS0_22gpu_kernel_impl_nocastIZZZNS0_21clamp_min_kernel_cudaERNS_18TensorIteratorBaseERKN3c106ScalarEENKUlvE_clEvENKUlvE5_clEvEUlfE_EEvS4_RKT_EUlibE_EEviT1_
; %bb.0:
	s_load_dword s56, s[0:1], 0x0
	s_load_dword s33, s[0:1], 0x8
	s_add_u32 s34, s0, 8
	s_addc_u32 s35, s1, 0
	v_lshl_or_b32 v8, s2, 9, v0
	v_or_b32_e32 v16, 0x180, v8
	s_waitcnt lgkmcnt(0)
	s_add_i32 s54, s33, -1
	s_cmp_gt_u32 s54, 1
	v_cmp_le_i32_e32 vcc, s56, v16
	s_cselect_b64 s[36:37], -1, 0
	s_and_saveexec_b64 s[0:1], vcc
	s_xor_b64 s[38:39], exec, s[0:1]
	s_cbranch_execz .LBB399_8
; %bb.1:
	s_load_dwordx4 s[24:27], s[34:35], 0x4
	s_load_dwordx2 s[40:41], s[34:35], 0x14
	s_load_dwordx4 s[20:23], s[34:35], 0xc4
	s_load_dwordx4 s[16:19], s[34:35], 0x148
	s_load_dword s55, s[34:35], 0x158
	s_cmp_lg_u32 s33, 0
	s_cselect_b64 s[46:47], -1, 0
	s_add_u32 s44, s34, 0xc4
	s_addc_u32 s45, s35, 0
	s_min_u32 s57, s54, 15
	s_cmp_gt_u32 s33, 1
	s_cselect_b64 s[42:43], -1, 0
	v_cmp_gt_i32_e32 vcc, s56, v8
	s_and_saveexec_b64 s[48:49], vcc
	s_cbranch_execz .LBB399_15
; %bb.2:
	s_andn2_b64 vcc, exec, s[36:37]
	s_cbranch_vccnz .LBB399_23
; %bb.3:
	s_andn2_b64 vcc, exec, s[46:47]
	s_cbranch_vccnz .LBB399_75
; %bb.4:
	s_add_i32 s59, s57, 1
	s_cmp_eq_u32 s54, 2
	s_cbranch_scc1 .LBB399_77
; %bb.5:
	s_and_b32 s58, s59, 28
	s_mov_b32 s60, 0
	v_mov_b32_e32 v0, 0
	v_mov_b32_e32 v2, 0
	s_mov_b64 s[50:51], s[34:35]
	s_mov_b64 s[52:53], s[44:45]
	v_mov_b32_e32 v4, v8
.LBB399_6:                              ; =>This Inner Loop Header: Depth=1
	s_load_dwordx8 s[8:15], s[50:51], 0x4
	s_load_dwordx4 s[28:31], s[50:51], 0x24
	s_load_dwordx8 s[0:7], s[52:53], 0x0
	s_add_u32 s50, s50, 48
	s_addc_u32 s51, s51, 0
	s_waitcnt lgkmcnt(0)
	v_mul_hi_u32 v1, s9, v4
	v_add_u32_e32 v1, v4, v1
	v_lshrrev_b32_e32 v1, s10, v1
	v_mul_lo_u32 v3, v1, s8
	v_mul_hi_u32 v5, s12, v1
	v_sub_u32_e32 v3, v4, v3
	v_add_u32_e32 v4, v1, v5
	v_lshrrev_b32_e32 v4, s13, v4
	v_mul_lo_u32 v6, v4, s11
	v_mul_hi_u32 v7, s15, v4
	v_sub_u32_e32 v1, v1, v6
	v_add_u32_e32 v6, v4, v7
	v_mul_lo_u32 v5, v3, s1
	v_mul_lo_u32 v3, v3, s0
	;; [unrolled: 1-line block ×4, first 2 shown]
	v_lshrrev_b32_e32 v6, s28, v6
	v_add3_u32 v0, v3, v0, v1
	v_mul_hi_u32 v3, s30, v6
	v_add3_u32 v1, v5, v2, v7
	v_mul_lo_u32 v2, v6, s14
	v_add_u32_e32 v3, v6, v3
	v_sub_u32_e32 v2, v4, v2
	v_lshrrev_b32_e32 v4, s31, v3
	s_add_i32 s60, s60, 4
	v_mul_lo_u32 v3, v4, s29
	s_add_u32 s52, s52, 32
	v_sub_u32_e32 v3, v6, v3
	s_addc_u32 s53, s53, 0
	v_mul_lo_u32 v5, v2, s4
	v_mul_lo_u32 v2, v2, s5
	;; [unrolled: 1-line block ×4, first 2 shown]
	s_cmp_lg_u32 s58, s60
	v_add3_u32 v2, v2, v1, v3
	v_add3_u32 v0, v5, v0, v6
	s_cbranch_scc1 .LBB399_6
; %bb.7:
	v_mov_b32_e32 v1, v2
	s_branch .LBB399_78
.LBB399_8:
	s_andn2_saveexec_b64 s[0:1], s[38:39]
	s_cbranch_execz .LBB399_104
.LBB399_9:
	v_cndmask_b32_e64 v0, 0, 1, s[36:37]
	v_cmp_ne_u32_e64 s[0:1], 1, v0
	s_andn2_b64 vcc, exec, s[36:37]
	s_cbranch_vccnz .LBB399_22
; %bb.10:
	s_cmp_lg_u32 s33, 0
	s_waitcnt lgkmcnt(0)
	s_mov_b32 s26, 0
	s_cbranch_scc0 .LBB399_25
; %bb.11:
	s_min_u32 s27, s54, 15
	s_add_i32 s27, s27, 1
	s_cmp_eq_u32 s54, 2
	s_cbranch_scc1 .LBB399_26
; %bb.12:
	s_and_b32 s26, s27, 28
	s_add_u32 s2, s34, 0xc4
	s_addc_u32 s3, s35, 0
	s_mov_b32 s28, 0
	v_mov_b32_e32 v0, 0
	v_mov_b32_e32 v2, 0
	s_mov_b64 s[24:25], s[34:35]
	v_mov_b32_e32 v4, v8
.LBB399_13:                             ; =>This Inner Loop Header: Depth=1
	s_load_dwordx8 s[12:19], s[24:25], 0x4
	s_load_dwordx4 s[20:23], s[24:25], 0x24
	s_load_dwordx8 s[4:11], s[2:3], 0x0
	s_add_u32 s24, s24, 48
	s_addc_u32 s25, s25, 0
	s_waitcnt lgkmcnt(0)
	v_mul_hi_u32 v1, s13, v4
	v_add_u32_e32 v1, v4, v1
	v_lshrrev_b32_e32 v1, s14, v1
	v_mul_lo_u32 v3, v1, s12
	v_mul_hi_u32 v5, s16, v1
	v_sub_u32_e32 v3, v4, v3
	v_add_u32_e32 v4, v1, v5
	v_lshrrev_b32_e32 v4, s17, v4
	v_mul_lo_u32 v6, v4, s15
	v_mul_hi_u32 v7, s19, v4
	v_sub_u32_e32 v1, v1, v6
	v_add_u32_e32 v6, v4, v7
	v_mul_lo_u32 v5, v3, s5
	v_mul_lo_u32 v3, v3, s4
	;; [unrolled: 1-line block ×4, first 2 shown]
	v_lshrrev_b32_e32 v6, s20, v6
	v_add3_u32 v0, v3, v0, v1
	v_mul_hi_u32 v3, s22, v6
	v_add3_u32 v1, v5, v2, v7
	v_mul_lo_u32 v2, v6, s18
	v_add_u32_e32 v3, v6, v3
	v_sub_u32_e32 v2, v4, v2
	v_lshrrev_b32_e32 v4, s23, v3
	s_add_i32 s28, s28, 4
	v_mul_lo_u32 v3, v4, s21
	s_add_u32 s2, s2, 32
	v_sub_u32_e32 v3, v6, v3
	s_addc_u32 s3, s3, 0
	v_mul_lo_u32 v5, v2, s8
	v_mul_lo_u32 v2, v2, s9
	;; [unrolled: 1-line block ×4, first 2 shown]
	s_cmp_lg_u32 s26, s28
	v_add3_u32 v2, v2, v1, v3
	v_add3_u32 v0, v5, v0, v6
	s_cbranch_scc1 .LBB399_13
; %bb.14:
	v_mov_b32_e32 v1, v2
	s_and_b32 s6, s27, 3
	s_cmp_eq_u32 s6, 0
	s_cbranch_scc0 .LBB399_27
	s_branch .LBB399_29
.LBB399_15:
	s_or_b64 exec, exec, s[48:49]
	v_cmp_gt_i32_e32 vcc, s56, v8
	s_and_saveexec_b64 s[48:49], vcc
	s_cbranch_execz .LBB399_85
.LBB399_16:
	s_andn2_b64 vcc, exec, s[36:37]
	s_cbranch_vccnz .LBB399_24
; %bb.17:
	s_andn2_b64 vcc, exec, s[46:47]
	s_cbranch_vccnz .LBB399_76
; %bb.18:
	s_add_i32 s59, s57, 1
	s_cmp_eq_u32 s54, 2
	s_cbranch_scc1 .LBB399_94
; %bb.19:
	s_and_b32 s58, s59, 28
	s_mov_b32 s60, 0
	v_mov_b32_e32 v0, 0
	v_mov_b32_e32 v2, 0
	s_mov_b64 s[50:51], s[34:35]
	s_mov_b64 s[52:53], s[44:45]
	v_mov_b32_e32 v4, v8
.LBB399_20:                             ; =>This Inner Loop Header: Depth=1
	s_load_dwordx8 s[8:15], s[50:51], 0x4
	s_load_dwordx4 s[28:31], s[50:51], 0x24
	s_load_dwordx8 s[0:7], s[52:53], 0x0
	s_add_u32 s50, s50, 48
	s_addc_u32 s51, s51, 0
	s_waitcnt lgkmcnt(0)
	v_mul_hi_u32 v1, s9, v4
	v_add_u32_e32 v1, v4, v1
	v_lshrrev_b32_e32 v1, s10, v1
	v_mul_lo_u32 v3, v1, s8
	v_mul_hi_u32 v5, s12, v1
	v_sub_u32_e32 v3, v4, v3
	v_add_u32_e32 v4, v1, v5
	v_lshrrev_b32_e32 v4, s13, v4
	v_mul_lo_u32 v6, v4, s11
	v_mul_hi_u32 v7, s15, v4
	v_sub_u32_e32 v1, v1, v6
	v_add_u32_e32 v6, v4, v7
	v_mul_lo_u32 v5, v3, s1
	v_mul_lo_u32 v3, v3, s0
	;; [unrolled: 1-line block ×4, first 2 shown]
	v_lshrrev_b32_e32 v6, s28, v6
	v_add3_u32 v0, v3, v0, v1
	v_mul_hi_u32 v3, s30, v6
	v_add3_u32 v1, v5, v2, v7
	v_mul_lo_u32 v2, v6, s14
	v_add_u32_e32 v3, v6, v3
	v_sub_u32_e32 v2, v4, v2
	v_lshrrev_b32_e32 v4, s31, v3
	s_add_i32 s60, s60, 4
	v_mul_lo_u32 v3, v4, s29
	s_add_u32 s52, s52, 32
	v_sub_u32_e32 v3, v6, v3
	s_addc_u32 s53, s53, 0
	v_mul_lo_u32 v5, v2, s4
	v_mul_lo_u32 v2, v2, s5
	;; [unrolled: 1-line block ×4, first 2 shown]
	s_cmp_eq_u32 s58, s60
	v_add3_u32 v2, v2, v1, v3
	v_add3_u32 v0, v5, v0, v6
	s_cbranch_scc0 .LBB399_20
; %bb.21:
	v_mov_b32_e32 v1, v2
	s_branch .LBB399_95
.LBB399_22:
                                        ; implicit-def: $vgpr2
                                        ; implicit-def: $vgpr0
	s_branch .LBB399_30
.LBB399_23:
                                        ; implicit-def: $vgpr2
                                        ; implicit-def: $vgpr0
	s_branch .LBB399_82
.LBB399_24:
                                        ; implicit-def: $vgpr2
                                        ; implicit-def: $vgpr0
	s_branch .LBB399_99
.LBB399_25:
	v_mov_b32_e32 v2, 0
	v_mov_b32_e32 v0, 0
	s_branch .LBB399_29
.LBB399_26:
	v_mov_b32_e32 v0, 0
                                        ; implicit-def: $vgpr2
	v_mov_b32_e32 v1, v0
	v_mov_b32_e32 v4, v8
	s_and_b32 s6, s27, 3
	s_cmp_eq_u32 s6, 0
	s_cbranch_scc1 .LBB399_29
.LBB399_27:
	s_lshl_b32 s2, s26, 3
	s_add_u32 s2, s34, s2
	s_addc_u32 s3, s35, 0
	s_add_u32 s2, s2, 0xc4
	s_addc_u32 s3, s3, 0
	s_mul_i32 s4, s26, 12
	s_add_u32 s4, s34, s4
	s_addc_u32 s5, s35, 0
.LBB399_28:                             ; =>This Inner Loop Header: Depth=1
	s_load_dwordx2 s[8:9], s[4:5], 0x4
	s_load_dword s7, s[4:5], 0xc
	s_load_dwordx2 s[10:11], s[2:3], 0x0
	v_mov_b32_e32 v2, v1
	s_add_u32 s4, s4, 12
	s_waitcnt lgkmcnt(0)
	v_mul_hi_u32 v1, s9, v4
	v_add_u32_e32 v1, v4, v1
	v_lshrrev_b32_e32 v1, s7, v1
	s_addc_u32 s5, s5, 0
	v_mul_lo_u32 v3, v1, s8
	s_add_u32 s2, s2, 8
	v_sub_u32_e32 v5, v4, v3
	s_addc_u32 s3, s3, 0
	s_add_i32 s6, s6, -1
	v_mov_b32_e32 v4, v1
	v_mad_u64_u32 v[2:3], s[8:9], v5, s11, v[2:3]
	v_mad_u64_u32 v[0:1], s[8:9], v5, s10, v[0:1]
	s_cmp_lg_u32 s6, 0
	v_mov_b32_e32 v1, v2
	s_cbranch_scc1 .LBB399_28
.LBB399_29:
	s_cbranch_execnz .LBB399_32
.LBB399_30:
	s_load_dwordx4 s[4:7], s[34:35], 0x4
	s_load_dwordx2 s[2:3], s[34:35], 0xc4
	s_cmp_lt_u32 s33, 2
	s_waitcnt lgkmcnt(0)
	v_mul_hi_u32 v0, s5, v8
	v_add_u32_e32 v0, v8, v0
	v_lshrrev_b32_e32 v1, s6, v0
	v_mul_lo_u32 v0, v1, s4
	v_sub_u32_e32 v0, v8, v0
	v_mul_lo_u32 v2, v0, s3
	v_mul_lo_u32 v0, v0, s2
	s_cbranch_scc1 .LBB399_32
; %bb.31:
	s_load_dwordx4 s[4:7], s[34:35], 0x10
	s_load_dwordx2 s[2:3], s[34:35], 0xcc
	s_waitcnt lgkmcnt(0)
	v_mul_hi_u32 v3, s5, v1
	v_add_u32_e32 v3, v1, v3
	v_lshrrev_b32_e32 v3, s6, v3
	v_mul_lo_u32 v3, v3, s4
	v_sub_u32_e32 v3, v1, v3
	v_mad_u64_u32 v[0:1], s[4:5], v3, s2, v[0:1]
	v_mad_u64_u32 v[2:3], s[2:3], v3, s3, v[2:3]
.LBB399_32:
	s_and_b64 vcc, exec, s[0:1]
	v_add_u32_e32 v3, 0x80, v8
	s_cbranch_vccnz .LBB399_38
; %bb.33:
	s_cmp_lg_u32 s33, 0
	s_waitcnt lgkmcnt(0)
	s_mov_b32 s26, 0
	s_cbranch_scc0 .LBB399_39
; %bb.34:
	s_min_u32 s27, s54, 15
	s_add_i32 s27, s27, 1
	s_cmp_eq_u32 s54, 2
	s_cbranch_scc1 .LBB399_40
; %bb.35:
	s_and_b32 s26, s27, 28
	s_add_u32 s2, s34, 0xc4
	s_addc_u32 s3, s35, 0
	s_mov_b32 s28, 0
	v_mov_b32_e32 v4, 0
	v_mov_b32_e32 v6, 0
	s_mov_b64 s[24:25], s[34:35]
	v_mov_b32_e32 v9, v3
.LBB399_36:                             ; =>This Inner Loop Header: Depth=1
	s_load_dwordx8 s[12:19], s[24:25], 0x4
	s_load_dwordx4 s[20:23], s[24:25], 0x24
	s_load_dwordx8 s[4:11], s[2:3], 0x0
	s_add_u32 s24, s24, 48
	s_addc_u32 s25, s25, 0
	s_waitcnt lgkmcnt(0)
	v_mul_hi_u32 v1, s13, v9
	v_add_u32_e32 v1, v9, v1
	v_lshrrev_b32_e32 v1, s14, v1
	v_mul_hi_u32 v7, s16, v1
	v_add_u32_e32 v7, v1, v7
	v_lshrrev_b32_e32 v7, s17, v7
	v_mul_lo_u32 v5, v1, s12
	v_mul_lo_u32 v10, v7, s15
	v_mul_hi_u32 v11, s19, v7
	v_sub_u32_e32 v5, v9, v5
	v_sub_u32_e32 v1, v1, v10
	v_add_u32_e32 v10, v7, v11
	v_mul_lo_u32 v9, v5, s5
	v_mul_lo_u32 v5, v5, s4
	;; [unrolled: 1-line block ×4, first 2 shown]
	v_lshrrev_b32_e32 v10, s20, v10
	v_add3_u32 v1, v5, v4, v1
	v_add3_u32 v4, v9, v6, v11
	v_mul_hi_u32 v6, s22, v10
	v_add_u32_e32 v6, v10, v6
	v_lshrrev_b32_e32 v9, s23, v6
	s_add_i32 s28, s28, 4
	v_mul_lo_u32 v5, v10, s18
	v_mul_lo_u32 v6, v9, s21
	s_add_u32 s2, s2, 32
	v_sub_u32_e32 v5, v7, v5
	v_sub_u32_e32 v6, v10, v6
	s_addc_u32 s3, s3, 0
	v_mul_lo_u32 v7, v5, s8
	v_mul_lo_u32 v5, v5, s9
	v_mul_lo_u32 v10, v6, s10
	v_mul_lo_u32 v6, v6, s11
	s_cmp_lg_u32 s26, s28
	v_add3_u32 v6, v5, v4, v6
	v_add3_u32 v4, v7, v1, v10
	s_cbranch_scc1 .LBB399_36
; %bb.37:
	v_mov_b32_e32 v1, v6
	s_and_b32 s6, s27, 3
	s_cmp_eq_u32 s6, 0
	s_cbranch_scc0 .LBB399_41
	s_branch .LBB399_43
.LBB399_38:
                                        ; implicit-def: $vgpr6
                                        ; implicit-def: $vgpr4
	s_branch .LBB399_44
.LBB399_39:
	v_mov_b32_e32 v6, 0
	v_mov_b32_e32 v4, 0
	s_branch .LBB399_43
.LBB399_40:
	v_mov_b32_e32 v4, 0
                                        ; implicit-def: $vgpr6
	v_mov_b32_e32 v1, v4
	v_mov_b32_e32 v9, v3
	s_and_b32 s6, s27, 3
	s_cmp_eq_u32 s6, 0
	s_cbranch_scc1 .LBB399_43
.LBB399_41:
	s_lshl_b32 s2, s26, 3
	s_add_u32 s2, s34, s2
	s_addc_u32 s3, s35, 0
	s_add_u32 s2, s2, 0xc4
	s_addc_u32 s3, s3, 0
	s_mul_i32 s4, s26, 12
	s_add_u32 s4, s34, s4
	s_addc_u32 s5, s35, 0
.LBB399_42:                             ; =>This Inner Loop Header: Depth=1
	s_load_dwordx2 s[8:9], s[4:5], 0x4
	s_load_dword s7, s[4:5], 0xc
	s_load_dwordx2 s[10:11], s[2:3], 0x0
	v_mov_b32_e32 v6, v1
	s_add_u32 s4, s4, 12
	s_waitcnt lgkmcnt(0)
	v_mul_hi_u32 v1, s9, v9
	v_add_u32_e32 v1, v9, v1
	v_lshrrev_b32_e32 v1, s7, v1
	s_addc_u32 s5, s5, 0
	v_mul_lo_u32 v5, v1, s8
	s_add_u32 s2, s2, 8
	v_sub_u32_e32 v5, v9, v5
	s_addc_u32 s3, s3, 0
	s_add_i32 s6, s6, -1
	v_mad_u64_u32 v[6:7], s[8:9], v5, s11, v[6:7]
	s_cmp_lg_u32 s6, 0
	v_mov_b32_e32 v9, v1
	v_mad_u64_u32 v[4:5], s[8:9], v5, s10, v[4:5]
	v_mov_b32_e32 v1, v6
	s_cbranch_scc1 .LBB399_42
.LBB399_43:
	s_cbranch_execnz .LBB399_46
.LBB399_44:
	s_load_dwordx4 s[4:7], s[34:35], 0x4
	s_load_dwordx2 s[2:3], s[34:35], 0xc4
	s_cmp_lt_u32 s33, 2
	s_waitcnt lgkmcnt(0)
	v_mul_hi_u32 v1, s5, v3
	v_add_u32_e32 v1, v3, v1
	v_lshrrev_b32_e32 v1, s6, v1
	v_mul_lo_u32 v4, v1, s4
	v_sub_u32_e32 v3, v3, v4
	v_mul_lo_u32 v6, v3, s3
	v_mul_lo_u32 v4, v3, s2
	s_cbranch_scc1 .LBB399_46
; %bb.45:
	s_load_dwordx4 s[4:7], s[34:35], 0x10
	s_load_dwordx2 s[2:3], s[34:35], 0xcc
	s_waitcnt lgkmcnt(0)
	v_mul_hi_u32 v3, s5, v1
	v_add_u32_e32 v3, v1, v3
	v_lshrrev_b32_e32 v3, s6, v3
	v_mul_lo_u32 v3, v3, s4
	v_sub_u32_e32 v1, v1, v3
	v_mad_u64_u32 v[4:5], s[4:5], v1, s2, v[4:5]
	v_mad_u64_u32 v[6:7], s[2:3], v1, s3, v[6:7]
.LBB399_46:
	s_and_b64 vcc, exec, s[0:1]
	v_add_u32_e32 v3, 0x100, v8
	s_cbranch_vccnz .LBB399_52
; %bb.47:
	s_cmp_lg_u32 s33, 0
	s_waitcnt lgkmcnt(0)
	s_mov_b32 s26, 0
	s_cbranch_scc0 .LBB399_53
; %bb.48:
	s_min_u32 s27, s54, 15
	s_add_i32 s27, s27, 1
	s_cmp_eq_u32 s54, 2
	s_cbranch_scc1 .LBB399_54
; %bb.49:
	s_and_b32 s26, s27, 28
	s_add_u32 s2, s34, 0xc4
	s_addc_u32 s3, s35, 0
	s_mov_b32 s28, 0
	v_mov_b32_e32 v8, 0
	v_mov_b32_e32 v10, 0
	s_mov_b64 s[24:25], s[34:35]
	v_mov_b32_e32 v5, v3
.LBB399_50:                             ; =>This Inner Loop Header: Depth=1
	s_load_dwordx8 s[12:19], s[24:25], 0x4
	s_load_dwordx4 s[20:23], s[24:25], 0x24
	s_load_dwordx8 s[4:11], s[2:3], 0x0
	s_add_u32 s24, s24, 48
	s_addc_u32 s25, s25, 0
	s_waitcnt lgkmcnt(0)
	v_mul_hi_u32 v1, s13, v5
	v_add_u32_e32 v1, v5, v1
	v_lshrrev_b32_e32 v1, s14, v1
	v_mul_lo_u32 v7, v1, s12
	v_mul_hi_u32 v9, s16, v1
	v_sub_u32_e32 v5, v5, v7
	v_add_u32_e32 v7, v1, v9
	v_lshrrev_b32_e32 v7, s17, v7
	v_mul_lo_u32 v11, v7, s15
	v_mul_hi_u32 v12, s19, v7
	v_sub_u32_e32 v1, v1, v11
	v_add_u32_e32 v11, v7, v12
	v_mul_lo_u32 v9, v5, s5
	v_mul_lo_u32 v5, v5, s4
	;; [unrolled: 1-line block ×4, first 2 shown]
	v_lshrrev_b32_e32 v11, s20, v11
	v_add3_u32 v1, v5, v8, v1
	v_add3_u32 v8, v9, v10, v12
	v_mul_lo_u32 v5, v11, s18
	v_mul_hi_u32 v9, s22, v11
	v_sub_u32_e32 v5, v7, v5
	v_add_u32_e32 v7, v11, v9
	v_mul_lo_u32 v9, v5, s8
	v_mul_lo_u32 v10, v5, s9
	v_lshrrev_b32_e32 v5, s23, v7
	s_add_i32 s28, s28, 4
	v_mul_lo_u32 v7, v5, s21
	s_add_u32 s2, s2, 32
	v_sub_u32_e32 v7, v11, v7
	s_addc_u32 s3, s3, 0
	v_mul_lo_u32 v11, v7, s10
	v_mul_lo_u32 v7, v7, s11
	s_cmp_lg_u32 s26, s28
	v_add3_u32 v10, v10, v8, v7
	v_add3_u32 v8, v9, v1, v11
	s_cbranch_scc1 .LBB399_50
; %bb.51:
	v_mov_b32_e32 v1, v10
	s_and_b32 s6, s27, 3
	s_cmp_eq_u32 s6, 0
	s_cbranch_scc0 .LBB399_55
	s_branch .LBB399_57
.LBB399_52:
                                        ; implicit-def: $vgpr10
                                        ; implicit-def: $vgpr8
	s_branch .LBB399_58
.LBB399_53:
	v_mov_b32_e32 v10, 0
	v_mov_b32_e32 v8, 0
	s_branch .LBB399_57
.LBB399_54:
	v_mov_b32_e32 v8, 0
                                        ; implicit-def: $vgpr10
	v_mov_b32_e32 v1, v8
	v_mov_b32_e32 v5, v3
	s_and_b32 s6, s27, 3
	s_cmp_eq_u32 s6, 0
	s_cbranch_scc1 .LBB399_57
.LBB399_55:
	s_lshl_b32 s2, s26, 3
	s_add_u32 s2, s34, s2
	s_addc_u32 s3, s35, 0
	s_add_u32 s2, s2, 0xc4
	s_addc_u32 s3, s3, 0
	s_mul_i32 s4, s26, 12
	s_add_u32 s4, s34, s4
	s_addc_u32 s5, s35, 0
.LBB399_56:                             ; =>This Inner Loop Header: Depth=1
	s_load_dwordx2 s[8:9], s[4:5], 0x4
	s_load_dword s7, s[4:5], 0xc
	s_load_dwordx2 s[10:11], s[2:3], 0x0
	v_mov_b32_e32 v10, v1
	s_add_u32 s4, s4, 12
	s_waitcnt lgkmcnt(0)
	v_mul_hi_u32 v1, s9, v5
	v_add_u32_e32 v1, v5, v1
	v_lshrrev_b32_e32 v1, s7, v1
	s_addc_u32 s5, s5, 0
	v_mul_lo_u32 v7, v1, s8
	s_add_u32 s2, s2, 8
	v_sub_u32_e32 v7, v5, v7
	s_addc_u32 s3, s3, 0
	s_add_i32 s6, s6, -1
	v_mad_u64_u32 v[10:11], s[8:9], v7, s11, v[10:11]
	s_cmp_lg_u32 s6, 0
	v_mov_b32_e32 v5, v1
	v_mad_u64_u32 v[8:9], s[8:9], v7, s10, v[8:9]
	v_mov_b32_e32 v1, v10
	s_cbranch_scc1 .LBB399_56
.LBB399_57:
	s_cbranch_execnz .LBB399_60
.LBB399_58:
	s_load_dwordx4 s[4:7], s[34:35], 0x4
	s_load_dwordx2 s[2:3], s[34:35], 0xc4
	s_cmp_lt_u32 s33, 2
	s_waitcnt lgkmcnt(0)
	v_mul_hi_u32 v1, s5, v3
	v_add_u32_e32 v1, v3, v1
	v_lshrrev_b32_e32 v1, s6, v1
	v_mul_lo_u32 v5, v1, s4
	v_sub_u32_e32 v3, v3, v5
	v_mul_lo_u32 v10, v3, s3
	v_mul_lo_u32 v8, v3, s2
	s_cbranch_scc1 .LBB399_60
; %bb.59:
	s_load_dwordx4 s[4:7], s[34:35], 0x10
	s_load_dwordx2 s[2:3], s[34:35], 0xcc
	s_waitcnt lgkmcnt(0)
	v_mul_hi_u32 v3, s5, v1
	v_add_u32_e32 v3, v1, v3
	v_lshrrev_b32_e32 v3, s6, v3
	v_mul_lo_u32 v3, v3, s4
	v_sub_u32_e32 v1, v1, v3
	v_mad_u64_u32 v[8:9], s[4:5], v1, s2, v[8:9]
	v_mad_u64_u32 v[10:11], s[2:3], v1, s3, v[10:11]
.LBB399_60:
	s_and_b64 vcc, exec, s[0:1]
	s_cbranch_vccnz .LBB399_66
; %bb.61:
	s_cmp_lg_u32 s33, 0
	s_waitcnt lgkmcnt(0)
	s_mov_b32 s24, 0
	s_cbranch_scc0 .LBB399_67
; %bb.62:
	s_min_u32 s25, s54, 15
	s_add_i32 s25, s25, 1
	s_cmp_eq_u32 s54, 2
	s_cbranch_scc1 .LBB399_68
; %bb.63:
	s_and_b32 s24, s25, 28
	s_add_u32 s20, s34, 0xc4
	s_addc_u32 s21, s35, 0
	s_mov_b32 s26, 0
	v_mov_b32_e32 v12, 0
	v_mov_b32_e32 v14, 0
	s_mov_b64 s[22:23], s[34:35]
	v_mov_b32_e32 v3, v16
.LBB399_64:                             ; =>This Inner Loop Header: Depth=1
	s_load_dwordx8 s[8:15], s[22:23], 0x4
	s_load_dwordx4 s[16:19], s[22:23], 0x24
	s_load_dwordx8 s[0:7], s[20:21], 0x0
	s_add_u32 s22, s22, 48
	s_addc_u32 s23, s23, 0
	s_waitcnt lgkmcnt(0)
	v_mul_hi_u32 v1, s9, v3
	v_add_u32_e32 v1, v3, v1
	v_lshrrev_b32_e32 v1, s10, v1
	v_mul_lo_u32 v5, v1, s8
	v_mul_hi_u32 v7, s12, v1
	v_sub_u32_e32 v3, v3, v5
	v_add_u32_e32 v5, v1, v7
	v_lshrrev_b32_e32 v5, s13, v5
	v_mul_lo_u32 v9, v5, s11
	v_mul_hi_u32 v11, s15, v5
	v_sub_u32_e32 v1, v1, v9
	v_add_u32_e32 v9, v5, v11
	v_mul_lo_u32 v7, v3, s1
	v_mul_lo_u32 v3, v3, s0
	;; [unrolled: 1-line block ×4, first 2 shown]
	v_lshrrev_b32_e32 v9, s16, v9
	v_add3_u32 v1, v3, v12, v1
	v_add3_u32 v7, v7, v14, v11
	v_mul_lo_u32 v3, v9, s14
	v_mul_hi_u32 v11, s18, v9
	v_sub_u32_e32 v3, v5, v3
	v_add_u32_e32 v5, v9, v11
	v_mul_lo_u32 v11, v3, s4
	v_mul_lo_u32 v12, v3, s5
	v_lshrrev_b32_e32 v3, s19, v5
	s_add_i32 s26, s26, 4
	v_mul_lo_u32 v5, v3, s17
	s_add_u32 s20, s20, 32
	v_sub_u32_e32 v5, v9, v5
	s_addc_u32 s21, s21, 0
	v_mul_lo_u32 v9, v5, s6
	v_mul_lo_u32 v5, v5, s7
	s_cmp_lg_u32 s24, s26
	v_add3_u32 v14, v12, v7, v5
	v_add3_u32 v12, v11, v1, v9
	s_cbranch_scc1 .LBB399_64
; %bb.65:
	v_mov_b32_e32 v1, v14
	s_and_b32 s4, s25, 3
	s_cmp_eq_u32 s4, 0
	s_cbranch_scc0 .LBB399_69
	s_branch .LBB399_71
.LBB399_66:
                                        ; implicit-def: $vgpr14
                                        ; implicit-def: $vgpr12
	s_branch .LBB399_72
.LBB399_67:
	v_mov_b32_e32 v14, 0
	v_mov_b32_e32 v12, 0
	s_branch .LBB399_71
.LBB399_68:
	v_mov_b32_e32 v12, 0
                                        ; implicit-def: $vgpr14
	v_mov_b32_e32 v1, v12
	v_mov_b32_e32 v3, v16
	s_and_b32 s4, s25, 3
	s_cmp_eq_u32 s4, 0
	s_cbranch_scc1 .LBB399_71
.LBB399_69:
	s_lshl_b32 s0, s24, 3
	s_add_u32 s0, s34, s0
	s_addc_u32 s1, s35, 0
	s_add_u32 s0, s0, 0xc4
	s_addc_u32 s1, s1, 0
	s_mul_i32 s2, s24, 12
	s_add_u32 s2, s34, s2
	s_addc_u32 s3, s35, 0
.LBB399_70:                             ; =>This Inner Loop Header: Depth=1
	s_load_dwordx2 s[6:7], s[2:3], 0x4
	s_load_dword s5, s[2:3], 0xc
	s_load_dwordx2 s[8:9], s[0:1], 0x0
	v_mov_b32_e32 v14, v1
	s_add_u32 s2, s2, 12
	s_waitcnt lgkmcnt(0)
	v_mul_hi_u32 v1, s7, v3
	v_add_u32_e32 v1, v3, v1
	v_lshrrev_b32_e32 v1, s5, v1
	s_addc_u32 s3, s3, 0
	v_mul_lo_u32 v5, v1, s6
	s_add_u32 s0, s0, 8
	v_sub_u32_e32 v5, v3, v5
	s_addc_u32 s1, s1, 0
	s_add_i32 s4, s4, -1
	v_mad_u64_u32 v[14:15], s[6:7], v5, s9, v[14:15]
	s_cmp_lg_u32 s4, 0
	v_mov_b32_e32 v3, v1
	v_mad_u64_u32 v[12:13], s[6:7], v5, s8, v[12:13]
	v_mov_b32_e32 v1, v14
	s_cbranch_scc1 .LBB399_70
.LBB399_71:
	s_cbranch_execnz .LBB399_74
.LBB399_72:
	s_load_dwordx4 s[0:3], s[34:35], 0x4
	s_load_dwordx2 s[4:5], s[34:35], 0xc4
	s_cmp_lt_u32 s33, 2
	s_waitcnt lgkmcnt(0)
	v_mul_hi_u32 v1, s1, v16
	v_add_u32_e32 v1, v16, v1
	v_lshrrev_b32_e32 v1, s2, v1
	v_mul_lo_u32 v3, v1, s0
	v_sub_u32_e32 v3, v16, v3
	v_mul_lo_u32 v14, v3, s5
	v_mul_lo_u32 v12, v3, s4
	s_cbranch_scc1 .LBB399_74
; %bb.73:
	s_load_dwordx4 s[0:3], s[34:35], 0x10
	s_load_dwordx2 s[4:5], s[34:35], 0xcc
	s_waitcnt lgkmcnt(0)
	v_mul_hi_u32 v3, s1, v1
	v_add_u32_e32 v3, v1, v3
	v_lshrrev_b32_e32 v3, s2, v3
	v_mul_lo_u32 v3, v3, s0
	v_sub_u32_e32 v1, v1, v3
	v_mad_u64_u32 v[12:13], s[0:1], v1, s4, v[12:13]
	v_mad_u64_u32 v[14:15], s[0:1], v1, s5, v[14:15]
.LBB399_74:
	s_load_dwordx4 s[0:3], s[34:35], 0x148
	s_load_dword s4, s[34:35], 0x158
	s_waitcnt lgkmcnt(0)
	global_load_dword v1, v2, s[2:3]
	global_load_dword v3, v6, s[2:3]
	global_load_dword v5, v10, s[2:3]
	global_load_dword v7, v14, s[2:3]
	v_max_f32_e64 v2, s4, s4
	s_waitcnt vmcnt(3)
	v_max_f32_e32 v6, v1, v1
	s_waitcnt vmcnt(2)
	v_max_f32_e32 v9, v3, v3
	v_max_f32_e32 v6, v6, v2
	v_cmp_u_f32_e32 vcc, v1, v1
	s_waitcnt vmcnt(1)
	v_max_f32_e32 v10, v5, v5
	v_max_f32_e32 v9, v9, v2
	v_cndmask_b32_e32 v1, v6, v1, vcc
	v_cmp_u_f32_e32 vcc, v3, v3
	s_waitcnt vmcnt(0)
	v_max_f32_e32 v11, v7, v7
	v_max_f32_e32 v10, v10, v2
	v_cndmask_b32_e32 v3, v9, v3, vcc
	v_cmp_u_f32_e32 vcc, v5, v5
	v_max_f32_e32 v2, v11, v2
	s_nop 0
	v_cndmask_b32_e32 v5, v10, v5, vcc
	v_cmp_u_f32_e32 vcc, v7, v7
	s_nop 1
	v_cndmask_b32_e32 v2, v2, v7, vcc
	global_store_dword v0, v1, s[0:1]
	global_store_dword v4, v3, s[0:1]
	;; [unrolled: 1-line block ×4, first 2 shown]
	s_endpgm
.LBB399_75:
	v_mov_b32_e32 v2, 0
	v_mov_b32_e32 v0, 0
	s_branch .LBB399_81
.LBB399_76:
	v_mov_b32_e32 v2, 0
	v_mov_b32_e32 v0, 0
	s_branch .LBB399_98
.LBB399_77:
	v_mov_b32_e32 v0, 0
	s_mov_b32 s58, 0
	v_mov_b32_e32 v1, v0
                                        ; implicit-def: $vgpr2
	v_mov_b32_e32 v4, v8
.LBB399_78:
	s_and_b32 s4, s59, 3
	s_cmp_eq_u32 s4, 0
	s_cbranch_scc1 .LBB399_81
; %bb.79:
	s_lshl_b32 s0, s58, 3
	s_add_u32 s0, s34, s0
	s_addc_u32 s1, s35, 0
	s_add_u32 s0, s0, 0xc4
	s_addc_u32 s1, s1, 0
	s_mul_i32 s2, s58, 12
	s_add_u32 s2, s34, s2
	s_addc_u32 s3, s35, 0
.LBB399_80:                             ; =>This Inner Loop Header: Depth=1
	s_load_dwordx2 s[6:7], s[2:3], 0x4
	s_load_dword s5, s[2:3], 0xc
	s_load_dwordx2 s[8:9], s[0:1], 0x0
	v_mov_b32_e32 v2, v1
	s_add_u32 s2, s2, 12
	s_waitcnt lgkmcnt(0)
	v_mul_hi_u32 v1, s7, v4
	v_add_u32_e32 v1, v4, v1
	v_lshrrev_b32_e32 v1, s5, v1
	s_addc_u32 s3, s3, 0
	v_mul_lo_u32 v3, v1, s6
	s_add_u32 s0, s0, 8
	v_sub_u32_e32 v5, v4, v3
	s_addc_u32 s1, s1, 0
	s_add_i32 s4, s4, -1
	v_mov_b32_e32 v4, v1
	v_mad_u64_u32 v[2:3], s[6:7], v5, s9, v[2:3]
	v_mad_u64_u32 v[0:1], s[6:7], v5, s8, v[0:1]
	s_cmp_lg_u32 s4, 0
	v_mov_b32_e32 v1, v2
	s_cbranch_scc1 .LBB399_80
.LBB399_81:
	s_cbranch_execnz .LBB399_84
.LBB399_82:
	s_waitcnt lgkmcnt(0)
	v_mul_hi_u32 v0, s25, v8
	v_add_u32_e32 v0, v8, v0
	v_lshrrev_b32_e32 v1, s26, v0
	v_mul_lo_u32 v0, v1, s24
	v_sub_u32_e32 v0, v8, v0
	v_mul_lo_u32 v2, v0, s21
	s_andn2_b64 vcc, exec, s[42:43]
	v_mul_lo_u32 v0, v0, s20
	s_cbranch_vccnz .LBB399_84
; %bb.83:
	v_mul_hi_u32 v3, s40, v1
	v_add_u32_e32 v3, v1, v3
	v_lshrrev_b32_e32 v3, s41, v3
	v_mul_lo_u32 v3, v3, s27
	v_sub_u32_e32 v3, v1, v3
	v_mad_u64_u32 v[0:1], s[0:1], v3, s22, v[0:1]
	v_mad_u64_u32 v[2:3], s[0:1], v3, s23, v[2:3]
.LBB399_84:
	s_waitcnt lgkmcnt(0)
	global_load_dword v1, v2, s[18:19]
	v_max_f32_e64 v2, s55, s55
	v_add_u32_e32 v8, 0x80, v8
	s_waitcnt vmcnt(0)
	v_max_f32_e32 v3, v1, v1
	v_max_f32_e32 v2, v3, v2
	v_cmp_u_f32_e32 vcc, v1, v1
	s_nop 1
	v_cndmask_b32_e32 v1, v2, v1, vcc
	global_store_dword v0, v1, s[16:17]
	s_or_b64 exec, exec, s[48:49]
	v_cmp_gt_i32_e32 vcc, s56, v8
	s_and_saveexec_b64 s[48:49], vcc
	s_cbranch_execnz .LBB399_16
.LBB399_85:
	s_or_b64 exec, exec, s[48:49]
	v_cmp_gt_i32_e32 vcc, s56, v8
	s_and_saveexec_b64 s[48:49], vcc
	s_cbranch_execz .LBB399_102
.LBB399_86:
	s_andn2_b64 vcc, exec, s[36:37]
	s_cbranch_vccnz .LBB399_92
; %bb.87:
	s_andn2_b64 vcc, exec, s[46:47]
	s_cbranch_vccnz .LBB399_93
; %bb.88:
	s_add_i32 s59, s57, 1
	s_cmp_eq_u32 s54, 2
	s_cbranch_scc1 .LBB399_105
; %bb.89:
	s_and_b32 s58, s59, 28
	s_mov_b32 s60, 0
	v_mov_b32_e32 v0, 0
	v_mov_b32_e32 v2, 0
	s_mov_b64 s[50:51], s[34:35]
	s_mov_b64 s[52:53], s[44:45]
	v_mov_b32_e32 v4, v8
.LBB399_90:                             ; =>This Inner Loop Header: Depth=1
	s_load_dwordx8 s[8:15], s[50:51], 0x4
	s_load_dwordx4 s[28:31], s[50:51], 0x24
	s_load_dwordx8 s[0:7], s[52:53], 0x0
	s_add_u32 s50, s50, 48
	s_addc_u32 s51, s51, 0
	s_waitcnt lgkmcnt(0)
	v_mul_hi_u32 v1, s9, v4
	v_add_u32_e32 v1, v4, v1
	v_lshrrev_b32_e32 v1, s10, v1
	v_mul_lo_u32 v3, v1, s8
	v_mul_hi_u32 v5, s12, v1
	v_sub_u32_e32 v3, v4, v3
	v_add_u32_e32 v4, v1, v5
	v_lshrrev_b32_e32 v4, s13, v4
	v_mul_lo_u32 v6, v4, s11
	v_mul_hi_u32 v7, s15, v4
	v_sub_u32_e32 v1, v1, v6
	v_add_u32_e32 v6, v4, v7
	v_mul_lo_u32 v5, v3, s1
	v_mul_lo_u32 v3, v3, s0
	;; [unrolled: 1-line block ×4, first 2 shown]
	v_lshrrev_b32_e32 v6, s28, v6
	v_add3_u32 v0, v3, v0, v1
	v_mul_hi_u32 v3, s30, v6
	v_add3_u32 v1, v5, v2, v7
	v_mul_lo_u32 v2, v6, s14
	v_add_u32_e32 v3, v6, v3
	v_sub_u32_e32 v2, v4, v2
	v_lshrrev_b32_e32 v4, s31, v3
	s_add_i32 s60, s60, 4
	v_mul_lo_u32 v3, v4, s29
	s_add_u32 s52, s52, 32
	v_sub_u32_e32 v3, v6, v3
	s_addc_u32 s53, s53, 0
	v_mul_lo_u32 v5, v2, s4
	v_mul_lo_u32 v2, v2, s5
	;; [unrolled: 1-line block ×4, first 2 shown]
	s_cmp_eq_u32 s58, s60
	v_add3_u32 v2, v2, v1, v3
	v_add3_u32 v0, v5, v0, v6
	s_cbranch_scc0 .LBB399_90
; %bb.91:
	v_mov_b32_e32 v1, v2
	s_branch .LBB399_106
.LBB399_92:
                                        ; implicit-def: $vgpr2
                                        ; implicit-def: $vgpr0
	s_branch .LBB399_110
.LBB399_93:
	v_mov_b32_e32 v2, 0
	v_mov_b32_e32 v0, 0
	s_branch .LBB399_109
.LBB399_94:
	v_mov_b32_e32 v0, 0
	s_mov_b32 s58, 0
	v_mov_b32_e32 v1, v0
                                        ; implicit-def: $vgpr2
	v_mov_b32_e32 v4, v8
.LBB399_95:
	s_and_b32 s4, s59, 3
	s_cmp_eq_u32 s4, 0
	s_cbranch_scc1 .LBB399_98
; %bb.96:
	s_lshl_b32 s0, s58, 3
	s_add_u32 s0, s34, s0
	s_addc_u32 s1, s35, 0
	s_add_u32 s0, s0, 0xc4
	s_addc_u32 s1, s1, 0
	s_mul_i32 s2, s58, 12
	s_add_u32 s2, s34, s2
	s_addc_u32 s3, s35, 0
.LBB399_97:                             ; =>This Inner Loop Header: Depth=1
	s_load_dwordx2 s[6:7], s[2:3], 0x4
	s_load_dword s5, s[2:3], 0xc
	s_load_dwordx2 s[8:9], s[0:1], 0x0
	v_mov_b32_e32 v2, v1
	s_add_u32 s2, s2, 12
	s_waitcnt lgkmcnt(0)
	v_mul_hi_u32 v1, s7, v4
	v_add_u32_e32 v1, v4, v1
	v_lshrrev_b32_e32 v1, s5, v1
	s_addc_u32 s3, s3, 0
	v_mul_lo_u32 v3, v1, s6
	s_add_u32 s0, s0, 8
	v_sub_u32_e32 v5, v4, v3
	s_addc_u32 s1, s1, 0
	s_add_i32 s4, s4, -1
	v_mov_b32_e32 v4, v1
	v_mad_u64_u32 v[2:3], s[6:7], v5, s9, v[2:3]
	v_mad_u64_u32 v[0:1], s[6:7], v5, s8, v[0:1]
	s_cmp_lg_u32 s4, 0
	v_mov_b32_e32 v1, v2
	s_cbranch_scc1 .LBB399_97
.LBB399_98:
	s_cbranch_execnz .LBB399_101
.LBB399_99:
	s_waitcnt lgkmcnt(0)
	v_mul_hi_u32 v0, s25, v8
	v_add_u32_e32 v0, v8, v0
	v_lshrrev_b32_e32 v1, s26, v0
	v_mul_lo_u32 v0, v1, s24
	v_sub_u32_e32 v0, v8, v0
	v_mul_lo_u32 v2, v0, s21
	s_andn2_b64 vcc, exec, s[42:43]
	v_mul_lo_u32 v0, v0, s20
	s_cbranch_vccnz .LBB399_101
; %bb.100:
	v_mul_hi_u32 v3, s40, v1
	v_add_u32_e32 v3, v1, v3
	v_lshrrev_b32_e32 v3, s41, v3
	v_mul_lo_u32 v3, v3, s27
	v_sub_u32_e32 v3, v1, v3
	v_mad_u64_u32 v[0:1], s[0:1], v3, s22, v[0:1]
	v_mad_u64_u32 v[2:3], s[0:1], v3, s23, v[2:3]
.LBB399_101:
	s_waitcnt lgkmcnt(0)
	global_load_dword v1, v2, s[18:19]
	v_max_f32_e64 v2, s55, s55
	v_add_u32_e32 v8, 0x80, v8
	s_waitcnt vmcnt(0)
	v_max_f32_e32 v3, v1, v1
	v_max_f32_e32 v2, v3, v2
	v_cmp_u_f32_e32 vcc, v1, v1
	s_nop 1
	v_cndmask_b32_e32 v1, v2, v1, vcc
	global_store_dword v0, v1, s[16:17]
	s_or_b64 exec, exec, s[48:49]
	v_cmp_gt_i32_e32 vcc, s56, v8
	s_and_saveexec_b64 s[48:49], vcc
	s_cbranch_execnz .LBB399_86
.LBB399_102:
	s_or_b64 exec, exec, s[48:49]
	v_cmp_gt_i32_e32 vcc, s56, v8
	s_and_saveexec_b64 s[48:49], vcc
	s_cbranch_execnz .LBB399_113
.LBB399_103:
	s_or_b64 exec, exec, s[48:49]
                                        ; implicit-def: $vgpr16
                                        ; implicit-def: $vgpr8
	s_andn2_saveexec_b64 s[0:1], s[38:39]
	s_cbranch_execnz .LBB399_9
.LBB399_104:
	s_endpgm
.LBB399_105:
	v_mov_b32_e32 v0, 0
	s_mov_b32 s58, 0
	v_mov_b32_e32 v1, v0
                                        ; implicit-def: $vgpr2
	v_mov_b32_e32 v4, v8
.LBB399_106:
	s_and_b32 s4, s59, 3
	s_cmp_eq_u32 s4, 0
	s_cbranch_scc1 .LBB399_109
; %bb.107:
	s_lshl_b32 s0, s58, 3
	s_add_u32 s0, s34, s0
	s_addc_u32 s1, s35, 0
	s_add_u32 s0, s0, 0xc4
	s_addc_u32 s1, s1, 0
	s_mul_i32 s2, s58, 12
	s_add_u32 s2, s34, s2
	s_addc_u32 s3, s35, 0
.LBB399_108:                            ; =>This Inner Loop Header: Depth=1
	s_load_dwordx2 s[6:7], s[2:3], 0x4
	s_load_dword s5, s[2:3], 0xc
	s_load_dwordx2 s[8:9], s[0:1], 0x0
	v_mov_b32_e32 v2, v1
	s_add_u32 s2, s2, 12
	s_waitcnt lgkmcnt(0)
	v_mul_hi_u32 v1, s7, v4
	v_add_u32_e32 v1, v4, v1
	v_lshrrev_b32_e32 v1, s5, v1
	s_addc_u32 s3, s3, 0
	v_mul_lo_u32 v3, v1, s6
	s_add_u32 s0, s0, 8
	v_sub_u32_e32 v5, v4, v3
	s_addc_u32 s1, s1, 0
	s_add_i32 s4, s4, -1
	v_mov_b32_e32 v4, v1
	v_mad_u64_u32 v[2:3], s[6:7], v5, s9, v[2:3]
	v_mad_u64_u32 v[0:1], s[6:7], v5, s8, v[0:1]
	s_cmp_lg_u32 s4, 0
	v_mov_b32_e32 v1, v2
	s_cbranch_scc1 .LBB399_108
.LBB399_109:
	s_cbranch_execnz .LBB399_112
.LBB399_110:
	s_waitcnt lgkmcnt(0)
	v_mul_hi_u32 v0, s25, v8
	v_add_u32_e32 v0, v8, v0
	v_lshrrev_b32_e32 v1, s26, v0
	v_mul_lo_u32 v0, v1, s24
	v_sub_u32_e32 v0, v8, v0
	v_mul_lo_u32 v2, v0, s21
	s_andn2_b64 vcc, exec, s[42:43]
	v_mul_lo_u32 v0, v0, s20
	s_cbranch_vccnz .LBB399_112
; %bb.111:
	v_mul_hi_u32 v3, s40, v1
	v_add_u32_e32 v3, v1, v3
	v_lshrrev_b32_e32 v3, s41, v3
	v_mul_lo_u32 v3, v3, s27
	v_sub_u32_e32 v3, v1, v3
	v_mad_u64_u32 v[0:1], s[0:1], v3, s22, v[0:1]
	v_mad_u64_u32 v[2:3], s[0:1], v3, s23, v[2:3]
.LBB399_112:
	s_waitcnt lgkmcnt(0)
	global_load_dword v1, v2, s[18:19]
	v_max_f32_e64 v2, s55, s55
	v_add_u32_e32 v8, 0x80, v8
	s_waitcnt vmcnt(0)
	v_max_f32_e32 v3, v1, v1
	v_max_f32_e32 v2, v3, v2
	v_cmp_u_f32_e32 vcc, v1, v1
	s_nop 1
	v_cndmask_b32_e32 v1, v2, v1, vcc
	global_store_dword v0, v1, s[16:17]
	s_or_b64 exec, exec, s[48:49]
	v_cmp_gt_i32_e32 vcc, s56, v8
	s_and_saveexec_b64 s[48:49], vcc
	s_cbranch_execz .LBB399_103
.LBB399_113:
	s_andn2_b64 vcc, exec, s[36:37]
	s_cbranch_vccnz .LBB399_119
; %bb.114:
	s_andn2_b64 vcc, exec, s[46:47]
	s_cbranch_vccnz .LBB399_120
; %bb.115:
	s_add_i32 s57, s57, 1
	s_cmp_eq_u32 s54, 2
	s_cbranch_scc1 .LBB399_121
; %bb.116:
	s_and_b32 s50, s57, 28
	s_mov_b32 s51, 0
	v_mov_b32_e32 v0, 0
	v_mov_b32_e32 v2, 0
	s_mov_b64 s[46:47], s[34:35]
	v_mov_b32_e32 v4, v8
.LBB399_117:                            ; =>This Inner Loop Header: Depth=1
	s_load_dwordx8 s[8:15], s[46:47], 0x4
	s_load_dwordx4 s[28:31], s[46:47], 0x24
	s_load_dwordx8 s[0:7], s[44:45], 0x0
	s_add_u32 s46, s46, 48
	s_addc_u32 s47, s47, 0
	s_waitcnt lgkmcnt(0)
	v_mul_hi_u32 v1, s9, v4
	v_add_u32_e32 v1, v4, v1
	v_lshrrev_b32_e32 v1, s10, v1
	v_mul_lo_u32 v3, v1, s8
	v_mul_hi_u32 v5, s12, v1
	v_sub_u32_e32 v3, v4, v3
	v_add_u32_e32 v4, v1, v5
	v_lshrrev_b32_e32 v4, s13, v4
	v_mul_lo_u32 v6, v4, s11
	v_mul_hi_u32 v7, s15, v4
	v_sub_u32_e32 v1, v1, v6
	v_add_u32_e32 v6, v4, v7
	v_mul_lo_u32 v5, v3, s1
	v_mul_lo_u32 v3, v3, s0
	;; [unrolled: 1-line block ×4, first 2 shown]
	v_lshrrev_b32_e32 v6, s28, v6
	v_add3_u32 v0, v3, v0, v1
	v_mul_hi_u32 v3, s30, v6
	v_add3_u32 v1, v5, v2, v7
	v_mul_lo_u32 v2, v6, s14
	v_add_u32_e32 v3, v6, v3
	v_sub_u32_e32 v2, v4, v2
	v_lshrrev_b32_e32 v4, s31, v3
	s_add_i32 s51, s51, 4
	v_mul_lo_u32 v3, v4, s29
	s_add_u32 s44, s44, 32
	v_sub_u32_e32 v3, v6, v3
	s_addc_u32 s45, s45, 0
	v_mul_lo_u32 v5, v2, s4
	v_mul_lo_u32 v2, v2, s5
	;; [unrolled: 1-line block ×4, first 2 shown]
	s_cmp_eq_u32 s50, s51
	v_add3_u32 v2, v2, v1, v3
	v_add3_u32 v0, v5, v0, v6
	s_cbranch_scc0 .LBB399_117
; %bb.118:
	v_mov_b32_e32 v1, v2
	s_branch .LBB399_122
.LBB399_119:
                                        ; implicit-def: $vgpr2
                                        ; implicit-def: $vgpr0
	s_branch .LBB399_126
.LBB399_120:
	v_mov_b32_e32 v2, 0
	v_mov_b32_e32 v0, 0
	s_branch .LBB399_125
.LBB399_121:
	v_mov_b32_e32 v0, 0
	s_mov_b32 s50, 0
	v_mov_b32_e32 v1, v0
                                        ; implicit-def: $vgpr2
	v_mov_b32_e32 v4, v8
.LBB399_122:
	s_and_b32 s4, s57, 3
	s_cmp_eq_u32 s4, 0
	s_cbranch_scc1 .LBB399_125
; %bb.123:
	s_lshl_b32 s0, s50, 3
	s_add_u32 s0, s34, s0
	s_addc_u32 s1, s35, 0
	s_add_u32 s0, s0, 0xc4
	s_addc_u32 s1, s1, 0
	s_mul_i32 s2, s50, 12
	s_add_u32 s2, s34, s2
	s_addc_u32 s3, s35, 0
.LBB399_124:                            ; =>This Inner Loop Header: Depth=1
	s_load_dwordx2 s[6:7], s[2:3], 0x4
	s_load_dword s5, s[2:3], 0xc
	s_load_dwordx2 s[8:9], s[0:1], 0x0
	v_mov_b32_e32 v2, v1
	s_add_u32 s2, s2, 12
	s_waitcnt lgkmcnt(0)
	v_mul_hi_u32 v1, s7, v4
	v_add_u32_e32 v1, v4, v1
	v_lshrrev_b32_e32 v1, s5, v1
	s_addc_u32 s3, s3, 0
	v_mul_lo_u32 v3, v1, s6
	s_add_u32 s0, s0, 8
	v_sub_u32_e32 v5, v4, v3
	s_addc_u32 s1, s1, 0
	s_add_i32 s4, s4, -1
	v_mov_b32_e32 v4, v1
	v_mad_u64_u32 v[2:3], s[6:7], v5, s9, v[2:3]
	v_mad_u64_u32 v[0:1], s[6:7], v5, s8, v[0:1]
	s_cmp_lg_u32 s4, 0
	v_mov_b32_e32 v1, v2
	s_cbranch_scc1 .LBB399_124
.LBB399_125:
	s_cbranch_execnz .LBB399_128
.LBB399_126:
	s_waitcnt lgkmcnt(0)
	v_mul_hi_u32 v0, s25, v8
	v_add_u32_e32 v0, v8, v0
	v_lshrrev_b32_e32 v1, s26, v0
	v_mul_lo_u32 v0, v1, s24
	v_sub_u32_e32 v0, v8, v0
	v_mul_lo_u32 v2, v0, s21
	s_andn2_b64 vcc, exec, s[42:43]
	v_mul_lo_u32 v0, v0, s20
	s_cbranch_vccnz .LBB399_128
; %bb.127:
	v_mul_hi_u32 v3, s40, v1
	v_add_u32_e32 v3, v1, v3
	v_lshrrev_b32_e32 v3, s41, v3
	v_mul_lo_u32 v3, v3, s27
	v_sub_u32_e32 v3, v1, v3
	v_mad_u64_u32 v[0:1], s[0:1], v3, s22, v[0:1]
	v_mad_u64_u32 v[2:3], s[0:1], v3, s23, v[2:3]
.LBB399_128:
	s_waitcnt lgkmcnt(0)
	global_load_dword v1, v2, s[18:19]
	v_max_f32_e64 v2, s55, s55
	s_waitcnt vmcnt(0)
	v_max_f32_e32 v3, v1, v1
	v_max_f32_e32 v2, v3, v2
	v_cmp_u_f32_e32 vcc, v1, v1
	s_nop 1
	v_cndmask_b32_e32 v1, v2, v1, vcc
	global_store_dword v0, v1, s[16:17]
	s_or_b64 exec, exec, s[48:49]
                                        ; implicit-def: $vgpr16
                                        ; implicit-def: $vgpr8
	s_andn2_saveexec_b64 s[0:1], s[38:39]
	s_cbranch_execz .LBB399_104
	s_branch .LBB399_9
	.section	.rodata,"a",@progbits
	.p2align	6, 0x0
	.amdhsa_kernel _ZN2at6native32elementwise_kernel_manual_unrollILi128ELi4EZNS0_22gpu_kernel_impl_nocastIZZZNS0_21clamp_min_kernel_cudaERNS_18TensorIteratorBaseERKN3c106ScalarEENKUlvE_clEvENKUlvE5_clEvEUlfE_EEvS4_RKT_EUlibE_EEviT1_
		.amdhsa_group_segment_fixed_size 0
		.amdhsa_private_segment_fixed_size 0
		.amdhsa_kernarg_size 360
		.amdhsa_user_sgpr_count 2
		.amdhsa_user_sgpr_dispatch_ptr 0
		.amdhsa_user_sgpr_queue_ptr 0
		.amdhsa_user_sgpr_kernarg_segment_ptr 1
		.amdhsa_user_sgpr_dispatch_id 0
		.amdhsa_user_sgpr_kernarg_preload_length 0
		.amdhsa_user_sgpr_kernarg_preload_offset 0
		.amdhsa_user_sgpr_private_segment_size 0
		.amdhsa_uses_dynamic_stack 0
		.amdhsa_enable_private_segment 0
		.amdhsa_system_sgpr_workgroup_id_x 1
		.amdhsa_system_sgpr_workgroup_id_y 0
		.amdhsa_system_sgpr_workgroup_id_z 0
		.amdhsa_system_sgpr_workgroup_info 0
		.amdhsa_system_vgpr_workitem_id 0
		.amdhsa_next_free_vgpr 17
		.amdhsa_next_free_sgpr 61
		.amdhsa_accum_offset 20
		.amdhsa_reserve_vcc 1
		.amdhsa_float_round_mode_32 0
		.amdhsa_float_round_mode_16_64 0
		.amdhsa_float_denorm_mode_32 3
		.amdhsa_float_denorm_mode_16_64 3
		.amdhsa_dx10_clamp 1
		.amdhsa_ieee_mode 1
		.amdhsa_fp16_overflow 0
		.amdhsa_tg_split 0
		.amdhsa_exception_fp_ieee_invalid_op 0
		.amdhsa_exception_fp_denorm_src 0
		.amdhsa_exception_fp_ieee_div_zero 0
		.amdhsa_exception_fp_ieee_overflow 0
		.amdhsa_exception_fp_ieee_underflow 0
		.amdhsa_exception_fp_ieee_inexact 0
		.amdhsa_exception_int_div_zero 0
	.end_amdhsa_kernel
	.section	.text._ZN2at6native32elementwise_kernel_manual_unrollILi128ELi4EZNS0_22gpu_kernel_impl_nocastIZZZNS0_21clamp_min_kernel_cudaERNS_18TensorIteratorBaseERKN3c106ScalarEENKUlvE_clEvENKUlvE5_clEvEUlfE_EEvS4_RKT_EUlibE_EEviT1_,"axG",@progbits,_ZN2at6native32elementwise_kernel_manual_unrollILi128ELi4EZNS0_22gpu_kernel_impl_nocastIZZZNS0_21clamp_min_kernel_cudaERNS_18TensorIteratorBaseERKN3c106ScalarEENKUlvE_clEvENKUlvE5_clEvEUlfE_EEvS4_RKT_EUlibE_EEviT1_,comdat
.Lfunc_end399:
	.size	_ZN2at6native32elementwise_kernel_manual_unrollILi128ELi4EZNS0_22gpu_kernel_impl_nocastIZZZNS0_21clamp_min_kernel_cudaERNS_18TensorIteratorBaseERKN3c106ScalarEENKUlvE_clEvENKUlvE5_clEvEUlfE_EEvS4_RKT_EUlibE_EEviT1_, .Lfunc_end399-_ZN2at6native32elementwise_kernel_manual_unrollILi128ELi4EZNS0_22gpu_kernel_impl_nocastIZZZNS0_21clamp_min_kernel_cudaERNS_18TensorIteratorBaseERKN3c106ScalarEENKUlvE_clEvENKUlvE5_clEvEUlfE_EEvS4_RKT_EUlibE_EEviT1_
                                        ; -- End function
	.set _ZN2at6native32elementwise_kernel_manual_unrollILi128ELi4EZNS0_22gpu_kernel_impl_nocastIZZZNS0_21clamp_min_kernel_cudaERNS_18TensorIteratorBaseERKN3c106ScalarEENKUlvE_clEvENKUlvE5_clEvEUlfE_EEvS4_RKT_EUlibE_EEviT1_.num_vgpr, 17
	.set _ZN2at6native32elementwise_kernel_manual_unrollILi128ELi4EZNS0_22gpu_kernel_impl_nocastIZZZNS0_21clamp_min_kernel_cudaERNS_18TensorIteratorBaseERKN3c106ScalarEENKUlvE_clEvENKUlvE5_clEvEUlfE_EEvS4_RKT_EUlibE_EEviT1_.num_agpr, 0
	.set _ZN2at6native32elementwise_kernel_manual_unrollILi128ELi4EZNS0_22gpu_kernel_impl_nocastIZZZNS0_21clamp_min_kernel_cudaERNS_18TensorIteratorBaseERKN3c106ScalarEENKUlvE_clEvENKUlvE5_clEvEUlfE_EEvS4_RKT_EUlibE_EEviT1_.numbered_sgpr, 61
	.set _ZN2at6native32elementwise_kernel_manual_unrollILi128ELi4EZNS0_22gpu_kernel_impl_nocastIZZZNS0_21clamp_min_kernel_cudaERNS_18TensorIteratorBaseERKN3c106ScalarEENKUlvE_clEvENKUlvE5_clEvEUlfE_EEvS4_RKT_EUlibE_EEviT1_.num_named_barrier, 0
	.set _ZN2at6native32elementwise_kernel_manual_unrollILi128ELi4EZNS0_22gpu_kernel_impl_nocastIZZZNS0_21clamp_min_kernel_cudaERNS_18TensorIteratorBaseERKN3c106ScalarEENKUlvE_clEvENKUlvE5_clEvEUlfE_EEvS4_RKT_EUlibE_EEviT1_.private_seg_size, 0
	.set _ZN2at6native32elementwise_kernel_manual_unrollILi128ELi4EZNS0_22gpu_kernel_impl_nocastIZZZNS0_21clamp_min_kernel_cudaERNS_18TensorIteratorBaseERKN3c106ScalarEENKUlvE_clEvENKUlvE5_clEvEUlfE_EEvS4_RKT_EUlibE_EEviT1_.uses_vcc, 1
	.set _ZN2at6native32elementwise_kernel_manual_unrollILi128ELi4EZNS0_22gpu_kernel_impl_nocastIZZZNS0_21clamp_min_kernel_cudaERNS_18TensorIteratorBaseERKN3c106ScalarEENKUlvE_clEvENKUlvE5_clEvEUlfE_EEvS4_RKT_EUlibE_EEviT1_.uses_flat_scratch, 0
	.set _ZN2at6native32elementwise_kernel_manual_unrollILi128ELi4EZNS0_22gpu_kernel_impl_nocastIZZZNS0_21clamp_min_kernel_cudaERNS_18TensorIteratorBaseERKN3c106ScalarEENKUlvE_clEvENKUlvE5_clEvEUlfE_EEvS4_RKT_EUlibE_EEviT1_.has_dyn_sized_stack, 0
	.set _ZN2at6native32elementwise_kernel_manual_unrollILi128ELi4EZNS0_22gpu_kernel_impl_nocastIZZZNS0_21clamp_min_kernel_cudaERNS_18TensorIteratorBaseERKN3c106ScalarEENKUlvE_clEvENKUlvE5_clEvEUlfE_EEvS4_RKT_EUlibE_EEviT1_.has_recursion, 0
	.set _ZN2at6native32elementwise_kernel_manual_unrollILi128ELi4EZNS0_22gpu_kernel_impl_nocastIZZZNS0_21clamp_min_kernel_cudaERNS_18TensorIteratorBaseERKN3c106ScalarEENKUlvE_clEvENKUlvE5_clEvEUlfE_EEvS4_RKT_EUlibE_EEviT1_.has_indirect_call, 0
	.section	.AMDGPU.csdata,"",@progbits
; Kernel info:
; codeLenInByte = 5984
; TotalNumSgprs: 67
; NumVgprs: 17
; NumAgprs: 0
; TotalNumVgprs: 17
; ScratchSize: 0
; MemoryBound: 0
; FloatMode: 240
; IeeeMode: 1
; LDSByteSize: 0 bytes/workgroup (compile time only)
; SGPRBlocks: 8
; VGPRBlocks: 2
; NumSGPRsForWavesPerEU: 67
; NumVGPRsForWavesPerEU: 17
; AccumOffset: 20
; Occupancy: 8
; WaveLimiterHint : 1
; COMPUTE_PGM_RSRC2:SCRATCH_EN: 0
; COMPUTE_PGM_RSRC2:USER_SGPR: 2
; COMPUTE_PGM_RSRC2:TRAP_HANDLER: 0
; COMPUTE_PGM_RSRC2:TGID_X_EN: 1
; COMPUTE_PGM_RSRC2:TGID_Y_EN: 0
; COMPUTE_PGM_RSRC2:TGID_Z_EN: 0
; COMPUTE_PGM_RSRC2:TIDIG_COMP_CNT: 0
; COMPUTE_PGM_RSRC3_GFX90A:ACCUM_OFFSET: 4
; COMPUTE_PGM_RSRC3_GFX90A:TG_SPLIT: 0
	.section	.text._ZN2at6native32elementwise_kernel_manual_unrollILi128ELi4EZNS0_15gpu_kernel_implIZZZNS0_21clamp_min_kernel_cudaERNS_18TensorIteratorBaseERKN3c106ScalarEENKUlvE_clEvENKUlvE5_clEvEUlfE_EEvS4_RKT_EUlibE_EEviT1_,"axG",@progbits,_ZN2at6native32elementwise_kernel_manual_unrollILi128ELi4EZNS0_15gpu_kernel_implIZZZNS0_21clamp_min_kernel_cudaERNS_18TensorIteratorBaseERKN3c106ScalarEENKUlvE_clEvENKUlvE5_clEvEUlfE_EEvS4_RKT_EUlibE_EEviT1_,comdat
	.globl	_ZN2at6native32elementwise_kernel_manual_unrollILi128ELi4EZNS0_15gpu_kernel_implIZZZNS0_21clamp_min_kernel_cudaERNS_18TensorIteratorBaseERKN3c106ScalarEENKUlvE_clEvENKUlvE5_clEvEUlfE_EEvS4_RKT_EUlibE_EEviT1_ ; -- Begin function _ZN2at6native32elementwise_kernel_manual_unrollILi128ELi4EZNS0_15gpu_kernel_implIZZZNS0_21clamp_min_kernel_cudaERNS_18TensorIteratorBaseERKN3c106ScalarEENKUlvE_clEvENKUlvE5_clEvEUlfE_EEvS4_RKT_EUlibE_EEviT1_
	.p2align	8
	.type	_ZN2at6native32elementwise_kernel_manual_unrollILi128ELi4EZNS0_15gpu_kernel_implIZZZNS0_21clamp_min_kernel_cudaERNS_18TensorIteratorBaseERKN3c106ScalarEENKUlvE_clEvENKUlvE5_clEvEUlfE_EEvS4_RKT_EUlibE_EEviT1_,@function
_ZN2at6native32elementwise_kernel_manual_unrollILi128ELi4EZNS0_15gpu_kernel_implIZZZNS0_21clamp_min_kernel_cudaERNS_18TensorIteratorBaseERKN3c106ScalarEENKUlvE_clEvENKUlvE5_clEvEUlfE_EEvS4_RKT_EUlibE_EEviT1_: ; @_ZN2at6native32elementwise_kernel_manual_unrollILi128ELi4EZNS0_15gpu_kernel_implIZZZNS0_21clamp_min_kernel_cudaERNS_18TensorIteratorBaseERKN3c106ScalarEENKUlvE_clEvENKUlvE5_clEvEUlfE_EEvS4_RKT_EUlibE_EEviT1_
; %bb.0:
	s_load_dword s33, s[0:1], 0x24
	s_load_dword s40, s[0:1], 0x0
	s_load_dwordx8 s[4:11], s[0:1], 0x8
	v_lshl_or_b32 v5, s2, 9, v0
	v_or_b32_e32 v0, 0x180, v5
	s_waitcnt lgkmcnt(0)
	s_bfe_u32 s11, s33, 0x80008
	v_cmp_le_i32_e32 vcc, s40, v0
	s_mov_b64 s[2:3], 0
	s_mov_b64 s[14:15], 0
	s_and_saveexec_b64 s[0:1], vcc
	s_xor_b64 s[12:13], exec, s[0:1]
	s_cbranch_execz .LBB400_1027
; %bb.1:
	v_cmp_gt_i32_e32 vcc, s40, v5
	s_mov_b64 s[20:21], -1
	s_mov_b64 s[22:23], 0
	s_mov_b64 s[16:17], 0
	s_and_saveexec_b64 s[18:19], vcc
	s_cbranch_execz .LBB400_252
; %bb.2:
	v_mul_lo_u32 v0, v5, s9
	v_ashrrev_i32_e32 v1, 31, v0
	s_and_b32 s24, 0xffff, s11
	s_cmp_lt_i32 s24, 11
	v_lshl_add_u64 v[0:1], s[6:7], 0, v[0:1]
	s_cbranch_scc1 .LBB400_9
; %bb.3:
	s_cmp_gt_i32 s24, 25
	s_cbranch_scc0 .LBB400_18
; %bb.4:
	s_cmp_gt_i32 s24, 28
	s_cbranch_scc0 .LBB400_22
	;; [unrolled: 3-line block ×4, first 2 shown]
; %bb.7:
	s_cmp_eq_u32 s24, 46
	s_cbranch_scc0 .LBB400_28
; %bb.8:
	global_load_dword v2, v[0:1], off
	s_mov_b64 s[0:1], -1
	s_waitcnt vmcnt(0)
	v_lshlrev_b32_e32 v2, 16, v2
	s_branch .LBB400_30
.LBB400_9:
                                        ; implicit-def: $vgpr2
	s_mov_b64 s[0:1], 0
	s_cbranch_execnz .LBB400_203
.LBB400_10:
	s_andn2_b64 vcc, exec, s[0:1]
	s_cbranch_vccnz .LBB400_250
.LBB400_11:
	v_max_f32_e64 v0, s10, s10
	s_waitcnt vmcnt(0)
	v_max_f32_e32 v1, v2, v2
	v_max_f32_e32 v0, v1, v0
	v_cmp_u_f32_e32 vcc, v2, v2
	s_and_b32 s26, s33, 0xff
	s_cmp_lt_i32 s26, 11
	v_cndmask_b32_e32 v2, v0, v2, vcc
	v_mul_lo_u32 v0, v5, s8
	v_ashrrev_i32_e32 v1, 31, v0
	v_lshl_add_u64 v[0:1], s[4:5], 0, v[0:1]
	s_cbranch_scc1 .LBB400_19
; %bb.12:
	s_and_b32 s27, 0xffff, s26
	s_cmp_gt_i32 s27, 25
	s_cbranch_scc0 .LBB400_23
; %bb.13:
	s_cmp_gt_i32 s27, 28
	s_cbranch_scc0 .LBB400_25
; %bb.14:
	;; [unrolled: 3-line block ×4, first 2 shown]
	s_mov_b64 s[20:21], 0
	s_mov_b64 s[0:1], -1
	s_cmp_eq_u32 s27, 46
	s_mov_b64 s[14:15], 0
	s_cbranch_scc0 .LBB400_34
; %bb.17:
	v_bfe_u32 v3, v2, 16, 1
	s_movk_i32 s0, 0x7fff
	v_add3_u32 v3, v2, v3, s0
	v_cmp_o_f32_e32 vcc, v2, v2
	v_mov_b32_e32 v4, 0x7fc0
	s_mov_b64 s[14:15], -1
	v_cndmask_b32_sdwa v3, v4, v3, vcc dst_sel:DWORD dst_unused:UNUSED_PAD src0_sel:DWORD src1_sel:WORD_1
	global_store_dword v[0:1], v3, off
	s_mov_b64 s[0:1], 0
	s_branch .LBB400_34
.LBB400_18:
	s_mov_b64 s[0:1], 0
                                        ; implicit-def: $vgpr2
	s_cbranch_execnz .LBB400_168
	s_branch .LBB400_202
.LBB400_19:
	s_mov_b64 s[0:1], 0
	s_mov_b64 s[14:15], 0
	s_cbranch_execnz .LBB400_103
.LBB400_20:
	s_andn2_b64 vcc, exec, s[14:15]
	s_cbranch_vccnz .LBB400_141
.LBB400_21:
	v_add_u32_e32 v5, 0x80, v5
	s_mov_b64 s[20:21], -1
	s_branch .LBB400_251
.LBB400_22:
	s_mov_b64 s[14:15], -1
	s_mov_b64 s[0:1], 0
                                        ; implicit-def: $vgpr2
	s_branch .LBB400_149
.LBB400_23:
	s_mov_b64 s[20:21], -1
	s_mov_b64 s[0:1], 0
	s_mov_b64 s[14:15], 0
	s_branch .LBB400_61
.LBB400_24:
	s_mov_b64 s[14:15], -1
	s_mov_b64 s[0:1], 0
                                        ; implicit-def: $vgpr2
	s_branch .LBB400_144
.LBB400_25:
	s_mov_b64 s[20:21], -1
	s_mov_b64 s[0:1], 0
	s_mov_b64 s[14:15], 0
	s_branch .LBB400_44
.LBB400_26:
	s_mov_b64 s[14:15], -1
	s_branch .LBB400_29
.LBB400_27:
	s_mov_b64 s[20:21], -1
	s_mov_b64 s[0:1], 0
	s_mov_b64 s[14:15], 0
	s_branch .LBB400_40
.LBB400_28:
	s_mov_b64 s[16:17], -1
.LBB400_29:
	s_mov_b64 s[0:1], 0
                                        ; implicit-def: $vgpr2
.LBB400_30:
	s_and_b64 vcc, exec, s[14:15]
	s_cbranch_vccz .LBB400_143
; %bb.31:
	s_cmp_eq_u32 s24, 44
	s_cbranch_scc0 .LBB400_142
; %bb.32:
	global_load_ubyte v2, v[0:1], off
	s_movk_i32 s14, 0xff
	v_mov_b32_e32 v3, 0x7f800001
	v_mov_b32_e32 v4, 0x400000
	s_mov_b64 s[0:1], -1
	s_mov_b64 s[16:17], 0
	s_waitcnt vmcnt(0)
	v_lshlrev_b32_e32 v6, 23, v2
	v_cmp_ne_u32_e32 vcc, s14, v2
	s_nop 1
	v_cndmask_b32_e32 v3, v3, v6, vcc
	v_cmp_ne_u32_e32 vcc, 0, v2
	s_nop 1
	v_cndmask_b32_e32 v2, v4, v3, vcc
	s_branch .LBB400_143
.LBB400_33:
	s_mov_b64 s[20:21], -1
	s_mov_b64 s[0:1], 0
	s_mov_b64 s[14:15], 0
.LBB400_34:
	s_and_b64 vcc, exec, s[20:21]
	s_cbranch_vccz .LBB400_39
; %bb.35:
	s_cmp_eq_u32 s27, 44
	s_mov_b64 s[0:1], -1
	s_cbranch_scc0 .LBB400_39
; %bb.36:
	v_bfe_u32 v3, v2, 23, 8
	s_movk_i32 s0, 0xff
	v_cmp_ne_u32_e32 vcc, s0, v3
	v_mov_b32_e32 v4, 0xff
	s_and_saveexec_b64 s[14:15], vcc
; %bb.37:
	s_mov_b32 s0, 0x3fffff
	v_and_b32_e32 v6, 0x400000, v2
	v_and_or_b32 v3, v2, s0, v3
	v_cmp_ne_u32_e32 vcc, 0, v6
	v_cmp_ne_u32_e64 s[0:1], 0, v3
	s_and_b64 s[0:1], vcc, s[0:1]
	v_lshrrev_b32_e32 v4, 23, v2
	v_cndmask_b32_e64 v3, 0, 1, s[0:1]
	v_add_u32_e32 v4, v4, v3
; %bb.38:
	s_or_b64 exec, exec, s[14:15]
	s_mov_b64 s[14:15], -1
	s_mov_b64 s[0:1], 0
	global_store_byte v[0:1], v4, off
.LBB400_39:
	s_mov_b64 s[20:21], 0
.LBB400_40:
	s_and_b64 vcc, exec, s[20:21]
	s_cbranch_vccz .LBB400_43
; %bb.41:
	s_cmp_eq_u32 s27, 29
	s_mov_b64 s[0:1], -1
	s_cbranch_scc0 .LBB400_43
; %bb.42:
	v_trunc_f32_e32 v3, v2
	v_mul_f32_e32 v4, 0x2f800000, v3
	v_floor_f32_e32 v4, v4
	v_fmamk_f32 v3, v4, 0xcf800000, v3
	v_cvt_u32_f32_e32 v7, v4
	v_cvt_u32_f32_e32 v6, v3
	s_mov_b64 s[14:15], -1
	s_mov_b64 s[0:1], 0
	s_mov_b64 s[20:21], 0
	global_store_dwordx2 v[0:1], v[6:7], off
	s_branch .LBB400_44
.LBB400_43:
	s_mov_b64 s[20:21], 0
.LBB400_44:
	s_and_b64 vcc, exec, s[20:21]
	s_cbranch_vccz .LBB400_60
; %bb.45:
	s_cmp_lt_i32 s27, 27
	s_mov_b64 s[14:15], -1
	s_cbranch_scc1 .LBB400_51
; %bb.46:
	v_cvt_u32_f32_e32 v3, v2
	s_cmp_gt_i32 s27, 27
	s_cbranch_scc0 .LBB400_48
; %bb.47:
	s_mov_b64 s[14:15], 0
	global_store_dword v[0:1], v3, off
.LBB400_48:
	s_andn2_b64 vcc, exec, s[14:15]
	s_cbranch_vccnz .LBB400_50
; %bb.49:
	global_store_short v[0:1], v3, off
.LBB400_50:
	s_mov_b64 s[14:15], 0
.LBB400_51:
	s_andn2_b64 vcc, exec, s[14:15]
	s_cbranch_vccnz .LBB400_59
; %bb.52:
	v_and_b32_e32 v3, 0x7fffffff, v2
	s_mov_b32 s14, 0x43800000
	v_cmp_gt_u32_e32 vcc, s14, v3
	v_mov_b32_e32 v4, 0x80
	s_and_saveexec_b64 s[14:15], vcc
	s_cbranch_execz .LBB400_58
; %bb.53:
	s_mov_b32 s20, 0x3bffffff
	v_cmp_lt_u32_e32 vcc, s20, v3
	s_mov_b64 s[20:21], 0
                                        ; implicit-def: $vgpr3
	s_and_saveexec_b64 s[24:25], vcc
	s_xor_b64 s[24:25], exec, s[24:25]
	s_cbranch_execz .LBB400_279
; %bb.54:
	v_bfe_u32 v3, v2, 20, 1
	s_mov_b32 s28, 0x487ffff
	v_add3_u32 v3, v2, v3, s28
	s_mov_b64 s[20:21], exec
	v_lshrrev_b32_e32 v3, 20, v3
	s_andn2_saveexec_b64 s[24:25], s[24:25]
	s_cbranch_execnz .LBB400_280
.LBB400_55:
	s_or_b64 exec, exec, s[24:25]
	v_mov_b32_e32 v4, 0
	s_and_saveexec_b64 s[24:25], s[20:21]
.LBB400_56:
	v_lshrrev_b32_e32 v4, 24, v2
	s_movk_i32 s20, 0x80
	v_and_or_b32 v4, v4, s20, v3
.LBB400_57:
	s_or_b64 exec, exec, s[24:25]
.LBB400_58:
	s_or_b64 exec, exec, s[14:15]
	global_store_byte v[0:1], v4, off
.LBB400_59:
	s_mov_b64 s[14:15], -1
.LBB400_60:
	s_mov_b64 s[20:21], 0
.LBB400_61:
	s_and_b64 vcc, exec, s[20:21]
	s_cbranch_vccz .LBB400_102
; %bb.62:
	s_cmp_gt_i32 s27, 22
	s_mov_b64 s[20:21], -1
	s_cbranch_scc0 .LBB400_94
; %bb.63:
	s_cmp_lt_i32 s27, 24
	s_mov_b64 s[14:15], -1
	s_cbranch_scc1 .LBB400_83
; %bb.64:
	s_cmp_gt_i32 s27, 24
	s_cbranch_scc0 .LBB400_72
; %bb.65:
	v_and_b32_e32 v3, 0x7fffffff, v2
	s_mov_b32 s14, 0x47800000
	v_cmp_gt_u32_e32 vcc, s14, v3
	v_mov_b32_e32 v4, 0x80
	s_and_saveexec_b64 s[14:15], vcc
	s_cbranch_execz .LBB400_71
; %bb.66:
	s_mov_b32 s20, 0x37ffffff
	v_cmp_lt_u32_e32 vcc, s20, v3
	s_mov_b64 s[20:21], 0
                                        ; implicit-def: $vgpr3
	s_and_saveexec_b64 s[24:25], vcc
	s_xor_b64 s[24:25], exec, s[24:25]
	s_cbranch_execz .LBB400_283
; %bb.67:
	v_bfe_u32 v3, v2, 21, 1
	s_mov_b32 s28, 0x88fffff
	v_add3_u32 v3, v2, v3, s28
	s_mov_b64 s[20:21], exec
	v_lshrrev_b32_e32 v3, 21, v3
	s_andn2_saveexec_b64 s[24:25], s[24:25]
	s_cbranch_execnz .LBB400_284
.LBB400_68:
	s_or_b64 exec, exec, s[24:25]
	v_mov_b32_e32 v4, 0
	s_and_saveexec_b64 s[24:25], s[20:21]
.LBB400_69:
	v_lshrrev_b32_e32 v4, 24, v2
	s_movk_i32 s20, 0x80
	v_and_or_b32 v4, v4, s20, v3
.LBB400_70:
	s_or_b64 exec, exec, s[24:25]
.LBB400_71:
	s_or_b64 exec, exec, s[14:15]
	s_mov_b64 s[14:15], 0
	global_store_byte v[0:1], v4, off
.LBB400_72:
	s_and_b64 vcc, exec, s[14:15]
	s_cbranch_vccz .LBB400_82
; %bb.73:
	v_and_b32_e32 v4, 0x7fffffff, v2
	s_mov_b32 s14, 0x43f00000
	v_cmp_gt_u32_e32 vcc, s14, v4
                                        ; implicit-def: $vgpr3
	s_and_saveexec_b64 s[14:15], vcc
	s_xor_b64 s[14:15], exec, s[14:15]
	s_cbranch_execz .LBB400_79
; %bb.74:
	s_mov_b32 s20, 0x3c7fffff
	v_cmp_lt_u32_e32 vcc, s20, v4
                                        ; implicit-def: $vgpr3
	s_and_saveexec_b64 s[20:21], vcc
	s_xor_b64 s[20:21], exec, s[20:21]
; %bb.75:
	v_bfe_u32 v3, v2, 20, 1
	s_mov_b32 s24, 0x407ffff
	v_add3_u32 v3, v2, v3, s24
	v_lshrrev_b32_e32 v4, 20, v3
	v_and_b32_e32 v3, 0xff00000, v3
	s_mov_b32 s24, 0x7f00000
	v_mov_b32_e32 v6, 0x7e
	v_cmp_ne_u32_e32 vcc, s24, v3
	s_nop 1
	v_cndmask_b32_e32 v3, v6, v4, vcc
; %bb.76:
	s_andn2_saveexec_b64 s[20:21], s[20:21]
; %bb.77:
	s_mov_b32 s24, 0x46800000
	v_add_f32_e64 v3, |v2|, s24
; %bb.78:
	s_or_b64 exec, exec, s[20:21]
                                        ; implicit-def: $vgpr4
.LBB400_79:
	s_andn2_saveexec_b64 s[14:15], s[14:15]
; %bb.80:
	s_mov_b32 s20, 0x7f800000
	v_mov_b32_e32 v3, 0x7e
	v_mov_b32_e32 v6, 0x7f
	v_cmp_lt_u32_e32 vcc, s20, v4
	s_nop 1
	v_cndmask_b32_e32 v3, v3, v6, vcc
; %bb.81:
	s_or_b64 exec, exec, s[14:15]
	v_lshrrev_b32_e32 v4, 24, v2
	s_movk_i32 s14, 0x80
	v_and_or_b32 v3, v4, s14, v3
	global_store_byte v[0:1], v3, off
.LBB400_82:
	s_mov_b64 s[14:15], 0
.LBB400_83:
	s_andn2_b64 vcc, exec, s[14:15]
	s_cbranch_vccnz .LBB400_93
; %bb.84:
	v_and_b32_e32 v4, 0x7fffffff, v2
	s_mov_b32 s14, 0x47800000
	v_cmp_gt_u32_e32 vcc, s14, v4
                                        ; implicit-def: $vgpr3
	s_and_saveexec_b64 s[14:15], vcc
	s_xor_b64 s[14:15], exec, s[14:15]
	s_cbranch_execz .LBB400_90
; %bb.85:
	s_mov_b32 s20, 0x387fffff
	v_cmp_lt_u32_e32 vcc, s20, v4
                                        ; implicit-def: $vgpr3
	s_and_saveexec_b64 s[20:21], vcc
	s_xor_b64 s[20:21], exec, s[20:21]
; %bb.86:
	v_bfe_u32 v3, v2, 21, 1
	s_mov_b32 s24, 0x80fffff
	v_add3_u32 v3, v2, v3, s24
	v_lshrrev_b32_e32 v3, 21, v3
; %bb.87:
	s_andn2_saveexec_b64 s[20:21], s[20:21]
; %bb.88:
	s_mov_b32 s24, 0x43000000
	v_add_f32_e64 v3, |v2|, s24
; %bb.89:
	s_or_b64 exec, exec, s[20:21]
                                        ; implicit-def: $vgpr4
.LBB400_90:
	s_andn2_saveexec_b64 s[14:15], s[14:15]
; %bb.91:
	s_mov_b32 s20, 0x7f800000
	v_mov_b32_e32 v3, 0x7c
	v_mov_b32_e32 v6, 0x7f
	v_cmp_lt_u32_e32 vcc, s20, v4
	s_nop 1
	v_cndmask_b32_e32 v3, v3, v6, vcc
; %bb.92:
	s_or_b64 exec, exec, s[14:15]
	v_lshrrev_b32_e32 v4, 24, v2
	s_movk_i32 s14, 0x80
	v_and_or_b32 v3, v4, s14, v3
	global_store_byte v[0:1], v3, off
.LBB400_93:
	s_mov_b64 s[20:21], 0
	s_mov_b64 s[14:15], -1
.LBB400_94:
	s_andn2_b64 vcc, exec, s[20:21]
	s_cbranch_vccnz .LBB400_102
; %bb.95:
	s_cmp_gt_i32 s27, 14
	s_mov_b64 s[20:21], -1
	s_cbranch_scc0 .LBB400_99
; %bb.96:
	s_cmp_eq_u32 s27, 15
	s_mov_b64 s[0:1], -1
	s_cbranch_scc0 .LBB400_98
; %bb.97:
	v_bfe_u32 v3, v2, 16, 1
	s_movk_i32 s0, 0x7fff
	v_add3_u32 v3, v2, v3, s0
	v_cmp_o_f32_e32 vcc, v2, v2
	v_mov_b32_e32 v4, 0x7fc0
	s_mov_b64 s[14:15], -1
	v_cndmask_b32_sdwa v3, v4, v3, vcc dst_sel:DWORD dst_unused:UNUSED_PAD src0_sel:DWORD src1_sel:WORD_1
	global_store_short v[0:1], v3, off
	s_mov_b64 s[0:1], 0
.LBB400_98:
	s_mov_b64 s[20:21], 0
.LBB400_99:
	s_and_b64 vcc, exec, s[20:21]
	s_cbranch_vccz .LBB400_102
; %bb.100:
	s_cmp_eq_u32 s27, 11
	s_mov_b64 s[0:1], -1
	s_cbranch_scc0 .LBB400_102
; %bb.101:
	v_cmp_neq_f32_e32 vcc, 0, v2
	s_mov_b64 s[14:15], -1
	s_mov_b64 s[0:1], 0
	v_cndmask_b32_e64 v3, 0, 1, vcc
	global_store_byte v[0:1], v3, off
.LBB400_102:
	s_branch .LBB400_20
.LBB400_103:
	s_and_b32 s20, 0xffff, s26
	s_cmp_lt_i32 s20, 5
	s_mov_b64 s[14:15], -1
	s_cbranch_scc1 .LBB400_124
; %bb.104:
	s_cmp_lt_i32 s20, 8
	s_cbranch_scc1 .LBB400_114
; %bb.105:
	s_cmp_lt_i32 s20, 9
	s_cbranch_scc1 .LBB400_111
; %bb.106:
	s_cmp_gt_i32 s20, 9
	s_cbranch_scc0 .LBB400_108
; %bb.107:
	v_mov_b32_e32 v8, 0
	v_cvt_f64_f32_e32 v[6:7], v2
	v_mov_b32_e32 v9, v8
	global_store_dwordx4 v[0:1], v[6:9], off
	s_mov_b64 s[14:15], 0
.LBB400_108:
	s_andn2_b64 vcc, exec, s[14:15]
	s_cbranch_vccnz .LBB400_110
; %bb.109:
	v_mov_b32_e32 v3, 0
	global_store_dwordx2 v[0:1], v[2:3], off
.LBB400_110:
	s_mov_b64 s[14:15], 0
.LBB400_111:
	s_andn2_b64 vcc, exec, s[14:15]
	s_cbranch_vccnz .LBB400_113
; %bb.112:
	v_cvt_f16_f32_e32 v3, v2
	global_store_dword v[0:1], v3, off
.LBB400_113:
	s_mov_b64 s[14:15], 0
.LBB400_114:
	s_andn2_b64 vcc, exec, s[14:15]
	s_cbranch_vccnz .LBB400_123
; %bb.115:
	s_cmp_lt_i32 s20, 6
	s_mov_b64 s[14:15], -1
	s_cbranch_scc1 .LBB400_121
; %bb.116:
	s_cmp_gt_i32 s20, 6
	s_cbranch_scc0 .LBB400_118
; %bb.117:
	v_cvt_f64_f32_e32 v[6:7], v2
	global_store_dwordx2 v[0:1], v[6:7], off
	s_mov_b64 s[14:15], 0
.LBB400_118:
	s_andn2_b64 vcc, exec, s[14:15]
	s_cbranch_vccnz .LBB400_120
; %bb.119:
	global_store_dword v[0:1], v2, off
.LBB400_120:
	s_mov_b64 s[14:15], 0
.LBB400_121:
	s_andn2_b64 vcc, exec, s[14:15]
	s_cbranch_vccnz .LBB400_123
; %bb.122:
	v_cvt_f16_f32_e32 v3, v2
	global_store_short v[0:1], v3, off
.LBB400_123:
	s_mov_b64 s[14:15], 0
.LBB400_124:
	s_andn2_b64 vcc, exec, s[14:15]
	s_cbranch_vccnz .LBB400_140
; %bb.125:
	s_cmp_lt_i32 s20, 2
	s_mov_b64 s[14:15], -1
	s_cbranch_scc1 .LBB400_135
; %bb.126:
	s_cmp_lt_i32 s20, 3
	s_cbranch_scc1 .LBB400_132
; %bb.127:
	s_cmp_gt_i32 s20, 3
	s_cbranch_scc0 .LBB400_129
; %bb.128:
	v_trunc_f32_e32 v3, v2
	s_mov_b32 s14, 0x2f800000
	v_mul_f32_e64 v4, |v3|, s14
	v_floor_f32_e32 v4, v4
	s_mov_b32 s14, 0xcf800000
	v_cvt_u32_f32_e32 v6, v4
	v_fma_f32 v4, v4, s14, |v3|
	v_cvt_u32_f32_e32 v4, v4
	v_ashrrev_i32_e32 v3, 31, v3
	v_xor_b32_e32 v7, v6, v3
	s_mov_b64 s[14:15], 0
	v_xor_b32_e32 v4, v4, v3
	v_sub_co_u32_e32 v6, vcc, v4, v3
	s_nop 1
	v_subb_co_u32_e32 v7, vcc, v7, v3, vcc
	global_store_dwordx2 v[0:1], v[6:7], off
.LBB400_129:
	s_andn2_b64 vcc, exec, s[14:15]
	s_cbranch_vccnz .LBB400_131
; %bb.130:
	v_cvt_i32_f32_e32 v3, v2
	global_store_dword v[0:1], v3, off
.LBB400_131:
	s_mov_b64 s[14:15], 0
.LBB400_132:
	s_andn2_b64 vcc, exec, s[14:15]
	s_cbranch_vccnz .LBB400_134
; %bb.133:
	v_cvt_i32_f32_e32 v3, v2
	global_store_short v[0:1], v3, off
.LBB400_134:
	s_mov_b64 s[14:15], 0
.LBB400_135:
	s_andn2_b64 vcc, exec, s[14:15]
	s_cbranch_vccnz .LBB400_140
; %bb.136:
	s_cmp_gt_i32 s20, 0
	s_mov_b64 s[14:15], -1
	s_cbranch_scc0 .LBB400_138
; %bb.137:
	v_cvt_i32_f32_e32 v3, v2
	s_mov_b64 s[14:15], 0
	global_store_byte v[0:1], v3, off
.LBB400_138:
	s_andn2_b64 vcc, exec, s[14:15]
	s_cbranch_vccnz .LBB400_140
; %bb.139:
	v_trunc_f32_e32 v2, v2
	s_mov_b32 s14, 0x2f800000
	v_mul_f32_e64 v3, |v2|, s14
	v_floor_f32_e32 v3, v3
	s_mov_b32 s14, 0xcf800000
	v_fma_f32 v3, v3, s14, |v2|
	v_cvt_u32_f32_e32 v3, v3
	v_ashrrev_i32_e32 v2, 31, v2
	v_xor_b32_e32 v3, v3, v2
	v_sub_u32_e32 v2, v3, v2
	global_store_byte v[0:1], v2, off
.LBB400_140:
	s_branch .LBB400_21
.LBB400_141:
	s_mov_b64 s[20:21], 0
                                        ; implicit-def: $vgpr5
	s_branch .LBB400_251
.LBB400_142:
	s_mov_b64 s[16:17], -1
                                        ; implicit-def: $vgpr2
.LBB400_143:
	s_mov_b64 s[14:15], 0
.LBB400_144:
	s_and_b64 vcc, exec, s[14:15]
	s_cbranch_vccz .LBB400_148
; %bb.145:
	s_cmp_eq_u32 s24, 29
	s_cbranch_scc0 .LBB400_147
; %bb.146:
	global_load_dwordx2 v[2:3], v[0:1], off
	s_mov_b64 s[0:1], -1
	s_mov_b64 s[16:17], 0
	s_mov_b64 s[14:15], 0
	s_waitcnt vmcnt(0)
	v_ffbh_u32_e32 v4, v3
	v_min_u32_e32 v4, 32, v4
	v_lshlrev_b64 v[2:3], v4, v[2:3]
	v_min_u32_e32 v2, 1, v2
	v_or_b32_e32 v2, v3, v2
	v_cvt_f32_u32_e32 v2, v2
	v_sub_u32_e32 v3, 32, v4
	v_ldexp_f32 v2, v2, v3
	s_branch .LBB400_149
.LBB400_147:
	s_mov_b64 s[16:17], -1
                                        ; implicit-def: $vgpr2
.LBB400_148:
	s_mov_b64 s[14:15], 0
.LBB400_149:
	s_and_b64 vcc, exec, s[14:15]
	s_cbranch_vccz .LBB400_167
; %bb.150:
	s_cmp_lt_i32 s24, 27
	s_cbranch_scc1 .LBB400_153
; %bb.151:
	s_cmp_gt_i32 s24, 27
	s_cbranch_scc0 .LBB400_154
; %bb.152:
	global_load_dword v2, v[0:1], off
	s_mov_b64 s[0:1], 0
	s_waitcnt vmcnt(0)
	v_cvt_f32_u32_e32 v2, v2
	s_branch .LBB400_155
.LBB400_153:
	s_mov_b64 s[0:1], -1
                                        ; implicit-def: $vgpr2
	s_branch .LBB400_158
.LBB400_154:
	s_mov_b64 s[0:1], -1
                                        ; implicit-def: $vgpr2
.LBB400_155:
	s_andn2_b64 vcc, exec, s[0:1]
	s_cbranch_vccnz .LBB400_157
; %bb.156:
	global_load_ushort v2, v[0:1], off
	s_waitcnt vmcnt(0)
	v_cvt_f32_u32_e32 v2, v2
.LBB400_157:
	s_mov_b64 s[0:1], 0
.LBB400_158:
	s_andn2_b64 vcc, exec, s[0:1]
	s_cbranch_vccnz .LBB400_166
; %bb.159:
	global_load_ubyte v3, v[0:1], off
	s_movk_i32 s0, 0x7f
	s_waitcnt vmcnt(0)
	v_cmp_lt_i16_e32 vcc, s0, v3
	s_mov_b64 s[0:1], 0
	s_and_saveexec_b64 s[14:15], vcc
	s_xor_b64 s[14:15], exec, s[14:15]
	s_cbranch_execz .LBB400_179
; %bb.160:
	s_movk_i32 s0, 0x80
	v_cmp_eq_u16_e32 vcc, s0, v3
	s_mov_b64 s[0:1], -1
	s_and_saveexec_b64 s[20:21], vcc
; %bb.161:
	s_xor_b64 s[0:1], exec, -1
; %bb.162:
	s_or_b64 exec, exec, s[20:21]
	s_and_b64 s[0:1], s[0:1], exec
	s_or_saveexec_b64 s[14:15], s[14:15]
	v_mov_b32_e32 v2, 0x7f800001
	s_xor_b64 exec, exec, s[14:15]
	s_cbranch_execnz .LBB400_180
.LBB400_163:
	s_or_b64 exec, exec, s[14:15]
	s_and_saveexec_b64 s[14:15], s[0:1]
	s_cbranch_execz .LBB400_165
.LBB400_164:
	v_lshlrev_b32_e32 v2, 24, v3
	v_and_b32_e32 v3, 0xffff, v3
	v_and_b32_e32 v4, 7, v3
	v_ffbh_u32_e32 v7, v4
	v_min_u32_e32 v7, 32, v7
	v_subrev_u32_e32 v8, 28, v7
	v_bfe_u32 v6, v3, 3, 4
	v_lshlrev_b32_e32 v3, v8, v3
	v_sub_u32_e32 v7, 29, v7
	v_and_b32_e32 v3, 7, v3
	v_cmp_eq_u32_e32 vcc, 0, v6
	v_and_b32_e32 v2, 0x80000000, v2
	s_nop 0
	v_cndmask_b32_e32 v6, v6, v7, vcc
	v_cndmask_b32_e32 v3, v4, v3, vcc
	v_mov_b32_e32 v4, 0x3b800000
	v_lshlrev_b32_e32 v3, 20, v3
	v_lshl_add_u32 v4, v6, 23, v4
	v_or3_b32 v2, v2, v4, v3
.LBB400_165:
	s_or_b64 exec, exec, s[14:15]
.LBB400_166:
	s_mov_b64 s[0:1], -1
.LBB400_167:
	s_branch .LBB400_202
.LBB400_168:
	s_cmp_gt_i32 s24, 22
	s_cbranch_scc0 .LBB400_178
; %bb.169:
	s_cmp_lt_i32 s24, 24
	s_cbranch_scc1 .LBB400_181
; %bb.170:
	s_cmp_gt_i32 s24, 24
	s_cbranch_scc0 .LBB400_182
; %bb.171:
	global_load_ubyte v3, v[0:1], off
	s_movk_i32 s0, 0x7f
	s_waitcnt vmcnt(0)
	v_cmp_lt_i16_e32 vcc, s0, v3
	s_mov_b64 s[0:1], 0
	s_and_saveexec_b64 s[14:15], vcc
	s_xor_b64 s[14:15], exec, s[14:15]
	s_cbranch_execz .LBB400_194
; %bb.172:
	s_movk_i32 s0, 0x80
	v_cmp_eq_u16_e32 vcc, s0, v3
	s_mov_b64 s[0:1], -1
	s_and_saveexec_b64 s[20:21], vcc
; %bb.173:
	s_xor_b64 s[0:1], exec, -1
; %bb.174:
	s_or_b64 exec, exec, s[20:21]
	s_and_b64 s[0:1], s[0:1], exec
	s_or_saveexec_b64 s[14:15], s[14:15]
	v_mov_b32_e32 v2, 0x7f800001
	s_xor_b64 exec, exec, s[14:15]
	s_cbranch_execnz .LBB400_195
.LBB400_175:
	s_or_b64 exec, exec, s[14:15]
	s_and_saveexec_b64 s[14:15], s[0:1]
	s_cbranch_execz .LBB400_177
.LBB400_176:
	v_lshlrev_b32_e32 v2, 24, v3
	v_and_b32_e32 v3, 0xffff, v3
	v_and_b32_e32 v4, 3, v3
	v_ffbh_u32_e32 v7, v4
	v_min_u32_e32 v7, 32, v7
	v_subrev_u32_e32 v8, 29, v7
	v_bfe_u32 v6, v3, 2, 5
	v_lshlrev_b32_e32 v3, v8, v3
	v_sub_u32_e32 v7, 30, v7
	v_and_b32_e32 v3, 3, v3
	v_cmp_eq_u32_e32 vcc, 0, v6
	v_and_b32_e32 v2, 0x80000000, v2
	s_nop 0
	v_cndmask_b32_e32 v6, v6, v7, vcc
	v_cndmask_b32_e32 v3, v4, v3, vcc
	v_mov_b32_e32 v4, 0x37800000
	v_lshlrev_b32_e32 v3, 21, v3
	v_lshl_add_u32 v4, v6, 23, v4
	v_or3_b32 v2, v2, v4, v3
.LBB400_177:
	s_or_b64 exec, exec, s[14:15]
	s_mov_b64 s[0:1], 0
	s_branch .LBB400_183
.LBB400_178:
	s_mov_b64 s[14:15], -1
                                        ; implicit-def: $vgpr2
	s_branch .LBB400_189
.LBB400_179:
	s_or_saveexec_b64 s[14:15], s[14:15]
	v_mov_b32_e32 v2, 0x7f800001
	s_xor_b64 exec, exec, s[14:15]
	s_cbranch_execz .LBB400_163
.LBB400_180:
	v_cmp_ne_u16_e32 vcc, 0, v3
	s_andn2_b64 s[0:1], s[0:1], exec
	s_and_b64 s[20:21], vcc, exec
	v_mov_b32_e32 v2, 0
	s_or_b64 s[0:1], s[0:1], s[20:21]
	s_or_b64 exec, exec, s[14:15]
	s_and_saveexec_b64 s[14:15], s[0:1]
	s_cbranch_execnz .LBB400_164
	s_branch .LBB400_165
.LBB400_181:
	s_mov_b64 s[0:1], -1
                                        ; implicit-def: $vgpr2
	s_branch .LBB400_186
.LBB400_182:
	s_mov_b64 s[0:1], -1
                                        ; implicit-def: $vgpr2
.LBB400_183:
	s_and_b64 vcc, exec, s[0:1]
	s_cbranch_vccz .LBB400_185
; %bb.184:
	global_load_ubyte v2, v[0:1], off
	s_mov_b32 s0, 0x7f800000
	s_waitcnt vmcnt(0)
	v_lshlrev_b32_e32 v2, 24, v2
	v_and_b32_e32 v3, 0x7f000000, v2
	v_ffbh_u32_e32 v4, v3
	v_min_u32_e32 v4, 32, v4
	v_sub_u32_e64 v4, v4, 4 clamp
	v_lshlrev_b32_e32 v7, v4, v3
	v_lshlrev_b32_e32 v4, 23, v4
	v_lshrrev_b32_e32 v7, 4, v7
	v_add_u32_e32 v6, 0x1000000, v3
	v_sub_u32_e32 v4, v7, v4
	v_ashrrev_i32_e32 v6, 8, v6
	v_add_u32_e32 v4, 0x3c000000, v4
	v_and_or_b32 v4, v6, s0, v4
	v_cmp_ne_u32_e32 vcc, 0, v3
	s_brev_b32 s0, 1
	s_nop 0
	v_cndmask_b32_e32 v3, 0, v4, vcc
	v_and_or_b32 v2, v2, s0, v3
.LBB400_185:
	s_mov_b64 s[0:1], 0
.LBB400_186:
	s_andn2_b64 vcc, exec, s[0:1]
	s_cbranch_vccnz .LBB400_188
; %bb.187:
	global_load_ubyte v2, v[0:1], off
	s_movk_i32 s0, 0x7f00
	s_brev_b32 s1, 16
	s_waitcnt vmcnt(0)
	v_lshlrev_b16_e32 v3, 8, v2
	v_lshlrev_b32_e32 v2, 25, v2
	v_lshrrev_b32_e32 v4, 4, v2
	v_and_or_b32 v6, v3, s0, 0.5
	v_or_b32_e32 v4, 0x70000000, v4
	v_add_f32_e32 v6, -0.5, v6
	v_mul_f32_e32 v4, 0x7800000, v4
	v_cmp_gt_u32_e32 vcc, s1, v2
	v_bfe_i32 v3, v3, 0, 16
	s_brev_b32 s0, 1
	v_cndmask_b32_e32 v2, v4, v6, vcc
	v_and_or_b32 v2, v3, s0, v2
.LBB400_188:
	s_mov_b64 s[14:15], 0
	s_mov_b64 s[0:1], -1
.LBB400_189:
	s_andn2_b64 vcc, exec, s[14:15]
	s_cbranch_vccnz .LBB400_202
; %bb.190:
	s_cmp_gt_i32 s24, 14
	s_cbranch_scc0 .LBB400_193
; %bb.191:
	s_cmp_eq_u32 s24, 15
	s_cbranch_scc0 .LBB400_196
; %bb.192:
	global_load_ushort v2, v[0:1], off
	s_mov_b64 s[0:1], -1
	s_mov_b64 s[16:17], 0
	s_waitcnt vmcnt(0)
	v_lshlrev_b32_e32 v2, 16, v2
	s_branch .LBB400_197
.LBB400_193:
	s_mov_b64 s[14:15], -1
                                        ; implicit-def: $vgpr2
	s_branch .LBB400_198
.LBB400_194:
	s_or_saveexec_b64 s[14:15], s[14:15]
	v_mov_b32_e32 v2, 0x7f800001
	s_xor_b64 exec, exec, s[14:15]
	s_cbranch_execz .LBB400_175
.LBB400_195:
	v_cmp_ne_u16_e32 vcc, 0, v3
	s_andn2_b64 s[0:1], s[0:1], exec
	s_and_b64 s[20:21], vcc, exec
	v_mov_b32_e32 v2, 0
	s_or_b64 s[0:1], s[0:1], s[20:21]
	s_or_b64 exec, exec, s[14:15]
	s_and_saveexec_b64 s[14:15], s[0:1]
	s_cbranch_execnz .LBB400_176
	s_branch .LBB400_177
.LBB400_196:
	s_mov_b64 s[16:17], -1
                                        ; implicit-def: $vgpr2
.LBB400_197:
	s_mov_b64 s[14:15], 0
.LBB400_198:
	s_and_b64 vcc, exec, s[14:15]
	s_cbranch_vccz .LBB400_202
; %bb.199:
	s_cmp_eq_u32 s24, 11
	s_cbranch_scc0 .LBB400_201
; %bb.200:
	global_load_ubyte v2, v[0:1], off
	s_mov_b64 s[0:1], -1
	s_mov_b64 s[16:17], 0
	s_waitcnt vmcnt(0)
	v_cmp_ne_u16_e32 vcc, 0, v2
	s_nop 1
	v_cndmask_b32_e64 v2, 0, 1.0, vcc
	s_branch .LBB400_202
.LBB400_201:
	s_mov_b64 s[16:17], -1
                                        ; implicit-def: $vgpr2
.LBB400_202:
	s_branch .LBB400_10
.LBB400_203:
	s_cmp_lt_i32 s24, 5
	s_cbranch_scc1 .LBB400_208
; %bb.204:
	s_cmp_lt_i32 s24, 8
	s_cbranch_scc1 .LBB400_209
; %bb.205:
	;; [unrolled: 3-line block ×3, first 2 shown]
	s_cmp_gt_i32 s24, 9
	s_cbranch_scc0 .LBB400_211
; %bb.207:
	global_load_dwordx2 v[2:3], v[0:1], off
	s_mov_b64 s[0:1], 0
	s_waitcnt vmcnt(0)
	v_cvt_f32_f64_e32 v2, v[2:3]
	s_branch .LBB400_212
.LBB400_208:
                                        ; implicit-def: $vgpr2
	s_branch .LBB400_230
.LBB400_209:
	s_mov_b64 s[0:1], -1
                                        ; implicit-def: $vgpr2
	s_branch .LBB400_218
.LBB400_210:
	s_mov_b64 s[0:1], -1
                                        ; implicit-def: $vgpr2
	s_branch .LBB400_215
.LBB400_211:
	s_mov_b64 s[0:1], -1
                                        ; implicit-def: $vgpr2
.LBB400_212:
	s_andn2_b64 vcc, exec, s[0:1]
	s_cbranch_vccnz .LBB400_214
; %bb.213:
	global_load_dword v2, v[0:1], off
.LBB400_214:
	s_mov_b64 s[0:1], 0
.LBB400_215:
	s_andn2_b64 vcc, exec, s[0:1]
	s_cbranch_vccnz .LBB400_217
; %bb.216:
	global_load_dword v2, v[0:1], off
	s_waitcnt vmcnt(0)
	v_cvt_f32_f16_e32 v2, v2
.LBB400_217:
	s_mov_b64 s[0:1], 0
.LBB400_218:
	s_andn2_b64 vcc, exec, s[0:1]
	s_cbranch_vccnz .LBB400_229
; %bb.219:
	s_cmp_lt_i32 s24, 6
	s_cbranch_scc1 .LBB400_222
; %bb.220:
	s_cmp_gt_i32 s24, 6
	s_cbranch_scc0 .LBB400_223
; %bb.221:
	global_load_dwordx2 v[2:3], v[0:1], off
	s_mov_b64 s[0:1], 0
	s_waitcnt vmcnt(0)
	v_cvt_f32_f64_e32 v2, v[2:3]
	s_branch .LBB400_224
.LBB400_222:
	s_mov_b64 s[0:1], -1
                                        ; implicit-def: $vgpr2
	s_branch .LBB400_227
.LBB400_223:
	s_mov_b64 s[0:1], -1
                                        ; implicit-def: $vgpr2
.LBB400_224:
	s_andn2_b64 vcc, exec, s[0:1]
	s_cbranch_vccnz .LBB400_226
; %bb.225:
	global_load_dword v2, v[0:1], off
.LBB400_226:
	s_mov_b64 s[0:1], 0
.LBB400_227:
	s_andn2_b64 vcc, exec, s[0:1]
	s_cbranch_vccnz .LBB400_229
; %bb.228:
	global_load_ushort v2, v[0:1], off
	s_waitcnt vmcnt(0)
	v_cvt_f32_f16_e32 v2, v2
.LBB400_229:
	s_cbranch_execnz .LBB400_249
.LBB400_230:
	s_cmp_lt_i32 s24, 2
	s_cbranch_scc1 .LBB400_234
; %bb.231:
	s_cmp_lt_i32 s24, 3
	s_cbranch_scc1 .LBB400_235
; %bb.232:
	s_cmp_gt_i32 s24, 3
	s_cbranch_scc0 .LBB400_236
; %bb.233:
	global_load_dwordx2 v[2:3], v[0:1], off
	s_mov_b64 s[0:1], 0
	s_waitcnt vmcnt(0)
	v_xor_b32_e32 v6, v2, v3
	v_ffbh_i32_e32 v4, v3
	v_ashrrev_i32_e32 v6, 31, v6
	v_add_u32_e32 v4, -1, v4
	v_add_u32_e32 v6, 32, v6
	v_min_u32_e32 v4, v4, v6
	v_lshlrev_b64 v[2:3], v4, v[2:3]
	v_min_u32_e32 v2, 1, v2
	v_or_b32_e32 v2, v3, v2
	v_cvt_f32_i32_e32 v2, v2
	v_sub_u32_e32 v3, 32, v4
	v_ldexp_f32 v2, v2, v3
	s_branch .LBB400_237
.LBB400_234:
	s_mov_b64 s[0:1], -1
                                        ; implicit-def: $vgpr2
	s_branch .LBB400_243
.LBB400_235:
	s_mov_b64 s[0:1], -1
                                        ; implicit-def: $vgpr2
	s_branch .LBB400_240
.LBB400_236:
	s_mov_b64 s[0:1], -1
                                        ; implicit-def: $vgpr2
.LBB400_237:
	s_andn2_b64 vcc, exec, s[0:1]
	s_cbranch_vccnz .LBB400_239
; %bb.238:
	global_load_dword v2, v[0:1], off
	s_waitcnt vmcnt(0)
	v_cvt_f32_i32_e32 v2, v2
.LBB400_239:
	s_mov_b64 s[0:1], 0
.LBB400_240:
	s_andn2_b64 vcc, exec, s[0:1]
	s_cbranch_vccnz .LBB400_242
; %bb.241:
	global_load_sshort v2, v[0:1], off
	s_waitcnt vmcnt(0)
	v_cvt_f32_i32_e32 v2, v2
.LBB400_242:
	s_mov_b64 s[0:1], 0
.LBB400_243:
	s_andn2_b64 vcc, exec, s[0:1]
	s_cbranch_vccnz .LBB400_249
; %bb.244:
	s_cmp_gt_i32 s24, 0
	s_cbranch_scc0 .LBB400_246
; %bb.245:
	global_load_sbyte v2, v[0:1], off
	s_mov_b64 s[0:1], 0
	s_waitcnt vmcnt(0)
	v_cvt_f32_i32_e32 v2, v2
	s_branch .LBB400_247
.LBB400_246:
	s_mov_b64 s[0:1], -1
                                        ; implicit-def: $vgpr2
.LBB400_247:
	s_andn2_b64 vcc, exec, s[0:1]
	s_cbranch_vccnz .LBB400_249
; %bb.248:
	global_load_ubyte v0, v[0:1], off
	s_waitcnt vmcnt(0)
	v_cvt_f32_ubyte0_e32 v2, v0
.LBB400_249:
	s_branch .LBB400_11
.LBB400_250:
	s_mov_b64 s[0:1], 0
                                        ; implicit-def: $vgpr5
	s_mov_b64 s[20:21], 0
.LBB400_251:
	s_and_b64 s[14:15], s[0:1], exec
	s_and_b64 s[16:17], s[16:17], exec
	s_orn2_b64 s[20:21], s[20:21], exec
.LBB400_252:
	s_or_b64 exec, exec, s[18:19]
	s_mov_b64 s[24:25], 0
	s_mov_b64 s[0:1], 0
                                        ; implicit-def: $vgpr0_vgpr1
                                        ; implicit-def: $vgpr3
	s_and_saveexec_b64 s[18:19], s[20:21]
	s_cbranch_execz .LBB400_261
; %bb.253:
	v_cmp_gt_i32_e32 vcc, s40, v5
	s_mov_b64 s[0:1], -1
	s_mov_b64 s[20:21], s[16:17]
	s_mov_b64 s[22:23], s[14:15]
	s_and_saveexec_b64 s[24:25], vcc
	s_cbranch_execz .LBB400_513
; %bb.254:
	v_mul_lo_u32 v0, v5, s9
	v_ashrrev_i32_e32 v1, 31, v0
	s_and_b32 s28, 0xffff, s11
	s_cmp_lt_i32 s28, 11
	v_lshl_add_u64 v[0:1], s[6:7], 0, v[0:1]
	s_cbranch_scc1 .LBB400_264
; %bb.255:
	s_cmp_gt_i32 s28, 25
	s_cbranch_scc0 .LBB400_273
; %bb.256:
	s_cmp_gt_i32 s28, 28
	s_cbranch_scc0 .LBB400_275
	;; [unrolled: 3-line block ×4, first 2 shown]
; %bb.259:
	s_cmp_eq_u32 s28, 46
	s_mov_b64 s[22:23], 0
	s_cbranch_scc0 .LBB400_285
; %bb.260:
	global_load_dword v2, v[0:1], off
	s_mov_b64 s[20:21], 0
	s_waitcnt vmcnt(0)
	v_lshlrev_b32_e32 v2, 16, v2
	s_branch .LBB400_286
.LBB400_261:
	s_or_b64 exec, exec, s[18:19]
	s_mov_b64 s[18:19], 0
	s_and_saveexec_b64 s[20:21], s[16:17]
	s_cbranch_execnz .LBB400_859
.LBB400_262:
	s_or_b64 exec, exec, s[20:21]
	s_and_saveexec_b64 s[16:17], s[22:23]
	s_xor_b64 s[16:17], exec, s[16:17]
	s_cbranch_execz .LBB400_860
.LBB400_263:
	global_load_ubyte v2, v[0:1], off
	s_or_b64 s[0:1], s[0:1], exec
	s_waitcnt vmcnt(0)
	v_cmp_ne_u16_e32 vcc, 0, v2
	s_nop 1
	v_cndmask_b32_e64 v3, 0, 1.0, vcc
	s_or_b64 exec, exec, s[16:17]
	s_and_saveexec_b64 s[16:17], s[24:25]
	s_cbranch_execz .LBB400_906
	s_branch .LBB400_861
.LBB400_264:
	s_mov_b64 s[0:1], 0
                                        ; implicit-def: $vgpr2
	s_mov_b64 s[20:21], s[16:17]
	s_cbranch_execnz .LBB400_463
.LBB400_265:
	s_andn2_b64 vcc, exec, s[0:1]
	s_cbranch_vccnz .LBB400_511
.LBB400_266:
	v_max_f32_e64 v0, s10, s10
	s_waitcnt vmcnt(0)
	v_max_f32_e32 v1, v2, v2
	v_max_f32_e32 v0, v1, v0
	v_cmp_u_f32_e32 vcc, v2, v2
	s_and_b32 s30, s33, 0xff
	s_cmp_lt_i32 s30, 11
	v_cndmask_b32_e32 v2, v0, v2, vcc
	v_mul_lo_u32 v0, v5, s8
	v_ashrrev_i32_e32 v1, 31, v0
	v_lshl_add_u64 v[0:1], s[4:5], 0, v[0:1]
	s_cbranch_scc1 .LBB400_274
; %bb.267:
	s_and_b32 s31, 0xffff, s30
	s_cmp_gt_i32 s31, 25
	s_cbranch_scc0 .LBB400_276
; %bb.268:
	s_cmp_gt_i32 s31, 28
	s_cbranch_scc0 .LBB400_278
; %bb.269:
	;; [unrolled: 3-line block ×4, first 2 shown]
	s_mov_b64 s[26:27], 0
	s_mov_b64 s[0:1], -1
	s_cmp_eq_u32 s31, 46
	s_mov_b64 s[22:23], 0
	s_cbranch_scc0 .LBB400_290
; %bb.272:
	v_bfe_u32 v3, v2, 16, 1
	s_movk_i32 s0, 0x7fff
	v_add3_u32 v3, v2, v3, s0
	v_cmp_o_f32_e32 vcc, v2, v2
	v_mov_b32_e32 v4, 0x7fc0
	s_mov_b64 s[22:23], -1
	v_cndmask_b32_sdwa v3, v4, v3, vcc dst_sel:DWORD dst_unused:UNUSED_PAD src0_sel:DWORD src1_sel:WORD_1
	global_store_dword v[0:1], v3, off
	s_mov_b64 s[0:1], 0
	s_branch .LBB400_290
.LBB400_273:
	s_mov_b64 s[22:23], -1
	s_mov_b64 s[0:1], 0
	s_mov_b64 s[20:21], s[16:17]
                                        ; implicit-def: $vgpr2
	s_branch .LBB400_427
.LBB400_274:
	s_mov_b64 s[26:27], -1
	s_mov_b64 s[22:23], 0
	s_mov_b64 s[0:1], s[14:15]
	s_branch .LBB400_359
.LBB400_275:
	s_mov_b64 s[22:23], -1
	s_mov_b64 s[0:1], 0
	s_mov_b64 s[20:21], s[16:17]
                                        ; implicit-def: $vgpr2
	s_branch .LBB400_408
.LBB400_276:
	s_mov_b64 s[26:27], -1
	s_mov_b64 s[22:23], 0
	s_mov_b64 s[0:1], s[14:15]
	s_branch .LBB400_317
.LBB400_277:
	s_mov_b64 s[22:23], -1
	s_mov_b64 s[0:1], 0
	s_mov_b64 s[20:21], s[16:17]
                                        ; implicit-def: $vgpr2
	s_branch .LBB400_403
.LBB400_278:
	s_mov_b64 s[26:27], -1
	s_mov_b64 s[22:23], 0
	s_mov_b64 s[0:1], s[14:15]
	s_branch .LBB400_300
.LBB400_279:
	s_andn2_saveexec_b64 s[24:25], s[24:25]
	s_cbranch_execz .LBB400_55
.LBB400_280:
	s_mov_b32 s28, 0x46000000
	v_add_f32_e64 v3, |v2|, s28
	v_and_b32_e32 v3, 0xff, v3
	v_cmp_ne_u32_e32 vcc, 0, v3
	s_andn2_b64 s[20:21], s[20:21], exec
	s_and_b64 s[28:29], vcc, exec
	s_or_b64 s[20:21], s[20:21], s[28:29]
	s_or_b64 exec, exec, s[24:25]
	v_mov_b32_e32 v4, 0
	s_and_saveexec_b64 s[24:25], s[20:21]
	s_cbranch_execnz .LBB400_56
	s_branch .LBB400_57
.LBB400_281:
	s_mov_b64 s[22:23], -1
	s_mov_b64 s[0:1], 0
	s_mov_b64 s[20:21], s[16:17]
                                        ; implicit-def: $vgpr2
	s_branch .LBB400_286
.LBB400_282:
	s_mov_b64 s[26:27], -1
	s_mov_b64 s[22:23], 0
	s_mov_b64 s[0:1], s[14:15]
	s_branch .LBB400_296
.LBB400_283:
	s_andn2_saveexec_b64 s[24:25], s[24:25]
	s_cbranch_execz .LBB400_68
.LBB400_284:
	s_mov_b32 s28, 0x42800000
	v_add_f32_e64 v3, |v2|, s28
	v_and_b32_e32 v3, 0xff, v3
	v_cmp_ne_u32_e32 vcc, 0, v3
	s_andn2_b64 s[20:21], s[20:21], exec
	s_and_b64 s[28:29], vcc, exec
	s_or_b64 s[20:21], s[20:21], s[28:29]
	s_or_b64 exec, exec, s[24:25]
	v_mov_b32_e32 v4, 0
	s_and_saveexec_b64 s[24:25], s[20:21]
	s_cbranch_execnz .LBB400_69
	s_branch .LBB400_70
.LBB400_285:
	s_mov_b64 s[20:21], -1
                                        ; implicit-def: $vgpr2
	s_mov_b64 s[0:1], 0
.LBB400_286:
	s_and_b64 vcc, exec, s[22:23]
	s_cbranch_vccz .LBB400_402
; %bb.287:
	s_cmp_eq_u32 s28, 44
	s_cbranch_scc0 .LBB400_401
; %bb.288:
	global_load_ubyte v2, v[0:1], off
	s_movk_i32 s20, 0xff
	v_mov_b32_e32 v3, 0x7f800001
	v_mov_b32_e32 v4, 0x400000
	s_mov_b64 s[0:1], -1
	s_waitcnt vmcnt(0)
	v_lshlrev_b32_e32 v6, 23, v2
	v_cmp_ne_u32_e32 vcc, s20, v2
	s_mov_b64 s[20:21], 0
	s_nop 0
	v_cndmask_b32_e32 v3, v3, v6, vcc
	v_cmp_ne_u32_e32 vcc, 0, v2
	s_nop 1
	v_cndmask_b32_e32 v2, v4, v3, vcc
	s_branch .LBB400_402
.LBB400_289:
	s_mov_b64 s[26:27], -1
	s_mov_b64 s[22:23], 0
	s_mov_b64 s[0:1], s[14:15]
.LBB400_290:
	s_and_b64 vcc, exec, s[26:27]
	s_cbranch_vccz .LBB400_295
; %bb.291:
	s_cmp_eq_u32 s31, 44
	s_mov_b64 s[0:1], -1
	s_cbranch_scc0 .LBB400_295
; %bb.292:
	v_bfe_u32 v3, v2, 23, 8
	s_movk_i32 s0, 0xff
	v_cmp_ne_u32_e32 vcc, s0, v3
	v_mov_b32_e32 v4, 0xff
	s_and_saveexec_b64 s[22:23], vcc
; %bb.293:
	s_mov_b32 s0, 0x3fffff
	v_and_b32_e32 v6, 0x400000, v2
	v_and_or_b32 v3, v2, s0, v3
	v_cmp_ne_u32_e32 vcc, 0, v6
	v_cmp_ne_u32_e64 s[0:1], 0, v3
	s_and_b64 s[0:1], vcc, s[0:1]
	v_lshrrev_b32_e32 v4, 23, v2
	v_cndmask_b32_e64 v3, 0, 1, s[0:1]
	v_add_u32_e32 v4, v4, v3
; %bb.294:
	s_or_b64 exec, exec, s[22:23]
	s_mov_b64 s[22:23], -1
	s_mov_b64 s[0:1], 0
	global_store_byte v[0:1], v4, off
.LBB400_295:
	s_mov_b64 s[26:27], 0
.LBB400_296:
	s_and_b64 vcc, exec, s[26:27]
	s_cbranch_vccz .LBB400_299
; %bb.297:
	s_cmp_eq_u32 s31, 29
	s_mov_b64 s[0:1], -1
	s_cbranch_scc0 .LBB400_299
; %bb.298:
	v_trunc_f32_e32 v3, v2
	v_mul_f32_e32 v4, 0x2f800000, v3
	v_floor_f32_e32 v4, v4
	v_fmamk_f32 v3, v4, 0xcf800000, v3
	v_cvt_u32_f32_e32 v7, v4
	v_cvt_u32_f32_e32 v6, v3
	s_mov_b64 s[22:23], -1
	s_mov_b64 s[0:1], 0
	s_mov_b64 s[26:27], 0
	global_store_dwordx2 v[0:1], v[6:7], off
	s_branch .LBB400_300
.LBB400_299:
	s_mov_b64 s[26:27], 0
.LBB400_300:
	s_and_b64 vcc, exec, s[26:27]
	s_cbranch_vccz .LBB400_316
; %bb.301:
	s_cmp_lt_i32 s31, 27
	s_mov_b64 s[22:23], -1
	s_cbranch_scc1 .LBB400_307
; %bb.302:
	v_cvt_u32_f32_e32 v3, v2
	s_cmp_gt_i32 s31, 27
	s_cbranch_scc0 .LBB400_304
; %bb.303:
	s_mov_b64 s[22:23], 0
	global_store_dword v[0:1], v3, off
.LBB400_304:
	s_andn2_b64 vcc, exec, s[22:23]
	s_cbranch_vccnz .LBB400_306
; %bb.305:
	global_store_short v[0:1], v3, off
.LBB400_306:
	s_mov_b64 s[22:23], 0
.LBB400_307:
	s_andn2_b64 vcc, exec, s[22:23]
	s_cbranch_vccnz .LBB400_315
; %bb.308:
	v_and_b32_e32 v3, 0x7fffffff, v2
	s_mov_b32 s22, 0x43800000
	v_cmp_gt_u32_e32 vcc, s22, v3
	v_mov_b32_e32 v4, 0x80
	s_and_saveexec_b64 s[22:23], vcc
	s_cbranch_execz .LBB400_314
; %bb.309:
	s_mov_b32 s26, 0x3bffffff
	v_cmp_lt_u32_e32 vcc, s26, v3
	s_mov_b64 s[26:27], 0
                                        ; implicit-def: $vgpr3
	s_and_saveexec_b64 s[28:29], vcc
	s_xor_b64 s[28:29], exec, s[28:29]
	s_cbranch_execz .LBB400_526
; %bb.310:
	v_bfe_u32 v3, v2, 20, 1
	s_mov_b32 s34, 0x487ffff
	v_add3_u32 v3, v2, v3, s34
	s_mov_b64 s[26:27], exec
	v_lshrrev_b32_e32 v3, 20, v3
	s_andn2_saveexec_b64 s[28:29], s[28:29]
	s_cbranch_execnz .LBB400_527
.LBB400_311:
	s_or_b64 exec, exec, s[28:29]
	v_mov_b32_e32 v4, 0
	s_and_saveexec_b64 s[28:29], s[26:27]
.LBB400_312:
	v_lshrrev_b32_e32 v4, 24, v2
	s_movk_i32 s26, 0x80
	v_and_or_b32 v4, v4, s26, v3
.LBB400_313:
	s_or_b64 exec, exec, s[28:29]
.LBB400_314:
	s_or_b64 exec, exec, s[22:23]
	global_store_byte v[0:1], v4, off
.LBB400_315:
	s_mov_b64 s[22:23], -1
.LBB400_316:
	s_mov_b64 s[26:27], 0
.LBB400_317:
	s_and_b64 vcc, exec, s[26:27]
	s_cbranch_vccz .LBB400_358
; %bb.318:
	s_cmp_gt_i32 s31, 22
	s_mov_b64 s[26:27], -1
	s_cbranch_scc0 .LBB400_350
; %bb.319:
	s_cmp_lt_i32 s31, 24
	s_mov_b64 s[22:23], -1
	s_cbranch_scc1 .LBB400_339
; %bb.320:
	s_cmp_gt_i32 s31, 24
	s_cbranch_scc0 .LBB400_328
; %bb.321:
	v_and_b32_e32 v3, 0x7fffffff, v2
	s_mov_b32 s22, 0x47800000
	v_cmp_gt_u32_e32 vcc, s22, v3
	v_mov_b32_e32 v4, 0x80
	s_and_saveexec_b64 s[22:23], vcc
	s_cbranch_execz .LBB400_327
; %bb.322:
	s_mov_b32 s26, 0x37ffffff
	v_cmp_lt_u32_e32 vcc, s26, v3
	s_mov_b64 s[26:27], 0
                                        ; implicit-def: $vgpr3
	s_and_saveexec_b64 s[28:29], vcc
	s_xor_b64 s[28:29], exec, s[28:29]
	s_cbranch_execz .LBB400_529
; %bb.323:
	v_bfe_u32 v3, v2, 21, 1
	s_mov_b32 s34, 0x88fffff
	v_add3_u32 v3, v2, v3, s34
	s_mov_b64 s[26:27], exec
	v_lshrrev_b32_e32 v3, 21, v3
	s_andn2_saveexec_b64 s[28:29], s[28:29]
	s_cbranch_execnz .LBB400_530
.LBB400_324:
	s_or_b64 exec, exec, s[28:29]
	v_mov_b32_e32 v4, 0
	s_and_saveexec_b64 s[28:29], s[26:27]
.LBB400_325:
	v_lshrrev_b32_e32 v4, 24, v2
	s_movk_i32 s26, 0x80
	v_and_or_b32 v4, v4, s26, v3
.LBB400_326:
	s_or_b64 exec, exec, s[28:29]
.LBB400_327:
	s_or_b64 exec, exec, s[22:23]
	s_mov_b64 s[22:23], 0
	global_store_byte v[0:1], v4, off
.LBB400_328:
	s_and_b64 vcc, exec, s[22:23]
	s_cbranch_vccz .LBB400_338
; %bb.329:
	v_and_b32_e32 v4, 0x7fffffff, v2
	s_mov_b32 s22, 0x43f00000
	v_cmp_gt_u32_e32 vcc, s22, v4
                                        ; implicit-def: $vgpr3
	s_and_saveexec_b64 s[22:23], vcc
	s_xor_b64 s[22:23], exec, s[22:23]
	s_cbranch_execz .LBB400_335
; %bb.330:
	s_mov_b32 s26, 0x3c7fffff
	v_cmp_lt_u32_e32 vcc, s26, v4
                                        ; implicit-def: $vgpr3
	s_and_saveexec_b64 s[26:27], vcc
	s_xor_b64 s[26:27], exec, s[26:27]
; %bb.331:
	v_bfe_u32 v3, v2, 20, 1
	s_mov_b32 s28, 0x407ffff
	v_add3_u32 v3, v2, v3, s28
	v_lshrrev_b32_e32 v4, 20, v3
	v_and_b32_e32 v3, 0xff00000, v3
	s_mov_b32 s28, 0x7f00000
	v_mov_b32_e32 v6, 0x7e
	v_cmp_ne_u32_e32 vcc, s28, v3
	s_nop 1
	v_cndmask_b32_e32 v3, v6, v4, vcc
; %bb.332:
	s_andn2_saveexec_b64 s[26:27], s[26:27]
; %bb.333:
	s_mov_b32 s28, 0x46800000
	v_add_f32_e64 v3, |v2|, s28
; %bb.334:
	s_or_b64 exec, exec, s[26:27]
                                        ; implicit-def: $vgpr4
.LBB400_335:
	s_andn2_saveexec_b64 s[22:23], s[22:23]
; %bb.336:
	s_mov_b32 s26, 0x7f800000
	v_mov_b32_e32 v3, 0x7e
	v_mov_b32_e32 v6, 0x7f
	v_cmp_lt_u32_e32 vcc, s26, v4
	s_nop 1
	v_cndmask_b32_e32 v3, v3, v6, vcc
; %bb.337:
	s_or_b64 exec, exec, s[22:23]
	v_lshrrev_b32_e32 v4, 24, v2
	s_movk_i32 s22, 0x80
	v_and_or_b32 v3, v4, s22, v3
	global_store_byte v[0:1], v3, off
.LBB400_338:
	s_mov_b64 s[22:23], 0
.LBB400_339:
	s_andn2_b64 vcc, exec, s[22:23]
	s_cbranch_vccnz .LBB400_349
; %bb.340:
	v_and_b32_e32 v4, 0x7fffffff, v2
	s_mov_b32 s22, 0x47800000
	v_cmp_gt_u32_e32 vcc, s22, v4
                                        ; implicit-def: $vgpr3
	s_and_saveexec_b64 s[22:23], vcc
	s_xor_b64 s[22:23], exec, s[22:23]
	s_cbranch_execz .LBB400_346
; %bb.341:
	s_mov_b32 s26, 0x387fffff
	v_cmp_lt_u32_e32 vcc, s26, v4
                                        ; implicit-def: $vgpr3
	s_and_saveexec_b64 s[26:27], vcc
	s_xor_b64 s[26:27], exec, s[26:27]
; %bb.342:
	v_bfe_u32 v3, v2, 21, 1
	s_mov_b32 s28, 0x80fffff
	v_add3_u32 v3, v2, v3, s28
	v_lshrrev_b32_e32 v3, 21, v3
; %bb.343:
	s_andn2_saveexec_b64 s[26:27], s[26:27]
; %bb.344:
	s_mov_b32 s28, 0x43000000
	v_add_f32_e64 v3, |v2|, s28
; %bb.345:
	s_or_b64 exec, exec, s[26:27]
                                        ; implicit-def: $vgpr4
.LBB400_346:
	s_andn2_saveexec_b64 s[22:23], s[22:23]
; %bb.347:
	s_mov_b32 s26, 0x7f800000
	v_mov_b32_e32 v3, 0x7c
	v_mov_b32_e32 v6, 0x7f
	v_cmp_lt_u32_e32 vcc, s26, v4
	s_nop 1
	v_cndmask_b32_e32 v3, v3, v6, vcc
; %bb.348:
	s_or_b64 exec, exec, s[22:23]
	v_lshrrev_b32_e32 v4, 24, v2
	s_movk_i32 s22, 0x80
	v_and_or_b32 v3, v4, s22, v3
	global_store_byte v[0:1], v3, off
.LBB400_349:
	s_mov_b64 s[26:27], 0
	s_mov_b64 s[22:23], -1
.LBB400_350:
	s_andn2_b64 vcc, exec, s[26:27]
	s_cbranch_vccnz .LBB400_358
; %bb.351:
	s_cmp_gt_i32 s31, 14
	s_mov_b64 s[26:27], -1
	s_cbranch_scc0 .LBB400_355
; %bb.352:
	s_cmp_eq_u32 s31, 15
	s_mov_b64 s[0:1], -1
	s_cbranch_scc0 .LBB400_354
; %bb.353:
	v_bfe_u32 v3, v2, 16, 1
	s_movk_i32 s0, 0x7fff
	v_add3_u32 v3, v2, v3, s0
	v_cmp_o_f32_e32 vcc, v2, v2
	v_mov_b32_e32 v4, 0x7fc0
	s_mov_b64 s[22:23], -1
	v_cndmask_b32_sdwa v3, v4, v3, vcc dst_sel:DWORD dst_unused:UNUSED_PAD src0_sel:DWORD src1_sel:WORD_1
	global_store_short v[0:1], v3, off
	s_mov_b64 s[0:1], 0
.LBB400_354:
	s_mov_b64 s[26:27], 0
.LBB400_355:
	s_and_b64 vcc, exec, s[26:27]
	s_cbranch_vccz .LBB400_358
; %bb.356:
	s_cmp_eq_u32 s31, 11
	s_mov_b64 s[0:1], -1
	s_cbranch_scc0 .LBB400_358
; %bb.357:
	v_cmp_neq_f32_e32 vcc, 0, v2
	s_mov_b64 s[22:23], -1
	s_mov_b64 s[0:1], 0
	v_cndmask_b32_e64 v3, 0, 1, vcc
	global_store_byte v[0:1], v3, off
.LBB400_358:
	s_mov_b64 s[26:27], 0
.LBB400_359:
	s_and_b64 vcc, exec, s[26:27]
	s_cbranch_vccz .LBB400_398
; %bb.360:
	s_and_b32 s26, 0xffff, s30
	s_cmp_lt_i32 s26, 5
	s_mov_b64 s[22:23], -1
	s_cbranch_scc1 .LBB400_381
; %bb.361:
	s_cmp_lt_i32 s26, 8
	s_cbranch_scc1 .LBB400_371
; %bb.362:
	s_cmp_lt_i32 s26, 9
	s_cbranch_scc1 .LBB400_368
; %bb.363:
	s_cmp_gt_i32 s26, 9
	s_cbranch_scc0 .LBB400_365
; %bb.364:
	v_mov_b32_e32 v8, 0
	v_cvt_f64_f32_e32 v[6:7], v2
	v_mov_b32_e32 v9, v8
	s_mov_b64 s[22:23], 0
	global_store_dwordx4 v[0:1], v[6:9], off
.LBB400_365:
	s_andn2_b64 vcc, exec, s[22:23]
	s_cbranch_vccnz .LBB400_367
; %bb.366:
	v_mov_b32_e32 v3, 0
	global_store_dwordx2 v[0:1], v[2:3], off
.LBB400_367:
	s_mov_b64 s[22:23], 0
.LBB400_368:
	s_andn2_b64 vcc, exec, s[22:23]
	s_cbranch_vccnz .LBB400_370
; %bb.369:
	v_cvt_f16_f32_e32 v3, v2
	global_store_dword v[0:1], v3, off
.LBB400_370:
	s_mov_b64 s[22:23], 0
.LBB400_371:
	s_andn2_b64 vcc, exec, s[22:23]
	s_cbranch_vccnz .LBB400_380
; %bb.372:
	s_cmp_lt_i32 s26, 6
	s_mov_b64 s[22:23], -1
	s_cbranch_scc1 .LBB400_378
; %bb.373:
	s_cmp_gt_i32 s26, 6
	s_cbranch_scc0 .LBB400_375
; %bb.374:
	v_cvt_f64_f32_e32 v[6:7], v2
	s_mov_b64 s[22:23], 0
	global_store_dwordx2 v[0:1], v[6:7], off
.LBB400_375:
	s_andn2_b64 vcc, exec, s[22:23]
	s_cbranch_vccnz .LBB400_377
; %bb.376:
	global_store_dword v[0:1], v2, off
.LBB400_377:
	s_mov_b64 s[22:23], 0
.LBB400_378:
	s_andn2_b64 vcc, exec, s[22:23]
	s_cbranch_vccnz .LBB400_380
; %bb.379:
	v_cvt_f16_f32_e32 v3, v2
	global_store_short v[0:1], v3, off
.LBB400_380:
	s_mov_b64 s[22:23], 0
.LBB400_381:
	s_andn2_b64 vcc, exec, s[22:23]
	s_cbranch_vccnz .LBB400_397
; %bb.382:
	s_cmp_lt_i32 s26, 2
	s_mov_b64 s[22:23], -1
	s_cbranch_scc1 .LBB400_392
; %bb.383:
	s_cmp_lt_i32 s26, 3
	s_cbranch_scc1 .LBB400_389
; %bb.384:
	s_cmp_gt_i32 s26, 3
	s_cbranch_scc0 .LBB400_386
; %bb.385:
	v_trunc_f32_e32 v3, v2
	s_mov_b32 s22, 0x2f800000
	v_mul_f32_e64 v4, |v3|, s22
	v_floor_f32_e32 v4, v4
	s_mov_b32 s22, 0xcf800000
	v_cvt_u32_f32_e32 v6, v4
	v_fma_f32 v4, v4, s22, |v3|
	v_cvt_u32_f32_e32 v4, v4
	v_ashrrev_i32_e32 v3, 31, v3
	v_xor_b32_e32 v7, v6, v3
	s_mov_b64 s[22:23], 0
	v_xor_b32_e32 v4, v4, v3
	v_sub_co_u32_e32 v6, vcc, v4, v3
	s_nop 1
	v_subb_co_u32_e32 v7, vcc, v7, v3, vcc
	global_store_dwordx2 v[0:1], v[6:7], off
.LBB400_386:
	s_andn2_b64 vcc, exec, s[22:23]
	s_cbranch_vccnz .LBB400_388
; %bb.387:
	v_cvt_i32_f32_e32 v3, v2
	global_store_dword v[0:1], v3, off
.LBB400_388:
	s_mov_b64 s[22:23], 0
.LBB400_389:
	s_andn2_b64 vcc, exec, s[22:23]
	s_cbranch_vccnz .LBB400_391
; %bb.390:
	v_cvt_i32_f32_e32 v3, v2
	global_store_short v[0:1], v3, off
.LBB400_391:
	s_mov_b64 s[22:23], 0
.LBB400_392:
	s_andn2_b64 vcc, exec, s[22:23]
	s_cbranch_vccnz .LBB400_397
; %bb.393:
	s_cmp_gt_i32 s26, 0
	s_mov_b64 s[22:23], -1
	s_cbranch_scc0 .LBB400_395
; %bb.394:
	v_cvt_i32_f32_e32 v3, v2
	s_mov_b64 s[22:23], 0
	global_store_byte v[0:1], v3, off
.LBB400_395:
	s_andn2_b64 vcc, exec, s[22:23]
	s_cbranch_vccnz .LBB400_397
; %bb.396:
	v_trunc_f32_e32 v2, v2
	s_mov_b32 s22, 0x2f800000
	v_mul_f32_e64 v3, |v2|, s22
	v_floor_f32_e32 v3, v3
	s_mov_b32 s22, 0xcf800000
	v_fma_f32 v3, v3, s22, |v2|
	v_cvt_u32_f32_e32 v3, v3
	v_ashrrev_i32_e32 v2, 31, v2
	v_xor_b32_e32 v3, v3, v2
	v_sub_u32_e32 v2, v3, v2
	global_store_byte v[0:1], v2, off
.LBB400_397:
	s_mov_b64 s[22:23], -1
.LBB400_398:
	s_andn2_b64 vcc, exec, s[22:23]
	s_cbranch_vccnz .LBB400_400
; %bb.399:
	v_add_u32_e32 v5, 0x80, v5
	s_mov_b64 s[26:27], -1
	s_branch .LBB400_512
.LBB400_400:
	s_mov_b64 s[26:27], 0
                                        ; implicit-def: $vgpr5
	s_branch .LBB400_512
.LBB400_401:
	s_mov_b64 s[20:21], -1
                                        ; implicit-def: $vgpr2
.LBB400_402:
	s_mov_b64 s[22:23], 0
.LBB400_403:
	s_and_b64 vcc, exec, s[22:23]
	s_cbranch_vccz .LBB400_407
; %bb.404:
	s_cmp_eq_u32 s28, 29
	s_cbranch_scc0 .LBB400_406
; %bb.405:
	global_load_dwordx2 v[2:3], v[0:1], off
	s_mov_b64 s[0:1], -1
	s_mov_b64 s[20:21], 0
	s_mov_b64 s[22:23], 0
	s_waitcnt vmcnt(0)
	v_ffbh_u32_e32 v4, v3
	v_min_u32_e32 v4, 32, v4
	v_lshlrev_b64 v[2:3], v4, v[2:3]
	v_min_u32_e32 v2, 1, v2
	v_or_b32_e32 v2, v3, v2
	v_cvt_f32_u32_e32 v2, v2
	v_sub_u32_e32 v3, 32, v4
	v_ldexp_f32 v2, v2, v3
	s_branch .LBB400_408
.LBB400_406:
	s_mov_b64 s[20:21], -1
                                        ; implicit-def: $vgpr2
.LBB400_407:
	s_mov_b64 s[22:23], 0
.LBB400_408:
	s_and_b64 vcc, exec, s[22:23]
	s_cbranch_vccz .LBB400_426
; %bb.409:
	s_cmp_lt_i32 s28, 27
	s_cbranch_scc1 .LBB400_412
; %bb.410:
	s_cmp_gt_i32 s28, 27
	s_cbranch_scc0 .LBB400_413
; %bb.411:
	global_load_dword v2, v[0:1], off
	s_mov_b64 s[0:1], 0
	s_waitcnt vmcnt(0)
	v_cvt_f32_u32_e32 v2, v2
	s_branch .LBB400_414
.LBB400_412:
	s_mov_b64 s[0:1], -1
                                        ; implicit-def: $vgpr2
	s_branch .LBB400_417
.LBB400_413:
	s_mov_b64 s[0:1], -1
                                        ; implicit-def: $vgpr2
.LBB400_414:
	s_andn2_b64 vcc, exec, s[0:1]
	s_cbranch_vccnz .LBB400_416
; %bb.415:
	global_load_ushort v2, v[0:1], off
	s_waitcnt vmcnt(0)
	v_cvt_f32_u32_e32 v2, v2
.LBB400_416:
	s_mov_b64 s[0:1], 0
.LBB400_417:
	s_andn2_b64 vcc, exec, s[0:1]
	s_cbranch_vccnz .LBB400_425
; %bb.418:
	global_load_ubyte v3, v[0:1], off
	s_movk_i32 s0, 0x7f
	s_waitcnt vmcnt(0)
	v_cmp_lt_i16_e32 vcc, s0, v3
	s_mov_b64 s[0:1], 0
	s_and_saveexec_b64 s[22:23], vcc
	s_xor_b64 s[22:23], exec, s[22:23]
	s_cbranch_execz .LBB400_439
; %bb.419:
	s_movk_i32 s0, 0x80
	v_cmp_eq_u16_e32 vcc, s0, v3
	s_mov_b64 s[0:1], -1
	s_and_saveexec_b64 s[26:27], vcc
; %bb.420:
	s_xor_b64 s[0:1], exec, -1
; %bb.421:
	s_or_b64 exec, exec, s[26:27]
	s_and_b64 s[0:1], s[0:1], exec
	s_or_saveexec_b64 s[22:23], s[22:23]
	v_mov_b32_e32 v2, 0x7f800001
	s_xor_b64 exec, exec, s[22:23]
	s_cbranch_execnz .LBB400_440
.LBB400_422:
	s_or_b64 exec, exec, s[22:23]
	s_and_saveexec_b64 s[22:23], s[0:1]
	s_cbranch_execz .LBB400_424
.LBB400_423:
	v_lshlrev_b32_e32 v2, 24, v3
	v_and_b32_e32 v3, 0xffff, v3
	v_and_b32_e32 v4, 7, v3
	v_ffbh_u32_e32 v7, v4
	v_min_u32_e32 v7, 32, v7
	v_subrev_u32_e32 v8, 28, v7
	v_bfe_u32 v6, v3, 3, 4
	v_lshlrev_b32_e32 v3, v8, v3
	v_sub_u32_e32 v7, 29, v7
	v_and_b32_e32 v3, 7, v3
	v_cmp_eq_u32_e32 vcc, 0, v6
	v_and_b32_e32 v2, 0x80000000, v2
	s_nop 0
	v_cndmask_b32_e32 v6, v6, v7, vcc
	v_cndmask_b32_e32 v3, v4, v3, vcc
	v_mov_b32_e32 v4, 0x3b800000
	v_lshlrev_b32_e32 v3, 20, v3
	v_lshl_add_u32 v4, v6, 23, v4
	v_or3_b32 v2, v2, v4, v3
.LBB400_424:
	s_or_b64 exec, exec, s[22:23]
.LBB400_425:
	s_mov_b64 s[0:1], -1
.LBB400_426:
	s_mov_b64 s[22:23], 0
.LBB400_427:
	s_and_b64 vcc, exec, s[22:23]
	s_cbranch_vccz .LBB400_462
; %bb.428:
	s_cmp_gt_i32 s28, 22
	s_cbranch_scc0 .LBB400_438
; %bb.429:
	s_cmp_lt_i32 s28, 24
	s_cbranch_scc1 .LBB400_441
; %bb.430:
	s_cmp_gt_i32 s28, 24
	s_cbranch_scc0 .LBB400_442
; %bb.431:
	global_load_ubyte v3, v[0:1], off
	s_movk_i32 s0, 0x7f
	s_waitcnt vmcnt(0)
	v_cmp_lt_i16_e32 vcc, s0, v3
	s_mov_b64 s[0:1], 0
	s_and_saveexec_b64 s[22:23], vcc
	s_xor_b64 s[22:23], exec, s[22:23]
	s_cbranch_execz .LBB400_454
; %bb.432:
	s_movk_i32 s0, 0x80
	v_cmp_eq_u16_e32 vcc, s0, v3
	s_mov_b64 s[0:1], -1
	s_and_saveexec_b64 s[26:27], vcc
; %bb.433:
	s_xor_b64 s[0:1], exec, -1
; %bb.434:
	s_or_b64 exec, exec, s[26:27]
	s_and_b64 s[0:1], s[0:1], exec
	s_or_saveexec_b64 s[22:23], s[22:23]
	v_mov_b32_e32 v2, 0x7f800001
	s_xor_b64 exec, exec, s[22:23]
	s_cbranch_execnz .LBB400_455
.LBB400_435:
	s_or_b64 exec, exec, s[22:23]
	s_and_saveexec_b64 s[22:23], s[0:1]
	s_cbranch_execz .LBB400_437
.LBB400_436:
	v_lshlrev_b32_e32 v2, 24, v3
	v_and_b32_e32 v3, 0xffff, v3
	v_and_b32_e32 v4, 3, v3
	v_ffbh_u32_e32 v7, v4
	v_min_u32_e32 v7, 32, v7
	v_subrev_u32_e32 v8, 29, v7
	v_bfe_u32 v6, v3, 2, 5
	v_lshlrev_b32_e32 v3, v8, v3
	v_sub_u32_e32 v7, 30, v7
	v_and_b32_e32 v3, 3, v3
	v_cmp_eq_u32_e32 vcc, 0, v6
	v_and_b32_e32 v2, 0x80000000, v2
	s_nop 0
	v_cndmask_b32_e32 v6, v6, v7, vcc
	v_cndmask_b32_e32 v3, v4, v3, vcc
	v_mov_b32_e32 v4, 0x37800000
	v_lshlrev_b32_e32 v3, 21, v3
	v_lshl_add_u32 v4, v6, 23, v4
	v_or3_b32 v2, v2, v4, v3
.LBB400_437:
	s_or_b64 exec, exec, s[22:23]
	s_mov_b64 s[0:1], 0
	s_branch .LBB400_443
.LBB400_438:
	s_mov_b64 s[22:23], -1
                                        ; implicit-def: $vgpr2
	s_branch .LBB400_449
.LBB400_439:
	s_or_saveexec_b64 s[22:23], s[22:23]
	v_mov_b32_e32 v2, 0x7f800001
	s_xor_b64 exec, exec, s[22:23]
	s_cbranch_execz .LBB400_422
.LBB400_440:
	v_cmp_ne_u16_e32 vcc, 0, v3
	s_andn2_b64 s[0:1], s[0:1], exec
	s_and_b64 s[26:27], vcc, exec
	v_mov_b32_e32 v2, 0
	s_or_b64 s[0:1], s[0:1], s[26:27]
	s_or_b64 exec, exec, s[22:23]
	s_and_saveexec_b64 s[22:23], s[0:1]
	s_cbranch_execnz .LBB400_423
	s_branch .LBB400_424
.LBB400_441:
	s_mov_b64 s[0:1], -1
                                        ; implicit-def: $vgpr2
	s_branch .LBB400_446
.LBB400_442:
	s_mov_b64 s[0:1], -1
                                        ; implicit-def: $vgpr2
.LBB400_443:
	s_and_b64 vcc, exec, s[0:1]
	s_cbranch_vccz .LBB400_445
; %bb.444:
	global_load_ubyte v2, v[0:1], off
	s_mov_b32 s0, 0x7f800000
	s_waitcnt vmcnt(0)
	v_lshlrev_b32_e32 v2, 24, v2
	v_and_b32_e32 v3, 0x7f000000, v2
	v_ffbh_u32_e32 v4, v3
	v_min_u32_e32 v4, 32, v4
	v_sub_u32_e64 v4, v4, 4 clamp
	v_lshlrev_b32_e32 v7, v4, v3
	v_lshlrev_b32_e32 v4, 23, v4
	v_lshrrev_b32_e32 v7, 4, v7
	v_add_u32_e32 v6, 0x1000000, v3
	v_sub_u32_e32 v4, v7, v4
	v_ashrrev_i32_e32 v6, 8, v6
	v_add_u32_e32 v4, 0x3c000000, v4
	v_and_or_b32 v4, v6, s0, v4
	v_cmp_ne_u32_e32 vcc, 0, v3
	s_brev_b32 s0, 1
	s_nop 0
	v_cndmask_b32_e32 v3, 0, v4, vcc
	v_and_or_b32 v2, v2, s0, v3
.LBB400_445:
	s_mov_b64 s[0:1], 0
.LBB400_446:
	s_andn2_b64 vcc, exec, s[0:1]
	s_cbranch_vccnz .LBB400_448
; %bb.447:
	global_load_ubyte v2, v[0:1], off
	s_movk_i32 s0, 0x7f00
	s_brev_b32 s1, 16
	s_waitcnt vmcnt(0)
	v_lshlrev_b16_e32 v3, 8, v2
	v_lshlrev_b32_e32 v2, 25, v2
	v_lshrrev_b32_e32 v4, 4, v2
	v_and_or_b32 v6, v3, s0, 0.5
	v_or_b32_e32 v4, 0x70000000, v4
	v_add_f32_e32 v6, -0.5, v6
	v_mul_f32_e32 v4, 0x7800000, v4
	v_cmp_gt_u32_e32 vcc, s1, v2
	v_bfe_i32 v3, v3, 0, 16
	s_brev_b32 s0, 1
	v_cndmask_b32_e32 v2, v4, v6, vcc
	v_and_or_b32 v2, v3, s0, v2
.LBB400_448:
	s_mov_b64 s[22:23], 0
	s_mov_b64 s[0:1], -1
.LBB400_449:
	s_andn2_b64 vcc, exec, s[22:23]
	s_cbranch_vccnz .LBB400_462
; %bb.450:
	s_cmp_gt_i32 s28, 14
	s_cbranch_scc0 .LBB400_453
; %bb.451:
	s_cmp_eq_u32 s28, 15
	s_cbranch_scc0 .LBB400_456
; %bb.452:
	global_load_ushort v2, v[0:1], off
	s_mov_b64 s[0:1], -1
	s_mov_b64 s[20:21], 0
	s_waitcnt vmcnt(0)
	v_lshlrev_b32_e32 v2, 16, v2
	s_branch .LBB400_457
.LBB400_453:
	s_mov_b64 s[22:23], -1
                                        ; implicit-def: $vgpr2
	s_branch .LBB400_458
.LBB400_454:
	s_or_saveexec_b64 s[22:23], s[22:23]
	v_mov_b32_e32 v2, 0x7f800001
	s_xor_b64 exec, exec, s[22:23]
	s_cbranch_execz .LBB400_435
.LBB400_455:
	v_cmp_ne_u16_e32 vcc, 0, v3
	s_andn2_b64 s[0:1], s[0:1], exec
	s_and_b64 s[26:27], vcc, exec
	v_mov_b32_e32 v2, 0
	s_or_b64 s[0:1], s[0:1], s[26:27]
	s_or_b64 exec, exec, s[22:23]
	s_and_saveexec_b64 s[22:23], s[0:1]
	s_cbranch_execnz .LBB400_436
	s_branch .LBB400_437
.LBB400_456:
	s_mov_b64 s[20:21], -1
                                        ; implicit-def: $vgpr2
.LBB400_457:
	s_mov_b64 s[22:23], 0
.LBB400_458:
	s_and_b64 vcc, exec, s[22:23]
	s_cbranch_vccz .LBB400_462
; %bb.459:
	s_cmp_eq_u32 s28, 11
	s_cbranch_scc0 .LBB400_461
; %bb.460:
	global_load_ubyte v2, v[0:1], off
	s_mov_b64 s[0:1], -1
	s_mov_b64 s[20:21], 0
	s_waitcnt vmcnt(0)
	v_cmp_ne_u16_e32 vcc, 0, v2
	s_nop 1
	v_cndmask_b32_e64 v2, 0, 1.0, vcc
	s_branch .LBB400_462
.LBB400_461:
	s_mov_b64 s[20:21], -1
                                        ; implicit-def: $vgpr2
.LBB400_462:
	s_branch .LBB400_265
.LBB400_463:
	s_cmp_lt_i32 s28, 5
	s_cbranch_scc1 .LBB400_468
; %bb.464:
	s_cmp_lt_i32 s28, 8
	s_cbranch_scc1 .LBB400_469
; %bb.465:
	;; [unrolled: 3-line block ×3, first 2 shown]
	s_cmp_gt_i32 s28, 9
	s_cbranch_scc0 .LBB400_471
; %bb.467:
	global_load_dwordx2 v[2:3], v[0:1], off
	s_mov_b64 s[0:1], 0
	s_waitcnt vmcnt(0)
	v_cvt_f32_f64_e32 v2, v[2:3]
	s_branch .LBB400_472
.LBB400_468:
	s_mov_b64 s[0:1], -1
                                        ; implicit-def: $vgpr2
	s_branch .LBB400_490
.LBB400_469:
	s_mov_b64 s[0:1], -1
                                        ; implicit-def: $vgpr2
	s_branch .LBB400_478
.LBB400_470:
	s_mov_b64 s[0:1], -1
                                        ; implicit-def: $vgpr2
	s_branch .LBB400_475
.LBB400_471:
	s_mov_b64 s[0:1], -1
                                        ; implicit-def: $vgpr2
.LBB400_472:
	s_andn2_b64 vcc, exec, s[0:1]
	s_cbranch_vccnz .LBB400_474
; %bb.473:
	global_load_dword v2, v[0:1], off
.LBB400_474:
	s_mov_b64 s[0:1], 0
.LBB400_475:
	s_andn2_b64 vcc, exec, s[0:1]
	s_cbranch_vccnz .LBB400_477
; %bb.476:
	global_load_dword v2, v[0:1], off
	s_waitcnt vmcnt(0)
	v_cvt_f32_f16_e32 v2, v2
.LBB400_477:
	s_mov_b64 s[0:1], 0
.LBB400_478:
	s_andn2_b64 vcc, exec, s[0:1]
	s_cbranch_vccnz .LBB400_489
; %bb.479:
	s_cmp_lt_i32 s28, 6
	s_cbranch_scc1 .LBB400_482
; %bb.480:
	s_cmp_gt_i32 s28, 6
	s_cbranch_scc0 .LBB400_483
; %bb.481:
	global_load_dwordx2 v[2:3], v[0:1], off
	s_mov_b64 s[0:1], 0
	s_waitcnt vmcnt(0)
	v_cvt_f32_f64_e32 v2, v[2:3]
	s_branch .LBB400_484
.LBB400_482:
	s_mov_b64 s[0:1], -1
                                        ; implicit-def: $vgpr2
	s_branch .LBB400_487
.LBB400_483:
	s_mov_b64 s[0:1], -1
                                        ; implicit-def: $vgpr2
.LBB400_484:
	s_andn2_b64 vcc, exec, s[0:1]
	s_cbranch_vccnz .LBB400_486
; %bb.485:
	global_load_dword v2, v[0:1], off
.LBB400_486:
	s_mov_b64 s[0:1], 0
.LBB400_487:
	s_andn2_b64 vcc, exec, s[0:1]
	s_cbranch_vccnz .LBB400_489
; %bb.488:
	global_load_ushort v2, v[0:1], off
	s_waitcnt vmcnt(0)
	v_cvt_f32_f16_e32 v2, v2
.LBB400_489:
	s_mov_b64 s[0:1], 0
.LBB400_490:
	s_andn2_b64 vcc, exec, s[0:1]
	s_cbranch_vccnz .LBB400_510
; %bb.491:
	s_cmp_lt_i32 s28, 2
	s_cbranch_scc1 .LBB400_495
; %bb.492:
	s_cmp_lt_i32 s28, 3
	s_cbranch_scc1 .LBB400_496
; %bb.493:
	s_cmp_gt_i32 s28, 3
	s_cbranch_scc0 .LBB400_497
; %bb.494:
	global_load_dwordx2 v[2:3], v[0:1], off
	s_mov_b64 s[0:1], 0
	s_waitcnt vmcnt(0)
	v_xor_b32_e32 v6, v2, v3
	v_ffbh_i32_e32 v4, v3
	v_ashrrev_i32_e32 v6, 31, v6
	v_add_u32_e32 v4, -1, v4
	v_add_u32_e32 v6, 32, v6
	v_min_u32_e32 v4, v4, v6
	v_lshlrev_b64 v[2:3], v4, v[2:3]
	v_min_u32_e32 v2, 1, v2
	v_or_b32_e32 v2, v3, v2
	v_cvt_f32_i32_e32 v2, v2
	v_sub_u32_e32 v3, 32, v4
	v_ldexp_f32 v2, v2, v3
	s_branch .LBB400_498
.LBB400_495:
	s_mov_b64 s[0:1], -1
                                        ; implicit-def: $vgpr2
	s_branch .LBB400_504
.LBB400_496:
	s_mov_b64 s[0:1], -1
                                        ; implicit-def: $vgpr2
	s_branch .LBB400_501
.LBB400_497:
	s_mov_b64 s[0:1], -1
                                        ; implicit-def: $vgpr2
.LBB400_498:
	s_andn2_b64 vcc, exec, s[0:1]
	s_cbranch_vccnz .LBB400_500
; %bb.499:
	global_load_dword v2, v[0:1], off
	s_waitcnt vmcnt(0)
	v_cvt_f32_i32_e32 v2, v2
.LBB400_500:
	s_mov_b64 s[0:1], 0
.LBB400_501:
	s_andn2_b64 vcc, exec, s[0:1]
	s_cbranch_vccnz .LBB400_503
; %bb.502:
	global_load_sshort v2, v[0:1], off
	s_waitcnt vmcnt(0)
	v_cvt_f32_i32_e32 v2, v2
.LBB400_503:
	s_mov_b64 s[0:1], 0
.LBB400_504:
	s_andn2_b64 vcc, exec, s[0:1]
	s_cbranch_vccnz .LBB400_510
; %bb.505:
	s_cmp_gt_i32 s28, 0
	s_cbranch_scc0 .LBB400_507
; %bb.506:
	global_load_sbyte v2, v[0:1], off
	s_mov_b64 s[0:1], 0
	s_waitcnt vmcnt(0)
	v_cvt_f32_i32_e32 v2, v2
	s_branch .LBB400_508
.LBB400_507:
	s_mov_b64 s[0:1], -1
                                        ; implicit-def: $vgpr2
.LBB400_508:
	s_andn2_b64 vcc, exec, s[0:1]
	s_cbranch_vccnz .LBB400_510
; %bb.509:
	global_load_ubyte v0, v[0:1], off
	s_waitcnt vmcnt(0)
	v_cvt_f32_ubyte0_e32 v2, v0
.LBB400_510:
	s_branch .LBB400_266
.LBB400_511:
	s_mov_b64 s[26:27], 0
                                        ; implicit-def: $vgpr5
	s_mov_b64 s[0:1], s[14:15]
.LBB400_512:
	s_andn2_b64 s[22:23], s[14:15], exec
	s_and_b64 s[0:1], s[0:1], exec
	s_or_b64 s[22:23], s[22:23], s[0:1]
	s_andn2_b64 s[0:1], s[16:17], exec
	s_and_b64 s[20:21], s[20:21], exec
	s_or_b64 s[20:21], s[0:1], s[20:21]
	s_orn2_b64 s[0:1], s[26:27], exec
.LBB400_513:
	s_or_b64 exec, exec, s[24:25]
	s_mov_b64 s[26:27], 0
	s_mov_b64 s[28:29], 0
	;; [unrolled: 1-line block ×3, first 2 shown]
                                        ; implicit-def: $vgpr0_vgpr1
                                        ; implicit-def: $vgpr3
	s_and_saveexec_b64 s[24:25], s[0:1]
	s_cbranch_execz .LBB400_858
; %bb.514:
	v_cmp_gt_i32_e32 vcc, s40, v5
	s_mov_b64 s[36:37], -1
	s_mov_b64 s[0:1], s[20:21]
	s_mov_b64 s[30:31], s[22:23]
	s_and_saveexec_b64 s[26:27], vcc
	s_cbranch_execz .LBB400_772
; %bb.515:
	v_mul_lo_u32 v0, v5, s9
	v_ashrrev_i32_e32 v1, 31, v0
	s_and_b32 s36, 0xffff, s11
	s_cmp_lt_i32 s36, 11
	v_lshl_add_u64 v[0:1], s[6:7], 0, v[0:1]
	s_cbranch_scc1 .LBB400_522
; %bb.516:
	s_cmp_gt_i32 s36, 25
	s_cbranch_scc0 .LBB400_523
; %bb.517:
	s_cmp_gt_i32 s36, 28
	s_cbranch_scc0 .LBB400_524
	;; [unrolled: 3-line block ×4, first 2 shown]
; %bb.520:
	s_cmp_eq_u32 s36, 46
	s_mov_b64 s[30:31], 0
	s_cbranch_scc0 .LBB400_531
; %bb.521:
	global_load_dword v2, v[0:1], off
	s_mov_b64 s[0:1], -1
	s_waitcnt vmcnt(0)
	v_lshlrev_b32_e32 v2, 16, v2
	s_branch .LBB400_532
.LBB400_522:
	s_mov_b64 s[30:31], -1
	s_mov_b64 s[0:1], 0
                                        ; implicit-def: $vgpr2
	s_mov_b64 s[28:29], s[20:21]
	s_branch .LBB400_597
.LBB400_523:
	s_mov_b64 s[30:31], -1
	s_mov_b64 s[0:1], 0
	s_mov_b64 s[28:29], s[20:21]
                                        ; implicit-def: $vgpr2
	s_branch .LBB400_561
.LBB400_524:
	s_mov_b64 s[30:31], -1
	s_mov_b64 s[0:1], 0
	s_mov_b64 s[28:29], s[20:21]
                                        ; implicit-def: $vgpr2
	s_branch .LBB400_542
.LBB400_525:
	s_mov_b64 s[30:31], -1
	s_mov_b64 s[0:1], 0
	s_mov_b64 s[28:29], s[20:21]
                                        ; implicit-def: $vgpr2
	s_branch .LBB400_537
.LBB400_526:
	s_andn2_saveexec_b64 s[28:29], s[28:29]
	s_cbranch_execz .LBB400_311
.LBB400_527:
	s_mov_b32 s34, 0x46000000
	v_add_f32_e64 v3, |v2|, s34
	v_and_b32_e32 v3, 0xff, v3
	v_cmp_ne_u32_e32 vcc, 0, v3
	s_andn2_b64 s[26:27], s[26:27], exec
	s_and_b64 s[34:35], vcc, exec
	s_or_b64 s[26:27], s[26:27], s[34:35]
	s_or_b64 exec, exec, s[28:29]
	v_mov_b32_e32 v4, 0
	s_and_saveexec_b64 s[28:29], s[26:27]
	s_cbranch_execnz .LBB400_312
	s_branch .LBB400_313
.LBB400_528:
	s_mov_b64 s[30:31], -1
	s_mov_b64 s[0:1], 0
	s_mov_b64 s[28:29], s[20:21]
                                        ; implicit-def: $vgpr2
	s_branch .LBB400_532
.LBB400_529:
	s_andn2_saveexec_b64 s[28:29], s[28:29]
	s_cbranch_execz .LBB400_324
.LBB400_530:
	s_mov_b32 s34, 0x42800000
	v_add_f32_e64 v3, |v2|, s34
	v_and_b32_e32 v3, 0xff, v3
	v_cmp_ne_u32_e32 vcc, 0, v3
	s_andn2_b64 s[26:27], s[26:27], exec
	s_and_b64 s[34:35], vcc, exec
	s_or_b64 s[26:27], s[26:27], s[34:35]
	s_or_b64 exec, exec, s[28:29]
	v_mov_b32_e32 v4, 0
	s_and_saveexec_b64 s[28:29], s[26:27]
	s_cbranch_execnz .LBB400_325
	s_branch .LBB400_326
.LBB400_531:
	s_mov_b64 s[28:29], -1
                                        ; implicit-def: $vgpr2
	s_mov_b64 s[0:1], 0
.LBB400_532:
	s_and_b64 vcc, exec, s[30:31]
	s_cbranch_vccz .LBB400_536
; %bb.533:
	s_cmp_eq_u32 s36, 44
	s_cbranch_scc0 .LBB400_535
; %bb.534:
	global_load_ubyte v2, v[0:1], off
	s_movk_i32 s28, 0xff
	v_mov_b32_e32 v3, 0x7f800001
	v_mov_b32_e32 v4, 0x400000
	s_mov_b64 s[0:1], -1
	s_waitcnt vmcnt(0)
	v_lshlrev_b32_e32 v6, 23, v2
	v_cmp_ne_u32_e32 vcc, s28, v2
	s_mov_b64 s[28:29], 0
	s_nop 0
	v_cndmask_b32_e32 v3, v3, v6, vcc
	v_cmp_ne_u32_e32 vcc, 0, v2
	s_nop 1
	v_cndmask_b32_e32 v2, v4, v3, vcc
	s_branch .LBB400_536
.LBB400_535:
	s_mov_b64 s[28:29], -1
                                        ; implicit-def: $vgpr2
.LBB400_536:
	s_mov_b64 s[30:31], 0
.LBB400_537:
	s_and_b64 vcc, exec, s[30:31]
	s_cbranch_vccz .LBB400_541
; %bb.538:
	s_cmp_eq_u32 s36, 29
	s_cbranch_scc0 .LBB400_540
; %bb.539:
	global_load_dwordx2 v[2:3], v[0:1], off
	s_mov_b64 s[0:1], -1
	s_mov_b64 s[28:29], 0
	s_mov_b64 s[30:31], 0
	s_waitcnt vmcnt(0)
	v_ffbh_u32_e32 v4, v3
	v_min_u32_e32 v4, 32, v4
	v_lshlrev_b64 v[2:3], v4, v[2:3]
	v_min_u32_e32 v2, 1, v2
	v_or_b32_e32 v2, v3, v2
	v_cvt_f32_u32_e32 v2, v2
	v_sub_u32_e32 v3, 32, v4
	v_ldexp_f32 v2, v2, v3
	s_branch .LBB400_542
.LBB400_540:
	s_mov_b64 s[28:29], -1
                                        ; implicit-def: $vgpr2
.LBB400_541:
	s_mov_b64 s[30:31], 0
.LBB400_542:
	s_and_b64 vcc, exec, s[30:31]
	s_cbranch_vccz .LBB400_560
; %bb.543:
	s_cmp_lt_i32 s36, 27
	s_cbranch_scc1 .LBB400_546
; %bb.544:
	s_cmp_gt_i32 s36, 27
	s_cbranch_scc0 .LBB400_547
; %bb.545:
	global_load_dword v2, v[0:1], off
	s_mov_b64 s[0:1], 0
	s_waitcnt vmcnt(0)
	v_cvt_f32_u32_e32 v2, v2
	s_branch .LBB400_548
.LBB400_546:
	s_mov_b64 s[0:1], -1
                                        ; implicit-def: $vgpr2
	s_branch .LBB400_551
.LBB400_547:
	s_mov_b64 s[0:1], -1
                                        ; implicit-def: $vgpr2
.LBB400_548:
	s_andn2_b64 vcc, exec, s[0:1]
	s_cbranch_vccnz .LBB400_550
; %bb.549:
	global_load_ushort v2, v[0:1], off
	s_waitcnt vmcnt(0)
	v_cvt_f32_u32_e32 v2, v2
.LBB400_550:
	s_mov_b64 s[0:1], 0
.LBB400_551:
	s_andn2_b64 vcc, exec, s[0:1]
	s_cbranch_vccnz .LBB400_559
; %bb.552:
	global_load_ubyte v3, v[0:1], off
	s_movk_i32 s0, 0x7f
	s_waitcnt vmcnt(0)
	v_cmp_lt_i16_e32 vcc, s0, v3
	s_mov_b64 s[0:1], 0
	s_and_saveexec_b64 s[30:31], vcc
	s_xor_b64 s[30:31], exec, s[30:31]
	s_cbranch_execz .LBB400_573
; %bb.553:
	s_movk_i32 s0, 0x80
	v_cmp_eq_u16_e32 vcc, s0, v3
	s_mov_b64 s[0:1], -1
	s_and_saveexec_b64 s[34:35], vcc
; %bb.554:
	s_xor_b64 s[0:1], exec, -1
; %bb.555:
	s_or_b64 exec, exec, s[34:35]
	s_and_b64 s[0:1], s[0:1], exec
	s_or_saveexec_b64 s[30:31], s[30:31]
	v_mov_b32_e32 v2, 0x7f800001
	s_xor_b64 exec, exec, s[30:31]
	s_cbranch_execnz .LBB400_574
.LBB400_556:
	s_or_b64 exec, exec, s[30:31]
	s_and_saveexec_b64 s[30:31], s[0:1]
	s_cbranch_execz .LBB400_558
.LBB400_557:
	v_lshlrev_b32_e32 v2, 24, v3
	v_and_b32_e32 v3, 0xffff, v3
	v_and_b32_e32 v4, 7, v3
	v_ffbh_u32_e32 v7, v4
	v_min_u32_e32 v7, 32, v7
	v_subrev_u32_e32 v8, 28, v7
	v_bfe_u32 v6, v3, 3, 4
	v_lshlrev_b32_e32 v3, v8, v3
	v_sub_u32_e32 v7, 29, v7
	v_and_b32_e32 v3, 7, v3
	v_cmp_eq_u32_e32 vcc, 0, v6
	v_and_b32_e32 v2, 0x80000000, v2
	s_nop 0
	v_cndmask_b32_e32 v6, v6, v7, vcc
	v_cndmask_b32_e32 v3, v4, v3, vcc
	v_mov_b32_e32 v4, 0x3b800000
	v_lshlrev_b32_e32 v3, 20, v3
	v_lshl_add_u32 v4, v6, 23, v4
	v_or3_b32 v2, v2, v4, v3
.LBB400_558:
	s_or_b64 exec, exec, s[30:31]
.LBB400_559:
	s_mov_b64 s[0:1], -1
.LBB400_560:
	s_mov_b64 s[30:31], 0
.LBB400_561:
	s_and_b64 vcc, exec, s[30:31]
	s_cbranch_vccz .LBB400_596
; %bb.562:
	s_cmp_gt_i32 s36, 22
	s_cbranch_scc0 .LBB400_572
; %bb.563:
	s_cmp_lt_i32 s36, 24
	s_cbranch_scc1 .LBB400_575
; %bb.564:
	s_cmp_gt_i32 s36, 24
	s_cbranch_scc0 .LBB400_576
; %bb.565:
	global_load_ubyte v3, v[0:1], off
	s_movk_i32 s0, 0x7f
	s_waitcnt vmcnt(0)
	v_cmp_lt_i16_e32 vcc, s0, v3
	s_mov_b64 s[0:1], 0
	s_and_saveexec_b64 s[30:31], vcc
	s_xor_b64 s[30:31], exec, s[30:31]
	s_cbranch_execz .LBB400_588
; %bb.566:
	s_movk_i32 s0, 0x80
	v_cmp_eq_u16_e32 vcc, s0, v3
	s_mov_b64 s[0:1], -1
	s_and_saveexec_b64 s[34:35], vcc
; %bb.567:
	s_xor_b64 s[0:1], exec, -1
; %bb.568:
	s_or_b64 exec, exec, s[34:35]
	s_and_b64 s[0:1], s[0:1], exec
	s_or_saveexec_b64 s[30:31], s[30:31]
	v_mov_b32_e32 v2, 0x7f800001
	s_xor_b64 exec, exec, s[30:31]
	s_cbranch_execnz .LBB400_589
.LBB400_569:
	s_or_b64 exec, exec, s[30:31]
	s_and_saveexec_b64 s[30:31], s[0:1]
	s_cbranch_execz .LBB400_571
.LBB400_570:
	v_lshlrev_b32_e32 v2, 24, v3
	v_and_b32_e32 v3, 0xffff, v3
	v_and_b32_e32 v4, 3, v3
	v_ffbh_u32_e32 v7, v4
	v_min_u32_e32 v7, 32, v7
	v_subrev_u32_e32 v8, 29, v7
	v_bfe_u32 v6, v3, 2, 5
	v_lshlrev_b32_e32 v3, v8, v3
	v_sub_u32_e32 v7, 30, v7
	v_and_b32_e32 v3, 3, v3
	v_cmp_eq_u32_e32 vcc, 0, v6
	v_and_b32_e32 v2, 0x80000000, v2
	s_nop 0
	v_cndmask_b32_e32 v6, v6, v7, vcc
	v_cndmask_b32_e32 v3, v4, v3, vcc
	v_mov_b32_e32 v4, 0x37800000
	v_lshlrev_b32_e32 v3, 21, v3
	v_lshl_add_u32 v4, v6, 23, v4
	v_or3_b32 v2, v2, v4, v3
.LBB400_571:
	s_or_b64 exec, exec, s[30:31]
	s_mov_b64 s[0:1], 0
	s_branch .LBB400_577
.LBB400_572:
	s_mov_b64 s[30:31], -1
                                        ; implicit-def: $vgpr2
	s_branch .LBB400_583
.LBB400_573:
	s_or_saveexec_b64 s[30:31], s[30:31]
	v_mov_b32_e32 v2, 0x7f800001
	s_xor_b64 exec, exec, s[30:31]
	s_cbranch_execz .LBB400_556
.LBB400_574:
	v_cmp_ne_u16_e32 vcc, 0, v3
	s_andn2_b64 s[0:1], s[0:1], exec
	s_and_b64 s[34:35], vcc, exec
	v_mov_b32_e32 v2, 0
	s_or_b64 s[0:1], s[0:1], s[34:35]
	s_or_b64 exec, exec, s[30:31]
	s_and_saveexec_b64 s[30:31], s[0:1]
	s_cbranch_execnz .LBB400_557
	s_branch .LBB400_558
.LBB400_575:
	s_mov_b64 s[0:1], -1
                                        ; implicit-def: $vgpr2
	s_branch .LBB400_580
.LBB400_576:
	s_mov_b64 s[0:1], -1
                                        ; implicit-def: $vgpr2
.LBB400_577:
	s_and_b64 vcc, exec, s[0:1]
	s_cbranch_vccz .LBB400_579
; %bb.578:
	global_load_ubyte v2, v[0:1], off
	s_mov_b32 s0, 0x7f800000
	s_waitcnt vmcnt(0)
	v_lshlrev_b32_e32 v2, 24, v2
	v_and_b32_e32 v3, 0x7f000000, v2
	v_ffbh_u32_e32 v4, v3
	v_min_u32_e32 v4, 32, v4
	v_sub_u32_e64 v4, v4, 4 clamp
	v_lshlrev_b32_e32 v7, v4, v3
	v_lshlrev_b32_e32 v4, 23, v4
	v_lshrrev_b32_e32 v7, 4, v7
	v_add_u32_e32 v6, 0x1000000, v3
	v_sub_u32_e32 v4, v7, v4
	v_ashrrev_i32_e32 v6, 8, v6
	v_add_u32_e32 v4, 0x3c000000, v4
	v_and_or_b32 v4, v6, s0, v4
	v_cmp_ne_u32_e32 vcc, 0, v3
	s_brev_b32 s0, 1
	s_nop 0
	v_cndmask_b32_e32 v3, 0, v4, vcc
	v_and_or_b32 v2, v2, s0, v3
.LBB400_579:
	s_mov_b64 s[0:1], 0
.LBB400_580:
	s_andn2_b64 vcc, exec, s[0:1]
	s_cbranch_vccnz .LBB400_582
; %bb.581:
	global_load_ubyte v2, v[0:1], off
	s_movk_i32 s0, 0x7f00
	s_brev_b32 s1, 16
	s_waitcnt vmcnt(0)
	v_lshlrev_b16_e32 v3, 8, v2
	v_lshlrev_b32_e32 v2, 25, v2
	v_lshrrev_b32_e32 v4, 4, v2
	v_and_or_b32 v6, v3, s0, 0.5
	v_or_b32_e32 v4, 0x70000000, v4
	v_add_f32_e32 v6, -0.5, v6
	v_mul_f32_e32 v4, 0x7800000, v4
	v_cmp_gt_u32_e32 vcc, s1, v2
	v_bfe_i32 v3, v3, 0, 16
	s_brev_b32 s0, 1
	v_cndmask_b32_e32 v2, v4, v6, vcc
	v_and_or_b32 v2, v3, s0, v2
.LBB400_582:
	s_mov_b64 s[30:31], 0
	s_mov_b64 s[0:1], -1
.LBB400_583:
	s_andn2_b64 vcc, exec, s[30:31]
	s_cbranch_vccnz .LBB400_596
; %bb.584:
	s_cmp_gt_i32 s36, 14
	s_cbranch_scc0 .LBB400_587
; %bb.585:
	s_cmp_eq_u32 s36, 15
	s_cbranch_scc0 .LBB400_590
; %bb.586:
	global_load_ushort v2, v[0:1], off
	s_mov_b64 s[0:1], -1
	s_mov_b64 s[28:29], 0
	s_waitcnt vmcnt(0)
	v_lshlrev_b32_e32 v2, 16, v2
	s_branch .LBB400_591
.LBB400_587:
	s_mov_b64 s[30:31], -1
                                        ; implicit-def: $vgpr2
	s_branch .LBB400_592
.LBB400_588:
	s_or_saveexec_b64 s[30:31], s[30:31]
	v_mov_b32_e32 v2, 0x7f800001
	s_xor_b64 exec, exec, s[30:31]
	s_cbranch_execz .LBB400_569
.LBB400_589:
	v_cmp_ne_u16_e32 vcc, 0, v3
	s_andn2_b64 s[0:1], s[0:1], exec
	s_and_b64 s[34:35], vcc, exec
	v_mov_b32_e32 v2, 0
	s_or_b64 s[0:1], s[0:1], s[34:35]
	s_or_b64 exec, exec, s[30:31]
	s_and_saveexec_b64 s[30:31], s[0:1]
	s_cbranch_execnz .LBB400_570
	s_branch .LBB400_571
.LBB400_590:
	s_mov_b64 s[28:29], -1
                                        ; implicit-def: $vgpr2
.LBB400_591:
	s_mov_b64 s[30:31], 0
.LBB400_592:
	s_and_b64 vcc, exec, s[30:31]
	s_cbranch_vccz .LBB400_596
; %bb.593:
	s_cmp_eq_u32 s36, 11
	s_cbranch_scc0 .LBB400_595
; %bb.594:
	global_load_ubyte v2, v[0:1], off
	s_mov_b64 s[0:1], -1
	s_mov_b64 s[28:29], 0
	s_waitcnt vmcnt(0)
	v_cmp_ne_u16_e32 vcc, 0, v2
	s_nop 1
	v_cndmask_b32_e64 v2, 0, 1.0, vcc
	s_branch .LBB400_596
.LBB400_595:
	s_mov_b64 s[28:29], -1
                                        ; implicit-def: $vgpr2
.LBB400_596:
	s_mov_b64 s[30:31], 0
.LBB400_597:
	s_and_b64 vcc, exec, s[30:31]
	s_cbranch_vccz .LBB400_646
; %bb.598:
	s_cmp_lt_i32 s36, 5
	s_cbranch_scc1 .LBB400_603
; %bb.599:
	s_cmp_lt_i32 s36, 8
	s_cbranch_scc1 .LBB400_604
	;; [unrolled: 3-line block ×3, first 2 shown]
; %bb.601:
	s_cmp_gt_i32 s36, 9
	s_cbranch_scc0 .LBB400_606
; %bb.602:
	global_load_dwordx2 v[2:3], v[0:1], off
	s_mov_b64 s[0:1], 0
	s_waitcnt vmcnt(0)
	v_cvt_f32_f64_e32 v2, v[2:3]
	s_branch .LBB400_607
.LBB400_603:
	s_mov_b64 s[0:1], -1
                                        ; implicit-def: $vgpr2
	s_branch .LBB400_625
.LBB400_604:
	s_mov_b64 s[0:1], -1
                                        ; implicit-def: $vgpr2
	s_branch .LBB400_613
.LBB400_605:
	s_mov_b64 s[0:1], -1
                                        ; implicit-def: $vgpr2
	s_branch .LBB400_610
.LBB400_606:
	s_mov_b64 s[0:1], -1
                                        ; implicit-def: $vgpr2
.LBB400_607:
	s_andn2_b64 vcc, exec, s[0:1]
	s_cbranch_vccnz .LBB400_609
; %bb.608:
	global_load_dword v2, v[0:1], off
.LBB400_609:
	s_mov_b64 s[0:1], 0
.LBB400_610:
	s_andn2_b64 vcc, exec, s[0:1]
	s_cbranch_vccnz .LBB400_612
; %bb.611:
	global_load_dword v2, v[0:1], off
	s_waitcnt vmcnt(0)
	v_cvt_f32_f16_e32 v2, v2
.LBB400_612:
	s_mov_b64 s[0:1], 0
.LBB400_613:
	s_andn2_b64 vcc, exec, s[0:1]
	s_cbranch_vccnz .LBB400_624
; %bb.614:
	s_cmp_lt_i32 s36, 6
	s_cbranch_scc1 .LBB400_617
; %bb.615:
	s_cmp_gt_i32 s36, 6
	s_cbranch_scc0 .LBB400_618
; %bb.616:
	global_load_dwordx2 v[2:3], v[0:1], off
	s_mov_b64 s[0:1], 0
	s_waitcnt vmcnt(0)
	v_cvt_f32_f64_e32 v2, v[2:3]
	s_branch .LBB400_619
.LBB400_617:
	s_mov_b64 s[0:1], -1
                                        ; implicit-def: $vgpr2
	s_branch .LBB400_622
.LBB400_618:
	s_mov_b64 s[0:1], -1
                                        ; implicit-def: $vgpr2
.LBB400_619:
	s_andn2_b64 vcc, exec, s[0:1]
	s_cbranch_vccnz .LBB400_621
; %bb.620:
	global_load_dword v2, v[0:1], off
.LBB400_621:
	s_mov_b64 s[0:1], 0
.LBB400_622:
	s_andn2_b64 vcc, exec, s[0:1]
	s_cbranch_vccnz .LBB400_624
; %bb.623:
	global_load_ushort v2, v[0:1], off
	s_waitcnt vmcnt(0)
	v_cvt_f32_f16_e32 v2, v2
.LBB400_624:
	s_mov_b64 s[0:1], 0
.LBB400_625:
	s_andn2_b64 vcc, exec, s[0:1]
	s_cbranch_vccnz .LBB400_645
; %bb.626:
	s_cmp_lt_i32 s36, 2
	s_cbranch_scc1 .LBB400_630
; %bb.627:
	s_cmp_lt_i32 s36, 3
	s_cbranch_scc1 .LBB400_631
; %bb.628:
	s_cmp_gt_i32 s36, 3
	s_cbranch_scc0 .LBB400_632
; %bb.629:
	global_load_dwordx2 v[2:3], v[0:1], off
	s_mov_b64 s[0:1], 0
	s_waitcnt vmcnt(0)
	v_xor_b32_e32 v6, v2, v3
	v_ffbh_i32_e32 v4, v3
	v_ashrrev_i32_e32 v6, 31, v6
	v_add_u32_e32 v4, -1, v4
	v_add_u32_e32 v6, 32, v6
	v_min_u32_e32 v4, v4, v6
	v_lshlrev_b64 v[2:3], v4, v[2:3]
	v_min_u32_e32 v2, 1, v2
	v_or_b32_e32 v2, v3, v2
	v_cvt_f32_i32_e32 v2, v2
	v_sub_u32_e32 v3, 32, v4
	v_ldexp_f32 v2, v2, v3
	s_branch .LBB400_633
.LBB400_630:
	s_mov_b64 s[0:1], -1
                                        ; implicit-def: $vgpr2
	s_branch .LBB400_639
.LBB400_631:
	s_mov_b64 s[0:1], -1
                                        ; implicit-def: $vgpr2
	s_branch .LBB400_636
.LBB400_632:
	s_mov_b64 s[0:1], -1
                                        ; implicit-def: $vgpr2
.LBB400_633:
	s_andn2_b64 vcc, exec, s[0:1]
	s_cbranch_vccnz .LBB400_635
; %bb.634:
	global_load_dword v2, v[0:1], off
	s_waitcnt vmcnt(0)
	v_cvt_f32_i32_e32 v2, v2
.LBB400_635:
	s_mov_b64 s[0:1], 0
.LBB400_636:
	s_andn2_b64 vcc, exec, s[0:1]
	s_cbranch_vccnz .LBB400_638
; %bb.637:
	global_load_sshort v2, v[0:1], off
	s_waitcnt vmcnt(0)
	v_cvt_f32_i32_e32 v2, v2
.LBB400_638:
	s_mov_b64 s[0:1], 0
.LBB400_639:
	s_andn2_b64 vcc, exec, s[0:1]
	s_cbranch_vccnz .LBB400_645
; %bb.640:
	s_cmp_gt_i32 s36, 0
	s_cbranch_scc0 .LBB400_642
; %bb.641:
	global_load_sbyte v2, v[0:1], off
	s_mov_b64 s[0:1], 0
	s_waitcnt vmcnt(0)
	v_cvt_f32_i32_e32 v2, v2
	s_branch .LBB400_643
.LBB400_642:
	s_mov_b64 s[0:1], -1
                                        ; implicit-def: $vgpr2
.LBB400_643:
	s_andn2_b64 vcc, exec, s[0:1]
	s_cbranch_vccnz .LBB400_645
; %bb.644:
	global_load_ubyte v0, v[0:1], off
	s_waitcnt vmcnt(0)
	v_cvt_f32_ubyte0_e32 v2, v0
.LBB400_645:
	s_mov_b64 s[0:1], -1
.LBB400_646:
	s_andn2_b64 vcc, exec, s[0:1]
	s_cbranch_vccnz .LBB400_654
; %bb.647:
	v_max_f32_e64 v0, s10, s10
	s_waitcnt vmcnt(0)
	v_max_f32_e32 v1, v2, v2
	v_max_f32_e32 v0, v1, v0
	v_cmp_u_f32_e32 vcc, v2, v2
	s_and_b32 s38, s33, 0xff
	s_cmp_lt_i32 s38, 11
	v_cndmask_b32_e32 v2, v0, v2, vcc
	v_mul_lo_u32 v0, v5, s8
	v_ashrrev_i32_e32 v1, 31, v0
	v_lshl_add_u64 v[0:1], s[4:5], 0, v[0:1]
	s_cbranch_scc1 .LBB400_655
; %bb.648:
	s_and_b32 s39, 0xffff, s38
	s_cmp_gt_i32 s39, 25
	s_cbranch_scc0 .LBB400_656
; %bb.649:
	s_cmp_gt_i32 s39, 28
	s_cbranch_scc0 .LBB400_657
; %bb.650:
	;; [unrolled: 3-line block ×4, first 2 shown]
	s_mov_b64 s[34:35], 0
	s_mov_b64 s[0:1], -1
	s_cmp_eq_u32 s39, 46
	s_mov_b64 s[30:31], 0
	s_cbranch_scc0 .LBB400_660
; %bb.653:
	v_bfe_u32 v3, v2, 16, 1
	s_movk_i32 s0, 0x7fff
	v_add3_u32 v3, v2, v3, s0
	v_cmp_o_f32_e32 vcc, v2, v2
	v_mov_b32_e32 v4, 0x7fc0
	s_mov_b64 s[30:31], -1
	v_cndmask_b32_sdwa v3, v4, v3, vcc dst_sel:DWORD dst_unused:UNUSED_PAD src0_sel:DWORD src1_sel:WORD_1
	global_store_dword v[0:1], v3, off
	s_mov_b64 s[0:1], 0
	s_branch .LBB400_660
.LBB400_654:
	s_mov_b64 s[34:35], 0
                                        ; implicit-def: $vgpr5
	s_mov_b64 s[0:1], s[22:23]
	s_branch .LBB400_771
.LBB400_655:
	s_mov_b64 s[34:35], -1
	s_mov_b64 s[30:31], 0
	s_mov_b64 s[0:1], s[22:23]
	s_branch .LBB400_729
.LBB400_656:
	s_mov_b64 s[34:35], -1
	s_mov_b64 s[30:31], 0
	s_mov_b64 s[0:1], s[22:23]
	s_branch .LBB400_687
.LBB400_657:
	s_mov_b64 s[34:35], -1
	s_mov_b64 s[30:31], 0
	s_mov_b64 s[0:1], s[22:23]
	s_branch .LBB400_670
.LBB400_658:
	s_mov_b64 s[34:35], -1
	s_mov_b64 s[30:31], 0
	s_mov_b64 s[0:1], s[22:23]
	s_branch .LBB400_666
.LBB400_659:
	s_mov_b64 s[34:35], -1
	s_mov_b64 s[30:31], 0
	s_mov_b64 s[0:1], s[22:23]
.LBB400_660:
	s_and_b64 vcc, exec, s[34:35]
	s_cbranch_vccz .LBB400_665
; %bb.661:
	s_cmp_eq_u32 s39, 44
	s_mov_b64 s[0:1], -1
	s_cbranch_scc0 .LBB400_665
; %bb.662:
	v_bfe_u32 v3, v2, 23, 8
	s_movk_i32 s0, 0xff
	v_cmp_ne_u32_e32 vcc, s0, v3
	v_mov_b32_e32 v4, 0xff
	s_and_saveexec_b64 s[30:31], vcc
; %bb.663:
	s_mov_b32 s0, 0x3fffff
	v_and_b32_e32 v6, 0x400000, v2
	v_and_or_b32 v3, v2, s0, v3
	v_cmp_ne_u32_e32 vcc, 0, v6
	v_cmp_ne_u32_e64 s[0:1], 0, v3
	s_and_b64 s[0:1], vcc, s[0:1]
	v_lshrrev_b32_e32 v4, 23, v2
	v_cndmask_b32_e64 v3, 0, 1, s[0:1]
	v_add_u32_e32 v4, v4, v3
; %bb.664:
	s_or_b64 exec, exec, s[30:31]
	s_mov_b64 s[30:31], -1
	s_mov_b64 s[0:1], 0
	global_store_byte v[0:1], v4, off
.LBB400_665:
	s_mov_b64 s[34:35], 0
.LBB400_666:
	s_and_b64 vcc, exec, s[34:35]
	s_cbranch_vccz .LBB400_669
; %bb.667:
	s_cmp_eq_u32 s39, 29
	s_mov_b64 s[0:1], -1
	s_cbranch_scc0 .LBB400_669
; %bb.668:
	v_trunc_f32_e32 v3, v2
	v_mul_f32_e32 v4, 0x2f800000, v3
	v_floor_f32_e32 v4, v4
	v_fmamk_f32 v3, v4, 0xcf800000, v3
	v_cvt_u32_f32_e32 v7, v4
	v_cvt_u32_f32_e32 v6, v3
	s_mov_b64 s[30:31], -1
	s_mov_b64 s[0:1], 0
	s_mov_b64 s[34:35], 0
	global_store_dwordx2 v[0:1], v[6:7], off
	s_branch .LBB400_670
.LBB400_669:
	s_mov_b64 s[34:35], 0
.LBB400_670:
	s_and_b64 vcc, exec, s[34:35]
	s_cbranch_vccz .LBB400_686
; %bb.671:
	s_cmp_lt_i32 s39, 27
	s_mov_b64 s[30:31], -1
	s_cbranch_scc1 .LBB400_677
; %bb.672:
	v_cvt_u32_f32_e32 v3, v2
	s_cmp_gt_i32 s39, 27
	s_cbranch_scc0 .LBB400_674
; %bb.673:
	s_mov_b64 s[30:31], 0
	global_store_dword v[0:1], v3, off
.LBB400_674:
	s_andn2_b64 vcc, exec, s[30:31]
	s_cbranch_vccnz .LBB400_676
; %bb.675:
	global_store_short v[0:1], v3, off
.LBB400_676:
	s_mov_b64 s[30:31], 0
.LBB400_677:
	s_andn2_b64 vcc, exec, s[30:31]
	s_cbranch_vccnz .LBB400_685
; %bb.678:
	v_and_b32_e32 v3, 0x7fffffff, v2
	s_mov_b32 s30, 0x43800000
	v_cmp_gt_u32_e32 vcc, s30, v3
	v_mov_b32_e32 v4, 0x80
	s_and_saveexec_b64 s[30:31], vcc
	s_cbranch_execz .LBB400_684
; %bb.679:
	s_mov_b32 s34, 0x3bffffff
	v_cmp_lt_u32_e32 vcc, s34, v3
	s_mov_b64 s[34:35], 0
                                        ; implicit-def: $vgpr3
	s_and_saveexec_b64 s[36:37], vcc
	s_xor_b64 s[36:37], exec, s[36:37]
	s_cbranch_execz .LBB400_785
; %bb.680:
	v_bfe_u32 v3, v2, 20, 1
	s_mov_b32 s41, 0x487ffff
	v_add3_u32 v3, v2, v3, s41
	s_mov_b64 s[34:35], exec
	v_lshrrev_b32_e32 v3, 20, v3
	s_andn2_saveexec_b64 s[36:37], s[36:37]
	s_cbranch_execnz .LBB400_786
.LBB400_681:
	s_or_b64 exec, exec, s[36:37]
	v_mov_b32_e32 v4, 0
	s_and_saveexec_b64 s[36:37], s[34:35]
.LBB400_682:
	v_lshrrev_b32_e32 v4, 24, v2
	s_movk_i32 s34, 0x80
	v_and_or_b32 v4, v4, s34, v3
.LBB400_683:
	s_or_b64 exec, exec, s[36:37]
.LBB400_684:
	s_or_b64 exec, exec, s[30:31]
	global_store_byte v[0:1], v4, off
.LBB400_685:
	s_mov_b64 s[30:31], -1
.LBB400_686:
	s_mov_b64 s[34:35], 0
.LBB400_687:
	s_and_b64 vcc, exec, s[34:35]
	s_cbranch_vccz .LBB400_728
; %bb.688:
	s_cmp_gt_i32 s39, 22
	s_mov_b64 s[34:35], -1
	s_cbranch_scc0 .LBB400_720
; %bb.689:
	s_cmp_lt_i32 s39, 24
	s_mov_b64 s[30:31], -1
	s_cbranch_scc1 .LBB400_709
; %bb.690:
	s_cmp_gt_i32 s39, 24
	s_cbranch_scc0 .LBB400_698
; %bb.691:
	v_and_b32_e32 v3, 0x7fffffff, v2
	s_mov_b32 s30, 0x47800000
	v_cmp_gt_u32_e32 vcc, s30, v3
	v_mov_b32_e32 v4, 0x80
	s_and_saveexec_b64 s[30:31], vcc
	s_cbranch_execz .LBB400_697
; %bb.692:
	s_mov_b32 s34, 0x37ffffff
	v_cmp_lt_u32_e32 vcc, s34, v3
	s_mov_b64 s[34:35], 0
                                        ; implicit-def: $vgpr3
	s_and_saveexec_b64 s[36:37], vcc
	s_xor_b64 s[36:37], exec, s[36:37]
	s_cbranch_execz .LBB400_788
; %bb.693:
	v_bfe_u32 v3, v2, 21, 1
	s_mov_b32 s41, 0x88fffff
	v_add3_u32 v3, v2, v3, s41
	s_mov_b64 s[34:35], exec
	v_lshrrev_b32_e32 v3, 21, v3
	s_andn2_saveexec_b64 s[36:37], s[36:37]
	s_cbranch_execnz .LBB400_789
.LBB400_694:
	s_or_b64 exec, exec, s[36:37]
	v_mov_b32_e32 v4, 0
	s_and_saveexec_b64 s[36:37], s[34:35]
.LBB400_695:
	v_lshrrev_b32_e32 v4, 24, v2
	s_movk_i32 s34, 0x80
	v_and_or_b32 v4, v4, s34, v3
.LBB400_696:
	s_or_b64 exec, exec, s[36:37]
.LBB400_697:
	s_or_b64 exec, exec, s[30:31]
	s_mov_b64 s[30:31], 0
	global_store_byte v[0:1], v4, off
.LBB400_698:
	s_and_b64 vcc, exec, s[30:31]
	s_cbranch_vccz .LBB400_708
; %bb.699:
	v_and_b32_e32 v4, 0x7fffffff, v2
	s_mov_b32 s30, 0x43f00000
	v_cmp_gt_u32_e32 vcc, s30, v4
                                        ; implicit-def: $vgpr3
	s_and_saveexec_b64 s[30:31], vcc
	s_xor_b64 s[30:31], exec, s[30:31]
	s_cbranch_execz .LBB400_705
; %bb.700:
	s_mov_b32 s34, 0x3c7fffff
	v_cmp_lt_u32_e32 vcc, s34, v4
                                        ; implicit-def: $vgpr3
	s_and_saveexec_b64 s[34:35], vcc
	s_xor_b64 s[34:35], exec, s[34:35]
; %bb.701:
	v_bfe_u32 v3, v2, 20, 1
	s_mov_b32 s36, 0x407ffff
	v_add3_u32 v3, v2, v3, s36
	v_lshrrev_b32_e32 v4, 20, v3
	v_and_b32_e32 v3, 0xff00000, v3
	s_mov_b32 s36, 0x7f00000
	v_mov_b32_e32 v6, 0x7e
	v_cmp_ne_u32_e32 vcc, s36, v3
	s_nop 1
	v_cndmask_b32_e32 v3, v6, v4, vcc
; %bb.702:
	s_andn2_saveexec_b64 s[34:35], s[34:35]
; %bb.703:
	s_mov_b32 s36, 0x46800000
	v_add_f32_e64 v3, |v2|, s36
; %bb.704:
	s_or_b64 exec, exec, s[34:35]
                                        ; implicit-def: $vgpr4
.LBB400_705:
	s_andn2_saveexec_b64 s[30:31], s[30:31]
; %bb.706:
	s_mov_b32 s34, 0x7f800000
	v_mov_b32_e32 v3, 0x7e
	v_mov_b32_e32 v6, 0x7f
	v_cmp_lt_u32_e32 vcc, s34, v4
	s_nop 1
	v_cndmask_b32_e32 v3, v3, v6, vcc
; %bb.707:
	s_or_b64 exec, exec, s[30:31]
	v_lshrrev_b32_e32 v4, 24, v2
	s_movk_i32 s30, 0x80
	v_and_or_b32 v3, v4, s30, v3
	global_store_byte v[0:1], v3, off
.LBB400_708:
	s_mov_b64 s[30:31], 0
.LBB400_709:
	s_andn2_b64 vcc, exec, s[30:31]
	s_cbranch_vccnz .LBB400_719
; %bb.710:
	v_and_b32_e32 v4, 0x7fffffff, v2
	s_mov_b32 s30, 0x47800000
	v_cmp_gt_u32_e32 vcc, s30, v4
                                        ; implicit-def: $vgpr3
	s_and_saveexec_b64 s[30:31], vcc
	s_xor_b64 s[30:31], exec, s[30:31]
	s_cbranch_execz .LBB400_716
; %bb.711:
	s_mov_b32 s34, 0x387fffff
	v_cmp_lt_u32_e32 vcc, s34, v4
                                        ; implicit-def: $vgpr3
	s_and_saveexec_b64 s[34:35], vcc
	s_xor_b64 s[34:35], exec, s[34:35]
; %bb.712:
	v_bfe_u32 v3, v2, 21, 1
	s_mov_b32 s36, 0x80fffff
	v_add3_u32 v3, v2, v3, s36
	v_lshrrev_b32_e32 v3, 21, v3
; %bb.713:
	s_andn2_saveexec_b64 s[34:35], s[34:35]
; %bb.714:
	s_mov_b32 s36, 0x43000000
	v_add_f32_e64 v3, |v2|, s36
; %bb.715:
	s_or_b64 exec, exec, s[34:35]
                                        ; implicit-def: $vgpr4
.LBB400_716:
	s_andn2_saveexec_b64 s[30:31], s[30:31]
; %bb.717:
	s_mov_b32 s34, 0x7f800000
	v_mov_b32_e32 v3, 0x7c
	v_mov_b32_e32 v6, 0x7f
	v_cmp_lt_u32_e32 vcc, s34, v4
	s_nop 1
	v_cndmask_b32_e32 v3, v3, v6, vcc
; %bb.718:
	s_or_b64 exec, exec, s[30:31]
	v_lshrrev_b32_e32 v4, 24, v2
	s_movk_i32 s30, 0x80
	v_and_or_b32 v3, v4, s30, v3
	global_store_byte v[0:1], v3, off
.LBB400_719:
	s_mov_b64 s[34:35], 0
	s_mov_b64 s[30:31], -1
.LBB400_720:
	s_andn2_b64 vcc, exec, s[34:35]
	s_cbranch_vccnz .LBB400_728
; %bb.721:
	s_cmp_gt_i32 s39, 14
	s_mov_b64 s[34:35], -1
	s_cbranch_scc0 .LBB400_725
; %bb.722:
	s_cmp_eq_u32 s39, 15
	s_mov_b64 s[0:1], -1
	s_cbranch_scc0 .LBB400_724
; %bb.723:
	v_bfe_u32 v3, v2, 16, 1
	s_movk_i32 s0, 0x7fff
	v_add3_u32 v3, v2, v3, s0
	v_cmp_o_f32_e32 vcc, v2, v2
	v_mov_b32_e32 v4, 0x7fc0
	s_mov_b64 s[30:31], -1
	v_cndmask_b32_sdwa v3, v4, v3, vcc dst_sel:DWORD dst_unused:UNUSED_PAD src0_sel:DWORD src1_sel:WORD_1
	global_store_short v[0:1], v3, off
	s_mov_b64 s[0:1], 0
.LBB400_724:
	s_mov_b64 s[34:35], 0
.LBB400_725:
	s_and_b64 vcc, exec, s[34:35]
	s_cbranch_vccz .LBB400_728
; %bb.726:
	s_cmp_eq_u32 s39, 11
	s_mov_b64 s[0:1], -1
	s_cbranch_scc0 .LBB400_728
; %bb.727:
	v_cmp_neq_f32_e32 vcc, 0, v2
	s_mov_b64 s[30:31], -1
	s_mov_b64 s[0:1], 0
	v_cndmask_b32_e64 v3, 0, 1, vcc
	global_store_byte v[0:1], v3, off
.LBB400_728:
	s_mov_b64 s[34:35], 0
.LBB400_729:
	s_and_b64 vcc, exec, s[34:35]
	s_cbranch_vccz .LBB400_768
; %bb.730:
	s_and_b32 s34, 0xffff, s38
	s_cmp_lt_i32 s34, 5
	s_mov_b64 s[30:31], -1
	s_cbranch_scc1 .LBB400_751
; %bb.731:
	s_cmp_lt_i32 s34, 8
	s_cbranch_scc1 .LBB400_741
; %bb.732:
	s_cmp_lt_i32 s34, 9
	s_cbranch_scc1 .LBB400_738
; %bb.733:
	s_cmp_gt_i32 s34, 9
	s_cbranch_scc0 .LBB400_735
; %bb.734:
	v_mov_b32_e32 v8, 0
	v_cvt_f64_f32_e32 v[6:7], v2
	v_mov_b32_e32 v9, v8
	s_mov_b64 s[30:31], 0
	global_store_dwordx4 v[0:1], v[6:9], off
.LBB400_735:
	s_andn2_b64 vcc, exec, s[30:31]
	s_cbranch_vccnz .LBB400_737
; %bb.736:
	v_mov_b32_e32 v3, 0
	global_store_dwordx2 v[0:1], v[2:3], off
.LBB400_737:
	s_mov_b64 s[30:31], 0
.LBB400_738:
	s_andn2_b64 vcc, exec, s[30:31]
	s_cbranch_vccnz .LBB400_740
; %bb.739:
	v_cvt_f16_f32_e32 v3, v2
	global_store_dword v[0:1], v3, off
.LBB400_740:
	s_mov_b64 s[30:31], 0
.LBB400_741:
	s_andn2_b64 vcc, exec, s[30:31]
	s_cbranch_vccnz .LBB400_750
; %bb.742:
	s_cmp_lt_i32 s34, 6
	s_mov_b64 s[30:31], -1
	s_cbranch_scc1 .LBB400_748
; %bb.743:
	s_cmp_gt_i32 s34, 6
	s_cbranch_scc0 .LBB400_745
; %bb.744:
	v_cvt_f64_f32_e32 v[6:7], v2
	s_mov_b64 s[30:31], 0
	global_store_dwordx2 v[0:1], v[6:7], off
.LBB400_745:
	s_andn2_b64 vcc, exec, s[30:31]
	s_cbranch_vccnz .LBB400_747
; %bb.746:
	global_store_dword v[0:1], v2, off
.LBB400_747:
	s_mov_b64 s[30:31], 0
.LBB400_748:
	s_andn2_b64 vcc, exec, s[30:31]
	s_cbranch_vccnz .LBB400_750
; %bb.749:
	v_cvt_f16_f32_e32 v3, v2
	global_store_short v[0:1], v3, off
.LBB400_750:
	s_mov_b64 s[30:31], 0
.LBB400_751:
	s_andn2_b64 vcc, exec, s[30:31]
	s_cbranch_vccnz .LBB400_767
; %bb.752:
	s_cmp_lt_i32 s34, 2
	s_mov_b64 s[30:31], -1
	s_cbranch_scc1 .LBB400_762
; %bb.753:
	s_cmp_lt_i32 s34, 3
	s_cbranch_scc1 .LBB400_759
; %bb.754:
	s_cmp_gt_i32 s34, 3
	s_cbranch_scc0 .LBB400_756
; %bb.755:
	v_trunc_f32_e32 v3, v2
	s_mov_b32 s30, 0x2f800000
	v_mul_f32_e64 v4, |v3|, s30
	v_floor_f32_e32 v4, v4
	s_mov_b32 s30, 0xcf800000
	v_cvt_u32_f32_e32 v6, v4
	v_fma_f32 v4, v4, s30, |v3|
	v_cvt_u32_f32_e32 v4, v4
	v_ashrrev_i32_e32 v3, 31, v3
	v_xor_b32_e32 v7, v6, v3
	s_mov_b64 s[30:31], 0
	v_xor_b32_e32 v4, v4, v3
	v_sub_co_u32_e32 v6, vcc, v4, v3
	s_nop 1
	v_subb_co_u32_e32 v7, vcc, v7, v3, vcc
	global_store_dwordx2 v[0:1], v[6:7], off
.LBB400_756:
	s_andn2_b64 vcc, exec, s[30:31]
	s_cbranch_vccnz .LBB400_758
; %bb.757:
	v_cvt_i32_f32_e32 v3, v2
	global_store_dword v[0:1], v3, off
.LBB400_758:
	s_mov_b64 s[30:31], 0
.LBB400_759:
	s_andn2_b64 vcc, exec, s[30:31]
	s_cbranch_vccnz .LBB400_761
; %bb.760:
	v_cvt_i32_f32_e32 v3, v2
	global_store_short v[0:1], v3, off
.LBB400_761:
	s_mov_b64 s[30:31], 0
.LBB400_762:
	s_andn2_b64 vcc, exec, s[30:31]
	s_cbranch_vccnz .LBB400_767
; %bb.763:
	s_cmp_gt_i32 s34, 0
	s_mov_b64 s[30:31], -1
	s_cbranch_scc0 .LBB400_765
; %bb.764:
	v_cvt_i32_f32_e32 v3, v2
	s_mov_b64 s[30:31], 0
	global_store_byte v[0:1], v3, off
.LBB400_765:
	s_andn2_b64 vcc, exec, s[30:31]
	s_cbranch_vccnz .LBB400_767
; %bb.766:
	v_trunc_f32_e32 v2, v2
	s_mov_b32 s30, 0x2f800000
	v_mul_f32_e64 v3, |v2|, s30
	v_floor_f32_e32 v3, v3
	s_mov_b32 s30, 0xcf800000
	v_fma_f32 v3, v3, s30, |v2|
	v_cvt_u32_f32_e32 v3, v3
	v_ashrrev_i32_e32 v2, 31, v2
	v_xor_b32_e32 v3, v3, v2
	v_sub_u32_e32 v2, v3, v2
	global_store_byte v[0:1], v2, off
.LBB400_767:
	s_mov_b64 s[30:31], -1
.LBB400_768:
	s_andn2_b64 vcc, exec, s[30:31]
	s_cbranch_vccnz .LBB400_770
; %bb.769:
	v_add_u32_e32 v5, 0x80, v5
	s_mov_b64 s[34:35], -1
	s_branch .LBB400_771
.LBB400_770:
	s_mov_b64 s[34:35], 0
                                        ; implicit-def: $vgpr5
.LBB400_771:
	s_andn2_b64 s[30:31], s[22:23], exec
	s_and_b64 s[0:1], s[0:1], exec
	s_or_b64 s[30:31], s[30:31], s[0:1]
	s_andn2_b64 s[0:1], s[20:21], exec
	s_and_b64 s[28:29], s[28:29], exec
	s_or_b64 s[0:1], s[0:1], s[28:29]
	s_orn2_b64 s[36:37], s[34:35], exec
.LBB400_772:
	s_or_b64 exec, exec, s[26:27]
	s_mov_b64 s[34:35], 0
	s_mov_b64 s[28:29], 0
	;; [unrolled: 1-line block ×3, first 2 shown]
                                        ; implicit-def: $vgpr0_vgpr1
                                        ; implicit-def: $vgpr3
	s_and_saveexec_b64 s[26:27], s[36:37]
	s_cbranch_execz .LBB400_857
; %bb.773:
	v_cmp_gt_i32_e32 vcc, s40, v5
	s_mov_b64 s[36:37], 0
	s_mov_b64 s[40:41], s[0:1]
	;; [unrolled: 1-line block ×3, first 2 shown]
                                        ; implicit-def: $vgpr0_vgpr1
                                        ; implicit-def: $vgpr3
	s_and_saveexec_b64 s[28:29], vcc
	s_cbranch_execz .LBB400_856
; %bb.774:
	v_mul_lo_u32 v0, v5, s9
	v_ashrrev_i32_e32 v1, 31, v0
	s_and_b32 s44, 0xffff, s11
	s_cmp_lt_i32 s44, 11
	v_lshl_add_u64 v[0:1], s[6:7], 0, v[0:1]
	s_cbranch_scc1 .LBB400_781
; %bb.775:
	s_cmp_gt_i32 s44, 25
	s_cbranch_scc0 .LBB400_782
; %bb.776:
	s_cmp_gt_i32 s44, 28
	s_cbranch_scc0 .LBB400_783
	;; [unrolled: 3-line block ×4, first 2 shown]
; %bb.779:
	s_cmp_eq_u32 s44, 46
	s_mov_b64 s[40:41], 0
	s_cbranch_scc0 .LBB400_790
; %bb.780:
	global_load_dword v2, v[0:1], off
	s_mov_b64 s[38:39], -1
	s_waitcnt vmcnt(0)
	v_lshlrev_b32_e32 v3, 16, v2
	s_branch .LBB400_792
.LBB400_781:
	s_mov_b64 s[40:41], -1
                                        ; implicit-def: $vgpr3
	s_mov_b64 s[34:35], s[0:1]
	s_branch .LBB400_855
.LBB400_782:
	s_mov_b64 s[40:41], -1
	s_mov_b64 s[34:35], s[0:1]
                                        ; implicit-def: $vgpr3
	s_branch .LBB400_821
.LBB400_783:
	s_mov_b64 s[40:41], -1
	s_mov_b64 s[34:35], s[0:1]
                                        ; implicit-def: $vgpr3
	s_branch .LBB400_802
.LBB400_784:
	s_mov_b64 s[40:41], -1
	s_mov_b64 s[34:35], s[0:1]
                                        ; implicit-def: $vgpr3
	s_branch .LBB400_797
.LBB400_785:
	s_andn2_saveexec_b64 s[36:37], s[36:37]
	s_cbranch_execz .LBB400_681
.LBB400_786:
	s_mov_b32 s41, 0x46000000
	v_add_f32_e64 v3, |v2|, s41
	v_and_b32_e32 v3, 0xff, v3
	v_cmp_ne_u32_e32 vcc, 0, v3
	s_andn2_b64 s[34:35], s[34:35], exec
	s_and_b64 s[42:43], vcc, exec
	s_or_b64 s[34:35], s[34:35], s[42:43]
	s_or_b64 exec, exec, s[36:37]
	v_mov_b32_e32 v4, 0
	s_and_saveexec_b64 s[36:37], s[34:35]
	s_cbranch_execnz .LBB400_682
	s_branch .LBB400_683
.LBB400_787:
	s_mov_b64 s[40:41], -1
	s_mov_b64 s[34:35], s[0:1]
	s_branch .LBB400_791
.LBB400_788:
	s_andn2_saveexec_b64 s[36:37], s[36:37]
	s_cbranch_execz .LBB400_694
.LBB400_789:
	s_mov_b32 s41, 0x42800000
	v_add_f32_e64 v3, |v2|, s41
	v_and_b32_e32 v3, 0xff, v3
	v_cmp_ne_u32_e32 vcc, 0, v3
	s_andn2_b64 s[34:35], s[34:35], exec
	s_and_b64 s[42:43], vcc, exec
	s_or_b64 s[34:35], s[34:35], s[42:43]
	s_or_b64 exec, exec, s[36:37]
	v_mov_b32_e32 v4, 0
	s_and_saveexec_b64 s[36:37], s[34:35]
	s_cbranch_execnz .LBB400_695
	s_branch .LBB400_696
.LBB400_790:
	s_mov_b64 s[34:35], -1
.LBB400_791:
                                        ; implicit-def: $vgpr3
.LBB400_792:
	s_and_b64 vcc, exec, s[40:41]
	s_cbranch_vccz .LBB400_796
; %bb.793:
	s_cmp_eq_u32 s44, 44
	s_cbranch_scc0 .LBB400_795
; %bb.794:
	global_load_ubyte v2, v[0:1], off
	s_movk_i32 s38, 0xff
	v_mov_b32_e32 v3, 0x7f800001
	v_mov_b32_e32 v4, 0x400000
	s_mov_b64 s[34:35], 0
	s_waitcnt vmcnt(0)
	v_lshlrev_b32_e32 v6, 23, v2
	v_cmp_ne_u32_e32 vcc, s38, v2
	s_mov_b64 s[38:39], -1
	s_nop 0
	v_cndmask_b32_e32 v3, v3, v6, vcc
	v_cmp_ne_u32_e32 vcc, 0, v2
	s_nop 1
	v_cndmask_b32_e32 v3, v4, v3, vcc
	s_branch .LBB400_796
.LBB400_795:
	s_mov_b64 s[34:35], -1
                                        ; implicit-def: $vgpr3
.LBB400_796:
	s_mov_b64 s[40:41], 0
.LBB400_797:
	s_and_b64 vcc, exec, s[40:41]
	s_cbranch_vccz .LBB400_801
; %bb.798:
	s_cmp_eq_u32 s44, 29
	s_cbranch_scc0 .LBB400_800
; %bb.799:
	global_load_dwordx2 v[2:3], v[0:1], off
	s_mov_b64 s[34:35], 0
	s_mov_b64 s[38:39], -1
	s_mov_b64 s[40:41], 0
	s_waitcnt vmcnt(0)
	v_ffbh_u32_e32 v4, v3
	v_min_u32_e32 v4, 32, v4
	v_lshlrev_b64 v[2:3], v4, v[2:3]
	v_min_u32_e32 v2, 1, v2
	v_or_b32_e32 v2, v3, v2
	v_cvt_f32_u32_e32 v2, v2
	v_sub_u32_e32 v3, 32, v4
	v_ldexp_f32 v3, v2, v3
	s_branch .LBB400_802
.LBB400_800:
	s_mov_b64 s[34:35], -1
                                        ; implicit-def: $vgpr3
.LBB400_801:
	s_mov_b64 s[40:41], 0
.LBB400_802:
	s_and_b64 vcc, exec, s[40:41]
	s_cbranch_vccz .LBB400_820
; %bb.803:
	s_cmp_lt_i32 s44, 27
	s_cbranch_scc1 .LBB400_806
; %bb.804:
	s_cmp_gt_i32 s44, 27
	s_cbranch_scc0 .LBB400_807
; %bb.805:
	global_load_dword v2, v[0:1], off
	s_mov_b64 s[38:39], 0
	s_waitcnt vmcnt(0)
	v_cvt_f32_u32_e32 v3, v2
	s_branch .LBB400_808
.LBB400_806:
	s_mov_b64 s[38:39], -1
                                        ; implicit-def: $vgpr3
	s_branch .LBB400_811
.LBB400_807:
	s_mov_b64 s[38:39], -1
                                        ; implicit-def: $vgpr3
.LBB400_808:
	s_andn2_b64 vcc, exec, s[38:39]
	s_cbranch_vccnz .LBB400_810
; %bb.809:
	global_load_ushort v2, v[0:1], off
	s_waitcnt vmcnt(0)
	v_cvt_f32_u32_e32 v3, v2
.LBB400_810:
	s_mov_b64 s[38:39], 0
.LBB400_811:
	s_andn2_b64 vcc, exec, s[38:39]
	s_cbranch_vccnz .LBB400_819
; %bb.812:
	global_load_ubyte v2, v[0:1], off
	s_movk_i32 s38, 0x7f
	s_waitcnt vmcnt(0)
	v_cmp_lt_i16_e32 vcc, s38, v2
	s_mov_b64 s[38:39], 0
	s_and_saveexec_b64 s[40:41], vcc
	s_xor_b64 s[40:41], exec, s[40:41]
	s_cbranch_execz .LBB400_833
; %bb.813:
	s_movk_i32 s38, 0x80
	v_cmp_eq_u16_e32 vcc, s38, v2
	s_mov_b64 s[38:39], -1
	s_and_saveexec_b64 s[42:43], vcc
; %bb.814:
	s_xor_b64 s[38:39], exec, -1
; %bb.815:
	s_or_b64 exec, exec, s[42:43]
	s_and_b64 s[38:39], s[38:39], exec
	s_or_saveexec_b64 s[40:41], s[40:41]
	v_mov_b32_e32 v3, 0x7f800001
	s_xor_b64 exec, exec, s[40:41]
	s_cbranch_execnz .LBB400_834
.LBB400_816:
	s_or_b64 exec, exec, s[40:41]
	s_and_saveexec_b64 s[40:41], s[38:39]
	s_cbranch_execz .LBB400_818
.LBB400_817:
	v_lshlrev_b32_e32 v3, 24, v2
	v_and_b32_e32 v2, 0xffff, v2
	v_and_b32_e32 v4, 7, v2
	v_ffbh_u32_e32 v7, v4
	v_min_u32_e32 v7, 32, v7
	v_subrev_u32_e32 v8, 28, v7
	v_bfe_u32 v6, v2, 3, 4
	v_lshlrev_b32_e32 v2, v8, v2
	v_sub_u32_e32 v7, 29, v7
	v_and_b32_e32 v2, 7, v2
	v_cmp_eq_u32_e32 vcc, 0, v6
	v_and_b32_e32 v3, 0x80000000, v3
	s_nop 0
	v_cndmask_b32_e32 v6, v6, v7, vcc
	v_cndmask_b32_e32 v2, v4, v2, vcc
	v_mov_b32_e32 v4, 0x3b800000
	v_lshlrev_b32_e32 v2, 20, v2
	v_lshl_add_u32 v4, v6, 23, v4
	v_or3_b32 v3, v3, v4, v2
.LBB400_818:
	s_or_b64 exec, exec, s[40:41]
.LBB400_819:
	s_mov_b64 s[38:39], -1
.LBB400_820:
	s_mov_b64 s[40:41], 0
.LBB400_821:
	s_and_b64 vcc, exec, s[40:41]
	s_cbranch_vccz .LBB400_854
; %bb.822:
	s_cmp_gt_i32 s44, 22
	s_cbranch_scc0 .LBB400_832
; %bb.823:
	s_cmp_lt_i32 s44, 24
	s_cbranch_scc1 .LBB400_835
; %bb.824:
	s_cmp_gt_i32 s44, 24
	s_cbranch_scc0 .LBB400_836
; %bb.825:
	global_load_ubyte v2, v[0:1], off
	s_movk_i32 s36, 0x7f
	s_waitcnt vmcnt(0)
	v_cmp_lt_i16_e32 vcc, s36, v2
	s_mov_b64 s[36:37], 0
	s_and_saveexec_b64 s[38:39], vcc
	s_xor_b64 s[38:39], exec, s[38:39]
	s_cbranch_execz .LBB400_848
; %bb.826:
	s_movk_i32 s36, 0x80
	v_cmp_eq_u16_e32 vcc, s36, v2
	s_mov_b64 s[36:37], -1
	s_and_saveexec_b64 s[40:41], vcc
; %bb.827:
	s_xor_b64 s[36:37], exec, -1
; %bb.828:
	s_or_b64 exec, exec, s[40:41]
	s_and_b64 s[36:37], s[36:37], exec
	s_or_saveexec_b64 s[38:39], s[38:39]
	v_mov_b32_e32 v3, 0x7f800001
	s_xor_b64 exec, exec, s[38:39]
	s_cbranch_execnz .LBB400_849
.LBB400_829:
	s_or_b64 exec, exec, s[38:39]
	s_and_saveexec_b64 s[38:39], s[36:37]
	s_cbranch_execz .LBB400_831
.LBB400_830:
	v_lshlrev_b32_e32 v3, 24, v2
	v_and_b32_e32 v2, 0xffff, v2
	v_and_b32_e32 v4, 3, v2
	v_ffbh_u32_e32 v7, v4
	v_min_u32_e32 v7, 32, v7
	v_subrev_u32_e32 v8, 29, v7
	v_bfe_u32 v6, v2, 2, 5
	v_lshlrev_b32_e32 v2, v8, v2
	v_sub_u32_e32 v7, 30, v7
	v_and_b32_e32 v2, 3, v2
	v_cmp_eq_u32_e32 vcc, 0, v6
	v_and_b32_e32 v3, 0x80000000, v3
	s_nop 0
	v_cndmask_b32_e32 v6, v6, v7, vcc
	v_cndmask_b32_e32 v2, v4, v2, vcc
	v_mov_b32_e32 v4, 0x37800000
	v_lshlrev_b32_e32 v2, 21, v2
	v_lshl_add_u32 v4, v6, 23, v4
	v_or3_b32 v3, v3, v4, v2
.LBB400_831:
	s_or_b64 exec, exec, s[38:39]
	s_mov_b64 s[36:37], 0
	s_branch .LBB400_837
.LBB400_832:
	s_mov_b64 s[36:37], -1
                                        ; implicit-def: $vgpr3
	s_branch .LBB400_843
.LBB400_833:
	s_or_saveexec_b64 s[40:41], s[40:41]
	v_mov_b32_e32 v3, 0x7f800001
	s_xor_b64 exec, exec, s[40:41]
	s_cbranch_execz .LBB400_816
.LBB400_834:
	v_cmp_ne_u16_e32 vcc, 0, v2
	s_andn2_b64 s[38:39], s[38:39], exec
	s_and_b64 s[42:43], vcc, exec
	v_mov_b32_e32 v3, 0
	s_or_b64 s[38:39], s[38:39], s[42:43]
	s_or_b64 exec, exec, s[40:41]
	s_and_saveexec_b64 s[40:41], s[38:39]
	s_cbranch_execnz .LBB400_817
	s_branch .LBB400_818
.LBB400_835:
	s_mov_b64 s[36:37], -1
                                        ; implicit-def: $vgpr3
	s_branch .LBB400_840
.LBB400_836:
	s_mov_b64 s[36:37], -1
                                        ; implicit-def: $vgpr3
.LBB400_837:
	s_and_b64 vcc, exec, s[36:37]
	s_cbranch_vccz .LBB400_839
; %bb.838:
	global_load_ubyte v2, v[0:1], off
	s_mov_b32 s36, 0x7f800000
	s_waitcnt vmcnt(0)
	v_lshlrev_b32_e32 v2, 24, v2
	v_and_b32_e32 v3, 0x7f000000, v2
	v_ffbh_u32_e32 v4, v3
	v_min_u32_e32 v4, 32, v4
	v_sub_u32_e64 v4, v4, 4 clamp
	v_lshlrev_b32_e32 v7, v4, v3
	v_lshlrev_b32_e32 v4, 23, v4
	v_lshrrev_b32_e32 v7, 4, v7
	v_add_u32_e32 v6, 0x1000000, v3
	v_sub_u32_e32 v4, v7, v4
	v_ashrrev_i32_e32 v6, 8, v6
	v_add_u32_e32 v4, 0x3c000000, v4
	v_and_or_b32 v4, v6, s36, v4
	v_cmp_ne_u32_e32 vcc, 0, v3
	s_brev_b32 s36, 1
	s_nop 0
	v_cndmask_b32_e32 v3, 0, v4, vcc
	v_and_or_b32 v3, v2, s36, v3
.LBB400_839:
	s_mov_b64 s[36:37], 0
.LBB400_840:
	s_andn2_b64 vcc, exec, s[36:37]
	s_cbranch_vccnz .LBB400_842
; %bb.841:
	global_load_ubyte v2, v[0:1], off
	s_movk_i32 s36, 0x7f00
	s_brev_b32 s37, 16
	s_waitcnt vmcnt(0)
	v_lshlrev_b16_e32 v3, 8, v2
	v_lshlrev_b32_e32 v2, 25, v2
	v_lshrrev_b32_e32 v4, 4, v2
	v_and_or_b32 v6, v3, s36, 0.5
	v_or_b32_e32 v4, 0x70000000, v4
	v_add_f32_e32 v6, -0.5, v6
	v_mul_f32_e32 v4, 0x7800000, v4
	v_cmp_gt_u32_e32 vcc, s37, v2
	v_bfe_i32 v3, v3, 0, 16
	s_brev_b32 s36, 1
	v_cndmask_b32_e32 v2, v4, v6, vcc
	v_and_or_b32 v3, v3, s36, v2
.LBB400_842:
	s_mov_b64 s[36:37], 0
	s_mov_b64 s[38:39], -1
.LBB400_843:
	s_andn2_b64 vcc, exec, s[36:37]
	s_mov_b64 s[36:37], 0
	s_cbranch_vccnz .LBB400_854
; %bb.844:
	s_cmp_gt_i32 s44, 14
	s_cbranch_scc0 .LBB400_847
; %bb.845:
	s_cmp_eq_u32 s44, 15
	s_cbranch_scc0 .LBB400_850
; %bb.846:
	global_load_ushort v2, v[0:1], off
	s_mov_b64 s[34:35], 0
	s_mov_b64 s[38:39], -1
	s_waitcnt vmcnt(0)
	v_lshlrev_b32_e32 v3, 16, v2
	s_branch .LBB400_851
.LBB400_847:
	s_mov_b64 s[40:41], -1
                                        ; implicit-def: $vgpr3
	s_branch .LBB400_852
.LBB400_848:
	s_or_saveexec_b64 s[38:39], s[38:39]
	v_mov_b32_e32 v3, 0x7f800001
	s_xor_b64 exec, exec, s[38:39]
	s_cbranch_execz .LBB400_829
.LBB400_849:
	v_cmp_ne_u16_e32 vcc, 0, v2
	s_andn2_b64 s[36:37], s[36:37], exec
	s_and_b64 s[40:41], vcc, exec
	v_mov_b32_e32 v3, 0
	s_or_b64 s[36:37], s[36:37], s[40:41]
	s_or_b64 exec, exec, s[38:39]
	s_and_saveexec_b64 s[38:39], s[36:37]
	s_cbranch_execnz .LBB400_830
	s_branch .LBB400_831
.LBB400_850:
	s_mov_b64 s[34:35], -1
                                        ; implicit-def: $vgpr3
.LBB400_851:
	s_mov_b64 s[40:41], 0
.LBB400_852:
	s_and_b64 vcc, exec, s[40:41]
	s_cbranch_vccz .LBB400_854
; %bb.853:
	s_cmp_lg_u32 s44, 11
	s_cselect_b64 s[40:41], -1, 0
	s_andn2_b64 s[34:35], s[34:35], exec
	s_and_b64 s[40:41], s[40:41], exec
	s_mov_b64 s[36:37], -1
	s_or_b64 s[34:35], s[34:35], s[40:41]
.LBB400_854:
	s_mov_b64 s[40:41], 0
.LBB400_855:
	s_and_b64 s[42:43], s[40:41], exec
	s_andn2_b64 s[40:41], s[0:1], exec
	s_and_b64 s[34:35], s[34:35], exec
	s_and_b64 s[38:39], s[38:39], exec
	;; [unrolled: 1-line block ×3, first 2 shown]
	s_or_b64 s[40:41], s[40:41], s[34:35]
.LBB400_856:
	s_or_b64 exec, exec, s[28:29]
	s_and_b64 s[34:35], s[36:37], exec
	s_andn2_b64 s[0:1], s[0:1], exec
	s_and_b64 s[36:37], s[40:41], exec
	s_and_b64 s[38:39], s[38:39], exec
	;; [unrolled: 1-line block ×3, first 2 shown]
	s_or_b64 s[0:1], s[0:1], s[36:37]
.LBB400_857:
	s_or_b64 exec, exec, s[26:27]
	s_andn2_b64 s[22:23], s[22:23], exec
	s_and_b64 s[26:27], s[30:31], exec
	s_andn2_b64 s[20:21], s[20:21], exec
	s_and_b64 s[0:1], s[0:1], exec
	s_or_b64 s[22:23], s[22:23], s[26:27]
	s_and_b64 s[30:31], s[38:39], exec
	s_and_b64 s[28:29], s[28:29], exec
	;; [unrolled: 1-line block ×3, first 2 shown]
	s_or_b64 s[20:21], s[20:21], s[0:1]
.LBB400_858:
	s_or_b64 exec, exec, s[24:25]
	s_andn2_b64 s[0:1], s[14:15], exec
	s_and_b64 s[14:15], s[22:23], exec
	s_andn2_b64 s[16:17], s[16:17], exec
	s_and_b64 s[20:21], s[20:21], exec
	s_or_b64 s[14:15], s[0:1], s[14:15]
	s_and_b64 s[0:1], s[30:31], exec
	s_and_b64 s[24:25], s[28:29], exec
	;; [unrolled: 1-line block ×3, first 2 shown]
	s_or_b64 s[16:17], s[16:17], s[20:21]
	s_or_b64 exec, exec, s[18:19]
	s_mov_b64 s[18:19], 0
	s_and_saveexec_b64 s[20:21], s[16:17]
	s_cbranch_execz .LBB400_262
.LBB400_859:
	s_mov_b64 s[18:19], exec
	s_andn2_b64 s[22:23], s[22:23], exec
	s_trap 2
	s_or_b64 exec, exec, s[20:21]
	s_and_saveexec_b64 s[16:17], s[22:23]
	s_xor_b64 s[16:17], exec, s[16:17]
	s_cbranch_execnz .LBB400_263
.LBB400_860:
	s_or_b64 exec, exec, s[16:17]
	s_and_saveexec_b64 s[16:17], s[24:25]
	s_cbranch_execz .LBB400_906
.LBB400_861:
	s_sext_i32_i16 s20, s11
	s_cmp_lt_i32 s20, 5
	s_cbranch_scc1 .LBB400_866
; %bb.862:
	s_cmp_lt_i32 s20, 8
	s_cbranch_scc1 .LBB400_867
; %bb.863:
	;; [unrolled: 3-line block ×3, first 2 shown]
	s_cmp_gt_i32 s20, 9
	s_cbranch_scc0 .LBB400_869
; %bb.865:
	global_load_dwordx2 v[2:3], v[0:1], off
	s_mov_b64 s[20:21], 0
	s_waitcnt vmcnt(0)
	v_cvt_f32_f64_e32 v3, v[2:3]
	s_branch .LBB400_870
.LBB400_866:
                                        ; implicit-def: $vgpr3
	s_branch .LBB400_887
.LBB400_867:
                                        ; implicit-def: $vgpr3
	s_branch .LBB400_876
.LBB400_868:
	s_mov_b64 s[20:21], -1
                                        ; implicit-def: $vgpr3
	s_branch .LBB400_873
.LBB400_869:
	s_mov_b64 s[20:21], -1
                                        ; implicit-def: $vgpr3
.LBB400_870:
	s_andn2_b64 vcc, exec, s[20:21]
	s_cbranch_vccnz .LBB400_872
; %bb.871:
	global_load_dword v3, v[0:1], off
.LBB400_872:
	s_mov_b64 s[20:21], 0
.LBB400_873:
	s_andn2_b64 vcc, exec, s[20:21]
	s_cbranch_vccnz .LBB400_875
; %bb.874:
	global_load_dword v2, v[0:1], off
	s_waitcnt vmcnt(0)
	v_cvt_f32_f16_e32 v3, v2
.LBB400_875:
	s_cbranch_execnz .LBB400_886
.LBB400_876:
	s_sext_i32_i16 s20, s11
	s_cmp_lt_i32 s20, 6
	s_cbranch_scc1 .LBB400_879
; %bb.877:
	s_cmp_gt_i32 s20, 6
	s_cbranch_scc0 .LBB400_880
; %bb.878:
	global_load_dwordx2 v[2:3], v[0:1], off
	s_mov_b64 s[20:21], 0
	s_waitcnt vmcnt(0)
	v_cvt_f32_f64_e32 v3, v[2:3]
	s_branch .LBB400_881
.LBB400_879:
	s_mov_b64 s[20:21], -1
                                        ; implicit-def: $vgpr3
	s_branch .LBB400_884
.LBB400_880:
	s_mov_b64 s[20:21], -1
                                        ; implicit-def: $vgpr3
.LBB400_881:
	s_andn2_b64 vcc, exec, s[20:21]
	s_cbranch_vccnz .LBB400_883
; %bb.882:
	global_load_dword v3, v[0:1], off
.LBB400_883:
	s_mov_b64 s[20:21], 0
.LBB400_884:
	s_andn2_b64 vcc, exec, s[20:21]
	s_cbranch_vccnz .LBB400_886
; %bb.885:
	global_load_ushort v2, v[0:1], off
	s_waitcnt vmcnt(0)
	v_cvt_f32_f16_e32 v3, v2
.LBB400_886:
	s_cbranch_execnz .LBB400_905
.LBB400_887:
	s_sext_i32_i16 s20, s11
	s_cmp_lt_i32 s20, 2
	s_cbranch_scc1 .LBB400_891
; %bb.888:
	s_cmp_lt_i32 s20, 3
	s_cbranch_scc1 .LBB400_892
; %bb.889:
	s_cmp_gt_i32 s20, 3
	s_cbranch_scc0 .LBB400_893
; %bb.890:
	global_load_dwordx2 v[2:3], v[0:1], off
	s_mov_b64 s[20:21], 0
	s_waitcnt vmcnt(0)
	v_xor_b32_e32 v6, v2, v3
	v_ffbh_i32_e32 v4, v3
	v_ashrrev_i32_e32 v6, 31, v6
	v_add_u32_e32 v4, -1, v4
	v_add_u32_e32 v6, 32, v6
	v_min_u32_e32 v4, v4, v6
	v_lshlrev_b64 v[2:3], v4, v[2:3]
	v_min_u32_e32 v2, 1, v2
	v_or_b32_e32 v2, v3, v2
	v_cvt_f32_i32_e32 v2, v2
	v_sub_u32_e32 v3, 32, v4
	v_ldexp_f32 v3, v2, v3
	s_branch .LBB400_894
.LBB400_891:
                                        ; implicit-def: $vgpr3
	s_branch .LBB400_900
.LBB400_892:
	s_mov_b64 s[20:21], -1
                                        ; implicit-def: $vgpr3
	s_branch .LBB400_897
.LBB400_893:
	s_mov_b64 s[20:21], -1
                                        ; implicit-def: $vgpr3
.LBB400_894:
	s_andn2_b64 vcc, exec, s[20:21]
	s_cbranch_vccnz .LBB400_896
; %bb.895:
	global_load_dword v2, v[0:1], off
	s_waitcnt vmcnt(0)
	v_cvt_f32_i32_e32 v3, v2
.LBB400_896:
	s_mov_b64 s[20:21], 0
.LBB400_897:
	s_andn2_b64 vcc, exec, s[20:21]
	s_cbranch_vccnz .LBB400_899
; %bb.898:
	global_load_sshort v2, v[0:1], off
	s_waitcnt vmcnt(0)
	v_cvt_f32_i32_e32 v3, v2
.LBB400_899:
	s_cbranch_execnz .LBB400_905
.LBB400_900:
	s_sext_i32_i16 s20, s11
	s_cmp_gt_i32 s20, 0
	s_cbranch_scc0 .LBB400_902
; %bb.901:
	global_load_sbyte v2, v[0:1], off
	s_mov_b64 s[20:21], 0
	s_waitcnt vmcnt(0)
	v_cvt_f32_i32_e32 v3, v2
	s_branch .LBB400_903
.LBB400_902:
	s_mov_b64 s[20:21], -1
                                        ; implicit-def: $vgpr3
.LBB400_903:
	s_andn2_b64 vcc, exec, s[20:21]
	s_cbranch_vccnz .LBB400_905
; %bb.904:
	global_load_ubyte v0, v[0:1], off
	s_waitcnt vmcnt(0)
	v_cvt_f32_ubyte0_e32 v3, v0
.LBB400_905:
	s_or_b64 s[0:1], s[0:1], exec
.LBB400_906:
	s_or_b64 exec, exec, s[16:17]
	s_mov_b64 s[22:23], 0
	s_mov_b64 s[20:21], 0
                                        ; implicit-def: $sgpr28
                                        ; implicit-def: $vgpr0_vgpr1
                                        ; implicit-def: $vgpr2
	s_and_saveexec_b64 s[16:17], s[0:1]
	s_cbranch_execz .LBB400_924
; %bb.907:
	v_max_f32_e64 v0, s10, s10
	s_waitcnt vmcnt(0)
	v_max_f32_e32 v1, v3, v3
	v_max_f32_e32 v0, v1, v0
	v_cmp_u_f32_e32 vcc, v3, v3
	s_and_b32 s28, s33, 0xff
	s_cmp_lt_i32 s28, 11
	v_cndmask_b32_e32 v2, v0, v3, vcc
	v_mul_lo_u32 v0, v5, s8
	v_ashrrev_i32_e32 v1, 31, v0
	v_lshl_add_u64 v[0:1], s[4:5], 0, v[0:1]
	s_cbranch_scc1 .LBB400_927
; %bb.908:
	s_and_b32 s29, 0xffff, s28
	s_mov_b64 s[22:23], -1
	s_cmp_gt_i32 s29, 25
	s_mov_b64 s[0:1], s[14:15]
	s_cbranch_scc0 .LBB400_945
; %bb.909:
	s_mov_b64 s[20:21], -1
	s_cmp_gt_i32 s29, 28
	s_mov_b64 s[0:1], s[14:15]
	s_cbranch_scc0 .LBB400_929
; %bb.910:
	s_cmp_gt_i32 s29, 43
	s_mov_b64 s[0:1], s[14:15]
	s_cbranch_scc0 .LBB400_921
; %bb.911:
	;; [unrolled: 4-line block ×3, first 2 shown]
	s_cmp_eq_u32 s29, 46
	s_mov_b64 s[0:1], -1
	s_cbranch_scc0 .LBB400_914
; %bb.913:
	v_bfe_u32 v3, v2, 16, 1
	s_movk_i32 s0, 0x7fff
	v_add3_u32 v3, v2, v3, s0
	v_cmp_o_f32_e32 vcc, v2, v2
	v_mov_b32_e32 v4, 0x7fc0
	s_mov_b64 s[0:1], 0
	v_cndmask_b32_sdwa v3, v4, v3, vcc dst_sel:DWORD dst_unused:UNUSED_PAD src0_sel:DWORD src1_sel:WORD_1
	global_store_dword v[0:1], v3, off
.LBB400_914:
	s_mov_b64 s[20:21], 0
.LBB400_915:
	s_and_b64 vcc, exec, s[20:21]
	s_cbranch_vccz .LBB400_920
; %bb.916:
	s_cmp_eq_u32 s29, 44
	s_mov_b64 s[0:1], -1
	s_cbranch_scc0 .LBB400_920
; %bb.917:
	v_bfe_u32 v3, v2, 23, 8
	s_movk_i32 s0, 0xff
	v_cmp_ne_u32_e32 vcc, s0, v3
	v_mov_b32_e32 v4, 0xff
	s_and_saveexec_b64 s[20:21], vcc
; %bb.918:
	s_mov_b32 s0, 0x3fffff
	v_and_b32_e32 v5, 0x400000, v2
	v_and_or_b32 v3, v2, s0, v3
	v_cmp_ne_u32_e32 vcc, 0, v5
	v_cmp_ne_u32_e64 s[0:1], 0, v3
	s_and_b64 s[0:1], vcc, s[0:1]
	v_lshrrev_b32_e32 v4, 23, v2
	v_cndmask_b32_e64 v3, 0, 1, s[0:1]
	v_add_u32_e32 v4, v4, v3
; %bb.919:
	s_or_b64 exec, exec, s[20:21]
	s_mov_b64 s[0:1], 0
	global_store_byte v[0:1], v4, off
.LBB400_920:
	s_mov_b64 s[20:21], 0
.LBB400_921:
	s_and_b64 vcc, exec, s[20:21]
	s_cbranch_vccz .LBB400_928
; %bb.922:
	s_cmp_eq_u32 s29, 29
	s_mov_b64 s[0:1], -1
	s_cbranch_scc0 .LBB400_928
; %bb.923:
	v_trunc_f32_e32 v3, v2
	v_mul_f32_e32 v4, 0x2f800000, v3
	v_floor_f32_e32 v4, v4
	v_fmamk_f32 v3, v4, 0xcf800000, v3
	v_cvt_u32_f32_e32 v5, v4
	v_cvt_u32_f32_e32 v4, v3
	s_mov_b64 s[0:1], 0
	s_mov_b64 s[20:21], 0
	global_store_dwordx2 v[0:1], v[4:5], off
	s_branch .LBB400_929
.LBB400_924:
	s_or_b64 exec, exec, s[16:17]
	s_and_saveexec_b64 s[0:1], s[14:15]
	s_cbranch_execnz .LBB400_987
.LBB400_925:
	s_or_b64 exec, exec, s[0:1]
	s_and_saveexec_b64 s[0:1], s[22:23]
	s_xor_b64 s[0:1], exec, s[0:1]
	s_cbranch_execz .LBB400_988
.LBB400_926:
	s_waitcnt vmcnt(0)
	v_cmp_neq_f32_e32 vcc, 0, v2
	s_nop 1
	v_cndmask_b32_e64 v3, 0, 1, vcc
	global_store_byte v[0:1], v3, off
	s_or_b64 exec, exec, s[0:1]
	s_and_saveexec_b64 s[0:1], s[20:21]
	s_xor_b64 s[0:1], exec, s[0:1]
	s_cbranch_execz .LBB400_1026
	s_branch .LBB400_989
.LBB400_927:
	s_mov_b64 s[20:21], -1
	s_mov_b64 s[0:1], s[14:15]
	s_branch .LBB400_986
.LBB400_928:
	s_mov_b64 s[20:21], 0
.LBB400_929:
	s_and_b64 vcc, exec, s[20:21]
	s_cbranch_vccz .LBB400_944
; %bb.930:
	s_cmp_lt_i32 s29, 27
	s_mov_b64 s[20:21], -1
	s_cbranch_scc1 .LBB400_936
; %bb.931:
	v_cvt_u32_f32_e32 v3, v2
	s_cmp_gt_i32 s29, 27
	s_cbranch_scc0 .LBB400_933
; %bb.932:
	s_mov_b64 s[20:21], 0
	global_store_dword v[0:1], v3, off
.LBB400_933:
	s_andn2_b64 vcc, exec, s[20:21]
	s_cbranch_vccnz .LBB400_935
; %bb.934:
	global_store_short v[0:1], v3, off
.LBB400_935:
	s_mov_b64 s[20:21], 0
.LBB400_936:
	s_andn2_b64 vcc, exec, s[20:21]
	s_cbranch_vccnz .LBB400_944
; %bb.937:
	v_and_b32_e32 v3, 0x7fffffff, v2
	s_mov_b32 s20, 0x43800000
	v_cmp_gt_u32_e32 vcc, s20, v3
	v_mov_b32_e32 v4, 0x80
	s_and_saveexec_b64 s[20:21], vcc
	s_cbranch_execz .LBB400_943
; %bb.938:
	s_mov_b32 s22, 0x3bffffff
	v_cmp_lt_u32_e32 vcc, s22, v3
	s_mov_b64 s[22:23], 0
                                        ; implicit-def: $vgpr3
	s_and_saveexec_b64 s[24:25], vcc
	s_xor_b64 s[24:25], exec, s[24:25]
	s_cbranch_execz .LBB400_1041
; %bb.939:
	v_bfe_u32 v3, v2, 20, 1
	s_mov_b32 s26, 0x487ffff
	v_add3_u32 v3, v2, v3, s26
	s_mov_b64 s[22:23], exec
	v_lshrrev_b32_e32 v3, 20, v3
	s_andn2_saveexec_b64 s[24:25], s[24:25]
	s_cbranch_execnz .LBB400_1042
.LBB400_940:
	s_or_b64 exec, exec, s[24:25]
	v_mov_b32_e32 v4, 0
	s_and_saveexec_b64 s[24:25], s[22:23]
.LBB400_941:
	v_lshrrev_b32_e32 v4, 24, v2
	s_movk_i32 s22, 0x80
	v_and_or_b32 v4, v4, s22, v3
.LBB400_942:
	s_or_b64 exec, exec, s[24:25]
.LBB400_943:
	s_or_b64 exec, exec, s[20:21]
	global_store_byte v[0:1], v4, off
.LBB400_944:
	s_mov_b64 s[22:23], 0
.LBB400_945:
	s_mov_b64 s[20:21], 0
	s_and_b64 vcc, exec, s[22:23]
	s_cbranch_vccz .LBB400_985
; %bb.946:
	s_cmp_gt_i32 s29, 22
	s_mov_b64 s[22:23], -1
	s_cbranch_scc0 .LBB400_978
; %bb.947:
	s_cmp_lt_i32 s29, 24
	s_cbranch_scc1 .LBB400_967
; %bb.948:
	s_cmp_gt_i32 s29, 24
	s_cbranch_scc0 .LBB400_956
; %bb.949:
	v_and_b32_e32 v3, 0x7fffffff, v2
	s_mov_b32 s22, 0x47800000
	v_cmp_gt_u32_e32 vcc, s22, v3
	v_mov_b32_e32 v4, 0x80
	s_and_saveexec_b64 s[22:23], vcc
	s_cbranch_execz .LBB400_955
; %bb.950:
	s_mov_b32 s24, 0x37ffffff
	v_cmp_lt_u32_e32 vcc, s24, v3
	s_mov_b64 s[24:25], 0
                                        ; implicit-def: $vgpr3
	s_and_saveexec_b64 s[26:27], vcc
	s_xor_b64 s[26:27], exec, s[26:27]
	s_cbranch_execz .LBB400_1166
; %bb.951:
	v_bfe_u32 v3, v2, 21, 1
	s_mov_b32 s30, 0x88fffff
	v_add3_u32 v3, v2, v3, s30
	s_mov_b64 s[24:25], exec
	v_lshrrev_b32_e32 v3, 21, v3
	s_andn2_saveexec_b64 s[26:27], s[26:27]
	s_cbranch_execnz .LBB400_1167
.LBB400_952:
	s_or_b64 exec, exec, s[26:27]
	v_mov_b32_e32 v4, 0
	s_and_saveexec_b64 s[26:27], s[24:25]
.LBB400_953:
	v_lshrrev_b32_e32 v4, 24, v2
	s_movk_i32 s24, 0x80
	v_and_or_b32 v4, v4, s24, v3
.LBB400_954:
	s_or_b64 exec, exec, s[26:27]
.LBB400_955:
	s_or_b64 exec, exec, s[22:23]
	s_mov_b64 s[22:23], 0
	global_store_byte v[0:1], v4, off
.LBB400_956:
	s_and_b64 vcc, exec, s[22:23]
	s_cbranch_vccz .LBB400_966
; %bb.957:
	v_and_b32_e32 v4, 0x7fffffff, v2
	s_mov_b32 s22, 0x43f00000
	v_cmp_gt_u32_e32 vcc, s22, v4
                                        ; implicit-def: $vgpr3
	s_and_saveexec_b64 s[22:23], vcc
	s_xor_b64 s[22:23], exec, s[22:23]
	s_cbranch_execz .LBB400_963
; %bb.958:
	s_mov_b32 s24, 0x3c7fffff
	v_cmp_lt_u32_e32 vcc, s24, v4
                                        ; implicit-def: $vgpr3
	s_and_saveexec_b64 s[24:25], vcc
	s_xor_b64 s[24:25], exec, s[24:25]
; %bb.959:
	v_bfe_u32 v3, v2, 20, 1
	s_mov_b32 s26, 0x407ffff
	v_add3_u32 v3, v2, v3, s26
	v_lshrrev_b32_e32 v4, 20, v3
	v_and_b32_e32 v3, 0xff00000, v3
	s_mov_b32 s26, 0x7f00000
	v_mov_b32_e32 v5, 0x7e
	v_cmp_ne_u32_e32 vcc, s26, v3
	s_nop 1
	v_cndmask_b32_e32 v3, v5, v4, vcc
; %bb.960:
	s_andn2_saveexec_b64 s[24:25], s[24:25]
; %bb.961:
	s_mov_b32 s26, 0x46800000
	v_add_f32_e64 v3, |v2|, s26
; %bb.962:
	s_or_b64 exec, exec, s[24:25]
                                        ; implicit-def: $vgpr4
.LBB400_963:
	s_andn2_saveexec_b64 s[22:23], s[22:23]
; %bb.964:
	s_mov_b32 s24, 0x7f800000
	v_mov_b32_e32 v3, 0x7e
	v_mov_b32_e32 v5, 0x7f
	v_cmp_lt_u32_e32 vcc, s24, v4
	s_nop 1
	v_cndmask_b32_e32 v3, v3, v5, vcc
; %bb.965:
	s_or_b64 exec, exec, s[22:23]
	v_lshrrev_b32_e32 v4, 24, v2
	s_movk_i32 s22, 0x80
	v_and_or_b32 v3, v4, s22, v3
	global_store_byte v[0:1], v3, off
.LBB400_966:
	s_mov_b64 s[22:23], 0
.LBB400_967:
	s_andn2_b64 vcc, exec, s[22:23]
	s_cbranch_vccnz .LBB400_977
; %bb.968:
	v_and_b32_e32 v4, 0x7fffffff, v2
	s_mov_b32 s22, 0x47800000
	v_cmp_gt_u32_e32 vcc, s22, v4
                                        ; implicit-def: $vgpr3
	s_and_saveexec_b64 s[22:23], vcc
	s_xor_b64 s[22:23], exec, s[22:23]
	s_cbranch_execz .LBB400_974
; %bb.969:
	s_mov_b32 s24, 0x387fffff
	v_cmp_lt_u32_e32 vcc, s24, v4
                                        ; implicit-def: $vgpr3
	s_and_saveexec_b64 s[24:25], vcc
	s_xor_b64 s[24:25], exec, s[24:25]
; %bb.970:
	v_bfe_u32 v3, v2, 21, 1
	s_mov_b32 s26, 0x80fffff
	v_add3_u32 v3, v2, v3, s26
	v_lshrrev_b32_e32 v3, 21, v3
; %bb.971:
	s_andn2_saveexec_b64 s[24:25], s[24:25]
; %bb.972:
	s_mov_b32 s26, 0x43000000
	v_add_f32_e64 v3, |v2|, s26
; %bb.973:
	s_or_b64 exec, exec, s[24:25]
                                        ; implicit-def: $vgpr4
.LBB400_974:
	s_andn2_saveexec_b64 s[22:23], s[22:23]
; %bb.975:
	s_mov_b32 s24, 0x7f800000
	v_mov_b32_e32 v3, 0x7c
	v_mov_b32_e32 v5, 0x7f
	v_cmp_lt_u32_e32 vcc, s24, v4
	s_nop 1
	v_cndmask_b32_e32 v3, v3, v5, vcc
; %bb.976:
	s_or_b64 exec, exec, s[22:23]
	v_lshrrev_b32_e32 v4, 24, v2
	s_movk_i32 s22, 0x80
	v_and_or_b32 v3, v4, s22, v3
	global_store_byte v[0:1], v3, off
.LBB400_977:
	s_mov_b64 s[22:23], 0
.LBB400_978:
	s_andn2_b64 vcc, exec, s[22:23]
	s_mov_b64 s[22:23], 0
	s_cbranch_vccnz .LBB400_986
; %bb.979:
	s_cmp_gt_i32 s29, 14
	s_mov_b64 s[24:25], -1
	s_cbranch_scc0 .LBB400_983
; %bb.980:
	s_cmp_eq_u32 s29, 15
	s_mov_b64 s[0:1], -1
	s_cbranch_scc0 .LBB400_982
; %bb.981:
	v_bfe_u32 v3, v2, 16, 1
	s_movk_i32 s0, 0x7fff
	v_add3_u32 v3, v2, v3, s0
	v_cmp_o_f32_e32 vcc, v2, v2
	v_mov_b32_e32 v4, 0x7fc0
	s_mov_b64 s[0:1], 0
	v_cndmask_b32_sdwa v3, v4, v3, vcc dst_sel:DWORD dst_unused:UNUSED_PAD src0_sel:DWORD src1_sel:WORD_1
	global_store_short v[0:1], v3, off
.LBB400_982:
	s_mov_b64 s[24:25], 0
.LBB400_983:
	s_and_b64 vcc, exec, s[24:25]
	s_cbranch_vccz .LBB400_986
; %bb.984:
	s_cmp_lg_u32 s29, 11
	s_cselect_b64 s[24:25], -1, 0
	s_andn2_b64 s[0:1], s[0:1], exec
	s_and_b64 s[24:25], s[24:25], exec
	s_mov_b64 s[22:23], -1
	s_or_b64 s[0:1], s[0:1], s[24:25]
	s_branch .LBB400_986
.LBB400_985:
	s_mov_b64 s[22:23], 0
.LBB400_986:
	s_andn2_b64 s[14:15], s[14:15], exec
	s_and_b64 s[0:1], s[0:1], exec
	s_and_b64 s[20:21], s[20:21], exec
	;; [unrolled: 1-line block ×3, first 2 shown]
	s_or_b64 s[14:15], s[14:15], s[0:1]
	s_or_b64 exec, exec, s[16:17]
	s_and_saveexec_b64 s[0:1], s[14:15]
	s_cbranch_execz .LBB400_925
.LBB400_987:
	s_or_b64 s[18:19], s[18:19], exec
	s_andn2_b64 s[22:23], s[22:23], exec
	s_trap 2
	s_or_b64 exec, exec, s[0:1]
	s_and_saveexec_b64 s[0:1], s[22:23]
	s_xor_b64 s[0:1], exec, s[0:1]
	s_cbranch_execnz .LBB400_926
.LBB400_988:
	s_or_b64 exec, exec, s[0:1]
	s_and_saveexec_b64 s[0:1], s[20:21]
	s_xor_b64 s[0:1], exec, s[0:1]
	s_cbranch_execz .LBB400_1026
.LBB400_989:
	s_sext_i32_i16 s16, s28
	s_cmp_lt_i32 s16, 5
	s_mov_b64 s[14:15], -1
	s_cbranch_scc1 .LBB400_1010
; %bb.990:
	s_cmp_lt_i32 s16, 8
	s_cbranch_scc1 .LBB400_1000
; %bb.991:
	s_cmp_lt_i32 s16, 9
	s_cbranch_scc1 .LBB400_997
; %bb.992:
	s_cmp_gt_i32 s16, 9
	s_cbranch_scc0 .LBB400_994
; %bb.993:
	v_mov_b32_e32 v6, 0
	s_waitcnt vmcnt(0)
	v_cvt_f64_f32_e32 v[4:5], v2
	v_mov_b32_e32 v7, v6
	s_mov_b64 s[14:15], 0
	global_store_dwordx4 v[0:1], v[4:7], off
.LBB400_994:
	s_andn2_b64 vcc, exec, s[14:15]
	s_cbranch_vccnz .LBB400_996
; %bb.995:
	s_waitcnt vmcnt(0)
	v_mov_b32_e32 v3, 0
	global_store_dwordx2 v[0:1], v[2:3], off
.LBB400_996:
	s_mov_b64 s[14:15], 0
.LBB400_997:
	s_andn2_b64 vcc, exec, s[14:15]
	s_cbranch_vccnz .LBB400_999
; %bb.998:
	s_waitcnt vmcnt(0)
	v_cvt_f16_f32_e32 v3, v2
	global_store_dword v[0:1], v3, off
.LBB400_999:
	s_mov_b64 s[14:15], 0
.LBB400_1000:
	s_andn2_b64 vcc, exec, s[14:15]
	s_cbranch_vccnz .LBB400_1009
; %bb.1001:
	s_sext_i32_i16 s16, s28
	s_cmp_lt_i32 s16, 6
	s_mov_b64 s[14:15], -1
	s_cbranch_scc1 .LBB400_1007
; %bb.1002:
	s_cmp_gt_i32 s16, 6
	s_cbranch_scc0 .LBB400_1004
; %bb.1003:
	s_waitcnt vmcnt(0)
	v_cvt_f64_f32_e32 v[4:5], v2
	s_mov_b64 s[14:15], 0
	global_store_dwordx2 v[0:1], v[4:5], off
.LBB400_1004:
	s_andn2_b64 vcc, exec, s[14:15]
	s_cbranch_vccnz .LBB400_1006
; %bb.1005:
	s_waitcnt vmcnt(0)
	global_store_dword v[0:1], v2, off
.LBB400_1006:
	s_mov_b64 s[14:15], 0
.LBB400_1007:
	s_andn2_b64 vcc, exec, s[14:15]
	s_cbranch_vccnz .LBB400_1009
; %bb.1008:
	s_waitcnt vmcnt(0)
	v_cvt_f16_f32_e32 v3, v2
	global_store_short v[0:1], v3, off
.LBB400_1009:
	s_mov_b64 s[14:15], 0
.LBB400_1010:
	s_andn2_b64 vcc, exec, s[14:15]
	s_cbranch_vccnz .LBB400_1026
; %bb.1011:
	s_sext_i32_i16 s16, s28
	s_cmp_lt_i32 s16, 2
	s_mov_b64 s[14:15], -1
	s_cbranch_scc1 .LBB400_1021
; %bb.1012:
	s_cmp_lt_i32 s16, 3
	s_cbranch_scc1 .LBB400_1018
; %bb.1013:
	s_cmp_gt_i32 s16, 3
	s_cbranch_scc0 .LBB400_1015
; %bb.1014:
	s_waitcnt vmcnt(0)
	v_trunc_f32_e32 v3, v2
	s_mov_b32 s14, 0x2f800000
	v_mul_f32_e64 v4, |v3|, s14
	v_floor_f32_e32 v4, v4
	s_mov_b32 s14, 0xcf800000
	v_cvt_u32_f32_e32 v5, v4
	v_fma_f32 v4, v4, s14, |v3|
	v_cvt_u32_f32_e32 v4, v4
	v_ashrrev_i32_e32 v3, 31, v3
	v_xor_b32_e32 v5, v5, v3
	s_mov_b64 s[14:15], 0
	v_xor_b32_e32 v4, v4, v3
	v_sub_co_u32_e32 v4, vcc, v4, v3
	s_nop 1
	v_subb_co_u32_e32 v5, vcc, v5, v3, vcc
	global_store_dwordx2 v[0:1], v[4:5], off
.LBB400_1015:
	s_andn2_b64 vcc, exec, s[14:15]
	s_cbranch_vccnz .LBB400_1017
; %bb.1016:
	s_waitcnt vmcnt(0)
	v_cvt_i32_f32_e32 v3, v2
	global_store_dword v[0:1], v3, off
.LBB400_1017:
	s_mov_b64 s[14:15], 0
.LBB400_1018:
	s_andn2_b64 vcc, exec, s[14:15]
	s_cbranch_vccnz .LBB400_1020
; %bb.1019:
	s_waitcnt vmcnt(0)
	v_cvt_i32_f32_e32 v3, v2
	global_store_short v[0:1], v3, off
.LBB400_1020:
	s_mov_b64 s[14:15], 0
.LBB400_1021:
	s_andn2_b64 vcc, exec, s[14:15]
	s_cbranch_vccnz .LBB400_1026
; %bb.1022:
	s_sext_i32_i16 s14, s28
	s_cmp_gt_i32 s14, 0
	s_mov_b64 s[14:15], -1
	s_cbranch_scc0 .LBB400_1024
; %bb.1023:
	s_waitcnt vmcnt(0)
	v_cvt_i32_f32_e32 v3, v2
	s_mov_b64 s[14:15], 0
	global_store_byte v[0:1], v3, off
.LBB400_1024:
	s_andn2_b64 vcc, exec, s[14:15]
	s_cbranch_vccnz .LBB400_1026
; %bb.1025:
	s_waitcnt vmcnt(0)
	v_trunc_f32_e32 v2, v2
	s_mov_b32 s14, 0x2f800000
	v_mul_f32_e64 v3, |v2|, s14
	v_floor_f32_e32 v3, v3
	s_mov_b32 s14, 0xcf800000
	v_fma_f32 v3, v3, s14, |v2|
	v_cvt_u32_f32_e32 v3, v3
	v_ashrrev_i32_e32 v2, 31, v2
	v_xor_b32_e32 v3, v3, v2
	v_sub_u32_e32 v2, v3, v2
	global_store_byte v[0:1], v2, off
.LBB400_1026:
	s_or_b64 exec, exec, s[0:1]
	s_and_b64 s[14:15], s[18:19], exec
                                        ; implicit-def: $vgpr5
.LBB400_1027:
	s_or_saveexec_b64 s[12:13], s[12:13]
	s_mov_b64 s[0:1], 0
                                        ; implicit-def: $sgpr20
                                        ; implicit-def: $vgpr0_vgpr1
                                        ; implicit-def: $vgpr2
	s_xor_b64 exec, exec, s[12:13]
	s_cbranch_execz .LBB400_1975
; %bb.1028:
	v_mul_lo_u32 v0, s9, v5
	v_ashrrev_i32_e32 v1, 31, v0
	s_and_b32 s11, 0xffff, s11
	s_cmp_lt_i32 s11, 11
	s_waitcnt vmcnt(0)
	v_lshl_add_u64 v[2:3], s[6:7], 0, v[0:1]
	s_cbranch_scc1 .LBB400_1035
; %bb.1029:
	s_cmp_gt_i32 s11, 25
	s_cbranch_scc0 .LBB400_1037
; %bb.1030:
	s_cmp_gt_i32 s11, 28
	s_cbranch_scc0 .LBB400_1038
	;; [unrolled: 3-line block ×4, first 2 shown]
; %bb.1033:
	s_cmp_eq_u32 s11, 46
	s_mov_b64 s[16:17], 0
	s_cbranch_scc0 .LBB400_1043
; %bb.1034:
	global_load_dword v1, v[2:3], off
	s_mov_b64 s[18:19], -1
	s_waitcnt vmcnt(0)
	v_lshlrev_b32_e32 v4, 16, v1
	s_branch .LBB400_1044
.LBB400_1035:
	s_mov_b64 s[18:19], 0
                                        ; implicit-def: $vgpr4
	s_mov_b64 s[16:17], s[14:15]
	s_cbranch_execnz .LBB400_1107
.LBB400_1036:
	s_andn2_b64 vcc, exec, s[18:19]
	s_cbranch_vccz .LBB400_1152
	s_branch .LBB400_1973
.LBB400_1037:
	s_mov_b64 s[18:19], 0
                                        ; implicit-def: $vgpr4
	s_cbranch_execnz .LBB400_1072
	s_branch .LBB400_1103
.LBB400_1038:
	s_mov_b64 s[16:17], -1
	s_mov_b64 s[18:19], 0
                                        ; implicit-def: $vgpr4
	s_branch .LBB400_1053
.LBB400_1039:
	s_mov_b64 s[18:19], 0
                                        ; implicit-def: $vgpr4
	s_cbranch_execnz .LBB400_1049
	s_branch .LBB400_1052
.LBB400_1040:
	s_mov_b64 s[16:17], -1
	s_mov_b64 s[18:19], 0
                                        ; implicit-def: $vgpr4
	s_branch .LBB400_1044
.LBB400_1041:
	s_andn2_saveexec_b64 s[24:25], s[24:25]
	s_cbranch_execz .LBB400_940
.LBB400_1042:
	s_mov_b32 s26, 0x46000000
	v_add_f32_e64 v3, |v2|, s26
	v_and_b32_e32 v3, 0xff, v3
	v_cmp_ne_u32_e32 vcc, 0, v3
	s_andn2_b64 s[22:23], s[22:23], exec
	s_and_b64 s[26:27], vcc, exec
	s_or_b64 s[22:23], s[22:23], s[26:27]
	s_or_b64 exec, exec, s[24:25]
	v_mov_b32_e32 v4, 0
	s_and_saveexec_b64 s[24:25], s[22:23]
	s_cbranch_execnz .LBB400_941
	s_branch .LBB400_942
.LBB400_1043:
	s_mov_b64 s[0:1], -1
                                        ; implicit-def: $vgpr4
	s_mov_b64 s[18:19], 0
.LBB400_1044:
	s_and_b64 vcc, exec, s[16:17]
	s_cbranch_vccz .LBB400_1047
; %bb.1045:
	s_cmp_eq_u32 s11, 44
	s_cbranch_scc0 .LBB400_1048
; %bb.1046:
	global_load_ubyte v1, v[2:3], off
	s_movk_i32 s16, 0xff
	v_mov_b32_e32 v4, 0x7f800001
	v_mov_b32_e32 v6, 0x400000
	s_mov_b64 s[0:1], 0
	s_mov_b64 s[18:19], -1
	s_waitcnt vmcnt(0)
	v_lshlrev_b32_e32 v7, 23, v1
	v_cmp_ne_u32_e32 vcc, s16, v1
	s_nop 1
	v_cndmask_b32_e32 v4, v4, v7, vcc
	v_cmp_ne_u32_e32 vcc, 0, v1
	s_nop 1
	v_cndmask_b32_e32 v4, v6, v4, vcc
.LBB400_1047:
	s_branch .LBB400_1052
.LBB400_1048:
	s_mov_b64 s[0:1], -1
                                        ; implicit-def: $vgpr4
	s_branch .LBB400_1052
.LBB400_1049:
	s_cmp_eq_u32 s11, 29
	s_cbranch_scc0 .LBB400_1051
; %bb.1050:
	global_load_dwordx2 v[6:7], v[2:3], off
	s_mov_b64 s[0:1], 0
	s_mov_b64 s[18:19], -1
	s_mov_b64 s[16:17], 0
	s_waitcnt vmcnt(0)
	v_ffbh_u32_e32 v1, v7
	v_min_u32_e32 v1, 32, v1
	v_lshlrev_b64 v[6:7], v1, v[6:7]
	v_min_u32_e32 v4, 1, v6
	v_or_b32_e32 v4, v7, v4
	v_cvt_f32_u32_e32 v4, v4
	v_sub_u32_e32 v1, 32, v1
	v_ldexp_f32 v4, v4, v1
	s_branch .LBB400_1053
.LBB400_1051:
	s_mov_b64 s[0:1], -1
                                        ; implicit-def: $vgpr4
.LBB400_1052:
	s_mov_b64 s[16:17], 0
.LBB400_1053:
	s_and_b64 vcc, exec, s[16:17]
	s_cbranch_vccz .LBB400_1071
; %bb.1054:
	s_cmp_lt_i32 s11, 27
	s_cbranch_scc1 .LBB400_1057
; %bb.1055:
	s_cmp_gt_i32 s11, 27
	s_cbranch_scc0 .LBB400_1058
; %bb.1056:
	global_load_dword v1, v[2:3], off
	s_mov_b64 s[16:17], 0
	s_waitcnt vmcnt(0)
	v_cvt_f32_u32_e32 v4, v1
	s_branch .LBB400_1059
.LBB400_1057:
	s_mov_b64 s[16:17], -1
                                        ; implicit-def: $vgpr4
	s_branch .LBB400_1062
.LBB400_1058:
	s_mov_b64 s[16:17], -1
                                        ; implicit-def: $vgpr4
.LBB400_1059:
	s_andn2_b64 vcc, exec, s[16:17]
	s_cbranch_vccnz .LBB400_1061
; %bb.1060:
	global_load_ushort v1, v[2:3], off
	s_waitcnt vmcnt(0)
	v_cvt_f32_u32_e32 v4, v1
.LBB400_1061:
	s_mov_b64 s[16:17], 0
.LBB400_1062:
	s_andn2_b64 vcc, exec, s[16:17]
	s_cbranch_vccnz .LBB400_1070
; %bb.1063:
	global_load_ubyte v1, v[2:3], off
	s_movk_i32 s16, 0x7f
	s_waitcnt vmcnt(0)
	v_cmp_lt_i16_e32 vcc, s16, v1
	s_mov_b64 s[16:17], 0
	s_and_saveexec_b64 s[18:19], vcc
	s_xor_b64 s[18:19], exec, s[18:19]
	s_cbranch_execz .LBB400_1083
; %bb.1064:
	s_movk_i32 s16, 0x80
	v_cmp_eq_u16_e32 vcc, s16, v1
	s_mov_b64 s[16:17], -1
	s_and_saveexec_b64 s[20:21], vcc
; %bb.1065:
	s_xor_b64 s[16:17], exec, -1
; %bb.1066:
	s_or_b64 exec, exec, s[20:21]
	s_and_b64 s[16:17], s[16:17], exec
	s_or_saveexec_b64 s[18:19], s[18:19]
	v_mov_b32_e32 v4, 0x7f800001
	s_xor_b64 exec, exec, s[18:19]
	s_cbranch_execnz .LBB400_1084
.LBB400_1067:
	s_or_b64 exec, exec, s[18:19]
	s_and_saveexec_b64 s[18:19], s[16:17]
	s_cbranch_execz .LBB400_1069
.LBB400_1068:
	v_lshlrev_b32_e32 v4, 24, v1
	v_and_b32_e32 v1, 0xffff, v1
	v_and_b32_e32 v6, 7, v1
	v_ffbh_u32_e32 v8, v6
	v_min_u32_e32 v8, 32, v8
	v_subrev_u32_e32 v9, 28, v8
	v_bfe_u32 v7, v1, 3, 4
	v_lshlrev_b32_e32 v1, v9, v1
	v_sub_u32_e32 v8, 29, v8
	v_and_b32_e32 v1, 7, v1
	v_cmp_eq_u32_e32 vcc, 0, v7
	v_and_b32_e32 v4, 0x80000000, v4
	s_nop 0
	v_cndmask_b32_e32 v7, v7, v8, vcc
	v_cndmask_b32_e32 v1, v6, v1, vcc
	v_mov_b32_e32 v6, 0x3b800000
	v_lshlrev_b32_e32 v1, 20, v1
	v_lshl_add_u32 v6, v7, 23, v6
	v_or3_b32 v4, v4, v6, v1
.LBB400_1069:
	s_or_b64 exec, exec, s[18:19]
.LBB400_1070:
	s_mov_b64 s[18:19], -1
.LBB400_1071:
	s_branch .LBB400_1103
.LBB400_1072:
	s_cmp_gt_i32 s11, 22
	s_cbranch_scc0 .LBB400_1082
; %bb.1073:
	s_cmp_lt_i32 s11, 24
	s_cbranch_scc1 .LBB400_1085
; %bb.1074:
	s_cmp_gt_i32 s11, 24
	s_cbranch_scc0 .LBB400_1086
; %bb.1075:
	global_load_ubyte v1, v[2:3], off
	s_movk_i32 s2, 0x7f
	s_waitcnt vmcnt(0)
	v_cmp_lt_i16_e32 vcc, s2, v1
	s_mov_b64 s[2:3], 0
	s_and_saveexec_b64 s[16:17], vcc
	s_xor_b64 s[16:17], exec, s[16:17]
	s_cbranch_execz .LBB400_1097
; %bb.1076:
	s_movk_i32 s2, 0x80
	v_cmp_eq_u16_e32 vcc, s2, v1
	s_mov_b64 s[2:3], -1
	s_and_saveexec_b64 s[18:19], vcc
; %bb.1077:
	s_xor_b64 s[2:3], exec, -1
; %bb.1078:
	s_or_b64 exec, exec, s[18:19]
	s_and_b64 s[2:3], s[2:3], exec
	s_or_saveexec_b64 s[16:17], s[16:17]
	v_mov_b32_e32 v4, 0x7f800001
	s_xor_b64 exec, exec, s[16:17]
	s_cbranch_execnz .LBB400_1098
.LBB400_1079:
	s_or_b64 exec, exec, s[16:17]
	s_and_saveexec_b64 s[16:17], s[2:3]
	s_cbranch_execz .LBB400_1081
.LBB400_1080:
	v_lshlrev_b32_e32 v4, 24, v1
	v_and_b32_e32 v1, 0xffff, v1
	v_and_b32_e32 v6, 3, v1
	v_ffbh_u32_e32 v8, v6
	v_min_u32_e32 v8, 32, v8
	v_subrev_u32_e32 v9, 29, v8
	v_bfe_u32 v7, v1, 2, 5
	v_lshlrev_b32_e32 v1, v9, v1
	v_sub_u32_e32 v8, 30, v8
	v_and_b32_e32 v1, 3, v1
	v_cmp_eq_u32_e32 vcc, 0, v7
	v_and_b32_e32 v4, 0x80000000, v4
	s_nop 0
	v_cndmask_b32_e32 v7, v7, v8, vcc
	v_cndmask_b32_e32 v1, v6, v1, vcc
	v_mov_b32_e32 v6, 0x37800000
	v_lshlrev_b32_e32 v1, 21, v1
	v_lshl_add_u32 v6, v7, 23, v6
	v_or3_b32 v4, v4, v6, v1
.LBB400_1081:
	s_or_b64 exec, exec, s[16:17]
	s_mov_b64 s[2:3], 0
	s_branch .LBB400_1087
.LBB400_1082:
                                        ; implicit-def: $vgpr4
	s_mov_b64 s[2:3], 0
	s_branch .LBB400_1093
.LBB400_1083:
	s_or_saveexec_b64 s[18:19], s[18:19]
	v_mov_b32_e32 v4, 0x7f800001
	s_xor_b64 exec, exec, s[18:19]
	s_cbranch_execz .LBB400_1067
.LBB400_1084:
	v_cmp_ne_u16_e32 vcc, 0, v1
	s_andn2_b64 s[16:17], s[16:17], exec
	s_and_b64 s[20:21], vcc, exec
	v_mov_b32_e32 v4, 0
	s_or_b64 s[16:17], s[16:17], s[20:21]
	s_or_b64 exec, exec, s[18:19]
	s_and_saveexec_b64 s[18:19], s[16:17]
	s_cbranch_execnz .LBB400_1068
	s_branch .LBB400_1069
.LBB400_1085:
	s_mov_b64 s[2:3], -1
                                        ; implicit-def: $vgpr4
	s_branch .LBB400_1090
.LBB400_1086:
	s_mov_b64 s[2:3], -1
                                        ; implicit-def: $vgpr4
.LBB400_1087:
	s_and_b64 vcc, exec, s[2:3]
	s_cbranch_vccz .LBB400_1089
; %bb.1088:
	global_load_ubyte v1, v[2:3], off
	s_mov_b32 s2, 0x7f800000
	s_waitcnt vmcnt(0)
	v_lshlrev_b32_e32 v1, 24, v1
	v_and_b32_e32 v4, 0x7f000000, v1
	v_ffbh_u32_e32 v6, v4
	v_min_u32_e32 v6, 32, v6
	v_sub_u32_e64 v6, v6, 4 clamp
	v_lshlrev_b32_e32 v8, v6, v4
	v_lshlrev_b32_e32 v6, 23, v6
	v_lshrrev_b32_e32 v8, 4, v8
	v_add_u32_e32 v7, 0x1000000, v4
	v_sub_u32_e32 v6, v8, v6
	v_ashrrev_i32_e32 v7, 8, v7
	v_add_u32_e32 v6, 0x3c000000, v6
	v_and_or_b32 v6, v7, s2, v6
	v_cmp_ne_u32_e32 vcc, 0, v4
	s_brev_b32 s2, 1
	s_nop 0
	v_cndmask_b32_e32 v4, 0, v6, vcc
	v_and_or_b32 v4, v1, s2, v4
.LBB400_1089:
	s_mov_b64 s[2:3], 0
.LBB400_1090:
	s_andn2_b64 vcc, exec, s[2:3]
	s_cbranch_vccnz .LBB400_1092
; %bb.1091:
	global_load_ubyte v1, v[2:3], off
	s_movk_i32 s2, 0x7f00
	s_brev_b32 s3, 16
	s_waitcnt vmcnt(0)
	v_lshlrev_b16_e32 v4, 8, v1
	v_lshlrev_b32_e32 v1, 25, v1
	v_lshrrev_b32_e32 v6, 4, v1
	v_and_or_b32 v7, v4, s2, 0.5
	v_or_b32_e32 v6, 0x70000000, v6
	v_add_f32_e32 v7, -0.5, v7
	v_mul_f32_e32 v6, 0x7800000, v6
	v_cmp_gt_u32_e32 vcc, s3, v1
	v_bfe_i32 v4, v4, 0, 16
	s_brev_b32 s2, 1
	v_cndmask_b32_e32 v1, v6, v7, vcc
	v_and_or_b32 v4, v4, s2, v1
.LBB400_1092:
	s_mov_b64 s[18:19], -1
	s_mov_b64 s[2:3], 0
	s_cbranch_execnz .LBB400_1103
.LBB400_1093:
	s_cmp_gt_i32 s11, 14
	s_cbranch_scc0 .LBB400_1096
; %bb.1094:
	s_cmp_eq_u32 s11, 15
	s_cbranch_scc0 .LBB400_1099
; %bb.1095:
	global_load_ushort v1, v[2:3], off
	s_mov_b64 s[0:1], 0
	s_mov_b64 s[18:19], -1
	s_waitcnt vmcnt(0)
	v_lshlrev_b32_e32 v4, 16, v1
	s_branch .LBB400_1100
.LBB400_1096:
	s_mov_b64 s[16:17], -1
                                        ; implicit-def: $vgpr4
	s_branch .LBB400_1101
.LBB400_1097:
	s_or_saveexec_b64 s[16:17], s[16:17]
	v_mov_b32_e32 v4, 0x7f800001
	s_xor_b64 exec, exec, s[16:17]
	s_cbranch_execz .LBB400_1079
.LBB400_1098:
	v_cmp_ne_u16_e32 vcc, 0, v1
	s_andn2_b64 s[2:3], s[2:3], exec
	s_and_b64 s[18:19], vcc, exec
	v_mov_b32_e32 v4, 0
	s_or_b64 s[2:3], s[2:3], s[18:19]
	s_or_b64 exec, exec, s[16:17]
	s_and_saveexec_b64 s[16:17], s[2:3]
	s_cbranch_execnz .LBB400_1080
	s_branch .LBB400_1081
.LBB400_1099:
	s_mov_b64 s[0:1], -1
                                        ; implicit-def: $vgpr4
.LBB400_1100:
	s_mov_b64 s[16:17], 0
.LBB400_1101:
	s_and_b64 vcc, exec, s[16:17]
	s_cbranch_vccz .LBB400_1103
; %bb.1102:
	s_cmp_lg_u32 s11, 11
	s_mov_b64 s[2:3], -1
	s_cselect_b64 s[0:1], -1, 0
.LBB400_1103:
	s_and_b64 vcc, exec, s[0:1]
	s_mov_b64 s[16:17], s[14:15]
	s_cbranch_vccnz .LBB400_1164
; %bb.1104:
	s_andn2_b64 vcc, exec, s[2:3]
	s_cbranch_vccnz .LBB400_1106
.LBB400_1105:
	global_load_ubyte v1, v[2:3], off
	s_mov_b64 s[18:19], -1
	s_waitcnt vmcnt(0)
	v_cmp_ne_u16_e32 vcc, 0, v1
	s_nop 1
	v_cndmask_b32_e64 v4, 0, 1.0, vcc
.LBB400_1106:
	s_branch .LBB400_1036
.LBB400_1107:
	s_cmp_lt_i32 s11, 5
	s_cbranch_scc1 .LBB400_1112
; %bb.1108:
	s_cmp_lt_i32 s11, 8
	s_cbranch_scc1 .LBB400_1113
; %bb.1109:
	;; [unrolled: 3-line block ×3, first 2 shown]
	s_cmp_gt_i32 s11, 9
	s_cbranch_scc0 .LBB400_1115
; %bb.1111:
	global_load_dwordx2 v[6:7], v[2:3], off
	s_mov_b64 s[0:1], 0
	s_waitcnt vmcnt(0)
	v_cvt_f32_f64_e32 v4, v[6:7]
	s_branch .LBB400_1116
.LBB400_1112:
                                        ; implicit-def: $vgpr4
	s_branch .LBB400_1133
.LBB400_1113:
                                        ; implicit-def: $vgpr4
	s_branch .LBB400_1122
.LBB400_1114:
	s_mov_b64 s[0:1], -1
                                        ; implicit-def: $vgpr4
	s_branch .LBB400_1119
.LBB400_1115:
	s_mov_b64 s[0:1], -1
                                        ; implicit-def: $vgpr4
.LBB400_1116:
	s_andn2_b64 vcc, exec, s[0:1]
	s_cbranch_vccnz .LBB400_1118
; %bb.1117:
	global_load_dword v4, v[2:3], off
.LBB400_1118:
	s_mov_b64 s[0:1], 0
.LBB400_1119:
	s_andn2_b64 vcc, exec, s[0:1]
	s_cbranch_vccnz .LBB400_1121
; %bb.1120:
	global_load_dword v1, v[2:3], off
	s_waitcnt vmcnt(0)
	v_cvt_f32_f16_e32 v4, v1
.LBB400_1121:
	s_cbranch_execnz .LBB400_1132
.LBB400_1122:
	s_cmp_lt_i32 s11, 6
	s_cbranch_scc1 .LBB400_1125
; %bb.1123:
	s_cmp_gt_i32 s11, 6
	s_cbranch_scc0 .LBB400_1126
; %bb.1124:
	global_load_dwordx2 v[6:7], v[2:3], off
	s_mov_b64 s[0:1], 0
	s_waitcnt vmcnt(0)
	v_cvt_f32_f64_e32 v4, v[6:7]
	s_branch .LBB400_1127
.LBB400_1125:
	s_mov_b64 s[0:1], -1
                                        ; implicit-def: $vgpr4
	s_branch .LBB400_1130
.LBB400_1126:
	s_mov_b64 s[0:1], -1
                                        ; implicit-def: $vgpr4
.LBB400_1127:
	s_andn2_b64 vcc, exec, s[0:1]
	s_cbranch_vccnz .LBB400_1129
; %bb.1128:
	global_load_dword v4, v[2:3], off
.LBB400_1129:
	s_mov_b64 s[0:1], 0
.LBB400_1130:
	s_andn2_b64 vcc, exec, s[0:1]
	s_cbranch_vccnz .LBB400_1132
; %bb.1131:
	global_load_ushort v1, v[2:3], off
	s_waitcnt vmcnt(0)
	v_cvt_f32_f16_e32 v4, v1
.LBB400_1132:
	s_cbranch_execnz .LBB400_1151
.LBB400_1133:
	s_cmp_lt_i32 s11, 2
	s_cbranch_scc1 .LBB400_1137
; %bb.1134:
	s_cmp_lt_i32 s11, 3
	s_cbranch_scc1 .LBB400_1138
; %bb.1135:
	s_cmp_gt_i32 s11, 3
	s_cbranch_scc0 .LBB400_1139
; %bb.1136:
	global_load_dwordx2 v[6:7], v[2:3], off
	s_mov_b64 s[0:1], 0
	s_waitcnt vmcnt(0)
	v_xor_b32_e32 v4, v6, v7
	v_ffbh_i32_e32 v1, v7
	v_ashrrev_i32_e32 v4, 31, v4
	v_add_u32_e32 v1, -1, v1
	v_add_u32_e32 v4, 32, v4
	v_min_u32_e32 v1, v1, v4
	v_lshlrev_b64 v[6:7], v1, v[6:7]
	v_min_u32_e32 v4, 1, v6
	v_or_b32_e32 v4, v7, v4
	v_cvt_f32_i32_e32 v4, v4
	v_sub_u32_e32 v1, 32, v1
	v_ldexp_f32 v4, v4, v1
	s_branch .LBB400_1140
.LBB400_1137:
                                        ; implicit-def: $vgpr4
	s_branch .LBB400_1146
.LBB400_1138:
	s_mov_b64 s[0:1], -1
                                        ; implicit-def: $vgpr4
	s_branch .LBB400_1143
.LBB400_1139:
	s_mov_b64 s[0:1], -1
                                        ; implicit-def: $vgpr4
.LBB400_1140:
	s_andn2_b64 vcc, exec, s[0:1]
	s_cbranch_vccnz .LBB400_1142
; %bb.1141:
	global_load_dword v1, v[2:3], off
	s_waitcnt vmcnt(0)
	v_cvt_f32_i32_e32 v4, v1
.LBB400_1142:
	s_mov_b64 s[0:1], 0
.LBB400_1143:
	s_andn2_b64 vcc, exec, s[0:1]
	s_cbranch_vccnz .LBB400_1145
; %bb.1144:
	global_load_sshort v1, v[2:3], off
	s_waitcnt vmcnt(0)
	v_cvt_f32_i32_e32 v4, v1
.LBB400_1145:
	s_cbranch_execnz .LBB400_1151
.LBB400_1146:
	s_cmp_gt_i32 s11, 0
	s_cbranch_scc0 .LBB400_1148
; %bb.1147:
	global_load_sbyte v1, v[2:3], off
	s_mov_b64 s[0:1], 0
	s_waitcnt vmcnt(0)
	v_cvt_f32_i32_e32 v4, v1
	s_branch .LBB400_1149
.LBB400_1148:
	s_mov_b64 s[0:1], -1
                                        ; implicit-def: $vgpr4
.LBB400_1149:
	s_andn2_b64 vcc, exec, s[0:1]
	s_cbranch_vccnz .LBB400_1151
; %bb.1150:
	global_load_ubyte v1, v[2:3], off
	s_waitcnt vmcnt(0)
	v_cvt_f32_ubyte0_e32 v4, v1
.LBB400_1151:
.LBB400_1152:
	s_lshl_b32 s9, s9, 7
	v_add_u32_e32 v0, s9, v0
	v_ashrrev_i32_e32 v1, 31, v0
	s_cmp_lt_i32 s11, 11
	v_lshl_add_u64 v[2:3], s[6:7], 0, v[0:1]
	s_cbranch_scc1 .LBB400_1159
; %bb.1153:
	s_cmp_gt_i32 s11, 25
	s_mov_b64 s[2:3], 0
	s_cbranch_scc0 .LBB400_1161
; %bb.1154:
	s_cmp_gt_i32 s11, 28
	s_cbranch_scc0 .LBB400_1162
; %bb.1155:
	s_cmp_gt_i32 s11, 43
	;; [unrolled: 3-line block ×3, first 2 shown]
	s_cbranch_scc0 .LBB400_1165
; %bb.1157:
	s_cmp_eq_u32 s11, 46
	s_mov_b64 s[20:21], 0
	s_cbranch_scc0 .LBB400_1168
; %bb.1158:
	global_load_dword v1, v[2:3], off
	s_mov_b64 s[0:1], 0
	s_mov_b64 s[18:19], -1
	s_waitcnt vmcnt(0)
	v_lshlrev_b32_e32 v6, 16, v1
	s_branch .LBB400_1169
.LBB400_1159:
	s_mov_b64 s[18:19], 0
                                        ; implicit-def: $vgpr6
	s_cbranch_execnz .LBB400_1234
.LBB400_1160:
	s_andn2_b64 vcc, exec, s[18:19]
	s_cbranch_vccnz .LBB400_1973
	s_branch .LBB400_1281
.LBB400_1161:
	s_mov_b64 s[18:19], 0
	s_mov_b64 s[0:1], 0
                                        ; implicit-def: $vgpr6
	s_cbranch_execnz .LBB400_1198
	s_branch .LBB400_1230
.LBB400_1162:
	s_mov_b64 s[20:21], -1
	s_mov_b64 s[18:19], 0
	s_mov_b64 s[0:1], 0
                                        ; implicit-def: $vgpr6
	s_branch .LBB400_1179
.LBB400_1163:
	s_mov_b64 s[20:21], -1
	s_mov_b64 s[18:19], 0
	s_mov_b64 s[0:1], 0
                                        ; implicit-def: $vgpr6
	s_branch .LBB400_1174
.LBB400_1164:
	s_or_b64 s[16:17], s[14:15], exec
	s_trap 2
	s_cbranch_execz .LBB400_1105
	s_branch .LBB400_1106
.LBB400_1165:
	s_mov_b64 s[20:21], -1
	s_mov_b64 s[18:19], 0
	s_mov_b64 s[0:1], 0
                                        ; implicit-def: $vgpr6
	s_branch .LBB400_1169
.LBB400_1166:
	s_andn2_saveexec_b64 s[26:27], s[26:27]
	s_cbranch_execz .LBB400_952
.LBB400_1167:
	s_mov_b32 s30, 0x42800000
	v_add_f32_e64 v3, |v2|, s30
	v_and_b32_e32 v3, 0xff, v3
	v_cmp_ne_u32_e32 vcc, 0, v3
	s_andn2_b64 s[24:25], s[24:25], exec
	s_and_b64 s[30:31], vcc, exec
	s_or_b64 s[24:25], s[24:25], s[30:31]
	s_or_b64 exec, exec, s[26:27]
	v_mov_b32_e32 v4, 0
	s_and_saveexec_b64 s[26:27], s[24:25]
	s_cbranch_execnz .LBB400_953
	s_branch .LBB400_954
.LBB400_1168:
	s_mov_b64 s[0:1], -1
                                        ; implicit-def: $vgpr6
	s_mov_b64 s[18:19], 0
.LBB400_1169:
	s_and_b64 vcc, exec, s[20:21]
	s_cbranch_vccz .LBB400_1173
; %bb.1170:
	s_cmp_eq_u32 s11, 44
	s_cbranch_scc0 .LBB400_1172
; %bb.1171:
	global_load_ubyte v1, v[2:3], off
	s_movk_i32 s18, 0xff
	v_mov_b32_e32 v6, 0x7f800001
	v_mov_b32_e32 v7, 0x400000
	s_mov_b64 s[0:1], 0
	s_waitcnt vmcnt(0)
	v_lshlrev_b32_e32 v8, 23, v1
	v_cmp_ne_u32_e32 vcc, s18, v1
	s_mov_b64 s[18:19], -1
	s_nop 0
	v_cndmask_b32_e32 v6, v6, v8, vcc
	v_cmp_ne_u32_e32 vcc, 0, v1
	s_nop 1
	v_cndmask_b32_e32 v6, v7, v6, vcc
	s_branch .LBB400_1173
.LBB400_1172:
	s_mov_b64 s[0:1], -1
                                        ; implicit-def: $vgpr6
.LBB400_1173:
	s_mov_b64 s[20:21], 0
.LBB400_1174:
	s_and_b64 vcc, exec, s[20:21]
	s_cbranch_vccz .LBB400_1178
; %bb.1175:
	s_cmp_eq_u32 s11, 29
	s_cbranch_scc0 .LBB400_1177
; %bb.1176:
	global_load_dwordx2 v[6:7], v[2:3], off
	s_mov_b64 s[0:1], 0
	s_mov_b64 s[18:19], -1
	s_mov_b64 s[20:21], 0
	s_waitcnt vmcnt(0)
	v_ffbh_u32_e32 v1, v7
	v_min_u32_e32 v1, 32, v1
	v_lshlrev_b64 v[6:7], v1, v[6:7]
	v_min_u32_e32 v6, 1, v6
	v_or_b32_e32 v6, v7, v6
	v_cvt_f32_u32_e32 v6, v6
	v_sub_u32_e32 v1, 32, v1
	v_ldexp_f32 v6, v6, v1
	s_branch .LBB400_1179
.LBB400_1177:
	s_mov_b64 s[0:1], -1
                                        ; implicit-def: $vgpr6
.LBB400_1178:
	s_mov_b64 s[20:21], 0
.LBB400_1179:
	s_and_b64 vcc, exec, s[20:21]
	s_cbranch_vccz .LBB400_1197
; %bb.1180:
	s_cmp_lt_i32 s11, 27
	s_cbranch_scc1 .LBB400_1183
; %bb.1181:
	s_cmp_gt_i32 s11, 27
	s_cbranch_scc0 .LBB400_1184
; %bb.1182:
	global_load_dword v1, v[2:3], off
	s_mov_b64 s[18:19], 0
	s_waitcnt vmcnt(0)
	v_cvt_f32_u32_e32 v6, v1
	s_branch .LBB400_1185
.LBB400_1183:
	s_mov_b64 s[18:19], -1
                                        ; implicit-def: $vgpr6
	s_branch .LBB400_1188
.LBB400_1184:
	s_mov_b64 s[18:19], -1
                                        ; implicit-def: $vgpr6
.LBB400_1185:
	s_andn2_b64 vcc, exec, s[18:19]
	s_cbranch_vccnz .LBB400_1187
; %bb.1186:
	global_load_ushort v1, v[2:3], off
	s_waitcnt vmcnt(0)
	v_cvt_f32_u32_e32 v6, v1
.LBB400_1187:
	s_mov_b64 s[18:19], 0
.LBB400_1188:
	s_andn2_b64 vcc, exec, s[18:19]
	s_cbranch_vccnz .LBB400_1196
; %bb.1189:
	global_load_ubyte v1, v[2:3], off
	s_movk_i32 s18, 0x7f
	s_waitcnt vmcnt(0)
	v_cmp_lt_i16_e32 vcc, s18, v1
	s_mov_b64 s[18:19], 0
	s_and_saveexec_b64 s[20:21], vcc
	s_xor_b64 s[20:21], exec, s[20:21]
	s_cbranch_execz .LBB400_1209
; %bb.1190:
	s_movk_i32 s18, 0x80
	v_cmp_eq_u16_e32 vcc, s18, v1
	s_mov_b64 s[18:19], -1
	s_and_saveexec_b64 s[22:23], vcc
; %bb.1191:
	s_xor_b64 s[18:19], exec, -1
; %bb.1192:
	s_or_b64 exec, exec, s[22:23]
	s_and_b64 s[18:19], s[18:19], exec
	s_or_saveexec_b64 s[20:21], s[20:21]
	v_mov_b32_e32 v6, 0x7f800001
	s_xor_b64 exec, exec, s[20:21]
	s_cbranch_execnz .LBB400_1210
.LBB400_1193:
	s_or_b64 exec, exec, s[20:21]
	s_and_saveexec_b64 s[20:21], s[18:19]
	s_cbranch_execz .LBB400_1195
.LBB400_1194:
	v_lshlrev_b32_e32 v6, 24, v1
	v_and_b32_e32 v1, 0xffff, v1
	v_and_b32_e32 v7, 7, v1
	v_ffbh_u32_e32 v9, v7
	v_min_u32_e32 v9, 32, v9
	v_subrev_u32_e32 v10, 28, v9
	v_bfe_u32 v8, v1, 3, 4
	v_lshlrev_b32_e32 v1, v10, v1
	v_sub_u32_e32 v9, 29, v9
	v_and_b32_e32 v1, 7, v1
	v_cmp_eq_u32_e32 vcc, 0, v8
	v_and_b32_e32 v6, 0x80000000, v6
	s_nop 0
	v_cndmask_b32_e32 v8, v8, v9, vcc
	v_cndmask_b32_e32 v1, v7, v1, vcc
	v_mov_b32_e32 v7, 0x3b800000
	v_lshlrev_b32_e32 v1, 20, v1
	v_lshl_add_u32 v7, v8, 23, v7
	v_or3_b32 v6, v6, v7, v1
.LBB400_1195:
	s_or_b64 exec, exec, s[20:21]
.LBB400_1196:
	s_mov_b64 s[18:19], -1
.LBB400_1197:
	s_branch .LBB400_1230
.LBB400_1198:
	s_cmp_gt_i32 s11, 22
	s_cbranch_scc0 .LBB400_1208
; %bb.1199:
	s_cmp_lt_i32 s11, 24
	s_cbranch_scc1 .LBB400_1211
; %bb.1200:
	s_cmp_gt_i32 s11, 24
	s_cbranch_scc0 .LBB400_1212
; %bb.1201:
	global_load_ubyte v1, v[2:3], off
	s_movk_i32 s2, 0x7f
	s_waitcnt vmcnt(0)
	v_cmp_lt_i16_e32 vcc, s2, v1
	s_mov_b64 s[2:3], 0
	s_and_saveexec_b64 s[18:19], vcc
	s_xor_b64 s[18:19], exec, s[18:19]
	s_cbranch_execz .LBB400_1224
; %bb.1202:
	s_movk_i32 s2, 0x80
	v_cmp_eq_u16_e32 vcc, s2, v1
	s_mov_b64 s[2:3], -1
	s_and_saveexec_b64 s[20:21], vcc
; %bb.1203:
	s_xor_b64 s[2:3], exec, -1
; %bb.1204:
	s_or_b64 exec, exec, s[20:21]
	s_and_b64 s[2:3], s[2:3], exec
	s_or_saveexec_b64 s[18:19], s[18:19]
	v_mov_b32_e32 v6, 0x7f800001
	s_xor_b64 exec, exec, s[18:19]
	s_cbranch_execnz .LBB400_1225
.LBB400_1205:
	s_or_b64 exec, exec, s[18:19]
	s_and_saveexec_b64 s[18:19], s[2:3]
	s_cbranch_execz .LBB400_1207
.LBB400_1206:
	v_lshlrev_b32_e32 v6, 24, v1
	v_and_b32_e32 v1, 0xffff, v1
	v_and_b32_e32 v7, 3, v1
	v_ffbh_u32_e32 v9, v7
	v_min_u32_e32 v9, 32, v9
	v_subrev_u32_e32 v10, 29, v9
	v_bfe_u32 v8, v1, 2, 5
	v_lshlrev_b32_e32 v1, v10, v1
	v_sub_u32_e32 v9, 30, v9
	v_and_b32_e32 v1, 3, v1
	v_cmp_eq_u32_e32 vcc, 0, v8
	v_and_b32_e32 v6, 0x80000000, v6
	s_nop 0
	v_cndmask_b32_e32 v8, v8, v9, vcc
	v_cndmask_b32_e32 v1, v7, v1, vcc
	v_mov_b32_e32 v7, 0x37800000
	v_lshlrev_b32_e32 v1, 21, v1
	v_lshl_add_u32 v7, v8, 23, v7
	v_or3_b32 v6, v6, v7, v1
.LBB400_1207:
	s_or_b64 exec, exec, s[18:19]
	s_mov_b64 s[2:3], 0
	s_branch .LBB400_1213
.LBB400_1208:
	s_mov_b64 s[2:3], -1
                                        ; implicit-def: $vgpr6
	s_branch .LBB400_1219
.LBB400_1209:
	s_or_saveexec_b64 s[20:21], s[20:21]
	v_mov_b32_e32 v6, 0x7f800001
	s_xor_b64 exec, exec, s[20:21]
	s_cbranch_execz .LBB400_1193
.LBB400_1210:
	v_cmp_ne_u16_e32 vcc, 0, v1
	s_andn2_b64 s[18:19], s[18:19], exec
	s_and_b64 s[22:23], vcc, exec
	v_mov_b32_e32 v6, 0
	s_or_b64 s[18:19], s[18:19], s[22:23]
	s_or_b64 exec, exec, s[20:21]
	s_and_saveexec_b64 s[20:21], s[18:19]
	s_cbranch_execnz .LBB400_1194
	s_branch .LBB400_1195
.LBB400_1211:
	s_mov_b64 s[2:3], -1
                                        ; implicit-def: $vgpr6
	s_branch .LBB400_1216
.LBB400_1212:
	s_mov_b64 s[2:3], -1
                                        ; implicit-def: $vgpr6
.LBB400_1213:
	s_and_b64 vcc, exec, s[2:3]
	s_cbranch_vccz .LBB400_1215
; %bb.1214:
	global_load_ubyte v1, v[2:3], off
	s_mov_b32 s2, 0x7f800000
	s_waitcnt vmcnt(0)
	v_lshlrev_b32_e32 v1, 24, v1
	v_and_b32_e32 v6, 0x7f000000, v1
	v_ffbh_u32_e32 v7, v6
	v_min_u32_e32 v7, 32, v7
	v_sub_u32_e64 v7, v7, 4 clamp
	v_lshlrev_b32_e32 v9, v7, v6
	v_lshlrev_b32_e32 v7, 23, v7
	v_lshrrev_b32_e32 v9, 4, v9
	v_add_u32_e32 v8, 0x1000000, v6
	v_sub_u32_e32 v7, v9, v7
	v_ashrrev_i32_e32 v8, 8, v8
	v_add_u32_e32 v7, 0x3c000000, v7
	v_and_or_b32 v7, v8, s2, v7
	v_cmp_ne_u32_e32 vcc, 0, v6
	s_brev_b32 s2, 1
	s_nop 0
	v_cndmask_b32_e32 v6, 0, v7, vcc
	v_and_or_b32 v6, v1, s2, v6
.LBB400_1215:
	s_mov_b64 s[2:3], 0
.LBB400_1216:
	s_andn2_b64 vcc, exec, s[2:3]
	s_cbranch_vccnz .LBB400_1218
; %bb.1217:
	global_load_ubyte v1, v[2:3], off
	s_movk_i32 s2, 0x7f00
	s_brev_b32 s3, 16
	s_waitcnt vmcnt(0)
	v_lshlrev_b16_e32 v6, 8, v1
	v_lshlrev_b32_e32 v1, 25, v1
	v_lshrrev_b32_e32 v7, 4, v1
	v_and_or_b32 v8, v6, s2, 0.5
	v_or_b32_e32 v7, 0x70000000, v7
	v_add_f32_e32 v8, -0.5, v8
	v_mul_f32_e32 v7, 0x7800000, v7
	v_cmp_gt_u32_e32 vcc, s3, v1
	v_bfe_i32 v6, v6, 0, 16
	s_brev_b32 s2, 1
	v_cndmask_b32_e32 v1, v7, v8, vcc
	v_and_or_b32 v6, v6, s2, v1
.LBB400_1218:
	s_mov_b64 s[2:3], 0
	s_mov_b64 s[18:19], -1
.LBB400_1219:
	s_andn2_b64 vcc, exec, s[2:3]
	s_mov_b64 s[2:3], 0
	s_cbranch_vccnz .LBB400_1230
; %bb.1220:
	s_cmp_gt_i32 s11, 14
	s_cbranch_scc0 .LBB400_1223
; %bb.1221:
	s_cmp_eq_u32 s11, 15
	s_cbranch_scc0 .LBB400_1226
; %bb.1222:
	global_load_ushort v1, v[2:3], off
	s_mov_b64 s[0:1], 0
	s_mov_b64 s[18:19], -1
	s_waitcnt vmcnt(0)
	v_lshlrev_b32_e32 v6, 16, v1
	s_branch .LBB400_1227
.LBB400_1223:
	s_mov_b64 s[20:21], -1
                                        ; implicit-def: $vgpr6
	s_branch .LBB400_1228
.LBB400_1224:
	s_or_saveexec_b64 s[18:19], s[18:19]
	v_mov_b32_e32 v6, 0x7f800001
	s_xor_b64 exec, exec, s[18:19]
	s_cbranch_execz .LBB400_1205
.LBB400_1225:
	v_cmp_ne_u16_e32 vcc, 0, v1
	s_andn2_b64 s[2:3], s[2:3], exec
	s_and_b64 s[20:21], vcc, exec
	v_mov_b32_e32 v6, 0
	s_or_b64 s[2:3], s[2:3], s[20:21]
	s_or_b64 exec, exec, s[18:19]
	s_and_saveexec_b64 s[18:19], s[2:3]
	s_cbranch_execnz .LBB400_1206
	s_branch .LBB400_1207
.LBB400_1226:
	s_mov_b64 s[0:1], -1
                                        ; implicit-def: $vgpr6
.LBB400_1227:
	s_mov_b64 s[20:21], 0
.LBB400_1228:
	s_and_b64 vcc, exec, s[20:21]
	s_cbranch_vccz .LBB400_1230
; %bb.1229:
	s_cmp_lg_u32 s11, 11
	s_mov_b64 s[2:3], -1
	s_cselect_b64 s[0:1], -1, 0
.LBB400_1230:
	s_and_b64 vcc, exec, s[0:1]
	s_cbranch_vccnz .LBB400_1293
; %bb.1231:
	s_andn2_b64 vcc, exec, s[2:3]
	s_cbranch_vccnz .LBB400_1233
.LBB400_1232:
	global_load_ubyte v1, v[2:3], off
	s_mov_b64 s[18:19], -1
	s_waitcnt vmcnt(0)
	v_cmp_ne_u16_e32 vcc, 0, v1
	s_nop 1
	v_cndmask_b32_e64 v6, 0, 1.0, vcc
.LBB400_1233:
	s_branch .LBB400_1160
.LBB400_1234:
	s_cmp_lt_i32 s11, 5
	s_cbranch_scc1 .LBB400_1239
; %bb.1235:
	s_cmp_lt_i32 s11, 8
	s_cbranch_scc1 .LBB400_1240
; %bb.1236:
	;; [unrolled: 3-line block ×3, first 2 shown]
	s_cmp_gt_i32 s11, 9
	s_cbranch_scc0 .LBB400_1242
; %bb.1238:
	global_load_dwordx2 v[6:7], v[2:3], off
	s_mov_b64 s[0:1], 0
	s_waitcnt vmcnt(0)
	v_cvt_f32_f64_e32 v6, v[6:7]
	s_branch .LBB400_1243
.LBB400_1239:
                                        ; implicit-def: $vgpr6
	s_branch .LBB400_1261
.LBB400_1240:
	s_mov_b64 s[0:1], -1
                                        ; implicit-def: $vgpr6
	s_branch .LBB400_1249
.LBB400_1241:
	s_mov_b64 s[0:1], -1
                                        ; implicit-def: $vgpr6
	s_branch .LBB400_1246
.LBB400_1242:
	s_mov_b64 s[0:1], -1
                                        ; implicit-def: $vgpr6
.LBB400_1243:
	s_andn2_b64 vcc, exec, s[0:1]
	s_cbranch_vccnz .LBB400_1245
; %bb.1244:
	global_load_dword v6, v[2:3], off
.LBB400_1245:
	s_mov_b64 s[0:1], 0
.LBB400_1246:
	s_andn2_b64 vcc, exec, s[0:1]
	s_cbranch_vccnz .LBB400_1248
; %bb.1247:
	global_load_dword v1, v[2:3], off
	s_waitcnt vmcnt(0)
	v_cvt_f32_f16_e32 v6, v1
.LBB400_1248:
	s_mov_b64 s[0:1], 0
.LBB400_1249:
	s_andn2_b64 vcc, exec, s[0:1]
	s_cbranch_vccnz .LBB400_1260
; %bb.1250:
	s_cmp_lt_i32 s11, 6
	s_cbranch_scc1 .LBB400_1253
; %bb.1251:
	s_cmp_gt_i32 s11, 6
	s_cbranch_scc0 .LBB400_1254
; %bb.1252:
	global_load_dwordx2 v[6:7], v[2:3], off
	s_mov_b64 s[0:1], 0
	s_waitcnt vmcnt(0)
	v_cvt_f32_f64_e32 v6, v[6:7]
	s_branch .LBB400_1255
.LBB400_1253:
	s_mov_b64 s[0:1], -1
                                        ; implicit-def: $vgpr6
	s_branch .LBB400_1258
.LBB400_1254:
	s_mov_b64 s[0:1], -1
                                        ; implicit-def: $vgpr6
.LBB400_1255:
	s_andn2_b64 vcc, exec, s[0:1]
	s_cbranch_vccnz .LBB400_1257
; %bb.1256:
	global_load_dword v6, v[2:3], off
.LBB400_1257:
	s_mov_b64 s[0:1], 0
.LBB400_1258:
	s_andn2_b64 vcc, exec, s[0:1]
	s_cbranch_vccnz .LBB400_1260
; %bb.1259:
	global_load_ushort v1, v[2:3], off
	s_waitcnt vmcnt(0)
	v_cvt_f32_f16_e32 v6, v1
.LBB400_1260:
	s_cbranch_execnz .LBB400_1280
.LBB400_1261:
	s_cmp_lt_i32 s11, 2
	s_cbranch_scc1 .LBB400_1265
; %bb.1262:
	s_cmp_lt_i32 s11, 3
	s_cbranch_scc1 .LBB400_1266
; %bb.1263:
	s_cmp_gt_i32 s11, 3
	s_cbranch_scc0 .LBB400_1267
; %bb.1264:
	global_load_dwordx2 v[6:7], v[2:3], off
	s_mov_b64 s[0:1], 0
	s_waitcnt vmcnt(0)
	v_xor_b32_e32 v8, v6, v7
	v_ffbh_i32_e32 v1, v7
	v_ashrrev_i32_e32 v8, 31, v8
	v_add_u32_e32 v1, -1, v1
	v_add_u32_e32 v8, 32, v8
	v_min_u32_e32 v1, v1, v8
	v_lshlrev_b64 v[6:7], v1, v[6:7]
	v_min_u32_e32 v6, 1, v6
	v_or_b32_e32 v6, v7, v6
	v_cvt_f32_i32_e32 v6, v6
	v_sub_u32_e32 v1, 32, v1
	v_ldexp_f32 v6, v6, v1
	s_branch .LBB400_1268
.LBB400_1265:
	s_mov_b64 s[0:1], -1
                                        ; implicit-def: $vgpr6
	s_branch .LBB400_1274
.LBB400_1266:
	s_mov_b64 s[0:1], -1
                                        ; implicit-def: $vgpr6
	s_branch .LBB400_1271
.LBB400_1267:
	s_mov_b64 s[0:1], -1
                                        ; implicit-def: $vgpr6
.LBB400_1268:
	s_andn2_b64 vcc, exec, s[0:1]
	s_cbranch_vccnz .LBB400_1270
; %bb.1269:
	global_load_dword v1, v[2:3], off
	s_waitcnt vmcnt(0)
	v_cvt_f32_i32_e32 v6, v1
.LBB400_1270:
	s_mov_b64 s[0:1], 0
.LBB400_1271:
	s_andn2_b64 vcc, exec, s[0:1]
	s_cbranch_vccnz .LBB400_1273
; %bb.1272:
	global_load_sshort v1, v[2:3], off
	s_waitcnt vmcnt(0)
	v_cvt_f32_i32_e32 v6, v1
.LBB400_1273:
	s_mov_b64 s[0:1], 0
.LBB400_1274:
	s_andn2_b64 vcc, exec, s[0:1]
	s_cbranch_vccnz .LBB400_1280
; %bb.1275:
	s_cmp_gt_i32 s11, 0
	s_cbranch_scc0 .LBB400_1277
; %bb.1276:
	global_load_sbyte v1, v[2:3], off
	s_mov_b64 s[0:1], 0
	s_waitcnt vmcnt(0)
	v_cvt_f32_i32_e32 v6, v1
	s_branch .LBB400_1278
.LBB400_1277:
	s_mov_b64 s[0:1], -1
                                        ; implicit-def: $vgpr6
.LBB400_1278:
	s_andn2_b64 vcc, exec, s[0:1]
	s_cbranch_vccnz .LBB400_1280
; %bb.1279:
	global_load_ubyte v1, v[2:3], off
	s_waitcnt vmcnt(0)
	v_cvt_f32_ubyte0_e32 v6, v1
.LBB400_1280:
.LBB400_1281:
	v_add_u32_e32 v0, s9, v0
	v_ashrrev_i32_e32 v1, 31, v0
	s_cmp_lt_i32 s11, 11
	v_lshl_add_u64 v[2:3], s[6:7], 0, v[0:1]
	s_cbranch_scc1 .LBB400_1288
; %bb.1282:
	s_cmp_gt_i32 s11, 25
	s_mov_b64 s[2:3], 0
	s_cbranch_scc0 .LBB400_1290
; %bb.1283:
	s_cmp_gt_i32 s11, 28
	s_cbranch_scc0 .LBB400_1291
; %bb.1284:
	s_cmp_gt_i32 s11, 43
	;; [unrolled: 3-line block ×3, first 2 shown]
	s_cbranch_scc0 .LBB400_1294
; %bb.1286:
	s_cmp_eq_u32 s11, 46
	s_mov_b64 s[20:21], 0
	s_cbranch_scc0 .LBB400_1295
; %bb.1287:
	global_load_dword v1, v[2:3], off
	s_mov_b64 s[0:1], 0
	s_mov_b64 s[18:19], -1
	s_waitcnt vmcnt(0)
	v_lshlrev_b32_e32 v7, 16, v1
	s_branch .LBB400_1296
.LBB400_1288:
	s_mov_b64 s[18:19], 0
                                        ; implicit-def: $vgpr7
	s_cbranch_execnz .LBB400_1362
.LBB400_1289:
	s_andn2_b64 vcc, exec, s[18:19]
	s_cbranch_vccnz .LBB400_1973
	s_branch .LBB400_1410
.LBB400_1290:
	s_mov_b64 s[20:21], -1
	s_mov_b64 s[18:19], 0
	s_mov_b64 s[0:1], 0
                                        ; implicit-def: $vgpr7
	s_branch .LBB400_1325
.LBB400_1291:
	s_mov_b64 s[20:21], -1
	s_mov_b64 s[18:19], 0
	s_mov_b64 s[0:1], 0
                                        ; implicit-def: $vgpr7
	s_branch .LBB400_1306
.LBB400_1292:
	s_mov_b64 s[20:21], -1
	s_mov_b64 s[18:19], 0
	s_mov_b64 s[0:1], 0
                                        ; implicit-def: $vgpr7
	s_branch .LBB400_1301
.LBB400_1293:
	s_trap 2
	s_or_b64 s[16:17], s[16:17], exec
	s_cbranch_execz .LBB400_1232
	s_branch .LBB400_1233
.LBB400_1294:
	s_mov_b64 s[20:21], -1
	s_mov_b64 s[18:19], 0
	s_mov_b64 s[0:1], 0
                                        ; implicit-def: $vgpr7
	s_branch .LBB400_1296
.LBB400_1295:
	s_mov_b64 s[0:1], -1
                                        ; implicit-def: $vgpr7
	s_mov_b64 s[18:19], 0
.LBB400_1296:
	s_and_b64 vcc, exec, s[20:21]
	s_cbranch_vccz .LBB400_1300
; %bb.1297:
	s_cmp_eq_u32 s11, 44
	s_cbranch_scc0 .LBB400_1299
; %bb.1298:
	global_load_ubyte v1, v[2:3], off
	s_movk_i32 s18, 0xff
	v_mov_b32_e32 v7, 0x7f800001
	v_mov_b32_e32 v8, 0x400000
	s_mov_b64 s[0:1], 0
	s_waitcnt vmcnt(0)
	v_lshlrev_b32_e32 v9, 23, v1
	v_cmp_ne_u32_e32 vcc, s18, v1
	s_mov_b64 s[18:19], -1
	s_nop 0
	v_cndmask_b32_e32 v7, v7, v9, vcc
	v_cmp_ne_u32_e32 vcc, 0, v1
	s_nop 1
	v_cndmask_b32_e32 v7, v8, v7, vcc
	s_branch .LBB400_1300
.LBB400_1299:
	s_mov_b64 s[0:1], -1
                                        ; implicit-def: $vgpr7
.LBB400_1300:
	s_mov_b64 s[20:21], 0
.LBB400_1301:
	s_and_b64 vcc, exec, s[20:21]
	s_cbranch_vccz .LBB400_1305
; %bb.1302:
	s_cmp_eq_u32 s11, 29
	s_cbranch_scc0 .LBB400_1304
; %bb.1303:
	global_load_dwordx2 v[8:9], v[2:3], off
	s_mov_b64 s[0:1], 0
	s_mov_b64 s[18:19], -1
	s_mov_b64 s[20:21], 0
	s_waitcnt vmcnt(0)
	v_ffbh_u32_e32 v1, v9
	v_min_u32_e32 v1, 32, v1
	v_lshlrev_b64 v[8:9], v1, v[8:9]
	v_min_u32_e32 v7, 1, v8
	v_or_b32_e32 v7, v9, v7
	v_cvt_f32_u32_e32 v7, v7
	v_sub_u32_e32 v1, 32, v1
	v_ldexp_f32 v7, v7, v1
	s_branch .LBB400_1306
.LBB400_1304:
	s_mov_b64 s[0:1], -1
                                        ; implicit-def: $vgpr7
.LBB400_1305:
	s_mov_b64 s[20:21], 0
.LBB400_1306:
	s_and_b64 vcc, exec, s[20:21]
	s_cbranch_vccz .LBB400_1324
; %bb.1307:
	s_cmp_lt_i32 s11, 27
	s_cbranch_scc1 .LBB400_1310
; %bb.1308:
	s_cmp_gt_i32 s11, 27
	s_cbranch_scc0 .LBB400_1311
; %bb.1309:
	global_load_dword v1, v[2:3], off
	s_mov_b64 s[18:19], 0
	s_waitcnt vmcnt(0)
	v_cvt_f32_u32_e32 v7, v1
	s_branch .LBB400_1312
.LBB400_1310:
	s_mov_b64 s[18:19], -1
                                        ; implicit-def: $vgpr7
	s_branch .LBB400_1315
.LBB400_1311:
	s_mov_b64 s[18:19], -1
                                        ; implicit-def: $vgpr7
.LBB400_1312:
	s_andn2_b64 vcc, exec, s[18:19]
	s_cbranch_vccnz .LBB400_1314
; %bb.1313:
	global_load_ushort v1, v[2:3], off
	s_waitcnt vmcnt(0)
	v_cvt_f32_u32_e32 v7, v1
.LBB400_1314:
	s_mov_b64 s[18:19], 0
.LBB400_1315:
	s_andn2_b64 vcc, exec, s[18:19]
	s_cbranch_vccnz .LBB400_1323
; %bb.1316:
	global_load_ubyte v1, v[2:3], off
	s_movk_i32 s18, 0x7f
	s_waitcnt vmcnt(0)
	v_cmp_lt_i16_e32 vcc, s18, v1
	s_mov_b64 s[18:19], 0
	s_and_saveexec_b64 s[20:21], vcc
	s_xor_b64 s[20:21], exec, s[20:21]
	s_cbranch_execz .LBB400_1337
; %bb.1317:
	s_movk_i32 s18, 0x80
	v_cmp_eq_u16_e32 vcc, s18, v1
	s_mov_b64 s[18:19], -1
	s_and_saveexec_b64 s[22:23], vcc
; %bb.1318:
	s_xor_b64 s[18:19], exec, -1
; %bb.1319:
	s_or_b64 exec, exec, s[22:23]
	s_and_b64 s[18:19], s[18:19], exec
	s_or_saveexec_b64 s[20:21], s[20:21]
	v_mov_b32_e32 v7, 0x7f800001
	s_xor_b64 exec, exec, s[20:21]
	s_cbranch_execnz .LBB400_1338
.LBB400_1320:
	s_or_b64 exec, exec, s[20:21]
	s_and_saveexec_b64 s[20:21], s[18:19]
	s_cbranch_execz .LBB400_1322
.LBB400_1321:
	v_lshlrev_b32_e32 v7, 24, v1
	v_and_b32_e32 v1, 0xffff, v1
	v_and_b32_e32 v8, 7, v1
	v_ffbh_u32_e32 v10, v8
	v_min_u32_e32 v10, 32, v10
	v_subrev_u32_e32 v11, 28, v10
	v_bfe_u32 v9, v1, 3, 4
	v_lshlrev_b32_e32 v1, v11, v1
	v_sub_u32_e32 v10, 29, v10
	v_and_b32_e32 v1, 7, v1
	v_cmp_eq_u32_e32 vcc, 0, v9
	v_and_b32_e32 v7, 0x80000000, v7
	s_nop 0
	v_cndmask_b32_e32 v9, v9, v10, vcc
	v_cndmask_b32_e32 v1, v8, v1, vcc
	v_mov_b32_e32 v8, 0x3b800000
	v_lshlrev_b32_e32 v1, 20, v1
	v_lshl_add_u32 v8, v9, 23, v8
	v_or3_b32 v7, v7, v8, v1
.LBB400_1322:
	s_or_b64 exec, exec, s[20:21]
.LBB400_1323:
	s_mov_b64 s[18:19], -1
.LBB400_1324:
	s_mov_b64 s[20:21], 0
.LBB400_1325:
	s_and_b64 vcc, exec, s[20:21]
	s_cbranch_vccz .LBB400_1358
; %bb.1326:
	s_cmp_gt_i32 s11, 22
	s_cbranch_scc0 .LBB400_1336
; %bb.1327:
	s_cmp_lt_i32 s11, 24
	s_cbranch_scc1 .LBB400_1339
; %bb.1328:
	s_cmp_gt_i32 s11, 24
	s_cbranch_scc0 .LBB400_1340
; %bb.1329:
	global_load_ubyte v1, v[2:3], off
	s_movk_i32 s2, 0x7f
	s_waitcnt vmcnt(0)
	v_cmp_lt_i16_e32 vcc, s2, v1
	s_mov_b64 s[2:3], 0
	s_and_saveexec_b64 s[18:19], vcc
	s_xor_b64 s[18:19], exec, s[18:19]
	s_cbranch_execz .LBB400_1352
; %bb.1330:
	s_movk_i32 s2, 0x80
	v_cmp_eq_u16_e32 vcc, s2, v1
	s_mov_b64 s[2:3], -1
	s_and_saveexec_b64 s[20:21], vcc
; %bb.1331:
	s_xor_b64 s[2:3], exec, -1
; %bb.1332:
	s_or_b64 exec, exec, s[20:21]
	s_and_b64 s[2:3], s[2:3], exec
	s_or_saveexec_b64 s[18:19], s[18:19]
	v_mov_b32_e32 v7, 0x7f800001
	s_xor_b64 exec, exec, s[18:19]
	s_cbranch_execnz .LBB400_1353
.LBB400_1333:
	s_or_b64 exec, exec, s[18:19]
	s_and_saveexec_b64 s[18:19], s[2:3]
	s_cbranch_execz .LBB400_1335
.LBB400_1334:
	v_lshlrev_b32_e32 v7, 24, v1
	v_and_b32_e32 v1, 0xffff, v1
	v_and_b32_e32 v8, 3, v1
	v_ffbh_u32_e32 v10, v8
	v_min_u32_e32 v10, 32, v10
	v_subrev_u32_e32 v11, 29, v10
	v_bfe_u32 v9, v1, 2, 5
	v_lshlrev_b32_e32 v1, v11, v1
	v_sub_u32_e32 v10, 30, v10
	v_and_b32_e32 v1, 3, v1
	v_cmp_eq_u32_e32 vcc, 0, v9
	v_and_b32_e32 v7, 0x80000000, v7
	s_nop 0
	v_cndmask_b32_e32 v9, v9, v10, vcc
	v_cndmask_b32_e32 v1, v8, v1, vcc
	v_mov_b32_e32 v8, 0x37800000
	v_lshlrev_b32_e32 v1, 21, v1
	v_lshl_add_u32 v8, v9, 23, v8
	v_or3_b32 v7, v7, v8, v1
.LBB400_1335:
	s_or_b64 exec, exec, s[18:19]
	s_mov_b64 s[2:3], 0
	s_branch .LBB400_1341
.LBB400_1336:
	s_mov_b64 s[2:3], -1
                                        ; implicit-def: $vgpr7
	s_branch .LBB400_1347
.LBB400_1337:
	s_or_saveexec_b64 s[20:21], s[20:21]
	v_mov_b32_e32 v7, 0x7f800001
	s_xor_b64 exec, exec, s[20:21]
	s_cbranch_execz .LBB400_1320
.LBB400_1338:
	v_cmp_ne_u16_e32 vcc, 0, v1
	s_andn2_b64 s[18:19], s[18:19], exec
	s_and_b64 s[22:23], vcc, exec
	v_mov_b32_e32 v7, 0
	s_or_b64 s[18:19], s[18:19], s[22:23]
	s_or_b64 exec, exec, s[20:21]
	s_and_saveexec_b64 s[20:21], s[18:19]
	s_cbranch_execnz .LBB400_1321
	s_branch .LBB400_1322
.LBB400_1339:
	s_mov_b64 s[2:3], -1
                                        ; implicit-def: $vgpr7
	s_branch .LBB400_1344
.LBB400_1340:
	s_mov_b64 s[2:3], -1
                                        ; implicit-def: $vgpr7
.LBB400_1341:
	s_and_b64 vcc, exec, s[2:3]
	s_cbranch_vccz .LBB400_1343
; %bb.1342:
	global_load_ubyte v1, v[2:3], off
	s_mov_b32 s2, 0x7f800000
	s_waitcnt vmcnt(0)
	v_lshlrev_b32_e32 v1, 24, v1
	v_and_b32_e32 v7, 0x7f000000, v1
	v_ffbh_u32_e32 v8, v7
	v_min_u32_e32 v8, 32, v8
	v_sub_u32_e64 v8, v8, 4 clamp
	v_lshlrev_b32_e32 v10, v8, v7
	v_lshlrev_b32_e32 v8, 23, v8
	v_lshrrev_b32_e32 v10, 4, v10
	v_add_u32_e32 v9, 0x1000000, v7
	v_sub_u32_e32 v8, v10, v8
	v_ashrrev_i32_e32 v9, 8, v9
	v_add_u32_e32 v8, 0x3c000000, v8
	v_and_or_b32 v8, v9, s2, v8
	v_cmp_ne_u32_e32 vcc, 0, v7
	s_brev_b32 s2, 1
	s_nop 0
	v_cndmask_b32_e32 v7, 0, v8, vcc
	v_and_or_b32 v7, v1, s2, v7
.LBB400_1343:
	s_mov_b64 s[2:3], 0
.LBB400_1344:
	s_andn2_b64 vcc, exec, s[2:3]
	s_cbranch_vccnz .LBB400_1346
; %bb.1345:
	global_load_ubyte v1, v[2:3], off
	s_movk_i32 s2, 0x7f00
	s_brev_b32 s3, 16
	s_waitcnt vmcnt(0)
	v_lshlrev_b16_e32 v7, 8, v1
	v_lshlrev_b32_e32 v1, 25, v1
	v_lshrrev_b32_e32 v8, 4, v1
	v_and_or_b32 v9, v7, s2, 0.5
	v_or_b32_e32 v8, 0x70000000, v8
	v_add_f32_e32 v9, -0.5, v9
	v_mul_f32_e32 v8, 0x7800000, v8
	v_cmp_gt_u32_e32 vcc, s3, v1
	v_bfe_i32 v7, v7, 0, 16
	s_brev_b32 s2, 1
	v_cndmask_b32_e32 v1, v8, v9, vcc
	v_and_or_b32 v7, v7, s2, v1
.LBB400_1346:
	s_mov_b64 s[2:3], 0
	s_mov_b64 s[18:19], -1
.LBB400_1347:
	s_andn2_b64 vcc, exec, s[2:3]
	s_mov_b64 s[2:3], 0
	s_cbranch_vccnz .LBB400_1358
; %bb.1348:
	s_cmp_gt_i32 s11, 14
	s_cbranch_scc0 .LBB400_1351
; %bb.1349:
	s_cmp_eq_u32 s11, 15
	s_cbranch_scc0 .LBB400_1354
; %bb.1350:
	global_load_ushort v1, v[2:3], off
	s_mov_b64 s[0:1], 0
	s_mov_b64 s[18:19], -1
	s_waitcnt vmcnt(0)
	v_lshlrev_b32_e32 v7, 16, v1
	s_branch .LBB400_1355
.LBB400_1351:
	s_mov_b64 s[20:21], -1
                                        ; implicit-def: $vgpr7
	s_branch .LBB400_1356
.LBB400_1352:
	s_or_saveexec_b64 s[18:19], s[18:19]
	v_mov_b32_e32 v7, 0x7f800001
	s_xor_b64 exec, exec, s[18:19]
	s_cbranch_execz .LBB400_1333
.LBB400_1353:
	v_cmp_ne_u16_e32 vcc, 0, v1
	s_andn2_b64 s[2:3], s[2:3], exec
	s_and_b64 s[20:21], vcc, exec
	v_mov_b32_e32 v7, 0
	s_or_b64 s[2:3], s[2:3], s[20:21]
	s_or_b64 exec, exec, s[18:19]
	s_and_saveexec_b64 s[18:19], s[2:3]
	s_cbranch_execnz .LBB400_1334
	s_branch .LBB400_1335
.LBB400_1354:
	s_mov_b64 s[0:1], -1
                                        ; implicit-def: $vgpr7
.LBB400_1355:
	s_mov_b64 s[20:21], 0
.LBB400_1356:
	s_and_b64 vcc, exec, s[20:21]
	s_cbranch_vccz .LBB400_1358
; %bb.1357:
	s_cmp_lg_u32 s11, 11
	s_mov_b64 s[2:3], -1
	s_cselect_b64 s[0:1], -1, 0
.LBB400_1358:
	s_and_b64 vcc, exec, s[0:1]
	s_cbranch_vccnz .LBB400_1421
; %bb.1359:
	s_andn2_b64 vcc, exec, s[2:3]
	s_cbranch_vccnz .LBB400_1361
.LBB400_1360:
	global_load_ubyte v1, v[2:3], off
	s_mov_b64 s[18:19], -1
	s_waitcnt vmcnt(0)
	v_cmp_ne_u16_e32 vcc, 0, v1
	s_nop 1
	v_cndmask_b32_e64 v7, 0, 1.0, vcc
.LBB400_1361:
	s_branch .LBB400_1289
.LBB400_1362:
	s_cmp_lt_i32 s11, 5
	s_cbranch_scc1 .LBB400_1367
; %bb.1363:
	s_cmp_lt_i32 s11, 8
	s_cbranch_scc1 .LBB400_1368
; %bb.1364:
	;; [unrolled: 3-line block ×3, first 2 shown]
	s_cmp_gt_i32 s11, 9
	s_cbranch_scc0 .LBB400_1370
; %bb.1366:
	global_load_dwordx2 v[8:9], v[2:3], off
	s_mov_b64 s[0:1], 0
	s_waitcnt vmcnt(0)
	v_cvt_f32_f64_e32 v7, v[8:9]
	s_branch .LBB400_1371
.LBB400_1367:
	s_mov_b64 s[0:1], -1
                                        ; implicit-def: $vgpr7
	s_branch .LBB400_1389
.LBB400_1368:
	s_mov_b64 s[0:1], -1
                                        ; implicit-def: $vgpr7
	s_branch .LBB400_1377
.LBB400_1369:
	s_mov_b64 s[0:1], -1
                                        ; implicit-def: $vgpr7
	s_branch .LBB400_1374
.LBB400_1370:
	s_mov_b64 s[0:1], -1
                                        ; implicit-def: $vgpr7
.LBB400_1371:
	s_andn2_b64 vcc, exec, s[0:1]
	s_cbranch_vccnz .LBB400_1373
; %bb.1372:
	global_load_dword v7, v[2:3], off
.LBB400_1373:
	s_mov_b64 s[0:1], 0
.LBB400_1374:
	s_andn2_b64 vcc, exec, s[0:1]
	s_cbranch_vccnz .LBB400_1376
; %bb.1375:
	global_load_dword v1, v[2:3], off
	s_waitcnt vmcnt(0)
	v_cvt_f32_f16_e32 v7, v1
.LBB400_1376:
	s_mov_b64 s[0:1], 0
.LBB400_1377:
	s_andn2_b64 vcc, exec, s[0:1]
	s_cbranch_vccnz .LBB400_1388
; %bb.1378:
	s_cmp_lt_i32 s11, 6
	s_cbranch_scc1 .LBB400_1381
; %bb.1379:
	s_cmp_gt_i32 s11, 6
	s_cbranch_scc0 .LBB400_1382
; %bb.1380:
	global_load_dwordx2 v[8:9], v[2:3], off
	s_mov_b64 s[0:1], 0
	s_waitcnt vmcnt(0)
	v_cvt_f32_f64_e32 v7, v[8:9]
	s_branch .LBB400_1383
.LBB400_1381:
	s_mov_b64 s[0:1], -1
                                        ; implicit-def: $vgpr7
	s_branch .LBB400_1386
.LBB400_1382:
	s_mov_b64 s[0:1], -1
                                        ; implicit-def: $vgpr7
.LBB400_1383:
	s_andn2_b64 vcc, exec, s[0:1]
	s_cbranch_vccnz .LBB400_1385
; %bb.1384:
	global_load_dword v7, v[2:3], off
.LBB400_1385:
	s_mov_b64 s[0:1], 0
.LBB400_1386:
	s_andn2_b64 vcc, exec, s[0:1]
	s_cbranch_vccnz .LBB400_1388
; %bb.1387:
	global_load_ushort v1, v[2:3], off
	s_waitcnt vmcnt(0)
	v_cvt_f32_f16_e32 v7, v1
.LBB400_1388:
	s_mov_b64 s[0:1], 0
.LBB400_1389:
	s_andn2_b64 vcc, exec, s[0:1]
	s_cbranch_vccnz .LBB400_1409
; %bb.1390:
	s_cmp_lt_i32 s11, 2
	s_cbranch_scc1 .LBB400_1394
; %bb.1391:
	s_cmp_lt_i32 s11, 3
	s_cbranch_scc1 .LBB400_1395
; %bb.1392:
	s_cmp_gt_i32 s11, 3
	s_cbranch_scc0 .LBB400_1396
; %bb.1393:
	global_load_dwordx2 v[8:9], v[2:3], off
	s_mov_b64 s[0:1], 0
	s_waitcnt vmcnt(0)
	v_xor_b32_e32 v7, v8, v9
	v_ffbh_i32_e32 v1, v9
	v_ashrrev_i32_e32 v7, 31, v7
	v_add_u32_e32 v1, -1, v1
	v_add_u32_e32 v7, 32, v7
	v_min_u32_e32 v1, v1, v7
	v_lshlrev_b64 v[8:9], v1, v[8:9]
	v_min_u32_e32 v7, 1, v8
	v_or_b32_e32 v7, v9, v7
	v_cvt_f32_i32_e32 v7, v7
	v_sub_u32_e32 v1, 32, v1
	v_ldexp_f32 v7, v7, v1
	s_branch .LBB400_1397
.LBB400_1394:
	s_mov_b64 s[0:1], -1
                                        ; implicit-def: $vgpr7
	s_branch .LBB400_1403
.LBB400_1395:
	s_mov_b64 s[0:1], -1
                                        ; implicit-def: $vgpr7
	s_branch .LBB400_1400
.LBB400_1396:
	s_mov_b64 s[0:1], -1
                                        ; implicit-def: $vgpr7
.LBB400_1397:
	s_andn2_b64 vcc, exec, s[0:1]
	s_cbranch_vccnz .LBB400_1399
; %bb.1398:
	global_load_dword v1, v[2:3], off
	s_waitcnt vmcnt(0)
	v_cvt_f32_i32_e32 v7, v1
.LBB400_1399:
	s_mov_b64 s[0:1], 0
.LBB400_1400:
	s_andn2_b64 vcc, exec, s[0:1]
	s_cbranch_vccnz .LBB400_1402
; %bb.1401:
	global_load_sshort v1, v[2:3], off
	s_waitcnt vmcnt(0)
	v_cvt_f32_i32_e32 v7, v1
.LBB400_1402:
	s_mov_b64 s[0:1], 0
.LBB400_1403:
	s_andn2_b64 vcc, exec, s[0:1]
	s_cbranch_vccnz .LBB400_1409
; %bb.1404:
	s_cmp_gt_i32 s11, 0
	s_cbranch_scc0 .LBB400_1406
; %bb.1405:
	global_load_sbyte v1, v[2:3], off
	s_mov_b64 s[0:1], 0
	s_waitcnt vmcnt(0)
	v_cvt_f32_i32_e32 v7, v1
	s_branch .LBB400_1407
.LBB400_1406:
	s_mov_b64 s[0:1], -1
                                        ; implicit-def: $vgpr7
.LBB400_1407:
	s_andn2_b64 vcc, exec, s[0:1]
	s_cbranch_vccnz .LBB400_1409
; %bb.1408:
	global_load_ubyte v1, v[2:3], off
	s_waitcnt vmcnt(0)
	v_cvt_f32_ubyte0_e32 v7, v1
.LBB400_1409:
.LBB400_1410:
	v_add_u32_e32 v0, s9, v0
	v_ashrrev_i32_e32 v1, 31, v0
	s_cmp_lt_i32 s11, 11
	v_lshl_add_u64 v[0:1], s[6:7], 0, v[0:1]
	s_cbranch_scc1 .LBB400_1417
; %bb.1411:
	s_cmp_gt_i32 s11, 25
	s_mov_b64 s[2:3], 0
	s_cbranch_scc0 .LBB400_1418
; %bb.1412:
	s_cmp_gt_i32 s11, 28
	s_cbranch_scc0 .LBB400_1419
; %bb.1413:
	s_cmp_gt_i32 s11, 43
	;; [unrolled: 3-line block ×3, first 2 shown]
	s_cbranch_scc0 .LBB400_1422
; %bb.1415:
	s_cmp_eq_u32 s11, 46
	s_mov_b64 s[18:19], 0
	s_cbranch_scc0 .LBB400_1423
; %bb.1416:
	global_load_dword v2, v[0:1], off
	s_mov_b64 s[0:1], 0
	s_mov_b64 s[6:7], -1
	s_waitcnt vmcnt(0)
	v_lshlrev_b32_e32 v8, 16, v2
	s_branch .LBB400_1424
.LBB400_1417:
	s_mov_b64 s[0:1], -1
	s_mov_b64 s[6:7], 0
                                        ; implicit-def: $vgpr8
	s_branch .LBB400_1490
.LBB400_1418:
	s_mov_b64 s[18:19], -1
	s_mov_b64 s[6:7], 0
	s_mov_b64 s[0:1], 0
                                        ; implicit-def: $vgpr8
	s_branch .LBB400_1453
.LBB400_1419:
	s_mov_b64 s[18:19], -1
	s_mov_b64 s[6:7], 0
	s_mov_b64 s[0:1], 0
                                        ; implicit-def: $vgpr8
	s_branch .LBB400_1434
.LBB400_1420:
	s_mov_b64 s[18:19], -1
	s_mov_b64 s[6:7], 0
	s_mov_b64 s[0:1], 0
                                        ; implicit-def: $vgpr8
	s_branch .LBB400_1429
.LBB400_1421:
	s_trap 2
	s_or_b64 s[16:17], s[16:17], exec
	s_cbranch_execz .LBB400_1360
	s_branch .LBB400_1361
.LBB400_1422:
	s_mov_b64 s[18:19], -1
	s_mov_b64 s[6:7], 0
	s_mov_b64 s[0:1], 0
                                        ; implicit-def: $vgpr8
	s_branch .LBB400_1424
.LBB400_1423:
	s_mov_b64 s[0:1], -1
                                        ; implicit-def: $vgpr8
	s_mov_b64 s[6:7], 0
.LBB400_1424:
	s_and_b64 vcc, exec, s[18:19]
	s_cbranch_vccz .LBB400_1428
; %bb.1425:
	s_cmp_eq_u32 s11, 44
	s_cbranch_scc0 .LBB400_1427
; %bb.1426:
	global_load_ubyte v2, v[0:1], off
	s_movk_i32 s6, 0xff
	v_mov_b32_e32 v3, 0x7f800001
	v_mov_b32_e32 v8, 0x400000
	s_mov_b64 s[0:1], 0
	s_waitcnt vmcnt(0)
	v_lshlrev_b32_e32 v9, 23, v2
	v_cmp_ne_u32_e32 vcc, s6, v2
	s_mov_b64 s[6:7], -1
	s_nop 0
	v_cndmask_b32_e32 v3, v3, v9, vcc
	v_cmp_ne_u32_e32 vcc, 0, v2
	s_nop 1
	v_cndmask_b32_e32 v8, v8, v3, vcc
	s_branch .LBB400_1428
.LBB400_1427:
	s_mov_b64 s[0:1], -1
                                        ; implicit-def: $vgpr8
.LBB400_1428:
	s_mov_b64 s[18:19], 0
.LBB400_1429:
	s_and_b64 vcc, exec, s[18:19]
	s_cbranch_vccz .LBB400_1433
; %bb.1430:
	s_cmp_eq_u32 s11, 29
	s_cbranch_scc0 .LBB400_1432
; %bb.1431:
	global_load_dwordx2 v[2:3], v[0:1], off
	s_mov_b64 s[0:1], 0
	s_mov_b64 s[6:7], -1
	s_mov_b64 s[18:19], 0
	s_waitcnt vmcnt(0)
	v_ffbh_u32_e32 v8, v3
	v_min_u32_e32 v8, 32, v8
	v_lshlrev_b64 v[2:3], v8, v[2:3]
	v_min_u32_e32 v2, 1, v2
	v_or_b32_e32 v2, v3, v2
	v_cvt_f32_u32_e32 v2, v2
	v_sub_u32_e32 v3, 32, v8
	v_ldexp_f32 v8, v2, v3
	s_branch .LBB400_1434
.LBB400_1432:
	s_mov_b64 s[0:1], -1
                                        ; implicit-def: $vgpr8
.LBB400_1433:
	s_mov_b64 s[18:19], 0
.LBB400_1434:
	s_and_b64 vcc, exec, s[18:19]
	s_cbranch_vccz .LBB400_1452
; %bb.1435:
	s_cmp_lt_i32 s11, 27
	s_cbranch_scc1 .LBB400_1438
; %bb.1436:
	s_cmp_gt_i32 s11, 27
	s_cbranch_scc0 .LBB400_1439
; %bb.1437:
	global_load_dword v2, v[0:1], off
	s_mov_b64 s[6:7], 0
	s_waitcnt vmcnt(0)
	v_cvt_f32_u32_e32 v8, v2
	s_branch .LBB400_1440
.LBB400_1438:
	s_mov_b64 s[6:7], -1
                                        ; implicit-def: $vgpr8
	s_branch .LBB400_1443
.LBB400_1439:
	s_mov_b64 s[6:7], -1
                                        ; implicit-def: $vgpr8
.LBB400_1440:
	s_andn2_b64 vcc, exec, s[6:7]
	s_cbranch_vccnz .LBB400_1442
; %bb.1441:
	global_load_ushort v2, v[0:1], off
	s_waitcnt vmcnt(0)
	v_cvt_f32_u32_e32 v8, v2
.LBB400_1442:
	s_mov_b64 s[6:7], 0
.LBB400_1443:
	s_andn2_b64 vcc, exec, s[6:7]
	s_cbranch_vccnz .LBB400_1451
; %bb.1444:
	global_load_ubyte v2, v[0:1], off
	s_movk_i32 s6, 0x7f
	s_waitcnt vmcnt(0)
	v_cmp_lt_i16_e32 vcc, s6, v2
	s_mov_b64 s[6:7], 0
	s_and_saveexec_b64 s[18:19], vcc
	s_xor_b64 s[18:19], exec, s[18:19]
	s_cbranch_execz .LBB400_1465
; %bb.1445:
	s_movk_i32 s6, 0x80
	v_cmp_eq_u16_e32 vcc, s6, v2
	s_mov_b64 s[6:7], -1
	s_and_saveexec_b64 s[20:21], vcc
; %bb.1446:
	s_xor_b64 s[6:7], exec, -1
; %bb.1447:
	s_or_b64 exec, exec, s[20:21]
	s_and_b64 s[6:7], s[6:7], exec
	s_or_saveexec_b64 s[18:19], s[18:19]
	v_mov_b32_e32 v8, 0x7f800001
	s_xor_b64 exec, exec, s[18:19]
	s_cbranch_execnz .LBB400_1466
.LBB400_1448:
	s_or_b64 exec, exec, s[18:19]
	s_and_saveexec_b64 s[18:19], s[6:7]
	s_cbranch_execz .LBB400_1450
.LBB400_1449:
	v_lshlrev_b32_e32 v3, 24, v2
	v_and_b32_e32 v2, 0xffff, v2
	v_and_b32_e32 v8, 7, v2
	v_ffbh_u32_e32 v10, v8
	v_min_u32_e32 v10, 32, v10
	v_subrev_u32_e32 v11, 28, v10
	v_bfe_u32 v9, v2, 3, 4
	v_lshlrev_b32_e32 v2, v11, v2
	v_sub_u32_e32 v10, 29, v10
	v_and_b32_e32 v2, 7, v2
	v_cmp_eq_u32_e32 vcc, 0, v9
	v_and_b32_e32 v3, 0x80000000, v3
	s_nop 0
	v_cndmask_b32_e32 v9, v9, v10, vcc
	v_cndmask_b32_e32 v2, v8, v2, vcc
	v_mov_b32_e32 v8, 0x3b800000
	v_lshlrev_b32_e32 v2, 20, v2
	v_lshl_add_u32 v8, v9, 23, v8
	v_or3_b32 v8, v3, v8, v2
.LBB400_1450:
	s_or_b64 exec, exec, s[18:19]
.LBB400_1451:
	s_mov_b64 s[6:7], -1
.LBB400_1452:
	s_mov_b64 s[18:19], 0
.LBB400_1453:
	s_and_b64 vcc, exec, s[18:19]
	s_cbranch_vccz .LBB400_1486
; %bb.1454:
	s_cmp_gt_i32 s11, 22
	s_cbranch_scc0 .LBB400_1464
; %bb.1455:
	s_cmp_lt_i32 s11, 24
	s_cbranch_scc1 .LBB400_1467
; %bb.1456:
	s_cmp_gt_i32 s11, 24
	s_cbranch_scc0 .LBB400_1468
; %bb.1457:
	global_load_ubyte v2, v[0:1], off
	s_movk_i32 s2, 0x7f
	s_waitcnt vmcnt(0)
	v_cmp_lt_i16_e32 vcc, s2, v2
	s_mov_b64 s[2:3], 0
	s_and_saveexec_b64 s[6:7], vcc
	s_xor_b64 s[6:7], exec, s[6:7]
	s_cbranch_execz .LBB400_1480
; %bb.1458:
	s_movk_i32 s2, 0x80
	v_cmp_eq_u16_e32 vcc, s2, v2
	s_mov_b64 s[2:3], -1
	s_and_saveexec_b64 s[18:19], vcc
; %bb.1459:
	s_xor_b64 s[2:3], exec, -1
; %bb.1460:
	s_or_b64 exec, exec, s[18:19]
	s_and_b64 s[2:3], s[2:3], exec
	s_or_saveexec_b64 s[6:7], s[6:7]
	v_mov_b32_e32 v8, 0x7f800001
	s_xor_b64 exec, exec, s[6:7]
	s_cbranch_execnz .LBB400_1481
.LBB400_1461:
	s_or_b64 exec, exec, s[6:7]
	s_and_saveexec_b64 s[6:7], s[2:3]
	s_cbranch_execz .LBB400_1463
.LBB400_1462:
	v_lshlrev_b32_e32 v3, 24, v2
	v_and_b32_e32 v2, 0xffff, v2
	v_and_b32_e32 v8, 3, v2
	v_ffbh_u32_e32 v10, v8
	v_min_u32_e32 v10, 32, v10
	v_subrev_u32_e32 v11, 29, v10
	v_bfe_u32 v9, v2, 2, 5
	v_lshlrev_b32_e32 v2, v11, v2
	v_sub_u32_e32 v10, 30, v10
	v_and_b32_e32 v2, 3, v2
	v_cmp_eq_u32_e32 vcc, 0, v9
	v_and_b32_e32 v3, 0x80000000, v3
	s_nop 0
	v_cndmask_b32_e32 v9, v9, v10, vcc
	v_cndmask_b32_e32 v2, v8, v2, vcc
	v_mov_b32_e32 v8, 0x37800000
	v_lshlrev_b32_e32 v2, 21, v2
	v_lshl_add_u32 v8, v9, 23, v8
	v_or3_b32 v8, v3, v8, v2
.LBB400_1463:
	s_or_b64 exec, exec, s[6:7]
	s_mov_b64 s[2:3], 0
	s_branch .LBB400_1469
.LBB400_1464:
	s_mov_b64 s[2:3], -1
                                        ; implicit-def: $vgpr8
	s_branch .LBB400_1475
.LBB400_1465:
	s_or_saveexec_b64 s[18:19], s[18:19]
	v_mov_b32_e32 v8, 0x7f800001
	s_xor_b64 exec, exec, s[18:19]
	s_cbranch_execz .LBB400_1448
.LBB400_1466:
	v_cmp_ne_u16_e32 vcc, 0, v2
	s_andn2_b64 s[6:7], s[6:7], exec
	s_and_b64 s[20:21], vcc, exec
	v_mov_b32_e32 v8, 0
	s_or_b64 s[6:7], s[6:7], s[20:21]
	s_or_b64 exec, exec, s[18:19]
	s_and_saveexec_b64 s[18:19], s[6:7]
	s_cbranch_execnz .LBB400_1449
	s_branch .LBB400_1450
.LBB400_1467:
	s_mov_b64 s[2:3], -1
                                        ; implicit-def: $vgpr8
	s_branch .LBB400_1472
.LBB400_1468:
	s_mov_b64 s[2:3], -1
                                        ; implicit-def: $vgpr8
.LBB400_1469:
	s_and_b64 vcc, exec, s[2:3]
	s_cbranch_vccz .LBB400_1471
; %bb.1470:
	global_load_ubyte v2, v[0:1], off
	s_mov_b32 s2, 0x7f800000
	s_waitcnt vmcnt(0)
	v_lshlrev_b32_e32 v2, 24, v2
	v_and_b32_e32 v3, 0x7f000000, v2
	v_ffbh_u32_e32 v8, v3
	v_min_u32_e32 v8, 32, v8
	v_sub_u32_e64 v8, v8, 4 clamp
	v_lshlrev_b32_e32 v10, v8, v3
	v_lshlrev_b32_e32 v8, 23, v8
	v_lshrrev_b32_e32 v10, 4, v10
	v_add_u32_e32 v9, 0x1000000, v3
	v_sub_u32_e32 v8, v10, v8
	v_ashrrev_i32_e32 v9, 8, v9
	v_add_u32_e32 v8, 0x3c000000, v8
	v_and_or_b32 v8, v9, s2, v8
	v_cmp_ne_u32_e32 vcc, 0, v3
	s_brev_b32 s2, 1
	s_nop 0
	v_cndmask_b32_e32 v3, 0, v8, vcc
	v_and_or_b32 v8, v2, s2, v3
.LBB400_1471:
	s_mov_b64 s[2:3], 0
.LBB400_1472:
	s_andn2_b64 vcc, exec, s[2:3]
	s_cbranch_vccnz .LBB400_1474
; %bb.1473:
	global_load_ubyte v2, v[0:1], off
	s_movk_i32 s2, 0x7f00
	s_brev_b32 s3, 16
	s_waitcnt vmcnt(0)
	v_lshlrev_b16_e32 v3, 8, v2
	v_lshlrev_b32_e32 v2, 25, v2
	v_lshrrev_b32_e32 v8, 4, v2
	v_and_or_b32 v9, v3, s2, 0.5
	v_or_b32_e32 v8, 0x70000000, v8
	v_add_f32_e32 v9, -0.5, v9
	v_mul_f32_e32 v8, 0x7800000, v8
	v_cmp_gt_u32_e32 vcc, s3, v2
	v_bfe_i32 v3, v3, 0, 16
	s_brev_b32 s2, 1
	v_cndmask_b32_e32 v2, v8, v9, vcc
	v_and_or_b32 v8, v3, s2, v2
.LBB400_1474:
	s_mov_b64 s[2:3], 0
	s_mov_b64 s[6:7], -1
.LBB400_1475:
	s_andn2_b64 vcc, exec, s[2:3]
	s_mov_b64 s[2:3], 0
	s_cbranch_vccnz .LBB400_1486
; %bb.1476:
	s_cmp_gt_i32 s11, 14
	s_cbranch_scc0 .LBB400_1479
; %bb.1477:
	s_cmp_eq_u32 s11, 15
	s_cbranch_scc0 .LBB400_1482
; %bb.1478:
	global_load_ushort v2, v[0:1], off
	s_mov_b64 s[0:1], 0
	s_mov_b64 s[6:7], -1
	s_waitcnt vmcnt(0)
	v_lshlrev_b32_e32 v8, 16, v2
	s_branch .LBB400_1483
.LBB400_1479:
	s_mov_b64 s[18:19], -1
                                        ; implicit-def: $vgpr8
	s_branch .LBB400_1484
.LBB400_1480:
	s_or_saveexec_b64 s[6:7], s[6:7]
	v_mov_b32_e32 v8, 0x7f800001
	s_xor_b64 exec, exec, s[6:7]
	s_cbranch_execz .LBB400_1461
.LBB400_1481:
	v_cmp_ne_u16_e32 vcc, 0, v2
	s_andn2_b64 s[2:3], s[2:3], exec
	s_and_b64 s[18:19], vcc, exec
	v_mov_b32_e32 v8, 0
	s_or_b64 s[2:3], s[2:3], s[18:19]
	s_or_b64 exec, exec, s[6:7]
	s_and_saveexec_b64 s[6:7], s[2:3]
	s_cbranch_execnz .LBB400_1462
	s_branch .LBB400_1463
.LBB400_1482:
	s_mov_b64 s[0:1], -1
                                        ; implicit-def: $vgpr8
.LBB400_1483:
	s_mov_b64 s[18:19], 0
.LBB400_1484:
	s_and_b64 vcc, exec, s[18:19]
	s_cbranch_vccz .LBB400_1486
; %bb.1485:
	s_cmp_lg_u32 s11, 11
	s_mov_b64 s[2:3], -1
	s_cselect_b64 s[0:1], -1, 0
.LBB400_1486:
	s_and_b64 vcc, exec, s[0:1]
	s_cbranch_vccnz .LBB400_2019
; %bb.1487:
	s_andn2_b64 vcc, exec, s[2:3]
	s_cbranch_vccnz .LBB400_1489
.LBB400_1488:
	global_load_ubyte v2, v[0:1], off
	s_mov_b64 s[6:7], -1
	s_waitcnt vmcnt(0)
	v_cmp_ne_u16_e32 vcc, 0, v2
	s_nop 1
	v_cndmask_b32_e64 v8, 0, 1.0, vcc
.LBB400_1489:
	s_mov_b64 s[0:1], 0
.LBB400_1490:
	s_and_b64 vcc, exec, s[0:1]
	s_cbranch_vccz .LBB400_1539
; %bb.1491:
	s_cmp_lt_i32 s11, 5
	s_cbranch_scc1 .LBB400_1496
; %bb.1492:
	s_cmp_lt_i32 s11, 8
	s_cbranch_scc1 .LBB400_1497
	;; [unrolled: 3-line block ×3, first 2 shown]
; %bb.1494:
	s_cmp_gt_i32 s11, 9
	s_cbranch_scc0 .LBB400_1499
; %bb.1495:
	global_load_dwordx2 v[2:3], v[0:1], off
	s_mov_b64 s[0:1], 0
	s_waitcnt vmcnt(0)
	v_cvt_f32_f64_e32 v8, v[2:3]
	s_branch .LBB400_1500
.LBB400_1496:
	s_mov_b64 s[0:1], -1
                                        ; implicit-def: $vgpr8
	s_branch .LBB400_1518
.LBB400_1497:
	s_mov_b64 s[0:1], -1
                                        ; implicit-def: $vgpr8
	s_branch .LBB400_1506
.LBB400_1498:
	s_mov_b64 s[0:1], -1
                                        ; implicit-def: $vgpr8
	s_branch .LBB400_1503
.LBB400_1499:
	s_mov_b64 s[0:1], -1
                                        ; implicit-def: $vgpr8
.LBB400_1500:
	s_andn2_b64 vcc, exec, s[0:1]
	s_cbranch_vccnz .LBB400_1502
; %bb.1501:
	global_load_dword v8, v[0:1], off
.LBB400_1502:
	s_mov_b64 s[0:1], 0
.LBB400_1503:
	s_andn2_b64 vcc, exec, s[0:1]
	s_cbranch_vccnz .LBB400_1505
; %bb.1504:
	global_load_dword v2, v[0:1], off
	s_waitcnt vmcnt(0)
	v_cvt_f32_f16_e32 v8, v2
.LBB400_1505:
	s_mov_b64 s[0:1], 0
.LBB400_1506:
	s_andn2_b64 vcc, exec, s[0:1]
	s_cbranch_vccnz .LBB400_1517
; %bb.1507:
	s_cmp_lt_i32 s11, 6
	s_cbranch_scc1 .LBB400_1510
; %bb.1508:
	s_cmp_gt_i32 s11, 6
	s_cbranch_scc0 .LBB400_1511
; %bb.1509:
	global_load_dwordx2 v[2:3], v[0:1], off
	s_mov_b64 s[0:1], 0
	s_waitcnt vmcnt(0)
	v_cvt_f32_f64_e32 v8, v[2:3]
	s_branch .LBB400_1512
.LBB400_1510:
	s_mov_b64 s[0:1], -1
                                        ; implicit-def: $vgpr8
	s_branch .LBB400_1515
.LBB400_1511:
	s_mov_b64 s[0:1], -1
                                        ; implicit-def: $vgpr8
.LBB400_1512:
	s_andn2_b64 vcc, exec, s[0:1]
	s_cbranch_vccnz .LBB400_1514
; %bb.1513:
	global_load_dword v8, v[0:1], off
.LBB400_1514:
	s_mov_b64 s[0:1], 0
.LBB400_1515:
	s_andn2_b64 vcc, exec, s[0:1]
	s_cbranch_vccnz .LBB400_1517
; %bb.1516:
	global_load_ushort v2, v[0:1], off
	s_waitcnt vmcnt(0)
	v_cvt_f32_f16_e32 v8, v2
.LBB400_1517:
	s_mov_b64 s[0:1], 0
.LBB400_1518:
	s_andn2_b64 vcc, exec, s[0:1]
	s_cbranch_vccnz .LBB400_1538
; %bb.1519:
	s_cmp_lt_i32 s11, 2
	s_cbranch_scc1 .LBB400_1523
; %bb.1520:
	s_cmp_lt_i32 s11, 3
	s_cbranch_scc1 .LBB400_1524
; %bb.1521:
	s_cmp_gt_i32 s11, 3
	s_cbranch_scc0 .LBB400_1525
; %bb.1522:
	global_load_dwordx2 v[2:3], v[0:1], off
	s_mov_b64 s[0:1], 0
	s_waitcnt vmcnt(0)
	v_xor_b32_e32 v9, v2, v3
	v_ffbh_i32_e32 v8, v3
	v_ashrrev_i32_e32 v9, 31, v9
	v_add_u32_e32 v8, -1, v8
	v_add_u32_e32 v9, 32, v9
	v_min_u32_e32 v8, v8, v9
	v_lshlrev_b64 v[2:3], v8, v[2:3]
	v_min_u32_e32 v2, 1, v2
	v_or_b32_e32 v2, v3, v2
	v_cvt_f32_i32_e32 v2, v2
	v_sub_u32_e32 v3, 32, v8
	v_ldexp_f32 v8, v2, v3
	s_branch .LBB400_1526
.LBB400_1523:
	s_mov_b64 s[0:1], -1
                                        ; implicit-def: $vgpr8
	s_branch .LBB400_1532
.LBB400_1524:
	s_mov_b64 s[0:1], -1
                                        ; implicit-def: $vgpr8
	s_branch .LBB400_1529
.LBB400_1525:
	s_mov_b64 s[0:1], -1
                                        ; implicit-def: $vgpr8
.LBB400_1526:
	s_andn2_b64 vcc, exec, s[0:1]
	s_cbranch_vccnz .LBB400_1528
; %bb.1527:
	global_load_dword v2, v[0:1], off
	s_waitcnt vmcnt(0)
	v_cvt_f32_i32_e32 v8, v2
.LBB400_1528:
	s_mov_b64 s[0:1], 0
.LBB400_1529:
	s_andn2_b64 vcc, exec, s[0:1]
	s_cbranch_vccnz .LBB400_1531
; %bb.1530:
	global_load_sshort v2, v[0:1], off
	s_waitcnt vmcnt(0)
	v_cvt_f32_i32_e32 v8, v2
.LBB400_1531:
	s_mov_b64 s[0:1], 0
.LBB400_1532:
	s_andn2_b64 vcc, exec, s[0:1]
	s_cbranch_vccnz .LBB400_1538
; %bb.1533:
	s_cmp_gt_i32 s11, 0
	s_cbranch_scc0 .LBB400_1535
; %bb.1534:
	global_load_sbyte v2, v[0:1], off
	s_mov_b64 s[0:1], 0
	s_waitcnt vmcnt(0)
	v_cvt_f32_i32_e32 v8, v2
	s_branch .LBB400_1536
.LBB400_1535:
	s_mov_b64 s[0:1], -1
                                        ; implicit-def: $vgpr8
.LBB400_1536:
	s_andn2_b64 vcc, exec, s[0:1]
	s_cbranch_vccnz .LBB400_1538
; %bb.1537:
	global_load_ubyte v0, v[0:1], off
	s_waitcnt vmcnt(0)
	v_cvt_f32_ubyte0_e32 v8, v0
.LBB400_1538:
	s_mov_b64 s[6:7], -1
.LBB400_1539:
	s_andn2_b64 vcc, exec, s[6:7]
	s_cbranch_vccnz .LBB400_1973
; %bb.1540:
	v_max_f32_e64 v9, s10, s10
	s_waitcnt vmcnt(0)
	v_max_f32_e32 v0, v4, v4
	v_max_f32_e32 v0, v0, v9
	v_cmp_u_f32_e32 vcc, v4, v4
	s_and_b32 s20, s33, 0xff
	s_cmp_lt_i32 s20, 11
	v_cndmask_b32_e32 v4, v0, v4, vcc
	v_mul_lo_u32 v0, s8, v5
	v_ashrrev_i32_e32 v1, 31, v0
	v_lshl_add_u64 v[2:3], s[4:5], 0, v[0:1]
	s_cbranch_scc1 .LBB400_1618
; %bb.1541:
	s_and_b32 s9, 0xffff, s20
	s_mov_b64 s[10:11], -1
	s_mov_b64 s[2:3], 0
	s_cmp_gt_i32 s9, 25
	s_mov_b64 s[6:7], 0
	s_mov_b64 s[0:1], 0
	s_cbranch_scc0 .LBB400_1574
; %bb.1542:
	s_cmp_gt_i32 s9, 28
	s_cbranch_scc0 .LBB400_1557
; %bb.1543:
	s_cmp_gt_i32 s9, 43
	;; [unrolled: 3-line block ×3, first 2 shown]
	s_cbranch_scc0 .LBB400_1547
; %bb.1545:
	s_mov_b64 s[0:1], -1
	s_mov_b64 s[10:11], 0
	s_cmp_eq_u32 s9, 46
	s_cbranch_scc0 .LBB400_1547
; %bb.1546:
	v_bfe_u32 v1, v4, 16, 1
	s_movk_i32 s0, 0x7fff
	v_add3_u32 v1, v4, v1, s0
	v_cmp_o_f32_e32 vcc, v4, v4
	v_mov_b32_e32 v5, 0x7fc0
	s_mov_b64 s[0:1], 0
	v_cndmask_b32_sdwa v1, v5, v1, vcc dst_sel:DWORD dst_unused:UNUSED_PAD src0_sel:DWORD src1_sel:WORD_1
	global_store_dword v[2:3], v1, off
	s_mov_b64 s[6:7], -1
.LBB400_1547:
	s_and_b64 vcc, exec, s[10:11]
	s_cbranch_vccz .LBB400_1552
; %bb.1548:
	s_cmp_eq_u32 s9, 44
	s_mov_b64 s[0:1], -1
	s_cbranch_scc0 .LBB400_1552
; %bb.1549:
	v_bfe_u32 v1, v4, 23, 8
	s_movk_i32 s0, 0xff
	v_cmp_ne_u32_e32 vcc, s0, v1
	v_mov_b32_e32 v5, 0xff
	s_and_saveexec_b64 s[6:7], vcc
; %bb.1550:
	s_mov_b32 s0, 0x3fffff
	v_and_b32_e32 v10, 0x400000, v4
	v_and_or_b32 v1, v4, s0, v1
	v_cmp_ne_u32_e32 vcc, 0, v10
	v_cmp_ne_u32_e64 s[0:1], 0, v1
	s_and_b64 s[0:1], vcc, s[0:1]
	v_lshrrev_b32_e32 v5, 23, v4
	v_cndmask_b32_e64 v1, 0, 1, s[0:1]
	v_add_u32_e32 v5, v5, v1
; %bb.1551:
	s_or_b64 exec, exec, s[6:7]
	s_mov_b64 s[0:1], 0
	s_mov_b64 s[6:7], -1
	global_store_byte v[2:3], v5, off
.LBB400_1552:
	s_mov_b64 s[10:11], 0
.LBB400_1553:
	s_and_b64 vcc, exec, s[10:11]
	s_cbranch_vccz .LBB400_1556
; %bb.1554:
	s_cmp_eq_u32 s9, 29
	s_mov_b64 s[0:1], -1
	s_cbranch_scc0 .LBB400_1556
; %bb.1555:
	v_trunc_f32_e32 v1, v4
	v_mul_f32_e32 v5, 0x2f800000, v1
	v_floor_f32_e32 v5, v5
	v_fmamk_f32 v1, v5, 0xcf800000, v1
	v_cvt_u32_f32_e32 v11, v5
	v_cvt_u32_f32_e32 v10, v1
	s_mov_b64 s[0:1], 0
	s_mov_b64 s[6:7], -1
	global_store_dwordx2 v[2:3], v[10:11], off
.LBB400_1556:
	s_mov_b64 s[10:11], 0
.LBB400_1557:
	s_and_b64 vcc, exec, s[10:11]
	s_cbranch_vccz .LBB400_1573
; %bb.1558:
	s_cmp_lt_i32 s9, 27
	s_mov_b64 s[6:7], -1
	s_cbranch_scc1 .LBB400_1564
; %bb.1559:
	v_cvt_u32_f32_e32 v1, v4
	s_cmp_gt_i32 s9, 27
	s_cbranch_scc0 .LBB400_1561
; %bb.1560:
	s_mov_b64 s[6:7], 0
	global_store_dword v[2:3], v1, off
.LBB400_1561:
	s_andn2_b64 vcc, exec, s[6:7]
	s_cbranch_vccnz .LBB400_1563
; %bb.1562:
	global_store_short v[2:3], v1, off
.LBB400_1563:
	s_mov_b64 s[6:7], 0
.LBB400_1564:
	s_andn2_b64 vcc, exec, s[6:7]
	s_cbranch_vccnz .LBB400_1572
; %bb.1565:
	v_and_b32_e32 v1, 0x7fffffff, v4
	s_mov_b32 s6, 0x43800000
	v_cmp_gt_u32_e32 vcc, s6, v1
	v_mov_b32_e32 v5, 0x80
	s_and_saveexec_b64 s[6:7], vcc
	s_cbranch_execz .LBB400_1571
; %bb.1566:
	s_mov_b32 s10, 0x3bffffff
	v_cmp_lt_u32_e32 vcc, s10, v1
	s_mov_b64 s[10:11], 0
                                        ; implicit-def: $vgpr1
	s_and_saveexec_b64 s[18:19], vcc
	s_xor_b64 s[18:19], exec, s[18:19]
	s_cbranch_execz .LBB400_2020
; %bb.1567:
	v_bfe_u32 v1, v4, 20, 1
	s_mov_b32 s21, 0x487ffff
	v_add3_u32 v1, v4, v1, s21
	s_mov_b64 s[10:11], exec
	v_lshrrev_b32_e32 v1, 20, v1
	s_andn2_saveexec_b64 s[18:19], s[18:19]
	s_cbranch_execnz .LBB400_2021
.LBB400_1568:
	s_or_b64 exec, exec, s[18:19]
	v_mov_b32_e32 v5, 0
	s_and_saveexec_b64 s[18:19], s[10:11]
.LBB400_1569:
	v_lshrrev_b32_e32 v5, 24, v4
	s_movk_i32 s10, 0x80
	v_and_or_b32 v5, v5, s10, v1
.LBB400_1570:
	s_or_b64 exec, exec, s[18:19]
.LBB400_1571:
	s_or_b64 exec, exec, s[6:7]
	global_store_byte v[2:3], v5, off
.LBB400_1572:
	s_mov_b64 s[6:7], -1
.LBB400_1573:
	s_mov_b64 s[10:11], 0
.LBB400_1574:
	s_and_b64 vcc, exec, s[10:11]
	s_cbranch_vccz .LBB400_1614
; %bb.1575:
	s_cmp_gt_i32 s9, 22
	s_mov_b64 s[2:3], -1
	s_cbranch_scc0 .LBB400_1607
; %bb.1576:
	s_cmp_lt_i32 s9, 24
	s_cbranch_scc1 .LBB400_1596
; %bb.1577:
	s_cmp_gt_i32 s9, 24
	s_cbranch_scc0 .LBB400_1585
; %bb.1578:
	v_and_b32_e32 v1, 0x7fffffff, v4
	s_mov_b32 s2, 0x47800000
	v_cmp_gt_u32_e32 vcc, s2, v1
	v_mov_b32_e32 v5, 0x80
	s_and_saveexec_b64 s[2:3], vcc
	s_cbranch_execz .LBB400_1584
; %bb.1579:
	s_mov_b32 s6, 0x37ffffff
	v_cmp_lt_u32_e32 vcc, s6, v1
	s_mov_b64 s[6:7], 0
                                        ; implicit-def: $vgpr1
	s_and_saveexec_b64 s[10:11], vcc
	s_xor_b64 s[10:11], exec, s[10:11]
	s_cbranch_execz .LBB400_2023
; %bb.1580:
	v_bfe_u32 v1, v4, 21, 1
	s_mov_b32 s18, 0x88fffff
	v_add3_u32 v1, v4, v1, s18
	s_mov_b64 s[6:7], exec
	v_lshrrev_b32_e32 v1, 21, v1
	s_andn2_saveexec_b64 s[10:11], s[10:11]
	s_cbranch_execnz .LBB400_2024
.LBB400_1581:
	s_or_b64 exec, exec, s[10:11]
	v_mov_b32_e32 v5, 0
	s_and_saveexec_b64 s[10:11], s[6:7]
.LBB400_1582:
	v_lshrrev_b32_e32 v5, 24, v4
	s_movk_i32 s6, 0x80
	v_and_or_b32 v5, v5, s6, v1
.LBB400_1583:
	s_or_b64 exec, exec, s[10:11]
.LBB400_1584:
	s_or_b64 exec, exec, s[2:3]
	s_mov_b64 s[2:3], 0
	global_store_byte v[2:3], v5, off
.LBB400_1585:
	s_and_b64 vcc, exec, s[2:3]
	s_cbranch_vccz .LBB400_1595
; %bb.1586:
	v_and_b32_e32 v5, 0x7fffffff, v4
	s_mov_b32 s2, 0x43f00000
	v_cmp_gt_u32_e32 vcc, s2, v5
                                        ; implicit-def: $vgpr1
	s_and_saveexec_b64 s[2:3], vcc
	s_xor_b64 s[2:3], exec, s[2:3]
	s_cbranch_execz .LBB400_1592
; %bb.1587:
	s_mov_b32 s6, 0x3c7fffff
	v_cmp_lt_u32_e32 vcc, s6, v5
                                        ; implicit-def: $vgpr1
	s_and_saveexec_b64 s[6:7], vcc
	s_xor_b64 s[6:7], exec, s[6:7]
; %bb.1588:
	v_bfe_u32 v1, v4, 20, 1
	s_mov_b32 s10, 0x407ffff
	v_add3_u32 v1, v4, v1, s10
	v_lshrrev_b32_e32 v5, 20, v1
	v_and_b32_e32 v1, 0xff00000, v1
	s_mov_b32 s10, 0x7f00000
	v_mov_b32_e32 v10, 0x7e
	v_cmp_ne_u32_e32 vcc, s10, v1
	s_nop 1
	v_cndmask_b32_e32 v1, v10, v5, vcc
; %bb.1589:
	s_andn2_saveexec_b64 s[6:7], s[6:7]
; %bb.1590:
	s_mov_b32 s10, 0x46800000
	v_add_f32_e64 v1, |v4|, s10
; %bb.1591:
	s_or_b64 exec, exec, s[6:7]
                                        ; implicit-def: $vgpr5
.LBB400_1592:
	s_andn2_saveexec_b64 s[2:3], s[2:3]
; %bb.1593:
	s_mov_b32 s6, 0x7f800000
	v_mov_b32_e32 v1, 0x7e
	v_mov_b32_e32 v10, 0x7f
	v_cmp_lt_u32_e32 vcc, s6, v5
	s_nop 1
	v_cndmask_b32_e32 v1, v1, v10, vcc
; %bb.1594:
	s_or_b64 exec, exec, s[2:3]
	v_lshrrev_b32_e32 v5, 24, v4
	s_movk_i32 s2, 0x80
	v_and_or_b32 v1, v5, s2, v1
	global_store_byte v[2:3], v1, off
.LBB400_1595:
	s_mov_b64 s[2:3], 0
.LBB400_1596:
	s_andn2_b64 vcc, exec, s[2:3]
	s_cbranch_vccnz .LBB400_1606
; %bb.1597:
	v_and_b32_e32 v5, 0x7fffffff, v4
	s_mov_b32 s2, 0x47800000
	v_cmp_gt_u32_e32 vcc, s2, v5
                                        ; implicit-def: $vgpr1
	s_and_saveexec_b64 s[2:3], vcc
	s_xor_b64 s[2:3], exec, s[2:3]
	s_cbranch_execz .LBB400_1603
; %bb.1598:
	s_mov_b32 s6, 0x387fffff
	v_cmp_lt_u32_e32 vcc, s6, v5
                                        ; implicit-def: $vgpr1
	s_and_saveexec_b64 s[6:7], vcc
	s_xor_b64 s[6:7], exec, s[6:7]
; %bb.1599:
	v_bfe_u32 v1, v4, 21, 1
	s_mov_b32 s10, 0x80fffff
	v_add3_u32 v1, v4, v1, s10
	v_lshrrev_b32_e32 v1, 21, v1
; %bb.1600:
	s_andn2_saveexec_b64 s[6:7], s[6:7]
; %bb.1601:
	s_mov_b32 s10, 0x43000000
	v_add_f32_e64 v1, |v4|, s10
; %bb.1602:
	s_or_b64 exec, exec, s[6:7]
                                        ; implicit-def: $vgpr5
.LBB400_1603:
	s_andn2_saveexec_b64 s[2:3], s[2:3]
; %bb.1604:
	s_mov_b32 s6, 0x7f800000
	v_mov_b32_e32 v1, 0x7c
	v_mov_b32_e32 v10, 0x7f
	v_cmp_lt_u32_e32 vcc, s6, v5
	s_nop 1
	v_cndmask_b32_e32 v1, v1, v10, vcc
; %bb.1605:
	s_or_b64 exec, exec, s[2:3]
	v_lshrrev_b32_e32 v5, 24, v4
	s_movk_i32 s2, 0x80
	v_and_or_b32 v1, v5, s2, v1
	global_store_byte v[2:3], v1, off
.LBB400_1606:
	s_mov_b64 s[2:3], 0
	s_mov_b64 s[6:7], -1
.LBB400_1607:
	s_andn2_b64 vcc, exec, s[2:3]
	s_mov_b64 s[2:3], 0
	s_cbranch_vccnz .LBB400_1614
; %bb.1608:
	s_cmp_gt_i32 s9, 14
	s_mov_b64 s[10:11], -1
	s_cbranch_scc0 .LBB400_1612
; %bb.1609:
	s_cmp_eq_u32 s9, 15
	s_mov_b64 s[0:1], -1
	s_cbranch_scc0 .LBB400_1611
; %bb.1610:
	v_bfe_u32 v1, v4, 16, 1
	s_movk_i32 s0, 0x7fff
	v_add3_u32 v1, v4, v1, s0
	v_cmp_o_f32_e32 vcc, v4, v4
	v_mov_b32_e32 v5, 0x7fc0
	s_mov_b64 s[0:1], 0
	v_cndmask_b32_sdwa v1, v5, v1, vcc dst_sel:DWORD dst_unused:UNUSED_PAD src0_sel:DWORD src1_sel:WORD_1
	global_store_short v[2:3], v1, off
	s_mov_b64 s[6:7], -1
.LBB400_1611:
	s_mov_b64 s[10:11], 0
.LBB400_1612:
	s_and_b64 vcc, exec, s[10:11]
	s_cbranch_vccz .LBB400_1614
; %bb.1613:
	s_cmp_lg_u32 s9, 11
	s_mov_b64 s[2:3], -1
	s_cselect_b64 s[0:1], -1, 0
.LBB400_1614:
	s_and_b64 vcc, exec, s[0:1]
	s_cbranch_vccnz .LBB400_2022
; %bb.1615:
	s_andn2_b64 vcc, exec, s[2:3]
	s_cbranch_vccnz .LBB400_1617
.LBB400_1616:
	v_cmp_neq_f32_e32 vcc, 0, v4
	s_mov_b64 s[6:7], -1
	s_nop 0
	v_cndmask_b32_e64 v1, 0, 1, vcc
	global_store_byte v[2:3], v1, off
.LBB400_1617:
	s_mov_b64 s[0:1], 0
	s_branch .LBB400_1619
.LBB400_1618:
	s_mov_b64 s[0:1], -1
	s_mov_b64 s[6:7], 0
.LBB400_1619:
	s_and_b64 vcc, exec, s[0:1]
	s_cbranch_vccz .LBB400_1658
; %bb.1620:
	s_and_b32 s2, 0xffff, s20
	s_cmp_lt_i32 s2, 5
	s_mov_b64 s[0:1], -1
	s_cbranch_scc1 .LBB400_1641
; %bb.1621:
	s_cmp_lt_i32 s2, 8
	s_cbranch_scc1 .LBB400_1631
; %bb.1622:
	s_cmp_lt_i32 s2, 9
	s_cbranch_scc1 .LBB400_1628
; %bb.1623:
	s_cmp_gt_i32 s2, 9
	s_cbranch_scc0 .LBB400_1625
; %bb.1624:
	v_mov_b32_e32 v12, 0
	v_cvt_f64_f32_e32 v[10:11], v4
	v_mov_b32_e32 v13, v12
	global_store_dwordx4 v[2:3], v[10:13], off
	s_mov_b64 s[0:1], 0
.LBB400_1625:
	s_andn2_b64 vcc, exec, s[0:1]
	s_cbranch_vccnz .LBB400_1627
; %bb.1626:
	v_mov_b32_e32 v5, 0
	global_store_dwordx2 v[2:3], v[4:5], off
.LBB400_1627:
	s_mov_b64 s[0:1], 0
.LBB400_1628:
	s_andn2_b64 vcc, exec, s[0:1]
	s_cbranch_vccnz .LBB400_1630
; %bb.1629:
	v_cvt_f16_f32_e32 v1, v4
	global_store_dword v[2:3], v1, off
.LBB400_1630:
	s_mov_b64 s[0:1], 0
.LBB400_1631:
	s_andn2_b64 vcc, exec, s[0:1]
	s_cbranch_vccnz .LBB400_1640
; %bb.1632:
	s_cmp_lt_i32 s2, 6
	s_mov_b64 s[0:1], -1
	s_cbranch_scc1 .LBB400_1638
; %bb.1633:
	s_cmp_gt_i32 s2, 6
	s_cbranch_scc0 .LBB400_1635
; %bb.1634:
	v_cvt_f64_f32_e32 v[10:11], v4
	global_store_dwordx2 v[2:3], v[10:11], off
	s_mov_b64 s[0:1], 0
.LBB400_1635:
	s_andn2_b64 vcc, exec, s[0:1]
	s_cbranch_vccnz .LBB400_1637
; %bb.1636:
	global_store_dword v[2:3], v4, off
.LBB400_1637:
	s_mov_b64 s[0:1], 0
.LBB400_1638:
	s_andn2_b64 vcc, exec, s[0:1]
	s_cbranch_vccnz .LBB400_1640
; %bb.1639:
	v_cvt_f16_f32_e32 v1, v4
	global_store_short v[2:3], v1, off
.LBB400_1640:
	s_mov_b64 s[0:1], 0
.LBB400_1641:
	s_andn2_b64 vcc, exec, s[0:1]
	s_cbranch_vccnz .LBB400_1657
; %bb.1642:
	s_cmp_lt_i32 s2, 2
	s_mov_b64 s[0:1], -1
	s_cbranch_scc1 .LBB400_1652
; %bb.1643:
	s_cmp_lt_i32 s2, 3
	s_cbranch_scc1 .LBB400_1649
; %bb.1644:
	s_cmp_gt_i32 s2, 3
	s_cbranch_scc0 .LBB400_1646
; %bb.1645:
	v_trunc_f32_e32 v1, v4
	s_mov_b32 s0, 0x2f800000
	v_mul_f32_e64 v5, |v1|, s0
	v_floor_f32_e32 v5, v5
	s_mov_b32 s0, 0xcf800000
	v_cvt_u32_f32_e32 v10, v5
	v_fma_f32 v5, v5, s0, |v1|
	v_cvt_u32_f32_e32 v5, v5
	v_ashrrev_i32_e32 v1, 31, v1
	v_xor_b32_e32 v11, v10, v1
	s_mov_b64 s[0:1], 0
	v_xor_b32_e32 v5, v5, v1
	v_sub_co_u32_e32 v10, vcc, v5, v1
	s_nop 1
	v_subb_co_u32_e32 v11, vcc, v11, v1, vcc
	global_store_dwordx2 v[2:3], v[10:11], off
.LBB400_1646:
	s_andn2_b64 vcc, exec, s[0:1]
	s_cbranch_vccnz .LBB400_1648
; %bb.1647:
	v_cvt_i32_f32_e32 v1, v4
	global_store_dword v[2:3], v1, off
.LBB400_1648:
	s_mov_b64 s[0:1], 0
.LBB400_1649:
	s_andn2_b64 vcc, exec, s[0:1]
	s_cbranch_vccnz .LBB400_1651
; %bb.1650:
	v_cvt_i32_f32_e32 v1, v4
	global_store_short v[2:3], v1, off
.LBB400_1651:
	s_mov_b64 s[0:1], 0
.LBB400_1652:
	s_andn2_b64 vcc, exec, s[0:1]
	s_cbranch_vccnz .LBB400_1657
; %bb.1653:
	s_cmp_gt_i32 s2, 0
	s_mov_b64 s[0:1], -1
	s_cbranch_scc0 .LBB400_1655
; %bb.1654:
	v_cvt_i32_f32_e32 v1, v4
	s_mov_b64 s[0:1], 0
	global_store_byte v[2:3], v1, off
.LBB400_1655:
	s_andn2_b64 vcc, exec, s[0:1]
	s_cbranch_vccnz .LBB400_1657
; %bb.1656:
	v_trunc_f32_e32 v1, v4
	s_mov_b32 s0, 0x2f800000
	v_mul_f32_e64 v4, |v1|, s0
	v_floor_f32_e32 v4, v4
	s_mov_b32 s0, 0xcf800000
	v_fma_f32 v4, v4, s0, |v1|
	v_cvt_u32_f32_e32 v4, v4
	v_ashrrev_i32_e32 v1, 31, v1
	v_xor_b32_e32 v4, v4, v1
	v_sub_u32_e32 v1, v4, v1
	global_store_byte v[2:3], v1, off
.LBB400_1657:
	s_mov_b64 s[6:7], -1
.LBB400_1658:
	s_andn2_b64 vcc, exec, s[6:7]
	s_cbranch_vccnz .LBB400_1973
; %bb.1659:
	v_max_f32_e32 v1, v6, v6
	s_lshl_b32 s18, s8, 7
	v_max_f32_e32 v1, v1, v9
	v_cmp_u_f32_e32 vcc, v6, v6
	v_add_u32_e32 v0, s18, v0
	s_cmp_lt_i32 s20, 11
	v_cndmask_b32_e32 v4, v1, v6, vcc
	v_ashrrev_i32_e32 v1, 31, v0
	v_lshl_add_u64 v[2:3], s[4:5], 0, v[0:1]
	s_cbranch_scc1 .LBB400_1737
; %bb.1660:
	s_and_b32 s19, 0xffff, s20
	s_mov_b64 s[8:9], -1
	s_mov_b64 s[2:3], 0
	s_cmp_gt_i32 s19, 25
	s_mov_b64 s[6:7], 0
	s_mov_b64 s[0:1], 0
	s_cbranch_scc0 .LBB400_1693
; %bb.1661:
	s_cmp_gt_i32 s19, 28
	s_cbranch_scc0 .LBB400_1676
; %bb.1662:
	s_cmp_gt_i32 s19, 43
	s_cbranch_scc0 .LBB400_1672
; %bb.1663:
	s_cmp_gt_i32 s19, 45
	s_cbranch_scc0 .LBB400_1666
; %bb.1664:
	s_mov_b64 s[0:1], -1
	s_mov_b64 s[8:9], 0
	s_cmp_eq_u32 s19, 46
	s_cbranch_scc0 .LBB400_1666
; %bb.1665:
	v_bfe_u32 v1, v4, 16, 1
	s_movk_i32 s0, 0x7fff
	v_add3_u32 v1, v4, v1, s0
	v_cmp_o_f32_e32 vcc, v4, v4
	v_mov_b32_e32 v5, 0x7fc0
	s_mov_b64 s[0:1], 0
	v_cndmask_b32_sdwa v1, v5, v1, vcc dst_sel:DWORD dst_unused:UNUSED_PAD src0_sel:DWORD src1_sel:WORD_1
	global_store_dword v[2:3], v1, off
	s_mov_b64 s[6:7], -1
.LBB400_1666:
	s_and_b64 vcc, exec, s[8:9]
	s_cbranch_vccz .LBB400_1671
; %bb.1667:
	s_cmp_eq_u32 s19, 44
	s_mov_b64 s[0:1], -1
	s_cbranch_scc0 .LBB400_1671
; %bb.1668:
	v_bfe_u32 v1, v4, 23, 8
	s_movk_i32 s0, 0xff
	v_cmp_ne_u32_e32 vcc, s0, v1
	v_mov_b32_e32 v5, 0xff
	s_and_saveexec_b64 s[6:7], vcc
; %bb.1669:
	s_mov_b32 s0, 0x3fffff
	v_and_b32_e32 v6, 0x400000, v4
	v_and_or_b32 v1, v4, s0, v1
	v_cmp_ne_u32_e32 vcc, 0, v6
	v_cmp_ne_u32_e64 s[0:1], 0, v1
	s_and_b64 s[0:1], vcc, s[0:1]
	v_lshrrev_b32_e32 v5, 23, v4
	v_cndmask_b32_e64 v1, 0, 1, s[0:1]
	v_add_u32_e32 v5, v5, v1
; %bb.1670:
	s_or_b64 exec, exec, s[6:7]
	s_mov_b64 s[0:1], 0
	s_mov_b64 s[6:7], -1
	global_store_byte v[2:3], v5, off
.LBB400_1671:
	s_mov_b64 s[8:9], 0
.LBB400_1672:
	s_and_b64 vcc, exec, s[8:9]
	s_cbranch_vccz .LBB400_1675
; %bb.1673:
	s_cmp_eq_u32 s19, 29
	s_mov_b64 s[0:1], -1
	s_cbranch_scc0 .LBB400_1675
; %bb.1674:
	v_trunc_f32_e32 v1, v4
	v_mul_f32_e32 v5, 0x2f800000, v1
	v_floor_f32_e32 v5, v5
	v_fmamk_f32 v1, v5, 0xcf800000, v1
	v_cvt_u32_f32_e32 v11, v5
	v_cvt_u32_f32_e32 v10, v1
	s_mov_b64 s[0:1], 0
	s_mov_b64 s[6:7], -1
	global_store_dwordx2 v[2:3], v[10:11], off
.LBB400_1675:
	s_mov_b64 s[8:9], 0
.LBB400_1676:
	s_and_b64 vcc, exec, s[8:9]
	s_cbranch_vccz .LBB400_1692
; %bb.1677:
	s_cmp_lt_i32 s19, 27
	s_mov_b64 s[6:7], -1
	s_cbranch_scc1 .LBB400_1683
; %bb.1678:
	v_cvt_u32_f32_e32 v1, v4
	s_cmp_gt_i32 s19, 27
	s_cbranch_scc0 .LBB400_1680
; %bb.1679:
	s_mov_b64 s[6:7], 0
	global_store_dword v[2:3], v1, off
.LBB400_1680:
	s_andn2_b64 vcc, exec, s[6:7]
	s_cbranch_vccnz .LBB400_1682
; %bb.1681:
	global_store_short v[2:3], v1, off
.LBB400_1682:
	s_mov_b64 s[6:7], 0
.LBB400_1683:
	s_andn2_b64 vcc, exec, s[6:7]
	s_cbranch_vccnz .LBB400_1691
; %bb.1684:
	v_and_b32_e32 v1, 0x7fffffff, v4
	s_mov_b32 s6, 0x43800000
	v_cmp_gt_u32_e32 vcc, s6, v1
	v_mov_b32_e32 v5, 0x80
	s_and_saveexec_b64 s[6:7], vcc
	s_cbranch_execz .LBB400_1690
; %bb.1685:
	s_mov_b32 s8, 0x3bffffff
	v_cmp_lt_u32_e32 vcc, s8, v1
	s_mov_b64 s[8:9], 0
                                        ; implicit-def: $vgpr1
	s_and_saveexec_b64 s[10:11], vcc
	s_xor_b64 s[10:11], exec, s[10:11]
	s_cbranch_execz .LBB400_2025
; %bb.1686:
	v_bfe_u32 v1, v4, 20, 1
	s_mov_b32 s21, 0x487ffff
	v_add3_u32 v1, v4, v1, s21
	s_mov_b64 s[8:9], exec
	v_lshrrev_b32_e32 v1, 20, v1
	s_andn2_saveexec_b64 s[10:11], s[10:11]
	s_cbranch_execnz .LBB400_2026
.LBB400_1687:
	s_or_b64 exec, exec, s[10:11]
	v_mov_b32_e32 v5, 0
	s_and_saveexec_b64 s[10:11], s[8:9]
.LBB400_1688:
	v_lshrrev_b32_e32 v5, 24, v4
	s_movk_i32 s8, 0x80
	v_and_or_b32 v5, v5, s8, v1
.LBB400_1689:
	s_or_b64 exec, exec, s[10:11]
.LBB400_1690:
	s_or_b64 exec, exec, s[6:7]
	global_store_byte v[2:3], v5, off
.LBB400_1691:
	s_mov_b64 s[6:7], -1
.LBB400_1692:
	s_mov_b64 s[8:9], 0
.LBB400_1693:
	s_and_b64 vcc, exec, s[8:9]
	s_cbranch_vccz .LBB400_1733
; %bb.1694:
	s_cmp_gt_i32 s19, 22
	s_mov_b64 s[2:3], -1
	s_cbranch_scc0 .LBB400_1726
; %bb.1695:
	s_cmp_lt_i32 s19, 24
	s_cbranch_scc1 .LBB400_1715
; %bb.1696:
	s_cmp_gt_i32 s19, 24
	s_cbranch_scc0 .LBB400_1704
; %bb.1697:
	v_and_b32_e32 v1, 0x7fffffff, v4
	s_mov_b32 s2, 0x47800000
	v_cmp_gt_u32_e32 vcc, s2, v1
	v_mov_b32_e32 v5, 0x80
	s_and_saveexec_b64 s[2:3], vcc
	s_cbranch_execz .LBB400_1703
; %bb.1698:
	s_mov_b32 s6, 0x37ffffff
	v_cmp_lt_u32_e32 vcc, s6, v1
	s_mov_b64 s[6:7], 0
                                        ; implicit-def: $vgpr1
	s_and_saveexec_b64 s[8:9], vcc
	s_xor_b64 s[8:9], exec, s[8:9]
	s_cbranch_execz .LBB400_2028
; %bb.1699:
	v_bfe_u32 v1, v4, 21, 1
	s_mov_b32 s10, 0x88fffff
	v_add3_u32 v1, v4, v1, s10
	s_mov_b64 s[6:7], exec
	v_lshrrev_b32_e32 v1, 21, v1
	s_andn2_saveexec_b64 s[8:9], s[8:9]
	s_cbranch_execnz .LBB400_2029
.LBB400_1700:
	s_or_b64 exec, exec, s[8:9]
	v_mov_b32_e32 v5, 0
	s_and_saveexec_b64 s[8:9], s[6:7]
.LBB400_1701:
	v_lshrrev_b32_e32 v5, 24, v4
	s_movk_i32 s6, 0x80
	v_and_or_b32 v5, v5, s6, v1
.LBB400_1702:
	s_or_b64 exec, exec, s[8:9]
.LBB400_1703:
	s_or_b64 exec, exec, s[2:3]
	s_mov_b64 s[2:3], 0
	global_store_byte v[2:3], v5, off
.LBB400_1704:
	s_and_b64 vcc, exec, s[2:3]
	s_cbranch_vccz .LBB400_1714
; %bb.1705:
	v_and_b32_e32 v5, 0x7fffffff, v4
	s_mov_b32 s2, 0x43f00000
	v_cmp_gt_u32_e32 vcc, s2, v5
                                        ; implicit-def: $vgpr1
	s_and_saveexec_b64 s[2:3], vcc
	s_xor_b64 s[2:3], exec, s[2:3]
	s_cbranch_execz .LBB400_1711
; %bb.1706:
	s_mov_b32 s6, 0x3c7fffff
	v_cmp_lt_u32_e32 vcc, s6, v5
                                        ; implicit-def: $vgpr1
	s_and_saveexec_b64 s[6:7], vcc
	s_xor_b64 s[6:7], exec, s[6:7]
; %bb.1707:
	v_bfe_u32 v1, v4, 20, 1
	s_mov_b32 s8, 0x407ffff
	v_add3_u32 v1, v4, v1, s8
	v_lshrrev_b32_e32 v5, 20, v1
	v_and_b32_e32 v1, 0xff00000, v1
	s_mov_b32 s8, 0x7f00000
	v_mov_b32_e32 v6, 0x7e
	v_cmp_ne_u32_e32 vcc, s8, v1
	s_nop 1
	v_cndmask_b32_e32 v1, v6, v5, vcc
; %bb.1708:
	s_andn2_saveexec_b64 s[6:7], s[6:7]
; %bb.1709:
	s_mov_b32 s8, 0x46800000
	v_add_f32_e64 v1, |v4|, s8
; %bb.1710:
	s_or_b64 exec, exec, s[6:7]
                                        ; implicit-def: $vgpr5
.LBB400_1711:
	s_andn2_saveexec_b64 s[2:3], s[2:3]
; %bb.1712:
	s_mov_b32 s6, 0x7f800000
	v_mov_b32_e32 v1, 0x7e
	v_mov_b32_e32 v6, 0x7f
	v_cmp_lt_u32_e32 vcc, s6, v5
	s_nop 1
	v_cndmask_b32_e32 v1, v1, v6, vcc
; %bb.1713:
	s_or_b64 exec, exec, s[2:3]
	v_lshrrev_b32_e32 v5, 24, v4
	s_movk_i32 s2, 0x80
	v_and_or_b32 v1, v5, s2, v1
	global_store_byte v[2:3], v1, off
.LBB400_1714:
	s_mov_b64 s[2:3], 0
.LBB400_1715:
	s_andn2_b64 vcc, exec, s[2:3]
	s_cbranch_vccnz .LBB400_1725
; %bb.1716:
	v_and_b32_e32 v5, 0x7fffffff, v4
	s_mov_b32 s2, 0x47800000
	v_cmp_gt_u32_e32 vcc, s2, v5
                                        ; implicit-def: $vgpr1
	s_and_saveexec_b64 s[2:3], vcc
	s_xor_b64 s[2:3], exec, s[2:3]
	s_cbranch_execz .LBB400_1722
; %bb.1717:
	s_mov_b32 s6, 0x387fffff
	v_cmp_lt_u32_e32 vcc, s6, v5
                                        ; implicit-def: $vgpr1
	s_and_saveexec_b64 s[6:7], vcc
	s_xor_b64 s[6:7], exec, s[6:7]
; %bb.1718:
	v_bfe_u32 v1, v4, 21, 1
	s_mov_b32 s8, 0x80fffff
	v_add3_u32 v1, v4, v1, s8
	v_lshrrev_b32_e32 v1, 21, v1
; %bb.1719:
	s_andn2_saveexec_b64 s[6:7], s[6:7]
; %bb.1720:
	s_mov_b32 s8, 0x43000000
	v_add_f32_e64 v1, |v4|, s8
; %bb.1721:
	s_or_b64 exec, exec, s[6:7]
                                        ; implicit-def: $vgpr5
.LBB400_1722:
	s_andn2_saveexec_b64 s[2:3], s[2:3]
; %bb.1723:
	s_mov_b32 s6, 0x7f800000
	v_mov_b32_e32 v1, 0x7c
	v_mov_b32_e32 v6, 0x7f
	v_cmp_lt_u32_e32 vcc, s6, v5
	s_nop 1
	v_cndmask_b32_e32 v1, v1, v6, vcc
; %bb.1724:
	s_or_b64 exec, exec, s[2:3]
	v_lshrrev_b32_e32 v5, 24, v4
	s_movk_i32 s2, 0x80
	v_and_or_b32 v1, v5, s2, v1
	global_store_byte v[2:3], v1, off
.LBB400_1725:
	s_mov_b64 s[2:3], 0
	s_mov_b64 s[6:7], -1
.LBB400_1726:
	s_andn2_b64 vcc, exec, s[2:3]
	s_mov_b64 s[2:3], 0
	s_cbranch_vccnz .LBB400_1733
; %bb.1727:
	s_cmp_gt_i32 s19, 14
	s_mov_b64 s[8:9], -1
	s_cbranch_scc0 .LBB400_1731
; %bb.1728:
	s_cmp_eq_u32 s19, 15
	s_mov_b64 s[0:1], -1
	s_cbranch_scc0 .LBB400_1730
; %bb.1729:
	v_bfe_u32 v1, v4, 16, 1
	s_movk_i32 s0, 0x7fff
	v_add3_u32 v1, v4, v1, s0
	v_cmp_o_f32_e32 vcc, v4, v4
	v_mov_b32_e32 v5, 0x7fc0
	s_mov_b64 s[0:1], 0
	v_cndmask_b32_sdwa v1, v5, v1, vcc dst_sel:DWORD dst_unused:UNUSED_PAD src0_sel:DWORD src1_sel:WORD_1
	global_store_short v[2:3], v1, off
	s_mov_b64 s[6:7], -1
.LBB400_1730:
	s_mov_b64 s[8:9], 0
.LBB400_1731:
	s_and_b64 vcc, exec, s[8:9]
	s_cbranch_vccz .LBB400_1733
; %bb.1732:
	s_cmp_lg_u32 s19, 11
	s_mov_b64 s[2:3], -1
	s_cselect_b64 s[0:1], -1, 0
.LBB400_1733:
	s_and_b64 vcc, exec, s[0:1]
	s_cbranch_vccnz .LBB400_2027
; %bb.1734:
	s_andn2_b64 vcc, exec, s[2:3]
	s_cbranch_vccnz .LBB400_1736
.LBB400_1735:
	v_cmp_neq_f32_e32 vcc, 0, v4
	s_mov_b64 s[6:7], -1
	s_nop 0
	v_cndmask_b32_e64 v1, 0, 1, vcc
	global_store_byte v[2:3], v1, off
.LBB400_1736:
	s_mov_b64 s[0:1], 0
	s_branch .LBB400_1738
.LBB400_1737:
	s_mov_b64 s[0:1], -1
	s_mov_b64 s[6:7], 0
.LBB400_1738:
	s_and_b64 vcc, exec, s[0:1]
	s_cbranch_vccz .LBB400_1777
; %bb.1739:
	s_and_b32 s2, 0xffff, s20
	s_cmp_lt_i32 s2, 5
	s_mov_b64 s[0:1], -1
	s_cbranch_scc1 .LBB400_1760
; %bb.1740:
	s_cmp_lt_i32 s2, 8
	s_cbranch_scc1 .LBB400_1750
; %bb.1741:
	s_cmp_lt_i32 s2, 9
	s_cbranch_scc1 .LBB400_1747
; %bb.1742:
	s_cmp_gt_i32 s2, 9
	s_cbranch_scc0 .LBB400_1744
; %bb.1743:
	v_mov_b32_e32 v12, 0
	v_cvt_f64_f32_e32 v[10:11], v4
	v_mov_b32_e32 v13, v12
	global_store_dwordx4 v[2:3], v[10:13], off
	s_mov_b64 s[0:1], 0
.LBB400_1744:
	s_andn2_b64 vcc, exec, s[0:1]
	s_cbranch_vccnz .LBB400_1746
; %bb.1745:
	v_mov_b32_e32 v5, 0
	global_store_dwordx2 v[2:3], v[4:5], off
.LBB400_1746:
	s_mov_b64 s[0:1], 0
.LBB400_1747:
	s_andn2_b64 vcc, exec, s[0:1]
	s_cbranch_vccnz .LBB400_1749
; %bb.1748:
	v_cvt_f16_f32_e32 v1, v4
	global_store_dword v[2:3], v1, off
.LBB400_1749:
	s_mov_b64 s[0:1], 0
.LBB400_1750:
	s_andn2_b64 vcc, exec, s[0:1]
	s_cbranch_vccnz .LBB400_1759
; %bb.1751:
	s_cmp_lt_i32 s2, 6
	s_mov_b64 s[0:1], -1
	s_cbranch_scc1 .LBB400_1757
; %bb.1752:
	s_cmp_gt_i32 s2, 6
	s_cbranch_scc0 .LBB400_1754
; %bb.1753:
	v_cvt_f64_f32_e32 v[10:11], v4
	global_store_dwordx2 v[2:3], v[10:11], off
	s_mov_b64 s[0:1], 0
.LBB400_1754:
	s_andn2_b64 vcc, exec, s[0:1]
	s_cbranch_vccnz .LBB400_1756
; %bb.1755:
	global_store_dword v[2:3], v4, off
.LBB400_1756:
	s_mov_b64 s[0:1], 0
.LBB400_1757:
	s_andn2_b64 vcc, exec, s[0:1]
	s_cbranch_vccnz .LBB400_1759
; %bb.1758:
	v_cvt_f16_f32_e32 v1, v4
	global_store_short v[2:3], v1, off
.LBB400_1759:
	s_mov_b64 s[0:1], 0
.LBB400_1760:
	s_andn2_b64 vcc, exec, s[0:1]
	s_cbranch_vccnz .LBB400_1776
; %bb.1761:
	s_cmp_lt_i32 s2, 2
	s_mov_b64 s[0:1], -1
	s_cbranch_scc1 .LBB400_1771
; %bb.1762:
	s_cmp_lt_i32 s2, 3
	s_cbranch_scc1 .LBB400_1768
; %bb.1763:
	s_cmp_gt_i32 s2, 3
	s_cbranch_scc0 .LBB400_1765
; %bb.1764:
	v_trunc_f32_e32 v1, v4
	s_mov_b32 s0, 0x2f800000
	v_mul_f32_e64 v5, |v1|, s0
	v_floor_f32_e32 v5, v5
	s_mov_b32 s0, 0xcf800000
	v_cvt_u32_f32_e32 v6, v5
	v_fma_f32 v5, v5, s0, |v1|
	v_cvt_u32_f32_e32 v5, v5
	v_ashrrev_i32_e32 v1, 31, v1
	v_xor_b32_e32 v6, v6, v1
	s_mov_b64 s[0:1], 0
	v_xor_b32_e32 v5, v5, v1
	v_sub_co_u32_e32 v10, vcc, v5, v1
	s_nop 1
	v_subb_co_u32_e32 v11, vcc, v6, v1, vcc
	global_store_dwordx2 v[2:3], v[10:11], off
.LBB400_1765:
	s_andn2_b64 vcc, exec, s[0:1]
	s_cbranch_vccnz .LBB400_1767
; %bb.1766:
	v_cvt_i32_f32_e32 v1, v4
	global_store_dword v[2:3], v1, off
.LBB400_1767:
	s_mov_b64 s[0:1], 0
.LBB400_1768:
	s_andn2_b64 vcc, exec, s[0:1]
	s_cbranch_vccnz .LBB400_1770
; %bb.1769:
	v_cvt_i32_f32_e32 v1, v4
	global_store_short v[2:3], v1, off
.LBB400_1770:
	s_mov_b64 s[0:1], 0
.LBB400_1771:
	s_andn2_b64 vcc, exec, s[0:1]
	s_cbranch_vccnz .LBB400_1776
; %bb.1772:
	s_cmp_gt_i32 s2, 0
	s_mov_b64 s[0:1], -1
	s_cbranch_scc0 .LBB400_1774
; %bb.1773:
	v_cvt_i32_f32_e32 v1, v4
	s_mov_b64 s[0:1], 0
	global_store_byte v[2:3], v1, off
.LBB400_1774:
	s_andn2_b64 vcc, exec, s[0:1]
	s_cbranch_vccnz .LBB400_1776
; %bb.1775:
	v_trunc_f32_e32 v1, v4
	s_mov_b32 s0, 0x2f800000
	v_mul_f32_e64 v4, |v1|, s0
	v_floor_f32_e32 v4, v4
	s_mov_b32 s0, 0xcf800000
	v_fma_f32 v4, v4, s0, |v1|
	v_cvt_u32_f32_e32 v4, v4
	v_ashrrev_i32_e32 v1, 31, v1
	v_xor_b32_e32 v4, v4, v1
	v_sub_u32_e32 v1, v4, v1
	global_store_byte v[2:3], v1, off
.LBB400_1776:
	s_mov_b64 s[6:7], -1
.LBB400_1777:
	s_andn2_b64 vcc, exec, s[6:7]
	s_cbranch_vccnz .LBB400_1973
; %bb.1778:
	v_max_f32_e32 v1, v7, v7
	v_max_f32_e32 v1, v1, v9
	v_cmp_u_f32_e32 vcc, v7, v7
	v_add_u32_e32 v0, s18, v0
	s_cmp_lt_i32 s20, 11
	v_cndmask_b32_e32 v4, v1, v7, vcc
	v_ashrrev_i32_e32 v1, 31, v0
	v_lshl_add_u64 v[2:3], s[4:5], 0, v[0:1]
	s_cbranch_scc1 .LBB400_1856
; %bb.1779:
	s_and_b32 s19, 0xffff, s20
	s_mov_b64 s[8:9], -1
	s_mov_b64 s[2:3], 0
	s_cmp_gt_i32 s19, 25
	s_mov_b64 s[6:7], 0
	s_mov_b64 s[0:1], 0
	s_cbranch_scc0 .LBB400_1812
; %bb.1780:
	s_cmp_gt_i32 s19, 28
	s_cbranch_scc0 .LBB400_1795
; %bb.1781:
	s_cmp_gt_i32 s19, 43
	;; [unrolled: 3-line block ×3, first 2 shown]
	s_cbranch_scc0 .LBB400_1785
; %bb.1783:
	s_mov_b64 s[0:1], -1
	s_mov_b64 s[8:9], 0
	s_cmp_eq_u32 s19, 46
	s_cbranch_scc0 .LBB400_1785
; %bb.1784:
	v_bfe_u32 v1, v4, 16, 1
	s_movk_i32 s0, 0x7fff
	v_add3_u32 v1, v4, v1, s0
	v_cmp_o_f32_e32 vcc, v4, v4
	v_mov_b32_e32 v5, 0x7fc0
	s_mov_b64 s[0:1], 0
	v_cndmask_b32_sdwa v1, v5, v1, vcc dst_sel:DWORD dst_unused:UNUSED_PAD src0_sel:DWORD src1_sel:WORD_1
	global_store_dword v[2:3], v1, off
	s_mov_b64 s[6:7], -1
.LBB400_1785:
	s_and_b64 vcc, exec, s[8:9]
	s_cbranch_vccz .LBB400_1790
; %bb.1786:
	s_cmp_eq_u32 s19, 44
	s_mov_b64 s[0:1], -1
	s_cbranch_scc0 .LBB400_1790
; %bb.1787:
	v_bfe_u32 v1, v4, 23, 8
	s_movk_i32 s0, 0xff
	v_cmp_ne_u32_e32 vcc, s0, v1
	v_mov_b32_e32 v5, 0xff
	s_and_saveexec_b64 s[6:7], vcc
; %bb.1788:
	s_mov_b32 s0, 0x3fffff
	v_and_b32_e32 v6, 0x400000, v4
	v_and_or_b32 v1, v4, s0, v1
	v_cmp_ne_u32_e32 vcc, 0, v6
	v_cmp_ne_u32_e64 s[0:1], 0, v1
	s_and_b64 s[0:1], vcc, s[0:1]
	v_lshrrev_b32_e32 v5, 23, v4
	v_cndmask_b32_e64 v1, 0, 1, s[0:1]
	v_add_u32_e32 v5, v5, v1
; %bb.1789:
	s_or_b64 exec, exec, s[6:7]
	s_mov_b64 s[0:1], 0
	s_mov_b64 s[6:7], -1
	global_store_byte v[2:3], v5, off
.LBB400_1790:
	s_mov_b64 s[8:9], 0
.LBB400_1791:
	s_and_b64 vcc, exec, s[8:9]
	s_cbranch_vccz .LBB400_1794
; %bb.1792:
	s_cmp_eq_u32 s19, 29
	s_mov_b64 s[0:1], -1
	s_cbranch_scc0 .LBB400_1794
; %bb.1793:
	v_trunc_f32_e32 v1, v4
	v_mul_f32_e32 v5, 0x2f800000, v1
	v_floor_f32_e32 v5, v5
	v_fmamk_f32 v1, v5, 0xcf800000, v1
	v_cvt_u32_f32_e32 v7, v5
	v_cvt_u32_f32_e32 v6, v1
	s_mov_b64 s[0:1], 0
	s_mov_b64 s[6:7], -1
	global_store_dwordx2 v[2:3], v[6:7], off
.LBB400_1794:
	s_mov_b64 s[8:9], 0
.LBB400_1795:
	s_and_b64 vcc, exec, s[8:9]
	s_cbranch_vccz .LBB400_1811
; %bb.1796:
	s_cmp_lt_i32 s19, 27
	s_mov_b64 s[6:7], -1
	s_cbranch_scc1 .LBB400_1802
; %bb.1797:
	v_cvt_u32_f32_e32 v1, v4
	s_cmp_gt_i32 s19, 27
	s_cbranch_scc0 .LBB400_1799
; %bb.1798:
	s_mov_b64 s[6:7], 0
	global_store_dword v[2:3], v1, off
.LBB400_1799:
	s_andn2_b64 vcc, exec, s[6:7]
	s_cbranch_vccnz .LBB400_1801
; %bb.1800:
	global_store_short v[2:3], v1, off
.LBB400_1801:
	s_mov_b64 s[6:7], 0
.LBB400_1802:
	s_andn2_b64 vcc, exec, s[6:7]
	s_cbranch_vccnz .LBB400_1810
; %bb.1803:
	v_and_b32_e32 v1, 0x7fffffff, v4
	s_mov_b32 s6, 0x43800000
	v_cmp_gt_u32_e32 vcc, s6, v1
	v_mov_b32_e32 v5, 0x80
	s_and_saveexec_b64 s[6:7], vcc
	s_cbranch_execz .LBB400_1809
; %bb.1804:
	s_mov_b32 s8, 0x3bffffff
	v_cmp_lt_u32_e32 vcc, s8, v1
	s_mov_b64 s[8:9], 0
                                        ; implicit-def: $vgpr1
	s_and_saveexec_b64 s[10:11], vcc
	s_xor_b64 s[10:11], exec, s[10:11]
	s_cbranch_execz .LBB400_2030
; %bb.1805:
	v_bfe_u32 v1, v4, 20, 1
	s_mov_b32 s21, 0x487ffff
	v_add3_u32 v1, v4, v1, s21
	s_mov_b64 s[8:9], exec
	v_lshrrev_b32_e32 v1, 20, v1
	s_andn2_saveexec_b64 s[10:11], s[10:11]
	s_cbranch_execnz .LBB400_2031
.LBB400_1806:
	s_or_b64 exec, exec, s[10:11]
	v_mov_b32_e32 v5, 0
	s_and_saveexec_b64 s[10:11], s[8:9]
.LBB400_1807:
	v_lshrrev_b32_e32 v5, 24, v4
	s_movk_i32 s8, 0x80
	v_and_or_b32 v5, v5, s8, v1
.LBB400_1808:
	s_or_b64 exec, exec, s[10:11]
.LBB400_1809:
	s_or_b64 exec, exec, s[6:7]
	global_store_byte v[2:3], v5, off
.LBB400_1810:
	s_mov_b64 s[6:7], -1
.LBB400_1811:
	s_mov_b64 s[8:9], 0
.LBB400_1812:
	s_and_b64 vcc, exec, s[8:9]
	s_cbranch_vccz .LBB400_1852
; %bb.1813:
	s_cmp_gt_i32 s19, 22
	s_mov_b64 s[2:3], -1
	s_cbranch_scc0 .LBB400_1845
; %bb.1814:
	s_cmp_lt_i32 s19, 24
	s_cbranch_scc1 .LBB400_1834
; %bb.1815:
	s_cmp_gt_i32 s19, 24
	s_cbranch_scc0 .LBB400_1823
; %bb.1816:
	v_and_b32_e32 v1, 0x7fffffff, v4
	s_mov_b32 s2, 0x47800000
	v_cmp_gt_u32_e32 vcc, s2, v1
	v_mov_b32_e32 v5, 0x80
	s_and_saveexec_b64 s[2:3], vcc
	s_cbranch_execz .LBB400_1822
; %bb.1817:
	s_mov_b32 s6, 0x37ffffff
	v_cmp_lt_u32_e32 vcc, s6, v1
	s_mov_b64 s[6:7], 0
                                        ; implicit-def: $vgpr1
	s_and_saveexec_b64 s[8:9], vcc
	s_xor_b64 s[8:9], exec, s[8:9]
	s_cbranch_execz .LBB400_2033
; %bb.1818:
	v_bfe_u32 v1, v4, 21, 1
	s_mov_b32 s10, 0x88fffff
	v_add3_u32 v1, v4, v1, s10
	s_mov_b64 s[6:7], exec
	v_lshrrev_b32_e32 v1, 21, v1
	s_andn2_saveexec_b64 s[8:9], s[8:9]
	s_cbranch_execnz .LBB400_2034
.LBB400_1819:
	s_or_b64 exec, exec, s[8:9]
	v_mov_b32_e32 v5, 0
	s_and_saveexec_b64 s[8:9], s[6:7]
.LBB400_1820:
	v_lshrrev_b32_e32 v5, 24, v4
	s_movk_i32 s6, 0x80
	v_and_or_b32 v5, v5, s6, v1
.LBB400_1821:
	s_or_b64 exec, exec, s[8:9]
.LBB400_1822:
	s_or_b64 exec, exec, s[2:3]
	s_mov_b64 s[2:3], 0
	global_store_byte v[2:3], v5, off
.LBB400_1823:
	s_and_b64 vcc, exec, s[2:3]
	s_cbranch_vccz .LBB400_1833
; %bb.1824:
	v_and_b32_e32 v5, 0x7fffffff, v4
	s_mov_b32 s2, 0x43f00000
	v_cmp_gt_u32_e32 vcc, s2, v5
                                        ; implicit-def: $vgpr1
	s_and_saveexec_b64 s[2:3], vcc
	s_xor_b64 s[2:3], exec, s[2:3]
	s_cbranch_execz .LBB400_1830
; %bb.1825:
	s_mov_b32 s6, 0x3c7fffff
	v_cmp_lt_u32_e32 vcc, s6, v5
                                        ; implicit-def: $vgpr1
	s_and_saveexec_b64 s[6:7], vcc
	s_xor_b64 s[6:7], exec, s[6:7]
; %bb.1826:
	v_bfe_u32 v1, v4, 20, 1
	s_mov_b32 s8, 0x407ffff
	v_add3_u32 v1, v4, v1, s8
	v_lshrrev_b32_e32 v5, 20, v1
	v_and_b32_e32 v1, 0xff00000, v1
	s_mov_b32 s8, 0x7f00000
	v_mov_b32_e32 v6, 0x7e
	v_cmp_ne_u32_e32 vcc, s8, v1
	s_nop 1
	v_cndmask_b32_e32 v1, v6, v5, vcc
; %bb.1827:
	s_andn2_saveexec_b64 s[6:7], s[6:7]
; %bb.1828:
	s_mov_b32 s8, 0x46800000
	v_add_f32_e64 v1, |v4|, s8
; %bb.1829:
	s_or_b64 exec, exec, s[6:7]
                                        ; implicit-def: $vgpr5
.LBB400_1830:
	s_andn2_saveexec_b64 s[2:3], s[2:3]
; %bb.1831:
	s_mov_b32 s6, 0x7f800000
	v_mov_b32_e32 v1, 0x7e
	v_mov_b32_e32 v6, 0x7f
	v_cmp_lt_u32_e32 vcc, s6, v5
	s_nop 1
	v_cndmask_b32_e32 v1, v1, v6, vcc
; %bb.1832:
	s_or_b64 exec, exec, s[2:3]
	v_lshrrev_b32_e32 v5, 24, v4
	s_movk_i32 s2, 0x80
	v_and_or_b32 v1, v5, s2, v1
	global_store_byte v[2:3], v1, off
.LBB400_1833:
	s_mov_b64 s[2:3], 0
.LBB400_1834:
	s_andn2_b64 vcc, exec, s[2:3]
	s_cbranch_vccnz .LBB400_1844
; %bb.1835:
	v_and_b32_e32 v5, 0x7fffffff, v4
	s_mov_b32 s2, 0x47800000
	v_cmp_gt_u32_e32 vcc, s2, v5
                                        ; implicit-def: $vgpr1
	s_and_saveexec_b64 s[2:3], vcc
	s_xor_b64 s[2:3], exec, s[2:3]
	s_cbranch_execz .LBB400_1841
; %bb.1836:
	s_mov_b32 s6, 0x387fffff
	v_cmp_lt_u32_e32 vcc, s6, v5
                                        ; implicit-def: $vgpr1
	s_and_saveexec_b64 s[6:7], vcc
	s_xor_b64 s[6:7], exec, s[6:7]
; %bb.1837:
	v_bfe_u32 v1, v4, 21, 1
	s_mov_b32 s8, 0x80fffff
	v_add3_u32 v1, v4, v1, s8
	v_lshrrev_b32_e32 v1, 21, v1
; %bb.1838:
	s_andn2_saveexec_b64 s[6:7], s[6:7]
; %bb.1839:
	s_mov_b32 s8, 0x43000000
	v_add_f32_e64 v1, |v4|, s8
; %bb.1840:
	s_or_b64 exec, exec, s[6:7]
                                        ; implicit-def: $vgpr5
.LBB400_1841:
	s_andn2_saveexec_b64 s[2:3], s[2:3]
; %bb.1842:
	s_mov_b32 s6, 0x7f800000
	v_mov_b32_e32 v1, 0x7c
	v_mov_b32_e32 v6, 0x7f
	v_cmp_lt_u32_e32 vcc, s6, v5
	s_nop 1
	v_cndmask_b32_e32 v1, v1, v6, vcc
; %bb.1843:
	s_or_b64 exec, exec, s[2:3]
	v_lshrrev_b32_e32 v5, 24, v4
	s_movk_i32 s2, 0x80
	v_and_or_b32 v1, v5, s2, v1
	global_store_byte v[2:3], v1, off
.LBB400_1844:
	s_mov_b64 s[2:3], 0
	s_mov_b64 s[6:7], -1
.LBB400_1845:
	s_andn2_b64 vcc, exec, s[2:3]
	s_mov_b64 s[2:3], 0
	s_cbranch_vccnz .LBB400_1852
; %bb.1846:
	s_cmp_gt_i32 s19, 14
	s_mov_b64 s[8:9], -1
	s_cbranch_scc0 .LBB400_1850
; %bb.1847:
	s_cmp_eq_u32 s19, 15
	s_mov_b64 s[0:1], -1
	s_cbranch_scc0 .LBB400_1849
; %bb.1848:
	v_bfe_u32 v1, v4, 16, 1
	s_movk_i32 s0, 0x7fff
	v_add3_u32 v1, v4, v1, s0
	v_cmp_o_f32_e32 vcc, v4, v4
	v_mov_b32_e32 v5, 0x7fc0
	s_mov_b64 s[0:1], 0
	v_cndmask_b32_sdwa v1, v5, v1, vcc dst_sel:DWORD dst_unused:UNUSED_PAD src0_sel:DWORD src1_sel:WORD_1
	global_store_short v[2:3], v1, off
	s_mov_b64 s[6:7], -1
.LBB400_1849:
	s_mov_b64 s[8:9], 0
.LBB400_1850:
	s_and_b64 vcc, exec, s[8:9]
	s_cbranch_vccz .LBB400_1852
; %bb.1851:
	s_cmp_lg_u32 s19, 11
	s_mov_b64 s[2:3], -1
	s_cselect_b64 s[0:1], -1, 0
.LBB400_1852:
	s_and_b64 vcc, exec, s[0:1]
	s_cbranch_vccnz .LBB400_2032
; %bb.1853:
	s_andn2_b64 vcc, exec, s[2:3]
	s_cbranch_vccnz .LBB400_1855
.LBB400_1854:
	v_cmp_neq_f32_e32 vcc, 0, v4
	s_mov_b64 s[6:7], -1
	s_nop 0
	v_cndmask_b32_e64 v1, 0, 1, vcc
	global_store_byte v[2:3], v1, off
.LBB400_1855:
	s_mov_b64 s[0:1], 0
	s_branch .LBB400_1857
.LBB400_1856:
	s_mov_b64 s[0:1], -1
	s_mov_b64 s[6:7], 0
.LBB400_1857:
	s_and_b64 vcc, exec, s[0:1]
	s_cbranch_vccz .LBB400_1896
; %bb.1858:
	s_and_b32 s2, 0xffff, s20
	s_cmp_lt_i32 s2, 5
	s_mov_b64 s[0:1], -1
	s_cbranch_scc1 .LBB400_1879
; %bb.1859:
	s_cmp_lt_i32 s2, 8
	s_cbranch_scc1 .LBB400_1869
; %bb.1860:
	s_cmp_lt_i32 s2, 9
	s_cbranch_scc1 .LBB400_1866
; %bb.1861:
	s_cmp_gt_i32 s2, 9
	s_cbranch_scc0 .LBB400_1863
; %bb.1862:
	v_mov_b32_e32 v12, 0
	v_cvt_f64_f32_e32 v[10:11], v4
	v_mov_b32_e32 v13, v12
	global_store_dwordx4 v[2:3], v[10:13], off
	s_mov_b64 s[0:1], 0
.LBB400_1863:
	s_andn2_b64 vcc, exec, s[0:1]
	s_cbranch_vccnz .LBB400_1865
; %bb.1864:
	v_mov_b32_e32 v5, 0
	global_store_dwordx2 v[2:3], v[4:5], off
.LBB400_1865:
	s_mov_b64 s[0:1], 0
.LBB400_1866:
	s_andn2_b64 vcc, exec, s[0:1]
	s_cbranch_vccnz .LBB400_1868
; %bb.1867:
	v_cvt_f16_f32_e32 v1, v4
	global_store_dword v[2:3], v1, off
.LBB400_1868:
	s_mov_b64 s[0:1], 0
.LBB400_1869:
	s_andn2_b64 vcc, exec, s[0:1]
	s_cbranch_vccnz .LBB400_1878
; %bb.1870:
	s_cmp_lt_i32 s2, 6
	s_mov_b64 s[0:1], -1
	s_cbranch_scc1 .LBB400_1876
; %bb.1871:
	s_cmp_gt_i32 s2, 6
	s_cbranch_scc0 .LBB400_1873
; %bb.1872:
	v_cvt_f64_f32_e32 v[6:7], v4
	global_store_dwordx2 v[2:3], v[6:7], off
	s_mov_b64 s[0:1], 0
.LBB400_1873:
	s_andn2_b64 vcc, exec, s[0:1]
	s_cbranch_vccnz .LBB400_1875
; %bb.1874:
	global_store_dword v[2:3], v4, off
.LBB400_1875:
	s_mov_b64 s[0:1], 0
.LBB400_1876:
	s_andn2_b64 vcc, exec, s[0:1]
	s_cbranch_vccnz .LBB400_1878
; %bb.1877:
	v_cvt_f16_f32_e32 v1, v4
	global_store_short v[2:3], v1, off
.LBB400_1878:
	s_mov_b64 s[0:1], 0
.LBB400_1879:
	s_andn2_b64 vcc, exec, s[0:1]
	s_cbranch_vccnz .LBB400_1895
; %bb.1880:
	s_cmp_lt_i32 s2, 2
	s_mov_b64 s[0:1], -1
	s_cbranch_scc1 .LBB400_1890
; %bb.1881:
	s_cmp_lt_i32 s2, 3
	s_cbranch_scc1 .LBB400_1887
; %bb.1882:
	s_cmp_gt_i32 s2, 3
	s_cbranch_scc0 .LBB400_1884
; %bb.1883:
	v_trunc_f32_e32 v1, v4
	s_mov_b32 s0, 0x2f800000
	v_mul_f32_e64 v5, |v1|, s0
	v_floor_f32_e32 v5, v5
	s_mov_b32 s0, 0xcf800000
	v_cvt_u32_f32_e32 v6, v5
	v_fma_f32 v5, v5, s0, |v1|
	v_cvt_u32_f32_e32 v5, v5
	v_ashrrev_i32_e32 v1, 31, v1
	v_xor_b32_e32 v7, v6, v1
	s_mov_b64 s[0:1], 0
	v_xor_b32_e32 v5, v5, v1
	v_sub_co_u32_e32 v6, vcc, v5, v1
	s_nop 1
	v_subb_co_u32_e32 v7, vcc, v7, v1, vcc
	global_store_dwordx2 v[2:3], v[6:7], off
.LBB400_1884:
	s_andn2_b64 vcc, exec, s[0:1]
	s_cbranch_vccnz .LBB400_1886
; %bb.1885:
	v_cvt_i32_f32_e32 v1, v4
	global_store_dword v[2:3], v1, off
.LBB400_1886:
	s_mov_b64 s[0:1], 0
.LBB400_1887:
	s_andn2_b64 vcc, exec, s[0:1]
	s_cbranch_vccnz .LBB400_1889
; %bb.1888:
	v_cvt_i32_f32_e32 v1, v4
	global_store_short v[2:3], v1, off
.LBB400_1889:
	s_mov_b64 s[0:1], 0
.LBB400_1890:
	s_andn2_b64 vcc, exec, s[0:1]
	s_cbranch_vccnz .LBB400_1895
; %bb.1891:
	s_cmp_gt_i32 s2, 0
	s_mov_b64 s[0:1], -1
	s_cbranch_scc0 .LBB400_1893
; %bb.1892:
	v_cvt_i32_f32_e32 v1, v4
	s_mov_b64 s[0:1], 0
	global_store_byte v[2:3], v1, off
.LBB400_1893:
	s_andn2_b64 vcc, exec, s[0:1]
	s_cbranch_vccnz .LBB400_1895
; %bb.1894:
	v_trunc_f32_e32 v1, v4
	s_mov_b32 s0, 0x2f800000
	v_mul_f32_e64 v4, |v1|, s0
	v_floor_f32_e32 v4, v4
	s_mov_b32 s0, 0xcf800000
	v_fma_f32 v4, v4, s0, |v1|
	v_cvt_u32_f32_e32 v4, v4
	v_ashrrev_i32_e32 v1, 31, v1
	v_xor_b32_e32 v4, v4, v1
	v_sub_u32_e32 v1, v4, v1
	global_store_byte v[2:3], v1, off
.LBB400_1895:
	s_mov_b64 s[6:7], -1
.LBB400_1896:
	s_andn2_b64 vcc, exec, s[6:7]
	s_cbranch_vccnz .LBB400_1973
; %bb.1897:
	v_max_f32_e32 v1, v8, v8
	v_max_f32_e32 v1, v1, v9
	v_cmp_u_f32_e32 vcc, v8, v8
	v_add_u32_e32 v0, s18, v0
	s_cmp_lt_i32 s20, 11
	v_cndmask_b32_e32 v2, v1, v8, vcc
	v_ashrrev_i32_e32 v1, 31, v0
	v_lshl_add_u64 v[0:1], s[4:5], 0, v[0:1]
	s_cbranch_scc1 .LBB400_2018
; %bb.1898:
	s_and_b32 s10, 0xffff, s20
	s_mov_b64 s[4:5], -1
	s_mov_b64 s[2:3], 0
	s_cmp_gt_i32 s10, 25
	s_mov_b64 s[0:1], 0
	s_cbranch_scc0 .LBB400_1931
; %bb.1899:
	s_cmp_gt_i32 s10, 28
	s_cbranch_scc0 .LBB400_1915
; %bb.1900:
	s_cmp_gt_i32 s10, 43
	;; [unrolled: 3-line block ×3, first 2 shown]
	s_cbranch_scc0 .LBB400_1905
; %bb.1902:
	s_cmp_eq_u32 s10, 46
	s_mov_b64 s[0:1], -1
	s_cbranch_scc0 .LBB400_1904
; %bb.1903:
	v_bfe_u32 v3, v2, 16, 1
	s_movk_i32 s0, 0x7fff
	v_add3_u32 v3, v2, v3, s0
	v_cmp_o_f32_e32 vcc, v2, v2
	v_mov_b32_e32 v4, 0x7fc0
	s_mov_b64 s[0:1], 0
	v_cndmask_b32_sdwa v3, v4, v3, vcc dst_sel:DWORD dst_unused:UNUSED_PAD src0_sel:DWORD src1_sel:WORD_1
	global_store_dword v[0:1], v3, off
.LBB400_1904:
	s_mov_b64 s[4:5], 0
.LBB400_1905:
	s_and_b64 vcc, exec, s[4:5]
	s_cbranch_vccz .LBB400_1910
; %bb.1906:
	s_cmp_eq_u32 s10, 44
	s_mov_b64 s[0:1], -1
	s_cbranch_scc0 .LBB400_1910
; %bb.1907:
	v_bfe_u32 v3, v2, 23, 8
	s_movk_i32 s0, 0xff
	v_cmp_ne_u32_e32 vcc, s0, v3
	v_mov_b32_e32 v4, 0xff
	s_and_saveexec_b64 s[4:5], vcc
; %bb.1908:
	s_mov_b32 s0, 0x3fffff
	v_and_b32_e32 v5, 0x400000, v2
	v_and_or_b32 v3, v2, s0, v3
	v_cmp_ne_u32_e32 vcc, 0, v5
	v_cmp_ne_u32_e64 s[0:1], 0, v3
	s_and_b64 s[0:1], vcc, s[0:1]
	v_lshrrev_b32_e32 v4, 23, v2
	v_cndmask_b32_e64 v3, 0, 1, s[0:1]
	v_add_u32_e32 v4, v4, v3
; %bb.1909:
	s_or_b64 exec, exec, s[4:5]
	s_mov_b64 s[0:1], 0
	global_store_byte v[0:1], v4, off
.LBB400_1910:
	s_mov_b64 s[4:5], 0
.LBB400_1911:
	s_and_b64 vcc, exec, s[4:5]
	s_cbranch_vccz .LBB400_1914
; %bb.1912:
	s_cmp_eq_u32 s10, 29
	s_mov_b64 s[0:1], -1
	s_cbranch_scc0 .LBB400_1914
; %bb.1913:
	v_trunc_f32_e32 v3, v2
	v_mul_f32_e32 v4, 0x2f800000, v3
	v_floor_f32_e32 v4, v4
	v_fmamk_f32 v3, v4, 0xcf800000, v3
	v_cvt_u32_f32_e32 v5, v4
	v_cvt_u32_f32_e32 v4, v3
	s_mov_b64 s[0:1], 0
	global_store_dwordx2 v[0:1], v[4:5], off
.LBB400_1914:
	s_mov_b64 s[4:5], 0
.LBB400_1915:
	s_and_b64 vcc, exec, s[4:5]
	s_cbranch_vccz .LBB400_1930
; %bb.1916:
	s_cmp_lt_i32 s10, 27
	s_mov_b64 s[4:5], -1
	s_cbranch_scc1 .LBB400_1922
; %bb.1917:
	v_cvt_u32_f32_e32 v3, v2
	s_cmp_gt_i32 s10, 27
	s_cbranch_scc0 .LBB400_1919
; %bb.1918:
	global_store_dword v[0:1], v3, off
	s_mov_b64 s[4:5], 0
.LBB400_1919:
	s_andn2_b64 vcc, exec, s[4:5]
	s_cbranch_vccnz .LBB400_1921
; %bb.1920:
	global_store_short v[0:1], v3, off
.LBB400_1921:
	s_mov_b64 s[4:5], 0
.LBB400_1922:
	s_andn2_b64 vcc, exec, s[4:5]
	s_cbranch_vccnz .LBB400_1930
; %bb.1923:
	v_and_b32_e32 v3, 0x7fffffff, v2
	s_mov_b32 s4, 0x43800000
	v_cmp_gt_u32_e32 vcc, s4, v3
	v_mov_b32_e32 v4, 0x80
	s_and_saveexec_b64 s[4:5], vcc
	s_cbranch_execz .LBB400_1929
; %bb.1924:
	s_mov_b32 s6, 0x3bffffff
	v_cmp_lt_u32_e32 vcc, s6, v3
	s_mov_b64 s[6:7], 0
                                        ; implicit-def: $vgpr3
	s_and_saveexec_b64 s[8:9], vcc
	s_xor_b64 s[8:9], exec, s[8:9]
	s_cbranch_execz .LBB400_2035
; %bb.1925:
	v_bfe_u32 v3, v2, 20, 1
	s_mov_b32 s11, 0x487ffff
	v_add3_u32 v3, v2, v3, s11
	s_mov_b64 s[6:7], exec
	v_lshrrev_b32_e32 v3, 20, v3
	s_andn2_saveexec_b64 s[8:9], s[8:9]
	s_cbranch_execnz .LBB400_2036
.LBB400_1926:
	s_or_b64 exec, exec, s[8:9]
	v_mov_b32_e32 v4, 0
	s_and_saveexec_b64 s[8:9], s[6:7]
.LBB400_1927:
	v_lshrrev_b32_e32 v4, 24, v2
	s_movk_i32 s6, 0x80
	v_and_or_b32 v4, v4, s6, v3
.LBB400_1928:
	s_or_b64 exec, exec, s[8:9]
.LBB400_1929:
	s_or_b64 exec, exec, s[4:5]
	global_store_byte v[0:1], v4, off
.LBB400_1930:
	s_mov_b64 s[4:5], 0
.LBB400_1931:
	s_and_b64 vcc, exec, s[4:5]
	s_cbranch_vccz .LBB400_1971
; %bb.1932:
	s_cmp_gt_i32 s10, 22
	s_mov_b64 s[2:3], -1
	s_cbranch_scc0 .LBB400_1964
; %bb.1933:
	s_cmp_lt_i32 s10, 24
	s_cbranch_scc1 .LBB400_1953
; %bb.1934:
	s_cmp_gt_i32 s10, 24
	s_cbranch_scc0 .LBB400_1942
; %bb.1935:
	v_and_b32_e32 v3, 0x7fffffff, v2
	s_mov_b32 s2, 0x47800000
	v_cmp_gt_u32_e32 vcc, s2, v3
	v_mov_b32_e32 v4, 0x80
	s_and_saveexec_b64 s[2:3], vcc
	s_cbranch_execz .LBB400_1941
; %bb.1936:
	s_mov_b32 s4, 0x37ffffff
	v_cmp_lt_u32_e32 vcc, s4, v3
	s_mov_b64 s[4:5], 0
                                        ; implicit-def: $vgpr3
	s_and_saveexec_b64 s[6:7], vcc
	s_xor_b64 s[6:7], exec, s[6:7]
	s_cbranch_execz .LBB400_2038
; %bb.1937:
	v_bfe_u32 v3, v2, 21, 1
	s_mov_b32 s8, 0x88fffff
	v_add3_u32 v3, v2, v3, s8
	s_mov_b64 s[4:5], exec
	v_lshrrev_b32_e32 v3, 21, v3
	s_andn2_saveexec_b64 s[6:7], s[6:7]
	s_cbranch_execnz .LBB400_2039
.LBB400_1938:
	s_or_b64 exec, exec, s[6:7]
	v_mov_b32_e32 v4, 0
	s_and_saveexec_b64 s[6:7], s[4:5]
.LBB400_1939:
	v_lshrrev_b32_e32 v4, 24, v2
	s_movk_i32 s4, 0x80
	v_and_or_b32 v4, v4, s4, v3
.LBB400_1940:
	s_or_b64 exec, exec, s[6:7]
.LBB400_1941:
	s_or_b64 exec, exec, s[2:3]
	s_mov_b64 s[2:3], 0
	global_store_byte v[0:1], v4, off
.LBB400_1942:
	s_and_b64 vcc, exec, s[2:3]
	s_cbranch_vccz .LBB400_1952
; %bb.1943:
	v_and_b32_e32 v4, 0x7fffffff, v2
	s_mov_b32 s2, 0x43f00000
	v_cmp_gt_u32_e32 vcc, s2, v4
                                        ; implicit-def: $vgpr3
	s_and_saveexec_b64 s[2:3], vcc
	s_xor_b64 s[2:3], exec, s[2:3]
	s_cbranch_execz .LBB400_1949
; %bb.1944:
	s_mov_b32 s4, 0x3c7fffff
	v_cmp_lt_u32_e32 vcc, s4, v4
                                        ; implicit-def: $vgpr3
	s_and_saveexec_b64 s[4:5], vcc
	s_xor_b64 s[4:5], exec, s[4:5]
; %bb.1945:
	v_bfe_u32 v3, v2, 20, 1
	s_mov_b32 s6, 0x407ffff
	v_add3_u32 v3, v2, v3, s6
	v_lshrrev_b32_e32 v4, 20, v3
	v_and_b32_e32 v3, 0xff00000, v3
	s_mov_b32 s6, 0x7f00000
	v_mov_b32_e32 v5, 0x7e
	v_cmp_ne_u32_e32 vcc, s6, v3
	s_nop 1
	v_cndmask_b32_e32 v3, v5, v4, vcc
; %bb.1946:
	s_andn2_saveexec_b64 s[4:5], s[4:5]
; %bb.1947:
	s_mov_b32 s6, 0x46800000
	v_add_f32_e64 v3, |v2|, s6
; %bb.1948:
	s_or_b64 exec, exec, s[4:5]
                                        ; implicit-def: $vgpr4
.LBB400_1949:
	s_andn2_saveexec_b64 s[2:3], s[2:3]
; %bb.1950:
	s_mov_b32 s4, 0x7f800000
	v_mov_b32_e32 v3, 0x7e
	v_mov_b32_e32 v5, 0x7f
	v_cmp_lt_u32_e32 vcc, s4, v4
	s_nop 1
	v_cndmask_b32_e32 v3, v3, v5, vcc
; %bb.1951:
	s_or_b64 exec, exec, s[2:3]
	v_lshrrev_b32_e32 v4, 24, v2
	s_movk_i32 s2, 0x80
	v_and_or_b32 v3, v4, s2, v3
	global_store_byte v[0:1], v3, off
.LBB400_1952:
	s_mov_b64 s[2:3], 0
.LBB400_1953:
	s_andn2_b64 vcc, exec, s[2:3]
	s_cbranch_vccnz .LBB400_1963
; %bb.1954:
	v_and_b32_e32 v4, 0x7fffffff, v2
	s_mov_b32 s2, 0x47800000
	v_cmp_gt_u32_e32 vcc, s2, v4
                                        ; implicit-def: $vgpr3
	s_and_saveexec_b64 s[2:3], vcc
	s_xor_b64 s[2:3], exec, s[2:3]
	s_cbranch_execz .LBB400_1960
; %bb.1955:
	s_mov_b32 s4, 0x387fffff
	v_cmp_lt_u32_e32 vcc, s4, v4
                                        ; implicit-def: $vgpr3
	s_and_saveexec_b64 s[4:5], vcc
	s_xor_b64 s[4:5], exec, s[4:5]
; %bb.1956:
	v_bfe_u32 v3, v2, 21, 1
	s_mov_b32 s6, 0x80fffff
	v_add3_u32 v3, v2, v3, s6
	v_lshrrev_b32_e32 v3, 21, v3
; %bb.1957:
	s_andn2_saveexec_b64 s[4:5], s[4:5]
; %bb.1958:
	s_mov_b32 s6, 0x43000000
	v_add_f32_e64 v3, |v2|, s6
; %bb.1959:
	s_or_b64 exec, exec, s[4:5]
                                        ; implicit-def: $vgpr4
.LBB400_1960:
	s_andn2_saveexec_b64 s[2:3], s[2:3]
; %bb.1961:
	s_mov_b32 s4, 0x7f800000
	v_mov_b32_e32 v3, 0x7c
	v_mov_b32_e32 v5, 0x7f
	v_cmp_lt_u32_e32 vcc, s4, v4
	s_nop 1
	v_cndmask_b32_e32 v3, v3, v5, vcc
; %bb.1962:
	s_or_b64 exec, exec, s[2:3]
	v_lshrrev_b32_e32 v4, 24, v2
	s_movk_i32 s2, 0x80
	v_and_or_b32 v3, v4, s2, v3
	global_store_byte v[0:1], v3, off
.LBB400_1963:
	s_mov_b64 s[2:3], 0
.LBB400_1964:
	s_andn2_b64 vcc, exec, s[2:3]
	s_mov_b64 s[2:3], 0
	s_cbranch_vccnz .LBB400_1971
; %bb.1965:
	s_cmp_gt_i32 s10, 14
	s_mov_b64 s[4:5], -1
	s_cbranch_scc0 .LBB400_1969
; %bb.1966:
	s_cmp_eq_u32 s10, 15
	s_mov_b64 s[0:1], -1
	s_cbranch_scc0 .LBB400_1968
; %bb.1967:
	v_bfe_u32 v3, v2, 16, 1
	s_movk_i32 s0, 0x7fff
	v_add3_u32 v3, v2, v3, s0
	v_cmp_o_f32_e32 vcc, v2, v2
	v_mov_b32_e32 v4, 0x7fc0
	s_mov_b64 s[0:1], 0
	v_cndmask_b32_sdwa v3, v4, v3, vcc dst_sel:DWORD dst_unused:UNUSED_PAD src0_sel:DWORD src1_sel:WORD_1
	global_store_short v[0:1], v3, off
.LBB400_1968:
	s_mov_b64 s[4:5], 0
.LBB400_1969:
	s_and_b64 vcc, exec, s[4:5]
	s_cbranch_vccz .LBB400_1971
; %bb.1970:
	s_cmp_lg_u32 s10, 11
	s_mov_b64 s[2:3], -1
	s_cselect_b64 s[0:1], -1, 0
.LBB400_1971:
	s_and_b64 vcc, exec, s[0:1]
	s_cbranch_vccnz .LBB400_2037
.LBB400_1972:
	s_mov_b64 s[0:1], 0
	s_branch .LBB400_1974
.LBB400_1973:
	s_mov_b64 s[0:1], 0
	s_mov_b64 s[2:3], 0
                                        ; implicit-def: $sgpr20
                                        ; implicit-def: $vgpr0_vgpr1
                                        ; implicit-def: $vgpr2
.LBB400_1974:
	s_andn2_b64 s[4:5], s[14:15], exec
	s_and_b64 s[6:7], s[16:17], exec
	s_and_b64 s[0:1], s[0:1], exec
	;; [unrolled: 1-line block ×3, first 2 shown]
	s_or_b64 s[14:15], s[4:5], s[6:7]
.LBB400_1975:
	s_or_b64 exec, exec, s[12:13]
	s_and_saveexec_b64 s[4:5], s[14:15]
	s_cbranch_execz .LBB400_1978
; %bb.1976:
	; divergent unreachable
	s_or_b64 exec, exec, s[4:5]
	s_and_saveexec_b64 s[4:5], s[2:3]
	s_xor_b64 s[2:3], exec, s[4:5]
	s_cbranch_execnz .LBB400_1979
.LBB400_1977:
	s_or_b64 exec, exec, s[2:3]
	s_and_saveexec_b64 s[2:3], s[0:1]
	s_cbranch_execnz .LBB400_1980
	s_branch .LBB400_2017
.LBB400_1978:
	s_or_b64 exec, exec, s[4:5]
	s_and_saveexec_b64 s[4:5], s[2:3]
	s_xor_b64 s[2:3], exec, s[4:5]
	s_cbranch_execz .LBB400_1977
.LBB400_1979:
	s_waitcnt vmcnt(0)
	v_cmp_neq_f32_e32 vcc, 0, v2
	s_nop 1
	v_cndmask_b32_e64 v3, 0, 1, vcc
	global_store_byte v[0:1], v3, off
	s_or_b64 exec, exec, s[2:3]
	s_and_saveexec_b64 s[2:3], s[0:1]
	s_cbranch_execz .LBB400_2017
.LBB400_1980:
	s_sext_i32_i16 s2, s20
	s_cmp_lt_i32 s2, 5
	s_mov_b64 s[0:1], -1
	s_cbranch_scc1 .LBB400_2001
; %bb.1981:
	s_cmp_lt_i32 s2, 8
	s_cbranch_scc1 .LBB400_1991
; %bb.1982:
	s_cmp_lt_i32 s2, 9
	s_cbranch_scc1 .LBB400_1988
; %bb.1983:
	s_cmp_gt_i32 s2, 9
	s_cbranch_scc0 .LBB400_1985
; %bb.1984:
	s_waitcnt vmcnt(0)
	v_mov_b32_e32 v6, 0
	v_cvt_f64_f32_e32 v[4:5], v2
	v_mov_b32_e32 v7, v6
	global_store_dwordx4 v[0:1], v[4:7], off
	s_mov_b64 s[0:1], 0
.LBB400_1985:
	s_andn2_b64 vcc, exec, s[0:1]
	s_cbranch_vccnz .LBB400_1987
; %bb.1986:
	s_waitcnt vmcnt(0)
	v_mov_b32_e32 v3, 0
	global_store_dwordx2 v[0:1], v[2:3], off
.LBB400_1987:
	s_mov_b64 s[0:1], 0
.LBB400_1988:
	s_andn2_b64 vcc, exec, s[0:1]
	s_cbranch_vccnz .LBB400_1990
; %bb.1989:
	s_waitcnt vmcnt(0)
	v_cvt_f16_f32_e32 v3, v2
	global_store_dword v[0:1], v3, off
.LBB400_1990:
	s_mov_b64 s[0:1], 0
.LBB400_1991:
	s_andn2_b64 vcc, exec, s[0:1]
	s_cbranch_vccnz .LBB400_2000
; %bb.1992:
	s_sext_i32_i16 s2, s20
	s_cmp_lt_i32 s2, 6
	s_mov_b64 s[0:1], -1
	s_cbranch_scc1 .LBB400_1998
; %bb.1993:
	s_cmp_gt_i32 s2, 6
	s_cbranch_scc0 .LBB400_1995
; %bb.1994:
	s_waitcnt vmcnt(0)
	v_cvt_f64_f32_e32 v[4:5], v2
	global_store_dwordx2 v[0:1], v[4:5], off
	s_mov_b64 s[0:1], 0
.LBB400_1995:
	s_andn2_b64 vcc, exec, s[0:1]
	s_cbranch_vccnz .LBB400_1997
; %bb.1996:
	s_waitcnt vmcnt(0)
	global_store_dword v[0:1], v2, off
.LBB400_1997:
	s_mov_b64 s[0:1], 0
.LBB400_1998:
	s_andn2_b64 vcc, exec, s[0:1]
	s_cbranch_vccnz .LBB400_2000
; %bb.1999:
	s_waitcnt vmcnt(0)
	v_cvt_f16_f32_e32 v3, v2
	global_store_short v[0:1], v3, off
.LBB400_2000:
	s_mov_b64 s[0:1], 0
.LBB400_2001:
	s_andn2_b64 vcc, exec, s[0:1]
	s_cbranch_vccnz .LBB400_2017
; %bb.2002:
	s_sext_i32_i16 s2, s20
	s_cmp_lt_i32 s2, 2
	s_mov_b64 s[0:1], -1
	s_cbranch_scc1 .LBB400_2012
; %bb.2003:
	s_cmp_lt_i32 s2, 3
	s_cbranch_scc1 .LBB400_2009
; %bb.2004:
	s_cmp_gt_i32 s2, 3
	s_cbranch_scc0 .LBB400_2006
; %bb.2005:
	s_waitcnt vmcnt(0)
	v_trunc_f32_e32 v3, v2
	s_mov_b32 s0, 0x2f800000
	v_mul_f32_e64 v4, |v3|, s0
	v_floor_f32_e32 v4, v4
	s_mov_b32 s0, 0xcf800000
	v_cvt_u32_f32_e32 v5, v4
	v_fma_f32 v4, v4, s0, |v3|
	v_cvt_u32_f32_e32 v4, v4
	v_ashrrev_i32_e32 v3, 31, v3
	v_xor_b32_e32 v5, v5, v3
	s_mov_b64 s[0:1], 0
	v_xor_b32_e32 v4, v4, v3
	v_sub_co_u32_e32 v4, vcc, v4, v3
	s_nop 1
	v_subb_co_u32_e32 v5, vcc, v5, v3, vcc
	global_store_dwordx2 v[0:1], v[4:5], off
.LBB400_2006:
	s_andn2_b64 vcc, exec, s[0:1]
	s_cbranch_vccnz .LBB400_2008
; %bb.2007:
	s_waitcnt vmcnt(0)
	v_cvt_i32_f32_e32 v3, v2
	global_store_dword v[0:1], v3, off
.LBB400_2008:
	s_mov_b64 s[0:1], 0
.LBB400_2009:
	s_andn2_b64 vcc, exec, s[0:1]
	s_cbranch_vccnz .LBB400_2011
; %bb.2010:
	s_waitcnt vmcnt(0)
	v_cvt_i32_f32_e32 v3, v2
	global_store_short v[0:1], v3, off
.LBB400_2011:
	s_mov_b64 s[0:1], 0
.LBB400_2012:
	s_andn2_b64 vcc, exec, s[0:1]
	s_cbranch_vccnz .LBB400_2017
; %bb.2013:
	s_sext_i32_i16 s0, s20
	s_cmp_gt_i32 s0, 0
	s_mov_b64 s[0:1], -1
	s_cbranch_scc0 .LBB400_2015
; %bb.2014:
	s_waitcnt vmcnt(0)
	v_cvt_i32_f32_e32 v3, v2
	s_mov_b64 s[0:1], 0
	global_store_byte v[0:1], v3, off
.LBB400_2015:
	s_andn2_b64 vcc, exec, s[0:1]
	s_cbranch_vccnz .LBB400_2017
; %bb.2016:
	s_waitcnt vmcnt(0)
	v_trunc_f32_e32 v2, v2
	s_mov_b32 s0, 0x2f800000
	v_mul_f32_e64 v3, |v2|, s0
	v_floor_f32_e32 v3, v3
	s_mov_b32 s0, 0xcf800000
	v_fma_f32 v3, v3, s0, |v2|
	v_cvt_u32_f32_e32 v3, v3
	v_ashrrev_i32_e32 v2, 31, v2
	v_xor_b32_e32 v3, v3, v2
	v_sub_u32_e32 v2, v3, v2
	global_store_byte v[0:1], v2, off
	s_endpgm
.LBB400_2017:
	s_endpgm
.LBB400_2018:
	s_mov_b64 s[2:3], 0
	s_mov_b64 s[0:1], -1
	s_branch .LBB400_1974
.LBB400_2019:
	s_trap 2
	s_or_b64 s[16:17], s[16:17], exec
	s_cbranch_execz .LBB400_1488
	s_branch .LBB400_1489
.LBB400_2020:
	s_andn2_saveexec_b64 s[18:19], s[18:19]
	s_cbranch_execz .LBB400_1568
.LBB400_2021:
	s_mov_b32 s21, 0x46000000
	v_add_f32_e64 v1, |v4|, s21
	v_and_b32_e32 v1, 0xff, v1
	v_cmp_ne_u32_e32 vcc, 0, v1
	s_andn2_b64 s[10:11], s[10:11], exec
	s_and_b64 s[22:23], vcc, exec
	s_or_b64 s[10:11], s[10:11], s[22:23]
	s_or_b64 exec, exec, s[18:19]
	v_mov_b32_e32 v5, 0
	s_and_saveexec_b64 s[18:19], s[10:11]
	s_cbranch_execnz .LBB400_1569
	s_branch .LBB400_1570
.LBB400_2022:
	s_trap 2
	s_or_b64 s[16:17], s[16:17], exec
	s_cbranch_execz .LBB400_1616
	s_branch .LBB400_1617
.LBB400_2023:
	s_andn2_saveexec_b64 s[10:11], s[10:11]
	s_cbranch_execz .LBB400_1581
.LBB400_2024:
	s_mov_b32 s18, 0x42800000
	v_add_f32_e64 v1, |v4|, s18
	v_and_b32_e32 v1, 0xff, v1
	v_cmp_ne_u32_e32 vcc, 0, v1
	s_andn2_b64 s[6:7], s[6:7], exec
	s_and_b64 s[18:19], vcc, exec
	s_or_b64 s[6:7], s[6:7], s[18:19]
	s_or_b64 exec, exec, s[10:11]
	v_mov_b32_e32 v5, 0
	s_and_saveexec_b64 s[10:11], s[6:7]
	s_cbranch_execnz .LBB400_1582
	s_branch .LBB400_1583
.LBB400_2025:
	s_andn2_saveexec_b64 s[10:11], s[10:11]
	s_cbranch_execz .LBB400_1687
.LBB400_2026:
	s_mov_b32 s21, 0x46000000
	v_add_f32_e64 v1, |v4|, s21
	v_and_b32_e32 v1, 0xff, v1
	v_cmp_ne_u32_e32 vcc, 0, v1
	s_andn2_b64 s[8:9], s[8:9], exec
	s_and_b64 s[22:23], vcc, exec
	s_or_b64 s[8:9], s[8:9], s[22:23]
	s_or_b64 exec, exec, s[10:11]
	v_mov_b32_e32 v5, 0
	s_and_saveexec_b64 s[10:11], s[8:9]
	s_cbranch_execnz .LBB400_1688
	s_branch .LBB400_1689
.LBB400_2027:
	s_trap 2
	s_or_b64 s[16:17], s[16:17], exec
	s_cbranch_execz .LBB400_1735
	s_branch .LBB400_1736
.LBB400_2028:
	s_andn2_saveexec_b64 s[8:9], s[8:9]
	s_cbranch_execz .LBB400_1700
.LBB400_2029:
	s_mov_b32 s10, 0x42800000
	v_add_f32_e64 v1, |v4|, s10
	v_and_b32_e32 v1, 0xff, v1
	v_cmp_ne_u32_e32 vcc, 0, v1
	s_andn2_b64 s[6:7], s[6:7], exec
	s_and_b64 s[10:11], vcc, exec
	s_or_b64 s[6:7], s[6:7], s[10:11]
	s_or_b64 exec, exec, s[8:9]
	v_mov_b32_e32 v5, 0
	s_and_saveexec_b64 s[8:9], s[6:7]
	s_cbranch_execnz .LBB400_1701
	s_branch .LBB400_1702
.LBB400_2030:
	s_andn2_saveexec_b64 s[10:11], s[10:11]
	s_cbranch_execz .LBB400_1806
.LBB400_2031:
	s_mov_b32 s21, 0x46000000
	v_add_f32_e64 v1, |v4|, s21
	v_and_b32_e32 v1, 0xff, v1
	v_cmp_ne_u32_e32 vcc, 0, v1
	s_andn2_b64 s[8:9], s[8:9], exec
	s_and_b64 s[22:23], vcc, exec
	s_or_b64 s[8:9], s[8:9], s[22:23]
	s_or_b64 exec, exec, s[10:11]
	v_mov_b32_e32 v5, 0
	s_and_saveexec_b64 s[10:11], s[8:9]
	s_cbranch_execnz .LBB400_1807
	s_branch .LBB400_1808
.LBB400_2032:
	s_trap 2
	s_or_b64 s[16:17], s[16:17], exec
	s_cbranch_execz .LBB400_1854
	s_branch .LBB400_1855
.LBB400_2033:
	s_andn2_saveexec_b64 s[8:9], s[8:9]
	s_cbranch_execz .LBB400_1819
.LBB400_2034:
	s_mov_b32 s10, 0x42800000
	v_add_f32_e64 v1, |v4|, s10
	v_and_b32_e32 v1, 0xff, v1
	v_cmp_ne_u32_e32 vcc, 0, v1
	s_andn2_b64 s[6:7], s[6:7], exec
	s_and_b64 s[10:11], vcc, exec
	s_or_b64 s[6:7], s[6:7], s[10:11]
	s_or_b64 exec, exec, s[8:9]
	v_mov_b32_e32 v5, 0
	s_and_saveexec_b64 s[8:9], s[6:7]
	s_cbranch_execnz .LBB400_1820
	s_branch .LBB400_1821
.LBB400_2035:
	s_andn2_saveexec_b64 s[8:9], s[8:9]
	s_cbranch_execz .LBB400_1926
.LBB400_2036:
	s_mov_b32 s11, 0x46000000
	v_add_f32_e64 v3, |v2|, s11
	v_and_b32_e32 v3, 0xff, v3
	v_cmp_ne_u32_e32 vcc, 0, v3
	s_andn2_b64 s[6:7], s[6:7], exec
	s_and_b64 s[18:19], vcc, exec
	s_or_b64 s[6:7], s[6:7], s[18:19]
	s_or_b64 exec, exec, s[8:9]
	v_mov_b32_e32 v4, 0
	s_and_saveexec_b64 s[8:9], s[6:7]
	s_cbranch_execnz .LBB400_1927
	s_branch .LBB400_1928
.LBB400_2037:
	s_mov_b64 s[2:3], 0
	s_or_b64 s[16:17], s[16:17], exec
	s_trap 2
	s_branch .LBB400_1972
.LBB400_2038:
	s_andn2_saveexec_b64 s[6:7], s[6:7]
	s_cbranch_execz .LBB400_1938
.LBB400_2039:
	s_mov_b32 s8, 0x42800000
	v_add_f32_e64 v3, |v2|, s8
	v_and_b32_e32 v3, 0xff, v3
	v_cmp_ne_u32_e32 vcc, 0, v3
	s_andn2_b64 s[4:5], s[4:5], exec
	s_and_b64 s[8:9], vcc, exec
	s_or_b64 s[4:5], s[4:5], s[8:9]
	s_or_b64 exec, exec, s[6:7]
	v_mov_b32_e32 v4, 0
	s_and_saveexec_b64 s[6:7], s[4:5]
	s_cbranch_execnz .LBB400_1939
	s_branch .LBB400_1940
	.section	.rodata,"a",@progbits
	.p2align	6, 0x0
	.amdhsa_kernel _ZN2at6native32elementwise_kernel_manual_unrollILi128ELi4EZNS0_15gpu_kernel_implIZZZNS0_21clamp_min_kernel_cudaERNS_18TensorIteratorBaseERKN3c106ScalarEENKUlvE_clEvENKUlvE5_clEvEUlfE_EEvS4_RKT_EUlibE_EEviT1_
		.amdhsa_group_segment_fixed_size 0
		.amdhsa_private_segment_fixed_size 0
		.amdhsa_kernarg_size 40
		.amdhsa_user_sgpr_count 2
		.amdhsa_user_sgpr_dispatch_ptr 0
		.amdhsa_user_sgpr_queue_ptr 0
		.amdhsa_user_sgpr_kernarg_segment_ptr 1
		.amdhsa_user_sgpr_dispatch_id 0
		.amdhsa_user_sgpr_kernarg_preload_length 0
		.amdhsa_user_sgpr_kernarg_preload_offset 0
		.amdhsa_user_sgpr_private_segment_size 0
		.amdhsa_uses_dynamic_stack 0
		.amdhsa_enable_private_segment 0
		.amdhsa_system_sgpr_workgroup_id_x 1
		.amdhsa_system_sgpr_workgroup_id_y 0
		.amdhsa_system_sgpr_workgroup_id_z 0
		.amdhsa_system_sgpr_workgroup_info 0
		.amdhsa_system_vgpr_workitem_id 0
		.amdhsa_next_free_vgpr 14
		.amdhsa_next_free_sgpr 45
		.amdhsa_accum_offset 16
		.amdhsa_reserve_vcc 1
		.amdhsa_float_round_mode_32 0
		.amdhsa_float_round_mode_16_64 0
		.amdhsa_float_denorm_mode_32 3
		.amdhsa_float_denorm_mode_16_64 3
		.amdhsa_dx10_clamp 1
		.amdhsa_ieee_mode 1
		.amdhsa_fp16_overflow 0
		.amdhsa_tg_split 0
		.amdhsa_exception_fp_ieee_invalid_op 0
		.amdhsa_exception_fp_denorm_src 0
		.amdhsa_exception_fp_ieee_div_zero 0
		.amdhsa_exception_fp_ieee_overflow 0
		.amdhsa_exception_fp_ieee_underflow 0
		.amdhsa_exception_fp_ieee_inexact 0
		.amdhsa_exception_int_div_zero 0
	.end_amdhsa_kernel
	.section	.text._ZN2at6native32elementwise_kernel_manual_unrollILi128ELi4EZNS0_15gpu_kernel_implIZZZNS0_21clamp_min_kernel_cudaERNS_18TensorIteratorBaseERKN3c106ScalarEENKUlvE_clEvENKUlvE5_clEvEUlfE_EEvS4_RKT_EUlibE_EEviT1_,"axG",@progbits,_ZN2at6native32elementwise_kernel_manual_unrollILi128ELi4EZNS0_15gpu_kernel_implIZZZNS0_21clamp_min_kernel_cudaERNS_18TensorIteratorBaseERKN3c106ScalarEENKUlvE_clEvENKUlvE5_clEvEUlfE_EEvS4_RKT_EUlibE_EEviT1_,comdat
.Lfunc_end400:
	.size	_ZN2at6native32elementwise_kernel_manual_unrollILi128ELi4EZNS0_15gpu_kernel_implIZZZNS0_21clamp_min_kernel_cudaERNS_18TensorIteratorBaseERKN3c106ScalarEENKUlvE_clEvENKUlvE5_clEvEUlfE_EEvS4_RKT_EUlibE_EEviT1_, .Lfunc_end400-_ZN2at6native32elementwise_kernel_manual_unrollILi128ELi4EZNS0_15gpu_kernel_implIZZZNS0_21clamp_min_kernel_cudaERNS_18TensorIteratorBaseERKN3c106ScalarEENKUlvE_clEvENKUlvE5_clEvEUlfE_EEvS4_RKT_EUlibE_EEviT1_
                                        ; -- End function
	.set _ZN2at6native32elementwise_kernel_manual_unrollILi128ELi4EZNS0_15gpu_kernel_implIZZZNS0_21clamp_min_kernel_cudaERNS_18TensorIteratorBaseERKN3c106ScalarEENKUlvE_clEvENKUlvE5_clEvEUlfE_EEvS4_RKT_EUlibE_EEviT1_.num_vgpr, 14
	.set _ZN2at6native32elementwise_kernel_manual_unrollILi128ELi4EZNS0_15gpu_kernel_implIZZZNS0_21clamp_min_kernel_cudaERNS_18TensorIteratorBaseERKN3c106ScalarEENKUlvE_clEvENKUlvE5_clEvEUlfE_EEvS4_RKT_EUlibE_EEviT1_.num_agpr, 0
	.set _ZN2at6native32elementwise_kernel_manual_unrollILi128ELi4EZNS0_15gpu_kernel_implIZZZNS0_21clamp_min_kernel_cudaERNS_18TensorIteratorBaseERKN3c106ScalarEENKUlvE_clEvENKUlvE5_clEvEUlfE_EEvS4_RKT_EUlibE_EEviT1_.numbered_sgpr, 45
	.set _ZN2at6native32elementwise_kernel_manual_unrollILi128ELi4EZNS0_15gpu_kernel_implIZZZNS0_21clamp_min_kernel_cudaERNS_18TensorIteratorBaseERKN3c106ScalarEENKUlvE_clEvENKUlvE5_clEvEUlfE_EEvS4_RKT_EUlibE_EEviT1_.num_named_barrier, 0
	.set _ZN2at6native32elementwise_kernel_manual_unrollILi128ELi4EZNS0_15gpu_kernel_implIZZZNS0_21clamp_min_kernel_cudaERNS_18TensorIteratorBaseERKN3c106ScalarEENKUlvE_clEvENKUlvE5_clEvEUlfE_EEvS4_RKT_EUlibE_EEviT1_.private_seg_size, 0
	.set _ZN2at6native32elementwise_kernel_manual_unrollILi128ELi4EZNS0_15gpu_kernel_implIZZZNS0_21clamp_min_kernel_cudaERNS_18TensorIteratorBaseERKN3c106ScalarEENKUlvE_clEvENKUlvE5_clEvEUlfE_EEvS4_RKT_EUlibE_EEviT1_.uses_vcc, 1
	.set _ZN2at6native32elementwise_kernel_manual_unrollILi128ELi4EZNS0_15gpu_kernel_implIZZZNS0_21clamp_min_kernel_cudaERNS_18TensorIteratorBaseERKN3c106ScalarEENKUlvE_clEvENKUlvE5_clEvEUlfE_EEvS4_RKT_EUlibE_EEviT1_.uses_flat_scratch, 0
	.set _ZN2at6native32elementwise_kernel_manual_unrollILi128ELi4EZNS0_15gpu_kernel_implIZZZNS0_21clamp_min_kernel_cudaERNS_18TensorIteratorBaseERKN3c106ScalarEENKUlvE_clEvENKUlvE5_clEvEUlfE_EEvS4_RKT_EUlibE_EEviT1_.has_dyn_sized_stack, 0
	.set _ZN2at6native32elementwise_kernel_manual_unrollILi128ELi4EZNS0_15gpu_kernel_implIZZZNS0_21clamp_min_kernel_cudaERNS_18TensorIteratorBaseERKN3c106ScalarEENKUlvE_clEvENKUlvE5_clEvEUlfE_EEvS4_RKT_EUlibE_EEviT1_.has_recursion, 0
	.set _ZN2at6native32elementwise_kernel_manual_unrollILi128ELi4EZNS0_15gpu_kernel_implIZZZNS0_21clamp_min_kernel_cudaERNS_18TensorIteratorBaseERKN3c106ScalarEENKUlvE_clEvENKUlvE5_clEvEUlfE_EEvS4_RKT_EUlibE_EEviT1_.has_indirect_call, 0
	.section	.AMDGPU.csdata,"",@progbits
; Kernel info:
; codeLenInByte = 32596
; TotalNumSgprs: 51
; NumVgprs: 14
; NumAgprs: 0
; TotalNumVgprs: 14
; ScratchSize: 0
; MemoryBound: 1
; FloatMode: 240
; IeeeMode: 1
; LDSByteSize: 0 bytes/workgroup (compile time only)
; SGPRBlocks: 6
; VGPRBlocks: 1
; NumSGPRsForWavesPerEU: 51
; NumVGPRsForWavesPerEU: 14
; AccumOffset: 16
; Occupancy: 8
; WaveLimiterHint : 0
; COMPUTE_PGM_RSRC2:SCRATCH_EN: 0
; COMPUTE_PGM_RSRC2:USER_SGPR: 2
; COMPUTE_PGM_RSRC2:TRAP_HANDLER: 0
; COMPUTE_PGM_RSRC2:TGID_X_EN: 1
; COMPUTE_PGM_RSRC2:TGID_Y_EN: 0
; COMPUTE_PGM_RSRC2:TGID_Z_EN: 0
; COMPUTE_PGM_RSRC2:TIDIG_COMP_CNT: 0
; COMPUTE_PGM_RSRC3_GFX90A:ACCUM_OFFSET: 3
; COMPUTE_PGM_RSRC3_GFX90A:TG_SPLIT: 0
	.section	.text._ZN2at6native32elementwise_kernel_manual_unrollILi128ELi4EZNS0_15gpu_kernel_implIZZZNS0_21clamp_min_kernel_cudaERNS_18TensorIteratorBaseERKN3c106ScalarEENKUlvE_clEvENKUlvE5_clEvEUlfE_EEvS4_RKT_EUlibE0_EEviT1_,"axG",@progbits,_ZN2at6native32elementwise_kernel_manual_unrollILi128ELi4EZNS0_15gpu_kernel_implIZZZNS0_21clamp_min_kernel_cudaERNS_18TensorIteratorBaseERKN3c106ScalarEENKUlvE_clEvENKUlvE5_clEvEUlfE_EEvS4_RKT_EUlibE0_EEviT1_,comdat
	.globl	_ZN2at6native32elementwise_kernel_manual_unrollILi128ELi4EZNS0_15gpu_kernel_implIZZZNS0_21clamp_min_kernel_cudaERNS_18TensorIteratorBaseERKN3c106ScalarEENKUlvE_clEvENKUlvE5_clEvEUlfE_EEvS4_RKT_EUlibE0_EEviT1_ ; -- Begin function _ZN2at6native32elementwise_kernel_manual_unrollILi128ELi4EZNS0_15gpu_kernel_implIZZZNS0_21clamp_min_kernel_cudaERNS_18TensorIteratorBaseERKN3c106ScalarEENKUlvE_clEvENKUlvE5_clEvEUlfE_EEvS4_RKT_EUlibE0_EEviT1_
	.p2align	8
	.type	_ZN2at6native32elementwise_kernel_manual_unrollILi128ELi4EZNS0_15gpu_kernel_implIZZZNS0_21clamp_min_kernel_cudaERNS_18TensorIteratorBaseERKN3c106ScalarEENKUlvE_clEvENKUlvE5_clEvEUlfE_EEvS4_RKT_EUlibE0_EEviT1_,@function
_ZN2at6native32elementwise_kernel_manual_unrollILi128ELi4EZNS0_15gpu_kernel_implIZZZNS0_21clamp_min_kernel_cudaERNS_18TensorIteratorBaseERKN3c106ScalarEENKUlvE_clEvENKUlvE5_clEvEUlfE_EEvS4_RKT_EUlibE0_EEviT1_: ; @_ZN2at6native32elementwise_kernel_manual_unrollILi128ELi4EZNS0_15gpu_kernel_implIZZZNS0_21clamp_min_kernel_cudaERNS_18TensorIteratorBaseERKN3c106ScalarEENKUlvE_clEvENKUlvE5_clEvEUlfE_EEvS4_RKT_EUlibE0_EEviT1_
; %bb.0:
	s_load_dword s72, s[0:1], 0x0
	s_load_dword s33, s[0:1], 0x8
	s_add_u32 s34, s0, 8
	s_addc_u32 s35, s1, 0
	v_lshl_or_b32 v8, s2, 9, v0
	v_or_b32_e32 v16, 0x180, v8
	s_waitcnt lgkmcnt(0)
	s_add_i32 s74, s33, -1
	s_cmp_gt_u32 s74, 1
	v_cmp_le_i32_e32 vcc, s72, v16
	s_cselect_b64 s[42:43], -1, 0
	s_mov_b64 s[40:41], 0
	s_mov_b64 s[24:25], 0
	s_and_saveexec_b64 s[2:3], vcc
	s_xor_b64 s[44:45], exec, s[2:3]
	s_cbranch_execz .LBB401_1090
; %bb.1:
	s_load_dwordx4 s[24:27], s[34:35], 0x4
	s_load_dwordx2 s[48:49], s[34:35], 0x14
	s_load_dwordx2 s[46:47], s[34:35], 0x158
	s_cmp_lg_u32 s33, 0
	s_load_dwordx4 s[28:31], s[34:35], 0xc4
	s_load_dwordx4 s[20:23], s[34:35], 0x148
	s_cselect_b64 s[54:55], -1, 0
	s_add_u32 s52, s34, 0xc4
	s_addc_u32 s53, s35, 0
	s_min_u32 s76, s74, 15
	s_cmp_gt_u32 s33, 1
	s_cselect_b64 s[50:51], -1, 0
	s_waitcnt lgkmcnt(0)
	s_bfe_u32 s75, s47, 0x80008
	v_cmp_gt_i32_e32 vcc, s72, v8
	s_mov_b64 s[4:5], -1
	s_mov_b64 s[64:65], 0
	s_mov_b64 s[58:59], 0
	;; [unrolled: 1-line block ×3, first 2 shown]
	s_and_saveexec_b64 s[60:61], vcc
	s_cbranch_execz .LBB401_267
; %bb.2:
	s_andn2_b64 vcc, exec, s[42:43]
	s_cbranch_vccnz .LBB401_8
; %bb.3:
	s_andn2_b64 vcc, exec, s[54:55]
	s_cbranch_vccnz .LBB401_9
; %bb.4:
	s_add_i32 s59, s76, 1
	s_cmp_eq_u32 s74, 2
	s_cbranch_scc1 .LBB401_10
; %bb.5:
	s_and_b32 s58, s59, 28
	s_mov_b32 s62, 0
	v_mov_b32_e32 v0, 0
	v_mov_b32_e32 v2, 0
	s_mov_b64 s[2:3], s[34:35]
	s_mov_b64 s[56:57], s[52:53]
	v_mov_b32_e32 v4, v8
.LBB401_6:                              ; =>This Inner Loop Header: Depth=1
	s_load_dwordx8 s[12:19], s[2:3], 0x4
	s_load_dwordx4 s[36:39], s[2:3], 0x24
	s_load_dwordx8 s[4:11], s[56:57], 0x0
	s_add_u32 s2, s2, 48
	s_addc_u32 s3, s3, 0
	s_waitcnt lgkmcnt(0)
	v_mul_hi_u32 v1, s13, v4
	v_add_u32_e32 v1, v4, v1
	v_lshrrev_b32_e32 v1, s14, v1
	v_mul_lo_u32 v3, v1, s12
	v_mul_hi_u32 v5, s16, v1
	v_sub_u32_e32 v3, v4, v3
	v_add_u32_e32 v4, v1, v5
	v_lshrrev_b32_e32 v4, s17, v4
	v_mul_lo_u32 v6, v4, s15
	v_mul_hi_u32 v7, s19, v4
	v_sub_u32_e32 v1, v1, v6
	v_add_u32_e32 v6, v4, v7
	v_mul_lo_u32 v5, v3, s5
	v_mul_lo_u32 v3, v3, s4
	;; [unrolled: 1-line block ×4, first 2 shown]
	v_lshrrev_b32_e32 v6, s36, v6
	v_add3_u32 v0, v3, v0, v1
	v_mul_hi_u32 v3, s38, v6
	v_add3_u32 v1, v5, v2, v7
	v_mul_lo_u32 v2, v6, s18
	v_add_u32_e32 v3, v6, v3
	v_sub_u32_e32 v2, v4, v2
	v_lshrrev_b32_e32 v4, s39, v3
	s_add_i32 s62, s62, 4
	v_mul_lo_u32 v3, v4, s37
	s_add_u32 s56, s56, 32
	v_sub_u32_e32 v3, v6, v3
	s_addc_u32 s57, s57, 0
	v_mul_lo_u32 v5, v2, s8
	v_mul_lo_u32 v2, v2, s9
	;; [unrolled: 1-line block ×4, first 2 shown]
	s_cmp_lg_u32 s58, s62
	v_add3_u32 v2, v2, v1, v3
	v_add3_u32 v0, v5, v0, v6
	s_cbranch_scc1 .LBB401_6
; %bb.7:
	v_mov_b32_e32 v1, v2
	s_branch .LBB401_11
.LBB401_8:
                                        ; implicit-def: $vgpr2
                                        ; implicit-def: $vgpr0
	s_branch .LBB401_15
.LBB401_9:
	v_mov_b32_e32 v2, 0
	v_mov_b32_e32 v0, 0
	s_branch .LBB401_14
.LBB401_10:
	v_mov_b32_e32 v0, 0
	s_mov_b32 s58, 0
	v_mov_b32_e32 v1, v0
                                        ; implicit-def: $vgpr2
	v_mov_b32_e32 v4, v8
.LBB401_11:
	s_and_b32 s6, s59, 3
	s_cmp_eq_u32 s6, 0
	s_cbranch_scc1 .LBB401_14
; %bb.12:
	s_lshl_b32 s2, s58, 3
	s_add_u32 s2, s34, s2
	s_addc_u32 s3, s35, 0
	s_add_u32 s2, s2, 0xc4
	s_addc_u32 s3, s3, 0
	s_mul_i32 s4, s58, 12
	s_add_u32 s4, s34, s4
	s_addc_u32 s5, s35, 0
.LBB401_13:                             ; =>This Inner Loop Header: Depth=1
	s_load_dwordx2 s[8:9], s[4:5], 0x4
	s_load_dword s7, s[4:5], 0xc
	s_load_dwordx2 s[10:11], s[2:3], 0x0
	v_mov_b32_e32 v2, v1
	s_add_u32 s4, s4, 12
	s_waitcnt lgkmcnt(0)
	v_mul_hi_u32 v1, s9, v4
	v_add_u32_e32 v1, v4, v1
	v_lshrrev_b32_e32 v1, s7, v1
	s_addc_u32 s5, s5, 0
	v_mul_lo_u32 v3, v1, s8
	s_add_u32 s2, s2, 8
	v_sub_u32_e32 v5, v4, v3
	s_addc_u32 s3, s3, 0
	s_add_i32 s6, s6, -1
	v_mov_b32_e32 v4, v1
	v_mad_u64_u32 v[2:3], s[8:9], v5, s11, v[2:3]
	v_mad_u64_u32 v[0:1], s[8:9], v5, s10, v[0:1]
	s_cmp_lg_u32 s6, 0
	v_mov_b32_e32 v1, v2
	s_cbranch_scc1 .LBB401_13
.LBB401_14:
	s_cbranch_execnz .LBB401_17
.LBB401_15:
	v_mul_hi_u32 v0, s25, v8
	v_add_u32_e32 v0, v8, v0
	v_lshrrev_b32_e32 v1, s26, v0
	v_mul_lo_u32 v0, v1, s24
	v_sub_u32_e32 v0, v8, v0
	v_mul_lo_u32 v2, v0, s29
	s_andn2_b64 vcc, exec, s[50:51]
	v_mul_lo_u32 v0, v0, s28
	s_cbranch_vccnz .LBB401_17
; %bb.16:
	v_mul_hi_u32 v3, s48, v1
	v_add_u32_e32 v3, v1, v3
	v_lshrrev_b32_e32 v3, s49, v3
	v_mul_lo_u32 v3, v3, s27
	v_sub_u32_e32 v3, v1, v3
	v_mad_u64_u32 v[0:1], s[2:3], v3, s30, v[0:1]
	v_mad_u64_u32 v[2:3], s[2:3], v3, s31, v[2:3]
.LBB401_17:
	v_mov_b32_e32 v3, 0
	s_and_b32 s10, 0xffff, s75
	s_cmp_lt_i32 s10, 11
	v_lshl_add_u64 v[2:3], s[22:23], 0, v[2:3]
	s_cbranch_scc1 .LBB401_24
; %bb.18:
	s_cmp_gt_i32 s10, 25
	s_cbranch_scc0 .LBB401_33
; %bb.19:
	s_cmp_gt_i32 s10, 28
	s_cbranch_scc0 .LBB401_36
	;; [unrolled: 3-line block ×4, first 2 shown]
; %bb.22:
	s_cmp_eq_u32 s10, 46
	s_mov_b64 s[6:7], 0
	s_cbranch_scc0 .LBB401_42
; %bb.23:
	global_load_dword v1, v[2:3], off
	s_mov_b64 s[2:3], -1
	s_mov_b64 s[4:5], 0
	s_waitcnt vmcnt(0)
	v_lshlrev_b32_e32 v1, 16, v1
	s_branch .LBB401_44
.LBB401_24:
	s_mov_b64 s[4:5], 0
                                        ; implicit-def: $vgpr1
	s_mov_b64 s[2:3], 0
	s_cbranch_execnz .LBB401_217
.LBB401_25:
	s_andn2_b64 vcc, exec, s[2:3]
	s_cbranch_vccnz .LBB401_264
.LBB401_26:
	v_max_f32_e64 v2, s46, s46
	s_waitcnt vmcnt(0)
	v_max_f32_e32 v3, v1, v1
	v_max_f32_e32 v2, v3, v2
	v_cmp_u_f32_e32 vcc, v1, v1
	s_and_b32 s12, s47, 0xff
	s_cmp_lt_i32 s12, 11
	v_cndmask_b32_e32 v2, v2, v1, vcc
	v_mov_b32_e32 v1, 0
	v_lshl_add_u64 v[0:1], s[20:21], 0, v[0:1]
	s_cbranch_scc1 .LBB401_34
; %bb.27:
	s_and_b32 s13, 0xffff, s12
	s_cmp_gt_i32 s13, 25
	s_cbranch_scc0 .LBB401_37
; %bb.28:
	s_cmp_gt_i32 s13, 28
	s_cbranch_scc0 .LBB401_39
; %bb.29:
	;; [unrolled: 3-line block ×4, first 2 shown]
	s_mov_b64 s[8:9], 0
	s_mov_b64 s[2:3], -1
	s_cmp_eq_u32 s13, 46
	s_mov_b64 s[6:7], 0
	s_cbranch_scc0 .LBB401_48
; %bb.32:
	v_bfe_u32 v3, v2, 16, 1
	s_movk_i32 s2, 0x7fff
	v_add3_u32 v3, v2, v3, s2
	v_cmp_o_f32_e32 vcc, v2, v2
	v_mov_b32_e32 v4, 0x7fc0
	s_mov_b64 s[6:7], -1
	v_cndmask_b32_sdwa v3, v4, v3, vcc dst_sel:DWORD dst_unused:UNUSED_PAD src0_sel:DWORD src1_sel:WORD_1
	global_store_dword v[0:1], v3, off
	s_mov_b64 s[2:3], 0
	s_branch .LBB401_48
.LBB401_33:
	s_mov_b64 s[4:5], 0
	s_mov_b64 s[2:3], 0
                                        ; implicit-def: $vgpr1
	s_cbranch_execnz .LBB401_182
	s_branch .LBB401_216
.LBB401_34:
	s_mov_b64 s[2:3], 0
	s_mov_b64 s[6:7], 0
	s_cbranch_execnz .LBB401_117
.LBB401_35:
	s_andn2_b64 vcc, exec, s[6:7]
	s_cbranch_vccnz .LBB401_265
	s_branch .LBB401_155
.LBB401_36:
	s_mov_b64 s[6:7], -1
	s_mov_b64 s[4:5], 0
	s_mov_b64 s[2:3], 0
                                        ; implicit-def: $vgpr1
	s_branch .LBB401_163
.LBB401_37:
	s_mov_b64 s[8:9], -1
	s_mov_b64 s[2:3], 0
	s_mov_b64 s[6:7], 0
	s_branch .LBB401_75
.LBB401_38:
	s_mov_b64 s[6:7], -1
	s_mov_b64 s[4:5], 0
	s_mov_b64 s[2:3], 0
                                        ; implicit-def: $vgpr1
	s_branch .LBB401_158
.LBB401_39:
	s_mov_b64 s[8:9], -1
	s_mov_b64 s[2:3], 0
	s_mov_b64 s[6:7], 0
	s_branch .LBB401_58
.LBB401_40:
	s_mov_b64 s[6:7], -1
	s_mov_b64 s[4:5], 0
	s_branch .LBB401_43
.LBB401_41:
	s_mov_b64 s[8:9], -1
	s_mov_b64 s[2:3], 0
	s_mov_b64 s[6:7], 0
	s_branch .LBB401_54
.LBB401_42:
	s_mov_b64 s[4:5], -1
.LBB401_43:
	s_mov_b64 s[2:3], 0
                                        ; implicit-def: $vgpr1
.LBB401_44:
	s_and_b64 vcc, exec, s[6:7]
	s_cbranch_vccz .LBB401_157
; %bb.45:
	s_cmp_eq_u32 s10, 44
	s_cbranch_scc0 .LBB401_156
; %bb.46:
	global_load_ubyte v1, v[2:3], off
	s_movk_i32 s4, 0xff
	v_mov_b32_e32 v4, 0x7f800001
	v_mov_b32_e32 v5, 0x400000
	s_mov_b64 s[2:3], -1
	s_waitcnt vmcnt(0)
	v_lshlrev_b32_e32 v6, 23, v1
	v_cmp_ne_u32_e32 vcc, s4, v1
	s_mov_b64 s[4:5], 0
	s_nop 0
	v_cndmask_b32_e32 v4, v4, v6, vcc
	v_cmp_ne_u32_e32 vcc, 0, v1
	s_nop 1
	v_cndmask_b32_e32 v1, v5, v4, vcc
	s_branch .LBB401_157
.LBB401_47:
	s_mov_b64 s[8:9], -1
	s_mov_b64 s[2:3], 0
	s_mov_b64 s[6:7], 0
.LBB401_48:
	s_and_b64 vcc, exec, s[8:9]
	s_cbranch_vccz .LBB401_53
; %bb.49:
	s_cmp_eq_u32 s13, 44
	s_mov_b64 s[2:3], -1
	s_cbranch_scc0 .LBB401_53
; %bb.50:
	v_bfe_u32 v3, v2, 23, 8
	s_movk_i32 s2, 0xff
	v_cmp_ne_u32_e32 vcc, s2, v3
	v_mov_b32_e32 v4, 0xff
	s_and_saveexec_b64 s[6:7], vcc
; %bb.51:
	s_mov_b32 s2, 0x3fffff
	v_and_b32_e32 v5, 0x400000, v2
	v_and_or_b32 v3, v2, s2, v3
	v_cmp_ne_u32_e32 vcc, 0, v5
	v_cmp_ne_u32_e64 s[2:3], 0, v3
	s_and_b64 s[2:3], vcc, s[2:3]
	v_lshrrev_b32_e32 v4, 23, v2
	v_cndmask_b32_e64 v3, 0, 1, s[2:3]
	v_add_u32_e32 v4, v4, v3
; %bb.52:
	s_or_b64 exec, exec, s[6:7]
	s_mov_b64 s[6:7], -1
	s_mov_b64 s[2:3], 0
	global_store_byte v[0:1], v4, off
.LBB401_53:
	s_mov_b64 s[8:9], 0
.LBB401_54:
	s_and_b64 vcc, exec, s[8:9]
	s_cbranch_vccz .LBB401_57
; %bb.55:
	s_cmp_eq_u32 s13, 29
	s_mov_b64 s[2:3], -1
	s_cbranch_scc0 .LBB401_57
; %bb.56:
	v_trunc_f32_e32 v3, v2
	v_mul_f32_e32 v4, 0x2f800000, v3
	v_floor_f32_e32 v4, v4
	v_fmamk_f32 v3, v4, 0xcf800000, v3
	v_cvt_u32_f32_e32 v5, v4
	v_cvt_u32_f32_e32 v4, v3
	s_mov_b64 s[6:7], -1
	s_mov_b64 s[2:3], 0
	s_mov_b64 s[8:9], 0
	global_store_dwordx2 v[0:1], v[4:5], off
	s_branch .LBB401_58
.LBB401_57:
	s_mov_b64 s[8:9], 0
.LBB401_58:
	s_and_b64 vcc, exec, s[8:9]
	s_cbranch_vccz .LBB401_74
; %bb.59:
	s_cmp_lt_i32 s13, 27
	s_mov_b64 s[6:7], -1
	s_cbranch_scc1 .LBB401_65
; %bb.60:
	v_cvt_u32_f32_e32 v3, v2
	s_cmp_gt_i32 s13, 27
	s_cbranch_scc0 .LBB401_62
; %bb.61:
	s_mov_b64 s[6:7], 0
	global_store_dword v[0:1], v3, off
.LBB401_62:
	s_andn2_b64 vcc, exec, s[6:7]
	s_cbranch_vccnz .LBB401_64
; %bb.63:
	global_store_short v[0:1], v3, off
.LBB401_64:
	s_mov_b64 s[6:7], 0
.LBB401_65:
	s_andn2_b64 vcc, exec, s[6:7]
	s_cbranch_vccnz .LBB401_73
; %bb.66:
	v_and_b32_e32 v3, 0x7fffffff, v2
	s_mov_b32 s6, 0x43800000
	v_cmp_gt_u32_e32 vcc, s6, v3
	v_mov_b32_e32 v4, 0x80
	s_and_saveexec_b64 s[6:7], vcc
	s_cbranch_execz .LBB401_72
; %bb.67:
	s_mov_b32 s8, 0x3bffffff
	v_cmp_lt_u32_e32 vcc, s8, v3
	s_mov_b64 s[8:9], 0
                                        ; implicit-def: $vgpr3
	s_and_saveexec_b64 s[10:11], vcc
	s_xor_b64 s[10:11], exec, s[10:11]
	s_cbranch_execz .LBB401_309
; %bb.68:
	v_bfe_u32 v3, v2, 20, 1
	s_mov_b32 s14, 0x487ffff
	v_add3_u32 v3, v2, v3, s14
	s_mov_b64 s[8:9], exec
	v_lshrrev_b32_e32 v3, 20, v3
	s_andn2_saveexec_b64 s[10:11], s[10:11]
	s_cbranch_execnz .LBB401_310
.LBB401_69:
	s_or_b64 exec, exec, s[10:11]
	v_mov_b32_e32 v4, 0
	s_and_saveexec_b64 s[10:11], s[8:9]
.LBB401_70:
	v_lshrrev_b32_e32 v4, 24, v2
	s_movk_i32 s8, 0x80
	v_and_or_b32 v4, v4, s8, v3
.LBB401_71:
	s_or_b64 exec, exec, s[10:11]
.LBB401_72:
	s_or_b64 exec, exec, s[6:7]
	global_store_byte v[0:1], v4, off
.LBB401_73:
	s_mov_b64 s[6:7], -1
.LBB401_74:
	s_mov_b64 s[8:9], 0
.LBB401_75:
	s_and_b64 vcc, exec, s[8:9]
	s_cbranch_vccz .LBB401_116
; %bb.76:
	s_cmp_gt_i32 s13, 22
	s_mov_b64 s[8:9], -1
	s_cbranch_scc0 .LBB401_108
; %bb.77:
	s_cmp_lt_i32 s13, 24
	s_mov_b64 s[6:7], -1
	s_cbranch_scc1 .LBB401_97
; %bb.78:
	s_cmp_gt_i32 s13, 24
	s_cbranch_scc0 .LBB401_86
; %bb.79:
	v_and_b32_e32 v3, 0x7fffffff, v2
	s_mov_b32 s6, 0x47800000
	v_cmp_gt_u32_e32 vcc, s6, v3
	v_mov_b32_e32 v4, 0x80
	s_and_saveexec_b64 s[6:7], vcc
	s_cbranch_execz .LBB401_85
; %bb.80:
	s_mov_b32 s8, 0x37ffffff
	v_cmp_lt_u32_e32 vcc, s8, v3
	s_mov_b64 s[8:9], 0
                                        ; implicit-def: $vgpr3
	s_and_saveexec_b64 s[10:11], vcc
	s_xor_b64 s[10:11], exec, s[10:11]
	s_cbranch_execz .LBB401_313
; %bb.81:
	v_bfe_u32 v3, v2, 21, 1
	s_mov_b32 s14, 0x88fffff
	v_add3_u32 v3, v2, v3, s14
	s_mov_b64 s[8:9], exec
	v_lshrrev_b32_e32 v3, 21, v3
	s_andn2_saveexec_b64 s[10:11], s[10:11]
	s_cbranch_execnz .LBB401_314
.LBB401_82:
	s_or_b64 exec, exec, s[10:11]
	v_mov_b32_e32 v4, 0
	s_and_saveexec_b64 s[10:11], s[8:9]
.LBB401_83:
	v_lshrrev_b32_e32 v4, 24, v2
	s_movk_i32 s8, 0x80
	v_and_or_b32 v4, v4, s8, v3
.LBB401_84:
	s_or_b64 exec, exec, s[10:11]
.LBB401_85:
	s_or_b64 exec, exec, s[6:7]
	s_mov_b64 s[6:7], 0
	global_store_byte v[0:1], v4, off
.LBB401_86:
	s_and_b64 vcc, exec, s[6:7]
	s_cbranch_vccz .LBB401_96
; %bb.87:
	v_and_b32_e32 v4, 0x7fffffff, v2
	s_mov_b32 s6, 0x43f00000
	v_cmp_gt_u32_e32 vcc, s6, v4
                                        ; implicit-def: $vgpr3
	s_and_saveexec_b64 s[6:7], vcc
	s_xor_b64 s[6:7], exec, s[6:7]
	s_cbranch_execz .LBB401_93
; %bb.88:
	s_mov_b32 s8, 0x3c7fffff
	v_cmp_lt_u32_e32 vcc, s8, v4
                                        ; implicit-def: $vgpr3
	s_and_saveexec_b64 s[8:9], vcc
	s_xor_b64 s[8:9], exec, s[8:9]
; %bb.89:
	v_bfe_u32 v3, v2, 20, 1
	s_mov_b32 s10, 0x407ffff
	v_add3_u32 v3, v2, v3, s10
	v_lshrrev_b32_e32 v4, 20, v3
	v_and_b32_e32 v3, 0xff00000, v3
	s_mov_b32 s10, 0x7f00000
	v_mov_b32_e32 v5, 0x7e
	v_cmp_ne_u32_e32 vcc, s10, v3
	s_nop 1
	v_cndmask_b32_e32 v3, v5, v4, vcc
; %bb.90:
	s_andn2_saveexec_b64 s[8:9], s[8:9]
; %bb.91:
	s_mov_b32 s10, 0x46800000
	v_add_f32_e64 v3, |v2|, s10
; %bb.92:
	s_or_b64 exec, exec, s[8:9]
                                        ; implicit-def: $vgpr4
.LBB401_93:
	s_andn2_saveexec_b64 s[6:7], s[6:7]
; %bb.94:
	s_mov_b32 s8, 0x7f800000
	v_mov_b32_e32 v3, 0x7e
	v_mov_b32_e32 v5, 0x7f
	v_cmp_lt_u32_e32 vcc, s8, v4
	s_nop 1
	v_cndmask_b32_e32 v3, v3, v5, vcc
; %bb.95:
	s_or_b64 exec, exec, s[6:7]
	v_lshrrev_b32_e32 v4, 24, v2
	s_movk_i32 s6, 0x80
	v_and_or_b32 v3, v4, s6, v3
	global_store_byte v[0:1], v3, off
.LBB401_96:
	s_mov_b64 s[6:7], 0
.LBB401_97:
	s_andn2_b64 vcc, exec, s[6:7]
	s_cbranch_vccnz .LBB401_107
; %bb.98:
	v_and_b32_e32 v4, 0x7fffffff, v2
	s_mov_b32 s6, 0x47800000
	v_cmp_gt_u32_e32 vcc, s6, v4
                                        ; implicit-def: $vgpr3
	s_and_saveexec_b64 s[6:7], vcc
	s_xor_b64 s[6:7], exec, s[6:7]
	s_cbranch_execz .LBB401_104
; %bb.99:
	s_mov_b32 s8, 0x387fffff
	v_cmp_lt_u32_e32 vcc, s8, v4
                                        ; implicit-def: $vgpr3
	s_and_saveexec_b64 s[8:9], vcc
	s_xor_b64 s[8:9], exec, s[8:9]
; %bb.100:
	v_bfe_u32 v3, v2, 21, 1
	s_mov_b32 s10, 0x80fffff
	v_add3_u32 v3, v2, v3, s10
	v_lshrrev_b32_e32 v3, 21, v3
; %bb.101:
	s_andn2_saveexec_b64 s[8:9], s[8:9]
; %bb.102:
	s_mov_b32 s10, 0x43000000
	v_add_f32_e64 v3, |v2|, s10
; %bb.103:
	s_or_b64 exec, exec, s[8:9]
                                        ; implicit-def: $vgpr4
.LBB401_104:
	s_andn2_saveexec_b64 s[6:7], s[6:7]
; %bb.105:
	s_mov_b32 s8, 0x7f800000
	v_mov_b32_e32 v3, 0x7c
	v_mov_b32_e32 v5, 0x7f
	v_cmp_lt_u32_e32 vcc, s8, v4
	s_nop 1
	v_cndmask_b32_e32 v3, v3, v5, vcc
; %bb.106:
	s_or_b64 exec, exec, s[6:7]
	v_lshrrev_b32_e32 v4, 24, v2
	s_movk_i32 s6, 0x80
	v_and_or_b32 v3, v4, s6, v3
	global_store_byte v[0:1], v3, off
.LBB401_107:
	s_mov_b64 s[8:9], 0
	s_mov_b64 s[6:7], -1
.LBB401_108:
	s_andn2_b64 vcc, exec, s[8:9]
	s_cbranch_vccnz .LBB401_116
; %bb.109:
	s_cmp_gt_i32 s13, 14
	s_mov_b64 s[8:9], -1
	s_cbranch_scc0 .LBB401_113
; %bb.110:
	s_cmp_eq_u32 s13, 15
	s_mov_b64 s[2:3], -1
	s_cbranch_scc0 .LBB401_112
; %bb.111:
	v_bfe_u32 v3, v2, 16, 1
	s_movk_i32 s2, 0x7fff
	v_add3_u32 v3, v2, v3, s2
	v_cmp_o_f32_e32 vcc, v2, v2
	v_mov_b32_e32 v4, 0x7fc0
	s_mov_b64 s[6:7], -1
	v_cndmask_b32_sdwa v3, v4, v3, vcc dst_sel:DWORD dst_unused:UNUSED_PAD src0_sel:DWORD src1_sel:WORD_1
	global_store_short v[0:1], v3, off
	s_mov_b64 s[2:3], 0
.LBB401_112:
	s_mov_b64 s[8:9], 0
.LBB401_113:
	s_and_b64 vcc, exec, s[8:9]
	s_cbranch_vccz .LBB401_116
; %bb.114:
	s_cmp_eq_u32 s13, 11
	s_mov_b64 s[2:3], -1
	s_cbranch_scc0 .LBB401_116
; %bb.115:
	v_cmp_neq_f32_e32 vcc, 0, v2
	s_mov_b64 s[6:7], -1
	s_mov_b64 s[2:3], 0
	v_cndmask_b32_e64 v3, 0, 1, vcc
	global_store_byte v[0:1], v3, off
.LBB401_116:
	s_branch .LBB401_35
.LBB401_117:
	s_and_b32 s8, 0xffff, s12
	s_cmp_lt_i32 s8, 5
	s_mov_b64 s[6:7], -1
	s_cbranch_scc1 .LBB401_138
; %bb.118:
	s_cmp_lt_i32 s8, 8
	s_cbranch_scc1 .LBB401_128
; %bb.119:
	s_cmp_lt_i32 s8, 9
	s_cbranch_scc1 .LBB401_125
; %bb.120:
	s_cmp_gt_i32 s8, 9
	s_cbranch_scc0 .LBB401_122
; %bb.121:
	v_mov_b32_e32 v6, 0
	v_cvt_f64_f32_e32 v[4:5], v2
	v_mov_b32_e32 v7, v6
	global_store_dwordx4 v[0:1], v[4:7], off
	s_mov_b64 s[6:7], 0
.LBB401_122:
	s_andn2_b64 vcc, exec, s[6:7]
	s_cbranch_vccnz .LBB401_124
; %bb.123:
	v_mov_b32_e32 v3, 0
	global_store_dwordx2 v[0:1], v[2:3], off
.LBB401_124:
	s_mov_b64 s[6:7], 0
.LBB401_125:
	s_andn2_b64 vcc, exec, s[6:7]
	s_cbranch_vccnz .LBB401_127
; %bb.126:
	v_cvt_f16_f32_e32 v3, v2
	global_store_dword v[0:1], v3, off
.LBB401_127:
	s_mov_b64 s[6:7], 0
.LBB401_128:
	s_andn2_b64 vcc, exec, s[6:7]
	s_cbranch_vccnz .LBB401_137
; %bb.129:
	s_cmp_lt_i32 s8, 6
	s_mov_b64 s[6:7], -1
	s_cbranch_scc1 .LBB401_135
; %bb.130:
	s_cmp_gt_i32 s8, 6
	s_cbranch_scc0 .LBB401_132
; %bb.131:
	v_cvt_f64_f32_e32 v[4:5], v2
	global_store_dwordx2 v[0:1], v[4:5], off
	s_mov_b64 s[6:7], 0
.LBB401_132:
	s_andn2_b64 vcc, exec, s[6:7]
	s_cbranch_vccnz .LBB401_134
; %bb.133:
	global_store_dword v[0:1], v2, off
.LBB401_134:
	s_mov_b64 s[6:7], 0
.LBB401_135:
	s_andn2_b64 vcc, exec, s[6:7]
	s_cbranch_vccnz .LBB401_137
; %bb.136:
	v_cvt_f16_f32_e32 v3, v2
	global_store_short v[0:1], v3, off
.LBB401_137:
	s_mov_b64 s[6:7], 0
.LBB401_138:
	s_andn2_b64 vcc, exec, s[6:7]
	s_cbranch_vccnz .LBB401_154
; %bb.139:
	s_cmp_lt_i32 s8, 2
	s_mov_b64 s[6:7], -1
	s_cbranch_scc1 .LBB401_149
; %bb.140:
	s_cmp_lt_i32 s8, 3
	s_cbranch_scc1 .LBB401_146
; %bb.141:
	s_cmp_gt_i32 s8, 3
	s_cbranch_scc0 .LBB401_143
; %bb.142:
	v_trunc_f32_e32 v3, v2
	s_mov_b32 s6, 0x2f800000
	v_mul_f32_e64 v4, |v3|, s6
	v_floor_f32_e32 v4, v4
	s_mov_b32 s6, 0xcf800000
	v_cvt_u32_f32_e32 v5, v4
	v_fma_f32 v4, v4, s6, |v3|
	v_cvt_u32_f32_e32 v4, v4
	v_ashrrev_i32_e32 v3, 31, v3
	v_xor_b32_e32 v5, v5, v3
	s_mov_b64 s[6:7], 0
	v_xor_b32_e32 v4, v4, v3
	v_sub_co_u32_e32 v4, vcc, v4, v3
	s_nop 1
	v_subb_co_u32_e32 v5, vcc, v5, v3, vcc
	global_store_dwordx2 v[0:1], v[4:5], off
.LBB401_143:
	s_andn2_b64 vcc, exec, s[6:7]
	s_cbranch_vccnz .LBB401_145
; %bb.144:
	v_cvt_i32_f32_e32 v3, v2
	global_store_dword v[0:1], v3, off
.LBB401_145:
	s_mov_b64 s[6:7], 0
.LBB401_146:
	s_andn2_b64 vcc, exec, s[6:7]
	s_cbranch_vccnz .LBB401_148
; %bb.147:
	v_cvt_i32_f32_e32 v3, v2
	global_store_short v[0:1], v3, off
.LBB401_148:
	s_mov_b64 s[6:7], 0
.LBB401_149:
	s_andn2_b64 vcc, exec, s[6:7]
	s_cbranch_vccnz .LBB401_154
; %bb.150:
	s_cmp_gt_i32 s8, 0
	s_mov_b64 s[6:7], -1
	s_cbranch_scc0 .LBB401_152
; %bb.151:
	v_cvt_i32_f32_e32 v3, v2
	s_mov_b64 s[6:7], 0
	global_store_byte v[0:1], v3, off
.LBB401_152:
	s_andn2_b64 vcc, exec, s[6:7]
	s_cbranch_vccnz .LBB401_154
; %bb.153:
	v_trunc_f32_e32 v2, v2
	s_mov_b32 s6, 0x2f800000
	v_mul_f32_e64 v3, |v2|, s6
	v_floor_f32_e32 v3, v3
	s_mov_b32 s6, 0xcf800000
	v_fma_f32 v3, v3, s6, |v2|
	v_cvt_u32_f32_e32 v3, v3
	v_ashrrev_i32_e32 v2, 31, v2
	v_xor_b32_e32 v3, v3, v2
	v_sub_u32_e32 v2, v3, v2
	global_store_byte v[0:1], v2, off
.LBB401_154:
.LBB401_155:
	v_add_u32_e32 v8, 0x80, v8
	s_mov_b64 s[6:7], -1
	s_branch .LBB401_266
.LBB401_156:
	s_mov_b64 s[4:5], -1
                                        ; implicit-def: $vgpr1
.LBB401_157:
	s_mov_b64 s[6:7], 0
.LBB401_158:
	s_and_b64 vcc, exec, s[6:7]
	s_cbranch_vccz .LBB401_162
; %bb.159:
	s_cmp_eq_u32 s10, 29
	s_cbranch_scc0 .LBB401_161
; %bb.160:
	global_load_dwordx2 v[4:5], v[2:3], off
	s_mov_b64 s[2:3], -1
	s_mov_b64 s[4:5], 0
	s_mov_b64 s[6:7], 0
	s_waitcnt vmcnt(0)
	v_ffbh_u32_e32 v1, v5
	v_min_u32_e32 v1, 32, v1
	v_lshlrev_b64 v[4:5], v1, v[4:5]
	v_min_u32_e32 v4, 1, v4
	v_or_b32_e32 v4, v5, v4
	v_cvt_f32_u32_e32 v4, v4
	v_sub_u32_e32 v1, 32, v1
	v_ldexp_f32 v1, v4, v1
	s_branch .LBB401_163
.LBB401_161:
	s_mov_b64 s[4:5], -1
                                        ; implicit-def: $vgpr1
.LBB401_162:
	s_mov_b64 s[6:7], 0
.LBB401_163:
	s_and_b64 vcc, exec, s[6:7]
	s_cbranch_vccz .LBB401_181
; %bb.164:
	s_cmp_lt_i32 s10, 27
	s_cbranch_scc1 .LBB401_167
; %bb.165:
	s_cmp_gt_i32 s10, 27
	s_cbranch_scc0 .LBB401_168
; %bb.166:
	global_load_dword v1, v[2:3], off
	s_mov_b64 s[2:3], 0
	s_waitcnt vmcnt(0)
	v_cvt_f32_u32_e32 v1, v1
	s_branch .LBB401_169
.LBB401_167:
	s_mov_b64 s[2:3], -1
                                        ; implicit-def: $vgpr1
	s_branch .LBB401_172
.LBB401_168:
	s_mov_b64 s[2:3], -1
                                        ; implicit-def: $vgpr1
.LBB401_169:
	s_andn2_b64 vcc, exec, s[2:3]
	s_cbranch_vccnz .LBB401_171
; %bb.170:
	global_load_ushort v1, v[2:3], off
	s_waitcnt vmcnt(0)
	v_cvt_f32_u32_e32 v1, v1
.LBB401_171:
	s_mov_b64 s[2:3], 0
.LBB401_172:
	s_andn2_b64 vcc, exec, s[2:3]
	s_cbranch_vccnz .LBB401_180
; %bb.173:
	global_load_ubyte v4, v[2:3], off
	s_movk_i32 s2, 0x7f
	s_waitcnt vmcnt(0)
	v_cmp_lt_i16_e32 vcc, s2, v4
	s_mov_b64 s[2:3], 0
	s_and_saveexec_b64 s[6:7], vcc
	s_xor_b64 s[6:7], exec, s[6:7]
	s_cbranch_execz .LBB401_193
; %bb.174:
	s_movk_i32 s2, 0x80
	v_cmp_eq_u16_e32 vcc, s2, v4
	s_mov_b64 s[2:3], -1
	s_and_saveexec_b64 s[8:9], vcc
; %bb.175:
	s_xor_b64 s[2:3], exec, -1
; %bb.176:
	s_or_b64 exec, exec, s[8:9]
	s_and_b64 s[2:3], s[2:3], exec
	s_or_saveexec_b64 s[6:7], s[6:7]
	v_mov_b32_e32 v1, 0x7f800001
	s_xor_b64 exec, exec, s[6:7]
	s_cbranch_execnz .LBB401_194
.LBB401_177:
	s_or_b64 exec, exec, s[6:7]
	s_and_saveexec_b64 s[6:7], s[2:3]
	s_cbranch_execz .LBB401_179
.LBB401_178:
	v_lshlrev_b32_e32 v1, 24, v4
	v_and_b32_e32 v4, 0xffff, v4
	v_and_b32_e32 v5, 7, v4
	v_ffbh_u32_e32 v7, v5
	v_min_u32_e32 v7, 32, v7
	v_subrev_u32_e32 v9, 28, v7
	v_bfe_u32 v6, v4, 3, 4
	v_lshlrev_b32_e32 v4, v9, v4
	v_sub_u32_e32 v7, 29, v7
	v_and_b32_e32 v4, 7, v4
	v_cmp_eq_u32_e32 vcc, 0, v6
	v_and_b32_e32 v1, 0x80000000, v1
	s_nop 0
	v_cndmask_b32_e32 v6, v6, v7, vcc
	v_cndmask_b32_e32 v4, v5, v4, vcc
	v_mov_b32_e32 v5, 0x3b800000
	v_lshlrev_b32_e32 v4, 20, v4
	v_lshl_add_u32 v5, v6, 23, v5
	v_or3_b32 v1, v1, v5, v4
.LBB401_179:
	s_or_b64 exec, exec, s[6:7]
.LBB401_180:
	s_mov_b64 s[2:3], -1
.LBB401_181:
	s_branch .LBB401_216
.LBB401_182:
	s_cmp_gt_i32 s10, 22
	s_cbranch_scc0 .LBB401_192
; %bb.183:
	s_cmp_lt_i32 s10, 24
	s_cbranch_scc1 .LBB401_195
; %bb.184:
	s_cmp_gt_i32 s10, 24
	s_cbranch_scc0 .LBB401_196
; %bb.185:
	global_load_ubyte v4, v[2:3], off
	s_movk_i32 s2, 0x7f
	s_waitcnt vmcnt(0)
	v_cmp_lt_i16_e32 vcc, s2, v4
	s_mov_b64 s[2:3], 0
	s_and_saveexec_b64 s[6:7], vcc
	s_xor_b64 s[6:7], exec, s[6:7]
	s_cbranch_execz .LBB401_208
; %bb.186:
	s_movk_i32 s2, 0x80
	v_cmp_eq_u16_e32 vcc, s2, v4
	s_mov_b64 s[2:3], -1
	s_and_saveexec_b64 s[8:9], vcc
; %bb.187:
	s_xor_b64 s[2:3], exec, -1
; %bb.188:
	s_or_b64 exec, exec, s[8:9]
	s_and_b64 s[2:3], s[2:3], exec
	s_or_saveexec_b64 s[6:7], s[6:7]
	v_mov_b32_e32 v1, 0x7f800001
	s_xor_b64 exec, exec, s[6:7]
	s_cbranch_execnz .LBB401_209
.LBB401_189:
	s_or_b64 exec, exec, s[6:7]
	s_and_saveexec_b64 s[6:7], s[2:3]
	s_cbranch_execz .LBB401_191
.LBB401_190:
	v_lshlrev_b32_e32 v1, 24, v4
	v_and_b32_e32 v4, 0xffff, v4
	v_and_b32_e32 v5, 3, v4
	v_ffbh_u32_e32 v7, v5
	v_min_u32_e32 v7, 32, v7
	v_subrev_u32_e32 v9, 29, v7
	v_bfe_u32 v6, v4, 2, 5
	v_lshlrev_b32_e32 v4, v9, v4
	v_sub_u32_e32 v7, 30, v7
	v_and_b32_e32 v4, 3, v4
	v_cmp_eq_u32_e32 vcc, 0, v6
	v_and_b32_e32 v1, 0x80000000, v1
	s_nop 0
	v_cndmask_b32_e32 v6, v6, v7, vcc
	v_cndmask_b32_e32 v4, v5, v4, vcc
	v_mov_b32_e32 v5, 0x37800000
	v_lshlrev_b32_e32 v4, 21, v4
	v_lshl_add_u32 v5, v6, 23, v5
	v_or3_b32 v1, v1, v5, v4
.LBB401_191:
	s_or_b64 exec, exec, s[6:7]
	s_mov_b64 s[2:3], 0
	s_branch .LBB401_197
.LBB401_192:
	s_mov_b64 s[6:7], -1
                                        ; implicit-def: $vgpr1
	s_branch .LBB401_203
.LBB401_193:
	s_or_saveexec_b64 s[6:7], s[6:7]
	v_mov_b32_e32 v1, 0x7f800001
	s_xor_b64 exec, exec, s[6:7]
	s_cbranch_execz .LBB401_177
.LBB401_194:
	v_cmp_ne_u16_e32 vcc, 0, v4
	s_andn2_b64 s[2:3], s[2:3], exec
	s_and_b64 s[8:9], vcc, exec
	v_mov_b32_e32 v1, 0
	s_or_b64 s[2:3], s[2:3], s[8:9]
	s_or_b64 exec, exec, s[6:7]
	s_and_saveexec_b64 s[6:7], s[2:3]
	s_cbranch_execnz .LBB401_178
	s_branch .LBB401_179
.LBB401_195:
	s_mov_b64 s[2:3], -1
                                        ; implicit-def: $vgpr1
	s_branch .LBB401_200
.LBB401_196:
	s_mov_b64 s[2:3], -1
                                        ; implicit-def: $vgpr1
.LBB401_197:
	s_and_b64 vcc, exec, s[2:3]
	s_cbranch_vccz .LBB401_199
; %bb.198:
	global_load_ubyte v1, v[2:3], off
	s_mov_b32 s2, 0x7f800000
	s_waitcnt vmcnt(0)
	v_lshlrev_b32_e32 v1, 24, v1
	v_and_b32_e32 v4, 0x7f000000, v1
	v_ffbh_u32_e32 v5, v4
	v_min_u32_e32 v5, 32, v5
	v_sub_u32_e64 v5, v5, 4 clamp
	v_lshlrev_b32_e32 v7, v5, v4
	v_lshlrev_b32_e32 v5, 23, v5
	v_lshrrev_b32_e32 v7, 4, v7
	v_add_u32_e32 v6, 0x1000000, v4
	v_sub_u32_e32 v5, v7, v5
	v_ashrrev_i32_e32 v6, 8, v6
	v_add_u32_e32 v5, 0x3c000000, v5
	v_and_or_b32 v5, v6, s2, v5
	v_cmp_ne_u32_e32 vcc, 0, v4
	s_brev_b32 s2, 1
	s_nop 0
	v_cndmask_b32_e32 v4, 0, v5, vcc
	v_and_or_b32 v1, v1, s2, v4
.LBB401_199:
	s_mov_b64 s[2:3], 0
.LBB401_200:
	s_andn2_b64 vcc, exec, s[2:3]
	s_cbranch_vccnz .LBB401_202
; %bb.201:
	global_load_ubyte v1, v[2:3], off
	s_movk_i32 s2, 0x7f00
	s_brev_b32 s3, 16
	s_waitcnt vmcnt(0)
	v_lshlrev_b16_e32 v4, 8, v1
	v_lshlrev_b32_e32 v1, 25, v1
	v_lshrrev_b32_e32 v5, 4, v1
	v_and_or_b32 v6, v4, s2, 0.5
	v_or_b32_e32 v5, 0x70000000, v5
	v_add_f32_e32 v6, -0.5, v6
	v_mul_f32_e32 v5, 0x7800000, v5
	v_cmp_gt_u32_e32 vcc, s3, v1
	v_bfe_i32 v4, v4, 0, 16
	s_brev_b32 s2, 1
	v_cndmask_b32_e32 v1, v5, v6, vcc
	v_and_or_b32 v1, v4, s2, v1
.LBB401_202:
	s_mov_b64 s[6:7], 0
	s_mov_b64 s[2:3], -1
.LBB401_203:
	s_andn2_b64 vcc, exec, s[6:7]
	s_cbranch_vccnz .LBB401_216
; %bb.204:
	s_cmp_gt_i32 s10, 14
	s_cbranch_scc0 .LBB401_207
; %bb.205:
	s_cmp_eq_u32 s10, 15
	s_cbranch_scc0 .LBB401_210
; %bb.206:
	global_load_ushort v1, v[2:3], off
	s_mov_b64 s[2:3], -1
	s_mov_b64 s[4:5], 0
	s_waitcnt vmcnt(0)
	v_lshlrev_b32_e32 v1, 16, v1
	s_branch .LBB401_211
.LBB401_207:
	s_mov_b64 s[6:7], -1
                                        ; implicit-def: $vgpr1
	s_branch .LBB401_212
.LBB401_208:
	s_or_saveexec_b64 s[6:7], s[6:7]
	v_mov_b32_e32 v1, 0x7f800001
	s_xor_b64 exec, exec, s[6:7]
	s_cbranch_execz .LBB401_189
.LBB401_209:
	v_cmp_ne_u16_e32 vcc, 0, v4
	s_andn2_b64 s[2:3], s[2:3], exec
	s_and_b64 s[8:9], vcc, exec
	v_mov_b32_e32 v1, 0
	s_or_b64 s[2:3], s[2:3], s[8:9]
	s_or_b64 exec, exec, s[6:7]
	s_and_saveexec_b64 s[6:7], s[2:3]
	s_cbranch_execnz .LBB401_190
	s_branch .LBB401_191
.LBB401_210:
	s_mov_b64 s[4:5], -1
                                        ; implicit-def: $vgpr1
.LBB401_211:
	s_mov_b64 s[6:7], 0
.LBB401_212:
	s_and_b64 vcc, exec, s[6:7]
	s_cbranch_vccz .LBB401_216
; %bb.213:
	s_cmp_eq_u32 s10, 11
	s_cbranch_scc0 .LBB401_215
; %bb.214:
	global_load_ubyte v1, v[2:3], off
	s_mov_b64 s[2:3], -1
	s_mov_b64 s[4:5], 0
	s_waitcnt vmcnt(0)
	v_cmp_ne_u16_e32 vcc, 0, v1
	s_nop 1
	v_cndmask_b32_e64 v1, 0, 1.0, vcc
	s_branch .LBB401_216
.LBB401_215:
	s_mov_b64 s[4:5], -1
                                        ; implicit-def: $vgpr1
.LBB401_216:
	s_branch .LBB401_25
.LBB401_217:
	s_cmp_lt_i32 s10, 5
	s_cbranch_scc1 .LBB401_222
; %bb.218:
	s_cmp_lt_i32 s10, 8
	s_cbranch_scc1 .LBB401_223
; %bb.219:
	;; [unrolled: 3-line block ×3, first 2 shown]
	s_cmp_gt_i32 s10, 9
	s_cbranch_scc0 .LBB401_225
; %bb.221:
	global_load_dwordx2 v[4:5], v[2:3], off
	s_mov_b64 s[2:3], 0
	s_waitcnt vmcnt(0)
	v_cvt_f32_f64_e32 v1, v[4:5]
	s_branch .LBB401_226
.LBB401_222:
                                        ; implicit-def: $vgpr1
	s_branch .LBB401_244
.LBB401_223:
	s_mov_b64 s[2:3], -1
                                        ; implicit-def: $vgpr1
	s_branch .LBB401_232
.LBB401_224:
	s_mov_b64 s[2:3], -1
                                        ; implicit-def: $vgpr1
	s_branch .LBB401_229
.LBB401_225:
	s_mov_b64 s[2:3], -1
                                        ; implicit-def: $vgpr1
.LBB401_226:
	s_andn2_b64 vcc, exec, s[2:3]
	s_cbranch_vccnz .LBB401_228
; %bb.227:
	global_load_dword v1, v[2:3], off
.LBB401_228:
	s_mov_b64 s[2:3], 0
.LBB401_229:
	s_andn2_b64 vcc, exec, s[2:3]
	s_cbranch_vccnz .LBB401_231
; %bb.230:
	global_load_dword v1, v[2:3], off
	s_waitcnt vmcnt(0)
	v_cvt_f32_f16_e32 v1, v1
.LBB401_231:
	s_mov_b64 s[2:3], 0
.LBB401_232:
	s_andn2_b64 vcc, exec, s[2:3]
	s_cbranch_vccnz .LBB401_243
; %bb.233:
	s_cmp_lt_i32 s10, 6
	s_cbranch_scc1 .LBB401_236
; %bb.234:
	s_cmp_gt_i32 s10, 6
	s_cbranch_scc0 .LBB401_237
; %bb.235:
	global_load_dwordx2 v[4:5], v[2:3], off
	s_mov_b64 s[2:3], 0
	s_waitcnt vmcnt(0)
	v_cvt_f32_f64_e32 v1, v[4:5]
	s_branch .LBB401_238
.LBB401_236:
	s_mov_b64 s[2:3], -1
                                        ; implicit-def: $vgpr1
	s_branch .LBB401_241
.LBB401_237:
	s_mov_b64 s[2:3], -1
                                        ; implicit-def: $vgpr1
.LBB401_238:
	s_andn2_b64 vcc, exec, s[2:3]
	s_cbranch_vccnz .LBB401_240
; %bb.239:
	global_load_dword v1, v[2:3], off
.LBB401_240:
	s_mov_b64 s[2:3], 0
.LBB401_241:
	s_andn2_b64 vcc, exec, s[2:3]
	s_cbranch_vccnz .LBB401_243
; %bb.242:
	global_load_ushort v1, v[2:3], off
	s_waitcnt vmcnt(0)
	v_cvt_f32_f16_e32 v1, v1
.LBB401_243:
	s_cbranch_execnz .LBB401_263
.LBB401_244:
	s_cmp_lt_i32 s10, 2
	s_cbranch_scc1 .LBB401_248
; %bb.245:
	s_cmp_lt_i32 s10, 3
	s_cbranch_scc1 .LBB401_249
; %bb.246:
	s_cmp_gt_i32 s10, 3
	s_cbranch_scc0 .LBB401_250
; %bb.247:
	global_load_dwordx2 v[4:5], v[2:3], off
	s_mov_b64 s[2:3], 0
	s_waitcnt vmcnt(0)
	v_xor_b32_e32 v6, v4, v5
	v_ffbh_i32_e32 v1, v5
	v_ashrrev_i32_e32 v6, 31, v6
	v_add_u32_e32 v1, -1, v1
	v_add_u32_e32 v6, 32, v6
	v_min_u32_e32 v1, v1, v6
	v_lshlrev_b64 v[4:5], v1, v[4:5]
	v_min_u32_e32 v4, 1, v4
	v_or_b32_e32 v4, v5, v4
	v_cvt_f32_i32_e32 v4, v4
	v_sub_u32_e32 v1, 32, v1
	v_ldexp_f32 v1, v4, v1
	s_branch .LBB401_251
.LBB401_248:
	s_mov_b64 s[2:3], -1
                                        ; implicit-def: $vgpr1
	s_branch .LBB401_257
.LBB401_249:
	s_mov_b64 s[2:3], -1
                                        ; implicit-def: $vgpr1
	s_branch .LBB401_254
.LBB401_250:
	s_mov_b64 s[2:3], -1
                                        ; implicit-def: $vgpr1
.LBB401_251:
	s_andn2_b64 vcc, exec, s[2:3]
	s_cbranch_vccnz .LBB401_253
; %bb.252:
	global_load_dword v1, v[2:3], off
	s_waitcnt vmcnt(0)
	v_cvt_f32_i32_e32 v1, v1
.LBB401_253:
	s_mov_b64 s[2:3], 0
.LBB401_254:
	s_andn2_b64 vcc, exec, s[2:3]
	s_cbranch_vccnz .LBB401_256
; %bb.255:
	global_load_sshort v1, v[2:3], off
	s_waitcnt vmcnt(0)
	v_cvt_f32_i32_e32 v1, v1
.LBB401_256:
	s_mov_b64 s[2:3], 0
.LBB401_257:
	s_andn2_b64 vcc, exec, s[2:3]
	s_cbranch_vccnz .LBB401_263
; %bb.258:
	s_cmp_gt_i32 s10, 0
	s_cbranch_scc0 .LBB401_260
; %bb.259:
	global_load_sbyte v1, v[2:3], off
	s_mov_b64 s[2:3], 0
	s_waitcnt vmcnt(0)
	v_cvt_f32_i32_e32 v1, v1
	s_branch .LBB401_261
.LBB401_260:
	s_mov_b64 s[2:3], -1
                                        ; implicit-def: $vgpr1
.LBB401_261:
	s_andn2_b64 vcc, exec, s[2:3]
	s_cbranch_vccnz .LBB401_263
; %bb.262:
	global_load_ubyte v1, v[2:3], off
	s_waitcnt vmcnt(0)
	v_cvt_f32_ubyte0_e32 v1, v1
.LBB401_263:
	s_branch .LBB401_26
.LBB401_264:
	s_mov_b64 s[2:3], 0
.LBB401_265:
	s_mov_b64 s[6:7], 0
                                        ; implicit-def: $vgpr8
.LBB401_266:
	s_and_b64 s[56:57], s[2:3], exec
	s_and_b64 s[58:59], s[4:5], exec
	s_orn2_b64 s[4:5], s[6:7], exec
.LBB401_267:
	s_or_b64 exec, exec, s[60:61]
	s_mov_b64 s[8:9], 0
	s_mov_b64 s[2:3], 0
                                        ; implicit-def: $vgpr2_vgpr3
                                        ; implicit-def: $vgpr0
                                        ; implicit-def: $vgpr1
	s_and_saveexec_b64 s[60:61], s[4:5]
	s_cbranch_execz .LBB401_275
; %bb.268:
	v_cmp_gt_i32_e32 vcc, s72, v8
	s_mov_b64 s[2:3], -1
	s_mov_b64 s[62:63], s[58:59]
	s_mov_b64 s[64:65], s[56:57]
	s_and_saveexec_b64 s[66:67], vcc
	s_cbranch_execz .LBB401_544
; %bb.269:
	s_andn2_b64 vcc, exec, s[42:43]
	s_cbranch_vccnz .LBB401_278
; %bb.270:
	s_andn2_b64 vcc, exec, s[54:55]
	s_cbranch_vccnz .LBB401_279
; %bb.271:
	s_add_i32 s65, s76, 1
	s_cmp_eq_u32 s74, 2
	s_cbranch_scc1 .LBB401_280
; %bb.272:
	s_and_b32 s64, s65, 28
	s_mov_b32 s68, 0
	v_mov_b32_e32 v0, 0
	v_mov_b32_e32 v2, 0
	s_mov_b64 s[2:3], s[34:35]
	s_mov_b64 s[62:63], s[52:53]
	v_mov_b32_e32 v4, v8
.LBB401_273:                            ; =>This Inner Loop Header: Depth=1
	s_load_dwordx8 s[12:19], s[2:3], 0x4
	s_load_dwordx4 s[36:39], s[2:3], 0x24
	s_load_dwordx8 s[4:11], s[62:63], 0x0
	s_add_u32 s2, s2, 48
	s_addc_u32 s3, s3, 0
	s_waitcnt vmcnt(0) lgkmcnt(0)
	v_mul_hi_u32 v1, s13, v4
	v_add_u32_e32 v1, v4, v1
	v_lshrrev_b32_e32 v1, s14, v1
	v_mul_lo_u32 v3, v1, s12
	v_mul_hi_u32 v5, s16, v1
	v_sub_u32_e32 v3, v4, v3
	v_add_u32_e32 v4, v1, v5
	v_lshrrev_b32_e32 v4, s17, v4
	v_mul_lo_u32 v6, v4, s15
	v_mul_hi_u32 v7, s19, v4
	v_sub_u32_e32 v1, v1, v6
	v_add_u32_e32 v6, v4, v7
	v_mul_lo_u32 v5, v3, s5
	v_mul_lo_u32 v3, v3, s4
	;; [unrolled: 1-line block ×4, first 2 shown]
	v_lshrrev_b32_e32 v6, s36, v6
	v_add3_u32 v0, v3, v0, v1
	v_mul_hi_u32 v3, s38, v6
	v_add3_u32 v1, v5, v2, v7
	v_mul_lo_u32 v2, v6, s18
	v_add_u32_e32 v3, v6, v3
	v_sub_u32_e32 v2, v4, v2
	v_lshrrev_b32_e32 v4, s39, v3
	s_add_i32 s68, s68, 4
	v_mul_lo_u32 v3, v4, s37
	s_add_u32 s62, s62, 32
	v_sub_u32_e32 v3, v6, v3
	s_addc_u32 s63, s63, 0
	v_mul_lo_u32 v5, v2, s8
	v_mul_lo_u32 v2, v2, s9
	;; [unrolled: 1-line block ×4, first 2 shown]
	s_cmp_eq_u32 s64, s68
	v_add3_u32 v2, v2, v1, v3
	v_add3_u32 v0, v5, v0, v6
	s_cbranch_scc0 .LBB401_273
; %bb.274:
	v_mov_b32_e32 v1, v2
	s_branch .LBB401_281
.LBB401_275:
	s_or_b64 exec, exec, s[60:61]
	s_mov_b64 s[4:5], 0
	s_and_saveexec_b64 s[6:7], s[58:59]
	s_cbranch_execnz .LBB401_922
.LBB401_276:
	s_or_b64 exec, exec, s[6:7]
	s_and_saveexec_b64 s[6:7], s[64:65]
	s_xor_b64 s[6:7], exec, s[6:7]
	s_cbranch_execz .LBB401_923
.LBB401_277:
	global_load_ubyte v1, v[2:3], off
	s_or_b64 s[2:3], s[2:3], exec
	s_waitcnt vmcnt(0)
	v_cmp_ne_u16_e32 vcc, 0, v1
	s_nop 1
	v_cndmask_b32_e64 v1, 0, 1.0, vcc
	s_or_b64 exec, exec, s[6:7]
	s_and_saveexec_b64 s[6:7], s[8:9]
	s_cbranch_execz .LBB401_969
	s_branch .LBB401_924
.LBB401_278:
                                        ; implicit-def: $vgpr2
                                        ; implicit-def: $vgpr0
	s_andn2_b64 vcc, exec, s[2:3]
	s_cbranch_vccz .LBB401_285
	s_branch .LBB401_287
.LBB401_279:
	v_mov_b32_e32 v2, 0
	v_mov_b32_e32 v0, 0
	s_branch .LBB401_284
.LBB401_280:
	v_mov_b32_e32 v0, 0
	s_mov_b32 s64, 0
	s_waitcnt vmcnt(0)
	v_mov_b32_e32 v1, v0
                                        ; implicit-def: $vgpr2
	v_mov_b32_e32 v4, v8
.LBB401_281:
	s_and_b32 s6, s65, 3
	s_cmp_eq_u32 s6, 0
	s_cbranch_scc1 .LBB401_284
; %bb.282:
	s_lshl_b32 s2, s64, 3
	s_add_u32 s2, s34, s2
	s_addc_u32 s3, s35, 0
	s_add_u32 s2, s2, 0xc4
	s_addc_u32 s3, s3, 0
	s_mul_i32 s4, s64, 12
	s_add_u32 s4, s34, s4
	s_addc_u32 s5, s35, 0
.LBB401_283:                            ; =>This Inner Loop Header: Depth=1
	s_load_dwordx2 s[8:9], s[4:5], 0x4
	s_load_dword s7, s[4:5], 0xc
	s_load_dwordx2 s[10:11], s[2:3], 0x0
	v_mov_b32_e32 v2, v1
	s_add_u32 s4, s4, 12
	s_waitcnt lgkmcnt(0)
	v_mul_hi_u32 v1, s9, v4
	v_add_u32_e32 v1, v4, v1
	v_lshrrev_b32_e32 v1, s7, v1
	s_addc_u32 s5, s5, 0
	v_mul_lo_u32 v3, v1, s8
	s_add_u32 s2, s2, 8
	v_sub_u32_e32 v5, v4, v3
	s_addc_u32 s3, s3, 0
	s_add_i32 s6, s6, -1
	v_mov_b32_e32 v4, v1
	v_mad_u64_u32 v[2:3], s[8:9], v5, s11, v[2:3]
	v_mad_u64_u32 v[0:1], s[8:9], v5, s10, v[0:1]
	s_cmp_lg_u32 s6, 0
	v_mov_b32_e32 v1, v2
	s_cbranch_scc1 .LBB401_283
.LBB401_284:
	s_cbranch_execnz .LBB401_287
.LBB401_285:
	v_mul_hi_u32 v0, s25, v8
	v_add_u32_e32 v0, v8, v0
	s_waitcnt vmcnt(0)
	v_lshrrev_b32_e32 v1, s26, v0
	v_mul_lo_u32 v0, v1, s24
	v_sub_u32_e32 v0, v8, v0
	v_mul_lo_u32 v2, v0, s29
	s_andn2_b64 vcc, exec, s[50:51]
	v_mul_lo_u32 v0, v0, s28
	s_cbranch_vccnz .LBB401_287
; %bb.286:
	v_mul_hi_u32 v3, s48, v1
	v_add_u32_e32 v3, v1, v3
	v_lshrrev_b32_e32 v3, s49, v3
	v_mul_lo_u32 v3, v3, s27
	v_sub_u32_e32 v3, v1, v3
	v_mad_u64_u32 v[0:1], s[2:3], v3, s30, v[0:1]
	v_mad_u64_u32 v[2:3], s[2:3], v3, s31, v[2:3]
.LBB401_287:
	v_mov_b32_e32 v3, 0
	s_and_b32 s10, 0xffff, s75
	s_cmp_lt_i32 s10, 11
	v_lshl_add_u64 v[2:3], s[22:23], 0, v[2:3]
	s_cbranch_scc1 .LBB401_294
; %bb.288:
	s_cmp_gt_i32 s10, 25
	s_cbranch_scc0 .LBB401_303
; %bb.289:
	s_cmp_gt_i32 s10, 28
	s_cbranch_scc0 .LBB401_305
	;; [unrolled: 3-line block ×4, first 2 shown]
; %bb.292:
	s_cmp_eq_u32 s10, 46
	s_mov_b64 s[6:7], 0
	s_cbranch_scc0 .LBB401_315
; %bb.293:
	global_load_dword v1, v[2:3], off
	s_mov_b64 s[2:3], -1
	s_mov_b64 s[4:5], 0
	s_waitcnt vmcnt(0)
	v_lshlrev_b32_e32 v1, 16, v1
	s_branch .LBB401_316
.LBB401_294:
	s_mov_b64 s[2:3], 0
                                        ; implicit-def: $vgpr1
	s_mov_b64 s[4:5], s[58:59]
	s_cbranch_execnz .LBB401_493
.LBB401_295:
	s_andn2_b64 vcc, exec, s[2:3]
	s_cbranch_vccnz .LBB401_541
.LBB401_296:
	v_max_f32_e64 v2, s46, s46
	s_waitcnt vmcnt(0)
	v_max_f32_e32 v3, v1, v1
	v_max_f32_e32 v2, v3, v2
	v_cmp_u_f32_e32 vcc, v1, v1
	s_and_b32 s12, s47, 0xff
	s_cmp_lt_i32 s12, 11
	v_cndmask_b32_e32 v2, v2, v1, vcc
	v_mov_b32_e32 v1, 0
	v_lshl_add_u64 v[0:1], s[20:21], 0, v[0:1]
	s_cbranch_scc1 .LBB401_304
; %bb.297:
	s_and_b32 s13, 0xffff, s12
	s_cmp_gt_i32 s13, 25
	s_cbranch_scc0 .LBB401_306
; %bb.298:
	s_cmp_gt_i32 s13, 28
	s_cbranch_scc0 .LBB401_308
; %bb.299:
	;; [unrolled: 3-line block ×4, first 2 shown]
	s_mov_b64 s[8:9], 0
	s_mov_b64 s[2:3], -1
	s_cmp_eq_u32 s13, 46
	s_mov_b64 s[6:7], 0
	s_cbranch_scc0 .LBB401_320
; %bb.302:
	v_bfe_u32 v3, v2, 16, 1
	s_movk_i32 s2, 0x7fff
	v_add3_u32 v3, v2, v3, s2
	v_cmp_o_f32_e32 vcc, v2, v2
	v_mov_b32_e32 v4, 0x7fc0
	s_mov_b64 s[6:7], -1
	v_cndmask_b32_sdwa v3, v4, v3, vcc dst_sel:DWORD dst_unused:UNUSED_PAD src0_sel:DWORD src1_sel:WORD_1
	global_store_dword v[0:1], v3, off
	s_mov_b64 s[2:3], 0
	s_branch .LBB401_320
.LBB401_303:
	s_mov_b64 s[6:7], -1
	s_mov_b64 s[2:3], 0
	s_mov_b64 s[4:5], s[58:59]
                                        ; implicit-def: $vgpr1
	s_branch .LBB401_457
.LBB401_304:
	s_mov_b64 s[8:9], -1
	s_mov_b64 s[6:7], 0
	s_mov_b64 s[2:3], s[56:57]
	s_branch .LBB401_389
.LBB401_305:
	s_mov_b64 s[6:7], -1
	s_mov_b64 s[2:3], 0
	s_mov_b64 s[4:5], s[58:59]
                                        ; implicit-def: $vgpr1
	s_branch .LBB401_438
.LBB401_306:
	s_mov_b64 s[8:9], -1
	s_mov_b64 s[6:7], 0
	s_mov_b64 s[2:3], s[56:57]
	s_branch .LBB401_347
.LBB401_307:
	s_mov_b64 s[6:7], -1
	s_mov_b64 s[2:3], 0
	s_mov_b64 s[4:5], s[58:59]
                                        ; implicit-def: $vgpr1
	s_branch .LBB401_433
.LBB401_308:
	s_mov_b64 s[8:9], -1
	s_mov_b64 s[6:7], 0
	s_mov_b64 s[2:3], s[56:57]
	s_branch .LBB401_330
.LBB401_309:
	s_andn2_saveexec_b64 s[10:11], s[10:11]
	s_cbranch_execz .LBB401_69
.LBB401_310:
	s_mov_b32 s14, 0x46000000
	v_add_f32_e64 v3, |v2|, s14
	v_and_b32_e32 v3, 0xff, v3
	v_cmp_ne_u32_e32 vcc, 0, v3
	s_andn2_b64 s[8:9], s[8:9], exec
	s_and_b64 s[14:15], vcc, exec
	s_or_b64 s[8:9], s[8:9], s[14:15]
	s_or_b64 exec, exec, s[10:11]
	v_mov_b32_e32 v4, 0
	s_and_saveexec_b64 s[10:11], s[8:9]
	s_cbranch_execnz .LBB401_70
	s_branch .LBB401_71
.LBB401_311:
	s_mov_b64 s[6:7], -1
	s_mov_b64 s[2:3], 0
	s_mov_b64 s[4:5], s[58:59]
                                        ; implicit-def: $vgpr1
	s_branch .LBB401_316
.LBB401_312:
	s_mov_b64 s[8:9], -1
	s_mov_b64 s[6:7], 0
	s_mov_b64 s[2:3], s[56:57]
	s_branch .LBB401_326
.LBB401_313:
	s_andn2_saveexec_b64 s[10:11], s[10:11]
	s_cbranch_execz .LBB401_82
.LBB401_314:
	s_mov_b32 s14, 0x42800000
	v_add_f32_e64 v3, |v2|, s14
	v_and_b32_e32 v3, 0xff, v3
	v_cmp_ne_u32_e32 vcc, 0, v3
	s_andn2_b64 s[8:9], s[8:9], exec
	s_and_b64 s[14:15], vcc, exec
	s_or_b64 s[8:9], s[8:9], s[14:15]
	s_or_b64 exec, exec, s[10:11]
	v_mov_b32_e32 v4, 0
	s_and_saveexec_b64 s[10:11], s[8:9]
	s_cbranch_execnz .LBB401_83
	s_branch .LBB401_84
.LBB401_315:
	s_mov_b64 s[4:5], -1
                                        ; implicit-def: $vgpr1
	s_mov_b64 s[2:3], 0
.LBB401_316:
	s_and_b64 vcc, exec, s[6:7]
	s_cbranch_vccz .LBB401_432
; %bb.317:
	s_cmp_eq_u32 s10, 44
	s_cbranch_scc0 .LBB401_431
; %bb.318:
	global_load_ubyte v1, v[2:3], off
	s_movk_i32 s4, 0xff
	v_mov_b32_e32 v4, 0x7f800001
	v_mov_b32_e32 v5, 0x400000
	s_mov_b64 s[2:3], -1
	s_waitcnt vmcnt(0)
	v_lshlrev_b32_e32 v6, 23, v1
	v_cmp_ne_u32_e32 vcc, s4, v1
	s_mov_b64 s[4:5], 0
	s_nop 0
	v_cndmask_b32_e32 v4, v4, v6, vcc
	v_cmp_ne_u32_e32 vcc, 0, v1
	s_nop 1
	v_cndmask_b32_e32 v1, v5, v4, vcc
	s_branch .LBB401_432
.LBB401_319:
	s_mov_b64 s[8:9], -1
	s_mov_b64 s[6:7], 0
	s_mov_b64 s[2:3], s[56:57]
.LBB401_320:
	s_and_b64 vcc, exec, s[8:9]
	s_cbranch_vccz .LBB401_325
; %bb.321:
	s_cmp_eq_u32 s13, 44
	s_mov_b64 s[2:3], -1
	s_cbranch_scc0 .LBB401_325
; %bb.322:
	v_bfe_u32 v3, v2, 23, 8
	s_movk_i32 s2, 0xff
	v_cmp_ne_u32_e32 vcc, s2, v3
	v_mov_b32_e32 v4, 0xff
	s_and_saveexec_b64 s[6:7], vcc
; %bb.323:
	s_mov_b32 s2, 0x3fffff
	v_and_b32_e32 v5, 0x400000, v2
	v_and_or_b32 v3, v2, s2, v3
	v_cmp_ne_u32_e32 vcc, 0, v5
	v_cmp_ne_u32_e64 s[2:3], 0, v3
	s_and_b64 s[2:3], vcc, s[2:3]
	v_lshrrev_b32_e32 v4, 23, v2
	v_cndmask_b32_e64 v3, 0, 1, s[2:3]
	v_add_u32_e32 v4, v4, v3
; %bb.324:
	s_or_b64 exec, exec, s[6:7]
	s_mov_b64 s[6:7], -1
	s_mov_b64 s[2:3], 0
	global_store_byte v[0:1], v4, off
.LBB401_325:
	s_mov_b64 s[8:9], 0
.LBB401_326:
	s_and_b64 vcc, exec, s[8:9]
	s_cbranch_vccz .LBB401_329
; %bb.327:
	s_cmp_eq_u32 s13, 29
	s_mov_b64 s[2:3], -1
	s_cbranch_scc0 .LBB401_329
; %bb.328:
	v_trunc_f32_e32 v3, v2
	v_mul_f32_e32 v4, 0x2f800000, v3
	v_floor_f32_e32 v4, v4
	v_fmamk_f32 v3, v4, 0xcf800000, v3
	v_cvt_u32_f32_e32 v5, v4
	v_cvt_u32_f32_e32 v4, v3
	s_mov_b64 s[6:7], -1
	s_mov_b64 s[2:3], 0
	s_mov_b64 s[8:9], 0
	global_store_dwordx2 v[0:1], v[4:5], off
	s_branch .LBB401_330
.LBB401_329:
	s_mov_b64 s[8:9], 0
.LBB401_330:
	s_and_b64 vcc, exec, s[8:9]
	s_cbranch_vccz .LBB401_346
; %bb.331:
	s_cmp_lt_i32 s13, 27
	s_mov_b64 s[6:7], -1
	s_cbranch_scc1 .LBB401_337
; %bb.332:
	v_cvt_u32_f32_e32 v3, v2
	s_cmp_gt_i32 s13, 27
	s_cbranch_scc0 .LBB401_334
; %bb.333:
	s_mov_b64 s[6:7], 0
	global_store_dword v[0:1], v3, off
.LBB401_334:
	s_andn2_b64 vcc, exec, s[6:7]
	s_cbranch_vccnz .LBB401_336
; %bb.335:
	global_store_short v[0:1], v3, off
.LBB401_336:
	s_mov_b64 s[6:7], 0
.LBB401_337:
	s_andn2_b64 vcc, exec, s[6:7]
	s_cbranch_vccnz .LBB401_345
; %bb.338:
	v_and_b32_e32 v3, 0x7fffffff, v2
	s_mov_b32 s6, 0x43800000
	v_cmp_gt_u32_e32 vcc, s6, v3
	v_mov_b32_e32 v4, 0x80
	s_and_saveexec_b64 s[6:7], vcc
	s_cbranch_execz .LBB401_344
; %bb.339:
	s_mov_b32 s8, 0x3bffffff
	v_cmp_lt_u32_e32 vcc, s8, v3
	s_mov_b64 s[8:9], 0
                                        ; implicit-def: $vgpr3
	s_and_saveexec_b64 s[10:11], vcc
	s_xor_b64 s[10:11], exec, s[10:11]
	s_cbranch_execz .LBB401_573
; %bb.340:
	v_bfe_u32 v3, v2, 20, 1
	s_mov_b32 s14, 0x487ffff
	v_add3_u32 v3, v2, v3, s14
	s_mov_b64 s[8:9], exec
	v_lshrrev_b32_e32 v3, 20, v3
	s_andn2_saveexec_b64 s[10:11], s[10:11]
	s_cbranch_execnz .LBB401_574
.LBB401_341:
	s_or_b64 exec, exec, s[10:11]
	v_mov_b32_e32 v4, 0
	s_and_saveexec_b64 s[10:11], s[8:9]
.LBB401_342:
	v_lshrrev_b32_e32 v4, 24, v2
	s_movk_i32 s8, 0x80
	v_and_or_b32 v4, v4, s8, v3
.LBB401_343:
	s_or_b64 exec, exec, s[10:11]
.LBB401_344:
	s_or_b64 exec, exec, s[6:7]
	global_store_byte v[0:1], v4, off
.LBB401_345:
	s_mov_b64 s[6:7], -1
.LBB401_346:
	s_mov_b64 s[8:9], 0
.LBB401_347:
	s_and_b64 vcc, exec, s[8:9]
	s_cbranch_vccz .LBB401_388
; %bb.348:
	s_cmp_gt_i32 s13, 22
	s_mov_b64 s[8:9], -1
	s_cbranch_scc0 .LBB401_380
; %bb.349:
	s_cmp_lt_i32 s13, 24
	s_mov_b64 s[6:7], -1
	s_cbranch_scc1 .LBB401_369
; %bb.350:
	s_cmp_gt_i32 s13, 24
	s_cbranch_scc0 .LBB401_358
; %bb.351:
	v_and_b32_e32 v3, 0x7fffffff, v2
	s_mov_b32 s6, 0x47800000
	v_cmp_gt_u32_e32 vcc, s6, v3
	v_mov_b32_e32 v4, 0x80
	s_and_saveexec_b64 s[6:7], vcc
	s_cbranch_execz .LBB401_357
; %bb.352:
	s_mov_b32 s8, 0x37ffffff
	v_cmp_lt_u32_e32 vcc, s8, v3
	s_mov_b64 s[8:9], 0
                                        ; implicit-def: $vgpr3
	s_and_saveexec_b64 s[10:11], vcc
	s_xor_b64 s[10:11], exec, s[10:11]
	s_cbranch_execz .LBB401_576
; %bb.353:
	v_bfe_u32 v3, v2, 21, 1
	s_mov_b32 s14, 0x88fffff
	v_add3_u32 v3, v2, v3, s14
	s_mov_b64 s[8:9], exec
	v_lshrrev_b32_e32 v3, 21, v3
	s_andn2_saveexec_b64 s[10:11], s[10:11]
	s_cbranch_execnz .LBB401_577
.LBB401_354:
	s_or_b64 exec, exec, s[10:11]
	v_mov_b32_e32 v4, 0
	s_and_saveexec_b64 s[10:11], s[8:9]
.LBB401_355:
	v_lshrrev_b32_e32 v4, 24, v2
	s_movk_i32 s8, 0x80
	v_and_or_b32 v4, v4, s8, v3
.LBB401_356:
	s_or_b64 exec, exec, s[10:11]
.LBB401_357:
	s_or_b64 exec, exec, s[6:7]
	s_mov_b64 s[6:7], 0
	global_store_byte v[0:1], v4, off
.LBB401_358:
	s_and_b64 vcc, exec, s[6:7]
	s_cbranch_vccz .LBB401_368
; %bb.359:
	v_and_b32_e32 v4, 0x7fffffff, v2
	s_mov_b32 s6, 0x43f00000
	v_cmp_gt_u32_e32 vcc, s6, v4
                                        ; implicit-def: $vgpr3
	s_and_saveexec_b64 s[6:7], vcc
	s_xor_b64 s[6:7], exec, s[6:7]
	s_cbranch_execz .LBB401_365
; %bb.360:
	s_mov_b32 s8, 0x3c7fffff
	v_cmp_lt_u32_e32 vcc, s8, v4
                                        ; implicit-def: $vgpr3
	s_and_saveexec_b64 s[8:9], vcc
	s_xor_b64 s[8:9], exec, s[8:9]
; %bb.361:
	v_bfe_u32 v3, v2, 20, 1
	s_mov_b32 s10, 0x407ffff
	v_add3_u32 v3, v2, v3, s10
	v_lshrrev_b32_e32 v4, 20, v3
	v_and_b32_e32 v3, 0xff00000, v3
	s_mov_b32 s10, 0x7f00000
	v_mov_b32_e32 v5, 0x7e
	v_cmp_ne_u32_e32 vcc, s10, v3
	s_nop 1
	v_cndmask_b32_e32 v3, v5, v4, vcc
; %bb.362:
	s_andn2_saveexec_b64 s[8:9], s[8:9]
; %bb.363:
	s_mov_b32 s10, 0x46800000
	v_add_f32_e64 v3, |v2|, s10
; %bb.364:
	s_or_b64 exec, exec, s[8:9]
                                        ; implicit-def: $vgpr4
.LBB401_365:
	s_andn2_saveexec_b64 s[6:7], s[6:7]
; %bb.366:
	s_mov_b32 s8, 0x7f800000
	v_mov_b32_e32 v3, 0x7e
	v_mov_b32_e32 v5, 0x7f
	v_cmp_lt_u32_e32 vcc, s8, v4
	s_nop 1
	v_cndmask_b32_e32 v3, v3, v5, vcc
; %bb.367:
	s_or_b64 exec, exec, s[6:7]
	v_lshrrev_b32_e32 v4, 24, v2
	s_movk_i32 s6, 0x80
	v_and_or_b32 v3, v4, s6, v3
	global_store_byte v[0:1], v3, off
.LBB401_368:
	s_mov_b64 s[6:7], 0
.LBB401_369:
	s_andn2_b64 vcc, exec, s[6:7]
	s_cbranch_vccnz .LBB401_379
; %bb.370:
	v_and_b32_e32 v4, 0x7fffffff, v2
	s_mov_b32 s6, 0x47800000
	v_cmp_gt_u32_e32 vcc, s6, v4
                                        ; implicit-def: $vgpr3
	s_and_saveexec_b64 s[6:7], vcc
	s_xor_b64 s[6:7], exec, s[6:7]
	s_cbranch_execz .LBB401_376
; %bb.371:
	s_mov_b32 s8, 0x387fffff
	v_cmp_lt_u32_e32 vcc, s8, v4
                                        ; implicit-def: $vgpr3
	s_and_saveexec_b64 s[8:9], vcc
	s_xor_b64 s[8:9], exec, s[8:9]
; %bb.372:
	v_bfe_u32 v3, v2, 21, 1
	s_mov_b32 s10, 0x80fffff
	v_add3_u32 v3, v2, v3, s10
	v_lshrrev_b32_e32 v3, 21, v3
; %bb.373:
	s_andn2_saveexec_b64 s[8:9], s[8:9]
; %bb.374:
	s_mov_b32 s10, 0x43000000
	v_add_f32_e64 v3, |v2|, s10
; %bb.375:
	s_or_b64 exec, exec, s[8:9]
                                        ; implicit-def: $vgpr4
.LBB401_376:
	s_andn2_saveexec_b64 s[6:7], s[6:7]
; %bb.377:
	s_mov_b32 s8, 0x7f800000
	v_mov_b32_e32 v3, 0x7c
	v_mov_b32_e32 v5, 0x7f
	v_cmp_lt_u32_e32 vcc, s8, v4
	s_nop 1
	v_cndmask_b32_e32 v3, v3, v5, vcc
; %bb.378:
	s_or_b64 exec, exec, s[6:7]
	v_lshrrev_b32_e32 v4, 24, v2
	s_movk_i32 s6, 0x80
	v_and_or_b32 v3, v4, s6, v3
	global_store_byte v[0:1], v3, off
.LBB401_379:
	s_mov_b64 s[8:9], 0
	s_mov_b64 s[6:7], -1
.LBB401_380:
	s_andn2_b64 vcc, exec, s[8:9]
	s_cbranch_vccnz .LBB401_388
; %bb.381:
	s_cmp_gt_i32 s13, 14
	s_mov_b64 s[8:9], -1
	s_cbranch_scc0 .LBB401_385
; %bb.382:
	s_cmp_eq_u32 s13, 15
	s_mov_b64 s[2:3], -1
	s_cbranch_scc0 .LBB401_384
; %bb.383:
	v_bfe_u32 v3, v2, 16, 1
	s_movk_i32 s2, 0x7fff
	v_add3_u32 v3, v2, v3, s2
	v_cmp_o_f32_e32 vcc, v2, v2
	v_mov_b32_e32 v4, 0x7fc0
	s_mov_b64 s[6:7], -1
	v_cndmask_b32_sdwa v3, v4, v3, vcc dst_sel:DWORD dst_unused:UNUSED_PAD src0_sel:DWORD src1_sel:WORD_1
	global_store_short v[0:1], v3, off
	s_mov_b64 s[2:3], 0
.LBB401_384:
	s_mov_b64 s[8:9], 0
.LBB401_385:
	s_and_b64 vcc, exec, s[8:9]
	s_cbranch_vccz .LBB401_388
; %bb.386:
	s_cmp_eq_u32 s13, 11
	s_mov_b64 s[2:3], -1
	s_cbranch_scc0 .LBB401_388
; %bb.387:
	v_cmp_neq_f32_e32 vcc, 0, v2
	s_mov_b64 s[6:7], -1
	s_mov_b64 s[2:3], 0
	v_cndmask_b32_e64 v3, 0, 1, vcc
	global_store_byte v[0:1], v3, off
.LBB401_388:
	s_mov_b64 s[8:9], 0
.LBB401_389:
	s_and_b64 vcc, exec, s[8:9]
	s_cbranch_vccz .LBB401_428
; %bb.390:
	s_and_b32 s8, 0xffff, s12
	s_cmp_lt_i32 s8, 5
	s_mov_b64 s[6:7], -1
	s_cbranch_scc1 .LBB401_411
; %bb.391:
	s_cmp_lt_i32 s8, 8
	s_cbranch_scc1 .LBB401_401
; %bb.392:
	s_cmp_lt_i32 s8, 9
	s_cbranch_scc1 .LBB401_398
; %bb.393:
	s_cmp_gt_i32 s8, 9
	s_cbranch_scc0 .LBB401_395
; %bb.394:
	v_mov_b32_e32 v6, 0
	v_cvt_f64_f32_e32 v[4:5], v2
	v_mov_b32_e32 v7, v6
	s_mov_b64 s[6:7], 0
	global_store_dwordx4 v[0:1], v[4:7], off
.LBB401_395:
	s_andn2_b64 vcc, exec, s[6:7]
	s_cbranch_vccnz .LBB401_397
; %bb.396:
	v_mov_b32_e32 v3, 0
	global_store_dwordx2 v[0:1], v[2:3], off
.LBB401_397:
	s_mov_b64 s[6:7], 0
.LBB401_398:
	s_andn2_b64 vcc, exec, s[6:7]
	s_cbranch_vccnz .LBB401_400
; %bb.399:
	v_cvt_f16_f32_e32 v3, v2
	global_store_dword v[0:1], v3, off
.LBB401_400:
	s_mov_b64 s[6:7], 0
.LBB401_401:
	s_andn2_b64 vcc, exec, s[6:7]
	s_cbranch_vccnz .LBB401_410
; %bb.402:
	s_cmp_lt_i32 s8, 6
	s_mov_b64 s[6:7], -1
	s_cbranch_scc1 .LBB401_408
; %bb.403:
	s_cmp_gt_i32 s8, 6
	s_cbranch_scc0 .LBB401_405
; %bb.404:
	v_cvt_f64_f32_e32 v[4:5], v2
	s_mov_b64 s[6:7], 0
	global_store_dwordx2 v[0:1], v[4:5], off
.LBB401_405:
	s_andn2_b64 vcc, exec, s[6:7]
	s_cbranch_vccnz .LBB401_407
; %bb.406:
	global_store_dword v[0:1], v2, off
.LBB401_407:
	s_mov_b64 s[6:7], 0
.LBB401_408:
	s_andn2_b64 vcc, exec, s[6:7]
	s_cbranch_vccnz .LBB401_410
; %bb.409:
	v_cvt_f16_f32_e32 v3, v2
	global_store_short v[0:1], v3, off
.LBB401_410:
	s_mov_b64 s[6:7], 0
.LBB401_411:
	s_andn2_b64 vcc, exec, s[6:7]
	s_cbranch_vccnz .LBB401_427
; %bb.412:
	s_cmp_lt_i32 s8, 2
	s_mov_b64 s[6:7], -1
	s_cbranch_scc1 .LBB401_422
; %bb.413:
	s_cmp_lt_i32 s8, 3
	s_cbranch_scc1 .LBB401_419
; %bb.414:
	s_cmp_gt_i32 s8, 3
	s_cbranch_scc0 .LBB401_416
; %bb.415:
	v_trunc_f32_e32 v3, v2
	s_mov_b32 s6, 0x2f800000
	v_mul_f32_e64 v4, |v3|, s6
	v_floor_f32_e32 v4, v4
	s_mov_b32 s6, 0xcf800000
	v_cvt_u32_f32_e32 v5, v4
	v_fma_f32 v4, v4, s6, |v3|
	v_cvt_u32_f32_e32 v4, v4
	v_ashrrev_i32_e32 v3, 31, v3
	v_xor_b32_e32 v5, v5, v3
	s_mov_b64 s[6:7], 0
	v_xor_b32_e32 v4, v4, v3
	v_sub_co_u32_e32 v4, vcc, v4, v3
	s_nop 1
	v_subb_co_u32_e32 v5, vcc, v5, v3, vcc
	global_store_dwordx2 v[0:1], v[4:5], off
.LBB401_416:
	s_andn2_b64 vcc, exec, s[6:7]
	s_cbranch_vccnz .LBB401_418
; %bb.417:
	v_cvt_i32_f32_e32 v3, v2
	global_store_dword v[0:1], v3, off
.LBB401_418:
	s_mov_b64 s[6:7], 0
.LBB401_419:
	s_andn2_b64 vcc, exec, s[6:7]
	s_cbranch_vccnz .LBB401_421
; %bb.420:
	v_cvt_i32_f32_e32 v3, v2
	global_store_short v[0:1], v3, off
.LBB401_421:
	s_mov_b64 s[6:7], 0
.LBB401_422:
	s_andn2_b64 vcc, exec, s[6:7]
	s_cbranch_vccnz .LBB401_427
; %bb.423:
	s_cmp_gt_i32 s8, 0
	s_mov_b64 s[6:7], -1
	s_cbranch_scc0 .LBB401_425
; %bb.424:
	v_cvt_i32_f32_e32 v3, v2
	s_mov_b64 s[6:7], 0
	global_store_byte v[0:1], v3, off
.LBB401_425:
	s_andn2_b64 vcc, exec, s[6:7]
	s_cbranch_vccnz .LBB401_427
; %bb.426:
	v_trunc_f32_e32 v2, v2
	s_mov_b32 s6, 0x2f800000
	v_mul_f32_e64 v3, |v2|, s6
	v_floor_f32_e32 v3, v3
	s_mov_b32 s6, 0xcf800000
	v_fma_f32 v3, v3, s6, |v2|
	v_cvt_u32_f32_e32 v3, v3
	v_ashrrev_i32_e32 v2, 31, v2
	v_xor_b32_e32 v3, v3, v2
	v_sub_u32_e32 v2, v3, v2
	global_store_byte v[0:1], v2, off
.LBB401_427:
	s_mov_b64 s[6:7], -1
.LBB401_428:
	s_andn2_b64 vcc, exec, s[6:7]
	s_cbranch_vccnz .LBB401_430
; %bb.429:
	v_add_u32_e32 v8, 0x80, v8
	s_mov_b64 s[6:7], -1
	s_branch .LBB401_543
.LBB401_430:
	s_mov_b64 s[6:7], 0
	s_branch .LBB401_542
.LBB401_431:
	s_mov_b64 s[4:5], -1
                                        ; implicit-def: $vgpr1
.LBB401_432:
	s_mov_b64 s[6:7], 0
.LBB401_433:
	s_and_b64 vcc, exec, s[6:7]
	s_cbranch_vccz .LBB401_437
; %bb.434:
	s_cmp_eq_u32 s10, 29
	s_cbranch_scc0 .LBB401_436
; %bb.435:
	global_load_dwordx2 v[4:5], v[2:3], off
	s_mov_b64 s[2:3], -1
	s_mov_b64 s[4:5], 0
	s_mov_b64 s[6:7], 0
	s_waitcnt vmcnt(0)
	v_ffbh_u32_e32 v1, v5
	v_min_u32_e32 v1, 32, v1
	v_lshlrev_b64 v[4:5], v1, v[4:5]
	v_min_u32_e32 v4, 1, v4
	v_or_b32_e32 v4, v5, v4
	v_cvt_f32_u32_e32 v4, v4
	v_sub_u32_e32 v1, 32, v1
	v_ldexp_f32 v1, v4, v1
	s_branch .LBB401_438
.LBB401_436:
	s_mov_b64 s[4:5], -1
                                        ; implicit-def: $vgpr1
.LBB401_437:
	s_mov_b64 s[6:7], 0
.LBB401_438:
	s_and_b64 vcc, exec, s[6:7]
	s_cbranch_vccz .LBB401_456
; %bb.439:
	s_cmp_lt_i32 s10, 27
	s_cbranch_scc1 .LBB401_442
; %bb.440:
	s_cmp_gt_i32 s10, 27
	s_cbranch_scc0 .LBB401_443
; %bb.441:
	global_load_dword v1, v[2:3], off
	s_mov_b64 s[2:3], 0
	s_waitcnt vmcnt(0)
	v_cvt_f32_u32_e32 v1, v1
	s_branch .LBB401_444
.LBB401_442:
	s_mov_b64 s[2:3], -1
                                        ; implicit-def: $vgpr1
	s_branch .LBB401_447
.LBB401_443:
	s_mov_b64 s[2:3], -1
                                        ; implicit-def: $vgpr1
.LBB401_444:
	s_andn2_b64 vcc, exec, s[2:3]
	s_cbranch_vccnz .LBB401_446
; %bb.445:
	global_load_ushort v1, v[2:3], off
	s_waitcnt vmcnt(0)
	v_cvt_f32_u32_e32 v1, v1
.LBB401_446:
	s_mov_b64 s[2:3], 0
.LBB401_447:
	s_andn2_b64 vcc, exec, s[2:3]
	s_cbranch_vccnz .LBB401_455
; %bb.448:
	global_load_ubyte v4, v[2:3], off
	s_movk_i32 s2, 0x7f
	s_waitcnt vmcnt(0)
	v_cmp_lt_i16_e32 vcc, s2, v4
	s_mov_b64 s[2:3], 0
	s_and_saveexec_b64 s[6:7], vcc
	s_xor_b64 s[6:7], exec, s[6:7]
	s_cbranch_execz .LBB401_469
; %bb.449:
	s_movk_i32 s2, 0x80
	v_cmp_eq_u16_e32 vcc, s2, v4
	s_mov_b64 s[2:3], -1
	s_and_saveexec_b64 s[8:9], vcc
; %bb.450:
	s_xor_b64 s[2:3], exec, -1
; %bb.451:
	s_or_b64 exec, exec, s[8:9]
	s_and_b64 s[2:3], s[2:3], exec
	s_or_saveexec_b64 s[6:7], s[6:7]
	v_mov_b32_e32 v1, 0x7f800001
	s_xor_b64 exec, exec, s[6:7]
	s_cbranch_execnz .LBB401_470
.LBB401_452:
	s_or_b64 exec, exec, s[6:7]
	s_and_saveexec_b64 s[6:7], s[2:3]
	s_cbranch_execz .LBB401_454
.LBB401_453:
	v_lshlrev_b32_e32 v1, 24, v4
	v_and_b32_e32 v4, 0xffff, v4
	v_and_b32_e32 v5, 7, v4
	v_ffbh_u32_e32 v7, v5
	v_min_u32_e32 v7, 32, v7
	v_subrev_u32_e32 v9, 28, v7
	v_bfe_u32 v6, v4, 3, 4
	v_lshlrev_b32_e32 v4, v9, v4
	v_sub_u32_e32 v7, 29, v7
	v_and_b32_e32 v4, 7, v4
	v_cmp_eq_u32_e32 vcc, 0, v6
	v_and_b32_e32 v1, 0x80000000, v1
	s_nop 0
	v_cndmask_b32_e32 v6, v6, v7, vcc
	v_cndmask_b32_e32 v4, v5, v4, vcc
	v_mov_b32_e32 v5, 0x3b800000
	v_lshlrev_b32_e32 v4, 20, v4
	v_lshl_add_u32 v5, v6, 23, v5
	v_or3_b32 v1, v1, v5, v4
.LBB401_454:
	s_or_b64 exec, exec, s[6:7]
.LBB401_455:
	s_mov_b64 s[2:3], -1
.LBB401_456:
	s_mov_b64 s[6:7], 0
.LBB401_457:
	s_and_b64 vcc, exec, s[6:7]
	s_cbranch_vccz .LBB401_492
; %bb.458:
	s_cmp_gt_i32 s10, 22
	s_cbranch_scc0 .LBB401_468
; %bb.459:
	s_cmp_lt_i32 s10, 24
	s_cbranch_scc1 .LBB401_471
; %bb.460:
	s_cmp_gt_i32 s10, 24
	s_cbranch_scc0 .LBB401_472
; %bb.461:
	global_load_ubyte v4, v[2:3], off
	s_movk_i32 s2, 0x7f
	s_waitcnt vmcnt(0)
	v_cmp_lt_i16_e32 vcc, s2, v4
	s_mov_b64 s[2:3], 0
	s_and_saveexec_b64 s[6:7], vcc
	s_xor_b64 s[6:7], exec, s[6:7]
	s_cbranch_execz .LBB401_484
; %bb.462:
	s_movk_i32 s2, 0x80
	v_cmp_eq_u16_e32 vcc, s2, v4
	s_mov_b64 s[2:3], -1
	s_and_saveexec_b64 s[8:9], vcc
; %bb.463:
	s_xor_b64 s[2:3], exec, -1
; %bb.464:
	s_or_b64 exec, exec, s[8:9]
	s_and_b64 s[2:3], s[2:3], exec
	s_or_saveexec_b64 s[6:7], s[6:7]
	v_mov_b32_e32 v1, 0x7f800001
	s_xor_b64 exec, exec, s[6:7]
	s_cbranch_execnz .LBB401_485
.LBB401_465:
	s_or_b64 exec, exec, s[6:7]
	s_and_saveexec_b64 s[6:7], s[2:3]
	s_cbranch_execz .LBB401_467
.LBB401_466:
	v_lshlrev_b32_e32 v1, 24, v4
	v_and_b32_e32 v4, 0xffff, v4
	v_and_b32_e32 v5, 3, v4
	v_ffbh_u32_e32 v7, v5
	v_min_u32_e32 v7, 32, v7
	v_subrev_u32_e32 v9, 29, v7
	v_bfe_u32 v6, v4, 2, 5
	v_lshlrev_b32_e32 v4, v9, v4
	v_sub_u32_e32 v7, 30, v7
	v_and_b32_e32 v4, 3, v4
	v_cmp_eq_u32_e32 vcc, 0, v6
	v_and_b32_e32 v1, 0x80000000, v1
	s_nop 0
	v_cndmask_b32_e32 v6, v6, v7, vcc
	v_cndmask_b32_e32 v4, v5, v4, vcc
	v_mov_b32_e32 v5, 0x37800000
	v_lshlrev_b32_e32 v4, 21, v4
	v_lshl_add_u32 v5, v6, 23, v5
	v_or3_b32 v1, v1, v5, v4
.LBB401_467:
	s_or_b64 exec, exec, s[6:7]
	s_mov_b64 s[2:3], 0
	s_branch .LBB401_473
.LBB401_468:
	s_mov_b64 s[6:7], -1
                                        ; implicit-def: $vgpr1
	s_branch .LBB401_479
.LBB401_469:
	s_or_saveexec_b64 s[6:7], s[6:7]
	v_mov_b32_e32 v1, 0x7f800001
	s_xor_b64 exec, exec, s[6:7]
	s_cbranch_execz .LBB401_452
.LBB401_470:
	v_cmp_ne_u16_e32 vcc, 0, v4
	s_andn2_b64 s[2:3], s[2:3], exec
	s_and_b64 s[8:9], vcc, exec
	v_mov_b32_e32 v1, 0
	s_or_b64 s[2:3], s[2:3], s[8:9]
	s_or_b64 exec, exec, s[6:7]
	s_and_saveexec_b64 s[6:7], s[2:3]
	s_cbranch_execnz .LBB401_453
	s_branch .LBB401_454
.LBB401_471:
	s_mov_b64 s[2:3], -1
                                        ; implicit-def: $vgpr1
	s_branch .LBB401_476
.LBB401_472:
	s_mov_b64 s[2:3], -1
                                        ; implicit-def: $vgpr1
.LBB401_473:
	s_and_b64 vcc, exec, s[2:3]
	s_cbranch_vccz .LBB401_475
; %bb.474:
	global_load_ubyte v1, v[2:3], off
	s_mov_b32 s2, 0x7f800000
	s_waitcnt vmcnt(0)
	v_lshlrev_b32_e32 v1, 24, v1
	v_and_b32_e32 v4, 0x7f000000, v1
	v_ffbh_u32_e32 v5, v4
	v_min_u32_e32 v5, 32, v5
	v_sub_u32_e64 v5, v5, 4 clamp
	v_lshlrev_b32_e32 v7, v5, v4
	v_lshlrev_b32_e32 v5, 23, v5
	v_lshrrev_b32_e32 v7, 4, v7
	v_add_u32_e32 v6, 0x1000000, v4
	v_sub_u32_e32 v5, v7, v5
	v_ashrrev_i32_e32 v6, 8, v6
	v_add_u32_e32 v5, 0x3c000000, v5
	v_and_or_b32 v5, v6, s2, v5
	v_cmp_ne_u32_e32 vcc, 0, v4
	s_brev_b32 s2, 1
	s_nop 0
	v_cndmask_b32_e32 v4, 0, v5, vcc
	v_and_or_b32 v1, v1, s2, v4
.LBB401_475:
	s_mov_b64 s[2:3], 0
.LBB401_476:
	s_andn2_b64 vcc, exec, s[2:3]
	s_cbranch_vccnz .LBB401_478
; %bb.477:
	global_load_ubyte v1, v[2:3], off
	s_movk_i32 s2, 0x7f00
	s_brev_b32 s3, 16
	s_waitcnt vmcnt(0)
	v_lshlrev_b16_e32 v4, 8, v1
	v_lshlrev_b32_e32 v1, 25, v1
	v_lshrrev_b32_e32 v5, 4, v1
	v_and_or_b32 v6, v4, s2, 0.5
	v_or_b32_e32 v5, 0x70000000, v5
	v_add_f32_e32 v6, -0.5, v6
	v_mul_f32_e32 v5, 0x7800000, v5
	v_cmp_gt_u32_e32 vcc, s3, v1
	v_bfe_i32 v4, v4, 0, 16
	s_brev_b32 s2, 1
	v_cndmask_b32_e32 v1, v5, v6, vcc
	v_and_or_b32 v1, v4, s2, v1
.LBB401_478:
	s_mov_b64 s[6:7], 0
	s_mov_b64 s[2:3], -1
.LBB401_479:
	s_andn2_b64 vcc, exec, s[6:7]
	s_cbranch_vccnz .LBB401_492
; %bb.480:
	s_cmp_gt_i32 s10, 14
	s_cbranch_scc0 .LBB401_483
; %bb.481:
	s_cmp_eq_u32 s10, 15
	s_cbranch_scc0 .LBB401_486
; %bb.482:
	global_load_ushort v1, v[2:3], off
	s_mov_b64 s[2:3], -1
	s_mov_b64 s[4:5], 0
	s_waitcnt vmcnt(0)
	v_lshlrev_b32_e32 v1, 16, v1
	s_branch .LBB401_487
.LBB401_483:
	s_mov_b64 s[6:7], -1
                                        ; implicit-def: $vgpr1
	s_branch .LBB401_488
.LBB401_484:
	s_or_saveexec_b64 s[6:7], s[6:7]
	v_mov_b32_e32 v1, 0x7f800001
	s_xor_b64 exec, exec, s[6:7]
	s_cbranch_execz .LBB401_465
.LBB401_485:
	v_cmp_ne_u16_e32 vcc, 0, v4
	s_andn2_b64 s[2:3], s[2:3], exec
	s_and_b64 s[8:9], vcc, exec
	v_mov_b32_e32 v1, 0
	s_or_b64 s[2:3], s[2:3], s[8:9]
	s_or_b64 exec, exec, s[6:7]
	s_and_saveexec_b64 s[6:7], s[2:3]
	s_cbranch_execnz .LBB401_466
	s_branch .LBB401_467
.LBB401_486:
	s_mov_b64 s[4:5], -1
                                        ; implicit-def: $vgpr1
.LBB401_487:
	s_mov_b64 s[6:7], 0
.LBB401_488:
	s_and_b64 vcc, exec, s[6:7]
	s_cbranch_vccz .LBB401_492
; %bb.489:
	s_cmp_eq_u32 s10, 11
	s_cbranch_scc0 .LBB401_491
; %bb.490:
	global_load_ubyte v1, v[2:3], off
	s_mov_b64 s[2:3], -1
	s_mov_b64 s[4:5], 0
	s_waitcnt vmcnt(0)
	v_cmp_ne_u16_e32 vcc, 0, v1
	s_nop 1
	v_cndmask_b32_e64 v1, 0, 1.0, vcc
	s_branch .LBB401_492
.LBB401_491:
	s_mov_b64 s[4:5], -1
                                        ; implicit-def: $vgpr1
.LBB401_492:
	s_branch .LBB401_295
.LBB401_493:
	s_cmp_lt_i32 s10, 5
	s_cbranch_scc1 .LBB401_498
; %bb.494:
	s_cmp_lt_i32 s10, 8
	s_cbranch_scc1 .LBB401_499
; %bb.495:
	;; [unrolled: 3-line block ×3, first 2 shown]
	s_cmp_gt_i32 s10, 9
	s_cbranch_scc0 .LBB401_501
; %bb.497:
	global_load_dwordx2 v[4:5], v[2:3], off
	s_mov_b64 s[2:3], 0
	s_waitcnt vmcnt(0)
	v_cvt_f32_f64_e32 v1, v[4:5]
	s_branch .LBB401_502
.LBB401_498:
	s_mov_b64 s[2:3], -1
                                        ; implicit-def: $vgpr1
	s_branch .LBB401_520
.LBB401_499:
	s_mov_b64 s[2:3], -1
                                        ; implicit-def: $vgpr1
	s_branch .LBB401_508
.LBB401_500:
	s_mov_b64 s[2:3], -1
                                        ; implicit-def: $vgpr1
	s_branch .LBB401_505
.LBB401_501:
	s_mov_b64 s[2:3], -1
                                        ; implicit-def: $vgpr1
.LBB401_502:
	s_andn2_b64 vcc, exec, s[2:3]
	s_cbranch_vccnz .LBB401_504
; %bb.503:
	global_load_dword v1, v[2:3], off
.LBB401_504:
	s_mov_b64 s[2:3], 0
.LBB401_505:
	s_andn2_b64 vcc, exec, s[2:3]
	s_cbranch_vccnz .LBB401_507
; %bb.506:
	global_load_dword v1, v[2:3], off
	s_waitcnt vmcnt(0)
	v_cvt_f32_f16_e32 v1, v1
.LBB401_507:
	s_mov_b64 s[2:3], 0
.LBB401_508:
	s_andn2_b64 vcc, exec, s[2:3]
	s_cbranch_vccnz .LBB401_519
; %bb.509:
	s_cmp_lt_i32 s10, 6
	s_cbranch_scc1 .LBB401_512
; %bb.510:
	s_cmp_gt_i32 s10, 6
	s_cbranch_scc0 .LBB401_513
; %bb.511:
	global_load_dwordx2 v[4:5], v[2:3], off
	s_mov_b64 s[2:3], 0
	s_waitcnt vmcnt(0)
	v_cvt_f32_f64_e32 v1, v[4:5]
	s_branch .LBB401_514
.LBB401_512:
	s_mov_b64 s[2:3], -1
                                        ; implicit-def: $vgpr1
	s_branch .LBB401_517
.LBB401_513:
	s_mov_b64 s[2:3], -1
                                        ; implicit-def: $vgpr1
.LBB401_514:
	s_andn2_b64 vcc, exec, s[2:3]
	s_cbranch_vccnz .LBB401_516
; %bb.515:
	global_load_dword v1, v[2:3], off
.LBB401_516:
	s_mov_b64 s[2:3], 0
.LBB401_517:
	s_andn2_b64 vcc, exec, s[2:3]
	s_cbranch_vccnz .LBB401_519
; %bb.518:
	global_load_ushort v1, v[2:3], off
	s_waitcnt vmcnt(0)
	v_cvt_f32_f16_e32 v1, v1
.LBB401_519:
	s_mov_b64 s[2:3], 0
.LBB401_520:
	s_andn2_b64 vcc, exec, s[2:3]
	s_cbranch_vccnz .LBB401_540
; %bb.521:
	s_cmp_lt_i32 s10, 2
	s_cbranch_scc1 .LBB401_525
; %bb.522:
	s_cmp_lt_i32 s10, 3
	s_cbranch_scc1 .LBB401_526
; %bb.523:
	s_cmp_gt_i32 s10, 3
	s_cbranch_scc0 .LBB401_527
; %bb.524:
	global_load_dwordx2 v[4:5], v[2:3], off
	s_mov_b64 s[2:3], 0
	s_waitcnt vmcnt(0)
	v_xor_b32_e32 v6, v4, v5
	v_ffbh_i32_e32 v1, v5
	v_ashrrev_i32_e32 v6, 31, v6
	v_add_u32_e32 v1, -1, v1
	v_add_u32_e32 v6, 32, v6
	v_min_u32_e32 v1, v1, v6
	v_lshlrev_b64 v[4:5], v1, v[4:5]
	v_min_u32_e32 v4, 1, v4
	v_or_b32_e32 v4, v5, v4
	v_cvt_f32_i32_e32 v4, v4
	v_sub_u32_e32 v1, 32, v1
	v_ldexp_f32 v1, v4, v1
	s_branch .LBB401_528
.LBB401_525:
	s_mov_b64 s[2:3], -1
                                        ; implicit-def: $vgpr1
	s_branch .LBB401_534
.LBB401_526:
	s_mov_b64 s[2:3], -1
                                        ; implicit-def: $vgpr1
	s_branch .LBB401_531
.LBB401_527:
	s_mov_b64 s[2:3], -1
                                        ; implicit-def: $vgpr1
.LBB401_528:
	s_andn2_b64 vcc, exec, s[2:3]
	s_cbranch_vccnz .LBB401_530
; %bb.529:
	global_load_dword v1, v[2:3], off
	s_waitcnt vmcnt(0)
	v_cvt_f32_i32_e32 v1, v1
.LBB401_530:
	s_mov_b64 s[2:3], 0
.LBB401_531:
	s_andn2_b64 vcc, exec, s[2:3]
	s_cbranch_vccnz .LBB401_533
; %bb.532:
	global_load_sshort v1, v[2:3], off
	s_waitcnt vmcnt(0)
	v_cvt_f32_i32_e32 v1, v1
.LBB401_533:
	s_mov_b64 s[2:3], 0
.LBB401_534:
	s_andn2_b64 vcc, exec, s[2:3]
	s_cbranch_vccnz .LBB401_540
; %bb.535:
	s_cmp_gt_i32 s10, 0
	s_cbranch_scc0 .LBB401_537
; %bb.536:
	global_load_sbyte v1, v[2:3], off
	s_mov_b64 s[2:3], 0
	s_waitcnt vmcnt(0)
	v_cvt_f32_i32_e32 v1, v1
	s_branch .LBB401_538
.LBB401_537:
	s_mov_b64 s[2:3], -1
                                        ; implicit-def: $vgpr1
.LBB401_538:
	s_andn2_b64 vcc, exec, s[2:3]
	s_cbranch_vccnz .LBB401_540
; %bb.539:
	global_load_ubyte v1, v[2:3], off
	s_waitcnt vmcnt(0)
	v_cvt_f32_ubyte0_e32 v1, v1
.LBB401_540:
	s_branch .LBB401_296
.LBB401_541:
	s_mov_b64 s[6:7], 0
	s_mov_b64 s[2:3], s[56:57]
.LBB401_542:
                                        ; implicit-def: $vgpr8
.LBB401_543:
	s_andn2_b64 s[8:9], s[56:57], exec
	s_and_b64 s[2:3], s[2:3], exec
	s_or_b64 s[64:65], s[8:9], s[2:3]
	s_andn2_b64 s[2:3], s[58:59], exec
	s_and_b64 s[4:5], s[4:5], exec
	s_or_b64 s[62:63], s[2:3], s[4:5]
	s_orn2_b64 s[2:3], s[6:7], exec
.LBB401_544:
	s_or_b64 exec, exec, s[66:67]
	s_mov_b64 s[4:5], 0
	s_mov_b64 s[6:7], 0
	;; [unrolled: 1-line block ×3, first 2 shown]
                                        ; implicit-def: $vgpr2_vgpr3
                                        ; implicit-def: $vgpr0
                                        ; implicit-def: $vgpr1
	s_and_saveexec_b64 s[66:67], s[2:3]
	s_cbranch_execz .LBB401_921
; %bb.545:
	v_cmp_gt_i32_e32 vcc, s72, v8
	s_mov_b64 s[6:7], -1
	s_mov_b64 s[2:3], s[62:63]
	s_mov_b64 s[70:71], s[64:65]
	s_and_saveexec_b64 s[68:69], vcc
	s_cbranch_execz .LBB401_820
; %bb.546:
	s_andn2_b64 vcc, exec, s[42:43]
	s_cbranch_vccnz .LBB401_552
; %bb.547:
	s_andn2_b64 vcc, exec, s[54:55]
	s_cbranch_vccnz .LBB401_553
; %bb.548:
	s_add_i32 s77, s76, 1
	s_cmp_eq_u32 s74, 2
	s_cbranch_scc1 .LBB401_554
; %bb.549:
	s_and_b32 s73, s77, 28
	s_mov_b32 s78, 0
	v_mov_b32_e32 v0, 0
	v_mov_b32_e32 v2, 0
	s_mov_b64 s[2:3], s[34:35]
	s_mov_b64 s[70:71], s[52:53]
	v_mov_b32_e32 v4, v8
.LBB401_550:                            ; =>This Inner Loop Header: Depth=1
	s_load_dwordx8 s[12:19], s[2:3], 0x4
	s_load_dwordx4 s[36:39], s[2:3], 0x24
	s_load_dwordx8 s[4:11], s[70:71], 0x0
	s_add_u32 s2, s2, 48
	s_addc_u32 s3, s3, 0
	s_waitcnt vmcnt(0) lgkmcnt(0)
	v_mul_hi_u32 v1, s13, v4
	v_add_u32_e32 v1, v4, v1
	v_lshrrev_b32_e32 v1, s14, v1
	v_mul_lo_u32 v3, v1, s12
	v_mul_hi_u32 v5, s16, v1
	v_sub_u32_e32 v3, v4, v3
	v_add_u32_e32 v4, v1, v5
	v_lshrrev_b32_e32 v4, s17, v4
	v_mul_lo_u32 v6, v4, s15
	v_mul_hi_u32 v7, s19, v4
	v_sub_u32_e32 v1, v1, v6
	v_add_u32_e32 v6, v4, v7
	v_mul_lo_u32 v5, v3, s5
	v_mul_lo_u32 v3, v3, s4
	;; [unrolled: 1-line block ×4, first 2 shown]
	v_lshrrev_b32_e32 v6, s36, v6
	v_add3_u32 v0, v3, v0, v1
	v_mul_hi_u32 v3, s38, v6
	v_add3_u32 v1, v5, v2, v7
	v_mul_lo_u32 v2, v6, s18
	v_add_u32_e32 v3, v6, v3
	v_sub_u32_e32 v2, v4, v2
	v_lshrrev_b32_e32 v4, s39, v3
	s_add_i32 s78, s78, 4
	v_mul_lo_u32 v3, v4, s37
	s_add_u32 s70, s70, 32
	v_sub_u32_e32 v3, v6, v3
	s_addc_u32 s71, s71, 0
	v_mul_lo_u32 v5, v2, s8
	v_mul_lo_u32 v2, v2, s9
	;; [unrolled: 1-line block ×4, first 2 shown]
	s_cmp_eq_u32 s73, s78
	v_add3_u32 v2, v2, v1, v3
	v_add3_u32 v0, v5, v0, v6
	s_cbranch_scc0 .LBB401_550
; %bb.551:
	v_mov_b32_e32 v1, v2
	s_branch .LBB401_555
.LBB401_552:
	s_mov_b64 s[2:3], -1
                                        ; implicit-def: $vgpr2
                                        ; implicit-def: $vgpr0
	s_branch .LBB401_559
.LBB401_553:
	v_mov_b32_e32 v2, 0
	v_mov_b32_e32 v0, 0
	s_branch .LBB401_558
.LBB401_554:
	v_mov_b32_e32 v0, 0
	s_mov_b32 s73, 0
	s_waitcnt vmcnt(0)
	v_mov_b32_e32 v1, v0
                                        ; implicit-def: $vgpr2
	v_mov_b32_e32 v4, v8
.LBB401_555:
	s_and_b32 s6, s77, 3
	s_cmp_eq_u32 s6, 0
	s_cbranch_scc1 .LBB401_558
; %bb.556:
	s_lshl_b32 s2, s73, 3
	s_add_u32 s2, s34, s2
	s_addc_u32 s3, s35, 0
	s_add_u32 s2, s2, 0xc4
	s_addc_u32 s3, s3, 0
	s_mul_i32 s4, s73, 12
	s_add_u32 s4, s34, s4
	s_addc_u32 s5, s35, 0
.LBB401_557:                            ; =>This Inner Loop Header: Depth=1
	s_load_dwordx2 s[8:9], s[4:5], 0x4
	s_load_dword s7, s[4:5], 0xc
	s_load_dwordx2 s[10:11], s[2:3], 0x0
	v_mov_b32_e32 v2, v1
	s_add_u32 s4, s4, 12
	s_waitcnt lgkmcnt(0)
	v_mul_hi_u32 v1, s9, v4
	v_add_u32_e32 v1, v4, v1
	v_lshrrev_b32_e32 v1, s7, v1
	s_addc_u32 s5, s5, 0
	v_mul_lo_u32 v3, v1, s8
	s_add_u32 s2, s2, 8
	v_sub_u32_e32 v5, v4, v3
	s_addc_u32 s3, s3, 0
	s_add_i32 s6, s6, -1
	v_mov_b32_e32 v4, v1
	v_mad_u64_u32 v[2:3], s[8:9], v5, s11, v[2:3]
	v_mad_u64_u32 v[0:1], s[8:9], v5, s10, v[0:1]
	s_cmp_lg_u32 s6, 0
	v_mov_b32_e32 v1, v2
	s_cbranch_scc1 .LBB401_557
.LBB401_558:
	s_mov_b64 s[2:3], 0
.LBB401_559:
	s_andn2_b64 vcc, exec, s[2:3]
	s_cbranch_vccnz .LBB401_562
; %bb.560:
	v_mul_hi_u32 v0, s25, v8
	v_add_u32_e32 v0, v8, v0
	s_waitcnt vmcnt(0)
	v_lshrrev_b32_e32 v1, s26, v0
	v_mul_lo_u32 v0, v1, s24
	v_sub_u32_e32 v0, v8, v0
	v_mul_lo_u32 v2, v0, s29
	s_andn2_b64 vcc, exec, s[50:51]
	v_mul_lo_u32 v0, v0, s28
	s_cbranch_vccnz .LBB401_562
; %bb.561:
	v_mul_hi_u32 v3, s48, v1
	v_add_u32_e32 v3, v1, v3
	v_lshrrev_b32_e32 v3, s49, v3
	v_mul_lo_u32 v3, v3, s27
	v_sub_u32_e32 v3, v1, v3
	v_mad_u64_u32 v[0:1], s[2:3], v3, s30, v[0:1]
	v_mad_u64_u32 v[2:3], s[2:3], v3, s31, v[2:3]
.LBB401_562:
	v_mov_b32_e32 v3, 0
	s_and_b32 s10, 0xffff, s75
	s_cmp_lt_i32 s10, 11
	v_lshl_add_u64 v[2:3], s[22:23], 0, v[2:3]
	s_cbranch_scc1 .LBB401_569
; %bb.563:
	s_cmp_gt_i32 s10, 25
	s_cbranch_scc0 .LBB401_570
; %bb.564:
	s_cmp_gt_i32 s10, 28
	s_cbranch_scc0 .LBB401_571
; %bb.565:
	s_cmp_gt_i32 s10, 43
	s_cbranch_scc0 .LBB401_572
; %bb.566:
	s_cmp_gt_i32 s10, 45
	s_cbranch_scc0 .LBB401_575
; %bb.567:
	s_cmp_eq_u32 s10, 46
	s_mov_b64 s[6:7], 0
	s_cbranch_scc0 .LBB401_578
; %bb.568:
	global_load_dword v1, v[2:3], off
	s_mov_b64 s[2:3], -1
	s_mov_b64 s[4:5], 0
	s_waitcnt vmcnt(0)
	v_lshlrev_b32_e32 v1, 16, v1
	s_branch .LBB401_579
.LBB401_569:
	s_mov_b64 s[6:7], -1
	s_mov_b64 s[2:3], 0
                                        ; implicit-def: $vgpr1
	s_mov_b64 s[4:5], s[62:63]
	s_branch .LBB401_644
.LBB401_570:
	s_mov_b64 s[6:7], -1
	s_mov_b64 s[2:3], 0
	s_mov_b64 s[4:5], s[62:63]
                                        ; implicit-def: $vgpr1
	s_branch .LBB401_608
.LBB401_571:
	s_mov_b64 s[6:7], -1
	s_mov_b64 s[2:3], 0
	s_mov_b64 s[4:5], s[62:63]
                                        ; implicit-def: $vgpr1
	s_branch .LBB401_589
.LBB401_572:
	s_mov_b64 s[6:7], -1
	s_mov_b64 s[2:3], 0
	s_mov_b64 s[4:5], s[62:63]
                                        ; implicit-def: $vgpr1
	s_branch .LBB401_584
.LBB401_573:
	s_andn2_saveexec_b64 s[10:11], s[10:11]
	s_cbranch_execz .LBB401_341
.LBB401_574:
	s_mov_b32 s14, 0x46000000
	v_add_f32_e64 v3, |v2|, s14
	v_and_b32_e32 v3, 0xff, v3
	v_cmp_ne_u32_e32 vcc, 0, v3
	s_andn2_b64 s[8:9], s[8:9], exec
	s_and_b64 s[14:15], vcc, exec
	s_or_b64 s[8:9], s[8:9], s[14:15]
	s_or_b64 exec, exec, s[10:11]
	v_mov_b32_e32 v4, 0
	s_and_saveexec_b64 s[10:11], s[8:9]
	s_cbranch_execnz .LBB401_342
	s_branch .LBB401_343
.LBB401_575:
	s_mov_b64 s[6:7], -1
	s_mov_b64 s[2:3], 0
	s_mov_b64 s[4:5], s[62:63]
                                        ; implicit-def: $vgpr1
	s_branch .LBB401_579
.LBB401_576:
	s_andn2_saveexec_b64 s[10:11], s[10:11]
	s_cbranch_execz .LBB401_354
.LBB401_577:
	s_mov_b32 s14, 0x42800000
	v_add_f32_e64 v3, |v2|, s14
	v_and_b32_e32 v3, 0xff, v3
	v_cmp_ne_u32_e32 vcc, 0, v3
	s_andn2_b64 s[8:9], s[8:9], exec
	s_and_b64 s[14:15], vcc, exec
	s_or_b64 s[8:9], s[8:9], s[14:15]
	s_or_b64 exec, exec, s[10:11]
	v_mov_b32_e32 v4, 0
	s_and_saveexec_b64 s[10:11], s[8:9]
	s_cbranch_execnz .LBB401_355
	s_branch .LBB401_356
.LBB401_578:
	s_mov_b64 s[4:5], -1
                                        ; implicit-def: $vgpr1
	s_mov_b64 s[2:3], 0
.LBB401_579:
	s_and_b64 vcc, exec, s[6:7]
	s_cbranch_vccz .LBB401_583
; %bb.580:
	s_cmp_eq_u32 s10, 44
	s_cbranch_scc0 .LBB401_582
; %bb.581:
	global_load_ubyte v1, v[2:3], off
	s_movk_i32 s4, 0xff
	v_mov_b32_e32 v4, 0x7f800001
	v_mov_b32_e32 v5, 0x400000
	s_mov_b64 s[2:3], -1
	s_waitcnt vmcnt(0)
	v_lshlrev_b32_e32 v6, 23, v1
	v_cmp_ne_u32_e32 vcc, s4, v1
	s_mov_b64 s[4:5], 0
	s_nop 0
	v_cndmask_b32_e32 v4, v4, v6, vcc
	v_cmp_ne_u32_e32 vcc, 0, v1
	s_nop 1
	v_cndmask_b32_e32 v1, v5, v4, vcc
	s_branch .LBB401_583
.LBB401_582:
	s_mov_b64 s[4:5], -1
                                        ; implicit-def: $vgpr1
.LBB401_583:
	s_mov_b64 s[6:7], 0
.LBB401_584:
	s_and_b64 vcc, exec, s[6:7]
	s_cbranch_vccz .LBB401_588
; %bb.585:
	s_cmp_eq_u32 s10, 29
	s_cbranch_scc0 .LBB401_587
; %bb.586:
	global_load_dwordx2 v[4:5], v[2:3], off
	s_mov_b64 s[2:3], -1
	s_mov_b64 s[4:5], 0
	s_mov_b64 s[6:7], 0
	s_waitcnt vmcnt(0)
	v_ffbh_u32_e32 v1, v5
	v_min_u32_e32 v1, 32, v1
	v_lshlrev_b64 v[4:5], v1, v[4:5]
	v_min_u32_e32 v4, 1, v4
	v_or_b32_e32 v4, v5, v4
	v_cvt_f32_u32_e32 v4, v4
	v_sub_u32_e32 v1, 32, v1
	v_ldexp_f32 v1, v4, v1
	s_branch .LBB401_589
.LBB401_587:
	s_mov_b64 s[4:5], -1
                                        ; implicit-def: $vgpr1
.LBB401_588:
	s_mov_b64 s[6:7], 0
.LBB401_589:
	s_and_b64 vcc, exec, s[6:7]
	s_cbranch_vccz .LBB401_607
; %bb.590:
	s_cmp_lt_i32 s10, 27
	s_cbranch_scc1 .LBB401_593
; %bb.591:
	s_cmp_gt_i32 s10, 27
	s_cbranch_scc0 .LBB401_594
; %bb.592:
	global_load_dword v1, v[2:3], off
	s_mov_b64 s[2:3], 0
	s_waitcnt vmcnt(0)
	v_cvt_f32_u32_e32 v1, v1
	s_branch .LBB401_595
.LBB401_593:
	s_mov_b64 s[2:3], -1
                                        ; implicit-def: $vgpr1
	s_branch .LBB401_598
.LBB401_594:
	s_mov_b64 s[2:3], -1
                                        ; implicit-def: $vgpr1
.LBB401_595:
	s_andn2_b64 vcc, exec, s[2:3]
	s_cbranch_vccnz .LBB401_597
; %bb.596:
	global_load_ushort v1, v[2:3], off
	s_waitcnt vmcnt(0)
	v_cvt_f32_u32_e32 v1, v1
.LBB401_597:
	s_mov_b64 s[2:3], 0
.LBB401_598:
	s_andn2_b64 vcc, exec, s[2:3]
	s_cbranch_vccnz .LBB401_606
; %bb.599:
	global_load_ubyte v4, v[2:3], off
	s_movk_i32 s2, 0x7f
	s_waitcnt vmcnt(0)
	v_cmp_lt_i16_e32 vcc, s2, v4
	s_mov_b64 s[2:3], 0
	s_and_saveexec_b64 s[6:7], vcc
	s_xor_b64 s[6:7], exec, s[6:7]
	s_cbranch_execz .LBB401_620
; %bb.600:
	s_movk_i32 s2, 0x80
	v_cmp_eq_u16_e32 vcc, s2, v4
	s_mov_b64 s[2:3], -1
	s_and_saveexec_b64 s[8:9], vcc
; %bb.601:
	s_xor_b64 s[2:3], exec, -1
; %bb.602:
	s_or_b64 exec, exec, s[8:9]
	s_and_b64 s[2:3], s[2:3], exec
	s_or_saveexec_b64 s[6:7], s[6:7]
	v_mov_b32_e32 v1, 0x7f800001
	s_xor_b64 exec, exec, s[6:7]
	s_cbranch_execnz .LBB401_621
.LBB401_603:
	s_or_b64 exec, exec, s[6:7]
	s_and_saveexec_b64 s[6:7], s[2:3]
	s_cbranch_execz .LBB401_605
.LBB401_604:
	v_lshlrev_b32_e32 v1, 24, v4
	v_and_b32_e32 v4, 0xffff, v4
	v_and_b32_e32 v5, 7, v4
	v_ffbh_u32_e32 v7, v5
	v_min_u32_e32 v7, 32, v7
	v_subrev_u32_e32 v9, 28, v7
	v_bfe_u32 v6, v4, 3, 4
	v_lshlrev_b32_e32 v4, v9, v4
	v_sub_u32_e32 v7, 29, v7
	v_and_b32_e32 v4, 7, v4
	v_cmp_eq_u32_e32 vcc, 0, v6
	v_and_b32_e32 v1, 0x80000000, v1
	s_nop 0
	v_cndmask_b32_e32 v6, v6, v7, vcc
	v_cndmask_b32_e32 v4, v5, v4, vcc
	v_mov_b32_e32 v5, 0x3b800000
	v_lshlrev_b32_e32 v4, 20, v4
	v_lshl_add_u32 v5, v6, 23, v5
	v_or3_b32 v1, v1, v5, v4
.LBB401_605:
	s_or_b64 exec, exec, s[6:7]
.LBB401_606:
	s_mov_b64 s[2:3], -1
.LBB401_607:
	s_mov_b64 s[6:7], 0
.LBB401_608:
	s_and_b64 vcc, exec, s[6:7]
	s_cbranch_vccz .LBB401_643
; %bb.609:
	s_cmp_gt_i32 s10, 22
	s_cbranch_scc0 .LBB401_619
; %bb.610:
	s_cmp_lt_i32 s10, 24
	s_cbranch_scc1 .LBB401_622
; %bb.611:
	s_cmp_gt_i32 s10, 24
	s_cbranch_scc0 .LBB401_623
; %bb.612:
	global_load_ubyte v4, v[2:3], off
	s_movk_i32 s2, 0x7f
	s_waitcnt vmcnt(0)
	v_cmp_lt_i16_e32 vcc, s2, v4
	s_mov_b64 s[2:3], 0
	s_and_saveexec_b64 s[6:7], vcc
	s_xor_b64 s[6:7], exec, s[6:7]
	s_cbranch_execz .LBB401_635
; %bb.613:
	s_movk_i32 s2, 0x80
	v_cmp_eq_u16_e32 vcc, s2, v4
	s_mov_b64 s[2:3], -1
	s_and_saveexec_b64 s[8:9], vcc
; %bb.614:
	s_xor_b64 s[2:3], exec, -1
; %bb.615:
	s_or_b64 exec, exec, s[8:9]
	s_and_b64 s[2:3], s[2:3], exec
	s_or_saveexec_b64 s[6:7], s[6:7]
	v_mov_b32_e32 v1, 0x7f800001
	s_xor_b64 exec, exec, s[6:7]
	s_cbranch_execnz .LBB401_636
.LBB401_616:
	s_or_b64 exec, exec, s[6:7]
	s_and_saveexec_b64 s[6:7], s[2:3]
	s_cbranch_execz .LBB401_618
.LBB401_617:
	v_lshlrev_b32_e32 v1, 24, v4
	v_and_b32_e32 v4, 0xffff, v4
	v_and_b32_e32 v5, 3, v4
	v_ffbh_u32_e32 v7, v5
	v_min_u32_e32 v7, 32, v7
	v_subrev_u32_e32 v9, 29, v7
	v_bfe_u32 v6, v4, 2, 5
	v_lshlrev_b32_e32 v4, v9, v4
	v_sub_u32_e32 v7, 30, v7
	v_and_b32_e32 v4, 3, v4
	v_cmp_eq_u32_e32 vcc, 0, v6
	v_and_b32_e32 v1, 0x80000000, v1
	s_nop 0
	v_cndmask_b32_e32 v6, v6, v7, vcc
	v_cndmask_b32_e32 v4, v5, v4, vcc
	v_mov_b32_e32 v5, 0x37800000
	v_lshlrev_b32_e32 v4, 21, v4
	v_lshl_add_u32 v5, v6, 23, v5
	v_or3_b32 v1, v1, v5, v4
.LBB401_618:
	s_or_b64 exec, exec, s[6:7]
	s_mov_b64 s[2:3], 0
	s_branch .LBB401_624
.LBB401_619:
	s_mov_b64 s[6:7], -1
                                        ; implicit-def: $vgpr1
	s_branch .LBB401_630
.LBB401_620:
	s_or_saveexec_b64 s[6:7], s[6:7]
	v_mov_b32_e32 v1, 0x7f800001
	s_xor_b64 exec, exec, s[6:7]
	s_cbranch_execz .LBB401_603
.LBB401_621:
	v_cmp_ne_u16_e32 vcc, 0, v4
	s_andn2_b64 s[2:3], s[2:3], exec
	s_and_b64 s[8:9], vcc, exec
	v_mov_b32_e32 v1, 0
	s_or_b64 s[2:3], s[2:3], s[8:9]
	s_or_b64 exec, exec, s[6:7]
	s_and_saveexec_b64 s[6:7], s[2:3]
	s_cbranch_execnz .LBB401_604
	s_branch .LBB401_605
.LBB401_622:
	s_mov_b64 s[2:3], -1
                                        ; implicit-def: $vgpr1
	s_branch .LBB401_627
.LBB401_623:
	s_mov_b64 s[2:3], -1
                                        ; implicit-def: $vgpr1
.LBB401_624:
	s_and_b64 vcc, exec, s[2:3]
	s_cbranch_vccz .LBB401_626
; %bb.625:
	global_load_ubyte v1, v[2:3], off
	s_mov_b32 s2, 0x7f800000
	s_waitcnt vmcnt(0)
	v_lshlrev_b32_e32 v1, 24, v1
	v_and_b32_e32 v4, 0x7f000000, v1
	v_ffbh_u32_e32 v5, v4
	v_min_u32_e32 v5, 32, v5
	v_sub_u32_e64 v5, v5, 4 clamp
	v_lshlrev_b32_e32 v7, v5, v4
	v_lshlrev_b32_e32 v5, 23, v5
	v_lshrrev_b32_e32 v7, 4, v7
	v_add_u32_e32 v6, 0x1000000, v4
	v_sub_u32_e32 v5, v7, v5
	v_ashrrev_i32_e32 v6, 8, v6
	v_add_u32_e32 v5, 0x3c000000, v5
	v_and_or_b32 v5, v6, s2, v5
	v_cmp_ne_u32_e32 vcc, 0, v4
	s_brev_b32 s2, 1
	s_nop 0
	v_cndmask_b32_e32 v4, 0, v5, vcc
	v_and_or_b32 v1, v1, s2, v4
.LBB401_626:
	s_mov_b64 s[2:3], 0
.LBB401_627:
	s_andn2_b64 vcc, exec, s[2:3]
	s_cbranch_vccnz .LBB401_629
; %bb.628:
	global_load_ubyte v1, v[2:3], off
	s_movk_i32 s2, 0x7f00
	s_brev_b32 s3, 16
	s_waitcnt vmcnt(0)
	v_lshlrev_b16_e32 v4, 8, v1
	v_lshlrev_b32_e32 v1, 25, v1
	v_lshrrev_b32_e32 v5, 4, v1
	v_and_or_b32 v6, v4, s2, 0.5
	v_or_b32_e32 v5, 0x70000000, v5
	v_add_f32_e32 v6, -0.5, v6
	v_mul_f32_e32 v5, 0x7800000, v5
	v_cmp_gt_u32_e32 vcc, s3, v1
	v_bfe_i32 v4, v4, 0, 16
	s_brev_b32 s2, 1
	v_cndmask_b32_e32 v1, v5, v6, vcc
	v_and_or_b32 v1, v4, s2, v1
.LBB401_629:
	s_mov_b64 s[6:7], 0
	s_mov_b64 s[2:3], -1
.LBB401_630:
	s_andn2_b64 vcc, exec, s[6:7]
	s_cbranch_vccnz .LBB401_643
; %bb.631:
	s_cmp_gt_i32 s10, 14
	s_cbranch_scc0 .LBB401_634
; %bb.632:
	s_cmp_eq_u32 s10, 15
	s_cbranch_scc0 .LBB401_637
; %bb.633:
	global_load_ushort v1, v[2:3], off
	s_mov_b64 s[2:3], -1
	s_mov_b64 s[4:5], 0
	s_waitcnt vmcnt(0)
	v_lshlrev_b32_e32 v1, 16, v1
	s_branch .LBB401_638
.LBB401_634:
	s_mov_b64 s[6:7], -1
                                        ; implicit-def: $vgpr1
	s_branch .LBB401_639
.LBB401_635:
	s_or_saveexec_b64 s[6:7], s[6:7]
	v_mov_b32_e32 v1, 0x7f800001
	s_xor_b64 exec, exec, s[6:7]
	s_cbranch_execz .LBB401_616
.LBB401_636:
	v_cmp_ne_u16_e32 vcc, 0, v4
	s_andn2_b64 s[2:3], s[2:3], exec
	s_and_b64 s[8:9], vcc, exec
	v_mov_b32_e32 v1, 0
	s_or_b64 s[2:3], s[2:3], s[8:9]
	s_or_b64 exec, exec, s[6:7]
	s_and_saveexec_b64 s[6:7], s[2:3]
	s_cbranch_execnz .LBB401_617
	s_branch .LBB401_618
.LBB401_637:
	s_mov_b64 s[4:5], -1
                                        ; implicit-def: $vgpr1
.LBB401_638:
	s_mov_b64 s[6:7], 0
.LBB401_639:
	s_and_b64 vcc, exec, s[6:7]
	s_cbranch_vccz .LBB401_643
; %bb.640:
	s_cmp_eq_u32 s10, 11
	s_cbranch_scc0 .LBB401_642
; %bb.641:
	global_load_ubyte v1, v[2:3], off
	s_mov_b64 s[2:3], -1
	s_mov_b64 s[4:5], 0
	s_waitcnt vmcnt(0)
	v_cmp_ne_u16_e32 vcc, 0, v1
	s_nop 1
	v_cndmask_b32_e64 v1, 0, 1.0, vcc
	s_branch .LBB401_643
.LBB401_642:
	s_mov_b64 s[4:5], -1
                                        ; implicit-def: $vgpr1
.LBB401_643:
	s_mov_b64 s[6:7], 0
.LBB401_644:
	s_and_b64 vcc, exec, s[6:7]
	s_cbranch_vccz .LBB401_693
; %bb.645:
	s_cmp_lt_i32 s10, 5
	s_cbranch_scc1 .LBB401_650
; %bb.646:
	s_cmp_lt_i32 s10, 8
	s_cbranch_scc1 .LBB401_651
	;; [unrolled: 3-line block ×3, first 2 shown]
; %bb.648:
	s_cmp_gt_i32 s10, 9
	s_cbranch_scc0 .LBB401_653
; %bb.649:
	global_load_dwordx2 v[4:5], v[2:3], off
	s_mov_b64 s[2:3], 0
	s_waitcnt vmcnt(0)
	v_cvt_f32_f64_e32 v1, v[4:5]
	s_branch .LBB401_654
.LBB401_650:
	s_mov_b64 s[2:3], -1
                                        ; implicit-def: $vgpr1
	s_branch .LBB401_672
.LBB401_651:
	s_mov_b64 s[2:3], -1
                                        ; implicit-def: $vgpr1
	s_branch .LBB401_660
.LBB401_652:
	s_mov_b64 s[2:3], -1
                                        ; implicit-def: $vgpr1
	s_branch .LBB401_657
.LBB401_653:
	s_mov_b64 s[2:3], -1
                                        ; implicit-def: $vgpr1
.LBB401_654:
	s_andn2_b64 vcc, exec, s[2:3]
	s_cbranch_vccnz .LBB401_656
; %bb.655:
	global_load_dword v1, v[2:3], off
.LBB401_656:
	s_mov_b64 s[2:3], 0
.LBB401_657:
	s_andn2_b64 vcc, exec, s[2:3]
	s_cbranch_vccnz .LBB401_659
; %bb.658:
	global_load_dword v1, v[2:3], off
	s_waitcnt vmcnt(0)
	v_cvt_f32_f16_e32 v1, v1
.LBB401_659:
	s_mov_b64 s[2:3], 0
.LBB401_660:
	s_andn2_b64 vcc, exec, s[2:3]
	s_cbranch_vccnz .LBB401_671
; %bb.661:
	s_cmp_lt_i32 s10, 6
	s_cbranch_scc1 .LBB401_664
; %bb.662:
	s_cmp_gt_i32 s10, 6
	s_cbranch_scc0 .LBB401_665
; %bb.663:
	global_load_dwordx2 v[4:5], v[2:3], off
	s_mov_b64 s[2:3], 0
	s_waitcnt vmcnt(0)
	v_cvt_f32_f64_e32 v1, v[4:5]
	s_branch .LBB401_666
.LBB401_664:
	s_mov_b64 s[2:3], -1
                                        ; implicit-def: $vgpr1
	s_branch .LBB401_669
.LBB401_665:
	s_mov_b64 s[2:3], -1
                                        ; implicit-def: $vgpr1
.LBB401_666:
	s_andn2_b64 vcc, exec, s[2:3]
	s_cbranch_vccnz .LBB401_668
; %bb.667:
	global_load_dword v1, v[2:3], off
.LBB401_668:
	s_mov_b64 s[2:3], 0
.LBB401_669:
	s_andn2_b64 vcc, exec, s[2:3]
	s_cbranch_vccnz .LBB401_671
; %bb.670:
	global_load_ushort v1, v[2:3], off
	s_waitcnt vmcnt(0)
	v_cvt_f32_f16_e32 v1, v1
.LBB401_671:
	s_mov_b64 s[2:3], 0
.LBB401_672:
	s_andn2_b64 vcc, exec, s[2:3]
	s_cbranch_vccnz .LBB401_692
; %bb.673:
	s_cmp_lt_i32 s10, 2
	s_cbranch_scc1 .LBB401_677
; %bb.674:
	s_cmp_lt_i32 s10, 3
	s_cbranch_scc1 .LBB401_678
; %bb.675:
	s_cmp_gt_i32 s10, 3
	s_cbranch_scc0 .LBB401_679
; %bb.676:
	global_load_dwordx2 v[4:5], v[2:3], off
	s_mov_b64 s[2:3], 0
	s_waitcnt vmcnt(0)
	v_xor_b32_e32 v6, v4, v5
	v_ffbh_i32_e32 v1, v5
	v_ashrrev_i32_e32 v6, 31, v6
	v_add_u32_e32 v1, -1, v1
	v_add_u32_e32 v6, 32, v6
	v_min_u32_e32 v1, v1, v6
	v_lshlrev_b64 v[4:5], v1, v[4:5]
	v_min_u32_e32 v4, 1, v4
	v_or_b32_e32 v4, v5, v4
	v_cvt_f32_i32_e32 v4, v4
	v_sub_u32_e32 v1, 32, v1
	v_ldexp_f32 v1, v4, v1
	s_branch .LBB401_680
.LBB401_677:
	s_mov_b64 s[2:3], -1
                                        ; implicit-def: $vgpr1
	s_branch .LBB401_686
.LBB401_678:
	s_mov_b64 s[2:3], -1
                                        ; implicit-def: $vgpr1
	s_branch .LBB401_683
.LBB401_679:
	s_mov_b64 s[2:3], -1
                                        ; implicit-def: $vgpr1
.LBB401_680:
	s_andn2_b64 vcc, exec, s[2:3]
	s_cbranch_vccnz .LBB401_682
; %bb.681:
	global_load_dword v1, v[2:3], off
	s_waitcnt vmcnt(0)
	v_cvt_f32_i32_e32 v1, v1
.LBB401_682:
	s_mov_b64 s[2:3], 0
.LBB401_683:
	s_andn2_b64 vcc, exec, s[2:3]
	s_cbranch_vccnz .LBB401_685
; %bb.684:
	global_load_sshort v1, v[2:3], off
	s_waitcnt vmcnt(0)
	v_cvt_f32_i32_e32 v1, v1
.LBB401_685:
	s_mov_b64 s[2:3], 0
.LBB401_686:
	s_andn2_b64 vcc, exec, s[2:3]
	s_cbranch_vccnz .LBB401_692
; %bb.687:
	s_cmp_gt_i32 s10, 0
	s_cbranch_scc0 .LBB401_689
; %bb.688:
	global_load_sbyte v1, v[2:3], off
	s_mov_b64 s[2:3], 0
	s_waitcnt vmcnt(0)
	v_cvt_f32_i32_e32 v1, v1
	s_branch .LBB401_690
.LBB401_689:
	s_mov_b64 s[2:3], -1
                                        ; implicit-def: $vgpr1
.LBB401_690:
	s_andn2_b64 vcc, exec, s[2:3]
	s_cbranch_vccnz .LBB401_692
; %bb.691:
	global_load_ubyte v1, v[2:3], off
	s_waitcnt vmcnt(0)
	v_cvt_f32_ubyte0_e32 v1, v1
.LBB401_692:
	s_mov_b64 s[2:3], -1
.LBB401_693:
	s_andn2_b64 vcc, exec, s[2:3]
	s_cbranch_vccnz .LBB401_701
; %bb.694:
	v_max_f32_e64 v2, s46, s46
	s_waitcnt vmcnt(0)
	v_max_f32_e32 v3, v1, v1
	v_max_f32_e32 v2, v3, v2
	v_cmp_u_f32_e32 vcc, v1, v1
	s_and_b32 s12, s47, 0xff
	s_cmp_lt_i32 s12, 11
	v_cndmask_b32_e32 v2, v2, v1, vcc
	v_mov_b32_e32 v1, 0
	v_lshl_add_u64 v[0:1], s[20:21], 0, v[0:1]
	s_cbranch_scc1 .LBB401_702
; %bb.695:
	s_and_b32 s13, 0xffff, s12
	s_cmp_gt_i32 s13, 25
	s_cbranch_scc0 .LBB401_703
; %bb.696:
	s_cmp_gt_i32 s13, 28
	s_cbranch_scc0 .LBB401_704
; %bb.697:
	;; [unrolled: 3-line block ×4, first 2 shown]
	s_mov_b64 s[8:9], 0
	s_mov_b64 s[2:3], -1
	s_cmp_eq_u32 s13, 46
	s_mov_b64 s[6:7], 0
	s_cbranch_scc0 .LBB401_707
; %bb.700:
	v_bfe_u32 v3, v2, 16, 1
	s_movk_i32 s2, 0x7fff
	v_add3_u32 v3, v2, v3, s2
	v_cmp_o_f32_e32 vcc, v2, v2
	v_mov_b32_e32 v4, 0x7fc0
	s_mov_b64 s[6:7], -1
	v_cndmask_b32_sdwa v3, v4, v3, vcc dst_sel:DWORD dst_unused:UNUSED_PAD src0_sel:DWORD src1_sel:WORD_1
	global_store_dword v[0:1], v3, off
	s_mov_b64 s[2:3], 0
	s_branch .LBB401_707
.LBB401_701:
	s_mov_b64 s[6:7], 0
	s_mov_b64 s[2:3], s[64:65]
	s_branch .LBB401_818
.LBB401_702:
	s_mov_b64 s[8:9], -1
	s_mov_b64 s[6:7], 0
	s_mov_b64 s[2:3], s[64:65]
	s_branch .LBB401_776
.LBB401_703:
	s_mov_b64 s[8:9], -1
	s_mov_b64 s[6:7], 0
	s_mov_b64 s[2:3], s[64:65]
	s_branch .LBB401_734
.LBB401_704:
	s_mov_b64 s[8:9], -1
	s_mov_b64 s[6:7], 0
	s_mov_b64 s[2:3], s[64:65]
	s_branch .LBB401_717
.LBB401_705:
	s_mov_b64 s[8:9], -1
	s_mov_b64 s[6:7], 0
	s_mov_b64 s[2:3], s[64:65]
	s_branch .LBB401_713
.LBB401_706:
	s_mov_b64 s[8:9], -1
	s_mov_b64 s[6:7], 0
	s_mov_b64 s[2:3], s[64:65]
.LBB401_707:
	s_and_b64 vcc, exec, s[8:9]
	s_cbranch_vccz .LBB401_712
; %bb.708:
	s_cmp_eq_u32 s13, 44
	s_mov_b64 s[2:3], -1
	s_cbranch_scc0 .LBB401_712
; %bb.709:
	v_bfe_u32 v3, v2, 23, 8
	s_movk_i32 s2, 0xff
	v_cmp_ne_u32_e32 vcc, s2, v3
	v_mov_b32_e32 v4, 0xff
	s_and_saveexec_b64 s[6:7], vcc
; %bb.710:
	s_mov_b32 s2, 0x3fffff
	v_and_b32_e32 v5, 0x400000, v2
	v_and_or_b32 v3, v2, s2, v3
	v_cmp_ne_u32_e32 vcc, 0, v5
	v_cmp_ne_u32_e64 s[2:3], 0, v3
	s_and_b64 s[2:3], vcc, s[2:3]
	v_lshrrev_b32_e32 v4, 23, v2
	v_cndmask_b32_e64 v3, 0, 1, s[2:3]
	v_add_u32_e32 v4, v4, v3
; %bb.711:
	s_or_b64 exec, exec, s[6:7]
	s_mov_b64 s[6:7], -1
	s_mov_b64 s[2:3], 0
	global_store_byte v[0:1], v4, off
.LBB401_712:
	s_mov_b64 s[8:9], 0
.LBB401_713:
	s_and_b64 vcc, exec, s[8:9]
	s_cbranch_vccz .LBB401_716
; %bb.714:
	s_cmp_eq_u32 s13, 29
	s_mov_b64 s[2:3], -1
	s_cbranch_scc0 .LBB401_716
; %bb.715:
	v_trunc_f32_e32 v3, v2
	v_mul_f32_e32 v4, 0x2f800000, v3
	v_floor_f32_e32 v4, v4
	v_fmamk_f32 v3, v4, 0xcf800000, v3
	v_cvt_u32_f32_e32 v5, v4
	v_cvt_u32_f32_e32 v4, v3
	s_mov_b64 s[6:7], -1
	s_mov_b64 s[2:3], 0
	s_mov_b64 s[8:9], 0
	global_store_dwordx2 v[0:1], v[4:5], off
	s_branch .LBB401_717
.LBB401_716:
	s_mov_b64 s[8:9], 0
.LBB401_717:
	s_and_b64 vcc, exec, s[8:9]
	s_cbranch_vccz .LBB401_733
; %bb.718:
	s_cmp_lt_i32 s13, 27
	s_mov_b64 s[6:7], -1
	s_cbranch_scc1 .LBB401_724
; %bb.719:
	v_cvt_u32_f32_e32 v3, v2
	s_cmp_gt_i32 s13, 27
	s_cbranch_scc0 .LBB401_721
; %bb.720:
	s_mov_b64 s[6:7], 0
	global_store_dword v[0:1], v3, off
.LBB401_721:
	s_andn2_b64 vcc, exec, s[6:7]
	s_cbranch_vccnz .LBB401_723
; %bb.722:
	global_store_short v[0:1], v3, off
.LBB401_723:
	s_mov_b64 s[6:7], 0
.LBB401_724:
	s_andn2_b64 vcc, exec, s[6:7]
	s_cbranch_vccnz .LBB401_732
; %bb.725:
	v_and_b32_e32 v3, 0x7fffffff, v2
	s_mov_b32 s6, 0x43800000
	v_cmp_gt_u32_e32 vcc, s6, v3
	v_mov_b32_e32 v4, 0x80
	s_and_saveexec_b64 s[6:7], vcc
	s_cbranch_execz .LBB401_731
; %bb.726:
	s_mov_b32 s8, 0x3bffffff
	v_cmp_lt_u32_e32 vcc, s8, v3
	s_mov_b64 s[8:9], 0
                                        ; implicit-def: $vgpr3
	s_and_saveexec_b64 s[10:11], vcc
	s_xor_b64 s[10:11], exec, s[10:11]
	s_cbranch_execz .LBB401_849
; %bb.727:
	v_bfe_u32 v3, v2, 20, 1
	s_mov_b32 s14, 0x487ffff
	v_add3_u32 v3, v2, v3, s14
	s_mov_b64 s[8:9], exec
	v_lshrrev_b32_e32 v3, 20, v3
	s_andn2_saveexec_b64 s[10:11], s[10:11]
	s_cbranch_execnz .LBB401_850
.LBB401_728:
	s_or_b64 exec, exec, s[10:11]
	v_mov_b32_e32 v4, 0
	s_and_saveexec_b64 s[10:11], s[8:9]
.LBB401_729:
	v_lshrrev_b32_e32 v4, 24, v2
	s_movk_i32 s8, 0x80
	v_and_or_b32 v4, v4, s8, v3
.LBB401_730:
	s_or_b64 exec, exec, s[10:11]
.LBB401_731:
	s_or_b64 exec, exec, s[6:7]
	global_store_byte v[0:1], v4, off
.LBB401_732:
	s_mov_b64 s[6:7], -1
.LBB401_733:
	s_mov_b64 s[8:9], 0
.LBB401_734:
	s_and_b64 vcc, exec, s[8:9]
	s_cbranch_vccz .LBB401_775
; %bb.735:
	s_cmp_gt_i32 s13, 22
	s_mov_b64 s[8:9], -1
	s_cbranch_scc0 .LBB401_767
; %bb.736:
	s_cmp_lt_i32 s13, 24
	s_mov_b64 s[6:7], -1
	s_cbranch_scc1 .LBB401_756
; %bb.737:
	s_cmp_gt_i32 s13, 24
	s_cbranch_scc0 .LBB401_745
; %bb.738:
	v_and_b32_e32 v3, 0x7fffffff, v2
	s_mov_b32 s6, 0x47800000
	v_cmp_gt_u32_e32 vcc, s6, v3
	v_mov_b32_e32 v4, 0x80
	s_and_saveexec_b64 s[6:7], vcc
	s_cbranch_execz .LBB401_744
; %bb.739:
	s_mov_b32 s8, 0x37ffffff
	v_cmp_lt_u32_e32 vcc, s8, v3
	s_mov_b64 s[8:9], 0
                                        ; implicit-def: $vgpr3
	s_and_saveexec_b64 s[10:11], vcc
	s_xor_b64 s[10:11], exec, s[10:11]
	s_cbranch_execz .LBB401_852
; %bb.740:
	v_bfe_u32 v3, v2, 21, 1
	s_mov_b32 s14, 0x88fffff
	v_add3_u32 v3, v2, v3, s14
	s_mov_b64 s[8:9], exec
	v_lshrrev_b32_e32 v3, 21, v3
	s_andn2_saveexec_b64 s[10:11], s[10:11]
	s_cbranch_execnz .LBB401_853
.LBB401_741:
	s_or_b64 exec, exec, s[10:11]
	v_mov_b32_e32 v4, 0
	s_and_saveexec_b64 s[10:11], s[8:9]
.LBB401_742:
	v_lshrrev_b32_e32 v4, 24, v2
	s_movk_i32 s8, 0x80
	v_and_or_b32 v4, v4, s8, v3
.LBB401_743:
	s_or_b64 exec, exec, s[10:11]
.LBB401_744:
	s_or_b64 exec, exec, s[6:7]
	s_mov_b64 s[6:7], 0
	global_store_byte v[0:1], v4, off
.LBB401_745:
	s_and_b64 vcc, exec, s[6:7]
	s_cbranch_vccz .LBB401_755
; %bb.746:
	v_and_b32_e32 v4, 0x7fffffff, v2
	s_mov_b32 s6, 0x43f00000
	v_cmp_gt_u32_e32 vcc, s6, v4
                                        ; implicit-def: $vgpr3
	s_and_saveexec_b64 s[6:7], vcc
	s_xor_b64 s[6:7], exec, s[6:7]
	s_cbranch_execz .LBB401_752
; %bb.747:
	s_mov_b32 s8, 0x3c7fffff
	v_cmp_lt_u32_e32 vcc, s8, v4
                                        ; implicit-def: $vgpr3
	s_and_saveexec_b64 s[8:9], vcc
	s_xor_b64 s[8:9], exec, s[8:9]
; %bb.748:
	v_bfe_u32 v3, v2, 20, 1
	s_mov_b32 s10, 0x407ffff
	v_add3_u32 v3, v2, v3, s10
	v_lshrrev_b32_e32 v4, 20, v3
	v_and_b32_e32 v3, 0xff00000, v3
	s_mov_b32 s10, 0x7f00000
	v_mov_b32_e32 v5, 0x7e
	v_cmp_ne_u32_e32 vcc, s10, v3
	s_nop 1
	v_cndmask_b32_e32 v3, v5, v4, vcc
; %bb.749:
	s_andn2_saveexec_b64 s[8:9], s[8:9]
; %bb.750:
	s_mov_b32 s10, 0x46800000
	v_add_f32_e64 v3, |v2|, s10
; %bb.751:
	s_or_b64 exec, exec, s[8:9]
                                        ; implicit-def: $vgpr4
.LBB401_752:
	s_andn2_saveexec_b64 s[6:7], s[6:7]
; %bb.753:
	s_mov_b32 s8, 0x7f800000
	v_mov_b32_e32 v3, 0x7e
	v_mov_b32_e32 v5, 0x7f
	v_cmp_lt_u32_e32 vcc, s8, v4
	s_nop 1
	v_cndmask_b32_e32 v3, v3, v5, vcc
; %bb.754:
	s_or_b64 exec, exec, s[6:7]
	v_lshrrev_b32_e32 v4, 24, v2
	s_movk_i32 s6, 0x80
	v_and_or_b32 v3, v4, s6, v3
	global_store_byte v[0:1], v3, off
.LBB401_755:
	s_mov_b64 s[6:7], 0
.LBB401_756:
	s_andn2_b64 vcc, exec, s[6:7]
	s_cbranch_vccnz .LBB401_766
; %bb.757:
	v_and_b32_e32 v4, 0x7fffffff, v2
	s_mov_b32 s6, 0x47800000
	v_cmp_gt_u32_e32 vcc, s6, v4
                                        ; implicit-def: $vgpr3
	s_and_saveexec_b64 s[6:7], vcc
	s_xor_b64 s[6:7], exec, s[6:7]
	s_cbranch_execz .LBB401_763
; %bb.758:
	s_mov_b32 s8, 0x387fffff
	v_cmp_lt_u32_e32 vcc, s8, v4
                                        ; implicit-def: $vgpr3
	s_and_saveexec_b64 s[8:9], vcc
	s_xor_b64 s[8:9], exec, s[8:9]
; %bb.759:
	v_bfe_u32 v3, v2, 21, 1
	s_mov_b32 s10, 0x80fffff
	v_add3_u32 v3, v2, v3, s10
	v_lshrrev_b32_e32 v3, 21, v3
; %bb.760:
	s_andn2_saveexec_b64 s[8:9], s[8:9]
; %bb.761:
	s_mov_b32 s10, 0x43000000
	v_add_f32_e64 v3, |v2|, s10
; %bb.762:
	s_or_b64 exec, exec, s[8:9]
                                        ; implicit-def: $vgpr4
.LBB401_763:
	s_andn2_saveexec_b64 s[6:7], s[6:7]
; %bb.764:
	s_mov_b32 s8, 0x7f800000
	v_mov_b32_e32 v3, 0x7c
	v_mov_b32_e32 v5, 0x7f
	v_cmp_lt_u32_e32 vcc, s8, v4
	s_nop 1
	v_cndmask_b32_e32 v3, v3, v5, vcc
; %bb.765:
	s_or_b64 exec, exec, s[6:7]
	v_lshrrev_b32_e32 v4, 24, v2
	s_movk_i32 s6, 0x80
	v_and_or_b32 v3, v4, s6, v3
	global_store_byte v[0:1], v3, off
.LBB401_766:
	s_mov_b64 s[8:9], 0
	s_mov_b64 s[6:7], -1
.LBB401_767:
	s_andn2_b64 vcc, exec, s[8:9]
	s_cbranch_vccnz .LBB401_775
; %bb.768:
	s_cmp_gt_i32 s13, 14
	s_mov_b64 s[8:9], -1
	s_cbranch_scc0 .LBB401_772
; %bb.769:
	s_cmp_eq_u32 s13, 15
	s_mov_b64 s[2:3], -1
	s_cbranch_scc0 .LBB401_771
; %bb.770:
	v_bfe_u32 v3, v2, 16, 1
	s_movk_i32 s2, 0x7fff
	v_add3_u32 v3, v2, v3, s2
	v_cmp_o_f32_e32 vcc, v2, v2
	v_mov_b32_e32 v4, 0x7fc0
	s_mov_b64 s[6:7], -1
	v_cndmask_b32_sdwa v3, v4, v3, vcc dst_sel:DWORD dst_unused:UNUSED_PAD src0_sel:DWORD src1_sel:WORD_1
	global_store_short v[0:1], v3, off
	s_mov_b64 s[2:3], 0
.LBB401_771:
	s_mov_b64 s[8:9], 0
.LBB401_772:
	s_and_b64 vcc, exec, s[8:9]
	s_cbranch_vccz .LBB401_775
; %bb.773:
	s_cmp_eq_u32 s13, 11
	s_mov_b64 s[2:3], -1
	s_cbranch_scc0 .LBB401_775
; %bb.774:
	v_cmp_neq_f32_e32 vcc, 0, v2
	s_mov_b64 s[6:7], -1
	s_mov_b64 s[2:3], 0
	v_cndmask_b32_e64 v3, 0, 1, vcc
	global_store_byte v[0:1], v3, off
.LBB401_775:
	s_mov_b64 s[8:9], 0
.LBB401_776:
	s_and_b64 vcc, exec, s[8:9]
	s_cbranch_vccz .LBB401_815
; %bb.777:
	s_and_b32 s8, 0xffff, s12
	s_cmp_lt_i32 s8, 5
	s_mov_b64 s[6:7], -1
	s_cbranch_scc1 .LBB401_798
; %bb.778:
	s_cmp_lt_i32 s8, 8
	s_cbranch_scc1 .LBB401_788
; %bb.779:
	s_cmp_lt_i32 s8, 9
	s_cbranch_scc1 .LBB401_785
; %bb.780:
	s_cmp_gt_i32 s8, 9
	s_cbranch_scc0 .LBB401_782
; %bb.781:
	v_mov_b32_e32 v6, 0
	v_cvt_f64_f32_e32 v[4:5], v2
	v_mov_b32_e32 v7, v6
	s_mov_b64 s[6:7], 0
	global_store_dwordx4 v[0:1], v[4:7], off
.LBB401_782:
	s_andn2_b64 vcc, exec, s[6:7]
	s_cbranch_vccnz .LBB401_784
; %bb.783:
	v_mov_b32_e32 v3, 0
	global_store_dwordx2 v[0:1], v[2:3], off
.LBB401_784:
	s_mov_b64 s[6:7], 0
.LBB401_785:
	s_andn2_b64 vcc, exec, s[6:7]
	s_cbranch_vccnz .LBB401_787
; %bb.786:
	v_cvt_f16_f32_e32 v3, v2
	global_store_dword v[0:1], v3, off
.LBB401_787:
	s_mov_b64 s[6:7], 0
.LBB401_788:
	s_andn2_b64 vcc, exec, s[6:7]
	s_cbranch_vccnz .LBB401_797
; %bb.789:
	s_cmp_lt_i32 s8, 6
	s_mov_b64 s[6:7], -1
	s_cbranch_scc1 .LBB401_795
; %bb.790:
	s_cmp_gt_i32 s8, 6
	s_cbranch_scc0 .LBB401_792
; %bb.791:
	v_cvt_f64_f32_e32 v[4:5], v2
	s_mov_b64 s[6:7], 0
	global_store_dwordx2 v[0:1], v[4:5], off
.LBB401_792:
	s_andn2_b64 vcc, exec, s[6:7]
	s_cbranch_vccnz .LBB401_794
; %bb.793:
	global_store_dword v[0:1], v2, off
.LBB401_794:
	s_mov_b64 s[6:7], 0
.LBB401_795:
	s_andn2_b64 vcc, exec, s[6:7]
	s_cbranch_vccnz .LBB401_797
; %bb.796:
	v_cvt_f16_f32_e32 v3, v2
	global_store_short v[0:1], v3, off
.LBB401_797:
	s_mov_b64 s[6:7], 0
.LBB401_798:
	s_andn2_b64 vcc, exec, s[6:7]
	s_cbranch_vccnz .LBB401_814
; %bb.799:
	s_cmp_lt_i32 s8, 2
	s_mov_b64 s[6:7], -1
	s_cbranch_scc1 .LBB401_809
; %bb.800:
	s_cmp_lt_i32 s8, 3
	s_cbranch_scc1 .LBB401_806
; %bb.801:
	s_cmp_gt_i32 s8, 3
	s_cbranch_scc0 .LBB401_803
; %bb.802:
	v_trunc_f32_e32 v3, v2
	s_mov_b32 s6, 0x2f800000
	v_mul_f32_e64 v4, |v3|, s6
	v_floor_f32_e32 v4, v4
	s_mov_b32 s6, 0xcf800000
	v_cvt_u32_f32_e32 v5, v4
	v_fma_f32 v4, v4, s6, |v3|
	v_cvt_u32_f32_e32 v4, v4
	v_ashrrev_i32_e32 v3, 31, v3
	v_xor_b32_e32 v5, v5, v3
	s_mov_b64 s[6:7], 0
	v_xor_b32_e32 v4, v4, v3
	v_sub_co_u32_e32 v4, vcc, v4, v3
	s_nop 1
	v_subb_co_u32_e32 v5, vcc, v5, v3, vcc
	global_store_dwordx2 v[0:1], v[4:5], off
.LBB401_803:
	s_andn2_b64 vcc, exec, s[6:7]
	s_cbranch_vccnz .LBB401_805
; %bb.804:
	v_cvt_i32_f32_e32 v3, v2
	global_store_dword v[0:1], v3, off
.LBB401_805:
	s_mov_b64 s[6:7], 0
.LBB401_806:
	s_andn2_b64 vcc, exec, s[6:7]
	s_cbranch_vccnz .LBB401_808
; %bb.807:
	v_cvt_i32_f32_e32 v3, v2
	global_store_short v[0:1], v3, off
.LBB401_808:
	s_mov_b64 s[6:7], 0
.LBB401_809:
	s_andn2_b64 vcc, exec, s[6:7]
	s_cbranch_vccnz .LBB401_814
; %bb.810:
	s_cmp_gt_i32 s8, 0
	s_mov_b64 s[6:7], -1
	s_cbranch_scc0 .LBB401_812
; %bb.811:
	v_cvt_i32_f32_e32 v3, v2
	s_mov_b64 s[6:7], 0
	global_store_byte v[0:1], v3, off
.LBB401_812:
	s_andn2_b64 vcc, exec, s[6:7]
	s_cbranch_vccnz .LBB401_814
; %bb.813:
	v_trunc_f32_e32 v2, v2
	s_mov_b32 s6, 0x2f800000
	v_mul_f32_e64 v3, |v2|, s6
	v_floor_f32_e32 v3, v3
	s_mov_b32 s6, 0xcf800000
	v_fma_f32 v3, v3, s6, |v2|
	v_cvt_u32_f32_e32 v3, v3
	v_ashrrev_i32_e32 v2, 31, v2
	v_xor_b32_e32 v3, v3, v2
	v_sub_u32_e32 v2, v3, v2
	global_store_byte v[0:1], v2, off
.LBB401_814:
	s_mov_b64 s[6:7], -1
.LBB401_815:
	s_andn2_b64 vcc, exec, s[6:7]
	s_cbranch_vccnz .LBB401_817
; %bb.816:
	v_add_u32_e32 v8, 0x80, v8
	s_mov_b64 s[6:7], -1
	s_branch .LBB401_819
.LBB401_817:
	s_mov_b64 s[6:7], 0
.LBB401_818:
                                        ; implicit-def: $vgpr8
.LBB401_819:
	s_andn2_b64 s[8:9], s[64:65], exec
	s_and_b64 s[2:3], s[2:3], exec
	s_or_b64 s[70:71], s[8:9], s[2:3]
	s_andn2_b64 s[2:3], s[62:63], exec
	s_and_b64 s[4:5], s[4:5], exec
	s_or_b64 s[2:3], s[2:3], s[4:5]
	s_orn2_b64 s[6:7], s[6:7], exec
.LBB401_820:
	s_or_b64 exec, exec, s[68:69]
	s_mov_b64 s[4:5], 0
	s_mov_b64 s[10:11], 0
	;; [unrolled: 1-line block ×3, first 2 shown]
                                        ; implicit-def: $vgpr2_vgpr3
                                        ; implicit-def: $vgpr0
                                        ; implicit-def: $vgpr1
	s_and_saveexec_b64 s[68:69], s[6:7]
	s_cbranch_execz .LBB401_920
; %bb.821:
	v_cmp_gt_i32_e32 vcc, s72, v8
	s_mov_b64 s[6:7], 0
	s_mov_b64 s[12:13], s[2:3]
                                        ; implicit-def: $vgpr2_vgpr3
                                        ; implicit-def: $vgpr0
                                        ; implicit-def: $vgpr1
	s_and_saveexec_b64 s[72:73], vcc
	s_cbranch_execz .LBB401_919
; %bb.822:
	s_andn2_b64 vcc, exec, s[42:43]
	s_cbranch_vccnz .LBB401_828
; %bb.823:
	s_andn2_b64 vcc, exec, s[54:55]
	s_cbranch_vccnz .LBB401_829
; %bb.824:
	s_add_i32 s77, s76, 1
	s_cmp_eq_u32 s74, 2
	s_cbranch_scc1 .LBB401_830
; %bb.825:
	s_and_b32 s76, s77, 28
	s_mov_b32 s78, 0
	v_mov_b32_e32 v0, 0
	v_mov_b32_e32 v2, 0
	s_mov_b64 s[54:55], s[34:35]
	v_mov_b32_e32 v4, v8
.LBB401_826:                            ; =>This Inner Loop Header: Depth=1
	s_load_dwordx8 s[12:19], s[54:55], 0x4
	s_load_dwordx4 s[36:39], s[54:55], 0x24
	s_load_dwordx8 s[4:11], s[52:53], 0x0
	s_add_u32 s54, s54, 48
	s_addc_u32 s55, s55, 0
	s_waitcnt vmcnt(0) lgkmcnt(0)
	v_mul_hi_u32 v1, s13, v4
	v_add_u32_e32 v1, v4, v1
	v_lshrrev_b32_e32 v1, s14, v1
	v_mul_lo_u32 v3, v1, s12
	v_mul_hi_u32 v5, s16, v1
	v_sub_u32_e32 v3, v4, v3
	v_add_u32_e32 v4, v1, v5
	v_lshrrev_b32_e32 v4, s17, v4
	v_mul_lo_u32 v6, v4, s15
	v_mul_hi_u32 v7, s19, v4
	v_sub_u32_e32 v1, v1, v6
	v_add_u32_e32 v6, v4, v7
	v_mul_lo_u32 v5, v3, s5
	v_mul_lo_u32 v3, v3, s4
	;; [unrolled: 1-line block ×4, first 2 shown]
	v_lshrrev_b32_e32 v6, s36, v6
	v_add3_u32 v0, v3, v0, v1
	v_mul_hi_u32 v3, s38, v6
	v_add3_u32 v1, v5, v2, v7
	v_mul_lo_u32 v2, v6, s18
	v_add_u32_e32 v3, v6, v3
	v_sub_u32_e32 v2, v4, v2
	v_lshrrev_b32_e32 v4, s39, v3
	s_add_i32 s78, s78, 4
	v_mul_lo_u32 v3, v4, s37
	s_add_u32 s52, s52, 32
	v_sub_u32_e32 v3, v6, v3
	s_addc_u32 s53, s53, 0
	v_mul_lo_u32 v5, v2, s8
	v_mul_lo_u32 v2, v2, s9
	;; [unrolled: 1-line block ×4, first 2 shown]
	s_cmp_eq_u32 s76, s78
	v_add3_u32 v2, v2, v1, v3
	v_add3_u32 v0, v5, v0, v6
	s_cbranch_scc0 .LBB401_826
; %bb.827:
	v_mov_b32_e32 v1, v2
	s_branch .LBB401_831
.LBB401_828:
	s_mov_b64 s[4:5], -1
                                        ; implicit-def: $vgpr2
                                        ; implicit-def: $vgpr0
	s_branch .LBB401_835
.LBB401_829:
	v_mov_b32_e32 v2, 0
	v_mov_b32_e32 v0, 0
	s_branch .LBB401_834
.LBB401_830:
	v_mov_b32_e32 v0, 0
	s_mov_b32 s76, 0
	s_waitcnt vmcnt(0)
	v_mov_b32_e32 v1, v0
                                        ; implicit-def: $vgpr2
	v_mov_b32_e32 v4, v8
.LBB401_831:
	s_and_b32 s8, s77, 3
	s_cmp_eq_u32 s8, 0
	s_cbranch_scc1 .LBB401_834
; %bb.832:
	s_lshl_b32 s4, s76, 3
	s_add_u32 s4, s34, s4
	s_addc_u32 s5, s35, 0
	s_add_u32 s4, s4, 0xc4
	s_addc_u32 s5, s5, 0
	s_mul_i32 s6, s76, 12
	s_add_u32 s6, s34, s6
	s_addc_u32 s7, s35, 0
.LBB401_833:                            ; =>This Inner Loop Header: Depth=1
	s_load_dwordx2 s[10:11], s[6:7], 0x4
	s_load_dword s9, s[6:7], 0xc
	s_load_dwordx2 s[12:13], s[4:5], 0x0
	v_mov_b32_e32 v2, v1
	s_add_u32 s6, s6, 12
	s_waitcnt lgkmcnt(0)
	v_mul_hi_u32 v1, s11, v4
	v_add_u32_e32 v1, v4, v1
	v_lshrrev_b32_e32 v1, s9, v1
	s_addc_u32 s7, s7, 0
	v_mul_lo_u32 v3, v1, s10
	s_add_u32 s4, s4, 8
	v_sub_u32_e32 v5, v4, v3
	s_addc_u32 s5, s5, 0
	s_add_i32 s8, s8, -1
	v_mov_b32_e32 v4, v1
	v_mad_u64_u32 v[2:3], s[10:11], v5, s13, v[2:3]
	v_mad_u64_u32 v[0:1], s[10:11], v5, s12, v[0:1]
	s_cmp_lg_u32 s8, 0
	v_mov_b32_e32 v1, v2
	s_cbranch_scc1 .LBB401_833
.LBB401_834:
	s_mov_b64 s[4:5], 0
.LBB401_835:
	s_andn2_b64 vcc, exec, s[4:5]
	s_cbranch_vccnz .LBB401_838
; %bb.836:
	v_mul_hi_u32 v0, s25, v8
	v_add_u32_e32 v0, v8, v0
	s_waitcnt vmcnt(0)
	v_lshrrev_b32_e32 v1, s26, v0
	v_mul_lo_u32 v0, v1, s24
	v_sub_u32_e32 v0, v8, v0
	v_mul_lo_u32 v2, v0, s29
	s_andn2_b64 vcc, exec, s[50:51]
	v_mul_lo_u32 v0, v0, s28
	s_cbranch_vccnz .LBB401_838
; %bb.837:
	v_mul_hi_u32 v3, s48, v1
	v_add_u32_e32 v3, v1, v3
	v_lshrrev_b32_e32 v3, s49, v3
	v_mul_lo_u32 v3, v3, s27
	v_sub_u32_e32 v3, v1, v3
	v_mad_u64_u32 v[0:1], s[4:5], v3, s30, v[0:1]
	v_mad_u64_u32 v[2:3], s[4:5], v3, s31, v[2:3]
.LBB401_838:
	v_mov_b32_e32 v3, 0
	s_and_b32 s14, 0xffff, s75
	s_cmp_lt_i32 s14, 11
	v_lshl_add_u64 v[2:3], s[22:23], 0, v[2:3]
	s_cbranch_scc1 .LBB401_845
; %bb.839:
	s_cmp_gt_i32 s14, 25
	s_mov_b64 s[6:7], 0
	s_cbranch_scc0 .LBB401_846
; %bb.840:
	s_cmp_gt_i32 s14, 28
	s_cbranch_scc0 .LBB401_847
; %bb.841:
	s_cmp_gt_i32 s14, 43
	;; [unrolled: 3-line block ×3, first 2 shown]
	s_cbranch_scc0 .LBB401_851
; %bb.843:
	s_cmp_eq_u32 s14, 46
	s_mov_b64 s[10:11], 0
	s_cbranch_scc0 .LBB401_854
; %bb.844:
	global_load_dword v1, v[2:3], off
	s_mov_b64 s[4:5], 0
	s_mov_b64 s[8:9], -1
	s_waitcnt vmcnt(0)
	v_lshlrev_b32_e32 v1, 16, v1
	s_branch .LBB401_855
.LBB401_845:
	s_mov_b64 s[10:11], -1
	s_mov_b64 s[8:9], 0
	s_mov_b64 s[6:7], 0
	;; [unrolled: 1-line block ×3, first 2 shown]
                                        ; implicit-def: $vgpr1
	s_branch .LBB401_918
.LBB401_846:
	s_mov_b64 s[10:11], -1
	s_mov_b64 s[8:9], 0
	s_mov_b64 s[4:5], s[2:3]
                                        ; implicit-def: $vgpr1
	s_branch .LBB401_884
.LBB401_847:
	s_mov_b64 s[10:11], -1
	s_mov_b64 s[8:9], 0
	s_mov_b64 s[4:5], s[2:3]
                                        ; implicit-def: $vgpr1
	s_branch .LBB401_865
.LBB401_848:
	s_mov_b64 s[10:11], -1
	s_mov_b64 s[8:9], 0
	s_mov_b64 s[4:5], s[2:3]
                                        ; implicit-def: $vgpr1
	s_branch .LBB401_860
.LBB401_849:
	s_andn2_saveexec_b64 s[10:11], s[10:11]
	s_cbranch_execz .LBB401_728
.LBB401_850:
	s_mov_b32 s14, 0x46000000
	v_add_f32_e64 v3, |v2|, s14
	v_and_b32_e32 v3, 0xff, v3
	v_cmp_ne_u32_e32 vcc, 0, v3
	s_andn2_b64 s[8:9], s[8:9], exec
	s_and_b64 s[14:15], vcc, exec
	s_or_b64 s[8:9], s[8:9], s[14:15]
	s_or_b64 exec, exec, s[10:11]
	v_mov_b32_e32 v4, 0
	s_and_saveexec_b64 s[10:11], s[8:9]
	s_cbranch_execnz .LBB401_729
	s_branch .LBB401_730
.LBB401_851:
	s_mov_b64 s[10:11], -1
	s_mov_b64 s[8:9], 0
	s_mov_b64 s[4:5], s[2:3]
                                        ; implicit-def: $vgpr1
	s_branch .LBB401_855
.LBB401_852:
	s_andn2_saveexec_b64 s[10:11], s[10:11]
	s_cbranch_execz .LBB401_741
.LBB401_853:
	s_mov_b32 s14, 0x42800000
	v_add_f32_e64 v3, |v2|, s14
	v_and_b32_e32 v3, 0xff, v3
	v_cmp_ne_u32_e32 vcc, 0, v3
	s_andn2_b64 s[8:9], s[8:9], exec
	s_and_b64 s[14:15], vcc, exec
	s_or_b64 s[8:9], s[8:9], s[14:15]
	s_or_b64 exec, exec, s[10:11]
	v_mov_b32_e32 v4, 0
	s_and_saveexec_b64 s[10:11], s[8:9]
	s_cbranch_execnz .LBB401_742
	s_branch .LBB401_743
.LBB401_854:
	s_mov_b64 s[4:5], -1
                                        ; implicit-def: $vgpr1
	s_mov_b64 s[8:9], 0
.LBB401_855:
	s_and_b64 vcc, exec, s[10:11]
	s_cbranch_vccz .LBB401_859
; %bb.856:
	s_cmp_eq_u32 s14, 44
	s_cbranch_scc0 .LBB401_858
; %bb.857:
	global_load_ubyte v1, v[2:3], off
	s_movk_i32 s8, 0xff
	v_mov_b32_e32 v4, 0x7f800001
	v_mov_b32_e32 v5, 0x400000
	s_mov_b64 s[4:5], 0
	s_waitcnt vmcnt(0)
	v_lshlrev_b32_e32 v6, 23, v1
	v_cmp_ne_u32_e32 vcc, s8, v1
	s_mov_b64 s[8:9], -1
	s_nop 0
	v_cndmask_b32_e32 v4, v4, v6, vcc
	v_cmp_ne_u32_e32 vcc, 0, v1
	s_nop 1
	v_cndmask_b32_e32 v1, v5, v4, vcc
	s_branch .LBB401_859
.LBB401_858:
	s_mov_b64 s[4:5], -1
                                        ; implicit-def: $vgpr1
.LBB401_859:
	s_mov_b64 s[10:11], 0
.LBB401_860:
	s_and_b64 vcc, exec, s[10:11]
	s_cbranch_vccz .LBB401_864
; %bb.861:
	s_cmp_eq_u32 s14, 29
	s_cbranch_scc0 .LBB401_863
; %bb.862:
	global_load_dwordx2 v[4:5], v[2:3], off
	s_mov_b64 s[4:5], 0
	s_mov_b64 s[8:9], -1
	s_mov_b64 s[10:11], 0
	s_waitcnt vmcnt(0)
	v_ffbh_u32_e32 v1, v5
	v_min_u32_e32 v1, 32, v1
	v_lshlrev_b64 v[4:5], v1, v[4:5]
	v_min_u32_e32 v4, 1, v4
	v_or_b32_e32 v4, v5, v4
	v_cvt_f32_u32_e32 v4, v4
	v_sub_u32_e32 v1, 32, v1
	v_ldexp_f32 v1, v4, v1
	s_branch .LBB401_865
.LBB401_863:
	s_mov_b64 s[4:5], -1
                                        ; implicit-def: $vgpr1
.LBB401_864:
	s_mov_b64 s[10:11], 0
.LBB401_865:
	s_and_b64 vcc, exec, s[10:11]
	s_cbranch_vccz .LBB401_883
; %bb.866:
	s_cmp_lt_i32 s14, 27
	s_cbranch_scc1 .LBB401_869
; %bb.867:
	s_cmp_gt_i32 s14, 27
	s_cbranch_scc0 .LBB401_870
; %bb.868:
	global_load_dword v1, v[2:3], off
	s_mov_b64 s[8:9], 0
	s_waitcnt vmcnt(0)
	v_cvt_f32_u32_e32 v1, v1
	s_branch .LBB401_871
.LBB401_869:
	s_mov_b64 s[8:9], -1
                                        ; implicit-def: $vgpr1
	s_branch .LBB401_874
.LBB401_870:
	s_mov_b64 s[8:9], -1
                                        ; implicit-def: $vgpr1
.LBB401_871:
	s_andn2_b64 vcc, exec, s[8:9]
	s_cbranch_vccnz .LBB401_873
; %bb.872:
	global_load_ushort v1, v[2:3], off
	s_waitcnt vmcnt(0)
	v_cvt_f32_u32_e32 v1, v1
.LBB401_873:
	s_mov_b64 s[8:9], 0
.LBB401_874:
	s_andn2_b64 vcc, exec, s[8:9]
	s_cbranch_vccnz .LBB401_882
; %bb.875:
	global_load_ubyte v4, v[2:3], off
	s_movk_i32 s8, 0x7f
	s_waitcnt vmcnt(0)
	v_cmp_lt_i16_e32 vcc, s8, v4
	s_mov_b64 s[8:9], 0
	s_and_saveexec_b64 s[10:11], vcc
	s_xor_b64 s[10:11], exec, s[10:11]
	s_cbranch_execz .LBB401_896
; %bb.876:
	s_movk_i32 s8, 0x80
	v_cmp_eq_u16_e32 vcc, s8, v4
	s_mov_b64 s[8:9], -1
	s_and_saveexec_b64 s[12:13], vcc
; %bb.877:
	s_xor_b64 s[8:9], exec, -1
; %bb.878:
	s_or_b64 exec, exec, s[12:13]
	s_and_b64 s[8:9], s[8:9], exec
	s_or_saveexec_b64 s[10:11], s[10:11]
	v_mov_b32_e32 v1, 0x7f800001
	s_xor_b64 exec, exec, s[10:11]
	s_cbranch_execnz .LBB401_897
.LBB401_879:
	s_or_b64 exec, exec, s[10:11]
	s_and_saveexec_b64 s[10:11], s[8:9]
	s_cbranch_execz .LBB401_881
.LBB401_880:
	v_lshlrev_b32_e32 v1, 24, v4
	v_and_b32_e32 v4, 0xffff, v4
	v_and_b32_e32 v5, 7, v4
	v_ffbh_u32_e32 v7, v5
	v_min_u32_e32 v7, 32, v7
	v_subrev_u32_e32 v8, 28, v7
	v_bfe_u32 v6, v4, 3, 4
	v_lshlrev_b32_e32 v4, v8, v4
	v_sub_u32_e32 v7, 29, v7
	v_and_b32_e32 v4, 7, v4
	v_cmp_eq_u32_e32 vcc, 0, v6
	v_and_b32_e32 v1, 0x80000000, v1
	s_nop 0
	v_cndmask_b32_e32 v6, v6, v7, vcc
	v_cndmask_b32_e32 v4, v5, v4, vcc
	v_mov_b32_e32 v5, 0x3b800000
	v_lshlrev_b32_e32 v4, 20, v4
	v_lshl_add_u32 v5, v6, 23, v5
	v_or3_b32 v1, v1, v5, v4
.LBB401_881:
	s_or_b64 exec, exec, s[10:11]
.LBB401_882:
	s_mov_b64 s[8:9], -1
.LBB401_883:
	s_mov_b64 s[10:11], 0
.LBB401_884:
	s_and_b64 vcc, exec, s[10:11]
	s_cbranch_vccz .LBB401_917
; %bb.885:
	s_cmp_gt_i32 s14, 22
	s_cbranch_scc0 .LBB401_895
; %bb.886:
	s_cmp_lt_i32 s14, 24
	s_cbranch_scc1 .LBB401_898
; %bb.887:
	s_cmp_gt_i32 s14, 24
	s_cbranch_scc0 .LBB401_899
; %bb.888:
	global_load_ubyte v4, v[2:3], off
	s_movk_i32 s6, 0x7f
	s_waitcnt vmcnt(0)
	v_cmp_lt_i16_e32 vcc, s6, v4
	s_mov_b64 s[6:7], 0
	s_and_saveexec_b64 s[8:9], vcc
	s_xor_b64 s[8:9], exec, s[8:9]
	s_cbranch_execz .LBB401_911
; %bb.889:
	s_movk_i32 s6, 0x80
	v_cmp_eq_u16_e32 vcc, s6, v4
	s_mov_b64 s[6:7], -1
	s_and_saveexec_b64 s[10:11], vcc
; %bb.890:
	s_xor_b64 s[6:7], exec, -1
; %bb.891:
	s_or_b64 exec, exec, s[10:11]
	s_and_b64 s[6:7], s[6:7], exec
	s_or_saveexec_b64 s[8:9], s[8:9]
	v_mov_b32_e32 v1, 0x7f800001
	s_xor_b64 exec, exec, s[8:9]
	s_cbranch_execnz .LBB401_912
.LBB401_892:
	s_or_b64 exec, exec, s[8:9]
	s_and_saveexec_b64 s[8:9], s[6:7]
	s_cbranch_execz .LBB401_894
.LBB401_893:
	v_lshlrev_b32_e32 v1, 24, v4
	v_and_b32_e32 v4, 0xffff, v4
	v_and_b32_e32 v5, 3, v4
	v_ffbh_u32_e32 v7, v5
	v_min_u32_e32 v7, 32, v7
	v_subrev_u32_e32 v8, 29, v7
	v_bfe_u32 v6, v4, 2, 5
	v_lshlrev_b32_e32 v4, v8, v4
	v_sub_u32_e32 v7, 30, v7
	v_and_b32_e32 v4, 3, v4
	v_cmp_eq_u32_e32 vcc, 0, v6
	v_and_b32_e32 v1, 0x80000000, v1
	s_nop 0
	v_cndmask_b32_e32 v6, v6, v7, vcc
	v_cndmask_b32_e32 v4, v5, v4, vcc
	v_mov_b32_e32 v5, 0x37800000
	v_lshlrev_b32_e32 v4, 21, v4
	v_lshl_add_u32 v5, v6, 23, v5
	v_or3_b32 v1, v1, v5, v4
.LBB401_894:
	s_or_b64 exec, exec, s[8:9]
	s_mov_b64 s[6:7], 0
	s_branch .LBB401_900
.LBB401_895:
	s_mov_b64 s[6:7], -1
                                        ; implicit-def: $vgpr1
	s_branch .LBB401_906
.LBB401_896:
	s_or_saveexec_b64 s[10:11], s[10:11]
	v_mov_b32_e32 v1, 0x7f800001
	s_xor_b64 exec, exec, s[10:11]
	s_cbranch_execz .LBB401_879
.LBB401_897:
	v_cmp_ne_u16_e32 vcc, 0, v4
	s_andn2_b64 s[8:9], s[8:9], exec
	s_and_b64 s[12:13], vcc, exec
	v_mov_b32_e32 v1, 0
	s_or_b64 s[8:9], s[8:9], s[12:13]
	s_or_b64 exec, exec, s[10:11]
	s_and_saveexec_b64 s[10:11], s[8:9]
	s_cbranch_execnz .LBB401_880
	s_branch .LBB401_881
.LBB401_898:
	s_mov_b64 s[6:7], -1
                                        ; implicit-def: $vgpr1
	s_branch .LBB401_903
.LBB401_899:
	s_mov_b64 s[6:7], -1
                                        ; implicit-def: $vgpr1
.LBB401_900:
	s_and_b64 vcc, exec, s[6:7]
	s_cbranch_vccz .LBB401_902
; %bb.901:
	global_load_ubyte v1, v[2:3], off
	s_mov_b32 s6, 0x7f800000
	s_waitcnt vmcnt(0)
	v_lshlrev_b32_e32 v1, 24, v1
	v_and_b32_e32 v4, 0x7f000000, v1
	v_ffbh_u32_e32 v5, v4
	v_min_u32_e32 v5, 32, v5
	v_sub_u32_e64 v5, v5, 4 clamp
	v_lshlrev_b32_e32 v7, v5, v4
	v_lshlrev_b32_e32 v5, 23, v5
	v_lshrrev_b32_e32 v7, 4, v7
	v_add_u32_e32 v6, 0x1000000, v4
	v_sub_u32_e32 v5, v7, v5
	v_ashrrev_i32_e32 v6, 8, v6
	v_add_u32_e32 v5, 0x3c000000, v5
	v_and_or_b32 v5, v6, s6, v5
	v_cmp_ne_u32_e32 vcc, 0, v4
	s_brev_b32 s6, 1
	s_nop 0
	v_cndmask_b32_e32 v4, 0, v5, vcc
	v_and_or_b32 v1, v1, s6, v4
.LBB401_902:
	s_mov_b64 s[6:7], 0
.LBB401_903:
	s_andn2_b64 vcc, exec, s[6:7]
	s_cbranch_vccnz .LBB401_905
; %bb.904:
	global_load_ubyte v1, v[2:3], off
	s_movk_i32 s6, 0x7f00
	s_brev_b32 s7, 16
	s_waitcnt vmcnt(0)
	v_lshlrev_b16_e32 v4, 8, v1
	v_lshlrev_b32_e32 v1, 25, v1
	v_lshrrev_b32_e32 v5, 4, v1
	v_and_or_b32 v6, v4, s6, 0.5
	v_or_b32_e32 v5, 0x70000000, v5
	v_add_f32_e32 v6, -0.5, v6
	v_mul_f32_e32 v5, 0x7800000, v5
	v_cmp_gt_u32_e32 vcc, s7, v1
	v_bfe_i32 v4, v4, 0, 16
	s_brev_b32 s6, 1
	v_cndmask_b32_e32 v1, v5, v6, vcc
	v_and_or_b32 v1, v4, s6, v1
.LBB401_905:
	s_mov_b64 s[6:7], 0
	s_mov_b64 s[8:9], -1
.LBB401_906:
	s_andn2_b64 vcc, exec, s[6:7]
	s_mov_b64 s[6:7], 0
	s_cbranch_vccnz .LBB401_917
; %bb.907:
	s_cmp_gt_i32 s14, 14
	s_cbranch_scc0 .LBB401_910
; %bb.908:
	s_cmp_eq_u32 s14, 15
	s_cbranch_scc0 .LBB401_913
; %bb.909:
	global_load_ushort v1, v[2:3], off
	s_mov_b64 s[4:5], 0
	s_mov_b64 s[8:9], -1
	s_waitcnt vmcnt(0)
	v_lshlrev_b32_e32 v1, 16, v1
	s_branch .LBB401_914
.LBB401_910:
	s_mov_b64 s[10:11], -1
                                        ; implicit-def: $vgpr1
	s_branch .LBB401_915
.LBB401_911:
	s_or_saveexec_b64 s[8:9], s[8:9]
	v_mov_b32_e32 v1, 0x7f800001
	s_xor_b64 exec, exec, s[8:9]
	s_cbranch_execz .LBB401_892
.LBB401_912:
	v_cmp_ne_u16_e32 vcc, 0, v4
	s_andn2_b64 s[6:7], s[6:7], exec
	s_and_b64 s[10:11], vcc, exec
	v_mov_b32_e32 v1, 0
	s_or_b64 s[6:7], s[6:7], s[10:11]
	s_or_b64 exec, exec, s[8:9]
	s_and_saveexec_b64 s[8:9], s[6:7]
	s_cbranch_execnz .LBB401_893
	s_branch .LBB401_894
.LBB401_913:
	s_mov_b64 s[4:5], -1
                                        ; implicit-def: $vgpr1
.LBB401_914:
	s_mov_b64 s[10:11], 0
.LBB401_915:
	s_and_b64 vcc, exec, s[10:11]
	s_cbranch_vccz .LBB401_917
; %bb.916:
	s_cmp_lg_u32 s14, 11
	s_cselect_b64 s[10:11], -1, 0
	s_andn2_b64 s[4:5], s[4:5], exec
	s_and_b64 s[10:11], s[10:11], exec
	s_mov_b64 s[6:7], -1
	s_or_b64 s[4:5], s[4:5], s[10:11]
.LBB401_917:
	s_mov_b64 s[10:11], 0
.LBB401_918:
	s_andn2_b64 s[12:13], s[2:3], exec
	s_and_b64 s[4:5], s[4:5], exec
	s_and_b64 s[8:9], s[8:9], exec
	s_and_b64 s[10:11], s[10:11], exec
	s_and_b64 s[6:7], s[6:7], exec
	s_or_b64 s[12:13], s[12:13], s[4:5]
.LBB401_919:
	s_or_b64 exec, exec, s[72:73]
	s_and_b64 s[4:5], s[6:7], exec
	s_andn2_b64 s[2:3], s[2:3], exec
	s_and_b64 s[6:7], s[12:13], exec
	s_and_b64 s[8:9], s[8:9], exec
	;; [unrolled: 1-line block ×3, first 2 shown]
	s_or_b64 s[2:3], s[2:3], s[6:7]
.LBB401_920:
	s_or_b64 exec, exec, s[68:69]
	s_andn2_b64 s[6:7], s[64:65], exec
	s_and_b64 s[12:13], s[70:71], exec
	s_or_b64 s[64:65], s[6:7], s[12:13]
	s_and_b64 s[6:7], s[10:11], exec
	s_andn2_b64 s[10:11], s[62:63], exec
	s_and_b64 s[2:3], s[2:3], exec
	s_and_b64 s[8:9], s[8:9], exec
	;; [unrolled: 1-line block ×3, first 2 shown]
	s_or_b64 s[62:63], s[10:11], s[2:3]
.LBB401_921:
	s_or_b64 exec, exec, s[66:67]
	s_andn2_b64 s[2:3], s[56:57], exec
	s_and_b64 s[10:11], s[64:65], exec
	s_or_b64 s[56:57], s[2:3], s[10:11]
	s_and_b64 s[2:3], s[8:9], exec
	s_and_b64 s[8:9], s[6:7], exec
	;; [unrolled: 1-line block ×3, first 2 shown]
	s_andn2_b64 s[4:5], s[58:59], exec
	s_and_b64 s[6:7], s[62:63], exec
	s_or_b64 s[58:59], s[4:5], s[6:7]
	s_or_b64 exec, exec, s[60:61]
	s_mov_b64 s[4:5], 0
	s_and_saveexec_b64 s[6:7], s[58:59]
	s_cbranch_execz .LBB401_276
.LBB401_922:
	s_mov_b64 s[4:5], exec
	s_andn2_b64 s[64:65], s[64:65], exec
	s_trap 2
	s_or_b64 exec, exec, s[6:7]
	s_and_saveexec_b64 s[6:7], s[64:65]
	s_xor_b64 s[6:7], exec, s[6:7]
	s_cbranch_execnz .LBB401_277
.LBB401_923:
	s_or_b64 exec, exec, s[6:7]
	s_and_saveexec_b64 s[6:7], s[8:9]
	s_cbranch_execz .LBB401_969
.LBB401_924:
	s_sext_i32_i16 s8, s75
	s_cmp_lt_i32 s8, 5
	s_cbranch_scc1 .LBB401_929
; %bb.925:
	s_cmp_lt_i32 s8, 8
	s_cbranch_scc1 .LBB401_930
; %bb.926:
	;; [unrolled: 3-line block ×3, first 2 shown]
	s_cmp_gt_i32 s8, 9
	s_cbranch_scc0 .LBB401_932
; %bb.928:
	global_load_dwordx2 v[4:5], v[2:3], off
	s_mov_b64 s[8:9], 0
	s_waitcnt vmcnt(0)
	v_cvt_f32_f64_e32 v1, v[4:5]
	s_branch .LBB401_933
.LBB401_929:
                                        ; implicit-def: $vgpr1
	s_branch .LBB401_950
.LBB401_930:
                                        ; implicit-def: $vgpr1
	s_branch .LBB401_939
.LBB401_931:
	s_mov_b64 s[8:9], -1
                                        ; implicit-def: $vgpr1
	s_branch .LBB401_936
.LBB401_932:
	s_mov_b64 s[8:9], -1
                                        ; implicit-def: $vgpr1
.LBB401_933:
	s_andn2_b64 vcc, exec, s[8:9]
	s_cbranch_vccnz .LBB401_935
; %bb.934:
	global_load_dword v1, v[2:3], off
.LBB401_935:
	s_mov_b64 s[8:9], 0
.LBB401_936:
	s_andn2_b64 vcc, exec, s[8:9]
	s_cbranch_vccnz .LBB401_938
; %bb.937:
	global_load_dword v1, v[2:3], off
	s_waitcnt vmcnt(0)
	v_cvt_f32_f16_e32 v1, v1
.LBB401_938:
	s_cbranch_execnz .LBB401_949
.LBB401_939:
	s_sext_i32_i16 s8, s75
	s_cmp_lt_i32 s8, 6
	s_cbranch_scc1 .LBB401_942
; %bb.940:
	s_cmp_gt_i32 s8, 6
	s_cbranch_scc0 .LBB401_943
; %bb.941:
	global_load_dwordx2 v[4:5], v[2:3], off
	s_mov_b64 s[8:9], 0
	s_waitcnt vmcnt(0)
	v_cvt_f32_f64_e32 v1, v[4:5]
	s_branch .LBB401_944
.LBB401_942:
	s_mov_b64 s[8:9], -1
                                        ; implicit-def: $vgpr1
	s_branch .LBB401_947
.LBB401_943:
	s_mov_b64 s[8:9], -1
                                        ; implicit-def: $vgpr1
.LBB401_944:
	s_andn2_b64 vcc, exec, s[8:9]
	s_cbranch_vccnz .LBB401_946
; %bb.945:
	global_load_dword v1, v[2:3], off
.LBB401_946:
	s_mov_b64 s[8:9], 0
.LBB401_947:
	s_andn2_b64 vcc, exec, s[8:9]
	s_cbranch_vccnz .LBB401_949
; %bb.948:
	global_load_ushort v1, v[2:3], off
	s_waitcnt vmcnt(0)
	v_cvt_f32_f16_e32 v1, v1
.LBB401_949:
	s_cbranch_execnz .LBB401_968
.LBB401_950:
	s_sext_i32_i16 s8, s75
	s_cmp_lt_i32 s8, 2
	s_cbranch_scc1 .LBB401_954
; %bb.951:
	s_cmp_lt_i32 s8, 3
	s_cbranch_scc1 .LBB401_955
; %bb.952:
	s_cmp_gt_i32 s8, 3
	s_cbranch_scc0 .LBB401_956
; %bb.953:
	global_load_dwordx2 v[4:5], v[2:3], off
	s_mov_b64 s[8:9], 0
	s_waitcnt vmcnt(0)
	v_xor_b32_e32 v6, v4, v5
	v_ffbh_i32_e32 v1, v5
	v_ashrrev_i32_e32 v6, 31, v6
	v_add_u32_e32 v1, -1, v1
	v_add_u32_e32 v6, 32, v6
	v_min_u32_e32 v1, v1, v6
	v_lshlrev_b64 v[4:5], v1, v[4:5]
	v_min_u32_e32 v4, 1, v4
	v_or_b32_e32 v4, v5, v4
	v_cvt_f32_i32_e32 v4, v4
	v_sub_u32_e32 v1, 32, v1
	v_ldexp_f32 v1, v4, v1
	s_branch .LBB401_957
.LBB401_954:
                                        ; implicit-def: $vgpr1
	s_branch .LBB401_963
.LBB401_955:
	s_mov_b64 s[8:9], -1
                                        ; implicit-def: $vgpr1
	s_branch .LBB401_960
.LBB401_956:
	s_mov_b64 s[8:9], -1
                                        ; implicit-def: $vgpr1
.LBB401_957:
	s_andn2_b64 vcc, exec, s[8:9]
	s_cbranch_vccnz .LBB401_959
; %bb.958:
	global_load_dword v1, v[2:3], off
	s_waitcnt vmcnt(0)
	v_cvt_f32_i32_e32 v1, v1
.LBB401_959:
	s_mov_b64 s[8:9], 0
.LBB401_960:
	s_andn2_b64 vcc, exec, s[8:9]
	s_cbranch_vccnz .LBB401_962
; %bb.961:
	global_load_sshort v1, v[2:3], off
	s_waitcnt vmcnt(0)
	v_cvt_f32_i32_e32 v1, v1
.LBB401_962:
	s_cbranch_execnz .LBB401_968
.LBB401_963:
	s_sext_i32_i16 s8, s75
	s_cmp_gt_i32 s8, 0
	s_cbranch_scc0 .LBB401_965
; %bb.964:
	global_load_sbyte v1, v[2:3], off
	s_mov_b64 s[8:9], 0
	s_waitcnt vmcnt(0)
	v_cvt_f32_i32_e32 v1, v1
	s_branch .LBB401_966
.LBB401_965:
	s_mov_b64 s[8:9], -1
                                        ; implicit-def: $vgpr1
.LBB401_966:
	s_andn2_b64 vcc, exec, s[8:9]
	s_cbranch_vccnz .LBB401_968
; %bb.967:
	global_load_ubyte v1, v[2:3], off
	s_waitcnt vmcnt(0)
	v_cvt_f32_ubyte0_e32 v1, v1
.LBB401_968:
	s_or_b64 s[2:3], s[2:3], exec
.LBB401_969:
	s_or_b64 exec, exec, s[6:7]
	s_mov_b64 s[10:11], 0
	s_mov_b64 s[8:9], 0
                                        ; implicit-def: $sgpr16
                                        ; implicit-def: $vgpr2_vgpr3
                                        ; implicit-def: $vgpr4
	s_and_saveexec_b64 s[6:7], s[2:3]
	s_cbranch_execz .LBB401_987
; %bb.970:
	v_max_f32_e64 v2, s46, s46
	s_waitcnt vmcnt(0)
	v_max_f32_e32 v3, v1, v1
	v_max_f32_e32 v2, v3, v2
	v_cmp_u_f32_e32 vcc, v1, v1
	s_and_b32 s16, s47, 0xff
	s_cmp_lt_i32 s16, 11
	v_cndmask_b32_e32 v4, v2, v1, vcc
	v_mov_b32_e32 v1, 0
	v_lshl_add_u64 v[2:3], s[20:21], 0, v[0:1]
	s_cbranch_scc1 .LBB401_990
; %bb.971:
	s_and_b32 s17, 0xffff, s16
	s_mov_b64 s[10:11], -1
	s_cmp_gt_i32 s17, 25
	s_mov_b64 s[2:3], s[56:57]
	s_cbranch_scc0 .LBB401_1008
; %bb.972:
	s_mov_b64 s[8:9], -1
	s_cmp_gt_i32 s17, 28
	s_mov_b64 s[2:3], s[56:57]
	s_cbranch_scc0 .LBB401_992
; %bb.973:
	s_cmp_gt_i32 s17, 43
	s_mov_b64 s[2:3], s[56:57]
	s_cbranch_scc0 .LBB401_984
; %bb.974:
	s_cmp_gt_i32 s17, 45
	s_mov_b64 s[2:3], s[56:57]
	s_cbranch_scc0 .LBB401_978
; %bb.975:
	s_cmp_eq_u32 s17, 46
	s_mov_b64 s[2:3], -1
	s_cbranch_scc0 .LBB401_977
; %bb.976:
	v_bfe_u32 v0, v4, 16, 1
	s_movk_i32 s2, 0x7fff
	v_add3_u32 v0, v4, v0, s2
	v_cmp_o_f32_e32 vcc, v4, v4
	v_mov_b32_e32 v1, 0x7fc0
	s_mov_b64 s[2:3], 0
	v_cndmask_b32_sdwa v0, v1, v0, vcc dst_sel:DWORD dst_unused:UNUSED_PAD src0_sel:DWORD src1_sel:WORD_1
	global_store_dword v[2:3], v0, off
.LBB401_977:
	s_mov_b64 s[8:9], 0
.LBB401_978:
	s_and_b64 vcc, exec, s[8:9]
	s_cbranch_vccz .LBB401_983
; %bb.979:
	s_cmp_eq_u32 s17, 44
	s_mov_b64 s[2:3], -1
	s_cbranch_scc0 .LBB401_983
; %bb.980:
	v_bfe_u32 v0, v4, 23, 8
	s_movk_i32 s2, 0xff
	v_cmp_ne_u32_e32 vcc, s2, v0
	v_mov_b32_e32 v1, 0xff
	s_and_saveexec_b64 s[8:9], vcc
; %bb.981:
	s_mov_b32 s2, 0x3fffff
	v_and_b32_e32 v5, 0x400000, v4
	v_and_or_b32 v0, v4, s2, v0
	v_cmp_ne_u32_e32 vcc, 0, v5
	v_cmp_ne_u32_e64 s[2:3], 0, v0
	s_and_b64 s[2:3], vcc, s[2:3]
	v_lshrrev_b32_e32 v1, 23, v4
	v_cndmask_b32_e64 v0, 0, 1, s[2:3]
	v_add_u32_e32 v1, v1, v0
; %bb.982:
	s_or_b64 exec, exec, s[8:9]
	s_mov_b64 s[2:3], 0
	global_store_byte v[2:3], v1, off
.LBB401_983:
	s_mov_b64 s[8:9], 0
.LBB401_984:
	s_and_b64 vcc, exec, s[8:9]
	s_cbranch_vccz .LBB401_991
; %bb.985:
	s_cmp_eq_u32 s17, 29
	s_mov_b64 s[2:3], -1
	s_cbranch_scc0 .LBB401_991
; %bb.986:
	v_trunc_f32_e32 v0, v4
	v_mul_f32_e32 v1, 0x2f800000, v0
	v_floor_f32_e32 v5, v1
	v_fmamk_f32 v0, v5, 0xcf800000, v0
	v_cvt_u32_f32_e32 v1, v5
	v_cvt_u32_f32_e32 v0, v0
	s_mov_b64 s[2:3], 0
	s_mov_b64 s[8:9], 0
	global_store_dwordx2 v[2:3], v[0:1], off
	s_branch .LBB401_992
.LBB401_987:
	s_or_b64 exec, exec, s[6:7]
	s_and_saveexec_b64 s[2:3], s[56:57]
	s_cbranch_execnz .LBB401_1050
.LBB401_988:
	s_or_b64 exec, exec, s[2:3]
	s_and_saveexec_b64 s[2:3], s[10:11]
	s_xor_b64 s[2:3], exec, s[2:3]
	s_cbranch_execz .LBB401_1051
.LBB401_989:
	v_cmp_neq_f32_e32 vcc, 0, v4
	s_nop 1
	v_cndmask_b32_e64 v0, 0, 1, vcc
	global_store_byte v[2:3], v0, off
	s_or_b64 exec, exec, s[2:3]
	s_and_saveexec_b64 s[2:3], s[8:9]
	s_xor_b64 s[2:3], exec, s[2:3]
	s_cbranch_execz .LBB401_1089
	s_branch .LBB401_1052
.LBB401_990:
	s_mov_b64 s[8:9], -1
	s_mov_b64 s[2:3], s[56:57]
	s_branch .LBB401_1049
.LBB401_991:
	s_mov_b64 s[8:9], 0
.LBB401_992:
	s_and_b64 vcc, exec, s[8:9]
	s_cbranch_vccz .LBB401_1007
; %bb.993:
	s_cmp_lt_i32 s17, 27
	s_mov_b64 s[8:9], -1
	s_cbranch_scc1 .LBB401_999
; %bb.994:
	s_cmp_gt_i32 s17, 27
	s_cbranch_scc0 .LBB401_996
; %bb.995:
	v_cvt_u32_f32_e32 v0, v4
	s_mov_b64 s[8:9], 0
	global_store_dword v[2:3], v0, off
.LBB401_996:
	s_andn2_b64 vcc, exec, s[8:9]
	s_cbranch_vccnz .LBB401_998
; %bb.997:
	v_cvt_u32_f32_e32 v0, v4
	global_store_short v[2:3], v0, off
.LBB401_998:
	s_mov_b64 s[8:9], 0
.LBB401_999:
	s_andn2_b64 vcc, exec, s[8:9]
	s_cbranch_vccnz .LBB401_1007
; %bb.1000:
	v_and_b32_e32 v0, 0x7fffffff, v4
	s_mov_b32 s8, 0x43800000
	v_cmp_gt_u32_e32 vcc, s8, v0
	v_mov_b32_e32 v1, 0x80
	s_and_saveexec_b64 s[8:9], vcc
	s_cbranch_execz .LBB401_1006
; %bb.1001:
	s_mov_b32 s10, 0x3bffffff
	v_cmp_lt_u32_e32 vcc, s10, v0
	s_mov_b64 s[10:11], 0
                                        ; implicit-def: $vgpr0
	s_and_saveexec_b64 s[12:13], vcc
	s_xor_b64 s[12:13], exec, s[12:13]
	s_cbranch_execz .LBB401_1160
; %bb.1002:
	v_bfe_u32 v0, v4, 20, 1
	s_mov_b32 s14, 0x487ffff
	v_add3_u32 v0, v4, v0, s14
	s_mov_b64 s[10:11], exec
	v_lshrrev_b32_e32 v0, 20, v0
	s_andn2_saveexec_b64 s[12:13], s[12:13]
	s_cbranch_execnz .LBB401_1161
.LBB401_1003:
	s_or_b64 exec, exec, s[12:13]
	v_mov_b32_e32 v1, 0
	s_and_saveexec_b64 s[12:13], s[10:11]
.LBB401_1004:
	v_lshrrev_b32_e32 v1, 24, v4
	s_movk_i32 s10, 0x80
	v_and_or_b32 v1, v1, s10, v0
.LBB401_1005:
	s_or_b64 exec, exec, s[12:13]
.LBB401_1006:
	s_or_b64 exec, exec, s[8:9]
	global_store_byte v[2:3], v1, off
.LBB401_1007:
	s_mov_b64 s[10:11], 0
.LBB401_1008:
	s_mov_b64 s[8:9], 0
	s_and_b64 vcc, exec, s[10:11]
	s_cbranch_vccz .LBB401_1048
; %bb.1009:
	s_cmp_gt_i32 s17, 22
	s_mov_b64 s[10:11], -1
	s_cbranch_scc0 .LBB401_1041
; %bb.1010:
	s_cmp_lt_i32 s17, 24
	s_cbranch_scc1 .LBB401_1030
; %bb.1011:
	s_cmp_gt_i32 s17, 24
	s_cbranch_scc0 .LBB401_1019
; %bb.1012:
	v_and_b32_e32 v0, 0x7fffffff, v4
	s_mov_b32 s10, 0x47800000
	v_cmp_gt_u32_e32 vcc, s10, v0
	v_mov_b32_e32 v1, 0x80
	s_and_saveexec_b64 s[10:11], vcc
	s_cbranch_execz .LBB401_1018
; %bb.1013:
	s_mov_b32 s12, 0x37ffffff
	v_cmp_lt_u32_e32 vcc, s12, v0
	s_mov_b64 s[12:13], 0
                                        ; implicit-def: $vgpr0
	s_and_saveexec_b64 s[14:15], vcc
	s_xor_b64 s[14:15], exec, s[14:15]
	s_cbranch_execz .LBB401_1285
; %bb.1014:
	v_bfe_u32 v0, v4, 21, 1
	s_mov_b32 s18, 0x88fffff
	v_add3_u32 v0, v4, v0, s18
	s_mov_b64 s[12:13], exec
	v_lshrrev_b32_e32 v0, 21, v0
	s_andn2_saveexec_b64 s[14:15], s[14:15]
	s_cbranch_execnz .LBB401_1286
.LBB401_1015:
	s_or_b64 exec, exec, s[14:15]
	v_mov_b32_e32 v1, 0
	s_and_saveexec_b64 s[14:15], s[12:13]
.LBB401_1016:
	v_lshrrev_b32_e32 v1, 24, v4
	s_movk_i32 s12, 0x80
	v_and_or_b32 v1, v1, s12, v0
.LBB401_1017:
	s_or_b64 exec, exec, s[14:15]
.LBB401_1018:
	s_or_b64 exec, exec, s[10:11]
	s_mov_b64 s[10:11], 0
	global_store_byte v[2:3], v1, off
.LBB401_1019:
	s_and_b64 vcc, exec, s[10:11]
	s_cbranch_vccz .LBB401_1029
; %bb.1020:
	v_and_b32_e32 v1, 0x7fffffff, v4
	s_mov_b32 s10, 0x43f00000
	v_cmp_gt_u32_e32 vcc, s10, v1
                                        ; implicit-def: $vgpr0
	s_and_saveexec_b64 s[10:11], vcc
	s_xor_b64 s[10:11], exec, s[10:11]
	s_cbranch_execz .LBB401_1026
; %bb.1021:
	s_mov_b32 s12, 0x3c7fffff
	v_cmp_lt_u32_e32 vcc, s12, v1
                                        ; implicit-def: $vgpr0
	s_and_saveexec_b64 s[12:13], vcc
	s_xor_b64 s[12:13], exec, s[12:13]
; %bb.1022:
	v_bfe_u32 v0, v4, 20, 1
	s_mov_b32 s14, 0x407ffff
	v_add3_u32 v0, v4, v0, s14
	v_lshrrev_b32_e32 v1, 20, v0
	v_and_b32_e32 v0, 0xff00000, v0
	s_mov_b32 s14, 0x7f00000
	v_mov_b32_e32 v5, 0x7e
	v_cmp_ne_u32_e32 vcc, s14, v0
	s_nop 1
	v_cndmask_b32_e32 v0, v5, v1, vcc
; %bb.1023:
	s_andn2_saveexec_b64 s[12:13], s[12:13]
; %bb.1024:
	s_mov_b32 s14, 0x46800000
	v_add_f32_e64 v0, |v4|, s14
; %bb.1025:
	s_or_b64 exec, exec, s[12:13]
                                        ; implicit-def: $vgpr1
.LBB401_1026:
	s_andn2_saveexec_b64 s[10:11], s[10:11]
; %bb.1027:
	s_mov_b32 s12, 0x7f800000
	v_mov_b32_e32 v0, 0x7e
	v_mov_b32_e32 v5, 0x7f
	v_cmp_lt_u32_e32 vcc, s12, v1
	s_nop 1
	v_cndmask_b32_e32 v0, v0, v5, vcc
; %bb.1028:
	s_or_b64 exec, exec, s[10:11]
	v_lshrrev_b32_e32 v1, 24, v4
	s_movk_i32 s10, 0x80
	v_and_or_b32 v0, v1, s10, v0
	global_store_byte v[2:3], v0, off
.LBB401_1029:
	s_mov_b64 s[10:11], 0
.LBB401_1030:
	s_andn2_b64 vcc, exec, s[10:11]
	s_cbranch_vccnz .LBB401_1040
; %bb.1031:
	v_and_b32_e32 v1, 0x7fffffff, v4
	s_mov_b32 s10, 0x47800000
	v_cmp_gt_u32_e32 vcc, s10, v1
                                        ; implicit-def: $vgpr0
	s_and_saveexec_b64 s[10:11], vcc
	s_xor_b64 s[10:11], exec, s[10:11]
	s_cbranch_execz .LBB401_1037
; %bb.1032:
	s_mov_b32 s12, 0x387fffff
	v_cmp_lt_u32_e32 vcc, s12, v1
                                        ; implicit-def: $vgpr0
	s_and_saveexec_b64 s[12:13], vcc
	s_xor_b64 s[12:13], exec, s[12:13]
; %bb.1033:
	v_bfe_u32 v0, v4, 21, 1
	s_mov_b32 s14, 0x80fffff
	v_add3_u32 v0, v4, v0, s14
	v_lshrrev_b32_e32 v0, 21, v0
; %bb.1034:
	s_andn2_saveexec_b64 s[12:13], s[12:13]
; %bb.1035:
	s_mov_b32 s14, 0x43000000
	v_add_f32_e64 v0, |v4|, s14
; %bb.1036:
	s_or_b64 exec, exec, s[12:13]
                                        ; implicit-def: $vgpr1
.LBB401_1037:
	s_andn2_saveexec_b64 s[10:11], s[10:11]
; %bb.1038:
	s_mov_b32 s12, 0x7f800000
	v_mov_b32_e32 v0, 0x7c
	v_mov_b32_e32 v5, 0x7f
	v_cmp_lt_u32_e32 vcc, s12, v1
	s_nop 1
	v_cndmask_b32_e32 v0, v0, v5, vcc
; %bb.1039:
	s_or_b64 exec, exec, s[10:11]
	v_lshrrev_b32_e32 v1, 24, v4
	s_movk_i32 s10, 0x80
	v_and_or_b32 v0, v1, s10, v0
	global_store_byte v[2:3], v0, off
.LBB401_1040:
	s_mov_b64 s[10:11], 0
.LBB401_1041:
	s_andn2_b64 vcc, exec, s[10:11]
	s_mov_b64 s[10:11], 0
	s_cbranch_vccnz .LBB401_1049
; %bb.1042:
	s_cmp_gt_i32 s17, 14
	s_mov_b64 s[12:13], -1
	s_cbranch_scc0 .LBB401_1046
; %bb.1043:
	s_cmp_eq_u32 s17, 15
	s_mov_b64 s[2:3], -1
	s_cbranch_scc0 .LBB401_1045
; %bb.1044:
	v_bfe_u32 v0, v4, 16, 1
	s_movk_i32 s2, 0x7fff
	v_add3_u32 v0, v4, v0, s2
	v_cmp_o_f32_e32 vcc, v4, v4
	v_mov_b32_e32 v1, 0x7fc0
	s_mov_b64 s[2:3], 0
	v_cndmask_b32_sdwa v0, v1, v0, vcc dst_sel:DWORD dst_unused:UNUSED_PAD src0_sel:DWORD src1_sel:WORD_1
	global_store_short v[2:3], v0, off
.LBB401_1045:
	s_mov_b64 s[12:13], 0
.LBB401_1046:
	s_and_b64 vcc, exec, s[12:13]
	s_cbranch_vccz .LBB401_1049
; %bb.1047:
	s_cmp_lg_u32 s17, 11
	s_cselect_b64 s[12:13], -1, 0
	s_andn2_b64 s[2:3], s[2:3], exec
	s_and_b64 s[12:13], s[12:13], exec
	s_mov_b64 s[10:11], -1
	s_or_b64 s[2:3], s[2:3], s[12:13]
	s_branch .LBB401_1049
.LBB401_1048:
	s_mov_b64 s[10:11], 0
.LBB401_1049:
	s_andn2_b64 s[12:13], s[56:57], exec
	s_and_b64 s[2:3], s[2:3], exec
	s_and_b64 s[8:9], s[8:9], exec
	s_and_b64 s[10:11], s[10:11], exec
	s_or_b64 s[56:57], s[12:13], s[2:3]
	s_or_b64 exec, exec, s[6:7]
	s_and_saveexec_b64 s[2:3], s[56:57]
	s_cbranch_execz .LBB401_988
.LBB401_1050:
	s_or_b64 s[4:5], s[4:5], exec
	s_andn2_b64 s[10:11], s[10:11], exec
	s_trap 2
	s_or_b64 exec, exec, s[2:3]
	s_and_saveexec_b64 s[2:3], s[10:11]
	s_xor_b64 s[2:3], exec, s[2:3]
	s_cbranch_execnz .LBB401_989
.LBB401_1051:
	s_or_b64 exec, exec, s[2:3]
	s_and_saveexec_b64 s[2:3], s[8:9]
	s_xor_b64 s[2:3], exec, s[2:3]
	s_cbranch_execz .LBB401_1089
.LBB401_1052:
	s_sext_i32_i16 s8, s16
	s_cmp_lt_i32 s8, 5
	s_mov_b64 s[6:7], -1
	s_cbranch_scc1 .LBB401_1073
; %bb.1053:
	s_cmp_lt_i32 s8, 8
	s_cbranch_scc1 .LBB401_1063
; %bb.1054:
	s_cmp_lt_i32 s8, 9
	s_cbranch_scc1 .LBB401_1060
; %bb.1055:
	s_cmp_gt_i32 s8, 9
	s_cbranch_scc0 .LBB401_1057
; %bb.1056:
	v_mov_b32_e32 v8, 0
	v_cvt_f64_f32_e32 v[6:7], v4
	v_mov_b32_e32 v9, v8
	s_mov_b64 s[6:7], 0
	global_store_dwordx4 v[2:3], v[6:9], off
.LBB401_1057:
	s_andn2_b64 vcc, exec, s[6:7]
	s_cbranch_vccnz .LBB401_1059
; %bb.1058:
	v_mov_b32_e32 v5, 0
	global_store_dwordx2 v[2:3], v[4:5], off
.LBB401_1059:
	s_mov_b64 s[6:7], 0
.LBB401_1060:
	s_andn2_b64 vcc, exec, s[6:7]
	s_cbranch_vccnz .LBB401_1062
; %bb.1061:
	v_cvt_f16_f32_e32 v0, v4
	global_store_dword v[2:3], v0, off
.LBB401_1062:
	s_mov_b64 s[6:7], 0
.LBB401_1063:
	s_andn2_b64 vcc, exec, s[6:7]
	s_cbranch_vccnz .LBB401_1072
; %bb.1064:
	s_sext_i32_i16 s8, s16
	s_cmp_lt_i32 s8, 6
	s_mov_b64 s[6:7], -1
	s_cbranch_scc1 .LBB401_1070
; %bb.1065:
	s_cmp_gt_i32 s8, 6
	s_cbranch_scc0 .LBB401_1067
; %bb.1066:
	s_waitcnt vmcnt(0)
	v_cvt_f64_f32_e32 v[0:1], v4
	s_mov_b64 s[6:7], 0
	global_store_dwordx2 v[2:3], v[0:1], off
.LBB401_1067:
	s_andn2_b64 vcc, exec, s[6:7]
	s_cbranch_vccnz .LBB401_1069
; %bb.1068:
	global_store_dword v[2:3], v4, off
.LBB401_1069:
	s_mov_b64 s[6:7], 0
.LBB401_1070:
	s_andn2_b64 vcc, exec, s[6:7]
	s_cbranch_vccnz .LBB401_1072
; %bb.1071:
	v_cvt_f16_f32_e32 v0, v4
	global_store_short v[2:3], v0, off
.LBB401_1072:
	s_mov_b64 s[6:7], 0
.LBB401_1073:
	s_andn2_b64 vcc, exec, s[6:7]
	s_cbranch_vccnz .LBB401_1089
; %bb.1074:
	s_sext_i32_i16 s8, s16
	s_cmp_lt_i32 s8, 2
	s_mov_b64 s[6:7], -1
	s_cbranch_scc1 .LBB401_1084
; %bb.1075:
	s_cmp_lt_i32 s8, 3
	s_cbranch_scc1 .LBB401_1081
; %bb.1076:
	s_cmp_gt_i32 s8, 3
	s_cbranch_scc0 .LBB401_1078
; %bb.1077:
	v_trunc_f32_e32 v0, v4
	s_mov_b32 s6, 0x2f800000
	s_waitcnt vmcnt(0)
	v_mul_f32_e64 v1, |v0|, s6
	v_floor_f32_e32 v1, v1
	s_mov_b32 s6, 0xcf800000
	v_cvt_u32_f32_e32 v5, v1
	v_fma_f32 v1, v1, s6, |v0|
	v_cvt_u32_f32_e32 v1, v1
	v_ashrrev_i32_e32 v6, 31, v0
	v_xor_b32_e32 v5, v5, v6
	s_mov_b64 s[6:7], 0
	v_xor_b32_e32 v0, v1, v6
	v_sub_co_u32_e32 v0, vcc, v0, v6
	s_nop 1
	v_subb_co_u32_e32 v1, vcc, v5, v6, vcc
	global_store_dwordx2 v[2:3], v[0:1], off
.LBB401_1078:
	s_andn2_b64 vcc, exec, s[6:7]
	s_cbranch_vccnz .LBB401_1080
; %bb.1079:
	v_cvt_i32_f32_e32 v0, v4
	global_store_dword v[2:3], v0, off
.LBB401_1080:
	s_mov_b64 s[6:7], 0
.LBB401_1081:
	s_andn2_b64 vcc, exec, s[6:7]
	s_cbranch_vccnz .LBB401_1083
; %bb.1082:
	v_cvt_i32_f32_e32 v0, v4
	global_store_short v[2:3], v0, off
.LBB401_1083:
	s_mov_b64 s[6:7], 0
.LBB401_1084:
	s_andn2_b64 vcc, exec, s[6:7]
	s_cbranch_vccnz .LBB401_1089
; %bb.1085:
	s_sext_i32_i16 s6, s16
	s_cmp_gt_i32 s6, 0
	s_mov_b64 s[6:7], -1
	s_cbranch_scc0 .LBB401_1087
; %bb.1086:
	v_cvt_i32_f32_e32 v0, v4
	s_mov_b64 s[6:7], 0
	global_store_byte v[2:3], v0, off
.LBB401_1087:
	s_andn2_b64 vcc, exec, s[6:7]
	s_cbranch_vccnz .LBB401_1089
; %bb.1088:
	v_trunc_f32_e32 v0, v4
	s_mov_b32 s6, 0x2f800000
	s_waitcnt vmcnt(0)
	v_mul_f32_e64 v1, |v0|, s6
	v_floor_f32_e32 v1, v1
	s_mov_b32 s6, 0xcf800000
	v_fma_f32 v1, v1, s6, |v0|
	v_cvt_u32_f32_e32 v1, v1
	v_ashrrev_i32_e32 v0, 31, v0
	v_xor_b32_e32 v1, v1, v0
	v_sub_u32_e32 v0, v1, v0
	global_store_byte v[2:3], v0, off
.LBB401_1089:
	s_or_b64 exec, exec, s[2:3]
	s_and_b64 s[24:25], s[4:5], exec
                                        ; implicit-def: $vgpr16
                                        ; implicit-def: $vgpr8
.LBB401_1090:
	s_or_saveexec_b64 s[26:27], s[44:45]
	s_mov_b64 s[6:7], 0
                                        ; implicit-def: $vgpr0_vgpr1
                                        ; implicit-def: $sgpr14
                                        ; implicit-def: $vgpr2
	s_xor_b64 exec, exec, s[26:27]
	s_cbranch_execz .LBB401_2094
; %bb.1091:
	v_cndmask_b32_e64 v0, 0, 1, s[42:43]
	v_cmp_ne_u32_e64 s[2:3], 1, v0
	s_andn2_b64 vcc, exec, s[42:43]
	s_cbranch_vccnz .LBB401_1097
; %bb.1092:
	s_cmp_lg_u32 s33, 0
	s_mov_b32 s36, 0
	s_cbranch_scc0 .LBB401_1098
; %bb.1093:
	s_min_u32 s37, s74, 15
	s_add_i32 s37, s37, 1
	s_cmp_eq_u32 s74, 2
	s_cbranch_scc1 .LBB401_1099
; %bb.1094:
	s_and_b32 s36, s37, 28
	s_add_u32 s28, s34, 0xc4
	s_addc_u32 s29, s35, 0
	s_mov_b32 s38, 0
	v_mov_b32_e32 v6, 0
	v_mov_b32_e32 v14, 0
	s_mov_b64 s[30:31], s[34:35]
	v_mov_b32_e32 v0, v8
.LBB401_1095:                           ; =>This Inner Loop Header: Depth=1
	s_load_dwordx8 s[12:19], s[30:31], 0x4
	s_load_dwordx4 s[20:23], s[30:31], 0x24
	s_load_dwordx8 s[4:11], s[28:29], 0x0
	s_add_u32 s30, s30, 48
	s_addc_u32 s31, s31, 0
	s_waitcnt vmcnt(0) lgkmcnt(0)
	v_mul_hi_u32 v1, s13, v0
	v_add_u32_e32 v1, v0, v1
	v_lshrrev_b32_e32 v1, s14, v1
	v_mul_lo_u32 v2, v1, s12
	v_mul_hi_u32 v3, s16, v1
	v_sub_u32_e32 v0, v0, v2
	v_add_u32_e32 v2, v1, v3
	v_lshrrev_b32_e32 v2, s17, v2
	v_mul_lo_u32 v4, v2, s15
	v_mul_hi_u32 v5, s19, v2
	v_sub_u32_e32 v1, v1, v4
	v_add_u32_e32 v4, v2, v5
	v_mul_lo_u32 v3, v0, s5
	v_mul_lo_u32 v0, v0, s4
	;; [unrolled: 1-line block ×4, first 2 shown]
	v_lshrrev_b32_e32 v4, s20, v4
	v_add3_u32 v1, v0, v6, v1
	v_add3_u32 v3, v3, v14, v5
	v_mul_lo_u32 v0, v4, s18
	v_mul_hi_u32 v5, s22, v4
	v_sub_u32_e32 v0, v2, v0
	v_add_u32_e32 v2, v4, v5
	v_mul_lo_u32 v5, v0, s8
	v_mul_lo_u32 v6, v0, s9
	v_lshrrev_b32_e32 v0, s23, v2
	s_add_i32 s38, s38, 4
	v_mul_lo_u32 v2, v0, s21
	s_add_u32 s28, s28, 32
	v_sub_u32_e32 v2, v4, v2
	s_addc_u32 s29, s29, 0
	v_mul_lo_u32 v4, v2, s10
	v_mul_lo_u32 v2, v2, s11
	s_cmp_lg_u32 s36, s38
	v_add3_u32 v14, v6, v3, v2
	v_add3_u32 v6, v5, v1, v4
	s_cbranch_scc1 .LBB401_1095
; %bb.1096:
	v_mov_b32_e32 v1, v14
	s_and_b32 s8, s37, 3
	s_cmp_eq_u32 s8, 0
	s_cbranch_scc0 .LBB401_1100
	s_branch .LBB401_1102
.LBB401_1097:
                                        ; implicit-def: $vgpr14
                                        ; implicit-def: $vgpr6
	s_branch .LBB401_1103
.LBB401_1098:
	v_mov_b32_e32 v14, 0
	v_mov_b32_e32 v6, 0
	s_branch .LBB401_1102
.LBB401_1099:
	v_mov_b32_e32 v6, 0
                                        ; implicit-def: $vgpr14
	s_waitcnt vmcnt(0)
	v_mov_b32_e32 v1, v6
	v_mov_b32_e32 v0, v8
	s_and_b32 s8, s37, 3
	s_cmp_eq_u32 s8, 0
	s_cbranch_scc1 .LBB401_1102
.LBB401_1100:
	s_lshl_b32 s4, s36, 3
	s_add_u32 s4, s34, s4
	s_addc_u32 s5, s35, 0
	s_add_u32 s4, s4, 0xc4
	s_addc_u32 s5, s5, 0
	s_mul_i32 s6, s36, 12
	s_add_u32 s6, s34, s6
	s_addc_u32 s7, s35, 0
.LBB401_1101:                           ; =>This Inner Loop Header: Depth=1
	s_load_dwordx2 s[10:11], s[6:7], 0x4
	s_load_dword s9, s[6:7], 0xc
	s_load_dwordx2 s[12:13], s[4:5], 0x0
	v_mov_b32_e32 v2, v1
	s_add_u32 s6, s6, 12
	s_waitcnt lgkmcnt(0)
	v_mul_hi_u32 v1, s11, v0
	v_add_u32_e32 v1, v0, v1
	v_lshrrev_b32_e32 v1, s9, v1
	s_addc_u32 s7, s7, 0
	v_mul_lo_u32 v3, v1, s10
	s_add_u32 s4, s4, 8
	v_sub_u32_e32 v3, v0, v3
	s_addc_u32 s5, s5, 0
	s_add_i32 s8, s8, -1
	v_mad_u64_u32 v[14:15], s[10:11], v3, s13, v[2:3]
	s_cmp_lg_u32 s8, 0
	v_mov_b32_e32 v0, v1
	v_mad_u64_u32 v[6:7], s[10:11], v3, s12, v[6:7]
	v_mov_b32_e32 v1, v14
	s_cbranch_scc1 .LBB401_1101
.LBB401_1102:
	s_cbranch_execnz .LBB401_1105
.LBB401_1103:
	s_load_dwordx4 s[4:7], s[34:35], 0x4
	s_load_dwordx2 s[8:9], s[34:35], 0xc4
	s_cmp_lt_u32 s33, 2
	s_waitcnt lgkmcnt(0)
	v_mul_hi_u32 v0, s5, v8
	v_add_u32_e32 v0, v8, v0
	v_lshrrev_b32_e32 v0, s6, v0
	s_waitcnt vmcnt(0)
	v_mul_lo_u32 v1, v0, s4
	v_sub_u32_e32 v1, v8, v1
	v_mul_lo_u32 v14, v1, s9
	v_mul_lo_u32 v6, v1, s8
	s_cbranch_scc1 .LBB401_1105
; %bb.1104:
	s_load_dwordx4 s[4:7], s[34:35], 0x10
	s_load_dwordx2 s[8:9], s[34:35], 0xcc
	s_waitcnt lgkmcnt(0)
	v_mul_hi_u32 v1, s5, v0
	v_add_u32_e32 v1, v0, v1
	v_lshrrev_b32_e32 v1, s6, v1
	v_mul_lo_u32 v1, v1, s4
	v_sub_u32_e32 v0, v0, v1
	v_mad_u64_u32 v[6:7], s[4:5], v0, s8, v[6:7]
	v_mad_u64_u32 v[14:15], s[4:5], v0, s9, v[14:15]
.LBB401_1105:
	s_and_b64 vcc, exec, s[2:3]
	v_add_u32_e32 v0, 0x80, v8
	s_cbranch_vccnz .LBB401_1111
; %bb.1106:
	s_cmp_lg_u32 s33, 0
	s_mov_b32 s36, 0
	s_cbranch_scc0 .LBB401_1112
; %bb.1107:
	s_min_u32 s37, s74, 15
	s_add_i32 s37, s37, 1
	s_cmp_eq_u32 s74, 2
	s_cbranch_scc1 .LBB401_1113
; %bb.1108:
	s_and_b32 s36, s37, 28
	s_add_u32 s28, s34, 0xc4
	s_addc_u32 s29, s35, 0
	s_mov_b32 s38, 0
	v_mov_b32_e32 v4, 0
	v_mov_b32_e32 v12, 0
	s_mov_b64 s[30:31], s[34:35]
	v_mov_b32_e32 v2, v0
.LBB401_1109:                           ; =>This Inner Loop Header: Depth=1
	s_load_dwordx8 s[12:19], s[30:31], 0x4
	s_load_dwordx4 s[20:23], s[30:31], 0x24
	s_load_dwordx8 s[4:11], s[28:29], 0x0
	s_add_u32 s30, s30, 48
	s_addc_u32 s31, s31, 0
	s_waitcnt vmcnt(0) lgkmcnt(0)
	v_mul_hi_u32 v1, s13, v2
	v_add_u32_e32 v1, v2, v1
	v_lshrrev_b32_e32 v1, s14, v1
	v_mul_lo_u32 v3, v1, s12
	v_mul_hi_u32 v5, s16, v1
	v_sub_u32_e32 v2, v2, v3
	v_add_u32_e32 v3, v1, v5
	v_lshrrev_b32_e32 v3, s17, v3
	v_mul_lo_u32 v7, v3, s15
	v_mul_hi_u32 v9, s19, v3
	v_sub_u32_e32 v1, v1, v7
	v_add_u32_e32 v7, v3, v9
	v_mul_lo_u32 v5, v2, s5
	v_mul_lo_u32 v2, v2, s4
	;; [unrolled: 1-line block ×4, first 2 shown]
	v_lshrrev_b32_e32 v7, s20, v7
	v_add3_u32 v1, v2, v4, v1
	v_add3_u32 v4, v5, v12, v9
	v_mul_lo_u32 v2, v7, s18
	v_mul_hi_u32 v5, s22, v7
	v_sub_u32_e32 v2, v3, v2
	v_add_u32_e32 v3, v7, v5
	v_mul_lo_u32 v5, v2, s8
	v_mul_lo_u32 v9, v2, s9
	v_lshrrev_b32_e32 v2, s23, v3
	s_add_i32 s38, s38, 4
	v_mul_lo_u32 v3, v2, s21
	s_add_u32 s28, s28, 32
	v_sub_u32_e32 v3, v7, v3
	s_addc_u32 s29, s29, 0
	v_mul_lo_u32 v7, v3, s10
	v_mul_lo_u32 v3, v3, s11
	s_cmp_lg_u32 s36, s38
	v_add3_u32 v12, v9, v4, v3
	v_add3_u32 v4, v5, v1, v7
	s_cbranch_scc1 .LBB401_1109
; %bb.1110:
	v_mov_b32_e32 v1, v12
	s_and_b32 s8, s37, 3
	s_cmp_eq_u32 s8, 0
	s_cbranch_scc0 .LBB401_1114
	s_branch .LBB401_1116
.LBB401_1111:
                                        ; implicit-def: $vgpr12
                                        ; implicit-def: $vgpr4
	s_branch .LBB401_1117
.LBB401_1112:
	v_mov_b32_e32 v12, 0
	v_mov_b32_e32 v4, 0
	s_branch .LBB401_1116
.LBB401_1113:
	v_mov_b32_e32 v4, 0
                                        ; implicit-def: $vgpr12
	s_waitcnt vmcnt(0)
	v_mov_b32_e32 v1, v4
	v_mov_b32_e32 v2, v0
	s_and_b32 s8, s37, 3
	s_cmp_eq_u32 s8, 0
	s_cbranch_scc1 .LBB401_1116
.LBB401_1114:
	s_lshl_b32 s4, s36, 3
	s_add_u32 s4, s34, s4
	s_addc_u32 s5, s35, 0
	s_add_u32 s4, s4, 0xc4
	s_addc_u32 s5, s5, 0
	s_mul_i32 s6, s36, 12
	s_add_u32 s6, s34, s6
	s_addc_u32 s7, s35, 0
.LBB401_1115:                           ; =>This Inner Loop Header: Depth=1
	s_load_dwordx2 s[10:11], s[6:7], 0x4
	s_load_dword s9, s[6:7], 0xc
	s_load_dwordx2 s[12:13], s[4:5], 0x0
	v_mov_b32_e32 v10, v1
	s_add_u32 s6, s6, 12
	s_waitcnt lgkmcnt(0)
	v_mul_hi_u32 v1, s11, v2
	v_add_u32_e32 v1, v2, v1
	v_lshrrev_b32_e32 v1, s9, v1
	s_addc_u32 s7, s7, 0
	v_mul_lo_u32 v3, v1, s10
	s_add_u32 s4, s4, 8
	v_sub_u32_e32 v3, v2, v3
	s_addc_u32 s5, s5, 0
	s_add_i32 s8, s8, -1
	v_mad_u64_u32 v[12:13], s[10:11], v3, s13, v[10:11]
	s_cmp_lg_u32 s8, 0
	v_mov_b32_e32 v2, v1
	v_mad_u64_u32 v[4:5], s[10:11], v3, s12, v[4:5]
	v_mov_b32_e32 v1, v12
	s_cbranch_scc1 .LBB401_1115
.LBB401_1116:
	s_cbranch_execnz .LBB401_1119
.LBB401_1117:
	s_load_dwordx4 s[4:7], s[34:35], 0x4
	s_load_dwordx2 s[8:9], s[34:35], 0xc4
	s_cmp_lt_u32 s33, 2
	s_waitcnt vmcnt(0) lgkmcnt(0)
	v_mul_hi_u32 v1, s5, v0
	v_add_u32_e32 v1, v0, v1
	v_lshrrev_b32_e32 v1, s6, v1
	v_mul_lo_u32 v2, v1, s4
	v_sub_u32_e32 v0, v0, v2
	v_mul_lo_u32 v12, v0, s9
	v_mul_lo_u32 v4, v0, s8
	s_cbranch_scc1 .LBB401_1119
; %bb.1118:
	s_load_dwordx4 s[4:7], s[34:35], 0x10
	s_load_dwordx2 s[8:9], s[34:35], 0xcc
	s_waitcnt lgkmcnt(0)
	v_mul_hi_u32 v0, s5, v1
	v_add_u32_e32 v0, v1, v0
	v_lshrrev_b32_e32 v0, s6, v0
	v_mul_lo_u32 v0, v0, s4
	v_sub_u32_e32 v0, v1, v0
	v_mad_u64_u32 v[4:5], s[4:5], v0, s8, v[4:5]
	v_mad_u64_u32 v[12:13], s[4:5], v0, s9, v[12:13]
.LBB401_1119:
	s_and_b64 vcc, exec, s[2:3]
	v_add_u32_e32 v0, 0x100, v8
	s_cbranch_vccnz .LBB401_1125
; %bb.1120:
	s_cmp_lg_u32 s33, 0
	s_mov_b32 s36, 0
	s_cbranch_scc0 .LBB401_1126
; %bb.1121:
	s_min_u32 s37, s74, 15
	s_add_i32 s37, s37, 1
	s_cmp_eq_u32 s74, 2
	s_cbranch_scc1 .LBB401_1127
; %bb.1122:
	s_and_b32 s36, s37, 28
	s_add_u32 s28, s34, 0xc4
	s_addc_u32 s29, s35, 0
	s_mov_b32 s38, 0
	v_mov_b32_e32 v2, 0
	v_mov_b32_e32 v10, 0
	s_mov_b64 s[30:31], s[34:35]
	v_mov_b32_e32 v5, v0
.LBB401_1123:                           ; =>This Inner Loop Header: Depth=1
	s_load_dwordx8 s[12:19], s[30:31], 0x4
	s_load_dwordx4 s[20:23], s[30:31], 0x24
	s_load_dwordx8 s[4:11], s[28:29], 0x0
	s_add_u32 s30, s30, 48
	s_addc_u32 s31, s31, 0
	s_waitcnt vmcnt(0) lgkmcnt(0)
	v_mul_hi_u32 v1, s13, v5
	v_add_u32_e32 v1, v5, v1
	v_lshrrev_b32_e32 v1, s14, v1
	v_mul_lo_u32 v3, v1, s12
	v_mul_hi_u32 v7, s16, v1
	v_sub_u32_e32 v3, v5, v3
	v_add_u32_e32 v5, v1, v7
	v_lshrrev_b32_e32 v5, s17, v5
	v_mul_lo_u32 v8, v5, s15
	v_mul_hi_u32 v9, s19, v5
	v_sub_u32_e32 v1, v1, v8
	v_add_u32_e32 v8, v5, v9
	v_mul_lo_u32 v7, v3, s5
	v_mul_lo_u32 v3, v3, s4
	v_mul_lo_u32 v9, v1, s7
	v_mul_lo_u32 v1, v1, s6
	v_lshrrev_b32_e32 v8, s20, v8
	v_add3_u32 v1, v3, v2, v1
	v_add3_u32 v2, v7, v10, v9
	v_mul_lo_u32 v3, v8, s18
	v_mul_hi_u32 v7, s22, v8
	v_sub_u32_e32 v3, v5, v3
	v_add_u32_e32 v5, v8, v7
	v_lshrrev_b32_e32 v5, s23, v5
	s_add_i32 s38, s38, 4
	v_mul_lo_u32 v9, v5, s21
	s_add_u32 s28, s28, 32
	v_sub_u32_e32 v8, v8, v9
	s_addc_u32 s29, s29, 0
	v_mul_lo_u32 v7, v3, s8
	v_mul_lo_u32 v3, v3, s9
	;; [unrolled: 1-line block ×4, first 2 shown]
	s_cmp_lg_u32 s36, s38
	v_add3_u32 v10, v3, v2, v8
	v_add3_u32 v2, v7, v1, v9
	s_cbranch_scc1 .LBB401_1123
; %bb.1124:
	v_mov_b32_e32 v1, v10
	s_and_b32 s8, s37, 3
	s_cmp_eq_u32 s8, 0
	s_cbranch_scc0 .LBB401_1128
	s_branch .LBB401_1130
.LBB401_1125:
                                        ; implicit-def: $vgpr10
                                        ; implicit-def: $vgpr2
	s_branch .LBB401_1131
.LBB401_1126:
	v_mov_b32_e32 v10, 0
	v_mov_b32_e32 v2, 0
	s_branch .LBB401_1130
.LBB401_1127:
	v_mov_b32_e32 v2, 0
                                        ; implicit-def: $vgpr10
	s_waitcnt vmcnt(0)
	v_mov_b32_e32 v1, v2
	v_mov_b32_e32 v5, v0
	s_and_b32 s8, s37, 3
	s_cmp_eq_u32 s8, 0
	s_cbranch_scc1 .LBB401_1130
.LBB401_1128:
	s_lshl_b32 s4, s36, 3
	s_add_u32 s4, s34, s4
	s_addc_u32 s5, s35, 0
	s_add_u32 s4, s4, 0xc4
	s_addc_u32 s5, s5, 0
	s_mul_i32 s6, s36, 12
	s_add_u32 s6, s34, s6
	s_addc_u32 s7, s35, 0
.LBB401_1129:                           ; =>This Inner Loop Header: Depth=1
	s_load_dwordx2 s[10:11], s[6:7], 0x4
	s_load_dword s9, s[6:7], 0xc
	s_load_dwordx2 s[12:13], s[4:5], 0x0
	v_mov_b32_e32 v8, v1
	s_add_u32 s6, s6, 12
	s_waitcnt lgkmcnt(0)
	v_mul_hi_u32 v1, s11, v5
	v_add_u32_e32 v1, v5, v1
	v_lshrrev_b32_e32 v1, s9, v1
	s_addc_u32 s7, s7, 0
	v_mul_lo_u32 v3, v1, s10
	s_add_u32 s4, s4, 8
	v_sub_u32_e32 v3, v5, v3
	s_addc_u32 s5, s5, 0
	s_add_i32 s8, s8, -1
	v_mad_u64_u32 v[10:11], s[10:11], v3, s13, v[8:9]
	s_cmp_lg_u32 s8, 0
	v_mov_b32_e32 v5, v1
	v_mad_u64_u32 v[2:3], s[10:11], v3, s12, v[2:3]
	v_mov_b32_e32 v1, v10
	s_cbranch_scc1 .LBB401_1129
.LBB401_1130:
	s_cbranch_execnz .LBB401_1133
.LBB401_1131:
	s_load_dwordx4 s[4:7], s[34:35], 0x4
	s_load_dwordx2 s[8:9], s[34:35], 0xc4
	s_cmp_lt_u32 s33, 2
	s_waitcnt vmcnt(0) lgkmcnt(0)
	v_mul_hi_u32 v1, s5, v0
	v_add_u32_e32 v1, v0, v1
	v_lshrrev_b32_e32 v1, s6, v1
	v_mul_lo_u32 v2, v1, s4
	v_sub_u32_e32 v0, v0, v2
	v_mul_lo_u32 v10, v0, s9
	v_mul_lo_u32 v2, v0, s8
	s_cbranch_scc1 .LBB401_1133
; %bb.1132:
	s_load_dwordx4 s[4:7], s[34:35], 0x10
	s_load_dwordx2 s[8:9], s[34:35], 0xcc
	s_waitcnt lgkmcnt(0)
	v_mul_hi_u32 v0, s5, v1
	v_add_u32_e32 v0, v1, v0
	v_lshrrev_b32_e32 v0, s6, v0
	v_mul_lo_u32 v0, v0, s4
	v_sub_u32_e32 v0, v1, v0
	v_mad_u64_u32 v[2:3], s[4:5], v0, s8, v[2:3]
	v_mad_u64_u32 v[10:11], s[4:5], v0, s9, v[10:11]
.LBB401_1133:
	s_and_b64 vcc, exec, s[2:3]
	s_cbranch_vccnz .LBB401_1139
; %bb.1134:
	s_cmp_lg_u32 s33, 0
	s_mov_b32 s30, 0
	s_cbranch_scc0 .LBB401_1140
; %bb.1135:
	s_min_u32 s31, s74, 15
	s_add_i32 s31, s31, 1
	s_cmp_eq_u32 s74, 2
	s_cbranch_scc1 .LBB401_1141
; %bb.1136:
	s_and_b32 s30, s31, 28
	s_add_u32 s2, s34, 0xc4
	s_addc_u32 s3, s35, 0
	s_mov_b32 s36, 0
	v_mov_b32_e32 v0, 0
	v_mov_b32_e32 v8, 0
	s_mov_b64 s[28:29], s[34:35]
	v_mov_b32_e32 v3, v16
.LBB401_1137:                           ; =>This Inner Loop Header: Depth=1
	s_load_dwordx8 s[12:19], s[28:29], 0x4
	s_load_dwordx4 s[20:23], s[28:29], 0x24
	s_load_dwordx8 s[4:11], s[2:3], 0x0
	s_add_u32 s28, s28, 48
	s_addc_u32 s29, s29, 0
	s_waitcnt vmcnt(0) lgkmcnt(0)
	v_mul_hi_u32 v1, s13, v3
	v_add_u32_e32 v1, v3, v1
	v_lshrrev_b32_e32 v1, s14, v1
	v_mul_lo_u32 v5, v1, s12
	v_mul_hi_u32 v7, s16, v1
	v_sub_u32_e32 v3, v3, v5
	v_add_u32_e32 v5, v1, v7
	v_lshrrev_b32_e32 v5, s17, v5
	v_mul_lo_u32 v9, v5, s15
	v_mul_hi_u32 v11, s19, v5
	v_sub_u32_e32 v1, v1, v9
	v_add_u32_e32 v9, v5, v11
	v_mul_lo_u32 v7, v3, s5
	v_mul_lo_u32 v3, v3, s4
	;; [unrolled: 1-line block ×4, first 2 shown]
	v_lshrrev_b32_e32 v9, s20, v9
	v_add3_u32 v0, v3, v0, v1
	v_add3_u32 v1, v7, v8, v11
	v_mul_lo_u32 v3, v9, s18
	v_mul_hi_u32 v7, s22, v9
	v_sub_u32_e32 v3, v5, v3
	v_add_u32_e32 v5, v9, v7
	v_mul_lo_u32 v7, v3, s8
	v_mul_lo_u32 v8, v3, s9
	v_lshrrev_b32_e32 v3, s23, v5
	s_add_i32 s36, s36, 4
	v_mul_lo_u32 v5, v3, s21
	s_add_u32 s2, s2, 32
	v_sub_u32_e32 v5, v9, v5
	s_addc_u32 s3, s3, 0
	v_mul_lo_u32 v9, v5, s10
	v_mul_lo_u32 v5, v5, s11
	s_cmp_lg_u32 s30, s36
	v_add3_u32 v8, v8, v1, v5
	v_add3_u32 v0, v7, v0, v9
	s_cbranch_scc1 .LBB401_1137
; %bb.1138:
	v_mov_b32_e32 v1, v8
	s_and_b32 s6, s31, 3
	s_cmp_eq_u32 s6, 0
	s_cbranch_scc0 .LBB401_1142
	s_branch .LBB401_1144
.LBB401_1139:
                                        ; implicit-def: $vgpr8
                                        ; implicit-def: $vgpr0
	s_branch .LBB401_1145
.LBB401_1140:
	v_mov_b32_e32 v8, 0
	v_mov_b32_e32 v0, 0
	s_branch .LBB401_1144
.LBB401_1141:
	v_mov_b32_e32 v0, 0
                                        ; implicit-def: $vgpr8
	s_waitcnt vmcnt(0)
	v_mov_b32_e32 v1, v0
	v_mov_b32_e32 v3, v16
	s_and_b32 s6, s31, 3
	s_cmp_eq_u32 s6, 0
	s_cbranch_scc1 .LBB401_1144
.LBB401_1142:
	s_lshl_b32 s2, s30, 3
	s_add_u32 s2, s34, s2
	s_addc_u32 s3, s35, 0
	s_add_u32 s2, s2, 0xc4
	s_addc_u32 s3, s3, 0
	s_mul_i32 s4, s30, 12
	s_add_u32 s4, s34, s4
	s_addc_u32 s5, s35, 0
.LBB401_1143:                           ; =>This Inner Loop Header: Depth=1
	s_load_dwordx2 s[8:9], s[4:5], 0x4
	s_load_dword s7, s[4:5], 0xc
	s_load_dwordx2 s[10:11], s[2:3], 0x0
	v_mov_b32_e32 v8, v1
	s_add_u32 s4, s4, 12
	s_waitcnt lgkmcnt(0)
	v_mul_hi_u32 v1, s9, v3
	v_add_u32_e32 v1, v3, v1
	v_lshrrev_b32_e32 v1, s7, v1
	s_addc_u32 s5, s5, 0
	v_mul_lo_u32 v5, v1, s8
	s_add_u32 s2, s2, 8
	v_sub_u32_e32 v5, v3, v5
	s_addc_u32 s3, s3, 0
	s_add_i32 s6, s6, -1
	v_mov_b32_e32 v3, v1
	v_mad_u64_u32 v[8:9], s[8:9], v5, s11, v[8:9]
	v_mad_u64_u32 v[0:1], s[8:9], v5, s10, v[0:1]
	s_cmp_lg_u32 s6, 0
	v_mov_b32_e32 v1, v8
	s_cbranch_scc1 .LBB401_1143
.LBB401_1144:
	s_cbranch_execnz .LBB401_1147
.LBB401_1145:
	s_load_dwordx4 s[4:7], s[34:35], 0x4
	s_load_dwordx2 s[2:3], s[34:35], 0xc4
	s_cmp_lt_u32 s33, 2
	s_waitcnt lgkmcnt(0)
	v_mul_hi_u32 v0, s5, v16
	v_add_u32_e32 v0, v16, v0
	s_waitcnt vmcnt(0)
	v_lshrrev_b32_e32 v1, s6, v0
	v_mul_lo_u32 v0, v1, s4
	v_sub_u32_e32 v0, v16, v0
	v_mul_lo_u32 v8, v0, s3
	v_mul_lo_u32 v0, v0, s2
	s_cbranch_scc1 .LBB401_1147
; %bb.1146:
	s_load_dwordx4 s[4:7], s[34:35], 0x10
	s_load_dwordx2 s[2:3], s[34:35], 0xcc
	s_waitcnt lgkmcnt(0)
	v_mul_hi_u32 v3, s5, v1
	v_add_u32_e32 v3, v1, v3
	v_lshrrev_b32_e32 v3, s6, v3
	v_mul_lo_u32 v3, v3, s4
	v_sub_u32_e32 v3, v1, v3
	v_mad_u64_u32 v[0:1], s[4:5], v3, s2, v[0:1]
	v_mad_u64_u32 v[8:9], s[2:3], v3, s3, v[8:9]
.LBB401_1147:
	s_load_dword s14, s[0:1], 0x164
	s_load_dwordx4 s[4:7], s[34:35], 0x148
	v_mov_b32_e32 v15, 0
	s_waitcnt lgkmcnt(0)
	s_bfe_u32 s15, s14, 0x80008
	s_cmp_lt_i32 s15, 11
	v_lshl_add_u64 v[14:15], s[6:7], 0, v[14:15]
	s_cbranch_scc1 .LBB401_1154
; %bb.1148:
	s_and_b32 s16, 0xffff, s15
	s_cmp_gt_i32 s16, 25
	s_mov_b64 s[8:9], 0
	s_cbranch_scc0 .LBB401_1156
; %bb.1149:
	s_cmp_gt_i32 s16, 28
	s_cbranch_scc0 .LBB401_1157
; %bb.1150:
	s_cmp_gt_i32 s16, 43
	;; [unrolled: 3-line block ×3, first 2 shown]
	s_cbranch_scc0 .LBB401_1159
; %bb.1152:
	s_cmp_eq_u32 s16, 46
	s_mov_b64 s[2:3], 0
	s_cbranch_scc0 .LBB401_1162
; %bb.1153:
	global_load_dword v1, v[14:15], off
	s_mov_b64 s[0:1], 0
	s_mov_b64 s[10:11], -1
	s_waitcnt vmcnt(0)
	v_lshlrev_b32_e32 v1, 16, v1
	s_branch .LBB401_1163
.LBB401_1154:
	s_mov_b64 s[10:11], 0
                                        ; implicit-def: $vgpr1
	s_mov_b64 s[2:3], s[24:25]
	s_cbranch_execnz .LBB401_1226
.LBB401_1155:
	s_andn2_b64 vcc, exec, s[10:11]
	s_cbranch_vccz .LBB401_1271
	s_branch .LBB401_2092
.LBB401_1156:
	s_mov_b64 s[10:11], 0
	s_mov_b64 s[0:1], 0
                                        ; implicit-def: $vgpr1
	s_cbranch_execnz .LBB401_1191
	s_branch .LBB401_1222
.LBB401_1157:
	s_mov_b64 s[2:3], -1
	s_mov_b64 s[10:11], 0
	s_mov_b64 s[0:1], 0
                                        ; implicit-def: $vgpr1
	s_branch .LBB401_1172
.LBB401_1158:
	s_mov_b64 s[10:11], 0
	s_mov_b64 s[0:1], 0
                                        ; implicit-def: $vgpr1
	s_cbranch_execnz .LBB401_1168
	s_branch .LBB401_1171
.LBB401_1159:
	s_mov_b64 s[2:3], -1
	s_mov_b64 s[10:11], 0
	s_mov_b64 s[0:1], 0
                                        ; implicit-def: $vgpr1
	s_branch .LBB401_1163
.LBB401_1160:
	s_andn2_saveexec_b64 s[12:13], s[12:13]
	s_cbranch_execz .LBB401_1003
.LBB401_1161:
	s_mov_b32 s14, 0x46000000
	v_add_f32_e64 v0, |v4|, s14
	v_and_b32_e32 v0, 0xff, v0
	v_cmp_ne_u32_e32 vcc, 0, v0
	s_andn2_b64 s[10:11], s[10:11], exec
	s_and_b64 s[14:15], vcc, exec
	s_or_b64 s[10:11], s[10:11], s[14:15]
	s_or_b64 exec, exec, s[12:13]
	v_mov_b32_e32 v1, 0
	s_and_saveexec_b64 s[12:13], s[10:11]
	s_cbranch_execnz .LBB401_1004
	s_branch .LBB401_1005
.LBB401_1162:
	s_mov_b64 s[0:1], -1
                                        ; implicit-def: $vgpr1
	s_mov_b64 s[10:11], 0
.LBB401_1163:
	s_and_b64 vcc, exec, s[2:3]
	s_cbranch_vccz .LBB401_1166
; %bb.1164:
	s_cmp_eq_u32 s16, 44
	s_cbranch_scc0 .LBB401_1167
; %bb.1165:
	global_load_ubyte v1, v[14:15], off
	s_movk_i32 s2, 0xff
	v_mov_b32_e32 v3, 0x7f800001
	v_mov_b32_e32 v5, 0x400000
	s_mov_b64 s[0:1], 0
	s_mov_b64 s[10:11], -1
	s_waitcnt vmcnt(0)
	v_lshlrev_b32_e32 v7, 23, v1
	v_cmp_ne_u32_e32 vcc, s2, v1
	s_nop 1
	v_cndmask_b32_e32 v3, v3, v7, vcc
	v_cmp_ne_u32_e32 vcc, 0, v1
	s_nop 1
	v_cndmask_b32_e32 v1, v5, v3, vcc
.LBB401_1166:
	s_branch .LBB401_1171
.LBB401_1167:
	s_mov_b64 s[0:1], -1
                                        ; implicit-def: $vgpr1
	s_branch .LBB401_1171
.LBB401_1168:
	s_cmp_eq_u32 s16, 29
	s_cbranch_scc0 .LBB401_1170
; %bb.1169:
	global_load_dwordx2 v[16:17], v[14:15], off
	s_mov_b64 s[0:1], 0
	s_mov_b64 s[10:11], -1
	s_mov_b64 s[2:3], 0
	s_waitcnt vmcnt(0)
	v_ffbh_u32_e32 v1, v17
	v_min_u32_e32 v1, 32, v1
	v_lshlrev_b64 v[16:17], v1, v[16:17]
	v_min_u32_e32 v3, 1, v16
	v_or_b32_e32 v3, v17, v3
	v_cvt_f32_u32_e32 v3, v3
	v_sub_u32_e32 v1, 32, v1
	v_ldexp_f32 v1, v3, v1
	s_branch .LBB401_1172
.LBB401_1170:
	s_mov_b64 s[0:1], -1
                                        ; implicit-def: $vgpr1
.LBB401_1171:
	s_mov_b64 s[2:3], 0
.LBB401_1172:
	s_and_b64 vcc, exec, s[2:3]
	s_cbranch_vccz .LBB401_1190
; %bb.1173:
	s_cmp_lt_i32 s16, 27
	s_cbranch_scc1 .LBB401_1176
; %bb.1174:
	s_cmp_gt_i32 s16, 27
	s_cbranch_scc0 .LBB401_1177
; %bb.1175:
	global_load_dword v1, v[14:15], off
	s_mov_b64 s[2:3], 0
	s_waitcnt vmcnt(0)
	v_cvt_f32_u32_e32 v1, v1
	s_branch .LBB401_1178
.LBB401_1176:
	s_mov_b64 s[2:3], -1
                                        ; implicit-def: $vgpr1
	s_branch .LBB401_1181
.LBB401_1177:
	s_mov_b64 s[2:3], -1
                                        ; implicit-def: $vgpr1
.LBB401_1178:
	s_andn2_b64 vcc, exec, s[2:3]
	s_cbranch_vccnz .LBB401_1180
; %bb.1179:
	global_load_ushort v1, v[14:15], off
	s_waitcnt vmcnt(0)
	v_cvt_f32_u32_e32 v1, v1
.LBB401_1180:
	s_mov_b64 s[2:3], 0
.LBB401_1181:
	s_andn2_b64 vcc, exec, s[2:3]
	s_cbranch_vccnz .LBB401_1189
; %bb.1182:
	global_load_ubyte v3, v[14:15], off
	s_movk_i32 s2, 0x7f
	s_waitcnt vmcnt(0)
	v_cmp_lt_i16_e32 vcc, s2, v3
	s_mov_b64 s[2:3], 0
	s_and_saveexec_b64 s[10:11], vcc
	s_xor_b64 s[10:11], exec, s[10:11]
	s_cbranch_execz .LBB401_1202
; %bb.1183:
	s_movk_i32 s2, 0x80
	v_cmp_eq_u16_e32 vcc, s2, v3
	s_mov_b64 s[2:3], -1
	s_and_saveexec_b64 s[12:13], vcc
; %bb.1184:
	s_xor_b64 s[2:3], exec, -1
; %bb.1185:
	s_or_b64 exec, exec, s[12:13]
	s_and_b64 s[2:3], s[2:3], exec
	s_or_saveexec_b64 s[10:11], s[10:11]
	v_mov_b32_e32 v1, 0x7f800001
	s_xor_b64 exec, exec, s[10:11]
	s_cbranch_execnz .LBB401_1203
.LBB401_1186:
	s_or_b64 exec, exec, s[10:11]
	s_and_saveexec_b64 s[10:11], s[2:3]
	s_cbranch_execz .LBB401_1188
.LBB401_1187:
	v_lshlrev_b32_e32 v1, 24, v3
	v_and_b32_e32 v3, 0xffff, v3
	v_and_b32_e32 v5, 7, v3
	v_ffbh_u32_e32 v9, v5
	v_min_u32_e32 v9, 32, v9
	v_subrev_u32_e32 v11, 28, v9
	v_bfe_u32 v7, v3, 3, 4
	v_lshlrev_b32_e32 v3, v11, v3
	v_sub_u32_e32 v9, 29, v9
	v_and_b32_e32 v3, 7, v3
	v_cmp_eq_u32_e32 vcc, 0, v7
	v_and_b32_e32 v1, 0x80000000, v1
	s_nop 0
	v_cndmask_b32_e32 v7, v7, v9, vcc
	v_cndmask_b32_e32 v3, v5, v3, vcc
	v_mov_b32_e32 v5, 0x3b800000
	v_lshlrev_b32_e32 v3, 20, v3
	v_lshl_add_u32 v5, v7, 23, v5
	v_or3_b32 v1, v1, v5, v3
.LBB401_1188:
	s_or_b64 exec, exec, s[10:11]
.LBB401_1189:
	s_mov_b64 s[10:11], -1
.LBB401_1190:
	s_branch .LBB401_1222
.LBB401_1191:
	s_cmp_gt_i32 s16, 22
	s_cbranch_scc0 .LBB401_1201
; %bb.1192:
	s_cmp_lt_i32 s16, 24
	s_cbranch_scc1 .LBB401_1204
; %bb.1193:
	s_cmp_gt_i32 s16, 24
	s_cbranch_scc0 .LBB401_1205
; %bb.1194:
	global_load_ubyte v3, v[14:15], off
	s_movk_i32 s2, 0x7f
	s_waitcnt vmcnt(0)
	v_cmp_lt_i16_e32 vcc, s2, v3
	s_mov_b64 s[2:3], 0
	s_and_saveexec_b64 s[8:9], vcc
	s_xor_b64 s[8:9], exec, s[8:9]
	s_cbranch_execz .LBB401_1216
; %bb.1195:
	s_movk_i32 s2, 0x80
	v_cmp_eq_u16_e32 vcc, s2, v3
	s_mov_b64 s[2:3], -1
	s_and_saveexec_b64 s[10:11], vcc
; %bb.1196:
	s_xor_b64 s[2:3], exec, -1
; %bb.1197:
	s_or_b64 exec, exec, s[10:11]
	s_and_b64 s[2:3], s[2:3], exec
	s_or_saveexec_b64 s[8:9], s[8:9]
	v_mov_b32_e32 v1, 0x7f800001
	s_xor_b64 exec, exec, s[8:9]
	s_cbranch_execnz .LBB401_1217
.LBB401_1198:
	s_or_b64 exec, exec, s[8:9]
	s_and_saveexec_b64 s[8:9], s[2:3]
	s_cbranch_execz .LBB401_1200
.LBB401_1199:
	v_lshlrev_b32_e32 v1, 24, v3
	v_and_b32_e32 v3, 0xffff, v3
	v_and_b32_e32 v5, 3, v3
	v_ffbh_u32_e32 v9, v5
	v_min_u32_e32 v9, 32, v9
	v_subrev_u32_e32 v11, 29, v9
	v_bfe_u32 v7, v3, 2, 5
	v_lshlrev_b32_e32 v3, v11, v3
	v_sub_u32_e32 v9, 30, v9
	v_and_b32_e32 v3, 3, v3
	v_cmp_eq_u32_e32 vcc, 0, v7
	v_and_b32_e32 v1, 0x80000000, v1
	s_nop 0
	v_cndmask_b32_e32 v7, v7, v9, vcc
	v_cndmask_b32_e32 v3, v5, v3, vcc
	v_mov_b32_e32 v5, 0x37800000
	v_lshlrev_b32_e32 v3, 21, v3
	v_lshl_add_u32 v5, v7, 23, v5
	v_or3_b32 v1, v1, v5, v3
.LBB401_1200:
	s_or_b64 exec, exec, s[8:9]
	s_mov_b64 s[2:3], 0
	s_branch .LBB401_1206
.LBB401_1201:
                                        ; implicit-def: $vgpr1
	s_mov_b64 s[8:9], 0
	s_branch .LBB401_1212
.LBB401_1202:
	s_or_saveexec_b64 s[10:11], s[10:11]
	v_mov_b32_e32 v1, 0x7f800001
	s_xor_b64 exec, exec, s[10:11]
	s_cbranch_execz .LBB401_1186
.LBB401_1203:
	v_cmp_ne_u16_e32 vcc, 0, v3
	s_andn2_b64 s[2:3], s[2:3], exec
	s_and_b64 s[12:13], vcc, exec
	v_mov_b32_e32 v1, 0
	s_or_b64 s[2:3], s[2:3], s[12:13]
	s_or_b64 exec, exec, s[10:11]
	s_and_saveexec_b64 s[10:11], s[2:3]
	s_cbranch_execnz .LBB401_1187
	s_branch .LBB401_1188
.LBB401_1204:
	s_mov_b64 s[2:3], -1
                                        ; implicit-def: $vgpr1
	s_branch .LBB401_1209
.LBB401_1205:
	s_mov_b64 s[2:3], -1
                                        ; implicit-def: $vgpr1
.LBB401_1206:
	s_and_b64 vcc, exec, s[2:3]
	s_cbranch_vccz .LBB401_1208
; %bb.1207:
	global_load_ubyte v1, v[14:15], off
	s_mov_b32 s2, 0x7f800000
	s_waitcnt vmcnt(0)
	v_lshlrev_b32_e32 v1, 24, v1
	v_and_b32_e32 v3, 0x7f000000, v1
	v_ffbh_u32_e32 v5, v3
	v_min_u32_e32 v5, 32, v5
	v_sub_u32_e64 v5, v5, 4 clamp
	v_lshlrev_b32_e32 v9, v5, v3
	v_lshlrev_b32_e32 v5, 23, v5
	v_lshrrev_b32_e32 v9, 4, v9
	v_add_u32_e32 v7, 0x1000000, v3
	v_sub_u32_e32 v5, v9, v5
	v_ashrrev_i32_e32 v7, 8, v7
	v_add_u32_e32 v5, 0x3c000000, v5
	v_and_or_b32 v5, v7, s2, v5
	v_cmp_ne_u32_e32 vcc, 0, v3
	s_brev_b32 s2, 1
	s_nop 0
	v_cndmask_b32_e32 v3, 0, v5, vcc
	v_and_or_b32 v1, v1, s2, v3
.LBB401_1208:
	s_mov_b64 s[2:3], 0
.LBB401_1209:
	s_andn2_b64 vcc, exec, s[2:3]
	s_cbranch_vccnz .LBB401_1211
; %bb.1210:
	global_load_ubyte v1, v[14:15], off
	s_movk_i32 s2, 0x7f00
	s_brev_b32 s3, 16
	s_waitcnt vmcnt(0)
	v_lshlrev_b16_e32 v3, 8, v1
	v_lshlrev_b32_e32 v1, 25, v1
	v_lshrrev_b32_e32 v5, 4, v1
	v_and_or_b32 v7, v3, s2, 0.5
	v_or_b32_e32 v5, 0x70000000, v5
	v_add_f32_e32 v7, -0.5, v7
	v_mul_f32_e32 v5, 0x7800000, v5
	v_cmp_gt_u32_e32 vcc, s3, v1
	v_bfe_i32 v3, v3, 0, 16
	s_brev_b32 s2, 1
	v_cndmask_b32_e32 v1, v5, v7, vcc
	v_and_or_b32 v1, v3, s2, v1
.LBB401_1211:
	s_mov_b64 s[10:11], -1
	s_mov_b64 s[8:9], 0
	s_cbranch_execnz .LBB401_1222
.LBB401_1212:
	s_cmp_gt_i32 s16, 14
	s_cbranch_scc0 .LBB401_1215
; %bb.1213:
	s_cmp_eq_u32 s16, 15
	s_cbranch_scc0 .LBB401_1218
; %bb.1214:
	global_load_ushort v1, v[14:15], off
	s_mov_b64 s[0:1], 0
	s_mov_b64 s[10:11], -1
	s_waitcnt vmcnt(0)
	v_lshlrev_b32_e32 v1, 16, v1
	s_branch .LBB401_1219
.LBB401_1215:
	s_mov_b64 s[2:3], -1
                                        ; implicit-def: $vgpr1
	s_branch .LBB401_1220
.LBB401_1216:
	s_or_saveexec_b64 s[8:9], s[8:9]
	v_mov_b32_e32 v1, 0x7f800001
	s_xor_b64 exec, exec, s[8:9]
	s_cbranch_execz .LBB401_1198
.LBB401_1217:
	v_cmp_ne_u16_e32 vcc, 0, v3
	s_andn2_b64 s[2:3], s[2:3], exec
	s_and_b64 s[10:11], vcc, exec
	v_mov_b32_e32 v1, 0
	s_or_b64 s[2:3], s[2:3], s[10:11]
	s_or_b64 exec, exec, s[8:9]
	s_and_saveexec_b64 s[8:9], s[2:3]
	s_cbranch_execnz .LBB401_1199
	s_branch .LBB401_1200
.LBB401_1218:
	s_mov_b64 s[0:1], -1
                                        ; implicit-def: $vgpr1
.LBB401_1219:
	s_mov_b64 s[2:3], 0
.LBB401_1220:
	s_and_b64 vcc, exec, s[2:3]
	s_cbranch_vccz .LBB401_1222
; %bb.1221:
	s_cmp_lg_u32 s16, 11
	s_mov_b64 s[8:9], -1
	s_cselect_b64 s[0:1], -1, 0
.LBB401_1222:
	s_and_b64 vcc, exec, s[0:1]
	s_mov_b64 s[2:3], s[24:25]
	s_cbranch_vccnz .LBB401_1283
; %bb.1223:
	s_andn2_b64 vcc, exec, s[8:9]
	s_cbranch_vccnz .LBB401_1225
.LBB401_1224:
	global_load_ubyte v1, v[14:15], off
	s_mov_b64 s[10:11], -1
	s_waitcnt vmcnt(0)
	v_cmp_ne_u16_e32 vcc, 0, v1
	s_nop 1
	v_cndmask_b32_e64 v1, 0, 1.0, vcc
.LBB401_1225:
	s_branch .LBB401_1155
.LBB401_1226:
	s_and_b32 s8, 0xffff, s15
	s_cmp_lt_i32 s8, 5
	s_cbranch_scc1 .LBB401_1231
; %bb.1227:
	s_cmp_lt_i32 s8, 8
	s_cbranch_scc1 .LBB401_1232
; %bb.1228:
	;; [unrolled: 3-line block ×3, first 2 shown]
	s_cmp_gt_i32 s8, 9
	s_cbranch_scc0 .LBB401_1234
; %bb.1230:
	global_load_dwordx2 v[16:17], v[14:15], off
	s_mov_b64 s[0:1], 0
	s_waitcnt vmcnt(0)
	v_cvt_f32_f64_e32 v1, v[16:17]
	s_branch .LBB401_1235
.LBB401_1231:
                                        ; implicit-def: $vgpr1
	s_branch .LBB401_1252
.LBB401_1232:
                                        ; implicit-def: $vgpr1
	s_branch .LBB401_1241
.LBB401_1233:
	s_mov_b64 s[0:1], -1
                                        ; implicit-def: $vgpr1
	s_branch .LBB401_1238
.LBB401_1234:
	s_mov_b64 s[0:1], -1
                                        ; implicit-def: $vgpr1
.LBB401_1235:
	s_andn2_b64 vcc, exec, s[0:1]
	s_cbranch_vccnz .LBB401_1237
; %bb.1236:
	global_load_dword v1, v[14:15], off
.LBB401_1237:
	s_mov_b64 s[0:1], 0
.LBB401_1238:
	s_andn2_b64 vcc, exec, s[0:1]
	s_cbranch_vccnz .LBB401_1240
; %bb.1239:
	global_load_dword v1, v[14:15], off
	s_waitcnt vmcnt(0)
	v_cvt_f32_f16_e32 v1, v1
.LBB401_1240:
	s_cbranch_execnz .LBB401_1251
.LBB401_1241:
	s_cmp_lt_i32 s8, 6
	s_cbranch_scc1 .LBB401_1244
; %bb.1242:
	s_cmp_gt_i32 s8, 6
	s_cbranch_scc0 .LBB401_1245
; %bb.1243:
	global_load_dwordx2 v[16:17], v[14:15], off
	s_mov_b64 s[0:1], 0
	s_waitcnt vmcnt(0)
	v_cvt_f32_f64_e32 v1, v[16:17]
	s_branch .LBB401_1246
.LBB401_1244:
	s_mov_b64 s[0:1], -1
                                        ; implicit-def: $vgpr1
	s_branch .LBB401_1249
.LBB401_1245:
	s_mov_b64 s[0:1], -1
                                        ; implicit-def: $vgpr1
.LBB401_1246:
	s_andn2_b64 vcc, exec, s[0:1]
	s_cbranch_vccnz .LBB401_1248
; %bb.1247:
	global_load_dword v1, v[14:15], off
.LBB401_1248:
	s_mov_b64 s[0:1], 0
.LBB401_1249:
	s_andn2_b64 vcc, exec, s[0:1]
	s_cbranch_vccnz .LBB401_1251
; %bb.1250:
	global_load_ushort v1, v[14:15], off
	s_waitcnt vmcnt(0)
	v_cvt_f32_f16_e32 v1, v1
.LBB401_1251:
	s_cbranch_execnz .LBB401_1270
.LBB401_1252:
	s_cmp_lt_i32 s8, 2
	s_cbranch_scc1 .LBB401_1256
; %bb.1253:
	s_cmp_lt_i32 s8, 3
	s_cbranch_scc1 .LBB401_1257
; %bb.1254:
	s_cmp_gt_i32 s8, 3
	s_cbranch_scc0 .LBB401_1258
; %bb.1255:
	global_load_dwordx2 v[16:17], v[14:15], off
	s_mov_b64 s[0:1], 0
	s_waitcnt vmcnt(0)
	v_xor_b32_e32 v3, v16, v17
	v_ffbh_i32_e32 v1, v17
	v_ashrrev_i32_e32 v3, 31, v3
	v_add_u32_e32 v1, -1, v1
	v_add_u32_e32 v3, 32, v3
	v_min_u32_e32 v1, v1, v3
	v_lshlrev_b64 v[16:17], v1, v[16:17]
	v_min_u32_e32 v3, 1, v16
	v_or_b32_e32 v3, v17, v3
	v_cvt_f32_i32_e32 v3, v3
	v_sub_u32_e32 v1, 32, v1
	v_ldexp_f32 v1, v3, v1
	s_branch .LBB401_1259
.LBB401_1256:
                                        ; implicit-def: $vgpr1
	s_branch .LBB401_1265
.LBB401_1257:
	s_mov_b64 s[0:1], -1
                                        ; implicit-def: $vgpr1
	s_branch .LBB401_1262
.LBB401_1258:
	s_mov_b64 s[0:1], -1
                                        ; implicit-def: $vgpr1
.LBB401_1259:
	s_andn2_b64 vcc, exec, s[0:1]
	s_cbranch_vccnz .LBB401_1261
; %bb.1260:
	global_load_dword v1, v[14:15], off
	s_waitcnt vmcnt(0)
	v_cvt_f32_i32_e32 v1, v1
.LBB401_1261:
	s_mov_b64 s[0:1], 0
.LBB401_1262:
	s_andn2_b64 vcc, exec, s[0:1]
	s_cbranch_vccnz .LBB401_1264
; %bb.1263:
	global_load_sshort v1, v[14:15], off
	s_waitcnt vmcnt(0)
	v_cvt_f32_i32_e32 v1, v1
.LBB401_1264:
	s_cbranch_execnz .LBB401_1270
.LBB401_1265:
	s_cmp_gt_i32 s8, 0
	s_cbranch_scc0 .LBB401_1267
; %bb.1266:
	global_load_sbyte v1, v[14:15], off
	s_mov_b64 s[0:1], 0
	s_waitcnt vmcnt(0)
	v_cvt_f32_i32_e32 v1, v1
	s_branch .LBB401_1268
.LBB401_1267:
	s_mov_b64 s[0:1], -1
                                        ; implicit-def: $vgpr1
.LBB401_1268:
	s_andn2_b64 vcc, exec, s[0:1]
	s_cbranch_vccnz .LBB401_1270
; %bb.1269:
	global_load_ubyte v1, v[14:15], off
	s_waitcnt vmcnt(0)
	v_cvt_f32_ubyte0_e32 v1, v1
.LBB401_1270:
.LBB401_1271:
	s_lshr_b32 s0, s14, 8
	v_mov_b32_e32 v13, 0
	s_and_b32 s16, s0, 0xff
	s_cmp_lt_i32 s16, 11
	v_lshl_add_u64 v[12:13], s[6:7], 0, v[12:13]
	s_cbranch_scc1 .LBB401_1278
; %bb.1272:
	s_and_b32 s17, 0xffff, s16
	s_cmp_gt_i32 s17, 25
	s_mov_b64 s[8:9], 0
	s_cbranch_scc0 .LBB401_1280
; %bb.1273:
	s_cmp_gt_i32 s17, 28
	s_cbranch_scc0 .LBB401_1281
; %bb.1274:
	s_cmp_gt_i32 s17, 43
	s_cbranch_scc0 .LBB401_1282
; %bb.1275:
	s_cmp_gt_i32 s17, 45
	s_cbranch_scc0 .LBB401_1284
; %bb.1276:
	s_cmp_eq_u32 s17, 46
	s_mov_b64 s[12:13], 0
	s_cbranch_scc0 .LBB401_1287
; %bb.1277:
	global_load_dword v3, v[12:13], off
	s_mov_b64 s[0:1], 0
	s_mov_b64 s[10:11], -1
	s_waitcnt vmcnt(0)
	v_lshlrev_b32_e32 v3, 16, v3
	s_branch .LBB401_1288
.LBB401_1278:
	s_mov_b64 s[10:11], 0
                                        ; implicit-def: $vgpr3
	s_cbranch_execnz .LBB401_1353
.LBB401_1279:
	s_andn2_b64 vcc, exec, s[10:11]
	s_cbranch_vccnz .LBB401_2092
	s_branch .LBB401_1400
.LBB401_1280:
	s_mov_b64 s[10:11], 0
	s_mov_b64 s[0:1], 0
                                        ; implicit-def: $vgpr3
	s_cbranch_execnz .LBB401_1317
	s_branch .LBB401_1349
.LBB401_1281:
	s_mov_b64 s[12:13], -1
	s_mov_b64 s[10:11], 0
	s_mov_b64 s[0:1], 0
                                        ; implicit-def: $vgpr3
	s_branch .LBB401_1298
.LBB401_1282:
	s_mov_b64 s[12:13], -1
	s_mov_b64 s[10:11], 0
	s_mov_b64 s[0:1], 0
                                        ; implicit-def: $vgpr3
	s_branch .LBB401_1293
.LBB401_1283:
	s_or_b64 s[2:3], s[24:25], exec
	s_trap 2
	s_cbranch_execz .LBB401_1224
	s_branch .LBB401_1225
.LBB401_1284:
	s_mov_b64 s[12:13], -1
	s_mov_b64 s[10:11], 0
	s_mov_b64 s[0:1], 0
                                        ; implicit-def: $vgpr3
	s_branch .LBB401_1288
.LBB401_1285:
	s_andn2_saveexec_b64 s[14:15], s[14:15]
	s_cbranch_execz .LBB401_1015
.LBB401_1286:
	s_mov_b32 s18, 0x42800000
	v_add_f32_e64 v0, |v4|, s18
	v_and_b32_e32 v0, 0xff, v0
	v_cmp_ne_u32_e32 vcc, 0, v0
	s_andn2_b64 s[12:13], s[12:13], exec
	s_and_b64 s[18:19], vcc, exec
	s_or_b64 s[12:13], s[12:13], s[18:19]
	s_or_b64 exec, exec, s[14:15]
	v_mov_b32_e32 v1, 0
	s_and_saveexec_b64 s[14:15], s[12:13]
	s_cbranch_execnz .LBB401_1016
	s_branch .LBB401_1017
.LBB401_1287:
	s_mov_b64 s[0:1], -1
                                        ; implicit-def: $vgpr3
	s_mov_b64 s[10:11], 0
.LBB401_1288:
	s_and_b64 vcc, exec, s[12:13]
	s_cbranch_vccz .LBB401_1292
; %bb.1289:
	s_cmp_eq_u32 s17, 44
	s_cbranch_scc0 .LBB401_1291
; %bb.1290:
	global_load_ubyte v3, v[12:13], off
	s_movk_i32 s10, 0xff
	v_mov_b32_e32 v5, 0x7f800001
	v_mov_b32_e32 v7, 0x400000
	s_mov_b64 s[0:1], 0
	s_waitcnt vmcnt(0)
	v_lshlrev_b32_e32 v9, 23, v3
	v_cmp_ne_u32_e32 vcc, s10, v3
	s_mov_b64 s[10:11], -1
	s_nop 0
	v_cndmask_b32_e32 v5, v5, v9, vcc
	v_cmp_ne_u32_e32 vcc, 0, v3
	s_nop 1
	v_cndmask_b32_e32 v3, v7, v5, vcc
	s_branch .LBB401_1292
.LBB401_1291:
	s_mov_b64 s[0:1], -1
                                        ; implicit-def: $vgpr3
.LBB401_1292:
	s_mov_b64 s[12:13], 0
.LBB401_1293:
	s_and_b64 vcc, exec, s[12:13]
	s_cbranch_vccz .LBB401_1297
; %bb.1294:
	s_cmp_eq_u32 s17, 29
	s_cbranch_scc0 .LBB401_1296
; %bb.1295:
	global_load_dwordx2 v[14:15], v[12:13], off
	s_mov_b64 s[0:1], 0
	s_mov_b64 s[10:11], -1
	s_mov_b64 s[12:13], 0
	s_waitcnt vmcnt(0)
	v_ffbh_u32_e32 v3, v15
	v_min_u32_e32 v3, 32, v3
	v_lshlrev_b64 v[14:15], v3, v[14:15]
	v_min_u32_e32 v5, 1, v14
	v_or_b32_e32 v5, v15, v5
	v_cvt_f32_u32_e32 v5, v5
	v_sub_u32_e32 v3, 32, v3
	v_ldexp_f32 v3, v5, v3
	s_branch .LBB401_1298
.LBB401_1296:
	s_mov_b64 s[0:1], -1
                                        ; implicit-def: $vgpr3
.LBB401_1297:
	s_mov_b64 s[12:13], 0
.LBB401_1298:
	s_and_b64 vcc, exec, s[12:13]
	s_cbranch_vccz .LBB401_1316
; %bb.1299:
	s_cmp_lt_i32 s17, 27
	s_cbranch_scc1 .LBB401_1302
; %bb.1300:
	s_cmp_gt_i32 s17, 27
	s_cbranch_scc0 .LBB401_1303
; %bb.1301:
	global_load_dword v3, v[12:13], off
	s_mov_b64 s[10:11], 0
	s_waitcnt vmcnt(0)
	v_cvt_f32_u32_e32 v3, v3
	s_branch .LBB401_1304
.LBB401_1302:
	s_mov_b64 s[10:11], -1
                                        ; implicit-def: $vgpr3
	s_branch .LBB401_1307
.LBB401_1303:
	s_mov_b64 s[10:11], -1
                                        ; implicit-def: $vgpr3
.LBB401_1304:
	s_andn2_b64 vcc, exec, s[10:11]
	s_cbranch_vccnz .LBB401_1306
; %bb.1305:
	global_load_ushort v3, v[12:13], off
	s_waitcnt vmcnt(0)
	v_cvt_f32_u32_e32 v3, v3
.LBB401_1306:
	s_mov_b64 s[10:11], 0
.LBB401_1307:
	s_andn2_b64 vcc, exec, s[10:11]
	s_cbranch_vccnz .LBB401_1315
; %bb.1308:
	global_load_ubyte v5, v[12:13], off
	s_movk_i32 s10, 0x7f
	s_waitcnt vmcnt(0)
	v_cmp_lt_i16_e32 vcc, s10, v5
	s_mov_b64 s[10:11], 0
	s_and_saveexec_b64 s[12:13], vcc
	s_xor_b64 s[12:13], exec, s[12:13]
	s_cbranch_execz .LBB401_1328
; %bb.1309:
	s_movk_i32 s10, 0x80
	v_cmp_eq_u16_e32 vcc, s10, v5
	s_mov_b64 s[10:11], -1
	s_and_saveexec_b64 s[14:15], vcc
; %bb.1310:
	s_xor_b64 s[10:11], exec, -1
; %bb.1311:
	s_or_b64 exec, exec, s[14:15]
	s_and_b64 s[10:11], s[10:11], exec
	s_or_saveexec_b64 s[12:13], s[12:13]
	v_mov_b32_e32 v3, 0x7f800001
	s_xor_b64 exec, exec, s[12:13]
	s_cbranch_execnz .LBB401_1329
.LBB401_1312:
	s_or_b64 exec, exec, s[12:13]
	s_and_saveexec_b64 s[12:13], s[10:11]
	s_cbranch_execz .LBB401_1314
.LBB401_1313:
	v_lshlrev_b32_e32 v3, 24, v5
	v_and_b32_e32 v5, 0xffff, v5
	v_and_b32_e32 v7, 7, v5
	v_ffbh_u32_e32 v11, v7
	v_min_u32_e32 v11, 32, v11
	v_subrev_u32_e32 v14, 28, v11
	v_bfe_u32 v9, v5, 3, 4
	v_lshlrev_b32_e32 v5, v14, v5
	v_sub_u32_e32 v11, 29, v11
	v_and_b32_e32 v5, 7, v5
	v_cmp_eq_u32_e32 vcc, 0, v9
	v_and_b32_e32 v3, 0x80000000, v3
	s_nop 0
	v_cndmask_b32_e32 v9, v9, v11, vcc
	v_cndmask_b32_e32 v5, v7, v5, vcc
	v_mov_b32_e32 v7, 0x3b800000
	v_lshlrev_b32_e32 v5, 20, v5
	v_lshl_add_u32 v7, v9, 23, v7
	v_or3_b32 v3, v3, v7, v5
.LBB401_1314:
	s_or_b64 exec, exec, s[12:13]
.LBB401_1315:
	s_mov_b64 s[10:11], -1
.LBB401_1316:
	s_branch .LBB401_1349
.LBB401_1317:
	s_cmp_gt_i32 s17, 22
	s_cbranch_scc0 .LBB401_1327
; %bb.1318:
	s_cmp_lt_i32 s17, 24
	s_cbranch_scc1 .LBB401_1330
; %bb.1319:
	s_cmp_gt_i32 s17, 24
	s_cbranch_scc0 .LBB401_1331
; %bb.1320:
	global_load_ubyte v5, v[12:13], off
	s_movk_i32 s8, 0x7f
	s_waitcnt vmcnt(0)
	v_cmp_lt_i16_e32 vcc, s8, v5
	s_mov_b64 s[8:9], 0
	s_and_saveexec_b64 s[10:11], vcc
	s_xor_b64 s[10:11], exec, s[10:11]
	s_cbranch_execz .LBB401_1343
; %bb.1321:
	s_movk_i32 s8, 0x80
	v_cmp_eq_u16_e32 vcc, s8, v5
	s_mov_b64 s[8:9], -1
	s_and_saveexec_b64 s[12:13], vcc
; %bb.1322:
	s_xor_b64 s[8:9], exec, -1
; %bb.1323:
	s_or_b64 exec, exec, s[12:13]
	s_and_b64 s[8:9], s[8:9], exec
	s_or_saveexec_b64 s[10:11], s[10:11]
	v_mov_b32_e32 v3, 0x7f800001
	s_xor_b64 exec, exec, s[10:11]
	s_cbranch_execnz .LBB401_1344
.LBB401_1324:
	s_or_b64 exec, exec, s[10:11]
	s_and_saveexec_b64 s[10:11], s[8:9]
	s_cbranch_execz .LBB401_1326
.LBB401_1325:
	v_lshlrev_b32_e32 v3, 24, v5
	v_and_b32_e32 v5, 0xffff, v5
	v_and_b32_e32 v7, 3, v5
	v_ffbh_u32_e32 v11, v7
	v_min_u32_e32 v11, 32, v11
	v_subrev_u32_e32 v14, 29, v11
	v_bfe_u32 v9, v5, 2, 5
	v_lshlrev_b32_e32 v5, v14, v5
	v_sub_u32_e32 v11, 30, v11
	v_and_b32_e32 v5, 3, v5
	v_cmp_eq_u32_e32 vcc, 0, v9
	v_and_b32_e32 v3, 0x80000000, v3
	s_nop 0
	v_cndmask_b32_e32 v9, v9, v11, vcc
	v_cndmask_b32_e32 v5, v7, v5, vcc
	v_mov_b32_e32 v7, 0x37800000
	v_lshlrev_b32_e32 v5, 21, v5
	v_lshl_add_u32 v7, v9, 23, v7
	v_or3_b32 v3, v3, v7, v5
.LBB401_1326:
	s_or_b64 exec, exec, s[10:11]
	s_mov_b64 s[8:9], 0
	s_branch .LBB401_1332
.LBB401_1327:
	s_mov_b64 s[8:9], -1
                                        ; implicit-def: $vgpr3
	s_branch .LBB401_1338
.LBB401_1328:
	s_or_saveexec_b64 s[12:13], s[12:13]
	v_mov_b32_e32 v3, 0x7f800001
	s_xor_b64 exec, exec, s[12:13]
	s_cbranch_execz .LBB401_1312
.LBB401_1329:
	v_cmp_ne_u16_e32 vcc, 0, v5
	s_andn2_b64 s[10:11], s[10:11], exec
	s_and_b64 s[14:15], vcc, exec
	v_mov_b32_e32 v3, 0
	s_or_b64 s[10:11], s[10:11], s[14:15]
	s_or_b64 exec, exec, s[12:13]
	s_and_saveexec_b64 s[12:13], s[10:11]
	s_cbranch_execnz .LBB401_1313
	s_branch .LBB401_1314
.LBB401_1330:
	s_mov_b64 s[8:9], -1
                                        ; implicit-def: $vgpr3
	s_branch .LBB401_1335
.LBB401_1331:
	s_mov_b64 s[8:9], -1
                                        ; implicit-def: $vgpr3
.LBB401_1332:
	s_and_b64 vcc, exec, s[8:9]
	s_cbranch_vccz .LBB401_1334
; %bb.1333:
	global_load_ubyte v3, v[12:13], off
	s_mov_b32 s8, 0x7f800000
	s_waitcnt vmcnt(0)
	v_lshlrev_b32_e32 v3, 24, v3
	v_and_b32_e32 v5, 0x7f000000, v3
	v_ffbh_u32_e32 v7, v5
	v_min_u32_e32 v7, 32, v7
	v_sub_u32_e64 v7, v7, 4 clamp
	v_lshlrev_b32_e32 v11, v7, v5
	v_lshlrev_b32_e32 v7, 23, v7
	v_lshrrev_b32_e32 v11, 4, v11
	v_add_u32_e32 v9, 0x1000000, v5
	v_sub_u32_e32 v7, v11, v7
	v_ashrrev_i32_e32 v9, 8, v9
	v_add_u32_e32 v7, 0x3c000000, v7
	v_and_or_b32 v7, v9, s8, v7
	v_cmp_ne_u32_e32 vcc, 0, v5
	s_brev_b32 s8, 1
	s_nop 0
	v_cndmask_b32_e32 v5, 0, v7, vcc
	v_and_or_b32 v3, v3, s8, v5
.LBB401_1334:
	s_mov_b64 s[8:9], 0
.LBB401_1335:
	s_andn2_b64 vcc, exec, s[8:9]
	s_cbranch_vccnz .LBB401_1337
; %bb.1336:
	global_load_ubyte v3, v[12:13], off
	s_movk_i32 s8, 0x7f00
	s_brev_b32 s9, 16
	s_waitcnt vmcnt(0)
	v_lshlrev_b16_e32 v5, 8, v3
	v_lshlrev_b32_e32 v3, 25, v3
	v_lshrrev_b32_e32 v7, 4, v3
	v_and_or_b32 v9, v5, s8, 0.5
	v_or_b32_e32 v7, 0x70000000, v7
	v_add_f32_e32 v9, -0.5, v9
	v_mul_f32_e32 v7, 0x7800000, v7
	v_cmp_gt_u32_e32 vcc, s9, v3
	v_bfe_i32 v5, v5, 0, 16
	s_brev_b32 s8, 1
	v_cndmask_b32_e32 v3, v7, v9, vcc
	v_and_or_b32 v3, v5, s8, v3
.LBB401_1337:
	s_mov_b64 s[8:9], 0
	s_mov_b64 s[10:11], -1
.LBB401_1338:
	s_andn2_b64 vcc, exec, s[8:9]
	s_mov_b64 s[8:9], 0
	s_cbranch_vccnz .LBB401_1349
; %bb.1339:
	s_cmp_gt_i32 s17, 14
	s_cbranch_scc0 .LBB401_1342
; %bb.1340:
	s_cmp_eq_u32 s17, 15
	s_cbranch_scc0 .LBB401_1345
; %bb.1341:
	global_load_ushort v3, v[12:13], off
	s_mov_b64 s[0:1], 0
	s_mov_b64 s[10:11], -1
	s_waitcnt vmcnt(0)
	v_lshlrev_b32_e32 v3, 16, v3
	s_branch .LBB401_1346
.LBB401_1342:
	s_mov_b64 s[12:13], -1
                                        ; implicit-def: $vgpr3
	s_branch .LBB401_1347
.LBB401_1343:
	s_or_saveexec_b64 s[10:11], s[10:11]
	v_mov_b32_e32 v3, 0x7f800001
	s_xor_b64 exec, exec, s[10:11]
	s_cbranch_execz .LBB401_1324
.LBB401_1344:
	v_cmp_ne_u16_e32 vcc, 0, v5
	s_andn2_b64 s[8:9], s[8:9], exec
	s_and_b64 s[12:13], vcc, exec
	v_mov_b32_e32 v3, 0
	s_or_b64 s[8:9], s[8:9], s[12:13]
	s_or_b64 exec, exec, s[10:11]
	s_and_saveexec_b64 s[10:11], s[8:9]
	s_cbranch_execnz .LBB401_1325
	s_branch .LBB401_1326
.LBB401_1345:
	s_mov_b64 s[0:1], -1
                                        ; implicit-def: $vgpr3
.LBB401_1346:
	s_mov_b64 s[12:13], 0
.LBB401_1347:
	s_and_b64 vcc, exec, s[12:13]
	s_cbranch_vccz .LBB401_1349
; %bb.1348:
	s_cmp_lg_u32 s17, 11
	s_mov_b64 s[8:9], -1
	s_cselect_b64 s[0:1], -1, 0
.LBB401_1349:
	s_and_b64 vcc, exec, s[0:1]
	s_cbranch_vccnz .LBB401_1412
; %bb.1350:
	s_andn2_b64 vcc, exec, s[8:9]
	s_cbranch_vccnz .LBB401_1352
.LBB401_1351:
	global_load_ubyte v3, v[12:13], off
	s_mov_b64 s[10:11], -1
	s_waitcnt vmcnt(0)
	v_cmp_ne_u16_e32 vcc, 0, v3
	s_nop 1
	v_cndmask_b32_e64 v3, 0, 1.0, vcc
.LBB401_1352:
	s_branch .LBB401_1279
.LBB401_1353:
	s_and_b32 s8, 0xffff, s16
	s_cmp_lt_i32 s8, 5
	s_cbranch_scc1 .LBB401_1358
; %bb.1354:
	s_cmp_lt_i32 s8, 8
	s_cbranch_scc1 .LBB401_1359
; %bb.1355:
	s_cmp_lt_i32 s8, 9
	s_cbranch_scc1 .LBB401_1360
; %bb.1356:
	s_cmp_gt_i32 s8, 9
	s_cbranch_scc0 .LBB401_1361
; %bb.1357:
	global_load_dwordx2 v[14:15], v[12:13], off
	s_mov_b64 s[0:1], 0
	s_waitcnt vmcnt(0)
	v_cvt_f32_f64_e32 v3, v[14:15]
	s_branch .LBB401_1362
.LBB401_1358:
                                        ; implicit-def: $vgpr3
	s_branch .LBB401_1380
.LBB401_1359:
	s_mov_b64 s[0:1], -1
                                        ; implicit-def: $vgpr3
	s_branch .LBB401_1368
.LBB401_1360:
	s_mov_b64 s[0:1], -1
                                        ; implicit-def: $vgpr3
	s_branch .LBB401_1365
.LBB401_1361:
	s_mov_b64 s[0:1], -1
                                        ; implicit-def: $vgpr3
.LBB401_1362:
	s_andn2_b64 vcc, exec, s[0:1]
	s_cbranch_vccnz .LBB401_1364
; %bb.1363:
	global_load_dword v3, v[12:13], off
.LBB401_1364:
	s_mov_b64 s[0:1], 0
.LBB401_1365:
	s_andn2_b64 vcc, exec, s[0:1]
	s_cbranch_vccnz .LBB401_1367
; %bb.1366:
	global_load_dword v3, v[12:13], off
	s_waitcnt vmcnt(0)
	v_cvt_f32_f16_e32 v3, v3
.LBB401_1367:
	s_mov_b64 s[0:1], 0
.LBB401_1368:
	s_andn2_b64 vcc, exec, s[0:1]
	s_cbranch_vccnz .LBB401_1379
; %bb.1369:
	s_cmp_lt_i32 s8, 6
	s_cbranch_scc1 .LBB401_1372
; %bb.1370:
	s_cmp_gt_i32 s8, 6
	s_cbranch_scc0 .LBB401_1373
; %bb.1371:
	global_load_dwordx2 v[14:15], v[12:13], off
	s_mov_b64 s[0:1], 0
	s_waitcnt vmcnt(0)
	v_cvt_f32_f64_e32 v3, v[14:15]
	s_branch .LBB401_1374
.LBB401_1372:
	s_mov_b64 s[0:1], -1
                                        ; implicit-def: $vgpr3
	s_branch .LBB401_1377
.LBB401_1373:
	s_mov_b64 s[0:1], -1
                                        ; implicit-def: $vgpr3
.LBB401_1374:
	s_andn2_b64 vcc, exec, s[0:1]
	s_cbranch_vccnz .LBB401_1376
; %bb.1375:
	global_load_dword v3, v[12:13], off
.LBB401_1376:
	s_mov_b64 s[0:1], 0
.LBB401_1377:
	s_andn2_b64 vcc, exec, s[0:1]
	s_cbranch_vccnz .LBB401_1379
; %bb.1378:
	global_load_ushort v3, v[12:13], off
	s_waitcnt vmcnt(0)
	v_cvt_f32_f16_e32 v3, v3
.LBB401_1379:
	s_cbranch_execnz .LBB401_1399
.LBB401_1380:
	s_cmp_lt_i32 s8, 2
	s_cbranch_scc1 .LBB401_1384
; %bb.1381:
	s_cmp_lt_i32 s8, 3
	s_cbranch_scc1 .LBB401_1385
; %bb.1382:
	s_cmp_gt_i32 s8, 3
	s_cbranch_scc0 .LBB401_1386
; %bb.1383:
	global_load_dwordx2 v[14:15], v[12:13], off
	s_mov_b64 s[0:1], 0
	s_waitcnt vmcnt(0)
	v_xor_b32_e32 v5, v14, v15
	v_ffbh_i32_e32 v3, v15
	v_ashrrev_i32_e32 v5, 31, v5
	v_add_u32_e32 v3, -1, v3
	v_add_u32_e32 v5, 32, v5
	v_min_u32_e32 v3, v3, v5
	v_lshlrev_b64 v[14:15], v3, v[14:15]
	v_min_u32_e32 v5, 1, v14
	v_or_b32_e32 v5, v15, v5
	v_cvt_f32_i32_e32 v5, v5
	v_sub_u32_e32 v3, 32, v3
	v_ldexp_f32 v3, v5, v3
	s_branch .LBB401_1387
.LBB401_1384:
	s_mov_b64 s[0:1], -1
                                        ; implicit-def: $vgpr3
	s_branch .LBB401_1393
.LBB401_1385:
	s_mov_b64 s[0:1], -1
                                        ; implicit-def: $vgpr3
	s_branch .LBB401_1390
.LBB401_1386:
	s_mov_b64 s[0:1], -1
                                        ; implicit-def: $vgpr3
.LBB401_1387:
	s_andn2_b64 vcc, exec, s[0:1]
	s_cbranch_vccnz .LBB401_1389
; %bb.1388:
	global_load_dword v3, v[12:13], off
	s_waitcnt vmcnt(0)
	v_cvt_f32_i32_e32 v3, v3
.LBB401_1389:
	s_mov_b64 s[0:1], 0
.LBB401_1390:
	s_andn2_b64 vcc, exec, s[0:1]
	s_cbranch_vccnz .LBB401_1392
; %bb.1391:
	global_load_sshort v3, v[12:13], off
	s_waitcnt vmcnt(0)
	v_cvt_f32_i32_e32 v3, v3
.LBB401_1392:
	s_mov_b64 s[0:1], 0
.LBB401_1393:
	s_andn2_b64 vcc, exec, s[0:1]
	s_cbranch_vccnz .LBB401_1399
; %bb.1394:
	s_cmp_gt_i32 s8, 0
	s_cbranch_scc0 .LBB401_1396
; %bb.1395:
	global_load_sbyte v3, v[12:13], off
	s_mov_b64 s[0:1], 0
	s_waitcnt vmcnt(0)
	v_cvt_f32_i32_e32 v3, v3
	s_branch .LBB401_1397
.LBB401_1396:
	s_mov_b64 s[0:1], -1
                                        ; implicit-def: $vgpr3
.LBB401_1397:
	s_andn2_b64 vcc, exec, s[0:1]
	s_cbranch_vccnz .LBB401_1399
; %bb.1398:
	global_load_ubyte v3, v[12:13], off
	s_waitcnt vmcnt(0)
	v_cvt_f32_ubyte0_e32 v3, v3
.LBB401_1399:
.LBB401_1400:
	v_mov_b32_e32 v11, 0
	s_cmp_lt_i32 s16, 11
	v_lshl_add_u64 v[10:11], s[6:7], 0, v[10:11]
	s_cbranch_scc1 .LBB401_1407
; %bb.1401:
	s_and_b32 s17, 0xffff, s16
	s_cmp_gt_i32 s17, 25
	s_mov_b64 s[8:9], 0
	s_cbranch_scc0 .LBB401_1409
; %bb.1402:
	s_cmp_gt_i32 s17, 28
	s_cbranch_scc0 .LBB401_1410
; %bb.1403:
	s_cmp_gt_i32 s17, 43
	;; [unrolled: 3-line block ×3, first 2 shown]
	s_cbranch_scc0 .LBB401_1413
; %bb.1405:
	s_cmp_eq_u32 s17, 46
	s_mov_b64 s[12:13], 0
	s_cbranch_scc0 .LBB401_1414
; %bb.1406:
	global_load_dword v5, v[10:11], off
	s_mov_b64 s[0:1], 0
	s_mov_b64 s[10:11], -1
	s_waitcnt vmcnt(0)
	v_lshlrev_b32_e32 v12, 16, v5
	s_branch .LBB401_1415
.LBB401_1407:
	s_mov_b64 s[10:11], 0
                                        ; implicit-def: $vgpr12
	s_cbranch_execnz .LBB401_1481
.LBB401_1408:
	s_andn2_b64 vcc, exec, s[10:11]
	s_cbranch_vccnz .LBB401_2092
	s_branch .LBB401_1529
.LBB401_1409:
	s_mov_b64 s[12:13], -1
	s_mov_b64 s[10:11], 0
	s_mov_b64 s[0:1], 0
                                        ; implicit-def: $vgpr12
	s_branch .LBB401_1444
.LBB401_1410:
	s_mov_b64 s[12:13], -1
	s_mov_b64 s[10:11], 0
	s_mov_b64 s[0:1], 0
                                        ; implicit-def: $vgpr12
	s_branch .LBB401_1425
.LBB401_1411:
	s_mov_b64 s[12:13], -1
	s_mov_b64 s[10:11], 0
	s_mov_b64 s[0:1], 0
                                        ; implicit-def: $vgpr12
	s_branch .LBB401_1420
.LBB401_1412:
	s_trap 2
	s_or_b64 s[2:3], s[2:3], exec
	s_cbranch_execz .LBB401_1351
	s_branch .LBB401_1352
.LBB401_1413:
	s_mov_b64 s[12:13], -1
	s_mov_b64 s[10:11], 0
	s_mov_b64 s[0:1], 0
                                        ; implicit-def: $vgpr12
	s_branch .LBB401_1415
.LBB401_1414:
	s_mov_b64 s[0:1], -1
                                        ; implicit-def: $vgpr12
	s_mov_b64 s[10:11], 0
.LBB401_1415:
	s_and_b64 vcc, exec, s[12:13]
	s_cbranch_vccz .LBB401_1419
; %bb.1416:
	s_cmp_eq_u32 s17, 44
	s_cbranch_scc0 .LBB401_1418
; %bb.1417:
	global_load_ubyte v5, v[10:11], off
	s_movk_i32 s10, 0xff
	v_mov_b32_e32 v7, 0x7f800001
	v_mov_b32_e32 v9, 0x400000
	s_mov_b64 s[0:1], 0
	s_waitcnt vmcnt(0)
	v_lshlrev_b32_e32 v12, 23, v5
	v_cmp_ne_u32_e32 vcc, s10, v5
	s_mov_b64 s[10:11], -1
	s_nop 0
	v_cndmask_b32_e32 v7, v7, v12, vcc
	v_cmp_ne_u32_e32 vcc, 0, v5
	s_nop 1
	v_cndmask_b32_e32 v12, v9, v7, vcc
	s_branch .LBB401_1419
.LBB401_1418:
	s_mov_b64 s[0:1], -1
                                        ; implicit-def: $vgpr12
.LBB401_1419:
	s_mov_b64 s[12:13], 0
.LBB401_1420:
	s_and_b64 vcc, exec, s[12:13]
	s_cbranch_vccz .LBB401_1424
; %bb.1421:
	s_cmp_eq_u32 s17, 29
	s_cbranch_scc0 .LBB401_1423
; %bb.1422:
	global_load_dwordx2 v[12:13], v[10:11], off
	s_mov_b64 s[0:1], 0
	s_mov_b64 s[10:11], -1
	s_mov_b64 s[12:13], 0
	s_waitcnt vmcnt(0)
	v_ffbh_u32_e32 v5, v13
	v_min_u32_e32 v5, 32, v5
	v_lshlrev_b64 v[12:13], v5, v[12:13]
	v_min_u32_e32 v7, 1, v12
	v_or_b32_e32 v7, v13, v7
	v_cvt_f32_u32_e32 v7, v7
	v_sub_u32_e32 v5, 32, v5
	v_ldexp_f32 v12, v7, v5
	s_branch .LBB401_1425
.LBB401_1423:
	s_mov_b64 s[0:1], -1
                                        ; implicit-def: $vgpr12
.LBB401_1424:
	s_mov_b64 s[12:13], 0
.LBB401_1425:
	s_and_b64 vcc, exec, s[12:13]
	s_cbranch_vccz .LBB401_1443
; %bb.1426:
	s_cmp_lt_i32 s17, 27
	s_cbranch_scc1 .LBB401_1429
; %bb.1427:
	s_cmp_gt_i32 s17, 27
	s_cbranch_scc0 .LBB401_1430
; %bb.1428:
	global_load_dword v5, v[10:11], off
	s_mov_b64 s[10:11], 0
	s_waitcnt vmcnt(0)
	v_cvt_f32_u32_e32 v12, v5
	s_branch .LBB401_1431
.LBB401_1429:
	s_mov_b64 s[10:11], -1
                                        ; implicit-def: $vgpr12
	s_branch .LBB401_1434
.LBB401_1430:
	s_mov_b64 s[10:11], -1
                                        ; implicit-def: $vgpr12
.LBB401_1431:
	s_andn2_b64 vcc, exec, s[10:11]
	s_cbranch_vccnz .LBB401_1433
; %bb.1432:
	global_load_ushort v5, v[10:11], off
	s_waitcnt vmcnt(0)
	v_cvt_f32_u32_e32 v12, v5
.LBB401_1433:
	s_mov_b64 s[10:11], 0
.LBB401_1434:
	s_andn2_b64 vcc, exec, s[10:11]
	s_cbranch_vccnz .LBB401_1442
; %bb.1435:
	global_load_ubyte v5, v[10:11], off
	s_movk_i32 s10, 0x7f
	s_waitcnt vmcnt(0)
	v_cmp_lt_i16_e32 vcc, s10, v5
	s_mov_b64 s[10:11], 0
	s_and_saveexec_b64 s[12:13], vcc
	s_xor_b64 s[12:13], exec, s[12:13]
	s_cbranch_execz .LBB401_1456
; %bb.1436:
	s_movk_i32 s10, 0x80
	v_cmp_eq_u16_e32 vcc, s10, v5
	s_mov_b64 s[10:11], -1
	s_and_saveexec_b64 s[14:15], vcc
; %bb.1437:
	s_xor_b64 s[10:11], exec, -1
; %bb.1438:
	s_or_b64 exec, exec, s[14:15]
	s_and_b64 s[10:11], s[10:11], exec
	s_or_saveexec_b64 s[12:13], s[12:13]
	v_mov_b32_e32 v12, 0x7f800001
	s_xor_b64 exec, exec, s[12:13]
	s_cbranch_execnz .LBB401_1457
.LBB401_1439:
	s_or_b64 exec, exec, s[12:13]
	s_and_saveexec_b64 s[12:13], s[10:11]
	s_cbranch_execz .LBB401_1441
.LBB401_1440:
	v_lshlrev_b32_e32 v7, 24, v5
	v_and_b32_e32 v5, 0xffff, v5
	v_and_b32_e32 v9, 7, v5
	v_ffbh_u32_e32 v13, v9
	v_min_u32_e32 v13, 32, v13
	v_subrev_u32_e32 v14, 28, v13
	v_bfe_u32 v12, v5, 3, 4
	v_lshlrev_b32_e32 v5, v14, v5
	v_sub_u32_e32 v13, 29, v13
	v_and_b32_e32 v5, 7, v5
	v_cmp_eq_u32_e32 vcc, 0, v12
	v_and_b32_e32 v7, 0x80000000, v7
	s_nop 0
	v_cndmask_b32_e32 v12, v12, v13, vcc
	v_cndmask_b32_e32 v5, v9, v5, vcc
	v_mov_b32_e32 v9, 0x3b800000
	v_lshlrev_b32_e32 v5, 20, v5
	v_lshl_add_u32 v9, v12, 23, v9
	v_or3_b32 v12, v7, v9, v5
.LBB401_1441:
	s_or_b64 exec, exec, s[12:13]
.LBB401_1442:
	s_mov_b64 s[10:11], -1
.LBB401_1443:
	s_mov_b64 s[12:13], 0
.LBB401_1444:
	s_and_b64 vcc, exec, s[12:13]
	s_cbranch_vccz .LBB401_1477
; %bb.1445:
	s_cmp_gt_i32 s17, 22
	s_cbranch_scc0 .LBB401_1455
; %bb.1446:
	s_cmp_lt_i32 s17, 24
	s_cbranch_scc1 .LBB401_1458
; %bb.1447:
	s_cmp_gt_i32 s17, 24
	s_cbranch_scc0 .LBB401_1459
; %bb.1448:
	global_load_ubyte v5, v[10:11], off
	s_movk_i32 s8, 0x7f
	s_waitcnt vmcnt(0)
	v_cmp_lt_i16_e32 vcc, s8, v5
	s_mov_b64 s[8:9], 0
	s_and_saveexec_b64 s[10:11], vcc
	s_xor_b64 s[10:11], exec, s[10:11]
	s_cbranch_execz .LBB401_1471
; %bb.1449:
	s_movk_i32 s8, 0x80
	v_cmp_eq_u16_e32 vcc, s8, v5
	s_mov_b64 s[8:9], -1
	s_and_saveexec_b64 s[12:13], vcc
; %bb.1450:
	s_xor_b64 s[8:9], exec, -1
; %bb.1451:
	s_or_b64 exec, exec, s[12:13]
	s_and_b64 s[8:9], s[8:9], exec
	s_or_saveexec_b64 s[10:11], s[10:11]
	v_mov_b32_e32 v12, 0x7f800001
	s_xor_b64 exec, exec, s[10:11]
	s_cbranch_execnz .LBB401_1472
.LBB401_1452:
	s_or_b64 exec, exec, s[10:11]
	s_and_saveexec_b64 s[10:11], s[8:9]
	s_cbranch_execz .LBB401_1454
.LBB401_1453:
	v_lshlrev_b32_e32 v7, 24, v5
	v_and_b32_e32 v5, 0xffff, v5
	v_and_b32_e32 v9, 3, v5
	v_ffbh_u32_e32 v13, v9
	v_min_u32_e32 v13, 32, v13
	v_subrev_u32_e32 v14, 29, v13
	v_bfe_u32 v12, v5, 2, 5
	v_lshlrev_b32_e32 v5, v14, v5
	v_sub_u32_e32 v13, 30, v13
	v_and_b32_e32 v5, 3, v5
	v_cmp_eq_u32_e32 vcc, 0, v12
	v_and_b32_e32 v7, 0x80000000, v7
	s_nop 0
	v_cndmask_b32_e32 v12, v12, v13, vcc
	v_cndmask_b32_e32 v5, v9, v5, vcc
	v_mov_b32_e32 v9, 0x37800000
	v_lshlrev_b32_e32 v5, 21, v5
	v_lshl_add_u32 v9, v12, 23, v9
	v_or3_b32 v12, v7, v9, v5
.LBB401_1454:
	s_or_b64 exec, exec, s[10:11]
	s_mov_b64 s[8:9], 0
	s_branch .LBB401_1460
.LBB401_1455:
	s_mov_b64 s[8:9], -1
                                        ; implicit-def: $vgpr12
	s_branch .LBB401_1466
.LBB401_1456:
	s_or_saveexec_b64 s[12:13], s[12:13]
	v_mov_b32_e32 v12, 0x7f800001
	s_xor_b64 exec, exec, s[12:13]
	s_cbranch_execz .LBB401_1439
.LBB401_1457:
	v_cmp_ne_u16_e32 vcc, 0, v5
	s_andn2_b64 s[10:11], s[10:11], exec
	s_and_b64 s[14:15], vcc, exec
	v_mov_b32_e32 v12, 0
	s_or_b64 s[10:11], s[10:11], s[14:15]
	s_or_b64 exec, exec, s[12:13]
	s_and_saveexec_b64 s[12:13], s[10:11]
	s_cbranch_execnz .LBB401_1440
	s_branch .LBB401_1441
.LBB401_1458:
	s_mov_b64 s[8:9], -1
                                        ; implicit-def: $vgpr12
	s_branch .LBB401_1463
.LBB401_1459:
	s_mov_b64 s[8:9], -1
                                        ; implicit-def: $vgpr12
.LBB401_1460:
	s_and_b64 vcc, exec, s[8:9]
	s_cbranch_vccz .LBB401_1462
; %bb.1461:
	global_load_ubyte v5, v[10:11], off
	s_mov_b32 s8, 0x7f800000
	s_waitcnt vmcnt(0)
	v_lshlrev_b32_e32 v5, 24, v5
	v_and_b32_e32 v7, 0x7f000000, v5
	v_ffbh_u32_e32 v9, v7
	v_min_u32_e32 v9, 32, v9
	v_sub_u32_e64 v9, v9, 4 clamp
	v_lshlrev_b32_e32 v13, v9, v7
	v_lshlrev_b32_e32 v9, 23, v9
	v_lshrrev_b32_e32 v13, 4, v13
	v_add_u32_e32 v12, 0x1000000, v7
	v_sub_u32_e32 v9, v13, v9
	v_ashrrev_i32_e32 v12, 8, v12
	v_add_u32_e32 v9, 0x3c000000, v9
	v_and_or_b32 v9, v12, s8, v9
	v_cmp_ne_u32_e32 vcc, 0, v7
	s_brev_b32 s8, 1
	s_nop 0
	v_cndmask_b32_e32 v7, 0, v9, vcc
	v_and_or_b32 v12, v5, s8, v7
.LBB401_1462:
	s_mov_b64 s[8:9], 0
.LBB401_1463:
	s_andn2_b64 vcc, exec, s[8:9]
	s_cbranch_vccnz .LBB401_1465
; %bb.1464:
	global_load_ubyte v5, v[10:11], off
	s_movk_i32 s8, 0x7f00
	s_brev_b32 s9, 16
	s_waitcnt vmcnt(0)
	v_lshlrev_b16_e32 v7, 8, v5
	v_lshlrev_b32_e32 v5, 25, v5
	v_lshrrev_b32_e32 v9, 4, v5
	v_and_or_b32 v12, v7, s8, 0.5
	v_or_b32_e32 v9, 0x70000000, v9
	v_add_f32_e32 v12, -0.5, v12
	v_mul_f32_e32 v9, 0x7800000, v9
	v_cmp_gt_u32_e32 vcc, s9, v5
	v_bfe_i32 v7, v7, 0, 16
	s_brev_b32 s8, 1
	v_cndmask_b32_e32 v5, v9, v12, vcc
	v_and_or_b32 v12, v7, s8, v5
.LBB401_1465:
	s_mov_b64 s[8:9], 0
	s_mov_b64 s[10:11], -1
.LBB401_1466:
	s_andn2_b64 vcc, exec, s[8:9]
	s_mov_b64 s[8:9], 0
	s_cbranch_vccnz .LBB401_1477
; %bb.1467:
	s_cmp_gt_i32 s17, 14
	s_cbranch_scc0 .LBB401_1470
; %bb.1468:
	s_cmp_eq_u32 s17, 15
	s_cbranch_scc0 .LBB401_1473
; %bb.1469:
	global_load_ushort v5, v[10:11], off
	s_mov_b64 s[0:1], 0
	s_mov_b64 s[10:11], -1
	s_waitcnt vmcnt(0)
	v_lshlrev_b32_e32 v12, 16, v5
	s_branch .LBB401_1474
.LBB401_1470:
	s_mov_b64 s[12:13], -1
                                        ; implicit-def: $vgpr12
	s_branch .LBB401_1475
.LBB401_1471:
	s_or_saveexec_b64 s[10:11], s[10:11]
	v_mov_b32_e32 v12, 0x7f800001
	s_xor_b64 exec, exec, s[10:11]
	s_cbranch_execz .LBB401_1452
.LBB401_1472:
	v_cmp_ne_u16_e32 vcc, 0, v5
	s_andn2_b64 s[8:9], s[8:9], exec
	s_and_b64 s[12:13], vcc, exec
	v_mov_b32_e32 v12, 0
	s_or_b64 s[8:9], s[8:9], s[12:13]
	s_or_b64 exec, exec, s[10:11]
	s_and_saveexec_b64 s[10:11], s[8:9]
	s_cbranch_execnz .LBB401_1453
	s_branch .LBB401_1454
.LBB401_1473:
	s_mov_b64 s[0:1], -1
                                        ; implicit-def: $vgpr12
.LBB401_1474:
	s_mov_b64 s[12:13], 0
.LBB401_1475:
	s_and_b64 vcc, exec, s[12:13]
	s_cbranch_vccz .LBB401_1477
; %bb.1476:
	s_cmp_lg_u32 s17, 11
	s_mov_b64 s[8:9], -1
	s_cselect_b64 s[0:1], -1, 0
.LBB401_1477:
	s_and_b64 vcc, exec, s[0:1]
	s_cbranch_vccnz .LBB401_1540
; %bb.1478:
	s_andn2_b64 vcc, exec, s[8:9]
	s_cbranch_vccnz .LBB401_1480
.LBB401_1479:
	global_load_ubyte v5, v[10:11], off
	s_mov_b64 s[10:11], -1
	s_waitcnt vmcnt(0)
	v_cmp_ne_u16_e32 vcc, 0, v5
	s_nop 1
	v_cndmask_b32_e64 v12, 0, 1.0, vcc
.LBB401_1480:
	s_branch .LBB401_1408
.LBB401_1481:
	s_and_b32 s8, 0xffff, s16
	s_cmp_lt_i32 s8, 5
	s_cbranch_scc1 .LBB401_1486
; %bb.1482:
	s_cmp_lt_i32 s8, 8
	s_cbranch_scc1 .LBB401_1487
; %bb.1483:
	;; [unrolled: 3-line block ×3, first 2 shown]
	s_cmp_gt_i32 s8, 9
	s_cbranch_scc0 .LBB401_1489
; %bb.1485:
	global_load_dwordx2 v[12:13], v[10:11], off
	s_mov_b64 s[0:1], 0
	s_waitcnt vmcnt(0)
	v_cvt_f32_f64_e32 v12, v[12:13]
	s_branch .LBB401_1490
.LBB401_1486:
	s_mov_b64 s[0:1], -1
                                        ; implicit-def: $vgpr12
	s_branch .LBB401_1508
.LBB401_1487:
	s_mov_b64 s[0:1], -1
                                        ; implicit-def: $vgpr12
	s_branch .LBB401_1496
.LBB401_1488:
	s_mov_b64 s[0:1], -1
                                        ; implicit-def: $vgpr12
	s_branch .LBB401_1493
.LBB401_1489:
	s_mov_b64 s[0:1], -1
                                        ; implicit-def: $vgpr12
.LBB401_1490:
	s_andn2_b64 vcc, exec, s[0:1]
	s_cbranch_vccnz .LBB401_1492
; %bb.1491:
	global_load_dword v12, v[10:11], off
.LBB401_1492:
	s_mov_b64 s[0:1], 0
.LBB401_1493:
	s_andn2_b64 vcc, exec, s[0:1]
	s_cbranch_vccnz .LBB401_1495
; %bb.1494:
	global_load_dword v5, v[10:11], off
	s_waitcnt vmcnt(0)
	v_cvt_f32_f16_e32 v12, v5
.LBB401_1495:
	s_mov_b64 s[0:1], 0
.LBB401_1496:
	s_andn2_b64 vcc, exec, s[0:1]
	s_cbranch_vccnz .LBB401_1507
; %bb.1497:
	s_cmp_lt_i32 s8, 6
	s_cbranch_scc1 .LBB401_1500
; %bb.1498:
	s_cmp_gt_i32 s8, 6
	s_cbranch_scc0 .LBB401_1501
; %bb.1499:
	global_load_dwordx2 v[12:13], v[10:11], off
	s_mov_b64 s[0:1], 0
	s_waitcnt vmcnt(0)
	v_cvt_f32_f64_e32 v12, v[12:13]
	s_branch .LBB401_1502
.LBB401_1500:
	s_mov_b64 s[0:1], -1
                                        ; implicit-def: $vgpr12
	s_branch .LBB401_1505
.LBB401_1501:
	s_mov_b64 s[0:1], -1
                                        ; implicit-def: $vgpr12
.LBB401_1502:
	s_andn2_b64 vcc, exec, s[0:1]
	s_cbranch_vccnz .LBB401_1504
; %bb.1503:
	global_load_dword v12, v[10:11], off
.LBB401_1504:
	s_mov_b64 s[0:1], 0
.LBB401_1505:
	s_andn2_b64 vcc, exec, s[0:1]
	s_cbranch_vccnz .LBB401_1507
; %bb.1506:
	global_load_ushort v5, v[10:11], off
	s_waitcnt vmcnt(0)
	v_cvt_f32_f16_e32 v12, v5
.LBB401_1507:
	s_mov_b64 s[0:1], 0
.LBB401_1508:
	s_andn2_b64 vcc, exec, s[0:1]
	s_cbranch_vccnz .LBB401_1528
; %bb.1509:
	s_cmp_lt_i32 s8, 2
	s_cbranch_scc1 .LBB401_1513
; %bb.1510:
	s_cmp_lt_i32 s8, 3
	s_cbranch_scc1 .LBB401_1514
; %bb.1511:
	s_cmp_gt_i32 s8, 3
	s_cbranch_scc0 .LBB401_1515
; %bb.1512:
	global_load_dwordx2 v[12:13], v[10:11], off
	s_mov_b64 s[0:1], 0
	s_waitcnt vmcnt(0)
	v_xor_b32_e32 v7, v12, v13
	v_ffbh_i32_e32 v5, v13
	v_ashrrev_i32_e32 v7, 31, v7
	v_add_u32_e32 v5, -1, v5
	v_add_u32_e32 v7, 32, v7
	v_min_u32_e32 v5, v5, v7
	v_lshlrev_b64 v[12:13], v5, v[12:13]
	v_min_u32_e32 v7, 1, v12
	v_or_b32_e32 v7, v13, v7
	v_cvt_f32_i32_e32 v7, v7
	v_sub_u32_e32 v5, 32, v5
	v_ldexp_f32 v12, v7, v5
	s_branch .LBB401_1516
.LBB401_1513:
	s_mov_b64 s[0:1], -1
                                        ; implicit-def: $vgpr12
	s_branch .LBB401_1522
.LBB401_1514:
	s_mov_b64 s[0:1], -1
                                        ; implicit-def: $vgpr12
	s_branch .LBB401_1519
.LBB401_1515:
	s_mov_b64 s[0:1], -1
                                        ; implicit-def: $vgpr12
.LBB401_1516:
	s_andn2_b64 vcc, exec, s[0:1]
	s_cbranch_vccnz .LBB401_1518
; %bb.1517:
	global_load_dword v5, v[10:11], off
	s_waitcnt vmcnt(0)
	v_cvt_f32_i32_e32 v12, v5
.LBB401_1518:
	s_mov_b64 s[0:1], 0
.LBB401_1519:
	s_andn2_b64 vcc, exec, s[0:1]
	s_cbranch_vccnz .LBB401_1521
; %bb.1520:
	global_load_sshort v5, v[10:11], off
	s_waitcnt vmcnt(0)
	v_cvt_f32_i32_e32 v12, v5
.LBB401_1521:
	s_mov_b64 s[0:1], 0
.LBB401_1522:
	s_andn2_b64 vcc, exec, s[0:1]
	s_cbranch_vccnz .LBB401_1528
; %bb.1523:
	s_cmp_gt_i32 s8, 0
	s_cbranch_scc0 .LBB401_1525
; %bb.1524:
	global_load_sbyte v5, v[10:11], off
	s_mov_b64 s[0:1], 0
	s_waitcnt vmcnt(0)
	v_cvt_f32_i32_e32 v12, v5
	s_branch .LBB401_1526
.LBB401_1525:
	s_mov_b64 s[0:1], -1
                                        ; implicit-def: $vgpr12
.LBB401_1526:
	s_andn2_b64 vcc, exec, s[0:1]
	s_cbranch_vccnz .LBB401_1528
; %bb.1527:
	global_load_ubyte v5, v[10:11], off
	s_waitcnt vmcnt(0)
	v_cvt_f32_ubyte0_e32 v12, v5
.LBB401_1528:
.LBB401_1529:
	v_mov_b32_e32 v9, 0
	s_cmp_lt_i32 s16, 11
	v_lshl_add_u64 v[8:9], s[6:7], 0, v[8:9]
	s_cbranch_scc1 .LBB401_1536
; %bb.1530:
	s_and_b32 s14, 0xffff, s16
	s_cmp_gt_i32 s14, 25
	s_mov_b64 s[6:7], 0
	s_cbranch_scc0 .LBB401_1537
; %bb.1531:
	s_cmp_gt_i32 s14, 28
	s_cbranch_scc0 .LBB401_1538
; %bb.1532:
	s_cmp_gt_i32 s14, 43
	;; [unrolled: 3-line block ×3, first 2 shown]
	s_cbranch_scc0 .LBB401_1541
; %bb.1534:
	s_cmp_eq_u32 s14, 46
	s_mov_b64 s[10:11], 0
	s_cbranch_scc0 .LBB401_1542
; %bb.1535:
	global_load_dword v5, v[8:9], off
	s_mov_b64 s[0:1], 0
	s_mov_b64 s[8:9], -1
	s_waitcnt vmcnt(0)
	v_lshlrev_b32_e32 v10, 16, v5
	s_branch .LBB401_1543
.LBB401_1536:
	s_mov_b64 s[0:1], -1
	s_mov_b64 s[8:9], 0
                                        ; implicit-def: $vgpr10
	s_branch .LBB401_1609
.LBB401_1537:
	s_mov_b64 s[10:11], -1
	s_mov_b64 s[8:9], 0
	s_mov_b64 s[0:1], 0
                                        ; implicit-def: $vgpr10
	s_branch .LBB401_1572
.LBB401_1538:
	s_mov_b64 s[10:11], -1
	s_mov_b64 s[8:9], 0
	s_mov_b64 s[0:1], 0
                                        ; implicit-def: $vgpr10
	s_branch .LBB401_1553
.LBB401_1539:
	s_mov_b64 s[10:11], -1
	s_mov_b64 s[8:9], 0
	s_mov_b64 s[0:1], 0
                                        ; implicit-def: $vgpr10
	s_branch .LBB401_1548
.LBB401_1540:
	s_trap 2
	s_or_b64 s[2:3], s[2:3], exec
	s_cbranch_execz .LBB401_1479
	s_branch .LBB401_1480
.LBB401_1541:
	s_mov_b64 s[10:11], -1
	s_mov_b64 s[8:9], 0
	s_mov_b64 s[0:1], 0
                                        ; implicit-def: $vgpr10
	s_branch .LBB401_1543
.LBB401_1542:
	s_mov_b64 s[0:1], -1
                                        ; implicit-def: $vgpr10
	s_mov_b64 s[8:9], 0
.LBB401_1543:
	s_and_b64 vcc, exec, s[10:11]
	s_cbranch_vccz .LBB401_1547
; %bb.1544:
	s_cmp_eq_u32 s14, 44
	s_cbranch_scc0 .LBB401_1546
; %bb.1545:
	global_load_ubyte v5, v[8:9], off
	s_movk_i32 s8, 0xff
	v_mov_b32_e32 v7, 0x7f800001
	v_mov_b32_e32 v10, 0x400000
	s_mov_b64 s[0:1], 0
	s_waitcnt vmcnt(0)
	v_lshlrev_b32_e32 v11, 23, v5
	v_cmp_ne_u32_e32 vcc, s8, v5
	s_mov_b64 s[8:9], -1
	s_nop 0
	v_cndmask_b32_e32 v7, v7, v11, vcc
	v_cmp_ne_u32_e32 vcc, 0, v5
	s_nop 1
	v_cndmask_b32_e32 v10, v10, v7, vcc
	s_branch .LBB401_1547
.LBB401_1546:
	s_mov_b64 s[0:1], -1
                                        ; implicit-def: $vgpr10
.LBB401_1547:
	s_mov_b64 s[10:11], 0
.LBB401_1548:
	s_and_b64 vcc, exec, s[10:11]
	s_cbranch_vccz .LBB401_1552
; %bb.1549:
	s_cmp_eq_u32 s14, 29
	s_cbranch_scc0 .LBB401_1551
; %bb.1550:
	global_load_dwordx2 v[10:11], v[8:9], off
	s_mov_b64 s[0:1], 0
	s_mov_b64 s[8:9], -1
	s_mov_b64 s[10:11], 0
	s_waitcnt vmcnt(0)
	v_ffbh_u32_e32 v5, v11
	v_min_u32_e32 v5, 32, v5
	v_lshlrev_b64 v[10:11], v5, v[10:11]
	v_min_u32_e32 v7, 1, v10
	v_or_b32_e32 v7, v11, v7
	v_cvt_f32_u32_e32 v7, v7
	v_sub_u32_e32 v5, 32, v5
	v_ldexp_f32 v10, v7, v5
	s_branch .LBB401_1553
.LBB401_1551:
	s_mov_b64 s[0:1], -1
                                        ; implicit-def: $vgpr10
.LBB401_1552:
	s_mov_b64 s[10:11], 0
.LBB401_1553:
	s_and_b64 vcc, exec, s[10:11]
	s_cbranch_vccz .LBB401_1571
; %bb.1554:
	s_cmp_lt_i32 s14, 27
	s_cbranch_scc1 .LBB401_1557
; %bb.1555:
	s_cmp_gt_i32 s14, 27
	s_cbranch_scc0 .LBB401_1558
; %bb.1556:
	global_load_dword v5, v[8:9], off
	s_mov_b64 s[8:9], 0
	s_waitcnt vmcnt(0)
	v_cvt_f32_u32_e32 v10, v5
	s_branch .LBB401_1559
.LBB401_1557:
	s_mov_b64 s[8:9], -1
                                        ; implicit-def: $vgpr10
	s_branch .LBB401_1562
.LBB401_1558:
	s_mov_b64 s[8:9], -1
                                        ; implicit-def: $vgpr10
.LBB401_1559:
	s_andn2_b64 vcc, exec, s[8:9]
	s_cbranch_vccnz .LBB401_1561
; %bb.1560:
	global_load_ushort v5, v[8:9], off
	s_waitcnt vmcnt(0)
	v_cvt_f32_u32_e32 v10, v5
.LBB401_1561:
	s_mov_b64 s[8:9], 0
.LBB401_1562:
	s_andn2_b64 vcc, exec, s[8:9]
	s_cbranch_vccnz .LBB401_1570
; %bb.1563:
	global_load_ubyte v5, v[8:9], off
	s_movk_i32 s8, 0x7f
	s_waitcnt vmcnt(0)
	v_cmp_lt_i16_e32 vcc, s8, v5
	s_mov_b64 s[8:9], 0
	s_and_saveexec_b64 s[10:11], vcc
	s_xor_b64 s[10:11], exec, s[10:11]
	s_cbranch_execz .LBB401_1584
; %bb.1564:
	s_movk_i32 s8, 0x80
	v_cmp_eq_u16_e32 vcc, s8, v5
	s_mov_b64 s[8:9], -1
	s_and_saveexec_b64 s[12:13], vcc
; %bb.1565:
	s_xor_b64 s[8:9], exec, -1
; %bb.1566:
	s_or_b64 exec, exec, s[12:13]
	s_and_b64 s[8:9], s[8:9], exec
	s_or_saveexec_b64 s[10:11], s[10:11]
	v_mov_b32_e32 v10, 0x7f800001
	s_xor_b64 exec, exec, s[10:11]
	s_cbranch_execnz .LBB401_1585
.LBB401_1567:
	s_or_b64 exec, exec, s[10:11]
	s_and_saveexec_b64 s[10:11], s[8:9]
	s_cbranch_execz .LBB401_1569
.LBB401_1568:
	v_lshlrev_b32_e32 v7, 24, v5
	v_and_b32_e32 v5, 0xffff, v5
	v_and_b32_e32 v10, 7, v5
	v_ffbh_u32_e32 v13, v10
	v_min_u32_e32 v13, 32, v13
	v_subrev_u32_e32 v14, 28, v13
	v_bfe_u32 v11, v5, 3, 4
	v_lshlrev_b32_e32 v5, v14, v5
	v_sub_u32_e32 v13, 29, v13
	v_and_b32_e32 v5, 7, v5
	v_cmp_eq_u32_e32 vcc, 0, v11
	v_and_b32_e32 v7, 0x80000000, v7
	s_nop 0
	v_cndmask_b32_e32 v11, v11, v13, vcc
	v_cndmask_b32_e32 v5, v10, v5, vcc
	v_mov_b32_e32 v10, 0x3b800000
	v_lshlrev_b32_e32 v5, 20, v5
	v_lshl_add_u32 v10, v11, 23, v10
	v_or3_b32 v10, v7, v10, v5
.LBB401_1569:
	s_or_b64 exec, exec, s[10:11]
.LBB401_1570:
	s_mov_b64 s[8:9], -1
.LBB401_1571:
	s_mov_b64 s[10:11], 0
.LBB401_1572:
	s_and_b64 vcc, exec, s[10:11]
	s_cbranch_vccz .LBB401_1605
; %bb.1573:
	s_cmp_gt_i32 s14, 22
	s_cbranch_scc0 .LBB401_1583
; %bb.1574:
	s_cmp_lt_i32 s14, 24
	s_cbranch_scc1 .LBB401_1586
; %bb.1575:
	s_cmp_gt_i32 s14, 24
	s_cbranch_scc0 .LBB401_1587
; %bb.1576:
	global_load_ubyte v5, v[8:9], off
	s_movk_i32 s6, 0x7f
	s_waitcnt vmcnt(0)
	v_cmp_lt_i16_e32 vcc, s6, v5
	s_mov_b64 s[6:7], 0
	s_and_saveexec_b64 s[8:9], vcc
	s_xor_b64 s[8:9], exec, s[8:9]
	s_cbranch_execz .LBB401_1599
; %bb.1577:
	s_movk_i32 s6, 0x80
	v_cmp_eq_u16_e32 vcc, s6, v5
	s_mov_b64 s[6:7], -1
	s_and_saveexec_b64 s[10:11], vcc
; %bb.1578:
	s_xor_b64 s[6:7], exec, -1
; %bb.1579:
	s_or_b64 exec, exec, s[10:11]
	s_and_b64 s[6:7], s[6:7], exec
	s_or_saveexec_b64 s[8:9], s[8:9]
	v_mov_b32_e32 v10, 0x7f800001
	s_xor_b64 exec, exec, s[8:9]
	s_cbranch_execnz .LBB401_1600
.LBB401_1580:
	s_or_b64 exec, exec, s[8:9]
	s_and_saveexec_b64 s[8:9], s[6:7]
	s_cbranch_execz .LBB401_1582
.LBB401_1581:
	v_lshlrev_b32_e32 v7, 24, v5
	v_and_b32_e32 v5, 0xffff, v5
	v_and_b32_e32 v10, 3, v5
	v_ffbh_u32_e32 v13, v10
	v_min_u32_e32 v13, 32, v13
	v_subrev_u32_e32 v14, 29, v13
	v_bfe_u32 v11, v5, 2, 5
	v_lshlrev_b32_e32 v5, v14, v5
	v_sub_u32_e32 v13, 30, v13
	v_and_b32_e32 v5, 3, v5
	v_cmp_eq_u32_e32 vcc, 0, v11
	v_and_b32_e32 v7, 0x80000000, v7
	s_nop 0
	v_cndmask_b32_e32 v11, v11, v13, vcc
	v_cndmask_b32_e32 v5, v10, v5, vcc
	v_mov_b32_e32 v10, 0x37800000
	v_lshlrev_b32_e32 v5, 21, v5
	v_lshl_add_u32 v10, v11, 23, v10
	v_or3_b32 v10, v7, v10, v5
.LBB401_1582:
	s_or_b64 exec, exec, s[8:9]
	s_mov_b64 s[6:7], 0
	s_branch .LBB401_1588
.LBB401_1583:
	s_mov_b64 s[6:7], -1
                                        ; implicit-def: $vgpr10
	s_branch .LBB401_1594
.LBB401_1584:
	s_or_saveexec_b64 s[10:11], s[10:11]
	v_mov_b32_e32 v10, 0x7f800001
	s_xor_b64 exec, exec, s[10:11]
	s_cbranch_execz .LBB401_1567
.LBB401_1585:
	v_cmp_ne_u16_e32 vcc, 0, v5
	s_andn2_b64 s[8:9], s[8:9], exec
	s_and_b64 s[12:13], vcc, exec
	v_mov_b32_e32 v10, 0
	s_or_b64 s[8:9], s[8:9], s[12:13]
	s_or_b64 exec, exec, s[10:11]
	s_and_saveexec_b64 s[10:11], s[8:9]
	s_cbranch_execnz .LBB401_1568
	s_branch .LBB401_1569
.LBB401_1586:
	s_mov_b64 s[6:7], -1
                                        ; implicit-def: $vgpr10
	s_branch .LBB401_1591
.LBB401_1587:
	s_mov_b64 s[6:7], -1
                                        ; implicit-def: $vgpr10
.LBB401_1588:
	s_and_b64 vcc, exec, s[6:7]
	s_cbranch_vccz .LBB401_1590
; %bb.1589:
	global_load_ubyte v5, v[8:9], off
	s_mov_b32 s6, 0x7f800000
	s_waitcnt vmcnt(0)
	v_lshlrev_b32_e32 v5, 24, v5
	v_and_b32_e32 v7, 0x7f000000, v5
	v_ffbh_u32_e32 v10, v7
	v_min_u32_e32 v10, 32, v10
	v_sub_u32_e64 v10, v10, 4 clamp
	v_lshlrev_b32_e32 v13, v10, v7
	v_lshlrev_b32_e32 v10, 23, v10
	v_lshrrev_b32_e32 v13, 4, v13
	v_add_u32_e32 v11, 0x1000000, v7
	v_sub_u32_e32 v10, v13, v10
	v_ashrrev_i32_e32 v11, 8, v11
	v_add_u32_e32 v10, 0x3c000000, v10
	v_and_or_b32 v10, v11, s6, v10
	v_cmp_ne_u32_e32 vcc, 0, v7
	s_brev_b32 s6, 1
	s_nop 0
	v_cndmask_b32_e32 v7, 0, v10, vcc
	v_and_or_b32 v10, v5, s6, v7
.LBB401_1590:
	s_mov_b64 s[6:7], 0
.LBB401_1591:
	s_andn2_b64 vcc, exec, s[6:7]
	s_cbranch_vccnz .LBB401_1593
; %bb.1592:
	global_load_ubyte v5, v[8:9], off
	s_movk_i32 s6, 0x7f00
	s_brev_b32 s7, 16
	s_waitcnt vmcnt(0)
	v_lshlrev_b16_e32 v7, 8, v5
	v_lshlrev_b32_e32 v5, 25, v5
	v_lshrrev_b32_e32 v10, 4, v5
	v_and_or_b32 v11, v7, s6, 0.5
	v_or_b32_e32 v10, 0x70000000, v10
	v_add_f32_e32 v11, -0.5, v11
	v_mul_f32_e32 v10, 0x7800000, v10
	v_cmp_gt_u32_e32 vcc, s7, v5
	v_bfe_i32 v7, v7, 0, 16
	s_brev_b32 s6, 1
	v_cndmask_b32_e32 v5, v10, v11, vcc
	v_and_or_b32 v10, v7, s6, v5
.LBB401_1593:
	s_mov_b64 s[6:7], 0
	s_mov_b64 s[8:9], -1
.LBB401_1594:
	s_andn2_b64 vcc, exec, s[6:7]
	s_mov_b64 s[6:7], 0
	s_cbranch_vccnz .LBB401_1605
; %bb.1595:
	s_cmp_gt_i32 s14, 14
	s_cbranch_scc0 .LBB401_1598
; %bb.1596:
	s_cmp_eq_u32 s14, 15
	s_cbranch_scc0 .LBB401_1601
; %bb.1597:
	global_load_ushort v5, v[8:9], off
	s_mov_b64 s[0:1], 0
	s_mov_b64 s[8:9], -1
	s_waitcnt vmcnt(0)
	v_lshlrev_b32_e32 v10, 16, v5
	s_branch .LBB401_1602
.LBB401_1598:
	s_mov_b64 s[10:11], -1
                                        ; implicit-def: $vgpr10
	s_branch .LBB401_1603
.LBB401_1599:
	s_or_saveexec_b64 s[8:9], s[8:9]
	v_mov_b32_e32 v10, 0x7f800001
	s_xor_b64 exec, exec, s[8:9]
	s_cbranch_execz .LBB401_1580
.LBB401_1600:
	v_cmp_ne_u16_e32 vcc, 0, v5
	s_andn2_b64 s[6:7], s[6:7], exec
	s_and_b64 s[10:11], vcc, exec
	v_mov_b32_e32 v10, 0
	s_or_b64 s[6:7], s[6:7], s[10:11]
	s_or_b64 exec, exec, s[8:9]
	s_and_saveexec_b64 s[8:9], s[6:7]
	s_cbranch_execnz .LBB401_1581
	s_branch .LBB401_1582
.LBB401_1601:
	s_mov_b64 s[0:1], -1
                                        ; implicit-def: $vgpr10
.LBB401_1602:
	s_mov_b64 s[10:11], 0
.LBB401_1603:
	s_and_b64 vcc, exec, s[10:11]
	s_cbranch_vccz .LBB401_1605
; %bb.1604:
	s_cmp_lg_u32 s14, 11
	s_mov_b64 s[6:7], -1
	s_cselect_b64 s[0:1], -1, 0
.LBB401_1605:
	s_and_b64 vcc, exec, s[0:1]
	s_cbranch_vccnz .LBB401_2138
; %bb.1606:
	s_andn2_b64 vcc, exec, s[6:7]
	s_cbranch_vccnz .LBB401_1608
.LBB401_1607:
	global_load_ubyte v5, v[8:9], off
	s_mov_b64 s[8:9], -1
	s_waitcnt vmcnt(0)
	v_cmp_ne_u16_e32 vcc, 0, v5
	s_nop 1
	v_cndmask_b32_e64 v10, 0, 1.0, vcc
.LBB401_1608:
	s_mov_b64 s[0:1], 0
.LBB401_1609:
	s_and_b64 vcc, exec, s[0:1]
	s_cbranch_vccz .LBB401_1658
; %bb.1610:
	s_and_b32 s6, 0xffff, s16
	s_cmp_lt_i32 s6, 5
	s_cbranch_scc1 .LBB401_1615
; %bb.1611:
	s_cmp_lt_i32 s6, 8
	s_cbranch_scc1 .LBB401_1616
; %bb.1612:
	;; [unrolled: 3-line block ×3, first 2 shown]
	s_cmp_gt_i32 s6, 9
	s_cbranch_scc0 .LBB401_1618
; %bb.1614:
	global_load_dwordx2 v[10:11], v[8:9], off
	s_mov_b64 s[0:1], 0
	s_waitcnt vmcnt(0)
	v_cvt_f32_f64_e32 v10, v[10:11]
	s_branch .LBB401_1619
.LBB401_1615:
	s_mov_b64 s[0:1], -1
                                        ; implicit-def: $vgpr10
	s_branch .LBB401_1637
.LBB401_1616:
	s_mov_b64 s[0:1], -1
                                        ; implicit-def: $vgpr10
	s_branch .LBB401_1625
.LBB401_1617:
	s_mov_b64 s[0:1], -1
                                        ; implicit-def: $vgpr10
	s_branch .LBB401_1622
.LBB401_1618:
	s_mov_b64 s[0:1], -1
                                        ; implicit-def: $vgpr10
.LBB401_1619:
	s_andn2_b64 vcc, exec, s[0:1]
	s_cbranch_vccnz .LBB401_1621
; %bb.1620:
	global_load_dword v10, v[8:9], off
.LBB401_1621:
	s_mov_b64 s[0:1], 0
.LBB401_1622:
	s_andn2_b64 vcc, exec, s[0:1]
	s_cbranch_vccnz .LBB401_1624
; %bb.1623:
	global_load_dword v5, v[8:9], off
	s_waitcnt vmcnt(0)
	v_cvt_f32_f16_e32 v10, v5
.LBB401_1624:
	s_mov_b64 s[0:1], 0
.LBB401_1625:
	s_andn2_b64 vcc, exec, s[0:1]
	s_cbranch_vccnz .LBB401_1636
; %bb.1626:
	s_cmp_lt_i32 s6, 6
	s_cbranch_scc1 .LBB401_1629
; %bb.1627:
	s_cmp_gt_i32 s6, 6
	s_cbranch_scc0 .LBB401_1630
; %bb.1628:
	global_load_dwordx2 v[10:11], v[8:9], off
	s_mov_b64 s[0:1], 0
	s_waitcnt vmcnt(0)
	v_cvt_f32_f64_e32 v10, v[10:11]
	s_branch .LBB401_1631
.LBB401_1629:
	s_mov_b64 s[0:1], -1
                                        ; implicit-def: $vgpr10
	s_branch .LBB401_1634
.LBB401_1630:
	s_mov_b64 s[0:1], -1
                                        ; implicit-def: $vgpr10
.LBB401_1631:
	s_andn2_b64 vcc, exec, s[0:1]
	s_cbranch_vccnz .LBB401_1633
; %bb.1632:
	global_load_dword v10, v[8:9], off
.LBB401_1633:
	s_mov_b64 s[0:1], 0
.LBB401_1634:
	s_andn2_b64 vcc, exec, s[0:1]
	s_cbranch_vccnz .LBB401_1636
; %bb.1635:
	global_load_ushort v5, v[8:9], off
	s_waitcnt vmcnt(0)
	v_cvt_f32_f16_e32 v10, v5
.LBB401_1636:
	s_mov_b64 s[0:1], 0
.LBB401_1637:
	s_andn2_b64 vcc, exec, s[0:1]
	s_cbranch_vccnz .LBB401_1657
; %bb.1638:
	s_cmp_lt_i32 s6, 2
	s_cbranch_scc1 .LBB401_1642
; %bb.1639:
	s_cmp_lt_i32 s6, 3
	s_cbranch_scc1 .LBB401_1643
; %bb.1640:
	s_cmp_gt_i32 s6, 3
	s_cbranch_scc0 .LBB401_1644
; %bb.1641:
	global_load_dwordx2 v[10:11], v[8:9], off
	s_mov_b64 s[0:1], 0
	s_waitcnt vmcnt(0)
	v_xor_b32_e32 v7, v10, v11
	v_ffbh_i32_e32 v5, v11
	v_ashrrev_i32_e32 v7, 31, v7
	v_add_u32_e32 v5, -1, v5
	v_add_u32_e32 v7, 32, v7
	v_min_u32_e32 v5, v5, v7
	v_lshlrev_b64 v[10:11], v5, v[10:11]
	v_min_u32_e32 v7, 1, v10
	v_or_b32_e32 v7, v11, v7
	v_cvt_f32_i32_e32 v7, v7
	v_sub_u32_e32 v5, 32, v5
	v_ldexp_f32 v10, v7, v5
	s_branch .LBB401_1645
.LBB401_1642:
	s_mov_b64 s[0:1], -1
                                        ; implicit-def: $vgpr10
	s_branch .LBB401_1651
.LBB401_1643:
	s_mov_b64 s[0:1], -1
                                        ; implicit-def: $vgpr10
	s_branch .LBB401_1648
.LBB401_1644:
	s_mov_b64 s[0:1], -1
                                        ; implicit-def: $vgpr10
.LBB401_1645:
	s_andn2_b64 vcc, exec, s[0:1]
	s_cbranch_vccnz .LBB401_1647
; %bb.1646:
	global_load_dword v5, v[8:9], off
	s_waitcnt vmcnt(0)
	v_cvt_f32_i32_e32 v10, v5
.LBB401_1647:
	s_mov_b64 s[0:1], 0
.LBB401_1648:
	s_andn2_b64 vcc, exec, s[0:1]
	s_cbranch_vccnz .LBB401_1650
; %bb.1649:
	global_load_sshort v5, v[8:9], off
	s_waitcnt vmcnt(0)
	v_cvt_f32_i32_e32 v10, v5
.LBB401_1650:
	s_mov_b64 s[0:1], 0
.LBB401_1651:
	s_andn2_b64 vcc, exec, s[0:1]
	s_cbranch_vccnz .LBB401_1657
; %bb.1652:
	s_cmp_gt_i32 s6, 0
	s_cbranch_scc0 .LBB401_1654
; %bb.1653:
	global_load_sbyte v5, v[8:9], off
	s_mov_b64 s[0:1], 0
	s_waitcnt vmcnt(0)
	v_cvt_f32_i32_e32 v10, v5
	s_branch .LBB401_1655
.LBB401_1654:
	s_mov_b64 s[0:1], -1
                                        ; implicit-def: $vgpr10
.LBB401_1655:
	s_andn2_b64 vcc, exec, s[0:1]
	s_cbranch_vccnz .LBB401_1657
; %bb.1656:
	global_load_ubyte v5, v[8:9], off
	s_waitcnt vmcnt(0)
	v_cvt_f32_ubyte0_e32 v10, v5
.LBB401_1657:
	s_mov_b64 s[8:9], -1
.LBB401_1658:
	s_andn2_b64 vcc, exec, s[8:9]
	s_cbranch_vccnz .LBB401_2092
; %bb.1659:
	s_load_dwordx2 s[0:1], s[34:35], 0x158
	s_waitcnt vmcnt(0)
	v_max_f32_e32 v5, v1, v1
	v_mov_b32_e32 v7, 0
	v_cmp_u_f32_e32 vcc, v1, v1
	v_lshl_add_u64 v[6:7], s[4:5], 0, v[6:7]
	s_waitcnt lgkmcnt(0)
	v_max_f32_e64 v11, s0, s0
	s_and_b32 s14, s1, 0xff
	v_max_f32_e32 v5, v5, v11
	v_cndmask_b32_e32 v8, v5, v1, vcc
	s_cmp_lt_i32 s14, 11
	s_cbranch_scc1 .LBB401_1737
; %bb.1660:
	s_and_b32 s15, 0xffff, s14
	s_mov_b64 s[10:11], -1
	s_mov_b64 s[6:7], 0
	s_cmp_gt_i32 s15, 25
	s_mov_b64 s[8:9], 0
	s_mov_b64 s[0:1], 0
	s_cbranch_scc0 .LBB401_1693
; %bb.1661:
	s_cmp_gt_i32 s15, 28
	s_cbranch_scc0 .LBB401_1676
; %bb.1662:
	s_cmp_gt_i32 s15, 43
	;; [unrolled: 3-line block ×3, first 2 shown]
	s_cbranch_scc0 .LBB401_1666
; %bb.1664:
	s_mov_b64 s[0:1], -1
	s_mov_b64 s[10:11], 0
	s_cmp_eq_u32 s15, 46
	s_cbranch_scc0 .LBB401_1666
; %bb.1665:
	v_bfe_u32 v1, v8, 16, 1
	s_movk_i32 s0, 0x7fff
	v_add3_u32 v1, v8, v1, s0
	v_cmp_o_f32_e32 vcc, v8, v8
	v_mov_b32_e32 v5, 0x7fc0
	s_mov_b64 s[0:1], 0
	v_cndmask_b32_sdwa v1, v5, v1, vcc dst_sel:DWORD dst_unused:UNUSED_PAD src0_sel:DWORD src1_sel:WORD_1
	global_store_dword v[6:7], v1, off
	s_mov_b64 s[8:9], -1
.LBB401_1666:
	s_and_b64 vcc, exec, s[10:11]
	s_cbranch_vccz .LBB401_1671
; %bb.1667:
	s_cmp_eq_u32 s15, 44
	s_mov_b64 s[0:1], -1
	s_cbranch_scc0 .LBB401_1671
; %bb.1668:
	v_bfe_u32 v1, v8, 23, 8
	s_movk_i32 s0, 0xff
	v_cmp_ne_u32_e32 vcc, s0, v1
	v_mov_b32_e32 v5, 0xff
	s_and_saveexec_b64 s[8:9], vcc
; %bb.1669:
	s_mov_b32 s0, 0x3fffff
	v_and_b32_e32 v9, 0x400000, v8
	v_and_or_b32 v1, v8, s0, v1
	v_cmp_ne_u32_e32 vcc, 0, v9
	v_cmp_ne_u32_e64 s[0:1], 0, v1
	s_and_b64 s[0:1], vcc, s[0:1]
	v_lshrrev_b32_e32 v5, 23, v8
	v_cndmask_b32_e64 v1, 0, 1, s[0:1]
	v_add_u32_e32 v5, v5, v1
; %bb.1670:
	s_or_b64 exec, exec, s[8:9]
	s_mov_b64 s[0:1], 0
	s_mov_b64 s[8:9], -1
	global_store_byte v[6:7], v5, off
.LBB401_1671:
	s_mov_b64 s[10:11], 0
.LBB401_1672:
	s_and_b64 vcc, exec, s[10:11]
	s_cbranch_vccz .LBB401_1675
; %bb.1673:
	s_cmp_eq_u32 s15, 29
	s_mov_b64 s[0:1], -1
	s_cbranch_scc0 .LBB401_1675
; %bb.1674:
	v_trunc_f32_e32 v1, v8
	v_mul_f32_e32 v5, 0x2f800000, v1
	v_floor_f32_e32 v5, v5
	v_fmamk_f32 v1, v5, 0xcf800000, v1
	v_cvt_u32_f32_e32 v15, v5
	v_cvt_u32_f32_e32 v14, v1
	s_mov_b64 s[0:1], 0
	s_mov_b64 s[8:9], -1
	global_store_dwordx2 v[6:7], v[14:15], off
.LBB401_1675:
	s_mov_b64 s[10:11], 0
.LBB401_1676:
	s_and_b64 vcc, exec, s[10:11]
	s_cbranch_vccz .LBB401_1692
; %bb.1677:
	s_cmp_lt_i32 s15, 27
	s_mov_b64 s[8:9], -1
	s_cbranch_scc1 .LBB401_1683
; %bb.1678:
	v_cvt_u32_f32_e32 v1, v8
	s_cmp_gt_i32 s15, 27
	s_cbranch_scc0 .LBB401_1680
; %bb.1679:
	s_mov_b64 s[8:9], 0
	global_store_dword v[6:7], v1, off
.LBB401_1680:
	s_andn2_b64 vcc, exec, s[8:9]
	s_cbranch_vccnz .LBB401_1682
; %bb.1681:
	global_store_short v[6:7], v1, off
.LBB401_1682:
	s_mov_b64 s[8:9], 0
.LBB401_1683:
	s_andn2_b64 vcc, exec, s[8:9]
	s_cbranch_vccnz .LBB401_1691
; %bb.1684:
	v_and_b32_e32 v1, 0x7fffffff, v8
	s_mov_b32 s8, 0x43800000
	v_cmp_gt_u32_e32 vcc, s8, v1
	v_mov_b32_e32 v5, 0x80
	s_and_saveexec_b64 s[8:9], vcc
	s_cbranch_execz .LBB401_1690
; %bb.1685:
	s_mov_b32 s10, 0x3bffffff
	v_cmp_lt_u32_e32 vcc, s10, v1
	s_mov_b64 s[10:11], 0
                                        ; implicit-def: $vgpr1
	s_and_saveexec_b64 s[12:13], vcc
	s_xor_b64 s[12:13], exec, s[12:13]
	s_cbranch_execz .LBB401_2139
; %bb.1686:
	v_bfe_u32 v1, v8, 20, 1
	s_mov_b32 s16, 0x487ffff
	v_add3_u32 v1, v8, v1, s16
	s_mov_b64 s[10:11], exec
	v_lshrrev_b32_e32 v1, 20, v1
	s_andn2_saveexec_b64 s[12:13], s[12:13]
	s_cbranch_execnz .LBB401_2140
.LBB401_1687:
	s_or_b64 exec, exec, s[12:13]
	v_mov_b32_e32 v5, 0
	s_and_saveexec_b64 s[12:13], s[10:11]
.LBB401_1688:
	v_lshrrev_b32_e32 v5, 24, v8
	s_movk_i32 s10, 0x80
	v_and_or_b32 v5, v5, s10, v1
.LBB401_1689:
	s_or_b64 exec, exec, s[12:13]
.LBB401_1690:
	s_or_b64 exec, exec, s[8:9]
	global_store_byte v[6:7], v5, off
.LBB401_1691:
	s_mov_b64 s[8:9], -1
.LBB401_1692:
	s_mov_b64 s[10:11], 0
.LBB401_1693:
	s_and_b64 vcc, exec, s[10:11]
	s_cbranch_vccz .LBB401_1733
; %bb.1694:
	s_cmp_gt_i32 s15, 22
	s_mov_b64 s[6:7], -1
	s_cbranch_scc0 .LBB401_1726
; %bb.1695:
	s_cmp_lt_i32 s15, 24
	s_cbranch_scc1 .LBB401_1715
; %bb.1696:
	s_cmp_gt_i32 s15, 24
	s_cbranch_scc0 .LBB401_1704
; %bb.1697:
	v_and_b32_e32 v1, 0x7fffffff, v8
	s_mov_b32 s6, 0x47800000
	v_cmp_gt_u32_e32 vcc, s6, v1
	v_mov_b32_e32 v5, 0x80
	s_and_saveexec_b64 s[6:7], vcc
	s_cbranch_execz .LBB401_1703
; %bb.1698:
	s_mov_b32 s8, 0x37ffffff
	v_cmp_lt_u32_e32 vcc, s8, v1
	s_mov_b64 s[8:9], 0
                                        ; implicit-def: $vgpr1
	s_and_saveexec_b64 s[10:11], vcc
	s_xor_b64 s[10:11], exec, s[10:11]
	s_cbranch_execz .LBB401_2142
; %bb.1699:
	v_bfe_u32 v1, v8, 21, 1
	s_mov_b32 s12, 0x88fffff
	v_add3_u32 v1, v8, v1, s12
	s_mov_b64 s[8:9], exec
	v_lshrrev_b32_e32 v1, 21, v1
	s_andn2_saveexec_b64 s[10:11], s[10:11]
	s_cbranch_execnz .LBB401_2143
.LBB401_1700:
	s_or_b64 exec, exec, s[10:11]
	v_mov_b32_e32 v5, 0
	s_and_saveexec_b64 s[10:11], s[8:9]
.LBB401_1701:
	v_lshrrev_b32_e32 v5, 24, v8
	s_movk_i32 s8, 0x80
	v_and_or_b32 v5, v5, s8, v1
.LBB401_1702:
	s_or_b64 exec, exec, s[10:11]
.LBB401_1703:
	s_or_b64 exec, exec, s[6:7]
	s_mov_b64 s[6:7], 0
	global_store_byte v[6:7], v5, off
.LBB401_1704:
	s_and_b64 vcc, exec, s[6:7]
	s_cbranch_vccz .LBB401_1714
; %bb.1705:
	v_and_b32_e32 v5, 0x7fffffff, v8
	s_mov_b32 s6, 0x43f00000
	v_cmp_gt_u32_e32 vcc, s6, v5
                                        ; implicit-def: $vgpr1
	s_and_saveexec_b64 s[6:7], vcc
	s_xor_b64 s[6:7], exec, s[6:7]
	s_cbranch_execz .LBB401_1711
; %bb.1706:
	s_mov_b32 s8, 0x3c7fffff
	v_cmp_lt_u32_e32 vcc, s8, v5
                                        ; implicit-def: $vgpr1
	s_and_saveexec_b64 s[8:9], vcc
	s_xor_b64 s[8:9], exec, s[8:9]
; %bb.1707:
	v_bfe_u32 v1, v8, 20, 1
	s_mov_b32 s10, 0x407ffff
	v_add3_u32 v1, v8, v1, s10
	v_lshrrev_b32_e32 v5, 20, v1
	v_and_b32_e32 v1, 0xff00000, v1
	s_mov_b32 s10, 0x7f00000
	v_mov_b32_e32 v9, 0x7e
	v_cmp_ne_u32_e32 vcc, s10, v1
	s_nop 1
	v_cndmask_b32_e32 v1, v9, v5, vcc
; %bb.1708:
	s_andn2_saveexec_b64 s[8:9], s[8:9]
; %bb.1709:
	s_mov_b32 s10, 0x46800000
	v_add_f32_e64 v1, |v8|, s10
; %bb.1710:
	s_or_b64 exec, exec, s[8:9]
                                        ; implicit-def: $vgpr5
.LBB401_1711:
	s_andn2_saveexec_b64 s[6:7], s[6:7]
; %bb.1712:
	s_mov_b32 s8, 0x7f800000
	v_mov_b32_e32 v1, 0x7e
	v_mov_b32_e32 v9, 0x7f
	v_cmp_lt_u32_e32 vcc, s8, v5
	s_nop 1
	v_cndmask_b32_e32 v1, v1, v9, vcc
; %bb.1713:
	s_or_b64 exec, exec, s[6:7]
	v_lshrrev_b32_e32 v5, 24, v8
	s_movk_i32 s6, 0x80
	v_and_or_b32 v1, v5, s6, v1
	global_store_byte v[6:7], v1, off
.LBB401_1714:
	s_mov_b64 s[6:7], 0
.LBB401_1715:
	s_andn2_b64 vcc, exec, s[6:7]
	s_cbranch_vccnz .LBB401_1725
; %bb.1716:
	v_and_b32_e32 v5, 0x7fffffff, v8
	s_mov_b32 s6, 0x47800000
	v_cmp_gt_u32_e32 vcc, s6, v5
                                        ; implicit-def: $vgpr1
	s_and_saveexec_b64 s[6:7], vcc
	s_xor_b64 s[6:7], exec, s[6:7]
	s_cbranch_execz .LBB401_1722
; %bb.1717:
	s_mov_b32 s8, 0x387fffff
	v_cmp_lt_u32_e32 vcc, s8, v5
                                        ; implicit-def: $vgpr1
	s_and_saveexec_b64 s[8:9], vcc
	s_xor_b64 s[8:9], exec, s[8:9]
; %bb.1718:
	v_bfe_u32 v1, v8, 21, 1
	s_mov_b32 s10, 0x80fffff
	v_add3_u32 v1, v8, v1, s10
	v_lshrrev_b32_e32 v1, 21, v1
; %bb.1719:
	s_andn2_saveexec_b64 s[8:9], s[8:9]
; %bb.1720:
	s_mov_b32 s10, 0x43000000
	v_add_f32_e64 v1, |v8|, s10
; %bb.1721:
	s_or_b64 exec, exec, s[8:9]
                                        ; implicit-def: $vgpr5
.LBB401_1722:
	s_andn2_saveexec_b64 s[6:7], s[6:7]
; %bb.1723:
	s_mov_b32 s8, 0x7f800000
	v_mov_b32_e32 v1, 0x7c
	v_mov_b32_e32 v9, 0x7f
	v_cmp_lt_u32_e32 vcc, s8, v5
	s_nop 1
	v_cndmask_b32_e32 v1, v1, v9, vcc
; %bb.1724:
	s_or_b64 exec, exec, s[6:7]
	v_lshrrev_b32_e32 v5, 24, v8
	s_movk_i32 s6, 0x80
	v_and_or_b32 v1, v5, s6, v1
	global_store_byte v[6:7], v1, off
.LBB401_1725:
	s_mov_b64 s[6:7], 0
	s_mov_b64 s[8:9], -1
.LBB401_1726:
	s_andn2_b64 vcc, exec, s[6:7]
	s_mov_b64 s[6:7], 0
	s_cbranch_vccnz .LBB401_1733
; %bb.1727:
	s_cmp_gt_i32 s15, 14
	s_mov_b64 s[10:11], -1
	s_cbranch_scc0 .LBB401_1731
; %bb.1728:
	s_cmp_eq_u32 s15, 15
	s_mov_b64 s[0:1], -1
	s_cbranch_scc0 .LBB401_1730
; %bb.1729:
	v_bfe_u32 v1, v8, 16, 1
	s_movk_i32 s0, 0x7fff
	v_add3_u32 v1, v8, v1, s0
	v_cmp_o_f32_e32 vcc, v8, v8
	v_mov_b32_e32 v5, 0x7fc0
	s_mov_b64 s[0:1], 0
	v_cndmask_b32_sdwa v1, v5, v1, vcc dst_sel:DWORD dst_unused:UNUSED_PAD src0_sel:DWORD src1_sel:WORD_1
	global_store_short v[6:7], v1, off
	s_mov_b64 s[8:9], -1
.LBB401_1730:
	s_mov_b64 s[10:11], 0
.LBB401_1731:
	s_and_b64 vcc, exec, s[10:11]
	s_cbranch_vccz .LBB401_1733
; %bb.1732:
	s_cmp_lg_u32 s15, 11
	s_mov_b64 s[6:7], -1
	s_cselect_b64 s[0:1], -1, 0
.LBB401_1733:
	s_and_b64 vcc, exec, s[0:1]
	s_cbranch_vccnz .LBB401_2141
; %bb.1734:
	s_andn2_b64 vcc, exec, s[6:7]
	s_cbranch_vccnz .LBB401_1736
.LBB401_1735:
	v_cmp_neq_f32_e32 vcc, 0, v8
	s_mov_b64 s[8:9], -1
	s_nop 0
	v_cndmask_b32_e64 v1, 0, 1, vcc
	global_store_byte v[6:7], v1, off
.LBB401_1736:
	s_mov_b64 s[0:1], 0
	s_branch .LBB401_1738
.LBB401_1737:
	s_mov_b64 s[0:1], -1
	s_mov_b64 s[8:9], 0
.LBB401_1738:
	s_and_b64 vcc, exec, s[0:1]
	s_cbranch_vccz .LBB401_1777
; %bb.1739:
	s_and_b32 s6, 0xffff, s14
	s_cmp_lt_i32 s6, 5
	s_mov_b64 s[0:1], -1
	s_cbranch_scc1 .LBB401_1760
; %bb.1740:
	s_cmp_lt_i32 s6, 8
	s_cbranch_scc1 .LBB401_1750
; %bb.1741:
	s_cmp_lt_i32 s6, 9
	s_cbranch_scc1 .LBB401_1747
; %bb.1742:
	s_cmp_gt_i32 s6, 9
	s_cbranch_scc0 .LBB401_1744
; %bb.1743:
	v_mov_b32_e32 v16, 0
	v_cvt_f64_f32_e32 v[14:15], v8
	v_mov_b32_e32 v17, v16
	global_store_dwordx4 v[6:7], v[14:17], off
	s_mov_b64 s[0:1], 0
.LBB401_1744:
	s_andn2_b64 vcc, exec, s[0:1]
	s_cbranch_vccnz .LBB401_1746
; %bb.1745:
	v_mov_b32_e32 v9, 0
	global_store_dwordx2 v[6:7], v[8:9], off
.LBB401_1746:
	s_mov_b64 s[0:1], 0
.LBB401_1747:
	s_andn2_b64 vcc, exec, s[0:1]
	s_cbranch_vccnz .LBB401_1749
; %bb.1748:
	v_cvt_f16_f32_e32 v1, v8
	global_store_dword v[6:7], v1, off
.LBB401_1749:
	s_mov_b64 s[0:1], 0
.LBB401_1750:
	s_andn2_b64 vcc, exec, s[0:1]
	s_cbranch_vccnz .LBB401_1759
; %bb.1751:
	s_cmp_lt_i32 s6, 6
	s_mov_b64 s[0:1], -1
	s_cbranch_scc1 .LBB401_1757
; %bb.1752:
	s_cmp_gt_i32 s6, 6
	s_cbranch_scc0 .LBB401_1754
; %bb.1753:
	v_cvt_f64_f32_e32 v[14:15], v8
	global_store_dwordx2 v[6:7], v[14:15], off
	s_mov_b64 s[0:1], 0
.LBB401_1754:
	s_andn2_b64 vcc, exec, s[0:1]
	s_cbranch_vccnz .LBB401_1756
; %bb.1755:
	global_store_dword v[6:7], v8, off
.LBB401_1756:
	s_mov_b64 s[0:1], 0
.LBB401_1757:
	s_andn2_b64 vcc, exec, s[0:1]
	s_cbranch_vccnz .LBB401_1759
; %bb.1758:
	v_cvt_f16_f32_e32 v1, v8
	global_store_short v[6:7], v1, off
.LBB401_1759:
	s_mov_b64 s[0:1], 0
.LBB401_1760:
	s_andn2_b64 vcc, exec, s[0:1]
	s_cbranch_vccnz .LBB401_1776
; %bb.1761:
	s_cmp_lt_i32 s6, 2
	s_mov_b64 s[0:1], -1
	s_cbranch_scc1 .LBB401_1771
; %bb.1762:
	s_cmp_lt_i32 s6, 3
	s_cbranch_scc1 .LBB401_1768
; %bb.1763:
	s_cmp_gt_i32 s6, 3
	s_cbranch_scc0 .LBB401_1765
; %bb.1764:
	v_trunc_f32_e32 v1, v8
	s_mov_b32 s0, 0x2f800000
	v_mul_f32_e64 v5, |v1|, s0
	v_floor_f32_e32 v5, v5
	s_mov_b32 s0, 0xcf800000
	v_cvt_u32_f32_e32 v9, v5
	v_fma_f32 v5, v5, s0, |v1|
	v_cvt_u32_f32_e32 v5, v5
	v_ashrrev_i32_e32 v1, 31, v1
	v_xor_b32_e32 v9, v9, v1
	s_mov_b64 s[0:1], 0
	v_xor_b32_e32 v5, v5, v1
	v_sub_co_u32_e32 v14, vcc, v5, v1
	s_nop 1
	v_subb_co_u32_e32 v15, vcc, v9, v1, vcc
	global_store_dwordx2 v[6:7], v[14:15], off
.LBB401_1765:
	s_andn2_b64 vcc, exec, s[0:1]
	s_cbranch_vccnz .LBB401_1767
; %bb.1766:
	v_cvt_i32_f32_e32 v1, v8
	global_store_dword v[6:7], v1, off
.LBB401_1767:
	s_mov_b64 s[0:1], 0
.LBB401_1768:
	s_andn2_b64 vcc, exec, s[0:1]
	s_cbranch_vccnz .LBB401_1770
; %bb.1769:
	v_cvt_i32_f32_e32 v1, v8
	global_store_short v[6:7], v1, off
.LBB401_1770:
	s_mov_b64 s[0:1], 0
.LBB401_1771:
	s_andn2_b64 vcc, exec, s[0:1]
	s_cbranch_vccnz .LBB401_1776
; %bb.1772:
	s_cmp_gt_i32 s6, 0
	s_mov_b64 s[0:1], -1
	s_cbranch_scc0 .LBB401_1774
; %bb.1773:
	v_cvt_i32_f32_e32 v1, v8
	s_mov_b64 s[0:1], 0
	global_store_byte v[6:7], v1, off
.LBB401_1774:
	s_andn2_b64 vcc, exec, s[0:1]
	s_cbranch_vccnz .LBB401_1776
; %bb.1775:
	v_trunc_f32_e32 v1, v8
	s_mov_b32 s0, 0x2f800000
	v_mul_f32_e64 v5, |v1|, s0
	v_floor_f32_e32 v5, v5
	s_mov_b32 s0, 0xcf800000
	v_fma_f32 v5, v5, s0, |v1|
	v_cvt_u32_f32_e32 v5, v5
	v_ashrrev_i32_e32 v1, 31, v1
	v_xor_b32_e32 v5, v5, v1
	v_sub_u32_e32 v1, v5, v1
	global_store_byte v[6:7], v1, off
.LBB401_1776:
	s_mov_b64 s[8:9], -1
.LBB401_1777:
	s_andn2_b64 vcc, exec, s[8:9]
	s_cbranch_vccnz .LBB401_2092
; %bb.1778:
	v_max_f32_e32 v1, v3, v3
	v_max_f32_e32 v1, v1, v11
	v_cmp_u_f32_e32 vcc, v3, v3
	v_mov_b32_e32 v5, 0
	s_and_b32 s15, 0xffff, s14
	v_cndmask_b32_e32 v6, v1, v3, vcc
	s_cmp_lt_i32 s15, 11
	v_lshl_add_u64 v[4:5], s[4:5], 0, v[4:5]
	s_cbranch_scc1 .LBB401_1856
; %bb.1779:
	s_mov_b64 s[10:11], -1
	s_mov_b64 s[6:7], 0
	s_cmp_gt_i32 s15, 25
	s_mov_b64 s[8:9], 0
	s_mov_b64 s[0:1], 0
	s_cbranch_scc0 .LBB401_1812
; %bb.1780:
	s_cmp_gt_i32 s15, 28
	s_cbranch_scc0 .LBB401_1795
; %bb.1781:
	s_cmp_gt_i32 s15, 43
	;; [unrolled: 3-line block ×3, first 2 shown]
	s_cbranch_scc0 .LBB401_1785
; %bb.1783:
	s_mov_b64 s[0:1], -1
	s_mov_b64 s[10:11], 0
	s_cmp_eq_u32 s15, 46
	s_cbranch_scc0 .LBB401_1785
; %bb.1784:
	v_bfe_u32 v1, v6, 16, 1
	s_movk_i32 s0, 0x7fff
	v_add3_u32 v1, v6, v1, s0
	v_cmp_o_f32_e32 vcc, v6, v6
	v_mov_b32_e32 v3, 0x7fc0
	s_mov_b64 s[0:1], 0
	v_cndmask_b32_sdwa v1, v3, v1, vcc dst_sel:DWORD dst_unused:UNUSED_PAD src0_sel:DWORD src1_sel:WORD_1
	global_store_dword v[4:5], v1, off
	s_mov_b64 s[8:9], -1
.LBB401_1785:
	s_and_b64 vcc, exec, s[10:11]
	s_cbranch_vccz .LBB401_1790
; %bb.1786:
	s_cmp_eq_u32 s15, 44
	s_mov_b64 s[0:1], -1
	s_cbranch_scc0 .LBB401_1790
; %bb.1787:
	v_bfe_u32 v1, v6, 23, 8
	s_movk_i32 s0, 0xff
	v_cmp_ne_u32_e32 vcc, s0, v1
	v_mov_b32_e32 v3, 0xff
	s_and_saveexec_b64 s[8:9], vcc
; %bb.1788:
	s_mov_b32 s0, 0x3fffff
	v_and_b32_e32 v7, 0x400000, v6
	v_and_or_b32 v1, v6, s0, v1
	v_cmp_ne_u32_e32 vcc, 0, v7
	v_cmp_ne_u32_e64 s[0:1], 0, v1
	s_and_b64 s[0:1], vcc, s[0:1]
	v_lshrrev_b32_e32 v3, 23, v6
	v_cndmask_b32_e64 v1, 0, 1, s[0:1]
	v_add_u32_e32 v3, v3, v1
; %bb.1789:
	s_or_b64 exec, exec, s[8:9]
	s_mov_b64 s[0:1], 0
	s_mov_b64 s[8:9], -1
	global_store_byte v[4:5], v3, off
.LBB401_1790:
	s_mov_b64 s[10:11], 0
.LBB401_1791:
	s_and_b64 vcc, exec, s[10:11]
	s_cbranch_vccz .LBB401_1794
; %bb.1792:
	s_cmp_eq_u32 s15, 29
	s_mov_b64 s[0:1], -1
	s_cbranch_scc0 .LBB401_1794
; %bb.1793:
	v_trunc_f32_e32 v1, v6
	v_mul_f32_e32 v3, 0x2f800000, v1
	v_floor_f32_e32 v3, v3
	v_fmamk_f32 v1, v3, 0xcf800000, v1
	v_cvt_u32_f32_e32 v9, v3
	v_cvt_u32_f32_e32 v8, v1
	s_mov_b64 s[0:1], 0
	s_mov_b64 s[8:9], -1
	global_store_dwordx2 v[4:5], v[8:9], off
.LBB401_1794:
	s_mov_b64 s[10:11], 0
.LBB401_1795:
	s_and_b64 vcc, exec, s[10:11]
	s_cbranch_vccz .LBB401_1811
; %bb.1796:
	s_cmp_lt_i32 s15, 27
	s_mov_b64 s[8:9], -1
	s_cbranch_scc1 .LBB401_1802
; %bb.1797:
	s_cmp_gt_i32 s15, 27
	s_cbranch_scc0 .LBB401_1799
; %bb.1798:
	v_cvt_u32_f32_e32 v1, v6
	s_mov_b64 s[8:9], 0
	global_store_dword v[4:5], v1, off
.LBB401_1799:
	s_andn2_b64 vcc, exec, s[8:9]
	s_cbranch_vccnz .LBB401_1801
; %bb.1800:
	v_cvt_u32_f32_e32 v1, v6
	global_store_short v[4:5], v1, off
.LBB401_1801:
	s_mov_b64 s[8:9], 0
.LBB401_1802:
	s_andn2_b64 vcc, exec, s[8:9]
	s_cbranch_vccnz .LBB401_1810
; %bb.1803:
	v_and_b32_e32 v1, 0x7fffffff, v6
	s_mov_b32 s8, 0x43800000
	v_cmp_gt_u32_e32 vcc, s8, v1
	v_mov_b32_e32 v3, 0x80
	s_and_saveexec_b64 s[8:9], vcc
	s_cbranch_execz .LBB401_1809
; %bb.1804:
	s_mov_b32 s10, 0x3bffffff
	v_cmp_lt_u32_e32 vcc, s10, v1
	s_mov_b64 s[10:11], 0
                                        ; implicit-def: $vgpr1
	s_and_saveexec_b64 s[12:13], vcc
	s_xor_b64 s[12:13], exec, s[12:13]
	s_cbranch_execz .LBB401_2144
; %bb.1805:
	v_bfe_u32 v1, v6, 20, 1
	s_mov_b32 s16, 0x487ffff
	v_add3_u32 v1, v6, v1, s16
	s_mov_b64 s[10:11], exec
	v_lshrrev_b32_e32 v1, 20, v1
	s_andn2_saveexec_b64 s[12:13], s[12:13]
	s_cbranch_execnz .LBB401_2145
.LBB401_1806:
	s_or_b64 exec, exec, s[12:13]
	v_mov_b32_e32 v3, 0
	s_and_saveexec_b64 s[12:13], s[10:11]
.LBB401_1807:
	v_lshrrev_b32_e32 v3, 24, v6
	s_movk_i32 s10, 0x80
	v_and_or_b32 v3, v3, s10, v1
.LBB401_1808:
	s_or_b64 exec, exec, s[12:13]
.LBB401_1809:
	s_or_b64 exec, exec, s[8:9]
	global_store_byte v[4:5], v3, off
.LBB401_1810:
	s_mov_b64 s[8:9], -1
.LBB401_1811:
	s_mov_b64 s[10:11], 0
.LBB401_1812:
	s_and_b64 vcc, exec, s[10:11]
	s_cbranch_vccz .LBB401_1852
; %bb.1813:
	s_cmp_gt_i32 s15, 22
	s_mov_b64 s[6:7], -1
	s_cbranch_scc0 .LBB401_1845
; %bb.1814:
	s_cmp_lt_i32 s15, 24
	s_cbranch_scc1 .LBB401_1834
; %bb.1815:
	s_cmp_gt_i32 s15, 24
	s_cbranch_scc0 .LBB401_1823
; %bb.1816:
	v_and_b32_e32 v1, 0x7fffffff, v6
	s_mov_b32 s6, 0x47800000
	v_cmp_gt_u32_e32 vcc, s6, v1
	v_mov_b32_e32 v3, 0x80
	s_and_saveexec_b64 s[6:7], vcc
	s_cbranch_execz .LBB401_1822
; %bb.1817:
	s_mov_b32 s8, 0x37ffffff
	v_cmp_lt_u32_e32 vcc, s8, v1
	s_mov_b64 s[8:9], 0
                                        ; implicit-def: $vgpr1
	s_and_saveexec_b64 s[10:11], vcc
	s_xor_b64 s[10:11], exec, s[10:11]
	s_cbranch_execz .LBB401_2147
; %bb.1818:
	v_bfe_u32 v1, v6, 21, 1
	s_mov_b32 s12, 0x88fffff
	v_add3_u32 v1, v6, v1, s12
	s_mov_b64 s[8:9], exec
	v_lshrrev_b32_e32 v1, 21, v1
	s_andn2_saveexec_b64 s[10:11], s[10:11]
	s_cbranch_execnz .LBB401_2148
.LBB401_1819:
	s_or_b64 exec, exec, s[10:11]
	v_mov_b32_e32 v3, 0
	s_and_saveexec_b64 s[10:11], s[8:9]
.LBB401_1820:
	v_lshrrev_b32_e32 v3, 24, v6
	s_movk_i32 s8, 0x80
	v_and_or_b32 v3, v3, s8, v1
.LBB401_1821:
	s_or_b64 exec, exec, s[10:11]
.LBB401_1822:
	s_or_b64 exec, exec, s[6:7]
	s_mov_b64 s[6:7], 0
	global_store_byte v[4:5], v3, off
.LBB401_1823:
	s_and_b64 vcc, exec, s[6:7]
	s_cbranch_vccz .LBB401_1833
; %bb.1824:
	v_and_b32_e32 v3, 0x7fffffff, v6
	s_mov_b32 s6, 0x43f00000
	v_cmp_gt_u32_e32 vcc, s6, v3
                                        ; implicit-def: $vgpr1
	s_and_saveexec_b64 s[6:7], vcc
	s_xor_b64 s[6:7], exec, s[6:7]
	s_cbranch_execz .LBB401_1830
; %bb.1825:
	s_mov_b32 s8, 0x3c7fffff
	v_cmp_lt_u32_e32 vcc, s8, v3
                                        ; implicit-def: $vgpr1
	s_and_saveexec_b64 s[8:9], vcc
	s_xor_b64 s[8:9], exec, s[8:9]
; %bb.1826:
	v_bfe_u32 v1, v6, 20, 1
	s_mov_b32 s10, 0x407ffff
	v_add3_u32 v1, v6, v1, s10
	v_lshrrev_b32_e32 v3, 20, v1
	v_and_b32_e32 v1, 0xff00000, v1
	s_mov_b32 s10, 0x7f00000
	v_mov_b32_e32 v7, 0x7e
	v_cmp_ne_u32_e32 vcc, s10, v1
	s_nop 1
	v_cndmask_b32_e32 v1, v7, v3, vcc
; %bb.1827:
	s_andn2_saveexec_b64 s[8:9], s[8:9]
; %bb.1828:
	s_mov_b32 s10, 0x46800000
	v_add_f32_e64 v1, |v6|, s10
; %bb.1829:
	s_or_b64 exec, exec, s[8:9]
                                        ; implicit-def: $vgpr3
.LBB401_1830:
	s_andn2_saveexec_b64 s[6:7], s[6:7]
; %bb.1831:
	s_mov_b32 s8, 0x7f800000
	v_mov_b32_e32 v1, 0x7e
	v_mov_b32_e32 v7, 0x7f
	v_cmp_lt_u32_e32 vcc, s8, v3
	s_nop 1
	v_cndmask_b32_e32 v1, v1, v7, vcc
; %bb.1832:
	s_or_b64 exec, exec, s[6:7]
	v_lshrrev_b32_e32 v3, 24, v6
	s_movk_i32 s6, 0x80
	v_and_or_b32 v1, v3, s6, v1
	global_store_byte v[4:5], v1, off
.LBB401_1833:
	s_mov_b64 s[6:7], 0
.LBB401_1834:
	s_andn2_b64 vcc, exec, s[6:7]
	s_cbranch_vccnz .LBB401_1844
; %bb.1835:
	v_and_b32_e32 v3, 0x7fffffff, v6
	s_mov_b32 s6, 0x47800000
	v_cmp_gt_u32_e32 vcc, s6, v3
                                        ; implicit-def: $vgpr1
	s_and_saveexec_b64 s[6:7], vcc
	s_xor_b64 s[6:7], exec, s[6:7]
	s_cbranch_execz .LBB401_1841
; %bb.1836:
	s_mov_b32 s8, 0x387fffff
	v_cmp_lt_u32_e32 vcc, s8, v3
                                        ; implicit-def: $vgpr1
	s_and_saveexec_b64 s[8:9], vcc
	s_xor_b64 s[8:9], exec, s[8:9]
; %bb.1837:
	v_bfe_u32 v1, v6, 21, 1
	s_mov_b32 s10, 0x80fffff
	v_add3_u32 v1, v6, v1, s10
	v_lshrrev_b32_e32 v1, 21, v1
; %bb.1838:
	s_andn2_saveexec_b64 s[8:9], s[8:9]
; %bb.1839:
	s_mov_b32 s10, 0x43000000
	v_add_f32_e64 v1, |v6|, s10
; %bb.1840:
	s_or_b64 exec, exec, s[8:9]
                                        ; implicit-def: $vgpr3
.LBB401_1841:
	s_andn2_saveexec_b64 s[6:7], s[6:7]
; %bb.1842:
	s_mov_b32 s8, 0x7f800000
	v_mov_b32_e32 v1, 0x7c
	v_mov_b32_e32 v7, 0x7f
	v_cmp_lt_u32_e32 vcc, s8, v3
	s_nop 1
	v_cndmask_b32_e32 v1, v1, v7, vcc
; %bb.1843:
	s_or_b64 exec, exec, s[6:7]
	v_lshrrev_b32_e32 v3, 24, v6
	s_movk_i32 s6, 0x80
	v_and_or_b32 v1, v3, s6, v1
	global_store_byte v[4:5], v1, off
.LBB401_1844:
	s_mov_b64 s[6:7], 0
	s_mov_b64 s[8:9], -1
.LBB401_1845:
	s_andn2_b64 vcc, exec, s[6:7]
	s_mov_b64 s[6:7], 0
	s_cbranch_vccnz .LBB401_1852
; %bb.1846:
	s_cmp_gt_i32 s15, 14
	s_mov_b64 s[10:11], -1
	s_cbranch_scc0 .LBB401_1850
; %bb.1847:
	s_cmp_eq_u32 s15, 15
	s_mov_b64 s[0:1], -1
	s_cbranch_scc0 .LBB401_1849
; %bb.1848:
	v_bfe_u32 v1, v6, 16, 1
	s_movk_i32 s0, 0x7fff
	v_add3_u32 v1, v6, v1, s0
	v_cmp_o_f32_e32 vcc, v6, v6
	v_mov_b32_e32 v3, 0x7fc0
	s_mov_b64 s[0:1], 0
	v_cndmask_b32_sdwa v1, v3, v1, vcc dst_sel:DWORD dst_unused:UNUSED_PAD src0_sel:DWORD src1_sel:WORD_1
	global_store_short v[4:5], v1, off
	s_mov_b64 s[8:9], -1
.LBB401_1849:
	s_mov_b64 s[10:11], 0
.LBB401_1850:
	s_and_b64 vcc, exec, s[10:11]
	s_cbranch_vccz .LBB401_1852
; %bb.1851:
	s_cmp_lg_u32 s15, 11
	s_mov_b64 s[6:7], -1
	s_cselect_b64 s[0:1], -1, 0
.LBB401_1852:
	s_and_b64 vcc, exec, s[0:1]
	s_cbranch_vccnz .LBB401_2146
; %bb.1853:
	s_andn2_b64 vcc, exec, s[6:7]
	s_cbranch_vccnz .LBB401_1855
.LBB401_1854:
	v_cmp_neq_f32_e32 vcc, 0, v6
	s_mov_b64 s[8:9], -1
	s_nop 0
	v_cndmask_b32_e64 v1, 0, 1, vcc
	global_store_byte v[4:5], v1, off
.LBB401_1855:
	s_mov_b64 s[0:1], 0
	s_branch .LBB401_1857
.LBB401_1856:
	s_mov_b64 s[0:1], -1
	s_mov_b64 s[8:9], 0
.LBB401_1857:
	s_and_b64 vcc, exec, s[0:1]
	s_cbranch_vccz .LBB401_1896
; %bb.1858:
	s_cmp_lt_i32 s15, 5
	s_mov_b64 s[0:1], -1
	s_cbranch_scc1 .LBB401_1879
; %bb.1859:
	s_cmp_lt_i32 s15, 8
	s_cbranch_scc1 .LBB401_1869
; %bb.1860:
	s_cmp_lt_i32 s15, 9
	s_cbranch_scc1 .LBB401_1866
; %bb.1861:
	s_cmp_gt_i32 s15, 9
	s_cbranch_scc0 .LBB401_1863
; %bb.1862:
	v_mov_b32_e32 v16, 0
	v_cvt_f64_f32_e32 v[14:15], v6
	v_mov_b32_e32 v17, v16
	global_store_dwordx4 v[4:5], v[14:17], off
	s_mov_b64 s[0:1], 0
.LBB401_1863:
	s_andn2_b64 vcc, exec, s[0:1]
	s_cbranch_vccnz .LBB401_1865
; %bb.1864:
	v_mov_b32_e32 v7, 0
	global_store_dwordx2 v[4:5], v[6:7], off
.LBB401_1865:
	s_mov_b64 s[0:1], 0
.LBB401_1866:
	s_andn2_b64 vcc, exec, s[0:1]
	s_cbranch_vccnz .LBB401_1868
; %bb.1867:
	v_cvt_f16_f32_e32 v1, v6
	global_store_dword v[4:5], v1, off
.LBB401_1868:
	s_mov_b64 s[0:1], 0
.LBB401_1869:
	s_andn2_b64 vcc, exec, s[0:1]
	s_cbranch_vccnz .LBB401_1878
; %bb.1870:
	s_cmp_lt_i32 s15, 6
	s_mov_b64 s[0:1], -1
	s_cbranch_scc1 .LBB401_1876
; %bb.1871:
	s_cmp_gt_i32 s15, 6
	s_cbranch_scc0 .LBB401_1873
; %bb.1872:
	v_cvt_f64_f32_e32 v[8:9], v6
	global_store_dwordx2 v[4:5], v[8:9], off
	s_mov_b64 s[0:1], 0
.LBB401_1873:
	s_andn2_b64 vcc, exec, s[0:1]
	s_cbranch_vccnz .LBB401_1875
; %bb.1874:
	global_store_dword v[4:5], v6, off
.LBB401_1875:
	s_mov_b64 s[0:1], 0
.LBB401_1876:
	s_andn2_b64 vcc, exec, s[0:1]
	s_cbranch_vccnz .LBB401_1878
; %bb.1877:
	v_cvt_f16_f32_e32 v1, v6
	global_store_short v[4:5], v1, off
.LBB401_1878:
	s_mov_b64 s[0:1], 0
.LBB401_1879:
	s_andn2_b64 vcc, exec, s[0:1]
	s_cbranch_vccnz .LBB401_1895
; %bb.1880:
	s_cmp_lt_i32 s15, 2
	s_mov_b64 s[0:1], -1
	s_cbranch_scc1 .LBB401_1890
; %bb.1881:
	s_cmp_lt_i32 s15, 3
	s_cbranch_scc1 .LBB401_1887
; %bb.1882:
	s_cmp_gt_i32 s15, 3
	s_cbranch_scc0 .LBB401_1884
; %bb.1883:
	v_trunc_f32_e32 v1, v6
	s_mov_b32 s0, 0x2f800000
	v_mul_f32_e64 v3, |v1|, s0
	v_floor_f32_e32 v3, v3
	s_mov_b32 s0, 0xcf800000
	v_cvt_u32_f32_e32 v7, v3
	v_fma_f32 v3, v3, s0, |v1|
	v_cvt_u32_f32_e32 v3, v3
	v_ashrrev_i32_e32 v1, 31, v1
	v_xor_b32_e32 v7, v7, v1
	s_mov_b64 s[0:1], 0
	v_xor_b32_e32 v3, v3, v1
	v_sub_co_u32_e32 v8, vcc, v3, v1
	s_nop 1
	v_subb_co_u32_e32 v9, vcc, v7, v1, vcc
	global_store_dwordx2 v[4:5], v[8:9], off
.LBB401_1884:
	s_andn2_b64 vcc, exec, s[0:1]
	s_cbranch_vccnz .LBB401_1886
; %bb.1885:
	v_cvt_i32_f32_e32 v1, v6
	global_store_dword v[4:5], v1, off
.LBB401_1886:
	s_mov_b64 s[0:1], 0
.LBB401_1887:
	s_andn2_b64 vcc, exec, s[0:1]
	s_cbranch_vccnz .LBB401_1889
; %bb.1888:
	v_cvt_i32_f32_e32 v1, v6
	global_store_short v[4:5], v1, off
.LBB401_1889:
	s_mov_b64 s[0:1], 0
.LBB401_1890:
	s_andn2_b64 vcc, exec, s[0:1]
	s_cbranch_vccnz .LBB401_1895
; %bb.1891:
	s_cmp_gt_i32 s15, 0
	s_mov_b64 s[0:1], -1
	s_cbranch_scc0 .LBB401_1893
; %bb.1892:
	v_cvt_i32_f32_e32 v1, v6
	s_mov_b64 s[0:1], 0
	global_store_byte v[4:5], v1, off
.LBB401_1893:
	s_andn2_b64 vcc, exec, s[0:1]
	s_cbranch_vccnz .LBB401_1895
; %bb.1894:
	v_trunc_f32_e32 v1, v6
	s_mov_b32 s0, 0x2f800000
	v_mul_f32_e64 v3, |v1|, s0
	v_floor_f32_e32 v3, v3
	s_mov_b32 s0, 0xcf800000
	v_fma_f32 v3, v3, s0, |v1|
	v_cvt_u32_f32_e32 v3, v3
	v_ashrrev_i32_e32 v1, 31, v1
	v_xor_b32_e32 v3, v3, v1
	v_sub_u32_e32 v1, v3, v1
	global_store_byte v[4:5], v1, off
.LBB401_1895:
	s_mov_b64 s[8:9], -1
.LBB401_1896:
	s_andn2_b64 vcc, exec, s[8:9]
	s_cbranch_vccnz .LBB401_2092
; %bb.1897:
	v_max_f32_e32 v1, v12, v12
	v_max_f32_e32 v1, v1, v11
	v_cmp_u_f32_e32 vcc, v12, v12
	v_mov_b32_e32 v3, 0
	s_cmp_lt_i32 s15, 11
	v_cndmask_b32_e32 v4, v1, v12, vcc
	v_lshl_add_u64 v[2:3], s[4:5], 0, v[2:3]
	s_cbranch_scc1 .LBB401_1975
; %bb.1898:
	s_mov_b64 s[10:11], -1
	s_mov_b64 s[6:7], 0
	s_cmp_gt_i32 s15, 25
	s_mov_b64 s[8:9], 0
	s_mov_b64 s[0:1], 0
	s_cbranch_scc0 .LBB401_1931
; %bb.1899:
	s_cmp_gt_i32 s15, 28
	s_cbranch_scc0 .LBB401_1914
; %bb.1900:
	s_cmp_gt_i32 s15, 43
	;; [unrolled: 3-line block ×3, first 2 shown]
	s_cbranch_scc0 .LBB401_1904
; %bb.1902:
	s_mov_b64 s[0:1], -1
	s_mov_b64 s[10:11], 0
	s_cmp_eq_u32 s15, 46
	s_cbranch_scc0 .LBB401_1904
; %bb.1903:
	v_bfe_u32 v1, v4, 16, 1
	s_movk_i32 s0, 0x7fff
	v_add3_u32 v1, v4, v1, s0
	v_cmp_o_f32_e32 vcc, v4, v4
	v_mov_b32_e32 v5, 0x7fc0
	s_mov_b64 s[0:1], 0
	v_cndmask_b32_sdwa v1, v5, v1, vcc dst_sel:DWORD dst_unused:UNUSED_PAD src0_sel:DWORD src1_sel:WORD_1
	global_store_dword v[2:3], v1, off
	s_mov_b64 s[8:9], -1
.LBB401_1904:
	s_and_b64 vcc, exec, s[10:11]
	s_cbranch_vccz .LBB401_1909
; %bb.1905:
	s_cmp_eq_u32 s15, 44
	s_mov_b64 s[0:1], -1
	s_cbranch_scc0 .LBB401_1909
; %bb.1906:
	v_bfe_u32 v1, v4, 23, 8
	s_movk_i32 s0, 0xff
	v_cmp_ne_u32_e32 vcc, s0, v1
	v_mov_b32_e32 v5, 0xff
	s_and_saveexec_b64 s[8:9], vcc
; %bb.1907:
	s_mov_b32 s0, 0x3fffff
	v_and_b32_e32 v6, 0x400000, v4
	v_and_or_b32 v1, v4, s0, v1
	v_cmp_ne_u32_e32 vcc, 0, v6
	v_cmp_ne_u32_e64 s[0:1], 0, v1
	s_and_b64 s[0:1], vcc, s[0:1]
	v_lshrrev_b32_e32 v5, 23, v4
	v_cndmask_b32_e64 v1, 0, 1, s[0:1]
	v_add_u32_e32 v5, v5, v1
; %bb.1908:
	s_or_b64 exec, exec, s[8:9]
	s_mov_b64 s[0:1], 0
	s_mov_b64 s[8:9], -1
	global_store_byte v[2:3], v5, off
.LBB401_1909:
	s_mov_b64 s[10:11], 0
.LBB401_1910:
	s_and_b64 vcc, exec, s[10:11]
	s_cbranch_vccz .LBB401_1913
; %bb.1911:
	s_cmp_eq_u32 s15, 29
	s_mov_b64 s[0:1], -1
	s_cbranch_scc0 .LBB401_1913
; %bb.1912:
	v_trunc_f32_e32 v1, v4
	v_mul_f32_e32 v5, 0x2f800000, v1
	v_floor_f32_e32 v5, v5
	v_fmamk_f32 v1, v5, 0xcf800000, v1
	v_cvt_u32_f32_e32 v7, v5
	v_cvt_u32_f32_e32 v6, v1
	s_mov_b64 s[0:1], 0
	s_mov_b64 s[8:9], -1
	global_store_dwordx2 v[2:3], v[6:7], off
.LBB401_1913:
	s_mov_b64 s[10:11], 0
.LBB401_1914:
	s_and_b64 vcc, exec, s[10:11]
	s_cbranch_vccz .LBB401_1930
; %bb.1915:
	s_cmp_lt_i32 s15, 27
	s_mov_b64 s[8:9], -1
	s_cbranch_scc1 .LBB401_1921
; %bb.1916:
	v_cvt_u32_f32_e32 v1, v4
	s_cmp_gt_i32 s15, 27
	s_cbranch_scc0 .LBB401_1918
; %bb.1917:
	s_mov_b64 s[8:9], 0
	global_store_dword v[2:3], v1, off
.LBB401_1918:
	s_andn2_b64 vcc, exec, s[8:9]
	s_cbranch_vccnz .LBB401_1920
; %bb.1919:
	global_store_short v[2:3], v1, off
.LBB401_1920:
	s_mov_b64 s[8:9], 0
.LBB401_1921:
	s_andn2_b64 vcc, exec, s[8:9]
	s_cbranch_vccnz .LBB401_1929
; %bb.1922:
	v_and_b32_e32 v1, 0x7fffffff, v4
	s_mov_b32 s8, 0x43800000
	v_cmp_gt_u32_e32 vcc, s8, v1
	v_mov_b32_e32 v5, 0x80
	s_and_saveexec_b64 s[8:9], vcc
	s_cbranch_execz .LBB401_1928
; %bb.1923:
	s_mov_b32 s10, 0x3bffffff
	v_cmp_lt_u32_e32 vcc, s10, v1
	s_mov_b64 s[10:11], 0
                                        ; implicit-def: $vgpr1
	s_and_saveexec_b64 s[12:13], vcc
	s_xor_b64 s[12:13], exec, s[12:13]
	s_cbranch_execz .LBB401_2149
; %bb.1924:
	v_bfe_u32 v1, v4, 20, 1
	s_mov_b32 s16, 0x487ffff
	v_add3_u32 v1, v4, v1, s16
	s_mov_b64 s[10:11], exec
	v_lshrrev_b32_e32 v1, 20, v1
	s_andn2_saveexec_b64 s[12:13], s[12:13]
	s_cbranch_execnz .LBB401_2150
.LBB401_1925:
	s_or_b64 exec, exec, s[12:13]
	v_mov_b32_e32 v5, 0
	s_and_saveexec_b64 s[12:13], s[10:11]
.LBB401_1926:
	v_lshrrev_b32_e32 v5, 24, v4
	s_movk_i32 s10, 0x80
	v_and_or_b32 v5, v5, s10, v1
.LBB401_1927:
	s_or_b64 exec, exec, s[12:13]
.LBB401_1928:
	s_or_b64 exec, exec, s[8:9]
	global_store_byte v[2:3], v5, off
.LBB401_1929:
	s_mov_b64 s[8:9], -1
.LBB401_1930:
	s_mov_b64 s[10:11], 0
.LBB401_1931:
	s_and_b64 vcc, exec, s[10:11]
	s_cbranch_vccz .LBB401_1971
; %bb.1932:
	s_cmp_gt_i32 s15, 22
	s_mov_b64 s[6:7], -1
	s_cbranch_scc0 .LBB401_1964
; %bb.1933:
	s_cmp_lt_i32 s15, 24
	s_cbranch_scc1 .LBB401_1953
; %bb.1934:
	s_cmp_gt_i32 s15, 24
	s_cbranch_scc0 .LBB401_1942
; %bb.1935:
	v_and_b32_e32 v1, 0x7fffffff, v4
	s_mov_b32 s6, 0x47800000
	v_cmp_gt_u32_e32 vcc, s6, v1
	v_mov_b32_e32 v5, 0x80
	s_and_saveexec_b64 s[6:7], vcc
	s_cbranch_execz .LBB401_1941
; %bb.1936:
	s_mov_b32 s8, 0x37ffffff
	v_cmp_lt_u32_e32 vcc, s8, v1
	s_mov_b64 s[8:9], 0
                                        ; implicit-def: $vgpr1
	s_and_saveexec_b64 s[10:11], vcc
	s_xor_b64 s[10:11], exec, s[10:11]
	s_cbranch_execz .LBB401_2152
; %bb.1937:
	v_bfe_u32 v1, v4, 21, 1
	s_mov_b32 s12, 0x88fffff
	v_add3_u32 v1, v4, v1, s12
	s_mov_b64 s[8:9], exec
	v_lshrrev_b32_e32 v1, 21, v1
	s_andn2_saveexec_b64 s[10:11], s[10:11]
	s_cbranch_execnz .LBB401_2153
.LBB401_1938:
	s_or_b64 exec, exec, s[10:11]
	v_mov_b32_e32 v5, 0
	s_and_saveexec_b64 s[10:11], s[8:9]
.LBB401_1939:
	v_lshrrev_b32_e32 v5, 24, v4
	s_movk_i32 s8, 0x80
	v_and_or_b32 v5, v5, s8, v1
.LBB401_1940:
	s_or_b64 exec, exec, s[10:11]
.LBB401_1941:
	s_or_b64 exec, exec, s[6:7]
	s_mov_b64 s[6:7], 0
	global_store_byte v[2:3], v5, off
.LBB401_1942:
	s_and_b64 vcc, exec, s[6:7]
	s_cbranch_vccz .LBB401_1952
; %bb.1943:
	v_and_b32_e32 v5, 0x7fffffff, v4
	s_mov_b32 s6, 0x43f00000
	v_cmp_gt_u32_e32 vcc, s6, v5
                                        ; implicit-def: $vgpr1
	s_and_saveexec_b64 s[6:7], vcc
	s_xor_b64 s[6:7], exec, s[6:7]
	s_cbranch_execz .LBB401_1949
; %bb.1944:
	s_mov_b32 s8, 0x3c7fffff
	v_cmp_lt_u32_e32 vcc, s8, v5
                                        ; implicit-def: $vgpr1
	s_and_saveexec_b64 s[8:9], vcc
	s_xor_b64 s[8:9], exec, s[8:9]
; %bb.1945:
	v_bfe_u32 v1, v4, 20, 1
	s_mov_b32 s10, 0x407ffff
	v_add3_u32 v1, v4, v1, s10
	v_lshrrev_b32_e32 v5, 20, v1
	v_and_b32_e32 v1, 0xff00000, v1
	s_mov_b32 s10, 0x7f00000
	v_mov_b32_e32 v6, 0x7e
	v_cmp_ne_u32_e32 vcc, s10, v1
	s_nop 1
	v_cndmask_b32_e32 v1, v6, v5, vcc
; %bb.1946:
	s_andn2_saveexec_b64 s[8:9], s[8:9]
; %bb.1947:
	s_mov_b32 s10, 0x46800000
	v_add_f32_e64 v1, |v4|, s10
; %bb.1948:
	s_or_b64 exec, exec, s[8:9]
                                        ; implicit-def: $vgpr5
.LBB401_1949:
	s_andn2_saveexec_b64 s[6:7], s[6:7]
; %bb.1950:
	s_mov_b32 s8, 0x7f800000
	v_mov_b32_e32 v1, 0x7e
	v_mov_b32_e32 v6, 0x7f
	v_cmp_lt_u32_e32 vcc, s8, v5
	s_nop 1
	v_cndmask_b32_e32 v1, v1, v6, vcc
; %bb.1951:
	s_or_b64 exec, exec, s[6:7]
	v_lshrrev_b32_e32 v5, 24, v4
	s_movk_i32 s6, 0x80
	v_and_or_b32 v1, v5, s6, v1
	global_store_byte v[2:3], v1, off
.LBB401_1952:
	s_mov_b64 s[6:7], 0
.LBB401_1953:
	s_andn2_b64 vcc, exec, s[6:7]
	s_cbranch_vccnz .LBB401_1963
; %bb.1954:
	v_and_b32_e32 v5, 0x7fffffff, v4
	s_mov_b32 s6, 0x47800000
	v_cmp_gt_u32_e32 vcc, s6, v5
                                        ; implicit-def: $vgpr1
	s_and_saveexec_b64 s[6:7], vcc
	s_xor_b64 s[6:7], exec, s[6:7]
	s_cbranch_execz .LBB401_1960
; %bb.1955:
	s_mov_b32 s8, 0x387fffff
	v_cmp_lt_u32_e32 vcc, s8, v5
                                        ; implicit-def: $vgpr1
	s_and_saveexec_b64 s[8:9], vcc
	s_xor_b64 s[8:9], exec, s[8:9]
; %bb.1956:
	v_bfe_u32 v1, v4, 21, 1
	s_mov_b32 s10, 0x80fffff
	v_add3_u32 v1, v4, v1, s10
	v_lshrrev_b32_e32 v1, 21, v1
; %bb.1957:
	s_andn2_saveexec_b64 s[8:9], s[8:9]
; %bb.1958:
	s_mov_b32 s10, 0x43000000
	v_add_f32_e64 v1, |v4|, s10
; %bb.1959:
	s_or_b64 exec, exec, s[8:9]
                                        ; implicit-def: $vgpr5
.LBB401_1960:
	s_andn2_saveexec_b64 s[6:7], s[6:7]
; %bb.1961:
	s_mov_b32 s8, 0x7f800000
	v_mov_b32_e32 v1, 0x7c
	v_mov_b32_e32 v6, 0x7f
	v_cmp_lt_u32_e32 vcc, s8, v5
	s_nop 1
	v_cndmask_b32_e32 v1, v1, v6, vcc
; %bb.1962:
	s_or_b64 exec, exec, s[6:7]
	v_lshrrev_b32_e32 v5, 24, v4
	s_movk_i32 s6, 0x80
	v_and_or_b32 v1, v5, s6, v1
	global_store_byte v[2:3], v1, off
.LBB401_1963:
	s_mov_b64 s[6:7], 0
	s_mov_b64 s[8:9], -1
.LBB401_1964:
	s_andn2_b64 vcc, exec, s[6:7]
	s_mov_b64 s[6:7], 0
	s_cbranch_vccnz .LBB401_1971
; %bb.1965:
	s_cmp_gt_i32 s15, 14
	s_mov_b64 s[10:11], -1
	s_cbranch_scc0 .LBB401_1969
; %bb.1966:
	s_cmp_eq_u32 s15, 15
	s_mov_b64 s[0:1], -1
	s_cbranch_scc0 .LBB401_1968
; %bb.1967:
	v_bfe_u32 v1, v4, 16, 1
	s_movk_i32 s0, 0x7fff
	v_add3_u32 v1, v4, v1, s0
	v_cmp_o_f32_e32 vcc, v4, v4
	v_mov_b32_e32 v5, 0x7fc0
	s_mov_b64 s[0:1], 0
	v_cndmask_b32_sdwa v1, v5, v1, vcc dst_sel:DWORD dst_unused:UNUSED_PAD src0_sel:DWORD src1_sel:WORD_1
	global_store_short v[2:3], v1, off
	s_mov_b64 s[8:9], -1
.LBB401_1968:
	s_mov_b64 s[10:11], 0
.LBB401_1969:
	s_and_b64 vcc, exec, s[10:11]
	s_cbranch_vccz .LBB401_1971
; %bb.1970:
	s_cmp_lg_u32 s15, 11
	s_mov_b64 s[6:7], -1
	s_cselect_b64 s[0:1], -1, 0
.LBB401_1971:
	s_and_b64 vcc, exec, s[0:1]
	s_cbranch_vccnz .LBB401_2151
; %bb.1972:
	s_andn2_b64 vcc, exec, s[6:7]
	s_cbranch_vccnz .LBB401_1974
.LBB401_1973:
	v_cmp_neq_f32_e32 vcc, 0, v4
	s_mov_b64 s[8:9], -1
	s_nop 0
	v_cndmask_b32_e64 v1, 0, 1, vcc
	global_store_byte v[2:3], v1, off
.LBB401_1974:
	s_mov_b64 s[0:1], 0
	s_branch .LBB401_1976
.LBB401_1975:
	s_mov_b64 s[0:1], -1
	s_mov_b64 s[8:9], 0
.LBB401_1976:
	s_and_b64 vcc, exec, s[0:1]
	s_cbranch_vccz .LBB401_2015
; %bb.1977:
	s_cmp_lt_i32 s15, 5
	s_mov_b64 s[0:1], -1
	s_cbranch_scc1 .LBB401_1998
; %bb.1978:
	s_cmp_lt_i32 s15, 8
	s_cbranch_scc1 .LBB401_1988
; %bb.1979:
	s_cmp_lt_i32 s15, 9
	s_cbranch_scc1 .LBB401_1985
; %bb.1980:
	s_cmp_gt_i32 s15, 9
	s_cbranch_scc0 .LBB401_1982
; %bb.1981:
	v_mov_b32_e32 v8, 0
	v_cvt_f64_f32_e32 v[6:7], v4
	v_mov_b32_e32 v9, v8
	global_store_dwordx4 v[2:3], v[6:9], off
	s_mov_b64 s[0:1], 0
.LBB401_1982:
	s_andn2_b64 vcc, exec, s[0:1]
	s_cbranch_vccnz .LBB401_1984
; %bb.1983:
	v_mov_b32_e32 v5, 0
	global_store_dwordx2 v[2:3], v[4:5], off
.LBB401_1984:
	s_mov_b64 s[0:1], 0
.LBB401_1985:
	s_andn2_b64 vcc, exec, s[0:1]
	s_cbranch_vccnz .LBB401_1987
; %bb.1986:
	v_cvt_f16_f32_e32 v1, v4
	global_store_dword v[2:3], v1, off
.LBB401_1987:
	s_mov_b64 s[0:1], 0
.LBB401_1988:
	s_andn2_b64 vcc, exec, s[0:1]
	s_cbranch_vccnz .LBB401_1997
; %bb.1989:
	s_cmp_lt_i32 s15, 6
	s_mov_b64 s[0:1], -1
	s_cbranch_scc1 .LBB401_1995
; %bb.1990:
	s_cmp_gt_i32 s15, 6
	s_cbranch_scc0 .LBB401_1992
; %bb.1991:
	v_cvt_f64_f32_e32 v[6:7], v4
	global_store_dwordx2 v[2:3], v[6:7], off
	s_mov_b64 s[0:1], 0
.LBB401_1992:
	s_andn2_b64 vcc, exec, s[0:1]
	s_cbranch_vccnz .LBB401_1994
; %bb.1993:
	global_store_dword v[2:3], v4, off
.LBB401_1994:
	s_mov_b64 s[0:1], 0
.LBB401_1995:
	s_andn2_b64 vcc, exec, s[0:1]
	s_cbranch_vccnz .LBB401_1997
; %bb.1996:
	v_cvt_f16_f32_e32 v1, v4
	global_store_short v[2:3], v1, off
.LBB401_1997:
	s_mov_b64 s[0:1], 0
.LBB401_1998:
	s_andn2_b64 vcc, exec, s[0:1]
	s_cbranch_vccnz .LBB401_2014
; %bb.1999:
	s_cmp_lt_i32 s15, 2
	s_mov_b64 s[0:1], -1
	s_cbranch_scc1 .LBB401_2009
; %bb.2000:
	s_cmp_lt_i32 s15, 3
	s_cbranch_scc1 .LBB401_2006
; %bb.2001:
	s_cmp_gt_i32 s15, 3
	s_cbranch_scc0 .LBB401_2003
; %bb.2002:
	v_trunc_f32_e32 v1, v4
	s_mov_b32 s0, 0x2f800000
	v_mul_f32_e64 v5, |v1|, s0
	v_floor_f32_e32 v5, v5
	s_mov_b32 s0, 0xcf800000
	v_cvt_u32_f32_e32 v6, v5
	v_fma_f32 v5, v5, s0, |v1|
	v_cvt_u32_f32_e32 v5, v5
	v_ashrrev_i32_e32 v1, 31, v1
	v_xor_b32_e32 v7, v6, v1
	s_mov_b64 s[0:1], 0
	v_xor_b32_e32 v5, v5, v1
	v_sub_co_u32_e32 v6, vcc, v5, v1
	s_nop 1
	v_subb_co_u32_e32 v7, vcc, v7, v1, vcc
	global_store_dwordx2 v[2:3], v[6:7], off
.LBB401_2003:
	s_andn2_b64 vcc, exec, s[0:1]
	s_cbranch_vccnz .LBB401_2005
; %bb.2004:
	v_cvt_i32_f32_e32 v1, v4
	global_store_dword v[2:3], v1, off
.LBB401_2005:
	s_mov_b64 s[0:1], 0
.LBB401_2006:
	s_andn2_b64 vcc, exec, s[0:1]
	s_cbranch_vccnz .LBB401_2008
; %bb.2007:
	v_cvt_i32_f32_e32 v1, v4
	global_store_short v[2:3], v1, off
.LBB401_2008:
	s_mov_b64 s[0:1], 0
.LBB401_2009:
	s_andn2_b64 vcc, exec, s[0:1]
	s_cbranch_vccnz .LBB401_2014
; %bb.2010:
	s_cmp_gt_i32 s15, 0
	s_mov_b64 s[0:1], -1
	s_cbranch_scc0 .LBB401_2012
; %bb.2011:
	v_cvt_i32_f32_e32 v1, v4
	s_mov_b64 s[0:1], 0
	global_store_byte v[2:3], v1, off
.LBB401_2012:
	s_andn2_b64 vcc, exec, s[0:1]
	s_cbranch_vccnz .LBB401_2014
; %bb.2013:
	v_trunc_f32_e32 v1, v4
	s_mov_b32 s0, 0x2f800000
	v_mul_f32_e64 v4, |v1|, s0
	v_floor_f32_e32 v4, v4
	s_mov_b32 s0, 0xcf800000
	v_fma_f32 v4, v4, s0, |v1|
	v_cvt_u32_f32_e32 v4, v4
	v_ashrrev_i32_e32 v1, 31, v1
	v_xor_b32_e32 v4, v4, v1
	v_sub_u32_e32 v1, v4, v1
	global_store_byte v[2:3], v1, off
.LBB401_2014:
	s_mov_b64 s[8:9], -1
.LBB401_2015:
	s_andn2_b64 vcc, exec, s[8:9]
	s_cbranch_vccnz .LBB401_2092
; %bb.2016:
	v_max_f32_e32 v1, v10, v10
	v_max_f32_e32 v1, v1, v11
	v_cmp_u_f32_e32 vcc, v10, v10
	s_cmp_lt_i32 s15, 11
	s_nop 0
	v_cndmask_b32_e32 v2, v1, v10, vcc
	v_mov_b32_e32 v1, 0
	v_lshl_add_u64 v[0:1], s[4:5], 0, v[0:1]
	s_cbranch_scc1 .LBB401_2137
; %bb.2017:
	s_mov_b64 s[6:7], -1
	s_mov_b64 s[4:5], 0
	s_cmp_gt_i32 s15, 25
	s_mov_b64 s[0:1], 0
	s_cbranch_scc0 .LBB401_2050
; %bb.2018:
	s_cmp_gt_i32 s15, 28
	s_cbranch_scc0 .LBB401_2034
; %bb.2019:
	s_cmp_gt_i32 s15, 43
	s_cbranch_scc0 .LBB401_2030
; %bb.2020:
	s_cmp_gt_i32 s15, 45
	s_cbranch_scc0 .LBB401_2024
; %bb.2021:
	s_cmp_eq_u32 s15, 46
	s_mov_b64 s[0:1], -1
	s_cbranch_scc0 .LBB401_2023
; %bb.2022:
	v_bfe_u32 v3, v2, 16, 1
	s_movk_i32 s0, 0x7fff
	v_add3_u32 v3, v2, v3, s0
	v_cmp_o_f32_e32 vcc, v2, v2
	v_mov_b32_e32 v4, 0x7fc0
	s_mov_b64 s[0:1], 0
	v_cndmask_b32_sdwa v3, v4, v3, vcc dst_sel:DWORD dst_unused:UNUSED_PAD src0_sel:DWORD src1_sel:WORD_1
	global_store_dword v[0:1], v3, off
.LBB401_2023:
	s_mov_b64 s[6:7], 0
.LBB401_2024:
	s_and_b64 vcc, exec, s[6:7]
	s_cbranch_vccz .LBB401_2029
; %bb.2025:
	s_cmp_eq_u32 s15, 44
	s_mov_b64 s[0:1], -1
	s_cbranch_scc0 .LBB401_2029
; %bb.2026:
	v_bfe_u32 v3, v2, 23, 8
	s_movk_i32 s0, 0xff
	v_cmp_ne_u32_e32 vcc, s0, v3
	v_mov_b32_e32 v4, 0xff
	s_and_saveexec_b64 s[6:7], vcc
; %bb.2027:
	s_mov_b32 s0, 0x3fffff
	v_and_b32_e32 v5, 0x400000, v2
	v_and_or_b32 v3, v2, s0, v3
	v_cmp_ne_u32_e32 vcc, 0, v5
	v_cmp_ne_u32_e64 s[0:1], 0, v3
	s_and_b64 s[0:1], vcc, s[0:1]
	v_lshrrev_b32_e32 v4, 23, v2
	v_cndmask_b32_e64 v3, 0, 1, s[0:1]
	v_add_u32_e32 v4, v4, v3
; %bb.2028:
	s_or_b64 exec, exec, s[6:7]
	s_mov_b64 s[0:1], 0
	global_store_byte v[0:1], v4, off
.LBB401_2029:
	s_mov_b64 s[6:7], 0
.LBB401_2030:
	s_and_b64 vcc, exec, s[6:7]
	s_cbranch_vccz .LBB401_2033
; %bb.2031:
	s_cmp_eq_u32 s15, 29
	s_mov_b64 s[0:1], -1
	s_cbranch_scc0 .LBB401_2033
; %bb.2032:
	v_trunc_f32_e32 v3, v2
	v_mul_f32_e32 v4, 0x2f800000, v3
	v_floor_f32_e32 v4, v4
	v_fmamk_f32 v3, v4, 0xcf800000, v3
	v_cvt_u32_f32_e32 v5, v4
	v_cvt_u32_f32_e32 v4, v3
	s_mov_b64 s[0:1], 0
	global_store_dwordx2 v[0:1], v[4:5], off
.LBB401_2033:
	s_mov_b64 s[6:7], 0
.LBB401_2034:
	s_and_b64 vcc, exec, s[6:7]
	s_cbranch_vccz .LBB401_2049
; %bb.2035:
	s_cmp_lt_i32 s15, 27
	s_mov_b64 s[6:7], -1
	s_cbranch_scc1 .LBB401_2041
; %bb.2036:
	s_cmp_gt_i32 s15, 27
	s_cbranch_scc0 .LBB401_2038
; %bb.2037:
	v_cvt_u32_f32_e32 v3, v2
	s_mov_b64 s[6:7], 0
	global_store_dword v[0:1], v3, off
.LBB401_2038:
	s_andn2_b64 vcc, exec, s[6:7]
	s_cbranch_vccnz .LBB401_2040
; %bb.2039:
	v_cvt_u32_f32_e32 v3, v2
	global_store_short v[0:1], v3, off
.LBB401_2040:
	s_mov_b64 s[6:7], 0
.LBB401_2041:
	s_andn2_b64 vcc, exec, s[6:7]
	s_cbranch_vccnz .LBB401_2049
; %bb.2042:
	v_and_b32_e32 v3, 0x7fffffff, v2
	s_mov_b32 s6, 0x43800000
	v_cmp_gt_u32_e32 vcc, s6, v3
	v_mov_b32_e32 v4, 0x80
	s_and_saveexec_b64 s[6:7], vcc
	s_cbranch_execz .LBB401_2048
; %bb.2043:
	s_mov_b32 s8, 0x3bffffff
	v_cmp_lt_u32_e32 vcc, s8, v3
	s_mov_b64 s[8:9], 0
                                        ; implicit-def: $vgpr3
	s_and_saveexec_b64 s[10:11], vcc
	s_xor_b64 s[10:11], exec, s[10:11]
	s_cbranch_execz .LBB401_2154
; %bb.2044:
	v_bfe_u32 v3, v2, 20, 1
	s_mov_b32 s12, 0x487ffff
	v_add3_u32 v3, v2, v3, s12
	s_mov_b64 s[8:9], exec
	v_lshrrev_b32_e32 v3, 20, v3
	s_andn2_saveexec_b64 s[10:11], s[10:11]
	s_cbranch_execnz .LBB401_2155
.LBB401_2045:
	s_or_b64 exec, exec, s[10:11]
	v_mov_b32_e32 v4, 0
	s_and_saveexec_b64 s[10:11], s[8:9]
.LBB401_2046:
	v_lshrrev_b32_e32 v4, 24, v2
	s_movk_i32 s8, 0x80
	v_and_or_b32 v4, v4, s8, v3
.LBB401_2047:
	s_or_b64 exec, exec, s[10:11]
.LBB401_2048:
	s_or_b64 exec, exec, s[6:7]
	global_store_byte v[0:1], v4, off
.LBB401_2049:
	s_mov_b64 s[6:7], 0
.LBB401_2050:
	s_and_b64 vcc, exec, s[6:7]
	s_cbranch_vccz .LBB401_2090
; %bb.2051:
	s_cmp_gt_i32 s15, 22
	s_mov_b64 s[4:5], -1
	s_cbranch_scc0 .LBB401_2083
; %bb.2052:
	s_cmp_lt_i32 s15, 24
	s_cbranch_scc1 .LBB401_2072
; %bb.2053:
	s_cmp_gt_i32 s15, 24
	s_cbranch_scc0 .LBB401_2061
; %bb.2054:
	v_and_b32_e32 v3, 0x7fffffff, v2
	s_mov_b32 s4, 0x47800000
	v_cmp_gt_u32_e32 vcc, s4, v3
	v_mov_b32_e32 v4, 0x80
	s_and_saveexec_b64 s[4:5], vcc
	s_cbranch_execz .LBB401_2060
; %bb.2055:
	s_mov_b32 s6, 0x37ffffff
	v_cmp_lt_u32_e32 vcc, s6, v3
	s_mov_b64 s[6:7], 0
                                        ; implicit-def: $vgpr3
	s_and_saveexec_b64 s[8:9], vcc
	s_xor_b64 s[8:9], exec, s[8:9]
	s_cbranch_execz .LBB401_2157
; %bb.2056:
	v_bfe_u32 v3, v2, 21, 1
	s_mov_b32 s10, 0x88fffff
	v_add3_u32 v3, v2, v3, s10
	s_mov_b64 s[6:7], exec
	v_lshrrev_b32_e32 v3, 21, v3
	s_andn2_saveexec_b64 s[8:9], s[8:9]
	s_cbranch_execnz .LBB401_2158
.LBB401_2057:
	s_or_b64 exec, exec, s[8:9]
	v_mov_b32_e32 v4, 0
	s_and_saveexec_b64 s[8:9], s[6:7]
.LBB401_2058:
	v_lshrrev_b32_e32 v4, 24, v2
	s_movk_i32 s6, 0x80
	v_and_or_b32 v4, v4, s6, v3
.LBB401_2059:
	s_or_b64 exec, exec, s[8:9]
.LBB401_2060:
	s_or_b64 exec, exec, s[4:5]
	s_mov_b64 s[4:5], 0
	global_store_byte v[0:1], v4, off
.LBB401_2061:
	s_and_b64 vcc, exec, s[4:5]
	s_cbranch_vccz .LBB401_2071
; %bb.2062:
	v_and_b32_e32 v4, 0x7fffffff, v2
	s_mov_b32 s4, 0x43f00000
	v_cmp_gt_u32_e32 vcc, s4, v4
                                        ; implicit-def: $vgpr3
	s_and_saveexec_b64 s[4:5], vcc
	s_xor_b64 s[4:5], exec, s[4:5]
	s_cbranch_execz .LBB401_2068
; %bb.2063:
	s_mov_b32 s6, 0x3c7fffff
	v_cmp_lt_u32_e32 vcc, s6, v4
                                        ; implicit-def: $vgpr3
	s_and_saveexec_b64 s[6:7], vcc
	s_xor_b64 s[6:7], exec, s[6:7]
; %bb.2064:
	v_bfe_u32 v3, v2, 20, 1
	s_mov_b32 s8, 0x407ffff
	v_add3_u32 v3, v2, v3, s8
	v_lshrrev_b32_e32 v4, 20, v3
	v_and_b32_e32 v3, 0xff00000, v3
	s_mov_b32 s8, 0x7f00000
	v_mov_b32_e32 v5, 0x7e
	v_cmp_ne_u32_e32 vcc, s8, v3
	s_nop 1
	v_cndmask_b32_e32 v3, v5, v4, vcc
; %bb.2065:
	s_andn2_saveexec_b64 s[6:7], s[6:7]
; %bb.2066:
	s_mov_b32 s8, 0x46800000
	v_add_f32_e64 v3, |v2|, s8
; %bb.2067:
	s_or_b64 exec, exec, s[6:7]
                                        ; implicit-def: $vgpr4
.LBB401_2068:
	s_andn2_saveexec_b64 s[4:5], s[4:5]
; %bb.2069:
	s_mov_b32 s6, 0x7f800000
	v_mov_b32_e32 v3, 0x7e
	v_mov_b32_e32 v5, 0x7f
	v_cmp_lt_u32_e32 vcc, s6, v4
	s_nop 1
	v_cndmask_b32_e32 v3, v3, v5, vcc
; %bb.2070:
	s_or_b64 exec, exec, s[4:5]
	v_lshrrev_b32_e32 v4, 24, v2
	s_movk_i32 s4, 0x80
	v_and_or_b32 v3, v4, s4, v3
	global_store_byte v[0:1], v3, off
.LBB401_2071:
	s_mov_b64 s[4:5], 0
.LBB401_2072:
	s_andn2_b64 vcc, exec, s[4:5]
	s_cbranch_vccnz .LBB401_2082
; %bb.2073:
	v_and_b32_e32 v4, 0x7fffffff, v2
	s_mov_b32 s4, 0x47800000
	v_cmp_gt_u32_e32 vcc, s4, v4
                                        ; implicit-def: $vgpr3
	s_and_saveexec_b64 s[4:5], vcc
	s_xor_b64 s[4:5], exec, s[4:5]
	s_cbranch_execz .LBB401_2079
; %bb.2074:
	s_mov_b32 s6, 0x387fffff
	v_cmp_lt_u32_e32 vcc, s6, v4
                                        ; implicit-def: $vgpr3
	s_and_saveexec_b64 s[6:7], vcc
	s_xor_b64 s[6:7], exec, s[6:7]
; %bb.2075:
	v_bfe_u32 v3, v2, 21, 1
	s_mov_b32 s8, 0x80fffff
	v_add3_u32 v3, v2, v3, s8
	v_lshrrev_b32_e32 v3, 21, v3
; %bb.2076:
	s_andn2_saveexec_b64 s[6:7], s[6:7]
; %bb.2077:
	s_mov_b32 s8, 0x43000000
	v_add_f32_e64 v3, |v2|, s8
; %bb.2078:
	s_or_b64 exec, exec, s[6:7]
                                        ; implicit-def: $vgpr4
.LBB401_2079:
	s_andn2_saveexec_b64 s[4:5], s[4:5]
; %bb.2080:
	s_mov_b32 s6, 0x7f800000
	v_mov_b32_e32 v3, 0x7c
	v_mov_b32_e32 v5, 0x7f
	v_cmp_lt_u32_e32 vcc, s6, v4
	s_nop 1
	v_cndmask_b32_e32 v3, v3, v5, vcc
; %bb.2081:
	s_or_b64 exec, exec, s[4:5]
	v_lshrrev_b32_e32 v4, 24, v2
	s_movk_i32 s4, 0x80
	v_and_or_b32 v3, v4, s4, v3
	global_store_byte v[0:1], v3, off
.LBB401_2082:
	s_mov_b64 s[4:5], 0
.LBB401_2083:
	s_andn2_b64 vcc, exec, s[4:5]
	s_mov_b64 s[4:5], 0
	s_cbranch_vccnz .LBB401_2090
; %bb.2084:
	s_cmp_gt_i32 s15, 14
	s_mov_b64 s[6:7], -1
	s_cbranch_scc0 .LBB401_2088
; %bb.2085:
	s_cmp_eq_u32 s15, 15
	s_mov_b64 s[0:1], -1
	s_cbranch_scc0 .LBB401_2087
; %bb.2086:
	v_bfe_u32 v3, v2, 16, 1
	s_movk_i32 s0, 0x7fff
	v_add3_u32 v3, v2, v3, s0
	v_cmp_o_f32_e32 vcc, v2, v2
	v_mov_b32_e32 v4, 0x7fc0
	s_mov_b64 s[0:1], 0
	v_cndmask_b32_sdwa v3, v4, v3, vcc dst_sel:DWORD dst_unused:UNUSED_PAD src0_sel:DWORD src1_sel:WORD_1
	global_store_short v[0:1], v3, off
.LBB401_2087:
	s_mov_b64 s[6:7], 0
.LBB401_2088:
	s_and_b64 vcc, exec, s[6:7]
	s_cbranch_vccz .LBB401_2090
; %bb.2089:
	s_cmp_lg_u32 s15, 11
	s_mov_b64 s[4:5], -1
	s_cselect_b64 s[0:1], -1, 0
.LBB401_2090:
	s_and_b64 vcc, exec, s[0:1]
	s_cbranch_vccnz .LBB401_2156
.LBB401_2091:
	s_mov_b64 s[0:1], 0
	s_branch .LBB401_2093
.LBB401_2092:
	s_mov_b64 s[0:1], 0
	s_mov_b64 s[4:5], 0
                                        ; implicit-def: $vgpr0_vgpr1
                                        ; implicit-def: $sgpr14
                                        ; implicit-def: $vgpr2
.LBB401_2093:
	s_and_b64 s[6:7], s[0:1], exec
	s_andn2_b64 s[0:1], s[24:25], exec
	s_and_b64 s[2:3], s[2:3], exec
	s_and_b64 s[40:41], s[4:5], exec
	s_or_b64 s[24:25], s[0:1], s[2:3]
.LBB401_2094:
	s_or_b64 exec, exec, s[26:27]
	s_and_saveexec_b64 s[0:1], s[24:25]
	s_cbranch_execz .LBB401_2097
; %bb.2095:
	; divergent unreachable
	s_or_b64 exec, exec, s[0:1]
	s_and_saveexec_b64 s[0:1], s[40:41]
	s_xor_b64 s[0:1], exec, s[0:1]
	s_cbranch_execnz .LBB401_2098
.LBB401_2096:
	s_or_b64 exec, exec, s[0:1]
	s_and_saveexec_b64 s[0:1], s[6:7]
	s_cbranch_execnz .LBB401_2099
	s_branch .LBB401_2136
.LBB401_2097:
	s_or_b64 exec, exec, s[0:1]
	s_and_saveexec_b64 s[0:1], s[40:41]
	s_xor_b64 s[0:1], exec, s[0:1]
	s_cbranch_execz .LBB401_2096
.LBB401_2098:
	v_cmp_neq_f32_e32 vcc, 0, v2
	s_waitcnt vmcnt(0)
	s_nop 0
	v_cndmask_b32_e64 v3, 0, 1, vcc
	global_store_byte v[0:1], v3, off
	s_or_b64 exec, exec, s[0:1]
	s_and_saveexec_b64 s[0:1], s[6:7]
	s_cbranch_execz .LBB401_2136
.LBB401_2099:
	s_sext_i32_i16 s2, s14
	s_cmp_lt_i32 s2, 5
	s_mov_b64 s[0:1], -1
	s_cbranch_scc1 .LBB401_2120
; %bb.2100:
	s_cmp_lt_i32 s2, 8
	s_cbranch_scc1 .LBB401_2110
; %bb.2101:
	s_cmp_lt_i32 s2, 9
	s_cbranch_scc1 .LBB401_2107
; %bb.2102:
	s_cmp_gt_i32 s2, 9
	s_cbranch_scc0 .LBB401_2104
; %bb.2103:
	v_mov_b32_e32 v6, 0
	v_cvt_f64_f32_e32 v[4:5], v2
	v_mov_b32_e32 v7, v6
	s_waitcnt vmcnt(0)
	global_store_dwordx4 v[0:1], v[4:7], off
	s_mov_b64 s[0:1], 0
.LBB401_2104:
	s_andn2_b64 vcc, exec, s[0:1]
	s_cbranch_vccnz .LBB401_2106
; %bb.2105:
	s_waitcnt vmcnt(0)
	v_mov_b32_e32 v3, 0
	global_store_dwordx2 v[0:1], v[2:3], off
.LBB401_2106:
	s_mov_b64 s[0:1], 0
.LBB401_2107:
	s_andn2_b64 vcc, exec, s[0:1]
	s_cbranch_vccnz .LBB401_2109
; %bb.2108:
	s_waitcnt vmcnt(0)
	v_cvt_f16_f32_e32 v3, v2
	global_store_dword v[0:1], v3, off
.LBB401_2109:
	s_mov_b64 s[0:1], 0
.LBB401_2110:
	s_andn2_b64 vcc, exec, s[0:1]
	s_cbranch_vccnz .LBB401_2119
; %bb.2111:
	s_sext_i32_i16 s2, s14
	s_cmp_lt_i32 s2, 6
	s_mov_b64 s[0:1], -1
	s_cbranch_scc1 .LBB401_2117
; %bb.2112:
	s_cmp_gt_i32 s2, 6
	s_cbranch_scc0 .LBB401_2114
; %bb.2113:
	v_cvt_f64_f32_e32 v[4:5], v2
	s_waitcnt vmcnt(0)
	global_store_dwordx2 v[0:1], v[4:5], off
	s_mov_b64 s[0:1], 0
.LBB401_2114:
	s_andn2_b64 vcc, exec, s[0:1]
	s_cbranch_vccnz .LBB401_2116
; %bb.2115:
	s_waitcnt vmcnt(0)
	global_store_dword v[0:1], v2, off
.LBB401_2116:
	s_mov_b64 s[0:1], 0
.LBB401_2117:
	s_andn2_b64 vcc, exec, s[0:1]
	s_cbranch_vccnz .LBB401_2119
; %bb.2118:
	s_waitcnt vmcnt(0)
	v_cvt_f16_f32_e32 v3, v2
	global_store_short v[0:1], v3, off
.LBB401_2119:
	s_mov_b64 s[0:1], 0
.LBB401_2120:
	s_andn2_b64 vcc, exec, s[0:1]
	s_cbranch_vccnz .LBB401_2136
; %bb.2121:
	s_sext_i32_i16 s2, s14
	s_cmp_lt_i32 s2, 2
	s_mov_b64 s[0:1], -1
	s_cbranch_scc1 .LBB401_2131
; %bb.2122:
	s_cmp_lt_i32 s2, 3
	s_cbranch_scc1 .LBB401_2128
; %bb.2123:
	s_cmp_gt_i32 s2, 3
	s_cbranch_scc0 .LBB401_2125
; %bb.2124:
	s_waitcnt vmcnt(0)
	v_trunc_f32_e32 v3, v2
	s_mov_b32 s0, 0x2f800000
	v_mul_f32_e64 v4, |v3|, s0
	v_floor_f32_e32 v4, v4
	s_mov_b32 s0, 0xcf800000
	v_cvt_u32_f32_e32 v5, v4
	v_fma_f32 v4, v4, s0, |v3|
	v_cvt_u32_f32_e32 v4, v4
	v_ashrrev_i32_e32 v3, 31, v3
	v_xor_b32_e32 v5, v5, v3
	s_mov_b64 s[0:1], 0
	v_xor_b32_e32 v4, v4, v3
	v_sub_co_u32_e32 v4, vcc, v4, v3
	s_nop 1
	v_subb_co_u32_e32 v5, vcc, v5, v3, vcc
	global_store_dwordx2 v[0:1], v[4:5], off
.LBB401_2125:
	s_andn2_b64 vcc, exec, s[0:1]
	s_cbranch_vccnz .LBB401_2127
; %bb.2126:
	s_waitcnt vmcnt(0)
	v_cvt_i32_f32_e32 v3, v2
	global_store_dword v[0:1], v3, off
.LBB401_2127:
	s_mov_b64 s[0:1], 0
.LBB401_2128:
	s_andn2_b64 vcc, exec, s[0:1]
	s_cbranch_vccnz .LBB401_2130
; %bb.2129:
	s_waitcnt vmcnt(0)
	v_cvt_i32_f32_e32 v3, v2
	global_store_short v[0:1], v3, off
.LBB401_2130:
	s_mov_b64 s[0:1], 0
.LBB401_2131:
	s_andn2_b64 vcc, exec, s[0:1]
	s_cbranch_vccnz .LBB401_2136
; %bb.2132:
	s_sext_i32_i16 s0, s14
	s_cmp_gt_i32 s0, 0
	s_mov_b64 s[0:1], -1
	s_cbranch_scc0 .LBB401_2134
; %bb.2133:
	s_waitcnt vmcnt(0)
	v_cvt_i32_f32_e32 v3, v2
	s_mov_b64 s[0:1], 0
	global_store_byte v[0:1], v3, off
.LBB401_2134:
	s_andn2_b64 vcc, exec, s[0:1]
	s_cbranch_vccnz .LBB401_2136
; %bb.2135:
	v_trunc_f32_e32 v2, v2
	s_mov_b32 s0, 0x2f800000
	s_waitcnt vmcnt(0)
	v_mul_f32_e64 v3, |v2|, s0
	v_floor_f32_e32 v3, v3
	s_mov_b32 s0, 0xcf800000
	v_fma_f32 v3, v3, s0, |v2|
	v_cvt_u32_f32_e32 v3, v3
	v_ashrrev_i32_e32 v2, 31, v2
	v_xor_b32_e32 v3, v3, v2
	v_sub_u32_e32 v2, v3, v2
	global_store_byte v[0:1], v2, off
	s_endpgm
.LBB401_2136:
	s_endpgm
.LBB401_2137:
	s_mov_b64 s[4:5], 0
	s_mov_b64 s[0:1], -1
	s_branch .LBB401_2093
.LBB401_2138:
	s_trap 2
	s_or_b64 s[2:3], s[2:3], exec
	s_cbranch_execz .LBB401_1607
	s_branch .LBB401_1608
.LBB401_2139:
	s_andn2_saveexec_b64 s[12:13], s[12:13]
	s_cbranch_execz .LBB401_1687
.LBB401_2140:
	s_mov_b32 s16, 0x46000000
	v_add_f32_e64 v1, |v8|, s16
	v_and_b32_e32 v1, 0xff, v1
	v_cmp_ne_u32_e32 vcc, 0, v1
	s_andn2_b64 s[10:11], s[10:11], exec
	s_and_b64 s[16:17], vcc, exec
	s_or_b64 s[10:11], s[10:11], s[16:17]
	s_or_b64 exec, exec, s[12:13]
	v_mov_b32_e32 v5, 0
	s_and_saveexec_b64 s[12:13], s[10:11]
	s_cbranch_execnz .LBB401_1688
	s_branch .LBB401_1689
.LBB401_2141:
	s_trap 2
	s_or_b64 s[2:3], s[2:3], exec
	s_cbranch_execz .LBB401_1735
	s_branch .LBB401_1736
.LBB401_2142:
	s_andn2_saveexec_b64 s[10:11], s[10:11]
	s_cbranch_execz .LBB401_1700
.LBB401_2143:
	s_mov_b32 s12, 0x42800000
	v_add_f32_e64 v1, |v8|, s12
	v_and_b32_e32 v1, 0xff, v1
	v_cmp_ne_u32_e32 vcc, 0, v1
	s_andn2_b64 s[8:9], s[8:9], exec
	s_and_b64 s[12:13], vcc, exec
	s_or_b64 s[8:9], s[8:9], s[12:13]
	s_or_b64 exec, exec, s[10:11]
	v_mov_b32_e32 v5, 0
	s_and_saveexec_b64 s[10:11], s[8:9]
	s_cbranch_execnz .LBB401_1701
	s_branch .LBB401_1702
.LBB401_2144:
	s_andn2_saveexec_b64 s[12:13], s[12:13]
	s_cbranch_execz .LBB401_1806
.LBB401_2145:
	s_mov_b32 s16, 0x46000000
	v_add_f32_e64 v1, |v6|, s16
	v_and_b32_e32 v1, 0xff, v1
	v_cmp_ne_u32_e32 vcc, 0, v1
	s_andn2_b64 s[10:11], s[10:11], exec
	s_and_b64 s[16:17], vcc, exec
	s_or_b64 s[10:11], s[10:11], s[16:17]
	s_or_b64 exec, exec, s[12:13]
	v_mov_b32_e32 v3, 0
	s_and_saveexec_b64 s[12:13], s[10:11]
	s_cbranch_execnz .LBB401_1807
	s_branch .LBB401_1808
.LBB401_2146:
	s_trap 2
	s_or_b64 s[2:3], s[2:3], exec
	s_cbranch_execz .LBB401_1854
	s_branch .LBB401_1855
.LBB401_2147:
	s_andn2_saveexec_b64 s[10:11], s[10:11]
	s_cbranch_execz .LBB401_1819
.LBB401_2148:
	s_mov_b32 s12, 0x42800000
	v_add_f32_e64 v1, |v6|, s12
	v_and_b32_e32 v1, 0xff, v1
	v_cmp_ne_u32_e32 vcc, 0, v1
	s_andn2_b64 s[8:9], s[8:9], exec
	s_and_b64 s[12:13], vcc, exec
	s_or_b64 s[8:9], s[8:9], s[12:13]
	s_or_b64 exec, exec, s[10:11]
	v_mov_b32_e32 v3, 0
	s_and_saveexec_b64 s[10:11], s[8:9]
	s_cbranch_execnz .LBB401_1820
	s_branch .LBB401_1821
.LBB401_2149:
	s_andn2_saveexec_b64 s[12:13], s[12:13]
	s_cbranch_execz .LBB401_1925
.LBB401_2150:
	s_mov_b32 s16, 0x46000000
	v_add_f32_e64 v1, |v4|, s16
	v_and_b32_e32 v1, 0xff, v1
	v_cmp_ne_u32_e32 vcc, 0, v1
	s_andn2_b64 s[10:11], s[10:11], exec
	s_and_b64 s[16:17], vcc, exec
	s_or_b64 s[10:11], s[10:11], s[16:17]
	s_or_b64 exec, exec, s[12:13]
	v_mov_b32_e32 v5, 0
	s_and_saveexec_b64 s[12:13], s[10:11]
	s_cbranch_execnz .LBB401_1926
	s_branch .LBB401_1927
.LBB401_2151:
	s_trap 2
	s_or_b64 s[2:3], s[2:3], exec
	s_cbranch_execz .LBB401_1973
	s_branch .LBB401_1974
.LBB401_2152:
	s_andn2_saveexec_b64 s[10:11], s[10:11]
	s_cbranch_execz .LBB401_1938
.LBB401_2153:
	s_mov_b32 s12, 0x42800000
	v_add_f32_e64 v1, |v4|, s12
	v_and_b32_e32 v1, 0xff, v1
	v_cmp_ne_u32_e32 vcc, 0, v1
	s_andn2_b64 s[8:9], s[8:9], exec
	s_and_b64 s[12:13], vcc, exec
	s_or_b64 s[8:9], s[8:9], s[12:13]
	s_or_b64 exec, exec, s[10:11]
	v_mov_b32_e32 v5, 0
	s_and_saveexec_b64 s[10:11], s[8:9]
	s_cbranch_execnz .LBB401_1939
	s_branch .LBB401_1940
.LBB401_2154:
	s_andn2_saveexec_b64 s[10:11], s[10:11]
	s_cbranch_execz .LBB401_2045
.LBB401_2155:
	s_mov_b32 s12, 0x46000000
	v_add_f32_e64 v3, |v2|, s12
	v_and_b32_e32 v3, 0xff, v3
	v_cmp_ne_u32_e32 vcc, 0, v3
	s_andn2_b64 s[8:9], s[8:9], exec
	s_and_b64 s[12:13], vcc, exec
	s_or_b64 s[8:9], s[8:9], s[12:13]
	s_or_b64 exec, exec, s[10:11]
	v_mov_b32_e32 v4, 0
	s_and_saveexec_b64 s[10:11], s[8:9]
	s_cbranch_execnz .LBB401_2046
	s_branch .LBB401_2047
.LBB401_2156:
	s_mov_b64 s[4:5], 0
	s_or_b64 s[2:3], s[2:3], exec
	s_trap 2
	s_branch .LBB401_2091
.LBB401_2157:
	s_andn2_saveexec_b64 s[8:9], s[8:9]
	s_cbranch_execz .LBB401_2057
.LBB401_2158:
	s_mov_b32 s10, 0x42800000
	v_add_f32_e64 v3, |v2|, s10
	v_and_b32_e32 v3, 0xff, v3
	v_cmp_ne_u32_e32 vcc, 0, v3
	s_andn2_b64 s[6:7], s[6:7], exec
	s_and_b64 s[10:11], vcc, exec
	s_or_b64 s[6:7], s[6:7], s[10:11]
	s_or_b64 exec, exec, s[8:9]
	v_mov_b32_e32 v4, 0
	s_and_saveexec_b64 s[8:9], s[6:7]
	s_cbranch_execnz .LBB401_2058
	s_branch .LBB401_2059
	.section	.rodata,"a",@progbits
	.p2align	6, 0x0
	.amdhsa_kernel _ZN2at6native32elementwise_kernel_manual_unrollILi128ELi4EZNS0_15gpu_kernel_implIZZZNS0_21clamp_min_kernel_cudaERNS_18TensorIteratorBaseERKN3c106ScalarEENKUlvE_clEvENKUlvE5_clEvEUlfE_EEvS4_RKT_EUlibE0_EEviT1_
		.amdhsa_group_segment_fixed_size 0
		.amdhsa_private_segment_fixed_size 0
		.amdhsa_kernarg_size 360
		.amdhsa_user_sgpr_count 2
		.amdhsa_user_sgpr_dispatch_ptr 0
		.amdhsa_user_sgpr_queue_ptr 0
		.amdhsa_user_sgpr_kernarg_segment_ptr 1
		.amdhsa_user_sgpr_dispatch_id 0
		.amdhsa_user_sgpr_kernarg_preload_length 0
		.amdhsa_user_sgpr_kernarg_preload_offset 0
		.amdhsa_user_sgpr_private_segment_size 0
		.amdhsa_uses_dynamic_stack 0
		.amdhsa_enable_private_segment 0
		.amdhsa_system_sgpr_workgroup_id_x 1
		.amdhsa_system_sgpr_workgroup_id_y 0
		.amdhsa_system_sgpr_workgroup_id_z 0
		.amdhsa_system_sgpr_workgroup_info 0
		.amdhsa_system_vgpr_workitem_id 0
		.amdhsa_next_free_vgpr 18
		.amdhsa_next_free_sgpr 79
		.amdhsa_accum_offset 20
		.amdhsa_reserve_vcc 1
		.amdhsa_float_round_mode_32 0
		.amdhsa_float_round_mode_16_64 0
		.amdhsa_float_denorm_mode_32 3
		.amdhsa_float_denorm_mode_16_64 3
		.amdhsa_dx10_clamp 1
		.amdhsa_ieee_mode 1
		.amdhsa_fp16_overflow 0
		.amdhsa_tg_split 0
		.amdhsa_exception_fp_ieee_invalid_op 0
		.amdhsa_exception_fp_denorm_src 0
		.amdhsa_exception_fp_ieee_div_zero 0
		.amdhsa_exception_fp_ieee_overflow 0
		.amdhsa_exception_fp_ieee_underflow 0
		.amdhsa_exception_fp_ieee_inexact 0
		.amdhsa_exception_int_div_zero 0
	.end_amdhsa_kernel
	.section	.text._ZN2at6native32elementwise_kernel_manual_unrollILi128ELi4EZNS0_15gpu_kernel_implIZZZNS0_21clamp_min_kernel_cudaERNS_18TensorIteratorBaseERKN3c106ScalarEENKUlvE_clEvENKUlvE5_clEvEUlfE_EEvS4_RKT_EUlibE0_EEviT1_,"axG",@progbits,_ZN2at6native32elementwise_kernel_manual_unrollILi128ELi4EZNS0_15gpu_kernel_implIZZZNS0_21clamp_min_kernel_cudaERNS_18TensorIteratorBaseERKN3c106ScalarEENKUlvE_clEvENKUlvE5_clEvEUlfE_EEvS4_RKT_EUlibE0_EEviT1_,comdat
.Lfunc_end401:
	.size	_ZN2at6native32elementwise_kernel_manual_unrollILi128ELi4EZNS0_15gpu_kernel_implIZZZNS0_21clamp_min_kernel_cudaERNS_18TensorIteratorBaseERKN3c106ScalarEENKUlvE_clEvENKUlvE5_clEvEUlfE_EEvS4_RKT_EUlibE0_EEviT1_, .Lfunc_end401-_ZN2at6native32elementwise_kernel_manual_unrollILi128ELi4EZNS0_15gpu_kernel_implIZZZNS0_21clamp_min_kernel_cudaERNS_18TensorIteratorBaseERKN3c106ScalarEENKUlvE_clEvENKUlvE5_clEvEUlfE_EEvS4_RKT_EUlibE0_EEviT1_
                                        ; -- End function
	.set _ZN2at6native32elementwise_kernel_manual_unrollILi128ELi4EZNS0_15gpu_kernel_implIZZZNS0_21clamp_min_kernel_cudaERNS_18TensorIteratorBaseERKN3c106ScalarEENKUlvE_clEvENKUlvE5_clEvEUlfE_EEvS4_RKT_EUlibE0_EEviT1_.num_vgpr, 18
	.set _ZN2at6native32elementwise_kernel_manual_unrollILi128ELi4EZNS0_15gpu_kernel_implIZZZNS0_21clamp_min_kernel_cudaERNS_18TensorIteratorBaseERKN3c106ScalarEENKUlvE_clEvENKUlvE5_clEvEUlfE_EEvS4_RKT_EUlibE0_EEviT1_.num_agpr, 0
	.set _ZN2at6native32elementwise_kernel_manual_unrollILi128ELi4EZNS0_15gpu_kernel_implIZZZNS0_21clamp_min_kernel_cudaERNS_18TensorIteratorBaseERKN3c106ScalarEENKUlvE_clEvENKUlvE5_clEvEUlfE_EEvS4_RKT_EUlibE0_EEviT1_.numbered_sgpr, 79
	.set _ZN2at6native32elementwise_kernel_manual_unrollILi128ELi4EZNS0_15gpu_kernel_implIZZZNS0_21clamp_min_kernel_cudaERNS_18TensorIteratorBaseERKN3c106ScalarEENKUlvE_clEvENKUlvE5_clEvEUlfE_EEvS4_RKT_EUlibE0_EEviT1_.num_named_barrier, 0
	.set _ZN2at6native32elementwise_kernel_manual_unrollILi128ELi4EZNS0_15gpu_kernel_implIZZZNS0_21clamp_min_kernel_cudaERNS_18TensorIteratorBaseERKN3c106ScalarEENKUlvE_clEvENKUlvE5_clEvEUlfE_EEvS4_RKT_EUlibE0_EEviT1_.private_seg_size, 0
	.set _ZN2at6native32elementwise_kernel_manual_unrollILi128ELi4EZNS0_15gpu_kernel_implIZZZNS0_21clamp_min_kernel_cudaERNS_18TensorIteratorBaseERKN3c106ScalarEENKUlvE_clEvENKUlvE5_clEvEUlfE_EEvS4_RKT_EUlibE0_EEviT1_.uses_vcc, 1
	.set _ZN2at6native32elementwise_kernel_manual_unrollILi128ELi4EZNS0_15gpu_kernel_implIZZZNS0_21clamp_min_kernel_cudaERNS_18TensorIteratorBaseERKN3c106ScalarEENKUlvE_clEvENKUlvE5_clEvEUlfE_EEvS4_RKT_EUlibE0_EEviT1_.uses_flat_scratch, 0
	.set _ZN2at6native32elementwise_kernel_manual_unrollILi128ELi4EZNS0_15gpu_kernel_implIZZZNS0_21clamp_min_kernel_cudaERNS_18TensorIteratorBaseERKN3c106ScalarEENKUlvE_clEvENKUlvE5_clEvEUlfE_EEvS4_RKT_EUlibE0_EEviT1_.has_dyn_sized_stack, 0
	.set _ZN2at6native32elementwise_kernel_manual_unrollILi128ELi4EZNS0_15gpu_kernel_implIZZZNS0_21clamp_min_kernel_cudaERNS_18TensorIteratorBaseERKN3c106ScalarEENKUlvE_clEvENKUlvE5_clEvEUlfE_EEvS4_RKT_EUlibE0_EEviT1_.has_recursion, 0
	.set _ZN2at6native32elementwise_kernel_manual_unrollILi128ELi4EZNS0_15gpu_kernel_implIZZZNS0_21clamp_min_kernel_cudaERNS_18TensorIteratorBaseERKN3c106ScalarEENKUlvE_clEvENKUlvE5_clEvEUlfE_EEvS4_RKT_EUlibE0_EEviT1_.has_indirect_call, 0
	.section	.AMDGPU.csdata,"",@progbits
; Kernel info:
; codeLenInByte = 38036
; TotalNumSgprs: 85
; NumVgprs: 18
; NumAgprs: 0
; TotalNumVgprs: 18
; ScratchSize: 0
; MemoryBound: 1
; FloatMode: 240
; IeeeMode: 1
; LDSByteSize: 0 bytes/workgroup (compile time only)
; SGPRBlocks: 10
; VGPRBlocks: 2
; NumSGPRsForWavesPerEU: 85
; NumVGPRsForWavesPerEU: 18
; AccumOffset: 20
; Occupancy: 8
; WaveLimiterHint : 1
; COMPUTE_PGM_RSRC2:SCRATCH_EN: 0
; COMPUTE_PGM_RSRC2:USER_SGPR: 2
; COMPUTE_PGM_RSRC2:TRAP_HANDLER: 0
; COMPUTE_PGM_RSRC2:TGID_X_EN: 1
; COMPUTE_PGM_RSRC2:TGID_Y_EN: 0
; COMPUTE_PGM_RSRC2:TGID_Z_EN: 0
; COMPUTE_PGM_RSRC2:TIDIG_COMP_CNT: 0
; COMPUTE_PGM_RSRC3_GFX90A:ACCUM_OFFSET: 4
; COMPUTE_PGM_RSRC3_GFX90A:TG_SPLIT: 0
	.section	.text._ZN2at6native29vectorized_elementwise_kernelILi16EZZZNS0_21clamp_min_kernel_cudaERNS_18TensorIteratorBaseERKN3c106ScalarEENKUlvE_clEvENKUlvE6_clEvEUlNS4_4HalfEE_St5arrayIPcLm2EEEEviT0_T1_,"axG",@progbits,_ZN2at6native29vectorized_elementwise_kernelILi16EZZZNS0_21clamp_min_kernel_cudaERNS_18TensorIteratorBaseERKN3c106ScalarEENKUlvE_clEvENKUlvE6_clEvEUlNS4_4HalfEE_St5arrayIPcLm2EEEEviT0_T1_,comdat
	.globl	_ZN2at6native29vectorized_elementwise_kernelILi16EZZZNS0_21clamp_min_kernel_cudaERNS_18TensorIteratorBaseERKN3c106ScalarEENKUlvE_clEvENKUlvE6_clEvEUlNS4_4HalfEE_St5arrayIPcLm2EEEEviT0_T1_ ; -- Begin function _ZN2at6native29vectorized_elementwise_kernelILi16EZZZNS0_21clamp_min_kernel_cudaERNS_18TensorIteratorBaseERKN3c106ScalarEENKUlvE_clEvENKUlvE6_clEvEUlNS4_4HalfEE_St5arrayIPcLm2EEEEviT0_T1_
	.p2align	8
	.type	_ZN2at6native29vectorized_elementwise_kernelILi16EZZZNS0_21clamp_min_kernel_cudaERNS_18TensorIteratorBaseERKN3c106ScalarEENKUlvE_clEvENKUlvE6_clEvEUlNS4_4HalfEE_St5arrayIPcLm2EEEEviT0_T1_,@function
_ZN2at6native29vectorized_elementwise_kernelILi16EZZZNS0_21clamp_min_kernel_cudaERNS_18TensorIteratorBaseERKN3c106ScalarEENKUlvE_clEvENKUlvE6_clEvEUlNS4_4HalfEE_St5arrayIPcLm2EEEEviT0_T1_: ; @_ZN2at6native29vectorized_elementwise_kernelILi16EZZZNS0_21clamp_min_kernel_cudaERNS_18TensorIteratorBaseERKN3c106ScalarEENKUlvE_clEvENKUlvE6_clEvEUlNS4_4HalfEE_St5arrayIPcLm2EEEEviT0_T1_
; %bb.0:
	s_load_dwordx2 s[14:15], s[0:1], 0x0
	s_load_dwordx4 s[16:19], s[0:1], 0x8
	s_lshl_b32 s20, s2, 11
	s_mov_b64 s[0:1], -1
	s_waitcnt lgkmcnt(0)
	s_sub_i32 s14, s14, s20
	s_cmpk_gt_i32 s14, 0x7ff
	s_cbranch_scc0 .LBB402_2
; %bb.1:
	s_ashr_i32 s21, s20, 31
	s_lshl_b64 s[22:23], s[20:21], 1
	s_add_u32 s0, s18, s22
	s_addc_u32 s1, s19, s23
	v_lshlrev_b32_e32 v1, 4, v0
	global_load_dwordx4 v[2:5], v1, s[0:1]
	v_mov_b32_e32 v6, s15
	s_mov_b32 s21, 0x5040100
	s_waitcnt vmcnt(0)
	v_cmp_u_f16_e32 vcc, v2, v2
	v_cmp_lt_f16_e64 s[0:1], s15, v2
	v_lshrrev_b32_e32 v7, 16, v2
	v_cmp_u_f16_e64 s[2:3], v3, v3
	v_cmp_lt_f16_e64 s[4:5], s15, v3
	s_or_b64 vcc, vcc, s[0:1]
	v_lshrrev_b32_e32 v8, 16, v3
	v_cmp_u_f16_e64 s[6:7], v4, v4
	v_cmp_lt_f16_e64 s[8:9], s15, v4
	v_cndmask_b32_e32 v2, v6, v2, vcc
	v_cmp_u_f16_e32 vcc, v7, v7
	v_cmp_lt_f16_e64 s[0:1], s15, v7
	s_or_b64 s[2:3], s[2:3], s[4:5]
	v_lshrrev_b32_e32 v9, 16, v4
	v_cmp_u_f16_e64 s[10:11], v5, v5
	v_cmp_lt_f16_e64 s[12:13], s15, v5
	v_cndmask_b32_e64 v3, v6, v3, s[2:3]
	v_cmp_u_f16_e64 s[2:3], v8, v8
	v_cmp_lt_f16_e64 s[4:5], s15, v8
	s_or_b64 s[6:7], s[6:7], s[8:9]
	s_or_b64 vcc, vcc, s[0:1]
	v_lshrrev_b32_e32 v10, 16, v5
	v_cndmask_b32_e64 v4, v6, v4, s[6:7]
	v_cmp_u_f16_e64 s[6:7], v9, v9
	v_cmp_lt_f16_e64 s[8:9], s15, v9
	s_or_b64 s[10:11], s[10:11], s[12:13]
	v_cndmask_b32_e32 v7, v6, v7, vcc
	s_or_b64 vcc, s[2:3], s[4:5]
	v_cndmask_b32_e64 v5, v6, v5, s[10:11]
	v_cmp_u_f16_e64 s[10:11], v10, v10
	v_cmp_lt_f16_e64 s[12:13], s15, v10
	v_cndmask_b32_e32 v8, v6, v8, vcc
	s_or_b64 vcc, s[6:7], s[8:9]
	v_cndmask_b32_e32 v9, v6, v9, vcc
	s_or_b64 vcc, s[10:11], s[12:13]
	v_cndmask_b32_e32 v6, v6, v10, vcc
	s_add_u32 s0, s16, s22
	v_perm_b32 v5, v6, v5, s21
	v_perm_b32 v4, v9, v4, s21
	;; [unrolled: 1-line block ×4, first 2 shown]
	s_addc_u32 s1, s17, s23
	global_store_dwordx4 v1, v[2:5], s[0:1]
	s_mov_b64 s[0:1], 0
.LBB402_2:
	s_andn2_b64 vcc, exec, s[0:1]
	s_cbranch_vccnz .LBB402_26
; %bb.3:
	v_cmp_gt_i32_e32 vcc, s14, v0
	v_mov_b32_e32 v6, 0
	v_or_b32_e32 v2, s20, v0
	v_mov_b32_e32 v8, 0
	v_mov_b32_e32 v3, v0
	s_and_saveexec_b64 s[0:1], vcc
	s_cbranch_execz .LBB402_5
; %bb.4:
	v_mov_b32_e32 v3, 0
	v_lshl_add_u64 v[4:5], v[2:3], 1, s[18:19]
	global_load_ushort v8, v[4:5], off
	v_or_b32_e32 v3, 0x100, v0
.LBB402_5:
	s_or_b64 exec, exec, s[0:1]
	v_cmp_gt_i32_e64 s[0:1], s14, v3
	s_and_saveexec_b64 s[2:3], s[0:1]
	s_cbranch_execz .LBB402_7
; %bb.6:
	v_add_u32_e32 v4, s20, v3
	v_mov_b32_e32 v5, 0
	v_lshl_add_u64 v[4:5], v[4:5], 1, s[18:19]
	global_load_ushort v6, v[4:5], off
	v_add_u32_e32 v3, 0x100, v3
.LBB402_7:
	s_or_b64 exec, exec, s[2:3]
	v_cmp_gt_i32_e64 s[0:1], s14, v3
	v_mov_b32_e32 v5, 0
	v_mov_b32_e32 v10, 0
	s_and_saveexec_b64 s[2:3], s[0:1]
	s_cbranch_execz .LBB402_9
; %bb.8:
	v_add_u32_e32 v10, s20, v3
	v_mov_b32_e32 v11, 0
	v_lshl_add_u64 v[10:11], v[10:11], 1, s[18:19]
	global_load_ushort v10, v[10:11], off
	v_add_u32_e32 v3, 0x100, v3
.LBB402_9:
	s_or_b64 exec, exec, s[2:3]
	v_cmp_gt_i32_e64 s[0:1], s14, v3
	s_and_saveexec_b64 s[2:3], s[0:1]
	s_cbranch_execz .LBB402_11
; %bb.10:
	v_add_u32_e32 v4, s20, v3
	v_mov_b32_e32 v5, 0
	v_lshl_add_u64 v[4:5], v[4:5], 1, s[18:19]
	global_load_ushort v5, v[4:5], off
	v_add_u32_e32 v3, 0x100, v3
.LBB402_11:
	s_or_b64 exec, exec, s[2:3]
	v_cmp_gt_i32_e64 s[0:1], s14, v3
	v_mov_b32_e32 v4, 0
	v_mov_b32_e32 v9, 0
	s_and_saveexec_b64 s[2:3], s[0:1]
	s_cbranch_execz .LBB402_13
; %bb.12:
	v_add_u32_e32 v12, s20, v3
	v_mov_b32_e32 v13, 0
	v_lshl_add_u64 v[12:13], v[12:13], 1, s[18:19]
	global_load_ushort v9, v[12:13], off
	v_add_u32_e32 v3, 0x100, v3
.LBB402_13:
	s_or_b64 exec, exec, s[2:3]
	v_cmp_gt_i32_e64 s[0:1], s14, v3
	s_and_saveexec_b64 s[2:3], s[0:1]
	s_cbranch_execz .LBB402_15
; %bb.14:
	v_add_u32_e32 v12, s20, v3
	v_mov_b32_e32 v13, 0
	v_lshl_add_u64 v[12:13], v[12:13], 1, s[18:19]
	global_load_ushort v4, v[12:13], off
	v_add_u32_e32 v3, 0x100, v3
.LBB402_15:
	s_or_b64 exec, exec, s[2:3]
	v_cmp_gt_i32_e64 s[0:1], s14, v3
	v_mov_b32_e32 v1, 0
	v_mov_b32_e32 v7, 0
	s_and_saveexec_b64 s[2:3], s[0:1]
	s_cbranch_execnz .LBB402_27
; %bb.16:
	s_or_b64 exec, exec, s[2:3]
	v_cmp_gt_i32_e64 s[0:1], s14, v3
	s_and_saveexec_b64 s[2:3], s[0:1]
	s_cbranch_execnz .LBB402_28
.LBB402_17:
	s_or_b64 exec, exec, s[2:3]
	s_and_saveexec_b64 s[2:3], vcc
	s_cbranch_execnz .LBB402_29
.LBB402_18:
	s_or_b64 exec, exec, s[2:3]
	v_cmp_gt_i32_e32 vcc, s14, v0
	s_and_saveexec_b64 s[2:3], vcc
	s_cbranch_execnz .LBB402_30
.LBB402_19:
	s_or_b64 exec, exec, s[2:3]
	v_cmp_gt_i32_e32 vcc, s14, v0
	s_and_saveexec_b64 s[2:3], vcc
	s_cbranch_execnz .LBB402_31
.LBB402_20:
	s_or_b64 exec, exec, s[2:3]
	v_cmp_gt_i32_e32 vcc, s14, v0
	s_and_saveexec_b64 s[2:3], vcc
	s_cbranch_execnz .LBB402_32
.LBB402_21:
	s_or_b64 exec, exec, s[2:3]
	v_cmp_gt_i32_e32 vcc, s14, v0
	s_and_saveexec_b64 s[2:3], vcc
	s_cbranch_execnz .LBB402_33
.LBB402_22:
	s_or_b64 exec, exec, s[2:3]
	v_cmp_gt_i32_e32 vcc, s14, v0
	s_and_saveexec_b64 s[2:3], vcc
	s_cbranch_execnz .LBB402_34
.LBB402_23:
	s_or_b64 exec, exec, s[2:3]
	v_cmp_gt_i32_e32 vcc, s14, v0
	s_and_saveexec_b64 s[2:3], vcc
	s_cbranch_execnz .LBB402_35
.LBB402_24:
	s_or_b64 exec, exec, s[2:3]
	v_cmp_gt_i32_e32 vcc, s14, v0
	s_and_saveexec_b64 s[0:1], vcc
	s_cbranch_execz .LBB402_26
.LBB402_25:
	s_waitcnt vmcnt(0)
	v_cmp_u_f16_e32 vcc, v1, v1
	v_cmp_lt_f16_e64 s[0:1], s15, v1
	v_mov_b32_e32 v2, s15
	s_or_b64 vcc, vcc, s[0:1]
	v_cndmask_b32_e32 v2, v2, v1, vcc
	v_add_u32_e32 v0, s20, v0
	v_mov_b32_e32 v1, 0
	v_lshl_add_u64 v[0:1], v[0:1], 1, s[16:17]
	global_store_short v[0:1], v2, off
.LBB402_26:
	s_endpgm
.LBB402_27:
	v_add_u32_e32 v12, s20, v3
	v_mov_b32_e32 v13, 0
	v_lshl_add_u64 v[12:13], v[12:13], 1, s[18:19]
	global_load_ushort v7, v[12:13], off
	v_add_u32_e32 v3, 0x100, v3
	s_or_b64 exec, exec, s[2:3]
	v_cmp_gt_i32_e64 s[0:1], s14, v3
	s_and_saveexec_b64 s[2:3], s[0:1]
	s_cbranch_execz .LBB402_17
.LBB402_28:
	v_add_u32_e32 v12, s20, v3
	v_mov_b32_e32 v13, 0
	v_lshl_add_u64 v[12:13], v[12:13], 1, s[18:19]
	global_load_ushort v1, v[12:13], off
	s_or_b64 exec, exec, s[2:3]
	s_and_saveexec_b64 s[2:3], vcc
	s_cbranch_execz .LBB402_18
.LBB402_29:
	s_waitcnt vmcnt(0)
	v_cmp_u_f16_e32 vcc, v8, v8
	v_cmp_lt_f16_e64 s[0:1], s15, v8
	v_mov_b32_e32 v3, 0
	v_mov_b32_e32 v11, s15
	s_or_b64 vcc, vcc, s[0:1]
	v_lshl_add_u64 v[2:3], v[2:3], 1, s[16:17]
	v_or_b32_e32 v0, 0x100, v0
	v_cndmask_b32_e32 v8, v11, v8, vcc
	global_store_short v[2:3], v8, off
	s_or_b64 exec, exec, s[2:3]
	v_cmp_gt_i32_e32 vcc, s14, v0
	s_and_saveexec_b64 s[2:3], vcc
	s_cbranch_execz .LBB402_19
.LBB402_30:
	s_waitcnt vmcnt(0)
	v_cmp_u_f16_e32 vcc, v6, v6
	v_cmp_lt_f16_e64 s[0:1], s15, v6
	v_mov_b32_e32 v2, s15
	s_or_b64 vcc, vcc, s[0:1]
	v_cndmask_b32_e32 v6, v2, v6, vcc
	v_add_u32_e32 v2, s20, v0
	v_mov_b32_e32 v3, 0
	v_lshl_add_u64 v[2:3], v[2:3], 1, s[16:17]
	v_add_u32_e32 v0, 0x100, v0
	global_store_short v[2:3], v6, off
	s_or_b64 exec, exec, s[2:3]
	v_cmp_gt_i32_e32 vcc, s14, v0
	s_and_saveexec_b64 s[2:3], vcc
	s_cbranch_execz .LBB402_20
.LBB402_31:
	s_waitcnt vmcnt(0)
	v_cmp_u_f16_e32 vcc, v10, v10
	v_cmp_lt_f16_e64 s[0:1], s15, v10
	v_mov_b32_e32 v2, s15
	s_or_b64 vcc, vcc, s[0:1]
	v_cndmask_b32_e32 v6, v2, v10, vcc
	v_add_u32_e32 v2, s20, v0
	v_mov_b32_e32 v3, 0
	v_lshl_add_u64 v[2:3], v[2:3], 1, s[16:17]
	v_add_u32_e32 v0, 0x100, v0
	global_store_short v[2:3], v6, off
	s_or_b64 exec, exec, s[2:3]
	v_cmp_gt_i32_e32 vcc, s14, v0
	s_and_saveexec_b64 s[2:3], vcc
	s_cbranch_execz .LBB402_21
.LBB402_32:
	s_waitcnt vmcnt(0)
	v_cmp_u_f16_e32 vcc, v5, v5
	v_cmp_lt_f16_e64 s[0:1], s15, v5
	v_mov_b32_e32 v2, s15
	s_or_b64 vcc, vcc, s[0:1]
	v_cndmask_b32_e32 v5, v2, v5, vcc
	v_add_u32_e32 v2, s20, v0
	v_mov_b32_e32 v3, 0
	v_lshl_add_u64 v[2:3], v[2:3], 1, s[16:17]
	v_add_u32_e32 v0, 0x100, v0
	global_store_short v[2:3], v5, off
	s_or_b64 exec, exec, s[2:3]
	v_cmp_gt_i32_e32 vcc, s14, v0
	s_and_saveexec_b64 s[2:3], vcc
	s_cbranch_execz .LBB402_22
.LBB402_33:
	s_waitcnt vmcnt(0)
	v_cmp_u_f16_e32 vcc, v9, v9
	v_cmp_lt_f16_e64 s[0:1], s15, v9
	v_mov_b32_e32 v2, s15
	s_or_b64 vcc, vcc, s[0:1]
	v_cndmask_b32_e32 v5, v2, v9, vcc
	v_add_u32_e32 v2, s20, v0
	v_mov_b32_e32 v3, 0
	v_lshl_add_u64 v[2:3], v[2:3], 1, s[16:17]
	v_add_u32_e32 v0, 0x100, v0
	global_store_short v[2:3], v5, off
	s_or_b64 exec, exec, s[2:3]
	v_cmp_gt_i32_e32 vcc, s14, v0
	s_and_saveexec_b64 s[2:3], vcc
	s_cbranch_execz .LBB402_23
.LBB402_34:
	s_waitcnt vmcnt(0)
	v_cmp_u_f16_e32 vcc, v4, v4
	v_cmp_lt_f16_e64 s[0:1], s15, v4
	v_mov_b32_e32 v2, s15
	s_or_b64 vcc, vcc, s[0:1]
	v_cndmask_b32_e32 v4, v2, v4, vcc
	v_add_u32_e32 v2, s20, v0
	v_mov_b32_e32 v3, 0
	v_lshl_add_u64 v[2:3], v[2:3], 1, s[16:17]
	v_add_u32_e32 v0, 0x100, v0
	global_store_short v[2:3], v4, off
	s_or_b64 exec, exec, s[2:3]
	v_cmp_gt_i32_e32 vcc, s14, v0
	s_and_saveexec_b64 s[2:3], vcc
	s_cbranch_execz .LBB402_24
.LBB402_35:
	s_waitcnt vmcnt(0)
	v_cmp_u_f16_e32 vcc, v7, v7
	v_cmp_lt_f16_e64 s[0:1], s15, v7
	v_mov_b32_e32 v2, s15
	s_or_b64 vcc, vcc, s[0:1]
	v_cndmask_b32_e32 v4, v2, v7, vcc
	v_add_u32_e32 v2, s20, v0
	v_mov_b32_e32 v3, 0
	v_lshl_add_u64 v[2:3], v[2:3], 1, s[16:17]
	v_add_u32_e32 v0, 0x100, v0
	global_store_short v[2:3], v4, off
	s_or_b64 exec, exec, s[2:3]
	v_cmp_gt_i32_e32 vcc, s14, v0
	s_and_saveexec_b64 s[0:1], vcc
	s_cbranch_execnz .LBB402_25
	s_branch .LBB402_26
	.section	.rodata,"a",@progbits
	.p2align	6, 0x0
	.amdhsa_kernel _ZN2at6native29vectorized_elementwise_kernelILi16EZZZNS0_21clamp_min_kernel_cudaERNS_18TensorIteratorBaseERKN3c106ScalarEENKUlvE_clEvENKUlvE6_clEvEUlNS4_4HalfEE_St5arrayIPcLm2EEEEviT0_T1_
		.amdhsa_group_segment_fixed_size 0
		.amdhsa_private_segment_fixed_size 0
		.amdhsa_kernarg_size 24
		.amdhsa_user_sgpr_count 2
		.amdhsa_user_sgpr_dispatch_ptr 0
		.amdhsa_user_sgpr_queue_ptr 0
		.amdhsa_user_sgpr_kernarg_segment_ptr 1
		.amdhsa_user_sgpr_dispatch_id 0
		.amdhsa_user_sgpr_kernarg_preload_length 0
		.amdhsa_user_sgpr_kernarg_preload_offset 0
		.amdhsa_user_sgpr_private_segment_size 0
		.amdhsa_uses_dynamic_stack 0
		.amdhsa_enable_private_segment 0
		.amdhsa_system_sgpr_workgroup_id_x 1
		.amdhsa_system_sgpr_workgroup_id_y 0
		.amdhsa_system_sgpr_workgroup_id_z 0
		.amdhsa_system_sgpr_workgroup_info 0
		.amdhsa_system_vgpr_workitem_id 0
		.amdhsa_next_free_vgpr 14
		.amdhsa_next_free_sgpr 24
		.amdhsa_accum_offset 16
		.amdhsa_reserve_vcc 1
		.amdhsa_float_round_mode_32 0
		.amdhsa_float_round_mode_16_64 0
		.amdhsa_float_denorm_mode_32 3
		.amdhsa_float_denorm_mode_16_64 3
		.amdhsa_dx10_clamp 1
		.amdhsa_ieee_mode 1
		.amdhsa_fp16_overflow 0
		.amdhsa_tg_split 0
		.amdhsa_exception_fp_ieee_invalid_op 0
		.amdhsa_exception_fp_denorm_src 0
		.amdhsa_exception_fp_ieee_div_zero 0
		.amdhsa_exception_fp_ieee_overflow 0
		.amdhsa_exception_fp_ieee_underflow 0
		.amdhsa_exception_fp_ieee_inexact 0
		.amdhsa_exception_int_div_zero 0
	.end_amdhsa_kernel
	.section	.text._ZN2at6native29vectorized_elementwise_kernelILi16EZZZNS0_21clamp_min_kernel_cudaERNS_18TensorIteratorBaseERKN3c106ScalarEENKUlvE_clEvENKUlvE6_clEvEUlNS4_4HalfEE_St5arrayIPcLm2EEEEviT0_T1_,"axG",@progbits,_ZN2at6native29vectorized_elementwise_kernelILi16EZZZNS0_21clamp_min_kernel_cudaERNS_18TensorIteratorBaseERKN3c106ScalarEENKUlvE_clEvENKUlvE6_clEvEUlNS4_4HalfEE_St5arrayIPcLm2EEEEviT0_T1_,comdat
.Lfunc_end402:
	.size	_ZN2at6native29vectorized_elementwise_kernelILi16EZZZNS0_21clamp_min_kernel_cudaERNS_18TensorIteratorBaseERKN3c106ScalarEENKUlvE_clEvENKUlvE6_clEvEUlNS4_4HalfEE_St5arrayIPcLm2EEEEviT0_T1_, .Lfunc_end402-_ZN2at6native29vectorized_elementwise_kernelILi16EZZZNS0_21clamp_min_kernel_cudaERNS_18TensorIteratorBaseERKN3c106ScalarEENKUlvE_clEvENKUlvE6_clEvEUlNS4_4HalfEE_St5arrayIPcLm2EEEEviT0_T1_
                                        ; -- End function
	.set _ZN2at6native29vectorized_elementwise_kernelILi16EZZZNS0_21clamp_min_kernel_cudaERNS_18TensorIteratorBaseERKN3c106ScalarEENKUlvE_clEvENKUlvE6_clEvEUlNS4_4HalfEE_St5arrayIPcLm2EEEEviT0_T1_.num_vgpr, 14
	.set _ZN2at6native29vectorized_elementwise_kernelILi16EZZZNS0_21clamp_min_kernel_cudaERNS_18TensorIteratorBaseERKN3c106ScalarEENKUlvE_clEvENKUlvE6_clEvEUlNS4_4HalfEE_St5arrayIPcLm2EEEEviT0_T1_.num_agpr, 0
	.set _ZN2at6native29vectorized_elementwise_kernelILi16EZZZNS0_21clamp_min_kernel_cudaERNS_18TensorIteratorBaseERKN3c106ScalarEENKUlvE_clEvENKUlvE6_clEvEUlNS4_4HalfEE_St5arrayIPcLm2EEEEviT0_T1_.numbered_sgpr, 24
	.set _ZN2at6native29vectorized_elementwise_kernelILi16EZZZNS0_21clamp_min_kernel_cudaERNS_18TensorIteratorBaseERKN3c106ScalarEENKUlvE_clEvENKUlvE6_clEvEUlNS4_4HalfEE_St5arrayIPcLm2EEEEviT0_T1_.num_named_barrier, 0
	.set _ZN2at6native29vectorized_elementwise_kernelILi16EZZZNS0_21clamp_min_kernel_cudaERNS_18TensorIteratorBaseERKN3c106ScalarEENKUlvE_clEvENKUlvE6_clEvEUlNS4_4HalfEE_St5arrayIPcLm2EEEEviT0_T1_.private_seg_size, 0
	.set _ZN2at6native29vectorized_elementwise_kernelILi16EZZZNS0_21clamp_min_kernel_cudaERNS_18TensorIteratorBaseERKN3c106ScalarEENKUlvE_clEvENKUlvE6_clEvEUlNS4_4HalfEE_St5arrayIPcLm2EEEEviT0_T1_.uses_vcc, 1
	.set _ZN2at6native29vectorized_elementwise_kernelILi16EZZZNS0_21clamp_min_kernel_cudaERNS_18TensorIteratorBaseERKN3c106ScalarEENKUlvE_clEvENKUlvE6_clEvEUlNS4_4HalfEE_St5arrayIPcLm2EEEEviT0_T1_.uses_flat_scratch, 0
	.set _ZN2at6native29vectorized_elementwise_kernelILi16EZZZNS0_21clamp_min_kernel_cudaERNS_18TensorIteratorBaseERKN3c106ScalarEENKUlvE_clEvENKUlvE6_clEvEUlNS4_4HalfEE_St5arrayIPcLm2EEEEviT0_T1_.has_dyn_sized_stack, 0
	.set _ZN2at6native29vectorized_elementwise_kernelILi16EZZZNS0_21clamp_min_kernel_cudaERNS_18TensorIteratorBaseERKN3c106ScalarEENKUlvE_clEvENKUlvE6_clEvEUlNS4_4HalfEE_St5arrayIPcLm2EEEEviT0_T1_.has_recursion, 0
	.set _ZN2at6native29vectorized_elementwise_kernelILi16EZZZNS0_21clamp_min_kernel_cudaERNS_18TensorIteratorBaseERKN3c106ScalarEENKUlvE_clEvENKUlvE6_clEvEUlNS4_4HalfEE_St5arrayIPcLm2EEEEviT0_T1_.has_indirect_call, 0
	.section	.AMDGPU.csdata,"",@progbits
; Kernel info:
; codeLenInByte = 1536
; TotalNumSgprs: 30
; NumVgprs: 14
; NumAgprs: 0
; TotalNumVgprs: 14
; ScratchSize: 0
; MemoryBound: 0
; FloatMode: 240
; IeeeMode: 1
; LDSByteSize: 0 bytes/workgroup (compile time only)
; SGPRBlocks: 3
; VGPRBlocks: 1
; NumSGPRsForWavesPerEU: 30
; NumVGPRsForWavesPerEU: 14
; AccumOffset: 16
; Occupancy: 8
; WaveLimiterHint : 0
; COMPUTE_PGM_RSRC2:SCRATCH_EN: 0
; COMPUTE_PGM_RSRC2:USER_SGPR: 2
; COMPUTE_PGM_RSRC2:TRAP_HANDLER: 0
; COMPUTE_PGM_RSRC2:TGID_X_EN: 1
; COMPUTE_PGM_RSRC2:TGID_Y_EN: 0
; COMPUTE_PGM_RSRC2:TGID_Z_EN: 0
; COMPUTE_PGM_RSRC2:TIDIG_COMP_CNT: 0
; COMPUTE_PGM_RSRC3_GFX90A:ACCUM_OFFSET: 3
; COMPUTE_PGM_RSRC3_GFX90A:TG_SPLIT: 0
	.section	.text._ZN2at6native29vectorized_elementwise_kernelILi8EZZZNS0_21clamp_min_kernel_cudaERNS_18TensorIteratorBaseERKN3c106ScalarEENKUlvE_clEvENKUlvE6_clEvEUlNS4_4HalfEE_St5arrayIPcLm2EEEEviT0_T1_,"axG",@progbits,_ZN2at6native29vectorized_elementwise_kernelILi8EZZZNS0_21clamp_min_kernel_cudaERNS_18TensorIteratorBaseERKN3c106ScalarEENKUlvE_clEvENKUlvE6_clEvEUlNS4_4HalfEE_St5arrayIPcLm2EEEEviT0_T1_,comdat
	.globl	_ZN2at6native29vectorized_elementwise_kernelILi8EZZZNS0_21clamp_min_kernel_cudaERNS_18TensorIteratorBaseERKN3c106ScalarEENKUlvE_clEvENKUlvE6_clEvEUlNS4_4HalfEE_St5arrayIPcLm2EEEEviT0_T1_ ; -- Begin function _ZN2at6native29vectorized_elementwise_kernelILi8EZZZNS0_21clamp_min_kernel_cudaERNS_18TensorIteratorBaseERKN3c106ScalarEENKUlvE_clEvENKUlvE6_clEvEUlNS4_4HalfEE_St5arrayIPcLm2EEEEviT0_T1_
	.p2align	8
	.type	_ZN2at6native29vectorized_elementwise_kernelILi8EZZZNS0_21clamp_min_kernel_cudaERNS_18TensorIteratorBaseERKN3c106ScalarEENKUlvE_clEvENKUlvE6_clEvEUlNS4_4HalfEE_St5arrayIPcLm2EEEEviT0_T1_,@function
_ZN2at6native29vectorized_elementwise_kernelILi8EZZZNS0_21clamp_min_kernel_cudaERNS_18TensorIteratorBaseERKN3c106ScalarEENKUlvE_clEvENKUlvE6_clEvEUlNS4_4HalfEE_St5arrayIPcLm2EEEEviT0_T1_: ; @_ZN2at6native29vectorized_elementwise_kernelILi8EZZZNS0_21clamp_min_kernel_cudaERNS_18TensorIteratorBaseERKN3c106ScalarEENKUlvE_clEvENKUlvE6_clEvEUlNS4_4HalfEE_St5arrayIPcLm2EEEEviT0_T1_
; %bb.0:
	s_load_dwordx2 s[14:15], s[0:1], 0x0
	s_load_dwordx4 s[16:19], s[0:1], 0x8
	s_lshl_b32 s20, s2, 11
	s_mov_b64 s[0:1], -1
	s_waitcnt lgkmcnt(0)
	s_sub_i32 s14, s14, s20
	s_cmpk_gt_i32 s14, 0x7ff
	s_cbranch_scc0 .LBB403_2
; %bb.1:
	s_ashr_i32 s21, s20, 31
	s_lshl_b64 s[22:23], s[20:21], 1
	s_add_u32 s0, s18, s22
	s_addc_u32 s1, s19, s23
	v_lshlrev_b32_e32 v1, 4, v0
	global_load_dwordx4 v[2:5], v1, s[0:1]
	v_mov_b32_e32 v6, s15
	s_mov_b32 s21, 0x5040100
	s_waitcnt vmcnt(0)
	v_cmp_u_f16_e32 vcc, v2, v2
	v_cmp_lt_f16_e64 s[0:1], s15, v2
	v_lshrrev_b32_e32 v7, 16, v2
	v_cmp_u_f16_e64 s[2:3], v3, v3
	v_cmp_lt_f16_e64 s[4:5], s15, v3
	s_or_b64 vcc, vcc, s[0:1]
	v_lshrrev_b32_e32 v8, 16, v3
	v_cmp_u_f16_e64 s[6:7], v4, v4
	v_cmp_lt_f16_e64 s[8:9], s15, v4
	v_cndmask_b32_e32 v2, v6, v2, vcc
	v_cmp_u_f16_e32 vcc, v7, v7
	v_cmp_lt_f16_e64 s[0:1], s15, v7
	s_or_b64 s[2:3], s[2:3], s[4:5]
	v_lshrrev_b32_e32 v9, 16, v4
	v_cmp_u_f16_e64 s[10:11], v5, v5
	v_cmp_lt_f16_e64 s[12:13], s15, v5
	v_cndmask_b32_e64 v3, v6, v3, s[2:3]
	v_cmp_u_f16_e64 s[2:3], v8, v8
	v_cmp_lt_f16_e64 s[4:5], s15, v8
	s_or_b64 s[6:7], s[6:7], s[8:9]
	s_or_b64 vcc, vcc, s[0:1]
	v_lshrrev_b32_e32 v10, 16, v5
	v_cndmask_b32_e64 v4, v6, v4, s[6:7]
	v_cmp_u_f16_e64 s[6:7], v9, v9
	v_cmp_lt_f16_e64 s[8:9], s15, v9
	s_or_b64 s[10:11], s[10:11], s[12:13]
	v_cndmask_b32_e32 v7, v6, v7, vcc
	s_or_b64 vcc, s[2:3], s[4:5]
	v_cndmask_b32_e64 v5, v6, v5, s[10:11]
	v_cmp_u_f16_e64 s[10:11], v10, v10
	v_cmp_lt_f16_e64 s[12:13], s15, v10
	v_cndmask_b32_e32 v8, v6, v8, vcc
	s_or_b64 vcc, s[6:7], s[8:9]
	v_cndmask_b32_e32 v9, v6, v9, vcc
	s_or_b64 vcc, s[10:11], s[12:13]
	v_cndmask_b32_e32 v6, v6, v10, vcc
	s_add_u32 s0, s16, s22
	v_perm_b32 v5, v6, v5, s21
	v_perm_b32 v4, v9, v4, s21
	;; [unrolled: 1-line block ×4, first 2 shown]
	s_addc_u32 s1, s17, s23
	global_store_dwordx4 v1, v[2:5], s[0:1]
	s_mov_b64 s[0:1], 0
.LBB403_2:
	s_andn2_b64 vcc, exec, s[0:1]
	s_cbranch_vccnz .LBB403_26
; %bb.3:
	v_cmp_gt_i32_e32 vcc, s14, v0
	v_mov_b32_e32 v6, 0
	v_or_b32_e32 v2, s20, v0
	v_mov_b32_e32 v8, 0
	v_mov_b32_e32 v3, v0
	s_and_saveexec_b64 s[0:1], vcc
	s_cbranch_execz .LBB403_5
; %bb.4:
	v_mov_b32_e32 v3, 0
	v_lshl_add_u64 v[4:5], v[2:3], 1, s[18:19]
	global_load_ushort v8, v[4:5], off
	v_or_b32_e32 v3, 0x100, v0
.LBB403_5:
	s_or_b64 exec, exec, s[0:1]
	v_cmp_gt_i32_e64 s[0:1], s14, v3
	s_and_saveexec_b64 s[2:3], s[0:1]
	s_cbranch_execz .LBB403_7
; %bb.6:
	v_add_u32_e32 v4, s20, v3
	v_mov_b32_e32 v5, 0
	v_lshl_add_u64 v[4:5], v[4:5], 1, s[18:19]
	global_load_ushort v6, v[4:5], off
	v_add_u32_e32 v3, 0x100, v3
.LBB403_7:
	s_or_b64 exec, exec, s[2:3]
	v_cmp_gt_i32_e64 s[0:1], s14, v3
	v_mov_b32_e32 v5, 0
	v_mov_b32_e32 v10, 0
	s_and_saveexec_b64 s[2:3], s[0:1]
	s_cbranch_execz .LBB403_9
; %bb.8:
	v_add_u32_e32 v10, s20, v3
	v_mov_b32_e32 v11, 0
	v_lshl_add_u64 v[10:11], v[10:11], 1, s[18:19]
	global_load_ushort v10, v[10:11], off
	v_add_u32_e32 v3, 0x100, v3
.LBB403_9:
	s_or_b64 exec, exec, s[2:3]
	v_cmp_gt_i32_e64 s[0:1], s14, v3
	s_and_saveexec_b64 s[2:3], s[0:1]
	s_cbranch_execz .LBB403_11
; %bb.10:
	v_add_u32_e32 v4, s20, v3
	v_mov_b32_e32 v5, 0
	v_lshl_add_u64 v[4:5], v[4:5], 1, s[18:19]
	global_load_ushort v5, v[4:5], off
	v_add_u32_e32 v3, 0x100, v3
.LBB403_11:
	s_or_b64 exec, exec, s[2:3]
	v_cmp_gt_i32_e64 s[0:1], s14, v3
	v_mov_b32_e32 v4, 0
	v_mov_b32_e32 v9, 0
	s_and_saveexec_b64 s[2:3], s[0:1]
	s_cbranch_execz .LBB403_13
; %bb.12:
	v_add_u32_e32 v12, s20, v3
	v_mov_b32_e32 v13, 0
	v_lshl_add_u64 v[12:13], v[12:13], 1, s[18:19]
	global_load_ushort v9, v[12:13], off
	v_add_u32_e32 v3, 0x100, v3
.LBB403_13:
	s_or_b64 exec, exec, s[2:3]
	v_cmp_gt_i32_e64 s[0:1], s14, v3
	s_and_saveexec_b64 s[2:3], s[0:1]
	s_cbranch_execz .LBB403_15
; %bb.14:
	v_add_u32_e32 v12, s20, v3
	v_mov_b32_e32 v13, 0
	v_lshl_add_u64 v[12:13], v[12:13], 1, s[18:19]
	global_load_ushort v4, v[12:13], off
	v_add_u32_e32 v3, 0x100, v3
.LBB403_15:
	s_or_b64 exec, exec, s[2:3]
	v_cmp_gt_i32_e64 s[0:1], s14, v3
	v_mov_b32_e32 v1, 0
	v_mov_b32_e32 v7, 0
	s_and_saveexec_b64 s[2:3], s[0:1]
	s_cbranch_execnz .LBB403_27
; %bb.16:
	s_or_b64 exec, exec, s[2:3]
	v_cmp_gt_i32_e64 s[0:1], s14, v3
	s_and_saveexec_b64 s[2:3], s[0:1]
	s_cbranch_execnz .LBB403_28
.LBB403_17:
	s_or_b64 exec, exec, s[2:3]
	s_and_saveexec_b64 s[2:3], vcc
	s_cbranch_execnz .LBB403_29
.LBB403_18:
	s_or_b64 exec, exec, s[2:3]
	v_cmp_gt_i32_e32 vcc, s14, v0
	s_and_saveexec_b64 s[2:3], vcc
	s_cbranch_execnz .LBB403_30
.LBB403_19:
	s_or_b64 exec, exec, s[2:3]
	v_cmp_gt_i32_e32 vcc, s14, v0
	s_and_saveexec_b64 s[2:3], vcc
	s_cbranch_execnz .LBB403_31
.LBB403_20:
	s_or_b64 exec, exec, s[2:3]
	v_cmp_gt_i32_e32 vcc, s14, v0
	s_and_saveexec_b64 s[2:3], vcc
	s_cbranch_execnz .LBB403_32
.LBB403_21:
	s_or_b64 exec, exec, s[2:3]
	v_cmp_gt_i32_e32 vcc, s14, v0
	s_and_saveexec_b64 s[2:3], vcc
	s_cbranch_execnz .LBB403_33
.LBB403_22:
	s_or_b64 exec, exec, s[2:3]
	v_cmp_gt_i32_e32 vcc, s14, v0
	s_and_saveexec_b64 s[2:3], vcc
	s_cbranch_execnz .LBB403_34
.LBB403_23:
	s_or_b64 exec, exec, s[2:3]
	v_cmp_gt_i32_e32 vcc, s14, v0
	s_and_saveexec_b64 s[2:3], vcc
	s_cbranch_execnz .LBB403_35
.LBB403_24:
	s_or_b64 exec, exec, s[2:3]
	v_cmp_gt_i32_e32 vcc, s14, v0
	s_and_saveexec_b64 s[0:1], vcc
	s_cbranch_execz .LBB403_26
.LBB403_25:
	s_waitcnt vmcnt(0)
	v_cmp_u_f16_e32 vcc, v1, v1
	v_cmp_lt_f16_e64 s[0:1], s15, v1
	v_mov_b32_e32 v2, s15
	s_or_b64 vcc, vcc, s[0:1]
	v_cndmask_b32_e32 v2, v2, v1, vcc
	v_add_u32_e32 v0, s20, v0
	v_mov_b32_e32 v1, 0
	v_lshl_add_u64 v[0:1], v[0:1], 1, s[16:17]
	global_store_short v[0:1], v2, off
.LBB403_26:
	s_endpgm
.LBB403_27:
	v_add_u32_e32 v12, s20, v3
	v_mov_b32_e32 v13, 0
	v_lshl_add_u64 v[12:13], v[12:13], 1, s[18:19]
	global_load_ushort v7, v[12:13], off
	v_add_u32_e32 v3, 0x100, v3
	s_or_b64 exec, exec, s[2:3]
	v_cmp_gt_i32_e64 s[0:1], s14, v3
	s_and_saveexec_b64 s[2:3], s[0:1]
	s_cbranch_execz .LBB403_17
.LBB403_28:
	v_add_u32_e32 v12, s20, v3
	v_mov_b32_e32 v13, 0
	v_lshl_add_u64 v[12:13], v[12:13], 1, s[18:19]
	global_load_ushort v1, v[12:13], off
	s_or_b64 exec, exec, s[2:3]
	s_and_saveexec_b64 s[2:3], vcc
	s_cbranch_execz .LBB403_18
.LBB403_29:
	s_waitcnt vmcnt(0)
	v_cmp_u_f16_e32 vcc, v8, v8
	v_cmp_lt_f16_e64 s[0:1], s15, v8
	v_mov_b32_e32 v3, 0
	v_mov_b32_e32 v11, s15
	s_or_b64 vcc, vcc, s[0:1]
	v_lshl_add_u64 v[2:3], v[2:3], 1, s[16:17]
	v_or_b32_e32 v0, 0x100, v0
	v_cndmask_b32_e32 v8, v11, v8, vcc
	global_store_short v[2:3], v8, off
	s_or_b64 exec, exec, s[2:3]
	v_cmp_gt_i32_e32 vcc, s14, v0
	s_and_saveexec_b64 s[2:3], vcc
	s_cbranch_execz .LBB403_19
.LBB403_30:
	s_waitcnt vmcnt(0)
	v_cmp_u_f16_e32 vcc, v6, v6
	v_cmp_lt_f16_e64 s[0:1], s15, v6
	v_mov_b32_e32 v2, s15
	s_or_b64 vcc, vcc, s[0:1]
	v_cndmask_b32_e32 v6, v2, v6, vcc
	v_add_u32_e32 v2, s20, v0
	v_mov_b32_e32 v3, 0
	v_lshl_add_u64 v[2:3], v[2:3], 1, s[16:17]
	v_add_u32_e32 v0, 0x100, v0
	global_store_short v[2:3], v6, off
	s_or_b64 exec, exec, s[2:3]
	v_cmp_gt_i32_e32 vcc, s14, v0
	s_and_saveexec_b64 s[2:3], vcc
	s_cbranch_execz .LBB403_20
.LBB403_31:
	s_waitcnt vmcnt(0)
	v_cmp_u_f16_e32 vcc, v10, v10
	v_cmp_lt_f16_e64 s[0:1], s15, v10
	v_mov_b32_e32 v2, s15
	s_or_b64 vcc, vcc, s[0:1]
	v_cndmask_b32_e32 v6, v2, v10, vcc
	v_add_u32_e32 v2, s20, v0
	v_mov_b32_e32 v3, 0
	v_lshl_add_u64 v[2:3], v[2:3], 1, s[16:17]
	v_add_u32_e32 v0, 0x100, v0
	global_store_short v[2:3], v6, off
	s_or_b64 exec, exec, s[2:3]
	v_cmp_gt_i32_e32 vcc, s14, v0
	s_and_saveexec_b64 s[2:3], vcc
	s_cbranch_execz .LBB403_21
.LBB403_32:
	s_waitcnt vmcnt(0)
	v_cmp_u_f16_e32 vcc, v5, v5
	v_cmp_lt_f16_e64 s[0:1], s15, v5
	v_mov_b32_e32 v2, s15
	s_or_b64 vcc, vcc, s[0:1]
	v_cndmask_b32_e32 v5, v2, v5, vcc
	v_add_u32_e32 v2, s20, v0
	v_mov_b32_e32 v3, 0
	v_lshl_add_u64 v[2:3], v[2:3], 1, s[16:17]
	v_add_u32_e32 v0, 0x100, v0
	global_store_short v[2:3], v5, off
	s_or_b64 exec, exec, s[2:3]
	v_cmp_gt_i32_e32 vcc, s14, v0
	s_and_saveexec_b64 s[2:3], vcc
	s_cbranch_execz .LBB403_22
.LBB403_33:
	s_waitcnt vmcnt(0)
	v_cmp_u_f16_e32 vcc, v9, v9
	v_cmp_lt_f16_e64 s[0:1], s15, v9
	v_mov_b32_e32 v2, s15
	s_or_b64 vcc, vcc, s[0:1]
	v_cndmask_b32_e32 v5, v2, v9, vcc
	v_add_u32_e32 v2, s20, v0
	v_mov_b32_e32 v3, 0
	v_lshl_add_u64 v[2:3], v[2:3], 1, s[16:17]
	v_add_u32_e32 v0, 0x100, v0
	global_store_short v[2:3], v5, off
	s_or_b64 exec, exec, s[2:3]
	v_cmp_gt_i32_e32 vcc, s14, v0
	s_and_saveexec_b64 s[2:3], vcc
	s_cbranch_execz .LBB403_23
.LBB403_34:
	s_waitcnt vmcnt(0)
	v_cmp_u_f16_e32 vcc, v4, v4
	v_cmp_lt_f16_e64 s[0:1], s15, v4
	v_mov_b32_e32 v2, s15
	s_or_b64 vcc, vcc, s[0:1]
	v_cndmask_b32_e32 v4, v2, v4, vcc
	v_add_u32_e32 v2, s20, v0
	v_mov_b32_e32 v3, 0
	v_lshl_add_u64 v[2:3], v[2:3], 1, s[16:17]
	v_add_u32_e32 v0, 0x100, v0
	global_store_short v[2:3], v4, off
	s_or_b64 exec, exec, s[2:3]
	v_cmp_gt_i32_e32 vcc, s14, v0
	s_and_saveexec_b64 s[2:3], vcc
	s_cbranch_execz .LBB403_24
.LBB403_35:
	s_waitcnt vmcnt(0)
	v_cmp_u_f16_e32 vcc, v7, v7
	v_cmp_lt_f16_e64 s[0:1], s15, v7
	v_mov_b32_e32 v2, s15
	s_or_b64 vcc, vcc, s[0:1]
	v_cndmask_b32_e32 v4, v2, v7, vcc
	v_add_u32_e32 v2, s20, v0
	v_mov_b32_e32 v3, 0
	v_lshl_add_u64 v[2:3], v[2:3], 1, s[16:17]
	v_add_u32_e32 v0, 0x100, v0
	global_store_short v[2:3], v4, off
	s_or_b64 exec, exec, s[2:3]
	v_cmp_gt_i32_e32 vcc, s14, v0
	s_and_saveexec_b64 s[0:1], vcc
	s_cbranch_execnz .LBB403_25
	s_branch .LBB403_26
	.section	.rodata,"a",@progbits
	.p2align	6, 0x0
	.amdhsa_kernel _ZN2at6native29vectorized_elementwise_kernelILi8EZZZNS0_21clamp_min_kernel_cudaERNS_18TensorIteratorBaseERKN3c106ScalarEENKUlvE_clEvENKUlvE6_clEvEUlNS4_4HalfEE_St5arrayIPcLm2EEEEviT0_T1_
		.amdhsa_group_segment_fixed_size 0
		.amdhsa_private_segment_fixed_size 0
		.amdhsa_kernarg_size 24
		.amdhsa_user_sgpr_count 2
		.amdhsa_user_sgpr_dispatch_ptr 0
		.amdhsa_user_sgpr_queue_ptr 0
		.amdhsa_user_sgpr_kernarg_segment_ptr 1
		.amdhsa_user_sgpr_dispatch_id 0
		.amdhsa_user_sgpr_kernarg_preload_length 0
		.amdhsa_user_sgpr_kernarg_preload_offset 0
		.amdhsa_user_sgpr_private_segment_size 0
		.amdhsa_uses_dynamic_stack 0
		.amdhsa_enable_private_segment 0
		.amdhsa_system_sgpr_workgroup_id_x 1
		.amdhsa_system_sgpr_workgroup_id_y 0
		.amdhsa_system_sgpr_workgroup_id_z 0
		.amdhsa_system_sgpr_workgroup_info 0
		.amdhsa_system_vgpr_workitem_id 0
		.amdhsa_next_free_vgpr 14
		.amdhsa_next_free_sgpr 24
		.amdhsa_accum_offset 16
		.amdhsa_reserve_vcc 1
		.amdhsa_float_round_mode_32 0
		.amdhsa_float_round_mode_16_64 0
		.amdhsa_float_denorm_mode_32 3
		.amdhsa_float_denorm_mode_16_64 3
		.amdhsa_dx10_clamp 1
		.amdhsa_ieee_mode 1
		.amdhsa_fp16_overflow 0
		.amdhsa_tg_split 0
		.amdhsa_exception_fp_ieee_invalid_op 0
		.amdhsa_exception_fp_denorm_src 0
		.amdhsa_exception_fp_ieee_div_zero 0
		.amdhsa_exception_fp_ieee_overflow 0
		.amdhsa_exception_fp_ieee_underflow 0
		.amdhsa_exception_fp_ieee_inexact 0
		.amdhsa_exception_int_div_zero 0
	.end_amdhsa_kernel
	.section	.text._ZN2at6native29vectorized_elementwise_kernelILi8EZZZNS0_21clamp_min_kernel_cudaERNS_18TensorIteratorBaseERKN3c106ScalarEENKUlvE_clEvENKUlvE6_clEvEUlNS4_4HalfEE_St5arrayIPcLm2EEEEviT0_T1_,"axG",@progbits,_ZN2at6native29vectorized_elementwise_kernelILi8EZZZNS0_21clamp_min_kernel_cudaERNS_18TensorIteratorBaseERKN3c106ScalarEENKUlvE_clEvENKUlvE6_clEvEUlNS4_4HalfEE_St5arrayIPcLm2EEEEviT0_T1_,comdat
.Lfunc_end403:
	.size	_ZN2at6native29vectorized_elementwise_kernelILi8EZZZNS0_21clamp_min_kernel_cudaERNS_18TensorIteratorBaseERKN3c106ScalarEENKUlvE_clEvENKUlvE6_clEvEUlNS4_4HalfEE_St5arrayIPcLm2EEEEviT0_T1_, .Lfunc_end403-_ZN2at6native29vectorized_elementwise_kernelILi8EZZZNS0_21clamp_min_kernel_cudaERNS_18TensorIteratorBaseERKN3c106ScalarEENKUlvE_clEvENKUlvE6_clEvEUlNS4_4HalfEE_St5arrayIPcLm2EEEEviT0_T1_
                                        ; -- End function
	.set _ZN2at6native29vectorized_elementwise_kernelILi8EZZZNS0_21clamp_min_kernel_cudaERNS_18TensorIteratorBaseERKN3c106ScalarEENKUlvE_clEvENKUlvE6_clEvEUlNS4_4HalfEE_St5arrayIPcLm2EEEEviT0_T1_.num_vgpr, 14
	.set _ZN2at6native29vectorized_elementwise_kernelILi8EZZZNS0_21clamp_min_kernel_cudaERNS_18TensorIteratorBaseERKN3c106ScalarEENKUlvE_clEvENKUlvE6_clEvEUlNS4_4HalfEE_St5arrayIPcLm2EEEEviT0_T1_.num_agpr, 0
	.set _ZN2at6native29vectorized_elementwise_kernelILi8EZZZNS0_21clamp_min_kernel_cudaERNS_18TensorIteratorBaseERKN3c106ScalarEENKUlvE_clEvENKUlvE6_clEvEUlNS4_4HalfEE_St5arrayIPcLm2EEEEviT0_T1_.numbered_sgpr, 24
	.set _ZN2at6native29vectorized_elementwise_kernelILi8EZZZNS0_21clamp_min_kernel_cudaERNS_18TensorIteratorBaseERKN3c106ScalarEENKUlvE_clEvENKUlvE6_clEvEUlNS4_4HalfEE_St5arrayIPcLm2EEEEviT0_T1_.num_named_barrier, 0
	.set _ZN2at6native29vectorized_elementwise_kernelILi8EZZZNS0_21clamp_min_kernel_cudaERNS_18TensorIteratorBaseERKN3c106ScalarEENKUlvE_clEvENKUlvE6_clEvEUlNS4_4HalfEE_St5arrayIPcLm2EEEEviT0_T1_.private_seg_size, 0
	.set _ZN2at6native29vectorized_elementwise_kernelILi8EZZZNS0_21clamp_min_kernel_cudaERNS_18TensorIteratorBaseERKN3c106ScalarEENKUlvE_clEvENKUlvE6_clEvEUlNS4_4HalfEE_St5arrayIPcLm2EEEEviT0_T1_.uses_vcc, 1
	.set _ZN2at6native29vectorized_elementwise_kernelILi8EZZZNS0_21clamp_min_kernel_cudaERNS_18TensorIteratorBaseERKN3c106ScalarEENKUlvE_clEvENKUlvE6_clEvEUlNS4_4HalfEE_St5arrayIPcLm2EEEEviT0_T1_.uses_flat_scratch, 0
	.set _ZN2at6native29vectorized_elementwise_kernelILi8EZZZNS0_21clamp_min_kernel_cudaERNS_18TensorIteratorBaseERKN3c106ScalarEENKUlvE_clEvENKUlvE6_clEvEUlNS4_4HalfEE_St5arrayIPcLm2EEEEviT0_T1_.has_dyn_sized_stack, 0
	.set _ZN2at6native29vectorized_elementwise_kernelILi8EZZZNS0_21clamp_min_kernel_cudaERNS_18TensorIteratorBaseERKN3c106ScalarEENKUlvE_clEvENKUlvE6_clEvEUlNS4_4HalfEE_St5arrayIPcLm2EEEEviT0_T1_.has_recursion, 0
	.set _ZN2at6native29vectorized_elementwise_kernelILi8EZZZNS0_21clamp_min_kernel_cudaERNS_18TensorIteratorBaseERKN3c106ScalarEENKUlvE_clEvENKUlvE6_clEvEUlNS4_4HalfEE_St5arrayIPcLm2EEEEviT0_T1_.has_indirect_call, 0
	.section	.AMDGPU.csdata,"",@progbits
; Kernel info:
; codeLenInByte = 1536
; TotalNumSgprs: 30
; NumVgprs: 14
; NumAgprs: 0
; TotalNumVgprs: 14
; ScratchSize: 0
; MemoryBound: 0
; FloatMode: 240
; IeeeMode: 1
; LDSByteSize: 0 bytes/workgroup (compile time only)
; SGPRBlocks: 3
; VGPRBlocks: 1
; NumSGPRsForWavesPerEU: 30
; NumVGPRsForWavesPerEU: 14
; AccumOffset: 16
; Occupancy: 8
; WaveLimiterHint : 0
; COMPUTE_PGM_RSRC2:SCRATCH_EN: 0
; COMPUTE_PGM_RSRC2:USER_SGPR: 2
; COMPUTE_PGM_RSRC2:TRAP_HANDLER: 0
; COMPUTE_PGM_RSRC2:TGID_X_EN: 1
; COMPUTE_PGM_RSRC2:TGID_Y_EN: 0
; COMPUTE_PGM_RSRC2:TGID_Z_EN: 0
; COMPUTE_PGM_RSRC2:TIDIG_COMP_CNT: 0
; COMPUTE_PGM_RSRC3_GFX90A:ACCUM_OFFSET: 3
; COMPUTE_PGM_RSRC3_GFX90A:TG_SPLIT: 0
	.section	.text._ZN2at6native29vectorized_elementwise_kernelILi4EZZZNS0_21clamp_min_kernel_cudaERNS_18TensorIteratorBaseERKN3c106ScalarEENKUlvE_clEvENKUlvE6_clEvEUlNS4_4HalfEE_St5arrayIPcLm2EEEEviT0_T1_,"axG",@progbits,_ZN2at6native29vectorized_elementwise_kernelILi4EZZZNS0_21clamp_min_kernel_cudaERNS_18TensorIteratorBaseERKN3c106ScalarEENKUlvE_clEvENKUlvE6_clEvEUlNS4_4HalfEE_St5arrayIPcLm2EEEEviT0_T1_,comdat
	.globl	_ZN2at6native29vectorized_elementwise_kernelILi4EZZZNS0_21clamp_min_kernel_cudaERNS_18TensorIteratorBaseERKN3c106ScalarEENKUlvE_clEvENKUlvE6_clEvEUlNS4_4HalfEE_St5arrayIPcLm2EEEEviT0_T1_ ; -- Begin function _ZN2at6native29vectorized_elementwise_kernelILi4EZZZNS0_21clamp_min_kernel_cudaERNS_18TensorIteratorBaseERKN3c106ScalarEENKUlvE_clEvENKUlvE6_clEvEUlNS4_4HalfEE_St5arrayIPcLm2EEEEviT0_T1_
	.p2align	8
	.type	_ZN2at6native29vectorized_elementwise_kernelILi4EZZZNS0_21clamp_min_kernel_cudaERNS_18TensorIteratorBaseERKN3c106ScalarEENKUlvE_clEvENKUlvE6_clEvEUlNS4_4HalfEE_St5arrayIPcLm2EEEEviT0_T1_,@function
_ZN2at6native29vectorized_elementwise_kernelILi4EZZZNS0_21clamp_min_kernel_cudaERNS_18TensorIteratorBaseERKN3c106ScalarEENKUlvE_clEvENKUlvE6_clEvEUlNS4_4HalfEE_St5arrayIPcLm2EEEEviT0_T1_: ; @_ZN2at6native29vectorized_elementwise_kernelILi4EZZZNS0_21clamp_min_kernel_cudaERNS_18TensorIteratorBaseERKN3c106ScalarEENKUlvE_clEvENKUlvE6_clEvEUlNS4_4HalfEE_St5arrayIPcLm2EEEEviT0_T1_
; %bb.0:
	s_load_dwordx2 s[14:15], s[0:1], 0x0
	s_load_dwordx4 s[16:19], s[0:1], 0x8
	s_lshl_b32 s20, s2, 11
	s_mov_b64 s[0:1], -1
	s_waitcnt lgkmcnt(0)
	s_sub_i32 s14, s14, s20
	s_cmpk_gt_i32 s14, 0x7ff
	s_cbranch_scc0 .LBB404_2
; %bb.1:
	s_ashr_i32 s21, s20, 31
	s_lshl_b64 s[22:23], s[20:21], 1
	s_add_u32 s0, s18, s22
	s_addc_u32 s1, s19, s23
	v_lshlrev_b32_e32 v1, 3, v0
	global_load_dwordx2 v[2:3], v1, s[0:1]
	global_load_dwordx2 v[4:5], v1, s[0:1] offset:2048
	v_mov_b32_e32 v6, s15
	s_waitcnt vmcnt(1)
	v_cmp_u_f16_e32 vcc, v2, v2
	v_cmp_lt_f16_e64 s[0:1], s15, v2
	v_lshrrev_b32_e32 v7, 16, v2
	v_cmp_u_f16_e64 s[2:3], v3, v3
	v_cmp_lt_f16_e64 s[4:5], s15, v3
	s_or_b64 vcc, vcc, s[0:1]
	v_lshrrev_b32_e32 v8, 16, v3
	s_waitcnt vmcnt(0)
	v_cmp_u_f16_e64 s[6:7], v4, v4
	v_cmp_lt_f16_e64 s[8:9], s15, v4
	v_cndmask_b32_e32 v2, v6, v2, vcc
	v_cmp_u_f16_e32 vcc, v7, v7
	v_cmp_lt_f16_e64 s[0:1], s15, v7
	s_or_b64 s[2:3], s[2:3], s[4:5]
	v_lshrrev_b32_e32 v9, 16, v4
	v_cmp_u_f16_e64 s[10:11], v5, v5
	v_cmp_lt_f16_e64 s[12:13], s15, v5
	v_cndmask_b32_e64 v3, v6, v3, s[2:3]
	v_cmp_u_f16_e64 s[2:3], v8, v8
	v_cmp_lt_f16_e64 s[4:5], s15, v8
	s_or_b64 s[6:7], s[6:7], s[8:9]
	s_or_b64 vcc, vcc, s[0:1]
	v_lshrrev_b32_e32 v10, 16, v5
	v_cndmask_b32_e64 v4, v6, v4, s[6:7]
	v_cmp_u_f16_e64 s[6:7], v9, v9
	v_cmp_lt_f16_e64 s[8:9], s15, v9
	s_or_b64 s[10:11], s[10:11], s[12:13]
	v_cndmask_b32_e32 v7, v6, v7, vcc
	s_or_b64 vcc, s[2:3], s[4:5]
	v_cndmask_b32_e64 v5, v6, v5, s[10:11]
	v_cmp_u_f16_e64 s[10:11], v10, v10
	v_cmp_lt_f16_e64 s[12:13], s15, v10
	v_cndmask_b32_e32 v8, v6, v8, vcc
	s_or_b64 vcc, s[6:7], s[8:9]
	v_and_b32_e32 v2, 0xffff, v2
	v_cndmask_b32_e32 v9, v6, v9, vcc
	s_or_b64 vcc, s[10:11], s[12:13]
	v_lshlrev_b32_e32 v7, 16, v7
	v_and_b32_e32 v3, 0xffff, v3
	v_and_b32_e32 v4, 0xffff, v4
	v_cndmask_b32_e32 v6, v6, v10, vcc
	v_lshlrev_b32_e32 v8, 16, v8
	v_lshlrev_b32_e32 v9, 16, v9
	s_add_u32 s0, s16, s22
	v_or_b32_e32 v2, v7, v2
	v_and_b32_e32 v5, 0xffff, v5
	v_lshlrev_b32_e32 v6, 16, v6
	v_or3_b32 v3, 0, v3, v8
	v_or_b32_e32 v4, v9, v4
	s_addc_u32 s1, s17, s23
	v_or3_b32 v2, v2, 0, 0
	v_or3_b32 v5, 0, v5, v6
	;; [unrolled: 1-line block ×3, first 2 shown]
	global_store_dwordx2 v1, v[2:3], s[0:1]
	global_store_dwordx2 v1, v[4:5], s[0:1] offset:2048
	s_mov_b64 s[0:1], 0
.LBB404_2:
	s_andn2_b64 vcc, exec, s[0:1]
	s_cbranch_vccnz .LBB404_26
; %bb.3:
	v_cmp_gt_i32_e32 vcc, s14, v0
	v_mov_b32_e32 v6, 0
	v_or_b32_e32 v2, s20, v0
	v_mov_b32_e32 v8, 0
	v_mov_b32_e32 v3, v0
	s_and_saveexec_b64 s[0:1], vcc
	s_cbranch_execz .LBB404_5
; %bb.4:
	v_mov_b32_e32 v3, 0
	v_lshl_add_u64 v[4:5], v[2:3], 1, s[18:19]
	global_load_ushort v8, v[4:5], off
	v_or_b32_e32 v3, 0x100, v0
.LBB404_5:
	s_or_b64 exec, exec, s[0:1]
	v_cmp_gt_i32_e64 s[0:1], s14, v3
	s_and_saveexec_b64 s[2:3], s[0:1]
	s_cbranch_execz .LBB404_7
; %bb.6:
	v_add_u32_e32 v4, s20, v3
	v_mov_b32_e32 v5, 0
	v_lshl_add_u64 v[4:5], v[4:5], 1, s[18:19]
	global_load_ushort v6, v[4:5], off
	v_add_u32_e32 v3, 0x100, v3
.LBB404_7:
	s_or_b64 exec, exec, s[2:3]
	v_cmp_gt_i32_e64 s[0:1], s14, v3
	v_mov_b32_e32 v5, 0
	v_mov_b32_e32 v10, 0
	s_and_saveexec_b64 s[2:3], s[0:1]
	s_cbranch_execz .LBB404_9
; %bb.8:
	v_add_u32_e32 v10, s20, v3
	v_mov_b32_e32 v11, 0
	v_lshl_add_u64 v[10:11], v[10:11], 1, s[18:19]
	global_load_ushort v10, v[10:11], off
	v_add_u32_e32 v3, 0x100, v3
.LBB404_9:
	s_or_b64 exec, exec, s[2:3]
	v_cmp_gt_i32_e64 s[0:1], s14, v3
	s_and_saveexec_b64 s[2:3], s[0:1]
	s_cbranch_execz .LBB404_11
; %bb.10:
	v_add_u32_e32 v4, s20, v3
	v_mov_b32_e32 v5, 0
	v_lshl_add_u64 v[4:5], v[4:5], 1, s[18:19]
	global_load_ushort v5, v[4:5], off
	v_add_u32_e32 v3, 0x100, v3
.LBB404_11:
	s_or_b64 exec, exec, s[2:3]
	v_cmp_gt_i32_e64 s[0:1], s14, v3
	v_mov_b32_e32 v4, 0
	v_mov_b32_e32 v9, 0
	s_and_saveexec_b64 s[2:3], s[0:1]
	s_cbranch_execz .LBB404_13
; %bb.12:
	v_add_u32_e32 v12, s20, v3
	v_mov_b32_e32 v13, 0
	v_lshl_add_u64 v[12:13], v[12:13], 1, s[18:19]
	global_load_ushort v9, v[12:13], off
	v_add_u32_e32 v3, 0x100, v3
.LBB404_13:
	s_or_b64 exec, exec, s[2:3]
	v_cmp_gt_i32_e64 s[0:1], s14, v3
	s_and_saveexec_b64 s[2:3], s[0:1]
	s_cbranch_execz .LBB404_15
; %bb.14:
	v_add_u32_e32 v12, s20, v3
	v_mov_b32_e32 v13, 0
	v_lshl_add_u64 v[12:13], v[12:13], 1, s[18:19]
	global_load_ushort v4, v[12:13], off
	v_add_u32_e32 v3, 0x100, v3
.LBB404_15:
	s_or_b64 exec, exec, s[2:3]
	v_cmp_gt_i32_e64 s[0:1], s14, v3
	v_mov_b32_e32 v1, 0
	v_mov_b32_e32 v7, 0
	s_and_saveexec_b64 s[2:3], s[0:1]
	s_cbranch_execnz .LBB404_27
; %bb.16:
	s_or_b64 exec, exec, s[2:3]
	v_cmp_gt_i32_e64 s[0:1], s14, v3
	s_and_saveexec_b64 s[2:3], s[0:1]
	s_cbranch_execnz .LBB404_28
.LBB404_17:
	s_or_b64 exec, exec, s[2:3]
	s_and_saveexec_b64 s[2:3], vcc
	s_cbranch_execnz .LBB404_29
.LBB404_18:
	s_or_b64 exec, exec, s[2:3]
	v_cmp_gt_i32_e32 vcc, s14, v0
	s_and_saveexec_b64 s[2:3], vcc
	s_cbranch_execnz .LBB404_30
.LBB404_19:
	s_or_b64 exec, exec, s[2:3]
	v_cmp_gt_i32_e32 vcc, s14, v0
	s_and_saveexec_b64 s[2:3], vcc
	s_cbranch_execnz .LBB404_31
.LBB404_20:
	s_or_b64 exec, exec, s[2:3]
	v_cmp_gt_i32_e32 vcc, s14, v0
	s_and_saveexec_b64 s[2:3], vcc
	s_cbranch_execnz .LBB404_32
.LBB404_21:
	s_or_b64 exec, exec, s[2:3]
	v_cmp_gt_i32_e32 vcc, s14, v0
	s_and_saveexec_b64 s[2:3], vcc
	s_cbranch_execnz .LBB404_33
.LBB404_22:
	s_or_b64 exec, exec, s[2:3]
	v_cmp_gt_i32_e32 vcc, s14, v0
	s_and_saveexec_b64 s[2:3], vcc
	s_cbranch_execnz .LBB404_34
.LBB404_23:
	s_or_b64 exec, exec, s[2:3]
	v_cmp_gt_i32_e32 vcc, s14, v0
	s_and_saveexec_b64 s[2:3], vcc
	s_cbranch_execnz .LBB404_35
.LBB404_24:
	s_or_b64 exec, exec, s[2:3]
	v_cmp_gt_i32_e32 vcc, s14, v0
	s_and_saveexec_b64 s[0:1], vcc
	s_cbranch_execz .LBB404_26
.LBB404_25:
	s_waitcnt vmcnt(0)
	v_cmp_u_f16_e32 vcc, v1, v1
	v_cmp_lt_f16_e64 s[0:1], s15, v1
	v_mov_b32_e32 v2, s15
	s_or_b64 vcc, vcc, s[0:1]
	v_cndmask_b32_e32 v2, v2, v1, vcc
	v_add_u32_e32 v0, s20, v0
	v_mov_b32_e32 v1, 0
	v_lshl_add_u64 v[0:1], v[0:1], 1, s[16:17]
	global_store_short v[0:1], v2, off
.LBB404_26:
	s_endpgm
.LBB404_27:
	v_add_u32_e32 v12, s20, v3
	v_mov_b32_e32 v13, 0
	v_lshl_add_u64 v[12:13], v[12:13], 1, s[18:19]
	global_load_ushort v7, v[12:13], off
	v_add_u32_e32 v3, 0x100, v3
	s_or_b64 exec, exec, s[2:3]
	v_cmp_gt_i32_e64 s[0:1], s14, v3
	s_and_saveexec_b64 s[2:3], s[0:1]
	s_cbranch_execz .LBB404_17
.LBB404_28:
	v_add_u32_e32 v12, s20, v3
	v_mov_b32_e32 v13, 0
	v_lshl_add_u64 v[12:13], v[12:13], 1, s[18:19]
	global_load_ushort v1, v[12:13], off
	s_or_b64 exec, exec, s[2:3]
	s_and_saveexec_b64 s[2:3], vcc
	s_cbranch_execz .LBB404_18
.LBB404_29:
	s_waitcnt vmcnt(0)
	v_cmp_u_f16_e32 vcc, v8, v8
	v_cmp_lt_f16_e64 s[0:1], s15, v8
	v_mov_b32_e32 v3, 0
	v_mov_b32_e32 v11, s15
	s_or_b64 vcc, vcc, s[0:1]
	v_lshl_add_u64 v[2:3], v[2:3], 1, s[16:17]
	v_or_b32_e32 v0, 0x100, v0
	v_cndmask_b32_e32 v8, v11, v8, vcc
	global_store_short v[2:3], v8, off
	s_or_b64 exec, exec, s[2:3]
	v_cmp_gt_i32_e32 vcc, s14, v0
	s_and_saveexec_b64 s[2:3], vcc
	s_cbranch_execz .LBB404_19
.LBB404_30:
	s_waitcnt vmcnt(0)
	v_cmp_u_f16_e32 vcc, v6, v6
	v_cmp_lt_f16_e64 s[0:1], s15, v6
	v_mov_b32_e32 v2, s15
	s_or_b64 vcc, vcc, s[0:1]
	v_cndmask_b32_e32 v6, v2, v6, vcc
	v_add_u32_e32 v2, s20, v0
	v_mov_b32_e32 v3, 0
	v_lshl_add_u64 v[2:3], v[2:3], 1, s[16:17]
	v_add_u32_e32 v0, 0x100, v0
	global_store_short v[2:3], v6, off
	s_or_b64 exec, exec, s[2:3]
	v_cmp_gt_i32_e32 vcc, s14, v0
	s_and_saveexec_b64 s[2:3], vcc
	s_cbranch_execz .LBB404_20
.LBB404_31:
	s_waitcnt vmcnt(0)
	v_cmp_u_f16_e32 vcc, v10, v10
	v_cmp_lt_f16_e64 s[0:1], s15, v10
	v_mov_b32_e32 v2, s15
	s_or_b64 vcc, vcc, s[0:1]
	v_cndmask_b32_e32 v6, v2, v10, vcc
	v_add_u32_e32 v2, s20, v0
	v_mov_b32_e32 v3, 0
	v_lshl_add_u64 v[2:3], v[2:3], 1, s[16:17]
	v_add_u32_e32 v0, 0x100, v0
	global_store_short v[2:3], v6, off
	s_or_b64 exec, exec, s[2:3]
	v_cmp_gt_i32_e32 vcc, s14, v0
	s_and_saveexec_b64 s[2:3], vcc
	s_cbranch_execz .LBB404_21
.LBB404_32:
	s_waitcnt vmcnt(0)
	v_cmp_u_f16_e32 vcc, v5, v5
	v_cmp_lt_f16_e64 s[0:1], s15, v5
	v_mov_b32_e32 v2, s15
	s_or_b64 vcc, vcc, s[0:1]
	v_cndmask_b32_e32 v5, v2, v5, vcc
	v_add_u32_e32 v2, s20, v0
	v_mov_b32_e32 v3, 0
	v_lshl_add_u64 v[2:3], v[2:3], 1, s[16:17]
	v_add_u32_e32 v0, 0x100, v0
	global_store_short v[2:3], v5, off
	s_or_b64 exec, exec, s[2:3]
	v_cmp_gt_i32_e32 vcc, s14, v0
	s_and_saveexec_b64 s[2:3], vcc
	s_cbranch_execz .LBB404_22
.LBB404_33:
	s_waitcnt vmcnt(0)
	v_cmp_u_f16_e32 vcc, v9, v9
	v_cmp_lt_f16_e64 s[0:1], s15, v9
	v_mov_b32_e32 v2, s15
	s_or_b64 vcc, vcc, s[0:1]
	v_cndmask_b32_e32 v5, v2, v9, vcc
	v_add_u32_e32 v2, s20, v0
	v_mov_b32_e32 v3, 0
	v_lshl_add_u64 v[2:3], v[2:3], 1, s[16:17]
	v_add_u32_e32 v0, 0x100, v0
	global_store_short v[2:3], v5, off
	s_or_b64 exec, exec, s[2:3]
	v_cmp_gt_i32_e32 vcc, s14, v0
	s_and_saveexec_b64 s[2:3], vcc
	s_cbranch_execz .LBB404_23
.LBB404_34:
	s_waitcnt vmcnt(0)
	v_cmp_u_f16_e32 vcc, v4, v4
	v_cmp_lt_f16_e64 s[0:1], s15, v4
	v_mov_b32_e32 v2, s15
	s_or_b64 vcc, vcc, s[0:1]
	v_cndmask_b32_e32 v4, v2, v4, vcc
	v_add_u32_e32 v2, s20, v0
	v_mov_b32_e32 v3, 0
	v_lshl_add_u64 v[2:3], v[2:3], 1, s[16:17]
	v_add_u32_e32 v0, 0x100, v0
	global_store_short v[2:3], v4, off
	s_or_b64 exec, exec, s[2:3]
	v_cmp_gt_i32_e32 vcc, s14, v0
	s_and_saveexec_b64 s[2:3], vcc
	s_cbranch_execz .LBB404_24
.LBB404_35:
	s_waitcnt vmcnt(0)
	v_cmp_u_f16_e32 vcc, v7, v7
	v_cmp_lt_f16_e64 s[0:1], s15, v7
	v_mov_b32_e32 v2, s15
	s_or_b64 vcc, vcc, s[0:1]
	v_cndmask_b32_e32 v4, v2, v7, vcc
	v_add_u32_e32 v2, s20, v0
	v_mov_b32_e32 v3, 0
	v_lshl_add_u64 v[2:3], v[2:3], 1, s[16:17]
	v_add_u32_e32 v0, 0x100, v0
	global_store_short v[2:3], v4, off
	s_or_b64 exec, exec, s[2:3]
	v_cmp_gt_i32_e32 vcc, s14, v0
	s_and_saveexec_b64 s[0:1], vcc
	s_cbranch_execnz .LBB404_25
	s_branch .LBB404_26
	.section	.rodata,"a",@progbits
	.p2align	6, 0x0
	.amdhsa_kernel _ZN2at6native29vectorized_elementwise_kernelILi4EZZZNS0_21clamp_min_kernel_cudaERNS_18TensorIteratorBaseERKN3c106ScalarEENKUlvE_clEvENKUlvE6_clEvEUlNS4_4HalfEE_St5arrayIPcLm2EEEEviT0_T1_
		.amdhsa_group_segment_fixed_size 0
		.amdhsa_private_segment_fixed_size 0
		.amdhsa_kernarg_size 24
		.amdhsa_user_sgpr_count 2
		.amdhsa_user_sgpr_dispatch_ptr 0
		.amdhsa_user_sgpr_queue_ptr 0
		.amdhsa_user_sgpr_kernarg_segment_ptr 1
		.amdhsa_user_sgpr_dispatch_id 0
		.amdhsa_user_sgpr_kernarg_preload_length 0
		.amdhsa_user_sgpr_kernarg_preload_offset 0
		.amdhsa_user_sgpr_private_segment_size 0
		.amdhsa_uses_dynamic_stack 0
		.amdhsa_enable_private_segment 0
		.amdhsa_system_sgpr_workgroup_id_x 1
		.amdhsa_system_sgpr_workgroup_id_y 0
		.amdhsa_system_sgpr_workgroup_id_z 0
		.amdhsa_system_sgpr_workgroup_info 0
		.amdhsa_system_vgpr_workitem_id 0
		.amdhsa_next_free_vgpr 14
		.amdhsa_next_free_sgpr 24
		.amdhsa_accum_offset 16
		.amdhsa_reserve_vcc 1
		.amdhsa_float_round_mode_32 0
		.amdhsa_float_round_mode_16_64 0
		.amdhsa_float_denorm_mode_32 3
		.amdhsa_float_denorm_mode_16_64 3
		.amdhsa_dx10_clamp 1
		.amdhsa_ieee_mode 1
		.amdhsa_fp16_overflow 0
		.amdhsa_tg_split 0
		.amdhsa_exception_fp_ieee_invalid_op 0
		.amdhsa_exception_fp_denorm_src 0
		.amdhsa_exception_fp_ieee_div_zero 0
		.amdhsa_exception_fp_ieee_overflow 0
		.amdhsa_exception_fp_ieee_underflow 0
		.amdhsa_exception_fp_ieee_inexact 0
		.amdhsa_exception_int_div_zero 0
	.end_amdhsa_kernel
	.section	.text._ZN2at6native29vectorized_elementwise_kernelILi4EZZZNS0_21clamp_min_kernel_cudaERNS_18TensorIteratorBaseERKN3c106ScalarEENKUlvE_clEvENKUlvE6_clEvEUlNS4_4HalfEE_St5arrayIPcLm2EEEEviT0_T1_,"axG",@progbits,_ZN2at6native29vectorized_elementwise_kernelILi4EZZZNS0_21clamp_min_kernel_cudaERNS_18TensorIteratorBaseERKN3c106ScalarEENKUlvE_clEvENKUlvE6_clEvEUlNS4_4HalfEE_St5arrayIPcLm2EEEEviT0_T1_,comdat
.Lfunc_end404:
	.size	_ZN2at6native29vectorized_elementwise_kernelILi4EZZZNS0_21clamp_min_kernel_cudaERNS_18TensorIteratorBaseERKN3c106ScalarEENKUlvE_clEvENKUlvE6_clEvEUlNS4_4HalfEE_St5arrayIPcLm2EEEEviT0_T1_, .Lfunc_end404-_ZN2at6native29vectorized_elementwise_kernelILi4EZZZNS0_21clamp_min_kernel_cudaERNS_18TensorIteratorBaseERKN3c106ScalarEENKUlvE_clEvENKUlvE6_clEvEUlNS4_4HalfEE_St5arrayIPcLm2EEEEviT0_T1_
                                        ; -- End function
	.set _ZN2at6native29vectorized_elementwise_kernelILi4EZZZNS0_21clamp_min_kernel_cudaERNS_18TensorIteratorBaseERKN3c106ScalarEENKUlvE_clEvENKUlvE6_clEvEUlNS4_4HalfEE_St5arrayIPcLm2EEEEviT0_T1_.num_vgpr, 14
	.set _ZN2at6native29vectorized_elementwise_kernelILi4EZZZNS0_21clamp_min_kernel_cudaERNS_18TensorIteratorBaseERKN3c106ScalarEENKUlvE_clEvENKUlvE6_clEvEUlNS4_4HalfEE_St5arrayIPcLm2EEEEviT0_T1_.num_agpr, 0
	.set _ZN2at6native29vectorized_elementwise_kernelILi4EZZZNS0_21clamp_min_kernel_cudaERNS_18TensorIteratorBaseERKN3c106ScalarEENKUlvE_clEvENKUlvE6_clEvEUlNS4_4HalfEE_St5arrayIPcLm2EEEEviT0_T1_.numbered_sgpr, 24
	.set _ZN2at6native29vectorized_elementwise_kernelILi4EZZZNS0_21clamp_min_kernel_cudaERNS_18TensorIteratorBaseERKN3c106ScalarEENKUlvE_clEvENKUlvE6_clEvEUlNS4_4HalfEE_St5arrayIPcLm2EEEEviT0_T1_.num_named_barrier, 0
	.set _ZN2at6native29vectorized_elementwise_kernelILi4EZZZNS0_21clamp_min_kernel_cudaERNS_18TensorIteratorBaseERKN3c106ScalarEENKUlvE_clEvENKUlvE6_clEvEUlNS4_4HalfEE_St5arrayIPcLm2EEEEviT0_T1_.private_seg_size, 0
	.set _ZN2at6native29vectorized_elementwise_kernelILi4EZZZNS0_21clamp_min_kernel_cudaERNS_18TensorIteratorBaseERKN3c106ScalarEENKUlvE_clEvENKUlvE6_clEvEUlNS4_4HalfEE_St5arrayIPcLm2EEEEviT0_T1_.uses_vcc, 1
	.set _ZN2at6native29vectorized_elementwise_kernelILi4EZZZNS0_21clamp_min_kernel_cudaERNS_18TensorIteratorBaseERKN3c106ScalarEENKUlvE_clEvENKUlvE6_clEvEUlNS4_4HalfEE_St5arrayIPcLm2EEEEviT0_T1_.uses_flat_scratch, 0
	.set _ZN2at6native29vectorized_elementwise_kernelILi4EZZZNS0_21clamp_min_kernel_cudaERNS_18TensorIteratorBaseERKN3c106ScalarEENKUlvE_clEvENKUlvE6_clEvEUlNS4_4HalfEE_St5arrayIPcLm2EEEEviT0_T1_.has_dyn_sized_stack, 0
	.set _ZN2at6native29vectorized_elementwise_kernelILi4EZZZNS0_21clamp_min_kernel_cudaERNS_18TensorIteratorBaseERKN3c106ScalarEENKUlvE_clEvENKUlvE6_clEvEUlNS4_4HalfEE_St5arrayIPcLm2EEEEviT0_T1_.has_recursion, 0
	.set _ZN2at6native29vectorized_elementwise_kernelILi4EZZZNS0_21clamp_min_kernel_cudaERNS_18TensorIteratorBaseERKN3c106ScalarEENKUlvE_clEvENKUlvE6_clEvEUlNS4_4HalfEE_St5arrayIPcLm2EEEEviT0_T1_.has_indirect_call, 0
	.section	.AMDGPU.csdata,"",@progbits
; Kernel info:
; codeLenInByte = 1604
; TotalNumSgprs: 30
; NumVgprs: 14
; NumAgprs: 0
; TotalNumVgprs: 14
; ScratchSize: 0
; MemoryBound: 0
; FloatMode: 240
; IeeeMode: 1
; LDSByteSize: 0 bytes/workgroup (compile time only)
; SGPRBlocks: 3
; VGPRBlocks: 1
; NumSGPRsForWavesPerEU: 30
; NumVGPRsForWavesPerEU: 14
; AccumOffset: 16
; Occupancy: 8
; WaveLimiterHint : 1
; COMPUTE_PGM_RSRC2:SCRATCH_EN: 0
; COMPUTE_PGM_RSRC2:USER_SGPR: 2
; COMPUTE_PGM_RSRC2:TRAP_HANDLER: 0
; COMPUTE_PGM_RSRC2:TGID_X_EN: 1
; COMPUTE_PGM_RSRC2:TGID_Y_EN: 0
; COMPUTE_PGM_RSRC2:TGID_Z_EN: 0
; COMPUTE_PGM_RSRC2:TIDIG_COMP_CNT: 0
; COMPUTE_PGM_RSRC3_GFX90A:ACCUM_OFFSET: 3
; COMPUTE_PGM_RSRC3_GFX90A:TG_SPLIT: 0
	.section	.text._ZN2at6native29vectorized_elementwise_kernelILi2EZZZNS0_21clamp_min_kernel_cudaERNS_18TensorIteratorBaseERKN3c106ScalarEENKUlvE_clEvENKUlvE6_clEvEUlNS4_4HalfEE_St5arrayIPcLm2EEEEviT0_T1_,"axG",@progbits,_ZN2at6native29vectorized_elementwise_kernelILi2EZZZNS0_21clamp_min_kernel_cudaERNS_18TensorIteratorBaseERKN3c106ScalarEENKUlvE_clEvENKUlvE6_clEvEUlNS4_4HalfEE_St5arrayIPcLm2EEEEviT0_T1_,comdat
	.globl	_ZN2at6native29vectorized_elementwise_kernelILi2EZZZNS0_21clamp_min_kernel_cudaERNS_18TensorIteratorBaseERKN3c106ScalarEENKUlvE_clEvENKUlvE6_clEvEUlNS4_4HalfEE_St5arrayIPcLm2EEEEviT0_T1_ ; -- Begin function _ZN2at6native29vectorized_elementwise_kernelILi2EZZZNS0_21clamp_min_kernel_cudaERNS_18TensorIteratorBaseERKN3c106ScalarEENKUlvE_clEvENKUlvE6_clEvEUlNS4_4HalfEE_St5arrayIPcLm2EEEEviT0_T1_
	.p2align	8
	.type	_ZN2at6native29vectorized_elementwise_kernelILi2EZZZNS0_21clamp_min_kernel_cudaERNS_18TensorIteratorBaseERKN3c106ScalarEENKUlvE_clEvENKUlvE6_clEvEUlNS4_4HalfEE_St5arrayIPcLm2EEEEviT0_T1_,@function
_ZN2at6native29vectorized_elementwise_kernelILi2EZZZNS0_21clamp_min_kernel_cudaERNS_18TensorIteratorBaseERKN3c106ScalarEENKUlvE_clEvENKUlvE6_clEvEUlNS4_4HalfEE_St5arrayIPcLm2EEEEviT0_T1_: ; @_ZN2at6native29vectorized_elementwise_kernelILi2EZZZNS0_21clamp_min_kernel_cudaERNS_18TensorIteratorBaseERKN3c106ScalarEENKUlvE_clEvENKUlvE6_clEvEUlNS4_4HalfEE_St5arrayIPcLm2EEEEviT0_T1_
; %bb.0:
	s_load_dwordx2 s[14:15], s[0:1], 0x0
	s_load_dwordx4 s[16:19], s[0:1], 0x8
	s_lshl_b32 s20, s2, 11
	s_mov_b64 s[0:1], -1
	s_waitcnt lgkmcnt(0)
	s_sub_i32 s14, s14, s20
	s_cmpk_gt_i32 s14, 0x7ff
	s_cbranch_scc0 .LBB405_2
; %bb.1:
	s_ashr_i32 s21, s20, 31
	s_lshl_b64 s[22:23], s[20:21], 1
	s_add_u32 s0, s18, s22
	s_addc_u32 s1, s19, s23
	v_lshlrev_b32_e32 v1, 2, v0
	global_load_dword v2, v1, s[0:1]
	global_load_dword v3, v1, s[0:1] offset:1024
	global_load_dword v4, v1, s[0:1] offset:2048
	global_load_dword v5, v1, s[0:1] offset:3072
	v_mov_b32_e32 v6, s15
	s_waitcnt vmcnt(3)
	v_cmp_u_f16_e32 vcc, v2, v2
	v_cmp_lt_f16_e64 s[0:1], s15, v2
	v_lshrrev_b32_e32 v7, 16, v2
	s_waitcnt vmcnt(2)
	v_cmp_u_f16_e64 s[2:3], v3, v3
	v_cmp_lt_f16_e64 s[4:5], s15, v3
	s_or_b64 vcc, vcc, s[0:1]
	v_lshrrev_b32_e32 v8, 16, v3
	s_waitcnt vmcnt(1)
	v_cmp_u_f16_e64 s[6:7], v4, v4
	v_cmp_lt_f16_e64 s[8:9], s15, v4
	v_cndmask_b32_e32 v2, v6, v2, vcc
	v_cmp_u_f16_e32 vcc, v7, v7
	v_cmp_lt_f16_e64 s[0:1], s15, v7
	s_or_b64 s[2:3], s[2:3], s[4:5]
	v_lshrrev_b32_e32 v9, 16, v4
	s_waitcnt vmcnt(0)
	v_cmp_u_f16_e64 s[10:11], v5, v5
	v_cmp_lt_f16_e64 s[12:13], s15, v5
	v_cndmask_b32_e64 v3, v6, v3, s[2:3]
	v_cmp_u_f16_e64 s[2:3], v8, v8
	v_cmp_lt_f16_e64 s[4:5], s15, v8
	s_or_b64 s[6:7], s[6:7], s[8:9]
	s_or_b64 vcc, vcc, s[0:1]
	v_lshrrev_b32_e32 v10, 16, v5
	v_cndmask_b32_e64 v4, v6, v4, s[6:7]
	v_cmp_u_f16_e64 s[6:7], v9, v9
	v_cmp_lt_f16_e64 s[8:9], s15, v9
	s_or_b64 s[10:11], s[10:11], s[12:13]
	v_cndmask_b32_e32 v7, v6, v7, vcc
	s_or_b64 vcc, s[2:3], s[4:5]
	v_cndmask_b32_e64 v5, v6, v5, s[10:11]
	v_cmp_u_f16_e64 s[10:11], v10, v10
	v_cmp_lt_f16_e64 s[12:13], s15, v10
	v_cndmask_b32_e32 v8, v6, v8, vcc
	s_or_b64 vcc, s[6:7], s[8:9]
	v_cndmask_b32_e32 v9, v6, v9, vcc
	s_or_b64 vcc, s[10:11], s[12:13]
	v_cndmask_b32_e32 v6, v6, v10, vcc
	v_lshlrev_b32_e32 v7, 16, v7
	s_add_u32 s0, s16, s22
	v_lshlrev_b32_e32 v8, 16, v8
	v_lshlrev_b32_e32 v9, 16, v9
	;; [unrolled: 1-line block ×3, first 2 shown]
	v_or_b32_sdwa v2, v7, v2 dst_sel:DWORD dst_unused:UNUSED_PAD src0_sel:DWORD src1_sel:WORD_0
	s_addc_u32 s1, s17, s23
	v_or_b32_sdwa v3, v8, v3 dst_sel:DWORD dst_unused:UNUSED_PAD src0_sel:DWORD src1_sel:WORD_0
	v_or_b32_sdwa v4, v9, v4 dst_sel:DWORD dst_unused:UNUSED_PAD src0_sel:DWORD src1_sel:WORD_0
	;; [unrolled: 1-line block ×3, first 2 shown]
	global_store_dword v1, v2, s[0:1]
	global_store_dword v1, v3, s[0:1] offset:1024
	global_store_dword v1, v4, s[0:1] offset:2048
	;; [unrolled: 1-line block ×3, first 2 shown]
	s_mov_b64 s[0:1], 0
.LBB405_2:
	s_andn2_b64 vcc, exec, s[0:1]
	s_cbranch_vccnz .LBB405_26
; %bb.3:
	v_cmp_gt_i32_e32 vcc, s14, v0
	v_mov_b32_e32 v6, 0
	v_or_b32_e32 v2, s20, v0
	v_mov_b32_e32 v8, 0
	v_mov_b32_e32 v3, v0
	s_and_saveexec_b64 s[0:1], vcc
	s_cbranch_execz .LBB405_5
; %bb.4:
	v_mov_b32_e32 v3, 0
	v_lshl_add_u64 v[4:5], v[2:3], 1, s[18:19]
	global_load_ushort v8, v[4:5], off
	v_or_b32_e32 v3, 0x100, v0
.LBB405_5:
	s_or_b64 exec, exec, s[0:1]
	v_cmp_gt_i32_e64 s[0:1], s14, v3
	s_and_saveexec_b64 s[2:3], s[0:1]
	s_cbranch_execz .LBB405_7
; %bb.6:
	v_add_u32_e32 v4, s20, v3
	v_mov_b32_e32 v5, 0
	v_lshl_add_u64 v[4:5], v[4:5], 1, s[18:19]
	global_load_ushort v6, v[4:5], off
	v_add_u32_e32 v3, 0x100, v3
.LBB405_7:
	s_or_b64 exec, exec, s[2:3]
	v_cmp_gt_i32_e64 s[0:1], s14, v3
	v_mov_b32_e32 v5, 0
	v_mov_b32_e32 v10, 0
	s_and_saveexec_b64 s[2:3], s[0:1]
	s_cbranch_execz .LBB405_9
; %bb.8:
	v_add_u32_e32 v10, s20, v3
	v_mov_b32_e32 v11, 0
	v_lshl_add_u64 v[10:11], v[10:11], 1, s[18:19]
	global_load_ushort v10, v[10:11], off
	v_add_u32_e32 v3, 0x100, v3
.LBB405_9:
	s_or_b64 exec, exec, s[2:3]
	v_cmp_gt_i32_e64 s[0:1], s14, v3
	s_and_saveexec_b64 s[2:3], s[0:1]
	s_cbranch_execz .LBB405_11
; %bb.10:
	v_add_u32_e32 v4, s20, v3
	v_mov_b32_e32 v5, 0
	v_lshl_add_u64 v[4:5], v[4:5], 1, s[18:19]
	global_load_ushort v5, v[4:5], off
	v_add_u32_e32 v3, 0x100, v3
.LBB405_11:
	s_or_b64 exec, exec, s[2:3]
	v_cmp_gt_i32_e64 s[0:1], s14, v3
	v_mov_b32_e32 v4, 0
	v_mov_b32_e32 v9, 0
	s_and_saveexec_b64 s[2:3], s[0:1]
	s_cbranch_execz .LBB405_13
; %bb.12:
	v_add_u32_e32 v12, s20, v3
	v_mov_b32_e32 v13, 0
	v_lshl_add_u64 v[12:13], v[12:13], 1, s[18:19]
	global_load_ushort v9, v[12:13], off
	v_add_u32_e32 v3, 0x100, v3
.LBB405_13:
	s_or_b64 exec, exec, s[2:3]
	v_cmp_gt_i32_e64 s[0:1], s14, v3
	s_and_saveexec_b64 s[2:3], s[0:1]
	s_cbranch_execz .LBB405_15
; %bb.14:
	v_add_u32_e32 v12, s20, v3
	v_mov_b32_e32 v13, 0
	v_lshl_add_u64 v[12:13], v[12:13], 1, s[18:19]
	global_load_ushort v4, v[12:13], off
	v_add_u32_e32 v3, 0x100, v3
.LBB405_15:
	s_or_b64 exec, exec, s[2:3]
	v_cmp_gt_i32_e64 s[0:1], s14, v3
	v_mov_b32_e32 v1, 0
	v_mov_b32_e32 v7, 0
	s_and_saveexec_b64 s[2:3], s[0:1]
	s_cbranch_execnz .LBB405_27
; %bb.16:
	s_or_b64 exec, exec, s[2:3]
	v_cmp_gt_i32_e64 s[0:1], s14, v3
	s_and_saveexec_b64 s[2:3], s[0:1]
	s_cbranch_execnz .LBB405_28
.LBB405_17:
	s_or_b64 exec, exec, s[2:3]
	s_and_saveexec_b64 s[2:3], vcc
	s_cbranch_execnz .LBB405_29
.LBB405_18:
	s_or_b64 exec, exec, s[2:3]
	v_cmp_gt_i32_e32 vcc, s14, v0
	s_and_saveexec_b64 s[2:3], vcc
	s_cbranch_execnz .LBB405_30
.LBB405_19:
	s_or_b64 exec, exec, s[2:3]
	v_cmp_gt_i32_e32 vcc, s14, v0
	s_and_saveexec_b64 s[2:3], vcc
	s_cbranch_execnz .LBB405_31
.LBB405_20:
	s_or_b64 exec, exec, s[2:3]
	v_cmp_gt_i32_e32 vcc, s14, v0
	s_and_saveexec_b64 s[2:3], vcc
	s_cbranch_execnz .LBB405_32
.LBB405_21:
	s_or_b64 exec, exec, s[2:3]
	v_cmp_gt_i32_e32 vcc, s14, v0
	s_and_saveexec_b64 s[2:3], vcc
	s_cbranch_execnz .LBB405_33
.LBB405_22:
	s_or_b64 exec, exec, s[2:3]
	v_cmp_gt_i32_e32 vcc, s14, v0
	s_and_saveexec_b64 s[2:3], vcc
	s_cbranch_execnz .LBB405_34
.LBB405_23:
	s_or_b64 exec, exec, s[2:3]
	v_cmp_gt_i32_e32 vcc, s14, v0
	s_and_saveexec_b64 s[2:3], vcc
	s_cbranch_execnz .LBB405_35
.LBB405_24:
	s_or_b64 exec, exec, s[2:3]
	v_cmp_gt_i32_e32 vcc, s14, v0
	s_and_saveexec_b64 s[0:1], vcc
	s_cbranch_execz .LBB405_26
.LBB405_25:
	s_waitcnt vmcnt(0)
	v_cmp_u_f16_e32 vcc, v1, v1
	v_cmp_lt_f16_e64 s[0:1], s15, v1
	v_mov_b32_e32 v2, s15
	s_or_b64 vcc, vcc, s[0:1]
	v_cndmask_b32_e32 v2, v2, v1, vcc
	v_add_u32_e32 v0, s20, v0
	v_mov_b32_e32 v1, 0
	v_lshl_add_u64 v[0:1], v[0:1], 1, s[16:17]
	global_store_short v[0:1], v2, off
.LBB405_26:
	s_endpgm
.LBB405_27:
	v_add_u32_e32 v12, s20, v3
	v_mov_b32_e32 v13, 0
	v_lshl_add_u64 v[12:13], v[12:13], 1, s[18:19]
	global_load_ushort v7, v[12:13], off
	v_add_u32_e32 v3, 0x100, v3
	s_or_b64 exec, exec, s[2:3]
	v_cmp_gt_i32_e64 s[0:1], s14, v3
	s_and_saveexec_b64 s[2:3], s[0:1]
	s_cbranch_execz .LBB405_17
.LBB405_28:
	v_add_u32_e32 v12, s20, v3
	v_mov_b32_e32 v13, 0
	v_lshl_add_u64 v[12:13], v[12:13], 1, s[18:19]
	global_load_ushort v1, v[12:13], off
	s_or_b64 exec, exec, s[2:3]
	s_and_saveexec_b64 s[2:3], vcc
	s_cbranch_execz .LBB405_18
.LBB405_29:
	s_waitcnt vmcnt(0)
	v_cmp_u_f16_e32 vcc, v8, v8
	v_cmp_lt_f16_e64 s[0:1], s15, v8
	v_mov_b32_e32 v3, 0
	v_mov_b32_e32 v11, s15
	s_or_b64 vcc, vcc, s[0:1]
	v_lshl_add_u64 v[2:3], v[2:3], 1, s[16:17]
	v_or_b32_e32 v0, 0x100, v0
	v_cndmask_b32_e32 v8, v11, v8, vcc
	global_store_short v[2:3], v8, off
	s_or_b64 exec, exec, s[2:3]
	v_cmp_gt_i32_e32 vcc, s14, v0
	s_and_saveexec_b64 s[2:3], vcc
	s_cbranch_execz .LBB405_19
.LBB405_30:
	s_waitcnt vmcnt(0)
	v_cmp_u_f16_e32 vcc, v6, v6
	v_cmp_lt_f16_e64 s[0:1], s15, v6
	v_mov_b32_e32 v2, s15
	s_or_b64 vcc, vcc, s[0:1]
	v_cndmask_b32_e32 v6, v2, v6, vcc
	v_add_u32_e32 v2, s20, v0
	v_mov_b32_e32 v3, 0
	v_lshl_add_u64 v[2:3], v[2:3], 1, s[16:17]
	v_add_u32_e32 v0, 0x100, v0
	global_store_short v[2:3], v6, off
	s_or_b64 exec, exec, s[2:3]
	v_cmp_gt_i32_e32 vcc, s14, v0
	s_and_saveexec_b64 s[2:3], vcc
	s_cbranch_execz .LBB405_20
.LBB405_31:
	s_waitcnt vmcnt(0)
	v_cmp_u_f16_e32 vcc, v10, v10
	v_cmp_lt_f16_e64 s[0:1], s15, v10
	v_mov_b32_e32 v2, s15
	s_or_b64 vcc, vcc, s[0:1]
	v_cndmask_b32_e32 v6, v2, v10, vcc
	v_add_u32_e32 v2, s20, v0
	v_mov_b32_e32 v3, 0
	v_lshl_add_u64 v[2:3], v[2:3], 1, s[16:17]
	v_add_u32_e32 v0, 0x100, v0
	global_store_short v[2:3], v6, off
	s_or_b64 exec, exec, s[2:3]
	v_cmp_gt_i32_e32 vcc, s14, v0
	s_and_saveexec_b64 s[2:3], vcc
	s_cbranch_execz .LBB405_21
.LBB405_32:
	s_waitcnt vmcnt(0)
	v_cmp_u_f16_e32 vcc, v5, v5
	v_cmp_lt_f16_e64 s[0:1], s15, v5
	v_mov_b32_e32 v2, s15
	s_or_b64 vcc, vcc, s[0:1]
	v_cndmask_b32_e32 v5, v2, v5, vcc
	v_add_u32_e32 v2, s20, v0
	v_mov_b32_e32 v3, 0
	v_lshl_add_u64 v[2:3], v[2:3], 1, s[16:17]
	v_add_u32_e32 v0, 0x100, v0
	global_store_short v[2:3], v5, off
	s_or_b64 exec, exec, s[2:3]
	v_cmp_gt_i32_e32 vcc, s14, v0
	s_and_saveexec_b64 s[2:3], vcc
	s_cbranch_execz .LBB405_22
.LBB405_33:
	s_waitcnt vmcnt(0)
	v_cmp_u_f16_e32 vcc, v9, v9
	v_cmp_lt_f16_e64 s[0:1], s15, v9
	v_mov_b32_e32 v2, s15
	s_or_b64 vcc, vcc, s[0:1]
	v_cndmask_b32_e32 v5, v2, v9, vcc
	v_add_u32_e32 v2, s20, v0
	v_mov_b32_e32 v3, 0
	v_lshl_add_u64 v[2:3], v[2:3], 1, s[16:17]
	v_add_u32_e32 v0, 0x100, v0
	global_store_short v[2:3], v5, off
	s_or_b64 exec, exec, s[2:3]
	v_cmp_gt_i32_e32 vcc, s14, v0
	s_and_saveexec_b64 s[2:3], vcc
	s_cbranch_execz .LBB405_23
.LBB405_34:
	s_waitcnt vmcnt(0)
	v_cmp_u_f16_e32 vcc, v4, v4
	v_cmp_lt_f16_e64 s[0:1], s15, v4
	v_mov_b32_e32 v2, s15
	s_or_b64 vcc, vcc, s[0:1]
	v_cndmask_b32_e32 v4, v2, v4, vcc
	v_add_u32_e32 v2, s20, v0
	v_mov_b32_e32 v3, 0
	v_lshl_add_u64 v[2:3], v[2:3], 1, s[16:17]
	v_add_u32_e32 v0, 0x100, v0
	global_store_short v[2:3], v4, off
	s_or_b64 exec, exec, s[2:3]
	v_cmp_gt_i32_e32 vcc, s14, v0
	s_and_saveexec_b64 s[2:3], vcc
	s_cbranch_execz .LBB405_24
.LBB405_35:
	s_waitcnt vmcnt(0)
	v_cmp_u_f16_e32 vcc, v7, v7
	v_cmp_lt_f16_e64 s[0:1], s15, v7
	v_mov_b32_e32 v2, s15
	s_or_b64 vcc, vcc, s[0:1]
	v_cndmask_b32_e32 v4, v2, v7, vcc
	v_add_u32_e32 v2, s20, v0
	v_mov_b32_e32 v3, 0
	v_lshl_add_u64 v[2:3], v[2:3], 1, s[16:17]
	v_add_u32_e32 v0, 0x100, v0
	global_store_short v[2:3], v4, off
	s_or_b64 exec, exec, s[2:3]
	v_cmp_gt_i32_e32 vcc, s14, v0
	s_and_saveexec_b64 s[0:1], vcc
	s_cbranch_execnz .LBB405_25
	s_branch .LBB405_26
	.section	.rodata,"a",@progbits
	.p2align	6, 0x0
	.amdhsa_kernel _ZN2at6native29vectorized_elementwise_kernelILi2EZZZNS0_21clamp_min_kernel_cudaERNS_18TensorIteratorBaseERKN3c106ScalarEENKUlvE_clEvENKUlvE6_clEvEUlNS4_4HalfEE_St5arrayIPcLm2EEEEviT0_T1_
		.amdhsa_group_segment_fixed_size 0
		.amdhsa_private_segment_fixed_size 0
		.amdhsa_kernarg_size 24
		.amdhsa_user_sgpr_count 2
		.amdhsa_user_sgpr_dispatch_ptr 0
		.amdhsa_user_sgpr_queue_ptr 0
		.amdhsa_user_sgpr_kernarg_segment_ptr 1
		.amdhsa_user_sgpr_dispatch_id 0
		.amdhsa_user_sgpr_kernarg_preload_length 0
		.amdhsa_user_sgpr_kernarg_preload_offset 0
		.amdhsa_user_sgpr_private_segment_size 0
		.amdhsa_uses_dynamic_stack 0
		.amdhsa_enable_private_segment 0
		.amdhsa_system_sgpr_workgroup_id_x 1
		.amdhsa_system_sgpr_workgroup_id_y 0
		.amdhsa_system_sgpr_workgroup_id_z 0
		.amdhsa_system_sgpr_workgroup_info 0
		.amdhsa_system_vgpr_workitem_id 0
		.amdhsa_next_free_vgpr 14
		.amdhsa_next_free_sgpr 24
		.amdhsa_accum_offset 16
		.amdhsa_reserve_vcc 1
		.amdhsa_float_round_mode_32 0
		.amdhsa_float_round_mode_16_64 0
		.amdhsa_float_denorm_mode_32 3
		.amdhsa_float_denorm_mode_16_64 3
		.amdhsa_dx10_clamp 1
		.amdhsa_ieee_mode 1
		.amdhsa_fp16_overflow 0
		.amdhsa_tg_split 0
		.amdhsa_exception_fp_ieee_invalid_op 0
		.amdhsa_exception_fp_denorm_src 0
		.amdhsa_exception_fp_ieee_div_zero 0
		.amdhsa_exception_fp_ieee_overflow 0
		.amdhsa_exception_fp_ieee_underflow 0
		.amdhsa_exception_fp_ieee_inexact 0
		.amdhsa_exception_int_div_zero 0
	.end_amdhsa_kernel
	.section	.text._ZN2at6native29vectorized_elementwise_kernelILi2EZZZNS0_21clamp_min_kernel_cudaERNS_18TensorIteratorBaseERKN3c106ScalarEENKUlvE_clEvENKUlvE6_clEvEUlNS4_4HalfEE_St5arrayIPcLm2EEEEviT0_T1_,"axG",@progbits,_ZN2at6native29vectorized_elementwise_kernelILi2EZZZNS0_21clamp_min_kernel_cudaERNS_18TensorIteratorBaseERKN3c106ScalarEENKUlvE_clEvENKUlvE6_clEvEUlNS4_4HalfEE_St5arrayIPcLm2EEEEviT0_T1_,comdat
.Lfunc_end405:
	.size	_ZN2at6native29vectorized_elementwise_kernelILi2EZZZNS0_21clamp_min_kernel_cudaERNS_18TensorIteratorBaseERKN3c106ScalarEENKUlvE_clEvENKUlvE6_clEvEUlNS4_4HalfEE_St5arrayIPcLm2EEEEviT0_T1_, .Lfunc_end405-_ZN2at6native29vectorized_elementwise_kernelILi2EZZZNS0_21clamp_min_kernel_cudaERNS_18TensorIteratorBaseERKN3c106ScalarEENKUlvE_clEvENKUlvE6_clEvEUlNS4_4HalfEE_St5arrayIPcLm2EEEEviT0_T1_
                                        ; -- End function
	.set _ZN2at6native29vectorized_elementwise_kernelILi2EZZZNS0_21clamp_min_kernel_cudaERNS_18TensorIteratorBaseERKN3c106ScalarEENKUlvE_clEvENKUlvE6_clEvEUlNS4_4HalfEE_St5arrayIPcLm2EEEEviT0_T1_.num_vgpr, 14
	.set _ZN2at6native29vectorized_elementwise_kernelILi2EZZZNS0_21clamp_min_kernel_cudaERNS_18TensorIteratorBaseERKN3c106ScalarEENKUlvE_clEvENKUlvE6_clEvEUlNS4_4HalfEE_St5arrayIPcLm2EEEEviT0_T1_.num_agpr, 0
	.set _ZN2at6native29vectorized_elementwise_kernelILi2EZZZNS0_21clamp_min_kernel_cudaERNS_18TensorIteratorBaseERKN3c106ScalarEENKUlvE_clEvENKUlvE6_clEvEUlNS4_4HalfEE_St5arrayIPcLm2EEEEviT0_T1_.numbered_sgpr, 24
	.set _ZN2at6native29vectorized_elementwise_kernelILi2EZZZNS0_21clamp_min_kernel_cudaERNS_18TensorIteratorBaseERKN3c106ScalarEENKUlvE_clEvENKUlvE6_clEvEUlNS4_4HalfEE_St5arrayIPcLm2EEEEviT0_T1_.num_named_barrier, 0
	.set _ZN2at6native29vectorized_elementwise_kernelILi2EZZZNS0_21clamp_min_kernel_cudaERNS_18TensorIteratorBaseERKN3c106ScalarEENKUlvE_clEvENKUlvE6_clEvEUlNS4_4HalfEE_St5arrayIPcLm2EEEEviT0_T1_.private_seg_size, 0
	.set _ZN2at6native29vectorized_elementwise_kernelILi2EZZZNS0_21clamp_min_kernel_cudaERNS_18TensorIteratorBaseERKN3c106ScalarEENKUlvE_clEvENKUlvE6_clEvEUlNS4_4HalfEE_St5arrayIPcLm2EEEEviT0_T1_.uses_vcc, 1
	.set _ZN2at6native29vectorized_elementwise_kernelILi2EZZZNS0_21clamp_min_kernel_cudaERNS_18TensorIteratorBaseERKN3c106ScalarEENKUlvE_clEvENKUlvE6_clEvEUlNS4_4HalfEE_St5arrayIPcLm2EEEEviT0_T1_.uses_flat_scratch, 0
	.set _ZN2at6native29vectorized_elementwise_kernelILi2EZZZNS0_21clamp_min_kernel_cudaERNS_18TensorIteratorBaseERKN3c106ScalarEENKUlvE_clEvENKUlvE6_clEvEUlNS4_4HalfEE_St5arrayIPcLm2EEEEviT0_T1_.has_dyn_sized_stack, 0
	.set _ZN2at6native29vectorized_elementwise_kernelILi2EZZZNS0_21clamp_min_kernel_cudaERNS_18TensorIteratorBaseERKN3c106ScalarEENKUlvE_clEvENKUlvE6_clEvEUlNS4_4HalfEE_St5arrayIPcLm2EEEEviT0_T1_.has_recursion, 0
	.set _ZN2at6native29vectorized_elementwise_kernelILi2EZZZNS0_21clamp_min_kernel_cudaERNS_18TensorIteratorBaseERKN3c106ScalarEENKUlvE_clEvENKUlvE6_clEvEUlNS4_4HalfEE_St5arrayIPcLm2EEEEviT0_T1_.has_indirect_call, 0
	.section	.AMDGPU.csdata,"",@progbits
; Kernel info:
; codeLenInByte = 1604
; TotalNumSgprs: 30
; NumVgprs: 14
; NumAgprs: 0
; TotalNumVgprs: 14
; ScratchSize: 0
; MemoryBound: 0
; FloatMode: 240
; IeeeMode: 1
; LDSByteSize: 0 bytes/workgroup (compile time only)
; SGPRBlocks: 3
; VGPRBlocks: 1
; NumSGPRsForWavesPerEU: 30
; NumVGPRsForWavesPerEU: 14
; AccumOffset: 16
; Occupancy: 8
; WaveLimiterHint : 1
; COMPUTE_PGM_RSRC2:SCRATCH_EN: 0
; COMPUTE_PGM_RSRC2:USER_SGPR: 2
; COMPUTE_PGM_RSRC2:TRAP_HANDLER: 0
; COMPUTE_PGM_RSRC2:TGID_X_EN: 1
; COMPUTE_PGM_RSRC2:TGID_Y_EN: 0
; COMPUTE_PGM_RSRC2:TGID_Z_EN: 0
; COMPUTE_PGM_RSRC2:TIDIG_COMP_CNT: 0
; COMPUTE_PGM_RSRC3_GFX90A:ACCUM_OFFSET: 3
; COMPUTE_PGM_RSRC3_GFX90A:TG_SPLIT: 0
	.section	.text._ZN2at6native27unrolled_elementwise_kernelIZZZNS0_21clamp_min_kernel_cudaERNS_18TensorIteratorBaseERKN3c106ScalarEENKUlvE_clEvENKUlvE6_clEvEUlNS4_4HalfEE_St5arrayIPcLm2EELi4E23TrivialOffsetCalculatorILi1EjESG_NS0_6memory15LoadWithoutCastENSH_16StoreWithoutCastEEEviT_T0_T2_T3_T4_T5_,"axG",@progbits,_ZN2at6native27unrolled_elementwise_kernelIZZZNS0_21clamp_min_kernel_cudaERNS_18TensorIteratorBaseERKN3c106ScalarEENKUlvE_clEvENKUlvE6_clEvEUlNS4_4HalfEE_St5arrayIPcLm2EELi4E23TrivialOffsetCalculatorILi1EjESG_NS0_6memory15LoadWithoutCastENSH_16StoreWithoutCastEEEviT_T0_T2_T3_T4_T5_,comdat
	.globl	_ZN2at6native27unrolled_elementwise_kernelIZZZNS0_21clamp_min_kernel_cudaERNS_18TensorIteratorBaseERKN3c106ScalarEENKUlvE_clEvENKUlvE6_clEvEUlNS4_4HalfEE_St5arrayIPcLm2EELi4E23TrivialOffsetCalculatorILi1EjESG_NS0_6memory15LoadWithoutCastENSH_16StoreWithoutCastEEEviT_T0_T2_T3_T4_T5_ ; -- Begin function _ZN2at6native27unrolled_elementwise_kernelIZZZNS0_21clamp_min_kernel_cudaERNS_18TensorIteratorBaseERKN3c106ScalarEENKUlvE_clEvENKUlvE6_clEvEUlNS4_4HalfEE_St5arrayIPcLm2EELi4E23TrivialOffsetCalculatorILi1EjESG_NS0_6memory15LoadWithoutCastENSH_16StoreWithoutCastEEEviT_T0_T2_T3_T4_T5_
	.p2align	8
	.type	_ZN2at6native27unrolled_elementwise_kernelIZZZNS0_21clamp_min_kernel_cudaERNS_18TensorIteratorBaseERKN3c106ScalarEENKUlvE_clEvENKUlvE6_clEvEUlNS4_4HalfEE_St5arrayIPcLm2EELi4E23TrivialOffsetCalculatorILi1EjESG_NS0_6memory15LoadWithoutCastENSH_16StoreWithoutCastEEEviT_T0_T2_T3_T4_T5_,@function
_ZN2at6native27unrolled_elementwise_kernelIZZZNS0_21clamp_min_kernel_cudaERNS_18TensorIteratorBaseERKN3c106ScalarEENKUlvE_clEvENKUlvE6_clEvEUlNS4_4HalfEE_St5arrayIPcLm2EELi4E23TrivialOffsetCalculatorILi1EjESG_NS0_6memory15LoadWithoutCastENSH_16StoreWithoutCastEEEviT_T0_T2_T3_T4_T5_: ; @_ZN2at6native27unrolled_elementwise_kernelIZZZNS0_21clamp_min_kernel_cudaERNS_18TensorIteratorBaseERKN3c106ScalarEENKUlvE_clEvENKUlvE6_clEvEUlNS4_4HalfEE_St5arrayIPcLm2EELi4E23TrivialOffsetCalculatorILi1EjESG_NS0_6memory15LoadWithoutCastENSH_16StoreWithoutCastEEEviT_T0_T2_T3_T4_T5_
; %bb.0:
	s_load_dwordx2 s[8:9], s[0:1], 0x0
	s_load_dwordx4 s[4:7], s[0:1], 0x8
	s_lshl_b32 s10, s2, 10
	v_mov_b32_e32 v4, 0
	v_or_b32_e32 v2, s10, v0
	s_waitcnt lgkmcnt(0)
	s_sub_i32 s8, s8, s10
	v_cmp_gt_i32_e32 vcc, s8, v0
	v_mov_b32_e32 v5, 0
	v_mov_b32_e32 v3, v0
	s_and_saveexec_b64 s[0:1], vcc
	s_cbranch_execz .LBB406_2
; %bb.1:
	v_mov_b32_e32 v3, 0
	v_lshl_add_u64 v[6:7], v[2:3], 1, s[6:7]
	global_load_ushort v5, v[6:7], off
	v_or_b32_e32 v3, 0x100, v0
.LBB406_2:
	s_or_b64 exec, exec, s[0:1]
	v_cmp_gt_i32_e64 s[0:1], s8, v3
	s_and_saveexec_b64 s[2:3], s[0:1]
	s_cbranch_execz .LBB406_4
; %bb.3:
	v_add_u32_e32 v6, s10, v3
	v_mov_b32_e32 v7, 0
	v_lshl_add_u64 v[6:7], v[6:7], 1, s[6:7]
	global_load_ushort v4, v[6:7], off
	v_add_u32_e32 v3, 0x100, v3
.LBB406_4:
	s_or_b64 exec, exec, s[2:3]
	v_cmp_gt_i32_e64 s[0:1], s8, v3
	v_mov_b32_e32 v1, 0
	v_mov_b32_e32 v6, 0
	s_and_saveexec_b64 s[2:3], s[0:1]
	s_cbranch_execnz .LBB406_11
; %bb.5:
	s_or_b64 exec, exec, s[2:3]
	v_cmp_gt_i32_e64 s[0:1], s8, v3
	s_and_saveexec_b64 s[2:3], s[0:1]
	s_cbranch_execnz .LBB406_12
.LBB406_6:
	s_or_b64 exec, exec, s[2:3]
	s_and_saveexec_b64 s[2:3], vcc
	s_cbranch_execnz .LBB406_13
.LBB406_7:
	s_or_b64 exec, exec, s[2:3]
	v_cmp_gt_i32_e32 vcc, s8, v0
	s_and_saveexec_b64 s[2:3], vcc
	s_cbranch_execnz .LBB406_14
.LBB406_8:
	s_or_b64 exec, exec, s[2:3]
	v_cmp_gt_i32_e32 vcc, s8, v0
	s_and_saveexec_b64 s[2:3], vcc
	s_cbranch_execnz .LBB406_15
.LBB406_9:
	s_or_b64 exec, exec, s[2:3]
	v_cmp_gt_i32_e32 vcc, s8, v0
	s_and_saveexec_b64 s[0:1], vcc
	s_cbranch_execnz .LBB406_16
.LBB406_10:
	s_endpgm
.LBB406_11:
	v_add_u32_e32 v6, s10, v3
	v_mov_b32_e32 v7, 0
	v_lshl_add_u64 v[6:7], v[6:7], 1, s[6:7]
	global_load_ushort v6, v[6:7], off
	v_add_u32_e32 v3, 0x100, v3
	s_or_b64 exec, exec, s[2:3]
	v_cmp_gt_i32_e64 s[0:1], s8, v3
	s_and_saveexec_b64 s[2:3], s[0:1]
	s_cbranch_execz .LBB406_6
.LBB406_12:
	v_add_u32_e32 v8, s10, v3
	v_mov_b32_e32 v9, 0
	v_lshl_add_u64 v[8:9], v[8:9], 1, s[6:7]
	global_load_ushort v1, v[8:9], off
	s_or_b64 exec, exec, s[2:3]
	s_and_saveexec_b64 s[2:3], vcc
	s_cbranch_execz .LBB406_7
.LBB406_13:
	s_waitcnt vmcnt(0)
	v_cmp_u_f16_e32 vcc, v5, v5
	v_cmp_lt_f16_e64 s[0:1], s9, v5
	v_mov_b32_e32 v3, 0
	v_mov_b32_e32 v7, s9
	s_or_b64 vcc, vcc, s[0:1]
	v_lshl_add_u64 v[2:3], v[2:3], 1, s[4:5]
	v_or_b32_e32 v0, 0x100, v0
	v_cndmask_b32_e32 v5, v7, v5, vcc
	global_store_short v[2:3], v5, off
	s_or_b64 exec, exec, s[2:3]
	v_cmp_gt_i32_e32 vcc, s8, v0
	s_and_saveexec_b64 s[2:3], vcc
	s_cbranch_execz .LBB406_8
.LBB406_14:
	s_waitcnt vmcnt(0)
	v_cmp_u_f16_e32 vcc, v4, v4
	v_cmp_lt_f16_e64 s[0:1], s9, v4
	v_mov_b32_e32 v2, s9
	s_or_b64 vcc, vcc, s[0:1]
	v_cndmask_b32_e32 v4, v2, v4, vcc
	v_add_u32_e32 v5, 0x100, v0
	v_add_u32_e32 v2, s10, v0
	v_mov_b32_e32 v3, 0
	v_lshl_add_u64 v[2:3], v[2:3], 1, s[4:5]
	v_mov_b32_e32 v0, v5
	global_store_short v[2:3], v4, off
	s_or_b64 exec, exec, s[2:3]
	v_cmp_gt_i32_e32 vcc, s8, v0
	s_and_saveexec_b64 s[2:3], vcc
	s_cbranch_execz .LBB406_9
.LBB406_15:
	s_waitcnt vmcnt(0)
	v_cmp_u_f16_e32 vcc, v6, v6
	v_cmp_lt_f16_e64 s[0:1], s9, v6
	v_mov_b32_e32 v2, s9
	s_or_b64 vcc, vcc, s[0:1]
	v_cndmask_b32_e32 v4, v2, v6, vcc
	v_add_u32_e32 v5, 0x100, v0
	v_add_u32_e32 v2, s10, v0
	v_mov_b32_e32 v3, 0
	v_lshl_add_u64 v[2:3], v[2:3], 1, s[4:5]
	v_mov_b32_e32 v0, v5
	global_store_short v[2:3], v4, off
	s_or_b64 exec, exec, s[2:3]
	v_cmp_gt_i32_e32 vcc, s8, v0
	s_and_saveexec_b64 s[0:1], vcc
	s_cbranch_execz .LBB406_10
.LBB406_16:
	s_waitcnt vmcnt(0)
	v_cmp_u_f16_e32 vcc, v1, v1
	v_cmp_lt_f16_e64 s[0:1], s9, v1
	v_mov_b32_e32 v2, s9
	s_or_b64 vcc, vcc, s[0:1]
	v_cndmask_b32_e32 v2, v2, v1, vcc
	v_add_u32_e32 v0, s10, v0
	v_mov_b32_e32 v1, 0
	v_lshl_add_u64 v[0:1], v[0:1], 1, s[4:5]
	global_store_short v[0:1], v2, off
	s_endpgm
	.section	.rodata,"a",@progbits
	.p2align	6, 0x0
	.amdhsa_kernel _ZN2at6native27unrolled_elementwise_kernelIZZZNS0_21clamp_min_kernel_cudaERNS_18TensorIteratorBaseERKN3c106ScalarEENKUlvE_clEvENKUlvE6_clEvEUlNS4_4HalfEE_St5arrayIPcLm2EELi4E23TrivialOffsetCalculatorILi1EjESG_NS0_6memory15LoadWithoutCastENSH_16StoreWithoutCastEEEviT_T0_T2_T3_T4_T5_
		.amdhsa_group_segment_fixed_size 0
		.amdhsa_private_segment_fixed_size 0
		.amdhsa_kernarg_size 28
		.amdhsa_user_sgpr_count 2
		.amdhsa_user_sgpr_dispatch_ptr 0
		.amdhsa_user_sgpr_queue_ptr 0
		.amdhsa_user_sgpr_kernarg_segment_ptr 1
		.amdhsa_user_sgpr_dispatch_id 0
		.amdhsa_user_sgpr_kernarg_preload_length 0
		.amdhsa_user_sgpr_kernarg_preload_offset 0
		.amdhsa_user_sgpr_private_segment_size 0
		.amdhsa_uses_dynamic_stack 0
		.amdhsa_enable_private_segment 0
		.amdhsa_system_sgpr_workgroup_id_x 1
		.amdhsa_system_sgpr_workgroup_id_y 0
		.amdhsa_system_sgpr_workgroup_id_z 0
		.amdhsa_system_sgpr_workgroup_info 0
		.amdhsa_system_vgpr_workitem_id 0
		.amdhsa_next_free_vgpr 10
		.amdhsa_next_free_sgpr 11
		.amdhsa_accum_offset 12
		.amdhsa_reserve_vcc 1
		.amdhsa_float_round_mode_32 0
		.amdhsa_float_round_mode_16_64 0
		.amdhsa_float_denorm_mode_32 3
		.amdhsa_float_denorm_mode_16_64 3
		.amdhsa_dx10_clamp 1
		.amdhsa_ieee_mode 1
		.amdhsa_fp16_overflow 0
		.amdhsa_tg_split 0
		.amdhsa_exception_fp_ieee_invalid_op 0
		.amdhsa_exception_fp_denorm_src 0
		.amdhsa_exception_fp_ieee_div_zero 0
		.amdhsa_exception_fp_ieee_overflow 0
		.amdhsa_exception_fp_ieee_underflow 0
		.amdhsa_exception_fp_ieee_inexact 0
		.amdhsa_exception_int_div_zero 0
	.end_amdhsa_kernel
	.section	.text._ZN2at6native27unrolled_elementwise_kernelIZZZNS0_21clamp_min_kernel_cudaERNS_18TensorIteratorBaseERKN3c106ScalarEENKUlvE_clEvENKUlvE6_clEvEUlNS4_4HalfEE_St5arrayIPcLm2EELi4E23TrivialOffsetCalculatorILi1EjESG_NS0_6memory15LoadWithoutCastENSH_16StoreWithoutCastEEEviT_T0_T2_T3_T4_T5_,"axG",@progbits,_ZN2at6native27unrolled_elementwise_kernelIZZZNS0_21clamp_min_kernel_cudaERNS_18TensorIteratorBaseERKN3c106ScalarEENKUlvE_clEvENKUlvE6_clEvEUlNS4_4HalfEE_St5arrayIPcLm2EELi4E23TrivialOffsetCalculatorILi1EjESG_NS0_6memory15LoadWithoutCastENSH_16StoreWithoutCastEEEviT_T0_T2_T3_T4_T5_,comdat
.Lfunc_end406:
	.size	_ZN2at6native27unrolled_elementwise_kernelIZZZNS0_21clamp_min_kernel_cudaERNS_18TensorIteratorBaseERKN3c106ScalarEENKUlvE_clEvENKUlvE6_clEvEUlNS4_4HalfEE_St5arrayIPcLm2EELi4E23TrivialOffsetCalculatorILi1EjESG_NS0_6memory15LoadWithoutCastENSH_16StoreWithoutCastEEEviT_T0_T2_T3_T4_T5_, .Lfunc_end406-_ZN2at6native27unrolled_elementwise_kernelIZZZNS0_21clamp_min_kernel_cudaERNS_18TensorIteratorBaseERKN3c106ScalarEENKUlvE_clEvENKUlvE6_clEvEUlNS4_4HalfEE_St5arrayIPcLm2EELi4E23TrivialOffsetCalculatorILi1EjESG_NS0_6memory15LoadWithoutCastENSH_16StoreWithoutCastEEEviT_T0_T2_T3_T4_T5_
                                        ; -- End function
	.set _ZN2at6native27unrolled_elementwise_kernelIZZZNS0_21clamp_min_kernel_cudaERNS_18TensorIteratorBaseERKN3c106ScalarEENKUlvE_clEvENKUlvE6_clEvEUlNS4_4HalfEE_St5arrayIPcLm2EELi4E23TrivialOffsetCalculatorILi1EjESG_NS0_6memory15LoadWithoutCastENSH_16StoreWithoutCastEEEviT_T0_T2_T3_T4_T5_.num_vgpr, 10
	.set _ZN2at6native27unrolled_elementwise_kernelIZZZNS0_21clamp_min_kernel_cudaERNS_18TensorIteratorBaseERKN3c106ScalarEENKUlvE_clEvENKUlvE6_clEvEUlNS4_4HalfEE_St5arrayIPcLm2EELi4E23TrivialOffsetCalculatorILi1EjESG_NS0_6memory15LoadWithoutCastENSH_16StoreWithoutCastEEEviT_T0_T2_T3_T4_T5_.num_agpr, 0
	.set _ZN2at6native27unrolled_elementwise_kernelIZZZNS0_21clamp_min_kernel_cudaERNS_18TensorIteratorBaseERKN3c106ScalarEENKUlvE_clEvENKUlvE6_clEvEUlNS4_4HalfEE_St5arrayIPcLm2EELi4E23TrivialOffsetCalculatorILi1EjESG_NS0_6memory15LoadWithoutCastENSH_16StoreWithoutCastEEEviT_T0_T2_T3_T4_T5_.numbered_sgpr, 11
	.set _ZN2at6native27unrolled_elementwise_kernelIZZZNS0_21clamp_min_kernel_cudaERNS_18TensorIteratorBaseERKN3c106ScalarEENKUlvE_clEvENKUlvE6_clEvEUlNS4_4HalfEE_St5arrayIPcLm2EELi4E23TrivialOffsetCalculatorILi1EjESG_NS0_6memory15LoadWithoutCastENSH_16StoreWithoutCastEEEviT_T0_T2_T3_T4_T5_.num_named_barrier, 0
	.set _ZN2at6native27unrolled_elementwise_kernelIZZZNS0_21clamp_min_kernel_cudaERNS_18TensorIteratorBaseERKN3c106ScalarEENKUlvE_clEvENKUlvE6_clEvEUlNS4_4HalfEE_St5arrayIPcLm2EELi4E23TrivialOffsetCalculatorILi1EjESG_NS0_6memory15LoadWithoutCastENSH_16StoreWithoutCastEEEviT_T0_T2_T3_T4_T5_.private_seg_size, 0
	.set _ZN2at6native27unrolled_elementwise_kernelIZZZNS0_21clamp_min_kernel_cudaERNS_18TensorIteratorBaseERKN3c106ScalarEENKUlvE_clEvENKUlvE6_clEvEUlNS4_4HalfEE_St5arrayIPcLm2EELi4E23TrivialOffsetCalculatorILi1EjESG_NS0_6memory15LoadWithoutCastENSH_16StoreWithoutCastEEEviT_T0_T2_T3_T4_T5_.uses_vcc, 1
	.set _ZN2at6native27unrolled_elementwise_kernelIZZZNS0_21clamp_min_kernel_cudaERNS_18TensorIteratorBaseERKN3c106ScalarEENKUlvE_clEvENKUlvE6_clEvEUlNS4_4HalfEE_St5arrayIPcLm2EELi4E23TrivialOffsetCalculatorILi1EjESG_NS0_6memory15LoadWithoutCastENSH_16StoreWithoutCastEEEviT_T0_T2_T3_T4_T5_.uses_flat_scratch, 0
	.set _ZN2at6native27unrolled_elementwise_kernelIZZZNS0_21clamp_min_kernel_cudaERNS_18TensorIteratorBaseERKN3c106ScalarEENKUlvE_clEvENKUlvE6_clEvEUlNS4_4HalfEE_St5arrayIPcLm2EELi4E23TrivialOffsetCalculatorILi1EjESG_NS0_6memory15LoadWithoutCastENSH_16StoreWithoutCastEEEviT_T0_T2_T3_T4_T5_.has_dyn_sized_stack, 0
	.set _ZN2at6native27unrolled_elementwise_kernelIZZZNS0_21clamp_min_kernel_cudaERNS_18TensorIteratorBaseERKN3c106ScalarEENKUlvE_clEvENKUlvE6_clEvEUlNS4_4HalfEE_St5arrayIPcLm2EELi4E23TrivialOffsetCalculatorILi1EjESG_NS0_6memory15LoadWithoutCastENSH_16StoreWithoutCastEEEviT_T0_T2_T3_T4_T5_.has_recursion, 0
	.set _ZN2at6native27unrolled_elementwise_kernelIZZZNS0_21clamp_min_kernel_cudaERNS_18TensorIteratorBaseERKN3c106ScalarEENKUlvE_clEvENKUlvE6_clEvEUlNS4_4HalfEE_St5arrayIPcLm2EELi4E23TrivialOffsetCalculatorILi1EjESG_NS0_6memory15LoadWithoutCastENSH_16StoreWithoutCastEEEviT_T0_T2_T3_T4_T5_.has_indirect_call, 0
	.section	.AMDGPU.csdata,"",@progbits
; Kernel info:
; codeLenInByte = 624
; TotalNumSgprs: 17
; NumVgprs: 10
; NumAgprs: 0
; TotalNumVgprs: 10
; ScratchSize: 0
; MemoryBound: 0
; FloatMode: 240
; IeeeMode: 1
; LDSByteSize: 0 bytes/workgroup (compile time only)
; SGPRBlocks: 2
; VGPRBlocks: 1
; NumSGPRsForWavesPerEU: 17
; NumVGPRsForWavesPerEU: 10
; AccumOffset: 12
; Occupancy: 8
; WaveLimiterHint : 0
; COMPUTE_PGM_RSRC2:SCRATCH_EN: 0
; COMPUTE_PGM_RSRC2:USER_SGPR: 2
; COMPUTE_PGM_RSRC2:TRAP_HANDLER: 0
; COMPUTE_PGM_RSRC2:TGID_X_EN: 1
; COMPUTE_PGM_RSRC2:TGID_Y_EN: 0
; COMPUTE_PGM_RSRC2:TGID_Z_EN: 0
; COMPUTE_PGM_RSRC2:TIDIG_COMP_CNT: 0
; COMPUTE_PGM_RSRC3_GFX90A:ACCUM_OFFSET: 2
; COMPUTE_PGM_RSRC3_GFX90A:TG_SPLIT: 0
	.section	.text._ZN2at6native32elementwise_kernel_manual_unrollILi128ELi8EZNS0_22gpu_kernel_impl_nocastIZZZNS0_21clamp_min_kernel_cudaERNS_18TensorIteratorBaseERKN3c106ScalarEENKUlvE_clEvENKUlvE6_clEvEUlNS5_4HalfEE_EEvS4_RKT_EUlibE_EEviT1_,"axG",@progbits,_ZN2at6native32elementwise_kernel_manual_unrollILi128ELi8EZNS0_22gpu_kernel_impl_nocastIZZZNS0_21clamp_min_kernel_cudaERNS_18TensorIteratorBaseERKN3c106ScalarEENKUlvE_clEvENKUlvE6_clEvEUlNS5_4HalfEE_EEvS4_RKT_EUlibE_EEviT1_,comdat
	.globl	_ZN2at6native32elementwise_kernel_manual_unrollILi128ELi8EZNS0_22gpu_kernel_impl_nocastIZZZNS0_21clamp_min_kernel_cudaERNS_18TensorIteratorBaseERKN3c106ScalarEENKUlvE_clEvENKUlvE6_clEvEUlNS5_4HalfEE_EEvS4_RKT_EUlibE_EEviT1_ ; -- Begin function _ZN2at6native32elementwise_kernel_manual_unrollILi128ELi8EZNS0_22gpu_kernel_impl_nocastIZZZNS0_21clamp_min_kernel_cudaERNS_18TensorIteratorBaseERKN3c106ScalarEENKUlvE_clEvENKUlvE6_clEvEUlNS5_4HalfEE_EEvS4_RKT_EUlibE_EEviT1_
	.p2align	8
	.type	_ZN2at6native32elementwise_kernel_manual_unrollILi128ELi8EZNS0_22gpu_kernel_impl_nocastIZZZNS0_21clamp_min_kernel_cudaERNS_18TensorIteratorBaseERKN3c106ScalarEENKUlvE_clEvENKUlvE6_clEvEUlNS5_4HalfEE_EEvS4_RKT_EUlibE_EEviT1_,@function
_ZN2at6native32elementwise_kernel_manual_unrollILi128ELi8EZNS0_22gpu_kernel_impl_nocastIZZZNS0_21clamp_min_kernel_cudaERNS_18TensorIteratorBaseERKN3c106ScalarEENKUlvE_clEvENKUlvE6_clEvEUlNS5_4HalfEE_EEvS4_RKT_EUlibE_EEviT1_: ; @_ZN2at6native32elementwise_kernel_manual_unrollILi128ELi8EZNS0_22gpu_kernel_impl_nocastIZZZNS0_21clamp_min_kernel_cudaERNS_18TensorIteratorBaseERKN3c106ScalarEENKUlvE_clEvENKUlvE6_clEvEUlNS5_4HalfEE_EEvS4_RKT_EUlibE_EEviT1_
; %bb.0:
	s_load_dword s56, s[0:1], 0x0
	s_load_dword s33, s[0:1], 0x8
	s_add_u32 s34, s0, 8
	s_addc_u32 s35, s1, 0
	v_lshl_or_b32 v24, s2, 10, v0
	v_or_b32_e32 v32, 0x380, v24
	s_waitcnt lgkmcnt(0)
	s_add_i32 s54, s33, -1
	s_cmp_gt_u32 s54, 1
	v_cmp_le_i32_e32 vcc, s56, v32
	s_cselect_b64 s[36:37], -1, 0
	s_and_saveexec_b64 s[0:1], vcc
	s_xor_b64 s[38:39], exec, s[0:1]
	s_cbranch_execz .LBB407_8
; %bb.1:
	s_load_dwordx4 s[24:27], s[34:35], 0x4
	s_load_dwordx2 s[40:41], s[34:35], 0x14
	s_load_dwordx4 s[20:23], s[34:35], 0xc4
	s_load_dwordx4 s[16:19], s[34:35], 0x148
	s_load_dword s55, s[34:35], 0x158
	s_cmp_lg_u32 s33, 0
	s_cselect_b64 s[46:47], -1, 0
	s_add_u32 s44, s34, 0xc4
	s_addc_u32 s45, s35, 0
	s_min_u32 s57, s54, 15
	s_cmp_gt_u32 s33, 1
	s_cselect_b64 s[42:43], -1, 0
	v_cmp_gt_i32_e32 vcc, s56, v24
	s_and_saveexec_b64 s[48:49], vcc
	s_cbranch_execz .LBB407_15
; %bb.2:
	s_andn2_b64 vcc, exec, s[36:37]
	s_cbranch_vccnz .LBB407_23
; %bb.3:
	s_andn2_b64 vcc, exec, s[46:47]
	s_cbranch_vccnz .LBB407_131
; %bb.4:
	s_add_i32 s59, s57, 1
	s_cmp_eq_u32 s54, 2
	s_cbranch_scc1 .LBB407_133
; %bb.5:
	s_and_b32 s58, s59, 28
	s_mov_b32 s60, 0
	v_mov_b32_e32 v0, 0
	v_mov_b32_e32 v2, 0
	s_mov_b64 s[50:51], s[34:35]
	s_mov_b64 s[52:53], s[44:45]
	v_mov_b32_e32 v4, v24
.LBB407_6:                              ; =>This Inner Loop Header: Depth=1
	s_load_dwordx8 s[8:15], s[50:51], 0x4
	s_load_dwordx4 s[28:31], s[50:51], 0x24
	s_load_dwordx8 s[0:7], s[52:53], 0x0
	s_add_u32 s50, s50, 48
	s_addc_u32 s51, s51, 0
	s_waitcnt lgkmcnt(0)
	v_mul_hi_u32 v1, s9, v4
	v_add_u32_e32 v1, v4, v1
	v_lshrrev_b32_e32 v1, s10, v1
	v_mul_lo_u32 v3, v1, s8
	v_mul_hi_u32 v5, s12, v1
	v_sub_u32_e32 v3, v4, v3
	v_add_u32_e32 v4, v1, v5
	v_lshrrev_b32_e32 v4, s13, v4
	v_mul_lo_u32 v6, v4, s11
	v_mul_hi_u32 v7, s15, v4
	v_sub_u32_e32 v1, v1, v6
	v_add_u32_e32 v6, v4, v7
	v_mul_lo_u32 v5, v3, s1
	v_mul_lo_u32 v3, v3, s0
	v_mul_lo_u32 v7, v1, s3
	v_mul_lo_u32 v1, v1, s2
	v_lshrrev_b32_e32 v6, s28, v6
	v_add3_u32 v0, v3, v0, v1
	v_mul_hi_u32 v3, s30, v6
	v_add3_u32 v1, v5, v2, v7
	v_mul_lo_u32 v2, v6, s14
	v_add_u32_e32 v3, v6, v3
	v_sub_u32_e32 v2, v4, v2
	v_lshrrev_b32_e32 v4, s31, v3
	s_add_i32 s60, s60, 4
	v_mul_lo_u32 v3, v4, s29
	s_add_u32 s52, s52, 32
	v_sub_u32_e32 v3, v6, v3
	s_addc_u32 s53, s53, 0
	v_mul_lo_u32 v5, v2, s4
	v_mul_lo_u32 v2, v2, s5
	;; [unrolled: 1-line block ×4, first 2 shown]
	s_cmp_lg_u32 s58, s60
	v_add3_u32 v2, v2, v1, v3
	v_add3_u32 v0, v5, v0, v6
	s_cbranch_scc1 .LBB407_6
; %bb.7:
	v_mov_b32_e32 v1, v2
	s_branch .LBB407_134
.LBB407_8:
	s_andn2_saveexec_b64 s[0:1], s[38:39]
	s_cbranch_execz .LBB407_228
.LBB407_9:
	v_cndmask_b32_e64 v0, 0, 1, s[36:37]
	v_cmp_ne_u32_e64 s[0:1], 1, v0
	s_andn2_b64 vcc, exec, s[36:37]
	s_cbranch_vccnz .LBB407_22
; %bb.10:
	s_cmp_lg_u32 s33, 0
	s_waitcnt lgkmcnt(0)
	s_mov_b32 s26, 0
	s_cbranch_scc0 .LBB407_25
; %bb.11:
	s_min_u32 s27, s54, 15
	s_add_i32 s27, s27, 1
	s_cmp_eq_u32 s54, 2
	s_cbranch_scc1 .LBB407_26
; %bb.12:
	s_and_b32 s26, s27, 28
	s_add_u32 s2, s34, 0xc4
	s_addc_u32 s3, s35, 0
	s_mov_b32 s28, 0
	v_mov_b32_e32 v0, 0
	v_mov_b32_e32 v2, 0
	s_mov_b64 s[24:25], s[34:35]
	v_mov_b32_e32 v4, v24
.LBB407_13:                             ; =>This Inner Loop Header: Depth=1
	s_load_dwordx8 s[12:19], s[24:25], 0x4
	s_load_dwordx4 s[20:23], s[24:25], 0x24
	s_load_dwordx8 s[4:11], s[2:3], 0x0
	s_add_u32 s24, s24, 48
	s_addc_u32 s25, s25, 0
	s_waitcnt lgkmcnt(0)
	v_mul_hi_u32 v1, s13, v4
	v_add_u32_e32 v1, v4, v1
	v_lshrrev_b32_e32 v1, s14, v1
	v_mul_lo_u32 v3, v1, s12
	v_mul_hi_u32 v5, s16, v1
	v_sub_u32_e32 v3, v4, v3
	v_add_u32_e32 v4, v1, v5
	v_lshrrev_b32_e32 v4, s17, v4
	v_mul_lo_u32 v6, v4, s15
	v_mul_hi_u32 v7, s19, v4
	v_sub_u32_e32 v1, v1, v6
	v_add_u32_e32 v6, v4, v7
	v_mul_lo_u32 v5, v3, s5
	v_mul_lo_u32 v3, v3, s4
	;; [unrolled: 1-line block ×4, first 2 shown]
	v_lshrrev_b32_e32 v6, s20, v6
	v_add3_u32 v0, v3, v0, v1
	v_mul_hi_u32 v3, s22, v6
	v_add3_u32 v1, v5, v2, v7
	v_mul_lo_u32 v2, v6, s18
	v_add_u32_e32 v3, v6, v3
	v_sub_u32_e32 v2, v4, v2
	v_lshrrev_b32_e32 v4, s23, v3
	s_add_i32 s28, s28, 4
	v_mul_lo_u32 v3, v4, s21
	s_add_u32 s2, s2, 32
	v_sub_u32_e32 v3, v6, v3
	s_addc_u32 s3, s3, 0
	v_mul_lo_u32 v5, v2, s8
	v_mul_lo_u32 v2, v2, s9
	;; [unrolled: 1-line block ×4, first 2 shown]
	s_cmp_lg_u32 s26, s28
	v_add3_u32 v2, v2, v1, v3
	v_add3_u32 v0, v5, v0, v6
	s_cbranch_scc1 .LBB407_13
; %bb.14:
	v_mov_b32_e32 v1, v2
	s_and_b32 s6, s27, 3
	s_cmp_eq_u32 s6, 0
	s_cbranch_scc0 .LBB407_27
	s_branch .LBB407_29
.LBB407_15:
	s_or_b64 exec, exec, s[48:49]
	v_cmp_gt_i32_e32 vcc, s56, v24
	s_and_saveexec_b64 s[48:49], vcc
	s_cbranch_execz .LBB407_141
.LBB407_16:
	s_andn2_b64 vcc, exec, s[36:37]
	s_cbranch_vccnz .LBB407_24
; %bb.17:
	s_andn2_b64 vcc, exec, s[46:47]
	s_cbranch_vccnz .LBB407_132
; %bb.18:
	s_add_i32 s59, s57, 1
	s_cmp_eq_u32 s54, 2
	s_cbranch_scc1 .LBB407_150
; %bb.19:
	s_and_b32 s58, s59, 28
	s_mov_b32 s60, 0
	v_mov_b32_e32 v0, 0
	v_mov_b32_e32 v2, 0
	s_mov_b64 s[50:51], s[34:35]
	s_mov_b64 s[52:53], s[44:45]
	v_mov_b32_e32 v4, v24
.LBB407_20:                             ; =>This Inner Loop Header: Depth=1
	s_load_dwordx8 s[8:15], s[50:51], 0x4
	s_load_dwordx4 s[28:31], s[50:51], 0x24
	s_load_dwordx8 s[0:7], s[52:53], 0x0
	s_add_u32 s50, s50, 48
	s_addc_u32 s51, s51, 0
	s_waitcnt lgkmcnt(0)
	v_mul_hi_u32 v1, s9, v4
	v_add_u32_e32 v1, v4, v1
	v_lshrrev_b32_e32 v1, s10, v1
	v_mul_lo_u32 v3, v1, s8
	v_mul_hi_u32 v5, s12, v1
	v_sub_u32_e32 v3, v4, v3
	v_add_u32_e32 v4, v1, v5
	v_lshrrev_b32_e32 v4, s13, v4
	v_mul_lo_u32 v6, v4, s11
	v_mul_hi_u32 v7, s15, v4
	v_sub_u32_e32 v1, v1, v6
	v_add_u32_e32 v6, v4, v7
	v_mul_lo_u32 v5, v3, s1
	v_mul_lo_u32 v3, v3, s0
	;; [unrolled: 1-line block ×4, first 2 shown]
	v_lshrrev_b32_e32 v6, s28, v6
	v_add3_u32 v0, v3, v0, v1
	v_mul_hi_u32 v3, s30, v6
	v_add3_u32 v1, v5, v2, v7
	v_mul_lo_u32 v2, v6, s14
	v_add_u32_e32 v3, v6, v3
	v_sub_u32_e32 v2, v4, v2
	v_lshrrev_b32_e32 v4, s31, v3
	s_add_i32 s60, s60, 4
	v_mul_lo_u32 v3, v4, s29
	s_add_u32 s52, s52, 32
	v_sub_u32_e32 v3, v6, v3
	s_addc_u32 s53, s53, 0
	v_mul_lo_u32 v5, v2, s4
	v_mul_lo_u32 v2, v2, s5
	;; [unrolled: 1-line block ×4, first 2 shown]
	s_cmp_eq_u32 s58, s60
	v_add3_u32 v2, v2, v1, v3
	v_add3_u32 v0, v5, v0, v6
	s_cbranch_scc0 .LBB407_20
; %bb.21:
	v_mov_b32_e32 v1, v2
	s_branch .LBB407_151
.LBB407_22:
                                        ; implicit-def: $vgpr2
                                        ; implicit-def: $vgpr0
	s_branch .LBB407_30
.LBB407_23:
                                        ; implicit-def: $vgpr2
                                        ; implicit-def: $vgpr0
	s_branch .LBB407_138
.LBB407_24:
                                        ; implicit-def: $vgpr2
                                        ; implicit-def: $vgpr0
	s_branch .LBB407_155
.LBB407_25:
	v_mov_b32_e32 v2, 0
	v_mov_b32_e32 v0, 0
	s_branch .LBB407_29
.LBB407_26:
	v_mov_b32_e32 v0, 0
                                        ; implicit-def: $vgpr2
	v_mov_b32_e32 v1, v0
	v_mov_b32_e32 v4, v24
	s_and_b32 s6, s27, 3
	s_cmp_eq_u32 s6, 0
	s_cbranch_scc1 .LBB407_29
.LBB407_27:
	s_lshl_b32 s2, s26, 3
	s_add_u32 s2, s34, s2
	s_addc_u32 s3, s35, 0
	s_add_u32 s2, s2, 0xc4
	s_addc_u32 s3, s3, 0
	s_mul_i32 s4, s26, 12
	s_add_u32 s4, s34, s4
	s_addc_u32 s5, s35, 0
.LBB407_28:                             ; =>This Inner Loop Header: Depth=1
	s_load_dwordx2 s[8:9], s[4:5], 0x4
	s_load_dword s7, s[4:5], 0xc
	s_load_dwordx2 s[10:11], s[2:3], 0x0
	v_mov_b32_e32 v2, v1
	s_add_u32 s4, s4, 12
	s_waitcnt lgkmcnt(0)
	v_mul_hi_u32 v1, s9, v4
	v_add_u32_e32 v1, v4, v1
	v_lshrrev_b32_e32 v1, s7, v1
	s_addc_u32 s5, s5, 0
	v_mul_lo_u32 v3, v1, s8
	s_add_u32 s2, s2, 8
	v_sub_u32_e32 v5, v4, v3
	s_addc_u32 s3, s3, 0
	s_add_i32 s6, s6, -1
	v_mov_b32_e32 v4, v1
	v_mad_u64_u32 v[2:3], s[8:9], v5, s11, v[2:3]
	v_mad_u64_u32 v[0:1], s[8:9], v5, s10, v[0:1]
	s_cmp_lg_u32 s6, 0
	v_mov_b32_e32 v1, v2
	s_cbranch_scc1 .LBB407_28
.LBB407_29:
	s_cbranch_execnz .LBB407_32
.LBB407_30:
	s_load_dwordx4 s[4:7], s[34:35], 0x4
	s_load_dwordx2 s[2:3], s[34:35], 0xc4
	s_cmp_lt_u32 s33, 2
	s_waitcnt lgkmcnt(0)
	v_mul_hi_u32 v0, s5, v24
	v_add_u32_e32 v0, v24, v0
	v_lshrrev_b32_e32 v1, s6, v0
	v_mul_lo_u32 v0, v1, s4
	v_sub_u32_e32 v0, v24, v0
	v_mul_lo_u32 v2, v0, s3
	v_mul_lo_u32 v0, v0, s2
	s_cbranch_scc1 .LBB407_32
; %bb.31:
	s_load_dwordx4 s[4:7], s[34:35], 0x10
	s_load_dwordx2 s[2:3], s[34:35], 0xcc
	s_waitcnt lgkmcnt(0)
	v_mul_hi_u32 v3, s5, v1
	v_add_u32_e32 v3, v1, v3
	v_lshrrev_b32_e32 v3, s6, v3
	v_mul_lo_u32 v3, v3, s4
	v_sub_u32_e32 v3, v1, v3
	v_mad_u64_u32 v[0:1], s[4:5], v3, s2, v[0:1]
	v_mad_u64_u32 v[2:3], s[2:3], v3, s3, v[2:3]
.LBB407_32:
	s_and_b64 vcc, exec, s[0:1]
	v_add_u32_e32 v3, 0x80, v24
	s_cbranch_vccnz .LBB407_38
; %bb.33:
	s_cmp_lg_u32 s33, 0
	s_waitcnt lgkmcnt(0)
	s_mov_b32 s26, 0
	s_cbranch_scc0 .LBB407_39
; %bb.34:
	s_min_u32 s27, s54, 15
	s_add_i32 s27, s27, 1
	s_cmp_eq_u32 s54, 2
	s_cbranch_scc1 .LBB407_40
; %bb.35:
	s_and_b32 s26, s27, 28
	s_add_u32 s2, s34, 0xc4
	s_addc_u32 s3, s35, 0
	s_mov_b32 s28, 0
	v_mov_b32_e32 v4, 0
	v_mov_b32_e32 v6, 0
	s_mov_b64 s[24:25], s[34:35]
	v_mov_b32_e32 v8, v3
.LBB407_36:                             ; =>This Inner Loop Header: Depth=1
	s_load_dwordx8 s[12:19], s[24:25], 0x4
	s_load_dwordx4 s[20:23], s[24:25], 0x24
	s_load_dwordx8 s[4:11], s[2:3], 0x0
	s_add_u32 s24, s24, 48
	s_addc_u32 s25, s25, 0
	s_waitcnt lgkmcnt(0)
	v_mul_hi_u32 v1, s13, v8
	v_add_u32_e32 v1, v8, v1
	v_lshrrev_b32_e32 v1, s14, v1
	v_mul_hi_u32 v7, s16, v1
	v_add_u32_e32 v7, v1, v7
	v_lshrrev_b32_e32 v7, s17, v7
	v_mul_lo_u32 v5, v1, s12
	v_mul_lo_u32 v9, v7, s15
	v_mul_hi_u32 v10, s19, v7
	v_sub_u32_e32 v5, v8, v5
	v_sub_u32_e32 v1, v1, v9
	v_add_u32_e32 v9, v7, v10
	v_mul_lo_u32 v8, v5, s5
	v_mul_lo_u32 v5, v5, s4
	;; [unrolled: 1-line block ×4, first 2 shown]
	v_lshrrev_b32_e32 v9, s20, v9
	v_add3_u32 v1, v5, v4, v1
	v_add3_u32 v4, v8, v6, v10
	v_mul_hi_u32 v6, s22, v9
	v_add_u32_e32 v6, v9, v6
	v_lshrrev_b32_e32 v8, s23, v6
	s_add_i32 s28, s28, 4
	v_mul_lo_u32 v5, v9, s18
	v_mul_lo_u32 v6, v8, s21
	s_add_u32 s2, s2, 32
	v_sub_u32_e32 v5, v7, v5
	v_sub_u32_e32 v6, v9, v6
	s_addc_u32 s3, s3, 0
	v_mul_lo_u32 v7, v5, s8
	v_mul_lo_u32 v5, v5, s9
	;; [unrolled: 1-line block ×4, first 2 shown]
	s_cmp_lg_u32 s26, s28
	v_add3_u32 v6, v5, v4, v6
	v_add3_u32 v4, v7, v1, v9
	s_cbranch_scc1 .LBB407_36
; %bb.37:
	v_mov_b32_e32 v1, v6
	s_and_b32 s6, s27, 3
	s_cmp_eq_u32 s6, 0
	s_cbranch_scc0 .LBB407_41
	s_branch .LBB407_43
.LBB407_38:
                                        ; implicit-def: $vgpr6
                                        ; implicit-def: $vgpr4
	s_branch .LBB407_44
.LBB407_39:
	v_mov_b32_e32 v6, 0
	v_mov_b32_e32 v4, 0
	s_branch .LBB407_43
.LBB407_40:
	v_mov_b32_e32 v4, 0
                                        ; implicit-def: $vgpr6
	v_mov_b32_e32 v1, v4
	v_mov_b32_e32 v8, v3
	s_and_b32 s6, s27, 3
	s_cmp_eq_u32 s6, 0
	s_cbranch_scc1 .LBB407_43
.LBB407_41:
	s_lshl_b32 s2, s26, 3
	s_add_u32 s2, s34, s2
	s_addc_u32 s3, s35, 0
	s_add_u32 s2, s2, 0xc4
	s_addc_u32 s3, s3, 0
	s_mul_i32 s4, s26, 12
	s_add_u32 s4, s34, s4
	s_addc_u32 s5, s35, 0
.LBB407_42:                             ; =>This Inner Loop Header: Depth=1
	s_load_dwordx2 s[8:9], s[4:5], 0x4
	s_load_dword s7, s[4:5], 0xc
	s_load_dwordx2 s[10:11], s[2:3], 0x0
	v_mov_b32_e32 v6, v1
	s_add_u32 s4, s4, 12
	s_waitcnt lgkmcnt(0)
	v_mul_hi_u32 v1, s9, v8
	v_add_u32_e32 v1, v8, v1
	v_lshrrev_b32_e32 v1, s7, v1
	s_addc_u32 s5, s5, 0
	v_mul_lo_u32 v5, v1, s8
	s_add_u32 s2, s2, 8
	v_sub_u32_e32 v5, v8, v5
	s_addc_u32 s3, s3, 0
	s_add_i32 s6, s6, -1
	v_mad_u64_u32 v[6:7], s[8:9], v5, s11, v[6:7]
	s_cmp_lg_u32 s6, 0
	v_mov_b32_e32 v8, v1
	v_mad_u64_u32 v[4:5], s[8:9], v5, s10, v[4:5]
	v_mov_b32_e32 v1, v6
	s_cbranch_scc1 .LBB407_42
.LBB407_43:
	s_cbranch_execnz .LBB407_46
.LBB407_44:
	s_load_dwordx4 s[4:7], s[34:35], 0x4
	s_load_dwordx2 s[2:3], s[34:35], 0xc4
	s_cmp_lt_u32 s33, 2
	s_waitcnt lgkmcnt(0)
	v_mul_hi_u32 v1, s5, v3
	v_add_u32_e32 v1, v3, v1
	v_lshrrev_b32_e32 v1, s6, v1
	v_mul_lo_u32 v4, v1, s4
	v_sub_u32_e32 v3, v3, v4
	v_mul_lo_u32 v6, v3, s3
	v_mul_lo_u32 v4, v3, s2
	s_cbranch_scc1 .LBB407_46
; %bb.45:
	s_load_dwordx4 s[4:7], s[34:35], 0x10
	s_load_dwordx2 s[2:3], s[34:35], 0xcc
	s_waitcnt lgkmcnt(0)
	v_mul_hi_u32 v3, s5, v1
	v_add_u32_e32 v3, v1, v3
	v_lshrrev_b32_e32 v3, s6, v3
	v_mul_lo_u32 v3, v3, s4
	v_sub_u32_e32 v1, v1, v3
	v_mad_u64_u32 v[4:5], s[4:5], v1, s2, v[4:5]
	v_mad_u64_u32 v[6:7], s[2:3], v1, s3, v[6:7]
.LBB407_46:
	s_and_b64 vcc, exec, s[0:1]
	v_add_u32_e32 v3, 0x100, v24
	s_cbranch_vccnz .LBB407_52
; %bb.47:
	s_cmp_lg_u32 s33, 0
	s_waitcnt lgkmcnt(0)
	s_mov_b32 s26, 0
	s_cbranch_scc0 .LBB407_53
; %bb.48:
	s_min_u32 s27, s54, 15
	s_add_i32 s27, s27, 1
	s_cmp_eq_u32 s54, 2
	s_cbranch_scc1 .LBB407_54
; %bb.49:
	s_and_b32 s26, s27, 28
	s_add_u32 s2, s34, 0xc4
	s_addc_u32 s3, s35, 0
	s_mov_b32 s28, 0
	v_mov_b32_e32 v8, 0
	v_mov_b32_e32 v10, 0
	s_mov_b64 s[24:25], s[34:35]
	v_mov_b32_e32 v5, v3
.LBB407_50:                             ; =>This Inner Loop Header: Depth=1
	s_load_dwordx8 s[12:19], s[24:25], 0x4
	s_load_dwordx4 s[20:23], s[24:25], 0x24
	s_load_dwordx8 s[4:11], s[2:3], 0x0
	s_add_u32 s24, s24, 48
	s_addc_u32 s25, s25, 0
	s_waitcnt lgkmcnt(0)
	v_mul_hi_u32 v1, s13, v5
	v_add_u32_e32 v1, v5, v1
	v_lshrrev_b32_e32 v1, s14, v1
	v_mul_lo_u32 v7, v1, s12
	v_mul_hi_u32 v9, s16, v1
	v_sub_u32_e32 v5, v5, v7
	v_add_u32_e32 v7, v1, v9
	v_lshrrev_b32_e32 v7, s17, v7
	v_mul_lo_u32 v11, v7, s15
	v_mul_hi_u32 v12, s19, v7
	v_sub_u32_e32 v1, v1, v11
	v_add_u32_e32 v11, v7, v12
	v_mul_lo_u32 v9, v5, s5
	v_mul_lo_u32 v5, v5, s4
	;; [unrolled: 1-line block ×4, first 2 shown]
	v_lshrrev_b32_e32 v11, s20, v11
	v_add3_u32 v1, v5, v8, v1
	v_add3_u32 v8, v9, v10, v12
	v_mul_lo_u32 v5, v11, s18
	v_mul_hi_u32 v9, s22, v11
	v_sub_u32_e32 v5, v7, v5
	v_add_u32_e32 v7, v11, v9
	v_mul_lo_u32 v9, v5, s8
	v_mul_lo_u32 v10, v5, s9
	v_lshrrev_b32_e32 v5, s23, v7
	s_add_i32 s28, s28, 4
	v_mul_lo_u32 v7, v5, s21
	s_add_u32 s2, s2, 32
	v_sub_u32_e32 v7, v11, v7
	s_addc_u32 s3, s3, 0
	v_mul_lo_u32 v11, v7, s10
	v_mul_lo_u32 v7, v7, s11
	s_cmp_lg_u32 s26, s28
	v_add3_u32 v10, v10, v8, v7
	v_add3_u32 v8, v9, v1, v11
	s_cbranch_scc1 .LBB407_50
; %bb.51:
	v_mov_b32_e32 v1, v10
	s_and_b32 s6, s27, 3
	s_cmp_eq_u32 s6, 0
	s_cbranch_scc0 .LBB407_55
	s_branch .LBB407_57
.LBB407_52:
                                        ; implicit-def: $vgpr10
                                        ; implicit-def: $vgpr8
	s_branch .LBB407_58
.LBB407_53:
	v_mov_b32_e32 v10, 0
	v_mov_b32_e32 v8, 0
	s_branch .LBB407_57
.LBB407_54:
	v_mov_b32_e32 v8, 0
                                        ; implicit-def: $vgpr10
	v_mov_b32_e32 v1, v8
	v_mov_b32_e32 v5, v3
	s_and_b32 s6, s27, 3
	s_cmp_eq_u32 s6, 0
	s_cbranch_scc1 .LBB407_57
.LBB407_55:
	s_lshl_b32 s2, s26, 3
	s_add_u32 s2, s34, s2
	s_addc_u32 s3, s35, 0
	s_add_u32 s2, s2, 0xc4
	s_addc_u32 s3, s3, 0
	s_mul_i32 s4, s26, 12
	s_add_u32 s4, s34, s4
	s_addc_u32 s5, s35, 0
.LBB407_56:                             ; =>This Inner Loop Header: Depth=1
	s_load_dwordx2 s[8:9], s[4:5], 0x4
	s_load_dword s7, s[4:5], 0xc
	s_load_dwordx2 s[10:11], s[2:3], 0x0
	v_mov_b32_e32 v10, v1
	s_add_u32 s4, s4, 12
	s_waitcnt lgkmcnt(0)
	v_mul_hi_u32 v1, s9, v5
	v_add_u32_e32 v1, v5, v1
	v_lshrrev_b32_e32 v1, s7, v1
	s_addc_u32 s5, s5, 0
	v_mul_lo_u32 v7, v1, s8
	s_add_u32 s2, s2, 8
	v_sub_u32_e32 v7, v5, v7
	s_addc_u32 s3, s3, 0
	s_add_i32 s6, s6, -1
	v_mad_u64_u32 v[10:11], s[8:9], v7, s11, v[10:11]
	s_cmp_lg_u32 s6, 0
	v_mov_b32_e32 v5, v1
	v_mad_u64_u32 v[8:9], s[8:9], v7, s10, v[8:9]
	v_mov_b32_e32 v1, v10
	s_cbranch_scc1 .LBB407_56
.LBB407_57:
	s_cbranch_execnz .LBB407_60
.LBB407_58:
	s_load_dwordx4 s[4:7], s[34:35], 0x4
	s_load_dwordx2 s[2:3], s[34:35], 0xc4
	s_cmp_lt_u32 s33, 2
	s_waitcnt lgkmcnt(0)
	v_mul_hi_u32 v1, s5, v3
	v_add_u32_e32 v1, v3, v1
	v_lshrrev_b32_e32 v1, s6, v1
	v_mul_lo_u32 v5, v1, s4
	v_sub_u32_e32 v3, v3, v5
	v_mul_lo_u32 v10, v3, s3
	v_mul_lo_u32 v8, v3, s2
	s_cbranch_scc1 .LBB407_60
; %bb.59:
	s_load_dwordx4 s[4:7], s[34:35], 0x10
	s_load_dwordx2 s[2:3], s[34:35], 0xcc
	s_waitcnt lgkmcnt(0)
	v_mul_hi_u32 v3, s5, v1
	v_add_u32_e32 v3, v1, v3
	v_lshrrev_b32_e32 v3, s6, v3
	v_mul_lo_u32 v3, v3, s4
	v_sub_u32_e32 v1, v1, v3
	v_mad_u64_u32 v[8:9], s[4:5], v1, s2, v[8:9]
	v_mad_u64_u32 v[10:11], s[2:3], v1, s3, v[10:11]
.LBB407_60:
	s_and_b64 vcc, exec, s[0:1]
	v_add_u32_e32 v3, 0x180, v24
	s_cbranch_vccnz .LBB407_66
; %bb.61:
	s_cmp_lg_u32 s33, 0
	s_waitcnt lgkmcnt(0)
	s_mov_b32 s26, 0
	s_cbranch_scc0 .LBB407_67
; %bb.62:
	s_min_u32 s27, s54, 15
	s_add_i32 s27, s27, 1
	s_cmp_eq_u32 s54, 2
	s_cbranch_scc1 .LBB407_68
; %bb.63:
	s_and_b32 s26, s27, 28
	s_add_u32 s2, s34, 0xc4
	s_addc_u32 s3, s35, 0
	s_mov_b32 s28, 0
	v_mov_b32_e32 v12, 0
	v_mov_b32_e32 v14, 0
	s_mov_b64 s[24:25], s[34:35]
	v_mov_b32_e32 v5, v3
.LBB407_64:                             ; =>This Inner Loop Header: Depth=1
	s_load_dwordx8 s[12:19], s[24:25], 0x4
	s_load_dwordx4 s[20:23], s[24:25], 0x24
	s_load_dwordx8 s[4:11], s[2:3], 0x0
	s_add_u32 s24, s24, 48
	s_addc_u32 s25, s25, 0
	s_waitcnt lgkmcnt(0)
	v_mul_hi_u32 v1, s13, v5
	v_add_u32_e32 v1, v5, v1
	v_lshrrev_b32_e32 v1, s14, v1
	v_mul_lo_u32 v7, v1, s12
	v_mul_hi_u32 v9, s16, v1
	v_sub_u32_e32 v5, v5, v7
	v_add_u32_e32 v7, v1, v9
	v_lshrrev_b32_e32 v7, s17, v7
	v_mul_lo_u32 v11, v7, s15
	v_mul_hi_u32 v13, s19, v7
	v_sub_u32_e32 v1, v1, v11
	v_add_u32_e32 v11, v7, v13
	v_mul_lo_u32 v9, v5, s5
	v_mul_lo_u32 v5, v5, s4
	;; [unrolled: 1-line block ×4, first 2 shown]
	v_lshrrev_b32_e32 v11, s20, v11
	v_add3_u32 v1, v5, v12, v1
	v_mul_lo_u32 v5, v11, s18
	v_mul_hi_u32 v12, s22, v11
	v_sub_u32_e32 v5, v7, v5
	v_add_u32_e32 v7, v11, v12
	v_add3_u32 v9, v9, v14, v13
	v_mul_lo_u32 v12, v5, s8
	v_mul_lo_u32 v13, v5, s9
	v_lshrrev_b32_e32 v5, s23, v7
	s_add_i32 s28, s28, 4
	v_mul_lo_u32 v7, v5, s21
	s_add_u32 s2, s2, 32
	v_sub_u32_e32 v7, v11, v7
	s_addc_u32 s3, s3, 0
	v_mul_lo_u32 v11, v7, s10
	v_mul_lo_u32 v7, v7, s11
	s_cmp_lg_u32 s26, s28
	v_add3_u32 v14, v13, v9, v7
	v_add3_u32 v12, v12, v1, v11
	s_cbranch_scc1 .LBB407_64
; %bb.65:
	v_mov_b32_e32 v1, v14
	s_and_b32 s6, s27, 3
	s_cmp_eq_u32 s6, 0
	s_cbranch_scc0 .LBB407_69
	s_branch .LBB407_71
.LBB407_66:
                                        ; implicit-def: $vgpr14
                                        ; implicit-def: $vgpr12
	s_branch .LBB407_72
.LBB407_67:
	v_mov_b32_e32 v14, 0
	v_mov_b32_e32 v12, 0
	s_branch .LBB407_71
.LBB407_68:
	v_mov_b32_e32 v12, 0
                                        ; implicit-def: $vgpr14
	v_mov_b32_e32 v1, v12
	v_mov_b32_e32 v5, v3
	s_and_b32 s6, s27, 3
	s_cmp_eq_u32 s6, 0
	s_cbranch_scc1 .LBB407_71
.LBB407_69:
	s_lshl_b32 s2, s26, 3
	s_add_u32 s2, s34, s2
	s_addc_u32 s3, s35, 0
	s_add_u32 s2, s2, 0xc4
	s_addc_u32 s3, s3, 0
	s_mul_i32 s4, s26, 12
	s_add_u32 s4, s34, s4
	s_addc_u32 s5, s35, 0
.LBB407_70:                             ; =>This Inner Loop Header: Depth=1
	s_load_dwordx2 s[8:9], s[4:5], 0x4
	s_load_dword s7, s[4:5], 0xc
	s_load_dwordx2 s[10:11], s[2:3], 0x0
	v_mov_b32_e32 v14, v1
	s_add_u32 s4, s4, 12
	s_waitcnt lgkmcnt(0)
	v_mul_hi_u32 v1, s9, v5
	v_add_u32_e32 v1, v5, v1
	v_lshrrev_b32_e32 v1, s7, v1
	s_addc_u32 s5, s5, 0
	v_mul_lo_u32 v7, v1, s8
	s_add_u32 s2, s2, 8
	v_sub_u32_e32 v7, v5, v7
	s_addc_u32 s3, s3, 0
	s_add_i32 s6, s6, -1
	v_mad_u64_u32 v[14:15], s[8:9], v7, s11, v[14:15]
	s_cmp_lg_u32 s6, 0
	v_mov_b32_e32 v5, v1
	v_mad_u64_u32 v[12:13], s[8:9], v7, s10, v[12:13]
	v_mov_b32_e32 v1, v14
	s_cbranch_scc1 .LBB407_70
.LBB407_71:
	s_cbranch_execnz .LBB407_74
.LBB407_72:
	s_load_dwordx4 s[4:7], s[34:35], 0x4
	s_load_dwordx2 s[2:3], s[34:35], 0xc4
	s_cmp_lt_u32 s33, 2
	s_waitcnt lgkmcnt(0)
	v_mul_hi_u32 v1, s5, v3
	v_add_u32_e32 v1, v3, v1
	v_lshrrev_b32_e32 v1, s6, v1
	v_mul_lo_u32 v5, v1, s4
	v_sub_u32_e32 v3, v3, v5
	v_mul_lo_u32 v14, v3, s3
	v_mul_lo_u32 v12, v3, s2
	s_cbranch_scc1 .LBB407_74
; %bb.73:
	s_load_dwordx4 s[4:7], s[34:35], 0x10
	s_load_dwordx2 s[2:3], s[34:35], 0xcc
	s_waitcnt lgkmcnt(0)
	v_mul_hi_u32 v3, s5, v1
	v_add_u32_e32 v3, v1, v3
	v_lshrrev_b32_e32 v3, s6, v3
	v_mul_lo_u32 v3, v3, s4
	v_sub_u32_e32 v1, v1, v3
	v_mad_u64_u32 v[12:13], s[4:5], v1, s2, v[12:13]
	v_mad_u64_u32 v[14:15], s[2:3], v1, s3, v[14:15]
.LBB407_74:
	s_and_b64 vcc, exec, s[0:1]
	v_add_u32_e32 v3, 0x200, v24
	s_cbranch_vccnz .LBB407_80
; %bb.75:
	s_cmp_lg_u32 s33, 0
	s_waitcnt lgkmcnt(0)
	s_mov_b32 s26, 0
	s_cbranch_scc0 .LBB407_81
; %bb.76:
	s_min_u32 s27, s54, 15
	s_add_i32 s27, s27, 1
	s_cmp_eq_u32 s54, 2
	s_cbranch_scc1 .LBB407_82
; %bb.77:
	s_and_b32 s26, s27, 28
	s_add_u32 s2, s34, 0xc4
	s_addc_u32 s3, s35, 0
	s_mov_b32 s28, 0
	v_mov_b32_e32 v16, 0
	v_mov_b32_e32 v18, 0
	s_mov_b64 s[24:25], s[34:35]
	v_mov_b32_e32 v5, v3
.LBB407_78:                             ; =>This Inner Loop Header: Depth=1
	s_load_dwordx8 s[12:19], s[24:25], 0x4
	s_load_dwordx4 s[20:23], s[24:25], 0x24
	s_load_dwordx8 s[4:11], s[2:3], 0x0
	s_add_u32 s24, s24, 48
	s_addc_u32 s25, s25, 0
	s_waitcnt lgkmcnt(0)
	v_mul_hi_u32 v1, s13, v5
	v_add_u32_e32 v1, v5, v1
	v_lshrrev_b32_e32 v1, s14, v1
	v_mul_lo_u32 v7, v1, s12
	v_mul_hi_u32 v9, s16, v1
	v_sub_u32_e32 v5, v5, v7
	v_add_u32_e32 v7, v1, v9
	v_lshrrev_b32_e32 v7, s17, v7
	v_mul_lo_u32 v11, v7, s15
	v_mul_hi_u32 v13, s19, v7
	v_sub_u32_e32 v1, v1, v11
	v_add_u32_e32 v11, v7, v13
	v_mul_lo_u32 v9, v5, s5
	v_mul_lo_u32 v5, v5, s4
	;; [unrolled: 1-line block ×4, first 2 shown]
	v_lshrrev_b32_e32 v11, s20, v11
	v_add3_u32 v1, v5, v16, v1
	v_add3_u32 v9, v9, v18, v13
	v_mul_lo_u32 v5, v11, s18
	v_mul_hi_u32 v13, s22, v11
	v_sub_u32_e32 v5, v7, v5
	v_add_u32_e32 v7, v11, v13
	v_mul_lo_u32 v13, v5, s8
	v_mul_lo_u32 v15, v5, s9
	v_lshrrev_b32_e32 v5, s23, v7
	s_add_i32 s28, s28, 4
	v_mul_lo_u32 v7, v5, s21
	s_add_u32 s2, s2, 32
	v_sub_u32_e32 v7, v11, v7
	s_addc_u32 s3, s3, 0
	v_mul_lo_u32 v11, v7, s10
	v_mul_lo_u32 v7, v7, s11
	s_cmp_lg_u32 s26, s28
	v_add3_u32 v18, v15, v9, v7
	v_add3_u32 v16, v13, v1, v11
	s_cbranch_scc1 .LBB407_78
; %bb.79:
	v_mov_b32_e32 v1, v18
	s_and_b32 s6, s27, 3
	s_cmp_eq_u32 s6, 0
	s_cbranch_scc0 .LBB407_83
	s_branch .LBB407_85
.LBB407_80:
                                        ; implicit-def: $vgpr18
                                        ; implicit-def: $vgpr16
	s_branch .LBB407_86
.LBB407_81:
	v_mov_b32_e32 v18, 0
	v_mov_b32_e32 v16, 0
	s_branch .LBB407_85
.LBB407_82:
	v_mov_b32_e32 v16, 0
                                        ; implicit-def: $vgpr18
	v_mov_b32_e32 v1, v16
	v_mov_b32_e32 v5, v3
	s_and_b32 s6, s27, 3
	s_cmp_eq_u32 s6, 0
	s_cbranch_scc1 .LBB407_85
.LBB407_83:
	s_lshl_b32 s2, s26, 3
	s_add_u32 s2, s34, s2
	s_addc_u32 s3, s35, 0
	s_add_u32 s2, s2, 0xc4
	s_addc_u32 s3, s3, 0
	s_mul_i32 s4, s26, 12
	s_add_u32 s4, s34, s4
	s_addc_u32 s5, s35, 0
.LBB407_84:                             ; =>This Inner Loop Header: Depth=1
	s_load_dwordx2 s[8:9], s[4:5], 0x4
	s_load_dword s7, s[4:5], 0xc
	s_load_dwordx2 s[10:11], s[2:3], 0x0
	v_mov_b32_e32 v18, v1
	s_add_u32 s4, s4, 12
	s_waitcnt lgkmcnt(0)
	v_mul_hi_u32 v1, s9, v5
	v_add_u32_e32 v1, v5, v1
	v_lshrrev_b32_e32 v1, s7, v1
	s_addc_u32 s5, s5, 0
	v_mul_lo_u32 v7, v1, s8
	s_add_u32 s2, s2, 8
	v_sub_u32_e32 v7, v5, v7
	s_addc_u32 s3, s3, 0
	s_add_i32 s6, s6, -1
	v_mad_u64_u32 v[18:19], s[8:9], v7, s11, v[18:19]
	s_cmp_lg_u32 s6, 0
	v_mov_b32_e32 v5, v1
	v_mad_u64_u32 v[16:17], s[8:9], v7, s10, v[16:17]
	v_mov_b32_e32 v1, v18
	s_cbranch_scc1 .LBB407_84
.LBB407_85:
	s_cbranch_execnz .LBB407_88
.LBB407_86:
	s_load_dwordx4 s[4:7], s[34:35], 0x4
	s_load_dwordx2 s[2:3], s[34:35], 0xc4
	s_cmp_lt_u32 s33, 2
	s_waitcnt lgkmcnt(0)
	v_mul_hi_u32 v1, s5, v3
	v_add_u32_e32 v1, v3, v1
	v_lshrrev_b32_e32 v1, s6, v1
	v_mul_lo_u32 v5, v1, s4
	v_sub_u32_e32 v3, v3, v5
	v_mul_lo_u32 v18, v3, s3
	v_mul_lo_u32 v16, v3, s2
	s_cbranch_scc1 .LBB407_88
; %bb.87:
	s_load_dwordx4 s[4:7], s[34:35], 0x10
	s_load_dwordx2 s[2:3], s[34:35], 0xcc
	s_waitcnt lgkmcnt(0)
	v_mul_hi_u32 v3, s5, v1
	v_add_u32_e32 v3, v1, v3
	v_lshrrev_b32_e32 v3, s6, v3
	v_mul_lo_u32 v3, v3, s4
	v_sub_u32_e32 v1, v1, v3
	v_mad_u64_u32 v[16:17], s[4:5], v1, s2, v[16:17]
	v_mad_u64_u32 v[18:19], s[2:3], v1, s3, v[18:19]
.LBB407_88:
	s_and_b64 vcc, exec, s[0:1]
	v_add_u32_e32 v3, 0x280, v24
	s_cbranch_vccnz .LBB407_94
; %bb.89:
	s_cmp_lg_u32 s33, 0
	s_waitcnt lgkmcnt(0)
	s_mov_b32 s26, 0
	s_cbranch_scc0 .LBB407_95
; %bb.90:
	s_min_u32 s27, s54, 15
	s_add_i32 s27, s27, 1
	s_cmp_eq_u32 s54, 2
	s_cbranch_scc1 .LBB407_96
; %bb.91:
	s_and_b32 s26, s27, 28
	s_add_u32 s2, s34, 0xc4
	s_addc_u32 s3, s35, 0
	s_mov_b32 s28, 0
	v_mov_b32_e32 v20, 0
	v_mov_b32_e32 v22, 0
	s_mov_b64 s[24:25], s[34:35]
	v_mov_b32_e32 v5, v3
.LBB407_92:                             ; =>This Inner Loop Header: Depth=1
	s_load_dwordx8 s[12:19], s[24:25], 0x4
	s_load_dwordx4 s[20:23], s[24:25], 0x24
	s_load_dwordx8 s[4:11], s[2:3], 0x0
	s_add_u32 s24, s24, 48
	s_addc_u32 s25, s25, 0
	s_waitcnt lgkmcnt(0)
	v_mul_hi_u32 v1, s13, v5
	v_add_u32_e32 v1, v5, v1
	v_lshrrev_b32_e32 v1, s14, v1
	v_mul_lo_u32 v7, v1, s12
	v_mul_hi_u32 v9, s16, v1
	v_sub_u32_e32 v5, v5, v7
	v_add_u32_e32 v7, v1, v9
	v_lshrrev_b32_e32 v7, s17, v7
	v_mul_lo_u32 v11, v7, s15
	v_mul_hi_u32 v13, s19, v7
	v_sub_u32_e32 v1, v1, v11
	v_add_u32_e32 v11, v7, v13
	v_mul_lo_u32 v9, v5, s5
	v_mul_lo_u32 v5, v5, s4
	;; [unrolled: 1-line block ×4, first 2 shown]
	v_lshrrev_b32_e32 v11, s20, v11
	v_add3_u32 v1, v5, v20, v1
	v_add3_u32 v9, v9, v22, v13
	v_mul_lo_u32 v5, v11, s18
	v_mul_hi_u32 v13, s22, v11
	v_sub_u32_e32 v5, v7, v5
	v_add_u32_e32 v7, v11, v13
	v_mul_lo_u32 v13, v5, s8
	v_mul_lo_u32 v15, v5, s9
	v_lshrrev_b32_e32 v5, s23, v7
	s_add_i32 s28, s28, 4
	v_mul_lo_u32 v7, v5, s21
	s_add_u32 s2, s2, 32
	v_sub_u32_e32 v7, v11, v7
	s_addc_u32 s3, s3, 0
	v_mul_lo_u32 v11, v7, s10
	v_mul_lo_u32 v7, v7, s11
	s_cmp_lg_u32 s26, s28
	v_add3_u32 v22, v15, v9, v7
	v_add3_u32 v20, v13, v1, v11
	s_cbranch_scc1 .LBB407_92
; %bb.93:
	v_mov_b32_e32 v1, v22
	s_and_b32 s6, s27, 3
	s_cmp_eq_u32 s6, 0
	s_cbranch_scc0 .LBB407_97
	s_branch .LBB407_99
.LBB407_94:
                                        ; implicit-def: $vgpr22
                                        ; implicit-def: $vgpr20
	s_branch .LBB407_100
.LBB407_95:
	v_mov_b32_e32 v22, 0
	v_mov_b32_e32 v20, 0
	s_branch .LBB407_99
.LBB407_96:
	v_mov_b32_e32 v20, 0
                                        ; implicit-def: $vgpr22
	v_mov_b32_e32 v1, v20
	v_mov_b32_e32 v5, v3
	s_and_b32 s6, s27, 3
	s_cmp_eq_u32 s6, 0
	s_cbranch_scc1 .LBB407_99
.LBB407_97:
	s_lshl_b32 s2, s26, 3
	s_add_u32 s2, s34, s2
	s_addc_u32 s3, s35, 0
	s_add_u32 s2, s2, 0xc4
	s_addc_u32 s3, s3, 0
	s_mul_i32 s4, s26, 12
	s_add_u32 s4, s34, s4
	s_addc_u32 s5, s35, 0
.LBB407_98:                             ; =>This Inner Loop Header: Depth=1
	s_load_dwordx2 s[8:9], s[4:5], 0x4
	s_load_dword s7, s[4:5], 0xc
	s_load_dwordx2 s[10:11], s[2:3], 0x0
	v_mov_b32_e32 v22, v1
	s_add_u32 s4, s4, 12
	s_waitcnt lgkmcnt(0)
	v_mul_hi_u32 v1, s9, v5
	v_add_u32_e32 v1, v5, v1
	v_lshrrev_b32_e32 v1, s7, v1
	s_addc_u32 s5, s5, 0
	v_mul_lo_u32 v7, v1, s8
	s_add_u32 s2, s2, 8
	v_sub_u32_e32 v7, v5, v7
	s_addc_u32 s3, s3, 0
	s_add_i32 s6, s6, -1
	v_mad_u64_u32 v[22:23], s[8:9], v7, s11, v[22:23]
	s_cmp_lg_u32 s6, 0
	v_mov_b32_e32 v5, v1
	v_mad_u64_u32 v[20:21], s[8:9], v7, s10, v[20:21]
	v_mov_b32_e32 v1, v22
	s_cbranch_scc1 .LBB407_98
.LBB407_99:
	s_cbranch_execnz .LBB407_102
.LBB407_100:
	s_load_dwordx4 s[4:7], s[34:35], 0x4
	s_load_dwordx2 s[2:3], s[34:35], 0xc4
	s_cmp_lt_u32 s33, 2
	s_waitcnt lgkmcnt(0)
	v_mul_hi_u32 v1, s5, v3
	v_add_u32_e32 v1, v3, v1
	v_lshrrev_b32_e32 v1, s6, v1
	v_mul_lo_u32 v5, v1, s4
	v_sub_u32_e32 v3, v3, v5
	v_mul_lo_u32 v22, v3, s3
	v_mul_lo_u32 v20, v3, s2
	s_cbranch_scc1 .LBB407_102
; %bb.101:
	s_load_dwordx4 s[4:7], s[34:35], 0x10
	s_load_dwordx2 s[2:3], s[34:35], 0xcc
	s_waitcnt lgkmcnt(0)
	v_mul_hi_u32 v3, s5, v1
	v_add_u32_e32 v3, v1, v3
	v_lshrrev_b32_e32 v3, s6, v3
	v_mul_lo_u32 v3, v3, s4
	v_sub_u32_e32 v1, v1, v3
	v_mad_u64_u32 v[20:21], s[4:5], v1, s2, v[20:21]
	v_mad_u64_u32 v[22:23], s[2:3], v1, s3, v[22:23]
.LBB407_102:
	s_and_b64 vcc, exec, s[0:1]
	v_add_u32_e32 v3, 0x300, v24
	s_cbranch_vccnz .LBB407_108
; %bb.103:
	s_cmp_lg_u32 s33, 0
	s_waitcnt lgkmcnt(0)
	s_mov_b32 s26, 0
	s_cbranch_scc0 .LBB407_109
; %bb.104:
	s_min_u32 s27, s54, 15
	s_add_i32 s27, s27, 1
	s_cmp_eq_u32 s54, 2
	s_cbranch_scc1 .LBB407_110
; %bb.105:
	s_and_b32 s26, s27, 28
	s_add_u32 s2, s34, 0xc4
	s_addc_u32 s3, s35, 0
	s_mov_b32 s28, 0
	v_mov_b32_e32 v24, 0
	v_mov_b32_e32 v26, 0
	s_mov_b64 s[24:25], s[34:35]
	v_mov_b32_e32 v5, v3
.LBB407_106:                            ; =>This Inner Loop Header: Depth=1
	s_load_dwordx8 s[12:19], s[24:25], 0x4
	s_load_dwordx4 s[20:23], s[24:25], 0x24
	s_load_dwordx8 s[4:11], s[2:3], 0x0
	s_add_u32 s24, s24, 48
	s_addc_u32 s25, s25, 0
	s_waitcnt lgkmcnt(0)
	v_mul_hi_u32 v1, s13, v5
	v_add_u32_e32 v1, v5, v1
	v_lshrrev_b32_e32 v1, s14, v1
	v_mul_lo_u32 v7, v1, s12
	v_mul_hi_u32 v9, s16, v1
	v_sub_u32_e32 v5, v5, v7
	v_add_u32_e32 v7, v1, v9
	v_lshrrev_b32_e32 v7, s17, v7
	v_mul_lo_u32 v11, v7, s15
	v_mul_hi_u32 v13, s19, v7
	v_sub_u32_e32 v1, v1, v11
	v_add_u32_e32 v11, v7, v13
	v_mul_lo_u32 v9, v5, s5
	v_mul_lo_u32 v5, v5, s4
	;; [unrolled: 1-line block ×4, first 2 shown]
	v_lshrrev_b32_e32 v11, s20, v11
	v_add3_u32 v1, v5, v24, v1
	v_add3_u32 v9, v9, v26, v13
	v_mul_lo_u32 v5, v11, s18
	v_mul_hi_u32 v13, s22, v11
	v_sub_u32_e32 v5, v7, v5
	v_add_u32_e32 v7, v11, v13
	v_mul_lo_u32 v13, v5, s8
	v_mul_lo_u32 v15, v5, s9
	v_lshrrev_b32_e32 v5, s23, v7
	s_add_i32 s28, s28, 4
	v_mul_lo_u32 v7, v5, s21
	s_add_u32 s2, s2, 32
	v_sub_u32_e32 v7, v11, v7
	s_addc_u32 s3, s3, 0
	v_mul_lo_u32 v11, v7, s10
	v_mul_lo_u32 v7, v7, s11
	s_cmp_lg_u32 s26, s28
	v_add3_u32 v26, v15, v9, v7
	v_add3_u32 v24, v13, v1, v11
	s_cbranch_scc1 .LBB407_106
; %bb.107:
	v_mov_b32_e32 v1, v26
	s_and_b32 s6, s27, 3
	s_cmp_eq_u32 s6, 0
	s_cbranch_scc0 .LBB407_111
	s_branch .LBB407_113
.LBB407_108:
                                        ; implicit-def: $vgpr26
                                        ; implicit-def: $vgpr24
	s_branch .LBB407_114
.LBB407_109:
	v_mov_b32_e32 v26, 0
	v_mov_b32_e32 v24, 0
	s_branch .LBB407_113
.LBB407_110:
	v_mov_b32_e32 v24, 0
                                        ; implicit-def: $vgpr26
	v_mov_b32_e32 v1, v24
	v_mov_b32_e32 v5, v3
	s_and_b32 s6, s27, 3
	s_cmp_eq_u32 s6, 0
	s_cbranch_scc1 .LBB407_113
.LBB407_111:
	s_lshl_b32 s2, s26, 3
	s_add_u32 s2, s34, s2
	s_addc_u32 s3, s35, 0
	s_add_u32 s2, s2, 0xc4
	s_addc_u32 s3, s3, 0
	s_mul_i32 s4, s26, 12
	s_add_u32 s4, s34, s4
	s_addc_u32 s5, s35, 0
.LBB407_112:                            ; =>This Inner Loop Header: Depth=1
	s_load_dwordx2 s[8:9], s[4:5], 0x4
	s_load_dword s7, s[4:5], 0xc
	s_load_dwordx2 s[10:11], s[2:3], 0x0
	v_mov_b32_e32 v26, v1
	s_add_u32 s4, s4, 12
	s_waitcnt lgkmcnt(0)
	v_mul_hi_u32 v1, s9, v5
	v_add_u32_e32 v1, v5, v1
	v_lshrrev_b32_e32 v1, s7, v1
	s_addc_u32 s5, s5, 0
	v_mul_lo_u32 v7, v1, s8
	s_add_u32 s2, s2, 8
	v_sub_u32_e32 v7, v5, v7
	s_addc_u32 s3, s3, 0
	s_add_i32 s6, s6, -1
	v_mad_u64_u32 v[26:27], s[8:9], v7, s11, v[26:27]
	s_cmp_lg_u32 s6, 0
	v_mov_b32_e32 v5, v1
	v_mad_u64_u32 v[24:25], s[8:9], v7, s10, v[24:25]
	v_mov_b32_e32 v1, v26
	s_cbranch_scc1 .LBB407_112
.LBB407_113:
	s_cbranch_execnz .LBB407_116
.LBB407_114:
	s_load_dwordx4 s[4:7], s[34:35], 0x4
	s_load_dwordx2 s[2:3], s[34:35], 0xc4
	s_cmp_lt_u32 s33, 2
	s_waitcnt lgkmcnt(0)
	v_mul_hi_u32 v1, s5, v3
	v_add_u32_e32 v1, v3, v1
	v_lshrrev_b32_e32 v1, s6, v1
	v_mul_lo_u32 v5, v1, s4
	v_sub_u32_e32 v3, v3, v5
	v_mul_lo_u32 v26, v3, s3
	v_mul_lo_u32 v24, v3, s2
	s_cbranch_scc1 .LBB407_116
; %bb.115:
	s_load_dwordx4 s[4:7], s[34:35], 0x10
	s_load_dwordx2 s[2:3], s[34:35], 0xcc
	s_waitcnt lgkmcnt(0)
	v_mul_hi_u32 v3, s5, v1
	v_add_u32_e32 v3, v1, v3
	v_lshrrev_b32_e32 v3, s6, v3
	v_mul_lo_u32 v3, v3, s4
	v_sub_u32_e32 v1, v1, v3
	v_mad_u64_u32 v[24:25], s[4:5], v1, s2, v[24:25]
	v_mad_u64_u32 v[26:27], s[2:3], v1, s3, v[26:27]
.LBB407_116:
	s_and_b64 vcc, exec, s[0:1]
	s_cbranch_vccnz .LBB407_122
; %bb.117:
	s_cmp_lg_u32 s33, 0
	s_waitcnt lgkmcnt(0)
	s_mov_b32 s24, 0
	s_cbranch_scc0 .LBB407_123
; %bb.118:
	s_min_u32 s25, s54, 15
	s_add_i32 s25, s25, 1
	s_cmp_eq_u32 s54, 2
	s_cbranch_scc1 .LBB407_124
; %bb.119:
	s_and_b32 s24, s25, 28
	s_add_u32 s20, s34, 0xc4
	s_addc_u32 s21, s35, 0
	s_mov_b32 s26, 0
	v_mov_b32_e32 v28, 0
	v_mov_b32_e32 v30, 0
	s_mov_b64 s[22:23], s[34:35]
	v_mov_b32_e32 v3, v32
.LBB407_120:                            ; =>This Inner Loop Header: Depth=1
	s_load_dwordx8 s[8:15], s[22:23], 0x4
	s_load_dwordx4 s[16:19], s[22:23], 0x24
	s_load_dwordx8 s[0:7], s[20:21], 0x0
	s_add_u32 s22, s22, 48
	s_addc_u32 s23, s23, 0
	s_waitcnt lgkmcnt(0)
	v_mul_hi_u32 v1, s9, v3
	v_add_u32_e32 v1, v3, v1
	v_lshrrev_b32_e32 v1, s10, v1
	v_mul_lo_u32 v5, v1, s8
	v_mul_hi_u32 v7, s12, v1
	v_sub_u32_e32 v3, v3, v5
	v_add_u32_e32 v5, v1, v7
	v_lshrrev_b32_e32 v5, s13, v5
	v_mul_lo_u32 v9, v5, s11
	v_mul_hi_u32 v11, s15, v5
	v_sub_u32_e32 v1, v1, v9
	v_add_u32_e32 v9, v5, v11
	v_mul_lo_u32 v7, v3, s1
	v_mul_lo_u32 v3, v3, s0
	;; [unrolled: 1-line block ×4, first 2 shown]
	v_lshrrev_b32_e32 v9, s16, v9
	v_add3_u32 v1, v3, v28, v1
	v_add3_u32 v7, v7, v30, v11
	v_mul_lo_u32 v3, v9, s14
	v_mul_hi_u32 v11, s18, v9
	v_sub_u32_e32 v3, v5, v3
	v_add_u32_e32 v5, v9, v11
	v_mul_lo_u32 v11, v3, s4
	v_mul_lo_u32 v13, v3, s5
	v_lshrrev_b32_e32 v3, s19, v5
	s_add_i32 s26, s26, 4
	v_mul_lo_u32 v5, v3, s17
	s_add_u32 s20, s20, 32
	v_sub_u32_e32 v5, v9, v5
	s_addc_u32 s21, s21, 0
	v_mul_lo_u32 v9, v5, s6
	v_mul_lo_u32 v5, v5, s7
	s_cmp_lg_u32 s24, s26
	v_add3_u32 v30, v13, v7, v5
	v_add3_u32 v28, v11, v1, v9
	s_cbranch_scc1 .LBB407_120
; %bb.121:
	v_mov_b32_e32 v1, v30
	s_and_b32 s4, s25, 3
	s_cmp_eq_u32 s4, 0
	s_cbranch_scc0 .LBB407_125
	s_branch .LBB407_127
.LBB407_122:
                                        ; implicit-def: $vgpr30
                                        ; implicit-def: $vgpr28
	s_branch .LBB407_128
.LBB407_123:
	v_mov_b32_e32 v30, 0
	v_mov_b32_e32 v28, 0
	s_branch .LBB407_127
.LBB407_124:
	v_mov_b32_e32 v28, 0
                                        ; implicit-def: $vgpr30
	v_mov_b32_e32 v1, v28
	v_mov_b32_e32 v3, v32
	s_and_b32 s4, s25, 3
	s_cmp_eq_u32 s4, 0
	s_cbranch_scc1 .LBB407_127
.LBB407_125:
	s_lshl_b32 s0, s24, 3
	s_add_u32 s0, s34, s0
	s_addc_u32 s1, s35, 0
	s_add_u32 s0, s0, 0xc4
	s_addc_u32 s1, s1, 0
	s_mul_i32 s2, s24, 12
	s_add_u32 s2, s34, s2
	s_addc_u32 s3, s35, 0
.LBB407_126:                            ; =>This Inner Loop Header: Depth=1
	s_load_dwordx2 s[6:7], s[2:3], 0x4
	s_load_dword s5, s[2:3], 0xc
	s_load_dwordx2 s[8:9], s[0:1], 0x0
	v_mov_b32_e32 v30, v1
	s_add_u32 s2, s2, 12
	s_waitcnt lgkmcnt(0)
	v_mul_hi_u32 v1, s7, v3
	v_add_u32_e32 v1, v3, v1
	v_lshrrev_b32_e32 v1, s5, v1
	s_addc_u32 s3, s3, 0
	v_mul_lo_u32 v5, v1, s6
	s_add_u32 s0, s0, 8
	v_sub_u32_e32 v5, v3, v5
	s_addc_u32 s1, s1, 0
	s_add_i32 s4, s4, -1
	v_mad_u64_u32 v[30:31], s[6:7], v5, s9, v[30:31]
	s_cmp_lg_u32 s4, 0
	v_mov_b32_e32 v3, v1
	v_mad_u64_u32 v[28:29], s[6:7], v5, s8, v[28:29]
	v_mov_b32_e32 v1, v30
	s_cbranch_scc1 .LBB407_126
.LBB407_127:
	s_cbranch_execnz .LBB407_130
.LBB407_128:
	s_load_dwordx4 s[0:3], s[34:35], 0x4
	s_load_dwordx2 s[4:5], s[34:35], 0xc4
	s_cmp_lt_u32 s33, 2
	s_waitcnt lgkmcnt(0)
	v_mul_hi_u32 v1, s1, v32
	v_add_u32_e32 v1, v32, v1
	v_lshrrev_b32_e32 v1, s2, v1
	v_mul_lo_u32 v3, v1, s0
	v_sub_u32_e32 v3, v32, v3
	v_mul_lo_u32 v30, v3, s5
	v_mul_lo_u32 v28, v3, s4
	s_cbranch_scc1 .LBB407_130
; %bb.129:
	s_load_dwordx4 s[0:3], s[34:35], 0x10
	s_load_dwordx2 s[4:5], s[34:35], 0xcc
	s_waitcnt lgkmcnt(0)
	v_mul_hi_u32 v3, s1, v1
	v_add_u32_e32 v3, v1, v3
	v_lshrrev_b32_e32 v3, s2, v3
	v_mul_lo_u32 v3, v3, s0
	v_sub_u32_e32 v1, v1, v3
	v_mad_u64_u32 v[28:29], s[0:1], v1, s4, v[28:29]
	v_mad_u64_u32 v[30:31], s[0:1], v1, s5, v[30:31]
.LBB407_130:
	s_load_dwordx4 s[36:39], s[34:35], 0x148
	s_load_dword s28, s[34:35], 0x158
	s_waitcnt lgkmcnt(0)
	global_load_ushort v1, v2, s[38:39]
	global_load_ushort v3, v6, s[38:39]
	global_load_ushort v5, v10, s[38:39]
	global_load_ushort v7, v14, s[38:39]
	global_load_ushort v9, v18, s[38:39]
	global_load_ushort v11, v22, s[38:39]
	global_load_ushort v13, v26, s[38:39]
	global_load_ushort v15, v30, s[38:39]
	v_mov_b32_e32 v2, s28
	s_waitcnt vmcnt(7)
	v_cmp_u_f16_e32 vcc, v1, v1
	v_cmp_lt_f16_e64 s[0:1], s28, v1
	s_waitcnt vmcnt(6)
	v_cmp_u_f16_e64 s[2:3], v3, v3
	v_cmp_lt_f16_e64 s[4:5], s28, v3
	s_or_b64 vcc, vcc, s[0:1]
	s_waitcnt vmcnt(5)
	v_cmp_u_f16_e64 s[6:7], v5, v5
	v_cmp_lt_f16_e64 s[8:9], s28, v5
	v_cndmask_b32_e32 v1, v2, v1, vcc
	s_or_b64 vcc, s[2:3], s[4:5]
	s_waitcnt vmcnt(4)
	v_cmp_u_f16_e64 s[10:11], v7, v7
	v_cmp_lt_f16_e64 s[12:13], s28, v7
	v_cndmask_b32_e32 v3, v2, v3, vcc
	s_or_b64 vcc, s[6:7], s[8:9]
	;; [unrolled: 5-line block ×6, first 2 shown]
	v_cndmask_b32_e32 v10, v2, v13, vcc
	s_or_b64 vcc, s[26:27], s[28:29]
	v_cndmask_b32_e32 v2, v2, v15, vcc
	global_store_short v0, v1, s[36:37]
	global_store_short v4, v3, s[36:37]
	;; [unrolled: 1-line block ×8, first 2 shown]
	s_endpgm
.LBB407_131:
	v_mov_b32_e32 v2, 0
	v_mov_b32_e32 v0, 0
	s_branch .LBB407_137
.LBB407_132:
	v_mov_b32_e32 v2, 0
	v_mov_b32_e32 v0, 0
	s_branch .LBB407_154
.LBB407_133:
	v_mov_b32_e32 v0, 0
	s_mov_b32 s58, 0
	v_mov_b32_e32 v1, v0
                                        ; implicit-def: $vgpr2
	v_mov_b32_e32 v4, v24
.LBB407_134:
	s_and_b32 s4, s59, 3
	s_cmp_eq_u32 s4, 0
	s_cbranch_scc1 .LBB407_137
; %bb.135:
	s_lshl_b32 s0, s58, 3
	s_add_u32 s0, s34, s0
	s_addc_u32 s1, s35, 0
	s_add_u32 s0, s0, 0xc4
	s_addc_u32 s1, s1, 0
	s_mul_i32 s2, s58, 12
	s_add_u32 s2, s34, s2
	s_addc_u32 s3, s35, 0
.LBB407_136:                            ; =>This Inner Loop Header: Depth=1
	s_load_dwordx2 s[6:7], s[2:3], 0x4
	s_load_dword s5, s[2:3], 0xc
	s_load_dwordx2 s[8:9], s[0:1], 0x0
	v_mov_b32_e32 v2, v1
	s_add_u32 s2, s2, 12
	s_waitcnt lgkmcnt(0)
	v_mul_hi_u32 v1, s7, v4
	v_add_u32_e32 v1, v4, v1
	v_lshrrev_b32_e32 v1, s5, v1
	s_addc_u32 s3, s3, 0
	v_mul_lo_u32 v3, v1, s6
	s_add_u32 s0, s0, 8
	v_sub_u32_e32 v5, v4, v3
	s_addc_u32 s1, s1, 0
	s_add_i32 s4, s4, -1
	v_mov_b32_e32 v4, v1
	v_mad_u64_u32 v[2:3], s[6:7], v5, s9, v[2:3]
	v_mad_u64_u32 v[0:1], s[6:7], v5, s8, v[0:1]
	s_cmp_lg_u32 s4, 0
	v_mov_b32_e32 v1, v2
	s_cbranch_scc1 .LBB407_136
.LBB407_137:
	s_cbranch_execnz .LBB407_140
.LBB407_138:
	s_waitcnt lgkmcnt(0)
	v_mul_hi_u32 v0, s25, v24
	v_add_u32_e32 v0, v24, v0
	v_lshrrev_b32_e32 v1, s26, v0
	v_mul_lo_u32 v0, v1, s24
	v_sub_u32_e32 v0, v24, v0
	v_mul_lo_u32 v2, v0, s21
	s_andn2_b64 vcc, exec, s[42:43]
	v_mul_lo_u32 v0, v0, s20
	s_cbranch_vccnz .LBB407_140
; %bb.139:
	v_mul_hi_u32 v3, s40, v1
	v_add_u32_e32 v3, v1, v3
	v_lshrrev_b32_e32 v3, s41, v3
	v_mul_lo_u32 v3, v3, s27
	v_sub_u32_e32 v3, v1, v3
	v_mad_u64_u32 v[0:1], s[0:1], v3, s22, v[0:1]
	v_mad_u64_u32 v[2:3], s[0:1], v3, s23, v[2:3]
.LBB407_140:
	s_waitcnt lgkmcnt(0)
	global_load_ushort v1, v2, s[18:19]
	v_mov_b32_e32 v2, s55
	v_add_u32_e32 v24, 0x80, v24
	s_waitcnt vmcnt(0)
	v_cmp_u_f16_e32 vcc, v1, v1
	v_cmp_lt_f16_e64 s[0:1], s55, v1
	s_or_b64 vcc, vcc, s[0:1]
	v_cndmask_b32_e32 v1, v2, v1, vcc
	global_store_short v0, v1, s[16:17]
	s_or_b64 exec, exec, s[48:49]
	v_cmp_gt_i32_e32 vcc, s56, v24
	s_and_saveexec_b64 s[48:49], vcc
	s_cbranch_execnz .LBB407_16
.LBB407_141:
	s_or_b64 exec, exec, s[48:49]
	v_cmp_gt_i32_e32 vcc, s56, v24
	s_and_saveexec_b64 s[48:49], vcc
	s_cbranch_execz .LBB407_158
.LBB407_142:
	s_andn2_b64 vcc, exec, s[36:37]
	s_cbranch_vccnz .LBB407_148
; %bb.143:
	s_andn2_b64 vcc, exec, s[46:47]
	s_cbranch_vccnz .LBB407_149
; %bb.144:
	s_add_i32 s59, s57, 1
	s_cmp_eq_u32 s54, 2
	s_cbranch_scc1 .LBB407_167
; %bb.145:
	s_and_b32 s58, s59, 28
	s_mov_b32 s60, 0
	v_mov_b32_e32 v0, 0
	v_mov_b32_e32 v2, 0
	s_mov_b64 s[50:51], s[34:35]
	s_mov_b64 s[52:53], s[44:45]
	v_mov_b32_e32 v4, v24
.LBB407_146:                            ; =>This Inner Loop Header: Depth=1
	s_load_dwordx8 s[8:15], s[50:51], 0x4
	s_load_dwordx4 s[28:31], s[50:51], 0x24
	s_load_dwordx8 s[0:7], s[52:53], 0x0
	s_add_u32 s50, s50, 48
	s_addc_u32 s51, s51, 0
	s_waitcnt lgkmcnt(0)
	v_mul_hi_u32 v1, s9, v4
	v_add_u32_e32 v1, v4, v1
	v_lshrrev_b32_e32 v1, s10, v1
	v_mul_lo_u32 v3, v1, s8
	v_mul_hi_u32 v5, s12, v1
	v_sub_u32_e32 v3, v4, v3
	v_add_u32_e32 v4, v1, v5
	v_lshrrev_b32_e32 v4, s13, v4
	v_mul_lo_u32 v6, v4, s11
	v_mul_hi_u32 v7, s15, v4
	v_sub_u32_e32 v1, v1, v6
	v_add_u32_e32 v6, v4, v7
	v_mul_lo_u32 v5, v3, s1
	v_mul_lo_u32 v3, v3, s0
	;; [unrolled: 1-line block ×4, first 2 shown]
	v_lshrrev_b32_e32 v6, s28, v6
	v_add3_u32 v0, v3, v0, v1
	v_mul_hi_u32 v3, s30, v6
	v_add3_u32 v1, v5, v2, v7
	v_mul_lo_u32 v2, v6, s14
	v_add_u32_e32 v3, v6, v3
	v_sub_u32_e32 v2, v4, v2
	v_lshrrev_b32_e32 v4, s31, v3
	s_add_i32 s60, s60, 4
	v_mul_lo_u32 v3, v4, s29
	s_add_u32 s52, s52, 32
	v_sub_u32_e32 v3, v6, v3
	s_addc_u32 s53, s53, 0
	v_mul_lo_u32 v5, v2, s4
	v_mul_lo_u32 v2, v2, s5
	;; [unrolled: 1-line block ×4, first 2 shown]
	s_cmp_eq_u32 s58, s60
	v_add3_u32 v2, v2, v1, v3
	v_add3_u32 v0, v5, v0, v6
	s_cbranch_scc0 .LBB407_146
; %bb.147:
	v_mov_b32_e32 v1, v2
	s_branch .LBB407_168
.LBB407_148:
                                        ; implicit-def: $vgpr2
                                        ; implicit-def: $vgpr0
	s_branch .LBB407_172
.LBB407_149:
	v_mov_b32_e32 v2, 0
	v_mov_b32_e32 v0, 0
	s_branch .LBB407_171
.LBB407_150:
	v_mov_b32_e32 v0, 0
	s_mov_b32 s58, 0
	v_mov_b32_e32 v1, v0
                                        ; implicit-def: $vgpr2
	v_mov_b32_e32 v4, v24
.LBB407_151:
	s_and_b32 s4, s59, 3
	s_cmp_eq_u32 s4, 0
	s_cbranch_scc1 .LBB407_154
; %bb.152:
	s_lshl_b32 s0, s58, 3
	s_add_u32 s0, s34, s0
	s_addc_u32 s1, s35, 0
	s_add_u32 s0, s0, 0xc4
	s_addc_u32 s1, s1, 0
	s_mul_i32 s2, s58, 12
	s_add_u32 s2, s34, s2
	s_addc_u32 s3, s35, 0
.LBB407_153:                            ; =>This Inner Loop Header: Depth=1
	s_load_dwordx2 s[6:7], s[2:3], 0x4
	s_load_dword s5, s[2:3], 0xc
	s_load_dwordx2 s[8:9], s[0:1], 0x0
	v_mov_b32_e32 v2, v1
	s_add_u32 s2, s2, 12
	s_waitcnt lgkmcnt(0)
	v_mul_hi_u32 v1, s7, v4
	v_add_u32_e32 v1, v4, v1
	v_lshrrev_b32_e32 v1, s5, v1
	s_addc_u32 s3, s3, 0
	v_mul_lo_u32 v3, v1, s6
	s_add_u32 s0, s0, 8
	v_sub_u32_e32 v5, v4, v3
	s_addc_u32 s1, s1, 0
	s_add_i32 s4, s4, -1
	v_mov_b32_e32 v4, v1
	v_mad_u64_u32 v[2:3], s[6:7], v5, s9, v[2:3]
	v_mad_u64_u32 v[0:1], s[6:7], v5, s8, v[0:1]
	s_cmp_lg_u32 s4, 0
	v_mov_b32_e32 v1, v2
	s_cbranch_scc1 .LBB407_153
.LBB407_154:
	s_cbranch_execnz .LBB407_157
.LBB407_155:
	s_waitcnt lgkmcnt(0)
	v_mul_hi_u32 v0, s25, v24
	v_add_u32_e32 v0, v24, v0
	v_lshrrev_b32_e32 v1, s26, v0
	v_mul_lo_u32 v0, v1, s24
	v_sub_u32_e32 v0, v24, v0
	v_mul_lo_u32 v2, v0, s21
	s_andn2_b64 vcc, exec, s[42:43]
	v_mul_lo_u32 v0, v0, s20
	s_cbranch_vccnz .LBB407_157
; %bb.156:
	v_mul_hi_u32 v3, s40, v1
	v_add_u32_e32 v3, v1, v3
	v_lshrrev_b32_e32 v3, s41, v3
	v_mul_lo_u32 v3, v3, s27
	v_sub_u32_e32 v3, v1, v3
	v_mad_u64_u32 v[0:1], s[0:1], v3, s22, v[0:1]
	v_mad_u64_u32 v[2:3], s[0:1], v3, s23, v[2:3]
.LBB407_157:
	s_waitcnt lgkmcnt(0)
	global_load_ushort v1, v2, s[18:19]
	v_mov_b32_e32 v2, s55
	v_add_u32_e32 v24, 0x80, v24
	s_waitcnt vmcnt(0)
	v_cmp_u_f16_e32 vcc, v1, v1
	v_cmp_lt_f16_e64 s[0:1], s55, v1
	s_or_b64 vcc, vcc, s[0:1]
	v_cndmask_b32_e32 v1, v2, v1, vcc
	global_store_short v0, v1, s[16:17]
	s_or_b64 exec, exec, s[48:49]
	v_cmp_gt_i32_e32 vcc, s56, v24
	s_and_saveexec_b64 s[48:49], vcc
	s_cbranch_execnz .LBB407_142
.LBB407_158:
	s_or_b64 exec, exec, s[48:49]
	v_cmp_gt_i32_e32 vcc, s56, v24
	s_and_saveexec_b64 s[48:49], vcc
	s_cbranch_execz .LBB407_175
.LBB407_159:
	s_andn2_b64 vcc, exec, s[36:37]
	s_cbranch_vccnz .LBB407_165
; %bb.160:
	s_andn2_b64 vcc, exec, s[46:47]
	s_cbranch_vccnz .LBB407_166
; %bb.161:
	s_add_i32 s59, s57, 1
	s_cmp_eq_u32 s54, 2
	s_cbranch_scc1 .LBB407_184
; %bb.162:
	s_and_b32 s58, s59, 28
	s_mov_b32 s60, 0
	v_mov_b32_e32 v0, 0
	v_mov_b32_e32 v2, 0
	s_mov_b64 s[50:51], s[34:35]
	s_mov_b64 s[52:53], s[44:45]
	v_mov_b32_e32 v4, v24
.LBB407_163:                            ; =>This Inner Loop Header: Depth=1
	s_load_dwordx8 s[8:15], s[50:51], 0x4
	s_load_dwordx4 s[28:31], s[50:51], 0x24
	s_load_dwordx8 s[0:7], s[52:53], 0x0
	s_add_u32 s50, s50, 48
	s_addc_u32 s51, s51, 0
	s_waitcnt lgkmcnt(0)
	v_mul_hi_u32 v1, s9, v4
	v_add_u32_e32 v1, v4, v1
	v_lshrrev_b32_e32 v1, s10, v1
	v_mul_lo_u32 v3, v1, s8
	v_mul_hi_u32 v5, s12, v1
	v_sub_u32_e32 v3, v4, v3
	v_add_u32_e32 v4, v1, v5
	v_lshrrev_b32_e32 v4, s13, v4
	v_mul_lo_u32 v6, v4, s11
	v_mul_hi_u32 v7, s15, v4
	v_sub_u32_e32 v1, v1, v6
	v_add_u32_e32 v6, v4, v7
	v_mul_lo_u32 v5, v3, s1
	v_mul_lo_u32 v3, v3, s0
	;; [unrolled: 1-line block ×4, first 2 shown]
	v_lshrrev_b32_e32 v6, s28, v6
	v_add3_u32 v0, v3, v0, v1
	v_mul_hi_u32 v3, s30, v6
	v_add3_u32 v1, v5, v2, v7
	v_mul_lo_u32 v2, v6, s14
	v_add_u32_e32 v3, v6, v3
	v_sub_u32_e32 v2, v4, v2
	v_lshrrev_b32_e32 v4, s31, v3
	s_add_i32 s60, s60, 4
	v_mul_lo_u32 v3, v4, s29
	s_add_u32 s52, s52, 32
	v_sub_u32_e32 v3, v6, v3
	s_addc_u32 s53, s53, 0
	v_mul_lo_u32 v5, v2, s4
	v_mul_lo_u32 v2, v2, s5
	;; [unrolled: 1-line block ×4, first 2 shown]
	s_cmp_eq_u32 s58, s60
	v_add3_u32 v2, v2, v1, v3
	v_add3_u32 v0, v5, v0, v6
	s_cbranch_scc0 .LBB407_163
; %bb.164:
	v_mov_b32_e32 v1, v2
	s_branch .LBB407_185
.LBB407_165:
                                        ; implicit-def: $vgpr2
                                        ; implicit-def: $vgpr0
	s_branch .LBB407_189
.LBB407_166:
	v_mov_b32_e32 v2, 0
	v_mov_b32_e32 v0, 0
	s_branch .LBB407_188
.LBB407_167:
	v_mov_b32_e32 v0, 0
	s_mov_b32 s58, 0
	v_mov_b32_e32 v1, v0
                                        ; implicit-def: $vgpr2
	v_mov_b32_e32 v4, v24
.LBB407_168:
	s_and_b32 s4, s59, 3
	s_cmp_eq_u32 s4, 0
	s_cbranch_scc1 .LBB407_171
; %bb.169:
	s_lshl_b32 s0, s58, 3
	s_add_u32 s0, s34, s0
	s_addc_u32 s1, s35, 0
	s_add_u32 s0, s0, 0xc4
	s_addc_u32 s1, s1, 0
	s_mul_i32 s2, s58, 12
	s_add_u32 s2, s34, s2
	s_addc_u32 s3, s35, 0
.LBB407_170:                            ; =>This Inner Loop Header: Depth=1
	s_load_dwordx2 s[6:7], s[2:3], 0x4
	s_load_dword s5, s[2:3], 0xc
	s_load_dwordx2 s[8:9], s[0:1], 0x0
	v_mov_b32_e32 v2, v1
	s_add_u32 s2, s2, 12
	s_waitcnt lgkmcnt(0)
	v_mul_hi_u32 v1, s7, v4
	v_add_u32_e32 v1, v4, v1
	v_lshrrev_b32_e32 v1, s5, v1
	s_addc_u32 s3, s3, 0
	v_mul_lo_u32 v3, v1, s6
	s_add_u32 s0, s0, 8
	v_sub_u32_e32 v5, v4, v3
	s_addc_u32 s1, s1, 0
	s_add_i32 s4, s4, -1
	v_mov_b32_e32 v4, v1
	v_mad_u64_u32 v[2:3], s[6:7], v5, s9, v[2:3]
	v_mad_u64_u32 v[0:1], s[6:7], v5, s8, v[0:1]
	s_cmp_lg_u32 s4, 0
	v_mov_b32_e32 v1, v2
	s_cbranch_scc1 .LBB407_170
.LBB407_171:
	s_cbranch_execnz .LBB407_174
.LBB407_172:
	s_waitcnt lgkmcnt(0)
	v_mul_hi_u32 v0, s25, v24
	v_add_u32_e32 v0, v24, v0
	v_lshrrev_b32_e32 v1, s26, v0
	v_mul_lo_u32 v0, v1, s24
	v_sub_u32_e32 v0, v24, v0
	v_mul_lo_u32 v2, v0, s21
	s_andn2_b64 vcc, exec, s[42:43]
	v_mul_lo_u32 v0, v0, s20
	s_cbranch_vccnz .LBB407_174
; %bb.173:
	v_mul_hi_u32 v3, s40, v1
	v_add_u32_e32 v3, v1, v3
	v_lshrrev_b32_e32 v3, s41, v3
	v_mul_lo_u32 v3, v3, s27
	v_sub_u32_e32 v3, v1, v3
	v_mad_u64_u32 v[0:1], s[0:1], v3, s22, v[0:1]
	v_mad_u64_u32 v[2:3], s[0:1], v3, s23, v[2:3]
.LBB407_174:
	s_waitcnt lgkmcnt(0)
	global_load_ushort v1, v2, s[18:19]
	v_mov_b32_e32 v2, s55
	v_add_u32_e32 v24, 0x80, v24
	s_waitcnt vmcnt(0)
	v_cmp_u_f16_e32 vcc, v1, v1
	v_cmp_lt_f16_e64 s[0:1], s55, v1
	s_or_b64 vcc, vcc, s[0:1]
	v_cndmask_b32_e32 v1, v2, v1, vcc
	global_store_short v0, v1, s[16:17]
	s_or_b64 exec, exec, s[48:49]
	v_cmp_gt_i32_e32 vcc, s56, v24
	s_and_saveexec_b64 s[48:49], vcc
	s_cbranch_execnz .LBB407_159
.LBB407_175:
	s_or_b64 exec, exec, s[48:49]
	v_cmp_gt_i32_e32 vcc, s56, v24
	s_and_saveexec_b64 s[48:49], vcc
	s_cbranch_execz .LBB407_192
.LBB407_176:
	s_andn2_b64 vcc, exec, s[36:37]
	s_cbranch_vccnz .LBB407_182
; %bb.177:
	s_andn2_b64 vcc, exec, s[46:47]
	s_cbranch_vccnz .LBB407_183
; %bb.178:
	s_add_i32 s59, s57, 1
	s_cmp_eq_u32 s54, 2
	s_cbranch_scc1 .LBB407_201
; %bb.179:
	s_and_b32 s58, s59, 28
	s_mov_b32 s60, 0
	v_mov_b32_e32 v0, 0
	v_mov_b32_e32 v2, 0
	s_mov_b64 s[50:51], s[34:35]
	s_mov_b64 s[52:53], s[44:45]
	v_mov_b32_e32 v4, v24
.LBB407_180:                            ; =>This Inner Loop Header: Depth=1
	s_load_dwordx8 s[8:15], s[50:51], 0x4
	s_load_dwordx4 s[28:31], s[50:51], 0x24
	s_load_dwordx8 s[0:7], s[52:53], 0x0
	s_add_u32 s50, s50, 48
	s_addc_u32 s51, s51, 0
	s_waitcnt lgkmcnt(0)
	v_mul_hi_u32 v1, s9, v4
	v_add_u32_e32 v1, v4, v1
	v_lshrrev_b32_e32 v1, s10, v1
	v_mul_lo_u32 v3, v1, s8
	v_mul_hi_u32 v5, s12, v1
	v_sub_u32_e32 v3, v4, v3
	v_add_u32_e32 v4, v1, v5
	v_lshrrev_b32_e32 v4, s13, v4
	v_mul_lo_u32 v6, v4, s11
	v_mul_hi_u32 v7, s15, v4
	v_sub_u32_e32 v1, v1, v6
	v_add_u32_e32 v6, v4, v7
	v_mul_lo_u32 v5, v3, s1
	v_mul_lo_u32 v3, v3, s0
	;; [unrolled: 1-line block ×4, first 2 shown]
	v_lshrrev_b32_e32 v6, s28, v6
	v_add3_u32 v0, v3, v0, v1
	v_mul_hi_u32 v3, s30, v6
	v_add3_u32 v1, v5, v2, v7
	v_mul_lo_u32 v2, v6, s14
	v_add_u32_e32 v3, v6, v3
	v_sub_u32_e32 v2, v4, v2
	v_lshrrev_b32_e32 v4, s31, v3
	s_add_i32 s60, s60, 4
	v_mul_lo_u32 v3, v4, s29
	s_add_u32 s52, s52, 32
	v_sub_u32_e32 v3, v6, v3
	s_addc_u32 s53, s53, 0
	v_mul_lo_u32 v5, v2, s4
	v_mul_lo_u32 v2, v2, s5
	;; [unrolled: 1-line block ×4, first 2 shown]
	s_cmp_eq_u32 s58, s60
	v_add3_u32 v2, v2, v1, v3
	v_add3_u32 v0, v5, v0, v6
	s_cbranch_scc0 .LBB407_180
; %bb.181:
	v_mov_b32_e32 v1, v2
	s_branch .LBB407_202
.LBB407_182:
                                        ; implicit-def: $vgpr2
                                        ; implicit-def: $vgpr0
	s_branch .LBB407_206
.LBB407_183:
	v_mov_b32_e32 v2, 0
	v_mov_b32_e32 v0, 0
	s_branch .LBB407_205
.LBB407_184:
	v_mov_b32_e32 v0, 0
	s_mov_b32 s58, 0
	v_mov_b32_e32 v1, v0
                                        ; implicit-def: $vgpr2
	v_mov_b32_e32 v4, v24
.LBB407_185:
	s_and_b32 s4, s59, 3
	s_cmp_eq_u32 s4, 0
	s_cbranch_scc1 .LBB407_188
; %bb.186:
	s_lshl_b32 s0, s58, 3
	s_add_u32 s0, s34, s0
	s_addc_u32 s1, s35, 0
	s_add_u32 s0, s0, 0xc4
	s_addc_u32 s1, s1, 0
	s_mul_i32 s2, s58, 12
	s_add_u32 s2, s34, s2
	s_addc_u32 s3, s35, 0
.LBB407_187:                            ; =>This Inner Loop Header: Depth=1
	s_load_dwordx2 s[6:7], s[2:3], 0x4
	s_load_dword s5, s[2:3], 0xc
	s_load_dwordx2 s[8:9], s[0:1], 0x0
	v_mov_b32_e32 v2, v1
	s_add_u32 s2, s2, 12
	s_waitcnt lgkmcnt(0)
	v_mul_hi_u32 v1, s7, v4
	v_add_u32_e32 v1, v4, v1
	v_lshrrev_b32_e32 v1, s5, v1
	s_addc_u32 s3, s3, 0
	v_mul_lo_u32 v3, v1, s6
	s_add_u32 s0, s0, 8
	v_sub_u32_e32 v5, v4, v3
	s_addc_u32 s1, s1, 0
	s_add_i32 s4, s4, -1
	v_mov_b32_e32 v4, v1
	v_mad_u64_u32 v[2:3], s[6:7], v5, s9, v[2:3]
	v_mad_u64_u32 v[0:1], s[6:7], v5, s8, v[0:1]
	s_cmp_lg_u32 s4, 0
	v_mov_b32_e32 v1, v2
	s_cbranch_scc1 .LBB407_187
.LBB407_188:
	s_cbranch_execnz .LBB407_191
.LBB407_189:
	s_waitcnt lgkmcnt(0)
	v_mul_hi_u32 v0, s25, v24
	v_add_u32_e32 v0, v24, v0
	v_lshrrev_b32_e32 v1, s26, v0
	v_mul_lo_u32 v0, v1, s24
	v_sub_u32_e32 v0, v24, v0
	v_mul_lo_u32 v2, v0, s21
	s_andn2_b64 vcc, exec, s[42:43]
	v_mul_lo_u32 v0, v0, s20
	s_cbranch_vccnz .LBB407_191
; %bb.190:
	v_mul_hi_u32 v3, s40, v1
	v_add_u32_e32 v3, v1, v3
	v_lshrrev_b32_e32 v3, s41, v3
	v_mul_lo_u32 v3, v3, s27
	v_sub_u32_e32 v3, v1, v3
	v_mad_u64_u32 v[0:1], s[0:1], v3, s22, v[0:1]
	v_mad_u64_u32 v[2:3], s[0:1], v3, s23, v[2:3]
.LBB407_191:
	s_waitcnt lgkmcnt(0)
	global_load_ushort v1, v2, s[18:19]
	v_mov_b32_e32 v2, s55
	v_add_u32_e32 v24, 0x80, v24
	s_waitcnt vmcnt(0)
	v_cmp_u_f16_e32 vcc, v1, v1
	v_cmp_lt_f16_e64 s[0:1], s55, v1
	s_or_b64 vcc, vcc, s[0:1]
	v_cndmask_b32_e32 v1, v2, v1, vcc
	global_store_short v0, v1, s[16:17]
	s_or_b64 exec, exec, s[48:49]
	v_cmp_gt_i32_e32 vcc, s56, v24
	s_and_saveexec_b64 s[48:49], vcc
	s_cbranch_execnz .LBB407_176
.LBB407_192:
	s_or_b64 exec, exec, s[48:49]
	v_cmp_gt_i32_e32 vcc, s56, v24
	s_and_saveexec_b64 s[48:49], vcc
	s_cbranch_execz .LBB407_209
.LBB407_193:
	s_andn2_b64 vcc, exec, s[36:37]
	s_cbranch_vccnz .LBB407_199
; %bb.194:
	s_andn2_b64 vcc, exec, s[46:47]
	s_cbranch_vccnz .LBB407_200
; %bb.195:
	s_add_i32 s59, s57, 1
	s_cmp_eq_u32 s54, 2
	s_cbranch_scc1 .LBB407_218
; %bb.196:
	s_and_b32 s58, s59, 28
	s_mov_b32 s60, 0
	v_mov_b32_e32 v0, 0
	v_mov_b32_e32 v2, 0
	s_mov_b64 s[50:51], s[34:35]
	s_mov_b64 s[52:53], s[44:45]
	v_mov_b32_e32 v4, v24
.LBB407_197:                            ; =>This Inner Loop Header: Depth=1
	s_load_dwordx8 s[8:15], s[50:51], 0x4
	s_load_dwordx4 s[28:31], s[50:51], 0x24
	s_load_dwordx8 s[0:7], s[52:53], 0x0
	s_add_u32 s50, s50, 48
	s_addc_u32 s51, s51, 0
	s_waitcnt lgkmcnt(0)
	v_mul_hi_u32 v1, s9, v4
	v_add_u32_e32 v1, v4, v1
	v_lshrrev_b32_e32 v1, s10, v1
	v_mul_lo_u32 v3, v1, s8
	v_mul_hi_u32 v5, s12, v1
	v_sub_u32_e32 v3, v4, v3
	v_add_u32_e32 v4, v1, v5
	v_lshrrev_b32_e32 v4, s13, v4
	v_mul_lo_u32 v6, v4, s11
	v_mul_hi_u32 v7, s15, v4
	v_sub_u32_e32 v1, v1, v6
	v_add_u32_e32 v6, v4, v7
	v_mul_lo_u32 v5, v3, s1
	v_mul_lo_u32 v3, v3, s0
	;; [unrolled: 1-line block ×4, first 2 shown]
	v_lshrrev_b32_e32 v6, s28, v6
	v_add3_u32 v0, v3, v0, v1
	v_mul_hi_u32 v3, s30, v6
	v_add3_u32 v1, v5, v2, v7
	v_mul_lo_u32 v2, v6, s14
	v_add_u32_e32 v3, v6, v3
	v_sub_u32_e32 v2, v4, v2
	v_lshrrev_b32_e32 v4, s31, v3
	s_add_i32 s60, s60, 4
	v_mul_lo_u32 v3, v4, s29
	s_add_u32 s52, s52, 32
	v_sub_u32_e32 v3, v6, v3
	s_addc_u32 s53, s53, 0
	v_mul_lo_u32 v5, v2, s4
	v_mul_lo_u32 v2, v2, s5
	v_mul_lo_u32 v6, v3, s6
	v_mul_lo_u32 v3, v3, s7
	s_cmp_eq_u32 s58, s60
	v_add3_u32 v2, v2, v1, v3
	v_add3_u32 v0, v5, v0, v6
	s_cbranch_scc0 .LBB407_197
; %bb.198:
	v_mov_b32_e32 v1, v2
	s_branch .LBB407_219
.LBB407_199:
                                        ; implicit-def: $vgpr2
                                        ; implicit-def: $vgpr0
	s_branch .LBB407_223
.LBB407_200:
	v_mov_b32_e32 v2, 0
	v_mov_b32_e32 v0, 0
	s_branch .LBB407_222
.LBB407_201:
	v_mov_b32_e32 v0, 0
	s_mov_b32 s58, 0
	v_mov_b32_e32 v1, v0
                                        ; implicit-def: $vgpr2
	v_mov_b32_e32 v4, v24
.LBB407_202:
	s_and_b32 s4, s59, 3
	s_cmp_eq_u32 s4, 0
	s_cbranch_scc1 .LBB407_205
; %bb.203:
	s_lshl_b32 s0, s58, 3
	s_add_u32 s0, s34, s0
	s_addc_u32 s1, s35, 0
	s_add_u32 s0, s0, 0xc4
	s_addc_u32 s1, s1, 0
	s_mul_i32 s2, s58, 12
	s_add_u32 s2, s34, s2
	s_addc_u32 s3, s35, 0
.LBB407_204:                            ; =>This Inner Loop Header: Depth=1
	s_load_dwordx2 s[6:7], s[2:3], 0x4
	s_load_dword s5, s[2:3], 0xc
	s_load_dwordx2 s[8:9], s[0:1], 0x0
	v_mov_b32_e32 v2, v1
	s_add_u32 s2, s2, 12
	s_waitcnt lgkmcnt(0)
	v_mul_hi_u32 v1, s7, v4
	v_add_u32_e32 v1, v4, v1
	v_lshrrev_b32_e32 v1, s5, v1
	s_addc_u32 s3, s3, 0
	v_mul_lo_u32 v3, v1, s6
	s_add_u32 s0, s0, 8
	v_sub_u32_e32 v5, v4, v3
	s_addc_u32 s1, s1, 0
	s_add_i32 s4, s4, -1
	v_mov_b32_e32 v4, v1
	v_mad_u64_u32 v[2:3], s[6:7], v5, s9, v[2:3]
	v_mad_u64_u32 v[0:1], s[6:7], v5, s8, v[0:1]
	s_cmp_lg_u32 s4, 0
	v_mov_b32_e32 v1, v2
	s_cbranch_scc1 .LBB407_204
.LBB407_205:
	s_cbranch_execnz .LBB407_208
.LBB407_206:
	s_waitcnt lgkmcnt(0)
	v_mul_hi_u32 v0, s25, v24
	v_add_u32_e32 v0, v24, v0
	v_lshrrev_b32_e32 v1, s26, v0
	v_mul_lo_u32 v0, v1, s24
	v_sub_u32_e32 v0, v24, v0
	v_mul_lo_u32 v2, v0, s21
	s_andn2_b64 vcc, exec, s[42:43]
	v_mul_lo_u32 v0, v0, s20
	s_cbranch_vccnz .LBB407_208
; %bb.207:
	v_mul_hi_u32 v3, s40, v1
	v_add_u32_e32 v3, v1, v3
	v_lshrrev_b32_e32 v3, s41, v3
	v_mul_lo_u32 v3, v3, s27
	v_sub_u32_e32 v3, v1, v3
	v_mad_u64_u32 v[0:1], s[0:1], v3, s22, v[0:1]
	v_mad_u64_u32 v[2:3], s[0:1], v3, s23, v[2:3]
.LBB407_208:
	s_waitcnt lgkmcnt(0)
	global_load_ushort v1, v2, s[18:19]
	v_mov_b32_e32 v2, s55
	v_add_u32_e32 v24, 0x80, v24
	s_waitcnt vmcnt(0)
	v_cmp_u_f16_e32 vcc, v1, v1
	v_cmp_lt_f16_e64 s[0:1], s55, v1
	s_or_b64 vcc, vcc, s[0:1]
	v_cndmask_b32_e32 v1, v2, v1, vcc
	global_store_short v0, v1, s[16:17]
	s_or_b64 exec, exec, s[48:49]
	v_cmp_gt_i32_e32 vcc, s56, v24
	s_and_saveexec_b64 s[48:49], vcc
	s_cbranch_execnz .LBB407_193
.LBB407_209:
	s_or_b64 exec, exec, s[48:49]
	v_cmp_gt_i32_e32 vcc, s56, v24
	s_and_saveexec_b64 s[48:49], vcc
	s_cbranch_execz .LBB407_226
.LBB407_210:
	s_andn2_b64 vcc, exec, s[36:37]
	s_cbranch_vccnz .LBB407_216
; %bb.211:
	s_andn2_b64 vcc, exec, s[46:47]
	s_cbranch_vccnz .LBB407_217
; %bb.212:
	s_add_i32 s59, s57, 1
	s_cmp_eq_u32 s54, 2
	s_cbranch_scc1 .LBB407_229
; %bb.213:
	s_and_b32 s58, s59, 28
	s_mov_b32 s60, 0
	v_mov_b32_e32 v0, 0
	v_mov_b32_e32 v2, 0
	s_mov_b64 s[50:51], s[34:35]
	s_mov_b64 s[52:53], s[44:45]
	v_mov_b32_e32 v4, v24
.LBB407_214:                            ; =>This Inner Loop Header: Depth=1
	s_load_dwordx8 s[8:15], s[50:51], 0x4
	s_load_dwordx4 s[28:31], s[50:51], 0x24
	s_load_dwordx8 s[0:7], s[52:53], 0x0
	s_add_u32 s50, s50, 48
	s_addc_u32 s51, s51, 0
	s_waitcnt lgkmcnt(0)
	v_mul_hi_u32 v1, s9, v4
	v_add_u32_e32 v1, v4, v1
	v_lshrrev_b32_e32 v1, s10, v1
	v_mul_lo_u32 v3, v1, s8
	v_mul_hi_u32 v5, s12, v1
	v_sub_u32_e32 v3, v4, v3
	v_add_u32_e32 v4, v1, v5
	v_lshrrev_b32_e32 v4, s13, v4
	v_mul_lo_u32 v6, v4, s11
	v_mul_hi_u32 v7, s15, v4
	v_sub_u32_e32 v1, v1, v6
	v_add_u32_e32 v6, v4, v7
	v_mul_lo_u32 v5, v3, s1
	v_mul_lo_u32 v3, v3, s0
	;; [unrolled: 1-line block ×4, first 2 shown]
	v_lshrrev_b32_e32 v6, s28, v6
	v_add3_u32 v0, v3, v0, v1
	v_mul_hi_u32 v3, s30, v6
	v_add3_u32 v1, v5, v2, v7
	v_mul_lo_u32 v2, v6, s14
	v_add_u32_e32 v3, v6, v3
	v_sub_u32_e32 v2, v4, v2
	v_lshrrev_b32_e32 v4, s31, v3
	s_add_i32 s60, s60, 4
	v_mul_lo_u32 v3, v4, s29
	s_add_u32 s52, s52, 32
	v_sub_u32_e32 v3, v6, v3
	s_addc_u32 s53, s53, 0
	v_mul_lo_u32 v5, v2, s4
	v_mul_lo_u32 v2, v2, s5
	;; [unrolled: 1-line block ×4, first 2 shown]
	s_cmp_eq_u32 s58, s60
	v_add3_u32 v2, v2, v1, v3
	v_add3_u32 v0, v5, v0, v6
	s_cbranch_scc0 .LBB407_214
; %bb.215:
	v_mov_b32_e32 v1, v2
	s_branch .LBB407_230
.LBB407_216:
                                        ; implicit-def: $vgpr2
                                        ; implicit-def: $vgpr0
	s_branch .LBB407_234
.LBB407_217:
	v_mov_b32_e32 v2, 0
	v_mov_b32_e32 v0, 0
	s_branch .LBB407_233
.LBB407_218:
	v_mov_b32_e32 v0, 0
	s_mov_b32 s58, 0
	v_mov_b32_e32 v1, v0
                                        ; implicit-def: $vgpr2
	v_mov_b32_e32 v4, v24
.LBB407_219:
	s_and_b32 s4, s59, 3
	s_cmp_eq_u32 s4, 0
	s_cbranch_scc1 .LBB407_222
; %bb.220:
	s_lshl_b32 s0, s58, 3
	s_add_u32 s0, s34, s0
	s_addc_u32 s1, s35, 0
	s_add_u32 s0, s0, 0xc4
	s_addc_u32 s1, s1, 0
	s_mul_i32 s2, s58, 12
	s_add_u32 s2, s34, s2
	s_addc_u32 s3, s35, 0
.LBB407_221:                            ; =>This Inner Loop Header: Depth=1
	s_load_dwordx2 s[6:7], s[2:3], 0x4
	s_load_dword s5, s[2:3], 0xc
	s_load_dwordx2 s[8:9], s[0:1], 0x0
	v_mov_b32_e32 v2, v1
	s_add_u32 s2, s2, 12
	s_waitcnt lgkmcnt(0)
	v_mul_hi_u32 v1, s7, v4
	v_add_u32_e32 v1, v4, v1
	v_lshrrev_b32_e32 v1, s5, v1
	s_addc_u32 s3, s3, 0
	v_mul_lo_u32 v3, v1, s6
	s_add_u32 s0, s0, 8
	v_sub_u32_e32 v5, v4, v3
	s_addc_u32 s1, s1, 0
	s_add_i32 s4, s4, -1
	v_mov_b32_e32 v4, v1
	v_mad_u64_u32 v[2:3], s[6:7], v5, s9, v[2:3]
	v_mad_u64_u32 v[0:1], s[6:7], v5, s8, v[0:1]
	s_cmp_lg_u32 s4, 0
	v_mov_b32_e32 v1, v2
	s_cbranch_scc1 .LBB407_221
.LBB407_222:
	s_cbranch_execnz .LBB407_225
.LBB407_223:
	s_waitcnt lgkmcnt(0)
	v_mul_hi_u32 v0, s25, v24
	v_add_u32_e32 v0, v24, v0
	v_lshrrev_b32_e32 v1, s26, v0
	v_mul_lo_u32 v0, v1, s24
	v_sub_u32_e32 v0, v24, v0
	v_mul_lo_u32 v2, v0, s21
	s_andn2_b64 vcc, exec, s[42:43]
	v_mul_lo_u32 v0, v0, s20
	s_cbranch_vccnz .LBB407_225
; %bb.224:
	v_mul_hi_u32 v3, s40, v1
	v_add_u32_e32 v3, v1, v3
	v_lshrrev_b32_e32 v3, s41, v3
	v_mul_lo_u32 v3, v3, s27
	v_sub_u32_e32 v3, v1, v3
	v_mad_u64_u32 v[0:1], s[0:1], v3, s22, v[0:1]
	v_mad_u64_u32 v[2:3], s[0:1], v3, s23, v[2:3]
.LBB407_225:
	s_waitcnt lgkmcnt(0)
	global_load_ushort v1, v2, s[18:19]
	v_mov_b32_e32 v2, s55
	v_add_u32_e32 v24, 0x80, v24
	s_waitcnt vmcnt(0)
	v_cmp_u_f16_e32 vcc, v1, v1
	v_cmp_lt_f16_e64 s[0:1], s55, v1
	s_or_b64 vcc, vcc, s[0:1]
	v_cndmask_b32_e32 v1, v2, v1, vcc
	global_store_short v0, v1, s[16:17]
	s_or_b64 exec, exec, s[48:49]
	v_cmp_gt_i32_e32 vcc, s56, v24
	s_and_saveexec_b64 s[48:49], vcc
	s_cbranch_execnz .LBB407_210
.LBB407_226:
	s_or_b64 exec, exec, s[48:49]
	v_cmp_gt_i32_e32 vcc, s56, v24
	s_and_saveexec_b64 s[48:49], vcc
	s_cbranch_execnz .LBB407_237
.LBB407_227:
	s_or_b64 exec, exec, s[48:49]
                                        ; implicit-def: $vgpr32
                                        ; implicit-def: $vgpr24
	s_andn2_saveexec_b64 s[0:1], s[38:39]
	s_cbranch_execnz .LBB407_9
.LBB407_228:
	s_endpgm
.LBB407_229:
	v_mov_b32_e32 v0, 0
	s_mov_b32 s58, 0
	v_mov_b32_e32 v1, v0
                                        ; implicit-def: $vgpr2
	v_mov_b32_e32 v4, v24
.LBB407_230:
	s_and_b32 s4, s59, 3
	s_cmp_eq_u32 s4, 0
	s_cbranch_scc1 .LBB407_233
; %bb.231:
	s_lshl_b32 s0, s58, 3
	s_add_u32 s0, s34, s0
	s_addc_u32 s1, s35, 0
	s_add_u32 s0, s0, 0xc4
	s_addc_u32 s1, s1, 0
	s_mul_i32 s2, s58, 12
	s_add_u32 s2, s34, s2
	s_addc_u32 s3, s35, 0
.LBB407_232:                            ; =>This Inner Loop Header: Depth=1
	s_load_dwordx2 s[6:7], s[2:3], 0x4
	s_load_dword s5, s[2:3], 0xc
	s_load_dwordx2 s[8:9], s[0:1], 0x0
	v_mov_b32_e32 v2, v1
	s_add_u32 s2, s2, 12
	s_waitcnt lgkmcnt(0)
	v_mul_hi_u32 v1, s7, v4
	v_add_u32_e32 v1, v4, v1
	v_lshrrev_b32_e32 v1, s5, v1
	s_addc_u32 s3, s3, 0
	v_mul_lo_u32 v3, v1, s6
	s_add_u32 s0, s0, 8
	v_sub_u32_e32 v5, v4, v3
	s_addc_u32 s1, s1, 0
	s_add_i32 s4, s4, -1
	v_mov_b32_e32 v4, v1
	v_mad_u64_u32 v[2:3], s[6:7], v5, s9, v[2:3]
	v_mad_u64_u32 v[0:1], s[6:7], v5, s8, v[0:1]
	s_cmp_lg_u32 s4, 0
	v_mov_b32_e32 v1, v2
	s_cbranch_scc1 .LBB407_232
.LBB407_233:
	s_cbranch_execnz .LBB407_236
.LBB407_234:
	s_waitcnt lgkmcnt(0)
	v_mul_hi_u32 v0, s25, v24
	v_add_u32_e32 v0, v24, v0
	v_lshrrev_b32_e32 v1, s26, v0
	v_mul_lo_u32 v0, v1, s24
	v_sub_u32_e32 v0, v24, v0
	v_mul_lo_u32 v2, v0, s21
	s_andn2_b64 vcc, exec, s[42:43]
	v_mul_lo_u32 v0, v0, s20
	s_cbranch_vccnz .LBB407_236
; %bb.235:
	v_mul_hi_u32 v3, s40, v1
	v_add_u32_e32 v3, v1, v3
	v_lshrrev_b32_e32 v3, s41, v3
	v_mul_lo_u32 v3, v3, s27
	v_sub_u32_e32 v3, v1, v3
	v_mad_u64_u32 v[0:1], s[0:1], v3, s22, v[0:1]
	v_mad_u64_u32 v[2:3], s[0:1], v3, s23, v[2:3]
.LBB407_236:
	s_waitcnt lgkmcnt(0)
	global_load_ushort v1, v2, s[18:19]
	v_mov_b32_e32 v2, s55
	v_add_u32_e32 v24, 0x80, v24
	s_waitcnt vmcnt(0)
	v_cmp_u_f16_e32 vcc, v1, v1
	v_cmp_lt_f16_e64 s[0:1], s55, v1
	s_or_b64 vcc, vcc, s[0:1]
	v_cndmask_b32_e32 v1, v2, v1, vcc
	global_store_short v0, v1, s[16:17]
	s_or_b64 exec, exec, s[48:49]
	v_cmp_gt_i32_e32 vcc, s56, v24
	s_and_saveexec_b64 s[48:49], vcc
	s_cbranch_execz .LBB407_227
.LBB407_237:
	s_andn2_b64 vcc, exec, s[36:37]
	s_cbranch_vccnz .LBB407_243
; %bb.238:
	s_andn2_b64 vcc, exec, s[46:47]
	s_cbranch_vccnz .LBB407_244
; %bb.239:
	s_add_i32 s57, s57, 1
	s_cmp_eq_u32 s54, 2
	s_cbranch_scc1 .LBB407_245
; %bb.240:
	s_and_b32 s50, s57, 28
	s_mov_b32 s51, 0
	v_mov_b32_e32 v0, 0
	v_mov_b32_e32 v2, 0
	s_mov_b64 s[46:47], s[34:35]
	v_mov_b32_e32 v4, v24
.LBB407_241:                            ; =>This Inner Loop Header: Depth=1
	s_load_dwordx8 s[8:15], s[46:47], 0x4
	s_load_dwordx4 s[28:31], s[46:47], 0x24
	s_load_dwordx8 s[0:7], s[44:45], 0x0
	s_add_u32 s46, s46, 48
	s_addc_u32 s47, s47, 0
	s_waitcnt lgkmcnt(0)
	v_mul_hi_u32 v1, s9, v4
	v_add_u32_e32 v1, v4, v1
	v_lshrrev_b32_e32 v1, s10, v1
	v_mul_lo_u32 v3, v1, s8
	v_mul_hi_u32 v5, s12, v1
	v_sub_u32_e32 v3, v4, v3
	v_add_u32_e32 v4, v1, v5
	v_lshrrev_b32_e32 v4, s13, v4
	v_mul_lo_u32 v6, v4, s11
	v_mul_hi_u32 v7, s15, v4
	v_sub_u32_e32 v1, v1, v6
	v_add_u32_e32 v6, v4, v7
	v_mul_lo_u32 v5, v3, s1
	v_mul_lo_u32 v3, v3, s0
	;; [unrolled: 1-line block ×4, first 2 shown]
	v_lshrrev_b32_e32 v6, s28, v6
	v_add3_u32 v0, v3, v0, v1
	v_mul_hi_u32 v3, s30, v6
	v_add3_u32 v1, v5, v2, v7
	v_mul_lo_u32 v2, v6, s14
	v_add_u32_e32 v3, v6, v3
	v_sub_u32_e32 v2, v4, v2
	v_lshrrev_b32_e32 v4, s31, v3
	s_add_i32 s51, s51, 4
	v_mul_lo_u32 v3, v4, s29
	s_add_u32 s44, s44, 32
	v_sub_u32_e32 v3, v6, v3
	s_addc_u32 s45, s45, 0
	v_mul_lo_u32 v5, v2, s4
	v_mul_lo_u32 v2, v2, s5
	;; [unrolled: 1-line block ×4, first 2 shown]
	s_cmp_eq_u32 s50, s51
	v_add3_u32 v2, v2, v1, v3
	v_add3_u32 v0, v5, v0, v6
	s_cbranch_scc0 .LBB407_241
; %bb.242:
	v_mov_b32_e32 v1, v2
	s_branch .LBB407_246
.LBB407_243:
                                        ; implicit-def: $vgpr2
                                        ; implicit-def: $vgpr0
	s_branch .LBB407_250
.LBB407_244:
	v_mov_b32_e32 v2, 0
	v_mov_b32_e32 v0, 0
	s_branch .LBB407_249
.LBB407_245:
	v_mov_b32_e32 v0, 0
	s_mov_b32 s50, 0
	v_mov_b32_e32 v1, v0
                                        ; implicit-def: $vgpr2
	v_mov_b32_e32 v4, v24
.LBB407_246:
	s_and_b32 s4, s57, 3
	s_cmp_eq_u32 s4, 0
	s_cbranch_scc1 .LBB407_249
; %bb.247:
	s_lshl_b32 s0, s50, 3
	s_add_u32 s0, s34, s0
	s_addc_u32 s1, s35, 0
	s_add_u32 s0, s0, 0xc4
	s_addc_u32 s1, s1, 0
	s_mul_i32 s2, s50, 12
	s_add_u32 s2, s34, s2
	s_addc_u32 s3, s35, 0
.LBB407_248:                            ; =>This Inner Loop Header: Depth=1
	s_load_dwordx2 s[6:7], s[2:3], 0x4
	s_load_dword s5, s[2:3], 0xc
	s_load_dwordx2 s[8:9], s[0:1], 0x0
	v_mov_b32_e32 v2, v1
	s_add_u32 s2, s2, 12
	s_waitcnt lgkmcnt(0)
	v_mul_hi_u32 v1, s7, v4
	v_add_u32_e32 v1, v4, v1
	v_lshrrev_b32_e32 v1, s5, v1
	s_addc_u32 s3, s3, 0
	v_mul_lo_u32 v3, v1, s6
	s_add_u32 s0, s0, 8
	v_sub_u32_e32 v5, v4, v3
	s_addc_u32 s1, s1, 0
	s_add_i32 s4, s4, -1
	v_mov_b32_e32 v4, v1
	v_mad_u64_u32 v[2:3], s[6:7], v5, s9, v[2:3]
	v_mad_u64_u32 v[0:1], s[6:7], v5, s8, v[0:1]
	s_cmp_lg_u32 s4, 0
	v_mov_b32_e32 v1, v2
	s_cbranch_scc1 .LBB407_248
.LBB407_249:
	s_cbranch_execnz .LBB407_252
.LBB407_250:
	s_waitcnt lgkmcnt(0)
	v_mul_hi_u32 v0, s25, v24
	v_add_u32_e32 v0, v24, v0
	v_lshrrev_b32_e32 v1, s26, v0
	v_mul_lo_u32 v0, v1, s24
	v_sub_u32_e32 v0, v24, v0
	v_mul_lo_u32 v2, v0, s21
	s_andn2_b64 vcc, exec, s[42:43]
	v_mul_lo_u32 v0, v0, s20
	s_cbranch_vccnz .LBB407_252
; %bb.251:
	v_mul_hi_u32 v3, s40, v1
	v_add_u32_e32 v3, v1, v3
	v_lshrrev_b32_e32 v3, s41, v3
	v_mul_lo_u32 v3, v3, s27
	v_sub_u32_e32 v3, v1, v3
	v_mad_u64_u32 v[0:1], s[0:1], v3, s22, v[0:1]
	v_mad_u64_u32 v[2:3], s[0:1], v3, s23, v[2:3]
.LBB407_252:
	s_waitcnt lgkmcnt(0)
	global_load_ushort v1, v2, s[18:19]
	v_mov_b32_e32 v2, s55
	s_waitcnt vmcnt(0)
	v_cmp_u_f16_e32 vcc, v1, v1
	v_cmp_lt_f16_e64 s[0:1], s55, v1
	s_or_b64 vcc, vcc, s[0:1]
	v_cndmask_b32_e32 v1, v2, v1, vcc
	global_store_short v0, v1, s[16:17]
	s_or_b64 exec, exec, s[48:49]
                                        ; implicit-def: $vgpr32
                                        ; implicit-def: $vgpr24
	s_andn2_saveexec_b64 s[0:1], s[38:39]
	s_cbranch_execz .LBB407_228
	s_branch .LBB407_9
	.section	.rodata,"a",@progbits
	.p2align	6, 0x0
	.amdhsa_kernel _ZN2at6native32elementwise_kernel_manual_unrollILi128ELi8EZNS0_22gpu_kernel_impl_nocastIZZZNS0_21clamp_min_kernel_cudaERNS_18TensorIteratorBaseERKN3c106ScalarEENKUlvE_clEvENKUlvE6_clEvEUlNS5_4HalfEE_EEvS4_RKT_EUlibE_EEviT1_
		.amdhsa_group_segment_fixed_size 0
		.amdhsa_private_segment_fixed_size 0
		.amdhsa_kernarg_size 360
		.amdhsa_user_sgpr_count 2
		.amdhsa_user_sgpr_dispatch_ptr 0
		.amdhsa_user_sgpr_queue_ptr 0
		.amdhsa_user_sgpr_kernarg_segment_ptr 1
		.amdhsa_user_sgpr_dispatch_id 0
		.amdhsa_user_sgpr_kernarg_preload_length 0
		.amdhsa_user_sgpr_kernarg_preload_offset 0
		.amdhsa_user_sgpr_private_segment_size 0
		.amdhsa_uses_dynamic_stack 0
		.amdhsa_enable_private_segment 0
		.amdhsa_system_sgpr_workgroup_id_x 1
		.amdhsa_system_sgpr_workgroup_id_y 0
		.amdhsa_system_sgpr_workgroup_id_z 0
		.amdhsa_system_sgpr_workgroup_info 0
		.amdhsa_system_vgpr_workitem_id 0
		.amdhsa_next_free_vgpr 33
		.amdhsa_next_free_sgpr 61
		.amdhsa_accum_offset 36
		.amdhsa_reserve_vcc 1
		.amdhsa_float_round_mode_32 0
		.amdhsa_float_round_mode_16_64 0
		.amdhsa_float_denorm_mode_32 3
		.amdhsa_float_denorm_mode_16_64 3
		.amdhsa_dx10_clamp 1
		.amdhsa_ieee_mode 1
		.amdhsa_fp16_overflow 0
		.amdhsa_tg_split 0
		.amdhsa_exception_fp_ieee_invalid_op 0
		.amdhsa_exception_fp_denorm_src 0
		.amdhsa_exception_fp_ieee_div_zero 0
		.amdhsa_exception_fp_ieee_overflow 0
		.amdhsa_exception_fp_ieee_underflow 0
		.amdhsa_exception_fp_ieee_inexact 0
		.amdhsa_exception_int_div_zero 0
	.end_amdhsa_kernel
	.section	.text._ZN2at6native32elementwise_kernel_manual_unrollILi128ELi8EZNS0_22gpu_kernel_impl_nocastIZZZNS0_21clamp_min_kernel_cudaERNS_18TensorIteratorBaseERKN3c106ScalarEENKUlvE_clEvENKUlvE6_clEvEUlNS5_4HalfEE_EEvS4_RKT_EUlibE_EEviT1_,"axG",@progbits,_ZN2at6native32elementwise_kernel_manual_unrollILi128ELi8EZNS0_22gpu_kernel_impl_nocastIZZZNS0_21clamp_min_kernel_cudaERNS_18TensorIteratorBaseERKN3c106ScalarEENKUlvE_clEvENKUlvE6_clEvEUlNS5_4HalfEE_EEvS4_RKT_EUlibE_EEviT1_,comdat
.Lfunc_end407:
	.size	_ZN2at6native32elementwise_kernel_manual_unrollILi128ELi8EZNS0_22gpu_kernel_impl_nocastIZZZNS0_21clamp_min_kernel_cudaERNS_18TensorIteratorBaseERKN3c106ScalarEENKUlvE_clEvENKUlvE6_clEvEUlNS5_4HalfEE_EEvS4_RKT_EUlibE_EEviT1_, .Lfunc_end407-_ZN2at6native32elementwise_kernel_manual_unrollILi128ELi8EZNS0_22gpu_kernel_impl_nocastIZZZNS0_21clamp_min_kernel_cudaERNS_18TensorIteratorBaseERKN3c106ScalarEENKUlvE_clEvENKUlvE6_clEvEUlNS5_4HalfEE_EEvS4_RKT_EUlibE_EEviT1_
                                        ; -- End function
	.set _ZN2at6native32elementwise_kernel_manual_unrollILi128ELi8EZNS0_22gpu_kernel_impl_nocastIZZZNS0_21clamp_min_kernel_cudaERNS_18TensorIteratorBaseERKN3c106ScalarEENKUlvE_clEvENKUlvE6_clEvEUlNS5_4HalfEE_EEvS4_RKT_EUlibE_EEviT1_.num_vgpr, 33
	.set _ZN2at6native32elementwise_kernel_manual_unrollILi128ELi8EZNS0_22gpu_kernel_impl_nocastIZZZNS0_21clamp_min_kernel_cudaERNS_18TensorIteratorBaseERKN3c106ScalarEENKUlvE_clEvENKUlvE6_clEvEUlNS5_4HalfEE_EEvS4_RKT_EUlibE_EEviT1_.num_agpr, 0
	.set _ZN2at6native32elementwise_kernel_manual_unrollILi128ELi8EZNS0_22gpu_kernel_impl_nocastIZZZNS0_21clamp_min_kernel_cudaERNS_18TensorIteratorBaseERKN3c106ScalarEENKUlvE_clEvENKUlvE6_clEvEUlNS5_4HalfEE_EEvS4_RKT_EUlibE_EEviT1_.numbered_sgpr, 61
	.set _ZN2at6native32elementwise_kernel_manual_unrollILi128ELi8EZNS0_22gpu_kernel_impl_nocastIZZZNS0_21clamp_min_kernel_cudaERNS_18TensorIteratorBaseERKN3c106ScalarEENKUlvE_clEvENKUlvE6_clEvEUlNS5_4HalfEE_EEvS4_RKT_EUlibE_EEviT1_.num_named_barrier, 0
	.set _ZN2at6native32elementwise_kernel_manual_unrollILi128ELi8EZNS0_22gpu_kernel_impl_nocastIZZZNS0_21clamp_min_kernel_cudaERNS_18TensorIteratorBaseERKN3c106ScalarEENKUlvE_clEvENKUlvE6_clEvEUlNS5_4HalfEE_EEvS4_RKT_EUlibE_EEviT1_.private_seg_size, 0
	.set _ZN2at6native32elementwise_kernel_manual_unrollILi128ELi8EZNS0_22gpu_kernel_impl_nocastIZZZNS0_21clamp_min_kernel_cudaERNS_18TensorIteratorBaseERKN3c106ScalarEENKUlvE_clEvENKUlvE6_clEvEUlNS5_4HalfEE_EEvS4_RKT_EUlibE_EEviT1_.uses_vcc, 1
	.set _ZN2at6native32elementwise_kernel_manual_unrollILi128ELi8EZNS0_22gpu_kernel_impl_nocastIZZZNS0_21clamp_min_kernel_cudaERNS_18TensorIteratorBaseERKN3c106ScalarEENKUlvE_clEvENKUlvE6_clEvEUlNS5_4HalfEE_EEvS4_RKT_EUlibE_EEviT1_.uses_flat_scratch, 0
	.set _ZN2at6native32elementwise_kernel_manual_unrollILi128ELi8EZNS0_22gpu_kernel_impl_nocastIZZZNS0_21clamp_min_kernel_cudaERNS_18TensorIteratorBaseERKN3c106ScalarEENKUlvE_clEvENKUlvE6_clEvEUlNS5_4HalfEE_EEvS4_RKT_EUlibE_EEviT1_.has_dyn_sized_stack, 0
	.set _ZN2at6native32elementwise_kernel_manual_unrollILi128ELi8EZNS0_22gpu_kernel_impl_nocastIZZZNS0_21clamp_min_kernel_cudaERNS_18TensorIteratorBaseERKN3c106ScalarEENKUlvE_clEvENKUlvE6_clEvEUlNS5_4HalfEE_EEvS4_RKT_EUlibE_EEviT1_.has_recursion, 0
	.set _ZN2at6native32elementwise_kernel_manual_unrollILi128ELi8EZNS0_22gpu_kernel_impl_nocastIZZZNS0_21clamp_min_kernel_cudaERNS_18TensorIteratorBaseERKN3c106ScalarEENKUlvE_clEvENKUlvE6_clEvEUlNS5_4HalfEE_EEvS4_RKT_EUlibE_EEviT1_.has_indirect_call, 0
	.section	.AMDGPU.csdata,"",@progbits
; Kernel info:
; codeLenInByte = 11792
; TotalNumSgprs: 67
; NumVgprs: 33
; NumAgprs: 0
; TotalNumVgprs: 33
; ScratchSize: 0
; MemoryBound: 0
; FloatMode: 240
; IeeeMode: 1
; LDSByteSize: 0 bytes/workgroup (compile time only)
; SGPRBlocks: 8
; VGPRBlocks: 4
; NumSGPRsForWavesPerEU: 67
; NumVGPRsForWavesPerEU: 33
; AccumOffset: 36
; Occupancy: 8
; WaveLimiterHint : 1
; COMPUTE_PGM_RSRC2:SCRATCH_EN: 0
; COMPUTE_PGM_RSRC2:USER_SGPR: 2
; COMPUTE_PGM_RSRC2:TRAP_HANDLER: 0
; COMPUTE_PGM_RSRC2:TGID_X_EN: 1
; COMPUTE_PGM_RSRC2:TGID_Y_EN: 0
; COMPUTE_PGM_RSRC2:TGID_Z_EN: 0
; COMPUTE_PGM_RSRC2:TIDIG_COMP_CNT: 0
; COMPUTE_PGM_RSRC3_GFX90A:ACCUM_OFFSET: 8
; COMPUTE_PGM_RSRC3_GFX90A:TG_SPLIT: 0
	.section	.text._ZN2at6native32elementwise_kernel_manual_unrollILi128ELi4EZNS0_15gpu_kernel_implIZZZNS0_21clamp_min_kernel_cudaERNS_18TensorIteratorBaseERKN3c106ScalarEENKUlvE_clEvENKUlvE6_clEvEUlNS5_4HalfEE_EEvS4_RKT_EUlibE_EEviT1_,"axG",@progbits,_ZN2at6native32elementwise_kernel_manual_unrollILi128ELi4EZNS0_15gpu_kernel_implIZZZNS0_21clamp_min_kernel_cudaERNS_18TensorIteratorBaseERKN3c106ScalarEENKUlvE_clEvENKUlvE6_clEvEUlNS5_4HalfEE_EEvS4_RKT_EUlibE_EEviT1_,comdat
	.globl	_ZN2at6native32elementwise_kernel_manual_unrollILi128ELi4EZNS0_15gpu_kernel_implIZZZNS0_21clamp_min_kernel_cudaERNS_18TensorIteratorBaseERKN3c106ScalarEENKUlvE_clEvENKUlvE6_clEvEUlNS5_4HalfEE_EEvS4_RKT_EUlibE_EEviT1_ ; -- Begin function _ZN2at6native32elementwise_kernel_manual_unrollILi128ELi4EZNS0_15gpu_kernel_implIZZZNS0_21clamp_min_kernel_cudaERNS_18TensorIteratorBaseERKN3c106ScalarEENKUlvE_clEvENKUlvE6_clEvEUlNS5_4HalfEE_EEvS4_RKT_EUlibE_EEviT1_
	.p2align	8
	.type	_ZN2at6native32elementwise_kernel_manual_unrollILi128ELi4EZNS0_15gpu_kernel_implIZZZNS0_21clamp_min_kernel_cudaERNS_18TensorIteratorBaseERKN3c106ScalarEENKUlvE_clEvENKUlvE6_clEvEUlNS5_4HalfEE_EEvS4_RKT_EUlibE_EEviT1_,@function
_ZN2at6native32elementwise_kernel_manual_unrollILi128ELi4EZNS0_15gpu_kernel_implIZZZNS0_21clamp_min_kernel_cudaERNS_18TensorIteratorBaseERKN3c106ScalarEENKUlvE_clEvENKUlvE6_clEvEUlNS5_4HalfEE_EEvS4_RKT_EUlibE_EEviT1_: ; @_ZN2at6native32elementwise_kernel_manual_unrollILi128ELi4EZNS0_15gpu_kernel_implIZZZNS0_21clamp_min_kernel_cudaERNS_18TensorIteratorBaseERKN3c106ScalarEENKUlvE_clEvENKUlvE6_clEvEUlNS5_4HalfEE_EEvS4_RKT_EUlibE_EEviT1_
; %bb.0:
	s_load_dword s33, s[0:1], 0x20
	s_load_dwordx2 s[8:9], s[0:1], 0x18
	s_load_dword s38, s[0:1], 0x0
	s_load_dwordx4 s[4:7], s[0:1], 0x8
	v_lshl_or_b32 v4, s2, 9, v0
	v_or_b32_e32 v0, 0x180, v4
	s_waitcnt lgkmcnt(0)
	s_lshr_b32 s42, s33, 16
	s_lshr_b32 s43, s33, 24
	v_cmp_le_i32_e32 vcc, s38, v0
	s_mov_b64 s[2:3], 0
	s_mov_b64 s[12:13], 0
	s_and_saveexec_b64 s[0:1], vcc
	s_xor_b64 s[10:11], exec, s[0:1]
	s_cbranch_execz .LBB408_1027
; %bb.1:
	v_cmp_gt_i32_e32 vcc, s38, v4
	s_mov_b64 s[18:19], -1
	s_mov_b64 s[20:21], 0
	s_mov_b64 s[14:15], 0
	s_and_saveexec_b64 s[16:17], vcc
	s_cbranch_execz .LBB408_252
; %bb.2:
	v_mul_lo_u32 v0, v4, s9
	v_ashrrev_i32_e32 v1, 31, v0
	s_and_b32 s22, 0xffff, s43
	s_cmp_lt_i32 s22, 11
	v_lshl_add_u64 v[0:1], s[6:7], 0, v[0:1]
	s_cbranch_scc1 .LBB408_9
; %bb.3:
	s_cmp_gt_i32 s22, 25
	s_cbranch_scc0 .LBB408_18
; %bb.4:
	s_cmp_gt_i32 s22, 28
	s_cbranch_scc0 .LBB408_22
	;; [unrolled: 3-line block ×4, first 2 shown]
; %bb.7:
	s_cmp_eq_u32 s22, 46
	s_cbranch_scc0 .LBB408_28
; %bb.8:
	global_load_dword v2, v[0:1], off
	s_mov_b64 s[0:1], -1
	s_waitcnt vmcnt(0)
	v_lshlrev_b32_e32 v2, 16, v2
	v_cvt_f16_f32_e32 v2, v2
	s_branch .LBB408_30
.LBB408_9:
                                        ; implicit-def: $vgpr2
	s_mov_b64 s[0:1], 0
	s_cbranch_execnz .LBB408_203
.LBB408_10:
	s_andn2_b64 vcc, exec, s[0:1]
	s_cbranch_vccnz .LBB408_250
.LBB408_11:
	s_waitcnt vmcnt(0)
	v_cmp_u_f16_e32 vcc, v2, v2
	v_cmp_lt_f16_e64 s[0:1], s33, v2
	v_mov_b32_e32 v0, s33
	s_or_b64 vcc, vcc, s[0:1]
	v_cndmask_b32_e32 v2, v0, v2, vcc
	v_mul_lo_u32 v0, v4, s8
	v_ashrrev_i32_e32 v1, 31, v0
	s_and_b32 s24, s42, 0xff
	s_cmp_lt_i32 s24, 11
	v_lshl_add_u64 v[0:1], s[4:5], 0, v[0:1]
	s_cbranch_scc1 .LBB408_19
; %bb.12:
	s_and_b32 s25, 0xffff, s24
	s_cmp_gt_i32 s25, 25
	s_cbranch_scc0 .LBB408_23
; %bb.13:
	s_cmp_gt_i32 s25, 28
	s_cbranch_scc0 .LBB408_25
; %bb.14:
	;; [unrolled: 3-line block ×4, first 2 shown]
	s_mov_b64 s[18:19], 0
	s_mov_b64 s[0:1], -1
	s_cmp_eq_u32 s25, 46
	s_mov_b64 s[12:13], 0
	s_cbranch_scc0 .LBB408_34
; %bb.17:
	v_cvt_f32_f16_e32 v3, v2
	s_movk_i32 s0, 0x7fff
	v_cmp_o_f16_e32 vcc, v2, v2
	v_mov_b32_e32 v5, 0x7fc0
	v_bfe_u32 v6, v3, 16, 1
	v_add3_u32 v3, v3, v6, s0
	v_cndmask_b32_sdwa v3, v5, v3, vcc dst_sel:DWORD dst_unused:UNUSED_PAD src0_sel:DWORD src1_sel:WORD_1
	global_store_dword v[0:1], v3, off
	s_mov_b64 s[12:13], -1
	s_mov_b64 s[0:1], 0
	s_branch .LBB408_34
.LBB408_18:
	s_mov_b64 s[0:1], 0
                                        ; implicit-def: $vgpr2
	s_cbranch_execnz .LBB408_168
	s_branch .LBB408_202
.LBB408_19:
	s_mov_b64 s[0:1], 0
	s_mov_b64 s[12:13], 0
	s_cbranch_execnz .LBB408_103
.LBB408_20:
	s_andn2_b64 vcc, exec, s[12:13]
	s_cbranch_vccnz .LBB408_141
.LBB408_21:
	v_add_u32_e32 v4, 0x80, v4
	s_mov_b64 s[18:19], -1
	s_branch .LBB408_251
.LBB408_22:
	s_mov_b64 s[12:13], -1
	s_mov_b64 s[0:1], 0
                                        ; implicit-def: $vgpr2
	s_branch .LBB408_149
.LBB408_23:
	s_mov_b64 s[18:19], -1
	s_mov_b64 s[0:1], 0
	s_mov_b64 s[12:13], 0
	s_branch .LBB408_61
.LBB408_24:
	s_mov_b64 s[12:13], -1
	s_mov_b64 s[0:1], 0
                                        ; implicit-def: $vgpr2
	s_branch .LBB408_144
.LBB408_25:
	s_mov_b64 s[18:19], -1
	s_mov_b64 s[0:1], 0
	s_mov_b64 s[12:13], 0
	s_branch .LBB408_44
.LBB408_26:
	s_mov_b64 s[12:13], -1
	s_branch .LBB408_29
.LBB408_27:
	s_mov_b64 s[18:19], -1
	s_mov_b64 s[0:1], 0
	s_mov_b64 s[12:13], 0
	s_branch .LBB408_40
.LBB408_28:
	s_mov_b64 s[14:15], -1
.LBB408_29:
	s_mov_b64 s[0:1], 0
                                        ; implicit-def: $vgpr2
.LBB408_30:
	s_and_b64 vcc, exec, s[12:13]
	s_cbranch_vccz .LBB408_143
; %bb.31:
	s_cmp_eq_u32 s22, 44
	s_cbranch_scc0 .LBB408_142
; %bb.32:
	global_load_ubyte v2, v[0:1], off
	s_movk_i32 s12, 0xff
	v_mov_b32_e32 v5, 0x7e00
	s_mov_b64 s[0:1], -1
	s_mov_b64 s[14:15], 0
	s_waitcnt vmcnt(0)
	v_lshlrev_b32_e32 v3, 23, v2
	v_cvt_f16_f32_e32 v3, v3
	v_cmp_ne_u32_e32 vcc, s12, v2
	s_nop 1
	v_cndmask_b32_e32 v3, v5, v3, vcc
	v_cmp_ne_u32_e32 vcc, 0, v2
	s_nop 1
	v_cndmask_b32_e32 v2, 0, v3, vcc
	s_branch .LBB408_143
.LBB408_33:
	s_mov_b64 s[18:19], -1
	s_mov_b64 s[0:1], 0
	s_mov_b64 s[12:13], 0
.LBB408_34:
	s_and_b64 vcc, exec, s[18:19]
	s_cbranch_vccz .LBB408_39
; %bb.35:
	s_cmp_eq_u32 s25, 44
	s_mov_b64 s[0:1], -1
	s_cbranch_scc0 .LBB408_39
; %bb.36:
	v_cvt_f32_f16_e32 v3, v2
	s_movk_i32 s0, 0xff
	v_mov_b32_e32 v6, 0xff
	v_bfe_u32 v5, v3, 23, 8
	v_cmp_ne_u32_e32 vcc, s0, v5
	s_and_saveexec_b64 s[12:13], vcc
; %bb.37:
	s_mov_b32 s0, 0x3fffff
	v_lshrrev_b32_e32 v6, 23, v3
	v_and_b32_e32 v7, 0x400000, v3
	v_and_or_b32 v3, v3, s0, v5
	v_cmp_ne_u32_e32 vcc, 0, v7
	v_cmp_ne_u32_e64 s[0:1], 0, v3
	s_and_b64 s[0:1], vcc, s[0:1]
	s_nop 0
	v_cndmask_b32_e64 v3, 0, 1, s[0:1]
	v_add_u32_e32 v6, v6, v3
; %bb.38:
	s_or_b64 exec, exec, s[12:13]
	s_mov_b64 s[12:13], -1
	s_mov_b64 s[0:1], 0
	global_store_byte v[0:1], v6, off
.LBB408_39:
	s_mov_b64 s[18:19], 0
.LBB408_40:
	s_and_b64 vcc, exec, s[18:19]
	s_cbranch_vccz .LBB408_43
; %bb.41:
	s_cmp_eq_u32 s25, 29
	s_mov_b64 s[0:1], -1
	s_cbranch_scc0 .LBB408_43
; %bb.42:
	v_cvt_f32_f16_e32 v3, v2
	v_mov_b32_e32 v7, 0
	s_mov_b64 s[12:13], -1
	s_mov_b64 s[0:1], 0
	v_cvt_u32_f32_e32 v6, v3
	s_mov_b64 s[18:19], 0
	global_store_dwordx2 v[0:1], v[6:7], off
	s_branch .LBB408_44
.LBB408_43:
	s_mov_b64 s[18:19], 0
.LBB408_44:
	s_and_b64 vcc, exec, s[18:19]
	s_cbranch_vccz .LBB408_60
; %bb.45:
	s_cmp_lt_i32 s25, 27
	s_mov_b64 s[12:13], -1
	s_cbranch_scc1 .LBB408_51
; %bb.46:
	s_cmp_gt_i32 s25, 27
	s_cbranch_scc0 .LBB408_48
; %bb.47:
	v_cvt_f32_f16_e32 v3, v2
	s_mov_b64 s[12:13], 0
	v_cvt_u32_f32_e32 v3, v3
	global_store_dword v[0:1], v3, off
.LBB408_48:
	s_andn2_b64 vcc, exec, s[12:13]
	s_cbranch_vccnz .LBB408_50
; %bb.49:
	v_cvt_u16_f16_e32 v3, v2
	global_store_short v[0:1], v3, off
.LBB408_50:
	s_mov_b64 s[12:13], 0
.LBB408_51:
	s_andn2_b64 vcc, exec, s[12:13]
	s_cbranch_vccnz .LBB408_59
; %bb.52:
	v_cvt_f32_f16_e32 v3, v2
	s_mov_b32 s12, 0x43800000
	v_mov_b32_e32 v6, 0x80
	v_and_b32_e32 v5, 0x7fffffff, v3
	v_cmp_gt_u32_e32 vcc, s12, v5
	s_and_saveexec_b64 s[12:13], vcc
	s_cbranch_execz .LBB408_58
; %bb.53:
	s_mov_b32 s18, 0x3bffffff
	v_cmp_lt_u32_e32 vcc, s18, v5
	s_mov_b64 s[18:19], 0
                                        ; implicit-def: $vgpr5
	s_and_saveexec_b64 s[22:23], vcc
	s_xor_b64 s[22:23], exec, s[22:23]
	s_cbranch_execz .LBB408_279
; %bb.54:
	v_bfe_u32 v5, v3, 20, 1
	s_mov_b32 s26, 0x487ffff
	v_add3_u32 v5, v3, v5, s26
	s_mov_b64 s[18:19], exec
	v_lshrrev_b32_e32 v5, 20, v5
	s_andn2_saveexec_b64 s[22:23], s[22:23]
	s_cbranch_execnz .LBB408_280
.LBB408_55:
	s_or_b64 exec, exec, s[22:23]
	v_mov_b32_e32 v6, 0
	s_and_saveexec_b64 s[22:23], s[18:19]
.LBB408_56:
	v_lshrrev_b32_e32 v3, 24, v3
	s_movk_i32 s18, 0x80
	v_and_or_b32 v6, v3, s18, v5
.LBB408_57:
	s_or_b64 exec, exec, s[22:23]
.LBB408_58:
	s_or_b64 exec, exec, s[12:13]
	global_store_byte v[0:1], v6, off
.LBB408_59:
	s_mov_b64 s[12:13], -1
.LBB408_60:
	s_mov_b64 s[18:19], 0
.LBB408_61:
	s_and_b64 vcc, exec, s[18:19]
	s_cbranch_vccz .LBB408_102
; %bb.62:
	s_cmp_gt_i32 s25, 22
	s_mov_b64 s[18:19], -1
	s_cbranch_scc0 .LBB408_94
; %bb.63:
	s_cmp_lt_i32 s25, 24
	s_mov_b64 s[12:13], -1
	s_cbranch_scc1 .LBB408_83
; %bb.64:
	s_cmp_gt_i32 s25, 24
	s_cbranch_scc0 .LBB408_72
; %bb.65:
	v_cvt_f32_f16_e32 v3, v2
	s_mov_b32 s12, 0x47800000
	v_mov_b32_e32 v6, 0x80
	v_and_b32_e32 v5, 0x7fffffff, v3
	v_cmp_gt_u32_e32 vcc, s12, v5
	s_and_saveexec_b64 s[12:13], vcc
	s_cbranch_execz .LBB408_71
; %bb.66:
	s_mov_b32 s18, 0x37ffffff
	v_cmp_lt_u32_e32 vcc, s18, v5
	s_mov_b64 s[18:19], 0
                                        ; implicit-def: $vgpr5
	s_and_saveexec_b64 s[22:23], vcc
	s_xor_b64 s[22:23], exec, s[22:23]
	s_cbranch_execz .LBB408_283
; %bb.67:
	v_bfe_u32 v5, v3, 21, 1
	s_mov_b32 s26, 0x88fffff
	v_add3_u32 v5, v3, v5, s26
	s_mov_b64 s[18:19], exec
	v_lshrrev_b32_e32 v5, 21, v5
	s_andn2_saveexec_b64 s[22:23], s[22:23]
	s_cbranch_execnz .LBB408_284
.LBB408_68:
	s_or_b64 exec, exec, s[22:23]
	v_mov_b32_e32 v6, 0
	s_and_saveexec_b64 s[22:23], s[18:19]
.LBB408_69:
	v_lshrrev_b32_e32 v3, 24, v3
	s_movk_i32 s18, 0x80
	v_and_or_b32 v6, v3, s18, v5
.LBB408_70:
	s_or_b64 exec, exec, s[22:23]
.LBB408_71:
	s_or_b64 exec, exec, s[12:13]
	s_mov_b64 s[12:13], 0
	global_store_byte v[0:1], v6, off
.LBB408_72:
	s_and_b64 vcc, exec, s[12:13]
	s_cbranch_vccz .LBB408_82
; %bb.73:
	v_cvt_f32_f16_e32 v3, v2
	s_mov_b32 s12, 0x43f00000
                                        ; implicit-def: $vgpr5
	v_and_b32_e32 v6, 0x7fffffff, v3
	v_cmp_gt_u32_e32 vcc, s12, v6
	s_and_saveexec_b64 s[12:13], vcc
	s_xor_b64 s[12:13], exec, s[12:13]
	s_cbranch_execz .LBB408_79
; %bb.74:
	s_mov_b32 s18, 0x3c7fffff
	v_cmp_lt_u32_e32 vcc, s18, v6
                                        ; implicit-def: $vgpr5
	s_and_saveexec_b64 s[18:19], vcc
	s_xor_b64 s[18:19], exec, s[18:19]
; %bb.75:
	v_bfe_u32 v5, v3, 20, 1
	s_mov_b32 s22, 0x407ffff
	v_add3_u32 v5, v3, v5, s22
	v_lshrrev_b32_e32 v6, 20, v5
	v_and_b32_e32 v5, 0xff00000, v5
	s_mov_b32 s22, 0x7f00000
	v_mov_b32_e32 v7, 0x7e
	v_cmp_ne_u32_e32 vcc, s22, v5
	s_nop 1
	v_cndmask_b32_e32 v5, v7, v6, vcc
; %bb.76:
	s_andn2_saveexec_b64 s[18:19], s[18:19]
; %bb.77:
	s_mov_b32 s22, 0x46800000
	v_add_f32_e64 v5, |v3|, s22
; %bb.78:
	s_or_b64 exec, exec, s[18:19]
                                        ; implicit-def: $vgpr6
.LBB408_79:
	s_andn2_saveexec_b64 s[12:13], s[12:13]
; %bb.80:
	s_mov_b32 s18, 0x7f800000
	v_mov_b32_e32 v5, 0x7e
	v_mov_b32_e32 v7, 0x7f
	v_cmp_lt_u32_e32 vcc, s18, v6
	s_nop 1
	v_cndmask_b32_e32 v5, v5, v7, vcc
; %bb.81:
	s_or_b64 exec, exec, s[12:13]
	v_lshrrev_b32_e32 v3, 24, v3
	s_movk_i32 s12, 0x80
	v_and_or_b32 v3, v3, s12, v5
	global_store_byte v[0:1], v3, off
.LBB408_82:
	s_mov_b64 s[12:13], 0
.LBB408_83:
	s_andn2_b64 vcc, exec, s[12:13]
	s_cbranch_vccnz .LBB408_93
; %bb.84:
	v_cvt_f32_f16_e32 v3, v2
	s_mov_b32 s12, 0x47800000
                                        ; implicit-def: $vgpr5
	v_and_b32_e32 v6, 0x7fffffff, v3
	v_cmp_gt_u32_e32 vcc, s12, v6
	s_and_saveexec_b64 s[12:13], vcc
	s_xor_b64 s[12:13], exec, s[12:13]
	s_cbranch_execz .LBB408_90
; %bb.85:
	s_mov_b32 s18, 0x387fffff
	v_cmp_lt_u32_e32 vcc, s18, v6
                                        ; implicit-def: $vgpr5
	s_and_saveexec_b64 s[18:19], vcc
	s_xor_b64 s[18:19], exec, s[18:19]
; %bb.86:
	v_bfe_u32 v5, v3, 21, 1
	s_mov_b32 s22, 0x80fffff
	v_add3_u32 v5, v3, v5, s22
	v_lshrrev_b32_e32 v5, 21, v5
; %bb.87:
	s_andn2_saveexec_b64 s[18:19], s[18:19]
; %bb.88:
	s_mov_b32 s22, 0x43000000
	v_add_f32_e64 v5, |v3|, s22
; %bb.89:
	s_or_b64 exec, exec, s[18:19]
                                        ; implicit-def: $vgpr6
.LBB408_90:
	s_andn2_saveexec_b64 s[12:13], s[12:13]
; %bb.91:
	s_mov_b32 s18, 0x7f800000
	v_mov_b32_e32 v5, 0x7c
	v_mov_b32_e32 v7, 0x7f
	v_cmp_lt_u32_e32 vcc, s18, v6
	s_nop 1
	v_cndmask_b32_e32 v5, v5, v7, vcc
; %bb.92:
	s_or_b64 exec, exec, s[12:13]
	v_lshrrev_b32_e32 v3, 24, v3
	s_movk_i32 s12, 0x80
	v_and_or_b32 v3, v3, s12, v5
	global_store_byte v[0:1], v3, off
.LBB408_93:
	s_mov_b64 s[18:19], 0
	s_mov_b64 s[12:13], -1
.LBB408_94:
	s_andn2_b64 vcc, exec, s[18:19]
	s_cbranch_vccnz .LBB408_102
; %bb.95:
	s_cmp_gt_i32 s25, 14
	s_mov_b64 s[18:19], -1
	s_cbranch_scc0 .LBB408_99
; %bb.96:
	s_cmp_eq_u32 s25, 15
	s_mov_b64 s[0:1], -1
	s_cbranch_scc0 .LBB408_98
; %bb.97:
	v_cvt_f32_f16_e32 v3, v2
	s_movk_i32 s0, 0x7fff
	v_cmp_o_f16_e32 vcc, v2, v2
	v_mov_b32_e32 v5, 0x7fc0
	v_bfe_u32 v6, v3, 16, 1
	v_add3_u32 v3, v3, v6, s0
	v_cndmask_b32_sdwa v3, v5, v3, vcc dst_sel:DWORD dst_unused:UNUSED_PAD src0_sel:DWORD src1_sel:WORD_1
	global_store_short v[0:1], v3, off
	s_mov_b64 s[12:13], -1
	s_mov_b64 s[0:1], 0
.LBB408_98:
	s_mov_b64 s[18:19], 0
.LBB408_99:
	s_and_b64 vcc, exec, s[18:19]
	s_cbranch_vccz .LBB408_102
; %bb.100:
	s_cmp_eq_u32 s25, 11
	s_mov_b64 s[0:1], -1
	s_cbranch_scc0 .LBB408_102
; %bb.101:
	v_and_b32_e32 v3, 0x7fff, v2
	v_cmp_ne_u16_e32 vcc, 0, v3
	s_mov_b64 s[12:13], -1
	s_mov_b64 s[0:1], 0
	v_cndmask_b32_e64 v3, 0, 1, vcc
	global_store_byte v[0:1], v3, off
.LBB408_102:
	s_branch .LBB408_20
.LBB408_103:
	s_and_b32 s18, 0xffff, s24
	s_cmp_lt_i32 s18, 5
	s_mov_b64 s[12:13], -1
	s_cbranch_scc1 .LBB408_124
; %bb.104:
	s_cmp_lt_i32 s18, 8
	s_cbranch_scc1 .LBB408_114
; %bb.105:
	s_cmp_lt_i32 s18, 9
	s_cbranch_scc1 .LBB408_111
; %bb.106:
	s_cmp_gt_i32 s18, 9
	s_cbranch_scc0 .LBB408_108
; %bb.107:
	v_cvt_f32_f16_e32 v3, v2
	v_mov_b32_e32 v8, 0
	v_mov_b32_e32 v9, v8
	s_mov_b64 s[12:13], 0
	v_cvt_f64_f32_e32 v[6:7], v3
	global_store_dwordx4 v[0:1], v[6:9], off
.LBB408_108:
	s_andn2_b64 vcc, exec, s[12:13]
	s_cbranch_vccnz .LBB408_110
; %bb.109:
	v_cvt_f32_f16_e32 v6, v2
	v_mov_b32_e32 v7, 0
	global_store_dwordx2 v[0:1], v[6:7], off
.LBB408_110:
	s_mov_b64 s[12:13], 0
.LBB408_111:
	s_andn2_b64 vcc, exec, s[12:13]
	s_cbranch_vccnz .LBB408_113
; %bb.112:
	v_and_b32_e32 v3, 0xffff, v2
	global_store_dword v[0:1], v3, off
.LBB408_113:
	s_mov_b64 s[12:13], 0
.LBB408_114:
	s_andn2_b64 vcc, exec, s[12:13]
	s_cbranch_vccnz .LBB408_123
; %bb.115:
	s_cmp_lt_i32 s18, 6
	s_mov_b64 s[12:13], -1
	s_cbranch_scc1 .LBB408_121
; %bb.116:
	s_cmp_gt_i32 s18, 6
	s_cbranch_scc0 .LBB408_118
; %bb.117:
	v_cvt_f32_f16_e32 v3, v2
	s_mov_b64 s[12:13], 0
	v_cvt_f64_f32_e32 v[6:7], v3
	global_store_dwordx2 v[0:1], v[6:7], off
.LBB408_118:
	s_andn2_b64 vcc, exec, s[12:13]
	s_cbranch_vccnz .LBB408_120
; %bb.119:
	v_cvt_f32_f16_e32 v3, v2
	global_store_dword v[0:1], v3, off
.LBB408_120:
	s_mov_b64 s[12:13], 0
.LBB408_121:
	s_andn2_b64 vcc, exec, s[12:13]
	s_cbranch_vccnz .LBB408_123
; %bb.122:
	global_store_short v[0:1], v2, off
.LBB408_123:
	s_mov_b64 s[12:13], 0
.LBB408_124:
	s_andn2_b64 vcc, exec, s[12:13]
	s_cbranch_vccnz .LBB408_140
; %bb.125:
	s_cmp_lt_i32 s18, 2
	s_mov_b64 s[12:13], -1
	s_cbranch_scc1 .LBB408_135
; %bb.126:
	s_cmp_lt_i32 s18, 3
	s_cbranch_scc1 .LBB408_132
; %bb.127:
	s_cmp_gt_i32 s18, 3
	s_cbranch_scc0 .LBB408_129
; %bb.128:
	v_cvt_f32_f16_e32 v3, v2
	s_mov_b64 s[12:13], 0
	v_cvt_i32_f32_e32 v6, v3
	v_ashrrev_i32_e32 v7, 31, v6
	global_store_dwordx2 v[0:1], v[6:7], off
.LBB408_129:
	s_andn2_b64 vcc, exec, s[12:13]
	s_cbranch_vccnz .LBB408_131
; %bb.130:
	v_cvt_f32_f16_e32 v3, v2
	v_cvt_i32_f32_e32 v3, v3
	global_store_dword v[0:1], v3, off
.LBB408_131:
	s_mov_b64 s[12:13], 0
.LBB408_132:
	s_andn2_b64 vcc, exec, s[12:13]
	s_cbranch_vccnz .LBB408_134
; %bb.133:
	v_cvt_i16_f16_e32 v3, v2
	global_store_short v[0:1], v3, off
.LBB408_134:
	s_mov_b64 s[12:13], 0
.LBB408_135:
	s_andn2_b64 vcc, exec, s[12:13]
	s_cbranch_vccnz .LBB408_140
; %bb.136:
	s_cmp_gt_i32 s18, 0
	s_mov_b64 s[12:13], -1
	s_cbranch_scc0 .LBB408_138
; %bb.137:
	v_cvt_i16_f16_e32 v3, v2
	global_store_byte v[0:1], v3, off
	s_mov_b64 s[12:13], 0
.LBB408_138:
	s_andn2_b64 vcc, exec, s[12:13]
	s_cbranch_vccnz .LBB408_140
; %bb.139:
	v_cvt_f32_f16_e32 v2, v2
	v_cvt_i32_f32_e32 v2, v2
	global_store_byte v[0:1], v2, off
.LBB408_140:
	s_branch .LBB408_21
.LBB408_141:
	s_mov_b64 s[18:19], 0
                                        ; implicit-def: $vgpr4
	s_branch .LBB408_251
.LBB408_142:
	s_mov_b64 s[14:15], -1
                                        ; implicit-def: $vgpr2
.LBB408_143:
	s_mov_b64 s[12:13], 0
.LBB408_144:
	s_and_b64 vcc, exec, s[12:13]
	s_cbranch_vccz .LBB408_148
; %bb.145:
	s_cmp_eq_u32 s22, 29
	s_cbranch_scc0 .LBB408_147
; %bb.146:
	global_load_dwordx2 v[2:3], v[0:1], off
	s_mov_b64 s[0:1], -1
	s_mov_b64 s[14:15], 0
	s_mov_b64 s[12:13], 0
	s_waitcnt vmcnt(0)
	v_ffbh_u32_e32 v5, v3
	v_min_u32_e32 v5, 32, v5
	v_lshlrev_b64 v[2:3], v5, v[2:3]
	v_min_u32_e32 v2, 1, v2
	v_or_b32_e32 v2, v3, v2
	v_cvt_f32_u32_e32 v2, v2
	v_sub_u32_e32 v3, 32, v5
	v_ldexp_f32 v2, v2, v3
	v_cvt_f16_f32_e32 v2, v2
	s_branch .LBB408_149
.LBB408_147:
	s_mov_b64 s[14:15], -1
                                        ; implicit-def: $vgpr2
.LBB408_148:
	s_mov_b64 s[12:13], 0
.LBB408_149:
	s_and_b64 vcc, exec, s[12:13]
	s_cbranch_vccz .LBB408_167
; %bb.150:
	s_cmp_lt_i32 s22, 27
	s_cbranch_scc1 .LBB408_153
; %bb.151:
	s_cmp_gt_i32 s22, 27
	s_cbranch_scc0 .LBB408_154
; %bb.152:
	global_load_dword v2, v[0:1], off
	s_mov_b64 s[0:1], 0
	s_waitcnt vmcnt(0)
	v_cvt_f32_u32_e32 v2, v2
	v_cvt_f16_f32_e32 v2, v2
	s_branch .LBB408_155
.LBB408_153:
	s_mov_b64 s[0:1], -1
                                        ; implicit-def: $vgpr2
	s_branch .LBB408_158
.LBB408_154:
	s_mov_b64 s[0:1], -1
                                        ; implicit-def: $vgpr2
.LBB408_155:
	s_andn2_b64 vcc, exec, s[0:1]
	s_cbranch_vccnz .LBB408_157
; %bb.156:
	global_load_ushort v2, v[0:1], off
	s_waitcnt vmcnt(0)
	v_cvt_f16_u16_e32 v2, v2
.LBB408_157:
	s_mov_b64 s[0:1], 0
.LBB408_158:
	s_andn2_b64 vcc, exec, s[0:1]
	s_cbranch_vccnz .LBB408_166
; %bb.159:
	global_load_ubyte v3, v[0:1], off
	s_movk_i32 s0, 0x7f
	s_waitcnt vmcnt(0)
	v_cmp_lt_i16_e32 vcc, s0, v3
	s_mov_b64 s[0:1], 0
	s_and_saveexec_b64 s[12:13], vcc
	s_xor_b64 s[12:13], exec, s[12:13]
	s_cbranch_execz .LBB408_179
; %bb.160:
	s_movk_i32 s0, 0x80
	v_cmp_eq_u16_e32 vcc, s0, v3
	s_mov_b64 s[0:1], -1
	s_and_saveexec_b64 s[18:19], vcc
; %bb.161:
	s_xor_b64 s[0:1], exec, -1
; %bb.162:
	s_or_b64 exec, exec, s[18:19]
	s_and_b64 s[0:1], s[0:1], exec
	s_or_saveexec_b64 s[12:13], s[12:13]
	v_mov_b32_e32 v2, 0x7e00
	s_xor_b64 exec, exec, s[12:13]
	s_cbranch_execnz .LBB408_180
.LBB408_163:
	s_or_b64 exec, exec, s[12:13]
	s_and_saveexec_b64 s[12:13], s[0:1]
	s_cbranch_execz .LBB408_165
.LBB408_164:
	v_lshlrev_b32_e32 v2, 24, v3
	v_and_b32_e32 v3, 0xffff, v3
	v_and_b32_e32 v5, 7, v3
	v_ffbh_u32_e32 v7, v5
	v_min_u32_e32 v7, 32, v7
	v_subrev_u32_e32 v8, 28, v7
	v_bfe_u32 v6, v3, 3, 4
	v_lshlrev_b32_e32 v3, v8, v3
	v_sub_u32_e32 v7, 29, v7
	v_and_b32_e32 v3, 7, v3
	v_cmp_eq_u32_e32 vcc, 0, v6
	v_and_b32_e32 v2, 0x80000000, v2
	s_nop 0
	v_cndmask_b32_e32 v6, v6, v7, vcc
	v_cndmask_b32_e32 v3, v5, v3, vcc
	v_mov_b32_e32 v5, 0x3b800000
	v_lshlrev_b32_e32 v3, 20, v3
	v_lshl_add_u32 v5, v6, 23, v5
	v_or3_b32 v2, v2, v5, v3
	v_cvt_f16_f32_e32 v2, v2
.LBB408_165:
	s_or_b64 exec, exec, s[12:13]
.LBB408_166:
	s_mov_b64 s[0:1], -1
.LBB408_167:
	s_branch .LBB408_202
.LBB408_168:
	s_cmp_gt_i32 s22, 22
	s_cbranch_scc0 .LBB408_178
; %bb.169:
	s_cmp_lt_i32 s22, 24
	s_cbranch_scc1 .LBB408_181
; %bb.170:
	s_cmp_gt_i32 s22, 24
	s_cbranch_scc0 .LBB408_182
; %bb.171:
	global_load_ubyte v3, v[0:1], off
	s_movk_i32 s0, 0x7f
	s_waitcnt vmcnt(0)
	v_cmp_lt_i16_e32 vcc, s0, v3
	s_mov_b64 s[0:1], 0
	s_and_saveexec_b64 s[12:13], vcc
	s_xor_b64 s[12:13], exec, s[12:13]
	s_cbranch_execz .LBB408_194
; %bb.172:
	s_movk_i32 s0, 0x80
	v_cmp_eq_u16_e32 vcc, s0, v3
	s_mov_b64 s[0:1], -1
	s_and_saveexec_b64 s[18:19], vcc
; %bb.173:
	s_xor_b64 s[0:1], exec, -1
; %bb.174:
	s_or_b64 exec, exec, s[18:19]
	s_and_b64 s[0:1], s[0:1], exec
	s_or_saveexec_b64 s[12:13], s[12:13]
	v_mov_b32_e32 v2, 0x7e00
	s_xor_b64 exec, exec, s[12:13]
	s_cbranch_execnz .LBB408_195
.LBB408_175:
	s_or_b64 exec, exec, s[12:13]
	s_and_saveexec_b64 s[12:13], s[0:1]
	s_cbranch_execz .LBB408_177
.LBB408_176:
	v_lshlrev_b32_e32 v2, 24, v3
	v_and_b32_e32 v3, 0xffff, v3
	v_and_b32_e32 v5, 3, v3
	v_ffbh_u32_e32 v7, v5
	v_min_u32_e32 v7, 32, v7
	v_subrev_u32_e32 v8, 29, v7
	v_bfe_u32 v6, v3, 2, 5
	v_lshlrev_b32_e32 v3, v8, v3
	v_sub_u32_e32 v7, 30, v7
	v_and_b32_e32 v3, 3, v3
	v_cmp_eq_u32_e32 vcc, 0, v6
	v_and_b32_e32 v2, 0x80000000, v2
	s_nop 0
	v_cndmask_b32_e32 v6, v6, v7, vcc
	v_cndmask_b32_e32 v3, v5, v3, vcc
	v_mov_b32_e32 v5, 0x37800000
	v_lshlrev_b32_e32 v3, 21, v3
	v_lshl_add_u32 v5, v6, 23, v5
	v_or3_b32 v2, v2, v5, v3
	v_cvt_f16_f32_e32 v2, v2
.LBB408_177:
	s_or_b64 exec, exec, s[12:13]
	s_mov_b64 s[0:1], 0
	s_branch .LBB408_183
.LBB408_178:
	s_mov_b64 s[12:13], -1
                                        ; implicit-def: $vgpr2
	s_branch .LBB408_189
.LBB408_179:
	s_or_saveexec_b64 s[12:13], s[12:13]
	v_mov_b32_e32 v2, 0x7e00
	s_xor_b64 exec, exec, s[12:13]
	s_cbranch_execz .LBB408_163
.LBB408_180:
	v_cmp_ne_u16_e32 vcc, 0, v3
	s_andn2_b64 s[0:1], s[0:1], exec
	s_and_b64 s[18:19], vcc, exec
	s_or_b64 s[0:1], s[0:1], s[18:19]
	v_mov_b32_e32 v2, v3
	s_or_b64 exec, exec, s[12:13]
	s_and_saveexec_b64 s[12:13], s[0:1]
	s_cbranch_execnz .LBB408_164
	s_branch .LBB408_165
.LBB408_181:
	s_mov_b64 s[0:1], -1
                                        ; implicit-def: $vgpr2
	s_branch .LBB408_186
.LBB408_182:
	s_mov_b64 s[0:1], -1
                                        ; implicit-def: $vgpr2
.LBB408_183:
	s_and_b64 vcc, exec, s[0:1]
	s_cbranch_vccz .LBB408_185
; %bb.184:
	global_load_ubyte v2, v[0:1], off
	s_mov_b32 s0, 0x7f800000
	s_waitcnt vmcnt(0)
	v_lshlrev_b32_e32 v2, 24, v2
	v_and_b32_e32 v3, 0x7f000000, v2
	v_ffbh_u32_e32 v5, v3
	v_min_u32_e32 v5, 32, v5
	v_sub_u32_e64 v5, v5, 4 clamp
	v_lshlrev_b32_e32 v7, v5, v3
	v_lshlrev_b32_e32 v5, 23, v5
	v_lshrrev_b32_e32 v7, 4, v7
	v_add_u32_e32 v6, 0x1000000, v3
	v_sub_u32_e32 v5, v7, v5
	v_ashrrev_i32_e32 v6, 8, v6
	v_add_u32_e32 v5, 0x3c000000, v5
	v_and_or_b32 v5, v6, s0, v5
	v_cmp_ne_u32_e32 vcc, 0, v3
	s_brev_b32 s0, 1
	s_nop 0
	v_cndmask_b32_e32 v3, 0, v5, vcc
	v_and_or_b32 v2, v2, s0, v3
	v_cvt_f16_f32_e32 v2, v2
.LBB408_185:
	s_mov_b64 s[0:1], 0
.LBB408_186:
	s_andn2_b64 vcc, exec, s[0:1]
	s_cbranch_vccnz .LBB408_188
; %bb.187:
	global_load_ubyte v2, v[0:1], off
	s_movk_i32 s0, 0x7f00
	s_brev_b32 s1, 16
	s_waitcnt vmcnt(0)
	v_lshlrev_b16_e32 v3, 8, v2
	v_lshlrev_b32_e32 v2, 25, v2
	v_lshrrev_b32_e32 v5, 4, v2
	v_and_or_b32 v6, v3, s0, 0.5
	v_or_b32_e32 v5, 0x70000000, v5
	v_add_f32_e32 v6, -0.5, v6
	v_mul_f32_e32 v5, 0x7800000, v5
	v_cmp_gt_u32_e32 vcc, s1, v2
	v_bfe_i32 v3, v3, 0, 16
	s_brev_b32 s0, 1
	v_cndmask_b32_e32 v2, v5, v6, vcc
	v_and_or_b32 v2, v3, s0, v2
	v_cvt_f16_f32_e32 v2, v2
.LBB408_188:
	s_mov_b64 s[12:13], 0
	s_mov_b64 s[0:1], -1
.LBB408_189:
	s_andn2_b64 vcc, exec, s[12:13]
	s_cbranch_vccnz .LBB408_202
; %bb.190:
	s_cmp_gt_i32 s22, 14
	s_cbranch_scc0 .LBB408_193
; %bb.191:
	s_cmp_eq_u32 s22, 15
	s_cbranch_scc0 .LBB408_196
; %bb.192:
	global_load_ushort v2, v[0:1], off
	s_mov_b64 s[0:1], -1
	s_mov_b64 s[14:15], 0
	s_waitcnt vmcnt(0)
	v_lshlrev_b32_e32 v2, 16, v2
	v_cvt_f16_f32_e32 v2, v2
	s_branch .LBB408_197
.LBB408_193:
	s_mov_b64 s[12:13], -1
                                        ; implicit-def: $vgpr2
	s_branch .LBB408_198
.LBB408_194:
	s_or_saveexec_b64 s[12:13], s[12:13]
	v_mov_b32_e32 v2, 0x7e00
	s_xor_b64 exec, exec, s[12:13]
	s_cbranch_execz .LBB408_175
.LBB408_195:
	v_cmp_ne_u16_e32 vcc, 0, v3
	s_andn2_b64 s[0:1], s[0:1], exec
	s_and_b64 s[18:19], vcc, exec
	s_or_b64 s[0:1], s[0:1], s[18:19]
	v_mov_b32_e32 v2, v3
	s_or_b64 exec, exec, s[12:13]
	s_and_saveexec_b64 s[12:13], s[0:1]
	s_cbranch_execnz .LBB408_176
	s_branch .LBB408_177
.LBB408_196:
	s_mov_b64 s[14:15], -1
                                        ; implicit-def: $vgpr2
.LBB408_197:
	s_mov_b64 s[12:13], 0
.LBB408_198:
	s_and_b64 vcc, exec, s[12:13]
	s_cbranch_vccz .LBB408_202
; %bb.199:
	s_cmp_eq_u32 s22, 11
	s_cbranch_scc0 .LBB408_201
; %bb.200:
	global_load_ubyte v2, v[0:1], off
	v_mov_b32_e32 v3, 0x3c00
	s_mov_b64 s[0:1], -1
	s_mov_b64 s[14:15], 0
	s_waitcnt vmcnt(0)
	v_cmp_ne_u16_e32 vcc, 0, v2
	s_nop 1
	v_cndmask_b32_e32 v2, 0, v3, vcc
	s_branch .LBB408_202
.LBB408_201:
	s_mov_b64 s[14:15], -1
                                        ; implicit-def: $vgpr2
.LBB408_202:
	s_branch .LBB408_10
.LBB408_203:
	s_cmp_lt_i32 s22, 5
	s_cbranch_scc1 .LBB408_208
; %bb.204:
	s_cmp_lt_i32 s22, 8
	s_cbranch_scc1 .LBB408_209
; %bb.205:
	;; [unrolled: 3-line block ×3, first 2 shown]
	s_cmp_gt_i32 s22, 9
	s_cbranch_scc0 .LBB408_211
; %bb.207:
	global_load_dwordx2 v[2:3], v[0:1], off
	s_movk_i32 s0, 0x1ff
	s_movk_i32 s1, 0xffe
	v_mov_b32_e32 v5, 0x7c00
	v_mov_b32_e32 v6, 0x7e00
	s_movk_i32 s12, 0x40f
	s_mov_b32 s13, 0x8000
	s_waitcnt vmcnt(0)
	v_and_or_b32 v2, v3, s0, v2
	v_cmp_ne_u32_e32 vcc, 0, v2
	v_lshrrev_b32_e32 v7, 8, v3
	v_bfe_u32 v8, v3, 20, 11
	v_cndmask_b32_e64 v2, 0, 1, vcc
	v_sub_u32_e32 v9, 0x3f1, v8
	v_and_or_b32 v2, v7, s1, v2
	v_add_u32_e32 v8, 0xfffffc10, v8
	v_med3_i32 v7, v9, 0, 13
	v_or_b32_e32 v9, 0x1000, v2
	v_cmp_ne_u32_e32 vcc, 0, v2
	v_lshl_or_b32 v10, v8, 12, v2
	v_lshrrev_b32_e32 v3, 16, v3
	v_cndmask_b32_e32 v2, v5, v6, vcc
	v_lshrrev_b32_e32 v6, v7, v9
	v_lshlrev_b32_e32 v7, v7, v6
	v_cmp_ne_u32_e32 vcc, v7, v9
	s_mov_b64 s[0:1], 0
	s_nop 0
	v_cndmask_b32_e64 v7, 0, 1, vcc
	v_or_b32_e32 v6, v6, v7
	v_cmp_gt_i32_e32 vcc, 1, v8
	s_nop 1
	v_cndmask_b32_e32 v6, v10, v6, vcc
	v_and_b32_e32 v7, 7, v6
	v_cmp_lt_i32_e32 vcc, 5, v7
	v_lshrrev_b32_e32 v6, 2, v6
	s_nop 0
	v_cndmask_b32_e64 v9, 0, 1, vcc
	v_cmp_eq_u32_e32 vcc, 3, v7
	s_nop 1
	v_cndmask_b32_e64 v7, 0, 1, vcc
	v_or_b32_e32 v7, v7, v9
	v_add_u32_e32 v6, v6, v7
	v_cmp_gt_i32_e32 vcc, 31, v8
	s_nop 1
	v_cndmask_b32_e32 v5, v5, v6, vcc
	v_cmp_eq_u32_e32 vcc, s12, v8
	s_nop 1
	v_cndmask_b32_e32 v2, v5, v2, vcc
	v_and_or_b32 v2, v3, s13, v2
	s_branch .LBB408_212
.LBB408_208:
                                        ; implicit-def: $vgpr2
	s_branch .LBB408_230
.LBB408_209:
	s_mov_b64 s[0:1], -1
                                        ; implicit-def: $vgpr2
	s_branch .LBB408_218
.LBB408_210:
	s_mov_b64 s[0:1], -1
                                        ; implicit-def: $vgpr2
	s_branch .LBB408_215
.LBB408_211:
	s_mov_b64 s[0:1], -1
                                        ; implicit-def: $vgpr2
.LBB408_212:
	s_andn2_b64 vcc, exec, s[0:1]
	s_cbranch_vccnz .LBB408_214
; %bb.213:
	global_load_dword v2, v[0:1], off
	s_waitcnt vmcnt(0)
	v_cvt_f16_f32_e32 v2, v2
.LBB408_214:
	s_mov_b64 s[0:1], 0
.LBB408_215:
	s_andn2_b64 vcc, exec, s[0:1]
	s_cbranch_vccnz .LBB408_217
; %bb.216:
	global_load_dword v2, v[0:1], off
.LBB408_217:
	s_mov_b64 s[0:1], 0
.LBB408_218:
	s_andn2_b64 vcc, exec, s[0:1]
	s_cbranch_vccnz .LBB408_229
; %bb.219:
	s_cmp_lt_i32 s22, 6
	s_cbranch_scc1 .LBB408_222
; %bb.220:
	s_cmp_gt_i32 s22, 6
	s_cbranch_scc0 .LBB408_223
; %bb.221:
	global_load_dwordx2 v[2:3], v[0:1], off
	s_movk_i32 s0, 0x1ff
	s_movk_i32 s1, 0xffe
	v_mov_b32_e32 v5, 0x7c00
	v_mov_b32_e32 v6, 0x7e00
	s_movk_i32 s12, 0x40f
	s_mov_b32 s13, 0x8000
	s_waitcnt vmcnt(0)
	v_and_or_b32 v2, v3, s0, v2
	v_cmp_ne_u32_e32 vcc, 0, v2
	v_lshrrev_b32_e32 v7, 8, v3
	v_bfe_u32 v8, v3, 20, 11
	v_cndmask_b32_e64 v2, 0, 1, vcc
	v_sub_u32_e32 v9, 0x3f1, v8
	v_and_or_b32 v2, v7, s1, v2
	v_add_u32_e32 v8, 0xfffffc10, v8
	v_med3_i32 v7, v9, 0, 13
	v_or_b32_e32 v9, 0x1000, v2
	v_cmp_ne_u32_e32 vcc, 0, v2
	v_lshl_or_b32 v10, v8, 12, v2
	v_lshrrev_b32_e32 v3, 16, v3
	v_cndmask_b32_e32 v2, v5, v6, vcc
	v_lshrrev_b32_e32 v6, v7, v9
	v_lshlrev_b32_e32 v7, v7, v6
	v_cmp_ne_u32_e32 vcc, v7, v9
	s_mov_b64 s[0:1], 0
	s_nop 0
	v_cndmask_b32_e64 v7, 0, 1, vcc
	v_or_b32_e32 v6, v6, v7
	v_cmp_gt_i32_e32 vcc, 1, v8
	s_nop 1
	v_cndmask_b32_e32 v6, v10, v6, vcc
	v_and_b32_e32 v7, 7, v6
	v_cmp_lt_i32_e32 vcc, 5, v7
	v_lshrrev_b32_e32 v6, 2, v6
	s_nop 0
	v_cndmask_b32_e64 v9, 0, 1, vcc
	v_cmp_eq_u32_e32 vcc, 3, v7
	s_nop 1
	v_cndmask_b32_e64 v7, 0, 1, vcc
	v_or_b32_e32 v7, v7, v9
	v_add_u32_e32 v6, v6, v7
	v_cmp_gt_i32_e32 vcc, 31, v8
	s_nop 1
	v_cndmask_b32_e32 v5, v5, v6, vcc
	v_cmp_eq_u32_e32 vcc, s12, v8
	s_nop 1
	v_cndmask_b32_e32 v2, v5, v2, vcc
	v_and_or_b32 v2, v3, s13, v2
	s_branch .LBB408_224
.LBB408_222:
	s_mov_b64 s[0:1], -1
                                        ; implicit-def: $vgpr2
	s_branch .LBB408_227
.LBB408_223:
	s_mov_b64 s[0:1], -1
                                        ; implicit-def: $vgpr2
.LBB408_224:
	s_andn2_b64 vcc, exec, s[0:1]
	s_cbranch_vccnz .LBB408_226
; %bb.225:
	global_load_dword v2, v[0:1], off
	s_waitcnt vmcnt(0)
	v_cvt_f16_f32_e32 v2, v2
.LBB408_226:
	s_mov_b64 s[0:1], 0
.LBB408_227:
	s_andn2_b64 vcc, exec, s[0:1]
	s_cbranch_vccnz .LBB408_229
; %bb.228:
	global_load_ushort v2, v[0:1], off
.LBB408_229:
	s_cbranch_execnz .LBB408_249
.LBB408_230:
	s_cmp_lt_i32 s22, 2
	s_cbranch_scc1 .LBB408_234
; %bb.231:
	s_cmp_lt_i32 s22, 3
	s_cbranch_scc1 .LBB408_235
; %bb.232:
	s_cmp_gt_i32 s22, 3
	s_cbranch_scc0 .LBB408_236
; %bb.233:
	global_load_dwordx2 v[2:3], v[0:1], off
	s_mov_b64 s[0:1], 0
	s_waitcnt vmcnt(0)
	v_xor_b32_e32 v6, v2, v3
	v_ffbh_i32_e32 v5, v3
	v_ashrrev_i32_e32 v6, 31, v6
	v_add_u32_e32 v5, -1, v5
	v_add_u32_e32 v6, 32, v6
	v_min_u32_e32 v5, v5, v6
	v_lshlrev_b64 v[2:3], v5, v[2:3]
	v_min_u32_e32 v2, 1, v2
	v_or_b32_e32 v2, v3, v2
	v_cvt_f32_i32_e32 v2, v2
	v_sub_u32_e32 v3, 32, v5
	v_ldexp_f32 v2, v2, v3
	v_cvt_f16_f32_e32 v2, v2
	s_branch .LBB408_237
.LBB408_234:
	s_mov_b64 s[0:1], -1
                                        ; implicit-def: $vgpr2
	s_branch .LBB408_243
.LBB408_235:
	s_mov_b64 s[0:1], -1
                                        ; implicit-def: $vgpr2
	s_branch .LBB408_240
.LBB408_236:
	s_mov_b64 s[0:1], -1
                                        ; implicit-def: $vgpr2
.LBB408_237:
	s_andn2_b64 vcc, exec, s[0:1]
	s_cbranch_vccnz .LBB408_239
; %bb.238:
	global_load_dword v2, v[0:1], off
	s_waitcnt vmcnt(0)
	v_cvt_f32_i32_e32 v2, v2
	v_cvt_f16_f32_e32 v2, v2
.LBB408_239:
	s_mov_b64 s[0:1], 0
.LBB408_240:
	s_andn2_b64 vcc, exec, s[0:1]
	s_cbranch_vccnz .LBB408_242
; %bb.241:
	global_load_ushort v2, v[0:1], off
	s_waitcnt vmcnt(0)
	v_cvt_f16_i16_e32 v2, v2
.LBB408_242:
	s_mov_b64 s[0:1], 0
.LBB408_243:
	s_andn2_b64 vcc, exec, s[0:1]
	s_cbranch_vccnz .LBB408_249
; %bb.244:
	s_cmp_gt_i32 s22, 0
	s_cbranch_scc0 .LBB408_246
; %bb.245:
	global_load_sbyte v2, v[0:1], off
	s_mov_b64 s[0:1], 0
	s_waitcnt vmcnt(0)
	v_cvt_f16_i16_e32 v2, v2
	s_branch .LBB408_247
.LBB408_246:
	s_mov_b64 s[0:1], -1
                                        ; implicit-def: $vgpr2
.LBB408_247:
	s_andn2_b64 vcc, exec, s[0:1]
	s_cbranch_vccnz .LBB408_249
; %bb.248:
	global_load_ubyte v0, v[0:1], off
	s_waitcnt vmcnt(0)
	v_cvt_f16_u16_e32 v2, v0
.LBB408_249:
	s_branch .LBB408_11
.LBB408_250:
	s_mov_b64 s[0:1], 0
                                        ; implicit-def: $vgpr4
	s_mov_b64 s[18:19], 0
.LBB408_251:
	s_and_b64 s[12:13], s[0:1], exec
	s_and_b64 s[14:15], s[14:15], exec
	s_orn2_b64 s[18:19], s[18:19], exec
.LBB408_252:
	s_or_b64 exec, exec, s[16:17]
	s_mov_b64 s[22:23], 0
	s_mov_b64 s[0:1], 0
                                        ; implicit-def: $vgpr0_vgpr1
                                        ; implicit-def: $vgpr3
	s_and_saveexec_b64 s[16:17], s[18:19]
	s_cbranch_execz .LBB408_261
; %bb.253:
	v_cmp_gt_i32_e32 vcc, s38, v4
	s_mov_b64 s[0:1], -1
	s_mov_b64 s[18:19], s[14:15]
	s_mov_b64 s[20:21], s[12:13]
	s_and_saveexec_b64 s[22:23], vcc
	s_cbranch_execz .LBB408_513
; %bb.254:
	v_mul_lo_u32 v0, v4, s9
	v_ashrrev_i32_e32 v1, 31, v0
	s_and_b32 s26, 0xffff, s43
	s_cmp_lt_i32 s26, 11
	v_lshl_add_u64 v[0:1], s[6:7], 0, v[0:1]
	s_cbranch_scc1 .LBB408_264
; %bb.255:
	s_cmp_gt_i32 s26, 25
	s_cbranch_scc0 .LBB408_273
; %bb.256:
	s_cmp_gt_i32 s26, 28
	s_cbranch_scc0 .LBB408_275
	;; [unrolled: 3-line block ×4, first 2 shown]
; %bb.259:
	s_cmp_eq_u32 s26, 46
	s_mov_b64 s[20:21], 0
	s_cbranch_scc0 .LBB408_285
; %bb.260:
	global_load_dword v2, v[0:1], off
	s_mov_b64 s[18:19], 0
	s_waitcnt vmcnt(0)
	v_lshlrev_b32_e32 v2, 16, v2
	v_cvt_f16_f32_e32 v2, v2
	s_branch .LBB408_286
.LBB408_261:
	s_or_b64 exec, exec, s[16:17]
	s_mov_b64 s[16:17], 0
	s_and_saveexec_b64 s[18:19], s[14:15]
	s_cbranch_execnz .LBB408_859
.LBB408_262:
	s_or_b64 exec, exec, s[18:19]
	s_and_saveexec_b64 s[14:15], s[20:21]
	s_xor_b64 s[14:15], exec, s[14:15]
	s_cbranch_execz .LBB408_860
.LBB408_263:
	global_load_ubyte v2, v[0:1], off
	v_mov_b32_e32 v3, 0x3c00
	s_or_b64 s[0:1], s[0:1], exec
	s_waitcnt vmcnt(0)
	v_cmp_ne_u16_e32 vcc, 0, v2
	s_nop 1
	v_cndmask_b32_e32 v3, 0, v3, vcc
	s_or_b64 exec, exec, s[14:15]
	s_and_saveexec_b64 s[14:15], s[22:23]
	s_cbranch_execz .LBB408_906
	s_branch .LBB408_861
.LBB408_264:
	s_mov_b64 s[0:1], 0
                                        ; implicit-def: $vgpr2
	s_mov_b64 s[18:19], s[14:15]
	s_cbranch_execnz .LBB408_463
.LBB408_265:
	s_andn2_b64 vcc, exec, s[0:1]
	s_cbranch_vccnz .LBB408_511
.LBB408_266:
	s_waitcnt vmcnt(0)
	v_cmp_u_f16_e32 vcc, v2, v2
	v_cmp_lt_f16_e64 s[0:1], s33, v2
	v_mov_b32_e32 v0, s33
	s_or_b64 vcc, vcc, s[0:1]
	v_cndmask_b32_e32 v2, v0, v2, vcc
	v_mul_lo_u32 v0, v4, s8
	v_ashrrev_i32_e32 v1, 31, v0
	s_and_b32 s28, s42, 0xff
	s_cmp_lt_i32 s28, 11
	v_lshl_add_u64 v[0:1], s[4:5], 0, v[0:1]
	s_cbranch_scc1 .LBB408_274
; %bb.267:
	s_and_b32 s29, 0xffff, s28
	s_cmp_gt_i32 s29, 25
	s_cbranch_scc0 .LBB408_276
; %bb.268:
	s_cmp_gt_i32 s29, 28
	s_cbranch_scc0 .LBB408_278
; %bb.269:
	;; [unrolled: 3-line block ×4, first 2 shown]
	s_mov_b64 s[24:25], 0
	s_mov_b64 s[0:1], -1
	s_cmp_eq_u32 s29, 46
	s_mov_b64 s[20:21], 0
	s_cbranch_scc0 .LBB408_290
; %bb.272:
	v_cvt_f32_f16_e32 v3, v2
	s_movk_i32 s0, 0x7fff
	v_cmp_o_f16_e32 vcc, v2, v2
	v_mov_b32_e32 v5, 0x7fc0
	v_bfe_u32 v6, v3, 16, 1
	v_add3_u32 v3, v3, v6, s0
	v_cndmask_b32_sdwa v3, v5, v3, vcc dst_sel:DWORD dst_unused:UNUSED_PAD src0_sel:DWORD src1_sel:WORD_1
	global_store_dword v[0:1], v3, off
	s_mov_b64 s[20:21], -1
	s_mov_b64 s[0:1], 0
	s_branch .LBB408_290
.LBB408_273:
	s_mov_b64 s[20:21], -1
	s_mov_b64 s[0:1], 0
	s_mov_b64 s[18:19], s[14:15]
                                        ; implicit-def: $vgpr2
	s_branch .LBB408_427
.LBB408_274:
	s_mov_b64 s[24:25], -1
	s_mov_b64 s[20:21], 0
	s_mov_b64 s[0:1], s[12:13]
	s_branch .LBB408_359
.LBB408_275:
	s_mov_b64 s[20:21], -1
	s_mov_b64 s[0:1], 0
	s_mov_b64 s[18:19], s[14:15]
                                        ; implicit-def: $vgpr2
	s_branch .LBB408_408
.LBB408_276:
	s_mov_b64 s[24:25], -1
	s_mov_b64 s[20:21], 0
	s_mov_b64 s[0:1], s[12:13]
	s_branch .LBB408_317
.LBB408_277:
	s_mov_b64 s[20:21], -1
	s_mov_b64 s[0:1], 0
	s_mov_b64 s[18:19], s[14:15]
                                        ; implicit-def: $vgpr2
	s_branch .LBB408_403
.LBB408_278:
	s_mov_b64 s[24:25], -1
	s_mov_b64 s[20:21], 0
	s_mov_b64 s[0:1], s[12:13]
	s_branch .LBB408_300
.LBB408_279:
	s_andn2_saveexec_b64 s[22:23], s[22:23]
	s_cbranch_execz .LBB408_55
.LBB408_280:
	s_mov_b32 s26, 0x46000000
	v_add_f32_e64 v5, |v3|, s26
	v_and_b32_e32 v5, 0xff, v5
	v_cmp_ne_u32_e32 vcc, 0, v5
	s_andn2_b64 s[18:19], s[18:19], exec
	s_and_b64 s[26:27], vcc, exec
	s_or_b64 s[18:19], s[18:19], s[26:27]
	s_or_b64 exec, exec, s[22:23]
	v_mov_b32_e32 v6, 0
	s_and_saveexec_b64 s[22:23], s[18:19]
	s_cbranch_execnz .LBB408_56
	s_branch .LBB408_57
.LBB408_281:
	s_mov_b64 s[20:21], -1
	s_mov_b64 s[0:1], 0
	s_mov_b64 s[18:19], s[14:15]
                                        ; implicit-def: $vgpr2
	s_branch .LBB408_286
.LBB408_282:
	s_mov_b64 s[24:25], -1
	s_mov_b64 s[20:21], 0
	s_mov_b64 s[0:1], s[12:13]
	s_branch .LBB408_296
.LBB408_283:
	s_andn2_saveexec_b64 s[22:23], s[22:23]
	s_cbranch_execz .LBB408_68
.LBB408_284:
	s_mov_b32 s26, 0x42800000
	v_add_f32_e64 v5, |v3|, s26
	v_and_b32_e32 v5, 0xff, v5
	v_cmp_ne_u32_e32 vcc, 0, v5
	s_andn2_b64 s[18:19], s[18:19], exec
	s_and_b64 s[26:27], vcc, exec
	s_or_b64 s[18:19], s[18:19], s[26:27]
	s_or_b64 exec, exec, s[22:23]
	v_mov_b32_e32 v6, 0
	s_and_saveexec_b64 s[22:23], s[18:19]
	s_cbranch_execnz .LBB408_69
	s_branch .LBB408_70
.LBB408_285:
	s_mov_b64 s[18:19], -1
                                        ; implicit-def: $vgpr2
	s_mov_b64 s[0:1], 0
.LBB408_286:
	s_and_b64 vcc, exec, s[20:21]
	s_cbranch_vccz .LBB408_402
; %bb.287:
	s_cmp_eq_u32 s26, 44
	s_cbranch_scc0 .LBB408_401
; %bb.288:
	global_load_ubyte v2, v[0:1], off
	s_movk_i32 s18, 0xff
	v_mov_b32_e32 v5, 0x7e00
	s_mov_b64 s[0:1], -1
	s_waitcnt vmcnt(0)
	v_lshlrev_b32_e32 v3, 23, v2
	v_cvt_f16_f32_e32 v3, v3
	v_cmp_ne_u32_e32 vcc, s18, v2
	s_mov_b64 s[18:19], 0
	s_nop 0
	v_cndmask_b32_e32 v3, v5, v3, vcc
	v_cmp_ne_u32_e32 vcc, 0, v2
	s_nop 1
	v_cndmask_b32_e32 v2, 0, v3, vcc
	s_branch .LBB408_402
.LBB408_289:
	s_mov_b64 s[24:25], -1
	s_mov_b64 s[20:21], 0
	s_mov_b64 s[0:1], s[12:13]
.LBB408_290:
	s_and_b64 vcc, exec, s[24:25]
	s_cbranch_vccz .LBB408_295
; %bb.291:
	s_cmp_eq_u32 s29, 44
	s_mov_b64 s[0:1], -1
	s_cbranch_scc0 .LBB408_295
; %bb.292:
	v_cvt_f32_f16_e32 v3, v2
	s_movk_i32 s0, 0xff
	v_mov_b32_e32 v6, 0xff
	v_bfe_u32 v5, v3, 23, 8
	v_cmp_ne_u32_e32 vcc, s0, v5
	s_and_saveexec_b64 s[20:21], vcc
; %bb.293:
	s_mov_b32 s0, 0x3fffff
	v_lshrrev_b32_e32 v6, 23, v3
	v_and_b32_e32 v7, 0x400000, v3
	v_and_or_b32 v3, v3, s0, v5
	v_cmp_ne_u32_e32 vcc, 0, v7
	v_cmp_ne_u32_e64 s[0:1], 0, v3
	s_and_b64 s[0:1], vcc, s[0:1]
	s_nop 0
	v_cndmask_b32_e64 v3, 0, 1, s[0:1]
	v_add_u32_e32 v6, v6, v3
; %bb.294:
	s_or_b64 exec, exec, s[20:21]
	s_mov_b64 s[20:21], -1
	s_mov_b64 s[0:1], 0
	global_store_byte v[0:1], v6, off
.LBB408_295:
	s_mov_b64 s[24:25], 0
.LBB408_296:
	s_and_b64 vcc, exec, s[24:25]
	s_cbranch_vccz .LBB408_299
; %bb.297:
	s_cmp_eq_u32 s29, 29
	s_mov_b64 s[0:1], -1
	s_cbranch_scc0 .LBB408_299
; %bb.298:
	v_cvt_f32_f16_e32 v3, v2
	v_mov_b32_e32 v7, 0
	s_mov_b64 s[20:21], -1
	s_mov_b64 s[0:1], 0
	v_cvt_u32_f32_e32 v6, v3
	s_mov_b64 s[24:25], 0
	global_store_dwordx2 v[0:1], v[6:7], off
	s_branch .LBB408_300
.LBB408_299:
	s_mov_b64 s[24:25], 0
.LBB408_300:
	s_and_b64 vcc, exec, s[24:25]
	s_cbranch_vccz .LBB408_316
; %bb.301:
	s_cmp_lt_i32 s29, 27
	s_mov_b64 s[20:21], -1
	s_cbranch_scc1 .LBB408_307
; %bb.302:
	s_cmp_gt_i32 s29, 27
	s_cbranch_scc0 .LBB408_304
; %bb.303:
	v_cvt_f32_f16_e32 v3, v2
	s_mov_b64 s[20:21], 0
	v_cvt_u32_f32_e32 v3, v3
	global_store_dword v[0:1], v3, off
.LBB408_304:
	s_andn2_b64 vcc, exec, s[20:21]
	s_cbranch_vccnz .LBB408_306
; %bb.305:
	v_cvt_u16_f16_e32 v3, v2
	global_store_short v[0:1], v3, off
.LBB408_306:
	s_mov_b64 s[20:21], 0
.LBB408_307:
	s_andn2_b64 vcc, exec, s[20:21]
	s_cbranch_vccnz .LBB408_315
; %bb.308:
	v_cvt_f32_f16_e32 v3, v2
	s_mov_b32 s20, 0x43800000
	v_mov_b32_e32 v6, 0x80
	v_and_b32_e32 v5, 0x7fffffff, v3
	v_cmp_gt_u32_e32 vcc, s20, v5
	s_and_saveexec_b64 s[20:21], vcc
	s_cbranch_execz .LBB408_314
; %bb.309:
	s_mov_b32 s24, 0x3bffffff
	v_cmp_lt_u32_e32 vcc, s24, v5
	s_mov_b64 s[24:25], 0
                                        ; implicit-def: $vgpr5
	s_and_saveexec_b64 s[26:27], vcc
	s_xor_b64 s[26:27], exec, s[26:27]
	s_cbranch_execz .LBB408_526
; %bb.310:
	v_bfe_u32 v5, v3, 20, 1
	s_mov_b32 s30, 0x487ffff
	v_add3_u32 v5, v3, v5, s30
	s_mov_b64 s[24:25], exec
	v_lshrrev_b32_e32 v5, 20, v5
	s_andn2_saveexec_b64 s[26:27], s[26:27]
	s_cbranch_execnz .LBB408_527
.LBB408_311:
	s_or_b64 exec, exec, s[26:27]
	v_mov_b32_e32 v6, 0
	s_and_saveexec_b64 s[26:27], s[24:25]
.LBB408_312:
	v_lshrrev_b32_e32 v3, 24, v3
	s_movk_i32 s24, 0x80
	v_and_or_b32 v6, v3, s24, v5
.LBB408_313:
	s_or_b64 exec, exec, s[26:27]
.LBB408_314:
	s_or_b64 exec, exec, s[20:21]
	global_store_byte v[0:1], v6, off
.LBB408_315:
	s_mov_b64 s[20:21], -1
.LBB408_316:
	s_mov_b64 s[24:25], 0
.LBB408_317:
	s_and_b64 vcc, exec, s[24:25]
	s_cbranch_vccz .LBB408_358
; %bb.318:
	s_cmp_gt_i32 s29, 22
	s_mov_b64 s[24:25], -1
	s_cbranch_scc0 .LBB408_350
; %bb.319:
	s_cmp_lt_i32 s29, 24
	s_mov_b64 s[20:21], -1
	s_cbranch_scc1 .LBB408_339
; %bb.320:
	s_cmp_gt_i32 s29, 24
	s_cbranch_scc0 .LBB408_328
; %bb.321:
	v_cvt_f32_f16_e32 v3, v2
	s_mov_b32 s20, 0x47800000
	v_mov_b32_e32 v6, 0x80
	v_and_b32_e32 v5, 0x7fffffff, v3
	v_cmp_gt_u32_e32 vcc, s20, v5
	s_and_saveexec_b64 s[20:21], vcc
	s_cbranch_execz .LBB408_327
; %bb.322:
	s_mov_b32 s24, 0x37ffffff
	v_cmp_lt_u32_e32 vcc, s24, v5
	s_mov_b64 s[24:25], 0
                                        ; implicit-def: $vgpr5
	s_and_saveexec_b64 s[26:27], vcc
	s_xor_b64 s[26:27], exec, s[26:27]
	s_cbranch_execz .LBB408_529
; %bb.323:
	v_bfe_u32 v5, v3, 21, 1
	s_mov_b32 s30, 0x88fffff
	v_add3_u32 v5, v3, v5, s30
	s_mov_b64 s[24:25], exec
	v_lshrrev_b32_e32 v5, 21, v5
	s_andn2_saveexec_b64 s[26:27], s[26:27]
	s_cbranch_execnz .LBB408_530
.LBB408_324:
	s_or_b64 exec, exec, s[26:27]
	v_mov_b32_e32 v6, 0
	s_and_saveexec_b64 s[26:27], s[24:25]
.LBB408_325:
	v_lshrrev_b32_e32 v3, 24, v3
	s_movk_i32 s24, 0x80
	v_and_or_b32 v6, v3, s24, v5
.LBB408_326:
	s_or_b64 exec, exec, s[26:27]
.LBB408_327:
	s_or_b64 exec, exec, s[20:21]
	s_mov_b64 s[20:21], 0
	global_store_byte v[0:1], v6, off
.LBB408_328:
	s_and_b64 vcc, exec, s[20:21]
	s_cbranch_vccz .LBB408_338
; %bb.329:
	v_cvt_f32_f16_e32 v3, v2
	s_mov_b32 s20, 0x43f00000
                                        ; implicit-def: $vgpr5
	v_and_b32_e32 v6, 0x7fffffff, v3
	v_cmp_gt_u32_e32 vcc, s20, v6
	s_and_saveexec_b64 s[20:21], vcc
	s_xor_b64 s[20:21], exec, s[20:21]
	s_cbranch_execz .LBB408_335
; %bb.330:
	s_mov_b32 s24, 0x3c7fffff
	v_cmp_lt_u32_e32 vcc, s24, v6
                                        ; implicit-def: $vgpr5
	s_and_saveexec_b64 s[24:25], vcc
	s_xor_b64 s[24:25], exec, s[24:25]
; %bb.331:
	v_bfe_u32 v5, v3, 20, 1
	s_mov_b32 s26, 0x407ffff
	v_add3_u32 v5, v3, v5, s26
	v_lshrrev_b32_e32 v6, 20, v5
	v_and_b32_e32 v5, 0xff00000, v5
	s_mov_b32 s26, 0x7f00000
	v_mov_b32_e32 v7, 0x7e
	v_cmp_ne_u32_e32 vcc, s26, v5
	s_nop 1
	v_cndmask_b32_e32 v5, v7, v6, vcc
; %bb.332:
	s_andn2_saveexec_b64 s[24:25], s[24:25]
; %bb.333:
	s_mov_b32 s26, 0x46800000
	v_add_f32_e64 v5, |v3|, s26
; %bb.334:
	s_or_b64 exec, exec, s[24:25]
                                        ; implicit-def: $vgpr6
.LBB408_335:
	s_andn2_saveexec_b64 s[20:21], s[20:21]
; %bb.336:
	s_mov_b32 s24, 0x7f800000
	v_mov_b32_e32 v5, 0x7e
	v_mov_b32_e32 v7, 0x7f
	v_cmp_lt_u32_e32 vcc, s24, v6
	s_nop 1
	v_cndmask_b32_e32 v5, v5, v7, vcc
; %bb.337:
	s_or_b64 exec, exec, s[20:21]
	v_lshrrev_b32_e32 v3, 24, v3
	s_movk_i32 s20, 0x80
	v_and_or_b32 v3, v3, s20, v5
	global_store_byte v[0:1], v3, off
.LBB408_338:
	s_mov_b64 s[20:21], 0
.LBB408_339:
	s_andn2_b64 vcc, exec, s[20:21]
	s_cbranch_vccnz .LBB408_349
; %bb.340:
	v_cvt_f32_f16_e32 v3, v2
	s_mov_b32 s20, 0x47800000
                                        ; implicit-def: $vgpr5
	v_and_b32_e32 v6, 0x7fffffff, v3
	v_cmp_gt_u32_e32 vcc, s20, v6
	s_and_saveexec_b64 s[20:21], vcc
	s_xor_b64 s[20:21], exec, s[20:21]
	s_cbranch_execz .LBB408_346
; %bb.341:
	s_mov_b32 s24, 0x387fffff
	v_cmp_lt_u32_e32 vcc, s24, v6
                                        ; implicit-def: $vgpr5
	s_and_saveexec_b64 s[24:25], vcc
	s_xor_b64 s[24:25], exec, s[24:25]
; %bb.342:
	v_bfe_u32 v5, v3, 21, 1
	s_mov_b32 s26, 0x80fffff
	v_add3_u32 v5, v3, v5, s26
	v_lshrrev_b32_e32 v5, 21, v5
; %bb.343:
	s_andn2_saveexec_b64 s[24:25], s[24:25]
; %bb.344:
	s_mov_b32 s26, 0x43000000
	v_add_f32_e64 v5, |v3|, s26
; %bb.345:
	s_or_b64 exec, exec, s[24:25]
                                        ; implicit-def: $vgpr6
.LBB408_346:
	s_andn2_saveexec_b64 s[20:21], s[20:21]
; %bb.347:
	s_mov_b32 s24, 0x7f800000
	v_mov_b32_e32 v5, 0x7c
	v_mov_b32_e32 v7, 0x7f
	v_cmp_lt_u32_e32 vcc, s24, v6
	s_nop 1
	v_cndmask_b32_e32 v5, v5, v7, vcc
; %bb.348:
	s_or_b64 exec, exec, s[20:21]
	v_lshrrev_b32_e32 v3, 24, v3
	s_movk_i32 s20, 0x80
	v_and_or_b32 v3, v3, s20, v5
	global_store_byte v[0:1], v3, off
.LBB408_349:
	s_mov_b64 s[24:25], 0
	s_mov_b64 s[20:21], -1
.LBB408_350:
	s_andn2_b64 vcc, exec, s[24:25]
	s_cbranch_vccnz .LBB408_358
; %bb.351:
	s_cmp_gt_i32 s29, 14
	s_mov_b64 s[24:25], -1
	s_cbranch_scc0 .LBB408_355
; %bb.352:
	s_cmp_eq_u32 s29, 15
	s_mov_b64 s[0:1], -1
	s_cbranch_scc0 .LBB408_354
; %bb.353:
	v_cvt_f32_f16_e32 v3, v2
	s_movk_i32 s0, 0x7fff
	v_cmp_o_f16_e32 vcc, v2, v2
	v_mov_b32_e32 v5, 0x7fc0
	v_bfe_u32 v6, v3, 16, 1
	v_add3_u32 v3, v3, v6, s0
	v_cndmask_b32_sdwa v3, v5, v3, vcc dst_sel:DWORD dst_unused:UNUSED_PAD src0_sel:DWORD src1_sel:WORD_1
	global_store_short v[0:1], v3, off
	s_mov_b64 s[20:21], -1
	s_mov_b64 s[0:1], 0
.LBB408_354:
	s_mov_b64 s[24:25], 0
.LBB408_355:
	s_and_b64 vcc, exec, s[24:25]
	s_cbranch_vccz .LBB408_358
; %bb.356:
	s_cmp_eq_u32 s29, 11
	s_mov_b64 s[0:1], -1
	s_cbranch_scc0 .LBB408_358
; %bb.357:
	v_and_b32_e32 v3, 0x7fff, v2
	v_cmp_ne_u16_e32 vcc, 0, v3
	s_mov_b64 s[20:21], -1
	s_mov_b64 s[0:1], 0
	v_cndmask_b32_e64 v3, 0, 1, vcc
	global_store_byte v[0:1], v3, off
.LBB408_358:
	s_mov_b64 s[24:25], 0
.LBB408_359:
	s_and_b64 vcc, exec, s[24:25]
	s_cbranch_vccz .LBB408_398
; %bb.360:
	s_and_b32 s24, 0xffff, s28
	s_cmp_lt_i32 s24, 5
	s_mov_b64 s[20:21], -1
	s_cbranch_scc1 .LBB408_381
; %bb.361:
	s_cmp_lt_i32 s24, 8
	s_cbranch_scc1 .LBB408_371
; %bb.362:
	s_cmp_lt_i32 s24, 9
	s_cbranch_scc1 .LBB408_368
; %bb.363:
	s_cmp_gt_i32 s24, 9
	s_cbranch_scc0 .LBB408_365
; %bb.364:
	v_cvt_f32_f16_e32 v3, v2
	v_mov_b32_e32 v8, 0
	v_mov_b32_e32 v9, v8
	s_mov_b64 s[20:21], 0
	v_cvt_f64_f32_e32 v[6:7], v3
	global_store_dwordx4 v[0:1], v[6:9], off
.LBB408_365:
	s_andn2_b64 vcc, exec, s[20:21]
	s_cbranch_vccnz .LBB408_367
; %bb.366:
	v_cvt_f32_f16_e32 v6, v2
	v_mov_b32_e32 v7, 0
	global_store_dwordx2 v[0:1], v[6:7], off
.LBB408_367:
	s_mov_b64 s[20:21], 0
.LBB408_368:
	s_andn2_b64 vcc, exec, s[20:21]
	s_cbranch_vccnz .LBB408_370
; %bb.369:
	v_and_b32_e32 v3, 0xffff, v2
	global_store_dword v[0:1], v3, off
.LBB408_370:
	s_mov_b64 s[20:21], 0
.LBB408_371:
	s_andn2_b64 vcc, exec, s[20:21]
	s_cbranch_vccnz .LBB408_380
; %bb.372:
	s_cmp_lt_i32 s24, 6
	s_mov_b64 s[20:21], -1
	s_cbranch_scc1 .LBB408_378
; %bb.373:
	s_cmp_gt_i32 s24, 6
	s_cbranch_scc0 .LBB408_375
; %bb.374:
	v_cvt_f32_f16_e32 v3, v2
	s_mov_b64 s[20:21], 0
	v_cvt_f64_f32_e32 v[6:7], v3
	global_store_dwordx2 v[0:1], v[6:7], off
.LBB408_375:
	s_andn2_b64 vcc, exec, s[20:21]
	s_cbranch_vccnz .LBB408_377
; %bb.376:
	v_cvt_f32_f16_e32 v3, v2
	global_store_dword v[0:1], v3, off
.LBB408_377:
	s_mov_b64 s[20:21], 0
.LBB408_378:
	s_andn2_b64 vcc, exec, s[20:21]
	s_cbranch_vccnz .LBB408_380
; %bb.379:
	global_store_short v[0:1], v2, off
.LBB408_380:
	s_mov_b64 s[20:21], 0
.LBB408_381:
	s_andn2_b64 vcc, exec, s[20:21]
	s_cbranch_vccnz .LBB408_397
; %bb.382:
	s_cmp_lt_i32 s24, 2
	s_mov_b64 s[20:21], -1
	s_cbranch_scc1 .LBB408_392
; %bb.383:
	s_cmp_lt_i32 s24, 3
	s_cbranch_scc1 .LBB408_389
; %bb.384:
	s_cmp_gt_i32 s24, 3
	s_cbranch_scc0 .LBB408_386
; %bb.385:
	v_cvt_f32_f16_e32 v3, v2
	s_mov_b64 s[20:21], 0
	v_cvt_i32_f32_e32 v6, v3
	v_ashrrev_i32_e32 v7, 31, v6
	global_store_dwordx2 v[0:1], v[6:7], off
.LBB408_386:
	s_andn2_b64 vcc, exec, s[20:21]
	s_cbranch_vccnz .LBB408_388
; %bb.387:
	v_cvt_f32_f16_e32 v3, v2
	v_cvt_i32_f32_e32 v3, v3
	global_store_dword v[0:1], v3, off
.LBB408_388:
	s_mov_b64 s[20:21], 0
.LBB408_389:
	s_andn2_b64 vcc, exec, s[20:21]
	s_cbranch_vccnz .LBB408_391
; %bb.390:
	v_cvt_i16_f16_e32 v3, v2
	global_store_short v[0:1], v3, off
.LBB408_391:
	s_mov_b64 s[20:21], 0
.LBB408_392:
	s_andn2_b64 vcc, exec, s[20:21]
	s_cbranch_vccnz .LBB408_397
; %bb.393:
	s_cmp_gt_i32 s24, 0
	s_mov_b64 s[20:21], -1
	s_cbranch_scc0 .LBB408_395
; %bb.394:
	v_cvt_i16_f16_e32 v3, v2
	s_mov_b64 s[20:21], 0
	global_store_byte v[0:1], v3, off
.LBB408_395:
	s_andn2_b64 vcc, exec, s[20:21]
	s_cbranch_vccnz .LBB408_397
; %bb.396:
	v_cvt_f32_f16_e32 v2, v2
	v_cvt_i32_f32_e32 v2, v2
	global_store_byte v[0:1], v2, off
.LBB408_397:
	s_mov_b64 s[20:21], -1
.LBB408_398:
	s_andn2_b64 vcc, exec, s[20:21]
	s_cbranch_vccnz .LBB408_400
; %bb.399:
	v_add_u32_e32 v4, 0x80, v4
	s_mov_b64 s[24:25], -1
	s_branch .LBB408_512
.LBB408_400:
	s_mov_b64 s[24:25], 0
                                        ; implicit-def: $vgpr4
	s_branch .LBB408_512
.LBB408_401:
	s_mov_b64 s[18:19], -1
                                        ; implicit-def: $vgpr2
.LBB408_402:
	s_mov_b64 s[20:21], 0
.LBB408_403:
	s_and_b64 vcc, exec, s[20:21]
	s_cbranch_vccz .LBB408_407
; %bb.404:
	s_cmp_eq_u32 s26, 29
	s_cbranch_scc0 .LBB408_406
; %bb.405:
	global_load_dwordx2 v[2:3], v[0:1], off
	s_mov_b64 s[0:1], -1
	s_mov_b64 s[18:19], 0
	s_mov_b64 s[20:21], 0
	s_waitcnt vmcnt(0)
	v_ffbh_u32_e32 v5, v3
	v_min_u32_e32 v5, 32, v5
	v_lshlrev_b64 v[2:3], v5, v[2:3]
	v_min_u32_e32 v2, 1, v2
	v_or_b32_e32 v2, v3, v2
	v_cvt_f32_u32_e32 v2, v2
	v_sub_u32_e32 v3, 32, v5
	v_ldexp_f32 v2, v2, v3
	v_cvt_f16_f32_e32 v2, v2
	s_branch .LBB408_408
.LBB408_406:
	s_mov_b64 s[18:19], -1
                                        ; implicit-def: $vgpr2
.LBB408_407:
	s_mov_b64 s[20:21], 0
.LBB408_408:
	s_and_b64 vcc, exec, s[20:21]
	s_cbranch_vccz .LBB408_426
; %bb.409:
	s_cmp_lt_i32 s26, 27
	s_cbranch_scc1 .LBB408_412
; %bb.410:
	s_cmp_gt_i32 s26, 27
	s_cbranch_scc0 .LBB408_413
; %bb.411:
	global_load_dword v2, v[0:1], off
	s_mov_b64 s[0:1], 0
	s_waitcnt vmcnt(0)
	v_cvt_f32_u32_e32 v2, v2
	v_cvt_f16_f32_e32 v2, v2
	s_branch .LBB408_414
.LBB408_412:
	s_mov_b64 s[0:1], -1
                                        ; implicit-def: $vgpr2
	s_branch .LBB408_417
.LBB408_413:
	s_mov_b64 s[0:1], -1
                                        ; implicit-def: $vgpr2
.LBB408_414:
	s_andn2_b64 vcc, exec, s[0:1]
	s_cbranch_vccnz .LBB408_416
; %bb.415:
	global_load_ushort v2, v[0:1], off
	s_waitcnt vmcnt(0)
	v_cvt_f16_u16_e32 v2, v2
.LBB408_416:
	s_mov_b64 s[0:1], 0
.LBB408_417:
	s_andn2_b64 vcc, exec, s[0:1]
	s_cbranch_vccnz .LBB408_425
; %bb.418:
	global_load_ubyte v3, v[0:1], off
	s_movk_i32 s0, 0x7f
	s_waitcnt vmcnt(0)
	v_cmp_lt_i16_e32 vcc, s0, v3
	s_mov_b64 s[0:1], 0
	s_and_saveexec_b64 s[20:21], vcc
	s_xor_b64 s[20:21], exec, s[20:21]
	s_cbranch_execz .LBB408_439
; %bb.419:
	s_movk_i32 s0, 0x80
	v_cmp_eq_u16_e32 vcc, s0, v3
	s_mov_b64 s[0:1], -1
	s_and_saveexec_b64 s[24:25], vcc
; %bb.420:
	s_xor_b64 s[0:1], exec, -1
; %bb.421:
	s_or_b64 exec, exec, s[24:25]
	s_and_b64 s[0:1], s[0:1], exec
	s_or_saveexec_b64 s[20:21], s[20:21]
	v_mov_b32_e32 v2, 0x7e00
	s_xor_b64 exec, exec, s[20:21]
	s_cbranch_execnz .LBB408_440
.LBB408_422:
	s_or_b64 exec, exec, s[20:21]
	s_and_saveexec_b64 s[20:21], s[0:1]
	s_cbranch_execz .LBB408_424
.LBB408_423:
	v_lshlrev_b32_e32 v2, 24, v3
	v_and_b32_e32 v3, 0xffff, v3
	v_and_b32_e32 v5, 7, v3
	v_ffbh_u32_e32 v7, v5
	v_min_u32_e32 v7, 32, v7
	v_subrev_u32_e32 v8, 28, v7
	v_bfe_u32 v6, v3, 3, 4
	v_lshlrev_b32_e32 v3, v8, v3
	v_sub_u32_e32 v7, 29, v7
	v_and_b32_e32 v3, 7, v3
	v_cmp_eq_u32_e32 vcc, 0, v6
	v_and_b32_e32 v2, 0x80000000, v2
	s_nop 0
	v_cndmask_b32_e32 v6, v6, v7, vcc
	v_cndmask_b32_e32 v3, v5, v3, vcc
	v_mov_b32_e32 v5, 0x3b800000
	v_lshlrev_b32_e32 v3, 20, v3
	v_lshl_add_u32 v5, v6, 23, v5
	v_or3_b32 v2, v2, v5, v3
	v_cvt_f16_f32_e32 v2, v2
.LBB408_424:
	s_or_b64 exec, exec, s[20:21]
.LBB408_425:
	s_mov_b64 s[0:1], -1
.LBB408_426:
	s_mov_b64 s[20:21], 0
.LBB408_427:
	s_and_b64 vcc, exec, s[20:21]
	s_cbranch_vccz .LBB408_462
; %bb.428:
	s_cmp_gt_i32 s26, 22
	s_cbranch_scc0 .LBB408_438
; %bb.429:
	s_cmp_lt_i32 s26, 24
	s_cbranch_scc1 .LBB408_441
; %bb.430:
	s_cmp_gt_i32 s26, 24
	s_cbranch_scc0 .LBB408_442
; %bb.431:
	global_load_ubyte v3, v[0:1], off
	s_movk_i32 s0, 0x7f
	s_waitcnt vmcnt(0)
	v_cmp_lt_i16_e32 vcc, s0, v3
	s_mov_b64 s[0:1], 0
	s_and_saveexec_b64 s[20:21], vcc
	s_xor_b64 s[20:21], exec, s[20:21]
	s_cbranch_execz .LBB408_454
; %bb.432:
	s_movk_i32 s0, 0x80
	v_cmp_eq_u16_e32 vcc, s0, v3
	s_mov_b64 s[0:1], -1
	s_and_saveexec_b64 s[24:25], vcc
; %bb.433:
	s_xor_b64 s[0:1], exec, -1
; %bb.434:
	s_or_b64 exec, exec, s[24:25]
	s_and_b64 s[0:1], s[0:1], exec
	s_or_saveexec_b64 s[20:21], s[20:21]
	v_mov_b32_e32 v2, 0x7e00
	s_xor_b64 exec, exec, s[20:21]
	s_cbranch_execnz .LBB408_455
.LBB408_435:
	s_or_b64 exec, exec, s[20:21]
	s_and_saveexec_b64 s[20:21], s[0:1]
	s_cbranch_execz .LBB408_437
.LBB408_436:
	v_lshlrev_b32_e32 v2, 24, v3
	v_and_b32_e32 v3, 0xffff, v3
	v_and_b32_e32 v5, 3, v3
	v_ffbh_u32_e32 v7, v5
	v_min_u32_e32 v7, 32, v7
	v_subrev_u32_e32 v8, 29, v7
	v_bfe_u32 v6, v3, 2, 5
	v_lshlrev_b32_e32 v3, v8, v3
	v_sub_u32_e32 v7, 30, v7
	v_and_b32_e32 v3, 3, v3
	v_cmp_eq_u32_e32 vcc, 0, v6
	v_and_b32_e32 v2, 0x80000000, v2
	s_nop 0
	v_cndmask_b32_e32 v6, v6, v7, vcc
	v_cndmask_b32_e32 v3, v5, v3, vcc
	v_mov_b32_e32 v5, 0x37800000
	v_lshlrev_b32_e32 v3, 21, v3
	v_lshl_add_u32 v5, v6, 23, v5
	v_or3_b32 v2, v2, v5, v3
	v_cvt_f16_f32_e32 v2, v2
.LBB408_437:
	s_or_b64 exec, exec, s[20:21]
	s_mov_b64 s[0:1], 0
	s_branch .LBB408_443
.LBB408_438:
	s_mov_b64 s[20:21], -1
                                        ; implicit-def: $vgpr2
	s_branch .LBB408_449
.LBB408_439:
	s_or_saveexec_b64 s[20:21], s[20:21]
	v_mov_b32_e32 v2, 0x7e00
	s_xor_b64 exec, exec, s[20:21]
	s_cbranch_execz .LBB408_422
.LBB408_440:
	v_cmp_ne_u16_e32 vcc, 0, v3
	s_andn2_b64 s[0:1], s[0:1], exec
	s_and_b64 s[24:25], vcc, exec
	s_or_b64 s[0:1], s[0:1], s[24:25]
	v_mov_b32_e32 v2, v3
	s_or_b64 exec, exec, s[20:21]
	s_and_saveexec_b64 s[20:21], s[0:1]
	s_cbranch_execnz .LBB408_423
	s_branch .LBB408_424
.LBB408_441:
	s_mov_b64 s[0:1], -1
                                        ; implicit-def: $vgpr2
	s_branch .LBB408_446
.LBB408_442:
	s_mov_b64 s[0:1], -1
                                        ; implicit-def: $vgpr2
.LBB408_443:
	s_and_b64 vcc, exec, s[0:1]
	s_cbranch_vccz .LBB408_445
; %bb.444:
	global_load_ubyte v2, v[0:1], off
	s_mov_b32 s0, 0x7f800000
	s_waitcnt vmcnt(0)
	v_lshlrev_b32_e32 v2, 24, v2
	v_and_b32_e32 v3, 0x7f000000, v2
	v_ffbh_u32_e32 v5, v3
	v_min_u32_e32 v5, 32, v5
	v_sub_u32_e64 v5, v5, 4 clamp
	v_lshlrev_b32_e32 v7, v5, v3
	v_lshlrev_b32_e32 v5, 23, v5
	v_lshrrev_b32_e32 v7, 4, v7
	v_add_u32_e32 v6, 0x1000000, v3
	v_sub_u32_e32 v5, v7, v5
	v_ashrrev_i32_e32 v6, 8, v6
	v_add_u32_e32 v5, 0x3c000000, v5
	v_and_or_b32 v5, v6, s0, v5
	v_cmp_ne_u32_e32 vcc, 0, v3
	s_brev_b32 s0, 1
	s_nop 0
	v_cndmask_b32_e32 v3, 0, v5, vcc
	v_and_or_b32 v2, v2, s0, v3
	v_cvt_f16_f32_e32 v2, v2
.LBB408_445:
	s_mov_b64 s[0:1], 0
.LBB408_446:
	s_andn2_b64 vcc, exec, s[0:1]
	s_cbranch_vccnz .LBB408_448
; %bb.447:
	global_load_ubyte v2, v[0:1], off
	s_movk_i32 s0, 0x7f00
	s_brev_b32 s1, 16
	s_waitcnt vmcnt(0)
	v_lshlrev_b16_e32 v3, 8, v2
	v_lshlrev_b32_e32 v2, 25, v2
	v_lshrrev_b32_e32 v5, 4, v2
	v_and_or_b32 v6, v3, s0, 0.5
	v_or_b32_e32 v5, 0x70000000, v5
	v_add_f32_e32 v6, -0.5, v6
	v_mul_f32_e32 v5, 0x7800000, v5
	v_cmp_gt_u32_e32 vcc, s1, v2
	v_bfe_i32 v3, v3, 0, 16
	s_brev_b32 s0, 1
	v_cndmask_b32_e32 v2, v5, v6, vcc
	v_and_or_b32 v2, v3, s0, v2
	v_cvt_f16_f32_e32 v2, v2
.LBB408_448:
	s_mov_b64 s[20:21], 0
	s_mov_b64 s[0:1], -1
.LBB408_449:
	s_andn2_b64 vcc, exec, s[20:21]
	s_cbranch_vccnz .LBB408_462
; %bb.450:
	s_cmp_gt_i32 s26, 14
	s_cbranch_scc0 .LBB408_453
; %bb.451:
	s_cmp_eq_u32 s26, 15
	s_cbranch_scc0 .LBB408_456
; %bb.452:
	global_load_ushort v2, v[0:1], off
	s_mov_b64 s[0:1], -1
	s_mov_b64 s[18:19], 0
	s_waitcnt vmcnt(0)
	v_lshlrev_b32_e32 v2, 16, v2
	v_cvt_f16_f32_e32 v2, v2
	s_branch .LBB408_457
.LBB408_453:
	s_mov_b64 s[20:21], -1
                                        ; implicit-def: $vgpr2
	s_branch .LBB408_458
.LBB408_454:
	s_or_saveexec_b64 s[20:21], s[20:21]
	v_mov_b32_e32 v2, 0x7e00
	s_xor_b64 exec, exec, s[20:21]
	s_cbranch_execz .LBB408_435
.LBB408_455:
	v_cmp_ne_u16_e32 vcc, 0, v3
	s_andn2_b64 s[0:1], s[0:1], exec
	s_and_b64 s[24:25], vcc, exec
	s_or_b64 s[0:1], s[0:1], s[24:25]
	v_mov_b32_e32 v2, v3
	s_or_b64 exec, exec, s[20:21]
	s_and_saveexec_b64 s[20:21], s[0:1]
	s_cbranch_execnz .LBB408_436
	s_branch .LBB408_437
.LBB408_456:
	s_mov_b64 s[18:19], -1
                                        ; implicit-def: $vgpr2
.LBB408_457:
	s_mov_b64 s[20:21], 0
.LBB408_458:
	s_and_b64 vcc, exec, s[20:21]
	s_cbranch_vccz .LBB408_462
; %bb.459:
	s_cmp_eq_u32 s26, 11
	s_cbranch_scc0 .LBB408_461
; %bb.460:
	global_load_ubyte v2, v[0:1], off
	v_mov_b32_e32 v3, 0x3c00
	s_mov_b64 s[0:1], -1
	s_mov_b64 s[18:19], 0
	s_waitcnt vmcnt(0)
	v_cmp_ne_u16_e32 vcc, 0, v2
	s_nop 1
	v_cndmask_b32_e32 v2, 0, v3, vcc
	s_branch .LBB408_462
.LBB408_461:
	s_mov_b64 s[18:19], -1
                                        ; implicit-def: $vgpr2
.LBB408_462:
	s_branch .LBB408_265
.LBB408_463:
	s_cmp_lt_i32 s26, 5
	s_cbranch_scc1 .LBB408_468
; %bb.464:
	s_cmp_lt_i32 s26, 8
	s_cbranch_scc1 .LBB408_469
; %bb.465:
	;; [unrolled: 3-line block ×3, first 2 shown]
	s_cmp_gt_i32 s26, 9
	s_cbranch_scc0 .LBB408_471
; %bb.467:
	global_load_dwordx2 v[2:3], v[0:1], off
	s_movk_i32 s0, 0x1ff
	s_movk_i32 s1, 0xffe
	v_mov_b32_e32 v5, 0x7c00
	v_mov_b32_e32 v6, 0x7e00
	s_movk_i32 s20, 0x40f
	s_mov_b32 s21, 0x8000
	s_waitcnt vmcnt(0)
	v_and_or_b32 v2, v3, s0, v2
	v_cmp_ne_u32_e32 vcc, 0, v2
	v_lshrrev_b32_e32 v7, 8, v3
	v_bfe_u32 v8, v3, 20, 11
	v_cndmask_b32_e64 v2, 0, 1, vcc
	v_sub_u32_e32 v9, 0x3f1, v8
	v_and_or_b32 v2, v7, s1, v2
	v_add_u32_e32 v8, 0xfffffc10, v8
	v_med3_i32 v7, v9, 0, 13
	v_or_b32_e32 v9, 0x1000, v2
	v_cmp_ne_u32_e32 vcc, 0, v2
	v_lshl_or_b32 v10, v8, 12, v2
	v_lshrrev_b32_e32 v3, 16, v3
	v_cndmask_b32_e32 v2, v5, v6, vcc
	v_lshrrev_b32_e32 v6, v7, v9
	v_lshlrev_b32_e32 v7, v7, v6
	v_cmp_ne_u32_e32 vcc, v7, v9
	s_mov_b64 s[0:1], 0
	s_nop 0
	v_cndmask_b32_e64 v7, 0, 1, vcc
	v_or_b32_e32 v6, v6, v7
	v_cmp_gt_i32_e32 vcc, 1, v8
	s_nop 1
	v_cndmask_b32_e32 v6, v10, v6, vcc
	v_and_b32_e32 v7, 7, v6
	v_cmp_lt_i32_e32 vcc, 5, v7
	v_lshrrev_b32_e32 v6, 2, v6
	s_nop 0
	v_cndmask_b32_e64 v9, 0, 1, vcc
	v_cmp_eq_u32_e32 vcc, 3, v7
	s_nop 1
	v_cndmask_b32_e64 v7, 0, 1, vcc
	v_or_b32_e32 v7, v7, v9
	v_add_u32_e32 v6, v6, v7
	v_cmp_gt_i32_e32 vcc, 31, v8
	s_nop 1
	v_cndmask_b32_e32 v5, v5, v6, vcc
	v_cmp_eq_u32_e32 vcc, s20, v8
	s_nop 1
	v_cndmask_b32_e32 v2, v5, v2, vcc
	v_and_or_b32 v2, v3, s21, v2
	s_branch .LBB408_472
.LBB408_468:
	s_mov_b64 s[0:1], -1
                                        ; implicit-def: $vgpr2
	s_branch .LBB408_490
.LBB408_469:
	s_mov_b64 s[0:1], -1
                                        ; implicit-def: $vgpr2
	s_branch .LBB408_478
.LBB408_470:
	s_mov_b64 s[0:1], -1
                                        ; implicit-def: $vgpr2
	s_branch .LBB408_475
.LBB408_471:
	s_mov_b64 s[0:1], -1
                                        ; implicit-def: $vgpr2
.LBB408_472:
	s_andn2_b64 vcc, exec, s[0:1]
	s_cbranch_vccnz .LBB408_474
; %bb.473:
	global_load_dword v2, v[0:1], off
	s_waitcnt vmcnt(0)
	v_cvt_f16_f32_e32 v2, v2
.LBB408_474:
	s_mov_b64 s[0:1], 0
.LBB408_475:
	s_andn2_b64 vcc, exec, s[0:1]
	s_cbranch_vccnz .LBB408_477
; %bb.476:
	global_load_dword v2, v[0:1], off
.LBB408_477:
	s_mov_b64 s[0:1], 0
.LBB408_478:
	s_andn2_b64 vcc, exec, s[0:1]
	s_cbranch_vccnz .LBB408_489
; %bb.479:
	s_cmp_lt_i32 s26, 6
	s_cbranch_scc1 .LBB408_482
; %bb.480:
	s_cmp_gt_i32 s26, 6
	s_cbranch_scc0 .LBB408_483
; %bb.481:
	global_load_dwordx2 v[2:3], v[0:1], off
	s_movk_i32 s0, 0x1ff
	s_movk_i32 s1, 0xffe
	v_mov_b32_e32 v5, 0x7c00
	v_mov_b32_e32 v6, 0x7e00
	s_movk_i32 s20, 0x40f
	s_mov_b32 s21, 0x8000
	s_waitcnt vmcnt(0)
	v_and_or_b32 v2, v3, s0, v2
	v_cmp_ne_u32_e32 vcc, 0, v2
	v_lshrrev_b32_e32 v7, 8, v3
	v_bfe_u32 v8, v3, 20, 11
	v_cndmask_b32_e64 v2, 0, 1, vcc
	v_sub_u32_e32 v9, 0x3f1, v8
	v_and_or_b32 v2, v7, s1, v2
	v_add_u32_e32 v8, 0xfffffc10, v8
	v_med3_i32 v7, v9, 0, 13
	v_or_b32_e32 v9, 0x1000, v2
	v_cmp_ne_u32_e32 vcc, 0, v2
	v_lshl_or_b32 v10, v8, 12, v2
	v_lshrrev_b32_e32 v3, 16, v3
	v_cndmask_b32_e32 v2, v5, v6, vcc
	v_lshrrev_b32_e32 v6, v7, v9
	v_lshlrev_b32_e32 v7, v7, v6
	v_cmp_ne_u32_e32 vcc, v7, v9
	s_mov_b64 s[0:1], 0
	s_nop 0
	v_cndmask_b32_e64 v7, 0, 1, vcc
	v_or_b32_e32 v6, v6, v7
	v_cmp_gt_i32_e32 vcc, 1, v8
	s_nop 1
	v_cndmask_b32_e32 v6, v10, v6, vcc
	v_and_b32_e32 v7, 7, v6
	v_cmp_lt_i32_e32 vcc, 5, v7
	v_lshrrev_b32_e32 v6, 2, v6
	s_nop 0
	v_cndmask_b32_e64 v9, 0, 1, vcc
	v_cmp_eq_u32_e32 vcc, 3, v7
	s_nop 1
	v_cndmask_b32_e64 v7, 0, 1, vcc
	v_or_b32_e32 v7, v7, v9
	v_add_u32_e32 v6, v6, v7
	v_cmp_gt_i32_e32 vcc, 31, v8
	s_nop 1
	v_cndmask_b32_e32 v5, v5, v6, vcc
	v_cmp_eq_u32_e32 vcc, s20, v8
	s_nop 1
	v_cndmask_b32_e32 v2, v5, v2, vcc
	v_and_or_b32 v2, v3, s21, v2
	s_branch .LBB408_484
.LBB408_482:
	s_mov_b64 s[0:1], -1
                                        ; implicit-def: $vgpr2
	s_branch .LBB408_487
.LBB408_483:
	s_mov_b64 s[0:1], -1
                                        ; implicit-def: $vgpr2
.LBB408_484:
	s_andn2_b64 vcc, exec, s[0:1]
	s_cbranch_vccnz .LBB408_486
; %bb.485:
	global_load_dword v2, v[0:1], off
	s_waitcnt vmcnt(0)
	v_cvt_f16_f32_e32 v2, v2
.LBB408_486:
	s_mov_b64 s[0:1], 0
.LBB408_487:
	s_andn2_b64 vcc, exec, s[0:1]
	s_cbranch_vccnz .LBB408_489
; %bb.488:
	global_load_ushort v2, v[0:1], off
.LBB408_489:
	s_mov_b64 s[0:1], 0
.LBB408_490:
	s_andn2_b64 vcc, exec, s[0:1]
	s_cbranch_vccnz .LBB408_510
; %bb.491:
	s_cmp_lt_i32 s26, 2
	s_cbranch_scc1 .LBB408_495
; %bb.492:
	s_cmp_lt_i32 s26, 3
	s_cbranch_scc1 .LBB408_496
; %bb.493:
	s_cmp_gt_i32 s26, 3
	s_cbranch_scc0 .LBB408_497
; %bb.494:
	global_load_dwordx2 v[2:3], v[0:1], off
	s_mov_b64 s[0:1], 0
	s_waitcnt vmcnt(0)
	v_xor_b32_e32 v6, v2, v3
	v_ffbh_i32_e32 v5, v3
	v_ashrrev_i32_e32 v6, 31, v6
	v_add_u32_e32 v5, -1, v5
	v_add_u32_e32 v6, 32, v6
	v_min_u32_e32 v5, v5, v6
	v_lshlrev_b64 v[2:3], v5, v[2:3]
	v_min_u32_e32 v2, 1, v2
	v_or_b32_e32 v2, v3, v2
	v_cvt_f32_i32_e32 v2, v2
	v_sub_u32_e32 v3, 32, v5
	v_ldexp_f32 v2, v2, v3
	v_cvt_f16_f32_e32 v2, v2
	s_branch .LBB408_498
.LBB408_495:
	s_mov_b64 s[0:1], -1
                                        ; implicit-def: $vgpr2
	s_branch .LBB408_504
.LBB408_496:
	s_mov_b64 s[0:1], -1
                                        ; implicit-def: $vgpr2
	s_branch .LBB408_501
.LBB408_497:
	s_mov_b64 s[0:1], -1
                                        ; implicit-def: $vgpr2
.LBB408_498:
	s_andn2_b64 vcc, exec, s[0:1]
	s_cbranch_vccnz .LBB408_500
; %bb.499:
	global_load_dword v2, v[0:1], off
	s_waitcnt vmcnt(0)
	v_cvt_f32_i32_e32 v2, v2
	v_cvt_f16_f32_e32 v2, v2
.LBB408_500:
	s_mov_b64 s[0:1], 0
.LBB408_501:
	s_andn2_b64 vcc, exec, s[0:1]
	s_cbranch_vccnz .LBB408_503
; %bb.502:
	global_load_ushort v2, v[0:1], off
	s_waitcnt vmcnt(0)
	v_cvt_f16_i16_e32 v2, v2
.LBB408_503:
	s_mov_b64 s[0:1], 0
.LBB408_504:
	s_andn2_b64 vcc, exec, s[0:1]
	s_cbranch_vccnz .LBB408_510
; %bb.505:
	s_cmp_gt_i32 s26, 0
	s_cbranch_scc0 .LBB408_507
; %bb.506:
	global_load_sbyte v2, v[0:1], off
	s_mov_b64 s[0:1], 0
	s_waitcnt vmcnt(0)
	v_cvt_f16_i16_e32 v2, v2
	s_branch .LBB408_508
.LBB408_507:
	s_mov_b64 s[0:1], -1
                                        ; implicit-def: $vgpr2
.LBB408_508:
	s_andn2_b64 vcc, exec, s[0:1]
	s_cbranch_vccnz .LBB408_510
; %bb.509:
	global_load_ubyte v0, v[0:1], off
	s_waitcnt vmcnt(0)
	v_cvt_f16_u16_e32 v2, v0
.LBB408_510:
	s_branch .LBB408_266
.LBB408_511:
	s_mov_b64 s[24:25], 0
                                        ; implicit-def: $vgpr4
	s_mov_b64 s[0:1], s[12:13]
.LBB408_512:
	s_andn2_b64 s[20:21], s[12:13], exec
	s_and_b64 s[0:1], s[0:1], exec
	s_or_b64 s[20:21], s[20:21], s[0:1]
	s_andn2_b64 s[0:1], s[14:15], exec
	s_and_b64 s[18:19], s[18:19], exec
	s_or_b64 s[18:19], s[0:1], s[18:19]
	s_orn2_b64 s[0:1], s[24:25], exec
.LBB408_513:
	s_or_b64 exec, exec, s[22:23]
	s_mov_b64 s[24:25], 0
	s_mov_b64 s[26:27], 0
	;; [unrolled: 1-line block ×3, first 2 shown]
                                        ; implicit-def: $vgpr0_vgpr1
                                        ; implicit-def: $vgpr3
	s_and_saveexec_b64 s[22:23], s[0:1]
	s_cbranch_execz .LBB408_858
; %bb.514:
	v_cmp_gt_i32_e32 vcc, s38, v4
	s_mov_b64 s[34:35], -1
	s_mov_b64 s[0:1], s[18:19]
	s_mov_b64 s[28:29], s[20:21]
	s_and_saveexec_b64 s[24:25], vcc
	s_cbranch_execz .LBB408_772
; %bb.515:
	v_mul_lo_u32 v0, v4, s9
	v_ashrrev_i32_e32 v1, 31, v0
	s_and_b32 s34, 0xffff, s43
	s_cmp_lt_i32 s34, 11
	v_lshl_add_u64 v[0:1], s[6:7], 0, v[0:1]
	s_cbranch_scc1 .LBB408_522
; %bb.516:
	s_cmp_gt_i32 s34, 25
	s_cbranch_scc0 .LBB408_523
; %bb.517:
	s_cmp_gt_i32 s34, 28
	s_cbranch_scc0 .LBB408_524
; %bb.518:
	s_cmp_gt_i32 s34, 43
	s_cbranch_scc0 .LBB408_525
; %bb.519:
	s_cmp_gt_i32 s34, 45
	s_cbranch_scc0 .LBB408_528
; %bb.520:
	s_cmp_eq_u32 s34, 46
	s_mov_b64 s[28:29], 0
	s_cbranch_scc0 .LBB408_531
; %bb.521:
	global_load_dword v2, v[0:1], off
	s_mov_b64 s[0:1], -1
	s_waitcnt vmcnt(0)
	v_lshlrev_b32_e32 v2, 16, v2
	v_cvt_f16_f32_e32 v2, v2
	s_branch .LBB408_532
.LBB408_522:
	s_mov_b64 s[28:29], -1
	s_mov_b64 s[0:1], 0
                                        ; implicit-def: $vgpr2
	s_mov_b64 s[26:27], s[18:19]
	s_branch .LBB408_597
.LBB408_523:
	s_mov_b64 s[28:29], -1
	s_mov_b64 s[0:1], 0
	s_mov_b64 s[26:27], s[18:19]
                                        ; implicit-def: $vgpr2
	s_branch .LBB408_561
.LBB408_524:
	s_mov_b64 s[28:29], -1
	s_mov_b64 s[0:1], 0
	s_mov_b64 s[26:27], s[18:19]
                                        ; implicit-def: $vgpr2
	s_branch .LBB408_542
.LBB408_525:
	s_mov_b64 s[28:29], -1
	s_mov_b64 s[0:1], 0
	s_mov_b64 s[26:27], s[18:19]
                                        ; implicit-def: $vgpr2
	s_branch .LBB408_537
.LBB408_526:
	s_andn2_saveexec_b64 s[26:27], s[26:27]
	s_cbranch_execz .LBB408_311
.LBB408_527:
	s_mov_b32 s30, 0x46000000
	v_add_f32_e64 v5, |v3|, s30
	v_and_b32_e32 v5, 0xff, v5
	v_cmp_ne_u32_e32 vcc, 0, v5
	s_andn2_b64 s[24:25], s[24:25], exec
	s_and_b64 s[30:31], vcc, exec
	s_or_b64 s[24:25], s[24:25], s[30:31]
	s_or_b64 exec, exec, s[26:27]
	v_mov_b32_e32 v6, 0
	s_and_saveexec_b64 s[26:27], s[24:25]
	s_cbranch_execnz .LBB408_312
	s_branch .LBB408_313
.LBB408_528:
	s_mov_b64 s[28:29], -1
	s_mov_b64 s[0:1], 0
	s_mov_b64 s[26:27], s[18:19]
                                        ; implicit-def: $vgpr2
	s_branch .LBB408_532
.LBB408_529:
	s_andn2_saveexec_b64 s[26:27], s[26:27]
	s_cbranch_execz .LBB408_324
.LBB408_530:
	s_mov_b32 s30, 0x42800000
	v_add_f32_e64 v5, |v3|, s30
	v_and_b32_e32 v5, 0xff, v5
	v_cmp_ne_u32_e32 vcc, 0, v5
	s_andn2_b64 s[24:25], s[24:25], exec
	s_and_b64 s[30:31], vcc, exec
	s_or_b64 s[24:25], s[24:25], s[30:31]
	s_or_b64 exec, exec, s[26:27]
	v_mov_b32_e32 v6, 0
	s_and_saveexec_b64 s[26:27], s[24:25]
	s_cbranch_execnz .LBB408_325
	s_branch .LBB408_326
.LBB408_531:
	s_mov_b64 s[26:27], -1
                                        ; implicit-def: $vgpr2
	s_mov_b64 s[0:1], 0
.LBB408_532:
	s_and_b64 vcc, exec, s[28:29]
	s_cbranch_vccz .LBB408_536
; %bb.533:
	s_cmp_eq_u32 s34, 44
	s_cbranch_scc0 .LBB408_535
; %bb.534:
	global_load_ubyte v2, v[0:1], off
	s_movk_i32 s26, 0xff
	v_mov_b32_e32 v5, 0x7e00
	s_mov_b64 s[0:1], -1
	s_waitcnt vmcnt(0)
	v_lshlrev_b32_e32 v3, 23, v2
	v_cvt_f16_f32_e32 v3, v3
	v_cmp_ne_u32_e32 vcc, s26, v2
	s_mov_b64 s[26:27], 0
	s_nop 0
	v_cndmask_b32_e32 v3, v5, v3, vcc
	v_cmp_ne_u32_e32 vcc, 0, v2
	s_nop 1
	v_cndmask_b32_e32 v2, 0, v3, vcc
	s_branch .LBB408_536
.LBB408_535:
	s_mov_b64 s[26:27], -1
                                        ; implicit-def: $vgpr2
.LBB408_536:
	s_mov_b64 s[28:29], 0
.LBB408_537:
	s_and_b64 vcc, exec, s[28:29]
	s_cbranch_vccz .LBB408_541
; %bb.538:
	s_cmp_eq_u32 s34, 29
	s_cbranch_scc0 .LBB408_540
; %bb.539:
	global_load_dwordx2 v[2:3], v[0:1], off
	s_mov_b64 s[0:1], -1
	s_mov_b64 s[26:27], 0
	s_mov_b64 s[28:29], 0
	s_waitcnt vmcnt(0)
	v_ffbh_u32_e32 v5, v3
	v_min_u32_e32 v5, 32, v5
	v_lshlrev_b64 v[2:3], v5, v[2:3]
	v_min_u32_e32 v2, 1, v2
	v_or_b32_e32 v2, v3, v2
	v_cvt_f32_u32_e32 v2, v2
	v_sub_u32_e32 v3, 32, v5
	v_ldexp_f32 v2, v2, v3
	v_cvt_f16_f32_e32 v2, v2
	s_branch .LBB408_542
.LBB408_540:
	s_mov_b64 s[26:27], -1
                                        ; implicit-def: $vgpr2
.LBB408_541:
	s_mov_b64 s[28:29], 0
.LBB408_542:
	s_and_b64 vcc, exec, s[28:29]
	s_cbranch_vccz .LBB408_560
; %bb.543:
	s_cmp_lt_i32 s34, 27
	s_cbranch_scc1 .LBB408_546
; %bb.544:
	s_cmp_gt_i32 s34, 27
	s_cbranch_scc0 .LBB408_547
; %bb.545:
	global_load_dword v2, v[0:1], off
	s_mov_b64 s[0:1], 0
	s_waitcnt vmcnt(0)
	v_cvt_f32_u32_e32 v2, v2
	v_cvt_f16_f32_e32 v2, v2
	s_branch .LBB408_548
.LBB408_546:
	s_mov_b64 s[0:1], -1
                                        ; implicit-def: $vgpr2
	s_branch .LBB408_551
.LBB408_547:
	s_mov_b64 s[0:1], -1
                                        ; implicit-def: $vgpr2
.LBB408_548:
	s_andn2_b64 vcc, exec, s[0:1]
	s_cbranch_vccnz .LBB408_550
; %bb.549:
	global_load_ushort v2, v[0:1], off
	s_waitcnt vmcnt(0)
	v_cvt_f16_u16_e32 v2, v2
.LBB408_550:
	s_mov_b64 s[0:1], 0
.LBB408_551:
	s_andn2_b64 vcc, exec, s[0:1]
	s_cbranch_vccnz .LBB408_559
; %bb.552:
	global_load_ubyte v3, v[0:1], off
	s_movk_i32 s0, 0x7f
	s_waitcnt vmcnt(0)
	v_cmp_lt_i16_e32 vcc, s0, v3
	s_mov_b64 s[0:1], 0
	s_and_saveexec_b64 s[28:29], vcc
	s_xor_b64 s[28:29], exec, s[28:29]
	s_cbranch_execz .LBB408_573
; %bb.553:
	s_movk_i32 s0, 0x80
	v_cmp_eq_u16_e32 vcc, s0, v3
	s_mov_b64 s[0:1], -1
	s_and_saveexec_b64 s[30:31], vcc
; %bb.554:
	s_xor_b64 s[0:1], exec, -1
; %bb.555:
	s_or_b64 exec, exec, s[30:31]
	s_and_b64 s[0:1], s[0:1], exec
	s_or_saveexec_b64 s[28:29], s[28:29]
	v_mov_b32_e32 v2, 0x7e00
	s_xor_b64 exec, exec, s[28:29]
	s_cbranch_execnz .LBB408_574
.LBB408_556:
	s_or_b64 exec, exec, s[28:29]
	s_and_saveexec_b64 s[28:29], s[0:1]
	s_cbranch_execz .LBB408_558
.LBB408_557:
	v_lshlrev_b32_e32 v2, 24, v3
	v_and_b32_e32 v3, 0xffff, v3
	v_and_b32_e32 v5, 7, v3
	v_ffbh_u32_e32 v7, v5
	v_min_u32_e32 v7, 32, v7
	v_subrev_u32_e32 v8, 28, v7
	v_bfe_u32 v6, v3, 3, 4
	v_lshlrev_b32_e32 v3, v8, v3
	v_sub_u32_e32 v7, 29, v7
	v_and_b32_e32 v3, 7, v3
	v_cmp_eq_u32_e32 vcc, 0, v6
	v_and_b32_e32 v2, 0x80000000, v2
	s_nop 0
	v_cndmask_b32_e32 v6, v6, v7, vcc
	v_cndmask_b32_e32 v3, v5, v3, vcc
	v_mov_b32_e32 v5, 0x3b800000
	v_lshlrev_b32_e32 v3, 20, v3
	v_lshl_add_u32 v5, v6, 23, v5
	v_or3_b32 v2, v2, v5, v3
	v_cvt_f16_f32_e32 v2, v2
.LBB408_558:
	s_or_b64 exec, exec, s[28:29]
.LBB408_559:
	s_mov_b64 s[0:1], -1
.LBB408_560:
	s_mov_b64 s[28:29], 0
.LBB408_561:
	s_and_b64 vcc, exec, s[28:29]
	s_cbranch_vccz .LBB408_596
; %bb.562:
	s_cmp_gt_i32 s34, 22
	s_cbranch_scc0 .LBB408_572
; %bb.563:
	s_cmp_lt_i32 s34, 24
	s_cbranch_scc1 .LBB408_575
; %bb.564:
	s_cmp_gt_i32 s34, 24
	s_cbranch_scc0 .LBB408_576
; %bb.565:
	global_load_ubyte v3, v[0:1], off
	s_movk_i32 s0, 0x7f
	s_waitcnt vmcnt(0)
	v_cmp_lt_i16_e32 vcc, s0, v3
	s_mov_b64 s[0:1], 0
	s_and_saveexec_b64 s[28:29], vcc
	s_xor_b64 s[28:29], exec, s[28:29]
	s_cbranch_execz .LBB408_588
; %bb.566:
	s_movk_i32 s0, 0x80
	v_cmp_eq_u16_e32 vcc, s0, v3
	s_mov_b64 s[0:1], -1
	s_and_saveexec_b64 s[30:31], vcc
; %bb.567:
	s_xor_b64 s[0:1], exec, -1
; %bb.568:
	s_or_b64 exec, exec, s[30:31]
	s_and_b64 s[0:1], s[0:1], exec
	s_or_saveexec_b64 s[28:29], s[28:29]
	v_mov_b32_e32 v2, 0x7e00
	s_xor_b64 exec, exec, s[28:29]
	s_cbranch_execnz .LBB408_589
.LBB408_569:
	s_or_b64 exec, exec, s[28:29]
	s_and_saveexec_b64 s[28:29], s[0:1]
	s_cbranch_execz .LBB408_571
.LBB408_570:
	v_lshlrev_b32_e32 v2, 24, v3
	v_and_b32_e32 v3, 0xffff, v3
	v_and_b32_e32 v5, 3, v3
	v_ffbh_u32_e32 v7, v5
	v_min_u32_e32 v7, 32, v7
	v_subrev_u32_e32 v8, 29, v7
	v_bfe_u32 v6, v3, 2, 5
	v_lshlrev_b32_e32 v3, v8, v3
	v_sub_u32_e32 v7, 30, v7
	v_and_b32_e32 v3, 3, v3
	v_cmp_eq_u32_e32 vcc, 0, v6
	v_and_b32_e32 v2, 0x80000000, v2
	s_nop 0
	v_cndmask_b32_e32 v6, v6, v7, vcc
	v_cndmask_b32_e32 v3, v5, v3, vcc
	v_mov_b32_e32 v5, 0x37800000
	v_lshlrev_b32_e32 v3, 21, v3
	v_lshl_add_u32 v5, v6, 23, v5
	v_or3_b32 v2, v2, v5, v3
	v_cvt_f16_f32_e32 v2, v2
.LBB408_571:
	s_or_b64 exec, exec, s[28:29]
	s_mov_b64 s[0:1], 0
	s_branch .LBB408_577
.LBB408_572:
	s_mov_b64 s[28:29], -1
                                        ; implicit-def: $vgpr2
	s_branch .LBB408_583
.LBB408_573:
	s_or_saveexec_b64 s[28:29], s[28:29]
	v_mov_b32_e32 v2, 0x7e00
	s_xor_b64 exec, exec, s[28:29]
	s_cbranch_execz .LBB408_556
.LBB408_574:
	v_cmp_ne_u16_e32 vcc, 0, v3
	s_andn2_b64 s[0:1], s[0:1], exec
	s_and_b64 s[30:31], vcc, exec
	s_or_b64 s[0:1], s[0:1], s[30:31]
	v_mov_b32_e32 v2, v3
	s_or_b64 exec, exec, s[28:29]
	s_and_saveexec_b64 s[28:29], s[0:1]
	s_cbranch_execnz .LBB408_557
	s_branch .LBB408_558
.LBB408_575:
	s_mov_b64 s[0:1], -1
                                        ; implicit-def: $vgpr2
	s_branch .LBB408_580
.LBB408_576:
	s_mov_b64 s[0:1], -1
                                        ; implicit-def: $vgpr2
.LBB408_577:
	s_and_b64 vcc, exec, s[0:1]
	s_cbranch_vccz .LBB408_579
; %bb.578:
	global_load_ubyte v2, v[0:1], off
	s_mov_b32 s0, 0x7f800000
	s_waitcnt vmcnt(0)
	v_lshlrev_b32_e32 v2, 24, v2
	v_and_b32_e32 v3, 0x7f000000, v2
	v_ffbh_u32_e32 v5, v3
	v_min_u32_e32 v5, 32, v5
	v_sub_u32_e64 v5, v5, 4 clamp
	v_lshlrev_b32_e32 v7, v5, v3
	v_lshlrev_b32_e32 v5, 23, v5
	v_lshrrev_b32_e32 v7, 4, v7
	v_add_u32_e32 v6, 0x1000000, v3
	v_sub_u32_e32 v5, v7, v5
	v_ashrrev_i32_e32 v6, 8, v6
	v_add_u32_e32 v5, 0x3c000000, v5
	v_and_or_b32 v5, v6, s0, v5
	v_cmp_ne_u32_e32 vcc, 0, v3
	s_brev_b32 s0, 1
	s_nop 0
	v_cndmask_b32_e32 v3, 0, v5, vcc
	v_and_or_b32 v2, v2, s0, v3
	v_cvt_f16_f32_e32 v2, v2
.LBB408_579:
	s_mov_b64 s[0:1], 0
.LBB408_580:
	s_andn2_b64 vcc, exec, s[0:1]
	s_cbranch_vccnz .LBB408_582
; %bb.581:
	global_load_ubyte v2, v[0:1], off
	s_movk_i32 s0, 0x7f00
	s_brev_b32 s1, 16
	s_waitcnt vmcnt(0)
	v_lshlrev_b16_e32 v3, 8, v2
	v_lshlrev_b32_e32 v2, 25, v2
	v_lshrrev_b32_e32 v5, 4, v2
	v_and_or_b32 v6, v3, s0, 0.5
	v_or_b32_e32 v5, 0x70000000, v5
	v_add_f32_e32 v6, -0.5, v6
	v_mul_f32_e32 v5, 0x7800000, v5
	v_cmp_gt_u32_e32 vcc, s1, v2
	v_bfe_i32 v3, v3, 0, 16
	s_brev_b32 s0, 1
	v_cndmask_b32_e32 v2, v5, v6, vcc
	v_and_or_b32 v2, v3, s0, v2
	v_cvt_f16_f32_e32 v2, v2
.LBB408_582:
	s_mov_b64 s[28:29], 0
	s_mov_b64 s[0:1], -1
.LBB408_583:
	s_andn2_b64 vcc, exec, s[28:29]
	s_cbranch_vccnz .LBB408_596
; %bb.584:
	s_cmp_gt_i32 s34, 14
	s_cbranch_scc0 .LBB408_587
; %bb.585:
	s_cmp_eq_u32 s34, 15
	s_cbranch_scc0 .LBB408_590
; %bb.586:
	global_load_ushort v2, v[0:1], off
	s_mov_b64 s[0:1], -1
	s_mov_b64 s[26:27], 0
	s_waitcnt vmcnt(0)
	v_lshlrev_b32_e32 v2, 16, v2
	v_cvt_f16_f32_e32 v2, v2
	s_branch .LBB408_591
.LBB408_587:
	s_mov_b64 s[28:29], -1
                                        ; implicit-def: $vgpr2
	s_branch .LBB408_592
.LBB408_588:
	s_or_saveexec_b64 s[28:29], s[28:29]
	v_mov_b32_e32 v2, 0x7e00
	s_xor_b64 exec, exec, s[28:29]
	s_cbranch_execz .LBB408_569
.LBB408_589:
	v_cmp_ne_u16_e32 vcc, 0, v3
	s_andn2_b64 s[0:1], s[0:1], exec
	s_and_b64 s[30:31], vcc, exec
	s_or_b64 s[0:1], s[0:1], s[30:31]
	v_mov_b32_e32 v2, v3
	s_or_b64 exec, exec, s[28:29]
	s_and_saveexec_b64 s[28:29], s[0:1]
	s_cbranch_execnz .LBB408_570
	s_branch .LBB408_571
.LBB408_590:
	s_mov_b64 s[26:27], -1
                                        ; implicit-def: $vgpr2
.LBB408_591:
	s_mov_b64 s[28:29], 0
.LBB408_592:
	s_and_b64 vcc, exec, s[28:29]
	s_cbranch_vccz .LBB408_596
; %bb.593:
	s_cmp_eq_u32 s34, 11
	s_cbranch_scc0 .LBB408_595
; %bb.594:
	global_load_ubyte v2, v[0:1], off
	v_mov_b32_e32 v3, 0x3c00
	s_mov_b64 s[0:1], -1
	s_mov_b64 s[26:27], 0
	s_waitcnt vmcnt(0)
	v_cmp_ne_u16_e32 vcc, 0, v2
	s_nop 1
	v_cndmask_b32_e32 v2, 0, v3, vcc
	s_branch .LBB408_596
.LBB408_595:
	s_mov_b64 s[26:27], -1
                                        ; implicit-def: $vgpr2
.LBB408_596:
	s_mov_b64 s[28:29], 0
.LBB408_597:
	s_and_b64 vcc, exec, s[28:29]
	s_cbranch_vccz .LBB408_646
; %bb.598:
	s_cmp_lt_i32 s34, 5
	s_cbranch_scc1 .LBB408_603
; %bb.599:
	s_cmp_lt_i32 s34, 8
	s_cbranch_scc1 .LBB408_604
	;; [unrolled: 3-line block ×3, first 2 shown]
; %bb.601:
	s_cmp_gt_i32 s34, 9
	s_cbranch_scc0 .LBB408_606
; %bb.602:
	global_load_dwordx2 v[2:3], v[0:1], off
	s_movk_i32 s0, 0x1ff
	s_movk_i32 s1, 0xffe
	v_mov_b32_e32 v5, 0x7c00
	v_mov_b32_e32 v6, 0x7e00
	s_movk_i32 s28, 0x40f
	s_mov_b32 s29, 0x8000
	s_waitcnt vmcnt(0)
	v_and_or_b32 v2, v3, s0, v2
	v_cmp_ne_u32_e32 vcc, 0, v2
	v_lshrrev_b32_e32 v7, 8, v3
	v_bfe_u32 v8, v3, 20, 11
	v_cndmask_b32_e64 v2, 0, 1, vcc
	v_sub_u32_e32 v9, 0x3f1, v8
	v_and_or_b32 v2, v7, s1, v2
	v_add_u32_e32 v8, 0xfffffc10, v8
	v_med3_i32 v7, v9, 0, 13
	v_or_b32_e32 v9, 0x1000, v2
	v_cmp_ne_u32_e32 vcc, 0, v2
	v_lshl_or_b32 v10, v8, 12, v2
	v_lshrrev_b32_e32 v3, 16, v3
	v_cndmask_b32_e32 v2, v5, v6, vcc
	v_lshrrev_b32_e32 v6, v7, v9
	v_lshlrev_b32_e32 v7, v7, v6
	v_cmp_ne_u32_e32 vcc, v7, v9
	s_mov_b64 s[0:1], 0
	s_nop 0
	v_cndmask_b32_e64 v7, 0, 1, vcc
	v_or_b32_e32 v6, v6, v7
	v_cmp_gt_i32_e32 vcc, 1, v8
	s_nop 1
	v_cndmask_b32_e32 v6, v10, v6, vcc
	v_and_b32_e32 v7, 7, v6
	v_cmp_lt_i32_e32 vcc, 5, v7
	v_lshrrev_b32_e32 v6, 2, v6
	s_nop 0
	v_cndmask_b32_e64 v9, 0, 1, vcc
	v_cmp_eq_u32_e32 vcc, 3, v7
	s_nop 1
	v_cndmask_b32_e64 v7, 0, 1, vcc
	v_or_b32_e32 v7, v7, v9
	v_add_u32_e32 v6, v6, v7
	v_cmp_gt_i32_e32 vcc, 31, v8
	s_nop 1
	v_cndmask_b32_e32 v5, v5, v6, vcc
	v_cmp_eq_u32_e32 vcc, s28, v8
	s_nop 1
	v_cndmask_b32_e32 v2, v5, v2, vcc
	v_and_or_b32 v2, v3, s29, v2
	s_branch .LBB408_607
.LBB408_603:
	s_mov_b64 s[0:1], -1
                                        ; implicit-def: $vgpr2
	s_branch .LBB408_625
.LBB408_604:
	s_mov_b64 s[0:1], -1
                                        ; implicit-def: $vgpr2
	s_branch .LBB408_613
.LBB408_605:
	s_mov_b64 s[0:1], -1
                                        ; implicit-def: $vgpr2
	s_branch .LBB408_610
.LBB408_606:
	s_mov_b64 s[0:1], -1
                                        ; implicit-def: $vgpr2
.LBB408_607:
	s_andn2_b64 vcc, exec, s[0:1]
	s_cbranch_vccnz .LBB408_609
; %bb.608:
	global_load_dword v2, v[0:1], off
	s_waitcnt vmcnt(0)
	v_cvt_f16_f32_e32 v2, v2
.LBB408_609:
	s_mov_b64 s[0:1], 0
.LBB408_610:
	s_andn2_b64 vcc, exec, s[0:1]
	s_cbranch_vccnz .LBB408_612
; %bb.611:
	global_load_dword v2, v[0:1], off
.LBB408_612:
	s_mov_b64 s[0:1], 0
.LBB408_613:
	s_andn2_b64 vcc, exec, s[0:1]
	s_cbranch_vccnz .LBB408_624
; %bb.614:
	s_cmp_lt_i32 s34, 6
	s_cbranch_scc1 .LBB408_617
; %bb.615:
	s_cmp_gt_i32 s34, 6
	s_cbranch_scc0 .LBB408_618
; %bb.616:
	global_load_dwordx2 v[2:3], v[0:1], off
	s_movk_i32 s0, 0x1ff
	s_movk_i32 s1, 0xffe
	v_mov_b32_e32 v5, 0x7c00
	v_mov_b32_e32 v6, 0x7e00
	s_movk_i32 s28, 0x40f
	s_mov_b32 s29, 0x8000
	s_waitcnt vmcnt(0)
	v_and_or_b32 v2, v3, s0, v2
	v_cmp_ne_u32_e32 vcc, 0, v2
	v_lshrrev_b32_e32 v7, 8, v3
	v_bfe_u32 v8, v3, 20, 11
	v_cndmask_b32_e64 v2, 0, 1, vcc
	v_sub_u32_e32 v9, 0x3f1, v8
	v_and_or_b32 v2, v7, s1, v2
	v_add_u32_e32 v8, 0xfffffc10, v8
	v_med3_i32 v7, v9, 0, 13
	v_or_b32_e32 v9, 0x1000, v2
	v_cmp_ne_u32_e32 vcc, 0, v2
	v_lshl_or_b32 v10, v8, 12, v2
	v_lshrrev_b32_e32 v3, 16, v3
	v_cndmask_b32_e32 v2, v5, v6, vcc
	v_lshrrev_b32_e32 v6, v7, v9
	v_lshlrev_b32_e32 v7, v7, v6
	v_cmp_ne_u32_e32 vcc, v7, v9
	s_mov_b64 s[0:1], 0
	s_nop 0
	v_cndmask_b32_e64 v7, 0, 1, vcc
	v_or_b32_e32 v6, v6, v7
	v_cmp_gt_i32_e32 vcc, 1, v8
	s_nop 1
	v_cndmask_b32_e32 v6, v10, v6, vcc
	v_and_b32_e32 v7, 7, v6
	v_cmp_lt_i32_e32 vcc, 5, v7
	v_lshrrev_b32_e32 v6, 2, v6
	s_nop 0
	v_cndmask_b32_e64 v9, 0, 1, vcc
	v_cmp_eq_u32_e32 vcc, 3, v7
	s_nop 1
	v_cndmask_b32_e64 v7, 0, 1, vcc
	v_or_b32_e32 v7, v7, v9
	v_add_u32_e32 v6, v6, v7
	v_cmp_gt_i32_e32 vcc, 31, v8
	s_nop 1
	v_cndmask_b32_e32 v5, v5, v6, vcc
	v_cmp_eq_u32_e32 vcc, s28, v8
	s_nop 1
	v_cndmask_b32_e32 v2, v5, v2, vcc
	v_and_or_b32 v2, v3, s29, v2
	s_branch .LBB408_619
.LBB408_617:
	s_mov_b64 s[0:1], -1
                                        ; implicit-def: $vgpr2
	s_branch .LBB408_622
.LBB408_618:
	s_mov_b64 s[0:1], -1
                                        ; implicit-def: $vgpr2
.LBB408_619:
	s_andn2_b64 vcc, exec, s[0:1]
	s_cbranch_vccnz .LBB408_621
; %bb.620:
	global_load_dword v2, v[0:1], off
	s_waitcnt vmcnt(0)
	v_cvt_f16_f32_e32 v2, v2
.LBB408_621:
	s_mov_b64 s[0:1], 0
.LBB408_622:
	s_andn2_b64 vcc, exec, s[0:1]
	s_cbranch_vccnz .LBB408_624
; %bb.623:
	global_load_ushort v2, v[0:1], off
.LBB408_624:
	s_mov_b64 s[0:1], 0
.LBB408_625:
	s_andn2_b64 vcc, exec, s[0:1]
	s_cbranch_vccnz .LBB408_645
; %bb.626:
	s_cmp_lt_i32 s34, 2
	s_cbranch_scc1 .LBB408_630
; %bb.627:
	s_cmp_lt_i32 s34, 3
	s_cbranch_scc1 .LBB408_631
; %bb.628:
	s_cmp_gt_i32 s34, 3
	s_cbranch_scc0 .LBB408_632
; %bb.629:
	global_load_dwordx2 v[2:3], v[0:1], off
	s_mov_b64 s[0:1], 0
	s_waitcnt vmcnt(0)
	v_xor_b32_e32 v6, v2, v3
	v_ffbh_i32_e32 v5, v3
	v_ashrrev_i32_e32 v6, 31, v6
	v_add_u32_e32 v5, -1, v5
	v_add_u32_e32 v6, 32, v6
	v_min_u32_e32 v5, v5, v6
	v_lshlrev_b64 v[2:3], v5, v[2:3]
	v_min_u32_e32 v2, 1, v2
	v_or_b32_e32 v2, v3, v2
	v_cvt_f32_i32_e32 v2, v2
	v_sub_u32_e32 v3, 32, v5
	v_ldexp_f32 v2, v2, v3
	v_cvt_f16_f32_e32 v2, v2
	s_branch .LBB408_633
.LBB408_630:
	s_mov_b64 s[0:1], -1
                                        ; implicit-def: $vgpr2
	s_branch .LBB408_639
.LBB408_631:
	s_mov_b64 s[0:1], -1
                                        ; implicit-def: $vgpr2
	s_branch .LBB408_636
.LBB408_632:
	s_mov_b64 s[0:1], -1
                                        ; implicit-def: $vgpr2
.LBB408_633:
	s_andn2_b64 vcc, exec, s[0:1]
	s_cbranch_vccnz .LBB408_635
; %bb.634:
	global_load_dword v2, v[0:1], off
	s_waitcnt vmcnt(0)
	v_cvt_f32_i32_e32 v2, v2
	v_cvt_f16_f32_e32 v2, v2
.LBB408_635:
	s_mov_b64 s[0:1], 0
.LBB408_636:
	s_andn2_b64 vcc, exec, s[0:1]
	s_cbranch_vccnz .LBB408_638
; %bb.637:
	global_load_ushort v2, v[0:1], off
	s_waitcnt vmcnt(0)
	v_cvt_f16_i16_e32 v2, v2
.LBB408_638:
	s_mov_b64 s[0:1], 0
.LBB408_639:
	s_andn2_b64 vcc, exec, s[0:1]
	s_cbranch_vccnz .LBB408_645
; %bb.640:
	s_cmp_gt_i32 s34, 0
	s_cbranch_scc0 .LBB408_642
; %bb.641:
	global_load_sbyte v2, v[0:1], off
	s_mov_b64 s[0:1], 0
	s_waitcnt vmcnt(0)
	v_cvt_f16_i16_e32 v2, v2
	s_branch .LBB408_643
.LBB408_642:
	s_mov_b64 s[0:1], -1
                                        ; implicit-def: $vgpr2
.LBB408_643:
	s_andn2_b64 vcc, exec, s[0:1]
	s_cbranch_vccnz .LBB408_645
; %bb.644:
	global_load_ubyte v0, v[0:1], off
	s_waitcnt vmcnt(0)
	v_cvt_f16_u16_e32 v2, v0
.LBB408_645:
	s_mov_b64 s[0:1], -1
.LBB408_646:
	s_andn2_b64 vcc, exec, s[0:1]
	s_cbranch_vccnz .LBB408_654
; %bb.647:
	s_waitcnt vmcnt(0)
	v_cmp_u_f16_e32 vcc, v2, v2
	v_cmp_lt_f16_e64 s[0:1], s33, v2
	v_mov_b32_e32 v0, s33
	s_or_b64 vcc, vcc, s[0:1]
	v_cndmask_b32_e32 v2, v0, v2, vcc
	v_mul_lo_u32 v0, v4, s8
	v_ashrrev_i32_e32 v1, 31, v0
	s_and_b32 s36, s42, 0xff
	s_cmp_lt_i32 s36, 11
	v_lshl_add_u64 v[0:1], s[4:5], 0, v[0:1]
	s_cbranch_scc1 .LBB408_655
; %bb.648:
	s_and_b32 s37, 0xffff, s36
	s_cmp_gt_i32 s37, 25
	s_cbranch_scc0 .LBB408_656
; %bb.649:
	s_cmp_gt_i32 s37, 28
	s_cbranch_scc0 .LBB408_657
; %bb.650:
	;; [unrolled: 3-line block ×4, first 2 shown]
	s_mov_b64 s[30:31], 0
	s_mov_b64 s[0:1], -1
	s_cmp_eq_u32 s37, 46
	s_mov_b64 s[28:29], 0
	s_cbranch_scc0 .LBB408_660
; %bb.653:
	v_cvt_f32_f16_e32 v3, v2
	s_movk_i32 s0, 0x7fff
	v_cmp_o_f16_e32 vcc, v2, v2
	v_mov_b32_e32 v5, 0x7fc0
	v_bfe_u32 v6, v3, 16, 1
	v_add3_u32 v3, v3, v6, s0
	v_cndmask_b32_sdwa v3, v5, v3, vcc dst_sel:DWORD dst_unused:UNUSED_PAD src0_sel:DWORD src1_sel:WORD_1
	global_store_dword v[0:1], v3, off
	s_mov_b64 s[28:29], -1
	s_mov_b64 s[0:1], 0
	s_branch .LBB408_660
.LBB408_654:
	s_mov_b64 s[30:31], 0
                                        ; implicit-def: $vgpr4
	s_mov_b64 s[0:1], s[20:21]
	s_branch .LBB408_771
.LBB408_655:
	s_mov_b64 s[30:31], -1
	s_mov_b64 s[28:29], 0
	s_mov_b64 s[0:1], s[20:21]
	s_branch .LBB408_729
.LBB408_656:
	s_mov_b64 s[30:31], -1
	s_mov_b64 s[28:29], 0
	s_mov_b64 s[0:1], s[20:21]
	s_branch .LBB408_687
.LBB408_657:
	s_mov_b64 s[30:31], -1
	s_mov_b64 s[28:29], 0
	s_mov_b64 s[0:1], s[20:21]
	s_branch .LBB408_670
.LBB408_658:
	s_mov_b64 s[30:31], -1
	s_mov_b64 s[28:29], 0
	s_mov_b64 s[0:1], s[20:21]
	s_branch .LBB408_666
.LBB408_659:
	s_mov_b64 s[30:31], -1
	s_mov_b64 s[28:29], 0
	s_mov_b64 s[0:1], s[20:21]
.LBB408_660:
	s_and_b64 vcc, exec, s[30:31]
	s_cbranch_vccz .LBB408_665
; %bb.661:
	s_cmp_eq_u32 s37, 44
	s_mov_b64 s[0:1], -1
	s_cbranch_scc0 .LBB408_665
; %bb.662:
	v_cvt_f32_f16_e32 v3, v2
	s_movk_i32 s0, 0xff
	v_mov_b32_e32 v6, 0xff
	v_bfe_u32 v5, v3, 23, 8
	v_cmp_ne_u32_e32 vcc, s0, v5
	s_and_saveexec_b64 s[28:29], vcc
; %bb.663:
	s_mov_b32 s0, 0x3fffff
	v_lshrrev_b32_e32 v6, 23, v3
	v_and_b32_e32 v7, 0x400000, v3
	v_and_or_b32 v3, v3, s0, v5
	v_cmp_ne_u32_e32 vcc, 0, v7
	v_cmp_ne_u32_e64 s[0:1], 0, v3
	s_and_b64 s[0:1], vcc, s[0:1]
	s_nop 0
	v_cndmask_b32_e64 v3, 0, 1, s[0:1]
	v_add_u32_e32 v6, v6, v3
; %bb.664:
	s_or_b64 exec, exec, s[28:29]
	s_mov_b64 s[28:29], -1
	s_mov_b64 s[0:1], 0
	global_store_byte v[0:1], v6, off
.LBB408_665:
	s_mov_b64 s[30:31], 0
.LBB408_666:
	s_and_b64 vcc, exec, s[30:31]
	s_cbranch_vccz .LBB408_669
; %bb.667:
	s_cmp_eq_u32 s37, 29
	s_mov_b64 s[0:1], -1
	s_cbranch_scc0 .LBB408_669
; %bb.668:
	v_cvt_f32_f16_e32 v3, v2
	v_mov_b32_e32 v7, 0
	s_mov_b64 s[28:29], -1
	s_mov_b64 s[0:1], 0
	v_cvt_u32_f32_e32 v6, v3
	s_mov_b64 s[30:31], 0
	global_store_dwordx2 v[0:1], v[6:7], off
	s_branch .LBB408_670
.LBB408_669:
	s_mov_b64 s[30:31], 0
.LBB408_670:
	s_and_b64 vcc, exec, s[30:31]
	s_cbranch_vccz .LBB408_686
; %bb.671:
	s_cmp_lt_i32 s37, 27
	s_mov_b64 s[28:29], -1
	s_cbranch_scc1 .LBB408_677
; %bb.672:
	s_cmp_gt_i32 s37, 27
	s_cbranch_scc0 .LBB408_674
; %bb.673:
	v_cvt_f32_f16_e32 v3, v2
	s_mov_b64 s[28:29], 0
	v_cvt_u32_f32_e32 v3, v3
	global_store_dword v[0:1], v3, off
.LBB408_674:
	s_andn2_b64 vcc, exec, s[28:29]
	s_cbranch_vccnz .LBB408_676
; %bb.675:
	v_cvt_u16_f16_e32 v3, v2
	global_store_short v[0:1], v3, off
.LBB408_676:
	s_mov_b64 s[28:29], 0
.LBB408_677:
	s_andn2_b64 vcc, exec, s[28:29]
	s_cbranch_vccnz .LBB408_685
; %bb.678:
	v_cvt_f32_f16_e32 v3, v2
	s_mov_b32 s28, 0x43800000
	v_mov_b32_e32 v6, 0x80
	v_and_b32_e32 v5, 0x7fffffff, v3
	v_cmp_gt_u32_e32 vcc, s28, v5
	s_and_saveexec_b64 s[28:29], vcc
	s_cbranch_execz .LBB408_684
; %bb.679:
	s_mov_b32 s30, 0x3bffffff
	v_cmp_lt_u32_e32 vcc, s30, v5
	s_mov_b64 s[30:31], 0
                                        ; implicit-def: $vgpr5
	s_and_saveexec_b64 s[34:35], vcc
	s_xor_b64 s[34:35], exec, s[34:35]
	s_cbranch_execz .LBB408_785
; %bb.680:
	v_bfe_u32 v5, v3, 20, 1
	s_mov_b32 s39, 0x487ffff
	v_add3_u32 v5, v3, v5, s39
	s_mov_b64 s[30:31], exec
	v_lshrrev_b32_e32 v5, 20, v5
	s_andn2_saveexec_b64 s[34:35], s[34:35]
	s_cbranch_execnz .LBB408_786
.LBB408_681:
	s_or_b64 exec, exec, s[34:35]
	v_mov_b32_e32 v6, 0
	s_and_saveexec_b64 s[34:35], s[30:31]
.LBB408_682:
	v_lshrrev_b32_e32 v3, 24, v3
	s_movk_i32 s30, 0x80
	v_and_or_b32 v6, v3, s30, v5
.LBB408_683:
	s_or_b64 exec, exec, s[34:35]
.LBB408_684:
	s_or_b64 exec, exec, s[28:29]
	global_store_byte v[0:1], v6, off
.LBB408_685:
	s_mov_b64 s[28:29], -1
.LBB408_686:
	s_mov_b64 s[30:31], 0
.LBB408_687:
	s_and_b64 vcc, exec, s[30:31]
	s_cbranch_vccz .LBB408_728
; %bb.688:
	s_cmp_gt_i32 s37, 22
	s_mov_b64 s[30:31], -1
	s_cbranch_scc0 .LBB408_720
; %bb.689:
	s_cmp_lt_i32 s37, 24
	s_mov_b64 s[28:29], -1
	s_cbranch_scc1 .LBB408_709
; %bb.690:
	s_cmp_gt_i32 s37, 24
	s_cbranch_scc0 .LBB408_698
; %bb.691:
	v_cvt_f32_f16_e32 v3, v2
	s_mov_b32 s28, 0x47800000
	v_mov_b32_e32 v6, 0x80
	v_and_b32_e32 v5, 0x7fffffff, v3
	v_cmp_gt_u32_e32 vcc, s28, v5
	s_and_saveexec_b64 s[28:29], vcc
	s_cbranch_execz .LBB408_697
; %bb.692:
	s_mov_b32 s30, 0x37ffffff
	v_cmp_lt_u32_e32 vcc, s30, v5
	s_mov_b64 s[30:31], 0
                                        ; implicit-def: $vgpr5
	s_and_saveexec_b64 s[34:35], vcc
	s_xor_b64 s[34:35], exec, s[34:35]
	s_cbranch_execz .LBB408_788
; %bb.693:
	v_bfe_u32 v5, v3, 21, 1
	s_mov_b32 s39, 0x88fffff
	v_add3_u32 v5, v3, v5, s39
	s_mov_b64 s[30:31], exec
	v_lshrrev_b32_e32 v5, 21, v5
	s_andn2_saveexec_b64 s[34:35], s[34:35]
	s_cbranch_execnz .LBB408_789
.LBB408_694:
	s_or_b64 exec, exec, s[34:35]
	v_mov_b32_e32 v6, 0
	s_and_saveexec_b64 s[34:35], s[30:31]
.LBB408_695:
	v_lshrrev_b32_e32 v3, 24, v3
	s_movk_i32 s30, 0x80
	v_and_or_b32 v6, v3, s30, v5
.LBB408_696:
	s_or_b64 exec, exec, s[34:35]
.LBB408_697:
	s_or_b64 exec, exec, s[28:29]
	s_mov_b64 s[28:29], 0
	global_store_byte v[0:1], v6, off
.LBB408_698:
	s_and_b64 vcc, exec, s[28:29]
	s_cbranch_vccz .LBB408_708
; %bb.699:
	v_cvt_f32_f16_e32 v3, v2
	s_mov_b32 s28, 0x43f00000
                                        ; implicit-def: $vgpr5
	v_and_b32_e32 v6, 0x7fffffff, v3
	v_cmp_gt_u32_e32 vcc, s28, v6
	s_and_saveexec_b64 s[28:29], vcc
	s_xor_b64 s[28:29], exec, s[28:29]
	s_cbranch_execz .LBB408_705
; %bb.700:
	s_mov_b32 s30, 0x3c7fffff
	v_cmp_lt_u32_e32 vcc, s30, v6
                                        ; implicit-def: $vgpr5
	s_and_saveexec_b64 s[30:31], vcc
	s_xor_b64 s[30:31], exec, s[30:31]
; %bb.701:
	v_bfe_u32 v5, v3, 20, 1
	s_mov_b32 s34, 0x407ffff
	v_add3_u32 v5, v3, v5, s34
	v_lshrrev_b32_e32 v6, 20, v5
	v_and_b32_e32 v5, 0xff00000, v5
	s_mov_b32 s34, 0x7f00000
	v_mov_b32_e32 v7, 0x7e
	v_cmp_ne_u32_e32 vcc, s34, v5
	s_nop 1
	v_cndmask_b32_e32 v5, v7, v6, vcc
; %bb.702:
	s_andn2_saveexec_b64 s[30:31], s[30:31]
; %bb.703:
	s_mov_b32 s34, 0x46800000
	v_add_f32_e64 v5, |v3|, s34
; %bb.704:
	s_or_b64 exec, exec, s[30:31]
                                        ; implicit-def: $vgpr6
.LBB408_705:
	s_andn2_saveexec_b64 s[28:29], s[28:29]
; %bb.706:
	s_mov_b32 s30, 0x7f800000
	v_mov_b32_e32 v5, 0x7e
	v_mov_b32_e32 v7, 0x7f
	v_cmp_lt_u32_e32 vcc, s30, v6
	s_nop 1
	v_cndmask_b32_e32 v5, v5, v7, vcc
; %bb.707:
	s_or_b64 exec, exec, s[28:29]
	v_lshrrev_b32_e32 v3, 24, v3
	s_movk_i32 s28, 0x80
	v_and_or_b32 v3, v3, s28, v5
	global_store_byte v[0:1], v3, off
.LBB408_708:
	s_mov_b64 s[28:29], 0
.LBB408_709:
	s_andn2_b64 vcc, exec, s[28:29]
	s_cbranch_vccnz .LBB408_719
; %bb.710:
	v_cvt_f32_f16_e32 v3, v2
	s_mov_b32 s28, 0x47800000
                                        ; implicit-def: $vgpr5
	v_and_b32_e32 v6, 0x7fffffff, v3
	v_cmp_gt_u32_e32 vcc, s28, v6
	s_and_saveexec_b64 s[28:29], vcc
	s_xor_b64 s[28:29], exec, s[28:29]
	s_cbranch_execz .LBB408_716
; %bb.711:
	s_mov_b32 s30, 0x387fffff
	v_cmp_lt_u32_e32 vcc, s30, v6
                                        ; implicit-def: $vgpr5
	s_and_saveexec_b64 s[30:31], vcc
	s_xor_b64 s[30:31], exec, s[30:31]
; %bb.712:
	v_bfe_u32 v5, v3, 21, 1
	s_mov_b32 s34, 0x80fffff
	v_add3_u32 v5, v3, v5, s34
	v_lshrrev_b32_e32 v5, 21, v5
; %bb.713:
	s_andn2_saveexec_b64 s[30:31], s[30:31]
; %bb.714:
	s_mov_b32 s34, 0x43000000
	v_add_f32_e64 v5, |v3|, s34
; %bb.715:
	s_or_b64 exec, exec, s[30:31]
                                        ; implicit-def: $vgpr6
.LBB408_716:
	s_andn2_saveexec_b64 s[28:29], s[28:29]
; %bb.717:
	s_mov_b32 s30, 0x7f800000
	v_mov_b32_e32 v5, 0x7c
	v_mov_b32_e32 v7, 0x7f
	v_cmp_lt_u32_e32 vcc, s30, v6
	s_nop 1
	v_cndmask_b32_e32 v5, v5, v7, vcc
; %bb.718:
	s_or_b64 exec, exec, s[28:29]
	v_lshrrev_b32_e32 v3, 24, v3
	s_movk_i32 s28, 0x80
	v_and_or_b32 v3, v3, s28, v5
	global_store_byte v[0:1], v3, off
.LBB408_719:
	s_mov_b64 s[30:31], 0
	s_mov_b64 s[28:29], -1
.LBB408_720:
	s_andn2_b64 vcc, exec, s[30:31]
	s_cbranch_vccnz .LBB408_728
; %bb.721:
	s_cmp_gt_i32 s37, 14
	s_mov_b64 s[30:31], -1
	s_cbranch_scc0 .LBB408_725
; %bb.722:
	s_cmp_eq_u32 s37, 15
	s_mov_b64 s[0:1], -1
	s_cbranch_scc0 .LBB408_724
; %bb.723:
	v_cvt_f32_f16_e32 v3, v2
	s_movk_i32 s0, 0x7fff
	v_cmp_o_f16_e32 vcc, v2, v2
	v_mov_b32_e32 v5, 0x7fc0
	v_bfe_u32 v6, v3, 16, 1
	v_add3_u32 v3, v3, v6, s0
	v_cndmask_b32_sdwa v3, v5, v3, vcc dst_sel:DWORD dst_unused:UNUSED_PAD src0_sel:DWORD src1_sel:WORD_1
	global_store_short v[0:1], v3, off
	s_mov_b64 s[28:29], -1
	s_mov_b64 s[0:1], 0
.LBB408_724:
	s_mov_b64 s[30:31], 0
.LBB408_725:
	s_and_b64 vcc, exec, s[30:31]
	s_cbranch_vccz .LBB408_728
; %bb.726:
	s_cmp_eq_u32 s37, 11
	s_mov_b64 s[0:1], -1
	s_cbranch_scc0 .LBB408_728
; %bb.727:
	v_and_b32_e32 v3, 0x7fff, v2
	v_cmp_ne_u16_e32 vcc, 0, v3
	s_mov_b64 s[28:29], -1
	s_mov_b64 s[0:1], 0
	v_cndmask_b32_e64 v3, 0, 1, vcc
	global_store_byte v[0:1], v3, off
.LBB408_728:
	s_mov_b64 s[30:31], 0
.LBB408_729:
	s_and_b64 vcc, exec, s[30:31]
	s_cbranch_vccz .LBB408_768
; %bb.730:
	s_and_b32 s30, 0xffff, s36
	s_cmp_lt_i32 s30, 5
	s_mov_b64 s[28:29], -1
	s_cbranch_scc1 .LBB408_751
; %bb.731:
	s_cmp_lt_i32 s30, 8
	s_cbranch_scc1 .LBB408_741
; %bb.732:
	s_cmp_lt_i32 s30, 9
	s_cbranch_scc1 .LBB408_738
; %bb.733:
	s_cmp_gt_i32 s30, 9
	s_cbranch_scc0 .LBB408_735
; %bb.734:
	v_cvt_f32_f16_e32 v3, v2
	v_mov_b32_e32 v8, 0
	v_mov_b32_e32 v9, v8
	s_mov_b64 s[28:29], 0
	v_cvt_f64_f32_e32 v[6:7], v3
	global_store_dwordx4 v[0:1], v[6:9], off
.LBB408_735:
	s_andn2_b64 vcc, exec, s[28:29]
	s_cbranch_vccnz .LBB408_737
; %bb.736:
	v_cvt_f32_f16_e32 v6, v2
	v_mov_b32_e32 v7, 0
	global_store_dwordx2 v[0:1], v[6:7], off
.LBB408_737:
	s_mov_b64 s[28:29], 0
.LBB408_738:
	s_andn2_b64 vcc, exec, s[28:29]
	s_cbranch_vccnz .LBB408_740
; %bb.739:
	v_and_b32_e32 v3, 0xffff, v2
	global_store_dword v[0:1], v3, off
.LBB408_740:
	s_mov_b64 s[28:29], 0
.LBB408_741:
	s_andn2_b64 vcc, exec, s[28:29]
	s_cbranch_vccnz .LBB408_750
; %bb.742:
	s_cmp_lt_i32 s30, 6
	s_mov_b64 s[28:29], -1
	s_cbranch_scc1 .LBB408_748
; %bb.743:
	s_cmp_gt_i32 s30, 6
	s_cbranch_scc0 .LBB408_745
; %bb.744:
	v_cvt_f32_f16_e32 v3, v2
	s_mov_b64 s[28:29], 0
	v_cvt_f64_f32_e32 v[6:7], v3
	global_store_dwordx2 v[0:1], v[6:7], off
.LBB408_745:
	s_andn2_b64 vcc, exec, s[28:29]
	s_cbranch_vccnz .LBB408_747
; %bb.746:
	v_cvt_f32_f16_e32 v3, v2
	global_store_dword v[0:1], v3, off
.LBB408_747:
	s_mov_b64 s[28:29], 0
.LBB408_748:
	s_andn2_b64 vcc, exec, s[28:29]
	s_cbranch_vccnz .LBB408_750
; %bb.749:
	global_store_short v[0:1], v2, off
.LBB408_750:
	s_mov_b64 s[28:29], 0
.LBB408_751:
	s_andn2_b64 vcc, exec, s[28:29]
	s_cbranch_vccnz .LBB408_767
; %bb.752:
	s_cmp_lt_i32 s30, 2
	s_mov_b64 s[28:29], -1
	s_cbranch_scc1 .LBB408_762
; %bb.753:
	s_cmp_lt_i32 s30, 3
	s_cbranch_scc1 .LBB408_759
; %bb.754:
	s_cmp_gt_i32 s30, 3
	s_cbranch_scc0 .LBB408_756
; %bb.755:
	v_cvt_f32_f16_e32 v3, v2
	s_mov_b64 s[28:29], 0
	v_cvt_i32_f32_e32 v6, v3
	v_ashrrev_i32_e32 v7, 31, v6
	global_store_dwordx2 v[0:1], v[6:7], off
.LBB408_756:
	s_andn2_b64 vcc, exec, s[28:29]
	s_cbranch_vccnz .LBB408_758
; %bb.757:
	v_cvt_f32_f16_e32 v3, v2
	v_cvt_i32_f32_e32 v3, v3
	global_store_dword v[0:1], v3, off
.LBB408_758:
	s_mov_b64 s[28:29], 0
.LBB408_759:
	s_andn2_b64 vcc, exec, s[28:29]
	s_cbranch_vccnz .LBB408_761
; %bb.760:
	v_cvt_i16_f16_e32 v3, v2
	global_store_short v[0:1], v3, off
.LBB408_761:
	s_mov_b64 s[28:29], 0
.LBB408_762:
	s_andn2_b64 vcc, exec, s[28:29]
	s_cbranch_vccnz .LBB408_767
; %bb.763:
	s_cmp_gt_i32 s30, 0
	s_mov_b64 s[28:29], -1
	s_cbranch_scc0 .LBB408_765
; %bb.764:
	v_cvt_i16_f16_e32 v3, v2
	s_mov_b64 s[28:29], 0
	global_store_byte v[0:1], v3, off
.LBB408_765:
	s_andn2_b64 vcc, exec, s[28:29]
	s_cbranch_vccnz .LBB408_767
; %bb.766:
	v_cvt_f32_f16_e32 v2, v2
	v_cvt_i32_f32_e32 v2, v2
	global_store_byte v[0:1], v2, off
.LBB408_767:
	s_mov_b64 s[28:29], -1
.LBB408_768:
	s_andn2_b64 vcc, exec, s[28:29]
	s_cbranch_vccnz .LBB408_770
; %bb.769:
	v_add_u32_e32 v4, 0x80, v4
	s_mov_b64 s[30:31], -1
	s_branch .LBB408_771
.LBB408_770:
	s_mov_b64 s[30:31], 0
                                        ; implicit-def: $vgpr4
.LBB408_771:
	s_andn2_b64 s[28:29], s[20:21], exec
	s_and_b64 s[0:1], s[0:1], exec
	s_or_b64 s[28:29], s[28:29], s[0:1]
	s_andn2_b64 s[0:1], s[18:19], exec
	s_and_b64 s[26:27], s[26:27], exec
	s_or_b64 s[0:1], s[0:1], s[26:27]
	s_orn2_b64 s[34:35], s[30:31], exec
.LBB408_772:
	s_or_b64 exec, exec, s[24:25]
	s_mov_b64 s[30:31], 0
	s_mov_b64 s[26:27], 0
	;; [unrolled: 1-line block ×3, first 2 shown]
                                        ; implicit-def: $vgpr0_vgpr1
                                        ; implicit-def: $vgpr3
	s_and_saveexec_b64 s[24:25], s[34:35]
	s_cbranch_execz .LBB408_857
; %bb.773:
	v_cmp_gt_i32_e32 vcc, s38, v4
	s_mov_b64 s[34:35], 0
	s_mov_b64 s[38:39], s[0:1]
	;; [unrolled: 1-line block ×3, first 2 shown]
                                        ; implicit-def: $vgpr0_vgpr1
                                        ; implicit-def: $vgpr3
	s_and_saveexec_b64 s[26:27], vcc
	s_cbranch_execz .LBB408_856
; %bb.774:
	v_mul_lo_u32 v0, v4, s9
	v_ashrrev_i32_e32 v1, 31, v0
	s_and_b32 s44, 0xffff, s43
	s_cmp_lt_i32 s44, 11
	v_lshl_add_u64 v[0:1], s[6:7], 0, v[0:1]
	s_cbranch_scc1 .LBB408_781
; %bb.775:
	s_cmp_gt_i32 s44, 25
	s_cbranch_scc0 .LBB408_782
; %bb.776:
	s_cmp_gt_i32 s44, 28
	s_cbranch_scc0 .LBB408_783
	;; [unrolled: 3-line block ×4, first 2 shown]
; %bb.779:
	s_cmp_eq_u32 s44, 46
	s_mov_b64 s[38:39], 0
	s_cbranch_scc0 .LBB408_790
; %bb.780:
	global_load_dword v2, v[0:1], off
	s_mov_b64 s[36:37], -1
	s_waitcnt vmcnt(0)
	v_lshlrev_b32_e32 v2, 16, v2
	v_cvt_f16_f32_e32 v3, v2
	s_branch .LBB408_792
.LBB408_781:
	s_mov_b64 s[38:39], -1
                                        ; implicit-def: $vgpr3
	s_mov_b64 s[30:31], s[0:1]
	s_branch .LBB408_855
.LBB408_782:
	s_mov_b64 s[38:39], -1
	s_mov_b64 s[30:31], s[0:1]
                                        ; implicit-def: $vgpr3
	s_branch .LBB408_821
.LBB408_783:
	s_mov_b64 s[38:39], -1
	s_mov_b64 s[30:31], s[0:1]
                                        ; implicit-def: $vgpr3
	s_branch .LBB408_802
.LBB408_784:
	s_mov_b64 s[38:39], -1
	s_mov_b64 s[30:31], s[0:1]
                                        ; implicit-def: $vgpr3
	s_branch .LBB408_797
.LBB408_785:
	s_andn2_saveexec_b64 s[34:35], s[34:35]
	s_cbranch_execz .LBB408_681
.LBB408_786:
	s_mov_b32 s39, 0x46000000
	v_add_f32_e64 v5, |v3|, s39
	v_and_b32_e32 v5, 0xff, v5
	v_cmp_ne_u32_e32 vcc, 0, v5
	s_andn2_b64 s[30:31], s[30:31], exec
	s_and_b64 s[40:41], vcc, exec
	s_or_b64 s[30:31], s[30:31], s[40:41]
	s_or_b64 exec, exec, s[34:35]
	v_mov_b32_e32 v6, 0
	s_and_saveexec_b64 s[34:35], s[30:31]
	s_cbranch_execnz .LBB408_682
	s_branch .LBB408_683
.LBB408_787:
	s_mov_b64 s[38:39], -1
	s_mov_b64 s[30:31], s[0:1]
	s_branch .LBB408_791
.LBB408_788:
	s_andn2_saveexec_b64 s[34:35], s[34:35]
	s_cbranch_execz .LBB408_694
.LBB408_789:
	s_mov_b32 s39, 0x42800000
	v_add_f32_e64 v5, |v3|, s39
	v_and_b32_e32 v5, 0xff, v5
	v_cmp_ne_u32_e32 vcc, 0, v5
	s_andn2_b64 s[30:31], s[30:31], exec
	s_and_b64 s[40:41], vcc, exec
	s_or_b64 s[30:31], s[30:31], s[40:41]
	s_or_b64 exec, exec, s[34:35]
	v_mov_b32_e32 v6, 0
	s_and_saveexec_b64 s[34:35], s[30:31]
	s_cbranch_execnz .LBB408_695
	s_branch .LBB408_696
.LBB408_790:
	s_mov_b64 s[30:31], -1
.LBB408_791:
                                        ; implicit-def: $vgpr3
.LBB408_792:
	s_and_b64 vcc, exec, s[38:39]
	s_cbranch_vccz .LBB408_796
; %bb.793:
	s_cmp_eq_u32 s44, 44
	s_cbranch_scc0 .LBB408_795
; %bb.794:
	global_load_ubyte v2, v[0:1], off
	s_movk_i32 s36, 0xff
	v_mov_b32_e32 v5, 0x7e00
	s_mov_b64 s[30:31], 0
	s_waitcnt vmcnt(0)
	v_lshlrev_b32_e32 v3, 23, v2
	v_cvt_f16_f32_e32 v3, v3
	v_cmp_ne_u32_e32 vcc, s36, v2
	s_mov_b64 s[36:37], -1
	s_nop 0
	v_cndmask_b32_e32 v3, v5, v3, vcc
	v_cmp_ne_u32_e32 vcc, 0, v2
	s_nop 1
	v_cndmask_b32_e32 v3, 0, v3, vcc
	s_branch .LBB408_796
.LBB408_795:
	s_mov_b64 s[30:31], -1
                                        ; implicit-def: $vgpr3
.LBB408_796:
	s_mov_b64 s[38:39], 0
.LBB408_797:
	s_and_b64 vcc, exec, s[38:39]
	s_cbranch_vccz .LBB408_801
; %bb.798:
	s_cmp_eq_u32 s44, 29
	s_cbranch_scc0 .LBB408_800
; %bb.799:
	global_load_dwordx2 v[2:3], v[0:1], off
	s_mov_b64 s[30:31], 0
	s_mov_b64 s[36:37], -1
	s_mov_b64 s[38:39], 0
	s_waitcnt vmcnt(0)
	v_ffbh_u32_e32 v5, v3
	v_min_u32_e32 v5, 32, v5
	v_lshlrev_b64 v[2:3], v5, v[2:3]
	v_min_u32_e32 v2, 1, v2
	v_or_b32_e32 v2, v3, v2
	v_cvt_f32_u32_e32 v2, v2
	v_sub_u32_e32 v3, 32, v5
	v_ldexp_f32 v2, v2, v3
	v_cvt_f16_f32_e32 v3, v2
	s_branch .LBB408_802
.LBB408_800:
	s_mov_b64 s[30:31], -1
                                        ; implicit-def: $vgpr3
.LBB408_801:
	s_mov_b64 s[38:39], 0
.LBB408_802:
	s_and_b64 vcc, exec, s[38:39]
	s_cbranch_vccz .LBB408_820
; %bb.803:
	s_cmp_lt_i32 s44, 27
	s_cbranch_scc1 .LBB408_806
; %bb.804:
	s_cmp_gt_i32 s44, 27
	s_cbranch_scc0 .LBB408_807
; %bb.805:
	global_load_dword v2, v[0:1], off
	s_mov_b64 s[36:37], 0
	s_waitcnt vmcnt(0)
	v_cvt_f32_u32_e32 v2, v2
	v_cvt_f16_f32_e32 v3, v2
	s_branch .LBB408_808
.LBB408_806:
	s_mov_b64 s[36:37], -1
                                        ; implicit-def: $vgpr3
	s_branch .LBB408_811
.LBB408_807:
	s_mov_b64 s[36:37], -1
                                        ; implicit-def: $vgpr3
.LBB408_808:
	s_andn2_b64 vcc, exec, s[36:37]
	s_cbranch_vccnz .LBB408_810
; %bb.809:
	global_load_ushort v2, v[0:1], off
	s_waitcnt vmcnt(0)
	v_cvt_f16_u16_e32 v3, v2
.LBB408_810:
	s_mov_b64 s[36:37], 0
.LBB408_811:
	s_andn2_b64 vcc, exec, s[36:37]
	s_cbranch_vccnz .LBB408_819
; %bb.812:
	global_load_ubyte v2, v[0:1], off
	s_movk_i32 s36, 0x7f
	s_waitcnt vmcnt(0)
	v_cmp_lt_i16_e32 vcc, s36, v2
	s_mov_b64 s[36:37], 0
	s_and_saveexec_b64 s[38:39], vcc
	s_xor_b64 s[38:39], exec, s[38:39]
	s_cbranch_execz .LBB408_833
; %bb.813:
	s_movk_i32 s36, 0x80
	v_cmp_eq_u16_e32 vcc, s36, v2
	s_mov_b64 s[36:37], -1
	s_and_saveexec_b64 s[40:41], vcc
; %bb.814:
	s_xor_b64 s[36:37], exec, -1
; %bb.815:
	s_or_b64 exec, exec, s[40:41]
	s_and_b64 s[36:37], s[36:37], exec
	s_or_saveexec_b64 s[38:39], s[38:39]
	v_mov_b32_e32 v3, 0x7e00
	s_xor_b64 exec, exec, s[38:39]
	s_cbranch_execnz .LBB408_834
.LBB408_816:
	s_or_b64 exec, exec, s[38:39]
	s_and_saveexec_b64 s[38:39], s[36:37]
	s_cbranch_execz .LBB408_818
.LBB408_817:
	v_lshlrev_b32_e32 v3, 24, v2
	v_and_b32_e32 v2, 0xffff, v2
	v_and_b32_e32 v5, 7, v2
	v_ffbh_u32_e32 v7, v5
	v_min_u32_e32 v7, 32, v7
	v_subrev_u32_e32 v8, 28, v7
	v_bfe_u32 v6, v2, 3, 4
	v_lshlrev_b32_e32 v2, v8, v2
	v_sub_u32_e32 v7, 29, v7
	v_and_b32_e32 v2, 7, v2
	v_cmp_eq_u32_e32 vcc, 0, v6
	v_and_b32_e32 v3, 0x80000000, v3
	s_nop 0
	v_cndmask_b32_e32 v6, v6, v7, vcc
	v_cndmask_b32_e32 v2, v5, v2, vcc
	v_mov_b32_e32 v5, 0x3b800000
	v_lshlrev_b32_e32 v2, 20, v2
	v_lshl_add_u32 v5, v6, 23, v5
	v_or3_b32 v2, v3, v5, v2
	v_cvt_f16_f32_e32 v3, v2
.LBB408_818:
	s_or_b64 exec, exec, s[38:39]
.LBB408_819:
	s_mov_b64 s[36:37], -1
.LBB408_820:
	s_mov_b64 s[38:39], 0
.LBB408_821:
	s_and_b64 vcc, exec, s[38:39]
	s_cbranch_vccz .LBB408_854
; %bb.822:
	s_cmp_gt_i32 s44, 22
	s_cbranch_scc0 .LBB408_832
; %bb.823:
	s_cmp_lt_i32 s44, 24
	s_cbranch_scc1 .LBB408_835
; %bb.824:
	s_cmp_gt_i32 s44, 24
	s_cbranch_scc0 .LBB408_836
; %bb.825:
	global_load_ubyte v2, v[0:1], off
	s_movk_i32 s34, 0x7f
	s_waitcnt vmcnt(0)
	v_cmp_lt_i16_e32 vcc, s34, v2
	s_mov_b64 s[34:35], 0
	s_and_saveexec_b64 s[36:37], vcc
	s_xor_b64 s[36:37], exec, s[36:37]
	s_cbranch_execz .LBB408_848
; %bb.826:
	s_movk_i32 s34, 0x80
	v_cmp_eq_u16_e32 vcc, s34, v2
	s_mov_b64 s[34:35], -1
	s_and_saveexec_b64 s[38:39], vcc
; %bb.827:
	s_xor_b64 s[34:35], exec, -1
; %bb.828:
	s_or_b64 exec, exec, s[38:39]
	s_and_b64 s[34:35], s[34:35], exec
	s_or_saveexec_b64 s[36:37], s[36:37]
	v_mov_b32_e32 v3, 0x7e00
	s_xor_b64 exec, exec, s[36:37]
	s_cbranch_execnz .LBB408_849
.LBB408_829:
	s_or_b64 exec, exec, s[36:37]
	s_and_saveexec_b64 s[36:37], s[34:35]
	s_cbranch_execz .LBB408_831
.LBB408_830:
	v_lshlrev_b32_e32 v3, 24, v2
	v_and_b32_e32 v2, 0xffff, v2
	v_and_b32_e32 v5, 3, v2
	v_ffbh_u32_e32 v7, v5
	v_min_u32_e32 v7, 32, v7
	v_subrev_u32_e32 v8, 29, v7
	v_bfe_u32 v6, v2, 2, 5
	v_lshlrev_b32_e32 v2, v8, v2
	v_sub_u32_e32 v7, 30, v7
	v_and_b32_e32 v2, 3, v2
	v_cmp_eq_u32_e32 vcc, 0, v6
	v_and_b32_e32 v3, 0x80000000, v3
	s_nop 0
	v_cndmask_b32_e32 v6, v6, v7, vcc
	v_cndmask_b32_e32 v2, v5, v2, vcc
	v_mov_b32_e32 v5, 0x37800000
	v_lshlrev_b32_e32 v2, 21, v2
	v_lshl_add_u32 v5, v6, 23, v5
	v_or3_b32 v2, v3, v5, v2
	v_cvt_f16_f32_e32 v3, v2
.LBB408_831:
	s_or_b64 exec, exec, s[36:37]
	s_mov_b64 s[34:35], 0
	s_branch .LBB408_837
.LBB408_832:
	s_mov_b64 s[34:35], -1
                                        ; implicit-def: $vgpr3
	s_branch .LBB408_843
.LBB408_833:
	s_or_saveexec_b64 s[38:39], s[38:39]
	v_mov_b32_e32 v3, 0x7e00
	s_xor_b64 exec, exec, s[38:39]
	s_cbranch_execz .LBB408_816
.LBB408_834:
	v_cmp_ne_u16_e32 vcc, 0, v2
	s_andn2_b64 s[36:37], s[36:37], exec
	s_and_b64 s[40:41], vcc, exec
	s_or_b64 s[36:37], s[36:37], s[40:41]
	v_mov_b32_e32 v3, v2
	s_or_b64 exec, exec, s[38:39]
	s_and_saveexec_b64 s[38:39], s[36:37]
	s_cbranch_execnz .LBB408_817
	s_branch .LBB408_818
.LBB408_835:
	s_mov_b64 s[34:35], -1
                                        ; implicit-def: $vgpr3
	s_branch .LBB408_840
.LBB408_836:
	s_mov_b64 s[34:35], -1
                                        ; implicit-def: $vgpr3
.LBB408_837:
	s_and_b64 vcc, exec, s[34:35]
	s_cbranch_vccz .LBB408_839
; %bb.838:
	global_load_ubyte v2, v[0:1], off
	s_mov_b32 s34, 0x7f800000
	s_waitcnt vmcnt(0)
	v_lshlrev_b32_e32 v2, 24, v2
	v_and_b32_e32 v3, 0x7f000000, v2
	v_ffbh_u32_e32 v5, v3
	v_min_u32_e32 v5, 32, v5
	v_sub_u32_e64 v5, v5, 4 clamp
	v_lshlrev_b32_e32 v7, v5, v3
	v_lshlrev_b32_e32 v5, 23, v5
	v_lshrrev_b32_e32 v7, 4, v7
	v_add_u32_e32 v6, 0x1000000, v3
	v_sub_u32_e32 v5, v7, v5
	v_ashrrev_i32_e32 v6, 8, v6
	v_add_u32_e32 v5, 0x3c000000, v5
	v_and_or_b32 v5, v6, s34, v5
	v_cmp_ne_u32_e32 vcc, 0, v3
	s_brev_b32 s34, 1
	s_nop 0
	v_cndmask_b32_e32 v3, 0, v5, vcc
	v_and_or_b32 v2, v2, s34, v3
	v_cvt_f16_f32_e32 v3, v2
.LBB408_839:
	s_mov_b64 s[34:35], 0
.LBB408_840:
	s_andn2_b64 vcc, exec, s[34:35]
	s_cbranch_vccnz .LBB408_842
; %bb.841:
	global_load_ubyte v2, v[0:1], off
	s_movk_i32 s34, 0x7f00
	s_brev_b32 s35, 16
	s_waitcnt vmcnt(0)
	v_lshlrev_b16_e32 v3, 8, v2
	v_lshlrev_b32_e32 v2, 25, v2
	v_lshrrev_b32_e32 v5, 4, v2
	v_and_or_b32 v6, v3, s34, 0.5
	v_or_b32_e32 v5, 0x70000000, v5
	v_add_f32_e32 v6, -0.5, v6
	v_mul_f32_e32 v5, 0x7800000, v5
	v_cmp_gt_u32_e32 vcc, s35, v2
	v_bfe_i32 v3, v3, 0, 16
	s_brev_b32 s34, 1
	v_cndmask_b32_e32 v2, v5, v6, vcc
	v_and_or_b32 v2, v3, s34, v2
	v_cvt_f16_f32_e32 v3, v2
.LBB408_842:
	s_mov_b64 s[34:35], 0
	s_mov_b64 s[36:37], -1
.LBB408_843:
	s_andn2_b64 vcc, exec, s[34:35]
	s_mov_b64 s[34:35], 0
	s_cbranch_vccnz .LBB408_854
; %bb.844:
	s_cmp_gt_i32 s44, 14
	s_cbranch_scc0 .LBB408_847
; %bb.845:
	s_cmp_eq_u32 s44, 15
	s_cbranch_scc0 .LBB408_850
; %bb.846:
	global_load_ushort v2, v[0:1], off
	s_mov_b64 s[30:31], 0
	s_mov_b64 s[36:37], -1
	s_waitcnt vmcnt(0)
	v_lshlrev_b32_e32 v2, 16, v2
	v_cvt_f16_f32_e32 v3, v2
	s_branch .LBB408_851
.LBB408_847:
	s_mov_b64 s[38:39], -1
                                        ; implicit-def: $vgpr3
	s_branch .LBB408_852
.LBB408_848:
	s_or_saveexec_b64 s[36:37], s[36:37]
	v_mov_b32_e32 v3, 0x7e00
	s_xor_b64 exec, exec, s[36:37]
	s_cbranch_execz .LBB408_829
.LBB408_849:
	v_cmp_ne_u16_e32 vcc, 0, v2
	s_andn2_b64 s[34:35], s[34:35], exec
	s_and_b64 s[38:39], vcc, exec
	s_or_b64 s[34:35], s[34:35], s[38:39]
	v_mov_b32_e32 v3, v2
	s_or_b64 exec, exec, s[36:37]
	s_and_saveexec_b64 s[36:37], s[34:35]
	s_cbranch_execnz .LBB408_830
	s_branch .LBB408_831
.LBB408_850:
	s_mov_b64 s[30:31], -1
                                        ; implicit-def: $vgpr3
.LBB408_851:
	s_mov_b64 s[38:39], 0
.LBB408_852:
	s_and_b64 vcc, exec, s[38:39]
	s_cbranch_vccz .LBB408_854
; %bb.853:
	s_cmp_lg_u32 s44, 11
	s_cselect_b64 s[38:39], -1, 0
	s_andn2_b64 s[30:31], s[30:31], exec
	s_and_b64 s[38:39], s[38:39], exec
	s_mov_b64 s[34:35], -1
	s_or_b64 s[30:31], s[30:31], s[38:39]
.LBB408_854:
	s_mov_b64 s[38:39], 0
.LBB408_855:
	s_and_b64 s[40:41], s[38:39], exec
	s_andn2_b64 s[38:39], s[0:1], exec
	s_and_b64 s[30:31], s[30:31], exec
	s_and_b64 s[36:37], s[36:37], exec
	s_and_b64 s[34:35], s[34:35], exec
	s_or_b64 s[38:39], s[38:39], s[30:31]
.LBB408_856:
	s_or_b64 exec, exec, s[26:27]
	s_and_b64 s[30:31], s[34:35], exec
	s_andn2_b64 s[0:1], s[0:1], exec
	s_and_b64 s[34:35], s[38:39], exec
	s_and_b64 s[36:37], s[36:37], exec
	;; [unrolled: 1-line block ×3, first 2 shown]
	s_or_b64 s[0:1], s[0:1], s[34:35]
.LBB408_857:
	s_or_b64 exec, exec, s[24:25]
	s_andn2_b64 s[20:21], s[20:21], exec
	s_and_b64 s[24:25], s[28:29], exec
	s_andn2_b64 s[18:19], s[18:19], exec
	s_and_b64 s[0:1], s[0:1], exec
	s_or_b64 s[20:21], s[20:21], s[24:25]
	s_and_b64 s[28:29], s[36:37], exec
	s_and_b64 s[26:27], s[26:27], exec
	s_and_b64 s[24:25], s[30:31], exec
	s_or_b64 s[18:19], s[18:19], s[0:1]
.LBB408_858:
	s_or_b64 exec, exec, s[22:23]
	s_andn2_b64 s[0:1], s[12:13], exec
	s_and_b64 s[12:13], s[20:21], exec
	s_andn2_b64 s[14:15], s[14:15], exec
	s_and_b64 s[18:19], s[18:19], exec
	s_or_b64 s[12:13], s[0:1], s[12:13]
	s_and_b64 s[0:1], s[28:29], exec
	s_and_b64 s[22:23], s[26:27], exec
	;; [unrolled: 1-line block ×3, first 2 shown]
	s_or_b64 s[14:15], s[14:15], s[18:19]
	s_or_b64 exec, exec, s[16:17]
	s_mov_b64 s[16:17], 0
	s_and_saveexec_b64 s[18:19], s[14:15]
	s_cbranch_execz .LBB408_262
.LBB408_859:
	s_mov_b64 s[16:17], exec
	s_andn2_b64 s[20:21], s[20:21], exec
	s_trap 2
	s_or_b64 exec, exec, s[18:19]
	s_and_saveexec_b64 s[14:15], s[20:21]
	s_xor_b64 s[14:15], exec, s[14:15]
	s_cbranch_execnz .LBB408_263
.LBB408_860:
	s_or_b64 exec, exec, s[14:15]
	s_and_saveexec_b64 s[14:15], s[22:23]
	s_cbranch_execz .LBB408_906
.LBB408_861:
	s_sext_i32_i16 s18, s43
	s_cmp_lt_i32 s18, 5
	s_cbranch_scc1 .LBB408_866
; %bb.862:
	s_cmp_lt_i32 s18, 8
	s_cbranch_scc1 .LBB408_867
; %bb.863:
	;; [unrolled: 3-line block ×3, first 2 shown]
	s_cmp_gt_i32 s18, 9
	s_cbranch_scc0 .LBB408_869
; %bb.865:
	global_load_dwordx2 v[2:3], v[0:1], off
	s_movk_i32 s18, 0x1ff
	s_movk_i32 s19, 0xffe
	v_mov_b32_e32 v5, 0x7c00
	v_mov_b32_e32 v6, 0x7e00
	s_movk_i32 s20, 0x40f
	s_mov_b32 s21, 0x8000
	s_waitcnt vmcnt(0)
	v_and_or_b32 v2, v3, s18, v2
	v_cmp_ne_u32_e32 vcc, 0, v2
	v_lshrrev_b32_e32 v7, 8, v3
	v_bfe_u32 v8, v3, 20, 11
	v_cndmask_b32_e64 v2, 0, 1, vcc
	v_sub_u32_e32 v9, 0x3f1, v8
	v_and_or_b32 v2, v7, s19, v2
	v_add_u32_e32 v8, 0xfffffc10, v8
	v_med3_i32 v7, v9, 0, 13
	v_or_b32_e32 v9, 0x1000, v2
	v_cmp_ne_u32_e32 vcc, 0, v2
	v_lshl_or_b32 v10, v8, 12, v2
	v_lshrrev_b32_e32 v3, 16, v3
	v_cndmask_b32_e32 v2, v5, v6, vcc
	v_lshrrev_b32_e32 v6, v7, v9
	v_lshlrev_b32_e32 v7, v7, v6
	v_cmp_ne_u32_e32 vcc, v7, v9
	s_mov_b64 s[18:19], 0
	s_nop 0
	v_cndmask_b32_e64 v7, 0, 1, vcc
	v_or_b32_e32 v6, v6, v7
	v_cmp_gt_i32_e32 vcc, 1, v8
	s_nop 1
	v_cndmask_b32_e32 v6, v10, v6, vcc
	v_and_b32_e32 v7, 7, v6
	v_cmp_lt_i32_e32 vcc, 5, v7
	v_lshrrev_b32_e32 v6, 2, v6
	s_nop 0
	v_cndmask_b32_e64 v9, 0, 1, vcc
	v_cmp_eq_u32_e32 vcc, 3, v7
	s_nop 1
	v_cndmask_b32_e64 v7, 0, 1, vcc
	v_or_b32_e32 v7, v7, v9
	v_add_u32_e32 v6, v6, v7
	v_cmp_gt_i32_e32 vcc, 31, v8
	s_nop 1
	v_cndmask_b32_e32 v5, v5, v6, vcc
	v_cmp_eq_u32_e32 vcc, s20, v8
	s_nop 1
	v_cndmask_b32_e32 v2, v5, v2, vcc
	v_and_or_b32 v3, v3, s21, v2
	s_branch .LBB408_870
.LBB408_866:
                                        ; implicit-def: $vgpr3
	s_branch .LBB408_887
.LBB408_867:
                                        ; implicit-def: $vgpr3
	s_branch .LBB408_876
.LBB408_868:
	s_mov_b64 s[18:19], -1
                                        ; implicit-def: $vgpr3
	s_branch .LBB408_873
.LBB408_869:
	s_mov_b64 s[18:19], -1
                                        ; implicit-def: $vgpr3
.LBB408_870:
	s_andn2_b64 vcc, exec, s[18:19]
	s_cbranch_vccnz .LBB408_872
; %bb.871:
	global_load_dword v2, v[0:1], off
	s_waitcnt vmcnt(0)
	v_cvt_f16_f32_e32 v3, v2
.LBB408_872:
	s_mov_b64 s[18:19], 0
.LBB408_873:
	s_andn2_b64 vcc, exec, s[18:19]
	s_cbranch_vccnz .LBB408_875
; %bb.874:
	global_load_dword v3, v[0:1], off
.LBB408_875:
	s_cbranch_execnz .LBB408_886
.LBB408_876:
	s_sext_i32_i16 s18, s43
	s_cmp_lt_i32 s18, 6
	s_cbranch_scc1 .LBB408_879
; %bb.877:
	s_cmp_gt_i32 s18, 6
	s_cbranch_scc0 .LBB408_880
; %bb.878:
	global_load_dwordx2 v[2:3], v[0:1], off
	s_movk_i32 s18, 0x1ff
	s_movk_i32 s19, 0xffe
	v_mov_b32_e32 v5, 0x7c00
	v_mov_b32_e32 v6, 0x7e00
	s_movk_i32 s20, 0x40f
	s_mov_b32 s21, 0x8000
	s_waitcnt vmcnt(0)
	v_and_or_b32 v2, v3, s18, v2
	v_cmp_ne_u32_e32 vcc, 0, v2
	v_lshrrev_b32_e32 v7, 8, v3
	v_bfe_u32 v8, v3, 20, 11
	v_cndmask_b32_e64 v2, 0, 1, vcc
	v_sub_u32_e32 v9, 0x3f1, v8
	v_and_or_b32 v2, v7, s19, v2
	v_add_u32_e32 v8, 0xfffffc10, v8
	v_med3_i32 v7, v9, 0, 13
	v_or_b32_e32 v9, 0x1000, v2
	v_cmp_ne_u32_e32 vcc, 0, v2
	v_lshl_or_b32 v10, v8, 12, v2
	v_lshrrev_b32_e32 v3, 16, v3
	v_cndmask_b32_e32 v2, v5, v6, vcc
	v_lshrrev_b32_e32 v6, v7, v9
	v_lshlrev_b32_e32 v7, v7, v6
	v_cmp_ne_u32_e32 vcc, v7, v9
	s_mov_b64 s[18:19], 0
	s_nop 0
	v_cndmask_b32_e64 v7, 0, 1, vcc
	v_or_b32_e32 v6, v6, v7
	v_cmp_gt_i32_e32 vcc, 1, v8
	s_nop 1
	v_cndmask_b32_e32 v6, v10, v6, vcc
	v_and_b32_e32 v7, 7, v6
	v_cmp_lt_i32_e32 vcc, 5, v7
	v_lshrrev_b32_e32 v6, 2, v6
	s_nop 0
	v_cndmask_b32_e64 v9, 0, 1, vcc
	v_cmp_eq_u32_e32 vcc, 3, v7
	s_nop 1
	v_cndmask_b32_e64 v7, 0, 1, vcc
	v_or_b32_e32 v7, v7, v9
	v_add_u32_e32 v6, v6, v7
	v_cmp_gt_i32_e32 vcc, 31, v8
	s_nop 1
	v_cndmask_b32_e32 v5, v5, v6, vcc
	v_cmp_eq_u32_e32 vcc, s20, v8
	s_nop 1
	v_cndmask_b32_e32 v2, v5, v2, vcc
	v_and_or_b32 v3, v3, s21, v2
	s_branch .LBB408_881
.LBB408_879:
	s_mov_b64 s[18:19], -1
                                        ; implicit-def: $vgpr3
	s_branch .LBB408_884
.LBB408_880:
	s_mov_b64 s[18:19], -1
                                        ; implicit-def: $vgpr3
.LBB408_881:
	s_andn2_b64 vcc, exec, s[18:19]
	s_cbranch_vccnz .LBB408_883
; %bb.882:
	global_load_dword v2, v[0:1], off
	s_waitcnt vmcnt(0)
	v_cvt_f16_f32_e32 v3, v2
.LBB408_883:
	s_mov_b64 s[18:19], 0
.LBB408_884:
	s_andn2_b64 vcc, exec, s[18:19]
	s_cbranch_vccnz .LBB408_886
; %bb.885:
	global_load_ushort v3, v[0:1], off
.LBB408_886:
	s_cbranch_execnz .LBB408_905
.LBB408_887:
	s_sext_i32_i16 s18, s43
	s_cmp_lt_i32 s18, 2
	s_cbranch_scc1 .LBB408_891
; %bb.888:
	s_cmp_lt_i32 s18, 3
	s_cbranch_scc1 .LBB408_892
; %bb.889:
	s_cmp_gt_i32 s18, 3
	s_cbranch_scc0 .LBB408_893
; %bb.890:
	global_load_dwordx2 v[2:3], v[0:1], off
	s_mov_b64 s[18:19], 0
	s_waitcnt vmcnt(0)
	v_xor_b32_e32 v6, v2, v3
	v_ffbh_i32_e32 v5, v3
	v_ashrrev_i32_e32 v6, 31, v6
	v_add_u32_e32 v5, -1, v5
	v_add_u32_e32 v6, 32, v6
	v_min_u32_e32 v5, v5, v6
	v_lshlrev_b64 v[2:3], v5, v[2:3]
	v_min_u32_e32 v2, 1, v2
	v_or_b32_e32 v2, v3, v2
	v_cvt_f32_i32_e32 v2, v2
	v_sub_u32_e32 v3, 32, v5
	v_ldexp_f32 v2, v2, v3
	v_cvt_f16_f32_e32 v3, v2
	s_branch .LBB408_894
.LBB408_891:
                                        ; implicit-def: $vgpr3
	s_branch .LBB408_900
.LBB408_892:
	s_mov_b64 s[18:19], -1
                                        ; implicit-def: $vgpr3
	s_branch .LBB408_897
.LBB408_893:
	s_mov_b64 s[18:19], -1
                                        ; implicit-def: $vgpr3
.LBB408_894:
	s_andn2_b64 vcc, exec, s[18:19]
	s_cbranch_vccnz .LBB408_896
; %bb.895:
	global_load_dword v2, v[0:1], off
	s_waitcnt vmcnt(0)
	v_cvt_f32_i32_e32 v2, v2
	v_cvt_f16_f32_e32 v3, v2
.LBB408_896:
	s_mov_b64 s[18:19], 0
.LBB408_897:
	s_andn2_b64 vcc, exec, s[18:19]
	s_cbranch_vccnz .LBB408_899
; %bb.898:
	global_load_ushort v2, v[0:1], off
	s_waitcnt vmcnt(0)
	v_cvt_f16_i16_e32 v3, v2
.LBB408_899:
	s_cbranch_execnz .LBB408_905
.LBB408_900:
	s_sext_i32_i16 s18, s43
	s_cmp_gt_i32 s18, 0
	s_cbranch_scc0 .LBB408_902
; %bb.901:
	global_load_sbyte v2, v[0:1], off
	s_mov_b64 s[18:19], 0
	s_waitcnt vmcnt(0)
	v_cvt_f16_i16_e32 v3, v2
	s_branch .LBB408_903
.LBB408_902:
	s_mov_b64 s[18:19], -1
                                        ; implicit-def: $vgpr3
.LBB408_903:
	s_andn2_b64 vcc, exec, s[18:19]
	s_cbranch_vccnz .LBB408_905
; %bb.904:
	global_load_ubyte v0, v[0:1], off
	s_waitcnt vmcnt(0)
	v_cvt_f16_u16_e32 v3, v0
.LBB408_905:
	s_or_b64 s[0:1], s[0:1], exec
.LBB408_906:
	s_or_b64 exec, exec, s[14:15]
	s_mov_b64 s[20:21], 0
	s_mov_b64 s[18:19], 0
                                        ; implicit-def: $sgpr26
                                        ; implicit-def: $vgpr0_vgpr1
                                        ; implicit-def: $vgpr2
	s_and_saveexec_b64 s[14:15], s[0:1]
	s_cbranch_execz .LBB408_924
; %bb.907:
	s_waitcnt vmcnt(0)
	v_cmp_u_f16_e32 vcc, v3, v3
	v_cmp_lt_f16_e64 s[0:1], s33, v3
	v_mov_b32_e32 v0, s33
	s_or_b64 vcc, vcc, s[0:1]
	v_cndmask_b32_e32 v2, v0, v3, vcc
	v_mul_lo_u32 v0, v4, s8
	v_ashrrev_i32_e32 v1, 31, v0
	s_and_b32 s26, s42, 0xff
	s_cmp_lt_i32 s26, 11
	v_lshl_add_u64 v[0:1], s[4:5], 0, v[0:1]
	s_cbranch_scc1 .LBB408_927
; %bb.908:
	s_and_b32 s27, 0xffff, s26
	s_mov_b64 s[20:21], -1
	s_cmp_gt_i32 s27, 25
	s_mov_b64 s[0:1], s[12:13]
	s_cbranch_scc0 .LBB408_945
; %bb.909:
	s_mov_b64 s[18:19], -1
	s_cmp_gt_i32 s27, 28
	s_mov_b64 s[0:1], s[12:13]
	s_cbranch_scc0 .LBB408_929
; %bb.910:
	s_cmp_gt_i32 s27, 43
	s_mov_b64 s[0:1], s[12:13]
	s_cbranch_scc0 .LBB408_921
; %bb.911:
	;; [unrolled: 4-line block ×3, first 2 shown]
	s_cmp_eq_u32 s27, 46
	s_mov_b64 s[0:1], -1
	s_cbranch_scc0 .LBB408_914
; %bb.913:
	v_cvt_f32_f16_e32 v3, v2
	s_movk_i32 s0, 0x7fff
	v_cmp_o_f16_e32 vcc, v2, v2
	v_mov_b32_e32 v4, 0x7fc0
	v_bfe_u32 v5, v3, 16, 1
	v_add3_u32 v3, v3, v5, s0
	v_cndmask_b32_sdwa v3, v4, v3, vcc dst_sel:DWORD dst_unused:UNUSED_PAD src0_sel:DWORD src1_sel:WORD_1
	global_store_dword v[0:1], v3, off
	s_mov_b64 s[0:1], 0
.LBB408_914:
	s_mov_b64 s[18:19], 0
.LBB408_915:
	s_and_b64 vcc, exec, s[18:19]
	s_cbranch_vccz .LBB408_920
; %bb.916:
	s_cmp_eq_u32 s27, 44
	s_mov_b64 s[0:1], -1
	s_cbranch_scc0 .LBB408_920
; %bb.917:
	v_cvt_f32_f16_e32 v3, v2
	s_movk_i32 s0, 0xff
	v_mov_b32_e32 v5, 0xff
	v_bfe_u32 v4, v3, 23, 8
	v_cmp_ne_u32_e32 vcc, s0, v4
	s_and_saveexec_b64 s[18:19], vcc
; %bb.918:
	s_mov_b32 s0, 0x3fffff
	v_lshrrev_b32_e32 v5, 23, v3
	v_and_b32_e32 v6, 0x400000, v3
	v_and_or_b32 v3, v3, s0, v4
	v_cmp_ne_u32_e32 vcc, 0, v6
	v_cmp_ne_u32_e64 s[0:1], 0, v3
	s_and_b64 s[0:1], vcc, s[0:1]
	s_nop 0
	v_cndmask_b32_e64 v3, 0, 1, s[0:1]
	v_add_u32_e32 v5, v5, v3
; %bb.919:
	s_or_b64 exec, exec, s[18:19]
	s_mov_b64 s[0:1], 0
	global_store_byte v[0:1], v5, off
.LBB408_920:
	s_mov_b64 s[18:19], 0
.LBB408_921:
	s_and_b64 vcc, exec, s[18:19]
	s_cbranch_vccz .LBB408_928
; %bb.922:
	s_cmp_eq_u32 s27, 29
	s_mov_b64 s[0:1], -1
	s_cbranch_scc0 .LBB408_928
; %bb.923:
	v_cvt_f32_f16_e32 v3, v2
	v_mov_b32_e32 v5, 0
	s_mov_b64 s[0:1], 0
	s_mov_b64 s[18:19], 0
	v_cvt_u32_f32_e32 v4, v3
	global_store_dwordx2 v[0:1], v[4:5], off
	s_branch .LBB408_929
.LBB408_924:
	s_or_b64 exec, exec, s[14:15]
	s_and_saveexec_b64 s[0:1], s[12:13]
	s_cbranch_execnz .LBB408_987
.LBB408_925:
	s_or_b64 exec, exec, s[0:1]
	s_and_saveexec_b64 s[0:1], s[20:21]
	s_xor_b64 s[0:1], exec, s[0:1]
	s_cbranch_execz .LBB408_988
.LBB408_926:
	s_waitcnt vmcnt(0)
	v_and_b32_e32 v3, 0x7fff, v2
	v_cmp_ne_u16_e32 vcc, 0, v3
	s_nop 1
	v_cndmask_b32_e64 v3, 0, 1, vcc
	global_store_byte v[0:1], v3, off
	s_or_b64 exec, exec, s[0:1]
	s_and_saveexec_b64 s[0:1], s[18:19]
	s_xor_b64 s[0:1], exec, s[0:1]
	s_cbranch_execz .LBB408_1026
	s_branch .LBB408_989
.LBB408_927:
	s_mov_b64 s[18:19], -1
	s_mov_b64 s[0:1], s[12:13]
	s_branch .LBB408_986
.LBB408_928:
	s_mov_b64 s[18:19], 0
.LBB408_929:
	s_and_b64 vcc, exec, s[18:19]
	s_cbranch_vccz .LBB408_944
; %bb.930:
	s_cmp_lt_i32 s27, 27
	s_mov_b64 s[18:19], -1
	s_cbranch_scc1 .LBB408_936
; %bb.931:
	s_cmp_gt_i32 s27, 27
	s_cbranch_scc0 .LBB408_933
; %bb.932:
	v_cvt_f32_f16_e32 v3, v2
	s_mov_b64 s[18:19], 0
	v_cvt_u32_f32_e32 v3, v3
	global_store_dword v[0:1], v3, off
.LBB408_933:
	s_andn2_b64 vcc, exec, s[18:19]
	s_cbranch_vccnz .LBB408_935
; %bb.934:
	v_cvt_u16_f16_e32 v3, v2
	global_store_short v[0:1], v3, off
.LBB408_935:
	s_mov_b64 s[18:19], 0
.LBB408_936:
	s_andn2_b64 vcc, exec, s[18:19]
	s_cbranch_vccnz .LBB408_944
; %bb.937:
	v_cvt_f32_f16_e32 v3, v2
	s_mov_b32 s18, 0x43800000
	v_mov_b32_e32 v5, 0x80
	v_and_b32_e32 v4, 0x7fffffff, v3
	v_cmp_gt_u32_e32 vcc, s18, v4
	s_and_saveexec_b64 s[18:19], vcc
	s_cbranch_execz .LBB408_943
; %bb.938:
	s_mov_b32 s20, 0x3bffffff
	v_cmp_lt_u32_e32 vcc, s20, v4
	s_mov_b64 s[20:21], 0
                                        ; implicit-def: $vgpr4
	s_and_saveexec_b64 s[22:23], vcc
	s_xor_b64 s[22:23], exec, s[22:23]
	s_cbranch_execz .LBB408_1041
; %bb.939:
	v_bfe_u32 v4, v3, 20, 1
	s_mov_b32 s24, 0x487ffff
	v_add3_u32 v4, v3, v4, s24
	s_mov_b64 s[20:21], exec
	v_lshrrev_b32_e32 v4, 20, v4
	s_andn2_saveexec_b64 s[22:23], s[22:23]
	s_cbranch_execnz .LBB408_1042
.LBB408_940:
	s_or_b64 exec, exec, s[22:23]
	v_mov_b32_e32 v5, 0
	s_and_saveexec_b64 s[22:23], s[20:21]
.LBB408_941:
	v_lshrrev_b32_e32 v3, 24, v3
	s_movk_i32 s20, 0x80
	v_and_or_b32 v5, v3, s20, v4
.LBB408_942:
	s_or_b64 exec, exec, s[22:23]
.LBB408_943:
	s_or_b64 exec, exec, s[18:19]
	global_store_byte v[0:1], v5, off
.LBB408_944:
	s_mov_b64 s[20:21], 0
.LBB408_945:
	s_mov_b64 s[18:19], 0
	s_and_b64 vcc, exec, s[20:21]
	s_cbranch_vccz .LBB408_985
; %bb.946:
	s_cmp_gt_i32 s27, 22
	s_mov_b64 s[20:21], -1
	s_cbranch_scc0 .LBB408_978
; %bb.947:
	s_cmp_lt_i32 s27, 24
	s_cbranch_scc1 .LBB408_967
; %bb.948:
	s_cmp_gt_i32 s27, 24
	s_cbranch_scc0 .LBB408_956
; %bb.949:
	v_cvt_f32_f16_e32 v3, v2
	s_mov_b32 s20, 0x47800000
	v_mov_b32_e32 v5, 0x80
	v_and_b32_e32 v4, 0x7fffffff, v3
	v_cmp_gt_u32_e32 vcc, s20, v4
	s_and_saveexec_b64 s[20:21], vcc
	s_cbranch_execz .LBB408_955
; %bb.950:
	s_mov_b32 s22, 0x37ffffff
	v_cmp_lt_u32_e32 vcc, s22, v4
	s_mov_b64 s[22:23], 0
                                        ; implicit-def: $vgpr4
	s_and_saveexec_b64 s[24:25], vcc
	s_xor_b64 s[24:25], exec, s[24:25]
	s_cbranch_execz .LBB408_1166
; %bb.951:
	v_bfe_u32 v4, v3, 21, 1
	s_mov_b32 s28, 0x88fffff
	v_add3_u32 v4, v3, v4, s28
	s_mov_b64 s[22:23], exec
	v_lshrrev_b32_e32 v4, 21, v4
	s_andn2_saveexec_b64 s[24:25], s[24:25]
	s_cbranch_execnz .LBB408_1167
.LBB408_952:
	s_or_b64 exec, exec, s[24:25]
	v_mov_b32_e32 v5, 0
	s_and_saveexec_b64 s[24:25], s[22:23]
.LBB408_953:
	v_lshrrev_b32_e32 v3, 24, v3
	s_movk_i32 s22, 0x80
	v_and_or_b32 v5, v3, s22, v4
.LBB408_954:
	s_or_b64 exec, exec, s[24:25]
.LBB408_955:
	s_or_b64 exec, exec, s[20:21]
	s_mov_b64 s[20:21], 0
	global_store_byte v[0:1], v5, off
.LBB408_956:
	s_and_b64 vcc, exec, s[20:21]
	s_cbranch_vccz .LBB408_966
; %bb.957:
	v_cvt_f32_f16_e32 v3, v2
	s_mov_b32 s20, 0x43f00000
                                        ; implicit-def: $vgpr4
	v_and_b32_e32 v5, 0x7fffffff, v3
	v_cmp_gt_u32_e32 vcc, s20, v5
	s_and_saveexec_b64 s[20:21], vcc
	s_xor_b64 s[20:21], exec, s[20:21]
	s_cbranch_execz .LBB408_963
; %bb.958:
	s_mov_b32 s22, 0x3c7fffff
	v_cmp_lt_u32_e32 vcc, s22, v5
                                        ; implicit-def: $vgpr4
	s_and_saveexec_b64 s[22:23], vcc
	s_xor_b64 s[22:23], exec, s[22:23]
; %bb.959:
	v_bfe_u32 v4, v3, 20, 1
	s_mov_b32 s24, 0x407ffff
	v_add3_u32 v4, v3, v4, s24
	v_lshrrev_b32_e32 v5, 20, v4
	v_and_b32_e32 v4, 0xff00000, v4
	s_mov_b32 s24, 0x7f00000
	v_mov_b32_e32 v6, 0x7e
	v_cmp_ne_u32_e32 vcc, s24, v4
	s_nop 1
	v_cndmask_b32_e32 v4, v6, v5, vcc
; %bb.960:
	s_andn2_saveexec_b64 s[22:23], s[22:23]
; %bb.961:
	s_mov_b32 s24, 0x46800000
	v_add_f32_e64 v4, |v3|, s24
; %bb.962:
	s_or_b64 exec, exec, s[22:23]
                                        ; implicit-def: $vgpr5
.LBB408_963:
	s_andn2_saveexec_b64 s[20:21], s[20:21]
; %bb.964:
	s_mov_b32 s22, 0x7f800000
	v_mov_b32_e32 v4, 0x7e
	v_mov_b32_e32 v6, 0x7f
	v_cmp_lt_u32_e32 vcc, s22, v5
	s_nop 1
	v_cndmask_b32_e32 v4, v4, v6, vcc
; %bb.965:
	s_or_b64 exec, exec, s[20:21]
	v_lshrrev_b32_e32 v3, 24, v3
	s_movk_i32 s20, 0x80
	v_and_or_b32 v3, v3, s20, v4
	global_store_byte v[0:1], v3, off
.LBB408_966:
	s_mov_b64 s[20:21], 0
.LBB408_967:
	s_andn2_b64 vcc, exec, s[20:21]
	s_cbranch_vccnz .LBB408_977
; %bb.968:
	v_cvt_f32_f16_e32 v3, v2
	s_mov_b32 s20, 0x47800000
                                        ; implicit-def: $vgpr4
	v_and_b32_e32 v5, 0x7fffffff, v3
	v_cmp_gt_u32_e32 vcc, s20, v5
	s_and_saveexec_b64 s[20:21], vcc
	s_xor_b64 s[20:21], exec, s[20:21]
	s_cbranch_execz .LBB408_974
; %bb.969:
	s_mov_b32 s22, 0x387fffff
	v_cmp_lt_u32_e32 vcc, s22, v5
                                        ; implicit-def: $vgpr4
	s_and_saveexec_b64 s[22:23], vcc
	s_xor_b64 s[22:23], exec, s[22:23]
; %bb.970:
	v_bfe_u32 v4, v3, 21, 1
	s_mov_b32 s24, 0x80fffff
	v_add3_u32 v4, v3, v4, s24
	v_lshrrev_b32_e32 v4, 21, v4
; %bb.971:
	s_andn2_saveexec_b64 s[22:23], s[22:23]
; %bb.972:
	s_mov_b32 s24, 0x43000000
	v_add_f32_e64 v4, |v3|, s24
; %bb.973:
	s_or_b64 exec, exec, s[22:23]
                                        ; implicit-def: $vgpr5
.LBB408_974:
	s_andn2_saveexec_b64 s[20:21], s[20:21]
; %bb.975:
	s_mov_b32 s22, 0x7f800000
	v_mov_b32_e32 v4, 0x7c
	v_mov_b32_e32 v6, 0x7f
	v_cmp_lt_u32_e32 vcc, s22, v5
	s_nop 1
	v_cndmask_b32_e32 v4, v4, v6, vcc
; %bb.976:
	s_or_b64 exec, exec, s[20:21]
	v_lshrrev_b32_e32 v3, 24, v3
	s_movk_i32 s20, 0x80
	v_and_or_b32 v3, v3, s20, v4
	global_store_byte v[0:1], v3, off
.LBB408_977:
	s_mov_b64 s[20:21], 0
.LBB408_978:
	s_andn2_b64 vcc, exec, s[20:21]
	s_mov_b64 s[20:21], 0
	s_cbranch_vccnz .LBB408_986
; %bb.979:
	s_cmp_gt_i32 s27, 14
	s_mov_b64 s[22:23], -1
	s_cbranch_scc0 .LBB408_983
; %bb.980:
	s_cmp_eq_u32 s27, 15
	s_mov_b64 s[0:1], -1
	s_cbranch_scc0 .LBB408_982
; %bb.981:
	v_cvt_f32_f16_e32 v3, v2
	s_movk_i32 s0, 0x7fff
	v_cmp_o_f16_e32 vcc, v2, v2
	v_mov_b32_e32 v4, 0x7fc0
	v_bfe_u32 v5, v3, 16, 1
	v_add3_u32 v3, v3, v5, s0
	v_cndmask_b32_sdwa v3, v4, v3, vcc dst_sel:DWORD dst_unused:UNUSED_PAD src0_sel:DWORD src1_sel:WORD_1
	global_store_short v[0:1], v3, off
	s_mov_b64 s[0:1], 0
.LBB408_982:
	s_mov_b64 s[22:23], 0
.LBB408_983:
	s_and_b64 vcc, exec, s[22:23]
	s_cbranch_vccz .LBB408_986
; %bb.984:
	s_cmp_lg_u32 s27, 11
	s_cselect_b64 s[22:23], -1, 0
	s_andn2_b64 s[0:1], s[0:1], exec
	s_and_b64 s[22:23], s[22:23], exec
	s_mov_b64 s[20:21], -1
	s_or_b64 s[0:1], s[0:1], s[22:23]
	s_branch .LBB408_986
.LBB408_985:
	s_mov_b64 s[20:21], 0
.LBB408_986:
	s_andn2_b64 s[12:13], s[12:13], exec
	s_and_b64 s[0:1], s[0:1], exec
	s_and_b64 s[18:19], s[18:19], exec
	;; [unrolled: 1-line block ×3, first 2 shown]
	s_or_b64 s[12:13], s[12:13], s[0:1]
	s_or_b64 exec, exec, s[14:15]
	s_and_saveexec_b64 s[0:1], s[12:13]
	s_cbranch_execz .LBB408_925
.LBB408_987:
	s_or_b64 s[16:17], s[16:17], exec
	s_andn2_b64 s[20:21], s[20:21], exec
	s_trap 2
	s_or_b64 exec, exec, s[0:1]
	s_and_saveexec_b64 s[0:1], s[20:21]
	s_xor_b64 s[0:1], exec, s[0:1]
	s_cbranch_execnz .LBB408_926
.LBB408_988:
	s_or_b64 exec, exec, s[0:1]
	s_and_saveexec_b64 s[0:1], s[18:19]
	s_xor_b64 s[0:1], exec, s[0:1]
	s_cbranch_execz .LBB408_1026
.LBB408_989:
	s_sext_i32_i16 s14, s26
	s_cmp_lt_i32 s14, 5
	s_mov_b64 s[12:13], -1
	s_cbranch_scc1 .LBB408_1010
; %bb.990:
	s_cmp_lt_i32 s14, 8
	s_cbranch_scc1 .LBB408_1000
; %bb.991:
	s_cmp_lt_i32 s14, 9
	s_cbranch_scc1 .LBB408_997
; %bb.992:
	s_cmp_gt_i32 s14, 9
	s_cbranch_scc0 .LBB408_994
; %bb.993:
	s_waitcnt vmcnt(0)
	v_cvt_f32_f16_e32 v3, v2
	v_mov_b32_e32 v6, 0
	v_mov_b32_e32 v7, v6
	s_mov_b64 s[12:13], 0
	v_cvt_f64_f32_e32 v[4:5], v3
	global_store_dwordx4 v[0:1], v[4:7], off
.LBB408_994:
	s_andn2_b64 vcc, exec, s[12:13]
	s_cbranch_vccnz .LBB408_996
; %bb.995:
	s_waitcnt vmcnt(0)
	v_cvt_f32_f16_e32 v4, v2
	v_mov_b32_e32 v5, 0
	global_store_dwordx2 v[0:1], v[4:5], off
.LBB408_996:
	s_mov_b64 s[12:13], 0
.LBB408_997:
	s_andn2_b64 vcc, exec, s[12:13]
	s_cbranch_vccnz .LBB408_999
; %bb.998:
	s_waitcnt vmcnt(0)
	v_and_b32_e32 v3, 0xffff, v2
	global_store_dword v[0:1], v3, off
.LBB408_999:
	s_mov_b64 s[12:13], 0
.LBB408_1000:
	s_andn2_b64 vcc, exec, s[12:13]
	s_cbranch_vccnz .LBB408_1009
; %bb.1001:
	s_sext_i32_i16 s14, s26
	s_cmp_lt_i32 s14, 6
	s_mov_b64 s[12:13], -1
	s_cbranch_scc1 .LBB408_1007
; %bb.1002:
	s_cmp_gt_i32 s14, 6
	s_cbranch_scc0 .LBB408_1004
; %bb.1003:
	s_waitcnt vmcnt(0)
	v_cvt_f32_f16_e32 v3, v2
	s_mov_b64 s[12:13], 0
	v_cvt_f64_f32_e32 v[4:5], v3
	global_store_dwordx2 v[0:1], v[4:5], off
.LBB408_1004:
	s_andn2_b64 vcc, exec, s[12:13]
	s_cbranch_vccnz .LBB408_1006
; %bb.1005:
	s_waitcnt vmcnt(0)
	v_cvt_f32_f16_e32 v3, v2
	global_store_dword v[0:1], v3, off
.LBB408_1006:
	s_mov_b64 s[12:13], 0
.LBB408_1007:
	s_andn2_b64 vcc, exec, s[12:13]
	s_cbranch_vccnz .LBB408_1009
; %bb.1008:
	s_waitcnt vmcnt(0)
	global_store_short v[0:1], v2, off
.LBB408_1009:
	s_mov_b64 s[12:13], 0
.LBB408_1010:
	s_andn2_b64 vcc, exec, s[12:13]
	s_cbranch_vccnz .LBB408_1026
; %bb.1011:
	s_sext_i32_i16 s14, s26
	s_cmp_lt_i32 s14, 2
	s_mov_b64 s[12:13], -1
	s_cbranch_scc1 .LBB408_1021
; %bb.1012:
	s_cmp_lt_i32 s14, 3
	s_cbranch_scc1 .LBB408_1018
; %bb.1013:
	s_cmp_gt_i32 s14, 3
	s_cbranch_scc0 .LBB408_1015
; %bb.1014:
	s_waitcnt vmcnt(0)
	v_cvt_f32_f16_e32 v3, v2
	s_mov_b64 s[12:13], 0
	v_cvt_i32_f32_e32 v4, v3
	v_ashrrev_i32_e32 v5, 31, v4
	global_store_dwordx2 v[0:1], v[4:5], off
.LBB408_1015:
	s_andn2_b64 vcc, exec, s[12:13]
	s_cbranch_vccnz .LBB408_1017
; %bb.1016:
	s_waitcnt vmcnt(0)
	v_cvt_f32_f16_e32 v3, v2
	v_cvt_i32_f32_e32 v3, v3
	global_store_dword v[0:1], v3, off
.LBB408_1017:
	s_mov_b64 s[12:13], 0
.LBB408_1018:
	s_andn2_b64 vcc, exec, s[12:13]
	s_cbranch_vccnz .LBB408_1020
; %bb.1019:
	s_waitcnt vmcnt(0)
	v_cvt_i16_f16_e32 v3, v2
	global_store_short v[0:1], v3, off
.LBB408_1020:
	s_mov_b64 s[12:13], 0
.LBB408_1021:
	s_andn2_b64 vcc, exec, s[12:13]
	s_cbranch_vccnz .LBB408_1026
; %bb.1022:
	s_sext_i32_i16 s12, s26
	s_cmp_gt_i32 s12, 0
	s_mov_b64 s[12:13], -1
	s_cbranch_scc0 .LBB408_1024
; %bb.1023:
	s_waitcnt vmcnt(0)
	v_cvt_i16_f16_e32 v3, v2
	s_mov_b64 s[12:13], 0
	global_store_byte v[0:1], v3, off
.LBB408_1024:
	s_andn2_b64 vcc, exec, s[12:13]
	s_cbranch_vccnz .LBB408_1026
; %bb.1025:
	s_waitcnt vmcnt(0)
	v_cvt_f32_f16_e32 v2, v2
	v_cvt_i32_f32_e32 v2, v2
	global_store_byte v[0:1], v2, off
.LBB408_1026:
	s_or_b64 exec, exec, s[0:1]
	s_and_b64 s[12:13], s[16:17], exec
                                        ; implicit-def: $vgpr4
.LBB408_1027:
	s_or_saveexec_b64 s[10:11], s[10:11]
	s_mov_b64 s[0:1], 0
                                        ; implicit-def: $sgpr20
                                        ; implicit-def: $vgpr0_vgpr1
                                        ; implicit-def: $vgpr2
	s_xor_b64 exec, exec, s[10:11]
	s_cbranch_execz .LBB408_1975
; %bb.1028:
	v_mul_lo_u32 v0, s9, v4
	v_ashrrev_i32_e32 v1, 31, v0
	s_and_b32 s22, 0xffff, s43
	s_cmp_lt_i32 s22, 11
	s_waitcnt vmcnt(0)
	v_lshl_add_u64 v[2:3], s[6:7], 0, v[0:1]
	s_cbranch_scc1 .LBB408_1035
; %bb.1029:
	s_cmp_gt_i32 s22, 25
	s_cbranch_scc0 .LBB408_1037
; %bb.1030:
	s_cmp_gt_i32 s22, 28
	s_cbranch_scc0 .LBB408_1038
	;; [unrolled: 3-line block ×4, first 2 shown]
; %bb.1033:
	s_cmp_eq_u32 s22, 46
	s_mov_b64 s[14:15], 0
	s_cbranch_scc0 .LBB408_1043
; %bb.1034:
	global_load_dword v1, v[2:3], off
	s_mov_b64 s[16:17], -1
	s_waitcnt vmcnt(0)
	v_lshlrev_b32_e32 v1, 16, v1
	v_cvt_f16_f32_e32 v5, v1
	s_branch .LBB408_1044
.LBB408_1035:
	s_mov_b64 s[16:17], 0
                                        ; implicit-def: $vgpr5
	s_mov_b64 s[14:15], s[12:13]
	s_cbranch_execnz .LBB408_1107
.LBB408_1036:
	s_andn2_b64 vcc, exec, s[16:17]
	s_cbranch_vccz .LBB408_1152
	s_branch .LBB408_1973
.LBB408_1037:
	s_mov_b64 s[16:17], 0
                                        ; implicit-def: $vgpr5
	s_cbranch_execnz .LBB408_1072
	s_branch .LBB408_1103
.LBB408_1038:
	s_mov_b64 s[14:15], -1
	s_mov_b64 s[16:17], 0
                                        ; implicit-def: $vgpr5
	s_branch .LBB408_1053
.LBB408_1039:
	s_mov_b64 s[16:17], 0
                                        ; implicit-def: $vgpr5
	s_cbranch_execnz .LBB408_1049
	s_branch .LBB408_1052
.LBB408_1040:
	s_mov_b64 s[14:15], -1
	s_mov_b64 s[16:17], 0
                                        ; implicit-def: $vgpr5
	s_branch .LBB408_1044
.LBB408_1041:
	s_andn2_saveexec_b64 s[22:23], s[22:23]
	s_cbranch_execz .LBB408_940
.LBB408_1042:
	s_mov_b32 s24, 0x46000000
	v_add_f32_e64 v4, |v3|, s24
	v_and_b32_e32 v4, 0xff, v4
	v_cmp_ne_u32_e32 vcc, 0, v4
	s_andn2_b64 s[20:21], s[20:21], exec
	s_and_b64 s[24:25], vcc, exec
	s_or_b64 s[20:21], s[20:21], s[24:25]
	s_or_b64 exec, exec, s[22:23]
	v_mov_b32_e32 v5, 0
	s_and_saveexec_b64 s[22:23], s[20:21]
	s_cbranch_execnz .LBB408_941
	s_branch .LBB408_942
.LBB408_1043:
	s_mov_b64 s[0:1], -1
                                        ; implicit-def: $vgpr5
	s_mov_b64 s[16:17], 0
.LBB408_1044:
	s_and_b64 vcc, exec, s[14:15]
	s_cbranch_vccz .LBB408_1047
; %bb.1045:
	s_cmp_eq_u32 s22, 44
	s_cbranch_scc0 .LBB408_1048
; %bb.1046:
	global_load_ubyte v1, v[2:3], off
	s_movk_i32 s14, 0xff
	v_mov_b32_e32 v6, 0x7e00
	s_mov_b64 s[0:1], 0
	s_mov_b64 s[16:17], -1
	s_waitcnt vmcnt(0)
	v_lshlrev_b32_e32 v5, 23, v1
	v_cvt_f16_f32_e32 v5, v5
	v_cmp_ne_u32_e32 vcc, s14, v1
	s_nop 1
	v_cndmask_b32_e32 v5, v6, v5, vcc
	v_cmp_ne_u32_e32 vcc, 0, v1
	s_nop 1
	v_cndmask_b32_e32 v5, 0, v5, vcc
.LBB408_1047:
	s_branch .LBB408_1052
.LBB408_1048:
	s_mov_b64 s[0:1], -1
                                        ; implicit-def: $vgpr5
	s_branch .LBB408_1052
.LBB408_1049:
	s_cmp_eq_u32 s22, 29
	s_cbranch_scc0 .LBB408_1051
; %bb.1050:
	global_load_dwordx2 v[6:7], v[2:3], off
	s_mov_b64 s[0:1], 0
	s_mov_b64 s[16:17], -1
	s_mov_b64 s[14:15], 0
	s_waitcnt vmcnt(0)
	v_ffbh_u32_e32 v1, v7
	v_min_u32_e32 v1, 32, v1
	v_lshlrev_b64 v[6:7], v1, v[6:7]
	v_min_u32_e32 v5, 1, v6
	v_or_b32_e32 v5, v7, v5
	v_cvt_f32_u32_e32 v5, v5
	v_sub_u32_e32 v1, 32, v1
	v_ldexp_f32 v1, v5, v1
	v_cvt_f16_f32_e32 v5, v1
	s_branch .LBB408_1053
.LBB408_1051:
	s_mov_b64 s[0:1], -1
                                        ; implicit-def: $vgpr5
.LBB408_1052:
	s_mov_b64 s[14:15], 0
.LBB408_1053:
	s_and_b64 vcc, exec, s[14:15]
	s_cbranch_vccz .LBB408_1071
; %bb.1054:
	s_cmp_lt_i32 s22, 27
	s_cbranch_scc1 .LBB408_1057
; %bb.1055:
	s_cmp_gt_i32 s22, 27
	s_cbranch_scc0 .LBB408_1058
; %bb.1056:
	global_load_dword v1, v[2:3], off
	s_mov_b64 s[14:15], 0
	s_waitcnt vmcnt(0)
	v_cvt_f32_u32_e32 v1, v1
	v_cvt_f16_f32_e32 v5, v1
	s_branch .LBB408_1059
.LBB408_1057:
	s_mov_b64 s[14:15], -1
                                        ; implicit-def: $vgpr5
	s_branch .LBB408_1062
.LBB408_1058:
	s_mov_b64 s[14:15], -1
                                        ; implicit-def: $vgpr5
.LBB408_1059:
	s_andn2_b64 vcc, exec, s[14:15]
	s_cbranch_vccnz .LBB408_1061
; %bb.1060:
	global_load_ushort v1, v[2:3], off
	s_waitcnt vmcnt(0)
	v_cvt_f16_u16_e32 v5, v1
.LBB408_1061:
	s_mov_b64 s[14:15], 0
.LBB408_1062:
	s_andn2_b64 vcc, exec, s[14:15]
	s_cbranch_vccnz .LBB408_1070
; %bb.1063:
	global_load_ubyte v1, v[2:3], off
	s_movk_i32 s14, 0x7f
	s_waitcnt vmcnt(0)
	v_cmp_lt_i16_e32 vcc, s14, v1
	s_mov_b64 s[14:15], 0
	s_and_saveexec_b64 s[16:17], vcc
	s_xor_b64 s[16:17], exec, s[16:17]
	s_cbranch_execz .LBB408_1083
; %bb.1064:
	s_movk_i32 s14, 0x80
	v_cmp_eq_u16_e32 vcc, s14, v1
	s_mov_b64 s[14:15], -1
	s_and_saveexec_b64 s[18:19], vcc
; %bb.1065:
	s_xor_b64 s[14:15], exec, -1
; %bb.1066:
	s_or_b64 exec, exec, s[18:19]
	s_and_b64 s[14:15], s[14:15], exec
	s_or_saveexec_b64 s[16:17], s[16:17]
	v_mov_b32_e32 v5, 0x7e00
	s_xor_b64 exec, exec, s[16:17]
	s_cbranch_execnz .LBB408_1084
.LBB408_1067:
	s_or_b64 exec, exec, s[16:17]
	s_and_saveexec_b64 s[16:17], s[14:15]
	s_cbranch_execz .LBB408_1069
.LBB408_1068:
	v_lshlrev_b32_e32 v5, 24, v1
	v_and_b32_e32 v1, 0xffff, v1
	v_and_b32_e32 v6, 7, v1
	v_ffbh_u32_e32 v8, v6
	v_min_u32_e32 v8, 32, v8
	v_subrev_u32_e32 v9, 28, v8
	v_bfe_u32 v7, v1, 3, 4
	v_lshlrev_b32_e32 v1, v9, v1
	v_sub_u32_e32 v8, 29, v8
	v_and_b32_e32 v1, 7, v1
	v_cmp_eq_u32_e32 vcc, 0, v7
	v_and_b32_e32 v5, 0x80000000, v5
	s_nop 0
	v_cndmask_b32_e32 v7, v7, v8, vcc
	v_cndmask_b32_e32 v1, v6, v1, vcc
	v_mov_b32_e32 v6, 0x3b800000
	v_lshlrev_b32_e32 v1, 20, v1
	v_lshl_add_u32 v6, v7, 23, v6
	v_or3_b32 v1, v5, v6, v1
	v_cvt_f16_f32_e32 v5, v1
.LBB408_1069:
	s_or_b64 exec, exec, s[16:17]
.LBB408_1070:
	s_mov_b64 s[16:17], -1
.LBB408_1071:
	s_branch .LBB408_1103
.LBB408_1072:
	s_cmp_gt_i32 s22, 22
	s_cbranch_scc0 .LBB408_1082
; %bb.1073:
	s_cmp_lt_i32 s22, 24
	s_cbranch_scc1 .LBB408_1085
; %bb.1074:
	s_cmp_gt_i32 s22, 24
	s_cbranch_scc0 .LBB408_1086
; %bb.1075:
	global_load_ubyte v1, v[2:3], off
	s_movk_i32 s2, 0x7f
	s_waitcnt vmcnt(0)
	v_cmp_lt_i16_e32 vcc, s2, v1
	s_mov_b64 s[2:3], 0
	s_and_saveexec_b64 s[14:15], vcc
	s_xor_b64 s[14:15], exec, s[14:15]
	s_cbranch_execz .LBB408_1097
; %bb.1076:
	s_movk_i32 s2, 0x80
	v_cmp_eq_u16_e32 vcc, s2, v1
	s_mov_b64 s[2:3], -1
	s_and_saveexec_b64 s[16:17], vcc
; %bb.1077:
	s_xor_b64 s[2:3], exec, -1
; %bb.1078:
	s_or_b64 exec, exec, s[16:17]
	s_and_b64 s[2:3], s[2:3], exec
	s_or_saveexec_b64 s[14:15], s[14:15]
	v_mov_b32_e32 v5, 0x7e00
	s_xor_b64 exec, exec, s[14:15]
	s_cbranch_execnz .LBB408_1098
.LBB408_1079:
	s_or_b64 exec, exec, s[14:15]
	s_and_saveexec_b64 s[14:15], s[2:3]
	s_cbranch_execz .LBB408_1081
.LBB408_1080:
	v_lshlrev_b32_e32 v5, 24, v1
	v_and_b32_e32 v1, 0xffff, v1
	v_and_b32_e32 v6, 3, v1
	v_ffbh_u32_e32 v8, v6
	v_min_u32_e32 v8, 32, v8
	v_subrev_u32_e32 v9, 29, v8
	v_bfe_u32 v7, v1, 2, 5
	v_lshlrev_b32_e32 v1, v9, v1
	v_sub_u32_e32 v8, 30, v8
	v_and_b32_e32 v1, 3, v1
	v_cmp_eq_u32_e32 vcc, 0, v7
	v_and_b32_e32 v5, 0x80000000, v5
	s_nop 0
	v_cndmask_b32_e32 v7, v7, v8, vcc
	v_cndmask_b32_e32 v1, v6, v1, vcc
	v_mov_b32_e32 v6, 0x37800000
	v_lshlrev_b32_e32 v1, 21, v1
	v_lshl_add_u32 v6, v7, 23, v6
	v_or3_b32 v1, v5, v6, v1
	v_cvt_f16_f32_e32 v5, v1
.LBB408_1081:
	s_or_b64 exec, exec, s[14:15]
	s_mov_b64 s[2:3], 0
	s_branch .LBB408_1087
.LBB408_1082:
                                        ; implicit-def: $vgpr5
	s_mov_b64 s[2:3], 0
	s_branch .LBB408_1093
.LBB408_1083:
	s_or_saveexec_b64 s[16:17], s[16:17]
	v_mov_b32_e32 v5, 0x7e00
	s_xor_b64 exec, exec, s[16:17]
	s_cbranch_execz .LBB408_1067
.LBB408_1084:
	v_cmp_ne_u16_e32 vcc, 0, v1
	s_andn2_b64 s[14:15], s[14:15], exec
	s_and_b64 s[18:19], vcc, exec
	s_or_b64 s[14:15], s[14:15], s[18:19]
	v_mov_b32_e32 v5, v1
	s_or_b64 exec, exec, s[16:17]
	s_and_saveexec_b64 s[16:17], s[14:15]
	s_cbranch_execnz .LBB408_1068
	s_branch .LBB408_1069
.LBB408_1085:
	s_mov_b64 s[2:3], -1
                                        ; implicit-def: $vgpr5
	s_branch .LBB408_1090
.LBB408_1086:
	s_mov_b64 s[2:3], -1
                                        ; implicit-def: $vgpr5
.LBB408_1087:
	s_and_b64 vcc, exec, s[2:3]
	s_cbranch_vccz .LBB408_1089
; %bb.1088:
	global_load_ubyte v1, v[2:3], off
	s_mov_b32 s2, 0x7f800000
	s_waitcnt vmcnt(0)
	v_lshlrev_b32_e32 v1, 24, v1
	v_and_b32_e32 v5, 0x7f000000, v1
	v_ffbh_u32_e32 v6, v5
	v_min_u32_e32 v6, 32, v6
	v_sub_u32_e64 v6, v6, 4 clamp
	v_lshlrev_b32_e32 v8, v6, v5
	v_lshlrev_b32_e32 v6, 23, v6
	v_lshrrev_b32_e32 v8, 4, v8
	v_add_u32_e32 v7, 0x1000000, v5
	v_sub_u32_e32 v6, v8, v6
	v_ashrrev_i32_e32 v7, 8, v7
	v_add_u32_e32 v6, 0x3c000000, v6
	v_and_or_b32 v6, v7, s2, v6
	v_cmp_ne_u32_e32 vcc, 0, v5
	s_brev_b32 s2, 1
	s_nop 0
	v_cndmask_b32_e32 v5, 0, v6, vcc
	v_and_or_b32 v1, v1, s2, v5
	v_cvt_f16_f32_e32 v5, v1
.LBB408_1089:
	s_mov_b64 s[2:3], 0
.LBB408_1090:
	s_andn2_b64 vcc, exec, s[2:3]
	s_cbranch_vccnz .LBB408_1092
; %bb.1091:
	global_load_ubyte v1, v[2:3], off
	s_movk_i32 s2, 0x7f00
	s_brev_b32 s3, 16
	s_waitcnt vmcnt(0)
	v_lshlrev_b16_e32 v5, 8, v1
	v_lshlrev_b32_e32 v1, 25, v1
	v_lshrrev_b32_e32 v6, 4, v1
	v_and_or_b32 v7, v5, s2, 0.5
	v_or_b32_e32 v6, 0x70000000, v6
	v_add_f32_e32 v7, -0.5, v7
	v_mul_f32_e32 v6, 0x7800000, v6
	v_cmp_gt_u32_e32 vcc, s3, v1
	v_bfe_i32 v5, v5, 0, 16
	s_brev_b32 s2, 1
	v_cndmask_b32_e32 v1, v6, v7, vcc
	v_and_or_b32 v1, v5, s2, v1
	v_cvt_f16_f32_e32 v5, v1
.LBB408_1092:
	s_mov_b64 s[16:17], -1
	s_mov_b64 s[2:3], 0
	s_cbranch_execnz .LBB408_1103
.LBB408_1093:
	s_cmp_gt_i32 s22, 14
	s_cbranch_scc0 .LBB408_1096
; %bb.1094:
	s_cmp_eq_u32 s22, 15
	s_cbranch_scc0 .LBB408_1099
; %bb.1095:
	global_load_ushort v1, v[2:3], off
	s_mov_b64 s[0:1], 0
	s_mov_b64 s[16:17], -1
	s_waitcnt vmcnt(0)
	v_lshlrev_b32_e32 v1, 16, v1
	v_cvt_f16_f32_e32 v5, v1
	s_branch .LBB408_1100
.LBB408_1096:
	s_mov_b64 s[14:15], -1
                                        ; implicit-def: $vgpr5
	s_branch .LBB408_1101
.LBB408_1097:
	s_or_saveexec_b64 s[14:15], s[14:15]
	v_mov_b32_e32 v5, 0x7e00
	s_xor_b64 exec, exec, s[14:15]
	s_cbranch_execz .LBB408_1079
.LBB408_1098:
	v_cmp_ne_u16_e32 vcc, 0, v1
	s_andn2_b64 s[2:3], s[2:3], exec
	s_and_b64 s[16:17], vcc, exec
	s_or_b64 s[2:3], s[2:3], s[16:17]
	v_mov_b32_e32 v5, v1
	s_or_b64 exec, exec, s[14:15]
	s_and_saveexec_b64 s[14:15], s[2:3]
	s_cbranch_execnz .LBB408_1080
	s_branch .LBB408_1081
.LBB408_1099:
	s_mov_b64 s[0:1], -1
                                        ; implicit-def: $vgpr5
.LBB408_1100:
	s_mov_b64 s[14:15], 0
.LBB408_1101:
	s_and_b64 vcc, exec, s[14:15]
	s_cbranch_vccz .LBB408_1103
; %bb.1102:
	s_cmp_lg_u32 s22, 11
	s_mov_b64 s[2:3], -1
	s_cselect_b64 s[0:1], -1, 0
.LBB408_1103:
	s_and_b64 vcc, exec, s[0:1]
	s_mov_b64 s[14:15], s[12:13]
	s_cbranch_vccnz .LBB408_1164
; %bb.1104:
	s_andn2_b64 vcc, exec, s[2:3]
	s_cbranch_vccnz .LBB408_1106
.LBB408_1105:
	global_load_ubyte v1, v[2:3], off
	v_mov_b32_e32 v5, 0x3c00
	s_mov_b64 s[16:17], -1
	s_waitcnt vmcnt(0)
	v_cmp_ne_u16_e32 vcc, 0, v1
	s_nop 1
	v_cndmask_b32_e32 v5, 0, v5, vcc
.LBB408_1106:
	s_branch .LBB408_1036
.LBB408_1107:
	s_cmp_lt_i32 s22, 5
	s_cbranch_scc1 .LBB408_1112
; %bb.1108:
	s_cmp_lt_i32 s22, 8
	s_cbranch_scc1 .LBB408_1113
; %bb.1109:
	;; [unrolled: 3-line block ×3, first 2 shown]
	s_cmp_gt_i32 s22, 9
	s_cbranch_scc0 .LBB408_1115
; %bb.1111:
	global_load_dwordx2 v[6:7], v[2:3], off
	s_movk_i32 s0, 0x1ff
	s_movk_i32 s1, 0xffe
	v_mov_b32_e32 v1, 0x7c00
	v_mov_b32_e32 v5, 0x7e00
	s_movk_i32 s2, 0x40f
	s_mov_b32 s3, 0x8000
	s_waitcnt vmcnt(0)
	v_and_or_b32 v6, v7, s0, v6
	v_cmp_ne_u32_e32 vcc, 0, v6
	v_lshrrev_b32_e32 v8, 8, v7
	v_bfe_u32 v9, v7, 20, 11
	v_cndmask_b32_e64 v6, 0, 1, vcc
	v_sub_u32_e32 v10, 0x3f1, v9
	v_and_or_b32 v6, v8, s1, v6
	v_add_u32_e32 v9, 0xfffffc10, v9
	v_med3_i32 v8, v10, 0, 13
	v_or_b32_e32 v10, 0x1000, v6
	v_lshl_or_b32 v11, v9, 12, v6
	v_cmp_ne_u32_e32 vcc, 0, v6
	v_lshrrev_b32_e32 v6, v8, v10
	v_lshlrev_b32_e32 v8, v8, v6
	v_cndmask_b32_e32 v5, v1, v5, vcc
	v_cmp_ne_u32_e32 vcc, v8, v10
	v_lshrrev_b32_e32 v7, 16, v7
	s_mov_b64 s[0:1], 0
	v_cndmask_b32_e64 v8, 0, 1, vcc
	v_or_b32_e32 v6, v6, v8
	v_cmp_gt_i32_e32 vcc, 1, v9
	s_nop 1
	v_cndmask_b32_e32 v6, v11, v6, vcc
	v_and_b32_e32 v8, 7, v6
	v_cmp_lt_i32_e32 vcc, 5, v8
	v_lshrrev_b32_e32 v6, 2, v6
	s_nop 0
	v_cndmask_b32_e64 v10, 0, 1, vcc
	v_cmp_eq_u32_e32 vcc, 3, v8
	s_nop 1
	v_cndmask_b32_e64 v8, 0, 1, vcc
	v_or_b32_e32 v8, v8, v10
	v_add_u32_e32 v6, v6, v8
	v_cmp_gt_i32_e32 vcc, 31, v9
	s_nop 1
	v_cndmask_b32_e32 v1, v1, v6, vcc
	v_cmp_eq_u32_e32 vcc, s2, v9
	s_nop 1
	v_cndmask_b32_e32 v1, v1, v5, vcc
	v_and_or_b32 v5, v7, s3, v1
	s_branch .LBB408_1116
.LBB408_1112:
                                        ; implicit-def: $vgpr5
	s_branch .LBB408_1133
.LBB408_1113:
                                        ; implicit-def: $vgpr5
	s_branch .LBB408_1122
.LBB408_1114:
	s_mov_b64 s[0:1], -1
                                        ; implicit-def: $vgpr5
	s_branch .LBB408_1119
.LBB408_1115:
	s_mov_b64 s[0:1], -1
                                        ; implicit-def: $vgpr5
.LBB408_1116:
	s_andn2_b64 vcc, exec, s[0:1]
	s_cbranch_vccnz .LBB408_1118
; %bb.1117:
	global_load_dword v1, v[2:3], off
	s_waitcnt vmcnt(0)
	v_cvt_f16_f32_e32 v5, v1
.LBB408_1118:
	s_mov_b64 s[0:1], 0
.LBB408_1119:
	s_andn2_b64 vcc, exec, s[0:1]
	s_cbranch_vccnz .LBB408_1121
; %bb.1120:
	global_load_dword v5, v[2:3], off
.LBB408_1121:
	s_cbranch_execnz .LBB408_1132
.LBB408_1122:
	s_cmp_lt_i32 s22, 6
	s_cbranch_scc1 .LBB408_1125
; %bb.1123:
	s_cmp_gt_i32 s22, 6
	s_cbranch_scc0 .LBB408_1126
; %bb.1124:
	global_load_dwordx2 v[6:7], v[2:3], off
	s_movk_i32 s0, 0x1ff
	s_movk_i32 s1, 0xffe
	v_mov_b32_e32 v1, 0x7c00
	s_waitcnt vmcnt(1)
	v_mov_b32_e32 v5, 0x7e00
	s_movk_i32 s2, 0x40f
	s_mov_b32 s3, 0x8000
	s_waitcnt vmcnt(0)
	v_and_or_b32 v6, v7, s0, v6
	v_cmp_ne_u32_e32 vcc, 0, v6
	v_lshrrev_b32_e32 v8, 8, v7
	v_bfe_u32 v9, v7, 20, 11
	v_cndmask_b32_e64 v6, 0, 1, vcc
	v_sub_u32_e32 v10, 0x3f1, v9
	v_and_or_b32 v6, v8, s1, v6
	v_add_u32_e32 v9, 0xfffffc10, v9
	v_med3_i32 v8, v10, 0, 13
	v_or_b32_e32 v10, 0x1000, v6
	v_lshl_or_b32 v11, v9, 12, v6
	v_cmp_ne_u32_e32 vcc, 0, v6
	v_lshrrev_b32_e32 v6, v8, v10
	v_lshlrev_b32_e32 v8, v8, v6
	v_cndmask_b32_e32 v5, v1, v5, vcc
	v_cmp_ne_u32_e32 vcc, v8, v10
	v_lshrrev_b32_e32 v7, 16, v7
	s_mov_b64 s[0:1], 0
	v_cndmask_b32_e64 v8, 0, 1, vcc
	v_or_b32_e32 v6, v6, v8
	v_cmp_gt_i32_e32 vcc, 1, v9
	s_nop 1
	v_cndmask_b32_e32 v6, v11, v6, vcc
	v_and_b32_e32 v8, 7, v6
	v_cmp_lt_i32_e32 vcc, 5, v8
	v_lshrrev_b32_e32 v6, 2, v6
	s_nop 0
	v_cndmask_b32_e64 v10, 0, 1, vcc
	v_cmp_eq_u32_e32 vcc, 3, v8
	s_nop 1
	v_cndmask_b32_e64 v8, 0, 1, vcc
	v_or_b32_e32 v8, v8, v10
	v_add_u32_e32 v6, v6, v8
	v_cmp_gt_i32_e32 vcc, 31, v9
	s_nop 1
	v_cndmask_b32_e32 v1, v1, v6, vcc
	v_cmp_eq_u32_e32 vcc, s2, v9
	s_nop 1
	v_cndmask_b32_e32 v1, v1, v5, vcc
	v_and_or_b32 v5, v7, s3, v1
	s_branch .LBB408_1127
.LBB408_1125:
	s_mov_b64 s[0:1], -1
                                        ; implicit-def: $vgpr5
	s_branch .LBB408_1130
.LBB408_1126:
	s_mov_b64 s[0:1], -1
                                        ; implicit-def: $vgpr5
.LBB408_1127:
	s_andn2_b64 vcc, exec, s[0:1]
	s_cbranch_vccnz .LBB408_1129
; %bb.1128:
	global_load_dword v1, v[2:3], off
	s_waitcnt vmcnt(0)
	v_cvt_f16_f32_e32 v5, v1
.LBB408_1129:
	s_mov_b64 s[0:1], 0
.LBB408_1130:
	s_andn2_b64 vcc, exec, s[0:1]
	s_cbranch_vccnz .LBB408_1132
; %bb.1131:
	global_load_ushort v5, v[2:3], off
.LBB408_1132:
	s_cbranch_execnz .LBB408_1151
.LBB408_1133:
	s_cmp_lt_i32 s22, 2
	s_cbranch_scc1 .LBB408_1137
; %bb.1134:
	s_cmp_lt_i32 s22, 3
	s_cbranch_scc1 .LBB408_1138
; %bb.1135:
	s_cmp_gt_i32 s22, 3
	s_cbranch_scc0 .LBB408_1139
; %bb.1136:
	global_load_dwordx2 v[6:7], v[2:3], off
	s_mov_b64 s[0:1], 0
	s_waitcnt vmcnt(0)
	v_xor_b32_e32 v5, v6, v7
	v_ffbh_i32_e32 v1, v7
	v_ashrrev_i32_e32 v5, 31, v5
	v_add_u32_e32 v1, -1, v1
	v_add_u32_e32 v5, 32, v5
	v_min_u32_e32 v1, v1, v5
	v_lshlrev_b64 v[6:7], v1, v[6:7]
	v_min_u32_e32 v5, 1, v6
	v_or_b32_e32 v5, v7, v5
	v_cvt_f32_i32_e32 v5, v5
	v_sub_u32_e32 v1, 32, v1
	v_ldexp_f32 v1, v5, v1
	v_cvt_f16_f32_e32 v5, v1
	s_branch .LBB408_1140
.LBB408_1137:
                                        ; implicit-def: $vgpr5
	s_branch .LBB408_1146
.LBB408_1138:
	s_mov_b64 s[0:1], -1
                                        ; implicit-def: $vgpr5
	s_branch .LBB408_1143
.LBB408_1139:
	s_mov_b64 s[0:1], -1
                                        ; implicit-def: $vgpr5
.LBB408_1140:
	s_andn2_b64 vcc, exec, s[0:1]
	s_cbranch_vccnz .LBB408_1142
; %bb.1141:
	global_load_dword v1, v[2:3], off
	s_waitcnt vmcnt(0)
	v_cvt_f32_i32_e32 v1, v1
	v_cvt_f16_f32_e32 v5, v1
.LBB408_1142:
	s_mov_b64 s[0:1], 0
.LBB408_1143:
	s_andn2_b64 vcc, exec, s[0:1]
	s_cbranch_vccnz .LBB408_1145
; %bb.1144:
	global_load_ushort v1, v[2:3], off
	s_waitcnt vmcnt(0)
	v_cvt_f16_i16_e32 v5, v1
.LBB408_1145:
	s_cbranch_execnz .LBB408_1151
.LBB408_1146:
	s_cmp_gt_i32 s22, 0
	s_cbranch_scc0 .LBB408_1148
; %bb.1147:
	global_load_sbyte v1, v[2:3], off
	s_mov_b64 s[0:1], 0
	s_waitcnt vmcnt(0)
	v_cvt_f16_i16_e32 v5, v1
	s_branch .LBB408_1149
.LBB408_1148:
	s_mov_b64 s[0:1], -1
                                        ; implicit-def: $vgpr5
.LBB408_1149:
	s_andn2_b64 vcc, exec, s[0:1]
	s_cbranch_vccnz .LBB408_1151
; %bb.1150:
	global_load_ubyte v1, v[2:3], off
	s_waitcnt vmcnt(0)
	v_cvt_f16_u16_e32 v5, v1
.LBB408_1151:
.LBB408_1152:
	s_lshl_b32 s9, s9, 7
	v_add_u32_e32 v0, s9, v0
	v_ashrrev_i32_e32 v1, 31, v0
	s_cmp_lt_i32 s22, 11
	v_lshl_add_u64 v[2:3], s[6:7], 0, v[0:1]
	s_cbranch_scc1 .LBB408_1159
; %bb.1153:
	s_cmp_gt_i32 s22, 25
	s_mov_b64 s[2:3], 0
	s_cbranch_scc0 .LBB408_1161
; %bb.1154:
	s_cmp_gt_i32 s22, 28
	s_cbranch_scc0 .LBB408_1162
; %bb.1155:
	s_cmp_gt_i32 s22, 43
	;; [unrolled: 3-line block ×3, first 2 shown]
	s_cbranch_scc0 .LBB408_1165
; %bb.1157:
	s_cmp_eq_u32 s22, 46
	s_mov_b64 s[18:19], 0
	s_cbranch_scc0 .LBB408_1168
; %bb.1158:
	global_load_dword v1, v[2:3], off
	s_mov_b64 s[0:1], 0
	s_mov_b64 s[16:17], -1
	s_waitcnt vmcnt(0)
	v_lshlrev_b32_e32 v1, 16, v1
	v_cvt_f16_f32_e32 v6, v1
	s_branch .LBB408_1169
.LBB408_1159:
	s_mov_b64 s[16:17], 0
                                        ; implicit-def: $vgpr6
	s_cbranch_execnz .LBB408_1234
.LBB408_1160:
	s_andn2_b64 vcc, exec, s[16:17]
	s_cbranch_vccnz .LBB408_1973
	s_branch .LBB408_1281
.LBB408_1161:
	s_mov_b64 s[16:17], 0
	s_mov_b64 s[0:1], 0
                                        ; implicit-def: $vgpr6
	s_cbranch_execnz .LBB408_1198
	s_branch .LBB408_1230
.LBB408_1162:
	s_mov_b64 s[18:19], -1
	s_mov_b64 s[16:17], 0
	s_mov_b64 s[0:1], 0
                                        ; implicit-def: $vgpr6
	s_branch .LBB408_1179
.LBB408_1163:
	s_mov_b64 s[18:19], -1
	s_mov_b64 s[16:17], 0
	s_mov_b64 s[0:1], 0
                                        ; implicit-def: $vgpr6
	s_branch .LBB408_1174
.LBB408_1164:
	s_or_b64 s[14:15], s[12:13], exec
	s_trap 2
	s_cbranch_execz .LBB408_1105
	s_branch .LBB408_1106
.LBB408_1165:
	s_mov_b64 s[18:19], -1
	s_mov_b64 s[16:17], 0
	s_mov_b64 s[0:1], 0
                                        ; implicit-def: $vgpr6
	s_branch .LBB408_1169
.LBB408_1166:
	s_andn2_saveexec_b64 s[24:25], s[24:25]
	s_cbranch_execz .LBB408_952
.LBB408_1167:
	s_mov_b32 s28, 0x42800000
	v_add_f32_e64 v4, |v3|, s28
	v_and_b32_e32 v4, 0xff, v4
	v_cmp_ne_u32_e32 vcc, 0, v4
	s_andn2_b64 s[22:23], s[22:23], exec
	s_and_b64 s[28:29], vcc, exec
	s_or_b64 s[22:23], s[22:23], s[28:29]
	s_or_b64 exec, exec, s[24:25]
	v_mov_b32_e32 v5, 0
	s_and_saveexec_b64 s[24:25], s[22:23]
	s_cbranch_execnz .LBB408_953
	s_branch .LBB408_954
.LBB408_1168:
	s_mov_b64 s[0:1], -1
                                        ; implicit-def: $vgpr6
	s_mov_b64 s[16:17], 0
.LBB408_1169:
	s_and_b64 vcc, exec, s[18:19]
	s_cbranch_vccz .LBB408_1173
; %bb.1170:
	s_cmp_eq_u32 s22, 44
	s_cbranch_scc0 .LBB408_1172
; %bb.1171:
	global_load_ubyte v1, v[2:3], off
	s_movk_i32 s16, 0xff
	v_mov_b32_e32 v7, 0x7e00
	s_mov_b64 s[0:1], 0
	s_waitcnt vmcnt(0)
	v_lshlrev_b32_e32 v6, 23, v1
	v_cvt_f16_f32_e32 v6, v6
	v_cmp_ne_u32_e32 vcc, s16, v1
	s_mov_b64 s[16:17], -1
	s_nop 0
	v_cndmask_b32_e32 v6, v7, v6, vcc
	v_cmp_ne_u32_e32 vcc, 0, v1
	s_nop 1
	v_cndmask_b32_e32 v6, 0, v6, vcc
	s_branch .LBB408_1173
.LBB408_1172:
	s_mov_b64 s[0:1], -1
                                        ; implicit-def: $vgpr6
.LBB408_1173:
	s_mov_b64 s[18:19], 0
.LBB408_1174:
	s_and_b64 vcc, exec, s[18:19]
	s_cbranch_vccz .LBB408_1178
; %bb.1175:
	s_cmp_eq_u32 s22, 29
	s_cbranch_scc0 .LBB408_1177
; %bb.1176:
	global_load_dwordx2 v[6:7], v[2:3], off
	s_mov_b64 s[0:1], 0
	s_mov_b64 s[16:17], -1
	s_mov_b64 s[18:19], 0
	s_waitcnt vmcnt(0)
	v_ffbh_u32_e32 v1, v7
	v_min_u32_e32 v1, 32, v1
	v_lshlrev_b64 v[6:7], v1, v[6:7]
	v_min_u32_e32 v6, 1, v6
	v_or_b32_e32 v6, v7, v6
	v_cvt_f32_u32_e32 v6, v6
	v_sub_u32_e32 v1, 32, v1
	v_ldexp_f32 v1, v6, v1
	v_cvt_f16_f32_e32 v6, v1
	s_branch .LBB408_1179
.LBB408_1177:
	s_mov_b64 s[0:1], -1
                                        ; implicit-def: $vgpr6
.LBB408_1178:
	s_mov_b64 s[18:19], 0
.LBB408_1179:
	s_and_b64 vcc, exec, s[18:19]
	s_cbranch_vccz .LBB408_1197
; %bb.1180:
	s_cmp_lt_i32 s22, 27
	s_cbranch_scc1 .LBB408_1183
; %bb.1181:
	s_cmp_gt_i32 s22, 27
	s_cbranch_scc0 .LBB408_1184
; %bb.1182:
	global_load_dword v1, v[2:3], off
	s_mov_b64 s[16:17], 0
	s_waitcnt vmcnt(0)
	v_cvt_f32_u32_e32 v1, v1
	v_cvt_f16_f32_e32 v6, v1
	s_branch .LBB408_1185
.LBB408_1183:
	s_mov_b64 s[16:17], -1
                                        ; implicit-def: $vgpr6
	s_branch .LBB408_1188
.LBB408_1184:
	s_mov_b64 s[16:17], -1
                                        ; implicit-def: $vgpr6
.LBB408_1185:
	s_andn2_b64 vcc, exec, s[16:17]
	s_cbranch_vccnz .LBB408_1187
; %bb.1186:
	global_load_ushort v1, v[2:3], off
	s_waitcnt vmcnt(0)
	v_cvt_f16_u16_e32 v6, v1
.LBB408_1187:
	s_mov_b64 s[16:17], 0
.LBB408_1188:
	s_andn2_b64 vcc, exec, s[16:17]
	s_cbranch_vccnz .LBB408_1196
; %bb.1189:
	global_load_ubyte v1, v[2:3], off
	s_movk_i32 s16, 0x7f
	s_waitcnt vmcnt(0)
	v_cmp_lt_i16_e32 vcc, s16, v1
	s_mov_b64 s[16:17], 0
	s_and_saveexec_b64 s[18:19], vcc
	s_xor_b64 s[18:19], exec, s[18:19]
	s_cbranch_execz .LBB408_1209
; %bb.1190:
	s_movk_i32 s16, 0x80
	v_cmp_eq_u16_e32 vcc, s16, v1
	s_mov_b64 s[16:17], -1
	s_and_saveexec_b64 s[20:21], vcc
; %bb.1191:
	s_xor_b64 s[16:17], exec, -1
; %bb.1192:
	s_or_b64 exec, exec, s[20:21]
	s_and_b64 s[16:17], s[16:17], exec
	s_or_saveexec_b64 s[18:19], s[18:19]
	v_mov_b32_e32 v6, 0x7e00
	s_xor_b64 exec, exec, s[18:19]
	s_cbranch_execnz .LBB408_1210
.LBB408_1193:
	s_or_b64 exec, exec, s[18:19]
	s_and_saveexec_b64 s[18:19], s[16:17]
	s_cbranch_execz .LBB408_1195
.LBB408_1194:
	v_lshlrev_b32_e32 v6, 24, v1
	v_and_b32_e32 v1, 0xffff, v1
	v_and_b32_e32 v7, 7, v1
	v_ffbh_u32_e32 v9, v7
	v_min_u32_e32 v9, 32, v9
	v_subrev_u32_e32 v10, 28, v9
	v_bfe_u32 v8, v1, 3, 4
	v_lshlrev_b32_e32 v1, v10, v1
	v_sub_u32_e32 v9, 29, v9
	v_and_b32_e32 v1, 7, v1
	v_cmp_eq_u32_e32 vcc, 0, v8
	v_and_b32_e32 v6, 0x80000000, v6
	s_nop 0
	v_cndmask_b32_e32 v8, v8, v9, vcc
	v_cndmask_b32_e32 v1, v7, v1, vcc
	v_mov_b32_e32 v7, 0x3b800000
	v_lshlrev_b32_e32 v1, 20, v1
	v_lshl_add_u32 v7, v8, 23, v7
	v_or3_b32 v1, v6, v7, v1
	v_cvt_f16_f32_e32 v6, v1
.LBB408_1195:
	s_or_b64 exec, exec, s[18:19]
.LBB408_1196:
	s_mov_b64 s[16:17], -1
.LBB408_1197:
	s_branch .LBB408_1230
.LBB408_1198:
	s_cmp_gt_i32 s22, 22
	s_cbranch_scc0 .LBB408_1208
; %bb.1199:
	s_cmp_lt_i32 s22, 24
	s_cbranch_scc1 .LBB408_1211
; %bb.1200:
	s_cmp_gt_i32 s22, 24
	s_cbranch_scc0 .LBB408_1212
; %bb.1201:
	global_load_ubyte v1, v[2:3], off
	s_movk_i32 s2, 0x7f
	s_waitcnt vmcnt(0)
	v_cmp_lt_i16_e32 vcc, s2, v1
	s_mov_b64 s[2:3], 0
	s_and_saveexec_b64 s[16:17], vcc
	s_xor_b64 s[16:17], exec, s[16:17]
	s_cbranch_execz .LBB408_1224
; %bb.1202:
	s_movk_i32 s2, 0x80
	v_cmp_eq_u16_e32 vcc, s2, v1
	s_mov_b64 s[2:3], -1
	s_and_saveexec_b64 s[18:19], vcc
; %bb.1203:
	s_xor_b64 s[2:3], exec, -1
; %bb.1204:
	s_or_b64 exec, exec, s[18:19]
	s_and_b64 s[2:3], s[2:3], exec
	s_or_saveexec_b64 s[16:17], s[16:17]
	v_mov_b32_e32 v6, 0x7e00
	s_xor_b64 exec, exec, s[16:17]
	s_cbranch_execnz .LBB408_1225
.LBB408_1205:
	s_or_b64 exec, exec, s[16:17]
	s_and_saveexec_b64 s[16:17], s[2:3]
	s_cbranch_execz .LBB408_1207
.LBB408_1206:
	v_lshlrev_b32_e32 v6, 24, v1
	v_and_b32_e32 v1, 0xffff, v1
	v_and_b32_e32 v7, 3, v1
	v_ffbh_u32_e32 v9, v7
	v_min_u32_e32 v9, 32, v9
	v_subrev_u32_e32 v10, 29, v9
	v_bfe_u32 v8, v1, 2, 5
	v_lshlrev_b32_e32 v1, v10, v1
	v_sub_u32_e32 v9, 30, v9
	v_and_b32_e32 v1, 3, v1
	v_cmp_eq_u32_e32 vcc, 0, v8
	v_and_b32_e32 v6, 0x80000000, v6
	s_nop 0
	v_cndmask_b32_e32 v8, v8, v9, vcc
	v_cndmask_b32_e32 v1, v7, v1, vcc
	v_mov_b32_e32 v7, 0x37800000
	v_lshlrev_b32_e32 v1, 21, v1
	v_lshl_add_u32 v7, v8, 23, v7
	v_or3_b32 v1, v6, v7, v1
	v_cvt_f16_f32_e32 v6, v1
.LBB408_1207:
	s_or_b64 exec, exec, s[16:17]
	s_mov_b64 s[2:3], 0
	s_branch .LBB408_1213
.LBB408_1208:
	s_mov_b64 s[2:3], -1
                                        ; implicit-def: $vgpr6
	s_branch .LBB408_1219
.LBB408_1209:
	s_or_saveexec_b64 s[18:19], s[18:19]
	v_mov_b32_e32 v6, 0x7e00
	s_xor_b64 exec, exec, s[18:19]
	s_cbranch_execz .LBB408_1193
.LBB408_1210:
	v_cmp_ne_u16_e32 vcc, 0, v1
	s_andn2_b64 s[16:17], s[16:17], exec
	s_and_b64 s[20:21], vcc, exec
	s_or_b64 s[16:17], s[16:17], s[20:21]
	v_mov_b32_e32 v6, v1
	s_or_b64 exec, exec, s[18:19]
	s_and_saveexec_b64 s[18:19], s[16:17]
	s_cbranch_execnz .LBB408_1194
	s_branch .LBB408_1195
.LBB408_1211:
	s_mov_b64 s[2:3], -1
                                        ; implicit-def: $vgpr6
	s_branch .LBB408_1216
.LBB408_1212:
	s_mov_b64 s[2:3], -1
                                        ; implicit-def: $vgpr6
.LBB408_1213:
	s_and_b64 vcc, exec, s[2:3]
	s_cbranch_vccz .LBB408_1215
; %bb.1214:
	global_load_ubyte v1, v[2:3], off
	s_mov_b32 s2, 0x7f800000
	s_waitcnt vmcnt(0)
	v_lshlrev_b32_e32 v1, 24, v1
	v_and_b32_e32 v6, 0x7f000000, v1
	v_ffbh_u32_e32 v7, v6
	v_min_u32_e32 v7, 32, v7
	v_sub_u32_e64 v7, v7, 4 clamp
	v_lshlrev_b32_e32 v9, v7, v6
	v_lshlrev_b32_e32 v7, 23, v7
	v_lshrrev_b32_e32 v9, 4, v9
	v_add_u32_e32 v8, 0x1000000, v6
	v_sub_u32_e32 v7, v9, v7
	v_ashrrev_i32_e32 v8, 8, v8
	v_add_u32_e32 v7, 0x3c000000, v7
	v_and_or_b32 v7, v8, s2, v7
	v_cmp_ne_u32_e32 vcc, 0, v6
	s_brev_b32 s2, 1
	s_nop 0
	v_cndmask_b32_e32 v6, 0, v7, vcc
	v_and_or_b32 v1, v1, s2, v6
	v_cvt_f16_f32_e32 v6, v1
.LBB408_1215:
	s_mov_b64 s[2:3], 0
.LBB408_1216:
	s_andn2_b64 vcc, exec, s[2:3]
	s_cbranch_vccnz .LBB408_1218
; %bb.1217:
	global_load_ubyte v1, v[2:3], off
	s_movk_i32 s2, 0x7f00
	s_brev_b32 s3, 16
	s_waitcnt vmcnt(0)
	v_lshlrev_b16_e32 v6, 8, v1
	v_lshlrev_b32_e32 v1, 25, v1
	v_lshrrev_b32_e32 v7, 4, v1
	v_and_or_b32 v8, v6, s2, 0.5
	v_or_b32_e32 v7, 0x70000000, v7
	v_add_f32_e32 v8, -0.5, v8
	v_mul_f32_e32 v7, 0x7800000, v7
	v_cmp_gt_u32_e32 vcc, s3, v1
	v_bfe_i32 v6, v6, 0, 16
	s_brev_b32 s2, 1
	v_cndmask_b32_e32 v1, v7, v8, vcc
	v_and_or_b32 v1, v6, s2, v1
	v_cvt_f16_f32_e32 v6, v1
.LBB408_1218:
	s_mov_b64 s[2:3], 0
	s_mov_b64 s[16:17], -1
.LBB408_1219:
	s_andn2_b64 vcc, exec, s[2:3]
	s_mov_b64 s[2:3], 0
	s_cbranch_vccnz .LBB408_1230
; %bb.1220:
	s_cmp_gt_i32 s22, 14
	s_cbranch_scc0 .LBB408_1223
; %bb.1221:
	s_cmp_eq_u32 s22, 15
	s_cbranch_scc0 .LBB408_1226
; %bb.1222:
	global_load_ushort v1, v[2:3], off
	s_mov_b64 s[0:1], 0
	s_mov_b64 s[16:17], -1
	s_waitcnt vmcnt(0)
	v_lshlrev_b32_e32 v1, 16, v1
	v_cvt_f16_f32_e32 v6, v1
	s_branch .LBB408_1227
.LBB408_1223:
	s_mov_b64 s[18:19], -1
                                        ; implicit-def: $vgpr6
	s_branch .LBB408_1228
.LBB408_1224:
	s_or_saveexec_b64 s[16:17], s[16:17]
	v_mov_b32_e32 v6, 0x7e00
	s_xor_b64 exec, exec, s[16:17]
	s_cbranch_execz .LBB408_1205
.LBB408_1225:
	v_cmp_ne_u16_e32 vcc, 0, v1
	s_andn2_b64 s[2:3], s[2:3], exec
	s_and_b64 s[18:19], vcc, exec
	s_or_b64 s[2:3], s[2:3], s[18:19]
	v_mov_b32_e32 v6, v1
	s_or_b64 exec, exec, s[16:17]
	s_and_saveexec_b64 s[16:17], s[2:3]
	s_cbranch_execnz .LBB408_1206
	s_branch .LBB408_1207
.LBB408_1226:
	s_mov_b64 s[0:1], -1
                                        ; implicit-def: $vgpr6
.LBB408_1227:
	s_mov_b64 s[18:19], 0
.LBB408_1228:
	s_and_b64 vcc, exec, s[18:19]
	s_cbranch_vccz .LBB408_1230
; %bb.1229:
	s_cmp_lg_u32 s22, 11
	s_mov_b64 s[2:3], -1
	s_cselect_b64 s[0:1], -1, 0
.LBB408_1230:
	s_and_b64 vcc, exec, s[0:1]
	s_cbranch_vccnz .LBB408_1293
; %bb.1231:
	s_andn2_b64 vcc, exec, s[2:3]
	s_cbranch_vccnz .LBB408_1233
.LBB408_1232:
	global_load_ubyte v1, v[2:3], off
	v_mov_b32_e32 v6, 0x3c00
	s_mov_b64 s[16:17], -1
	s_waitcnt vmcnt(0)
	v_cmp_ne_u16_e32 vcc, 0, v1
	s_nop 1
	v_cndmask_b32_e32 v6, 0, v6, vcc
.LBB408_1233:
	s_branch .LBB408_1160
.LBB408_1234:
	s_cmp_lt_i32 s22, 5
	s_cbranch_scc1 .LBB408_1239
; %bb.1235:
	s_cmp_lt_i32 s22, 8
	s_cbranch_scc1 .LBB408_1240
; %bb.1236:
	;; [unrolled: 3-line block ×3, first 2 shown]
	s_cmp_gt_i32 s22, 9
	s_cbranch_scc0 .LBB408_1242
; %bb.1238:
	global_load_dwordx2 v[6:7], v[2:3], off
	s_movk_i32 s0, 0x1ff
	s_movk_i32 s1, 0xffe
	v_mov_b32_e32 v1, 0x7c00
	v_mov_b32_e32 v8, 0x7e00
	s_movk_i32 s2, 0x40f
	s_mov_b32 s3, 0x8000
	s_waitcnt vmcnt(0)
	v_and_or_b32 v6, v7, s0, v6
	v_cmp_ne_u32_e32 vcc, 0, v6
	v_lshrrev_b32_e32 v9, 8, v7
	v_bfe_u32 v10, v7, 20, 11
	v_cndmask_b32_e64 v6, 0, 1, vcc
	v_sub_u32_e32 v11, 0x3f1, v10
	v_and_or_b32 v6, v9, s1, v6
	v_add_u32_e32 v10, 0xfffffc10, v10
	v_med3_i32 v9, v11, 0, 13
	v_or_b32_e32 v11, 0x1000, v6
	v_cmp_ne_u32_e32 vcc, 0, v6
	v_lshl_or_b32 v12, v10, 12, v6
	v_lshrrev_b32_e32 v7, 16, v7
	v_cndmask_b32_e32 v6, v1, v8, vcc
	v_lshrrev_b32_e32 v8, v9, v11
	v_lshlrev_b32_e32 v9, v9, v8
	v_cmp_ne_u32_e32 vcc, v9, v11
	s_mov_b64 s[0:1], 0
	s_nop 0
	v_cndmask_b32_e64 v9, 0, 1, vcc
	v_or_b32_e32 v8, v8, v9
	v_cmp_gt_i32_e32 vcc, 1, v10
	s_nop 1
	v_cndmask_b32_e32 v8, v12, v8, vcc
	v_and_b32_e32 v9, 7, v8
	v_cmp_lt_i32_e32 vcc, 5, v9
	v_lshrrev_b32_e32 v8, 2, v8
	s_nop 0
	v_cndmask_b32_e64 v11, 0, 1, vcc
	v_cmp_eq_u32_e32 vcc, 3, v9
	s_nop 1
	v_cndmask_b32_e64 v9, 0, 1, vcc
	v_or_b32_e32 v9, v9, v11
	v_add_u32_e32 v8, v8, v9
	v_cmp_gt_i32_e32 vcc, 31, v10
	s_nop 1
	v_cndmask_b32_e32 v1, v1, v8, vcc
	v_cmp_eq_u32_e32 vcc, s2, v10
	s_nop 1
	v_cndmask_b32_e32 v1, v1, v6, vcc
	v_and_or_b32 v6, v7, s3, v1
	s_branch .LBB408_1243
.LBB408_1239:
                                        ; implicit-def: $vgpr6
	s_branch .LBB408_1261
.LBB408_1240:
	s_mov_b64 s[0:1], -1
                                        ; implicit-def: $vgpr6
	s_branch .LBB408_1249
.LBB408_1241:
	s_mov_b64 s[0:1], -1
                                        ; implicit-def: $vgpr6
	s_branch .LBB408_1246
.LBB408_1242:
	s_mov_b64 s[0:1], -1
                                        ; implicit-def: $vgpr6
.LBB408_1243:
	s_andn2_b64 vcc, exec, s[0:1]
	s_cbranch_vccnz .LBB408_1245
; %bb.1244:
	global_load_dword v1, v[2:3], off
	s_waitcnt vmcnt(0)
	v_cvt_f16_f32_e32 v6, v1
.LBB408_1245:
	s_mov_b64 s[0:1], 0
.LBB408_1246:
	s_andn2_b64 vcc, exec, s[0:1]
	s_cbranch_vccnz .LBB408_1248
; %bb.1247:
	global_load_dword v6, v[2:3], off
.LBB408_1248:
	s_mov_b64 s[0:1], 0
.LBB408_1249:
	s_andn2_b64 vcc, exec, s[0:1]
	s_cbranch_vccnz .LBB408_1260
; %bb.1250:
	s_cmp_lt_i32 s22, 6
	s_cbranch_scc1 .LBB408_1253
; %bb.1251:
	s_cmp_gt_i32 s22, 6
	s_cbranch_scc0 .LBB408_1254
; %bb.1252:
	global_load_dwordx2 v[6:7], v[2:3], off
	s_movk_i32 s0, 0x1ff
	s_movk_i32 s1, 0xffe
	v_mov_b32_e32 v1, 0x7c00
	v_mov_b32_e32 v8, 0x7e00
	s_movk_i32 s2, 0x40f
	s_mov_b32 s3, 0x8000
	s_waitcnt vmcnt(0)
	v_and_or_b32 v6, v7, s0, v6
	v_cmp_ne_u32_e32 vcc, 0, v6
	v_lshrrev_b32_e32 v9, 8, v7
	v_bfe_u32 v10, v7, 20, 11
	v_cndmask_b32_e64 v6, 0, 1, vcc
	v_sub_u32_e32 v11, 0x3f1, v10
	v_and_or_b32 v6, v9, s1, v6
	v_add_u32_e32 v10, 0xfffffc10, v10
	v_med3_i32 v9, v11, 0, 13
	v_or_b32_e32 v11, 0x1000, v6
	v_cmp_ne_u32_e32 vcc, 0, v6
	v_lshl_or_b32 v12, v10, 12, v6
	v_lshrrev_b32_e32 v7, 16, v7
	v_cndmask_b32_e32 v6, v1, v8, vcc
	v_lshrrev_b32_e32 v8, v9, v11
	v_lshlrev_b32_e32 v9, v9, v8
	v_cmp_ne_u32_e32 vcc, v9, v11
	s_mov_b64 s[0:1], 0
	s_nop 0
	v_cndmask_b32_e64 v9, 0, 1, vcc
	v_or_b32_e32 v8, v8, v9
	v_cmp_gt_i32_e32 vcc, 1, v10
	s_nop 1
	v_cndmask_b32_e32 v8, v12, v8, vcc
	v_and_b32_e32 v9, 7, v8
	v_cmp_lt_i32_e32 vcc, 5, v9
	v_lshrrev_b32_e32 v8, 2, v8
	s_nop 0
	v_cndmask_b32_e64 v11, 0, 1, vcc
	v_cmp_eq_u32_e32 vcc, 3, v9
	s_nop 1
	v_cndmask_b32_e64 v9, 0, 1, vcc
	v_or_b32_e32 v9, v9, v11
	v_add_u32_e32 v8, v8, v9
	v_cmp_gt_i32_e32 vcc, 31, v10
	s_nop 1
	v_cndmask_b32_e32 v1, v1, v8, vcc
	v_cmp_eq_u32_e32 vcc, s2, v10
	s_nop 1
	v_cndmask_b32_e32 v1, v1, v6, vcc
	v_and_or_b32 v6, v7, s3, v1
	s_branch .LBB408_1255
.LBB408_1253:
	s_mov_b64 s[0:1], -1
                                        ; implicit-def: $vgpr6
	s_branch .LBB408_1258
.LBB408_1254:
	s_mov_b64 s[0:1], -1
                                        ; implicit-def: $vgpr6
.LBB408_1255:
	s_andn2_b64 vcc, exec, s[0:1]
	s_cbranch_vccnz .LBB408_1257
; %bb.1256:
	global_load_dword v1, v[2:3], off
	s_waitcnt vmcnt(0)
	v_cvt_f16_f32_e32 v6, v1
.LBB408_1257:
	s_mov_b64 s[0:1], 0
.LBB408_1258:
	s_andn2_b64 vcc, exec, s[0:1]
	s_cbranch_vccnz .LBB408_1260
; %bb.1259:
	global_load_ushort v6, v[2:3], off
.LBB408_1260:
	s_cbranch_execnz .LBB408_1280
.LBB408_1261:
	s_cmp_lt_i32 s22, 2
	s_cbranch_scc1 .LBB408_1265
; %bb.1262:
	s_cmp_lt_i32 s22, 3
	s_cbranch_scc1 .LBB408_1266
; %bb.1263:
	s_cmp_gt_i32 s22, 3
	s_cbranch_scc0 .LBB408_1267
; %bb.1264:
	global_load_dwordx2 v[6:7], v[2:3], off
	s_mov_b64 s[0:1], 0
	s_waitcnt vmcnt(0)
	v_xor_b32_e32 v8, v6, v7
	v_ffbh_i32_e32 v1, v7
	v_ashrrev_i32_e32 v8, 31, v8
	v_add_u32_e32 v1, -1, v1
	v_add_u32_e32 v8, 32, v8
	v_min_u32_e32 v1, v1, v8
	v_lshlrev_b64 v[6:7], v1, v[6:7]
	v_min_u32_e32 v6, 1, v6
	v_or_b32_e32 v6, v7, v6
	v_cvt_f32_i32_e32 v6, v6
	v_sub_u32_e32 v1, 32, v1
	v_ldexp_f32 v1, v6, v1
	v_cvt_f16_f32_e32 v6, v1
	s_branch .LBB408_1268
.LBB408_1265:
	s_mov_b64 s[0:1], -1
                                        ; implicit-def: $vgpr6
	s_branch .LBB408_1274
.LBB408_1266:
	s_mov_b64 s[0:1], -1
                                        ; implicit-def: $vgpr6
	s_branch .LBB408_1271
.LBB408_1267:
	s_mov_b64 s[0:1], -1
                                        ; implicit-def: $vgpr6
.LBB408_1268:
	s_andn2_b64 vcc, exec, s[0:1]
	s_cbranch_vccnz .LBB408_1270
; %bb.1269:
	global_load_dword v1, v[2:3], off
	s_waitcnt vmcnt(0)
	v_cvt_f32_i32_e32 v1, v1
	v_cvt_f16_f32_e32 v6, v1
.LBB408_1270:
	s_mov_b64 s[0:1], 0
.LBB408_1271:
	s_andn2_b64 vcc, exec, s[0:1]
	s_cbranch_vccnz .LBB408_1273
; %bb.1272:
	global_load_ushort v1, v[2:3], off
	s_waitcnt vmcnt(0)
	v_cvt_f16_i16_e32 v6, v1
.LBB408_1273:
	s_mov_b64 s[0:1], 0
.LBB408_1274:
	s_andn2_b64 vcc, exec, s[0:1]
	s_cbranch_vccnz .LBB408_1280
; %bb.1275:
	s_cmp_gt_i32 s22, 0
	s_cbranch_scc0 .LBB408_1277
; %bb.1276:
	global_load_sbyte v1, v[2:3], off
	s_mov_b64 s[0:1], 0
	s_waitcnt vmcnt(0)
	v_cvt_f16_i16_e32 v6, v1
	s_branch .LBB408_1278
.LBB408_1277:
	s_mov_b64 s[0:1], -1
                                        ; implicit-def: $vgpr6
.LBB408_1278:
	s_andn2_b64 vcc, exec, s[0:1]
	s_cbranch_vccnz .LBB408_1280
; %bb.1279:
	global_load_ubyte v1, v[2:3], off
	s_waitcnt vmcnt(0)
	v_cvt_f16_u16_e32 v6, v1
.LBB408_1280:
.LBB408_1281:
	v_add_u32_e32 v0, s9, v0
	v_ashrrev_i32_e32 v1, 31, v0
	s_cmp_lt_i32 s22, 11
	v_lshl_add_u64 v[2:3], s[6:7], 0, v[0:1]
	s_cbranch_scc1 .LBB408_1288
; %bb.1282:
	s_cmp_gt_i32 s22, 25
	s_mov_b64 s[2:3], 0
	s_cbranch_scc0 .LBB408_1290
; %bb.1283:
	s_cmp_gt_i32 s22, 28
	s_cbranch_scc0 .LBB408_1291
; %bb.1284:
	s_cmp_gt_i32 s22, 43
	;; [unrolled: 3-line block ×3, first 2 shown]
	s_cbranch_scc0 .LBB408_1294
; %bb.1286:
	s_cmp_eq_u32 s22, 46
	s_mov_b64 s[18:19], 0
	s_cbranch_scc0 .LBB408_1295
; %bb.1287:
	global_load_dword v1, v[2:3], off
	s_mov_b64 s[0:1], 0
	s_mov_b64 s[16:17], -1
	s_waitcnt vmcnt(0)
	v_lshlrev_b32_e32 v1, 16, v1
	v_cvt_f16_f32_e32 v7, v1
	s_branch .LBB408_1296
.LBB408_1288:
	s_mov_b64 s[16:17], 0
                                        ; implicit-def: $vgpr7
	s_cbranch_execnz .LBB408_1362
.LBB408_1289:
	s_andn2_b64 vcc, exec, s[16:17]
	s_cbranch_vccnz .LBB408_1973
	s_branch .LBB408_1410
.LBB408_1290:
	s_mov_b64 s[18:19], -1
	s_mov_b64 s[16:17], 0
	s_mov_b64 s[0:1], 0
                                        ; implicit-def: $vgpr7
	s_branch .LBB408_1325
.LBB408_1291:
	s_mov_b64 s[18:19], -1
	s_mov_b64 s[16:17], 0
	s_mov_b64 s[0:1], 0
                                        ; implicit-def: $vgpr7
	s_branch .LBB408_1306
.LBB408_1292:
	s_mov_b64 s[18:19], -1
	s_mov_b64 s[16:17], 0
	s_mov_b64 s[0:1], 0
                                        ; implicit-def: $vgpr7
	s_branch .LBB408_1301
.LBB408_1293:
	s_trap 2
	s_or_b64 s[14:15], s[14:15], exec
	s_cbranch_execz .LBB408_1232
	s_branch .LBB408_1233
.LBB408_1294:
	s_mov_b64 s[18:19], -1
	s_mov_b64 s[16:17], 0
	s_mov_b64 s[0:1], 0
                                        ; implicit-def: $vgpr7
	s_branch .LBB408_1296
.LBB408_1295:
	s_mov_b64 s[0:1], -1
                                        ; implicit-def: $vgpr7
	s_mov_b64 s[16:17], 0
.LBB408_1296:
	s_and_b64 vcc, exec, s[18:19]
	s_cbranch_vccz .LBB408_1300
; %bb.1297:
	s_cmp_eq_u32 s22, 44
	s_cbranch_scc0 .LBB408_1299
; %bb.1298:
	global_load_ubyte v1, v[2:3], off
	s_movk_i32 s16, 0xff
	v_mov_b32_e32 v8, 0x7e00
	s_mov_b64 s[0:1], 0
	s_waitcnt vmcnt(0)
	v_lshlrev_b32_e32 v7, 23, v1
	v_cvt_f16_f32_e32 v7, v7
	v_cmp_ne_u32_e32 vcc, s16, v1
	s_mov_b64 s[16:17], -1
	s_nop 0
	v_cndmask_b32_e32 v7, v8, v7, vcc
	v_cmp_ne_u32_e32 vcc, 0, v1
	s_nop 1
	v_cndmask_b32_e32 v7, 0, v7, vcc
	s_branch .LBB408_1300
.LBB408_1299:
	s_mov_b64 s[0:1], -1
                                        ; implicit-def: $vgpr7
.LBB408_1300:
	s_mov_b64 s[18:19], 0
.LBB408_1301:
	s_and_b64 vcc, exec, s[18:19]
	s_cbranch_vccz .LBB408_1305
; %bb.1302:
	s_cmp_eq_u32 s22, 29
	s_cbranch_scc0 .LBB408_1304
; %bb.1303:
	global_load_dwordx2 v[8:9], v[2:3], off
	s_mov_b64 s[0:1], 0
	s_mov_b64 s[16:17], -1
	s_mov_b64 s[18:19], 0
	s_waitcnt vmcnt(0)
	v_ffbh_u32_e32 v1, v9
	v_min_u32_e32 v1, 32, v1
	v_lshlrev_b64 v[8:9], v1, v[8:9]
	v_min_u32_e32 v7, 1, v8
	v_or_b32_e32 v7, v9, v7
	v_cvt_f32_u32_e32 v7, v7
	v_sub_u32_e32 v1, 32, v1
	v_ldexp_f32 v1, v7, v1
	v_cvt_f16_f32_e32 v7, v1
	s_branch .LBB408_1306
.LBB408_1304:
	s_mov_b64 s[0:1], -1
                                        ; implicit-def: $vgpr7
.LBB408_1305:
	s_mov_b64 s[18:19], 0
.LBB408_1306:
	s_and_b64 vcc, exec, s[18:19]
	s_cbranch_vccz .LBB408_1324
; %bb.1307:
	s_cmp_lt_i32 s22, 27
	s_cbranch_scc1 .LBB408_1310
; %bb.1308:
	s_cmp_gt_i32 s22, 27
	s_cbranch_scc0 .LBB408_1311
; %bb.1309:
	global_load_dword v1, v[2:3], off
	s_mov_b64 s[16:17], 0
	s_waitcnt vmcnt(0)
	v_cvt_f32_u32_e32 v1, v1
	v_cvt_f16_f32_e32 v7, v1
	s_branch .LBB408_1312
.LBB408_1310:
	s_mov_b64 s[16:17], -1
                                        ; implicit-def: $vgpr7
	s_branch .LBB408_1315
.LBB408_1311:
	s_mov_b64 s[16:17], -1
                                        ; implicit-def: $vgpr7
.LBB408_1312:
	s_andn2_b64 vcc, exec, s[16:17]
	s_cbranch_vccnz .LBB408_1314
; %bb.1313:
	global_load_ushort v1, v[2:3], off
	s_waitcnt vmcnt(0)
	v_cvt_f16_u16_e32 v7, v1
.LBB408_1314:
	s_mov_b64 s[16:17], 0
.LBB408_1315:
	s_andn2_b64 vcc, exec, s[16:17]
	s_cbranch_vccnz .LBB408_1323
; %bb.1316:
	global_load_ubyte v1, v[2:3], off
	s_movk_i32 s16, 0x7f
	s_waitcnt vmcnt(0)
	v_cmp_lt_i16_e32 vcc, s16, v1
	s_mov_b64 s[16:17], 0
	s_and_saveexec_b64 s[18:19], vcc
	s_xor_b64 s[18:19], exec, s[18:19]
	s_cbranch_execz .LBB408_1337
; %bb.1317:
	s_movk_i32 s16, 0x80
	v_cmp_eq_u16_e32 vcc, s16, v1
	s_mov_b64 s[16:17], -1
	s_and_saveexec_b64 s[20:21], vcc
; %bb.1318:
	s_xor_b64 s[16:17], exec, -1
; %bb.1319:
	s_or_b64 exec, exec, s[20:21]
	s_and_b64 s[16:17], s[16:17], exec
	s_or_saveexec_b64 s[18:19], s[18:19]
	v_mov_b32_e32 v7, 0x7e00
	s_xor_b64 exec, exec, s[18:19]
	s_cbranch_execnz .LBB408_1338
.LBB408_1320:
	s_or_b64 exec, exec, s[18:19]
	s_and_saveexec_b64 s[18:19], s[16:17]
	s_cbranch_execz .LBB408_1322
.LBB408_1321:
	v_lshlrev_b32_e32 v7, 24, v1
	v_and_b32_e32 v1, 0xffff, v1
	v_and_b32_e32 v8, 7, v1
	v_ffbh_u32_e32 v10, v8
	v_min_u32_e32 v10, 32, v10
	v_subrev_u32_e32 v11, 28, v10
	v_bfe_u32 v9, v1, 3, 4
	v_lshlrev_b32_e32 v1, v11, v1
	v_sub_u32_e32 v10, 29, v10
	v_and_b32_e32 v1, 7, v1
	v_cmp_eq_u32_e32 vcc, 0, v9
	v_and_b32_e32 v7, 0x80000000, v7
	s_nop 0
	v_cndmask_b32_e32 v9, v9, v10, vcc
	v_cndmask_b32_e32 v1, v8, v1, vcc
	v_mov_b32_e32 v8, 0x3b800000
	v_lshlrev_b32_e32 v1, 20, v1
	v_lshl_add_u32 v8, v9, 23, v8
	v_or3_b32 v1, v7, v8, v1
	v_cvt_f16_f32_e32 v7, v1
.LBB408_1322:
	s_or_b64 exec, exec, s[18:19]
.LBB408_1323:
	s_mov_b64 s[16:17], -1
.LBB408_1324:
	s_mov_b64 s[18:19], 0
.LBB408_1325:
	s_and_b64 vcc, exec, s[18:19]
	s_cbranch_vccz .LBB408_1358
; %bb.1326:
	s_cmp_gt_i32 s22, 22
	s_cbranch_scc0 .LBB408_1336
; %bb.1327:
	s_cmp_lt_i32 s22, 24
	s_cbranch_scc1 .LBB408_1339
; %bb.1328:
	s_cmp_gt_i32 s22, 24
	s_cbranch_scc0 .LBB408_1340
; %bb.1329:
	global_load_ubyte v1, v[2:3], off
	s_movk_i32 s2, 0x7f
	s_waitcnt vmcnt(0)
	v_cmp_lt_i16_e32 vcc, s2, v1
	s_mov_b64 s[2:3], 0
	s_and_saveexec_b64 s[16:17], vcc
	s_xor_b64 s[16:17], exec, s[16:17]
	s_cbranch_execz .LBB408_1352
; %bb.1330:
	s_movk_i32 s2, 0x80
	v_cmp_eq_u16_e32 vcc, s2, v1
	s_mov_b64 s[2:3], -1
	s_and_saveexec_b64 s[18:19], vcc
; %bb.1331:
	s_xor_b64 s[2:3], exec, -1
; %bb.1332:
	s_or_b64 exec, exec, s[18:19]
	s_and_b64 s[2:3], s[2:3], exec
	s_or_saveexec_b64 s[16:17], s[16:17]
	v_mov_b32_e32 v7, 0x7e00
	s_xor_b64 exec, exec, s[16:17]
	s_cbranch_execnz .LBB408_1353
.LBB408_1333:
	s_or_b64 exec, exec, s[16:17]
	s_and_saveexec_b64 s[16:17], s[2:3]
	s_cbranch_execz .LBB408_1335
.LBB408_1334:
	v_lshlrev_b32_e32 v7, 24, v1
	v_and_b32_e32 v1, 0xffff, v1
	v_and_b32_e32 v8, 3, v1
	v_ffbh_u32_e32 v10, v8
	v_min_u32_e32 v10, 32, v10
	v_subrev_u32_e32 v11, 29, v10
	v_bfe_u32 v9, v1, 2, 5
	v_lshlrev_b32_e32 v1, v11, v1
	v_sub_u32_e32 v10, 30, v10
	v_and_b32_e32 v1, 3, v1
	v_cmp_eq_u32_e32 vcc, 0, v9
	v_and_b32_e32 v7, 0x80000000, v7
	s_nop 0
	v_cndmask_b32_e32 v9, v9, v10, vcc
	v_cndmask_b32_e32 v1, v8, v1, vcc
	v_mov_b32_e32 v8, 0x37800000
	v_lshlrev_b32_e32 v1, 21, v1
	v_lshl_add_u32 v8, v9, 23, v8
	v_or3_b32 v1, v7, v8, v1
	v_cvt_f16_f32_e32 v7, v1
.LBB408_1335:
	s_or_b64 exec, exec, s[16:17]
	s_mov_b64 s[2:3], 0
	s_branch .LBB408_1341
.LBB408_1336:
	s_mov_b64 s[2:3], -1
                                        ; implicit-def: $vgpr7
	s_branch .LBB408_1347
.LBB408_1337:
	s_or_saveexec_b64 s[18:19], s[18:19]
	v_mov_b32_e32 v7, 0x7e00
	s_xor_b64 exec, exec, s[18:19]
	s_cbranch_execz .LBB408_1320
.LBB408_1338:
	v_cmp_ne_u16_e32 vcc, 0, v1
	s_andn2_b64 s[16:17], s[16:17], exec
	s_and_b64 s[20:21], vcc, exec
	s_or_b64 s[16:17], s[16:17], s[20:21]
	v_mov_b32_e32 v7, v1
	s_or_b64 exec, exec, s[18:19]
	s_and_saveexec_b64 s[18:19], s[16:17]
	s_cbranch_execnz .LBB408_1321
	s_branch .LBB408_1322
.LBB408_1339:
	s_mov_b64 s[2:3], -1
                                        ; implicit-def: $vgpr7
	s_branch .LBB408_1344
.LBB408_1340:
	s_mov_b64 s[2:3], -1
                                        ; implicit-def: $vgpr7
.LBB408_1341:
	s_and_b64 vcc, exec, s[2:3]
	s_cbranch_vccz .LBB408_1343
; %bb.1342:
	global_load_ubyte v1, v[2:3], off
	s_mov_b32 s2, 0x7f800000
	s_waitcnt vmcnt(0)
	v_lshlrev_b32_e32 v1, 24, v1
	v_and_b32_e32 v7, 0x7f000000, v1
	v_ffbh_u32_e32 v8, v7
	v_min_u32_e32 v8, 32, v8
	v_sub_u32_e64 v8, v8, 4 clamp
	v_lshlrev_b32_e32 v10, v8, v7
	v_lshlrev_b32_e32 v8, 23, v8
	v_lshrrev_b32_e32 v10, 4, v10
	v_add_u32_e32 v9, 0x1000000, v7
	v_sub_u32_e32 v8, v10, v8
	v_ashrrev_i32_e32 v9, 8, v9
	v_add_u32_e32 v8, 0x3c000000, v8
	v_and_or_b32 v8, v9, s2, v8
	v_cmp_ne_u32_e32 vcc, 0, v7
	s_brev_b32 s2, 1
	s_nop 0
	v_cndmask_b32_e32 v7, 0, v8, vcc
	v_and_or_b32 v1, v1, s2, v7
	v_cvt_f16_f32_e32 v7, v1
.LBB408_1343:
	s_mov_b64 s[2:3], 0
.LBB408_1344:
	s_andn2_b64 vcc, exec, s[2:3]
	s_cbranch_vccnz .LBB408_1346
; %bb.1345:
	global_load_ubyte v1, v[2:3], off
	s_movk_i32 s2, 0x7f00
	s_brev_b32 s3, 16
	s_waitcnt vmcnt(0)
	v_lshlrev_b16_e32 v7, 8, v1
	v_lshlrev_b32_e32 v1, 25, v1
	v_lshrrev_b32_e32 v8, 4, v1
	v_and_or_b32 v9, v7, s2, 0.5
	v_or_b32_e32 v8, 0x70000000, v8
	v_add_f32_e32 v9, -0.5, v9
	v_mul_f32_e32 v8, 0x7800000, v8
	v_cmp_gt_u32_e32 vcc, s3, v1
	v_bfe_i32 v7, v7, 0, 16
	s_brev_b32 s2, 1
	v_cndmask_b32_e32 v1, v8, v9, vcc
	v_and_or_b32 v1, v7, s2, v1
	v_cvt_f16_f32_e32 v7, v1
.LBB408_1346:
	s_mov_b64 s[2:3], 0
	s_mov_b64 s[16:17], -1
.LBB408_1347:
	s_andn2_b64 vcc, exec, s[2:3]
	s_mov_b64 s[2:3], 0
	s_cbranch_vccnz .LBB408_1358
; %bb.1348:
	s_cmp_gt_i32 s22, 14
	s_cbranch_scc0 .LBB408_1351
; %bb.1349:
	s_cmp_eq_u32 s22, 15
	s_cbranch_scc0 .LBB408_1354
; %bb.1350:
	global_load_ushort v1, v[2:3], off
	s_mov_b64 s[0:1], 0
	s_mov_b64 s[16:17], -1
	s_waitcnt vmcnt(0)
	v_lshlrev_b32_e32 v1, 16, v1
	v_cvt_f16_f32_e32 v7, v1
	s_branch .LBB408_1355
.LBB408_1351:
	s_mov_b64 s[18:19], -1
                                        ; implicit-def: $vgpr7
	s_branch .LBB408_1356
.LBB408_1352:
	s_or_saveexec_b64 s[16:17], s[16:17]
	v_mov_b32_e32 v7, 0x7e00
	s_xor_b64 exec, exec, s[16:17]
	s_cbranch_execz .LBB408_1333
.LBB408_1353:
	v_cmp_ne_u16_e32 vcc, 0, v1
	s_andn2_b64 s[2:3], s[2:3], exec
	s_and_b64 s[18:19], vcc, exec
	s_or_b64 s[2:3], s[2:3], s[18:19]
	v_mov_b32_e32 v7, v1
	s_or_b64 exec, exec, s[16:17]
	s_and_saveexec_b64 s[16:17], s[2:3]
	s_cbranch_execnz .LBB408_1334
	s_branch .LBB408_1335
.LBB408_1354:
	s_mov_b64 s[0:1], -1
                                        ; implicit-def: $vgpr7
.LBB408_1355:
	s_mov_b64 s[18:19], 0
.LBB408_1356:
	s_and_b64 vcc, exec, s[18:19]
	s_cbranch_vccz .LBB408_1358
; %bb.1357:
	s_cmp_lg_u32 s22, 11
	s_mov_b64 s[2:3], -1
	s_cselect_b64 s[0:1], -1, 0
.LBB408_1358:
	s_and_b64 vcc, exec, s[0:1]
	s_cbranch_vccnz .LBB408_1421
; %bb.1359:
	s_andn2_b64 vcc, exec, s[2:3]
	s_cbranch_vccnz .LBB408_1361
.LBB408_1360:
	global_load_ubyte v1, v[2:3], off
	v_mov_b32_e32 v7, 0x3c00
	s_mov_b64 s[16:17], -1
	s_waitcnt vmcnt(0)
	v_cmp_ne_u16_e32 vcc, 0, v1
	s_nop 1
	v_cndmask_b32_e32 v7, 0, v7, vcc
.LBB408_1361:
	s_branch .LBB408_1289
.LBB408_1362:
	s_cmp_lt_i32 s22, 5
	s_cbranch_scc1 .LBB408_1367
; %bb.1363:
	s_cmp_lt_i32 s22, 8
	s_cbranch_scc1 .LBB408_1368
; %bb.1364:
	;; [unrolled: 3-line block ×3, first 2 shown]
	s_cmp_gt_i32 s22, 9
	s_cbranch_scc0 .LBB408_1370
; %bb.1366:
	global_load_dwordx2 v[8:9], v[2:3], off
	s_movk_i32 s0, 0x1ff
	s_movk_i32 s1, 0xffe
	v_mov_b32_e32 v1, 0x7c00
	v_mov_b32_e32 v7, 0x7e00
	s_movk_i32 s2, 0x40f
	s_mov_b32 s3, 0x8000
	s_waitcnt vmcnt(0)
	v_and_or_b32 v8, v9, s0, v8
	v_cmp_ne_u32_e32 vcc, 0, v8
	v_lshrrev_b32_e32 v10, 8, v9
	v_bfe_u32 v11, v9, 20, 11
	v_cndmask_b32_e64 v8, 0, 1, vcc
	v_sub_u32_e32 v12, 0x3f1, v11
	v_and_or_b32 v8, v10, s1, v8
	v_add_u32_e32 v11, 0xfffffc10, v11
	v_med3_i32 v10, v12, 0, 13
	v_or_b32_e32 v12, 0x1000, v8
	v_lshl_or_b32 v13, v11, 12, v8
	v_cmp_ne_u32_e32 vcc, 0, v8
	v_lshrrev_b32_e32 v8, v10, v12
	v_lshlrev_b32_e32 v10, v10, v8
	v_cndmask_b32_e32 v7, v1, v7, vcc
	v_cmp_ne_u32_e32 vcc, v10, v12
	v_lshrrev_b32_e32 v9, 16, v9
	s_mov_b64 s[0:1], 0
	v_cndmask_b32_e64 v10, 0, 1, vcc
	v_or_b32_e32 v8, v8, v10
	v_cmp_gt_i32_e32 vcc, 1, v11
	s_nop 1
	v_cndmask_b32_e32 v8, v13, v8, vcc
	v_and_b32_e32 v10, 7, v8
	v_cmp_lt_i32_e32 vcc, 5, v10
	v_lshrrev_b32_e32 v8, 2, v8
	s_nop 0
	v_cndmask_b32_e64 v12, 0, 1, vcc
	v_cmp_eq_u32_e32 vcc, 3, v10
	s_nop 1
	v_cndmask_b32_e64 v10, 0, 1, vcc
	v_or_b32_e32 v10, v10, v12
	v_add_u32_e32 v8, v8, v10
	v_cmp_gt_i32_e32 vcc, 31, v11
	s_nop 1
	v_cndmask_b32_e32 v1, v1, v8, vcc
	v_cmp_eq_u32_e32 vcc, s2, v11
	s_nop 1
	v_cndmask_b32_e32 v1, v1, v7, vcc
	v_and_or_b32 v7, v9, s3, v1
	s_branch .LBB408_1371
.LBB408_1367:
	s_mov_b64 s[0:1], -1
                                        ; implicit-def: $vgpr7
	s_branch .LBB408_1389
.LBB408_1368:
	s_mov_b64 s[0:1], -1
                                        ; implicit-def: $vgpr7
	s_branch .LBB408_1377
.LBB408_1369:
	s_mov_b64 s[0:1], -1
                                        ; implicit-def: $vgpr7
	s_branch .LBB408_1374
.LBB408_1370:
	s_mov_b64 s[0:1], -1
                                        ; implicit-def: $vgpr7
.LBB408_1371:
	s_andn2_b64 vcc, exec, s[0:1]
	s_cbranch_vccnz .LBB408_1373
; %bb.1372:
	global_load_dword v1, v[2:3], off
	s_waitcnt vmcnt(0)
	v_cvt_f16_f32_e32 v7, v1
.LBB408_1373:
	s_mov_b64 s[0:1], 0
.LBB408_1374:
	s_andn2_b64 vcc, exec, s[0:1]
	s_cbranch_vccnz .LBB408_1376
; %bb.1375:
	global_load_dword v7, v[2:3], off
.LBB408_1376:
	s_mov_b64 s[0:1], 0
.LBB408_1377:
	s_andn2_b64 vcc, exec, s[0:1]
	s_cbranch_vccnz .LBB408_1388
; %bb.1378:
	s_cmp_lt_i32 s22, 6
	s_cbranch_scc1 .LBB408_1381
; %bb.1379:
	s_cmp_gt_i32 s22, 6
	s_cbranch_scc0 .LBB408_1382
; %bb.1380:
	global_load_dwordx2 v[8:9], v[2:3], off
	s_movk_i32 s0, 0x1ff
	s_movk_i32 s1, 0xffe
	v_mov_b32_e32 v1, 0x7c00
	s_waitcnt vmcnt(1)
	v_mov_b32_e32 v7, 0x7e00
	s_movk_i32 s2, 0x40f
	s_mov_b32 s3, 0x8000
	s_waitcnt vmcnt(0)
	v_and_or_b32 v8, v9, s0, v8
	v_cmp_ne_u32_e32 vcc, 0, v8
	v_lshrrev_b32_e32 v10, 8, v9
	v_bfe_u32 v11, v9, 20, 11
	v_cndmask_b32_e64 v8, 0, 1, vcc
	v_sub_u32_e32 v12, 0x3f1, v11
	v_and_or_b32 v8, v10, s1, v8
	v_add_u32_e32 v11, 0xfffffc10, v11
	v_med3_i32 v10, v12, 0, 13
	v_or_b32_e32 v12, 0x1000, v8
	v_lshl_or_b32 v13, v11, 12, v8
	v_cmp_ne_u32_e32 vcc, 0, v8
	v_lshrrev_b32_e32 v8, v10, v12
	v_lshlrev_b32_e32 v10, v10, v8
	v_cndmask_b32_e32 v7, v1, v7, vcc
	v_cmp_ne_u32_e32 vcc, v10, v12
	v_lshrrev_b32_e32 v9, 16, v9
	s_mov_b64 s[0:1], 0
	v_cndmask_b32_e64 v10, 0, 1, vcc
	v_or_b32_e32 v8, v8, v10
	v_cmp_gt_i32_e32 vcc, 1, v11
	s_nop 1
	v_cndmask_b32_e32 v8, v13, v8, vcc
	v_and_b32_e32 v10, 7, v8
	v_cmp_lt_i32_e32 vcc, 5, v10
	v_lshrrev_b32_e32 v8, 2, v8
	s_nop 0
	v_cndmask_b32_e64 v12, 0, 1, vcc
	v_cmp_eq_u32_e32 vcc, 3, v10
	s_nop 1
	v_cndmask_b32_e64 v10, 0, 1, vcc
	v_or_b32_e32 v10, v10, v12
	v_add_u32_e32 v8, v8, v10
	v_cmp_gt_i32_e32 vcc, 31, v11
	s_nop 1
	v_cndmask_b32_e32 v1, v1, v8, vcc
	v_cmp_eq_u32_e32 vcc, s2, v11
	s_nop 1
	v_cndmask_b32_e32 v1, v1, v7, vcc
	v_and_or_b32 v7, v9, s3, v1
	s_branch .LBB408_1383
.LBB408_1381:
	s_mov_b64 s[0:1], -1
                                        ; implicit-def: $vgpr7
	s_branch .LBB408_1386
.LBB408_1382:
	s_mov_b64 s[0:1], -1
                                        ; implicit-def: $vgpr7
.LBB408_1383:
	s_andn2_b64 vcc, exec, s[0:1]
	s_cbranch_vccnz .LBB408_1385
; %bb.1384:
	global_load_dword v1, v[2:3], off
	s_waitcnt vmcnt(0)
	v_cvt_f16_f32_e32 v7, v1
.LBB408_1385:
	s_mov_b64 s[0:1], 0
.LBB408_1386:
	s_andn2_b64 vcc, exec, s[0:1]
	s_cbranch_vccnz .LBB408_1388
; %bb.1387:
	global_load_ushort v7, v[2:3], off
.LBB408_1388:
	s_mov_b64 s[0:1], 0
.LBB408_1389:
	s_andn2_b64 vcc, exec, s[0:1]
	s_cbranch_vccnz .LBB408_1409
; %bb.1390:
	s_cmp_lt_i32 s22, 2
	s_cbranch_scc1 .LBB408_1394
; %bb.1391:
	s_cmp_lt_i32 s22, 3
	s_cbranch_scc1 .LBB408_1395
; %bb.1392:
	s_cmp_gt_i32 s22, 3
	s_cbranch_scc0 .LBB408_1396
; %bb.1393:
	global_load_dwordx2 v[8:9], v[2:3], off
	s_mov_b64 s[0:1], 0
	s_waitcnt vmcnt(0)
	v_xor_b32_e32 v7, v8, v9
	v_ffbh_i32_e32 v1, v9
	v_ashrrev_i32_e32 v7, 31, v7
	v_add_u32_e32 v1, -1, v1
	v_add_u32_e32 v7, 32, v7
	v_min_u32_e32 v1, v1, v7
	v_lshlrev_b64 v[8:9], v1, v[8:9]
	v_min_u32_e32 v7, 1, v8
	v_or_b32_e32 v7, v9, v7
	v_cvt_f32_i32_e32 v7, v7
	v_sub_u32_e32 v1, 32, v1
	v_ldexp_f32 v1, v7, v1
	v_cvt_f16_f32_e32 v7, v1
	s_branch .LBB408_1397
.LBB408_1394:
	s_mov_b64 s[0:1], -1
                                        ; implicit-def: $vgpr7
	s_branch .LBB408_1403
.LBB408_1395:
	s_mov_b64 s[0:1], -1
                                        ; implicit-def: $vgpr7
	s_branch .LBB408_1400
.LBB408_1396:
	s_mov_b64 s[0:1], -1
                                        ; implicit-def: $vgpr7
.LBB408_1397:
	s_andn2_b64 vcc, exec, s[0:1]
	s_cbranch_vccnz .LBB408_1399
; %bb.1398:
	global_load_dword v1, v[2:3], off
	s_waitcnt vmcnt(0)
	v_cvt_f32_i32_e32 v1, v1
	v_cvt_f16_f32_e32 v7, v1
.LBB408_1399:
	s_mov_b64 s[0:1], 0
.LBB408_1400:
	s_andn2_b64 vcc, exec, s[0:1]
	s_cbranch_vccnz .LBB408_1402
; %bb.1401:
	global_load_ushort v1, v[2:3], off
	s_waitcnt vmcnt(0)
	v_cvt_f16_i16_e32 v7, v1
.LBB408_1402:
	s_mov_b64 s[0:1], 0
.LBB408_1403:
	s_andn2_b64 vcc, exec, s[0:1]
	s_cbranch_vccnz .LBB408_1409
; %bb.1404:
	s_cmp_gt_i32 s22, 0
	s_cbranch_scc0 .LBB408_1406
; %bb.1405:
	global_load_sbyte v1, v[2:3], off
	s_mov_b64 s[0:1], 0
	s_waitcnt vmcnt(0)
	v_cvt_f16_i16_e32 v7, v1
	s_branch .LBB408_1407
.LBB408_1406:
	s_mov_b64 s[0:1], -1
                                        ; implicit-def: $vgpr7
.LBB408_1407:
	s_andn2_b64 vcc, exec, s[0:1]
	s_cbranch_vccnz .LBB408_1409
; %bb.1408:
	global_load_ubyte v1, v[2:3], off
	s_waitcnt vmcnt(0)
	v_cvt_f16_u16_e32 v7, v1
.LBB408_1409:
.LBB408_1410:
	v_add_u32_e32 v0, s9, v0
	v_ashrrev_i32_e32 v1, 31, v0
	s_cmp_lt_i32 s22, 11
	v_lshl_add_u64 v[0:1], s[6:7], 0, v[0:1]
	s_cbranch_scc1 .LBB408_1417
; %bb.1411:
	s_cmp_gt_i32 s22, 25
	s_mov_b64 s[2:3], 0
	s_cbranch_scc0 .LBB408_1418
; %bb.1412:
	s_cmp_gt_i32 s22, 28
	s_cbranch_scc0 .LBB408_1419
; %bb.1413:
	s_cmp_gt_i32 s22, 43
	;; [unrolled: 3-line block ×3, first 2 shown]
	s_cbranch_scc0 .LBB408_1422
; %bb.1415:
	s_cmp_eq_u32 s22, 46
	s_mov_b64 s[16:17], 0
	s_cbranch_scc0 .LBB408_1423
; %bb.1416:
	global_load_dword v2, v[0:1], off
	s_mov_b64 s[0:1], 0
	s_mov_b64 s[6:7], -1
	s_waitcnt vmcnt(0)
	v_lshlrev_b32_e32 v2, 16, v2
	v_cvt_f16_f32_e32 v8, v2
	s_branch .LBB408_1424
.LBB408_1417:
	s_mov_b64 s[0:1], -1
	s_mov_b64 s[6:7], 0
                                        ; implicit-def: $vgpr8
	s_branch .LBB408_1490
.LBB408_1418:
	s_mov_b64 s[16:17], -1
	s_mov_b64 s[6:7], 0
	s_mov_b64 s[0:1], 0
                                        ; implicit-def: $vgpr8
	s_branch .LBB408_1453
.LBB408_1419:
	s_mov_b64 s[16:17], -1
	s_mov_b64 s[6:7], 0
	s_mov_b64 s[0:1], 0
                                        ; implicit-def: $vgpr8
	s_branch .LBB408_1434
.LBB408_1420:
	s_mov_b64 s[16:17], -1
	s_mov_b64 s[6:7], 0
	s_mov_b64 s[0:1], 0
                                        ; implicit-def: $vgpr8
	s_branch .LBB408_1429
.LBB408_1421:
	s_trap 2
	s_or_b64 s[14:15], s[14:15], exec
	s_cbranch_execz .LBB408_1360
	s_branch .LBB408_1361
.LBB408_1422:
	s_mov_b64 s[16:17], -1
	s_mov_b64 s[6:7], 0
	s_mov_b64 s[0:1], 0
                                        ; implicit-def: $vgpr8
	s_branch .LBB408_1424
.LBB408_1423:
	s_mov_b64 s[0:1], -1
                                        ; implicit-def: $vgpr8
	s_mov_b64 s[6:7], 0
.LBB408_1424:
	s_and_b64 vcc, exec, s[16:17]
	s_cbranch_vccz .LBB408_1428
; %bb.1425:
	s_cmp_eq_u32 s22, 44
	s_cbranch_scc0 .LBB408_1427
; %bb.1426:
	global_load_ubyte v2, v[0:1], off
	s_movk_i32 s6, 0xff
	v_mov_b32_e32 v8, 0x7e00
	s_mov_b64 s[0:1], 0
	s_waitcnt vmcnt(0)
	v_lshlrev_b32_e32 v3, 23, v2
	v_cvt_f16_f32_e32 v3, v3
	v_cmp_ne_u32_e32 vcc, s6, v2
	s_mov_b64 s[6:7], -1
	s_nop 0
	v_cndmask_b32_e32 v3, v8, v3, vcc
	v_cmp_ne_u32_e32 vcc, 0, v2
	s_nop 1
	v_cndmask_b32_e32 v8, 0, v3, vcc
	s_branch .LBB408_1428
.LBB408_1427:
	s_mov_b64 s[0:1], -1
                                        ; implicit-def: $vgpr8
.LBB408_1428:
	s_mov_b64 s[16:17], 0
.LBB408_1429:
	s_and_b64 vcc, exec, s[16:17]
	s_cbranch_vccz .LBB408_1433
; %bb.1430:
	s_cmp_eq_u32 s22, 29
	s_cbranch_scc0 .LBB408_1432
; %bb.1431:
	global_load_dwordx2 v[2:3], v[0:1], off
	s_mov_b64 s[0:1], 0
	s_mov_b64 s[6:7], -1
	s_mov_b64 s[16:17], 0
	s_waitcnt vmcnt(0)
	v_ffbh_u32_e32 v8, v3
	v_min_u32_e32 v8, 32, v8
	v_lshlrev_b64 v[2:3], v8, v[2:3]
	v_min_u32_e32 v2, 1, v2
	v_or_b32_e32 v2, v3, v2
	v_cvt_f32_u32_e32 v2, v2
	v_sub_u32_e32 v3, 32, v8
	v_ldexp_f32 v2, v2, v3
	v_cvt_f16_f32_e32 v8, v2
	s_branch .LBB408_1434
.LBB408_1432:
	s_mov_b64 s[0:1], -1
                                        ; implicit-def: $vgpr8
.LBB408_1433:
	s_mov_b64 s[16:17], 0
.LBB408_1434:
	s_and_b64 vcc, exec, s[16:17]
	s_cbranch_vccz .LBB408_1452
; %bb.1435:
	s_cmp_lt_i32 s22, 27
	s_cbranch_scc1 .LBB408_1438
; %bb.1436:
	s_cmp_gt_i32 s22, 27
	s_cbranch_scc0 .LBB408_1439
; %bb.1437:
	global_load_dword v2, v[0:1], off
	s_mov_b64 s[6:7], 0
	s_waitcnt vmcnt(0)
	v_cvt_f32_u32_e32 v2, v2
	v_cvt_f16_f32_e32 v8, v2
	s_branch .LBB408_1440
.LBB408_1438:
	s_mov_b64 s[6:7], -1
                                        ; implicit-def: $vgpr8
	s_branch .LBB408_1443
.LBB408_1439:
	s_mov_b64 s[6:7], -1
                                        ; implicit-def: $vgpr8
.LBB408_1440:
	s_andn2_b64 vcc, exec, s[6:7]
	s_cbranch_vccnz .LBB408_1442
; %bb.1441:
	global_load_ushort v2, v[0:1], off
	s_waitcnt vmcnt(0)
	v_cvt_f16_u16_e32 v8, v2
.LBB408_1442:
	s_mov_b64 s[6:7], 0
.LBB408_1443:
	s_andn2_b64 vcc, exec, s[6:7]
	s_cbranch_vccnz .LBB408_1451
; %bb.1444:
	global_load_ubyte v2, v[0:1], off
	s_movk_i32 s6, 0x7f
	s_waitcnt vmcnt(0)
	v_cmp_lt_i16_e32 vcc, s6, v2
	s_mov_b64 s[6:7], 0
	s_and_saveexec_b64 s[16:17], vcc
	s_xor_b64 s[16:17], exec, s[16:17]
	s_cbranch_execz .LBB408_1465
; %bb.1445:
	s_movk_i32 s6, 0x80
	v_cmp_eq_u16_e32 vcc, s6, v2
	s_mov_b64 s[6:7], -1
	s_and_saveexec_b64 s[18:19], vcc
; %bb.1446:
	s_xor_b64 s[6:7], exec, -1
; %bb.1447:
	s_or_b64 exec, exec, s[18:19]
	s_and_b64 s[6:7], s[6:7], exec
	s_or_saveexec_b64 s[16:17], s[16:17]
	v_mov_b32_e32 v8, 0x7e00
	s_xor_b64 exec, exec, s[16:17]
	s_cbranch_execnz .LBB408_1466
.LBB408_1448:
	s_or_b64 exec, exec, s[16:17]
	s_and_saveexec_b64 s[16:17], s[6:7]
	s_cbranch_execz .LBB408_1450
.LBB408_1449:
	v_lshlrev_b32_e32 v3, 24, v2
	v_and_b32_e32 v2, 0xffff, v2
	v_and_b32_e32 v8, 7, v2
	v_ffbh_u32_e32 v10, v8
	v_min_u32_e32 v10, 32, v10
	v_subrev_u32_e32 v11, 28, v10
	v_bfe_u32 v9, v2, 3, 4
	v_lshlrev_b32_e32 v2, v11, v2
	v_sub_u32_e32 v10, 29, v10
	v_and_b32_e32 v2, 7, v2
	v_cmp_eq_u32_e32 vcc, 0, v9
	v_and_b32_e32 v3, 0x80000000, v3
	s_nop 0
	v_cndmask_b32_e32 v9, v9, v10, vcc
	v_cndmask_b32_e32 v2, v8, v2, vcc
	v_mov_b32_e32 v8, 0x3b800000
	v_lshlrev_b32_e32 v2, 20, v2
	v_lshl_add_u32 v8, v9, 23, v8
	v_or3_b32 v2, v3, v8, v2
	v_cvt_f16_f32_e32 v8, v2
.LBB408_1450:
	s_or_b64 exec, exec, s[16:17]
.LBB408_1451:
	s_mov_b64 s[6:7], -1
.LBB408_1452:
	s_mov_b64 s[16:17], 0
.LBB408_1453:
	s_and_b64 vcc, exec, s[16:17]
	s_cbranch_vccz .LBB408_1486
; %bb.1454:
	s_cmp_gt_i32 s22, 22
	s_cbranch_scc0 .LBB408_1464
; %bb.1455:
	s_cmp_lt_i32 s22, 24
	s_cbranch_scc1 .LBB408_1467
; %bb.1456:
	s_cmp_gt_i32 s22, 24
	s_cbranch_scc0 .LBB408_1468
; %bb.1457:
	global_load_ubyte v2, v[0:1], off
	s_movk_i32 s2, 0x7f
	s_waitcnt vmcnt(0)
	v_cmp_lt_i16_e32 vcc, s2, v2
	s_mov_b64 s[2:3], 0
	s_and_saveexec_b64 s[6:7], vcc
	s_xor_b64 s[6:7], exec, s[6:7]
	s_cbranch_execz .LBB408_1480
; %bb.1458:
	s_movk_i32 s2, 0x80
	v_cmp_eq_u16_e32 vcc, s2, v2
	s_mov_b64 s[2:3], -1
	s_and_saveexec_b64 s[16:17], vcc
; %bb.1459:
	s_xor_b64 s[2:3], exec, -1
; %bb.1460:
	s_or_b64 exec, exec, s[16:17]
	s_and_b64 s[2:3], s[2:3], exec
	s_or_saveexec_b64 s[6:7], s[6:7]
	v_mov_b32_e32 v8, 0x7e00
	s_xor_b64 exec, exec, s[6:7]
	s_cbranch_execnz .LBB408_1481
.LBB408_1461:
	s_or_b64 exec, exec, s[6:7]
	s_and_saveexec_b64 s[6:7], s[2:3]
	s_cbranch_execz .LBB408_1463
.LBB408_1462:
	v_lshlrev_b32_e32 v3, 24, v2
	v_and_b32_e32 v2, 0xffff, v2
	v_and_b32_e32 v8, 3, v2
	v_ffbh_u32_e32 v10, v8
	v_min_u32_e32 v10, 32, v10
	v_subrev_u32_e32 v11, 29, v10
	v_bfe_u32 v9, v2, 2, 5
	v_lshlrev_b32_e32 v2, v11, v2
	v_sub_u32_e32 v10, 30, v10
	v_and_b32_e32 v2, 3, v2
	v_cmp_eq_u32_e32 vcc, 0, v9
	v_and_b32_e32 v3, 0x80000000, v3
	s_nop 0
	v_cndmask_b32_e32 v9, v9, v10, vcc
	v_cndmask_b32_e32 v2, v8, v2, vcc
	v_mov_b32_e32 v8, 0x37800000
	v_lshlrev_b32_e32 v2, 21, v2
	v_lshl_add_u32 v8, v9, 23, v8
	v_or3_b32 v2, v3, v8, v2
	v_cvt_f16_f32_e32 v8, v2
.LBB408_1463:
	s_or_b64 exec, exec, s[6:7]
	s_mov_b64 s[2:3], 0
	s_branch .LBB408_1469
.LBB408_1464:
	s_mov_b64 s[2:3], -1
                                        ; implicit-def: $vgpr8
	s_branch .LBB408_1475
.LBB408_1465:
	s_or_saveexec_b64 s[16:17], s[16:17]
	v_mov_b32_e32 v8, 0x7e00
	s_xor_b64 exec, exec, s[16:17]
	s_cbranch_execz .LBB408_1448
.LBB408_1466:
	v_cmp_ne_u16_e32 vcc, 0, v2
	s_andn2_b64 s[6:7], s[6:7], exec
	s_and_b64 s[18:19], vcc, exec
	s_or_b64 s[6:7], s[6:7], s[18:19]
	v_mov_b32_e32 v8, v2
	s_or_b64 exec, exec, s[16:17]
	s_and_saveexec_b64 s[16:17], s[6:7]
	s_cbranch_execnz .LBB408_1449
	s_branch .LBB408_1450
.LBB408_1467:
	s_mov_b64 s[2:3], -1
                                        ; implicit-def: $vgpr8
	s_branch .LBB408_1472
.LBB408_1468:
	s_mov_b64 s[2:3], -1
                                        ; implicit-def: $vgpr8
.LBB408_1469:
	s_and_b64 vcc, exec, s[2:3]
	s_cbranch_vccz .LBB408_1471
; %bb.1470:
	global_load_ubyte v2, v[0:1], off
	s_mov_b32 s2, 0x7f800000
	s_waitcnt vmcnt(0)
	v_lshlrev_b32_e32 v2, 24, v2
	v_and_b32_e32 v3, 0x7f000000, v2
	v_ffbh_u32_e32 v8, v3
	v_min_u32_e32 v8, 32, v8
	v_sub_u32_e64 v8, v8, 4 clamp
	v_lshlrev_b32_e32 v10, v8, v3
	v_lshlrev_b32_e32 v8, 23, v8
	v_lshrrev_b32_e32 v10, 4, v10
	v_add_u32_e32 v9, 0x1000000, v3
	v_sub_u32_e32 v8, v10, v8
	v_ashrrev_i32_e32 v9, 8, v9
	v_add_u32_e32 v8, 0x3c000000, v8
	v_and_or_b32 v8, v9, s2, v8
	v_cmp_ne_u32_e32 vcc, 0, v3
	s_brev_b32 s2, 1
	s_nop 0
	v_cndmask_b32_e32 v3, 0, v8, vcc
	v_and_or_b32 v2, v2, s2, v3
	v_cvt_f16_f32_e32 v8, v2
.LBB408_1471:
	s_mov_b64 s[2:3], 0
.LBB408_1472:
	s_andn2_b64 vcc, exec, s[2:3]
	s_cbranch_vccnz .LBB408_1474
; %bb.1473:
	global_load_ubyte v2, v[0:1], off
	s_movk_i32 s2, 0x7f00
	s_brev_b32 s3, 16
	s_waitcnt vmcnt(0)
	v_lshlrev_b16_e32 v3, 8, v2
	v_lshlrev_b32_e32 v2, 25, v2
	v_lshrrev_b32_e32 v8, 4, v2
	v_and_or_b32 v9, v3, s2, 0.5
	v_or_b32_e32 v8, 0x70000000, v8
	v_add_f32_e32 v9, -0.5, v9
	v_mul_f32_e32 v8, 0x7800000, v8
	v_cmp_gt_u32_e32 vcc, s3, v2
	v_bfe_i32 v3, v3, 0, 16
	s_brev_b32 s2, 1
	v_cndmask_b32_e32 v2, v8, v9, vcc
	v_and_or_b32 v2, v3, s2, v2
	v_cvt_f16_f32_e32 v8, v2
.LBB408_1474:
	s_mov_b64 s[2:3], 0
	s_mov_b64 s[6:7], -1
.LBB408_1475:
	s_andn2_b64 vcc, exec, s[2:3]
	s_mov_b64 s[2:3], 0
	s_cbranch_vccnz .LBB408_1486
; %bb.1476:
	s_cmp_gt_i32 s22, 14
	s_cbranch_scc0 .LBB408_1479
; %bb.1477:
	s_cmp_eq_u32 s22, 15
	s_cbranch_scc0 .LBB408_1482
; %bb.1478:
	global_load_ushort v2, v[0:1], off
	s_mov_b64 s[0:1], 0
	s_mov_b64 s[6:7], -1
	s_waitcnt vmcnt(0)
	v_lshlrev_b32_e32 v2, 16, v2
	v_cvt_f16_f32_e32 v8, v2
	s_branch .LBB408_1483
.LBB408_1479:
	s_mov_b64 s[16:17], -1
                                        ; implicit-def: $vgpr8
	s_branch .LBB408_1484
.LBB408_1480:
	s_or_saveexec_b64 s[6:7], s[6:7]
	v_mov_b32_e32 v8, 0x7e00
	s_xor_b64 exec, exec, s[6:7]
	s_cbranch_execz .LBB408_1461
.LBB408_1481:
	v_cmp_ne_u16_e32 vcc, 0, v2
	s_andn2_b64 s[2:3], s[2:3], exec
	s_and_b64 s[16:17], vcc, exec
	s_or_b64 s[2:3], s[2:3], s[16:17]
	v_mov_b32_e32 v8, v2
	s_or_b64 exec, exec, s[6:7]
	s_and_saveexec_b64 s[6:7], s[2:3]
	s_cbranch_execnz .LBB408_1462
	s_branch .LBB408_1463
.LBB408_1482:
	s_mov_b64 s[0:1], -1
                                        ; implicit-def: $vgpr8
.LBB408_1483:
	s_mov_b64 s[16:17], 0
.LBB408_1484:
	s_and_b64 vcc, exec, s[16:17]
	s_cbranch_vccz .LBB408_1486
; %bb.1485:
	s_cmp_lg_u32 s22, 11
	s_mov_b64 s[2:3], -1
	s_cselect_b64 s[0:1], -1, 0
.LBB408_1486:
	s_and_b64 vcc, exec, s[0:1]
	s_cbranch_vccnz .LBB408_2019
; %bb.1487:
	s_andn2_b64 vcc, exec, s[2:3]
	s_cbranch_vccnz .LBB408_1489
.LBB408_1488:
	global_load_ubyte v2, v[0:1], off
	v_mov_b32_e32 v3, 0x3c00
	s_mov_b64 s[6:7], -1
	s_waitcnt vmcnt(0)
	v_cmp_ne_u16_e32 vcc, 0, v2
	s_nop 1
	v_cndmask_b32_e32 v8, 0, v3, vcc
.LBB408_1489:
	s_mov_b64 s[0:1], 0
.LBB408_1490:
	s_and_b64 vcc, exec, s[0:1]
	s_cbranch_vccz .LBB408_1539
; %bb.1491:
	s_cmp_lt_i32 s22, 5
	s_cbranch_scc1 .LBB408_1496
; %bb.1492:
	s_cmp_lt_i32 s22, 8
	s_cbranch_scc1 .LBB408_1497
	;; [unrolled: 3-line block ×3, first 2 shown]
; %bb.1494:
	s_cmp_gt_i32 s22, 9
	s_cbranch_scc0 .LBB408_1499
; %bb.1495:
	global_load_dwordx2 v[2:3], v[0:1], off
	s_movk_i32 s0, 0x1ff
	s_movk_i32 s1, 0xffe
	v_mov_b32_e32 v8, 0x7c00
	v_mov_b32_e32 v9, 0x7e00
	s_movk_i32 s2, 0x40f
	s_mov_b32 s3, 0x8000
	s_waitcnt vmcnt(0)
	v_and_or_b32 v2, v3, s0, v2
	v_cmp_ne_u32_e32 vcc, 0, v2
	v_lshrrev_b32_e32 v10, 8, v3
	v_bfe_u32 v11, v3, 20, 11
	v_cndmask_b32_e64 v2, 0, 1, vcc
	v_sub_u32_e32 v12, 0x3f1, v11
	v_and_or_b32 v2, v10, s1, v2
	v_add_u32_e32 v11, 0xfffffc10, v11
	v_med3_i32 v10, v12, 0, 13
	v_or_b32_e32 v12, 0x1000, v2
	v_cmp_ne_u32_e32 vcc, 0, v2
	v_lshl_or_b32 v13, v11, 12, v2
	v_lshrrev_b32_e32 v3, 16, v3
	v_cndmask_b32_e32 v2, v8, v9, vcc
	v_lshrrev_b32_e32 v9, v10, v12
	v_lshlrev_b32_e32 v10, v10, v9
	v_cmp_ne_u32_e32 vcc, v10, v12
	s_mov_b64 s[0:1], 0
	s_nop 0
	v_cndmask_b32_e64 v10, 0, 1, vcc
	v_or_b32_e32 v9, v9, v10
	v_cmp_gt_i32_e32 vcc, 1, v11
	s_nop 1
	v_cndmask_b32_e32 v9, v13, v9, vcc
	v_and_b32_e32 v10, 7, v9
	v_cmp_lt_i32_e32 vcc, 5, v10
	v_lshrrev_b32_e32 v9, 2, v9
	s_nop 0
	v_cndmask_b32_e64 v12, 0, 1, vcc
	v_cmp_eq_u32_e32 vcc, 3, v10
	s_nop 1
	v_cndmask_b32_e64 v10, 0, 1, vcc
	v_or_b32_e32 v10, v10, v12
	v_add_u32_e32 v9, v9, v10
	v_cmp_gt_i32_e32 vcc, 31, v11
	s_nop 1
	v_cndmask_b32_e32 v8, v8, v9, vcc
	v_cmp_eq_u32_e32 vcc, s2, v11
	s_nop 1
	v_cndmask_b32_e32 v2, v8, v2, vcc
	v_and_or_b32 v8, v3, s3, v2
	s_branch .LBB408_1500
.LBB408_1496:
	s_mov_b64 s[0:1], -1
                                        ; implicit-def: $vgpr8
	s_branch .LBB408_1518
.LBB408_1497:
	s_mov_b64 s[0:1], -1
                                        ; implicit-def: $vgpr8
	s_branch .LBB408_1506
.LBB408_1498:
	s_mov_b64 s[0:1], -1
                                        ; implicit-def: $vgpr8
	s_branch .LBB408_1503
.LBB408_1499:
	s_mov_b64 s[0:1], -1
                                        ; implicit-def: $vgpr8
.LBB408_1500:
	s_andn2_b64 vcc, exec, s[0:1]
	s_cbranch_vccnz .LBB408_1502
; %bb.1501:
	global_load_dword v2, v[0:1], off
	s_waitcnt vmcnt(0)
	v_cvt_f16_f32_e32 v8, v2
.LBB408_1502:
	s_mov_b64 s[0:1], 0
.LBB408_1503:
	s_andn2_b64 vcc, exec, s[0:1]
	s_cbranch_vccnz .LBB408_1505
; %bb.1504:
	global_load_dword v8, v[0:1], off
.LBB408_1505:
	s_mov_b64 s[0:1], 0
.LBB408_1506:
	s_andn2_b64 vcc, exec, s[0:1]
	s_cbranch_vccnz .LBB408_1517
; %bb.1507:
	s_cmp_lt_i32 s22, 6
	s_cbranch_scc1 .LBB408_1510
; %bb.1508:
	s_cmp_gt_i32 s22, 6
	s_cbranch_scc0 .LBB408_1511
; %bb.1509:
	global_load_dwordx2 v[2:3], v[0:1], off
	s_movk_i32 s0, 0x1ff
	s_movk_i32 s1, 0xffe
	s_waitcnt vmcnt(1)
	v_mov_b32_e32 v8, 0x7c00
	v_mov_b32_e32 v9, 0x7e00
	s_movk_i32 s2, 0x40f
	s_mov_b32 s3, 0x8000
	s_waitcnt vmcnt(0)
	v_and_or_b32 v2, v3, s0, v2
	v_cmp_ne_u32_e32 vcc, 0, v2
	v_lshrrev_b32_e32 v10, 8, v3
	v_bfe_u32 v11, v3, 20, 11
	v_cndmask_b32_e64 v2, 0, 1, vcc
	v_sub_u32_e32 v12, 0x3f1, v11
	v_and_or_b32 v2, v10, s1, v2
	v_add_u32_e32 v11, 0xfffffc10, v11
	v_med3_i32 v10, v12, 0, 13
	v_or_b32_e32 v12, 0x1000, v2
	v_cmp_ne_u32_e32 vcc, 0, v2
	v_lshl_or_b32 v13, v11, 12, v2
	v_lshrrev_b32_e32 v3, 16, v3
	v_cndmask_b32_e32 v2, v8, v9, vcc
	v_lshrrev_b32_e32 v9, v10, v12
	v_lshlrev_b32_e32 v10, v10, v9
	v_cmp_ne_u32_e32 vcc, v10, v12
	s_mov_b64 s[0:1], 0
	s_nop 0
	v_cndmask_b32_e64 v10, 0, 1, vcc
	v_or_b32_e32 v9, v9, v10
	v_cmp_gt_i32_e32 vcc, 1, v11
	s_nop 1
	v_cndmask_b32_e32 v9, v13, v9, vcc
	v_and_b32_e32 v10, 7, v9
	v_cmp_lt_i32_e32 vcc, 5, v10
	v_lshrrev_b32_e32 v9, 2, v9
	s_nop 0
	v_cndmask_b32_e64 v12, 0, 1, vcc
	v_cmp_eq_u32_e32 vcc, 3, v10
	s_nop 1
	v_cndmask_b32_e64 v10, 0, 1, vcc
	v_or_b32_e32 v10, v10, v12
	v_add_u32_e32 v9, v9, v10
	v_cmp_gt_i32_e32 vcc, 31, v11
	s_nop 1
	v_cndmask_b32_e32 v8, v8, v9, vcc
	v_cmp_eq_u32_e32 vcc, s2, v11
	s_nop 1
	v_cndmask_b32_e32 v2, v8, v2, vcc
	v_and_or_b32 v8, v3, s3, v2
	s_branch .LBB408_1512
.LBB408_1510:
	s_mov_b64 s[0:1], -1
                                        ; implicit-def: $vgpr8
	s_branch .LBB408_1515
.LBB408_1511:
	s_mov_b64 s[0:1], -1
                                        ; implicit-def: $vgpr8
.LBB408_1512:
	s_andn2_b64 vcc, exec, s[0:1]
	s_cbranch_vccnz .LBB408_1514
; %bb.1513:
	global_load_dword v2, v[0:1], off
	s_waitcnt vmcnt(0)
	v_cvt_f16_f32_e32 v8, v2
.LBB408_1514:
	s_mov_b64 s[0:1], 0
.LBB408_1515:
	s_andn2_b64 vcc, exec, s[0:1]
	s_cbranch_vccnz .LBB408_1517
; %bb.1516:
	global_load_ushort v8, v[0:1], off
.LBB408_1517:
	s_mov_b64 s[0:1], 0
.LBB408_1518:
	s_andn2_b64 vcc, exec, s[0:1]
	s_cbranch_vccnz .LBB408_1538
; %bb.1519:
	s_cmp_lt_i32 s22, 2
	s_cbranch_scc1 .LBB408_1523
; %bb.1520:
	s_cmp_lt_i32 s22, 3
	s_cbranch_scc1 .LBB408_1524
; %bb.1521:
	s_cmp_gt_i32 s22, 3
	s_cbranch_scc0 .LBB408_1525
; %bb.1522:
	global_load_dwordx2 v[2:3], v[0:1], off
	s_mov_b64 s[0:1], 0
	s_waitcnt vmcnt(0)
	v_xor_b32_e32 v9, v2, v3
	v_ffbh_i32_e32 v8, v3
	v_ashrrev_i32_e32 v9, 31, v9
	v_add_u32_e32 v8, -1, v8
	v_add_u32_e32 v9, 32, v9
	v_min_u32_e32 v8, v8, v9
	v_lshlrev_b64 v[2:3], v8, v[2:3]
	v_min_u32_e32 v2, 1, v2
	v_or_b32_e32 v2, v3, v2
	v_cvt_f32_i32_e32 v2, v2
	v_sub_u32_e32 v3, 32, v8
	v_ldexp_f32 v2, v2, v3
	v_cvt_f16_f32_e32 v8, v2
	s_branch .LBB408_1526
.LBB408_1523:
	s_mov_b64 s[0:1], -1
                                        ; implicit-def: $vgpr8
	s_branch .LBB408_1532
.LBB408_1524:
	s_mov_b64 s[0:1], -1
                                        ; implicit-def: $vgpr8
	s_branch .LBB408_1529
.LBB408_1525:
	s_mov_b64 s[0:1], -1
                                        ; implicit-def: $vgpr8
.LBB408_1526:
	s_andn2_b64 vcc, exec, s[0:1]
	s_cbranch_vccnz .LBB408_1528
; %bb.1527:
	global_load_dword v2, v[0:1], off
	s_waitcnt vmcnt(0)
	v_cvt_f32_i32_e32 v2, v2
	v_cvt_f16_f32_e32 v8, v2
.LBB408_1528:
	s_mov_b64 s[0:1], 0
.LBB408_1529:
	s_andn2_b64 vcc, exec, s[0:1]
	s_cbranch_vccnz .LBB408_1531
; %bb.1530:
	global_load_ushort v2, v[0:1], off
	s_waitcnt vmcnt(0)
	v_cvt_f16_i16_e32 v8, v2
.LBB408_1531:
	s_mov_b64 s[0:1], 0
.LBB408_1532:
	s_andn2_b64 vcc, exec, s[0:1]
	s_cbranch_vccnz .LBB408_1538
; %bb.1533:
	s_cmp_gt_i32 s22, 0
	s_cbranch_scc0 .LBB408_1535
; %bb.1534:
	global_load_sbyte v2, v[0:1], off
	s_mov_b64 s[0:1], 0
	s_waitcnt vmcnt(0)
	v_cvt_f16_i16_e32 v8, v2
	s_branch .LBB408_1536
.LBB408_1535:
	s_mov_b64 s[0:1], -1
                                        ; implicit-def: $vgpr8
.LBB408_1536:
	s_andn2_b64 vcc, exec, s[0:1]
	s_cbranch_vccnz .LBB408_1538
; %bb.1537:
	global_load_ubyte v0, v[0:1], off
	s_waitcnt vmcnt(0)
	v_cvt_f16_u16_e32 v8, v0
.LBB408_1538:
	s_mov_b64 s[6:7], -1
.LBB408_1539:
	s_andn2_b64 vcc, exec, s[6:7]
	s_cbranch_vccnz .LBB408_1973
; %bb.1540:
	s_waitcnt vmcnt(0)
	v_cmp_u_f16_e32 vcc, v5, v5
	v_cmp_lt_f16_e64 s[0:1], s33, v5
	v_mov_b32_e32 v0, s33
	s_or_b64 vcc, vcc, s[0:1]
	v_cndmask_b32_e32 v5, v0, v5, vcc
	v_mul_lo_u32 v0, s8, v4
	v_ashrrev_i32_e32 v1, 31, v0
	s_and_b32 s20, s42, 0xff
	s_cmp_lt_i32 s20, 11
	v_lshl_add_u64 v[2:3], s[4:5], 0, v[0:1]
	s_cbranch_scc1 .LBB408_1618
; %bb.1541:
	s_and_b32 s9, 0xffff, s20
	s_mov_b64 s[16:17], -1
	s_mov_b64 s[2:3], 0
	s_cmp_gt_i32 s9, 25
	s_mov_b64 s[6:7], 0
	s_mov_b64 s[0:1], 0
	s_cbranch_scc0 .LBB408_1574
; %bb.1542:
	s_cmp_gt_i32 s9, 28
	s_cbranch_scc0 .LBB408_1557
; %bb.1543:
	s_cmp_gt_i32 s9, 43
	;; [unrolled: 3-line block ×3, first 2 shown]
	s_cbranch_scc0 .LBB408_1547
; %bb.1545:
	s_mov_b64 s[0:1], -1
	s_mov_b64 s[16:17], 0
	s_cmp_eq_u32 s9, 46
	s_cbranch_scc0 .LBB408_1547
; %bb.1546:
	v_cvt_f32_f16_e32 v1, v5
	s_movk_i32 s0, 0x7fff
	v_cmp_o_f16_e32 vcc, v5, v5
	v_mov_b32_e32 v4, 0x7fc0
	v_bfe_u32 v9, v1, 16, 1
	v_add3_u32 v1, v1, v9, s0
	v_cndmask_b32_sdwa v1, v4, v1, vcc dst_sel:DWORD dst_unused:UNUSED_PAD src0_sel:DWORD src1_sel:WORD_1
	global_store_dword v[2:3], v1, off
	s_mov_b64 s[0:1], 0
	s_mov_b64 s[6:7], -1
.LBB408_1547:
	s_and_b64 vcc, exec, s[16:17]
	s_cbranch_vccz .LBB408_1552
; %bb.1548:
	s_cmp_eq_u32 s9, 44
	s_mov_b64 s[0:1], -1
	s_cbranch_scc0 .LBB408_1552
; %bb.1549:
	v_cvt_f32_f16_e32 v1, v5
	s_movk_i32 s0, 0xff
	v_mov_b32_e32 v9, 0xff
	v_bfe_u32 v4, v1, 23, 8
	v_cmp_ne_u32_e32 vcc, s0, v4
	s_and_saveexec_b64 s[6:7], vcc
; %bb.1550:
	s_mov_b32 s0, 0x3fffff
	v_lshrrev_b32_e32 v9, 23, v1
	v_and_b32_e32 v10, 0x400000, v1
	v_and_or_b32 v1, v1, s0, v4
	v_cmp_ne_u32_e32 vcc, 0, v10
	v_cmp_ne_u32_e64 s[0:1], 0, v1
	s_and_b64 s[0:1], vcc, s[0:1]
	s_nop 0
	v_cndmask_b32_e64 v1, 0, 1, s[0:1]
	v_add_u32_e32 v9, v9, v1
; %bb.1551:
	s_or_b64 exec, exec, s[6:7]
	s_mov_b64 s[0:1], 0
	s_mov_b64 s[6:7], -1
	global_store_byte v[2:3], v9, off
.LBB408_1552:
	s_mov_b64 s[16:17], 0
.LBB408_1553:
	s_and_b64 vcc, exec, s[16:17]
	s_cbranch_vccz .LBB408_1556
; %bb.1554:
	s_cmp_eq_u32 s9, 29
	s_mov_b64 s[0:1], -1
	s_cbranch_scc0 .LBB408_1556
; %bb.1555:
	v_cvt_f32_f16_e32 v1, v5
	v_mov_b32_e32 v11, 0
	s_mov_b64 s[0:1], 0
	s_mov_b64 s[6:7], -1
	v_cvt_u32_f32_e32 v10, v1
	global_store_dwordx2 v[2:3], v[10:11], off
.LBB408_1556:
	s_mov_b64 s[16:17], 0
.LBB408_1557:
	s_and_b64 vcc, exec, s[16:17]
	s_cbranch_vccz .LBB408_1573
; %bb.1558:
	s_cmp_lt_i32 s9, 27
	s_mov_b64 s[6:7], -1
	s_cbranch_scc1 .LBB408_1564
; %bb.1559:
	s_cmp_gt_i32 s9, 27
	s_cbranch_scc0 .LBB408_1561
; %bb.1560:
	v_cvt_f32_f16_e32 v1, v5
	s_mov_b64 s[6:7], 0
	v_cvt_u32_f32_e32 v1, v1
	global_store_dword v[2:3], v1, off
.LBB408_1561:
	s_andn2_b64 vcc, exec, s[6:7]
	s_cbranch_vccnz .LBB408_1563
; %bb.1562:
	v_cvt_u16_f16_e32 v1, v5
	global_store_short v[2:3], v1, off
.LBB408_1563:
	s_mov_b64 s[6:7], 0
.LBB408_1564:
	s_andn2_b64 vcc, exec, s[6:7]
	s_cbranch_vccnz .LBB408_1572
; %bb.1565:
	v_cvt_f32_f16_e32 v1, v5
	s_mov_b32 s6, 0x43800000
	v_mov_b32_e32 v9, 0x80
	v_and_b32_e32 v4, 0x7fffffff, v1
	v_cmp_gt_u32_e32 vcc, s6, v4
	s_and_saveexec_b64 s[6:7], vcc
	s_cbranch_execz .LBB408_1571
; %bb.1566:
	s_mov_b32 s16, 0x3bffffff
	v_cmp_lt_u32_e32 vcc, s16, v4
	s_mov_b64 s[16:17], 0
                                        ; implicit-def: $vgpr4
	s_and_saveexec_b64 s[18:19], vcc
	s_xor_b64 s[18:19], exec, s[18:19]
	s_cbranch_execz .LBB408_2020
; %bb.1567:
	v_bfe_u32 v4, v1, 20, 1
	s_mov_b32 s21, 0x487ffff
	v_add3_u32 v4, v1, v4, s21
	s_mov_b64 s[16:17], exec
	v_lshrrev_b32_e32 v4, 20, v4
	s_andn2_saveexec_b64 s[18:19], s[18:19]
	s_cbranch_execnz .LBB408_2021
.LBB408_1568:
	s_or_b64 exec, exec, s[18:19]
	v_mov_b32_e32 v9, 0
	s_and_saveexec_b64 s[18:19], s[16:17]
.LBB408_1569:
	v_lshrrev_b32_e32 v1, 24, v1
	s_movk_i32 s16, 0x80
	v_and_or_b32 v9, v1, s16, v4
.LBB408_1570:
	s_or_b64 exec, exec, s[18:19]
.LBB408_1571:
	s_or_b64 exec, exec, s[6:7]
	global_store_byte v[2:3], v9, off
.LBB408_1572:
	s_mov_b64 s[6:7], -1
.LBB408_1573:
	s_mov_b64 s[16:17], 0
.LBB408_1574:
	s_and_b64 vcc, exec, s[16:17]
	s_cbranch_vccz .LBB408_1614
; %bb.1575:
	s_cmp_gt_i32 s9, 22
	s_mov_b64 s[2:3], -1
	s_cbranch_scc0 .LBB408_1607
; %bb.1576:
	s_cmp_lt_i32 s9, 24
	s_cbranch_scc1 .LBB408_1596
; %bb.1577:
	s_cmp_gt_i32 s9, 24
	s_cbranch_scc0 .LBB408_1585
; %bb.1578:
	v_cvt_f32_f16_e32 v1, v5
	s_mov_b32 s2, 0x47800000
	v_mov_b32_e32 v9, 0x80
	v_and_b32_e32 v4, 0x7fffffff, v1
	v_cmp_gt_u32_e32 vcc, s2, v4
	s_and_saveexec_b64 s[2:3], vcc
	s_cbranch_execz .LBB408_1584
; %bb.1579:
	s_mov_b32 s6, 0x37ffffff
	v_cmp_lt_u32_e32 vcc, s6, v4
	s_mov_b64 s[6:7], 0
                                        ; implicit-def: $vgpr4
	s_and_saveexec_b64 s[16:17], vcc
	s_xor_b64 s[16:17], exec, s[16:17]
	s_cbranch_execz .LBB408_2023
; %bb.1580:
	v_bfe_u32 v4, v1, 21, 1
	s_mov_b32 s18, 0x88fffff
	v_add3_u32 v4, v1, v4, s18
	s_mov_b64 s[6:7], exec
	v_lshrrev_b32_e32 v4, 21, v4
	s_andn2_saveexec_b64 s[16:17], s[16:17]
	s_cbranch_execnz .LBB408_2024
.LBB408_1581:
	s_or_b64 exec, exec, s[16:17]
	v_mov_b32_e32 v9, 0
	s_and_saveexec_b64 s[16:17], s[6:7]
.LBB408_1582:
	v_lshrrev_b32_e32 v1, 24, v1
	s_movk_i32 s6, 0x80
	v_and_or_b32 v9, v1, s6, v4
.LBB408_1583:
	s_or_b64 exec, exec, s[16:17]
.LBB408_1584:
	s_or_b64 exec, exec, s[2:3]
	s_mov_b64 s[2:3], 0
	global_store_byte v[2:3], v9, off
.LBB408_1585:
	s_and_b64 vcc, exec, s[2:3]
	s_cbranch_vccz .LBB408_1595
; %bb.1586:
	v_cvt_f32_f16_e32 v1, v5
	s_mov_b32 s2, 0x43f00000
                                        ; implicit-def: $vgpr4
	v_and_b32_e32 v9, 0x7fffffff, v1
	v_cmp_gt_u32_e32 vcc, s2, v9
	s_and_saveexec_b64 s[2:3], vcc
	s_xor_b64 s[2:3], exec, s[2:3]
	s_cbranch_execz .LBB408_1592
; %bb.1587:
	s_mov_b32 s6, 0x3c7fffff
	v_cmp_lt_u32_e32 vcc, s6, v9
                                        ; implicit-def: $vgpr4
	s_and_saveexec_b64 s[6:7], vcc
	s_xor_b64 s[6:7], exec, s[6:7]
; %bb.1588:
	v_bfe_u32 v4, v1, 20, 1
	s_mov_b32 s16, 0x407ffff
	v_add3_u32 v4, v1, v4, s16
	v_lshrrev_b32_e32 v9, 20, v4
	v_and_b32_e32 v4, 0xff00000, v4
	s_mov_b32 s16, 0x7f00000
	v_mov_b32_e32 v10, 0x7e
	v_cmp_ne_u32_e32 vcc, s16, v4
	s_nop 1
	v_cndmask_b32_e32 v4, v10, v9, vcc
; %bb.1589:
	s_andn2_saveexec_b64 s[6:7], s[6:7]
; %bb.1590:
	s_mov_b32 s16, 0x46800000
	v_add_f32_e64 v4, |v1|, s16
; %bb.1591:
	s_or_b64 exec, exec, s[6:7]
                                        ; implicit-def: $vgpr9
.LBB408_1592:
	s_andn2_saveexec_b64 s[2:3], s[2:3]
; %bb.1593:
	s_mov_b32 s6, 0x7f800000
	v_mov_b32_e32 v4, 0x7e
	v_mov_b32_e32 v10, 0x7f
	v_cmp_lt_u32_e32 vcc, s6, v9
	s_nop 1
	v_cndmask_b32_e32 v4, v4, v10, vcc
; %bb.1594:
	s_or_b64 exec, exec, s[2:3]
	v_lshrrev_b32_e32 v1, 24, v1
	s_movk_i32 s2, 0x80
	v_and_or_b32 v1, v1, s2, v4
	global_store_byte v[2:3], v1, off
.LBB408_1595:
	s_mov_b64 s[2:3], 0
.LBB408_1596:
	s_andn2_b64 vcc, exec, s[2:3]
	s_cbranch_vccnz .LBB408_1606
; %bb.1597:
	v_cvt_f32_f16_e32 v1, v5
	s_mov_b32 s2, 0x47800000
                                        ; implicit-def: $vgpr4
	v_and_b32_e32 v9, 0x7fffffff, v1
	v_cmp_gt_u32_e32 vcc, s2, v9
	s_and_saveexec_b64 s[2:3], vcc
	s_xor_b64 s[2:3], exec, s[2:3]
	s_cbranch_execz .LBB408_1603
; %bb.1598:
	s_mov_b32 s6, 0x387fffff
	v_cmp_lt_u32_e32 vcc, s6, v9
                                        ; implicit-def: $vgpr4
	s_and_saveexec_b64 s[6:7], vcc
	s_xor_b64 s[6:7], exec, s[6:7]
; %bb.1599:
	v_bfe_u32 v4, v1, 21, 1
	s_mov_b32 s16, 0x80fffff
	v_add3_u32 v4, v1, v4, s16
	v_lshrrev_b32_e32 v4, 21, v4
; %bb.1600:
	s_andn2_saveexec_b64 s[6:7], s[6:7]
; %bb.1601:
	s_mov_b32 s16, 0x43000000
	v_add_f32_e64 v4, |v1|, s16
; %bb.1602:
	s_or_b64 exec, exec, s[6:7]
                                        ; implicit-def: $vgpr9
.LBB408_1603:
	s_andn2_saveexec_b64 s[2:3], s[2:3]
; %bb.1604:
	s_mov_b32 s6, 0x7f800000
	v_mov_b32_e32 v4, 0x7c
	v_mov_b32_e32 v10, 0x7f
	v_cmp_lt_u32_e32 vcc, s6, v9
	s_nop 1
	v_cndmask_b32_e32 v4, v4, v10, vcc
; %bb.1605:
	s_or_b64 exec, exec, s[2:3]
	v_lshrrev_b32_e32 v1, 24, v1
	s_movk_i32 s2, 0x80
	v_and_or_b32 v1, v1, s2, v4
	global_store_byte v[2:3], v1, off
.LBB408_1606:
	s_mov_b64 s[2:3], 0
	s_mov_b64 s[6:7], -1
.LBB408_1607:
	s_andn2_b64 vcc, exec, s[2:3]
	s_mov_b64 s[2:3], 0
	s_cbranch_vccnz .LBB408_1614
; %bb.1608:
	s_cmp_gt_i32 s9, 14
	s_mov_b64 s[16:17], -1
	s_cbranch_scc0 .LBB408_1612
; %bb.1609:
	s_cmp_eq_u32 s9, 15
	s_mov_b64 s[0:1], -1
	s_cbranch_scc0 .LBB408_1611
; %bb.1610:
	v_cvt_f32_f16_e32 v1, v5
	s_movk_i32 s0, 0x7fff
	v_cmp_o_f16_e32 vcc, v5, v5
	v_mov_b32_e32 v4, 0x7fc0
	v_bfe_u32 v9, v1, 16, 1
	v_add3_u32 v1, v1, v9, s0
	v_cndmask_b32_sdwa v1, v4, v1, vcc dst_sel:DWORD dst_unused:UNUSED_PAD src0_sel:DWORD src1_sel:WORD_1
	global_store_short v[2:3], v1, off
	s_mov_b64 s[0:1], 0
	s_mov_b64 s[6:7], -1
.LBB408_1611:
	s_mov_b64 s[16:17], 0
.LBB408_1612:
	s_and_b64 vcc, exec, s[16:17]
	s_cbranch_vccz .LBB408_1614
; %bb.1613:
	s_cmp_lg_u32 s9, 11
	s_mov_b64 s[2:3], -1
	s_cselect_b64 s[0:1], -1, 0
.LBB408_1614:
	s_and_b64 vcc, exec, s[0:1]
	s_cbranch_vccnz .LBB408_2022
; %bb.1615:
	s_andn2_b64 vcc, exec, s[2:3]
	s_cbranch_vccnz .LBB408_1617
.LBB408_1616:
	v_and_b32_e32 v1, 0x7fff, v5
	v_cmp_ne_u16_e32 vcc, 0, v1
	s_mov_b64 s[6:7], -1
	s_nop 0
	v_cndmask_b32_e64 v1, 0, 1, vcc
	global_store_byte v[2:3], v1, off
.LBB408_1617:
	s_mov_b64 s[0:1], 0
	s_branch .LBB408_1619
.LBB408_1618:
	s_mov_b64 s[0:1], -1
	s_mov_b64 s[6:7], 0
.LBB408_1619:
	s_and_b64 vcc, exec, s[0:1]
	s_cbranch_vccz .LBB408_1658
; %bb.1620:
	s_and_b32 s2, 0xffff, s20
	s_cmp_lt_i32 s2, 5
	s_mov_b64 s[0:1], -1
	s_cbranch_scc1 .LBB408_1641
; %bb.1621:
	s_cmp_lt_i32 s2, 8
	s_cbranch_scc1 .LBB408_1631
; %bb.1622:
	s_cmp_lt_i32 s2, 9
	s_cbranch_scc1 .LBB408_1628
; %bb.1623:
	s_cmp_gt_i32 s2, 9
	s_cbranch_scc0 .LBB408_1625
; %bb.1624:
	v_cvt_f32_f16_e32 v1, v5
	v_mov_b32_e32 v12, 0
	v_mov_b32_e32 v13, v12
	s_mov_b64 s[0:1], 0
	v_cvt_f64_f32_e32 v[10:11], v1
	global_store_dwordx4 v[2:3], v[10:13], off
.LBB408_1625:
	s_andn2_b64 vcc, exec, s[0:1]
	s_cbranch_vccnz .LBB408_1627
; %bb.1626:
	v_cvt_f32_f16_e32 v10, v5
	v_mov_b32_e32 v11, 0
	global_store_dwordx2 v[2:3], v[10:11], off
.LBB408_1627:
	s_mov_b64 s[0:1], 0
.LBB408_1628:
	s_andn2_b64 vcc, exec, s[0:1]
	s_cbranch_vccnz .LBB408_1630
; %bb.1629:
	v_and_b32_e32 v1, 0xffff, v5
	global_store_dword v[2:3], v1, off
.LBB408_1630:
	s_mov_b64 s[0:1], 0
.LBB408_1631:
	s_andn2_b64 vcc, exec, s[0:1]
	s_cbranch_vccnz .LBB408_1640
; %bb.1632:
	s_cmp_lt_i32 s2, 6
	s_mov_b64 s[0:1], -1
	s_cbranch_scc1 .LBB408_1638
; %bb.1633:
	s_cmp_gt_i32 s2, 6
	s_cbranch_scc0 .LBB408_1635
; %bb.1634:
	v_cvt_f32_f16_e32 v1, v5
	s_mov_b64 s[0:1], 0
	v_cvt_f64_f32_e32 v[10:11], v1
	global_store_dwordx2 v[2:3], v[10:11], off
.LBB408_1635:
	s_andn2_b64 vcc, exec, s[0:1]
	s_cbranch_vccnz .LBB408_1637
; %bb.1636:
	v_cvt_f32_f16_e32 v1, v5
	global_store_dword v[2:3], v1, off
.LBB408_1637:
	s_mov_b64 s[0:1], 0
.LBB408_1638:
	s_andn2_b64 vcc, exec, s[0:1]
	s_cbranch_vccnz .LBB408_1640
; %bb.1639:
	global_store_short v[2:3], v5, off
.LBB408_1640:
	s_mov_b64 s[0:1], 0
.LBB408_1641:
	s_andn2_b64 vcc, exec, s[0:1]
	s_cbranch_vccnz .LBB408_1657
; %bb.1642:
	s_cmp_lt_i32 s2, 2
	s_mov_b64 s[0:1], -1
	s_cbranch_scc1 .LBB408_1652
; %bb.1643:
	s_cmp_lt_i32 s2, 3
	s_cbranch_scc1 .LBB408_1649
; %bb.1644:
	s_cmp_gt_i32 s2, 3
	s_cbranch_scc0 .LBB408_1646
; %bb.1645:
	v_cvt_f32_f16_e32 v1, v5
	s_mov_b64 s[0:1], 0
	v_cvt_i32_f32_e32 v10, v1
	v_ashrrev_i32_e32 v11, 31, v10
	global_store_dwordx2 v[2:3], v[10:11], off
.LBB408_1646:
	s_andn2_b64 vcc, exec, s[0:1]
	s_cbranch_vccnz .LBB408_1648
; %bb.1647:
	v_cvt_f32_f16_e32 v1, v5
	v_cvt_i32_f32_e32 v1, v1
	global_store_dword v[2:3], v1, off
.LBB408_1648:
	s_mov_b64 s[0:1], 0
.LBB408_1649:
	s_andn2_b64 vcc, exec, s[0:1]
	s_cbranch_vccnz .LBB408_1651
; %bb.1650:
	v_cvt_i16_f16_e32 v1, v5
	global_store_short v[2:3], v1, off
.LBB408_1651:
	s_mov_b64 s[0:1], 0
.LBB408_1652:
	s_andn2_b64 vcc, exec, s[0:1]
	s_cbranch_vccnz .LBB408_1657
; %bb.1653:
	s_cmp_gt_i32 s2, 0
	s_mov_b64 s[0:1], -1
	s_cbranch_scc0 .LBB408_1655
; %bb.1654:
	v_cvt_i16_f16_e32 v1, v5
	global_store_byte v[2:3], v1, off
	s_mov_b64 s[0:1], 0
.LBB408_1655:
	s_andn2_b64 vcc, exec, s[0:1]
	s_cbranch_vccnz .LBB408_1657
; %bb.1656:
	v_cvt_f32_f16_e32 v1, v5
	v_cvt_i32_f32_e32 v1, v1
	global_store_byte v[2:3], v1, off
.LBB408_1657:
	s_mov_b64 s[6:7], -1
.LBB408_1658:
	s_andn2_b64 vcc, exec, s[6:7]
	s_cbranch_vccnz .LBB408_1973
; %bb.1659:
	v_cmp_u_f16_e32 vcc, v6, v6
	v_cmp_lt_f16_e64 s[0:1], s33, v6
	s_lshl_b32 s18, s8, 7
	v_mov_b32_e32 v1, s33
	s_or_b64 vcc, vcc, s[0:1]
	v_add_u32_e32 v0, s18, v0
	v_cndmask_b32_e32 v4, v1, v6, vcc
	v_ashrrev_i32_e32 v1, 31, v0
	s_cmp_lt_i32 s20, 11
	v_lshl_add_u64 v[2:3], s[4:5], 0, v[0:1]
	s_cbranch_scc1 .LBB408_1737
; %bb.1660:
	s_and_b32 s19, 0xffff, s20
	s_mov_b64 s[8:9], -1
	s_mov_b64 s[2:3], 0
	s_cmp_gt_i32 s19, 25
	s_mov_b64 s[6:7], 0
	s_mov_b64 s[0:1], 0
	s_cbranch_scc0 .LBB408_1693
; %bb.1661:
	s_cmp_gt_i32 s19, 28
	s_cbranch_scc0 .LBB408_1676
; %bb.1662:
	s_cmp_gt_i32 s19, 43
	;; [unrolled: 3-line block ×3, first 2 shown]
	s_cbranch_scc0 .LBB408_1666
; %bb.1664:
	s_mov_b64 s[0:1], -1
	s_mov_b64 s[8:9], 0
	s_cmp_eq_u32 s19, 46
	s_cbranch_scc0 .LBB408_1666
; %bb.1665:
	v_cvt_f32_f16_e32 v1, v4
	s_movk_i32 s0, 0x7fff
	v_cmp_o_f16_e32 vcc, v4, v4
	v_mov_b32_e32 v5, 0x7fc0
	v_bfe_u32 v6, v1, 16, 1
	v_add3_u32 v1, v1, v6, s0
	v_cndmask_b32_sdwa v1, v5, v1, vcc dst_sel:DWORD dst_unused:UNUSED_PAD src0_sel:DWORD src1_sel:WORD_1
	global_store_dword v[2:3], v1, off
	s_mov_b64 s[0:1], 0
	s_mov_b64 s[6:7], -1
.LBB408_1666:
	s_and_b64 vcc, exec, s[8:9]
	s_cbranch_vccz .LBB408_1671
; %bb.1667:
	s_cmp_eq_u32 s19, 44
	s_mov_b64 s[0:1], -1
	s_cbranch_scc0 .LBB408_1671
; %bb.1668:
	v_cvt_f32_f16_e32 v1, v4
	s_movk_i32 s0, 0xff
	v_mov_b32_e32 v6, 0xff
	v_bfe_u32 v5, v1, 23, 8
	v_cmp_ne_u32_e32 vcc, s0, v5
	s_and_saveexec_b64 s[6:7], vcc
; %bb.1669:
	s_mov_b32 s0, 0x3fffff
	v_lshrrev_b32_e32 v6, 23, v1
	v_and_b32_e32 v9, 0x400000, v1
	v_and_or_b32 v1, v1, s0, v5
	v_cmp_ne_u32_e32 vcc, 0, v9
	v_cmp_ne_u32_e64 s[0:1], 0, v1
	s_and_b64 s[0:1], vcc, s[0:1]
	s_nop 0
	v_cndmask_b32_e64 v1, 0, 1, s[0:1]
	v_add_u32_e32 v6, v6, v1
; %bb.1670:
	s_or_b64 exec, exec, s[6:7]
	s_mov_b64 s[0:1], 0
	s_mov_b64 s[6:7], -1
	global_store_byte v[2:3], v6, off
.LBB408_1671:
	s_mov_b64 s[8:9], 0
.LBB408_1672:
	s_and_b64 vcc, exec, s[8:9]
	s_cbranch_vccz .LBB408_1675
; %bb.1673:
	s_cmp_eq_u32 s19, 29
	s_mov_b64 s[0:1], -1
	s_cbranch_scc0 .LBB408_1675
; %bb.1674:
	v_cvt_f32_f16_e32 v1, v4
	v_mov_b32_e32 v11, 0
	s_mov_b64 s[0:1], 0
	s_mov_b64 s[6:7], -1
	v_cvt_u32_f32_e32 v10, v1
	global_store_dwordx2 v[2:3], v[10:11], off
.LBB408_1675:
	s_mov_b64 s[8:9], 0
.LBB408_1676:
	s_and_b64 vcc, exec, s[8:9]
	s_cbranch_vccz .LBB408_1692
; %bb.1677:
	s_cmp_lt_i32 s19, 27
	s_mov_b64 s[6:7], -1
	s_cbranch_scc1 .LBB408_1683
; %bb.1678:
	s_cmp_gt_i32 s19, 27
	s_cbranch_scc0 .LBB408_1680
; %bb.1679:
	v_cvt_f32_f16_e32 v1, v4
	s_mov_b64 s[6:7], 0
	v_cvt_u32_f32_e32 v1, v1
	global_store_dword v[2:3], v1, off
.LBB408_1680:
	s_andn2_b64 vcc, exec, s[6:7]
	s_cbranch_vccnz .LBB408_1682
; %bb.1681:
	v_cvt_u16_f16_e32 v1, v4
	global_store_short v[2:3], v1, off
.LBB408_1682:
	s_mov_b64 s[6:7], 0
.LBB408_1683:
	s_andn2_b64 vcc, exec, s[6:7]
	s_cbranch_vccnz .LBB408_1691
; %bb.1684:
	v_cvt_f32_f16_e32 v1, v4
	s_mov_b32 s6, 0x43800000
	v_mov_b32_e32 v6, 0x80
	v_and_b32_e32 v5, 0x7fffffff, v1
	v_cmp_gt_u32_e32 vcc, s6, v5
	s_and_saveexec_b64 s[6:7], vcc
	s_cbranch_execz .LBB408_1690
; %bb.1685:
	s_mov_b32 s8, 0x3bffffff
	v_cmp_lt_u32_e32 vcc, s8, v5
	s_mov_b64 s[8:9], 0
                                        ; implicit-def: $vgpr5
	s_and_saveexec_b64 s[16:17], vcc
	s_xor_b64 s[16:17], exec, s[16:17]
	s_cbranch_execz .LBB408_2025
; %bb.1686:
	v_bfe_u32 v5, v1, 20, 1
	s_mov_b32 s21, 0x487ffff
	v_add3_u32 v5, v1, v5, s21
	s_mov_b64 s[8:9], exec
	v_lshrrev_b32_e32 v5, 20, v5
	s_andn2_saveexec_b64 s[16:17], s[16:17]
	s_cbranch_execnz .LBB408_2026
.LBB408_1687:
	s_or_b64 exec, exec, s[16:17]
	v_mov_b32_e32 v6, 0
	s_and_saveexec_b64 s[16:17], s[8:9]
.LBB408_1688:
	v_lshrrev_b32_e32 v1, 24, v1
	s_movk_i32 s8, 0x80
	v_and_or_b32 v6, v1, s8, v5
.LBB408_1689:
	s_or_b64 exec, exec, s[16:17]
.LBB408_1690:
	s_or_b64 exec, exec, s[6:7]
	global_store_byte v[2:3], v6, off
.LBB408_1691:
	s_mov_b64 s[6:7], -1
.LBB408_1692:
	s_mov_b64 s[8:9], 0
.LBB408_1693:
	s_and_b64 vcc, exec, s[8:9]
	s_cbranch_vccz .LBB408_1733
; %bb.1694:
	s_cmp_gt_i32 s19, 22
	s_mov_b64 s[2:3], -1
	s_cbranch_scc0 .LBB408_1726
; %bb.1695:
	s_cmp_lt_i32 s19, 24
	s_cbranch_scc1 .LBB408_1715
; %bb.1696:
	s_cmp_gt_i32 s19, 24
	s_cbranch_scc0 .LBB408_1704
; %bb.1697:
	v_cvt_f32_f16_e32 v1, v4
	s_mov_b32 s2, 0x47800000
	v_mov_b32_e32 v6, 0x80
	v_and_b32_e32 v5, 0x7fffffff, v1
	v_cmp_gt_u32_e32 vcc, s2, v5
	s_and_saveexec_b64 s[2:3], vcc
	s_cbranch_execz .LBB408_1703
; %bb.1698:
	s_mov_b32 s6, 0x37ffffff
	v_cmp_lt_u32_e32 vcc, s6, v5
	s_mov_b64 s[6:7], 0
                                        ; implicit-def: $vgpr5
	s_and_saveexec_b64 s[8:9], vcc
	s_xor_b64 s[8:9], exec, s[8:9]
	s_cbranch_execz .LBB408_2028
; %bb.1699:
	v_bfe_u32 v5, v1, 21, 1
	s_mov_b32 s16, 0x88fffff
	v_add3_u32 v5, v1, v5, s16
	s_mov_b64 s[6:7], exec
	v_lshrrev_b32_e32 v5, 21, v5
	s_andn2_saveexec_b64 s[8:9], s[8:9]
	s_cbranch_execnz .LBB408_2029
.LBB408_1700:
	s_or_b64 exec, exec, s[8:9]
	v_mov_b32_e32 v6, 0
	s_and_saveexec_b64 s[8:9], s[6:7]
.LBB408_1701:
	v_lshrrev_b32_e32 v1, 24, v1
	s_movk_i32 s6, 0x80
	v_and_or_b32 v6, v1, s6, v5
.LBB408_1702:
	s_or_b64 exec, exec, s[8:9]
.LBB408_1703:
	s_or_b64 exec, exec, s[2:3]
	s_mov_b64 s[2:3], 0
	global_store_byte v[2:3], v6, off
.LBB408_1704:
	s_and_b64 vcc, exec, s[2:3]
	s_cbranch_vccz .LBB408_1714
; %bb.1705:
	v_cvt_f32_f16_e32 v1, v4
	s_mov_b32 s2, 0x43f00000
                                        ; implicit-def: $vgpr5
	v_and_b32_e32 v6, 0x7fffffff, v1
	v_cmp_gt_u32_e32 vcc, s2, v6
	s_and_saveexec_b64 s[2:3], vcc
	s_xor_b64 s[2:3], exec, s[2:3]
	s_cbranch_execz .LBB408_1711
; %bb.1706:
	s_mov_b32 s6, 0x3c7fffff
	v_cmp_lt_u32_e32 vcc, s6, v6
                                        ; implicit-def: $vgpr5
	s_and_saveexec_b64 s[6:7], vcc
	s_xor_b64 s[6:7], exec, s[6:7]
; %bb.1707:
	v_bfe_u32 v5, v1, 20, 1
	s_mov_b32 s8, 0x407ffff
	v_add3_u32 v5, v1, v5, s8
	v_lshrrev_b32_e32 v6, 20, v5
	v_and_b32_e32 v5, 0xff00000, v5
	s_mov_b32 s8, 0x7f00000
	v_mov_b32_e32 v9, 0x7e
	v_cmp_ne_u32_e32 vcc, s8, v5
	s_nop 1
	v_cndmask_b32_e32 v5, v9, v6, vcc
; %bb.1708:
	s_andn2_saveexec_b64 s[6:7], s[6:7]
; %bb.1709:
	s_mov_b32 s8, 0x46800000
	v_add_f32_e64 v5, |v1|, s8
; %bb.1710:
	s_or_b64 exec, exec, s[6:7]
                                        ; implicit-def: $vgpr6
.LBB408_1711:
	s_andn2_saveexec_b64 s[2:3], s[2:3]
; %bb.1712:
	s_mov_b32 s6, 0x7f800000
	v_mov_b32_e32 v5, 0x7e
	v_mov_b32_e32 v9, 0x7f
	v_cmp_lt_u32_e32 vcc, s6, v6
	s_nop 1
	v_cndmask_b32_e32 v5, v5, v9, vcc
; %bb.1713:
	s_or_b64 exec, exec, s[2:3]
	v_lshrrev_b32_e32 v1, 24, v1
	s_movk_i32 s2, 0x80
	v_and_or_b32 v1, v1, s2, v5
	global_store_byte v[2:3], v1, off
.LBB408_1714:
	s_mov_b64 s[2:3], 0
.LBB408_1715:
	s_andn2_b64 vcc, exec, s[2:3]
	s_cbranch_vccnz .LBB408_1725
; %bb.1716:
	v_cvt_f32_f16_e32 v1, v4
	s_mov_b32 s2, 0x47800000
                                        ; implicit-def: $vgpr5
	v_and_b32_e32 v6, 0x7fffffff, v1
	v_cmp_gt_u32_e32 vcc, s2, v6
	s_and_saveexec_b64 s[2:3], vcc
	s_xor_b64 s[2:3], exec, s[2:3]
	s_cbranch_execz .LBB408_1722
; %bb.1717:
	s_mov_b32 s6, 0x387fffff
	v_cmp_lt_u32_e32 vcc, s6, v6
                                        ; implicit-def: $vgpr5
	s_and_saveexec_b64 s[6:7], vcc
	s_xor_b64 s[6:7], exec, s[6:7]
; %bb.1718:
	v_bfe_u32 v5, v1, 21, 1
	s_mov_b32 s8, 0x80fffff
	v_add3_u32 v5, v1, v5, s8
	v_lshrrev_b32_e32 v5, 21, v5
; %bb.1719:
	s_andn2_saveexec_b64 s[6:7], s[6:7]
; %bb.1720:
	s_mov_b32 s8, 0x43000000
	v_add_f32_e64 v5, |v1|, s8
; %bb.1721:
	s_or_b64 exec, exec, s[6:7]
                                        ; implicit-def: $vgpr6
.LBB408_1722:
	s_andn2_saveexec_b64 s[2:3], s[2:3]
; %bb.1723:
	s_mov_b32 s6, 0x7f800000
	v_mov_b32_e32 v5, 0x7c
	v_mov_b32_e32 v9, 0x7f
	v_cmp_lt_u32_e32 vcc, s6, v6
	s_nop 1
	v_cndmask_b32_e32 v5, v5, v9, vcc
; %bb.1724:
	s_or_b64 exec, exec, s[2:3]
	v_lshrrev_b32_e32 v1, 24, v1
	s_movk_i32 s2, 0x80
	v_and_or_b32 v1, v1, s2, v5
	global_store_byte v[2:3], v1, off
.LBB408_1725:
	s_mov_b64 s[2:3], 0
	s_mov_b64 s[6:7], -1
.LBB408_1726:
	s_andn2_b64 vcc, exec, s[2:3]
	s_mov_b64 s[2:3], 0
	s_cbranch_vccnz .LBB408_1733
; %bb.1727:
	s_cmp_gt_i32 s19, 14
	s_mov_b64 s[8:9], -1
	s_cbranch_scc0 .LBB408_1731
; %bb.1728:
	s_cmp_eq_u32 s19, 15
	s_mov_b64 s[0:1], -1
	s_cbranch_scc0 .LBB408_1730
; %bb.1729:
	v_cvt_f32_f16_e32 v1, v4
	s_movk_i32 s0, 0x7fff
	v_cmp_o_f16_e32 vcc, v4, v4
	v_mov_b32_e32 v5, 0x7fc0
	v_bfe_u32 v6, v1, 16, 1
	v_add3_u32 v1, v1, v6, s0
	v_cndmask_b32_sdwa v1, v5, v1, vcc dst_sel:DWORD dst_unused:UNUSED_PAD src0_sel:DWORD src1_sel:WORD_1
	global_store_short v[2:3], v1, off
	s_mov_b64 s[0:1], 0
	s_mov_b64 s[6:7], -1
.LBB408_1730:
	s_mov_b64 s[8:9], 0
.LBB408_1731:
	s_and_b64 vcc, exec, s[8:9]
	s_cbranch_vccz .LBB408_1733
; %bb.1732:
	s_cmp_lg_u32 s19, 11
	s_mov_b64 s[2:3], -1
	s_cselect_b64 s[0:1], -1, 0
.LBB408_1733:
	s_and_b64 vcc, exec, s[0:1]
	s_cbranch_vccnz .LBB408_2027
; %bb.1734:
	s_andn2_b64 vcc, exec, s[2:3]
	s_cbranch_vccnz .LBB408_1736
.LBB408_1735:
	v_and_b32_e32 v1, 0x7fff, v4
	v_cmp_ne_u16_e32 vcc, 0, v1
	s_mov_b64 s[6:7], -1
	s_nop 0
	v_cndmask_b32_e64 v1, 0, 1, vcc
	global_store_byte v[2:3], v1, off
.LBB408_1736:
	s_mov_b64 s[0:1], 0
	s_branch .LBB408_1738
.LBB408_1737:
	s_mov_b64 s[0:1], -1
	s_mov_b64 s[6:7], 0
.LBB408_1738:
	s_and_b64 vcc, exec, s[0:1]
	s_cbranch_vccz .LBB408_1777
; %bb.1739:
	s_and_b32 s2, 0xffff, s20
	s_cmp_lt_i32 s2, 5
	s_mov_b64 s[0:1], -1
	s_cbranch_scc1 .LBB408_1760
; %bb.1740:
	s_cmp_lt_i32 s2, 8
	s_cbranch_scc1 .LBB408_1750
; %bb.1741:
	s_cmp_lt_i32 s2, 9
	s_cbranch_scc1 .LBB408_1747
; %bb.1742:
	s_cmp_gt_i32 s2, 9
	s_cbranch_scc0 .LBB408_1744
; %bb.1743:
	v_cvt_f32_f16_e32 v1, v4
	v_mov_b32_e32 v12, 0
	v_mov_b32_e32 v13, v12
	s_mov_b64 s[0:1], 0
	v_cvt_f64_f32_e32 v[10:11], v1
	global_store_dwordx4 v[2:3], v[10:13], off
.LBB408_1744:
	s_andn2_b64 vcc, exec, s[0:1]
	s_cbranch_vccnz .LBB408_1746
; %bb.1745:
	v_cvt_f32_f16_e32 v10, v4
	v_mov_b32_e32 v11, 0
	global_store_dwordx2 v[2:3], v[10:11], off
.LBB408_1746:
	s_mov_b64 s[0:1], 0
.LBB408_1747:
	s_andn2_b64 vcc, exec, s[0:1]
	s_cbranch_vccnz .LBB408_1749
; %bb.1748:
	v_and_b32_e32 v1, 0xffff, v4
	global_store_dword v[2:3], v1, off
.LBB408_1749:
	s_mov_b64 s[0:1], 0
.LBB408_1750:
	s_andn2_b64 vcc, exec, s[0:1]
	s_cbranch_vccnz .LBB408_1759
; %bb.1751:
	s_cmp_lt_i32 s2, 6
	s_mov_b64 s[0:1], -1
	s_cbranch_scc1 .LBB408_1757
; %bb.1752:
	s_cmp_gt_i32 s2, 6
	s_cbranch_scc0 .LBB408_1754
; %bb.1753:
	v_cvt_f32_f16_e32 v1, v4
	s_mov_b64 s[0:1], 0
	v_cvt_f64_f32_e32 v[10:11], v1
	global_store_dwordx2 v[2:3], v[10:11], off
.LBB408_1754:
	s_andn2_b64 vcc, exec, s[0:1]
	s_cbranch_vccnz .LBB408_1756
; %bb.1755:
	v_cvt_f32_f16_e32 v1, v4
	global_store_dword v[2:3], v1, off
.LBB408_1756:
	s_mov_b64 s[0:1], 0
.LBB408_1757:
	s_andn2_b64 vcc, exec, s[0:1]
	s_cbranch_vccnz .LBB408_1759
; %bb.1758:
	global_store_short v[2:3], v4, off
.LBB408_1759:
	s_mov_b64 s[0:1], 0
.LBB408_1760:
	s_andn2_b64 vcc, exec, s[0:1]
	s_cbranch_vccnz .LBB408_1776
; %bb.1761:
	s_cmp_lt_i32 s2, 2
	s_mov_b64 s[0:1], -1
	s_cbranch_scc1 .LBB408_1771
; %bb.1762:
	s_cmp_lt_i32 s2, 3
	s_cbranch_scc1 .LBB408_1768
; %bb.1763:
	s_cmp_gt_i32 s2, 3
	s_cbranch_scc0 .LBB408_1765
; %bb.1764:
	v_cvt_f32_f16_e32 v1, v4
	s_mov_b64 s[0:1], 0
	v_cvt_i32_f32_e32 v10, v1
	v_ashrrev_i32_e32 v11, 31, v10
	global_store_dwordx2 v[2:3], v[10:11], off
.LBB408_1765:
	s_andn2_b64 vcc, exec, s[0:1]
	s_cbranch_vccnz .LBB408_1767
; %bb.1766:
	v_cvt_f32_f16_e32 v1, v4
	v_cvt_i32_f32_e32 v1, v1
	global_store_dword v[2:3], v1, off
.LBB408_1767:
	s_mov_b64 s[0:1], 0
.LBB408_1768:
	s_andn2_b64 vcc, exec, s[0:1]
	s_cbranch_vccnz .LBB408_1770
; %bb.1769:
	v_cvt_i16_f16_e32 v1, v4
	global_store_short v[2:3], v1, off
.LBB408_1770:
	s_mov_b64 s[0:1], 0
.LBB408_1771:
	s_andn2_b64 vcc, exec, s[0:1]
	s_cbranch_vccnz .LBB408_1776
; %bb.1772:
	s_cmp_gt_i32 s2, 0
	s_mov_b64 s[0:1], -1
	s_cbranch_scc0 .LBB408_1774
; %bb.1773:
	v_cvt_i16_f16_e32 v1, v4
	global_store_byte v[2:3], v1, off
	s_mov_b64 s[0:1], 0
.LBB408_1774:
	s_andn2_b64 vcc, exec, s[0:1]
	s_cbranch_vccnz .LBB408_1776
; %bb.1775:
	v_cvt_f32_f16_e32 v1, v4
	v_cvt_i32_f32_e32 v1, v1
	global_store_byte v[2:3], v1, off
.LBB408_1776:
	s_mov_b64 s[6:7], -1
.LBB408_1777:
	s_andn2_b64 vcc, exec, s[6:7]
	s_cbranch_vccnz .LBB408_1973
; %bb.1778:
	v_cmp_u_f16_e32 vcc, v7, v7
	v_cmp_lt_f16_e64 s[0:1], s33, v7
	v_mov_b32_e32 v1, s33
	s_or_b64 vcc, vcc, s[0:1]
	v_add_u32_e32 v0, s18, v0
	v_cndmask_b32_e32 v4, v1, v7, vcc
	v_ashrrev_i32_e32 v1, 31, v0
	s_cmp_lt_i32 s20, 11
	v_lshl_add_u64 v[2:3], s[4:5], 0, v[0:1]
	s_cbranch_scc1 .LBB408_1856
; %bb.1779:
	s_and_b32 s19, 0xffff, s20
	s_mov_b64 s[8:9], -1
	s_mov_b64 s[2:3], 0
	s_cmp_gt_i32 s19, 25
	s_mov_b64 s[6:7], 0
	s_mov_b64 s[0:1], 0
	s_cbranch_scc0 .LBB408_1812
; %bb.1780:
	s_cmp_gt_i32 s19, 28
	s_cbranch_scc0 .LBB408_1795
; %bb.1781:
	s_cmp_gt_i32 s19, 43
	;; [unrolled: 3-line block ×3, first 2 shown]
	s_cbranch_scc0 .LBB408_1785
; %bb.1783:
	s_mov_b64 s[0:1], -1
	s_mov_b64 s[8:9], 0
	s_cmp_eq_u32 s19, 46
	s_cbranch_scc0 .LBB408_1785
; %bb.1784:
	v_cvt_f32_f16_e32 v1, v4
	s_movk_i32 s0, 0x7fff
	v_cmp_o_f16_e32 vcc, v4, v4
	v_mov_b32_e32 v5, 0x7fc0
	v_bfe_u32 v6, v1, 16, 1
	v_add3_u32 v1, v1, v6, s0
	v_cndmask_b32_sdwa v1, v5, v1, vcc dst_sel:DWORD dst_unused:UNUSED_PAD src0_sel:DWORD src1_sel:WORD_1
	global_store_dword v[2:3], v1, off
	s_mov_b64 s[0:1], 0
	s_mov_b64 s[6:7], -1
.LBB408_1785:
	s_and_b64 vcc, exec, s[8:9]
	s_cbranch_vccz .LBB408_1790
; %bb.1786:
	s_cmp_eq_u32 s19, 44
	s_mov_b64 s[0:1], -1
	s_cbranch_scc0 .LBB408_1790
; %bb.1787:
	v_cvt_f32_f16_e32 v1, v4
	s_movk_i32 s0, 0xff
	v_mov_b32_e32 v6, 0xff
	v_bfe_u32 v5, v1, 23, 8
	v_cmp_ne_u32_e32 vcc, s0, v5
	s_and_saveexec_b64 s[6:7], vcc
; %bb.1788:
	s_mov_b32 s0, 0x3fffff
	v_lshrrev_b32_e32 v6, 23, v1
	v_and_b32_e32 v7, 0x400000, v1
	v_and_or_b32 v1, v1, s0, v5
	v_cmp_ne_u32_e32 vcc, 0, v7
	v_cmp_ne_u32_e64 s[0:1], 0, v1
	s_and_b64 s[0:1], vcc, s[0:1]
	s_nop 0
	v_cndmask_b32_e64 v1, 0, 1, s[0:1]
	v_add_u32_e32 v6, v6, v1
; %bb.1789:
	s_or_b64 exec, exec, s[6:7]
	s_mov_b64 s[0:1], 0
	s_mov_b64 s[6:7], -1
	global_store_byte v[2:3], v6, off
.LBB408_1790:
	s_mov_b64 s[8:9], 0
.LBB408_1791:
	s_and_b64 vcc, exec, s[8:9]
	s_cbranch_vccz .LBB408_1794
; %bb.1792:
	s_cmp_eq_u32 s19, 29
	s_mov_b64 s[0:1], -1
	s_cbranch_scc0 .LBB408_1794
; %bb.1793:
	v_cvt_f32_f16_e32 v1, v4
	v_mov_b32_e32 v7, 0
	s_mov_b64 s[0:1], 0
	s_mov_b64 s[6:7], -1
	v_cvt_u32_f32_e32 v6, v1
	global_store_dwordx2 v[2:3], v[6:7], off
.LBB408_1794:
	s_mov_b64 s[8:9], 0
.LBB408_1795:
	s_and_b64 vcc, exec, s[8:9]
	s_cbranch_vccz .LBB408_1811
; %bb.1796:
	s_cmp_lt_i32 s19, 27
	s_mov_b64 s[6:7], -1
	s_cbranch_scc1 .LBB408_1802
; %bb.1797:
	s_cmp_gt_i32 s19, 27
	s_cbranch_scc0 .LBB408_1799
; %bb.1798:
	v_cvt_f32_f16_e32 v1, v4
	s_mov_b64 s[6:7], 0
	v_cvt_u32_f32_e32 v1, v1
	global_store_dword v[2:3], v1, off
.LBB408_1799:
	s_andn2_b64 vcc, exec, s[6:7]
	s_cbranch_vccnz .LBB408_1801
; %bb.1800:
	v_cvt_u16_f16_e32 v1, v4
	global_store_short v[2:3], v1, off
.LBB408_1801:
	s_mov_b64 s[6:7], 0
.LBB408_1802:
	s_andn2_b64 vcc, exec, s[6:7]
	s_cbranch_vccnz .LBB408_1810
; %bb.1803:
	v_cvt_f32_f16_e32 v1, v4
	s_mov_b32 s6, 0x43800000
	v_mov_b32_e32 v6, 0x80
	v_and_b32_e32 v5, 0x7fffffff, v1
	v_cmp_gt_u32_e32 vcc, s6, v5
	s_and_saveexec_b64 s[6:7], vcc
	s_cbranch_execz .LBB408_1809
; %bb.1804:
	s_mov_b32 s8, 0x3bffffff
	v_cmp_lt_u32_e32 vcc, s8, v5
	s_mov_b64 s[8:9], 0
                                        ; implicit-def: $vgpr5
	s_and_saveexec_b64 s[16:17], vcc
	s_xor_b64 s[16:17], exec, s[16:17]
	s_cbranch_execz .LBB408_2030
; %bb.1805:
	v_bfe_u32 v5, v1, 20, 1
	s_mov_b32 s21, 0x487ffff
	v_add3_u32 v5, v1, v5, s21
	s_mov_b64 s[8:9], exec
	v_lshrrev_b32_e32 v5, 20, v5
	s_andn2_saveexec_b64 s[16:17], s[16:17]
	s_cbranch_execnz .LBB408_2031
.LBB408_1806:
	s_or_b64 exec, exec, s[16:17]
	v_mov_b32_e32 v6, 0
	s_and_saveexec_b64 s[16:17], s[8:9]
.LBB408_1807:
	v_lshrrev_b32_e32 v1, 24, v1
	s_movk_i32 s8, 0x80
	v_and_or_b32 v6, v1, s8, v5
.LBB408_1808:
	s_or_b64 exec, exec, s[16:17]
.LBB408_1809:
	s_or_b64 exec, exec, s[6:7]
	global_store_byte v[2:3], v6, off
.LBB408_1810:
	s_mov_b64 s[6:7], -1
.LBB408_1811:
	s_mov_b64 s[8:9], 0
.LBB408_1812:
	s_and_b64 vcc, exec, s[8:9]
	s_cbranch_vccz .LBB408_1852
; %bb.1813:
	s_cmp_gt_i32 s19, 22
	s_mov_b64 s[2:3], -1
	s_cbranch_scc0 .LBB408_1845
; %bb.1814:
	s_cmp_lt_i32 s19, 24
	s_cbranch_scc1 .LBB408_1834
; %bb.1815:
	s_cmp_gt_i32 s19, 24
	s_cbranch_scc0 .LBB408_1823
; %bb.1816:
	v_cvt_f32_f16_e32 v1, v4
	s_mov_b32 s2, 0x47800000
	v_mov_b32_e32 v6, 0x80
	v_and_b32_e32 v5, 0x7fffffff, v1
	v_cmp_gt_u32_e32 vcc, s2, v5
	s_and_saveexec_b64 s[2:3], vcc
	s_cbranch_execz .LBB408_1822
; %bb.1817:
	s_mov_b32 s6, 0x37ffffff
	v_cmp_lt_u32_e32 vcc, s6, v5
	s_mov_b64 s[6:7], 0
                                        ; implicit-def: $vgpr5
	s_and_saveexec_b64 s[8:9], vcc
	s_xor_b64 s[8:9], exec, s[8:9]
	s_cbranch_execz .LBB408_2033
; %bb.1818:
	v_bfe_u32 v5, v1, 21, 1
	s_mov_b32 s16, 0x88fffff
	v_add3_u32 v5, v1, v5, s16
	s_mov_b64 s[6:7], exec
	v_lshrrev_b32_e32 v5, 21, v5
	s_andn2_saveexec_b64 s[8:9], s[8:9]
	s_cbranch_execnz .LBB408_2034
.LBB408_1819:
	s_or_b64 exec, exec, s[8:9]
	v_mov_b32_e32 v6, 0
	s_and_saveexec_b64 s[8:9], s[6:7]
.LBB408_1820:
	v_lshrrev_b32_e32 v1, 24, v1
	s_movk_i32 s6, 0x80
	v_and_or_b32 v6, v1, s6, v5
.LBB408_1821:
	s_or_b64 exec, exec, s[8:9]
.LBB408_1822:
	s_or_b64 exec, exec, s[2:3]
	s_mov_b64 s[2:3], 0
	global_store_byte v[2:3], v6, off
.LBB408_1823:
	s_and_b64 vcc, exec, s[2:3]
	s_cbranch_vccz .LBB408_1833
; %bb.1824:
	v_cvt_f32_f16_e32 v1, v4
	s_mov_b32 s2, 0x43f00000
                                        ; implicit-def: $vgpr5
	v_and_b32_e32 v6, 0x7fffffff, v1
	v_cmp_gt_u32_e32 vcc, s2, v6
	s_and_saveexec_b64 s[2:3], vcc
	s_xor_b64 s[2:3], exec, s[2:3]
	s_cbranch_execz .LBB408_1830
; %bb.1825:
	s_mov_b32 s6, 0x3c7fffff
	v_cmp_lt_u32_e32 vcc, s6, v6
                                        ; implicit-def: $vgpr5
	s_and_saveexec_b64 s[6:7], vcc
	s_xor_b64 s[6:7], exec, s[6:7]
; %bb.1826:
	v_bfe_u32 v5, v1, 20, 1
	s_mov_b32 s8, 0x407ffff
	v_add3_u32 v5, v1, v5, s8
	v_lshrrev_b32_e32 v6, 20, v5
	v_and_b32_e32 v5, 0xff00000, v5
	s_mov_b32 s8, 0x7f00000
	v_mov_b32_e32 v7, 0x7e
	v_cmp_ne_u32_e32 vcc, s8, v5
	s_nop 1
	v_cndmask_b32_e32 v5, v7, v6, vcc
; %bb.1827:
	s_andn2_saveexec_b64 s[6:7], s[6:7]
; %bb.1828:
	s_mov_b32 s8, 0x46800000
	v_add_f32_e64 v5, |v1|, s8
; %bb.1829:
	s_or_b64 exec, exec, s[6:7]
                                        ; implicit-def: $vgpr6
.LBB408_1830:
	s_andn2_saveexec_b64 s[2:3], s[2:3]
; %bb.1831:
	s_mov_b32 s6, 0x7f800000
	v_mov_b32_e32 v5, 0x7e
	v_mov_b32_e32 v7, 0x7f
	v_cmp_lt_u32_e32 vcc, s6, v6
	s_nop 1
	v_cndmask_b32_e32 v5, v5, v7, vcc
; %bb.1832:
	s_or_b64 exec, exec, s[2:3]
	v_lshrrev_b32_e32 v1, 24, v1
	s_movk_i32 s2, 0x80
	v_and_or_b32 v1, v1, s2, v5
	global_store_byte v[2:3], v1, off
.LBB408_1833:
	s_mov_b64 s[2:3], 0
.LBB408_1834:
	s_andn2_b64 vcc, exec, s[2:3]
	s_cbranch_vccnz .LBB408_1844
; %bb.1835:
	v_cvt_f32_f16_e32 v1, v4
	s_mov_b32 s2, 0x47800000
                                        ; implicit-def: $vgpr5
	v_and_b32_e32 v6, 0x7fffffff, v1
	v_cmp_gt_u32_e32 vcc, s2, v6
	s_and_saveexec_b64 s[2:3], vcc
	s_xor_b64 s[2:3], exec, s[2:3]
	s_cbranch_execz .LBB408_1841
; %bb.1836:
	s_mov_b32 s6, 0x387fffff
	v_cmp_lt_u32_e32 vcc, s6, v6
                                        ; implicit-def: $vgpr5
	s_and_saveexec_b64 s[6:7], vcc
	s_xor_b64 s[6:7], exec, s[6:7]
; %bb.1837:
	v_bfe_u32 v5, v1, 21, 1
	s_mov_b32 s8, 0x80fffff
	v_add3_u32 v5, v1, v5, s8
	v_lshrrev_b32_e32 v5, 21, v5
; %bb.1838:
	s_andn2_saveexec_b64 s[6:7], s[6:7]
; %bb.1839:
	s_mov_b32 s8, 0x43000000
	v_add_f32_e64 v5, |v1|, s8
; %bb.1840:
	s_or_b64 exec, exec, s[6:7]
                                        ; implicit-def: $vgpr6
.LBB408_1841:
	s_andn2_saveexec_b64 s[2:3], s[2:3]
; %bb.1842:
	s_mov_b32 s6, 0x7f800000
	v_mov_b32_e32 v5, 0x7c
	v_mov_b32_e32 v7, 0x7f
	v_cmp_lt_u32_e32 vcc, s6, v6
	s_nop 1
	v_cndmask_b32_e32 v5, v5, v7, vcc
; %bb.1843:
	s_or_b64 exec, exec, s[2:3]
	v_lshrrev_b32_e32 v1, 24, v1
	s_movk_i32 s2, 0x80
	v_and_or_b32 v1, v1, s2, v5
	global_store_byte v[2:3], v1, off
.LBB408_1844:
	s_mov_b64 s[2:3], 0
	s_mov_b64 s[6:7], -1
.LBB408_1845:
	s_andn2_b64 vcc, exec, s[2:3]
	s_mov_b64 s[2:3], 0
	s_cbranch_vccnz .LBB408_1852
; %bb.1846:
	s_cmp_gt_i32 s19, 14
	s_mov_b64 s[8:9], -1
	s_cbranch_scc0 .LBB408_1850
; %bb.1847:
	s_cmp_eq_u32 s19, 15
	s_mov_b64 s[0:1], -1
	s_cbranch_scc0 .LBB408_1849
; %bb.1848:
	v_cvt_f32_f16_e32 v1, v4
	s_movk_i32 s0, 0x7fff
	v_cmp_o_f16_e32 vcc, v4, v4
	v_mov_b32_e32 v5, 0x7fc0
	v_bfe_u32 v6, v1, 16, 1
	v_add3_u32 v1, v1, v6, s0
	v_cndmask_b32_sdwa v1, v5, v1, vcc dst_sel:DWORD dst_unused:UNUSED_PAD src0_sel:DWORD src1_sel:WORD_1
	global_store_short v[2:3], v1, off
	s_mov_b64 s[0:1], 0
	s_mov_b64 s[6:7], -1
.LBB408_1849:
	s_mov_b64 s[8:9], 0
.LBB408_1850:
	s_and_b64 vcc, exec, s[8:9]
	s_cbranch_vccz .LBB408_1852
; %bb.1851:
	s_cmp_lg_u32 s19, 11
	s_mov_b64 s[2:3], -1
	s_cselect_b64 s[0:1], -1, 0
.LBB408_1852:
	s_and_b64 vcc, exec, s[0:1]
	s_cbranch_vccnz .LBB408_2032
; %bb.1853:
	s_andn2_b64 vcc, exec, s[2:3]
	s_cbranch_vccnz .LBB408_1855
.LBB408_1854:
	v_and_b32_e32 v1, 0x7fff, v4
	v_cmp_ne_u16_e32 vcc, 0, v1
	s_mov_b64 s[6:7], -1
	s_nop 0
	v_cndmask_b32_e64 v1, 0, 1, vcc
	global_store_byte v[2:3], v1, off
.LBB408_1855:
	s_mov_b64 s[0:1], 0
	s_branch .LBB408_1857
.LBB408_1856:
	s_mov_b64 s[0:1], -1
	s_mov_b64 s[6:7], 0
.LBB408_1857:
	s_and_b64 vcc, exec, s[0:1]
	s_cbranch_vccz .LBB408_1896
; %bb.1858:
	s_and_b32 s2, 0xffff, s20
	s_cmp_lt_i32 s2, 5
	s_mov_b64 s[0:1], -1
	s_cbranch_scc1 .LBB408_1879
; %bb.1859:
	s_cmp_lt_i32 s2, 8
	s_cbranch_scc1 .LBB408_1869
; %bb.1860:
	s_cmp_lt_i32 s2, 9
	s_cbranch_scc1 .LBB408_1866
; %bb.1861:
	s_cmp_gt_i32 s2, 9
	s_cbranch_scc0 .LBB408_1863
; %bb.1862:
	v_cvt_f32_f16_e32 v1, v4
	v_mov_b32_e32 v12, 0
	v_mov_b32_e32 v13, v12
	s_mov_b64 s[0:1], 0
	v_cvt_f64_f32_e32 v[10:11], v1
	global_store_dwordx4 v[2:3], v[10:13], off
.LBB408_1863:
	s_andn2_b64 vcc, exec, s[0:1]
	s_cbranch_vccnz .LBB408_1865
; %bb.1864:
	v_cvt_f32_f16_e32 v6, v4
	v_mov_b32_e32 v7, 0
	global_store_dwordx2 v[2:3], v[6:7], off
.LBB408_1865:
	s_mov_b64 s[0:1], 0
.LBB408_1866:
	s_andn2_b64 vcc, exec, s[0:1]
	s_cbranch_vccnz .LBB408_1868
; %bb.1867:
	v_and_b32_e32 v1, 0xffff, v4
	global_store_dword v[2:3], v1, off
.LBB408_1868:
	s_mov_b64 s[0:1], 0
.LBB408_1869:
	s_andn2_b64 vcc, exec, s[0:1]
	s_cbranch_vccnz .LBB408_1878
; %bb.1870:
	s_cmp_lt_i32 s2, 6
	s_mov_b64 s[0:1], -1
	s_cbranch_scc1 .LBB408_1876
; %bb.1871:
	s_cmp_gt_i32 s2, 6
	s_cbranch_scc0 .LBB408_1873
; %bb.1872:
	v_cvt_f32_f16_e32 v1, v4
	s_mov_b64 s[0:1], 0
	v_cvt_f64_f32_e32 v[6:7], v1
	global_store_dwordx2 v[2:3], v[6:7], off
.LBB408_1873:
	s_andn2_b64 vcc, exec, s[0:1]
	s_cbranch_vccnz .LBB408_1875
; %bb.1874:
	v_cvt_f32_f16_e32 v1, v4
	global_store_dword v[2:3], v1, off
.LBB408_1875:
	s_mov_b64 s[0:1], 0
.LBB408_1876:
	s_andn2_b64 vcc, exec, s[0:1]
	s_cbranch_vccnz .LBB408_1878
; %bb.1877:
	global_store_short v[2:3], v4, off
.LBB408_1878:
	s_mov_b64 s[0:1], 0
.LBB408_1879:
	s_andn2_b64 vcc, exec, s[0:1]
	s_cbranch_vccnz .LBB408_1895
; %bb.1880:
	s_cmp_lt_i32 s2, 2
	s_mov_b64 s[0:1], -1
	s_cbranch_scc1 .LBB408_1890
; %bb.1881:
	s_cmp_lt_i32 s2, 3
	s_cbranch_scc1 .LBB408_1887
; %bb.1882:
	s_cmp_gt_i32 s2, 3
	s_cbranch_scc0 .LBB408_1884
; %bb.1883:
	v_cvt_f32_f16_e32 v1, v4
	s_mov_b64 s[0:1], 0
	v_cvt_i32_f32_e32 v6, v1
	v_ashrrev_i32_e32 v7, 31, v6
	global_store_dwordx2 v[2:3], v[6:7], off
.LBB408_1884:
	s_andn2_b64 vcc, exec, s[0:1]
	s_cbranch_vccnz .LBB408_1886
; %bb.1885:
	v_cvt_f32_f16_e32 v1, v4
	v_cvt_i32_f32_e32 v1, v1
	global_store_dword v[2:3], v1, off
.LBB408_1886:
	s_mov_b64 s[0:1], 0
.LBB408_1887:
	s_andn2_b64 vcc, exec, s[0:1]
	s_cbranch_vccnz .LBB408_1889
; %bb.1888:
	v_cvt_i16_f16_e32 v1, v4
	global_store_short v[2:3], v1, off
.LBB408_1889:
	s_mov_b64 s[0:1], 0
.LBB408_1890:
	s_andn2_b64 vcc, exec, s[0:1]
	s_cbranch_vccnz .LBB408_1895
; %bb.1891:
	s_cmp_gt_i32 s2, 0
	s_mov_b64 s[0:1], -1
	s_cbranch_scc0 .LBB408_1893
; %bb.1892:
	v_cvt_i16_f16_e32 v1, v4
	global_store_byte v[2:3], v1, off
	s_mov_b64 s[0:1], 0
.LBB408_1893:
	s_andn2_b64 vcc, exec, s[0:1]
	s_cbranch_vccnz .LBB408_1895
; %bb.1894:
	v_cvt_f32_f16_e32 v1, v4
	v_cvt_i32_f32_e32 v1, v1
	global_store_byte v[2:3], v1, off
.LBB408_1895:
	s_mov_b64 s[6:7], -1
.LBB408_1896:
	s_andn2_b64 vcc, exec, s[6:7]
	s_cbranch_vccnz .LBB408_1973
; %bb.1897:
	v_cmp_u_f16_e32 vcc, v8, v8
	v_cmp_lt_f16_e64 s[0:1], s33, v8
	v_mov_b32_e32 v1, s33
	s_or_b64 vcc, vcc, s[0:1]
	v_add_u32_e32 v0, s18, v0
	v_cndmask_b32_e32 v2, v1, v8, vcc
	v_ashrrev_i32_e32 v1, 31, v0
	s_cmp_lt_i32 s20, 11
	v_lshl_add_u64 v[0:1], s[4:5], 0, v[0:1]
	s_cbranch_scc1 .LBB408_2018
; %bb.1898:
	s_and_b32 s16, 0xffff, s20
	s_mov_b64 s[4:5], -1
	s_mov_b64 s[2:3], 0
	s_cmp_gt_i32 s16, 25
	s_mov_b64 s[0:1], 0
	s_cbranch_scc0 .LBB408_1931
; %bb.1899:
	s_cmp_gt_i32 s16, 28
	s_cbranch_scc0 .LBB408_1915
; %bb.1900:
	s_cmp_gt_i32 s16, 43
	;; [unrolled: 3-line block ×3, first 2 shown]
	s_cbranch_scc0 .LBB408_1905
; %bb.1902:
	s_cmp_eq_u32 s16, 46
	s_mov_b64 s[0:1], -1
	s_cbranch_scc0 .LBB408_1904
; %bb.1903:
	v_cvt_f32_f16_e32 v3, v2
	s_movk_i32 s0, 0x7fff
	v_cmp_o_f16_e32 vcc, v2, v2
	v_mov_b32_e32 v4, 0x7fc0
	v_bfe_u32 v5, v3, 16, 1
	v_add3_u32 v3, v3, v5, s0
	v_cndmask_b32_sdwa v3, v4, v3, vcc dst_sel:DWORD dst_unused:UNUSED_PAD src0_sel:DWORD src1_sel:WORD_1
	global_store_dword v[0:1], v3, off
	s_mov_b64 s[0:1], 0
.LBB408_1904:
	s_mov_b64 s[4:5], 0
.LBB408_1905:
	s_and_b64 vcc, exec, s[4:5]
	s_cbranch_vccz .LBB408_1910
; %bb.1906:
	s_cmp_eq_u32 s16, 44
	s_mov_b64 s[0:1], -1
	s_cbranch_scc0 .LBB408_1910
; %bb.1907:
	v_cvt_f32_f16_e32 v3, v2
	s_movk_i32 s0, 0xff
	v_mov_b32_e32 v5, 0xff
	v_bfe_u32 v4, v3, 23, 8
	v_cmp_ne_u32_e32 vcc, s0, v4
	s_and_saveexec_b64 s[4:5], vcc
; %bb.1908:
	s_mov_b32 s0, 0x3fffff
	v_lshrrev_b32_e32 v5, 23, v3
	v_and_b32_e32 v6, 0x400000, v3
	v_and_or_b32 v3, v3, s0, v4
	v_cmp_ne_u32_e32 vcc, 0, v6
	v_cmp_ne_u32_e64 s[0:1], 0, v3
	s_and_b64 s[0:1], vcc, s[0:1]
	s_nop 0
	v_cndmask_b32_e64 v3, 0, 1, s[0:1]
	v_add_u32_e32 v5, v5, v3
; %bb.1909:
	s_or_b64 exec, exec, s[4:5]
	s_mov_b64 s[0:1], 0
	global_store_byte v[0:1], v5, off
.LBB408_1910:
	s_mov_b64 s[4:5], 0
.LBB408_1911:
	s_and_b64 vcc, exec, s[4:5]
	s_cbranch_vccz .LBB408_1914
; %bb.1912:
	s_cmp_eq_u32 s16, 29
	s_mov_b64 s[0:1], -1
	s_cbranch_scc0 .LBB408_1914
; %bb.1913:
	v_cvt_f32_f16_e32 v3, v2
	v_mov_b32_e32 v5, 0
	s_mov_b64 s[0:1], 0
	v_cvt_u32_f32_e32 v4, v3
	global_store_dwordx2 v[0:1], v[4:5], off
.LBB408_1914:
	s_mov_b64 s[4:5], 0
.LBB408_1915:
	s_and_b64 vcc, exec, s[4:5]
	s_cbranch_vccz .LBB408_1930
; %bb.1916:
	s_cmp_lt_i32 s16, 27
	s_mov_b64 s[4:5], -1
	s_cbranch_scc1 .LBB408_1922
; %bb.1917:
	s_cmp_gt_i32 s16, 27
	s_cbranch_scc0 .LBB408_1919
; %bb.1918:
	v_cvt_f32_f16_e32 v3, v2
	s_mov_b64 s[4:5], 0
	v_cvt_u32_f32_e32 v3, v3
	global_store_dword v[0:1], v3, off
.LBB408_1919:
	s_andn2_b64 vcc, exec, s[4:5]
	s_cbranch_vccnz .LBB408_1921
; %bb.1920:
	v_cvt_u16_f16_e32 v3, v2
	global_store_short v[0:1], v3, off
.LBB408_1921:
	s_mov_b64 s[4:5], 0
.LBB408_1922:
	s_andn2_b64 vcc, exec, s[4:5]
	s_cbranch_vccnz .LBB408_1930
; %bb.1923:
	v_cvt_f32_f16_e32 v3, v2
	s_mov_b32 s4, 0x43800000
	v_mov_b32_e32 v5, 0x80
	v_and_b32_e32 v4, 0x7fffffff, v3
	v_cmp_gt_u32_e32 vcc, s4, v4
	s_and_saveexec_b64 s[4:5], vcc
	s_cbranch_execz .LBB408_1929
; %bb.1924:
	s_mov_b32 s6, 0x3bffffff
	v_cmp_lt_u32_e32 vcc, s6, v4
	s_mov_b64 s[6:7], 0
                                        ; implicit-def: $vgpr4
	s_and_saveexec_b64 s[8:9], vcc
	s_xor_b64 s[8:9], exec, s[8:9]
	s_cbranch_execz .LBB408_2035
; %bb.1925:
	v_bfe_u32 v4, v3, 20, 1
	s_mov_b32 s17, 0x487ffff
	v_add3_u32 v4, v3, v4, s17
	s_mov_b64 s[6:7], exec
	v_lshrrev_b32_e32 v4, 20, v4
	s_andn2_saveexec_b64 s[8:9], s[8:9]
	s_cbranch_execnz .LBB408_2036
.LBB408_1926:
	s_or_b64 exec, exec, s[8:9]
	v_mov_b32_e32 v5, 0
	s_and_saveexec_b64 s[8:9], s[6:7]
.LBB408_1927:
	v_lshrrev_b32_e32 v3, 24, v3
	s_movk_i32 s6, 0x80
	v_and_or_b32 v5, v3, s6, v4
.LBB408_1928:
	s_or_b64 exec, exec, s[8:9]
.LBB408_1929:
	s_or_b64 exec, exec, s[4:5]
	global_store_byte v[0:1], v5, off
.LBB408_1930:
	s_mov_b64 s[4:5], 0
.LBB408_1931:
	s_and_b64 vcc, exec, s[4:5]
	s_cbranch_vccz .LBB408_1971
; %bb.1932:
	s_cmp_gt_i32 s16, 22
	s_mov_b64 s[2:3], -1
	s_cbranch_scc0 .LBB408_1964
; %bb.1933:
	s_cmp_lt_i32 s16, 24
	s_cbranch_scc1 .LBB408_1953
; %bb.1934:
	s_cmp_gt_i32 s16, 24
	s_cbranch_scc0 .LBB408_1942
; %bb.1935:
	v_cvt_f32_f16_e32 v3, v2
	s_mov_b32 s2, 0x47800000
	v_mov_b32_e32 v5, 0x80
	v_and_b32_e32 v4, 0x7fffffff, v3
	v_cmp_gt_u32_e32 vcc, s2, v4
	s_and_saveexec_b64 s[2:3], vcc
	s_cbranch_execz .LBB408_1941
; %bb.1936:
	s_mov_b32 s4, 0x37ffffff
	v_cmp_lt_u32_e32 vcc, s4, v4
	s_mov_b64 s[4:5], 0
                                        ; implicit-def: $vgpr4
	s_and_saveexec_b64 s[6:7], vcc
	s_xor_b64 s[6:7], exec, s[6:7]
	s_cbranch_execz .LBB408_2038
; %bb.1937:
	v_bfe_u32 v4, v3, 21, 1
	s_mov_b32 s8, 0x88fffff
	v_add3_u32 v4, v3, v4, s8
	s_mov_b64 s[4:5], exec
	v_lshrrev_b32_e32 v4, 21, v4
	s_andn2_saveexec_b64 s[6:7], s[6:7]
	s_cbranch_execnz .LBB408_2039
.LBB408_1938:
	s_or_b64 exec, exec, s[6:7]
	v_mov_b32_e32 v5, 0
	s_and_saveexec_b64 s[6:7], s[4:5]
.LBB408_1939:
	v_lshrrev_b32_e32 v3, 24, v3
	s_movk_i32 s4, 0x80
	v_and_or_b32 v5, v3, s4, v4
.LBB408_1940:
	s_or_b64 exec, exec, s[6:7]
.LBB408_1941:
	s_or_b64 exec, exec, s[2:3]
	s_mov_b64 s[2:3], 0
	global_store_byte v[0:1], v5, off
.LBB408_1942:
	s_and_b64 vcc, exec, s[2:3]
	s_cbranch_vccz .LBB408_1952
; %bb.1943:
	v_cvt_f32_f16_e32 v3, v2
	s_mov_b32 s2, 0x43f00000
                                        ; implicit-def: $vgpr4
	v_and_b32_e32 v5, 0x7fffffff, v3
	v_cmp_gt_u32_e32 vcc, s2, v5
	s_and_saveexec_b64 s[2:3], vcc
	s_xor_b64 s[2:3], exec, s[2:3]
	s_cbranch_execz .LBB408_1949
; %bb.1944:
	s_mov_b32 s4, 0x3c7fffff
	v_cmp_lt_u32_e32 vcc, s4, v5
                                        ; implicit-def: $vgpr4
	s_and_saveexec_b64 s[4:5], vcc
	s_xor_b64 s[4:5], exec, s[4:5]
; %bb.1945:
	v_bfe_u32 v4, v3, 20, 1
	s_mov_b32 s6, 0x407ffff
	v_add3_u32 v4, v3, v4, s6
	v_lshrrev_b32_e32 v5, 20, v4
	v_and_b32_e32 v4, 0xff00000, v4
	s_mov_b32 s6, 0x7f00000
	v_mov_b32_e32 v6, 0x7e
	v_cmp_ne_u32_e32 vcc, s6, v4
	s_nop 1
	v_cndmask_b32_e32 v4, v6, v5, vcc
; %bb.1946:
	s_andn2_saveexec_b64 s[4:5], s[4:5]
; %bb.1947:
	s_mov_b32 s6, 0x46800000
	v_add_f32_e64 v4, |v3|, s6
; %bb.1948:
	s_or_b64 exec, exec, s[4:5]
                                        ; implicit-def: $vgpr5
.LBB408_1949:
	s_andn2_saveexec_b64 s[2:3], s[2:3]
; %bb.1950:
	s_mov_b32 s4, 0x7f800000
	v_mov_b32_e32 v4, 0x7e
	v_mov_b32_e32 v6, 0x7f
	v_cmp_lt_u32_e32 vcc, s4, v5
	s_nop 1
	v_cndmask_b32_e32 v4, v4, v6, vcc
; %bb.1951:
	s_or_b64 exec, exec, s[2:3]
	v_lshrrev_b32_e32 v3, 24, v3
	s_movk_i32 s2, 0x80
	v_and_or_b32 v3, v3, s2, v4
	global_store_byte v[0:1], v3, off
.LBB408_1952:
	s_mov_b64 s[2:3], 0
.LBB408_1953:
	s_andn2_b64 vcc, exec, s[2:3]
	s_cbranch_vccnz .LBB408_1963
; %bb.1954:
	v_cvt_f32_f16_e32 v3, v2
	s_mov_b32 s2, 0x47800000
                                        ; implicit-def: $vgpr4
	v_and_b32_e32 v5, 0x7fffffff, v3
	v_cmp_gt_u32_e32 vcc, s2, v5
	s_and_saveexec_b64 s[2:3], vcc
	s_xor_b64 s[2:3], exec, s[2:3]
	s_cbranch_execz .LBB408_1960
; %bb.1955:
	s_mov_b32 s4, 0x387fffff
	v_cmp_lt_u32_e32 vcc, s4, v5
                                        ; implicit-def: $vgpr4
	s_and_saveexec_b64 s[4:5], vcc
	s_xor_b64 s[4:5], exec, s[4:5]
; %bb.1956:
	v_bfe_u32 v4, v3, 21, 1
	s_mov_b32 s6, 0x80fffff
	v_add3_u32 v4, v3, v4, s6
	v_lshrrev_b32_e32 v4, 21, v4
; %bb.1957:
	s_andn2_saveexec_b64 s[4:5], s[4:5]
; %bb.1958:
	s_mov_b32 s6, 0x43000000
	v_add_f32_e64 v4, |v3|, s6
; %bb.1959:
	s_or_b64 exec, exec, s[4:5]
                                        ; implicit-def: $vgpr5
.LBB408_1960:
	s_andn2_saveexec_b64 s[2:3], s[2:3]
; %bb.1961:
	s_mov_b32 s4, 0x7f800000
	v_mov_b32_e32 v4, 0x7c
	v_mov_b32_e32 v6, 0x7f
	v_cmp_lt_u32_e32 vcc, s4, v5
	s_nop 1
	v_cndmask_b32_e32 v4, v4, v6, vcc
; %bb.1962:
	s_or_b64 exec, exec, s[2:3]
	v_lshrrev_b32_e32 v3, 24, v3
	s_movk_i32 s2, 0x80
	v_and_or_b32 v3, v3, s2, v4
	global_store_byte v[0:1], v3, off
.LBB408_1963:
	s_mov_b64 s[2:3], 0
.LBB408_1964:
	s_andn2_b64 vcc, exec, s[2:3]
	s_mov_b64 s[2:3], 0
	s_cbranch_vccnz .LBB408_1971
; %bb.1965:
	s_cmp_gt_i32 s16, 14
	s_mov_b64 s[4:5], -1
	s_cbranch_scc0 .LBB408_1969
; %bb.1966:
	s_cmp_eq_u32 s16, 15
	s_mov_b64 s[0:1], -1
	s_cbranch_scc0 .LBB408_1968
; %bb.1967:
	v_cvt_f32_f16_e32 v3, v2
	s_movk_i32 s0, 0x7fff
	v_cmp_o_f16_e32 vcc, v2, v2
	v_mov_b32_e32 v4, 0x7fc0
	v_bfe_u32 v5, v3, 16, 1
	v_add3_u32 v3, v3, v5, s0
	v_cndmask_b32_sdwa v3, v4, v3, vcc dst_sel:DWORD dst_unused:UNUSED_PAD src0_sel:DWORD src1_sel:WORD_1
	global_store_short v[0:1], v3, off
	s_mov_b64 s[0:1], 0
.LBB408_1968:
	s_mov_b64 s[4:5], 0
.LBB408_1969:
	s_and_b64 vcc, exec, s[4:5]
	s_cbranch_vccz .LBB408_1971
; %bb.1970:
	s_cmp_lg_u32 s16, 11
	s_mov_b64 s[2:3], -1
	s_cselect_b64 s[0:1], -1, 0
.LBB408_1971:
	s_and_b64 vcc, exec, s[0:1]
	s_cbranch_vccnz .LBB408_2037
.LBB408_1972:
	s_mov_b64 s[0:1], 0
	s_branch .LBB408_1974
.LBB408_1973:
	s_mov_b64 s[0:1], 0
	s_mov_b64 s[2:3], 0
                                        ; implicit-def: $sgpr20
                                        ; implicit-def: $vgpr0_vgpr1
                                        ; implicit-def: $vgpr2
.LBB408_1974:
	s_andn2_b64 s[4:5], s[12:13], exec
	s_and_b64 s[6:7], s[14:15], exec
	s_and_b64 s[0:1], s[0:1], exec
	;; [unrolled: 1-line block ×3, first 2 shown]
	s_or_b64 s[12:13], s[4:5], s[6:7]
.LBB408_1975:
	s_or_b64 exec, exec, s[10:11]
	s_and_saveexec_b64 s[4:5], s[12:13]
	s_cbranch_execz .LBB408_1978
; %bb.1976:
	; divergent unreachable
	s_or_b64 exec, exec, s[4:5]
	s_and_saveexec_b64 s[4:5], s[2:3]
	s_xor_b64 s[2:3], exec, s[4:5]
	s_cbranch_execnz .LBB408_1979
.LBB408_1977:
	s_or_b64 exec, exec, s[2:3]
	s_and_saveexec_b64 s[2:3], s[0:1]
	s_cbranch_execnz .LBB408_1980
	s_branch .LBB408_2017
.LBB408_1978:
	s_or_b64 exec, exec, s[4:5]
	s_and_saveexec_b64 s[4:5], s[2:3]
	s_xor_b64 s[2:3], exec, s[4:5]
	s_cbranch_execz .LBB408_1977
.LBB408_1979:
	s_waitcnt vmcnt(0)
	v_and_b32_e32 v3, 0x7fff, v2
	v_cmp_ne_u16_e32 vcc, 0, v3
	s_nop 1
	v_cndmask_b32_e64 v3, 0, 1, vcc
	global_store_byte v[0:1], v3, off
	s_or_b64 exec, exec, s[2:3]
	s_and_saveexec_b64 s[2:3], s[0:1]
	s_cbranch_execz .LBB408_2017
.LBB408_1980:
	s_sext_i32_i16 s2, s20
	s_cmp_lt_i32 s2, 5
	s_mov_b64 s[0:1], -1
	s_cbranch_scc1 .LBB408_2001
; %bb.1981:
	s_cmp_lt_i32 s2, 8
	s_cbranch_scc1 .LBB408_1991
; %bb.1982:
	s_cmp_lt_i32 s2, 9
	s_cbranch_scc1 .LBB408_1988
; %bb.1983:
	s_cmp_gt_i32 s2, 9
	s_cbranch_scc0 .LBB408_1985
; %bb.1984:
	s_waitcnt vmcnt(0)
	v_cvt_f32_f16_e32 v3, v2
	v_mov_b32_e32 v6, 0
	v_mov_b32_e32 v7, v6
	s_mov_b64 s[0:1], 0
	v_cvt_f64_f32_e32 v[4:5], v3
	global_store_dwordx4 v[0:1], v[4:7], off
.LBB408_1985:
	s_andn2_b64 vcc, exec, s[0:1]
	s_cbranch_vccnz .LBB408_1987
; %bb.1986:
	s_waitcnt vmcnt(0)
	v_cvt_f32_f16_e32 v4, v2
	v_mov_b32_e32 v5, 0
	global_store_dwordx2 v[0:1], v[4:5], off
.LBB408_1987:
	s_mov_b64 s[0:1], 0
.LBB408_1988:
	s_andn2_b64 vcc, exec, s[0:1]
	s_cbranch_vccnz .LBB408_1990
; %bb.1989:
	s_waitcnt vmcnt(0)
	v_and_b32_e32 v3, 0xffff, v2
	global_store_dword v[0:1], v3, off
.LBB408_1990:
	s_mov_b64 s[0:1], 0
.LBB408_1991:
	s_andn2_b64 vcc, exec, s[0:1]
	s_cbranch_vccnz .LBB408_2000
; %bb.1992:
	s_sext_i32_i16 s2, s20
	s_cmp_lt_i32 s2, 6
	s_mov_b64 s[0:1], -1
	s_cbranch_scc1 .LBB408_1998
; %bb.1993:
	s_cmp_gt_i32 s2, 6
	s_cbranch_scc0 .LBB408_1995
; %bb.1994:
	s_waitcnt vmcnt(0)
	v_cvt_f32_f16_e32 v3, v2
	s_mov_b64 s[0:1], 0
	v_cvt_f64_f32_e32 v[4:5], v3
	global_store_dwordx2 v[0:1], v[4:5], off
.LBB408_1995:
	s_andn2_b64 vcc, exec, s[0:1]
	s_cbranch_vccnz .LBB408_1997
; %bb.1996:
	s_waitcnt vmcnt(0)
	v_cvt_f32_f16_e32 v3, v2
	global_store_dword v[0:1], v3, off
.LBB408_1997:
	s_mov_b64 s[0:1], 0
.LBB408_1998:
	s_andn2_b64 vcc, exec, s[0:1]
	s_cbranch_vccnz .LBB408_2000
; %bb.1999:
	s_waitcnt vmcnt(0)
	global_store_short v[0:1], v2, off
.LBB408_2000:
	s_mov_b64 s[0:1], 0
.LBB408_2001:
	s_andn2_b64 vcc, exec, s[0:1]
	s_cbranch_vccnz .LBB408_2017
; %bb.2002:
	s_sext_i32_i16 s2, s20
	s_cmp_lt_i32 s2, 2
	s_mov_b64 s[0:1], -1
	s_cbranch_scc1 .LBB408_2012
; %bb.2003:
	s_cmp_lt_i32 s2, 3
	s_cbranch_scc1 .LBB408_2009
; %bb.2004:
	s_cmp_gt_i32 s2, 3
	s_cbranch_scc0 .LBB408_2006
; %bb.2005:
	s_waitcnt vmcnt(0)
	v_cvt_f32_f16_e32 v3, v2
	s_mov_b64 s[0:1], 0
	v_cvt_i32_f32_e32 v4, v3
	v_ashrrev_i32_e32 v5, 31, v4
	global_store_dwordx2 v[0:1], v[4:5], off
.LBB408_2006:
	s_andn2_b64 vcc, exec, s[0:1]
	s_cbranch_vccnz .LBB408_2008
; %bb.2007:
	s_waitcnt vmcnt(0)
	v_cvt_f32_f16_e32 v3, v2
	v_cvt_i32_f32_e32 v3, v3
	global_store_dword v[0:1], v3, off
.LBB408_2008:
	s_mov_b64 s[0:1], 0
.LBB408_2009:
	s_andn2_b64 vcc, exec, s[0:1]
	s_cbranch_vccnz .LBB408_2011
; %bb.2010:
	s_waitcnt vmcnt(0)
	v_cvt_i16_f16_e32 v3, v2
	global_store_short v[0:1], v3, off
.LBB408_2011:
	s_mov_b64 s[0:1], 0
.LBB408_2012:
	s_andn2_b64 vcc, exec, s[0:1]
	s_cbranch_vccnz .LBB408_2017
; %bb.2013:
	s_sext_i32_i16 s0, s20
	s_cmp_gt_i32 s0, 0
	s_mov_b64 s[0:1], -1
	s_cbranch_scc0 .LBB408_2015
; %bb.2014:
	s_waitcnt vmcnt(0)
	v_cvt_i16_f16_e32 v3, v2
	global_store_byte v[0:1], v3, off
	s_mov_b64 s[0:1], 0
.LBB408_2015:
	s_andn2_b64 vcc, exec, s[0:1]
	s_cbranch_vccnz .LBB408_2017
; %bb.2016:
	s_waitcnt vmcnt(0)
	v_cvt_f32_f16_e32 v2, v2
	v_cvt_i32_f32_e32 v2, v2
	global_store_byte v[0:1], v2, off
	s_endpgm
.LBB408_2017:
	s_endpgm
.LBB408_2018:
	s_mov_b64 s[2:3], 0
	s_mov_b64 s[0:1], -1
	s_branch .LBB408_1974
.LBB408_2019:
	s_trap 2
	s_or_b64 s[14:15], s[14:15], exec
	s_cbranch_execz .LBB408_1488
	s_branch .LBB408_1489
.LBB408_2020:
	s_andn2_saveexec_b64 s[18:19], s[18:19]
	s_cbranch_execz .LBB408_1568
.LBB408_2021:
	s_mov_b32 s21, 0x46000000
	v_add_f32_e64 v4, |v1|, s21
	v_and_b32_e32 v4, 0xff, v4
	v_cmp_ne_u32_e32 vcc, 0, v4
	s_andn2_b64 s[16:17], s[16:17], exec
	s_and_b64 s[22:23], vcc, exec
	s_or_b64 s[16:17], s[16:17], s[22:23]
	s_or_b64 exec, exec, s[18:19]
	v_mov_b32_e32 v9, 0
	s_and_saveexec_b64 s[18:19], s[16:17]
	s_cbranch_execnz .LBB408_1569
	s_branch .LBB408_1570
.LBB408_2022:
	s_trap 2
	s_or_b64 s[14:15], s[14:15], exec
	s_cbranch_execz .LBB408_1616
	s_branch .LBB408_1617
.LBB408_2023:
	s_andn2_saveexec_b64 s[16:17], s[16:17]
	s_cbranch_execz .LBB408_1581
.LBB408_2024:
	s_mov_b32 s18, 0x42800000
	v_add_f32_e64 v4, |v1|, s18
	v_and_b32_e32 v4, 0xff, v4
	v_cmp_ne_u32_e32 vcc, 0, v4
	s_andn2_b64 s[6:7], s[6:7], exec
	s_and_b64 s[18:19], vcc, exec
	s_or_b64 s[6:7], s[6:7], s[18:19]
	s_or_b64 exec, exec, s[16:17]
	v_mov_b32_e32 v9, 0
	s_and_saveexec_b64 s[16:17], s[6:7]
	s_cbranch_execnz .LBB408_1582
	s_branch .LBB408_1583
.LBB408_2025:
	s_andn2_saveexec_b64 s[16:17], s[16:17]
	s_cbranch_execz .LBB408_1687
.LBB408_2026:
	s_mov_b32 s21, 0x46000000
	v_add_f32_e64 v5, |v1|, s21
	v_and_b32_e32 v5, 0xff, v5
	v_cmp_ne_u32_e32 vcc, 0, v5
	s_andn2_b64 s[8:9], s[8:9], exec
	s_and_b64 s[22:23], vcc, exec
	s_or_b64 s[8:9], s[8:9], s[22:23]
	s_or_b64 exec, exec, s[16:17]
	v_mov_b32_e32 v6, 0
	s_and_saveexec_b64 s[16:17], s[8:9]
	s_cbranch_execnz .LBB408_1688
	s_branch .LBB408_1689
.LBB408_2027:
	s_trap 2
	s_or_b64 s[14:15], s[14:15], exec
	s_cbranch_execz .LBB408_1735
	s_branch .LBB408_1736
.LBB408_2028:
	s_andn2_saveexec_b64 s[8:9], s[8:9]
	s_cbranch_execz .LBB408_1700
.LBB408_2029:
	s_mov_b32 s16, 0x42800000
	v_add_f32_e64 v5, |v1|, s16
	v_and_b32_e32 v5, 0xff, v5
	v_cmp_ne_u32_e32 vcc, 0, v5
	s_andn2_b64 s[6:7], s[6:7], exec
	s_and_b64 s[16:17], vcc, exec
	s_or_b64 s[6:7], s[6:7], s[16:17]
	s_or_b64 exec, exec, s[8:9]
	v_mov_b32_e32 v6, 0
	s_and_saveexec_b64 s[8:9], s[6:7]
	s_cbranch_execnz .LBB408_1701
	s_branch .LBB408_1702
.LBB408_2030:
	s_andn2_saveexec_b64 s[16:17], s[16:17]
	s_cbranch_execz .LBB408_1806
.LBB408_2031:
	s_mov_b32 s21, 0x46000000
	v_add_f32_e64 v5, |v1|, s21
	v_and_b32_e32 v5, 0xff, v5
	v_cmp_ne_u32_e32 vcc, 0, v5
	s_andn2_b64 s[8:9], s[8:9], exec
	s_and_b64 s[22:23], vcc, exec
	s_or_b64 s[8:9], s[8:9], s[22:23]
	s_or_b64 exec, exec, s[16:17]
	v_mov_b32_e32 v6, 0
	s_and_saveexec_b64 s[16:17], s[8:9]
	s_cbranch_execnz .LBB408_1807
	s_branch .LBB408_1808
.LBB408_2032:
	s_trap 2
	s_or_b64 s[14:15], s[14:15], exec
	s_cbranch_execz .LBB408_1854
	s_branch .LBB408_1855
.LBB408_2033:
	s_andn2_saveexec_b64 s[8:9], s[8:9]
	s_cbranch_execz .LBB408_1819
.LBB408_2034:
	s_mov_b32 s16, 0x42800000
	v_add_f32_e64 v5, |v1|, s16
	v_and_b32_e32 v5, 0xff, v5
	v_cmp_ne_u32_e32 vcc, 0, v5
	s_andn2_b64 s[6:7], s[6:7], exec
	s_and_b64 s[16:17], vcc, exec
	s_or_b64 s[6:7], s[6:7], s[16:17]
	s_or_b64 exec, exec, s[8:9]
	v_mov_b32_e32 v6, 0
	s_and_saveexec_b64 s[8:9], s[6:7]
	s_cbranch_execnz .LBB408_1820
	s_branch .LBB408_1821
.LBB408_2035:
	s_andn2_saveexec_b64 s[8:9], s[8:9]
	s_cbranch_execz .LBB408_1926
.LBB408_2036:
	s_mov_b32 s17, 0x46000000
	v_add_f32_e64 v4, |v3|, s17
	v_and_b32_e32 v4, 0xff, v4
	v_cmp_ne_u32_e32 vcc, 0, v4
	s_andn2_b64 s[6:7], s[6:7], exec
	s_and_b64 s[18:19], vcc, exec
	s_or_b64 s[6:7], s[6:7], s[18:19]
	s_or_b64 exec, exec, s[8:9]
	v_mov_b32_e32 v5, 0
	s_and_saveexec_b64 s[8:9], s[6:7]
	s_cbranch_execnz .LBB408_1927
	s_branch .LBB408_1928
.LBB408_2037:
	s_mov_b64 s[2:3], 0
	s_or_b64 s[14:15], s[14:15], exec
	s_trap 2
	s_branch .LBB408_1972
.LBB408_2038:
	s_andn2_saveexec_b64 s[6:7], s[6:7]
	s_cbranch_execz .LBB408_1938
.LBB408_2039:
	s_mov_b32 s8, 0x42800000
	v_add_f32_e64 v4, |v3|, s8
	v_and_b32_e32 v4, 0xff, v4
	v_cmp_ne_u32_e32 vcc, 0, v4
	s_andn2_b64 s[4:5], s[4:5], exec
	s_and_b64 s[8:9], vcc, exec
	s_or_b64 s[4:5], s[4:5], s[8:9]
	s_or_b64 exec, exec, s[6:7]
	v_mov_b32_e32 v5, 0
	s_and_saveexec_b64 s[6:7], s[4:5]
	s_cbranch_execnz .LBB408_1939
	s_branch .LBB408_1940
	.section	.rodata,"a",@progbits
	.p2align	6, 0x0
	.amdhsa_kernel _ZN2at6native32elementwise_kernel_manual_unrollILi128ELi4EZNS0_15gpu_kernel_implIZZZNS0_21clamp_min_kernel_cudaERNS_18TensorIteratorBaseERKN3c106ScalarEENKUlvE_clEvENKUlvE6_clEvEUlNS5_4HalfEE_EEvS4_RKT_EUlibE_EEviT1_
		.amdhsa_group_segment_fixed_size 0
		.amdhsa_private_segment_fixed_size 0
		.amdhsa_kernarg_size 40
		.amdhsa_user_sgpr_count 2
		.amdhsa_user_sgpr_dispatch_ptr 0
		.amdhsa_user_sgpr_queue_ptr 0
		.amdhsa_user_sgpr_kernarg_segment_ptr 1
		.amdhsa_user_sgpr_dispatch_id 0
		.amdhsa_user_sgpr_kernarg_preload_length 0
		.amdhsa_user_sgpr_kernarg_preload_offset 0
		.amdhsa_user_sgpr_private_segment_size 0
		.amdhsa_uses_dynamic_stack 0
		.amdhsa_enable_private_segment 0
		.amdhsa_system_sgpr_workgroup_id_x 1
		.amdhsa_system_sgpr_workgroup_id_y 0
		.amdhsa_system_sgpr_workgroup_id_z 0
		.amdhsa_system_sgpr_workgroup_info 0
		.amdhsa_system_vgpr_workitem_id 0
		.amdhsa_next_free_vgpr 14
		.amdhsa_next_free_sgpr 45
		.amdhsa_accum_offset 16
		.amdhsa_reserve_vcc 1
		.amdhsa_float_round_mode_32 0
		.amdhsa_float_round_mode_16_64 0
		.amdhsa_float_denorm_mode_32 3
		.amdhsa_float_denorm_mode_16_64 3
		.amdhsa_dx10_clamp 1
		.amdhsa_ieee_mode 1
		.amdhsa_fp16_overflow 0
		.amdhsa_tg_split 0
		.amdhsa_exception_fp_ieee_invalid_op 0
		.amdhsa_exception_fp_denorm_src 0
		.amdhsa_exception_fp_ieee_div_zero 0
		.amdhsa_exception_fp_ieee_overflow 0
		.amdhsa_exception_fp_ieee_underflow 0
		.amdhsa_exception_fp_ieee_inexact 0
		.amdhsa_exception_int_div_zero 0
	.end_amdhsa_kernel
	.section	.text._ZN2at6native32elementwise_kernel_manual_unrollILi128ELi4EZNS0_15gpu_kernel_implIZZZNS0_21clamp_min_kernel_cudaERNS_18TensorIteratorBaseERKN3c106ScalarEENKUlvE_clEvENKUlvE6_clEvEUlNS5_4HalfEE_EEvS4_RKT_EUlibE_EEviT1_,"axG",@progbits,_ZN2at6native32elementwise_kernel_manual_unrollILi128ELi4EZNS0_15gpu_kernel_implIZZZNS0_21clamp_min_kernel_cudaERNS_18TensorIteratorBaseERKN3c106ScalarEENKUlvE_clEvENKUlvE6_clEvEUlNS5_4HalfEE_EEvS4_RKT_EUlibE_EEviT1_,comdat
.Lfunc_end408:
	.size	_ZN2at6native32elementwise_kernel_manual_unrollILi128ELi4EZNS0_15gpu_kernel_implIZZZNS0_21clamp_min_kernel_cudaERNS_18TensorIteratorBaseERKN3c106ScalarEENKUlvE_clEvENKUlvE6_clEvEUlNS5_4HalfEE_EEvS4_RKT_EUlibE_EEviT1_, .Lfunc_end408-_ZN2at6native32elementwise_kernel_manual_unrollILi128ELi4EZNS0_15gpu_kernel_implIZZZNS0_21clamp_min_kernel_cudaERNS_18TensorIteratorBaseERKN3c106ScalarEENKUlvE_clEvENKUlvE6_clEvEUlNS5_4HalfEE_EEvS4_RKT_EUlibE_EEviT1_
                                        ; -- End function
	.set _ZN2at6native32elementwise_kernel_manual_unrollILi128ELi4EZNS0_15gpu_kernel_implIZZZNS0_21clamp_min_kernel_cudaERNS_18TensorIteratorBaseERKN3c106ScalarEENKUlvE_clEvENKUlvE6_clEvEUlNS5_4HalfEE_EEvS4_RKT_EUlibE_EEviT1_.num_vgpr, 14
	.set _ZN2at6native32elementwise_kernel_manual_unrollILi128ELi4EZNS0_15gpu_kernel_implIZZZNS0_21clamp_min_kernel_cudaERNS_18TensorIteratorBaseERKN3c106ScalarEENKUlvE_clEvENKUlvE6_clEvEUlNS5_4HalfEE_EEvS4_RKT_EUlibE_EEviT1_.num_agpr, 0
	.set _ZN2at6native32elementwise_kernel_manual_unrollILi128ELi4EZNS0_15gpu_kernel_implIZZZNS0_21clamp_min_kernel_cudaERNS_18TensorIteratorBaseERKN3c106ScalarEENKUlvE_clEvENKUlvE6_clEvEUlNS5_4HalfEE_EEvS4_RKT_EUlibE_EEviT1_.numbered_sgpr, 45
	.set _ZN2at6native32elementwise_kernel_manual_unrollILi128ELi4EZNS0_15gpu_kernel_implIZZZNS0_21clamp_min_kernel_cudaERNS_18TensorIteratorBaseERKN3c106ScalarEENKUlvE_clEvENKUlvE6_clEvEUlNS5_4HalfEE_EEvS4_RKT_EUlibE_EEviT1_.num_named_barrier, 0
	.set _ZN2at6native32elementwise_kernel_manual_unrollILi128ELi4EZNS0_15gpu_kernel_implIZZZNS0_21clamp_min_kernel_cudaERNS_18TensorIteratorBaseERKN3c106ScalarEENKUlvE_clEvENKUlvE6_clEvEUlNS5_4HalfEE_EEvS4_RKT_EUlibE_EEviT1_.private_seg_size, 0
	.set _ZN2at6native32elementwise_kernel_manual_unrollILi128ELi4EZNS0_15gpu_kernel_implIZZZNS0_21clamp_min_kernel_cudaERNS_18TensorIteratorBaseERKN3c106ScalarEENKUlvE_clEvENKUlvE6_clEvEUlNS5_4HalfEE_EEvS4_RKT_EUlibE_EEviT1_.uses_vcc, 1
	.set _ZN2at6native32elementwise_kernel_manual_unrollILi128ELi4EZNS0_15gpu_kernel_implIZZZNS0_21clamp_min_kernel_cudaERNS_18TensorIteratorBaseERKN3c106ScalarEENKUlvE_clEvENKUlvE6_clEvEUlNS5_4HalfEE_EEvS4_RKT_EUlibE_EEviT1_.uses_flat_scratch, 0
	.set _ZN2at6native32elementwise_kernel_manual_unrollILi128ELi4EZNS0_15gpu_kernel_implIZZZNS0_21clamp_min_kernel_cudaERNS_18TensorIteratorBaseERKN3c106ScalarEENKUlvE_clEvENKUlvE6_clEvEUlNS5_4HalfEE_EEvS4_RKT_EUlibE_EEviT1_.has_dyn_sized_stack, 0
	.set _ZN2at6native32elementwise_kernel_manual_unrollILi128ELi4EZNS0_15gpu_kernel_implIZZZNS0_21clamp_min_kernel_cudaERNS_18TensorIteratorBaseERKN3c106ScalarEENKUlvE_clEvENKUlvE6_clEvEUlNS5_4HalfEE_EEvS4_RKT_EUlibE_EEviT1_.has_recursion, 0
	.set _ZN2at6native32elementwise_kernel_manual_unrollILi128ELi4EZNS0_15gpu_kernel_implIZZZNS0_21clamp_min_kernel_cudaERNS_18TensorIteratorBaseERKN3c106ScalarEENKUlvE_clEvENKUlvE6_clEvEUlNS5_4HalfEE_EEvS4_RKT_EUlibE_EEviT1_.has_indirect_call, 0
	.section	.AMDGPU.csdata,"",@progbits
; Kernel info:
; codeLenInByte = 36368
; TotalNumSgprs: 51
; NumVgprs: 14
; NumAgprs: 0
; TotalNumVgprs: 14
; ScratchSize: 0
; MemoryBound: 0
; FloatMode: 240
; IeeeMode: 1
; LDSByteSize: 0 bytes/workgroup (compile time only)
; SGPRBlocks: 6
; VGPRBlocks: 1
; NumSGPRsForWavesPerEU: 51
; NumVGPRsForWavesPerEU: 14
; AccumOffset: 16
; Occupancy: 8
; WaveLimiterHint : 0
; COMPUTE_PGM_RSRC2:SCRATCH_EN: 0
; COMPUTE_PGM_RSRC2:USER_SGPR: 2
; COMPUTE_PGM_RSRC2:TRAP_HANDLER: 0
; COMPUTE_PGM_RSRC2:TGID_X_EN: 1
; COMPUTE_PGM_RSRC2:TGID_Y_EN: 0
; COMPUTE_PGM_RSRC2:TGID_Z_EN: 0
; COMPUTE_PGM_RSRC2:TIDIG_COMP_CNT: 0
; COMPUTE_PGM_RSRC3_GFX90A:ACCUM_OFFSET: 3
; COMPUTE_PGM_RSRC3_GFX90A:TG_SPLIT: 0
	.section	.text._ZN2at6native32elementwise_kernel_manual_unrollILi128ELi4EZNS0_15gpu_kernel_implIZZZNS0_21clamp_min_kernel_cudaERNS_18TensorIteratorBaseERKN3c106ScalarEENKUlvE_clEvENKUlvE6_clEvEUlNS5_4HalfEE_EEvS4_RKT_EUlibE0_EEviT1_,"axG",@progbits,_ZN2at6native32elementwise_kernel_manual_unrollILi128ELi4EZNS0_15gpu_kernel_implIZZZNS0_21clamp_min_kernel_cudaERNS_18TensorIteratorBaseERKN3c106ScalarEENKUlvE_clEvENKUlvE6_clEvEUlNS5_4HalfEE_EEvS4_RKT_EUlibE0_EEviT1_,comdat
	.globl	_ZN2at6native32elementwise_kernel_manual_unrollILi128ELi4EZNS0_15gpu_kernel_implIZZZNS0_21clamp_min_kernel_cudaERNS_18TensorIteratorBaseERKN3c106ScalarEENKUlvE_clEvENKUlvE6_clEvEUlNS5_4HalfEE_EEvS4_RKT_EUlibE0_EEviT1_ ; -- Begin function _ZN2at6native32elementwise_kernel_manual_unrollILi128ELi4EZNS0_15gpu_kernel_implIZZZNS0_21clamp_min_kernel_cudaERNS_18TensorIteratorBaseERKN3c106ScalarEENKUlvE_clEvENKUlvE6_clEvEUlNS5_4HalfEE_EEvS4_RKT_EUlibE0_EEviT1_
	.p2align	8
	.type	_ZN2at6native32elementwise_kernel_manual_unrollILi128ELi4EZNS0_15gpu_kernel_implIZZZNS0_21clamp_min_kernel_cudaERNS_18TensorIteratorBaseERKN3c106ScalarEENKUlvE_clEvENKUlvE6_clEvEUlNS5_4HalfEE_EEvS4_RKT_EUlibE0_EEviT1_,@function
_ZN2at6native32elementwise_kernel_manual_unrollILi128ELi4EZNS0_15gpu_kernel_implIZZZNS0_21clamp_min_kernel_cudaERNS_18TensorIteratorBaseERKN3c106ScalarEENKUlvE_clEvENKUlvE6_clEvEUlNS5_4HalfEE_EEvS4_RKT_EUlibE0_EEviT1_: ; @_ZN2at6native32elementwise_kernel_manual_unrollILi128ELi4EZNS0_15gpu_kernel_implIZZZNS0_21clamp_min_kernel_cudaERNS_18TensorIteratorBaseERKN3c106ScalarEENKUlvE_clEvENKUlvE6_clEvEUlNS5_4HalfEE_EEvS4_RKT_EUlibE0_EEviT1_
; %bb.0:
	s_load_dword s70, s[0:1], 0x0
	s_load_dword s33, s[0:1], 0x8
	s_add_u32 s34, s0, 8
	s_addc_u32 s35, s1, 0
	v_lshl_or_b32 v8, s2, 9, v0
	v_or_b32_e32 v16, 0x180, v8
	s_waitcnt lgkmcnt(0)
	s_add_i32 s72, s33, -1
	s_cmp_gt_u32 s72, 1
	v_cmp_le_i32_e32 vcc, s70, v16
	s_cselect_b64 s[42:43], -1, 0
	s_mov_b64 s[40:41], 0
	s_mov_b64 s[24:25], 0
	s_and_saveexec_b64 s[2:3], vcc
	s_xor_b64 s[44:45], exec, s[2:3]
	s_cbranch_execz .LBB409_1090
; %bb.1:
	s_load_dwordx4 s[24:27], s[34:35], 0x4
	s_load_dwordx2 s[46:47], s[34:35], 0x14
	s_load_dword s74, s[34:35], 0x158
	s_load_dword s2, s[0:1], 0x160
	s_cmp_lg_u32 s33, 0
	s_load_dwordx4 s[28:31], s[34:35], 0xc4
	s_load_dwordx4 s[20:23], s[34:35], 0x148
	s_cselect_b64 s[52:53], -1, 0
	s_add_u32 s50, s34, 0xc4
	s_addc_u32 s51, s35, 0
	s_min_u32 s76, s72, 15
	s_cmp_gt_u32 s33, 1
	s_cselect_b64 s[48:49], -1, 0
	s_waitcnt lgkmcnt(0)
	s_lshr_b32 s73, s2, 16
	s_lshr_b32 s75, s2, 24
	v_cmp_gt_i32_e32 vcc, s70, v8
	s_mov_b64 s[4:5], -1
	s_mov_b64 s[62:63], 0
	s_mov_b64 s[56:57], 0
	;; [unrolled: 1-line block ×3, first 2 shown]
	s_and_saveexec_b64 s[58:59], vcc
	s_cbranch_execz .LBB409_267
; %bb.2:
	s_andn2_b64 vcc, exec, s[42:43]
	s_cbranch_vccnz .LBB409_8
; %bb.3:
	s_andn2_b64 vcc, exec, s[52:53]
	s_cbranch_vccnz .LBB409_9
; %bb.4:
	s_add_i32 s57, s76, 1
	s_cmp_eq_u32 s72, 2
	s_cbranch_scc1 .LBB409_10
; %bb.5:
	s_and_b32 s56, s57, 28
	s_mov_b32 s60, 0
	v_mov_b32_e32 v0, 0
	v_mov_b32_e32 v2, 0
	s_mov_b64 s[2:3], s[34:35]
	s_mov_b64 s[54:55], s[50:51]
	v_mov_b32_e32 v4, v8
.LBB409_6:                              ; =>This Inner Loop Header: Depth=1
	s_load_dwordx8 s[12:19], s[2:3], 0x4
	s_load_dwordx4 s[36:39], s[2:3], 0x24
	s_load_dwordx8 s[4:11], s[54:55], 0x0
	s_add_u32 s2, s2, 48
	s_addc_u32 s3, s3, 0
	s_waitcnt lgkmcnt(0)
	v_mul_hi_u32 v1, s13, v4
	v_add_u32_e32 v1, v4, v1
	v_lshrrev_b32_e32 v1, s14, v1
	v_mul_lo_u32 v3, v1, s12
	v_mul_hi_u32 v5, s16, v1
	v_sub_u32_e32 v3, v4, v3
	v_add_u32_e32 v4, v1, v5
	v_lshrrev_b32_e32 v4, s17, v4
	v_mul_lo_u32 v6, v4, s15
	v_mul_hi_u32 v7, s19, v4
	v_sub_u32_e32 v1, v1, v6
	v_add_u32_e32 v6, v4, v7
	v_mul_lo_u32 v5, v3, s5
	v_mul_lo_u32 v3, v3, s4
	;; [unrolled: 1-line block ×4, first 2 shown]
	v_lshrrev_b32_e32 v6, s36, v6
	v_add3_u32 v0, v3, v0, v1
	v_mul_hi_u32 v3, s38, v6
	v_add3_u32 v1, v5, v2, v7
	v_mul_lo_u32 v2, v6, s18
	v_add_u32_e32 v3, v6, v3
	v_sub_u32_e32 v2, v4, v2
	v_lshrrev_b32_e32 v4, s39, v3
	s_add_i32 s60, s60, 4
	v_mul_lo_u32 v3, v4, s37
	s_add_u32 s54, s54, 32
	v_sub_u32_e32 v3, v6, v3
	s_addc_u32 s55, s55, 0
	v_mul_lo_u32 v5, v2, s8
	v_mul_lo_u32 v2, v2, s9
	v_mul_lo_u32 v6, v3, s10
	v_mul_lo_u32 v3, v3, s11
	s_cmp_lg_u32 s56, s60
	v_add3_u32 v2, v2, v1, v3
	v_add3_u32 v0, v5, v0, v6
	s_cbranch_scc1 .LBB409_6
; %bb.7:
	v_mov_b32_e32 v1, v2
	s_branch .LBB409_11
.LBB409_8:
                                        ; implicit-def: $vgpr2
                                        ; implicit-def: $vgpr0
	s_branch .LBB409_15
.LBB409_9:
	v_mov_b32_e32 v2, 0
	v_mov_b32_e32 v0, 0
	s_branch .LBB409_14
.LBB409_10:
	v_mov_b32_e32 v0, 0
	s_mov_b32 s56, 0
	v_mov_b32_e32 v1, v0
                                        ; implicit-def: $vgpr2
	v_mov_b32_e32 v4, v8
.LBB409_11:
	s_and_b32 s6, s57, 3
	s_cmp_eq_u32 s6, 0
	s_cbranch_scc1 .LBB409_14
; %bb.12:
	s_lshl_b32 s2, s56, 3
	s_add_u32 s2, s34, s2
	s_addc_u32 s3, s35, 0
	s_add_u32 s2, s2, 0xc4
	s_addc_u32 s3, s3, 0
	s_mul_i32 s4, s56, 12
	s_add_u32 s4, s34, s4
	s_addc_u32 s5, s35, 0
.LBB409_13:                             ; =>This Inner Loop Header: Depth=1
	s_load_dwordx2 s[8:9], s[4:5], 0x4
	s_load_dword s7, s[4:5], 0xc
	s_load_dwordx2 s[10:11], s[2:3], 0x0
	v_mov_b32_e32 v2, v1
	s_add_u32 s4, s4, 12
	s_waitcnt lgkmcnt(0)
	v_mul_hi_u32 v1, s9, v4
	v_add_u32_e32 v1, v4, v1
	v_lshrrev_b32_e32 v1, s7, v1
	s_addc_u32 s5, s5, 0
	v_mul_lo_u32 v3, v1, s8
	s_add_u32 s2, s2, 8
	v_sub_u32_e32 v5, v4, v3
	s_addc_u32 s3, s3, 0
	s_add_i32 s6, s6, -1
	v_mov_b32_e32 v4, v1
	v_mad_u64_u32 v[2:3], s[8:9], v5, s11, v[2:3]
	v_mad_u64_u32 v[0:1], s[8:9], v5, s10, v[0:1]
	s_cmp_lg_u32 s6, 0
	v_mov_b32_e32 v1, v2
	s_cbranch_scc1 .LBB409_13
.LBB409_14:
	s_cbranch_execnz .LBB409_17
.LBB409_15:
	v_mul_hi_u32 v0, s25, v8
	v_add_u32_e32 v0, v8, v0
	v_lshrrev_b32_e32 v1, s26, v0
	v_mul_lo_u32 v0, v1, s24
	v_sub_u32_e32 v0, v8, v0
	v_mul_lo_u32 v2, v0, s29
	s_andn2_b64 vcc, exec, s[48:49]
	v_mul_lo_u32 v0, v0, s28
	s_cbranch_vccnz .LBB409_17
; %bb.16:
	v_mul_hi_u32 v3, s46, v1
	v_add_u32_e32 v3, v1, v3
	v_lshrrev_b32_e32 v3, s47, v3
	v_mul_lo_u32 v3, v3, s27
	v_sub_u32_e32 v3, v1, v3
	v_mad_u64_u32 v[0:1], s[2:3], v3, s30, v[0:1]
	v_mad_u64_u32 v[2:3], s[2:3], v3, s31, v[2:3]
.LBB409_17:
	v_mov_b32_e32 v3, 0
	s_and_b32 s10, 0xffff, s75
	s_cmp_lt_i32 s10, 11
	v_lshl_add_u64 v[2:3], s[22:23], 0, v[2:3]
	s_cbranch_scc1 .LBB409_24
; %bb.18:
	s_cmp_gt_i32 s10, 25
	s_cbranch_scc0 .LBB409_33
; %bb.19:
	s_cmp_gt_i32 s10, 28
	s_cbranch_scc0 .LBB409_36
	;; [unrolled: 3-line block ×4, first 2 shown]
; %bb.22:
	s_cmp_eq_u32 s10, 46
	s_mov_b64 s[6:7], 0
	s_cbranch_scc0 .LBB409_42
; %bb.23:
	global_load_dword v1, v[2:3], off
	s_mov_b64 s[2:3], -1
	s_mov_b64 s[4:5], 0
	s_waitcnt vmcnt(0)
	v_lshlrev_b32_e32 v1, 16, v1
	v_cvt_f16_f32_e32 v1, v1
	s_branch .LBB409_44
.LBB409_24:
	s_mov_b64 s[4:5], 0
                                        ; implicit-def: $vgpr1
	s_mov_b64 s[2:3], 0
	s_cbranch_execnz .LBB409_217
.LBB409_25:
	s_andn2_b64 vcc, exec, s[2:3]
	s_cbranch_vccnz .LBB409_264
.LBB409_26:
	s_waitcnt vmcnt(0)
	v_cmp_u_f16_e32 vcc, v1, v1
	v_cmp_lt_f16_e64 s[2:3], s74, v1
	v_mov_b32_e32 v2, s74
	s_or_b64 vcc, vcc, s[2:3]
	v_cndmask_b32_e32 v2, v2, v1, vcc
	v_mov_b32_e32 v1, 0
	s_and_b32 s12, s73, 0xff
	s_cmp_lt_i32 s12, 11
	v_lshl_add_u64 v[0:1], s[20:21], 0, v[0:1]
	s_cbranch_scc1 .LBB409_34
; %bb.27:
	s_and_b32 s13, 0xffff, s12
	s_cmp_gt_i32 s13, 25
	s_cbranch_scc0 .LBB409_37
; %bb.28:
	s_cmp_gt_i32 s13, 28
	s_cbranch_scc0 .LBB409_39
; %bb.29:
	;; [unrolled: 3-line block ×4, first 2 shown]
	s_mov_b64 s[8:9], 0
	s_mov_b64 s[2:3], -1
	s_cmp_eq_u32 s13, 46
	s_mov_b64 s[6:7], 0
	s_cbranch_scc0 .LBB409_48
; %bb.32:
	v_cvt_f32_f16_e32 v3, v2
	s_movk_i32 s2, 0x7fff
	v_cmp_o_f16_e32 vcc, v2, v2
	v_mov_b32_e32 v4, 0x7fc0
	v_bfe_u32 v5, v3, 16, 1
	v_add3_u32 v3, v3, v5, s2
	v_cndmask_b32_sdwa v3, v4, v3, vcc dst_sel:DWORD dst_unused:UNUSED_PAD src0_sel:DWORD src1_sel:WORD_1
	global_store_dword v[0:1], v3, off
	s_mov_b64 s[6:7], -1
	s_mov_b64 s[2:3], 0
	s_branch .LBB409_48
.LBB409_33:
	s_mov_b64 s[4:5], 0
	s_mov_b64 s[2:3], 0
                                        ; implicit-def: $vgpr1
	s_cbranch_execnz .LBB409_182
	s_branch .LBB409_216
.LBB409_34:
	s_mov_b64 s[2:3], 0
	s_mov_b64 s[6:7], 0
	s_cbranch_execnz .LBB409_117
.LBB409_35:
	s_andn2_b64 vcc, exec, s[6:7]
	s_cbranch_vccnz .LBB409_265
	s_branch .LBB409_155
.LBB409_36:
	s_mov_b64 s[6:7], -1
	s_mov_b64 s[4:5], 0
	s_mov_b64 s[2:3], 0
                                        ; implicit-def: $vgpr1
	s_branch .LBB409_163
.LBB409_37:
	s_mov_b64 s[8:9], -1
	s_mov_b64 s[2:3], 0
	s_mov_b64 s[6:7], 0
	s_branch .LBB409_75
.LBB409_38:
	s_mov_b64 s[6:7], -1
	s_mov_b64 s[4:5], 0
	s_mov_b64 s[2:3], 0
                                        ; implicit-def: $vgpr1
	s_branch .LBB409_158
.LBB409_39:
	s_mov_b64 s[8:9], -1
	s_mov_b64 s[2:3], 0
	s_mov_b64 s[6:7], 0
	s_branch .LBB409_58
.LBB409_40:
	s_mov_b64 s[6:7], -1
	s_mov_b64 s[4:5], 0
	s_branch .LBB409_43
.LBB409_41:
	s_mov_b64 s[8:9], -1
	s_mov_b64 s[2:3], 0
	s_mov_b64 s[6:7], 0
	s_branch .LBB409_54
.LBB409_42:
	s_mov_b64 s[4:5], -1
.LBB409_43:
	s_mov_b64 s[2:3], 0
                                        ; implicit-def: $vgpr1
.LBB409_44:
	s_and_b64 vcc, exec, s[6:7]
	s_cbranch_vccz .LBB409_157
; %bb.45:
	s_cmp_eq_u32 s10, 44
	s_cbranch_scc0 .LBB409_156
; %bb.46:
	global_load_ubyte v1, v[2:3], off
	s_movk_i32 s4, 0xff
	v_mov_b32_e32 v5, 0x7e00
	s_mov_b64 s[2:3], -1
	s_waitcnt vmcnt(0)
	v_lshlrev_b32_e32 v4, 23, v1
	v_cvt_f16_f32_e32 v4, v4
	v_cmp_ne_u32_e32 vcc, s4, v1
	s_mov_b64 s[4:5], 0
	s_nop 0
	v_cndmask_b32_e32 v4, v5, v4, vcc
	v_cmp_ne_u32_e32 vcc, 0, v1
	s_nop 1
	v_cndmask_b32_e32 v1, 0, v4, vcc
	s_branch .LBB409_157
.LBB409_47:
	s_mov_b64 s[8:9], -1
	s_mov_b64 s[2:3], 0
	s_mov_b64 s[6:7], 0
.LBB409_48:
	s_and_b64 vcc, exec, s[8:9]
	s_cbranch_vccz .LBB409_53
; %bb.49:
	s_cmp_eq_u32 s13, 44
	s_mov_b64 s[2:3], -1
	s_cbranch_scc0 .LBB409_53
; %bb.50:
	v_cvt_f32_f16_e32 v3, v2
	s_movk_i32 s2, 0xff
	v_mov_b32_e32 v5, 0xff
	v_bfe_u32 v4, v3, 23, 8
	v_cmp_ne_u32_e32 vcc, s2, v4
	s_and_saveexec_b64 s[6:7], vcc
; %bb.51:
	s_mov_b32 s2, 0x3fffff
	v_lshrrev_b32_e32 v5, 23, v3
	v_and_b32_e32 v6, 0x400000, v3
	v_and_or_b32 v3, v3, s2, v4
	v_cmp_ne_u32_e32 vcc, 0, v6
	v_cmp_ne_u32_e64 s[2:3], 0, v3
	s_and_b64 s[2:3], vcc, s[2:3]
	s_nop 0
	v_cndmask_b32_e64 v3, 0, 1, s[2:3]
	v_add_u32_e32 v5, v5, v3
; %bb.52:
	s_or_b64 exec, exec, s[6:7]
	s_mov_b64 s[6:7], -1
	s_mov_b64 s[2:3], 0
	global_store_byte v[0:1], v5, off
.LBB409_53:
	s_mov_b64 s[8:9], 0
.LBB409_54:
	s_and_b64 vcc, exec, s[8:9]
	s_cbranch_vccz .LBB409_57
; %bb.55:
	s_cmp_eq_u32 s13, 29
	s_mov_b64 s[2:3], -1
	s_cbranch_scc0 .LBB409_57
; %bb.56:
	v_cvt_f32_f16_e32 v3, v2
	v_mov_b32_e32 v5, 0
	s_mov_b64 s[6:7], -1
	s_mov_b64 s[2:3], 0
	v_cvt_u32_f32_e32 v4, v3
	s_mov_b64 s[8:9], 0
	global_store_dwordx2 v[0:1], v[4:5], off
	s_branch .LBB409_58
.LBB409_57:
	s_mov_b64 s[8:9], 0
.LBB409_58:
	s_and_b64 vcc, exec, s[8:9]
	s_cbranch_vccz .LBB409_74
; %bb.59:
	s_cmp_lt_i32 s13, 27
	s_mov_b64 s[6:7], -1
	s_cbranch_scc1 .LBB409_65
; %bb.60:
	s_cmp_gt_i32 s13, 27
	s_cbranch_scc0 .LBB409_62
; %bb.61:
	v_cvt_f32_f16_e32 v3, v2
	s_mov_b64 s[6:7], 0
	v_cvt_u32_f32_e32 v3, v3
	global_store_dword v[0:1], v3, off
.LBB409_62:
	s_andn2_b64 vcc, exec, s[6:7]
	s_cbranch_vccnz .LBB409_64
; %bb.63:
	v_cvt_u16_f16_e32 v3, v2
	global_store_short v[0:1], v3, off
.LBB409_64:
	s_mov_b64 s[6:7], 0
.LBB409_65:
	s_andn2_b64 vcc, exec, s[6:7]
	s_cbranch_vccnz .LBB409_73
; %bb.66:
	v_cvt_f32_f16_e32 v3, v2
	s_mov_b32 s6, 0x43800000
	v_mov_b32_e32 v5, 0x80
	v_and_b32_e32 v4, 0x7fffffff, v3
	v_cmp_gt_u32_e32 vcc, s6, v4
	s_and_saveexec_b64 s[6:7], vcc
	s_cbranch_execz .LBB409_72
; %bb.67:
	s_mov_b32 s8, 0x3bffffff
	v_cmp_lt_u32_e32 vcc, s8, v4
	s_mov_b64 s[8:9], 0
                                        ; implicit-def: $vgpr4
	s_and_saveexec_b64 s[10:11], vcc
	s_xor_b64 s[10:11], exec, s[10:11]
	s_cbranch_execz .LBB409_309
; %bb.68:
	v_bfe_u32 v4, v3, 20, 1
	s_mov_b32 s14, 0x487ffff
	v_add3_u32 v4, v3, v4, s14
	s_mov_b64 s[8:9], exec
	v_lshrrev_b32_e32 v4, 20, v4
	s_andn2_saveexec_b64 s[10:11], s[10:11]
	s_cbranch_execnz .LBB409_310
.LBB409_69:
	s_or_b64 exec, exec, s[10:11]
	v_mov_b32_e32 v5, 0
	s_and_saveexec_b64 s[10:11], s[8:9]
.LBB409_70:
	v_lshrrev_b32_e32 v3, 24, v3
	s_movk_i32 s8, 0x80
	v_and_or_b32 v5, v3, s8, v4
.LBB409_71:
	s_or_b64 exec, exec, s[10:11]
.LBB409_72:
	s_or_b64 exec, exec, s[6:7]
	global_store_byte v[0:1], v5, off
.LBB409_73:
	s_mov_b64 s[6:7], -1
.LBB409_74:
	s_mov_b64 s[8:9], 0
.LBB409_75:
	s_and_b64 vcc, exec, s[8:9]
	s_cbranch_vccz .LBB409_116
; %bb.76:
	s_cmp_gt_i32 s13, 22
	s_mov_b64 s[8:9], -1
	s_cbranch_scc0 .LBB409_108
; %bb.77:
	s_cmp_lt_i32 s13, 24
	s_mov_b64 s[6:7], -1
	s_cbranch_scc1 .LBB409_97
; %bb.78:
	s_cmp_gt_i32 s13, 24
	s_cbranch_scc0 .LBB409_86
; %bb.79:
	v_cvt_f32_f16_e32 v3, v2
	s_mov_b32 s6, 0x47800000
	v_mov_b32_e32 v5, 0x80
	v_and_b32_e32 v4, 0x7fffffff, v3
	v_cmp_gt_u32_e32 vcc, s6, v4
	s_and_saveexec_b64 s[6:7], vcc
	s_cbranch_execz .LBB409_85
; %bb.80:
	s_mov_b32 s8, 0x37ffffff
	v_cmp_lt_u32_e32 vcc, s8, v4
	s_mov_b64 s[8:9], 0
                                        ; implicit-def: $vgpr4
	s_and_saveexec_b64 s[10:11], vcc
	s_xor_b64 s[10:11], exec, s[10:11]
	s_cbranch_execz .LBB409_313
; %bb.81:
	v_bfe_u32 v4, v3, 21, 1
	s_mov_b32 s14, 0x88fffff
	v_add3_u32 v4, v3, v4, s14
	s_mov_b64 s[8:9], exec
	v_lshrrev_b32_e32 v4, 21, v4
	s_andn2_saveexec_b64 s[10:11], s[10:11]
	s_cbranch_execnz .LBB409_314
.LBB409_82:
	s_or_b64 exec, exec, s[10:11]
	v_mov_b32_e32 v5, 0
	s_and_saveexec_b64 s[10:11], s[8:9]
.LBB409_83:
	v_lshrrev_b32_e32 v3, 24, v3
	s_movk_i32 s8, 0x80
	v_and_or_b32 v5, v3, s8, v4
.LBB409_84:
	s_or_b64 exec, exec, s[10:11]
.LBB409_85:
	s_or_b64 exec, exec, s[6:7]
	s_mov_b64 s[6:7], 0
	global_store_byte v[0:1], v5, off
.LBB409_86:
	s_and_b64 vcc, exec, s[6:7]
	s_cbranch_vccz .LBB409_96
; %bb.87:
	v_cvt_f32_f16_e32 v3, v2
	s_mov_b32 s6, 0x43f00000
                                        ; implicit-def: $vgpr4
	v_and_b32_e32 v5, 0x7fffffff, v3
	v_cmp_gt_u32_e32 vcc, s6, v5
	s_and_saveexec_b64 s[6:7], vcc
	s_xor_b64 s[6:7], exec, s[6:7]
	s_cbranch_execz .LBB409_93
; %bb.88:
	s_mov_b32 s8, 0x3c7fffff
	v_cmp_lt_u32_e32 vcc, s8, v5
                                        ; implicit-def: $vgpr4
	s_and_saveexec_b64 s[8:9], vcc
	s_xor_b64 s[8:9], exec, s[8:9]
; %bb.89:
	v_bfe_u32 v4, v3, 20, 1
	s_mov_b32 s10, 0x407ffff
	v_add3_u32 v4, v3, v4, s10
	v_lshrrev_b32_e32 v5, 20, v4
	v_and_b32_e32 v4, 0xff00000, v4
	s_mov_b32 s10, 0x7f00000
	v_mov_b32_e32 v6, 0x7e
	v_cmp_ne_u32_e32 vcc, s10, v4
	s_nop 1
	v_cndmask_b32_e32 v4, v6, v5, vcc
; %bb.90:
	s_andn2_saveexec_b64 s[8:9], s[8:9]
; %bb.91:
	s_mov_b32 s10, 0x46800000
	v_add_f32_e64 v4, |v3|, s10
; %bb.92:
	s_or_b64 exec, exec, s[8:9]
                                        ; implicit-def: $vgpr5
.LBB409_93:
	s_andn2_saveexec_b64 s[6:7], s[6:7]
; %bb.94:
	s_mov_b32 s8, 0x7f800000
	v_mov_b32_e32 v4, 0x7e
	v_mov_b32_e32 v6, 0x7f
	v_cmp_lt_u32_e32 vcc, s8, v5
	s_nop 1
	v_cndmask_b32_e32 v4, v4, v6, vcc
; %bb.95:
	s_or_b64 exec, exec, s[6:7]
	v_lshrrev_b32_e32 v3, 24, v3
	s_movk_i32 s6, 0x80
	v_and_or_b32 v3, v3, s6, v4
	global_store_byte v[0:1], v3, off
.LBB409_96:
	s_mov_b64 s[6:7], 0
.LBB409_97:
	s_andn2_b64 vcc, exec, s[6:7]
	s_cbranch_vccnz .LBB409_107
; %bb.98:
	v_cvt_f32_f16_e32 v3, v2
	s_mov_b32 s6, 0x47800000
                                        ; implicit-def: $vgpr4
	v_and_b32_e32 v5, 0x7fffffff, v3
	v_cmp_gt_u32_e32 vcc, s6, v5
	s_and_saveexec_b64 s[6:7], vcc
	s_xor_b64 s[6:7], exec, s[6:7]
	s_cbranch_execz .LBB409_104
; %bb.99:
	s_mov_b32 s8, 0x387fffff
	v_cmp_lt_u32_e32 vcc, s8, v5
                                        ; implicit-def: $vgpr4
	s_and_saveexec_b64 s[8:9], vcc
	s_xor_b64 s[8:9], exec, s[8:9]
; %bb.100:
	v_bfe_u32 v4, v3, 21, 1
	s_mov_b32 s10, 0x80fffff
	v_add3_u32 v4, v3, v4, s10
	v_lshrrev_b32_e32 v4, 21, v4
; %bb.101:
	s_andn2_saveexec_b64 s[8:9], s[8:9]
; %bb.102:
	s_mov_b32 s10, 0x43000000
	v_add_f32_e64 v4, |v3|, s10
; %bb.103:
	s_or_b64 exec, exec, s[8:9]
                                        ; implicit-def: $vgpr5
.LBB409_104:
	s_andn2_saveexec_b64 s[6:7], s[6:7]
; %bb.105:
	s_mov_b32 s8, 0x7f800000
	v_mov_b32_e32 v4, 0x7c
	v_mov_b32_e32 v6, 0x7f
	v_cmp_lt_u32_e32 vcc, s8, v5
	s_nop 1
	v_cndmask_b32_e32 v4, v4, v6, vcc
; %bb.106:
	s_or_b64 exec, exec, s[6:7]
	v_lshrrev_b32_e32 v3, 24, v3
	s_movk_i32 s6, 0x80
	v_and_or_b32 v3, v3, s6, v4
	global_store_byte v[0:1], v3, off
.LBB409_107:
	s_mov_b64 s[8:9], 0
	s_mov_b64 s[6:7], -1
.LBB409_108:
	s_andn2_b64 vcc, exec, s[8:9]
	s_cbranch_vccnz .LBB409_116
; %bb.109:
	s_cmp_gt_i32 s13, 14
	s_mov_b64 s[8:9], -1
	s_cbranch_scc0 .LBB409_113
; %bb.110:
	s_cmp_eq_u32 s13, 15
	s_mov_b64 s[2:3], -1
	s_cbranch_scc0 .LBB409_112
; %bb.111:
	v_cvt_f32_f16_e32 v3, v2
	s_movk_i32 s2, 0x7fff
	v_cmp_o_f16_e32 vcc, v2, v2
	v_mov_b32_e32 v4, 0x7fc0
	v_bfe_u32 v5, v3, 16, 1
	v_add3_u32 v3, v3, v5, s2
	v_cndmask_b32_sdwa v3, v4, v3, vcc dst_sel:DWORD dst_unused:UNUSED_PAD src0_sel:DWORD src1_sel:WORD_1
	global_store_short v[0:1], v3, off
	s_mov_b64 s[6:7], -1
	s_mov_b64 s[2:3], 0
.LBB409_112:
	s_mov_b64 s[8:9], 0
.LBB409_113:
	s_and_b64 vcc, exec, s[8:9]
	s_cbranch_vccz .LBB409_116
; %bb.114:
	s_cmp_eq_u32 s13, 11
	s_mov_b64 s[2:3], -1
	s_cbranch_scc0 .LBB409_116
; %bb.115:
	v_and_b32_e32 v3, 0x7fff, v2
	v_cmp_ne_u16_e32 vcc, 0, v3
	s_mov_b64 s[6:7], -1
	s_mov_b64 s[2:3], 0
	v_cndmask_b32_e64 v3, 0, 1, vcc
	global_store_byte v[0:1], v3, off
.LBB409_116:
	s_branch .LBB409_35
.LBB409_117:
	s_and_b32 s8, 0xffff, s12
	s_cmp_lt_i32 s8, 5
	s_mov_b64 s[6:7], -1
	s_cbranch_scc1 .LBB409_138
; %bb.118:
	s_cmp_lt_i32 s8, 8
	s_cbranch_scc1 .LBB409_128
; %bb.119:
	s_cmp_lt_i32 s8, 9
	s_cbranch_scc1 .LBB409_125
; %bb.120:
	s_cmp_gt_i32 s8, 9
	s_cbranch_scc0 .LBB409_122
; %bb.121:
	v_cvt_f32_f16_e32 v3, v2
	v_mov_b32_e32 v6, 0
	v_mov_b32_e32 v7, v6
	s_mov_b64 s[6:7], 0
	v_cvt_f64_f32_e32 v[4:5], v3
	global_store_dwordx4 v[0:1], v[4:7], off
.LBB409_122:
	s_andn2_b64 vcc, exec, s[6:7]
	s_cbranch_vccnz .LBB409_124
; %bb.123:
	v_cvt_f32_f16_e32 v4, v2
	v_mov_b32_e32 v5, 0
	global_store_dwordx2 v[0:1], v[4:5], off
.LBB409_124:
	s_mov_b64 s[6:7], 0
.LBB409_125:
	s_andn2_b64 vcc, exec, s[6:7]
	s_cbranch_vccnz .LBB409_127
; %bb.126:
	v_and_b32_e32 v3, 0xffff, v2
	global_store_dword v[0:1], v3, off
.LBB409_127:
	s_mov_b64 s[6:7], 0
.LBB409_128:
	s_andn2_b64 vcc, exec, s[6:7]
	s_cbranch_vccnz .LBB409_137
; %bb.129:
	s_cmp_lt_i32 s8, 6
	s_mov_b64 s[6:7], -1
	s_cbranch_scc1 .LBB409_135
; %bb.130:
	s_cmp_gt_i32 s8, 6
	s_cbranch_scc0 .LBB409_132
; %bb.131:
	v_cvt_f32_f16_e32 v3, v2
	s_mov_b64 s[6:7], 0
	v_cvt_f64_f32_e32 v[4:5], v3
	global_store_dwordx2 v[0:1], v[4:5], off
.LBB409_132:
	s_andn2_b64 vcc, exec, s[6:7]
	s_cbranch_vccnz .LBB409_134
; %bb.133:
	v_cvt_f32_f16_e32 v3, v2
	global_store_dword v[0:1], v3, off
.LBB409_134:
	s_mov_b64 s[6:7], 0
.LBB409_135:
	s_andn2_b64 vcc, exec, s[6:7]
	s_cbranch_vccnz .LBB409_137
; %bb.136:
	global_store_short v[0:1], v2, off
.LBB409_137:
	s_mov_b64 s[6:7], 0
.LBB409_138:
	s_andn2_b64 vcc, exec, s[6:7]
	s_cbranch_vccnz .LBB409_154
; %bb.139:
	s_cmp_lt_i32 s8, 2
	s_mov_b64 s[6:7], -1
	s_cbranch_scc1 .LBB409_149
; %bb.140:
	s_cmp_lt_i32 s8, 3
	s_cbranch_scc1 .LBB409_146
; %bb.141:
	s_cmp_gt_i32 s8, 3
	s_cbranch_scc0 .LBB409_143
; %bb.142:
	v_cvt_f32_f16_e32 v3, v2
	s_mov_b64 s[6:7], 0
	v_cvt_i32_f32_e32 v4, v3
	v_ashrrev_i32_e32 v5, 31, v4
	global_store_dwordx2 v[0:1], v[4:5], off
.LBB409_143:
	s_andn2_b64 vcc, exec, s[6:7]
	s_cbranch_vccnz .LBB409_145
; %bb.144:
	v_cvt_f32_f16_e32 v3, v2
	v_cvt_i32_f32_e32 v3, v3
	global_store_dword v[0:1], v3, off
.LBB409_145:
	s_mov_b64 s[6:7], 0
.LBB409_146:
	s_andn2_b64 vcc, exec, s[6:7]
	s_cbranch_vccnz .LBB409_148
; %bb.147:
	v_cvt_i16_f16_e32 v3, v2
	global_store_short v[0:1], v3, off
.LBB409_148:
	s_mov_b64 s[6:7], 0
.LBB409_149:
	s_andn2_b64 vcc, exec, s[6:7]
	s_cbranch_vccnz .LBB409_154
; %bb.150:
	s_cmp_gt_i32 s8, 0
	s_mov_b64 s[6:7], -1
	s_cbranch_scc0 .LBB409_152
; %bb.151:
	v_cvt_i16_f16_e32 v3, v2
	global_store_byte v[0:1], v3, off
	s_mov_b64 s[6:7], 0
.LBB409_152:
	s_andn2_b64 vcc, exec, s[6:7]
	s_cbranch_vccnz .LBB409_154
; %bb.153:
	v_cvt_f32_f16_e32 v2, v2
	v_cvt_i32_f32_e32 v2, v2
	global_store_byte v[0:1], v2, off
.LBB409_154:
.LBB409_155:
	v_add_u32_e32 v8, 0x80, v8
	s_mov_b64 s[6:7], -1
	s_branch .LBB409_266
.LBB409_156:
	s_mov_b64 s[4:5], -1
                                        ; implicit-def: $vgpr1
.LBB409_157:
	s_mov_b64 s[6:7], 0
.LBB409_158:
	s_and_b64 vcc, exec, s[6:7]
	s_cbranch_vccz .LBB409_162
; %bb.159:
	s_cmp_eq_u32 s10, 29
	s_cbranch_scc0 .LBB409_161
; %bb.160:
	global_load_dwordx2 v[4:5], v[2:3], off
	s_mov_b64 s[2:3], -1
	s_mov_b64 s[4:5], 0
	s_mov_b64 s[6:7], 0
	s_waitcnt vmcnt(0)
	v_ffbh_u32_e32 v1, v5
	v_min_u32_e32 v1, 32, v1
	v_lshlrev_b64 v[4:5], v1, v[4:5]
	v_min_u32_e32 v4, 1, v4
	v_or_b32_e32 v4, v5, v4
	v_cvt_f32_u32_e32 v4, v4
	v_sub_u32_e32 v1, 32, v1
	v_ldexp_f32 v1, v4, v1
	v_cvt_f16_f32_e32 v1, v1
	s_branch .LBB409_163
.LBB409_161:
	s_mov_b64 s[4:5], -1
                                        ; implicit-def: $vgpr1
.LBB409_162:
	s_mov_b64 s[6:7], 0
.LBB409_163:
	s_and_b64 vcc, exec, s[6:7]
	s_cbranch_vccz .LBB409_181
; %bb.164:
	s_cmp_lt_i32 s10, 27
	s_cbranch_scc1 .LBB409_167
; %bb.165:
	s_cmp_gt_i32 s10, 27
	s_cbranch_scc0 .LBB409_168
; %bb.166:
	global_load_dword v1, v[2:3], off
	s_mov_b64 s[2:3], 0
	s_waitcnt vmcnt(0)
	v_cvt_f32_u32_e32 v1, v1
	v_cvt_f16_f32_e32 v1, v1
	s_branch .LBB409_169
.LBB409_167:
	s_mov_b64 s[2:3], -1
                                        ; implicit-def: $vgpr1
	s_branch .LBB409_172
.LBB409_168:
	s_mov_b64 s[2:3], -1
                                        ; implicit-def: $vgpr1
.LBB409_169:
	s_andn2_b64 vcc, exec, s[2:3]
	s_cbranch_vccnz .LBB409_171
; %bb.170:
	global_load_ushort v1, v[2:3], off
	s_waitcnt vmcnt(0)
	v_cvt_f16_u16_e32 v1, v1
.LBB409_171:
	s_mov_b64 s[2:3], 0
.LBB409_172:
	s_andn2_b64 vcc, exec, s[2:3]
	s_cbranch_vccnz .LBB409_180
; %bb.173:
	global_load_ubyte v4, v[2:3], off
	s_movk_i32 s2, 0x7f
	s_waitcnt vmcnt(0)
	v_cmp_lt_i16_e32 vcc, s2, v4
	s_mov_b64 s[2:3], 0
	s_and_saveexec_b64 s[6:7], vcc
	s_xor_b64 s[6:7], exec, s[6:7]
	s_cbranch_execz .LBB409_193
; %bb.174:
	s_movk_i32 s2, 0x80
	v_cmp_eq_u16_e32 vcc, s2, v4
	s_mov_b64 s[2:3], -1
	s_and_saveexec_b64 s[8:9], vcc
; %bb.175:
	s_xor_b64 s[2:3], exec, -1
; %bb.176:
	s_or_b64 exec, exec, s[8:9]
	s_and_b64 s[2:3], s[2:3], exec
	s_or_saveexec_b64 s[6:7], s[6:7]
	v_mov_b32_e32 v1, 0x7e00
	s_xor_b64 exec, exec, s[6:7]
	s_cbranch_execnz .LBB409_194
.LBB409_177:
	s_or_b64 exec, exec, s[6:7]
	s_and_saveexec_b64 s[6:7], s[2:3]
	s_cbranch_execz .LBB409_179
.LBB409_178:
	v_lshlrev_b32_e32 v1, 24, v4
	v_and_b32_e32 v4, 0xffff, v4
	v_and_b32_e32 v5, 7, v4
	v_ffbh_u32_e32 v7, v5
	v_min_u32_e32 v7, 32, v7
	v_subrev_u32_e32 v9, 28, v7
	v_bfe_u32 v6, v4, 3, 4
	v_lshlrev_b32_e32 v4, v9, v4
	v_sub_u32_e32 v7, 29, v7
	v_and_b32_e32 v4, 7, v4
	v_cmp_eq_u32_e32 vcc, 0, v6
	v_and_b32_e32 v1, 0x80000000, v1
	s_nop 0
	v_cndmask_b32_e32 v6, v6, v7, vcc
	v_cndmask_b32_e32 v4, v5, v4, vcc
	v_mov_b32_e32 v5, 0x3b800000
	v_lshlrev_b32_e32 v4, 20, v4
	v_lshl_add_u32 v5, v6, 23, v5
	v_or3_b32 v1, v1, v5, v4
	v_cvt_f16_f32_e32 v1, v1
.LBB409_179:
	s_or_b64 exec, exec, s[6:7]
.LBB409_180:
	s_mov_b64 s[2:3], -1
.LBB409_181:
	s_branch .LBB409_216
.LBB409_182:
	s_cmp_gt_i32 s10, 22
	s_cbranch_scc0 .LBB409_192
; %bb.183:
	s_cmp_lt_i32 s10, 24
	s_cbranch_scc1 .LBB409_195
; %bb.184:
	s_cmp_gt_i32 s10, 24
	s_cbranch_scc0 .LBB409_196
; %bb.185:
	global_load_ubyte v4, v[2:3], off
	s_movk_i32 s2, 0x7f
	s_waitcnt vmcnt(0)
	v_cmp_lt_i16_e32 vcc, s2, v4
	s_mov_b64 s[2:3], 0
	s_and_saveexec_b64 s[6:7], vcc
	s_xor_b64 s[6:7], exec, s[6:7]
	s_cbranch_execz .LBB409_208
; %bb.186:
	s_movk_i32 s2, 0x80
	v_cmp_eq_u16_e32 vcc, s2, v4
	s_mov_b64 s[2:3], -1
	s_and_saveexec_b64 s[8:9], vcc
; %bb.187:
	s_xor_b64 s[2:3], exec, -1
; %bb.188:
	s_or_b64 exec, exec, s[8:9]
	s_and_b64 s[2:3], s[2:3], exec
	s_or_saveexec_b64 s[6:7], s[6:7]
	v_mov_b32_e32 v1, 0x7e00
	s_xor_b64 exec, exec, s[6:7]
	s_cbranch_execnz .LBB409_209
.LBB409_189:
	s_or_b64 exec, exec, s[6:7]
	s_and_saveexec_b64 s[6:7], s[2:3]
	s_cbranch_execz .LBB409_191
.LBB409_190:
	v_lshlrev_b32_e32 v1, 24, v4
	v_and_b32_e32 v4, 0xffff, v4
	v_and_b32_e32 v5, 3, v4
	v_ffbh_u32_e32 v7, v5
	v_min_u32_e32 v7, 32, v7
	v_subrev_u32_e32 v9, 29, v7
	v_bfe_u32 v6, v4, 2, 5
	v_lshlrev_b32_e32 v4, v9, v4
	v_sub_u32_e32 v7, 30, v7
	v_and_b32_e32 v4, 3, v4
	v_cmp_eq_u32_e32 vcc, 0, v6
	v_and_b32_e32 v1, 0x80000000, v1
	s_nop 0
	v_cndmask_b32_e32 v6, v6, v7, vcc
	v_cndmask_b32_e32 v4, v5, v4, vcc
	v_mov_b32_e32 v5, 0x37800000
	v_lshlrev_b32_e32 v4, 21, v4
	v_lshl_add_u32 v5, v6, 23, v5
	v_or3_b32 v1, v1, v5, v4
	v_cvt_f16_f32_e32 v1, v1
.LBB409_191:
	s_or_b64 exec, exec, s[6:7]
	s_mov_b64 s[2:3], 0
	s_branch .LBB409_197
.LBB409_192:
	s_mov_b64 s[6:7], -1
                                        ; implicit-def: $vgpr1
	s_branch .LBB409_203
.LBB409_193:
	s_or_saveexec_b64 s[6:7], s[6:7]
	v_mov_b32_e32 v1, 0x7e00
	s_xor_b64 exec, exec, s[6:7]
	s_cbranch_execz .LBB409_177
.LBB409_194:
	v_cmp_ne_u16_e32 vcc, 0, v4
	s_andn2_b64 s[2:3], s[2:3], exec
	s_and_b64 s[8:9], vcc, exec
	s_or_b64 s[2:3], s[2:3], s[8:9]
	v_mov_b32_e32 v1, v4
	s_or_b64 exec, exec, s[6:7]
	s_and_saveexec_b64 s[6:7], s[2:3]
	s_cbranch_execnz .LBB409_178
	s_branch .LBB409_179
.LBB409_195:
	s_mov_b64 s[2:3], -1
                                        ; implicit-def: $vgpr1
	s_branch .LBB409_200
.LBB409_196:
	s_mov_b64 s[2:3], -1
                                        ; implicit-def: $vgpr1
.LBB409_197:
	s_and_b64 vcc, exec, s[2:3]
	s_cbranch_vccz .LBB409_199
; %bb.198:
	global_load_ubyte v1, v[2:3], off
	s_mov_b32 s2, 0x7f800000
	s_waitcnt vmcnt(0)
	v_lshlrev_b32_e32 v1, 24, v1
	v_and_b32_e32 v4, 0x7f000000, v1
	v_ffbh_u32_e32 v5, v4
	v_min_u32_e32 v5, 32, v5
	v_sub_u32_e64 v5, v5, 4 clamp
	v_lshlrev_b32_e32 v7, v5, v4
	v_lshlrev_b32_e32 v5, 23, v5
	v_lshrrev_b32_e32 v7, 4, v7
	v_add_u32_e32 v6, 0x1000000, v4
	v_sub_u32_e32 v5, v7, v5
	v_ashrrev_i32_e32 v6, 8, v6
	v_add_u32_e32 v5, 0x3c000000, v5
	v_and_or_b32 v5, v6, s2, v5
	v_cmp_ne_u32_e32 vcc, 0, v4
	s_brev_b32 s2, 1
	s_nop 0
	v_cndmask_b32_e32 v4, 0, v5, vcc
	v_and_or_b32 v1, v1, s2, v4
	v_cvt_f16_f32_e32 v1, v1
.LBB409_199:
	s_mov_b64 s[2:3], 0
.LBB409_200:
	s_andn2_b64 vcc, exec, s[2:3]
	s_cbranch_vccnz .LBB409_202
; %bb.201:
	global_load_ubyte v1, v[2:3], off
	s_movk_i32 s2, 0x7f00
	s_brev_b32 s3, 16
	s_waitcnt vmcnt(0)
	v_lshlrev_b16_e32 v4, 8, v1
	v_lshlrev_b32_e32 v1, 25, v1
	v_lshrrev_b32_e32 v5, 4, v1
	v_and_or_b32 v6, v4, s2, 0.5
	v_or_b32_e32 v5, 0x70000000, v5
	v_add_f32_e32 v6, -0.5, v6
	v_mul_f32_e32 v5, 0x7800000, v5
	v_cmp_gt_u32_e32 vcc, s3, v1
	v_bfe_i32 v4, v4, 0, 16
	s_brev_b32 s2, 1
	v_cndmask_b32_e32 v1, v5, v6, vcc
	v_and_or_b32 v1, v4, s2, v1
	v_cvt_f16_f32_e32 v1, v1
.LBB409_202:
	s_mov_b64 s[6:7], 0
	s_mov_b64 s[2:3], -1
.LBB409_203:
	s_andn2_b64 vcc, exec, s[6:7]
	s_cbranch_vccnz .LBB409_216
; %bb.204:
	s_cmp_gt_i32 s10, 14
	s_cbranch_scc0 .LBB409_207
; %bb.205:
	s_cmp_eq_u32 s10, 15
	s_cbranch_scc0 .LBB409_210
; %bb.206:
	global_load_ushort v1, v[2:3], off
	s_mov_b64 s[2:3], -1
	s_mov_b64 s[4:5], 0
	s_waitcnt vmcnt(0)
	v_lshlrev_b32_e32 v1, 16, v1
	v_cvt_f16_f32_e32 v1, v1
	s_branch .LBB409_211
.LBB409_207:
	s_mov_b64 s[6:7], -1
                                        ; implicit-def: $vgpr1
	s_branch .LBB409_212
.LBB409_208:
	s_or_saveexec_b64 s[6:7], s[6:7]
	v_mov_b32_e32 v1, 0x7e00
	s_xor_b64 exec, exec, s[6:7]
	s_cbranch_execz .LBB409_189
.LBB409_209:
	v_cmp_ne_u16_e32 vcc, 0, v4
	s_andn2_b64 s[2:3], s[2:3], exec
	s_and_b64 s[8:9], vcc, exec
	s_or_b64 s[2:3], s[2:3], s[8:9]
	v_mov_b32_e32 v1, v4
	s_or_b64 exec, exec, s[6:7]
	s_and_saveexec_b64 s[6:7], s[2:3]
	s_cbranch_execnz .LBB409_190
	s_branch .LBB409_191
.LBB409_210:
	s_mov_b64 s[4:5], -1
                                        ; implicit-def: $vgpr1
.LBB409_211:
	s_mov_b64 s[6:7], 0
.LBB409_212:
	s_and_b64 vcc, exec, s[6:7]
	s_cbranch_vccz .LBB409_216
; %bb.213:
	s_cmp_eq_u32 s10, 11
	s_cbranch_scc0 .LBB409_215
; %bb.214:
	global_load_ubyte v1, v[2:3], off
	v_mov_b32_e32 v4, 0x3c00
	s_mov_b64 s[2:3], -1
	s_mov_b64 s[4:5], 0
	s_waitcnt vmcnt(0)
	v_cmp_ne_u16_e32 vcc, 0, v1
	s_nop 1
	v_cndmask_b32_e32 v1, 0, v4, vcc
	s_branch .LBB409_216
.LBB409_215:
	s_mov_b64 s[4:5], -1
                                        ; implicit-def: $vgpr1
.LBB409_216:
	s_branch .LBB409_25
.LBB409_217:
	s_cmp_lt_i32 s10, 5
	s_cbranch_scc1 .LBB409_222
; %bb.218:
	s_cmp_lt_i32 s10, 8
	s_cbranch_scc1 .LBB409_223
; %bb.219:
	;; [unrolled: 3-line block ×3, first 2 shown]
	s_cmp_gt_i32 s10, 9
	s_cbranch_scc0 .LBB409_225
; %bb.221:
	global_load_dwordx2 v[4:5], v[2:3], off
	s_movk_i32 s2, 0x1ff
	s_movk_i32 s3, 0xffe
	v_mov_b32_e32 v1, 0x7c00
	v_mov_b32_e32 v6, 0x7e00
	s_movk_i32 s6, 0x40f
	s_mov_b32 s7, 0x8000
	s_waitcnt vmcnt(0)
	v_and_or_b32 v4, v5, s2, v4
	v_cmp_ne_u32_e32 vcc, 0, v4
	v_lshrrev_b32_e32 v7, 8, v5
	v_bfe_u32 v9, v5, 20, 11
	v_cndmask_b32_e64 v4, 0, 1, vcc
	v_sub_u32_e32 v10, 0x3f1, v9
	v_and_or_b32 v4, v7, s3, v4
	v_add_u32_e32 v9, 0xfffffc10, v9
	v_med3_i32 v7, v10, 0, 13
	v_or_b32_e32 v10, 0x1000, v4
	v_cmp_ne_u32_e32 vcc, 0, v4
	v_lshl_or_b32 v11, v9, 12, v4
	v_lshrrev_b32_e32 v5, 16, v5
	v_cndmask_b32_e32 v4, v1, v6, vcc
	v_lshrrev_b32_e32 v6, v7, v10
	v_lshlrev_b32_e32 v7, v7, v6
	v_cmp_ne_u32_e32 vcc, v7, v10
	s_mov_b64 s[2:3], 0
	s_nop 0
	v_cndmask_b32_e64 v7, 0, 1, vcc
	v_or_b32_e32 v6, v6, v7
	v_cmp_gt_i32_e32 vcc, 1, v9
	s_nop 1
	v_cndmask_b32_e32 v6, v11, v6, vcc
	v_and_b32_e32 v7, 7, v6
	v_cmp_lt_i32_e32 vcc, 5, v7
	v_lshrrev_b32_e32 v6, 2, v6
	s_nop 0
	v_cndmask_b32_e64 v10, 0, 1, vcc
	v_cmp_eq_u32_e32 vcc, 3, v7
	s_nop 1
	v_cndmask_b32_e64 v7, 0, 1, vcc
	v_or_b32_e32 v7, v7, v10
	v_add_u32_e32 v6, v6, v7
	v_cmp_gt_i32_e32 vcc, 31, v9
	s_nop 1
	v_cndmask_b32_e32 v1, v1, v6, vcc
	v_cmp_eq_u32_e32 vcc, s6, v9
	s_nop 1
	v_cndmask_b32_e32 v1, v1, v4, vcc
	v_and_or_b32 v1, v5, s7, v1
	s_branch .LBB409_226
.LBB409_222:
                                        ; implicit-def: $vgpr1
	s_branch .LBB409_244
.LBB409_223:
	s_mov_b64 s[2:3], -1
                                        ; implicit-def: $vgpr1
	s_branch .LBB409_232
.LBB409_224:
	s_mov_b64 s[2:3], -1
                                        ; implicit-def: $vgpr1
	s_branch .LBB409_229
.LBB409_225:
	s_mov_b64 s[2:3], -1
                                        ; implicit-def: $vgpr1
.LBB409_226:
	s_andn2_b64 vcc, exec, s[2:3]
	s_cbranch_vccnz .LBB409_228
; %bb.227:
	global_load_dword v1, v[2:3], off
	s_waitcnt vmcnt(0)
	v_cvt_f16_f32_e32 v1, v1
.LBB409_228:
	s_mov_b64 s[2:3], 0
.LBB409_229:
	s_andn2_b64 vcc, exec, s[2:3]
	s_cbranch_vccnz .LBB409_231
; %bb.230:
	global_load_dword v1, v[2:3], off
.LBB409_231:
	s_mov_b64 s[2:3], 0
.LBB409_232:
	s_andn2_b64 vcc, exec, s[2:3]
	s_cbranch_vccnz .LBB409_243
; %bb.233:
	s_cmp_lt_i32 s10, 6
	s_cbranch_scc1 .LBB409_236
; %bb.234:
	s_cmp_gt_i32 s10, 6
	s_cbranch_scc0 .LBB409_237
; %bb.235:
	global_load_dwordx2 v[4:5], v[2:3], off
	s_movk_i32 s2, 0x1ff
	s_movk_i32 s3, 0xffe
	s_waitcnt vmcnt(1)
	v_mov_b32_e32 v1, 0x7c00
	v_mov_b32_e32 v6, 0x7e00
	s_movk_i32 s6, 0x40f
	s_mov_b32 s7, 0x8000
	s_waitcnt vmcnt(0)
	v_and_or_b32 v4, v5, s2, v4
	v_cmp_ne_u32_e32 vcc, 0, v4
	v_lshrrev_b32_e32 v7, 8, v5
	v_bfe_u32 v9, v5, 20, 11
	v_cndmask_b32_e64 v4, 0, 1, vcc
	v_sub_u32_e32 v10, 0x3f1, v9
	v_and_or_b32 v4, v7, s3, v4
	v_add_u32_e32 v9, 0xfffffc10, v9
	v_med3_i32 v7, v10, 0, 13
	v_or_b32_e32 v10, 0x1000, v4
	v_cmp_ne_u32_e32 vcc, 0, v4
	v_lshl_or_b32 v11, v9, 12, v4
	v_lshrrev_b32_e32 v5, 16, v5
	v_cndmask_b32_e32 v4, v1, v6, vcc
	v_lshrrev_b32_e32 v6, v7, v10
	v_lshlrev_b32_e32 v7, v7, v6
	v_cmp_ne_u32_e32 vcc, v7, v10
	s_mov_b64 s[2:3], 0
	s_nop 0
	v_cndmask_b32_e64 v7, 0, 1, vcc
	v_or_b32_e32 v6, v6, v7
	v_cmp_gt_i32_e32 vcc, 1, v9
	s_nop 1
	v_cndmask_b32_e32 v6, v11, v6, vcc
	v_and_b32_e32 v7, 7, v6
	v_cmp_lt_i32_e32 vcc, 5, v7
	v_lshrrev_b32_e32 v6, 2, v6
	s_nop 0
	v_cndmask_b32_e64 v10, 0, 1, vcc
	v_cmp_eq_u32_e32 vcc, 3, v7
	s_nop 1
	v_cndmask_b32_e64 v7, 0, 1, vcc
	v_or_b32_e32 v7, v7, v10
	v_add_u32_e32 v6, v6, v7
	v_cmp_gt_i32_e32 vcc, 31, v9
	s_nop 1
	v_cndmask_b32_e32 v1, v1, v6, vcc
	v_cmp_eq_u32_e32 vcc, s6, v9
	s_nop 1
	v_cndmask_b32_e32 v1, v1, v4, vcc
	v_and_or_b32 v1, v5, s7, v1
	s_branch .LBB409_238
.LBB409_236:
	s_mov_b64 s[2:3], -1
                                        ; implicit-def: $vgpr1
	s_branch .LBB409_241
.LBB409_237:
	s_mov_b64 s[2:3], -1
                                        ; implicit-def: $vgpr1
.LBB409_238:
	s_andn2_b64 vcc, exec, s[2:3]
	s_cbranch_vccnz .LBB409_240
; %bb.239:
	global_load_dword v1, v[2:3], off
	s_waitcnt vmcnt(0)
	v_cvt_f16_f32_e32 v1, v1
.LBB409_240:
	s_mov_b64 s[2:3], 0
.LBB409_241:
	s_andn2_b64 vcc, exec, s[2:3]
	s_cbranch_vccnz .LBB409_243
; %bb.242:
	global_load_ushort v1, v[2:3], off
.LBB409_243:
	s_cbranch_execnz .LBB409_263
.LBB409_244:
	s_cmp_lt_i32 s10, 2
	s_cbranch_scc1 .LBB409_248
; %bb.245:
	s_cmp_lt_i32 s10, 3
	s_cbranch_scc1 .LBB409_249
; %bb.246:
	s_cmp_gt_i32 s10, 3
	s_cbranch_scc0 .LBB409_250
; %bb.247:
	global_load_dwordx2 v[4:5], v[2:3], off
	s_mov_b64 s[2:3], 0
	s_waitcnt vmcnt(0)
	v_xor_b32_e32 v6, v4, v5
	v_ffbh_i32_e32 v1, v5
	v_ashrrev_i32_e32 v6, 31, v6
	v_add_u32_e32 v1, -1, v1
	v_add_u32_e32 v6, 32, v6
	v_min_u32_e32 v1, v1, v6
	v_lshlrev_b64 v[4:5], v1, v[4:5]
	v_min_u32_e32 v4, 1, v4
	v_or_b32_e32 v4, v5, v4
	v_cvt_f32_i32_e32 v4, v4
	v_sub_u32_e32 v1, 32, v1
	v_ldexp_f32 v1, v4, v1
	v_cvt_f16_f32_e32 v1, v1
	s_branch .LBB409_251
.LBB409_248:
	s_mov_b64 s[2:3], -1
                                        ; implicit-def: $vgpr1
	s_branch .LBB409_257
.LBB409_249:
	s_mov_b64 s[2:3], -1
                                        ; implicit-def: $vgpr1
	s_branch .LBB409_254
.LBB409_250:
	s_mov_b64 s[2:3], -1
                                        ; implicit-def: $vgpr1
.LBB409_251:
	s_andn2_b64 vcc, exec, s[2:3]
	s_cbranch_vccnz .LBB409_253
; %bb.252:
	global_load_dword v1, v[2:3], off
	s_waitcnt vmcnt(0)
	v_cvt_f32_i32_e32 v1, v1
	v_cvt_f16_f32_e32 v1, v1
.LBB409_253:
	s_mov_b64 s[2:3], 0
.LBB409_254:
	s_andn2_b64 vcc, exec, s[2:3]
	s_cbranch_vccnz .LBB409_256
; %bb.255:
	global_load_ushort v1, v[2:3], off
	s_waitcnt vmcnt(0)
	v_cvt_f16_i16_e32 v1, v1
.LBB409_256:
	s_mov_b64 s[2:3], 0
.LBB409_257:
	s_andn2_b64 vcc, exec, s[2:3]
	s_cbranch_vccnz .LBB409_263
; %bb.258:
	s_cmp_gt_i32 s10, 0
	s_cbranch_scc0 .LBB409_260
; %bb.259:
	global_load_sbyte v1, v[2:3], off
	s_mov_b64 s[2:3], 0
	s_waitcnt vmcnt(0)
	v_cvt_f16_i16_e32 v1, v1
	s_branch .LBB409_261
.LBB409_260:
	s_mov_b64 s[2:3], -1
                                        ; implicit-def: $vgpr1
.LBB409_261:
	s_andn2_b64 vcc, exec, s[2:3]
	s_cbranch_vccnz .LBB409_263
; %bb.262:
	global_load_ubyte v1, v[2:3], off
	s_waitcnt vmcnt(0)
	v_cvt_f16_u16_e32 v1, v1
.LBB409_263:
	s_branch .LBB409_26
.LBB409_264:
	s_mov_b64 s[2:3], 0
.LBB409_265:
	s_mov_b64 s[6:7], 0
                                        ; implicit-def: $vgpr8
.LBB409_266:
	s_and_b64 s[54:55], s[2:3], exec
	s_and_b64 s[56:57], s[4:5], exec
	s_orn2_b64 s[4:5], s[6:7], exec
.LBB409_267:
	s_or_b64 exec, exec, s[58:59]
	s_mov_b64 s[8:9], 0
	s_mov_b64 s[2:3], 0
                                        ; implicit-def: $vgpr2_vgpr3
                                        ; implicit-def: $vgpr0
                                        ; implicit-def: $vgpr1
	s_and_saveexec_b64 s[58:59], s[4:5]
	s_cbranch_execz .LBB409_275
; %bb.268:
	v_cmp_gt_i32_e32 vcc, s70, v8
	s_mov_b64 s[2:3], -1
	s_mov_b64 s[60:61], s[56:57]
	s_mov_b64 s[62:63], s[54:55]
	s_and_saveexec_b64 s[64:65], vcc
	s_cbranch_execz .LBB409_544
; %bb.269:
	s_andn2_b64 vcc, exec, s[42:43]
	s_cbranch_vccnz .LBB409_278
; %bb.270:
	s_andn2_b64 vcc, exec, s[52:53]
	s_cbranch_vccnz .LBB409_279
; %bb.271:
	s_add_i32 s63, s76, 1
	s_cmp_eq_u32 s72, 2
	s_cbranch_scc1 .LBB409_280
; %bb.272:
	s_and_b32 s62, s63, 28
	s_mov_b32 s66, 0
	v_mov_b32_e32 v0, 0
	v_mov_b32_e32 v2, 0
	s_mov_b64 s[2:3], s[34:35]
	s_mov_b64 s[60:61], s[50:51]
	v_mov_b32_e32 v4, v8
.LBB409_273:                            ; =>This Inner Loop Header: Depth=1
	s_load_dwordx8 s[12:19], s[2:3], 0x4
	s_load_dwordx4 s[36:39], s[2:3], 0x24
	s_load_dwordx8 s[4:11], s[60:61], 0x0
	s_add_u32 s2, s2, 48
	s_addc_u32 s3, s3, 0
	s_waitcnt vmcnt(0) lgkmcnt(0)
	v_mul_hi_u32 v1, s13, v4
	v_add_u32_e32 v1, v4, v1
	v_lshrrev_b32_e32 v1, s14, v1
	v_mul_lo_u32 v3, v1, s12
	v_mul_hi_u32 v5, s16, v1
	v_sub_u32_e32 v3, v4, v3
	v_add_u32_e32 v4, v1, v5
	v_lshrrev_b32_e32 v4, s17, v4
	v_mul_lo_u32 v6, v4, s15
	v_mul_hi_u32 v7, s19, v4
	v_sub_u32_e32 v1, v1, v6
	v_add_u32_e32 v6, v4, v7
	v_mul_lo_u32 v5, v3, s5
	v_mul_lo_u32 v3, v3, s4
	v_mul_lo_u32 v7, v1, s7
	v_mul_lo_u32 v1, v1, s6
	v_lshrrev_b32_e32 v6, s36, v6
	v_add3_u32 v0, v3, v0, v1
	v_mul_hi_u32 v3, s38, v6
	v_add3_u32 v1, v5, v2, v7
	v_mul_lo_u32 v2, v6, s18
	v_add_u32_e32 v3, v6, v3
	v_sub_u32_e32 v2, v4, v2
	v_lshrrev_b32_e32 v4, s39, v3
	s_add_i32 s66, s66, 4
	v_mul_lo_u32 v3, v4, s37
	s_add_u32 s60, s60, 32
	v_sub_u32_e32 v3, v6, v3
	s_addc_u32 s61, s61, 0
	v_mul_lo_u32 v5, v2, s8
	v_mul_lo_u32 v2, v2, s9
	;; [unrolled: 1-line block ×4, first 2 shown]
	s_cmp_eq_u32 s62, s66
	v_add3_u32 v2, v2, v1, v3
	v_add3_u32 v0, v5, v0, v6
	s_cbranch_scc0 .LBB409_273
; %bb.274:
	v_mov_b32_e32 v1, v2
	s_branch .LBB409_281
.LBB409_275:
	s_or_b64 exec, exec, s[58:59]
	s_mov_b64 s[4:5], 0
	s_and_saveexec_b64 s[6:7], s[56:57]
	s_cbranch_execnz .LBB409_922
.LBB409_276:
	s_or_b64 exec, exec, s[6:7]
	s_and_saveexec_b64 s[6:7], s[62:63]
	s_xor_b64 s[6:7], exec, s[6:7]
	s_cbranch_execz .LBB409_923
.LBB409_277:
	global_load_ubyte v1, v[2:3], off
	v_mov_b32_e32 v4, 0x3c00
	s_or_b64 s[2:3], s[2:3], exec
	s_waitcnt vmcnt(0)
	v_cmp_ne_u16_e32 vcc, 0, v1
	s_nop 1
	v_cndmask_b32_e32 v1, 0, v4, vcc
	s_or_b64 exec, exec, s[6:7]
	s_and_saveexec_b64 s[6:7], s[8:9]
	s_cbranch_execz .LBB409_969
	s_branch .LBB409_924
.LBB409_278:
                                        ; implicit-def: $vgpr2
                                        ; implicit-def: $vgpr0
	s_andn2_b64 vcc, exec, s[2:3]
	s_cbranch_vccz .LBB409_285
	s_branch .LBB409_287
.LBB409_279:
	v_mov_b32_e32 v2, 0
	v_mov_b32_e32 v0, 0
	s_branch .LBB409_284
.LBB409_280:
	v_mov_b32_e32 v0, 0
	s_mov_b32 s62, 0
	s_waitcnt vmcnt(0)
	v_mov_b32_e32 v1, v0
                                        ; implicit-def: $vgpr2
	v_mov_b32_e32 v4, v8
.LBB409_281:
	s_and_b32 s6, s63, 3
	s_cmp_eq_u32 s6, 0
	s_cbranch_scc1 .LBB409_284
; %bb.282:
	s_lshl_b32 s2, s62, 3
	s_add_u32 s2, s34, s2
	s_addc_u32 s3, s35, 0
	s_add_u32 s2, s2, 0xc4
	s_addc_u32 s3, s3, 0
	s_mul_i32 s4, s62, 12
	s_add_u32 s4, s34, s4
	s_addc_u32 s5, s35, 0
.LBB409_283:                            ; =>This Inner Loop Header: Depth=1
	s_load_dwordx2 s[8:9], s[4:5], 0x4
	s_load_dword s7, s[4:5], 0xc
	s_load_dwordx2 s[10:11], s[2:3], 0x0
	v_mov_b32_e32 v2, v1
	s_add_u32 s4, s4, 12
	s_waitcnt lgkmcnt(0)
	v_mul_hi_u32 v1, s9, v4
	v_add_u32_e32 v1, v4, v1
	v_lshrrev_b32_e32 v1, s7, v1
	s_addc_u32 s5, s5, 0
	v_mul_lo_u32 v3, v1, s8
	s_add_u32 s2, s2, 8
	v_sub_u32_e32 v5, v4, v3
	s_addc_u32 s3, s3, 0
	s_add_i32 s6, s6, -1
	v_mov_b32_e32 v4, v1
	v_mad_u64_u32 v[2:3], s[8:9], v5, s11, v[2:3]
	v_mad_u64_u32 v[0:1], s[8:9], v5, s10, v[0:1]
	s_cmp_lg_u32 s6, 0
	v_mov_b32_e32 v1, v2
	s_cbranch_scc1 .LBB409_283
.LBB409_284:
	s_cbranch_execnz .LBB409_287
.LBB409_285:
	v_mul_hi_u32 v0, s25, v8
	v_add_u32_e32 v0, v8, v0
	s_waitcnt vmcnt(0)
	v_lshrrev_b32_e32 v1, s26, v0
	v_mul_lo_u32 v0, v1, s24
	v_sub_u32_e32 v0, v8, v0
	v_mul_lo_u32 v2, v0, s29
	s_andn2_b64 vcc, exec, s[48:49]
	v_mul_lo_u32 v0, v0, s28
	s_cbranch_vccnz .LBB409_287
; %bb.286:
	v_mul_hi_u32 v3, s46, v1
	v_add_u32_e32 v3, v1, v3
	v_lshrrev_b32_e32 v3, s47, v3
	v_mul_lo_u32 v3, v3, s27
	v_sub_u32_e32 v3, v1, v3
	v_mad_u64_u32 v[0:1], s[2:3], v3, s30, v[0:1]
	v_mad_u64_u32 v[2:3], s[2:3], v3, s31, v[2:3]
.LBB409_287:
	v_mov_b32_e32 v3, 0
	s_and_b32 s10, 0xffff, s75
	s_cmp_lt_i32 s10, 11
	v_lshl_add_u64 v[2:3], s[22:23], 0, v[2:3]
	s_cbranch_scc1 .LBB409_294
; %bb.288:
	s_cmp_gt_i32 s10, 25
	s_cbranch_scc0 .LBB409_303
; %bb.289:
	s_cmp_gt_i32 s10, 28
	s_cbranch_scc0 .LBB409_305
	;; [unrolled: 3-line block ×4, first 2 shown]
; %bb.292:
	s_cmp_eq_u32 s10, 46
	s_mov_b64 s[6:7], 0
	s_cbranch_scc0 .LBB409_315
; %bb.293:
	global_load_dword v1, v[2:3], off
	s_mov_b64 s[2:3], -1
	s_mov_b64 s[4:5], 0
	s_waitcnt vmcnt(0)
	v_lshlrev_b32_e32 v1, 16, v1
	v_cvt_f16_f32_e32 v1, v1
	s_branch .LBB409_316
.LBB409_294:
	s_mov_b64 s[2:3], 0
                                        ; implicit-def: $vgpr1
	s_mov_b64 s[4:5], s[56:57]
	s_cbranch_execnz .LBB409_493
.LBB409_295:
	s_andn2_b64 vcc, exec, s[2:3]
	s_cbranch_vccnz .LBB409_541
.LBB409_296:
	s_waitcnt vmcnt(0)
	v_cmp_u_f16_e32 vcc, v1, v1
	v_cmp_lt_f16_e64 s[2:3], s74, v1
	v_mov_b32_e32 v2, s74
	s_or_b64 vcc, vcc, s[2:3]
	v_cndmask_b32_e32 v2, v2, v1, vcc
	v_mov_b32_e32 v1, 0
	s_and_b32 s12, s73, 0xff
	s_cmp_lt_i32 s12, 11
	v_lshl_add_u64 v[0:1], s[20:21], 0, v[0:1]
	s_cbranch_scc1 .LBB409_304
; %bb.297:
	s_and_b32 s13, 0xffff, s12
	s_cmp_gt_i32 s13, 25
	s_cbranch_scc0 .LBB409_306
; %bb.298:
	s_cmp_gt_i32 s13, 28
	s_cbranch_scc0 .LBB409_308
; %bb.299:
	;; [unrolled: 3-line block ×4, first 2 shown]
	s_mov_b64 s[8:9], 0
	s_mov_b64 s[2:3], -1
	s_cmp_eq_u32 s13, 46
	s_mov_b64 s[6:7], 0
	s_cbranch_scc0 .LBB409_320
; %bb.302:
	v_cvt_f32_f16_e32 v3, v2
	s_movk_i32 s2, 0x7fff
	v_cmp_o_f16_e32 vcc, v2, v2
	v_mov_b32_e32 v4, 0x7fc0
	v_bfe_u32 v5, v3, 16, 1
	v_add3_u32 v3, v3, v5, s2
	v_cndmask_b32_sdwa v3, v4, v3, vcc dst_sel:DWORD dst_unused:UNUSED_PAD src0_sel:DWORD src1_sel:WORD_1
	global_store_dword v[0:1], v3, off
	s_mov_b64 s[6:7], -1
	s_mov_b64 s[2:3], 0
	s_branch .LBB409_320
.LBB409_303:
	s_mov_b64 s[6:7], -1
	s_mov_b64 s[2:3], 0
	s_mov_b64 s[4:5], s[56:57]
                                        ; implicit-def: $vgpr1
	s_branch .LBB409_457
.LBB409_304:
	s_mov_b64 s[8:9], -1
	s_mov_b64 s[6:7], 0
	s_mov_b64 s[2:3], s[54:55]
	s_branch .LBB409_389
.LBB409_305:
	s_mov_b64 s[6:7], -1
	s_mov_b64 s[2:3], 0
	s_mov_b64 s[4:5], s[56:57]
                                        ; implicit-def: $vgpr1
	s_branch .LBB409_438
.LBB409_306:
	s_mov_b64 s[8:9], -1
	s_mov_b64 s[6:7], 0
	s_mov_b64 s[2:3], s[54:55]
	s_branch .LBB409_347
.LBB409_307:
	s_mov_b64 s[6:7], -1
	s_mov_b64 s[2:3], 0
	s_mov_b64 s[4:5], s[56:57]
                                        ; implicit-def: $vgpr1
	s_branch .LBB409_433
.LBB409_308:
	s_mov_b64 s[8:9], -1
	s_mov_b64 s[6:7], 0
	s_mov_b64 s[2:3], s[54:55]
	s_branch .LBB409_330
.LBB409_309:
	s_andn2_saveexec_b64 s[10:11], s[10:11]
	s_cbranch_execz .LBB409_69
.LBB409_310:
	s_mov_b32 s14, 0x46000000
	v_add_f32_e64 v4, |v3|, s14
	v_and_b32_e32 v4, 0xff, v4
	v_cmp_ne_u32_e32 vcc, 0, v4
	s_andn2_b64 s[8:9], s[8:9], exec
	s_and_b64 s[14:15], vcc, exec
	s_or_b64 s[8:9], s[8:9], s[14:15]
	s_or_b64 exec, exec, s[10:11]
	v_mov_b32_e32 v5, 0
	s_and_saveexec_b64 s[10:11], s[8:9]
	s_cbranch_execnz .LBB409_70
	s_branch .LBB409_71
.LBB409_311:
	s_mov_b64 s[6:7], -1
	s_mov_b64 s[2:3], 0
	s_mov_b64 s[4:5], s[56:57]
                                        ; implicit-def: $vgpr1
	s_branch .LBB409_316
.LBB409_312:
	s_mov_b64 s[8:9], -1
	s_mov_b64 s[6:7], 0
	s_mov_b64 s[2:3], s[54:55]
	s_branch .LBB409_326
.LBB409_313:
	s_andn2_saveexec_b64 s[10:11], s[10:11]
	s_cbranch_execz .LBB409_82
.LBB409_314:
	s_mov_b32 s14, 0x42800000
	v_add_f32_e64 v4, |v3|, s14
	v_and_b32_e32 v4, 0xff, v4
	v_cmp_ne_u32_e32 vcc, 0, v4
	s_andn2_b64 s[8:9], s[8:9], exec
	s_and_b64 s[14:15], vcc, exec
	s_or_b64 s[8:9], s[8:9], s[14:15]
	s_or_b64 exec, exec, s[10:11]
	v_mov_b32_e32 v5, 0
	s_and_saveexec_b64 s[10:11], s[8:9]
	s_cbranch_execnz .LBB409_83
	s_branch .LBB409_84
.LBB409_315:
	s_mov_b64 s[4:5], -1
                                        ; implicit-def: $vgpr1
	s_mov_b64 s[2:3], 0
.LBB409_316:
	s_and_b64 vcc, exec, s[6:7]
	s_cbranch_vccz .LBB409_432
; %bb.317:
	s_cmp_eq_u32 s10, 44
	s_cbranch_scc0 .LBB409_431
; %bb.318:
	global_load_ubyte v1, v[2:3], off
	s_movk_i32 s4, 0xff
	v_mov_b32_e32 v5, 0x7e00
	s_mov_b64 s[2:3], -1
	s_waitcnt vmcnt(0)
	v_lshlrev_b32_e32 v4, 23, v1
	v_cvt_f16_f32_e32 v4, v4
	v_cmp_ne_u32_e32 vcc, s4, v1
	s_mov_b64 s[4:5], 0
	s_nop 0
	v_cndmask_b32_e32 v4, v5, v4, vcc
	v_cmp_ne_u32_e32 vcc, 0, v1
	s_nop 1
	v_cndmask_b32_e32 v1, 0, v4, vcc
	s_branch .LBB409_432
.LBB409_319:
	s_mov_b64 s[8:9], -1
	s_mov_b64 s[6:7], 0
	s_mov_b64 s[2:3], s[54:55]
.LBB409_320:
	s_and_b64 vcc, exec, s[8:9]
	s_cbranch_vccz .LBB409_325
; %bb.321:
	s_cmp_eq_u32 s13, 44
	s_mov_b64 s[2:3], -1
	s_cbranch_scc0 .LBB409_325
; %bb.322:
	v_cvt_f32_f16_e32 v3, v2
	s_movk_i32 s2, 0xff
	v_mov_b32_e32 v5, 0xff
	v_bfe_u32 v4, v3, 23, 8
	v_cmp_ne_u32_e32 vcc, s2, v4
	s_and_saveexec_b64 s[6:7], vcc
; %bb.323:
	s_mov_b32 s2, 0x3fffff
	v_lshrrev_b32_e32 v5, 23, v3
	v_and_b32_e32 v6, 0x400000, v3
	v_and_or_b32 v3, v3, s2, v4
	v_cmp_ne_u32_e32 vcc, 0, v6
	v_cmp_ne_u32_e64 s[2:3], 0, v3
	s_and_b64 s[2:3], vcc, s[2:3]
	s_nop 0
	v_cndmask_b32_e64 v3, 0, 1, s[2:3]
	v_add_u32_e32 v5, v5, v3
; %bb.324:
	s_or_b64 exec, exec, s[6:7]
	s_mov_b64 s[6:7], -1
	s_mov_b64 s[2:3], 0
	global_store_byte v[0:1], v5, off
.LBB409_325:
	s_mov_b64 s[8:9], 0
.LBB409_326:
	s_and_b64 vcc, exec, s[8:9]
	s_cbranch_vccz .LBB409_329
; %bb.327:
	s_cmp_eq_u32 s13, 29
	s_mov_b64 s[2:3], -1
	s_cbranch_scc0 .LBB409_329
; %bb.328:
	v_cvt_f32_f16_e32 v3, v2
	v_mov_b32_e32 v5, 0
	s_mov_b64 s[6:7], -1
	s_mov_b64 s[2:3], 0
	v_cvt_u32_f32_e32 v4, v3
	s_mov_b64 s[8:9], 0
	global_store_dwordx2 v[0:1], v[4:5], off
	s_branch .LBB409_330
.LBB409_329:
	s_mov_b64 s[8:9], 0
.LBB409_330:
	s_and_b64 vcc, exec, s[8:9]
	s_cbranch_vccz .LBB409_346
; %bb.331:
	s_cmp_lt_i32 s13, 27
	s_mov_b64 s[6:7], -1
	s_cbranch_scc1 .LBB409_337
; %bb.332:
	s_cmp_gt_i32 s13, 27
	s_cbranch_scc0 .LBB409_334
; %bb.333:
	v_cvt_f32_f16_e32 v3, v2
	s_mov_b64 s[6:7], 0
	v_cvt_u32_f32_e32 v3, v3
	global_store_dword v[0:1], v3, off
.LBB409_334:
	s_andn2_b64 vcc, exec, s[6:7]
	s_cbranch_vccnz .LBB409_336
; %bb.335:
	v_cvt_u16_f16_e32 v3, v2
	global_store_short v[0:1], v3, off
.LBB409_336:
	s_mov_b64 s[6:7], 0
.LBB409_337:
	s_andn2_b64 vcc, exec, s[6:7]
	s_cbranch_vccnz .LBB409_345
; %bb.338:
	v_cvt_f32_f16_e32 v3, v2
	s_mov_b32 s6, 0x43800000
	v_mov_b32_e32 v5, 0x80
	v_and_b32_e32 v4, 0x7fffffff, v3
	v_cmp_gt_u32_e32 vcc, s6, v4
	s_and_saveexec_b64 s[6:7], vcc
	s_cbranch_execz .LBB409_344
; %bb.339:
	s_mov_b32 s8, 0x3bffffff
	v_cmp_lt_u32_e32 vcc, s8, v4
	s_mov_b64 s[8:9], 0
                                        ; implicit-def: $vgpr4
	s_and_saveexec_b64 s[10:11], vcc
	s_xor_b64 s[10:11], exec, s[10:11]
	s_cbranch_execz .LBB409_573
; %bb.340:
	v_bfe_u32 v4, v3, 20, 1
	s_mov_b32 s14, 0x487ffff
	v_add3_u32 v4, v3, v4, s14
	s_mov_b64 s[8:9], exec
	v_lshrrev_b32_e32 v4, 20, v4
	s_andn2_saveexec_b64 s[10:11], s[10:11]
	s_cbranch_execnz .LBB409_574
.LBB409_341:
	s_or_b64 exec, exec, s[10:11]
	v_mov_b32_e32 v5, 0
	s_and_saveexec_b64 s[10:11], s[8:9]
.LBB409_342:
	v_lshrrev_b32_e32 v3, 24, v3
	s_movk_i32 s8, 0x80
	v_and_or_b32 v5, v3, s8, v4
.LBB409_343:
	s_or_b64 exec, exec, s[10:11]
.LBB409_344:
	s_or_b64 exec, exec, s[6:7]
	global_store_byte v[0:1], v5, off
.LBB409_345:
	s_mov_b64 s[6:7], -1
.LBB409_346:
	s_mov_b64 s[8:9], 0
.LBB409_347:
	s_and_b64 vcc, exec, s[8:9]
	s_cbranch_vccz .LBB409_388
; %bb.348:
	s_cmp_gt_i32 s13, 22
	s_mov_b64 s[8:9], -1
	s_cbranch_scc0 .LBB409_380
; %bb.349:
	s_cmp_lt_i32 s13, 24
	s_mov_b64 s[6:7], -1
	s_cbranch_scc1 .LBB409_369
; %bb.350:
	s_cmp_gt_i32 s13, 24
	s_cbranch_scc0 .LBB409_358
; %bb.351:
	v_cvt_f32_f16_e32 v3, v2
	s_mov_b32 s6, 0x47800000
	v_mov_b32_e32 v5, 0x80
	v_and_b32_e32 v4, 0x7fffffff, v3
	v_cmp_gt_u32_e32 vcc, s6, v4
	s_and_saveexec_b64 s[6:7], vcc
	s_cbranch_execz .LBB409_357
; %bb.352:
	s_mov_b32 s8, 0x37ffffff
	v_cmp_lt_u32_e32 vcc, s8, v4
	s_mov_b64 s[8:9], 0
                                        ; implicit-def: $vgpr4
	s_and_saveexec_b64 s[10:11], vcc
	s_xor_b64 s[10:11], exec, s[10:11]
	s_cbranch_execz .LBB409_576
; %bb.353:
	v_bfe_u32 v4, v3, 21, 1
	s_mov_b32 s14, 0x88fffff
	v_add3_u32 v4, v3, v4, s14
	s_mov_b64 s[8:9], exec
	v_lshrrev_b32_e32 v4, 21, v4
	s_andn2_saveexec_b64 s[10:11], s[10:11]
	s_cbranch_execnz .LBB409_577
.LBB409_354:
	s_or_b64 exec, exec, s[10:11]
	v_mov_b32_e32 v5, 0
	s_and_saveexec_b64 s[10:11], s[8:9]
.LBB409_355:
	v_lshrrev_b32_e32 v3, 24, v3
	s_movk_i32 s8, 0x80
	v_and_or_b32 v5, v3, s8, v4
.LBB409_356:
	s_or_b64 exec, exec, s[10:11]
.LBB409_357:
	s_or_b64 exec, exec, s[6:7]
	s_mov_b64 s[6:7], 0
	global_store_byte v[0:1], v5, off
.LBB409_358:
	s_and_b64 vcc, exec, s[6:7]
	s_cbranch_vccz .LBB409_368
; %bb.359:
	v_cvt_f32_f16_e32 v3, v2
	s_mov_b32 s6, 0x43f00000
                                        ; implicit-def: $vgpr4
	v_and_b32_e32 v5, 0x7fffffff, v3
	v_cmp_gt_u32_e32 vcc, s6, v5
	s_and_saveexec_b64 s[6:7], vcc
	s_xor_b64 s[6:7], exec, s[6:7]
	s_cbranch_execz .LBB409_365
; %bb.360:
	s_mov_b32 s8, 0x3c7fffff
	v_cmp_lt_u32_e32 vcc, s8, v5
                                        ; implicit-def: $vgpr4
	s_and_saveexec_b64 s[8:9], vcc
	s_xor_b64 s[8:9], exec, s[8:9]
; %bb.361:
	v_bfe_u32 v4, v3, 20, 1
	s_mov_b32 s10, 0x407ffff
	v_add3_u32 v4, v3, v4, s10
	v_lshrrev_b32_e32 v5, 20, v4
	v_and_b32_e32 v4, 0xff00000, v4
	s_mov_b32 s10, 0x7f00000
	v_mov_b32_e32 v6, 0x7e
	v_cmp_ne_u32_e32 vcc, s10, v4
	s_nop 1
	v_cndmask_b32_e32 v4, v6, v5, vcc
; %bb.362:
	s_andn2_saveexec_b64 s[8:9], s[8:9]
; %bb.363:
	s_mov_b32 s10, 0x46800000
	v_add_f32_e64 v4, |v3|, s10
; %bb.364:
	s_or_b64 exec, exec, s[8:9]
                                        ; implicit-def: $vgpr5
.LBB409_365:
	s_andn2_saveexec_b64 s[6:7], s[6:7]
; %bb.366:
	s_mov_b32 s8, 0x7f800000
	v_mov_b32_e32 v4, 0x7e
	v_mov_b32_e32 v6, 0x7f
	v_cmp_lt_u32_e32 vcc, s8, v5
	s_nop 1
	v_cndmask_b32_e32 v4, v4, v6, vcc
; %bb.367:
	s_or_b64 exec, exec, s[6:7]
	v_lshrrev_b32_e32 v3, 24, v3
	s_movk_i32 s6, 0x80
	v_and_or_b32 v3, v3, s6, v4
	global_store_byte v[0:1], v3, off
.LBB409_368:
	s_mov_b64 s[6:7], 0
.LBB409_369:
	s_andn2_b64 vcc, exec, s[6:7]
	s_cbranch_vccnz .LBB409_379
; %bb.370:
	v_cvt_f32_f16_e32 v3, v2
	s_mov_b32 s6, 0x47800000
                                        ; implicit-def: $vgpr4
	v_and_b32_e32 v5, 0x7fffffff, v3
	v_cmp_gt_u32_e32 vcc, s6, v5
	s_and_saveexec_b64 s[6:7], vcc
	s_xor_b64 s[6:7], exec, s[6:7]
	s_cbranch_execz .LBB409_376
; %bb.371:
	s_mov_b32 s8, 0x387fffff
	v_cmp_lt_u32_e32 vcc, s8, v5
                                        ; implicit-def: $vgpr4
	s_and_saveexec_b64 s[8:9], vcc
	s_xor_b64 s[8:9], exec, s[8:9]
; %bb.372:
	v_bfe_u32 v4, v3, 21, 1
	s_mov_b32 s10, 0x80fffff
	v_add3_u32 v4, v3, v4, s10
	v_lshrrev_b32_e32 v4, 21, v4
; %bb.373:
	s_andn2_saveexec_b64 s[8:9], s[8:9]
; %bb.374:
	s_mov_b32 s10, 0x43000000
	v_add_f32_e64 v4, |v3|, s10
; %bb.375:
	s_or_b64 exec, exec, s[8:9]
                                        ; implicit-def: $vgpr5
.LBB409_376:
	s_andn2_saveexec_b64 s[6:7], s[6:7]
; %bb.377:
	s_mov_b32 s8, 0x7f800000
	v_mov_b32_e32 v4, 0x7c
	v_mov_b32_e32 v6, 0x7f
	v_cmp_lt_u32_e32 vcc, s8, v5
	s_nop 1
	v_cndmask_b32_e32 v4, v4, v6, vcc
; %bb.378:
	s_or_b64 exec, exec, s[6:7]
	v_lshrrev_b32_e32 v3, 24, v3
	s_movk_i32 s6, 0x80
	v_and_or_b32 v3, v3, s6, v4
	global_store_byte v[0:1], v3, off
.LBB409_379:
	s_mov_b64 s[8:9], 0
	s_mov_b64 s[6:7], -1
.LBB409_380:
	s_andn2_b64 vcc, exec, s[8:9]
	s_cbranch_vccnz .LBB409_388
; %bb.381:
	s_cmp_gt_i32 s13, 14
	s_mov_b64 s[8:9], -1
	s_cbranch_scc0 .LBB409_385
; %bb.382:
	s_cmp_eq_u32 s13, 15
	s_mov_b64 s[2:3], -1
	s_cbranch_scc0 .LBB409_384
; %bb.383:
	v_cvt_f32_f16_e32 v3, v2
	s_movk_i32 s2, 0x7fff
	v_cmp_o_f16_e32 vcc, v2, v2
	v_mov_b32_e32 v4, 0x7fc0
	v_bfe_u32 v5, v3, 16, 1
	v_add3_u32 v3, v3, v5, s2
	v_cndmask_b32_sdwa v3, v4, v3, vcc dst_sel:DWORD dst_unused:UNUSED_PAD src0_sel:DWORD src1_sel:WORD_1
	global_store_short v[0:1], v3, off
	s_mov_b64 s[6:7], -1
	s_mov_b64 s[2:3], 0
.LBB409_384:
	s_mov_b64 s[8:9], 0
.LBB409_385:
	s_and_b64 vcc, exec, s[8:9]
	s_cbranch_vccz .LBB409_388
; %bb.386:
	s_cmp_eq_u32 s13, 11
	s_mov_b64 s[2:3], -1
	s_cbranch_scc0 .LBB409_388
; %bb.387:
	v_and_b32_e32 v3, 0x7fff, v2
	v_cmp_ne_u16_e32 vcc, 0, v3
	s_mov_b64 s[6:7], -1
	s_mov_b64 s[2:3], 0
	v_cndmask_b32_e64 v3, 0, 1, vcc
	global_store_byte v[0:1], v3, off
.LBB409_388:
	s_mov_b64 s[8:9], 0
.LBB409_389:
	s_and_b64 vcc, exec, s[8:9]
	s_cbranch_vccz .LBB409_428
; %bb.390:
	s_and_b32 s8, 0xffff, s12
	s_cmp_lt_i32 s8, 5
	s_mov_b64 s[6:7], -1
	s_cbranch_scc1 .LBB409_411
; %bb.391:
	s_cmp_lt_i32 s8, 8
	s_cbranch_scc1 .LBB409_401
; %bb.392:
	s_cmp_lt_i32 s8, 9
	s_cbranch_scc1 .LBB409_398
; %bb.393:
	s_cmp_gt_i32 s8, 9
	s_cbranch_scc0 .LBB409_395
; %bb.394:
	v_cvt_f32_f16_e32 v3, v2
	v_mov_b32_e32 v6, 0
	v_mov_b32_e32 v7, v6
	s_mov_b64 s[6:7], 0
	v_cvt_f64_f32_e32 v[4:5], v3
	global_store_dwordx4 v[0:1], v[4:7], off
.LBB409_395:
	s_andn2_b64 vcc, exec, s[6:7]
	s_cbranch_vccnz .LBB409_397
; %bb.396:
	v_cvt_f32_f16_e32 v4, v2
	v_mov_b32_e32 v5, 0
	global_store_dwordx2 v[0:1], v[4:5], off
.LBB409_397:
	s_mov_b64 s[6:7], 0
.LBB409_398:
	s_andn2_b64 vcc, exec, s[6:7]
	s_cbranch_vccnz .LBB409_400
; %bb.399:
	v_and_b32_e32 v3, 0xffff, v2
	global_store_dword v[0:1], v3, off
.LBB409_400:
	s_mov_b64 s[6:7], 0
.LBB409_401:
	s_andn2_b64 vcc, exec, s[6:7]
	s_cbranch_vccnz .LBB409_410
; %bb.402:
	s_cmp_lt_i32 s8, 6
	s_mov_b64 s[6:7], -1
	s_cbranch_scc1 .LBB409_408
; %bb.403:
	s_cmp_gt_i32 s8, 6
	s_cbranch_scc0 .LBB409_405
; %bb.404:
	v_cvt_f32_f16_e32 v3, v2
	s_mov_b64 s[6:7], 0
	v_cvt_f64_f32_e32 v[4:5], v3
	global_store_dwordx2 v[0:1], v[4:5], off
.LBB409_405:
	s_andn2_b64 vcc, exec, s[6:7]
	s_cbranch_vccnz .LBB409_407
; %bb.406:
	v_cvt_f32_f16_e32 v3, v2
	global_store_dword v[0:1], v3, off
.LBB409_407:
	s_mov_b64 s[6:7], 0
.LBB409_408:
	s_andn2_b64 vcc, exec, s[6:7]
	s_cbranch_vccnz .LBB409_410
; %bb.409:
	global_store_short v[0:1], v2, off
.LBB409_410:
	s_mov_b64 s[6:7], 0
.LBB409_411:
	s_andn2_b64 vcc, exec, s[6:7]
	s_cbranch_vccnz .LBB409_427
; %bb.412:
	s_cmp_lt_i32 s8, 2
	s_mov_b64 s[6:7], -1
	s_cbranch_scc1 .LBB409_422
; %bb.413:
	s_cmp_lt_i32 s8, 3
	s_cbranch_scc1 .LBB409_419
; %bb.414:
	s_cmp_gt_i32 s8, 3
	s_cbranch_scc0 .LBB409_416
; %bb.415:
	v_cvt_f32_f16_e32 v3, v2
	s_mov_b64 s[6:7], 0
	v_cvt_i32_f32_e32 v4, v3
	v_ashrrev_i32_e32 v5, 31, v4
	global_store_dwordx2 v[0:1], v[4:5], off
.LBB409_416:
	s_andn2_b64 vcc, exec, s[6:7]
	s_cbranch_vccnz .LBB409_418
; %bb.417:
	v_cvt_f32_f16_e32 v3, v2
	v_cvt_i32_f32_e32 v3, v3
	global_store_dword v[0:1], v3, off
.LBB409_418:
	s_mov_b64 s[6:7], 0
.LBB409_419:
	s_andn2_b64 vcc, exec, s[6:7]
	s_cbranch_vccnz .LBB409_421
; %bb.420:
	v_cvt_i16_f16_e32 v3, v2
	global_store_short v[0:1], v3, off
.LBB409_421:
	s_mov_b64 s[6:7], 0
.LBB409_422:
	s_andn2_b64 vcc, exec, s[6:7]
	s_cbranch_vccnz .LBB409_427
; %bb.423:
	s_cmp_gt_i32 s8, 0
	s_mov_b64 s[6:7], -1
	s_cbranch_scc0 .LBB409_425
; %bb.424:
	v_cvt_i16_f16_e32 v3, v2
	s_mov_b64 s[6:7], 0
	global_store_byte v[0:1], v3, off
.LBB409_425:
	s_andn2_b64 vcc, exec, s[6:7]
	s_cbranch_vccnz .LBB409_427
; %bb.426:
	v_cvt_f32_f16_e32 v2, v2
	v_cvt_i32_f32_e32 v2, v2
	global_store_byte v[0:1], v2, off
.LBB409_427:
	s_mov_b64 s[6:7], -1
.LBB409_428:
	s_andn2_b64 vcc, exec, s[6:7]
	s_cbranch_vccnz .LBB409_430
; %bb.429:
	v_add_u32_e32 v8, 0x80, v8
	s_mov_b64 s[6:7], -1
	s_branch .LBB409_543
.LBB409_430:
	s_mov_b64 s[6:7], 0
	s_branch .LBB409_542
.LBB409_431:
	s_mov_b64 s[4:5], -1
                                        ; implicit-def: $vgpr1
.LBB409_432:
	s_mov_b64 s[6:7], 0
.LBB409_433:
	s_and_b64 vcc, exec, s[6:7]
	s_cbranch_vccz .LBB409_437
; %bb.434:
	s_cmp_eq_u32 s10, 29
	s_cbranch_scc0 .LBB409_436
; %bb.435:
	global_load_dwordx2 v[4:5], v[2:3], off
	s_mov_b64 s[2:3], -1
	s_mov_b64 s[4:5], 0
	s_mov_b64 s[6:7], 0
	s_waitcnt vmcnt(0)
	v_ffbh_u32_e32 v1, v5
	v_min_u32_e32 v1, 32, v1
	v_lshlrev_b64 v[4:5], v1, v[4:5]
	v_min_u32_e32 v4, 1, v4
	v_or_b32_e32 v4, v5, v4
	v_cvt_f32_u32_e32 v4, v4
	v_sub_u32_e32 v1, 32, v1
	v_ldexp_f32 v1, v4, v1
	v_cvt_f16_f32_e32 v1, v1
	s_branch .LBB409_438
.LBB409_436:
	s_mov_b64 s[4:5], -1
                                        ; implicit-def: $vgpr1
.LBB409_437:
	s_mov_b64 s[6:7], 0
.LBB409_438:
	s_and_b64 vcc, exec, s[6:7]
	s_cbranch_vccz .LBB409_456
; %bb.439:
	s_cmp_lt_i32 s10, 27
	s_cbranch_scc1 .LBB409_442
; %bb.440:
	s_cmp_gt_i32 s10, 27
	s_cbranch_scc0 .LBB409_443
; %bb.441:
	global_load_dword v1, v[2:3], off
	s_mov_b64 s[2:3], 0
	s_waitcnt vmcnt(0)
	v_cvt_f32_u32_e32 v1, v1
	v_cvt_f16_f32_e32 v1, v1
	s_branch .LBB409_444
.LBB409_442:
	s_mov_b64 s[2:3], -1
                                        ; implicit-def: $vgpr1
	s_branch .LBB409_447
.LBB409_443:
	s_mov_b64 s[2:3], -1
                                        ; implicit-def: $vgpr1
.LBB409_444:
	s_andn2_b64 vcc, exec, s[2:3]
	s_cbranch_vccnz .LBB409_446
; %bb.445:
	global_load_ushort v1, v[2:3], off
	s_waitcnt vmcnt(0)
	v_cvt_f16_u16_e32 v1, v1
.LBB409_446:
	s_mov_b64 s[2:3], 0
.LBB409_447:
	s_andn2_b64 vcc, exec, s[2:3]
	s_cbranch_vccnz .LBB409_455
; %bb.448:
	global_load_ubyte v4, v[2:3], off
	s_movk_i32 s2, 0x7f
	s_waitcnt vmcnt(0)
	v_cmp_lt_i16_e32 vcc, s2, v4
	s_mov_b64 s[2:3], 0
	s_and_saveexec_b64 s[6:7], vcc
	s_xor_b64 s[6:7], exec, s[6:7]
	s_cbranch_execz .LBB409_469
; %bb.449:
	s_movk_i32 s2, 0x80
	v_cmp_eq_u16_e32 vcc, s2, v4
	s_mov_b64 s[2:3], -1
	s_and_saveexec_b64 s[8:9], vcc
; %bb.450:
	s_xor_b64 s[2:3], exec, -1
; %bb.451:
	s_or_b64 exec, exec, s[8:9]
	s_and_b64 s[2:3], s[2:3], exec
	s_or_saveexec_b64 s[6:7], s[6:7]
	v_mov_b32_e32 v1, 0x7e00
	s_xor_b64 exec, exec, s[6:7]
	s_cbranch_execnz .LBB409_470
.LBB409_452:
	s_or_b64 exec, exec, s[6:7]
	s_and_saveexec_b64 s[6:7], s[2:3]
	s_cbranch_execz .LBB409_454
.LBB409_453:
	v_lshlrev_b32_e32 v1, 24, v4
	v_and_b32_e32 v4, 0xffff, v4
	v_and_b32_e32 v5, 7, v4
	v_ffbh_u32_e32 v7, v5
	v_min_u32_e32 v7, 32, v7
	v_subrev_u32_e32 v9, 28, v7
	v_bfe_u32 v6, v4, 3, 4
	v_lshlrev_b32_e32 v4, v9, v4
	v_sub_u32_e32 v7, 29, v7
	v_and_b32_e32 v4, 7, v4
	v_cmp_eq_u32_e32 vcc, 0, v6
	v_and_b32_e32 v1, 0x80000000, v1
	s_nop 0
	v_cndmask_b32_e32 v6, v6, v7, vcc
	v_cndmask_b32_e32 v4, v5, v4, vcc
	v_mov_b32_e32 v5, 0x3b800000
	v_lshlrev_b32_e32 v4, 20, v4
	v_lshl_add_u32 v5, v6, 23, v5
	v_or3_b32 v1, v1, v5, v4
	v_cvt_f16_f32_e32 v1, v1
.LBB409_454:
	s_or_b64 exec, exec, s[6:7]
.LBB409_455:
	s_mov_b64 s[2:3], -1
.LBB409_456:
	s_mov_b64 s[6:7], 0
.LBB409_457:
	s_and_b64 vcc, exec, s[6:7]
	s_cbranch_vccz .LBB409_492
; %bb.458:
	s_cmp_gt_i32 s10, 22
	s_cbranch_scc0 .LBB409_468
; %bb.459:
	s_cmp_lt_i32 s10, 24
	s_cbranch_scc1 .LBB409_471
; %bb.460:
	s_cmp_gt_i32 s10, 24
	s_cbranch_scc0 .LBB409_472
; %bb.461:
	global_load_ubyte v4, v[2:3], off
	s_movk_i32 s2, 0x7f
	s_waitcnt vmcnt(0)
	v_cmp_lt_i16_e32 vcc, s2, v4
	s_mov_b64 s[2:3], 0
	s_and_saveexec_b64 s[6:7], vcc
	s_xor_b64 s[6:7], exec, s[6:7]
	s_cbranch_execz .LBB409_484
; %bb.462:
	s_movk_i32 s2, 0x80
	v_cmp_eq_u16_e32 vcc, s2, v4
	s_mov_b64 s[2:3], -1
	s_and_saveexec_b64 s[8:9], vcc
; %bb.463:
	s_xor_b64 s[2:3], exec, -1
; %bb.464:
	s_or_b64 exec, exec, s[8:9]
	s_and_b64 s[2:3], s[2:3], exec
	s_or_saveexec_b64 s[6:7], s[6:7]
	v_mov_b32_e32 v1, 0x7e00
	s_xor_b64 exec, exec, s[6:7]
	s_cbranch_execnz .LBB409_485
.LBB409_465:
	s_or_b64 exec, exec, s[6:7]
	s_and_saveexec_b64 s[6:7], s[2:3]
	s_cbranch_execz .LBB409_467
.LBB409_466:
	v_lshlrev_b32_e32 v1, 24, v4
	v_and_b32_e32 v4, 0xffff, v4
	v_and_b32_e32 v5, 3, v4
	v_ffbh_u32_e32 v7, v5
	v_min_u32_e32 v7, 32, v7
	v_subrev_u32_e32 v9, 29, v7
	v_bfe_u32 v6, v4, 2, 5
	v_lshlrev_b32_e32 v4, v9, v4
	v_sub_u32_e32 v7, 30, v7
	v_and_b32_e32 v4, 3, v4
	v_cmp_eq_u32_e32 vcc, 0, v6
	v_and_b32_e32 v1, 0x80000000, v1
	s_nop 0
	v_cndmask_b32_e32 v6, v6, v7, vcc
	v_cndmask_b32_e32 v4, v5, v4, vcc
	v_mov_b32_e32 v5, 0x37800000
	v_lshlrev_b32_e32 v4, 21, v4
	v_lshl_add_u32 v5, v6, 23, v5
	v_or3_b32 v1, v1, v5, v4
	v_cvt_f16_f32_e32 v1, v1
.LBB409_467:
	s_or_b64 exec, exec, s[6:7]
	s_mov_b64 s[2:3], 0
	s_branch .LBB409_473
.LBB409_468:
	s_mov_b64 s[6:7], -1
                                        ; implicit-def: $vgpr1
	s_branch .LBB409_479
.LBB409_469:
	s_or_saveexec_b64 s[6:7], s[6:7]
	v_mov_b32_e32 v1, 0x7e00
	s_xor_b64 exec, exec, s[6:7]
	s_cbranch_execz .LBB409_452
.LBB409_470:
	v_cmp_ne_u16_e32 vcc, 0, v4
	s_andn2_b64 s[2:3], s[2:3], exec
	s_and_b64 s[8:9], vcc, exec
	s_or_b64 s[2:3], s[2:3], s[8:9]
	v_mov_b32_e32 v1, v4
	s_or_b64 exec, exec, s[6:7]
	s_and_saveexec_b64 s[6:7], s[2:3]
	s_cbranch_execnz .LBB409_453
	s_branch .LBB409_454
.LBB409_471:
	s_mov_b64 s[2:3], -1
                                        ; implicit-def: $vgpr1
	s_branch .LBB409_476
.LBB409_472:
	s_mov_b64 s[2:3], -1
                                        ; implicit-def: $vgpr1
.LBB409_473:
	s_and_b64 vcc, exec, s[2:3]
	s_cbranch_vccz .LBB409_475
; %bb.474:
	global_load_ubyte v1, v[2:3], off
	s_mov_b32 s2, 0x7f800000
	s_waitcnt vmcnt(0)
	v_lshlrev_b32_e32 v1, 24, v1
	v_and_b32_e32 v4, 0x7f000000, v1
	v_ffbh_u32_e32 v5, v4
	v_min_u32_e32 v5, 32, v5
	v_sub_u32_e64 v5, v5, 4 clamp
	v_lshlrev_b32_e32 v7, v5, v4
	v_lshlrev_b32_e32 v5, 23, v5
	v_lshrrev_b32_e32 v7, 4, v7
	v_add_u32_e32 v6, 0x1000000, v4
	v_sub_u32_e32 v5, v7, v5
	v_ashrrev_i32_e32 v6, 8, v6
	v_add_u32_e32 v5, 0x3c000000, v5
	v_and_or_b32 v5, v6, s2, v5
	v_cmp_ne_u32_e32 vcc, 0, v4
	s_brev_b32 s2, 1
	s_nop 0
	v_cndmask_b32_e32 v4, 0, v5, vcc
	v_and_or_b32 v1, v1, s2, v4
	v_cvt_f16_f32_e32 v1, v1
.LBB409_475:
	s_mov_b64 s[2:3], 0
.LBB409_476:
	s_andn2_b64 vcc, exec, s[2:3]
	s_cbranch_vccnz .LBB409_478
; %bb.477:
	global_load_ubyte v1, v[2:3], off
	s_movk_i32 s2, 0x7f00
	s_brev_b32 s3, 16
	s_waitcnt vmcnt(0)
	v_lshlrev_b16_e32 v4, 8, v1
	v_lshlrev_b32_e32 v1, 25, v1
	v_lshrrev_b32_e32 v5, 4, v1
	v_and_or_b32 v6, v4, s2, 0.5
	v_or_b32_e32 v5, 0x70000000, v5
	v_add_f32_e32 v6, -0.5, v6
	v_mul_f32_e32 v5, 0x7800000, v5
	v_cmp_gt_u32_e32 vcc, s3, v1
	v_bfe_i32 v4, v4, 0, 16
	s_brev_b32 s2, 1
	v_cndmask_b32_e32 v1, v5, v6, vcc
	v_and_or_b32 v1, v4, s2, v1
	v_cvt_f16_f32_e32 v1, v1
.LBB409_478:
	s_mov_b64 s[6:7], 0
	s_mov_b64 s[2:3], -1
.LBB409_479:
	s_andn2_b64 vcc, exec, s[6:7]
	s_cbranch_vccnz .LBB409_492
; %bb.480:
	s_cmp_gt_i32 s10, 14
	s_cbranch_scc0 .LBB409_483
; %bb.481:
	s_cmp_eq_u32 s10, 15
	s_cbranch_scc0 .LBB409_486
; %bb.482:
	global_load_ushort v1, v[2:3], off
	s_mov_b64 s[2:3], -1
	s_mov_b64 s[4:5], 0
	s_waitcnt vmcnt(0)
	v_lshlrev_b32_e32 v1, 16, v1
	v_cvt_f16_f32_e32 v1, v1
	s_branch .LBB409_487
.LBB409_483:
	s_mov_b64 s[6:7], -1
                                        ; implicit-def: $vgpr1
	s_branch .LBB409_488
.LBB409_484:
	s_or_saveexec_b64 s[6:7], s[6:7]
	v_mov_b32_e32 v1, 0x7e00
	s_xor_b64 exec, exec, s[6:7]
	s_cbranch_execz .LBB409_465
.LBB409_485:
	v_cmp_ne_u16_e32 vcc, 0, v4
	s_andn2_b64 s[2:3], s[2:3], exec
	s_and_b64 s[8:9], vcc, exec
	s_or_b64 s[2:3], s[2:3], s[8:9]
	v_mov_b32_e32 v1, v4
	s_or_b64 exec, exec, s[6:7]
	s_and_saveexec_b64 s[6:7], s[2:3]
	s_cbranch_execnz .LBB409_466
	s_branch .LBB409_467
.LBB409_486:
	s_mov_b64 s[4:5], -1
                                        ; implicit-def: $vgpr1
.LBB409_487:
	s_mov_b64 s[6:7], 0
.LBB409_488:
	s_and_b64 vcc, exec, s[6:7]
	s_cbranch_vccz .LBB409_492
; %bb.489:
	s_cmp_eq_u32 s10, 11
	s_cbranch_scc0 .LBB409_491
; %bb.490:
	global_load_ubyte v1, v[2:3], off
	v_mov_b32_e32 v4, 0x3c00
	s_mov_b64 s[2:3], -1
	s_mov_b64 s[4:5], 0
	s_waitcnt vmcnt(0)
	v_cmp_ne_u16_e32 vcc, 0, v1
	s_nop 1
	v_cndmask_b32_e32 v1, 0, v4, vcc
	s_branch .LBB409_492
.LBB409_491:
	s_mov_b64 s[4:5], -1
                                        ; implicit-def: $vgpr1
.LBB409_492:
	s_branch .LBB409_295
.LBB409_493:
	s_cmp_lt_i32 s10, 5
	s_cbranch_scc1 .LBB409_498
; %bb.494:
	s_cmp_lt_i32 s10, 8
	s_cbranch_scc1 .LBB409_499
; %bb.495:
	;; [unrolled: 3-line block ×3, first 2 shown]
	s_cmp_gt_i32 s10, 9
	s_cbranch_scc0 .LBB409_501
; %bb.497:
	global_load_dwordx2 v[4:5], v[2:3], off
	s_movk_i32 s2, 0x1ff
	s_movk_i32 s3, 0xffe
	s_waitcnt vmcnt(1)
	v_mov_b32_e32 v1, 0x7c00
	v_mov_b32_e32 v6, 0x7e00
	s_movk_i32 s6, 0x40f
	s_mov_b32 s7, 0x8000
	s_waitcnt vmcnt(0)
	v_and_or_b32 v4, v5, s2, v4
	v_cmp_ne_u32_e32 vcc, 0, v4
	v_lshrrev_b32_e32 v7, 8, v5
	v_bfe_u32 v9, v5, 20, 11
	v_cndmask_b32_e64 v4, 0, 1, vcc
	v_sub_u32_e32 v10, 0x3f1, v9
	v_and_or_b32 v4, v7, s3, v4
	v_add_u32_e32 v9, 0xfffffc10, v9
	v_med3_i32 v7, v10, 0, 13
	v_or_b32_e32 v10, 0x1000, v4
	v_cmp_ne_u32_e32 vcc, 0, v4
	v_lshl_or_b32 v11, v9, 12, v4
	v_lshrrev_b32_e32 v5, 16, v5
	v_cndmask_b32_e32 v4, v1, v6, vcc
	v_lshrrev_b32_e32 v6, v7, v10
	v_lshlrev_b32_e32 v7, v7, v6
	v_cmp_ne_u32_e32 vcc, v7, v10
	s_mov_b64 s[2:3], 0
	s_nop 0
	v_cndmask_b32_e64 v7, 0, 1, vcc
	v_or_b32_e32 v6, v6, v7
	v_cmp_gt_i32_e32 vcc, 1, v9
	s_nop 1
	v_cndmask_b32_e32 v6, v11, v6, vcc
	v_and_b32_e32 v7, 7, v6
	v_cmp_lt_i32_e32 vcc, 5, v7
	v_lshrrev_b32_e32 v6, 2, v6
	s_nop 0
	v_cndmask_b32_e64 v10, 0, 1, vcc
	v_cmp_eq_u32_e32 vcc, 3, v7
	s_nop 1
	v_cndmask_b32_e64 v7, 0, 1, vcc
	v_or_b32_e32 v7, v7, v10
	v_add_u32_e32 v6, v6, v7
	v_cmp_gt_i32_e32 vcc, 31, v9
	s_nop 1
	v_cndmask_b32_e32 v1, v1, v6, vcc
	v_cmp_eq_u32_e32 vcc, s6, v9
	s_nop 1
	v_cndmask_b32_e32 v1, v1, v4, vcc
	v_and_or_b32 v1, v5, s7, v1
	s_branch .LBB409_502
.LBB409_498:
	s_mov_b64 s[2:3], -1
                                        ; implicit-def: $vgpr1
	s_branch .LBB409_520
.LBB409_499:
	s_mov_b64 s[2:3], -1
                                        ; implicit-def: $vgpr1
	s_branch .LBB409_508
.LBB409_500:
	s_mov_b64 s[2:3], -1
                                        ; implicit-def: $vgpr1
	s_branch .LBB409_505
.LBB409_501:
	s_mov_b64 s[2:3], -1
                                        ; implicit-def: $vgpr1
.LBB409_502:
	s_andn2_b64 vcc, exec, s[2:3]
	s_cbranch_vccnz .LBB409_504
; %bb.503:
	global_load_dword v1, v[2:3], off
	s_waitcnt vmcnt(0)
	v_cvt_f16_f32_e32 v1, v1
.LBB409_504:
	s_mov_b64 s[2:3], 0
.LBB409_505:
	s_andn2_b64 vcc, exec, s[2:3]
	s_cbranch_vccnz .LBB409_507
; %bb.506:
	global_load_dword v1, v[2:3], off
.LBB409_507:
	s_mov_b64 s[2:3], 0
.LBB409_508:
	s_andn2_b64 vcc, exec, s[2:3]
	s_cbranch_vccnz .LBB409_519
; %bb.509:
	s_cmp_lt_i32 s10, 6
	s_cbranch_scc1 .LBB409_512
; %bb.510:
	s_cmp_gt_i32 s10, 6
	s_cbranch_scc0 .LBB409_513
; %bb.511:
	global_load_dwordx2 v[4:5], v[2:3], off
	s_movk_i32 s2, 0x1ff
	s_movk_i32 s3, 0xffe
	s_waitcnt vmcnt(1)
	v_mov_b32_e32 v1, 0x7c00
	v_mov_b32_e32 v6, 0x7e00
	s_movk_i32 s6, 0x40f
	s_mov_b32 s7, 0x8000
	s_waitcnt vmcnt(0)
	v_and_or_b32 v4, v5, s2, v4
	v_cmp_ne_u32_e32 vcc, 0, v4
	v_lshrrev_b32_e32 v7, 8, v5
	v_bfe_u32 v9, v5, 20, 11
	v_cndmask_b32_e64 v4, 0, 1, vcc
	v_sub_u32_e32 v10, 0x3f1, v9
	v_and_or_b32 v4, v7, s3, v4
	v_add_u32_e32 v9, 0xfffffc10, v9
	v_med3_i32 v7, v10, 0, 13
	v_or_b32_e32 v10, 0x1000, v4
	v_cmp_ne_u32_e32 vcc, 0, v4
	v_lshl_or_b32 v11, v9, 12, v4
	v_lshrrev_b32_e32 v5, 16, v5
	v_cndmask_b32_e32 v4, v1, v6, vcc
	v_lshrrev_b32_e32 v6, v7, v10
	v_lshlrev_b32_e32 v7, v7, v6
	v_cmp_ne_u32_e32 vcc, v7, v10
	s_mov_b64 s[2:3], 0
	s_nop 0
	v_cndmask_b32_e64 v7, 0, 1, vcc
	v_or_b32_e32 v6, v6, v7
	v_cmp_gt_i32_e32 vcc, 1, v9
	s_nop 1
	v_cndmask_b32_e32 v6, v11, v6, vcc
	v_and_b32_e32 v7, 7, v6
	v_cmp_lt_i32_e32 vcc, 5, v7
	v_lshrrev_b32_e32 v6, 2, v6
	s_nop 0
	v_cndmask_b32_e64 v10, 0, 1, vcc
	v_cmp_eq_u32_e32 vcc, 3, v7
	s_nop 1
	v_cndmask_b32_e64 v7, 0, 1, vcc
	v_or_b32_e32 v7, v7, v10
	v_add_u32_e32 v6, v6, v7
	v_cmp_gt_i32_e32 vcc, 31, v9
	s_nop 1
	v_cndmask_b32_e32 v1, v1, v6, vcc
	v_cmp_eq_u32_e32 vcc, s6, v9
	s_nop 1
	v_cndmask_b32_e32 v1, v1, v4, vcc
	v_and_or_b32 v1, v5, s7, v1
	s_branch .LBB409_514
.LBB409_512:
	s_mov_b64 s[2:3], -1
                                        ; implicit-def: $vgpr1
	s_branch .LBB409_517
.LBB409_513:
	s_mov_b64 s[2:3], -1
                                        ; implicit-def: $vgpr1
.LBB409_514:
	s_andn2_b64 vcc, exec, s[2:3]
	s_cbranch_vccnz .LBB409_516
; %bb.515:
	global_load_dword v1, v[2:3], off
	s_waitcnt vmcnt(0)
	v_cvt_f16_f32_e32 v1, v1
.LBB409_516:
	s_mov_b64 s[2:3], 0
.LBB409_517:
	s_andn2_b64 vcc, exec, s[2:3]
	s_cbranch_vccnz .LBB409_519
; %bb.518:
	global_load_ushort v1, v[2:3], off
.LBB409_519:
	s_mov_b64 s[2:3], 0
.LBB409_520:
	s_andn2_b64 vcc, exec, s[2:3]
	s_cbranch_vccnz .LBB409_540
; %bb.521:
	s_cmp_lt_i32 s10, 2
	s_cbranch_scc1 .LBB409_525
; %bb.522:
	s_cmp_lt_i32 s10, 3
	s_cbranch_scc1 .LBB409_526
; %bb.523:
	s_cmp_gt_i32 s10, 3
	s_cbranch_scc0 .LBB409_527
; %bb.524:
	global_load_dwordx2 v[4:5], v[2:3], off
	s_mov_b64 s[2:3], 0
	s_waitcnt vmcnt(0)
	v_xor_b32_e32 v6, v4, v5
	v_ffbh_i32_e32 v1, v5
	v_ashrrev_i32_e32 v6, 31, v6
	v_add_u32_e32 v1, -1, v1
	v_add_u32_e32 v6, 32, v6
	v_min_u32_e32 v1, v1, v6
	v_lshlrev_b64 v[4:5], v1, v[4:5]
	v_min_u32_e32 v4, 1, v4
	v_or_b32_e32 v4, v5, v4
	v_cvt_f32_i32_e32 v4, v4
	v_sub_u32_e32 v1, 32, v1
	v_ldexp_f32 v1, v4, v1
	v_cvt_f16_f32_e32 v1, v1
	s_branch .LBB409_528
.LBB409_525:
	s_mov_b64 s[2:3], -1
                                        ; implicit-def: $vgpr1
	s_branch .LBB409_534
.LBB409_526:
	s_mov_b64 s[2:3], -1
                                        ; implicit-def: $vgpr1
	s_branch .LBB409_531
.LBB409_527:
	s_mov_b64 s[2:3], -1
                                        ; implicit-def: $vgpr1
.LBB409_528:
	s_andn2_b64 vcc, exec, s[2:3]
	s_cbranch_vccnz .LBB409_530
; %bb.529:
	global_load_dword v1, v[2:3], off
	s_waitcnt vmcnt(0)
	v_cvt_f32_i32_e32 v1, v1
	v_cvt_f16_f32_e32 v1, v1
.LBB409_530:
	s_mov_b64 s[2:3], 0
.LBB409_531:
	s_andn2_b64 vcc, exec, s[2:3]
	s_cbranch_vccnz .LBB409_533
; %bb.532:
	global_load_ushort v1, v[2:3], off
	s_waitcnt vmcnt(0)
	v_cvt_f16_i16_e32 v1, v1
.LBB409_533:
	s_mov_b64 s[2:3], 0
.LBB409_534:
	s_andn2_b64 vcc, exec, s[2:3]
	s_cbranch_vccnz .LBB409_540
; %bb.535:
	s_cmp_gt_i32 s10, 0
	s_cbranch_scc0 .LBB409_537
; %bb.536:
	global_load_sbyte v1, v[2:3], off
	s_mov_b64 s[2:3], 0
	s_waitcnt vmcnt(0)
	v_cvt_f16_i16_e32 v1, v1
	s_branch .LBB409_538
.LBB409_537:
	s_mov_b64 s[2:3], -1
                                        ; implicit-def: $vgpr1
.LBB409_538:
	s_andn2_b64 vcc, exec, s[2:3]
	s_cbranch_vccnz .LBB409_540
; %bb.539:
	global_load_ubyte v1, v[2:3], off
	s_waitcnt vmcnt(0)
	v_cvt_f16_u16_e32 v1, v1
.LBB409_540:
	s_branch .LBB409_296
.LBB409_541:
	s_mov_b64 s[6:7], 0
	s_mov_b64 s[2:3], s[54:55]
.LBB409_542:
                                        ; implicit-def: $vgpr8
.LBB409_543:
	s_andn2_b64 s[8:9], s[54:55], exec
	s_and_b64 s[2:3], s[2:3], exec
	s_or_b64 s[62:63], s[8:9], s[2:3]
	s_andn2_b64 s[2:3], s[56:57], exec
	s_and_b64 s[4:5], s[4:5], exec
	s_or_b64 s[60:61], s[2:3], s[4:5]
	s_orn2_b64 s[2:3], s[6:7], exec
.LBB409_544:
	s_or_b64 exec, exec, s[64:65]
	s_mov_b64 s[4:5], 0
	s_mov_b64 s[6:7], 0
	;; [unrolled: 1-line block ×3, first 2 shown]
                                        ; implicit-def: $vgpr2_vgpr3
                                        ; implicit-def: $vgpr0
                                        ; implicit-def: $vgpr1
	s_and_saveexec_b64 s[64:65], s[2:3]
	s_cbranch_execz .LBB409_921
; %bb.545:
	v_cmp_gt_i32_e32 vcc, s70, v8
	s_mov_b64 s[6:7], -1
	s_mov_b64 s[2:3], s[60:61]
	s_mov_b64 s[68:69], s[62:63]
	s_and_saveexec_b64 s[66:67], vcc
	s_cbranch_execz .LBB409_820
; %bb.546:
	s_andn2_b64 vcc, exec, s[42:43]
	s_cbranch_vccnz .LBB409_552
; %bb.547:
	s_andn2_b64 vcc, exec, s[52:53]
	s_cbranch_vccnz .LBB409_553
; %bb.548:
	s_add_i32 s77, s76, 1
	s_cmp_eq_u32 s72, 2
	s_cbranch_scc1 .LBB409_554
; %bb.549:
	s_and_b32 s71, s77, 28
	s_mov_b32 s78, 0
	v_mov_b32_e32 v0, 0
	v_mov_b32_e32 v2, 0
	s_mov_b64 s[2:3], s[34:35]
	s_mov_b64 s[68:69], s[50:51]
	v_mov_b32_e32 v4, v8
.LBB409_550:                            ; =>This Inner Loop Header: Depth=1
	s_load_dwordx8 s[12:19], s[2:3], 0x4
	s_load_dwordx4 s[36:39], s[2:3], 0x24
	s_load_dwordx8 s[4:11], s[68:69], 0x0
	s_add_u32 s2, s2, 48
	s_addc_u32 s3, s3, 0
	s_waitcnt vmcnt(0) lgkmcnt(0)
	v_mul_hi_u32 v1, s13, v4
	v_add_u32_e32 v1, v4, v1
	v_lshrrev_b32_e32 v1, s14, v1
	v_mul_lo_u32 v3, v1, s12
	v_mul_hi_u32 v5, s16, v1
	v_sub_u32_e32 v3, v4, v3
	v_add_u32_e32 v4, v1, v5
	v_lshrrev_b32_e32 v4, s17, v4
	v_mul_lo_u32 v6, v4, s15
	v_mul_hi_u32 v7, s19, v4
	v_sub_u32_e32 v1, v1, v6
	v_add_u32_e32 v6, v4, v7
	v_mul_lo_u32 v5, v3, s5
	v_mul_lo_u32 v3, v3, s4
	;; [unrolled: 1-line block ×4, first 2 shown]
	v_lshrrev_b32_e32 v6, s36, v6
	v_add3_u32 v0, v3, v0, v1
	v_mul_hi_u32 v3, s38, v6
	v_add3_u32 v1, v5, v2, v7
	v_mul_lo_u32 v2, v6, s18
	v_add_u32_e32 v3, v6, v3
	v_sub_u32_e32 v2, v4, v2
	v_lshrrev_b32_e32 v4, s39, v3
	s_add_i32 s78, s78, 4
	v_mul_lo_u32 v3, v4, s37
	s_add_u32 s68, s68, 32
	v_sub_u32_e32 v3, v6, v3
	s_addc_u32 s69, s69, 0
	v_mul_lo_u32 v5, v2, s8
	v_mul_lo_u32 v2, v2, s9
	;; [unrolled: 1-line block ×4, first 2 shown]
	s_cmp_eq_u32 s71, s78
	v_add3_u32 v2, v2, v1, v3
	v_add3_u32 v0, v5, v0, v6
	s_cbranch_scc0 .LBB409_550
; %bb.551:
	v_mov_b32_e32 v1, v2
	s_branch .LBB409_555
.LBB409_552:
	s_mov_b64 s[2:3], -1
                                        ; implicit-def: $vgpr2
                                        ; implicit-def: $vgpr0
	s_branch .LBB409_559
.LBB409_553:
	v_mov_b32_e32 v2, 0
	v_mov_b32_e32 v0, 0
	s_branch .LBB409_558
.LBB409_554:
	v_mov_b32_e32 v0, 0
	s_mov_b32 s71, 0
	s_waitcnt vmcnt(0)
	v_mov_b32_e32 v1, v0
                                        ; implicit-def: $vgpr2
	v_mov_b32_e32 v4, v8
.LBB409_555:
	s_and_b32 s6, s77, 3
	s_cmp_eq_u32 s6, 0
	s_cbranch_scc1 .LBB409_558
; %bb.556:
	s_lshl_b32 s2, s71, 3
	s_add_u32 s2, s34, s2
	s_addc_u32 s3, s35, 0
	s_add_u32 s2, s2, 0xc4
	s_addc_u32 s3, s3, 0
	s_mul_i32 s4, s71, 12
	s_add_u32 s4, s34, s4
	s_addc_u32 s5, s35, 0
.LBB409_557:                            ; =>This Inner Loop Header: Depth=1
	s_load_dwordx2 s[8:9], s[4:5], 0x4
	s_load_dword s7, s[4:5], 0xc
	s_load_dwordx2 s[10:11], s[2:3], 0x0
	v_mov_b32_e32 v2, v1
	s_add_u32 s4, s4, 12
	s_waitcnt lgkmcnt(0)
	v_mul_hi_u32 v1, s9, v4
	v_add_u32_e32 v1, v4, v1
	v_lshrrev_b32_e32 v1, s7, v1
	s_addc_u32 s5, s5, 0
	v_mul_lo_u32 v3, v1, s8
	s_add_u32 s2, s2, 8
	v_sub_u32_e32 v5, v4, v3
	s_addc_u32 s3, s3, 0
	s_add_i32 s6, s6, -1
	v_mov_b32_e32 v4, v1
	v_mad_u64_u32 v[2:3], s[8:9], v5, s11, v[2:3]
	v_mad_u64_u32 v[0:1], s[8:9], v5, s10, v[0:1]
	s_cmp_lg_u32 s6, 0
	v_mov_b32_e32 v1, v2
	s_cbranch_scc1 .LBB409_557
.LBB409_558:
	s_mov_b64 s[2:3], 0
.LBB409_559:
	s_andn2_b64 vcc, exec, s[2:3]
	s_cbranch_vccnz .LBB409_562
; %bb.560:
	v_mul_hi_u32 v0, s25, v8
	v_add_u32_e32 v0, v8, v0
	s_waitcnt vmcnt(0)
	v_lshrrev_b32_e32 v1, s26, v0
	v_mul_lo_u32 v0, v1, s24
	v_sub_u32_e32 v0, v8, v0
	v_mul_lo_u32 v2, v0, s29
	s_andn2_b64 vcc, exec, s[48:49]
	v_mul_lo_u32 v0, v0, s28
	s_cbranch_vccnz .LBB409_562
; %bb.561:
	v_mul_hi_u32 v3, s46, v1
	v_add_u32_e32 v3, v1, v3
	v_lshrrev_b32_e32 v3, s47, v3
	v_mul_lo_u32 v3, v3, s27
	v_sub_u32_e32 v3, v1, v3
	v_mad_u64_u32 v[0:1], s[2:3], v3, s30, v[0:1]
	v_mad_u64_u32 v[2:3], s[2:3], v3, s31, v[2:3]
.LBB409_562:
	v_mov_b32_e32 v3, 0
	s_and_b32 s10, 0xffff, s75
	s_cmp_lt_i32 s10, 11
	v_lshl_add_u64 v[2:3], s[22:23], 0, v[2:3]
	s_cbranch_scc1 .LBB409_569
; %bb.563:
	s_cmp_gt_i32 s10, 25
	s_cbranch_scc0 .LBB409_570
; %bb.564:
	s_cmp_gt_i32 s10, 28
	s_cbranch_scc0 .LBB409_571
	;; [unrolled: 3-line block ×4, first 2 shown]
; %bb.567:
	s_cmp_eq_u32 s10, 46
	s_mov_b64 s[6:7], 0
	s_cbranch_scc0 .LBB409_578
; %bb.568:
	global_load_dword v1, v[2:3], off
	s_mov_b64 s[2:3], -1
	s_mov_b64 s[4:5], 0
	s_waitcnt vmcnt(0)
	v_lshlrev_b32_e32 v1, 16, v1
	v_cvt_f16_f32_e32 v1, v1
	s_branch .LBB409_579
.LBB409_569:
	s_mov_b64 s[6:7], -1
	s_mov_b64 s[2:3], 0
                                        ; implicit-def: $vgpr1
	s_mov_b64 s[4:5], s[60:61]
	s_branch .LBB409_644
.LBB409_570:
	s_mov_b64 s[6:7], -1
	s_mov_b64 s[2:3], 0
	s_mov_b64 s[4:5], s[60:61]
                                        ; implicit-def: $vgpr1
	s_branch .LBB409_608
.LBB409_571:
	s_mov_b64 s[6:7], -1
	s_mov_b64 s[2:3], 0
	s_mov_b64 s[4:5], s[60:61]
                                        ; implicit-def: $vgpr1
	s_branch .LBB409_589
.LBB409_572:
	s_mov_b64 s[6:7], -1
	s_mov_b64 s[2:3], 0
	s_mov_b64 s[4:5], s[60:61]
                                        ; implicit-def: $vgpr1
	s_branch .LBB409_584
.LBB409_573:
	s_andn2_saveexec_b64 s[10:11], s[10:11]
	s_cbranch_execz .LBB409_341
.LBB409_574:
	s_mov_b32 s14, 0x46000000
	v_add_f32_e64 v4, |v3|, s14
	v_and_b32_e32 v4, 0xff, v4
	v_cmp_ne_u32_e32 vcc, 0, v4
	s_andn2_b64 s[8:9], s[8:9], exec
	s_and_b64 s[14:15], vcc, exec
	s_or_b64 s[8:9], s[8:9], s[14:15]
	s_or_b64 exec, exec, s[10:11]
	v_mov_b32_e32 v5, 0
	s_and_saveexec_b64 s[10:11], s[8:9]
	s_cbranch_execnz .LBB409_342
	s_branch .LBB409_343
.LBB409_575:
	s_mov_b64 s[6:7], -1
	s_mov_b64 s[2:3], 0
	s_mov_b64 s[4:5], s[60:61]
                                        ; implicit-def: $vgpr1
	s_branch .LBB409_579
.LBB409_576:
	s_andn2_saveexec_b64 s[10:11], s[10:11]
	s_cbranch_execz .LBB409_354
.LBB409_577:
	s_mov_b32 s14, 0x42800000
	v_add_f32_e64 v4, |v3|, s14
	v_and_b32_e32 v4, 0xff, v4
	v_cmp_ne_u32_e32 vcc, 0, v4
	s_andn2_b64 s[8:9], s[8:9], exec
	s_and_b64 s[14:15], vcc, exec
	s_or_b64 s[8:9], s[8:9], s[14:15]
	s_or_b64 exec, exec, s[10:11]
	v_mov_b32_e32 v5, 0
	s_and_saveexec_b64 s[10:11], s[8:9]
	s_cbranch_execnz .LBB409_355
	s_branch .LBB409_356
.LBB409_578:
	s_mov_b64 s[4:5], -1
                                        ; implicit-def: $vgpr1
	s_mov_b64 s[2:3], 0
.LBB409_579:
	s_and_b64 vcc, exec, s[6:7]
	s_cbranch_vccz .LBB409_583
; %bb.580:
	s_cmp_eq_u32 s10, 44
	s_cbranch_scc0 .LBB409_582
; %bb.581:
	global_load_ubyte v1, v[2:3], off
	s_movk_i32 s4, 0xff
	v_mov_b32_e32 v5, 0x7e00
	s_mov_b64 s[2:3], -1
	s_waitcnt vmcnt(0)
	v_lshlrev_b32_e32 v4, 23, v1
	v_cvt_f16_f32_e32 v4, v4
	v_cmp_ne_u32_e32 vcc, s4, v1
	s_mov_b64 s[4:5], 0
	s_nop 0
	v_cndmask_b32_e32 v4, v5, v4, vcc
	v_cmp_ne_u32_e32 vcc, 0, v1
	s_nop 1
	v_cndmask_b32_e32 v1, 0, v4, vcc
	s_branch .LBB409_583
.LBB409_582:
	s_mov_b64 s[4:5], -1
                                        ; implicit-def: $vgpr1
.LBB409_583:
	s_mov_b64 s[6:7], 0
.LBB409_584:
	s_and_b64 vcc, exec, s[6:7]
	s_cbranch_vccz .LBB409_588
; %bb.585:
	s_cmp_eq_u32 s10, 29
	s_cbranch_scc0 .LBB409_587
; %bb.586:
	global_load_dwordx2 v[4:5], v[2:3], off
	s_mov_b64 s[2:3], -1
	s_mov_b64 s[4:5], 0
	s_mov_b64 s[6:7], 0
	s_waitcnt vmcnt(0)
	v_ffbh_u32_e32 v1, v5
	v_min_u32_e32 v1, 32, v1
	v_lshlrev_b64 v[4:5], v1, v[4:5]
	v_min_u32_e32 v4, 1, v4
	v_or_b32_e32 v4, v5, v4
	v_cvt_f32_u32_e32 v4, v4
	v_sub_u32_e32 v1, 32, v1
	v_ldexp_f32 v1, v4, v1
	v_cvt_f16_f32_e32 v1, v1
	s_branch .LBB409_589
.LBB409_587:
	s_mov_b64 s[4:5], -1
                                        ; implicit-def: $vgpr1
.LBB409_588:
	s_mov_b64 s[6:7], 0
.LBB409_589:
	s_and_b64 vcc, exec, s[6:7]
	s_cbranch_vccz .LBB409_607
; %bb.590:
	s_cmp_lt_i32 s10, 27
	s_cbranch_scc1 .LBB409_593
; %bb.591:
	s_cmp_gt_i32 s10, 27
	s_cbranch_scc0 .LBB409_594
; %bb.592:
	global_load_dword v1, v[2:3], off
	s_mov_b64 s[2:3], 0
	s_waitcnt vmcnt(0)
	v_cvt_f32_u32_e32 v1, v1
	v_cvt_f16_f32_e32 v1, v1
	s_branch .LBB409_595
.LBB409_593:
	s_mov_b64 s[2:3], -1
                                        ; implicit-def: $vgpr1
	s_branch .LBB409_598
.LBB409_594:
	s_mov_b64 s[2:3], -1
                                        ; implicit-def: $vgpr1
.LBB409_595:
	s_andn2_b64 vcc, exec, s[2:3]
	s_cbranch_vccnz .LBB409_597
; %bb.596:
	global_load_ushort v1, v[2:3], off
	s_waitcnt vmcnt(0)
	v_cvt_f16_u16_e32 v1, v1
.LBB409_597:
	s_mov_b64 s[2:3], 0
.LBB409_598:
	s_andn2_b64 vcc, exec, s[2:3]
	s_cbranch_vccnz .LBB409_606
; %bb.599:
	global_load_ubyte v4, v[2:3], off
	s_movk_i32 s2, 0x7f
	s_waitcnt vmcnt(0)
	v_cmp_lt_i16_e32 vcc, s2, v4
	s_mov_b64 s[2:3], 0
	s_and_saveexec_b64 s[6:7], vcc
	s_xor_b64 s[6:7], exec, s[6:7]
	s_cbranch_execz .LBB409_620
; %bb.600:
	s_movk_i32 s2, 0x80
	v_cmp_eq_u16_e32 vcc, s2, v4
	s_mov_b64 s[2:3], -1
	s_and_saveexec_b64 s[8:9], vcc
; %bb.601:
	s_xor_b64 s[2:3], exec, -1
; %bb.602:
	s_or_b64 exec, exec, s[8:9]
	s_and_b64 s[2:3], s[2:3], exec
	s_or_saveexec_b64 s[6:7], s[6:7]
	v_mov_b32_e32 v1, 0x7e00
	s_xor_b64 exec, exec, s[6:7]
	s_cbranch_execnz .LBB409_621
.LBB409_603:
	s_or_b64 exec, exec, s[6:7]
	s_and_saveexec_b64 s[6:7], s[2:3]
	s_cbranch_execz .LBB409_605
.LBB409_604:
	v_lshlrev_b32_e32 v1, 24, v4
	v_and_b32_e32 v4, 0xffff, v4
	v_and_b32_e32 v5, 7, v4
	v_ffbh_u32_e32 v7, v5
	v_min_u32_e32 v7, 32, v7
	v_subrev_u32_e32 v9, 28, v7
	v_bfe_u32 v6, v4, 3, 4
	v_lshlrev_b32_e32 v4, v9, v4
	v_sub_u32_e32 v7, 29, v7
	v_and_b32_e32 v4, 7, v4
	v_cmp_eq_u32_e32 vcc, 0, v6
	v_and_b32_e32 v1, 0x80000000, v1
	s_nop 0
	v_cndmask_b32_e32 v6, v6, v7, vcc
	v_cndmask_b32_e32 v4, v5, v4, vcc
	v_mov_b32_e32 v5, 0x3b800000
	v_lshlrev_b32_e32 v4, 20, v4
	v_lshl_add_u32 v5, v6, 23, v5
	v_or3_b32 v1, v1, v5, v4
	v_cvt_f16_f32_e32 v1, v1
.LBB409_605:
	s_or_b64 exec, exec, s[6:7]
.LBB409_606:
	s_mov_b64 s[2:3], -1
.LBB409_607:
	s_mov_b64 s[6:7], 0
.LBB409_608:
	s_and_b64 vcc, exec, s[6:7]
	s_cbranch_vccz .LBB409_643
; %bb.609:
	s_cmp_gt_i32 s10, 22
	s_cbranch_scc0 .LBB409_619
; %bb.610:
	s_cmp_lt_i32 s10, 24
	s_cbranch_scc1 .LBB409_622
; %bb.611:
	s_cmp_gt_i32 s10, 24
	s_cbranch_scc0 .LBB409_623
; %bb.612:
	global_load_ubyte v4, v[2:3], off
	s_movk_i32 s2, 0x7f
	s_waitcnt vmcnt(0)
	v_cmp_lt_i16_e32 vcc, s2, v4
	s_mov_b64 s[2:3], 0
	s_and_saveexec_b64 s[6:7], vcc
	s_xor_b64 s[6:7], exec, s[6:7]
	s_cbranch_execz .LBB409_635
; %bb.613:
	s_movk_i32 s2, 0x80
	v_cmp_eq_u16_e32 vcc, s2, v4
	s_mov_b64 s[2:3], -1
	s_and_saveexec_b64 s[8:9], vcc
; %bb.614:
	s_xor_b64 s[2:3], exec, -1
; %bb.615:
	s_or_b64 exec, exec, s[8:9]
	s_and_b64 s[2:3], s[2:3], exec
	s_or_saveexec_b64 s[6:7], s[6:7]
	v_mov_b32_e32 v1, 0x7e00
	s_xor_b64 exec, exec, s[6:7]
	s_cbranch_execnz .LBB409_636
.LBB409_616:
	s_or_b64 exec, exec, s[6:7]
	s_and_saveexec_b64 s[6:7], s[2:3]
	s_cbranch_execz .LBB409_618
.LBB409_617:
	v_lshlrev_b32_e32 v1, 24, v4
	v_and_b32_e32 v4, 0xffff, v4
	v_and_b32_e32 v5, 3, v4
	v_ffbh_u32_e32 v7, v5
	v_min_u32_e32 v7, 32, v7
	v_subrev_u32_e32 v9, 29, v7
	v_bfe_u32 v6, v4, 2, 5
	v_lshlrev_b32_e32 v4, v9, v4
	v_sub_u32_e32 v7, 30, v7
	v_and_b32_e32 v4, 3, v4
	v_cmp_eq_u32_e32 vcc, 0, v6
	v_and_b32_e32 v1, 0x80000000, v1
	s_nop 0
	v_cndmask_b32_e32 v6, v6, v7, vcc
	v_cndmask_b32_e32 v4, v5, v4, vcc
	v_mov_b32_e32 v5, 0x37800000
	v_lshlrev_b32_e32 v4, 21, v4
	v_lshl_add_u32 v5, v6, 23, v5
	v_or3_b32 v1, v1, v5, v4
	v_cvt_f16_f32_e32 v1, v1
.LBB409_618:
	s_or_b64 exec, exec, s[6:7]
	s_mov_b64 s[2:3], 0
	s_branch .LBB409_624
.LBB409_619:
	s_mov_b64 s[6:7], -1
                                        ; implicit-def: $vgpr1
	s_branch .LBB409_630
.LBB409_620:
	s_or_saveexec_b64 s[6:7], s[6:7]
	v_mov_b32_e32 v1, 0x7e00
	s_xor_b64 exec, exec, s[6:7]
	s_cbranch_execz .LBB409_603
.LBB409_621:
	v_cmp_ne_u16_e32 vcc, 0, v4
	s_andn2_b64 s[2:3], s[2:3], exec
	s_and_b64 s[8:9], vcc, exec
	s_or_b64 s[2:3], s[2:3], s[8:9]
	v_mov_b32_e32 v1, v4
	s_or_b64 exec, exec, s[6:7]
	s_and_saveexec_b64 s[6:7], s[2:3]
	s_cbranch_execnz .LBB409_604
	s_branch .LBB409_605
.LBB409_622:
	s_mov_b64 s[2:3], -1
                                        ; implicit-def: $vgpr1
	s_branch .LBB409_627
.LBB409_623:
	s_mov_b64 s[2:3], -1
                                        ; implicit-def: $vgpr1
.LBB409_624:
	s_and_b64 vcc, exec, s[2:3]
	s_cbranch_vccz .LBB409_626
; %bb.625:
	global_load_ubyte v1, v[2:3], off
	s_mov_b32 s2, 0x7f800000
	s_waitcnt vmcnt(0)
	v_lshlrev_b32_e32 v1, 24, v1
	v_and_b32_e32 v4, 0x7f000000, v1
	v_ffbh_u32_e32 v5, v4
	v_min_u32_e32 v5, 32, v5
	v_sub_u32_e64 v5, v5, 4 clamp
	v_lshlrev_b32_e32 v7, v5, v4
	v_lshlrev_b32_e32 v5, 23, v5
	v_lshrrev_b32_e32 v7, 4, v7
	v_add_u32_e32 v6, 0x1000000, v4
	v_sub_u32_e32 v5, v7, v5
	v_ashrrev_i32_e32 v6, 8, v6
	v_add_u32_e32 v5, 0x3c000000, v5
	v_and_or_b32 v5, v6, s2, v5
	v_cmp_ne_u32_e32 vcc, 0, v4
	s_brev_b32 s2, 1
	s_nop 0
	v_cndmask_b32_e32 v4, 0, v5, vcc
	v_and_or_b32 v1, v1, s2, v4
	v_cvt_f16_f32_e32 v1, v1
.LBB409_626:
	s_mov_b64 s[2:3], 0
.LBB409_627:
	s_andn2_b64 vcc, exec, s[2:3]
	s_cbranch_vccnz .LBB409_629
; %bb.628:
	global_load_ubyte v1, v[2:3], off
	s_movk_i32 s2, 0x7f00
	s_brev_b32 s3, 16
	s_waitcnt vmcnt(0)
	v_lshlrev_b16_e32 v4, 8, v1
	v_lshlrev_b32_e32 v1, 25, v1
	v_lshrrev_b32_e32 v5, 4, v1
	v_and_or_b32 v6, v4, s2, 0.5
	v_or_b32_e32 v5, 0x70000000, v5
	v_add_f32_e32 v6, -0.5, v6
	v_mul_f32_e32 v5, 0x7800000, v5
	v_cmp_gt_u32_e32 vcc, s3, v1
	v_bfe_i32 v4, v4, 0, 16
	s_brev_b32 s2, 1
	v_cndmask_b32_e32 v1, v5, v6, vcc
	v_and_or_b32 v1, v4, s2, v1
	v_cvt_f16_f32_e32 v1, v1
.LBB409_629:
	s_mov_b64 s[6:7], 0
	s_mov_b64 s[2:3], -1
.LBB409_630:
	s_andn2_b64 vcc, exec, s[6:7]
	s_cbranch_vccnz .LBB409_643
; %bb.631:
	s_cmp_gt_i32 s10, 14
	s_cbranch_scc0 .LBB409_634
; %bb.632:
	s_cmp_eq_u32 s10, 15
	s_cbranch_scc0 .LBB409_637
; %bb.633:
	global_load_ushort v1, v[2:3], off
	s_mov_b64 s[2:3], -1
	s_mov_b64 s[4:5], 0
	s_waitcnt vmcnt(0)
	v_lshlrev_b32_e32 v1, 16, v1
	v_cvt_f16_f32_e32 v1, v1
	s_branch .LBB409_638
.LBB409_634:
	s_mov_b64 s[6:7], -1
                                        ; implicit-def: $vgpr1
	s_branch .LBB409_639
.LBB409_635:
	s_or_saveexec_b64 s[6:7], s[6:7]
	v_mov_b32_e32 v1, 0x7e00
	s_xor_b64 exec, exec, s[6:7]
	s_cbranch_execz .LBB409_616
.LBB409_636:
	v_cmp_ne_u16_e32 vcc, 0, v4
	s_andn2_b64 s[2:3], s[2:3], exec
	s_and_b64 s[8:9], vcc, exec
	s_or_b64 s[2:3], s[2:3], s[8:9]
	v_mov_b32_e32 v1, v4
	s_or_b64 exec, exec, s[6:7]
	s_and_saveexec_b64 s[6:7], s[2:3]
	s_cbranch_execnz .LBB409_617
	s_branch .LBB409_618
.LBB409_637:
	s_mov_b64 s[4:5], -1
                                        ; implicit-def: $vgpr1
.LBB409_638:
	s_mov_b64 s[6:7], 0
.LBB409_639:
	s_and_b64 vcc, exec, s[6:7]
	s_cbranch_vccz .LBB409_643
; %bb.640:
	s_cmp_eq_u32 s10, 11
	s_cbranch_scc0 .LBB409_642
; %bb.641:
	global_load_ubyte v1, v[2:3], off
	v_mov_b32_e32 v4, 0x3c00
	s_mov_b64 s[2:3], -1
	s_mov_b64 s[4:5], 0
	s_waitcnt vmcnt(0)
	v_cmp_ne_u16_e32 vcc, 0, v1
	s_nop 1
	v_cndmask_b32_e32 v1, 0, v4, vcc
	s_branch .LBB409_643
.LBB409_642:
	s_mov_b64 s[4:5], -1
                                        ; implicit-def: $vgpr1
.LBB409_643:
	s_mov_b64 s[6:7], 0
.LBB409_644:
	s_and_b64 vcc, exec, s[6:7]
	s_cbranch_vccz .LBB409_693
; %bb.645:
	s_cmp_lt_i32 s10, 5
	s_cbranch_scc1 .LBB409_650
; %bb.646:
	s_cmp_lt_i32 s10, 8
	s_cbranch_scc1 .LBB409_651
	;; [unrolled: 3-line block ×3, first 2 shown]
; %bb.648:
	s_cmp_gt_i32 s10, 9
	s_cbranch_scc0 .LBB409_653
; %bb.649:
	global_load_dwordx2 v[4:5], v[2:3], off
	s_movk_i32 s2, 0x1ff
	s_movk_i32 s3, 0xffe
	s_waitcnt vmcnt(1)
	v_mov_b32_e32 v1, 0x7c00
	v_mov_b32_e32 v6, 0x7e00
	s_movk_i32 s6, 0x40f
	s_mov_b32 s7, 0x8000
	s_waitcnt vmcnt(0)
	v_and_or_b32 v4, v5, s2, v4
	v_cmp_ne_u32_e32 vcc, 0, v4
	v_lshrrev_b32_e32 v7, 8, v5
	v_bfe_u32 v9, v5, 20, 11
	v_cndmask_b32_e64 v4, 0, 1, vcc
	v_sub_u32_e32 v10, 0x3f1, v9
	v_and_or_b32 v4, v7, s3, v4
	v_add_u32_e32 v9, 0xfffffc10, v9
	v_med3_i32 v7, v10, 0, 13
	v_or_b32_e32 v10, 0x1000, v4
	v_cmp_ne_u32_e32 vcc, 0, v4
	v_lshl_or_b32 v11, v9, 12, v4
	v_lshrrev_b32_e32 v5, 16, v5
	v_cndmask_b32_e32 v4, v1, v6, vcc
	v_lshrrev_b32_e32 v6, v7, v10
	v_lshlrev_b32_e32 v7, v7, v6
	v_cmp_ne_u32_e32 vcc, v7, v10
	s_mov_b64 s[2:3], 0
	s_nop 0
	v_cndmask_b32_e64 v7, 0, 1, vcc
	v_or_b32_e32 v6, v6, v7
	v_cmp_gt_i32_e32 vcc, 1, v9
	s_nop 1
	v_cndmask_b32_e32 v6, v11, v6, vcc
	v_and_b32_e32 v7, 7, v6
	v_cmp_lt_i32_e32 vcc, 5, v7
	v_lshrrev_b32_e32 v6, 2, v6
	s_nop 0
	v_cndmask_b32_e64 v10, 0, 1, vcc
	v_cmp_eq_u32_e32 vcc, 3, v7
	s_nop 1
	v_cndmask_b32_e64 v7, 0, 1, vcc
	v_or_b32_e32 v7, v7, v10
	v_add_u32_e32 v6, v6, v7
	v_cmp_gt_i32_e32 vcc, 31, v9
	s_nop 1
	v_cndmask_b32_e32 v1, v1, v6, vcc
	v_cmp_eq_u32_e32 vcc, s6, v9
	s_nop 1
	v_cndmask_b32_e32 v1, v1, v4, vcc
	v_and_or_b32 v1, v5, s7, v1
	s_branch .LBB409_654
.LBB409_650:
	s_mov_b64 s[2:3], -1
                                        ; implicit-def: $vgpr1
	s_branch .LBB409_672
.LBB409_651:
	s_mov_b64 s[2:3], -1
                                        ; implicit-def: $vgpr1
	s_branch .LBB409_660
.LBB409_652:
	s_mov_b64 s[2:3], -1
                                        ; implicit-def: $vgpr1
	s_branch .LBB409_657
.LBB409_653:
	s_mov_b64 s[2:3], -1
                                        ; implicit-def: $vgpr1
.LBB409_654:
	s_andn2_b64 vcc, exec, s[2:3]
	s_cbranch_vccnz .LBB409_656
; %bb.655:
	global_load_dword v1, v[2:3], off
	s_waitcnt vmcnt(0)
	v_cvt_f16_f32_e32 v1, v1
.LBB409_656:
	s_mov_b64 s[2:3], 0
.LBB409_657:
	s_andn2_b64 vcc, exec, s[2:3]
	s_cbranch_vccnz .LBB409_659
; %bb.658:
	global_load_dword v1, v[2:3], off
.LBB409_659:
	s_mov_b64 s[2:3], 0
.LBB409_660:
	s_andn2_b64 vcc, exec, s[2:3]
	s_cbranch_vccnz .LBB409_671
; %bb.661:
	s_cmp_lt_i32 s10, 6
	s_cbranch_scc1 .LBB409_664
; %bb.662:
	s_cmp_gt_i32 s10, 6
	s_cbranch_scc0 .LBB409_665
; %bb.663:
	global_load_dwordx2 v[4:5], v[2:3], off
	s_movk_i32 s2, 0x1ff
	s_movk_i32 s3, 0xffe
	s_waitcnt vmcnt(1)
	v_mov_b32_e32 v1, 0x7c00
	v_mov_b32_e32 v6, 0x7e00
	s_movk_i32 s6, 0x40f
	s_mov_b32 s7, 0x8000
	s_waitcnt vmcnt(0)
	v_and_or_b32 v4, v5, s2, v4
	v_cmp_ne_u32_e32 vcc, 0, v4
	v_lshrrev_b32_e32 v7, 8, v5
	v_bfe_u32 v9, v5, 20, 11
	v_cndmask_b32_e64 v4, 0, 1, vcc
	v_sub_u32_e32 v10, 0x3f1, v9
	v_and_or_b32 v4, v7, s3, v4
	v_add_u32_e32 v9, 0xfffffc10, v9
	v_med3_i32 v7, v10, 0, 13
	v_or_b32_e32 v10, 0x1000, v4
	v_cmp_ne_u32_e32 vcc, 0, v4
	v_lshl_or_b32 v11, v9, 12, v4
	v_lshrrev_b32_e32 v5, 16, v5
	v_cndmask_b32_e32 v4, v1, v6, vcc
	v_lshrrev_b32_e32 v6, v7, v10
	v_lshlrev_b32_e32 v7, v7, v6
	v_cmp_ne_u32_e32 vcc, v7, v10
	s_mov_b64 s[2:3], 0
	s_nop 0
	v_cndmask_b32_e64 v7, 0, 1, vcc
	v_or_b32_e32 v6, v6, v7
	v_cmp_gt_i32_e32 vcc, 1, v9
	s_nop 1
	v_cndmask_b32_e32 v6, v11, v6, vcc
	v_and_b32_e32 v7, 7, v6
	v_cmp_lt_i32_e32 vcc, 5, v7
	v_lshrrev_b32_e32 v6, 2, v6
	s_nop 0
	v_cndmask_b32_e64 v10, 0, 1, vcc
	v_cmp_eq_u32_e32 vcc, 3, v7
	s_nop 1
	v_cndmask_b32_e64 v7, 0, 1, vcc
	v_or_b32_e32 v7, v7, v10
	v_add_u32_e32 v6, v6, v7
	v_cmp_gt_i32_e32 vcc, 31, v9
	s_nop 1
	v_cndmask_b32_e32 v1, v1, v6, vcc
	v_cmp_eq_u32_e32 vcc, s6, v9
	s_nop 1
	v_cndmask_b32_e32 v1, v1, v4, vcc
	v_and_or_b32 v1, v5, s7, v1
	s_branch .LBB409_666
.LBB409_664:
	s_mov_b64 s[2:3], -1
                                        ; implicit-def: $vgpr1
	s_branch .LBB409_669
.LBB409_665:
	s_mov_b64 s[2:3], -1
                                        ; implicit-def: $vgpr1
.LBB409_666:
	s_andn2_b64 vcc, exec, s[2:3]
	s_cbranch_vccnz .LBB409_668
; %bb.667:
	global_load_dword v1, v[2:3], off
	s_waitcnt vmcnt(0)
	v_cvt_f16_f32_e32 v1, v1
.LBB409_668:
	s_mov_b64 s[2:3], 0
.LBB409_669:
	s_andn2_b64 vcc, exec, s[2:3]
	s_cbranch_vccnz .LBB409_671
; %bb.670:
	global_load_ushort v1, v[2:3], off
.LBB409_671:
	s_mov_b64 s[2:3], 0
.LBB409_672:
	s_andn2_b64 vcc, exec, s[2:3]
	s_cbranch_vccnz .LBB409_692
; %bb.673:
	s_cmp_lt_i32 s10, 2
	s_cbranch_scc1 .LBB409_677
; %bb.674:
	s_cmp_lt_i32 s10, 3
	s_cbranch_scc1 .LBB409_678
; %bb.675:
	s_cmp_gt_i32 s10, 3
	s_cbranch_scc0 .LBB409_679
; %bb.676:
	global_load_dwordx2 v[4:5], v[2:3], off
	s_mov_b64 s[2:3], 0
	s_waitcnt vmcnt(0)
	v_xor_b32_e32 v6, v4, v5
	v_ffbh_i32_e32 v1, v5
	v_ashrrev_i32_e32 v6, 31, v6
	v_add_u32_e32 v1, -1, v1
	v_add_u32_e32 v6, 32, v6
	v_min_u32_e32 v1, v1, v6
	v_lshlrev_b64 v[4:5], v1, v[4:5]
	v_min_u32_e32 v4, 1, v4
	v_or_b32_e32 v4, v5, v4
	v_cvt_f32_i32_e32 v4, v4
	v_sub_u32_e32 v1, 32, v1
	v_ldexp_f32 v1, v4, v1
	v_cvt_f16_f32_e32 v1, v1
	s_branch .LBB409_680
.LBB409_677:
	s_mov_b64 s[2:3], -1
                                        ; implicit-def: $vgpr1
	s_branch .LBB409_686
.LBB409_678:
	s_mov_b64 s[2:3], -1
                                        ; implicit-def: $vgpr1
	s_branch .LBB409_683
.LBB409_679:
	s_mov_b64 s[2:3], -1
                                        ; implicit-def: $vgpr1
.LBB409_680:
	s_andn2_b64 vcc, exec, s[2:3]
	s_cbranch_vccnz .LBB409_682
; %bb.681:
	global_load_dword v1, v[2:3], off
	s_waitcnt vmcnt(0)
	v_cvt_f32_i32_e32 v1, v1
	v_cvt_f16_f32_e32 v1, v1
.LBB409_682:
	s_mov_b64 s[2:3], 0
.LBB409_683:
	s_andn2_b64 vcc, exec, s[2:3]
	s_cbranch_vccnz .LBB409_685
; %bb.684:
	global_load_ushort v1, v[2:3], off
	s_waitcnt vmcnt(0)
	v_cvt_f16_i16_e32 v1, v1
.LBB409_685:
	s_mov_b64 s[2:3], 0
.LBB409_686:
	s_andn2_b64 vcc, exec, s[2:3]
	s_cbranch_vccnz .LBB409_692
; %bb.687:
	s_cmp_gt_i32 s10, 0
	s_cbranch_scc0 .LBB409_689
; %bb.688:
	global_load_sbyte v1, v[2:3], off
	s_mov_b64 s[2:3], 0
	s_waitcnt vmcnt(0)
	v_cvt_f16_i16_e32 v1, v1
	s_branch .LBB409_690
.LBB409_689:
	s_mov_b64 s[2:3], -1
                                        ; implicit-def: $vgpr1
.LBB409_690:
	s_andn2_b64 vcc, exec, s[2:3]
	s_cbranch_vccnz .LBB409_692
; %bb.691:
	global_load_ubyte v1, v[2:3], off
	s_waitcnt vmcnt(0)
	v_cvt_f16_u16_e32 v1, v1
.LBB409_692:
	s_mov_b64 s[2:3], -1
.LBB409_693:
	s_andn2_b64 vcc, exec, s[2:3]
	s_cbranch_vccnz .LBB409_701
; %bb.694:
	s_waitcnt vmcnt(0)
	v_cmp_u_f16_e32 vcc, v1, v1
	v_cmp_lt_f16_e64 s[2:3], s74, v1
	v_mov_b32_e32 v2, s74
	s_or_b64 vcc, vcc, s[2:3]
	v_cndmask_b32_e32 v2, v2, v1, vcc
	v_mov_b32_e32 v1, 0
	s_and_b32 s12, s73, 0xff
	s_cmp_lt_i32 s12, 11
	v_lshl_add_u64 v[0:1], s[20:21], 0, v[0:1]
	s_cbranch_scc1 .LBB409_702
; %bb.695:
	s_and_b32 s13, 0xffff, s12
	s_cmp_gt_i32 s13, 25
	s_cbranch_scc0 .LBB409_703
; %bb.696:
	s_cmp_gt_i32 s13, 28
	s_cbranch_scc0 .LBB409_704
; %bb.697:
	;; [unrolled: 3-line block ×4, first 2 shown]
	s_mov_b64 s[8:9], 0
	s_mov_b64 s[2:3], -1
	s_cmp_eq_u32 s13, 46
	s_mov_b64 s[6:7], 0
	s_cbranch_scc0 .LBB409_707
; %bb.700:
	v_cvt_f32_f16_e32 v3, v2
	s_movk_i32 s2, 0x7fff
	v_cmp_o_f16_e32 vcc, v2, v2
	v_mov_b32_e32 v4, 0x7fc0
	v_bfe_u32 v5, v3, 16, 1
	v_add3_u32 v3, v3, v5, s2
	v_cndmask_b32_sdwa v3, v4, v3, vcc dst_sel:DWORD dst_unused:UNUSED_PAD src0_sel:DWORD src1_sel:WORD_1
	global_store_dword v[0:1], v3, off
	s_mov_b64 s[6:7], -1
	s_mov_b64 s[2:3], 0
	s_branch .LBB409_707
.LBB409_701:
	s_mov_b64 s[6:7], 0
	s_mov_b64 s[2:3], s[62:63]
	s_branch .LBB409_818
.LBB409_702:
	s_mov_b64 s[8:9], -1
	s_mov_b64 s[6:7], 0
	s_mov_b64 s[2:3], s[62:63]
	s_branch .LBB409_776
.LBB409_703:
	s_mov_b64 s[8:9], -1
	s_mov_b64 s[6:7], 0
	s_mov_b64 s[2:3], s[62:63]
	s_branch .LBB409_734
.LBB409_704:
	s_mov_b64 s[8:9], -1
	s_mov_b64 s[6:7], 0
	s_mov_b64 s[2:3], s[62:63]
	s_branch .LBB409_717
.LBB409_705:
	s_mov_b64 s[8:9], -1
	s_mov_b64 s[6:7], 0
	s_mov_b64 s[2:3], s[62:63]
	s_branch .LBB409_713
.LBB409_706:
	s_mov_b64 s[8:9], -1
	s_mov_b64 s[6:7], 0
	s_mov_b64 s[2:3], s[62:63]
.LBB409_707:
	s_and_b64 vcc, exec, s[8:9]
	s_cbranch_vccz .LBB409_712
; %bb.708:
	s_cmp_eq_u32 s13, 44
	s_mov_b64 s[2:3], -1
	s_cbranch_scc0 .LBB409_712
; %bb.709:
	v_cvt_f32_f16_e32 v3, v2
	s_movk_i32 s2, 0xff
	v_mov_b32_e32 v5, 0xff
	v_bfe_u32 v4, v3, 23, 8
	v_cmp_ne_u32_e32 vcc, s2, v4
	s_and_saveexec_b64 s[6:7], vcc
; %bb.710:
	s_mov_b32 s2, 0x3fffff
	v_lshrrev_b32_e32 v5, 23, v3
	v_and_b32_e32 v6, 0x400000, v3
	v_and_or_b32 v3, v3, s2, v4
	v_cmp_ne_u32_e32 vcc, 0, v6
	v_cmp_ne_u32_e64 s[2:3], 0, v3
	s_and_b64 s[2:3], vcc, s[2:3]
	s_nop 0
	v_cndmask_b32_e64 v3, 0, 1, s[2:3]
	v_add_u32_e32 v5, v5, v3
; %bb.711:
	s_or_b64 exec, exec, s[6:7]
	s_mov_b64 s[6:7], -1
	s_mov_b64 s[2:3], 0
	global_store_byte v[0:1], v5, off
.LBB409_712:
	s_mov_b64 s[8:9], 0
.LBB409_713:
	s_and_b64 vcc, exec, s[8:9]
	s_cbranch_vccz .LBB409_716
; %bb.714:
	s_cmp_eq_u32 s13, 29
	s_mov_b64 s[2:3], -1
	s_cbranch_scc0 .LBB409_716
; %bb.715:
	v_cvt_f32_f16_e32 v3, v2
	v_mov_b32_e32 v5, 0
	s_mov_b64 s[6:7], -1
	s_mov_b64 s[2:3], 0
	v_cvt_u32_f32_e32 v4, v3
	s_mov_b64 s[8:9], 0
	global_store_dwordx2 v[0:1], v[4:5], off
	s_branch .LBB409_717
.LBB409_716:
	s_mov_b64 s[8:9], 0
.LBB409_717:
	s_and_b64 vcc, exec, s[8:9]
	s_cbranch_vccz .LBB409_733
; %bb.718:
	s_cmp_lt_i32 s13, 27
	s_mov_b64 s[6:7], -1
	s_cbranch_scc1 .LBB409_724
; %bb.719:
	s_cmp_gt_i32 s13, 27
	s_cbranch_scc0 .LBB409_721
; %bb.720:
	v_cvt_f32_f16_e32 v3, v2
	s_mov_b64 s[6:7], 0
	v_cvt_u32_f32_e32 v3, v3
	global_store_dword v[0:1], v3, off
.LBB409_721:
	s_andn2_b64 vcc, exec, s[6:7]
	s_cbranch_vccnz .LBB409_723
; %bb.722:
	v_cvt_u16_f16_e32 v3, v2
	global_store_short v[0:1], v3, off
.LBB409_723:
	s_mov_b64 s[6:7], 0
.LBB409_724:
	s_andn2_b64 vcc, exec, s[6:7]
	s_cbranch_vccnz .LBB409_732
; %bb.725:
	v_cvt_f32_f16_e32 v3, v2
	s_mov_b32 s6, 0x43800000
	v_mov_b32_e32 v5, 0x80
	v_and_b32_e32 v4, 0x7fffffff, v3
	v_cmp_gt_u32_e32 vcc, s6, v4
	s_and_saveexec_b64 s[6:7], vcc
	s_cbranch_execz .LBB409_731
; %bb.726:
	s_mov_b32 s8, 0x3bffffff
	v_cmp_lt_u32_e32 vcc, s8, v4
	s_mov_b64 s[8:9], 0
                                        ; implicit-def: $vgpr4
	s_and_saveexec_b64 s[10:11], vcc
	s_xor_b64 s[10:11], exec, s[10:11]
	s_cbranch_execz .LBB409_849
; %bb.727:
	v_bfe_u32 v4, v3, 20, 1
	s_mov_b32 s14, 0x487ffff
	v_add3_u32 v4, v3, v4, s14
	s_mov_b64 s[8:9], exec
	v_lshrrev_b32_e32 v4, 20, v4
	s_andn2_saveexec_b64 s[10:11], s[10:11]
	s_cbranch_execnz .LBB409_850
.LBB409_728:
	s_or_b64 exec, exec, s[10:11]
	v_mov_b32_e32 v5, 0
	s_and_saveexec_b64 s[10:11], s[8:9]
.LBB409_729:
	v_lshrrev_b32_e32 v3, 24, v3
	s_movk_i32 s8, 0x80
	v_and_or_b32 v5, v3, s8, v4
.LBB409_730:
	s_or_b64 exec, exec, s[10:11]
.LBB409_731:
	s_or_b64 exec, exec, s[6:7]
	global_store_byte v[0:1], v5, off
.LBB409_732:
	s_mov_b64 s[6:7], -1
.LBB409_733:
	s_mov_b64 s[8:9], 0
.LBB409_734:
	s_and_b64 vcc, exec, s[8:9]
	s_cbranch_vccz .LBB409_775
; %bb.735:
	s_cmp_gt_i32 s13, 22
	s_mov_b64 s[8:9], -1
	s_cbranch_scc0 .LBB409_767
; %bb.736:
	s_cmp_lt_i32 s13, 24
	s_mov_b64 s[6:7], -1
	s_cbranch_scc1 .LBB409_756
; %bb.737:
	s_cmp_gt_i32 s13, 24
	s_cbranch_scc0 .LBB409_745
; %bb.738:
	v_cvt_f32_f16_e32 v3, v2
	s_mov_b32 s6, 0x47800000
	v_mov_b32_e32 v5, 0x80
	v_and_b32_e32 v4, 0x7fffffff, v3
	v_cmp_gt_u32_e32 vcc, s6, v4
	s_and_saveexec_b64 s[6:7], vcc
	s_cbranch_execz .LBB409_744
; %bb.739:
	s_mov_b32 s8, 0x37ffffff
	v_cmp_lt_u32_e32 vcc, s8, v4
	s_mov_b64 s[8:9], 0
                                        ; implicit-def: $vgpr4
	s_and_saveexec_b64 s[10:11], vcc
	s_xor_b64 s[10:11], exec, s[10:11]
	s_cbranch_execz .LBB409_852
; %bb.740:
	v_bfe_u32 v4, v3, 21, 1
	s_mov_b32 s14, 0x88fffff
	v_add3_u32 v4, v3, v4, s14
	s_mov_b64 s[8:9], exec
	v_lshrrev_b32_e32 v4, 21, v4
	s_andn2_saveexec_b64 s[10:11], s[10:11]
	s_cbranch_execnz .LBB409_853
.LBB409_741:
	s_or_b64 exec, exec, s[10:11]
	v_mov_b32_e32 v5, 0
	s_and_saveexec_b64 s[10:11], s[8:9]
.LBB409_742:
	v_lshrrev_b32_e32 v3, 24, v3
	s_movk_i32 s8, 0x80
	v_and_or_b32 v5, v3, s8, v4
.LBB409_743:
	s_or_b64 exec, exec, s[10:11]
.LBB409_744:
	s_or_b64 exec, exec, s[6:7]
	s_mov_b64 s[6:7], 0
	global_store_byte v[0:1], v5, off
.LBB409_745:
	s_and_b64 vcc, exec, s[6:7]
	s_cbranch_vccz .LBB409_755
; %bb.746:
	v_cvt_f32_f16_e32 v3, v2
	s_mov_b32 s6, 0x43f00000
                                        ; implicit-def: $vgpr4
	v_and_b32_e32 v5, 0x7fffffff, v3
	v_cmp_gt_u32_e32 vcc, s6, v5
	s_and_saveexec_b64 s[6:7], vcc
	s_xor_b64 s[6:7], exec, s[6:7]
	s_cbranch_execz .LBB409_752
; %bb.747:
	s_mov_b32 s8, 0x3c7fffff
	v_cmp_lt_u32_e32 vcc, s8, v5
                                        ; implicit-def: $vgpr4
	s_and_saveexec_b64 s[8:9], vcc
	s_xor_b64 s[8:9], exec, s[8:9]
; %bb.748:
	v_bfe_u32 v4, v3, 20, 1
	s_mov_b32 s10, 0x407ffff
	v_add3_u32 v4, v3, v4, s10
	v_lshrrev_b32_e32 v5, 20, v4
	v_and_b32_e32 v4, 0xff00000, v4
	s_mov_b32 s10, 0x7f00000
	v_mov_b32_e32 v6, 0x7e
	v_cmp_ne_u32_e32 vcc, s10, v4
	s_nop 1
	v_cndmask_b32_e32 v4, v6, v5, vcc
; %bb.749:
	s_andn2_saveexec_b64 s[8:9], s[8:9]
; %bb.750:
	s_mov_b32 s10, 0x46800000
	v_add_f32_e64 v4, |v3|, s10
; %bb.751:
	s_or_b64 exec, exec, s[8:9]
                                        ; implicit-def: $vgpr5
.LBB409_752:
	s_andn2_saveexec_b64 s[6:7], s[6:7]
; %bb.753:
	s_mov_b32 s8, 0x7f800000
	v_mov_b32_e32 v4, 0x7e
	v_mov_b32_e32 v6, 0x7f
	v_cmp_lt_u32_e32 vcc, s8, v5
	s_nop 1
	v_cndmask_b32_e32 v4, v4, v6, vcc
; %bb.754:
	s_or_b64 exec, exec, s[6:7]
	v_lshrrev_b32_e32 v3, 24, v3
	s_movk_i32 s6, 0x80
	v_and_or_b32 v3, v3, s6, v4
	global_store_byte v[0:1], v3, off
.LBB409_755:
	s_mov_b64 s[6:7], 0
.LBB409_756:
	s_andn2_b64 vcc, exec, s[6:7]
	s_cbranch_vccnz .LBB409_766
; %bb.757:
	v_cvt_f32_f16_e32 v3, v2
	s_mov_b32 s6, 0x47800000
                                        ; implicit-def: $vgpr4
	v_and_b32_e32 v5, 0x7fffffff, v3
	v_cmp_gt_u32_e32 vcc, s6, v5
	s_and_saveexec_b64 s[6:7], vcc
	s_xor_b64 s[6:7], exec, s[6:7]
	s_cbranch_execz .LBB409_763
; %bb.758:
	s_mov_b32 s8, 0x387fffff
	v_cmp_lt_u32_e32 vcc, s8, v5
                                        ; implicit-def: $vgpr4
	s_and_saveexec_b64 s[8:9], vcc
	s_xor_b64 s[8:9], exec, s[8:9]
; %bb.759:
	v_bfe_u32 v4, v3, 21, 1
	s_mov_b32 s10, 0x80fffff
	v_add3_u32 v4, v3, v4, s10
	v_lshrrev_b32_e32 v4, 21, v4
; %bb.760:
	s_andn2_saveexec_b64 s[8:9], s[8:9]
; %bb.761:
	s_mov_b32 s10, 0x43000000
	v_add_f32_e64 v4, |v3|, s10
; %bb.762:
	s_or_b64 exec, exec, s[8:9]
                                        ; implicit-def: $vgpr5
.LBB409_763:
	s_andn2_saveexec_b64 s[6:7], s[6:7]
; %bb.764:
	s_mov_b32 s8, 0x7f800000
	v_mov_b32_e32 v4, 0x7c
	v_mov_b32_e32 v6, 0x7f
	v_cmp_lt_u32_e32 vcc, s8, v5
	s_nop 1
	v_cndmask_b32_e32 v4, v4, v6, vcc
; %bb.765:
	s_or_b64 exec, exec, s[6:7]
	v_lshrrev_b32_e32 v3, 24, v3
	s_movk_i32 s6, 0x80
	v_and_or_b32 v3, v3, s6, v4
	global_store_byte v[0:1], v3, off
.LBB409_766:
	s_mov_b64 s[8:9], 0
	s_mov_b64 s[6:7], -1
.LBB409_767:
	s_andn2_b64 vcc, exec, s[8:9]
	s_cbranch_vccnz .LBB409_775
; %bb.768:
	s_cmp_gt_i32 s13, 14
	s_mov_b64 s[8:9], -1
	s_cbranch_scc0 .LBB409_772
; %bb.769:
	s_cmp_eq_u32 s13, 15
	s_mov_b64 s[2:3], -1
	s_cbranch_scc0 .LBB409_771
; %bb.770:
	v_cvt_f32_f16_e32 v3, v2
	s_movk_i32 s2, 0x7fff
	v_cmp_o_f16_e32 vcc, v2, v2
	v_mov_b32_e32 v4, 0x7fc0
	v_bfe_u32 v5, v3, 16, 1
	v_add3_u32 v3, v3, v5, s2
	v_cndmask_b32_sdwa v3, v4, v3, vcc dst_sel:DWORD dst_unused:UNUSED_PAD src0_sel:DWORD src1_sel:WORD_1
	global_store_short v[0:1], v3, off
	s_mov_b64 s[6:7], -1
	s_mov_b64 s[2:3], 0
.LBB409_771:
	s_mov_b64 s[8:9], 0
.LBB409_772:
	s_and_b64 vcc, exec, s[8:9]
	s_cbranch_vccz .LBB409_775
; %bb.773:
	s_cmp_eq_u32 s13, 11
	s_mov_b64 s[2:3], -1
	s_cbranch_scc0 .LBB409_775
; %bb.774:
	v_and_b32_e32 v3, 0x7fff, v2
	v_cmp_ne_u16_e32 vcc, 0, v3
	s_mov_b64 s[6:7], -1
	s_mov_b64 s[2:3], 0
	v_cndmask_b32_e64 v3, 0, 1, vcc
	global_store_byte v[0:1], v3, off
.LBB409_775:
	s_mov_b64 s[8:9], 0
.LBB409_776:
	s_and_b64 vcc, exec, s[8:9]
	s_cbranch_vccz .LBB409_815
; %bb.777:
	s_and_b32 s8, 0xffff, s12
	s_cmp_lt_i32 s8, 5
	s_mov_b64 s[6:7], -1
	s_cbranch_scc1 .LBB409_798
; %bb.778:
	s_cmp_lt_i32 s8, 8
	s_cbranch_scc1 .LBB409_788
; %bb.779:
	s_cmp_lt_i32 s8, 9
	s_cbranch_scc1 .LBB409_785
; %bb.780:
	s_cmp_gt_i32 s8, 9
	s_cbranch_scc0 .LBB409_782
; %bb.781:
	v_cvt_f32_f16_e32 v3, v2
	v_mov_b32_e32 v6, 0
	v_mov_b32_e32 v7, v6
	s_mov_b64 s[6:7], 0
	v_cvt_f64_f32_e32 v[4:5], v3
	global_store_dwordx4 v[0:1], v[4:7], off
.LBB409_782:
	s_andn2_b64 vcc, exec, s[6:7]
	s_cbranch_vccnz .LBB409_784
; %bb.783:
	v_cvt_f32_f16_e32 v4, v2
	v_mov_b32_e32 v5, 0
	global_store_dwordx2 v[0:1], v[4:5], off
.LBB409_784:
	s_mov_b64 s[6:7], 0
.LBB409_785:
	s_andn2_b64 vcc, exec, s[6:7]
	s_cbranch_vccnz .LBB409_787
; %bb.786:
	v_and_b32_e32 v3, 0xffff, v2
	global_store_dword v[0:1], v3, off
.LBB409_787:
	s_mov_b64 s[6:7], 0
.LBB409_788:
	s_andn2_b64 vcc, exec, s[6:7]
	s_cbranch_vccnz .LBB409_797
; %bb.789:
	s_cmp_lt_i32 s8, 6
	s_mov_b64 s[6:7], -1
	s_cbranch_scc1 .LBB409_795
; %bb.790:
	s_cmp_gt_i32 s8, 6
	s_cbranch_scc0 .LBB409_792
; %bb.791:
	v_cvt_f32_f16_e32 v3, v2
	s_mov_b64 s[6:7], 0
	v_cvt_f64_f32_e32 v[4:5], v3
	global_store_dwordx2 v[0:1], v[4:5], off
.LBB409_792:
	s_andn2_b64 vcc, exec, s[6:7]
	s_cbranch_vccnz .LBB409_794
; %bb.793:
	v_cvt_f32_f16_e32 v3, v2
	global_store_dword v[0:1], v3, off
.LBB409_794:
	s_mov_b64 s[6:7], 0
.LBB409_795:
	s_andn2_b64 vcc, exec, s[6:7]
	s_cbranch_vccnz .LBB409_797
; %bb.796:
	global_store_short v[0:1], v2, off
.LBB409_797:
	s_mov_b64 s[6:7], 0
.LBB409_798:
	s_andn2_b64 vcc, exec, s[6:7]
	s_cbranch_vccnz .LBB409_814
; %bb.799:
	s_cmp_lt_i32 s8, 2
	s_mov_b64 s[6:7], -1
	s_cbranch_scc1 .LBB409_809
; %bb.800:
	s_cmp_lt_i32 s8, 3
	s_cbranch_scc1 .LBB409_806
; %bb.801:
	s_cmp_gt_i32 s8, 3
	s_cbranch_scc0 .LBB409_803
; %bb.802:
	v_cvt_f32_f16_e32 v3, v2
	s_mov_b64 s[6:7], 0
	v_cvt_i32_f32_e32 v4, v3
	v_ashrrev_i32_e32 v5, 31, v4
	global_store_dwordx2 v[0:1], v[4:5], off
.LBB409_803:
	s_andn2_b64 vcc, exec, s[6:7]
	s_cbranch_vccnz .LBB409_805
; %bb.804:
	v_cvt_f32_f16_e32 v3, v2
	v_cvt_i32_f32_e32 v3, v3
	global_store_dword v[0:1], v3, off
.LBB409_805:
	s_mov_b64 s[6:7], 0
.LBB409_806:
	s_andn2_b64 vcc, exec, s[6:7]
	s_cbranch_vccnz .LBB409_808
; %bb.807:
	v_cvt_i16_f16_e32 v3, v2
	global_store_short v[0:1], v3, off
.LBB409_808:
	s_mov_b64 s[6:7], 0
.LBB409_809:
	s_andn2_b64 vcc, exec, s[6:7]
	s_cbranch_vccnz .LBB409_814
; %bb.810:
	s_cmp_gt_i32 s8, 0
	s_mov_b64 s[6:7], -1
	s_cbranch_scc0 .LBB409_812
; %bb.811:
	v_cvt_i16_f16_e32 v3, v2
	s_mov_b64 s[6:7], 0
	global_store_byte v[0:1], v3, off
.LBB409_812:
	s_andn2_b64 vcc, exec, s[6:7]
	s_cbranch_vccnz .LBB409_814
; %bb.813:
	v_cvt_f32_f16_e32 v2, v2
	v_cvt_i32_f32_e32 v2, v2
	global_store_byte v[0:1], v2, off
.LBB409_814:
	s_mov_b64 s[6:7], -1
.LBB409_815:
	s_andn2_b64 vcc, exec, s[6:7]
	s_cbranch_vccnz .LBB409_817
; %bb.816:
	v_add_u32_e32 v8, 0x80, v8
	s_mov_b64 s[6:7], -1
	s_branch .LBB409_819
.LBB409_817:
	s_mov_b64 s[6:7], 0
.LBB409_818:
                                        ; implicit-def: $vgpr8
.LBB409_819:
	s_andn2_b64 s[8:9], s[62:63], exec
	s_and_b64 s[2:3], s[2:3], exec
	s_or_b64 s[68:69], s[8:9], s[2:3]
	s_andn2_b64 s[2:3], s[60:61], exec
	s_and_b64 s[4:5], s[4:5], exec
	s_or_b64 s[2:3], s[2:3], s[4:5]
	s_orn2_b64 s[6:7], s[6:7], exec
.LBB409_820:
	s_or_b64 exec, exec, s[66:67]
	s_mov_b64 s[4:5], 0
	s_mov_b64 s[10:11], 0
	;; [unrolled: 1-line block ×3, first 2 shown]
                                        ; implicit-def: $vgpr2_vgpr3
                                        ; implicit-def: $vgpr0
                                        ; implicit-def: $vgpr1
	s_and_saveexec_b64 s[66:67], s[6:7]
	s_cbranch_execz .LBB409_920
; %bb.821:
	v_cmp_gt_i32_e32 vcc, s70, v8
	s_mov_b64 s[6:7], 0
	s_mov_b64 s[12:13], s[2:3]
                                        ; implicit-def: $vgpr2_vgpr3
                                        ; implicit-def: $vgpr0
                                        ; implicit-def: $vgpr1
	s_and_saveexec_b64 s[70:71], vcc
	s_cbranch_execz .LBB409_919
; %bb.822:
	s_andn2_b64 vcc, exec, s[42:43]
	s_cbranch_vccnz .LBB409_828
; %bb.823:
	s_andn2_b64 vcc, exec, s[52:53]
	s_cbranch_vccnz .LBB409_829
; %bb.824:
	s_add_i32 s77, s76, 1
	s_cmp_eq_u32 s72, 2
	s_cbranch_scc1 .LBB409_830
; %bb.825:
	s_and_b32 s76, s77, 28
	s_mov_b32 s78, 0
	v_mov_b32_e32 v0, 0
	v_mov_b32_e32 v2, 0
	s_mov_b64 s[52:53], s[34:35]
	v_mov_b32_e32 v4, v8
.LBB409_826:                            ; =>This Inner Loop Header: Depth=1
	s_load_dwordx8 s[12:19], s[52:53], 0x4
	s_load_dwordx4 s[36:39], s[52:53], 0x24
	s_load_dwordx8 s[4:11], s[50:51], 0x0
	s_add_u32 s52, s52, 48
	s_addc_u32 s53, s53, 0
	s_waitcnt vmcnt(0) lgkmcnt(0)
	v_mul_hi_u32 v1, s13, v4
	v_add_u32_e32 v1, v4, v1
	v_lshrrev_b32_e32 v1, s14, v1
	v_mul_lo_u32 v3, v1, s12
	v_mul_hi_u32 v5, s16, v1
	v_sub_u32_e32 v3, v4, v3
	v_add_u32_e32 v4, v1, v5
	v_lshrrev_b32_e32 v4, s17, v4
	v_mul_lo_u32 v6, v4, s15
	v_mul_hi_u32 v7, s19, v4
	v_sub_u32_e32 v1, v1, v6
	v_add_u32_e32 v6, v4, v7
	v_mul_lo_u32 v5, v3, s5
	v_mul_lo_u32 v3, v3, s4
	v_mul_lo_u32 v7, v1, s7
	v_mul_lo_u32 v1, v1, s6
	v_lshrrev_b32_e32 v6, s36, v6
	v_add3_u32 v0, v3, v0, v1
	v_mul_hi_u32 v3, s38, v6
	v_add3_u32 v1, v5, v2, v7
	v_mul_lo_u32 v2, v6, s18
	v_add_u32_e32 v3, v6, v3
	v_sub_u32_e32 v2, v4, v2
	v_lshrrev_b32_e32 v4, s39, v3
	s_add_i32 s78, s78, 4
	v_mul_lo_u32 v3, v4, s37
	s_add_u32 s50, s50, 32
	v_sub_u32_e32 v3, v6, v3
	s_addc_u32 s51, s51, 0
	v_mul_lo_u32 v5, v2, s8
	v_mul_lo_u32 v2, v2, s9
	;; [unrolled: 1-line block ×4, first 2 shown]
	s_cmp_eq_u32 s76, s78
	v_add3_u32 v2, v2, v1, v3
	v_add3_u32 v0, v5, v0, v6
	s_cbranch_scc0 .LBB409_826
; %bb.827:
	v_mov_b32_e32 v1, v2
	s_branch .LBB409_831
.LBB409_828:
	s_mov_b64 s[4:5], -1
                                        ; implicit-def: $vgpr2
                                        ; implicit-def: $vgpr0
	s_branch .LBB409_835
.LBB409_829:
	v_mov_b32_e32 v2, 0
	v_mov_b32_e32 v0, 0
	s_branch .LBB409_834
.LBB409_830:
	v_mov_b32_e32 v0, 0
	s_mov_b32 s76, 0
	s_waitcnt vmcnt(0)
	v_mov_b32_e32 v1, v0
                                        ; implicit-def: $vgpr2
	v_mov_b32_e32 v4, v8
.LBB409_831:
	s_and_b32 s8, s77, 3
	s_cmp_eq_u32 s8, 0
	s_cbranch_scc1 .LBB409_834
; %bb.832:
	s_lshl_b32 s4, s76, 3
	s_add_u32 s4, s34, s4
	s_addc_u32 s5, s35, 0
	s_add_u32 s4, s4, 0xc4
	s_addc_u32 s5, s5, 0
	s_mul_i32 s6, s76, 12
	s_add_u32 s6, s34, s6
	s_addc_u32 s7, s35, 0
.LBB409_833:                            ; =>This Inner Loop Header: Depth=1
	s_load_dwordx2 s[10:11], s[6:7], 0x4
	s_load_dword s9, s[6:7], 0xc
	s_load_dwordx2 s[12:13], s[4:5], 0x0
	v_mov_b32_e32 v2, v1
	s_add_u32 s6, s6, 12
	s_waitcnt lgkmcnt(0)
	v_mul_hi_u32 v1, s11, v4
	v_add_u32_e32 v1, v4, v1
	v_lshrrev_b32_e32 v1, s9, v1
	s_addc_u32 s7, s7, 0
	v_mul_lo_u32 v3, v1, s10
	s_add_u32 s4, s4, 8
	v_sub_u32_e32 v5, v4, v3
	s_addc_u32 s5, s5, 0
	s_add_i32 s8, s8, -1
	v_mov_b32_e32 v4, v1
	v_mad_u64_u32 v[2:3], s[10:11], v5, s13, v[2:3]
	v_mad_u64_u32 v[0:1], s[10:11], v5, s12, v[0:1]
	s_cmp_lg_u32 s8, 0
	v_mov_b32_e32 v1, v2
	s_cbranch_scc1 .LBB409_833
.LBB409_834:
	s_mov_b64 s[4:5], 0
.LBB409_835:
	s_andn2_b64 vcc, exec, s[4:5]
	s_cbranch_vccnz .LBB409_838
; %bb.836:
	v_mul_hi_u32 v0, s25, v8
	v_add_u32_e32 v0, v8, v0
	s_waitcnt vmcnt(0)
	v_lshrrev_b32_e32 v1, s26, v0
	v_mul_lo_u32 v0, v1, s24
	v_sub_u32_e32 v0, v8, v0
	v_mul_lo_u32 v2, v0, s29
	s_andn2_b64 vcc, exec, s[48:49]
	v_mul_lo_u32 v0, v0, s28
	s_cbranch_vccnz .LBB409_838
; %bb.837:
	v_mul_hi_u32 v3, s46, v1
	v_add_u32_e32 v3, v1, v3
	v_lshrrev_b32_e32 v3, s47, v3
	v_mul_lo_u32 v3, v3, s27
	v_sub_u32_e32 v3, v1, v3
	v_mad_u64_u32 v[0:1], s[4:5], v3, s30, v[0:1]
	v_mad_u64_u32 v[2:3], s[4:5], v3, s31, v[2:3]
.LBB409_838:
	v_mov_b32_e32 v3, 0
	s_and_b32 s14, 0xffff, s75
	s_cmp_lt_i32 s14, 11
	v_lshl_add_u64 v[2:3], s[22:23], 0, v[2:3]
	s_cbranch_scc1 .LBB409_845
; %bb.839:
	s_cmp_gt_i32 s14, 25
	s_mov_b64 s[6:7], 0
	s_cbranch_scc0 .LBB409_846
; %bb.840:
	s_cmp_gt_i32 s14, 28
	s_cbranch_scc0 .LBB409_847
; %bb.841:
	s_cmp_gt_i32 s14, 43
	;; [unrolled: 3-line block ×3, first 2 shown]
	s_cbranch_scc0 .LBB409_851
; %bb.843:
	s_cmp_eq_u32 s14, 46
	s_mov_b64 s[10:11], 0
	s_cbranch_scc0 .LBB409_854
; %bb.844:
	global_load_dword v1, v[2:3], off
	s_mov_b64 s[4:5], 0
	s_mov_b64 s[8:9], -1
	s_waitcnt vmcnt(0)
	v_lshlrev_b32_e32 v1, 16, v1
	v_cvt_f16_f32_e32 v1, v1
	s_branch .LBB409_855
.LBB409_845:
	s_mov_b64 s[10:11], -1
	s_mov_b64 s[8:9], 0
	s_mov_b64 s[6:7], 0
	;; [unrolled: 1-line block ×3, first 2 shown]
                                        ; implicit-def: $vgpr1
	s_branch .LBB409_918
.LBB409_846:
	s_mov_b64 s[10:11], -1
	s_mov_b64 s[8:9], 0
	s_mov_b64 s[4:5], s[2:3]
                                        ; implicit-def: $vgpr1
	s_branch .LBB409_884
.LBB409_847:
	s_mov_b64 s[10:11], -1
	s_mov_b64 s[8:9], 0
	s_mov_b64 s[4:5], s[2:3]
                                        ; implicit-def: $vgpr1
	s_branch .LBB409_865
.LBB409_848:
	s_mov_b64 s[10:11], -1
	s_mov_b64 s[8:9], 0
	s_mov_b64 s[4:5], s[2:3]
                                        ; implicit-def: $vgpr1
	s_branch .LBB409_860
.LBB409_849:
	s_andn2_saveexec_b64 s[10:11], s[10:11]
	s_cbranch_execz .LBB409_728
.LBB409_850:
	s_mov_b32 s14, 0x46000000
	v_add_f32_e64 v4, |v3|, s14
	v_and_b32_e32 v4, 0xff, v4
	v_cmp_ne_u32_e32 vcc, 0, v4
	s_andn2_b64 s[8:9], s[8:9], exec
	s_and_b64 s[14:15], vcc, exec
	s_or_b64 s[8:9], s[8:9], s[14:15]
	s_or_b64 exec, exec, s[10:11]
	v_mov_b32_e32 v5, 0
	s_and_saveexec_b64 s[10:11], s[8:9]
	s_cbranch_execnz .LBB409_729
	s_branch .LBB409_730
.LBB409_851:
	s_mov_b64 s[10:11], -1
	s_mov_b64 s[8:9], 0
	s_mov_b64 s[4:5], s[2:3]
                                        ; implicit-def: $vgpr1
	s_branch .LBB409_855
.LBB409_852:
	s_andn2_saveexec_b64 s[10:11], s[10:11]
	s_cbranch_execz .LBB409_741
.LBB409_853:
	s_mov_b32 s14, 0x42800000
	v_add_f32_e64 v4, |v3|, s14
	v_and_b32_e32 v4, 0xff, v4
	v_cmp_ne_u32_e32 vcc, 0, v4
	s_andn2_b64 s[8:9], s[8:9], exec
	s_and_b64 s[14:15], vcc, exec
	s_or_b64 s[8:9], s[8:9], s[14:15]
	s_or_b64 exec, exec, s[10:11]
	v_mov_b32_e32 v5, 0
	s_and_saveexec_b64 s[10:11], s[8:9]
	s_cbranch_execnz .LBB409_742
	s_branch .LBB409_743
.LBB409_854:
	s_mov_b64 s[4:5], -1
                                        ; implicit-def: $vgpr1
	s_mov_b64 s[8:9], 0
.LBB409_855:
	s_and_b64 vcc, exec, s[10:11]
	s_cbranch_vccz .LBB409_859
; %bb.856:
	s_cmp_eq_u32 s14, 44
	s_cbranch_scc0 .LBB409_858
; %bb.857:
	global_load_ubyte v1, v[2:3], off
	s_movk_i32 s8, 0xff
	v_mov_b32_e32 v5, 0x7e00
	s_mov_b64 s[4:5], 0
	s_waitcnt vmcnt(0)
	v_lshlrev_b32_e32 v4, 23, v1
	v_cvt_f16_f32_e32 v4, v4
	v_cmp_ne_u32_e32 vcc, s8, v1
	s_mov_b64 s[8:9], -1
	s_nop 0
	v_cndmask_b32_e32 v4, v5, v4, vcc
	v_cmp_ne_u32_e32 vcc, 0, v1
	s_nop 1
	v_cndmask_b32_e32 v1, 0, v4, vcc
	s_branch .LBB409_859
.LBB409_858:
	s_mov_b64 s[4:5], -1
                                        ; implicit-def: $vgpr1
.LBB409_859:
	s_mov_b64 s[10:11], 0
.LBB409_860:
	s_and_b64 vcc, exec, s[10:11]
	s_cbranch_vccz .LBB409_864
; %bb.861:
	s_cmp_eq_u32 s14, 29
	s_cbranch_scc0 .LBB409_863
; %bb.862:
	global_load_dwordx2 v[4:5], v[2:3], off
	s_mov_b64 s[4:5], 0
	s_mov_b64 s[8:9], -1
	s_mov_b64 s[10:11], 0
	s_waitcnt vmcnt(0)
	v_ffbh_u32_e32 v1, v5
	v_min_u32_e32 v1, 32, v1
	v_lshlrev_b64 v[4:5], v1, v[4:5]
	v_min_u32_e32 v4, 1, v4
	v_or_b32_e32 v4, v5, v4
	v_cvt_f32_u32_e32 v4, v4
	v_sub_u32_e32 v1, 32, v1
	v_ldexp_f32 v1, v4, v1
	v_cvt_f16_f32_e32 v1, v1
	s_branch .LBB409_865
.LBB409_863:
	s_mov_b64 s[4:5], -1
                                        ; implicit-def: $vgpr1
.LBB409_864:
	s_mov_b64 s[10:11], 0
.LBB409_865:
	s_and_b64 vcc, exec, s[10:11]
	s_cbranch_vccz .LBB409_883
; %bb.866:
	s_cmp_lt_i32 s14, 27
	s_cbranch_scc1 .LBB409_869
; %bb.867:
	s_cmp_gt_i32 s14, 27
	s_cbranch_scc0 .LBB409_870
; %bb.868:
	global_load_dword v1, v[2:3], off
	s_mov_b64 s[8:9], 0
	s_waitcnt vmcnt(0)
	v_cvt_f32_u32_e32 v1, v1
	v_cvt_f16_f32_e32 v1, v1
	s_branch .LBB409_871
.LBB409_869:
	s_mov_b64 s[8:9], -1
                                        ; implicit-def: $vgpr1
	s_branch .LBB409_874
.LBB409_870:
	s_mov_b64 s[8:9], -1
                                        ; implicit-def: $vgpr1
.LBB409_871:
	s_andn2_b64 vcc, exec, s[8:9]
	s_cbranch_vccnz .LBB409_873
; %bb.872:
	global_load_ushort v1, v[2:3], off
	s_waitcnt vmcnt(0)
	v_cvt_f16_u16_e32 v1, v1
.LBB409_873:
	s_mov_b64 s[8:9], 0
.LBB409_874:
	s_andn2_b64 vcc, exec, s[8:9]
	s_cbranch_vccnz .LBB409_882
; %bb.875:
	global_load_ubyte v4, v[2:3], off
	s_movk_i32 s8, 0x7f
	s_waitcnt vmcnt(0)
	v_cmp_lt_i16_e32 vcc, s8, v4
	s_mov_b64 s[8:9], 0
	s_and_saveexec_b64 s[10:11], vcc
	s_xor_b64 s[10:11], exec, s[10:11]
	s_cbranch_execz .LBB409_896
; %bb.876:
	s_movk_i32 s8, 0x80
	v_cmp_eq_u16_e32 vcc, s8, v4
	s_mov_b64 s[8:9], -1
	s_and_saveexec_b64 s[12:13], vcc
; %bb.877:
	s_xor_b64 s[8:9], exec, -1
; %bb.878:
	s_or_b64 exec, exec, s[12:13]
	s_and_b64 s[8:9], s[8:9], exec
	s_or_saveexec_b64 s[10:11], s[10:11]
	v_mov_b32_e32 v1, 0x7e00
	s_xor_b64 exec, exec, s[10:11]
	s_cbranch_execnz .LBB409_897
.LBB409_879:
	s_or_b64 exec, exec, s[10:11]
	s_and_saveexec_b64 s[10:11], s[8:9]
	s_cbranch_execz .LBB409_881
.LBB409_880:
	v_lshlrev_b32_e32 v1, 24, v4
	v_and_b32_e32 v4, 0xffff, v4
	v_and_b32_e32 v5, 7, v4
	v_ffbh_u32_e32 v7, v5
	v_min_u32_e32 v7, 32, v7
	v_subrev_u32_e32 v8, 28, v7
	v_bfe_u32 v6, v4, 3, 4
	v_lshlrev_b32_e32 v4, v8, v4
	v_sub_u32_e32 v7, 29, v7
	v_and_b32_e32 v4, 7, v4
	v_cmp_eq_u32_e32 vcc, 0, v6
	v_and_b32_e32 v1, 0x80000000, v1
	s_nop 0
	v_cndmask_b32_e32 v6, v6, v7, vcc
	v_cndmask_b32_e32 v4, v5, v4, vcc
	v_mov_b32_e32 v5, 0x3b800000
	v_lshlrev_b32_e32 v4, 20, v4
	v_lshl_add_u32 v5, v6, 23, v5
	v_or3_b32 v1, v1, v5, v4
	v_cvt_f16_f32_e32 v1, v1
.LBB409_881:
	s_or_b64 exec, exec, s[10:11]
.LBB409_882:
	s_mov_b64 s[8:9], -1
.LBB409_883:
	s_mov_b64 s[10:11], 0
.LBB409_884:
	s_and_b64 vcc, exec, s[10:11]
	s_cbranch_vccz .LBB409_917
; %bb.885:
	s_cmp_gt_i32 s14, 22
	s_cbranch_scc0 .LBB409_895
; %bb.886:
	s_cmp_lt_i32 s14, 24
	s_cbranch_scc1 .LBB409_898
; %bb.887:
	s_cmp_gt_i32 s14, 24
	s_cbranch_scc0 .LBB409_899
; %bb.888:
	global_load_ubyte v4, v[2:3], off
	s_movk_i32 s6, 0x7f
	s_waitcnt vmcnt(0)
	v_cmp_lt_i16_e32 vcc, s6, v4
	s_mov_b64 s[6:7], 0
	s_and_saveexec_b64 s[8:9], vcc
	s_xor_b64 s[8:9], exec, s[8:9]
	s_cbranch_execz .LBB409_911
; %bb.889:
	s_movk_i32 s6, 0x80
	v_cmp_eq_u16_e32 vcc, s6, v4
	s_mov_b64 s[6:7], -1
	s_and_saveexec_b64 s[10:11], vcc
; %bb.890:
	s_xor_b64 s[6:7], exec, -1
; %bb.891:
	s_or_b64 exec, exec, s[10:11]
	s_and_b64 s[6:7], s[6:7], exec
	s_or_saveexec_b64 s[8:9], s[8:9]
	v_mov_b32_e32 v1, 0x7e00
	s_xor_b64 exec, exec, s[8:9]
	s_cbranch_execnz .LBB409_912
.LBB409_892:
	s_or_b64 exec, exec, s[8:9]
	s_and_saveexec_b64 s[8:9], s[6:7]
	s_cbranch_execz .LBB409_894
.LBB409_893:
	v_lshlrev_b32_e32 v1, 24, v4
	v_and_b32_e32 v4, 0xffff, v4
	v_and_b32_e32 v5, 3, v4
	v_ffbh_u32_e32 v7, v5
	v_min_u32_e32 v7, 32, v7
	v_subrev_u32_e32 v8, 29, v7
	v_bfe_u32 v6, v4, 2, 5
	v_lshlrev_b32_e32 v4, v8, v4
	v_sub_u32_e32 v7, 30, v7
	v_and_b32_e32 v4, 3, v4
	v_cmp_eq_u32_e32 vcc, 0, v6
	v_and_b32_e32 v1, 0x80000000, v1
	s_nop 0
	v_cndmask_b32_e32 v6, v6, v7, vcc
	v_cndmask_b32_e32 v4, v5, v4, vcc
	v_mov_b32_e32 v5, 0x37800000
	v_lshlrev_b32_e32 v4, 21, v4
	v_lshl_add_u32 v5, v6, 23, v5
	v_or3_b32 v1, v1, v5, v4
	v_cvt_f16_f32_e32 v1, v1
.LBB409_894:
	s_or_b64 exec, exec, s[8:9]
	s_mov_b64 s[6:7], 0
	s_branch .LBB409_900
.LBB409_895:
	s_mov_b64 s[6:7], -1
                                        ; implicit-def: $vgpr1
	s_branch .LBB409_906
.LBB409_896:
	s_or_saveexec_b64 s[10:11], s[10:11]
	v_mov_b32_e32 v1, 0x7e00
	s_xor_b64 exec, exec, s[10:11]
	s_cbranch_execz .LBB409_879
.LBB409_897:
	v_cmp_ne_u16_e32 vcc, 0, v4
	s_andn2_b64 s[8:9], s[8:9], exec
	s_and_b64 s[12:13], vcc, exec
	s_or_b64 s[8:9], s[8:9], s[12:13]
	v_mov_b32_e32 v1, v4
	s_or_b64 exec, exec, s[10:11]
	s_and_saveexec_b64 s[10:11], s[8:9]
	s_cbranch_execnz .LBB409_880
	s_branch .LBB409_881
.LBB409_898:
	s_mov_b64 s[6:7], -1
                                        ; implicit-def: $vgpr1
	s_branch .LBB409_903
.LBB409_899:
	s_mov_b64 s[6:7], -1
                                        ; implicit-def: $vgpr1
.LBB409_900:
	s_and_b64 vcc, exec, s[6:7]
	s_cbranch_vccz .LBB409_902
; %bb.901:
	global_load_ubyte v1, v[2:3], off
	s_mov_b32 s6, 0x7f800000
	s_waitcnt vmcnt(0)
	v_lshlrev_b32_e32 v1, 24, v1
	v_and_b32_e32 v4, 0x7f000000, v1
	v_ffbh_u32_e32 v5, v4
	v_min_u32_e32 v5, 32, v5
	v_sub_u32_e64 v5, v5, 4 clamp
	v_lshlrev_b32_e32 v7, v5, v4
	v_lshlrev_b32_e32 v5, 23, v5
	v_lshrrev_b32_e32 v7, 4, v7
	v_add_u32_e32 v6, 0x1000000, v4
	v_sub_u32_e32 v5, v7, v5
	v_ashrrev_i32_e32 v6, 8, v6
	v_add_u32_e32 v5, 0x3c000000, v5
	v_and_or_b32 v5, v6, s6, v5
	v_cmp_ne_u32_e32 vcc, 0, v4
	s_brev_b32 s6, 1
	s_nop 0
	v_cndmask_b32_e32 v4, 0, v5, vcc
	v_and_or_b32 v1, v1, s6, v4
	v_cvt_f16_f32_e32 v1, v1
.LBB409_902:
	s_mov_b64 s[6:7], 0
.LBB409_903:
	s_andn2_b64 vcc, exec, s[6:7]
	s_cbranch_vccnz .LBB409_905
; %bb.904:
	global_load_ubyte v1, v[2:3], off
	s_movk_i32 s6, 0x7f00
	s_brev_b32 s7, 16
	s_waitcnt vmcnt(0)
	v_lshlrev_b16_e32 v4, 8, v1
	v_lshlrev_b32_e32 v1, 25, v1
	v_lshrrev_b32_e32 v5, 4, v1
	v_and_or_b32 v6, v4, s6, 0.5
	v_or_b32_e32 v5, 0x70000000, v5
	v_add_f32_e32 v6, -0.5, v6
	v_mul_f32_e32 v5, 0x7800000, v5
	v_cmp_gt_u32_e32 vcc, s7, v1
	v_bfe_i32 v4, v4, 0, 16
	s_brev_b32 s6, 1
	v_cndmask_b32_e32 v1, v5, v6, vcc
	v_and_or_b32 v1, v4, s6, v1
	v_cvt_f16_f32_e32 v1, v1
.LBB409_905:
	s_mov_b64 s[6:7], 0
	s_mov_b64 s[8:9], -1
.LBB409_906:
	s_andn2_b64 vcc, exec, s[6:7]
	s_mov_b64 s[6:7], 0
	s_cbranch_vccnz .LBB409_917
; %bb.907:
	s_cmp_gt_i32 s14, 14
	s_cbranch_scc0 .LBB409_910
; %bb.908:
	s_cmp_eq_u32 s14, 15
	s_cbranch_scc0 .LBB409_913
; %bb.909:
	global_load_ushort v1, v[2:3], off
	s_mov_b64 s[4:5], 0
	s_mov_b64 s[8:9], -1
	s_waitcnt vmcnt(0)
	v_lshlrev_b32_e32 v1, 16, v1
	v_cvt_f16_f32_e32 v1, v1
	s_branch .LBB409_914
.LBB409_910:
	s_mov_b64 s[10:11], -1
                                        ; implicit-def: $vgpr1
	s_branch .LBB409_915
.LBB409_911:
	s_or_saveexec_b64 s[8:9], s[8:9]
	v_mov_b32_e32 v1, 0x7e00
	s_xor_b64 exec, exec, s[8:9]
	s_cbranch_execz .LBB409_892
.LBB409_912:
	v_cmp_ne_u16_e32 vcc, 0, v4
	s_andn2_b64 s[6:7], s[6:7], exec
	s_and_b64 s[10:11], vcc, exec
	s_or_b64 s[6:7], s[6:7], s[10:11]
	v_mov_b32_e32 v1, v4
	s_or_b64 exec, exec, s[8:9]
	s_and_saveexec_b64 s[8:9], s[6:7]
	s_cbranch_execnz .LBB409_893
	s_branch .LBB409_894
.LBB409_913:
	s_mov_b64 s[4:5], -1
                                        ; implicit-def: $vgpr1
.LBB409_914:
	s_mov_b64 s[10:11], 0
.LBB409_915:
	s_and_b64 vcc, exec, s[10:11]
	s_cbranch_vccz .LBB409_917
; %bb.916:
	s_cmp_lg_u32 s14, 11
	s_cselect_b64 s[10:11], -1, 0
	s_andn2_b64 s[4:5], s[4:5], exec
	s_and_b64 s[10:11], s[10:11], exec
	s_mov_b64 s[6:7], -1
	s_or_b64 s[4:5], s[4:5], s[10:11]
.LBB409_917:
	s_mov_b64 s[10:11], 0
.LBB409_918:
	s_andn2_b64 s[12:13], s[2:3], exec
	s_and_b64 s[4:5], s[4:5], exec
	s_and_b64 s[8:9], s[8:9], exec
	s_and_b64 s[10:11], s[10:11], exec
	s_and_b64 s[6:7], s[6:7], exec
	s_or_b64 s[12:13], s[12:13], s[4:5]
.LBB409_919:
	s_or_b64 exec, exec, s[70:71]
	s_and_b64 s[4:5], s[6:7], exec
	s_andn2_b64 s[2:3], s[2:3], exec
	s_and_b64 s[6:7], s[12:13], exec
	s_and_b64 s[8:9], s[8:9], exec
	;; [unrolled: 1-line block ×3, first 2 shown]
	s_or_b64 s[2:3], s[2:3], s[6:7]
.LBB409_920:
	s_or_b64 exec, exec, s[66:67]
	s_andn2_b64 s[6:7], s[62:63], exec
	s_and_b64 s[12:13], s[68:69], exec
	s_or_b64 s[62:63], s[6:7], s[12:13]
	s_and_b64 s[6:7], s[10:11], exec
	s_andn2_b64 s[10:11], s[60:61], exec
	s_and_b64 s[2:3], s[2:3], exec
	s_and_b64 s[8:9], s[8:9], exec
	;; [unrolled: 1-line block ×3, first 2 shown]
	s_or_b64 s[60:61], s[10:11], s[2:3]
.LBB409_921:
	s_or_b64 exec, exec, s[64:65]
	s_andn2_b64 s[2:3], s[54:55], exec
	s_and_b64 s[10:11], s[62:63], exec
	s_or_b64 s[54:55], s[2:3], s[10:11]
	s_and_b64 s[2:3], s[8:9], exec
	s_and_b64 s[8:9], s[6:7], exec
	s_and_b64 s[62:63], s[4:5], exec
	s_andn2_b64 s[4:5], s[56:57], exec
	s_and_b64 s[6:7], s[60:61], exec
	s_or_b64 s[56:57], s[4:5], s[6:7]
	s_or_b64 exec, exec, s[58:59]
	s_mov_b64 s[4:5], 0
	s_and_saveexec_b64 s[6:7], s[56:57]
	s_cbranch_execz .LBB409_276
.LBB409_922:
	s_mov_b64 s[4:5], exec
	s_andn2_b64 s[62:63], s[62:63], exec
	s_trap 2
	s_or_b64 exec, exec, s[6:7]
	s_and_saveexec_b64 s[6:7], s[62:63]
	s_xor_b64 s[6:7], exec, s[6:7]
	s_cbranch_execnz .LBB409_277
.LBB409_923:
	s_or_b64 exec, exec, s[6:7]
	s_and_saveexec_b64 s[6:7], s[8:9]
	s_cbranch_execz .LBB409_969
.LBB409_924:
	s_sext_i32_i16 s8, s75
	s_cmp_lt_i32 s8, 5
	s_cbranch_scc1 .LBB409_929
; %bb.925:
	s_cmp_lt_i32 s8, 8
	s_cbranch_scc1 .LBB409_930
; %bb.926:
	;; [unrolled: 3-line block ×3, first 2 shown]
	s_cmp_gt_i32 s8, 9
	s_cbranch_scc0 .LBB409_932
; %bb.928:
	global_load_dwordx2 v[4:5], v[2:3], off
	s_movk_i32 s8, 0x1ff
	s_movk_i32 s9, 0xffe
	s_waitcnt vmcnt(1)
	v_mov_b32_e32 v1, 0x7c00
	v_mov_b32_e32 v6, 0x7e00
	s_movk_i32 s10, 0x40f
	s_mov_b32 s11, 0x8000
	s_waitcnt vmcnt(0)
	v_and_or_b32 v4, v5, s8, v4
	v_cmp_ne_u32_e32 vcc, 0, v4
	v_lshrrev_b32_e32 v7, 8, v5
	v_bfe_u32 v8, v5, 20, 11
	v_cndmask_b32_e64 v4, 0, 1, vcc
	v_sub_u32_e32 v9, 0x3f1, v8
	v_and_or_b32 v4, v7, s9, v4
	v_add_u32_e32 v8, 0xfffffc10, v8
	v_med3_i32 v7, v9, 0, 13
	v_or_b32_e32 v9, 0x1000, v4
	v_cmp_ne_u32_e32 vcc, 0, v4
	v_lshl_or_b32 v10, v8, 12, v4
	v_lshrrev_b32_e32 v5, 16, v5
	v_cndmask_b32_e32 v4, v1, v6, vcc
	v_lshrrev_b32_e32 v6, v7, v9
	v_lshlrev_b32_e32 v7, v7, v6
	v_cmp_ne_u32_e32 vcc, v7, v9
	s_mov_b64 s[8:9], 0
	s_nop 0
	v_cndmask_b32_e64 v7, 0, 1, vcc
	v_or_b32_e32 v6, v6, v7
	v_cmp_gt_i32_e32 vcc, 1, v8
	s_nop 1
	v_cndmask_b32_e32 v6, v10, v6, vcc
	v_and_b32_e32 v7, 7, v6
	v_cmp_lt_i32_e32 vcc, 5, v7
	v_lshrrev_b32_e32 v6, 2, v6
	s_nop 0
	v_cndmask_b32_e64 v9, 0, 1, vcc
	v_cmp_eq_u32_e32 vcc, 3, v7
	s_nop 1
	v_cndmask_b32_e64 v7, 0, 1, vcc
	v_or_b32_e32 v7, v7, v9
	v_add_u32_e32 v6, v6, v7
	v_cmp_gt_i32_e32 vcc, 31, v8
	s_nop 1
	v_cndmask_b32_e32 v1, v1, v6, vcc
	v_cmp_eq_u32_e32 vcc, s10, v8
	s_nop 1
	v_cndmask_b32_e32 v1, v1, v4, vcc
	v_and_or_b32 v1, v5, s11, v1
	s_branch .LBB409_933
.LBB409_929:
                                        ; implicit-def: $vgpr1
	s_branch .LBB409_950
.LBB409_930:
                                        ; implicit-def: $vgpr1
	s_branch .LBB409_939
.LBB409_931:
	s_mov_b64 s[8:9], -1
                                        ; implicit-def: $vgpr1
	s_branch .LBB409_936
.LBB409_932:
	s_mov_b64 s[8:9], -1
                                        ; implicit-def: $vgpr1
.LBB409_933:
	s_andn2_b64 vcc, exec, s[8:9]
	s_cbranch_vccnz .LBB409_935
; %bb.934:
	global_load_dword v1, v[2:3], off
	s_waitcnt vmcnt(0)
	v_cvt_f16_f32_e32 v1, v1
.LBB409_935:
	s_mov_b64 s[8:9], 0
.LBB409_936:
	s_andn2_b64 vcc, exec, s[8:9]
	s_cbranch_vccnz .LBB409_938
; %bb.937:
	global_load_dword v1, v[2:3], off
.LBB409_938:
	s_cbranch_execnz .LBB409_949
.LBB409_939:
	s_sext_i32_i16 s8, s75
	s_cmp_lt_i32 s8, 6
	s_cbranch_scc1 .LBB409_942
; %bb.940:
	s_cmp_gt_i32 s8, 6
	s_cbranch_scc0 .LBB409_943
; %bb.941:
	global_load_dwordx2 v[4:5], v[2:3], off
	s_movk_i32 s8, 0x1ff
	s_movk_i32 s9, 0xffe
	s_waitcnt vmcnt(1)
	v_mov_b32_e32 v1, 0x7c00
	v_mov_b32_e32 v6, 0x7e00
	s_movk_i32 s10, 0x40f
	s_mov_b32 s11, 0x8000
	s_waitcnt vmcnt(0)
	v_and_or_b32 v4, v5, s8, v4
	v_cmp_ne_u32_e32 vcc, 0, v4
	v_lshrrev_b32_e32 v7, 8, v5
	v_bfe_u32 v8, v5, 20, 11
	v_cndmask_b32_e64 v4, 0, 1, vcc
	v_sub_u32_e32 v9, 0x3f1, v8
	v_and_or_b32 v4, v7, s9, v4
	v_add_u32_e32 v8, 0xfffffc10, v8
	v_med3_i32 v7, v9, 0, 13
	v_or_b32_e32 v9, 0x1000, v4
	v_cmp_ne_u32_e32 vcc, 0, v4
	v_lshl_or_b32 v10, v8, 12, v4
	v_lshrrev_b32_e32 v5, 16, v5
	v_cndmask_b32_e32 v4, v1, v6, vcc
	v_lshrrev_b32_e32 v6, v7, v9
	v_lshlrev_b32_e32 v7, v7, v6
	v_cmp_ne_u32_e32 vcc, v7, v9
	s_mov_b64 s[8:9], 0
	s_nop 0
	v_cndmask_b32_e64 v7, 0, 1, vcc
	v_or_b32_e32 v6, v6, v7
	v_cmp_gt_i32_e32 vcc, 1, v8
	s_nop 1
	v_cndmask_b32_e32 v6, v10, v6, vcc
	v_and_b32_e32 v7, 7, v6
	v_cmp_lt_i32_e32 vcc, 5, v7
	v_lshrrev_b32_e32 v6, 2, v6
	s_nop 0
	v_cndmask_b32_e64 v9, 0, 1, vcc
	v_cmp_eq_u32_e32 vcc, 3, v7
	s_nop 1
	v_cndmask_b32_e64 v7, 0, 1, vcc
	v_or_b32_e32 v7, v7, v9
	v_add_u32_e32 v6, v6, v7
	v_cmp_gt_i32_e32 vcc, 31, v8
	s_nop 1
	v_cndmask_b32_e32 v1, v1, v6, vcc
	v_cmp_eq_u32_e32 vcc, s10, v8
	s_nop 1
	v_cndmask_b32_e32 v1, v1, v4, vcc
	v_and_or_b32 v1, v5, s11, v1
	s_branch .LBB409_944
.LBB409_942:
	s_mov_b64 s[8:9], -1
                                        ; implicit-def: $vgpr1
	s_branch .LBB409_947
.LBB409_943:
	s_mov_b64 s[8:9], -1
                                        ; implicit-def: $vgpr1
.LBB409_944:
	s_andn2_b64 vcc, exec, s[8:9]
	s_cbranch_vccnz .LBB409_946
; %bb.945:
	global_load_dword v1, v[2:3], off
	s_waitcnt vmcnt(0)
	v_cvt_f16_f32_e32 v1, v1
.LBB409_946:
	s_mov_b64 s[8:9], 0
.LBB409_947:
	s_andn2_b64 vcc, exec, s[8:9]
	s_cbranch_vccnz .LBB409_949
; %bb.948:
	global_load_ushort v1, v[2:3], off
.LBB409_949:
	s_cbranch_execnz .LBB409_968
.LBB409_950:
	s_sext_i32_i16 s8, s75
	s_cmp_lt_i32 s8, 2
	s_cbranch_scc1 .LBB409_954
; %bb.951:
	s_cmp_lt_i32 s8, 3
	s_cbranch_scc1 .LBB409_955
; %bb.952:
	s_cmp_gt_i32 s8, 3
	s_cbranch_scc0 .LBB409_956
; %bb.953:
	global_load_dwordx2 v[4:5], v[2:3], off
	s_mov_b64 s[8:9], 0
	s_waitcnt vmcnt(0)
	v_xor_b32_e32 v6, v4, v5
	v_ffbh_i32_e32 v1, v5
	v_ashrrev_i32_e32 v6, 31, v6
	v_add_u32_e32 v1, -1, v1
	v_add_u32_e32 v6, 32, v6
	v_min_u32_e32 v1, v1, v6
	v_lshlrev_b64 v[4:5], v1, v[4:5]
	v_min_u32_e32 v4, 1, v4
	v_or_b32_e32 v4, v5, v4
	v_cvt_f32_i32_e32 v4, v4
	v_sub_u32_e32 v1, 32, v1
	v_ldexp_f32 v1, v4, v1
	v_cvt_f16_f32_e32 v1, v1
	s_branch .LBB409_957
.LBB409_954:
                                        ; implicit-def: $vgpr1
	s_branch .LBB409_963
.LBB409_955:
	s_mov_b64 s[8:9], -1
                                        ; implicit-def: $vgpr1
	s_branch .LBB409_960
.LBB409_956:
	s_mov_b64 s[8:9], -1
                                        ; implicit-def: $vgpr1
.LBB409_957:
	s_andn2_b64 vcc, exec, s[8:9]
	s_cbranch_vccnz .LBB409_959
; %bb.958:
	global_load_dword v1, v[2:3], off
	s_waitcnt vmcnt(0)
	v_cvt_f32_i32_e32 v1, v1
	v_cvt_f16_f32_e32 v1, v1
.LBB409_959:
	s_mov_b64 s[8:9], 0
.LBB409_960:
	s_andn2_b64 vcc, exec, s[8:9]
	s_cbranch_vccnz .LBB409_962
; %bb.961:
	global_load_ushort v1, v[2:3], off
	s_waitcnt vmcnt(0)
	v_cvt_f16_i16_e32 v1, v1
.LBB409_962:
	s_cbranch_execnz .LBB409_968
.LBB409_963:
	s_sext_i32_i16 s8, s75
	s_cmp_gt_i32 s8, 0
	s_cbranch_scc0 .LBB409_965
; %bb.964:
	global_load_sbyte v1, v[2:3], off
	s_mov_b64 s[8:9], 0
	s_waitcnt vmcnt(0)
	v_cvt_f16_i16_e32 v1, v1
	s_branch .LBB409_966
.LBB409_965:
	s_mov_b64 s[8:9], -1
                                        ; implicit-def: $vgpr1
.LBB409_966:
	s_andn2_b64 vcc, exec, s[8:9]
	s_cbranch_vccnz .LBB409_968
; %bb.967:
	global_load_ubyte v1, v[2:3], off
	s_waitcnt vmcnt(0)
	v_cvt_f16_u16_e32 v1, v1
.LBB409_968:
	s_or_b64 s[2:3], s[2:3], exec
.LBB409_969:
	s_or_b64 exec, exec, s[6:7]
	s_mov_b64 s[10:11], 0
	s_mov_b64 s[8:9], 0
                                        ; implicit-def: $sgpr16
                                        ; implicit-def: $vgpr2_vgpr3
                                        ; implicit-def: $vgpr4
	s_and_saveexec_b64 s[6:7], s[2:3]
	s_cbranch_execz .LBB409_987
; %bb.970:
	s_waitcnt vmcnt(0)
	v_cmp_u_f16_e32 vcc, v1, v1
	v_cmp_lt_f16_e64 s[2:3], s74, v1
	v_mov_b32_e32 v2, s74
	s_or_b64 vcc, vcc, s[2:3]
	v_cndmask_b32_e32 v4, v2, v1, vcc
	v_mov_b32_e32 v1, 0
	s_and_b32 s16, s73, 0xff
	s_cmp_lt_i32 s16, 11
	v_lshl_add_u64 v[2:3], s[20:21], 0, v[0:1]
	s_cbranch_scc1 .LBB409_990
; %bb.971:
	s_and_b32 s17, 0xffff, s16
	s_mov_b64 s[10:11], -1
	s_cmp_gt_i32 s17, 25
	s_mov_b64 s[2:3], s[54:55]
	s_cbranch_scc0 .LBB409_1008
; %bb.972:
	s_mov_b64 s[8:9], -1
	s_cmp_gt_i32 s17, 28
	s_mov_b64 s[2:3], s[54:55]
	s_cbranch_scc0 .LBB409_992
; %bb.973:
	s_cmp_gt_i32 s17, 43
	s_mov_b64 s[2:3], s[54:55]
	s_cbranch_scc0 .LBB409_984
; %bb.974:
	;; [unrolled: 4-line block ×3, first 2 shown]
	s_cmp_eq_u32 s17, 46
	s_mov_b64 s[2:3], -1
	s_cbranch_scc0 .LBB409_977
; %bb.976:
	v_cvt_f32_f16_e32 v0, v4
	s_movk_i32 s2, 0x7fff
	v_cmp_o_f16_e32 vcc, v4, v4
	v_mov_b32_e32 v1, 0x7fc0
	v_bfe_u32 v5, v0, 16, 1
	v_add3_u32 v0, v0, v5, s2
	v_cndmask_b32_sdwa v0, v1, v0, vcc dst_sel:DWORD dst_unused:UNUSED_PAD src0_sel:DWORD src1_sel:WORD_1
	global_store_dword v[2:3], v0, off
	s_mov_b64 s[2:3], 0
.LBB409_977:
	s_mov_b64 s[8:9], 0
.LBB409_978:
	s_and_b64 vcc, exec, s[8:9]
	s_cbranch_vccz .LBB409_983
; %bb.979:
	s_cmp_eq_u32 s17, 44
	s_mov_b64 s[2:3], -1
	s_cbranch_scc0 .LBB409_983
; %bb.980:
	v_cvt_f32_f16_e32 v0, v4
	s_movk_i32 s2, 0xff
	v_mov_b32_e32 v5, 0xff
	v_bfe_u32 v1, v0, 23, 8
	v_cmp_ne_u32_e32 vcc, s2, v1
	s_and_saveexec_b64 s[8:9], vcc
; %bb.981:
	s_mov_b32 s2, 0x3fffff
	v_lshrrev_b32_e32 v5, 23, v0
	v_and_b32_e32 v6, 0x400000, v0
	v_and_or_b32 v0, v0, s2, v1
	v_cmp_ne_u32_e32 vcc, 0, v6
	v_cmp_ne_u32_e64 s[2:3], 0, v0
	s_and_b64 s[2:3], vcc, s[2:3]
	s_nop 0
	v_cndmask_b32_e64 v0, 0, 1, s[2:3]
	v_add_u32_e32 v5, v5, v0
; %bb.982:
	s_or_b64 exec, exec, s[8:9]
	s_mov_b64 s[2:3], 0
	global_store_byte v[2:3], v5, off
.LBB409_983:
	s_mov_b64 s[8:9], 0
.LBB409_984:
	s_and_b64 vcc, exec, s[8:9]
	s_cbranch_vccz .LBB409_991
; %bb.985:
	s_cmp_eq_u32 s17, 29
	s_mov_b64 s[2:3], -1
	s_cbranch_scc0 .LBB409_991
; %bb.986:
	v_cvt_f32_f16_e32 v0, v4
	v_mov_b32_e32 v1, 0
	s_mov_b64 s[2:3], 0
	s_mov_b64 s[8:9], 0
	v_cvt_u32_f32_e32 v0, v0
	global_store_dwordx2 v[2:3], v[0:1], off
	s_branch .LBB409_992
.LBB409_987:
	s_or_b64 exec, exec, s[6:7]
	s_and_saveexec_b64 s[2:3], s[54:55]
	s_cbranch_execnz .LBB409_1050
.LBB409_988:
	s_or_b64 exec, exec, s[2:3]
	s_and_saveexec_b64 s[2:3], s[10:11]
	s_xor_b64 s[2:3], exec, s[2:3]
	s_cbranch_execz .LBB409_1051
.LBB409_989:
	v_and_b32_e32 v0, 0x7fff, v4
	v_cmp_ne_u16_e32 vcc, 0, v0
	s_nop 1
	v_cndmask_b32_e64 v0, 0, 1, vcc
	global_store_byte v[2:3], v0, off
	s_or_b64 exec, exec, s[2:3]
	s_and_saveexec_b64 s[2:3], s[8:9]
	s_xor_b64 s[2:3], exec, s[2:3]
	s_cbranch_execz .LBB409_1089
	s_branch .LBB409_1052
.LBB409_990:
	s_mov_b64 s[8:9], -1
	s_mov_b64 s[2:3], s[54:55]
	s_branch .LBB409_1049
.LBB409_991:
	s_mov_b64 s[8:9], 0
.LBB409_992:
	s_and_b64 vcc, exec, s[8:9]
	s_cbranch_vccz .LBB409_1007
; %bb.993:
	s_cmp_lt_i32 s17, 27
	s_mov_b64 s[8:9], -1
	s_cbranch_scc1 .LBB409_999
; %bb.994:
	s_cmp_gt_i32 s17, 27
	s_cbranch_scc0 .LBB409_996
; %bb.995:
	v_cvt_f32_f16_e32 v0, v4
	s_mov_b64 s[8:9], 0
	v_cvt_u32_f32_e32 v0, v0
	global_store_dword v[2:3], v0, off
.LBB409_996:
	s_andn2_b64 vcc, exec, s[8:9]
	s_cbranch_vccnz .LBB409_998
; %bb.997:
	v_cvt_u16_f16_e32 v0, v4
	global_store_short v[2:3], v0, off
.LBB409_998:
	s_mov_b64 s[8:9], 0
.LBB409_999:
	s_andn2_b64 vcc, exec, s[8:9]
	s_cbranch_vccnz .LBB409_1007
; %bb.1000:
	v_cvt_f32_f16_e32 v0, v4
	s_mov_b32 s8, 0x43800000
	v_mov_b32_e32 v5, 0x80
	v_and_b32_e32 v1, 0x7fffffff, v0
	v_cmp_gt_u32_e32 vcc, s8, v1
	s_and_saveexec_b64 s[8:9], vcc
	s_cbranch_execz .LBB409_1006
; %bb.1001:
	s_mov_b32 s10, 0x3bffffff
	v_cmp_lt_u32_e32 vcc, s10, v1
	s_mov_b64 s[10:11], 0
                                        ; implicit-def: $vgpr1
	s_and_saveexec_b64 s[12:13], vcc
	s_xor_b64 s[12:13], exec, s[12:13]
	s_cbranch_execz .LBB409_1160
; %bb.1002:
	v_bfe_u32 v1, v0, 20, 1
	s_mov_b32 s14, 0x487ffff
	v_add3_u32 v1, v0, v1, s14
	s_mov_b64 s[10:11], exec
	v_lshrrev_b32_e32 v1, 20, v1
	s_andn2_saveexec_b64 s[12:13], s[12:13]
	s_cbranch_execnz .LBB409_1161
.LBB409_1003:
	s_or_b64 exec, exec, s[12:13]
	v_mov_b32_e32 v5, 0
	s_and_saveexec_b64 s[12:13], s[10:11]
.LBB409_1004:
	v_lshrrev_b32_e32 v0, 24, v0
	s_movk_i32 s10, 0x80
	v_and_or_b32 v5, v0, s10, v1
.LBB409_1005:
	s_or_b64 exec, exec, s[12:13]
.LBB409_1006:
	s_or_b64 exec, exec, s[8:9]
	global_store_byte v[2:3], v5, off
.LBB409_1007:
	s_mov_b64 s[10:11], 0
.LBB409_1008:
	s_mov_b64 s[8:9], 0
	s_and_b64 vcc, exec, s[10:11]
	s_cbranch_vccz .LBB409_1048
; %bb.1009:
	s_cmp_gt_i32 s17, 22
	s_mov_b64 s[10:11], -1
	s_cbranch_scc0 .LBB409_1041
; %bb.1010:
	s_cmp_lt_i32 s17, 24
	s_cbranch_scc1 .LBB409_1030
; %bb.1011:
	s_cmp_gt_i32 s17, 24
	s_cbranch_scc0 .LBB409_1019
; %bb.1012:
	v_cvt_f32_f16_e32 v0, v4
	s_mov_b32 s10, 0x47800000
	v_mov_b32_e32 v5, 0x80
	v_and_b32_e32 v1, 0x7fffffff, v0
	v_cmp_gt_u32_e32 vcc, s10, v1
	s_and_saveexec_b64 s[10:11], vcc
	s_cbranch_execz .LBB409_1018
; %bb.1013:
	s_mov_b32 s12, 0x37ffffff
	v_cmp_lt_u32_e32 vcc, s12, v1
	s_mov_b64 s[12:13], 0
                                        ; implicit-def: $vgpr1
	s_and_saveexec_b64 s[14:15], vcc
	s_xor_b64 s[14:15], exec, s[14:15]
	s_cbranch_execz .LBB409_1285
; %bb.1014:
	v_bfe_u32 v1, v0, 21, 1
	s_mov_b32 s18, 0x88fffff
	v_add3_u32 v1, v0, v1, s18
	s_mov_b64 s[12:13], exec
	v_lshrrev_b32_e32 v1, 21, v1
	s_andn2_saveexec_b64 s[14:15], s[14:15]
	s_cbranch_execnz .LBB409_1286
.LBB409_1015:
	s_or_b64 exec, exec, s[14:15]
	v_mov_b32_e32 v5, 0
	s_and_saveexec_b64 s[14:15], s[12:13]
.LBB409_1016:
	v_lshrrev_b32_e32 v0, 24, v0
	s_movk_i32 s12, 0x80
	v_and_or_b32 v5, v0, s12, v1
.LBB409_1017:
	s_or_b64 exec, exec, s[14:15]
.LBB409_1018:
	s_or_b64 exec, exec, s[10:11]
	s_mov_b64 s[10:11], 0
	global_store_byte v[2:3], v5, off
.LBB409_1019:
	s_and_b64 vcc, exec, s[10:11]
	s_cbranch_vccz .LBB409_1029
; %bb.1020:
	v_cvt_f32_f16_e32 v0, v4
	s_mov_b32 s10, 0x43f00000
                                        ; implicit-def: $vgpr1
	v_and_b32_e32 v5, 0x7fffffff, v0
	v_cmp_gt_u32_e32 vcc, s10, v5
	s_and_saveexec_b64 s[10:11], vcc
	s_xor_b64 s[10:11], exec, s[10:11]
	s_cbranch_execz .LBB409_1026
; %bb.1021:
	s_mov_b32 s12, 0x3c7fffff
	v_cmp_lt_u32_e32 vcc, s12, v5
                                        ; implicit-def: $vgpr1
	s_and_saveexec_b64 s[12:13], vcc
	s_xor_b64 s[12:13], exec, s[12:13]
; %bb.1022:
	v_bfe_u32 v1, v0, 20, 1
	s_mov_b32 s14, 0x407ffff
	v_add3_u32 v1, v0, v1, s14
	v_lshrrev_b32_e32 v5, 20, v1
	v_and_b32_e32 v1, 0xff00000, v1
	s_mov_b32 s14, 0x7f00000
	v_mov_b32_e32 v6, 0x7e
	v_cmp_ne_u32_e32 vcc, s14, v1
	s_nop 1
	v_cndmask_b32_e32 v1, v6, v5, vcc
; %bb.1023:
	s_andn2_saveexec_b64 s[12:13], s[12:13]
; %bb.1024:
	s_mov_b32 s14, 0x46800000
	v_add_f32_e64 v1, |v0|, s14
; %bb.1025:
	s_or_b64 exec, exec, s[12:13]
                                        ; implicit-def: $vgpr5
.LBB409_1026:
	s_andn2_saveexec_b64 s[10:11], s[10:11]
; %bb.1027:
	s_mov_b32 s12, 0x7f800000
	v_mov_b32_e32 v1, 0x7e
	v_mov_b32_e32 v6, 0x7f
	v_cmp_lt_u32_e32 vcc, s12, v5
	s_nop 1
	v_cndmask_b32_e32 v1, v1, v6, vcc
; %bb.1028:
	s_or_b64 exec, exec, s[10:11]
	v_lshrrev_b32_e32 v0, 24, v0
	s_movk_i32 s10, 0x80
	v_and_or_b32 v0, v0, s10, v1
	global_store_byte v[2:3], v0, off
.LBB409_1029:
	s_mov_b64 s[10:11], 0
.LBB409_1030:
	s_andn2_b64 vcc, exec, s[10:11]
	s_cbranch_vccnz .LBB409_1040
; %bb.1031:
	v_cvt_f32_f16_e32 v0, v4
	s_mov_b32 s10, 0x47800000
                                        ; implicit-def: $vgpr1
	v_and_b32_e32 v5, 0x7fffffff, v0
	v_cmp_gt_u32_e32 vcc, s10, v5
	s_and_saveexec_b64 s[10:11], vcc
	s_xor_b64 s[10:11], exec, s[10:11]
	s_cbranch_execz .LBB409_1037
; %bb.1032:
	s_mov_b32 s12, 0x387fffff
	v_cmp_lt_u32_e32 vcc, s12, v5
                                        ; implicit-def: $vgpr1
	s_and_saveexec_b64 s[12:13], vcc
	s_xor_b64 s[12:13], exec, s[12:13]
; %bb.1033:
	v_bfe_u32 v1, v0, 21, 1
	s_mov_b32 s14, 0x80fffff
	v_add3_u32 v1, v0, v1, s14
	v_lshrrev_b32_e32 v1, 21, v1
; %bb.1034:
	s_andn2_saveexec_b64 s[12:13], s[12:13]
; %bb.1035:
	s_mov_b32 s14, 0x43000000
	v_add_f32_e64 v1, |v0|, s14
; %bb.1036:
	s_or_b64 exec, exec, s[12:13]
                                        ; implicit-def: $vgpr5
.LBB409_1037:
	s_andn2_saveexec_b64 s[10:11], s[10:11]
; %bb.1038:
	s_mov_b32 s12, 0x7f800000
	v_mov_b32_e32 v1, 0x7c
	v_mov_b32_e32 v6, 0x7f
	v_cmp_lt_u32_e32 vcc, s12, v5
	s_nop 1
	v_cndmask_b32_e32 v1, v1, v6, vcc
; %bb.1039:
	s_or_b64 exec, exec, s[10:11]
	v_lshrrev_b32_e32 v0, 24, v0
	s_movk_i32 s10, 0x80
	v_and_or_b32 v0, v0, s10, v1
	global_store_byte v[2:3], v0, off
.LBB409_1040:
	s_mov_b64 s[10:11], 0
.LBB409_1041:
	s_andn2_b64 vcc, exec, s[10:11]
	s_mov_b64 s[10:11], 0
	s_cbranch_vccnz .LBB409_1049
; %bb.1042:
	s_cmp_gt_i32 s17, 14
	s_mov_b64 s[12:13], -1
	s_cbranch_scc0 .LBB409_1046
; %bb.1043:
	s_cmp_eq_u32 s17, 15
	s_mov_b64 s[2:3], -1
	s_cbranch_scc0 .LBB409_1045
; %bb.1044:
	v_cvt_f32_f16_e32 v0, v4
	s_movk_i32 s2, 0x7fff
	v_cmp_o_f16_e32 vcc, v4, v4
	v_mov_b32_e32 v1, 0x7fc0
	v_bfe_u32 v5, v0, 16, 1
	v_add3_u32 v0, v0, v5, s2
	v_cndmask_b32_sdwa v0, v1, v0, vcc dst_sel:DWORD dst_unused:UNUSED_PAD src0_sel:DWORD src1_sel:WORD_1
	global_store_short v[2:3], v0, off
	s_mov_b64 s[2:3], 0
.LBB409_1045:
	s_mov_b64 s[12:13], 0
.LBB409_1046:
	s_and_b64 vcc, exec, s[12:13]
	s_cbranch_vccz .LBB409_1049
; %bb.1047:
	s_cmp_lg_u32 s17, 11
	s_cselect_b64 s[12:13], -1, 0
	s_andn2_b64 s[2:3], s[2:3], exec
	s_and_b64 s[12:13], s[12:13], exec
	s_mov_b64 s[10:11], -1
	s_or_b64 s[2:3], s[2:3], s[12:13]
	s_branch .LBB409_1049
.LBB409_1048:
	s_mov_b64 s[10:11], 0
.LBB409_1049:
	s_andn2_b64 s[12:13], s[54:55], exec
	s_and_b64 s[2:3], s[2:3], exec
	s_and_b64 s[8:9], s[8:9], exec
	;; [unrolled: 1-line block ×3, first 2 shown]
	s_or_b64 s[54:55], s[12:13], s[2:3]
	s_or_b64 exec, exec, s[6:7]
	s_and_saveexec_b64 s[2:3], s[54:55]
	s_cbranch_execz .LBB409_988
.LBB409_1050:
	s_or_b64 s[4:5], s[4:5], exec
	s_andn2_b64 s[10:11], s[10:11], exec
	s_trap 2
	s_or_b64 exec, exec, s[2:3]
	s_and_saveexec_b64 s[2:3], s[10:11]
	s_xor_b64 s[2:3], exec, s[2:3]
	s_cbranch_execnz .LBB409_989
.LBB409_1051:
	s_or_b64 exec, exec, s[2:3]
	s_and_saveexec_b64 s[2:3], s[8:9]
	s_xor_b64 s[2:3], exec, s[2:3]
	s_cbranch_execz .LBB409_1089
.LBB409_1052:
	s_sext_i32_i16 s8, s16
	s_cmp_lt_i32 s8, 5
	s_mov_b64 s[6:7], -1
	s_cbranch_scc1 .LBB409_1073
; %bb.1053:
	s_cmp_lt_i32 s8, 8
	s_cbranch_scc1 .LBB409_1063
; %bb.1054:
	s_cmp_lt_i32 s8, 9
	s_cbranch_scc1 .LBB409_1060
; %bb.1055:
	s_cmp_gt_i32 s8, 9
	s_cbranch_scc0 .LBB409_1057
; %bb.1056:
	v_cvt_f32_f16_e32 v0, v4
	v_mov_b32_e32 v8, 0
	v_mov_b32_e32 v9, v8
	s_mov_b64 s[6:7], 0
	v_cvt_f64_f32_e32 v[6:7], v0
	global_store_dwordx4 v[2:3], v[6:9], off
.LBB409_1057:
	s_andn2_b64 vcc, exec, s[6:7]
	s_cbranch_vccnz .LBB409_1059
; %bb.1058:
	v_cvt_f32_f16_e32 v0, v4
	s_waitcnt vmcnt(0)
	v_mov_b32_e32 v1, 0
	global_store_dwordx2 v[2:3], v[0:1], off
.LBB409_1059:
	s_mov_b64 s[6:7], 0
.LBB409_1060:
	s_andn2_b64 vcc, exec, s[6:7]
	s_cbranch_vccnz .LBB409_1062
; %bb.1061:
	v_and_b32_e32 v0, 0xffff, v4
	global_store_dword v[2:3], v0, off
.LBB409_1062:
	s_mov_b64 s[6:7], 0
.LBB409_1063:
	s_andn2_b64 vcc, exec, s[6:7]
	s_cbranch_vccnz .LBB409_1072
; %bb.1064:
	s_sext_i32_i16 s8, s16
	s_cmp_lt_i32 s8, 6
	s_mov_b64 s[6:7], -1
	s_cbranch_scc1 .LBB409_1070
; %bb.1065:
	s_cmp_gt_i32 s8, 6
	s_cbranch_scc0 .LBB409_1067
; %bb.1066:
	v_cvt_f32_f16_e32 v0, v4
	s_mov_b64 s[6:7], 0
	s_waitcnt vmcnt(0)
	v_cvt_f64_f32_e32 v[0:1], v0
	global_store_dwordx2 v[2:3], v[0:1], off
.LBB409_1067:
	s_andn2_b64 vcc, exec, s[6:7]
	s_cbranch_vccnz .LBB409_1069
; %bb.1068:
	v_cvt_f32_f16_e32 v0, v4
	global_store_dword v[2:3], v0, off
.LBB409_1069:
	s_mov_b64 s[6:7], 0
.LBB409_1070:
	s_andn2_b64 vcc, exec, s[6:7]
	s_cbranch_vccnz .LBB409_1072
; %bb.1071:
	global_store_short v[2:3], v4, off
.LBB409_1072:
	s_mov_b64 s[6:7], 0
.LBB409_1073:
	s_andn2_b64 vcc, exec, s[6:7]
	s_cbranch_vccnz .LBB409_1089
; %bb.1074:
	s_sext_i32_i16 s8, s16
	s_cmp_lt_i32 s8, 2
	s_mov_b64 s[6:7], -1
	s_cbranch_scc1 .LBB409_1084
; %bb.1075:
	s_cmp_lt_i32 s8, 3
	s_cbranch_scc1 .LBB409_1081
; %bb.1076:
	s_cmp_gt_i32 s8, 3
	s_cbranch_scc0 .LBB409_1078
; %bb.1077:
	v_cvt_f32_f16_e32 v0, v4
	s_mov_b64 s[6:7], 0
	v_cvt_i32_f32_e32 v0, v0
	s_waitcnt vmcnt(0)
	v_ashrrev_i32_e32 v1, 31, v0
	global_store_dwordx2 v[2:3], v[0:1], off
.LBB409_1078:
	s_andn2_b64 vcc, exec, s[6:7]
	s_cbranch_vccnz .LBB409_1080
; %bb.1079:
	v_cvt_f32_f16_e32 v0, v4
	v_cvt_i32_f32_e32 v0, v0
	global_store_dword v[2:3], v0, off
.LBB409_1080:
	s_mov_b64 s[6:7], 0
.LBB409_1081:
	s_andn2_b64 vcc, exec, s[6:7]
	s_cbranch_vccnz .LBB409_1083
; %bb.1082:
	v_cvt_i16_f16_e32 v0, v4
	global_store_short v[2:3], v0, off
.LBB409_1083:
	s_mov_b64 s[6:7], 0
.LBB409_1084:
	s_andn2_b64 vcc, exec, s[6:7]
	s_cbranch_vccnz .LBB409_1089
; %bb.1085:
	s_sext_i32_i16 s6, s16
	s_cmp_gt_i32 s6, 0
	s_mov_b64 s[6:7], -1
	s_cbranch_scc0 .LBB409_1087
; %bb.1086:
	v_cvt_i16_f16_e32 v0, v4
	s_mov_b64 s[6:7], 0
	global_store_byte v[2:3], v0, off
.LBB409_1087:
	s_andn2_b64 vcc, exec, s[6:7]
	s_cbranch_vccnz .LBB409_1089
; %bb.1088:
	v_cvt_f32_f16_e32 v0, v4
	v_cvt_i32_f32_e32 v0, v0
	global_store_byte v[2:3], v0, off
.LBB409_1089:
	s_or_b64 exec, exec, s[2:3]
	s_and_b64 s[24:25], s[4:5], exec
                                        ; implicit-def: $vgpr16
                                        ; implicit-def: $vgpr8
.LBB409_1090:
	s_or_saveexec_b64 s[26:27], s[44:45]
	s_mov_b64 s[6:7], 0
                                        ; implicit-def: $vgpr0_vgpr1
                                        ; implicit-def: $sgpr14
                                        ; implicit-def: $vgpr2
	s_xor_b64 exec, exec, s[26:27]
	s_cbranch_execz .LBB409_2094
; %bb.1091:
	v_cndmask_b32_e64 v0, 0, 1, s[42:43]
	v_cmp_ne_u32_e64 s[2:3], 1, v0
	s_andn2_b64 vcc, exec, s[42:43]
	s_cbranch_vccnz .LBB409_1097
; %bb.1092:
	s_cmp_lg_u32 s33, 0
	s_mov_b32 s36, 0
	s_cbranch_scc0 .LBB409_1098
; %bb.1093:
	s_min_u32 s37, s72, 15
	s_add_i32 s37, s37, 1
	s_cmp_eq_u32 s72, 2
	s_cbranch_scc1 .LBB409_1099
; %bb.1094:
	s_and_b32 s36, s37, 28
	s_add_u32 s28, s34, 0xc4
	s_addc_u32 s29, s35, 0
	s_mov_b32 s38, 0
	v_mov_b32_e32 v6, 0
	v_mov_b32_e32 v14, 0
	s_mov_b64 s[30:31], s[34:35]
	v_mov_b32_e32 v0, v8
.LBB409_1095:                           ; =>This Inner Loop Header: Depth=1
	s_load_dwordx8 s[12:19], s[30:31], 0x4
	s_load_dwordx4 s[20:23], s[30:31], 0x24
	s_load_dwordx8 s[4:11], s[28:29], 0x0
	s_add_u32 s30, s30, 48
	s_addc_u32 s31, s31, 0
	s_waitcnt vmcnt(0) lgkmcnt(0)
	v_mul_hi_u32 v1, s13, v0
	v_add_u32_e32 v1, v0, v1
	v_lshrrev_b32_e32 v1, s14, v1
	v_mul_lo_u32 v2, v1, s12
	v_mul_hi_u32 v3, s16, v1
	v_sub_u32_e32 v0, v0, v2
	v_add_u32_e32 v2, v1, v3
	v_lshrrev_b32_e32 v2, s17, v2
	v_mul_lo_u32 v4, v2, s15
	v_mul_hi_u32 v5, s19, v2
	v_sub_u32_e32 v1, v1, v4
	v_add_u32_e32 v4, v2, v5
	v_mul_lo_u32 v3, v0, s5
	v_mul_lo_u32 v0, v0, s4
	;; [unrolled: 1-line block ×4, first 2 shown]
	v_lshrrev_b32_e32 v4, s20, v4
	v_add3_u32 v1, v0, v6, v1
	v_add3_u32 v3, v3, v14, v5
	v_mul_lo_u32 v0, v4, s18
	v_mul_hi_u32 v5, s22, v4
	v_sub_u32_e32 v0, v2, v0
	v_add_u32_e32 v2, v4, v5
	v_mul_lo_u32 v5, v0, s8
	v_mul_lo_u32 v6, v0, s9
	v_lshrrev_b32_e32 v0, s23, v2
	s_add_i32 s38, s38, 4
	v_mul_lo_u32 v2, v0, s21
	s_add_u32 s28, s28, 32
	v_sub_u32_e32 v2, v4, v2
	s_addc_u32 s29, s29, 0
	v_mul_lo_u32 v4, v2, s10
	v_mul_lo_u32 v2, v2, s11
	s_cmp_lg_u32 s36, s38
	v_add3_u32 v14, v6, v3, v2
	v_add3_u32 v6, v5, v1, v4
	s_cbranch_scc1 .LBB409_1095
; %bb.1096:
	v_mov_b32_e32 v1, v14
	s_and_b32 s8, s37, 3
	s_cmp_eq_u32 s8, 0
	s_cbranch_scc0 .LBB409_1100
	s_branch .LBB409_1102
.LBB409_1097:
                                        ; implicit-def: $vgpr14
                                        ; implicit-def: $vgpr6
	s_branch .LBB409_1103
.LBB409_1098:
	v_mov_b32_e32 v14, 0
	v_mov_b32_e32 v6, 0
	s_branch .LBB409_1102
.LBB409_1099:
	v_mov_b32_e32 v6, 0
                                        ; implicit-def: $vgpr14
	s_waitcnt vmcnt(0)
	v_mov_b32_e32 v1, v6
	v_mov_b32_e32 v0, v8
	s_and_b32 s8, s37, 3
	s_cmp_eq_u32 s8, 0
	s_cbranch_scc1 .LBB409_1102
.LBB409_1100:
	s_lshl_b32 s4, s36, 3
	s_add_u32 s4, s34, s4
	s_addc_u32 s5, s35, 0
	s_add_u32 s4, s4, 0xc4
	s_addc_u32 s5, s5, 0
	s_mul_i32 s6, s36, 12
	s_add_u32 s6, s34, s6
	s_addc_u32 s7, s35, 0
.LBB409_1101:                           ; =>This Inner Loop Header: Depth=1
	s_load_dwordx2 s[10:11], s[6:7], 0x4
	s_load_dword s9, s[6:7], 0xc
	s_load_dwordx2 s[12:13], s[4:5], 0x0
	v_mov_b32_e32 v2, v1
	s_add_u32 s6, s6, 12
	s_waitcnt lgkmcnt(0)
	v_mul_hi_u32 v1, s11, v0
	v_add_u32_e32 v1, v0, v1
	v_lshrrev_b32_e32 v1, s9, v1
	s_addc_u32 s7, s7, 0
	v_mul_lo_u32 v3, v1, s10
	s_add_u32 s4, s4, 8
	v_sub_u32_e32 v3, v0, v3
	s_addc_u32 s5, s5, 0
	s_add_i32 s8, s8, -1
	v_mad_u64_u32 v[14:15], s[10:11], v3, s13, v[2:3]
	s_cmp_lg_u32 s8, 0
	v_mov_b32_e32 v0, v1
	v_mad_u64_u32 v[6:7], s[10:11], v3, s12, v[6:7]
	v_mov_b32_e32 v1, v14
	s_cbranch_scc1 .LBB409_1101
.LBB409_1102:
	s_cbranch_execnz .LBB409_1105
.LBB409_1103:
	s_load_dwordx4 s[4:7], s[34:35], 0x4
	s_load_dwordx2 s[8:9], s[34:35], 0xc4
	s_cmp_lt_u32 s33, 2
	s_waitcnt lgkmcnt(0)
	v_mul_hi_u32 v0, s5, v8
	v_add_u32_e32 v0, v8, v0
	v_lshrrev_b32_e32 v0, s6, v0
	s_waitcnt vmcnt(0)
	v_mul_lo_u32 v1, v0, s4
	v_sub_u32_e32 v1, v8, v1
	v_mul_lo_u32 v14, v1, s9
	v_mul_lo_u32 v6, v1, s8
	s_cbranch_scc1 .LBB409_1105
; %bb.1104:
	s_load_dwordx4 s[4:7], s[34:35], 0x10
	s_load_dwordx2 s[8:9], s[34:35], 0xcc
	s_waitcnt lgkmcnt(0)
	v_mul_hi_u32 v1, s5, v0
	v_add_u32_e32 v1, v0, v1
	v_lshrrev_b32_e32 v1, s6, v1
	v_mul_lo_u32 v1, v1, s4
	v_sub_u32_e32 v0, v0, v1
	v_mad_u64_u32 v[6:7], s[4:5], v0, s8, v[6:7]
	v_mad_u64_u32 v[14:15], s[4:5], v0, s9, v[14:15]
.LBB409_1105:
	s_and_b64 vcc, exec, s[2:3]
	v_add_u32_e32 v0, 0x80, v8
	s_cbranch_vccnz .LBB409_1111
; %bb.1106:
	s_cmp_lg_u32 s33, 0
	s_mov_b32 s36, 0
	s_cbranch_scc0 .LBB409_1112
; %bb.1107:
	s_min_u32 s37, s72, 15
	s_add_i32 s37, s37, 1
	s_cmp_eq_u32 s72, 2
	s_cbranch_scc1 .LBB409_1113
; %bb.1108:
	s_and_b32 s36, s37, 28
	s_add_u32 s28, s34, 0xc4
	s_addc_u32 s29, s35, 0
	s_mov_b32 s38, 0
	v_mov_b32_e32 v4, 0
	v_mov_b32_e32 v12, 0
	s_mov_b64 s[30:31], s[34:35]
	v_mov_b32_e32 v2, v0
.LBB409_1109:                           ; =>This Inner Loop Header: Depth=1
	s_load_dwordx8 s[12:19], s[30:31], 0x4
	s_load_dwordx4 s[20:23], s[30:31], 0x24
	s_load_dwordx8 s[4:11], s[28:29], 0x0
	s_add_u32 s30, s30, 48
	s_addc_u32 s31, s31, 0
	s_waitcnt vmcnt(0) lgkmcnt(0)
	v_mul_hi_u32 v1, s13, v2
	v_add_u32_e32 v1, v2, v1
	v_lshrrev_b32_e32 v1, s14, v1
	v_mul_lo_u32 v3, v1, s12
	v_mul_hi_u32 v5, s16, v1
	v_sub_u32_e32 v2, v2, v3
	v_add_u32_e32 v3, v1, v5
	v_lshrrev_b32_e32 v3, s17, v3
	v_mul_lo_u32 v7, v3, s15
	v_mul_hi_u32 v9, s19, v3
	v_sub_u32_e32 v1, v1, v7
	v_add_u32_e32 v7, v3, v9
	v_mul_lo_u32 v5, v2, s5
	v_mul_lo_u32 v2, v2, s4
	v_mul_lo_u32 v9, v1, s7
	v_mul_lo_u32 v1, v1, s6
	v_lshrrev_b32_e32 v7, s20, v7
	v_add3_u32 v1, v2, v4, v1
	v_add3_u32 v4, v5, v12, v9
	v_mul_lo_u32 v2, v7, s18
	v_mul_hi_u32 v5, s22, v7
	v_sub_u32_e32 v2, v3, v2
	v_add_u32_e32 v3, v7, v5
	v_mul_lo_u32 v5, v2, s8
	v_mul_lo_u32 v9, v2, s9
	v_lshrrev_b32_e32 v2, s23, v3
	s_add_i32 s38, s38, 4
	v_mul_lo_u32 v3, v2, s21
	s_add_u32 s28, s28, 32
	v_sub_u32_e32 v3, v7, v3
	s_addc_u32 s29, s29, 0
	v_mul_lo_u32 v7, v3, s10
	v_mul_lo_u32 v3, v3, s11
	s_cmp_lg_u32 s36, s38
	v_add3_u32 v12, v9, v4, v3
	v_add3_u32 v4, v5, v1, v7
	s_cbranch_scc1 .LBB409_1109
; %bb.1110:
	v_mov_b32_e32 v1, v12
	s_and_b32 s8, s37, 3
	s_cmp_eq_u32 s8, 0
	s_cbranch_scc0 .LBB409_1114
	s_branch .LBB409_1116
.LBB409_1111:
                                        ; implicit-def: $vgpr12
                                        ; implicit-def: $vgpr4
	s_branch .LBB409_1117
.LBB409_1112:
	v_mov_b32_e32 v12, 0
	v_mov_b32_e32 v4, 0
	s_branch .LBB409_1116
.LBB409_1113:
	v_mov_b32_e32 v4, 0
                                        ; implicit-def: $vgpr12
	s_waitcnt vmcnt(0)
	v_mov_b32_e32 v1, v4
	v_mov_b32_e32 v2, v0
	s_and_b32 s8, s37, 3
	s_cmp_eq_u32 s8, 0
	s_cbranch_scc1 .LBB409_1116
.LBB409_1114:
	s_lshl_b32 s4, s36, 3
	s_add_u32 s4, s34, s4
	s_addc_u32 s5, s35, 0
	s_add_u32 s4, s4, 0xc4
	s_addc_u32 s5, s5, 0
	s_mul_i32 s6, s36, 12
	s_add_u32 s6, s34, s6
	s_addc_u32 s7, s35, 0
.LBB409_1115:                           ; =>This Inner Loop Header: Depth=1
	s_load_dwordx2 s[10:11], s[6:7], 0x4
	s_load_dword s9, s[6:7], 0xc
	s_load_dwordx2 s[12:13], s[4:5], 0x0
	v_mov_b32_e32 v10, v1
	s_add_u32 s6, s6, 12
	s_waitcnt lgkmcnt(0)
	v_mul_hi_u32 v1, s11, v2
	v_add_u32_e32 v1, v2, v1
	v_lshrrev_b32_e32 v1, s9, v1
	s_addc_u32 s7, s7, 0
	v_mul_lo_u32 v3, v1, s10
	s_add_u32 s4, s4, 8
	v_sub_u32_e32 v3, v2, v3
	s_addc_u32 s5, s5, 0
	s_add_i32 s8, s8, -1
	v_mad_u64_u32 v[12:13], s[10:11], v3, s13, v[10:11]
	s_cmp_lg_u32 s8, 0
	v_mov_b32_e32 v2, v1
	v_mad_u64_u32 v[4:5], s[10:11], v3, s12, v[4:5]
	v_mov_b32_e32 v1, v12
	s_cbranch_scc1 .LBB409_1115
.LBB409_1116:
	s_cbranch_execnz .LBB409_1119
.LBB409_1117:
	s_load_dwordx4 s[4:7], s[34:35], 0x4
	s_load_dwordx2 s[8:9], s[34:35], 0xc4
	s_cmp_lt_u32 s33, 2
	s_waitcnt vmcnt(0) lgkmcnt(0)
	v_mul_hi_u32 v1, s5, v0
	v_add_u32_e32 v1, v0, v1
	v_lshrrev_b32_e32 v1, s6, v1
	v_mul_lo_u32 v2, v1, s4
	v_sub_u32_e32 v0, v0, v2
	v_mul_lo_u32 v12, v0, s9
	v_mul_lo_u32 v4, v0, s8
	s_cbranch_scc1 .LBB409_1119
; %bb.1118:
	s_load_dwordx4 s[4:7], s[34:35], 0x10
	s_load_dwordx2 s[8:9], s[34:35], 0xcc
	s_waitcnt lgkmcnt(0)
	v_mul_hi_u32 v0, s5, v1
	v_add_u32_e32 v0, v1, v0
	v_lshrrev_b32_e32 v0, s6, v0
	v_mul_lo_u32 v0, v0, s4
	v_sub_u32_e32 v0, v1, v0
	v_mad_u64_u32 v[4:5], s[4:5], v0, s8, v[4:5]
	v_mad_u64_u32 v[12:13], s[4:5], v0, s9, v[12:13]
.LBB409_1119:
	s_and_b64 vcc, exec, s[2:3]
	v_add_u32_e32 v0, 0x100, v8
	s_cbranch_vccnz .LBB409_1125
; %bb.1120:
	s_cmp_lg_u32 s33, 0
	s_mov_b32 s36, 0
	s_cbranch_scc0 .LBB409_1126
; %bb.1121:
	s_min_u32 s37, s72, 15
	s_add_i32 s37, s37, 1
	s_cmp_eq_u32 s72, 2
	s_cbranch_scc1 .LBB409_1127
; %bb.1122:
	s_and_b32 s36, s37, 28
	s_add_u32 s28, s34, 0xc4
	s_addc_u32 s29, s35, 0
	s_mov_b32 s38, 0
	v_mov_b32_e32 v2, 0
	v_mov_b32_e32 v10, 0
	s_mov_b64 s[30:31], s[34:35]
	v_mov_b32_e32 v5, v0
.LBB409_1123:                           ; =>This Inner Loop Header: Depth=1
	s_load_dwordx8 s[12:19], s[30:31], 0x4
	s_load_dwordx4 s[20:23], s[30:31], 0x24
	s_load_dwordx8 s[4:11], s[28:29], 0x0
	s_add_u32 s30, s30, 48
	s_addc_u32 s31, s31, 0
	s_waitcnt vmcnt(0) lgkmcnt(0)
	v_mul_hi_u32 v1, s13, v5
	v_add_u32_e32 v1, v5, v1
	v_lshrrev_b32_e32 v1, s14, v1
	v_mul_lo_u32 v3, v1, s12
	v_mul_hi_u32 v7, s16, v1
	v_sub_u32_e32 v3, v5, v3
	v_add_u32_e32 v5, v1, v7
	v_lshrrev_b32_e32 v5, s17, v5
	v_mul_lo_u32 v8, v5, s15
	v_mul_hi_u32 v9, s19, v5
	v_sub_u32_e32 v1, v1, v8
	v_add_u32_e32 v8, v5, v9
	v_mul_lo_u32 v7, v3, s5
	v_mul_lo_u32 v3, v3, s4
	;; [unrolled: 1-line block ×4, first 2 shown]
	v_lshrrev_b32_e32 v8, s20, v8
	v_add3_u32 v1, v3, v2, v1
	v_add3_u32 v2, v7, v10, v9
	v_mul_lo_u32 v3, v8, s18
	v_mul_hi_u32 v7, s22, v8
	v_sub_u32_e32 v3, v5, v3
	v_add_u32_e32 v5, v8, v7
	v_lshrrev_b32_e32 v5, s23, v5
	s_add_i32 s38, s38, 4
	v_mul_lo_u32 v9, v5, s21
	s_add_u32 s28, s28, 32
	v_sub_u32_e32 v8, v8, v9
	s_addc_u32 s29, s29, 0
	v_mul_lo_u32 v7, v3, s8
	v_mul_lo_u32 v3, v3, s9
	;; [unrolled: 1-line block ×4, first 2 shown]
	s_cmp_lg_u32 s36, s38
	v_add3_u32 v10, v3, v2, v8
	v_add3_u32 v2, v7, v1, v9
	s_cbranch_scc1 .LBB409_1123
; %bb.1124:
	v_mov_b32_e32 v1, v10
	s_and_b32 s8, s37, 3
	s_cmp_eq_u32 s8, 0
	s_cbranch_scc0 .LBB409_1128
	s_branch .LBB409_1130
.LBB409_1125:
                                        ; implicit-def: $vgpr10
                                        ; implicit-def: $vgpr2
	s_branch .LBB409_1131
.LBB409_1126:
	v_mov_b32_e32 v10, 0
	v_mov_b32_e32 v2, 0
	s_branch .LBB409_1130
.LBB409_1127:
	v_mov_b32_e32 v2, 0
                                        ; implicit-def: $vgpr10
	s_waitcnt vmcnt(0)
	v_mov_b32_e32 v1, v2
	v_mov_b32_e32 v5, v0
	s_and_b32 s8, s37, 3
	s_cmp_eq_u32 s8, 0
	s_cbranch_scc1 .LBB409_1130
.LBB409_1128:
	s_lshl_b32 s4, s36, 3
	s_add_u32 s4, s34, s4
	s_addc_u32 s5, s35, 0
	s_add_u32 s4, s4, 0xc4
	s_addc_u32 s5, s5, 0
	s_mul_i32 s6, s36, 12
	s_add_u32 s6, s34, s6
	s_addc_u32 s7, s35, 0
.LBB409_1129:                           ; =>This Inner Loop Header: Depth=1
	s_load_dwordx2 s[10:11], s[6:7], 0x4
	s_load_dword s9, s[6:7], 0xc
	s_load_dwordx2 s[12:13], s[4:5], 0x0
	v_mov_b32_e32 v8, v1
	s_add_u32 s6, s6, 12
	s_waitcnt lgkmcnt(0)
	v_mul_hi_u32 v1, s11, v5
	v_add_u32_e32 v1, v5, v1
	v_lshrrev_b32_e32 v1, s9, v1
	s_addc_u32 s7, s7, 0
	v_mul_lo_u32 v3, v1, s10
	s_add_u32 s4, s4, 8
	v_sub_u32_e32 v3, v5, v3
	s_addc_u32 s5, s5, 0
	s_add_i32 s8, s8, -1
	v_mad_u64_u32 v[10:11], s[10:11], v3, s13, v[8:9]
	s_cmp_lg_u32 s8, 0
	v_mov_b32_e32 v5, v1
	v_mad_u64_u32 v[2:3], s[10:11], v3, s12, v[2:3]
	v_mov_b32_e32 v1, v10
	s_cbranch_scc1 .LBB409_1129
.LBB409_1130:
	s_cbranch_execnz .LBB409_1133
.LBB409_1131:
	s_load_dwordx4 s[4:7], s[34:35], 0x4
	s_load_dwordx2 s[8:9], s[34:35], 0xc4
	s_cmp_lt_u32 s33, 2
	s_waitcnt vmcnt(0) lgkmcnt(0)
	v_mul_hi_u32 v1, s5, v0
	v_add_u32_e32 v1, v0, v1
	v_lshrrev_b32_e32 v1, s6, v1
	v_mul_lo_u32 v2, v1, s4
	v_sub_u32_e32 v0, v0, v2
	v_mul_lo_u32 v10, v0, s9
	v_mul_lo_u32 v2, v0, s8
	s_cbranch_scc1 .LBB409_1133
; %bb.1132:
	s_load_dwordx4 s[4:7], s[34:35], 0x10
	s_load_dwordx2 s[8:9], s[34:35], 0xcc
	s_waitcnt lgkmcnt(0)
	v_mul_hi_u32 v0, s5, v1
	v_add_u32_e32 v0, v1, v0
	v_lshrrev_b32_e32 v0, s6, v0
	v_mul_lo_u32 v0, v0, s4
	v_sub_u32_e32 v0, v1, v0
	v_mad_u64_u32 v[2:3], s[4:5], v0, s8, v[2:3]
	v_mad_u64_u32 v[10:11], s[4:5], v0, s9, v[10:11]
.LBB409_1133:
	s_and_b64 vcc, exec, s[2:3]
	s_cbranch_vccnz .LBB409_1139
; %bb.1134:
	s_cmp_lg_u32 s33, 0
	s_mov_b32 s30, 0
	s_cbranch_scc0 .LBB409_1140
; %bb.1135:
	s_min_u32 s31, s72, 15
	s_add_i32 s31, s31, 1
	s_cmp_eq_u32 s72, 2
	s_cbranch_scc1 .LBB409_1141
; %bb.1136:
	s_and_b32 s30, s31, 28
	s_add_u32 s2, s34, 0xc4
	s_addc_u32 s3, s35, 0
	s_mov_b32 s36, 0
	v_mov_b32_e32 v0, 0
	v_mov_b32_e32 v8, 0
	s_mov_b64 s[28:29], s[34:35]
	v_mov_b32_e32 v3, v16
.LBB409_1137:                           ; =>This Inner Loop Header: Depth=1
	s_load_dwordx8 s[12:19], s[28:29], 0x4
	s_load_dwordx4 s[20:23], s[28:29], 0x24
	s_load_dwordx8 s[4:11], s[2:3], 0x0
	s_add_u32 s28, s28, 48
	s_addc_u32 s29, s29, 0
	s_waitcnt vmcnt(0) lgkmcnt(0)
	v_mul_hi_u32 v1, s13, v3
	v_add_u32_e32 v1, v3, v1
	v_lshrrev_b32_e32 v1, s14, v1
	v_mul_lo_u32 v5, v1, s12
	v_mul_hi_u32 v7, s16, v1
	v_sub_u32_e32 v3, v3, v5
	v_add_u32_e32 v5, v1, v7
	v_lshrrev_b32_e32 v5, s17, v5
	v_mul_lo_u32 v9, v5, s15
	v_mul_hi_u32 v11, s19, v5
	v_sub_u32_e32 v1, v1, v9
	v_add_u32_e32 v9, v5, v11
	v_mul_lo_u32 v7, v3, s5
	v_mul_lo_u32 v3, v3, s4
	;; [unrolled: 1-line block ×4, first 2 shown]
	v_lshrrev_b32_e32 v9, s20, v9
	v_add3_u32 v0, v3, v0, v1
	v_add3_u32 v1, v7, v8, v11
	v_mul_lo_u32 v3, v9, s18
	v_mul_hi_u32 v7, s22, v9
	v_sub_u32_e32 v3, v5, v3
	v_add_u32_e32 v5, v9, v7
	v_mul_lo_u32 v7, v3, s8
	v_mul_lo_u32 v8, v3, s9
	v_lshrrev_b32_e32 v3, s23, v5
	s_add_i32 s36, s36, 4
	v_mul_lo_u32 v5, v3, s21
	s_add_u32 s2, s2, 32
	v_sub_u32_e32 v5, v9, v5
	s_addc_u32 s3, s3, 0
	v_mul_lo_u32 v9, v5, s10
	v_mul_lo_u32 v5, v5, s11
	s_cmp_lg_u32 s30, s36
	v_add3_u32 v8, v8, v1, v5
	v_add3_u32 v0, v7, v0, v9
	s_cbranch_scc1 .LBB409_1137
; %bb.1138:
	v_mov_b32_e32 v1, v8
	s_and_b32 s6, s31, 3
	s_cmp_eq_u32 s6, 0
	s_cbranch_scc0 .LBB409_1142
	s_branch .LBB409_1144
.LBB409_1139:
                                        ; implicit-def: $vgpr8
                                        ; implicit-def: $vgpr0
	s_branch .LBB409_1145
.LBB409_1140:
	v_mov_b32_e32 v8, 0
	v_mov_b32_e32 v0, 0
	s_branch .LBB409_1144
.LBB409_1141:
	v_mov_b32_e32 v0, 0
                                        ; implicit-def: $vgpr8
	s_waitcnt vmcnt(0)
	v_mov_b32_e32 v1, v0
	v_mov_b32_e32 v3, v16
	s_and_b32 s6, s31, 3
	s_cmp_eq_u32 s6, 0
	s_cbranch_scc1 .LBB409_1144
.LBB409_1142:
	s_lshl_b32 s2, s30, 3
	s_add_u32 s2, s34, s2
	s_addc_u32 s3, s35, 0
	s_add_u32 s2, s2, 0xc4
	s_addc_u32 s3, s3, 0
	s_mul_i32 s4, s30, 12
	s_add_u32 s4, s34, s4
	s_addc_u32 s5, s35, 0
.LBB409_1143:                           ; =>This Inner Loop Header: Depth=1
	s_load_dwordx2 s[8:9], s[4:5], 0x4
	s_load_dword s7, s[4:5], 0xc
	s_load_dwordx2 s[10:11], s[2:3], 0x0
	v_mov_b32_e32 v8, v1
	s_add_u32 s4, s4, 12
	s_waitcnt lgkmcnt(0)
	v_mul_hi_u32 v1, s9, v3
	v_add_u32_e32 v1, v3, v1
	v_lshrrev_b32_e32 v1, s7, v1
	s_addc_u32 s5, s5, 0
	v_mul_lo_u32 v5, v1, s8
	s_add_u32 s2, s2, 8
	v_sub_u32_e32 v5, v3, v5
	s_addc_u32 s3, s3, 0
	s_add_i32 s6, s6, -1
	v_mov_b32_e32 v3, v1
	v_mad_u64_u32 v[8:9], s[8:9], v5, s11, v[8:9]
	v_mad_u64_u32 v[0:1], s[8:9], v5, s10, v[0:1]
	s_cmp_lg_u32 s6, 0
	v_mov_b32_e32 v1, v8
	s_cbranch_scc1 .LBB409_1143
.LBB409_1144:
	s_cbranch_execnz .LBB409_1147
.LBB409_1145:
	s_load_dwordx4 s[4:7], s[34:35], 0x4
	s_load_dwordx2 s[2:3], s[34:35], 0xc4
	s_cmp_lt_u32 s33, 2
	s_waitcnt lgkmcnt(0)
	v_mul_hi_u32 v0, s5, v16
	v_add_u32_e32 v0, v16, v0
	s_waitcnt vmcnt(0)
	v_lshrrev_b32_e32 v1, s6, v0
	v_mul_lo_u32 v0, v1, s4
	v_sub_u32_e32 v0, v16, v0
	v_mul_lo_u32 v8, v0, s3
	v_mul_lo_u32 v0, v0, s2
	s_cbranch_scc1 .LBB409_1147
; %bb.1146:
	s_load_dwordx4 s[4:7], s[34:35], 0x10
	s_load_dwordx2 s[2:3], s[34:35], 0xcc
	s_waitcnt lgkmcnt(0)
	v_mul_hi_u32 v3, s5, v1
	v_add_u32_e32 v3, v1, v3
	v_lshrrev_b32_e32 v3, s6, v3
	v_mul_lo_u32 v3, v3, s4
	v_sub_u32_e32 v3, v1, v3
	v_mad_u64_u32 v[0:1], s[4:5], v3, s2, v[0:1]
	v_mad_u64_u32 v[8:9], s[2:3], v3, s3, v[8:9]
.LBB409_1147:
	s_load_dword s16, s[0:1], 0x160
	s_load_dwordx4 s[4:7], s[34:35], 0x148
	v_mov_b32_e32 v15, 0
	s_waitcnt lgkmcnt(0)
	s_lshr_b32 s14, s16, 24
	s_cmp_lt_i32 s14, 11
	v_lshl_add_u64 v[14:15], s[6:7], 0, v[14:15]
	s_cbranch_scc1 .LBB409_1154
; %bb.1148:
	s_and_b32 s15, 0xffff, s14
	s_cmp_gt_i32 s15, 25
	s_mov_b64 s[8:9], 0
	s_cbranch_scc0 .LBB409_1156
; %bb.1149:
	s_cmp_gt_i32 s15, 28
	s_cbranch_scc0 .LBB409_1157
; %bb.1150:
	s_cmp_gt_i32 s15, 43
	;; [unrolled: 3-line block ×3, first 2 shown]
	s_cbranch_scc0 .LBB409_1159
; %bb.1152:
	s_cmp_eq_u32 s15, 46
	s_mov_b64 s[2:3], 0
	s_cbranch_scc0 .LBB409_1162
; %bb.1153:
	global_load_dword v1, v[14:15], off
	s_mov_b64 s[0:1], 0
	s_mov_b64 s[10:11], -1
	s_waitcnt vmcnt(0)
	v_lshlrev_b32_e32 v1, 16, v1
	v_cvt_f16_f32_e32 v1, v1
	s_branch .LBB409_1163
.LBB409_1154:
	s_mov_b64 s[10:11], 0
                                        ; implicit-def: $vgpr1
	s_mov_b64 s[2:3], s[24:25]
	s_cbranch_execnz .LBB409_1226
.LBB409_1155:
	s_andn2_b64 vcc, exec, s[10:11]
	s_cbranch_vccz .LBB409_1271
	s_branch .LBB409_2092
.LBB409_1156:
	s_mov_b64 s[10:11], 0
	s_mov_b64 s[0:1], 0
                                        ; implicit-def: $vgpr1
	s_cbranch_execnz .LBB409_1191
	s_branch .LBB409_1222
.LBB409_1157:
	s_mov_b64 s[2:3], -1
	s_mov_b64 s[10:11], 0
	s_mov_b64 s[0:1], 0
                                        ; implicit-def: $vgpr1
	s_branch .LBB409_1172
.LBB409_1158:
	s_mov_b64 s[10:11], 0
	s_mov_b64 s[0:1], 0
                                        ; implicit-def: $vgpr1
	s_cbranch_execnz .LBB409_1168
	s_branch .LBB409_1171
.LBB409_1159:
	s_mov_b64 s[2:3], -1
	s_mov_b64 s[10:11], 0
	s_mov_b64 s[0:1], 0
                                        ; implicit-def: $vgpr1
	s_branch .LBB409_1163
.LBB409_1160:
	s_andn2_saveexec_b64 s[12:13], s[12:13]
	s_cbranch_execz .LBB409_1003
.LBB409_1161:
	s_mov_b32 s14, 0x46000000
	v_add_f32_e64 v1, |v0|, s14
	v_and_b32_e32 v1, 0xff, v1
	v_cmp_ne_u32_e32 vcc, 0, v1
	s_andn2_b64 s[10:11], s[10:11], exec
	s_and_b64 s[14:15], vcc, exec
	s_or_b64 s[10:11], s[10:11], s[14:15]
	s_or_b64 exec, exec, s[12:13]
	v_mov_b32_e32 v5, 0
	s_and_saveexec_b64 s[12:13], s[10:11]
	s_cbranch_execnz .LBB409_1004
	s_branch .LBB409_1005
.LBB409_1162:
	s_mov_b64 s[0:1], -1
                                        ; implicit-def: $vgpr1
	s_mov_b64 s[10:11], 0
.LBB409_1163:
	s_and_b64 vcc, exec, s[2:3]
	s_cbranch_vccz .LBB409_1166
; %bb.1164:
	s_cmp_eq_u32 s15, 44
	s_cbranch_scc0 .LBB409_1167
; %bb.1165:
	global_load_ubyte v1, v[14:15], off
	s_movk_i32 s2, 0xff
	v_mov_b32_e32 v5, 0x7e00
	s_mov_b64 s[0:1], 0
	s_mov_b64 s[10:11], -1
	s_waitcnt vmcnt(0)
	v_lshlrev_b32_e32 v3, 23, v1
	v_cvt_f16_f32_e32 v3, v3
	v_cmp_ne_u32_e32 vcc, s2, v1
	s_nop 1
	v_cndmask_b32_e32 v3, v5, v3, vcc
	v_cmp_ne_u32_e32 vcc, 0, v1
	s_nop 1
	v_cndmask_b32_e32 v1, 0, v3, vcc
.LBB409_1166:
	s_branch .LBB409_1171
.LBB409_1167:
	s_mov_b64 s[0:1], -1
                                        ; implicit-def: $vgpr1
	s_branch .LBB409_1171
.LBB409_1168:
	s_cmp_eq_u32 s15, 29
	s_cbranch_scc0 .LBB409_1170
; %bb.1169:
	global_load_dwordx2 v[16:17], v[14:15], off
	s_mov_b64 s[0:1], 0
	s_mov_b64 s[10:11], -1
	s_mov_b64 s[2:3], 0
	s_waitcnt vmcnt(0)
	v_ffbh_u32_e32 v1, v17
	v_min_u32_e32 v1, 32, v1
	v_lshlrev_b64 v[16:17], v1, v[16:17]
	v_min_u32_e32 v3, 1, v16
	v_or_b32_e32 v3, v17, v3
	v_cvt_f32_u32_e32 v3, v3
	v_sub_u32_e32 v1, 32, v1
	v_ldexp_f32 v1, v3, v1
	v_cvt_f16_f32_e32 v1, v1
	s_branch .LBB409_1172
.LBB409_1170:
	s_mov_b64 s[0:1], -1
                                        ; implicit-def: $vgpr1
.LBB409_1171:
	s_mov_b64 s[2:3], 0
.LBB409_1172:
	s_and_b64 vcc, exec, s[2:3]
	s_cbranch_vccz .LBB409_1190
; %bb.1173:
	s_cmp_lt_i32 s15, 27
	s_cbranch_scc1 .LBB409_1176
; %bb.1174:
	s_cmp_gt_i32 s15, 27
	s_cbranch_scc0 .LBB409_1177
; %bb.1175:
	global_load_dword v1, v[14:15], off
	s_mov_b64 s[2:3], 0
	s_waitcnt vmcnt(0)
	v_cvt_f32_u32_e32 v1, v1
	v_cvt_f16_f32_e32 v1, v1
	s_branch .LBB409_1178
.LBB409_1176:
	s_mov_b64 s[2:3], -1
                                        ; implicit-def: $vgpr1
	s_branch .LBB409_1181
.LBB409_1177:
	s_mov_b64 s[2:3], -1
                                        ; implicit-def: $vgpr1
.LBB409_1178:
	s_andn2_b64 vcc, exec, s[2:3]
	s_cbranch_vccnz .LBB409_1180
; %bb.1179:
	global_load_ushort v1, v[14:15], off
	s_waitcnt vmcnt(0)
	v_cvt_f16_u16_e32 v1, v1
.LBB409_1180:
	s_mov_b64 s[2:3], 0
.LBB409_1181:
	s_andn2_b64 vcc, exec, s[2:3]
	s_cbranch_vccnz .LBB409_1189
; %bb.1182:
	global_load_ubyte v3, v[14:15], off
	s_movk_i32 s2, 0x7f
	s_waitcnt vmcnt(0)
	v_cmp_lt_i16_e32 vcc, s2, v3
	s_mov_b64 s[2:3], 0
	s_and_saveexec_b64 s[10:11], vcc
	s_xor_b64 s[10:11], exec, s[10:11]
	s_cbranch_execz .LBB409_1202
; %bb.1183:
	s_movk_i32 s2, 0x80
	v_cmp_eq_u16_e32 vcc, s2, v3
	s_mov_b64 s[2:3], -1
	s_and_saveexec_b64 s[12:13], vcc
; %bb.1184:
	s_xor_b64 s[2:3], exec, -1
; %bb.1185:
	s_or_b64 exec, exec, s[12:13]
	s_and_b64 s[2:3], s[2:3], exec
	s_or_saveexec_b64 s[10:11], s[10:11]
	v_mov_b32_e32 v1, 0x7e00
	s_xor_b64 exec, exec, s[10:11]
	s_cbranch_execnz .LBB409_1203
.LBB409_1186:
	s_or_b64 exec, exec, s[10:11]
	s_and_saveexec_b64 s[10:11], s[2:3]
	s_cbranch_execz .LBB409_1188
.LBB409_1187:
	v_lshlrev_b32_e32 v1, 24, v3
	v_and_b32_e32 v3, 0xffff, v3
	v_and_b32_e32 v5, 7, v3
	v_ffbh_u32_e32 v9, v5
	v_min_u32_e32 v9, 32, v9
	v_subrev_u32_e32 v11, 28, v9
	v_bfe_u32 v7, v3, 3, 4
	v_lshlrev_b32_e32 v3, v11, v3
	v_sub_u32_e32 v9, 29, v9
	v_and_b32_e32 v3, 7, v3
	v_cmp_eq_u32_e32 vcc, 0, v7
	v_and_b32_e32 v1, 0x80000000, v1
	s_nop 0
	v_cndmask_b32_e32 v7, v7, v9, vcc
	v_cndmask_b32_e32 v3, v5, v3, vcc
	v_mov_b32_e32 v5, 0x3b800000
	v_lshlrev_b32_e32 v3, 20, v3
	v_lshl_add_u32 v5, v7, 23, v5
	v_or3_b32 v1, v1, v5, v3
	v_cvt_f16_f32_e32 v1, v1
.LBB409_1188:
	s_or_b64 exec, exec, s[10:11]
.LBB409_1189:
	s_mov_b64 s[10:11], -1
.LBB409_1190:
	s_branch .LBB409_1222
.LBB409_1191:
	s_cmp_gt_i32 s15, 22
	s_cbranch_scc0 .LBB409_1201
; %bb.1192:
	s_cmp_lt_i32 s15, 24
	s_cbranch_scc1 .LBB409_1204
; %bb.1193:
	s_cmp_gt_i32 s15, 24
	s_cbranch_scc0 .LBB409_1205
; %bb.1194:
	global_load_ubyte v3, v[14:15], off
	s_movk_i32 s2, 0x7f
	s_waitcnt vmcnt(0)
	v_cmp_lt_i16_e32 vcc, s2, v3
	s_mov_b64 s[2:3], 0
	s_and_saveexec_b64 s[8:9], vcc
	s_xor_b64 s[8:9], exec, s[8:9]
	s_cbranch_execz .LBB409_1216
; %bb.1195:
	s_movk_i32 s2, 0x80
	v_cmp_eq_u16_e32 vcc, s2, v3
	s_mov_b64 s[2:3], -1
	s_and_saveexec_b64 s[10:11], vcc
; %bb.1196:
	s_xor_b64 s[2:3], exec, -1
; %bb.1197:
	s_or_b64 exec, exec, s[10:11]
	s_and_b64 s[2:3], s[2:3], exec
	s_or_saveexec_b64 s[8:9], s[8:9]
	v_mov_b32_e32 v1, 0x7e00
	s_xor_b64 exec, exec, s[8:9]
	s_cbranch_execnz .LBB409_1217
.LBB409_1198:
	s_or_b64 exec, exec, s[8:9]
	s_and_saveexec_b64 s[8:9], s[2:3]
	s_cbranch_execz .LBB409_1200
.LBB409_1199:
	v_lshlrev_b32_e32 v1, 24, v3
	v_and_b32_e32 v3, 0xffff, v3
	v_and_b32_e32 v5, 3, v3
	v_ffbh_u32_e32 v9, v5
	v_min_u32_e32 v9, 32, v9
	v_subrev_u32_e32 v11, 29, v9
	v_bfe_u32 v7, v3, 2, 5
	v_lshlrev_b32_e32 v3, v11, v3
	v_sub_u32_e32 v9, 30, v9
	v_and_b32_e32 v3, 3, v3
	v_cmp_eq_u32_e32 vcc, 0, v7
	v_and_b32_e32 v1, 0x80000000, v1
	s_nop 0
	v_cndmask_b32_e32 v7, v7, v9, vcc
	v_cndmask_b32_e32 v3, v5, v3, vcc
	v_mov_b32_e32 v5, 0x37800000
	v_lshlrev_b32_e32 v3, 21, v3
	v_lshl_add_u32 v5, v7, 23, v5
	v_or3_b32 v1, v1, v5, v3
	v_cvt_f16_f32_e32 v1, v1
.LBB409_1200:
	s_or_b64 exec, exec, s[8:9]
	s_mov_b64 s[2:3], 0
	s_branch .LBB409_1206
.LBB409_1201:
                                        ; implicit-def: $vgpr1
	s_mov_b64 s[8:9], 0
	s_branch .LBB409_1212
.LBB409_1202:
	s_or_saveexec_b64 s[10:11], s[10:11]
	v_mov_b32_e32 v1, 0x7e00
	s_xor_b64 exec, exec, s[10:11]
	s_cbranch_execz .LBB409_1186
.LBB409_1203:
	v_cmp_ne_u16_e32 vcc, 0, v3
	s_andn2_b64 s[2:3], s[2:3], exec
	s_and_b64 s[12:13], vcc, exec
	s_or_b64 s[2:3], s[2:3], s[12:13]
	v_mov_b32_e32 v1, v3
	s_or_b64 exec, exec, s[10:11]
	s_and_saveexec_b64 s[10:11], s[2:3]
	s_cbranch_execnz .LBB409_1187
	s_branch .LBB409_1188
.LBB409_1204:
	s_mov_b64 s[2:3], -1
                                        ; implicit-def: $vgpr1
	s_branch .LBB409_1209
.LBB409_1205:
	s_mov_b64 s[2:3], -1
                                        ; implicit-def: $vgpr1
.LBB409_1206:
	s_and_b64 vcc, exec, s[2:3]
	s_cbranch_vccz .LBB409_1208
; %bb.1207:
	global_load_ubyte v1, v[14:15], off
	s_mov_b32 s2, 0x7f800000
	s_waitcnt vmcnt(0)
	v_lshlrev_b32_e32 v1, 24, v1
	v_and_b32_e32 v3, 0x7f000000, v1
	v_ffbh_u32_e32 v5, v3
	v_min_u32_e32 v5, 32, v5
	v_sub_u32_e64 v5, v5, 4 clamp
	v_lshlrev_b32_e32 v9, v5, v3
	v_lshlrev_b32_e32 v5, 23, v5
	v_lshrrev_b32_e32 v9, 4, v9
	v_add_u32_e32 v7, 0x1000000, v3
	v_sub_u32_e32 v5, v9, v5
	v_ashrrev_i32_e32 v7, 8, v7
	v_add_u32_e32 v5, 0x3c000000, v5
	v_and_or_b32 v5, v7, s2, v5
	v_cmp_ne_u32_e32 vcc, 0, v3
	s_brev_b32 s2, 1
	s_nop 0
	v_cndmask_b32_e32 v3, 0, v5, vcc
	v_and_or_b32 v1, v1, s2, v3
	v_cvt_f16_f32_e32 v1, v1
.LBB409_1208:
	s_mov_b64 s[2:3], 0
.LBB409_1209:
	s_andn2_b64 vcc, exec, s[2:3]
	s_cbranch_vccnz .LBB409_1211
; %bb.1210:
	global_load_ubyte v1, v[14:15], off
	s_movk_i32 s2, 0x7f00
	s_brev_b32 s3, 16
	s_waitcnt vmcnt(0)
	v_lshlrev_b16_e32 v3, 8, v1
	v_lshlrev_b32_e32 v1, 25, v1
	v_lshrrev_b32_e32 v5, 4, v1
	v_and_or_b32 v7, v3, s2, 0.5
	v_or_b32_e32 v5, 0x70000000, v5
	v_add_f32_e32 v7, -0.5, v7
	v_mul_f32_e32 v5, 0x7800000, v5
	v_cmp_gt_u32_e32 vcc, s3, v1
	v_bfe_i32 v3, v3, 0, 16
	s_brev_b32 s2, 1
	v_cndmask_b32_e32 v1, v5, v7, vcc
	v_and_or_b32 v1, v3, s2, v1
	v_cvt_f16_f32_e32 v1, v1
.LBB409_1211:
	s_mov_b64 s[10:11], -1
	s_mov_b64 s[8:9], 0
	s_cbranch_execnz .LBB409_1222
.LBB409_1212:
	s_cmp_gt_i32 s15, 14
	s_cbranch_scc0 .LBB409_1215
; %bb.1213:
	s_cmp_eq_u32 s15, 15
	s_cbranch_scc0 .LBB409_1218
; %bb.1214:
	global_load_ushort v1, v[14:15], off
	s_mov_b64 s[0:1], 0
	s_mov_b64 s[10:11], -1
	s_waitcnt vmcnt(0)
	v_lshlrev_b32_e32 v1, 16, v1
	v_cvt_f16_f32_e32 v1, v1
	s_branch .LBB409_1219
.LBB409_1215:
	s_mov_b64 s[2:3], -1
                                        ; implicit-def: $vgpr1
	s_branch .LBB409_1220
.LBB409_1216:
	s_or_saveexec_b64 s[8:9], s[8:9]
	v_mov_b32_e32 v1, 0x7e00
	s_xor_b64 exec, exec, s[8:9]
	s_cbranch_execz .LBB409_1198
.LBB409_1217:
	v_cmp_ne_u16_e32 vcc, 0, v3
	s_andn2_b64 s[2:3], s[2:3], exec
	s_and_b64 s[10:11], vcc, exec
	s_or_b64 s[2:3], s[2:3], s[10:11]
	v_mov_b32_e32 v1, v3
	s_or_b64 exec, exec, s[8:9]
	s_and_saveexec_b64 s[8:9], s[2:3]
	s_cbranch_execnz .LBB409_1199
	s_branch .LBB409_1200
.LBB409_1218:
	s_mov_b64 s[0:1], -1
                                        ; implicit-def: $vgpr1
.LBB409_1219:
	s_mov_b64 s[2:3], 0
.LBB409_1220:
	s_and_b64 vcc, exec, s[2:3]
	s_cbranch_vccz .LBB409_1222
; %bb.1221:
	s_cmp_lg_u32 s15, 11
	s_mov_b64 s[8:9], -1
	s_cselect_b64 s[0:1], -1, 0
.LBB409_1222:
	s_and_b64 vcc, exec, s[0:1]
	s_mov_b64 s[2:3], s[24:25]
	s_cbranch_vccnz .LBB409_1283
; %bb.1223:
	s_andn2_b64 vcc, exec, s[8:9]
	s_cbranch_vccnz .LBB409_1225
.LBB409_1224:
	global_load_ubyte v1, v[14:15], off
	v_mov_b32_e32 v3, 0x3c00
	s_mov_b64 s[10:11], -1
	s_waitcnt vmcnt(0)
	v_cmp_ne_u16_e32 vcc, 0, v1
	s_nop 1
	v_cndmask_b32_e32 v1, 0, v3, vcc
.LBB409_1225:
	s_branch .LBB409_1155
.LBB409_1226:
	s_and_b32 s8, 0xffff, s14
	s_cmp_lt_i32 s8, 5
	s_cbranch_scc1 .LBB409_1231
; %bb.1227:
	s_cmp_lt_i32 s8, 8
	s_cbranch_scc1 .LBB409_1232
; %bb.1228:
	;; [unrolled: 3-line block ×3, first 2 shown]
	s_cmp_gt_i32 s8, 9
	s_cbranch_scc0 .LBB409_1234
; %bb.1230:
	global_load_dwordx2 v[16:17], v[14:15], off
	s_movk_i32 s0, 0x1ff
	s_movk_i32 s1, 0xffe
	s_waitcnt vmcnt(1)
	v_mov_b32_e32 v1, 0x7c00
	v_mov_b32_e32 v3, 0x7e00
	s_movk_i32 s9, 0x40f
	s_mov_b32 s10, 0x8000
	s_waitcnt vmcnt(0)
	v_and_or_b32 v5, v17, s0, v16
	v_cmp_ne_u32_e32 vcc, 0, v5
	v_lshrrev_b32_e32 v7, 8, v17
	v_bfe_u32 v9, v17, 20, 11
	v_cndmask_b32_e64 v5, 0, 1, vcc
	v_sub_u32_e32 v13, 0x3f1, v9
	v_and_or_b32 v5, v7, s1, v5
	v_add_u32_e32 v9, 0xfffffc10, v9
	v_med3_i32 v7, v13, 0, 13
	v_or_b32_e32 v13, 0x1000, v5
	v_lshl_or_b32 v16, v9, 12, v5
	v_cmp_ne_u32_e32 vcc, 0, v5
	v_lshrrev_b32_e32 v5, v7, v13
	v_lshlrev_b32_e32 v7, v7, v5
	v_cndmask_b32_e32 v3, v1, v3, vcc
	v_cmp_ne_u32_e32 vcc, v7, v13
	v_lshrrev_b32_e32 v11, 16, v17
	s_mov_b64 s[0:1], 0
	v_cndmask_b32_e64 v7, 0, 1, vcc
	v_or_b32_e32 v5, v5, v7
	v_cmp_gt_i32_e32 vcc, 1, v9
	s_nop 1
	v_cndmask_b32_e32 v5, v16, v5, vcc
	v_and_b32_e32 v7, 7, v5
	v_cmp_lt_i32_e32 vcc, 5, v7
	v_lshrrev_b32_e32 v5, 2, v5
	s_nop 0
	v_cndmask_b32_e64 v13, 0, 1, vcc
	v_cmp_eq_u32_e32 vcc, 3, v7
	s_nop 1
	v_cndmask_b32_e64 v7, 0, 1, vcc
	v_or_b32_e32 v7, v7, v13
	v_add_u32_e32 v5, v5, v7
	v_cmp_gt_i32_e32 vcc, 31, v9
	s_nop 1
	v_cndmask_b32_e32 v1, v1, v5, vcc
	v_cmp_eq_u32_e32 vcc, s9, v9
	s_nop 1
	v_cndmask_b32_e32 v1, v1, v3, vcc
	v_and_or_b32 v1, v11, s10, v1
	s_branch .LBB409_1235
.LBB409_1231:
                                        ; implicit-def: $vgpr1
	s_branch .LBB409_1252
.LBB409_1232:
                                        ; implicit-def: $vgpr1
	s_branch .LBB409_1241
.LBB409_1233:
	s_mov_b64 s[0:1], -1
                                        ; implicit-def: $vgpr1
	s_branch .LBB409_1238
.LBB409_1234:
	s_mov_b64 s[0:1], -1
                                        ; implicit-def: $vgpr1
.LBB409_1235:
	s_andn2_b64 vcc, exec, s[0:1]
	s_cbranch_vccnz .LBB409_1237
; %bb.1236:
	global_load_dword v1, v[14:15], off
	s_waitcnt vmcnt(0)
	v_cvt_f16_f32_e32 v1, v1
.LBB409_1237:
	s_mov_b64 s[0:1], 0
.LBB409_1238:
	s_andn2_b64 vcc, exec, s[0:1]
	s_cbranch_vccnz .LBB409_1240
; %bb.1239:
	global_load_dword v1, v[14:15], off
.LBB409_1240:
	s_cbranch_execnz .LBB409_1251
.LBB409_1241:
	s_cmp_lt_i32 s8, 6
	s_cbranch_scc1 .LBB409_1244
; %bb.1242:
	s_cmp_gt_i32 s8, 6
	s_cbranch_scc0 .LBB409_1245
; %bb.1243:
	global_load_dwordx2 v[16:17], v[14:15], off
	s_movk_i32 s0, 0x1ff
	s_movk_i32 s1, 0xffe
	s_waitcnt vmcnt(1)
	v_mov_b32_e32 v1, 0x7c00
	v_mov_b32_e32 v3, 0x7e00
	s_movk_i32 s9, 0x40f
	s_mov_b32 s10, 0x8000
	s_waitcnt vmcnt(0)
	v_and_or_b32 v5, v17, s0, v16
	v_cmp_ne_u32_e32 vcc, 0, v5
	v_lshrrev_b32_e32 v7, 8, v17
	v_bfe_u32 v9, v17, 20, 11
	v_cndmask_b32_e64 v5, 0, 1, vcc
	v_sub_u32_e32 v13, 0x3f1, v9
	v_and_or_b32 v5, v7, s1, v5
	v_add_u32_e32 v9, 0xfffffc10, v9
	v_med3_i32 v7, v13, 0, 13
	v_or_b32_e32 v13, 0x1000, v5
	v_lshl_or_b32 v16, v9, 12, v5
	v_cmp_ne_u32_e32 vcc, 0, v5
	v_lshrrev_b32_e32 v5, v7, v13
	v_lshlrev_b32_e32 v7, v7, v5
	v_cndmask_b32_e32 v3, v1, v3, vcc
	v_cmp_ne_u32_e32 vcc, v7, v13
	v_lshrrev_b32_e32 v11, 16, v17
	s_mov_b64 s[0:1], 0
	v_cndmask_b32_e64 v7, 0, 1, vcc
	v_or_b32_e32 v5, v5, v7
	v_cmp_gt_i32_e32 vcc, 1, v9
	s_nop 1
	v_cndmask_b32_e32 v5, v16, v5, vcc
	v_and_b32_e32 v7, 7, v5
	v_cmp_lt_i32_e32 vcc, 5, v7
	v_lshrrev_b32_e32 v5, 2, v5
	s_nop 0
	v_cndmask_b32_e64 v13, 0, 1, vcc
	v_cmp_eq_u32_e32 vcc, 3, v7
	s_nop 1
	v_cndmask_b32_e64 v7, 0, 1, vcc
	v_or_b32_e32 v7, v7, v13
	v_add_u32_e32 v5, v5, v7
	v_cmp_gt_i32_e32 vcc, 31, v9
	s_nop 1
	v_cndmask_b32_e32 v1, v1, v5, vcc
	v_cmp_eq_u32_e32 vcc, s9, v9
	s_nop 1
	v_cndmask_b32_e32 v1, v1, v3, vcc
	v_and_or_b32 v1, v11, s10, v1
	s_branch .LBB409_1246
.LBB409_1244:
	s_mov_b64 s[0:1], -1
                                        ; implicit-def: $vgpr1
	s_branch .LBB409_1249
.LBB409_1245:
	s_mov_b64 s[0:1], -1
                                        ; implicit-def: $vgpr1
.LBB409_1246:
	s_andn2_b64 vcc, exec, s[0:1]
	s_cbranch_vccnz .LBB409_1248
; %bb.1247:
	global_load_dword v1, v[14:15], off
	s_waitcnt vmcnt(0)
	v_cvt_f16_f32_e32 v1, v1
.LBB409_1248:
	s_mov_b64 s[0:1], 0
.LBB409_1249:
	s_andn2_b64 vcc, exec, s[0:1]
	s_cbranch_vccnz .LBB409_1251
; %bb.1250:
	global_load_ushort v1, v[14:15], off
.LBB409_1251:
	s_cbranch_execnz .LBB409_1270
.LBB409_1252:
	s_cmp_lt_i32 s8, 2
	s_cbranch_scc1 .LBB409_1256
; %bb.1253:
	s_cmp_lt_i32 s8, 3
	s_cbranch_scc1 .LBB409_1257
; %bb.1254:
	s_cmp_gt_i32 s8, 3
	s_cbranch_scc0 .LBB409_1258
; %bb.1255:
	global_load_dwordx2 v[16:17], v[14:15], off
	s_mov_b64 s[0:1], 0
	s_waitcnt vmcnt(0)
	v_xor_b32_e32 v3, v16, v17
	v_ffbh_i32_e32 v1, v17
	v_ashrrev_i32_e32 v3, 31, v3
	v_add_u32_e32 v1, -1, v1
	v_add_u32_e32 v3, 32, v3
	v_min_u32_e32 v1, v1, v3
	v_lshlrev_b64 v[16:17], v1, v[16:17]
	v_min_u32_e32 v3, 1, v16
	v_or_b32_e32 v3, v17, v3
	v_cvt_f32_i32_e32 v3, v3
	v_sub_u32_e32 v1, 32, v1
	v_ldexp_f32 v1, v3, v1
	v_cvt_f16_f32_e32 v1, v1
	s_branch .LBB409_1259
.LBB409_1256:
                                        ; implicit-def: $vgpr1
	s_branch .LBB409_1265
.LBB409_1257:
	s_mov_b64 s[0:1], -1
                                        ; implicit-def: $vgpr1
	s_branch .LBB409_1262
.LBB409_1258:
	s_mov_b64 s[0:1], -1
                                        ; implicit-def: $vgpr1
.LBB409_1259:
	s_andn2_b64 vcc, exec, s[0:1]
	s_cbranch_vccnz .LBB409_1261
; %bb.1260:
	global_load_dword v1, v[14:15], off
	s_waitcnt vmcnt(0)
	v_cvt_f32_i32_e32 v1, v1
	v_cvt_f16_f32_e32 v1, v1
.LBB409_1261:
	s_mov_b64 s[0:1], 0
.LBB409_1262:
	s_andn2_b64 vcc, exec, s[0:1]
	s_cbranch_vccnz .LBB409_1264
; %bb.1263:
	global_load_ushort v1, v[14:15], off
	s_waitcnt vmcnt(0)
	v_cvt_f16_i16_e32 v1, v1
.LBB409_1264:
	s_cbranch_execnz .LBB409_1270
.LBB409_1265:
	s_cmp_gt_i32 s8, 0
	s_cbranch_scc0 .LBB409_1267
; %bb.1266:
	global_load_sbyte v1, v[14:15], off
	s_mov_b64 s[0:1], 0
	s_waitcnt vmcnt(0)
	v_cvt_f16_i16_e32 v1, v1
	s_branch .LBB409_1268
.LBB409_1267:
	s_mov_b64 s[0:1], -1
                                        ; implicit-def: $vgpr1
.LBB409_1268:
	s_andn2_b64 vcc, exec, s[0:1]
	s_cbranch_vccnz .LBB409_1270
; %bb.1269:
	global_load_ubyte v1, v[14:15], off
	s_waitcnt vmcnt(0)
	v_cvt_f16_u16_e32 v1, v1
.LBB409_1270:
.LBB409_1271:
	v_mov_b32_e32 v13, 0
	s_and_b32 s17, 0xffff, s14
	s_cmp_lt_i32 s17, 11
	v_lshl_add_u64 v[12:13], s[6:7], 0, v[12:13]
	s_cbranch_scc1 .LBB409_1278
; %bb.1272:
	s_cmp_gt_i32 s17, 25
	s_mov_b64 s[8:9], 0
	s_cbranch_scc0 .LBB409_1280
; %bb.1273:
	s_cmp_gt_i32 s17, 28
	s_cbranch_scc0 .LBB409_1281
; %bb.1274:
	s_cmp_gt_i32 s17, 43
	;; [unrolled: 3-line block ×3, first 2 shown]
	s_cbranch_scc0 .LBB409_1284
; %bb.1276:
	s_cmp_eq_u32 s17, 46
	s_mov_b64 s[12:13], 0
	s_cbranch_scc0 .LBB409_1287
; %bb.1277:
	global_load_dword v3, v[12:13], off
	s_mov_b64 s[0:1], 0
	s_mov_b64 s[10:11], -1
	s_waitcnt vmcnt(0)
	v_lshlrev_b32_e32 v3, 16, v3
	v_cvt_f16_f32_e32 v3, v3
	s_branch .LBB409_1288
.LBB409_1278:
	s_mov_b64 s[10:11], 0
                                        ; implicit-def: $vgpr3
	s_cbranch_execnz .LBB409_1353
.LBB409_1279:
	s_andn2_b64 vcc, exec, s[10:11]
	s_cbranch_vccnz .LBB409_2092
	s_branch .LBB409_1400
.LBB409_1280:
	s_mov_b64 s[10:11], 0
	s_mov_b64 s[0:1], 0
                                        ; implicit-def: $vgpr3
	s_cbranch_execnz .LBB409_1317
	s_branch .LBB409_1349
.LBB409_1281:
	s_mov_b64 s[12:13], -1
	s_mov_b64 s[10:11], 0
	s_mov_b64 s[0:1], 0
                                        ; implicit-def: $vgpr3
	s_branch .LBB409_1298
.LBB409_1282:
	s_mov_b64 s[12:13], -1
	s_mov_b64 s[10:11], 0
	s_mov_b64 s[0:1], 0
                                        ; implicit-def: $vgpr3
	s_branch .LBB409_1293
.LBB409_1283:
	s_or_b64 s[2:3], s[24:25], exec
	s_trap 2
	s_cbranch_execz .LBB409_1224
	s_branch .LBB409_1225
.LBB409_1284:
	s_mov_b64 s[12:13], -1
	s_mov_b64 s[10:11], 0
	s_mov_b64 s[0:1], 0
                                        ; implicit-def: $vgpr3
	s_branch .LBB409_1288
.LBB409_1285:
	s_andn2_saveexec_b64 s[14:15], s[14:15]
	s_cbranch_execz .LBB409_1015
.LBB409_1286:
	s_mov_b32 s18, 0x42800000
	v_add_f32_e64 v1, |v0|, s18
	v_and_b32_e32 v1, 0xff, v1
	v_cmp_ne_u32_e32 vcc, 0, v1
	s_andn2_b64 s[12:13], s[12:13], exec
	s_and_b64 s[18:19], vcc, exec
	s_or_b64 s[12:13], s[12:13], s[18:19]
	s_or_b64 exec, exec, s[14:15]
	v_mov_b32_e32 v5, 0
	s_and_saveexec_b64 s[14:15], s[12:13]
	s_cbranch_execnz .LBB409_1016
	s_branch .LBB409_1017
.LBB409_1287:
	s_mov_b64 s[0:1], -1
                                        ; implicit-def: $vgpr3
	s_mov_b64 s[10:11], 0
.LBB409_1288:
	s_and_b64 vcc, exec, s[12:13]
	s_cbranch_vccz .LBB409_1292
; %bb.1289:
	s_cmp_eq_u32 s17, 44
	s_cbranch_scc0 .LBB409_1291
; %bb.1290:
	global_load_ubyte v3, v[12:13], off
	s_movk_i32 s10, 0xff
	v_mov_b32_e32 v7, 0x7e00
	s_mov_b64 s[0:1], 0
	s_waitcnt vmcnt(0)
	v_lshlrev_b32_e32 v5, 23, v3
	v_cvt_f16_f32_e32 v5, v5
	v_cmp_ne_u32_e32 vcc, s10, v3
	s_mov_b64 s[10:11], -1
	s_nop 0
	v_cndmask_b32_e32 v5, v7, v5, vcc
	v_cmp_ne_u32_e32 vcc, 0, v3
	s_nop 1
	v_cndmask_b32_e32 v3, 0, v5, vcc
	s_branch .LBB409_1292
.LBB409_1291:
	s_mov_b64 s[0:1], -1
                                        ; implicit-def: $vgpr3
.LBB409_1292:
	s_mov_b64 s[12:13], 0
.LBB409_1293:
	s_and_b64 vcc, exec, s[12:13]
	s_cbranch_vccz .LBB409_1297
; %bb.1294:
	s_cmp_eq_u32 s17, 29
	s_cbranch_scc0 .LBB409_1296
; %bb.1295:
	global_load_dwordx2 v[14:15], v[12:13], off
	s_mov_b64 s[0:1], 0
	s_mov_b64 s[10:11], -1
	s_mov_b64 s[12:13], 0
	s_waitcnt vmcnt(0)
	v_ffbh_u32_e32 v3, v15
	v_min_u32_e32 v3, 32, v3
	v_lshlrev_b64 v[14:15], v3, v[14:15]
	v_min_u32_e32 v5, 1, v14
	v_or_b32_e32 v5, v15, v5
	v_cvt_f32_u32_e32 v5, v5
	v_sub_u32_e32 v3, 32, v3
	v_ldexp_f32 v3, v5, v3
	v_cvt_f16_f32_e32 v3, v3
	s_branch .LBB409_1298
.LBB409_1296:
	s_mov_b64 s[0:1], -1
                                        ; implicit-def: $vgpr3
.LBB409_1297:
	s_mov_b64 s[12:13], 0
.LBB409_1298:
	s_and_b64 vcc, exec, s[12:13]
	s_cbranch_vccz .LBB409_1316
; %bb.1299:
	s_cmp_lt_i32 s17, 27
	s_cbranch_scc1 .LBB409_1302
; %bb.1300:
	s_cmp_gt_i32 s17, 27
	s_cbranch_scc0 .LBB409_1303
; %bb.1301:
	global_load_dword v3, v[12:13], off
	s_mov_b64 s[10:11], 0
	s_waitcnt vmcnt(0)
	v_cvt_f32_u32_e32 v3, v3
	v_cvt_f16_f32_e32 v3, v3
	s_branch .LBB409_1304
.LBB409_1302:
	s_mov_b64 s[10:11], -1
                                        ; implicit-def: $vgpr3
	s_branch .LBB409_1307
.LBB409_1303:
	s_mov_b64 s[10:11], -1
                                        ; implicit-def: $vgpr3
.LBB409_1304:
	s_andn2_b64 vcc, exec, s[10:11]
	s_cbranch_vccnz .LBB409_1306
; %bb.1305:
	global_load_ushort v3, v[12:13], off
	s_waitcnt vmcnt(0)
	v_cvt_f16_u16_e32 v3, v3
.LBB409_1306:
	s_mov_b64 s[10:11], 0
.LBB409_1307:
	s_andn2_b64 vcc, exec, s[10:11]
	s_cbranch_vccnz .LBB409_1315
; %bb.1308:
	global_load_ubyte v5, v[12:13], off
	s_movk_i32 s10, 0x7f
	s_waitcnt vmcnt(0)
	v_cmp_lt_i16_e32 vcc, s10, v5
	s_mov_b64 s[10:11], 0
	s_and_saveexec_b64 s[12:13], vcc
	s_xor_b64 s[12:13], exec, s[12:13]
	s_cbranch_execz .LBB409_1328
; %bb.1309:
	s_movk_i32 s10, 0x80
	v_cmp_eq_u16_e32 vcc, s10, v5
	s_mov_b64 s[10:11], -1
	s_and_saveexec_b64 s[14:15], vcc
; %bb.1310:
	s_xor_b64 s[10:11], exec, -1
; %bb.1311:
	s_or_b64 exec, exec, s[14:15]
	s_and_b64 s[10:11], s[10:11], exec
	s_or_saveexec_b64 s[12:13], s[12:13]
	v_mov_b32_e32 v3, 0x7e00
	s_xor_b64 exec, exec, s[12:13]
	s_cbranch_execnz .LBB409_1329
.LBB409_1312:
	s_or_b64 exec, exec, s[12:13]
	s_and_saveexec_b64 s[12:13], s[10:11]
	s_cbranch_execz .LBB409_1314
.LBB409_1313:
	v_lshlrev_b32_e32 v3, 24, v5
	v_and_b32_e32 v5, 0xffff, v5
	v_and_b32_e32 v7, 7, v5
	v_ffbh_u32_e32 v11, v7
	v_min_u32_e32 v11, 32, v11
	v_subrev_u32_e32 v14, 28, v11
	v_bfe_u32 v9, v5, 3, 4
	v_lshlrev_b32_e32 v5, v14, v5
	v_sub_u32_e32 v11, 29, v11
	v_and_b32_e32 v5, 7, v5
	v_cmp_eq_u32_e32 vcc, 0, v9
	v_and_b32_e32 v3, 0x80000000, v3
	s_nop 0
	v_cndmask_b32_e32 v9, v9, v11, vcc
	v_cndmask_b32_e32 v5, v7, v5, vcc
	v_mov_b32_e32 v7, 0x3b800000
	v_lshlrev_b32_e32 v5, 20, v5
	v_lshl_add_u32 v7, v9, 23, v7
	v_or3_b32 v3, v3, v7, v5
	v_cvt_f16_f32_e32 v3, v3
.LBB409_1314:
	s_or_b64 exec, exec, s[12:13]
.LBB409_1315:
	s_mov_b64 s[10:11], -1
.LBB409_1316:
	s_branch .LBB409_1349
.LBB409_1317:
	s_cmp_gt_i32 s17, 22
	s_cbranch_scc0 .LBB409_1327
; %bb.1318:
	s_cmp_lt_i32 s17, 24
	s_cbranch_scc1 .LBB409_1330
; %bb.1319:
	s_cmp_gt_i32 s17, 24
	s_cbranch_scc0 .LBB409_1331
; %bb.1320:
	global_load_ubyte v5, v[12:13], off
	s_movk_i32 s8, 0x7f
	s_waitcnt vmcnt(0)
	v_cmp_lt_i16_e32 vcc, s8, v5
	s_mov_b64 s[8:9], 0
	s_and_saveexec_b64 s[10:11], vcc
	s_xor_b64 s[10:11], exec, s[10:11]
	s_cbranch_execz .LBB409_1343
; %bb.1321:
	s_movk_i32 s8, 0x80
	v_cmp_eq_u16_e32 vcc, s8, v5
	s_mov_b64 s[8:9], -1
	s_and_saveexec_b64 s[12:13], vcc
; %bb.1322:
	s_xor_b64 s[8:9], exec, -1
; %bb.1323:
	s_or_b64 exec, exec, s[12:13]
	s_and_b64 s[8:9], s[8:9], exec
	s_or_saveexec_b64 s[10:11], s[10:11]
	v_mov_b32_e32 v3, 0x7e00
	s_xor_b64 exec, exec, s[10:11]
	s_cbranch_execnz .LBB409_1344
.LBB409_1324:
	s_or_b64 exec, exec, s[10:11]
	s_and_saveexec_b64 s[10:11], s[8:9]
	s_cbranch_execz .LBB409_1326
.LBB409_1325:
	v_lshlrev_b32_e32 v3, 24, v5
	v_and_b32_e32 v5, 0xffff, v5
	v_and_b32_e32 v7, 3, v5
	v_ffbh_u32_e32 v11, v7
	v_min_u32_e32 v11, 32, v11
	v_subrev_u32_e32 v14, 29, v11
	v_bfe_u32 v9, v5, 2, 5
	v_lshlrev_b32_e32 v5, v14, v5
	v_sub_u32_e32 v11, 30, v11
	v_and_b32_e32 v5, 3, v5
	v_cmp_eq_u32_e32 vcc, 0, v9
	v_and_b32_e32 v3, 0x80000000, v3
	s_nop 0
	v_cndmask_b32_e32 v9, v9, v11, vcc
	v_cndmask_b32_e32 v5, v7, v5, vcc
	v_mov_b32_e32 v7, 0x37800000
	v_lshlrev_b32_e32 v5, 21, v5
	v_lshl_add_u32 v7, v9, 23, v7
	v_or3_b32 v3, v3, v7, v5
	v_cvt_f16_f32_e32 v3, v3
.LBB409_1326:
	s_or_b64 exec, exec, s[10:11]
	s_mov_b64 s[8:9], 0
	s_branch .LBB409_1332
.LBB409_1327:
	s_mov_b64 s[8:9], -1
                                        ; implicit-def: $vgpr3
	s_branch .LBB409_1338
.LBB409_1328:
	s_or_saveexec_b64 s[12:13], s[12:13]
	v_mov_b32_e32 v3, 0x7e00
	s_xor_b64 exec, exec, s[12:13]
	s_cbranch_execz .LBB409_1312
.LBB409_1329:
	v_cmp_ne_u16_e32 vcc, 0, v5
	s_andn2_b64 s[10:11], s[10:11], exec
	s_and_b64 s[14:15], vcc, exec
	s_or_b64 s[10:11], s[10:11], s[14:15]
	v_mov_b32_e32 v3, v5
	s_or_b64 exec, exec, s[12:13]
	s_and_saveexec_b64 s[12:13], s[10:11]
	s_cbranch_execnz .LBB409_1313
	s_branch .LBB409_1314
.LBB409_1330:
	s_mov_b64 s[8:9], -1
                                        ; implicit-def: $vgpr3
	s_branch .LBB409_1335
.LBB409_1331:
	s_mov_b64 s[8:9], -1
                                        ; implicit-def: $vgpr3
.LBB409_1332:
	s_and_b64 vcc, exec, s[8:9]
	s_cbranch_vccz .LBB409_1334
; %bb.1333:
	global_load_ubyte v3, v[12:13], off
	s_mov_b32 s8, 0x7f800000
	s_waitcnt vmcnt(0)
	v_lshlrev_b32_e32 v3, 24, v3
	v_and_b32_e32 v5, 0x7f000000, v3
	v_ffbh_u32_e32 v7, v5
	v_min_u32_e32 v7, 32, v7
	v_sub_u32_e64 v7, v7, 4 clamp
	v_lshlrev_b32_e32 v11, v7, v5
	v_lshlrev_b32_e32 v7, 23, v7
	v_lshrrev_b32_e32 v11, 4, v11
	v_add_u32_e32 v9, 0x1000000, v5
	v_sub_u32_e32 v7, v11, v7
	v_ashrrev_i32_e32 v9, 8, v9
	v_add_u32_e32 v7, 0x3c000000, v7
	v_and_or_b32 v7, v9, s8, v7
	v_cmp_ne_u32_e32 vcc, 0, v5
	s_brev_b32 s8, 1
	s_nop 0
	v_cndmask_b32_e32 v5, 0, v7, vcc
	v_and_or_b32 v3, v3, s8, v5
	v_cvt_f16_f32_e32 v3, v3
.LBB409_1334:
	s_mov_b64 s[8:9], 0
.LBB409_1335:
	s_andn2_b64 vcc, exec, s[8:9]
	s_cbranch_vccnz .LBB409_1337
; %bb.1336:
	global_load_ubyte v3, v[12:13], off
	s_movk_i32 s8, 0x7f00
	s_brev_b32 s9, 16
	s_waitcnt vmcnt(0)
	v_lshlrev_b16_e32 v5, 8, v3
	v_lshlrev_b32_e32 v3, 25, v3
	v_lshrrev_b32_e32 v7, 4, v3
	v_and_or_b32 v9, v5, s8, 0.5
	v_or_b32_e32 v7, 0x70000000, v7
	v_add_f32_e32 v9, -0.5, v9
	v_mul_f32_e32 v7, 0x7800000, v7
	v_cmp_gt_u32_e32 vcc, s9, v3
	v_bfe_i32 v5, v5, 0, 16
	s_brev_b32 s8, 1
	v_cndmask_b32_e32 v3, v7, v9, vcc
	v_and_or_b32 v3, v5, s8, v3
	v_cvt_f16_f32_e32 v3, v3
.LBB409_1337:
	s_mov_b64 s[8:9], 0
	s_mov_b64 s[10:11], -1
.LBB409_1338:
	s_andn2_b64 vcc, exec, s[8:9]
	s_mov_b64 s[8:9], 0
	s_cbranch_vccnz .LBB409_1349
; %bb.1339:
	s_cmp_gt_i32 s17, 14
	s_cbranch_scc0 .LBB409_1342
; %bb.1340:
	s_cmp_eq_u32 s17, 15
	s_cbranch_scc0 .LBB409_1345
; %bb.1341:
	global_load_ushort v3, v[12:13], off
	s_mov_b64 s[0:1], 0
	s_mov_b64 s[10:11], -1
	s_waitcnt vmcnt(0)
	v_lshlrev_b32_e32 v3, 16, v3
	v_cvt_f16_f32_e32 v3, v3
	s_branch .LBB409_1346
.LBB409_1342:
	s_mov_b64 s[12:13], -1
                                        ; implicit-def: $vgpr3
	s_branch .LBB409_1347
.LBB409_1343:
	s_or_saveexec_b64 s[10:11], s[10:11]
	v_mov_b32_e32 v3, 0x7e00
	s_xor_b64 exec, exec, s[10:11]
	s_cbranch_execz .LBB409_1324
.LBB409_1344:
	v_cmp_ne_u16_e32 vcc, 0, v5
	s_andn2_b64 s[8:9], s[8:9], exec
	s_and_b64 s[12:13], vcc, exec
	s_or_b64 s[8:9], s[8:9], s[12:13]
	v_mov_b32_e32 v3, v5
	s_or_b64 exec, exec, s[10:11]
	s_and_saveexec_b64 s[10:11], s[8:9]
	s_cbranch_execnz .LBB409_1325
	s_branch .LBB409_1326
.LBB409_1345:
	s_mov_b64 s[0:1], -1
                                        ; implicit-def: $vgpr3
.LBB409_1346:
	s_mov_b64 s[12:13], 0
.LBB409_1347:
	s_and_b64 vcc, exec, s[12:13]
	s_cbranch_vccz .LBB409_1349
; %bb.1348:
	s_cmp_lg_u32 s17, 11
	s_mov_b64 s[8:9], -1
	s_cselect_b64 s[0:1], -1, 0
.LBB409_1349:
	s_and_b64 vcc, exec, s[0:1]
	s_cbranch_vccnz .LBB409_1412
; %bb.1350:
	s_andn2_b64 vcc, exec, s[8:9]
	s_cbranch_vccnz .LBB409_1352
.LBB409_1351:
	global_load_ubyte v3, v[12:13], off
	v_mov_b32_e32 v5, 0x3c00
	s_mov_b64 s[10:11], -1
	s_waitcnt vmcnt(0)
	v_cmp_ne_u16_e32 vcc, 0, v3
	s_nop 1
	v_cndmask_b32_e32 v3, 0, v5, vcc
.LBB409_1352:
	s_branch .LBB409_1279
.LBB409_1353:
	s_cmp_lt_i32 s17, 5
	s_cbranch_scc1 .LBB409_1358
; %bb.1354:
	s_cmp_lt_i32 s17, 8
	s_cbranch_scc1 .LBB409_1359
; %bb.1355:
	s_cmp_lt_i32 s17, 9
	s_cbranch_scc1 .LBB409_1360
; %bb.1356:
	s_cmp_gt_i32 s17, 9
	s_cbranch_scc0 .LBB409_1361
; %bb.1357:
	global_load_dwordx2 v[14:15], v[12:13], off
	s_movk_i32 s0, 0x1ff
	s_movk_i32 s1, 0xffe
	v_mov_b32_e32 v3, 0x7c00
	v_mov_b32_e32 v5, 0x7e00
	s_movk_i32 s8, 0x40f
	s_mov_b32 s9, 0x8000
	s_waitcnt vmcnt(0)
	v_and_or_b32 v7, v15, s0, v14
	v_cmp_ne_u32_e32 vcc, 0, v7
	v_lshrrev_b32_e32 v9, 8, v15
	v_bfe_u32 v11, v15, 20, 11
	v_cndmask_b32_e64 v7, 0, 1, vcc
	v_lshrrev_b32_e32 v14, 16, v15
	v_sub_u32_e32 v15, 0x3f1, v11
	v_and_or_b32 v7, v9, s1, v7
	v_add_u32_e32 v11, 0xfffffc10, v11
	v_med3_i32 v9, v15, 0, 13
	v_or_b32_e32 v15, 0x1000, v7
	v_lshl_or_b32 v16, v11, 12, v7
	v_cmp_ne_u32_e32 vcc, 0, v7
	v_lshrrev_b32_e32 v7, v9, v15
	v_lshlrev_b32_e32 v9, v9, v7
	v_cndmask_b32_e32 v5, v3, v5, vcc
	v_cmp_ne_u32_e32 vcc, v9, v15
	s_mov_b64 s[0:1], 0
	s_nop 0
	v_cndmask_b32_e64 v9, 0, 1, vcc
	v_or_b32_e32 v7, v7, v9
	v_cmp_gt_i32_e32 vcc, 1, v11
	s_nop 1
	v_cndmask_b32_e32 v7, v16, v7, vcc
	v_and_b32_e32 v9, 7, v7
	v_cmp_lt_i32_e32 vcc, 5, v9
	v_lshrrev_b32_e32 v7, 2, v7
	s_nop 0
	v_cndmask_b32_e64 v15, 0, 1, vcc
	v_cmp_eq_u32_e32 vcc, 3, v9
	s_nop 1
	v_cndmask_b32_e64 v9, 0, 1, vcc
	v_or_b32_e32 v9, v9, v15
	v_add_u32_e32 v7, v7, v9
	v_cmp_gt_i32_e32 vcc, 31, v11
	s_nop 1
	v_cndmask_b32_e32 v3, v3, v7, vcc
	v_cmp_eq_u32_e32 vcc, s8, v11
	s_nop 1
	v_cndmask_b32_e32 v3, v3, v5, vcc
	v_and_or_b32 v3, v14, s9, v3
	s_branch .LBB409_1362
.LBB409_1358:
                                        ; implicit-def: $vgpr3
	s_branch .LBB409_1380
.LBB409_1359:
	s_mov_b64 s[0:1], -1
                                        ; implicit-def: $vgpr3
	s_branch .LBB409_1368
.LBB409_1360:
	s_mov_b64 s[0:1], -1
                                        ; implicit-def: $vgpr3
	s_branch .LBB409_1365
.LBB409_1361:
	s_mov_b64 s[0:1], -1
                                        ; implicit-def: $vgpr3
.LBB409_1362:
	s_andn2_b64 vcc, exec, s[0:1]
	s_cbranch_vccnz .LBB409_1364
; %bb.1363:
	global_load_dword v3, v[12:13], off
	s_waitcnt vmcnt(0)
	v_cvt_f16_f32_e32 v3, v3
.LBB409_1364:
	s_mov_b64 s[0:1], 0
.LBB409_1365:
	s_andn2_b64 vcc, exec, s[0:1]
	s_cbranch_vccnz .LBB409_1367
; %bb.1366:
	global_load_dword v3, v[12:13], off
.LBB409_1367:
	s_mov_b64 s[0:1], 0
.LBB409_1368:
	s_andn2_b64 vcc, exec, s[0:1]
	s_cbranch_vccnz .LBB409_1379
; %bb.1369:
	s_cmp_lt_i32 s17, 6
	s_cbranch_scc1 .LBB409_1372
; %bb.1370:
	s_cmp_gt_i32 s17, 6
	s_cbranch_scc0 .LBB409_1373
; %bb.1371:
	global_load_dwordx2 v[14:15], v[12:13], off
	s_movk_i32 s0, 0x1ff
	s_movk_i32 s1, 0xffe
	s_waitcnt vmcnt(1)
	v_mov_b32_e32 v3, 0x7c00
	v_mov_b32_e32 v5, 0x7e00
	s_movk_i32 s8, 0x40f
	s_mov_b32 s9, 0x8000
	s_waitcnt vmcnt(0)
	v_and_or_b32 v7, v15, s0, v14
	v_cmp_ne_u32_e32 vcc, 0, v7
	v_lshrrev_b32_e32 v9, 8, v15
	v_bfe_u32 v11, v15, 20, 11
	v_cndmask_b32_e64 v7, 0, 1, vcc
	v_lshrrev_b32_e32 v14, 16, v15
	v_sub_u32_e32 v15, 0x3f1, v11
	v_and_or_b32 v7, v9, s1, v7
	v_add_u32_e32 v11, 0xfffffc10, v11
	v_med3_i32 v9, v15, 0, 13
	v_or_b32_e32 v15, 0x1000, v7
	v_lshl_or_b32 v16, v11, 12, v7
	v_cmp_ne_u32_e32 vcc, 0, v7
	v_lshrrev_b32_e32 v7, v9, v15
	v_lshlrev_b32_e32 v9, v9, v7
	v_cndmask_b32_e32 v5, v3, v5, vcc
	v_cmp_ne_u32_e32 vcc, v9, v15
	s_mov_b64 s[0:1], 0
	s_nop 0
	v_cndmask_b32_e64 v9, 0, 1, vcc
	v_or_b32_e32 v7, v7, v9
	v_cmp_gt_i32_e32 vcc, 1, v11
	s_nop 1
	v_cndmask_b32_e32 v7, v16, v7, vcc
	v_and_b32_e32 v9, 7, v7
	v_cmp_lt_i32_e32 vcc, 5, v9
	v_lshrrev_b32_e32 v7, 2, v7
	s_nop 0
	v_cndmask_b32_e64 v15, 0, 1, vcc
	v_cmp_eq_u32_e32 vcc, 3, v9
	s_nop 1
	v_cndmask_b32_e64 v9, 0, 1, vcc
	v_or_b32_e32 v9, v9, v15
	v_add_u32_e32 v7, v7, v9
	v_cmp_gt_i32_e32 vcc, 31, v11
	s_nop 1
	v_cndmask_b32_e32 v3, v3, v7, vcc
	v_cmp_eq_u32_e32 vcc, s8, v11
	s_nop 1
	v_cndmask_b32_e32 v3, v3, v5, vcc
	v_and_or_b32 v3, v14, s9, v3
	s_branch .LBB409_1374
.LBB409_1372:
	s_mov_b64 s[0:1], -1
                                        ; implicit-def: $vgpr3
	s_branch .LBB409_1377
.LBB409_1373:
	s_mov_b64 s[0:1], -1
                                        ; implicit-def: $vgpr3
.LBB409_1374:
	s_andn2_b64 vcc, exec, s[0:1]
	s_cbranch_vccnz .LBB409_1376
; %bb.1375:
	global_load_dword v3, v[12:13], off
	s_waitcnt vmcnt(0)
	v_cvt_f16_f32_e32 v3, v3
.LBB409_1376:
	s_mov_b64 s[0:1], 0
.LBB409_1377:
	s_andn2_b64 vcc, exec, s[0:1]
	s_cbranch_vccnz .LBB409_1379
; %bb.1378:
	global_load_ushort v3, v[12:13], off
.LBB409_1379:
	s_cbranch_execnz .LBB409_1399
.LBB409_1380:
	s_cmp_lt_i32 s17, 2
	s_cbranch_scc1 .LBB409_1384
; %bb.1381:
	s_cmp_lt_i32 s17, 3
	s_cbranch_scc1 .LBB409_1385
; %bb.1382:
	s_cmp_gt_i32 s17, 3
	s_cbranch_scc0 .LBB409_1386
; %bb.1383:
	global_load_dwordx2 v[14:15], v[12:13], off
	s_mov_b64 s[0:1], 0
	s_waitcnt vmcnt(0)
	v_xor_b32_e32 v5, v14, v15
	v_ffbh_i32_e32 v3, v15
	v_ashrrev_i32_e32 v5, 31, v5
	v_add_u32_e32 v3, -1, v3
	v_add_u32_e32 v5, 32, v5
	v_min_u32_e32 v3, v3, v5
	v_lshlrev_b64 v[14:15], v3, v[14:15]
	v_min_u32_e32 v5, 1, v14
	v_or_b32_e32 v5, v15, v5
	v_cvt_f32_i32_e32 v5, v5
	v_sub_u32_e32 v3, 32, v3
	v_ldexp_f32 v3, v5, v3
	v_cvt_f16_f32_e32 v3, v3
	s_branch .LBB409_1387
.LBB409_1384:
	s_mov_b64 s[0:1], -1
                                        ; implicit-def: $vgpr3
	s_branch .LBB409_1393
.LBB409_1385:
	s_mov_b64 s[0:1], -1
                                        ; implicit-def: $vgpr3
	s_branch .LBB409_1390
.LBB409_1386:
	s_mov_b64 s[0:1], -1
                                        ; implicit-def: $vgpr3
.LBB409_1387:
	s_andn2_b64 vcc, exec, s[0:1]
	s_cbranch_vccnz .LBB409_1389
; %bb.1388:
	global_load_dword v3, v[12:13], off
	s_waitcnt vmcnt(0)
	v_cvt_f32_i32_e32 v3, v3
	v_cvt_f16_f32_e32 v3, v3
.LBB409_1389:
	s_mov_b64 s[0:1], 0
.LBB409_1390:
	s_andn2_b64 vcc, exec, s[0:1]
	s_cbranch_vccnz .LBB409_1392
; %bb.1391:
	global_load_ushort v3, v[12:13], off
	s_waitcnt vmcnt(0)
	v_cvt_f16_i16_e32 v3, v3
.LBB409_1392:
	s_mov_b64 s[0:1], 0
.LBB409_1393:
	s_andn2_b64 vcc, exec, s[0:1]
	s_cbranch_vccnz .LBB409_1399
; %bb.1394:
	s_cmp_gt_i32 s17, 0
	s_cbranch_scc0 .LBB409_1396
; %bb.1395:
	global_load_sbyte v3, v[12:13], off
	s_mov_b64 s[0:1], 0
	s_waitcnt vmcnt(0)
	v_cvt_f16_i16_e32 v3, v3
	s_branch .LBB409_1397
.LBB409_1396:
	s_mov_b64 s[0:1], -1
                                        ; implicit-def: $vgpr3
.LBB409_1397:
	s_andn2_b64 vcc, exec, s[0:1]
	s_cbranch_vccnz .LBB409_1399
; %bb.1398:
	global_load_ubyte v3, v[12:13], off
	s_waitcnt vmcnt(0)
	v_cvt_f16_u16_e32 v3, v3
.LBB409_1399:
.LBB409_1400:
	v_mov_b32_e32 v11, 0
	s_cmp_lt_i32 s17, 11
	v_lshl_add_u64 v[10:11], s[6:7], 0, v[10:11]
	s_cbranch_scc1 .LBB409_1407
; %bb.1401:
	s_cmp_gt_i32 s17, 25
	s_mov_b64 s[8:9], 0
	s_cbranch_scc0 .LBB409_1409
; %bb.1402:
	s_cmp_gt_i32 s17, 28
	s_cbranch_scc0 .LBB409_1410
; %bb.1403:
	s_cmp_gt_i32 s17, 43
	;; [unrolled: 3-line block ×3, first 2 shown]
	s_cbranch_scc0 .LBB409_1413
; %bb.1405:
	s_cmp_eq_u32 s17, 46
	s_mov_b64 s[12:13], 0
	s_cbranch_scc0 .LBB409_1414
; %bb.1406:
	global_load_dword v5, v[10:11], off
	s_mov_b64 s[0:1], 0
	s_mov_b64 s[10:11], -1
	s_waitcnt vmcnt(0)
	v_lshlrev_b32_e32 v5, 16, v5
	v_cvt_f16_f32_e32 v12, v5
	s_branch .LBB409_1415
.LBB409_1407:
	s_mov_b64 s[10:11], 0
                                        ; implicit-def: $vgpr12
	s_cbranch_execnz .LBB409_1481
.LBB409_1408:
	s_andn2_b64 vcc, exec, s[10:11]
	s_cbranch_vccnz .LBB409_2092
	s_branch .LBB409_1529
.LBB409_1409:
	s_mov_b64 s[12:13], -1
	s_mov_b64 s[10:11], 0
	s_mov_b64 s[0:1], 0
                                        ; implicit-def: $vgpr12
	s_branch .LBB409_1444
.LBB409_1410:
	s_mov_b64 s[12:13], -1
	s_mov_b64 s[10:11], 0
	s_mov_b64 s[0:1], 0
                                        ; implicit-def: $vgpr12
	s_branch .LBB409_1425
.LBB409_1411:
	s_mov_b64 s[12:13], -1
	s_mov_b64 s[10:11], 0
	s_mov_b64 s[0:1], 0
                                        ; implicit-def: $vgpr12
	s_branch .LBB409_1420
.LBB409_1412:
	s_trap 2
	s_or_b64 s[2:3], s[2:3], exec
	s_cbranch_execz .LBB409_1351
	s_branch .LBB409_1352
.LBB409_1413:
	s_mov_b64 s[12:13], -1
	s_mov_b64 s[10:11], 0
	s_mov_b64 s[0:1], 0
                                        ; implicit-def: $vgpr12
	s_branch .LBB409_1415
.LBB409_1414:
	s_mov_b64 s[0:1], -1
                                        ; implicit-def: $vgpr12
	s_mov_b64 s[10:11], 0
.LBB409_1415:
	s_and_b64 vcc, exec, s[12:13]
	s_cbranch_vccz .LBB409_1419
; %bb.1416:
	s_cmp_eq_u32 s17, 44
	s_cbranch_scc0 .LBB409_1418
; %bb.1417:
	global_load_ubyte v5, v[10:11], off
	s_movk_i32 s10, 0xff
	v_mov_b32_e32 v9, 0x7e00
	s_mov_b64 s[0:1], 0
	s_waitcnt vmcnt(0)
	v_lshlrev_b32_e32 v7, 23, v5
	v_cvt_f16_f32_e32 v7, v7
	v_cmp_ne_u32_e32 vcc, s10, v5
	s_mov_b64 s[10:11], -1
	s_nop 0
	v_cndmask_b32_e32 v7, v9, v7, vcc
	v_cmp_ne_u32_e32 vcc, 0, v5
	s_nop 1
	v_cndmask_b32_e32 v12, 0, v7, vcc
	s_branch .LBB409_1419
.LBB409_1418:
	s_mov_b64 s[0:1], -1
                                        ; implicit-def: $vgpr12
.LBB409_1419:
	s_mov_b64 s[12:13], 0
.LBB409_1420:
	s_and_b64 vcc, exec, s[12:13]
	s_cbranch_vccz .LBB409_1424
; %bb.1421:
	s_cmp_eq_u32 s17, 29
	s_cbranch_scc0 .LBB409_1423
; %bb.1422:
	global_load_dwordx2 v[12:13], v[10:11], off
	s_mov_b64 s[0:1], 0
	s_mov_b64 s[10:11], -1
	s_mov_b64 s[12:13], 0
	s_waitcnt vmcnt(0)
	v_ffbh_u32_e32 v5, v13
	v_min_u32_e32 v5, 32, v5
	v_lshlrev_b64 v[12:13], v5, v[12:13]
	v_min_u32_e32 v7, 1, v12
	v_or_b32_e32 v7, v13, v7
	v_cvt_f32_u32_e32 v7, v7
	v_sub_u32_e32 v5, 32, v5
	v_ldexp_f32 v5, v7, v5
	v_cvt_f16_f32_e32 v12, v5
	s_branch .LBB409_1425
.LBB409_1423:
	s_mov_b64 s[0:1], -1
                                        ; implicit-def: $vgpr12
.LBB409_1424:
	s_mov_b64 s[12:13], 0
.LBB409_1425:
	s_and_b64 vcc, exec, s[12:13]
	s_cbranch_vccz .LBB409_1443
; %bb.1426:
	s_cmp_lt_i32 s17, 27
	s_cbranch_scc1 .LBB409_1429
; %bb.1427:
	s_cmp_gt_i32 s17, 27
	s_cbranch_scc0 .LBB409_1430
; %bb.1428:
	global_load_dword v5, v[10:11], off
	s_mov_b64 s[10:11], 0
	s_waitcnt vmcnt(0)
	v_cvt_f32_u32_e32 v5, v5
	v_cvt_f16_f32_e32 v12, v5
	s_branch .LBB409_1431
.LBB409_1429:
	s_mov_b64 s[10:11], -1
                                        ; implicit-def: $vgpr12
	s_branch .LBB409_1434
.LBB409_1430:
	s_mov_b64 s[10:11], -1
                                        ; implicit-def: $vgpr12
.LBB409_1431:
	s_andn2_b64 vcc, exec, s[10:11]
	s_cbranch_vccnz .LBB409_1433
; %bb.1432:
	global_load_ushort v5, v[10:11], off
	s_waitcnt vmcnt(0)
	v_cvt_f16_u16_e32 v12, v5
.LBB409_1433:
	s_mov_b64 s[10:11], 0
.LBB409_1434:
	s_andn2_b64 vcc, exec, s[10:11]
	s_cbranch_vccnz .LBB409_1442
; %bb.1435:
	global_load_ubyte v5, v[10:11], off
	s_movk_i32 s10, 0x7f
	s_waitcnt vmcnt(0)
	v_cmp_lt_i16_e32 vcc, s10, v5
	s_mov_b64 s[10:11], 0
	s_and_saveexec_b64 s[12:13], vcc
	s_xor_b64 s[12:13], exec, s[12:13]
	s_cbranch_execz .LBB409_1456
; %bb.1436:
	s_movk_i32 s10, 0x80
	v_cmp_eq_u16_e32 vcc, s10, v5
	s_mov_b64 s[10:11], -1
	s_and_saveexec_b64 s[14:15], vcc
; %bb.1437:
	s_xor_b64 s[10:11], exec, -1
; %bb.1438:
	s_or_b64 exec, exec, s[14:15]
	s_and_b64 s[10:11], s[10:11], exec
	s_or_saveexec_b64 s[12:13], s[12:13]
	v_mov_b32_e32 v12, 0x7e00
	s_xor_b64 exec, exec, s[12:13]
	s_cbranch_execnz .LBB409_1457
.LBB409_1439:
	s_or_b64 exec, exec, s[12:13]
	s_and_saveexec_b64 s[12:13], s[10:11]
	s_cbranch_execz .LBB409_1441
.LBB409_1440:
	v_lshlrev_b32_e32 v7, 24, v5
	v_and_b32_e32 v5, 0xffff, v5
	v_and_b32_e32 v9, 7, v5
	v_ffbh_u32_e32 v13, v9
	v_min_u32_e32 v13, 32, v13
	v_subrev_u32_e32 v14, 28, v13
	v_bfe_u32 v12, v5, 3, 4
	v_lshlrev_b32_e32 v5, v14, v5
	v_sub_u32_e32 v13, 29, v13
	v_and_b32_e32 v5, 7, v5
	v_cmp_eq_u32_e32 vcc, 0, v12
	v_and_b32_e32 v7, 0x80000000, v7
	s_nop 0
	v_cndmask_b32_e32 v12, v12, v13, vcc
	v_cndmask_b32_e32 v5, v9, v5, vcc
	v_mov_b32_e32 v9, 0x3b800000
	v_lshlrev_b32_e32 v5, 20, v5
	v_lshl_add_u32 v9, v12, 23, v9
	v_or3_b32 v5, v7, v9, v5
	v_cvt_f16_f32_e32 v12, v5
.LBB409_1441:
	s_or_b64 exec, exec, s[12:13]
.LBB409_1442:
	s_mov_b64 s[10:11], -1
.LBB409_1443:
	s_mov_b64 s[12:13], 0
.LBB409_1444:
	s_and_b64 vcc, exec, s[12:13]
	s_cbranch_vccz .LBB409_1477
; %bb.1445:
	s_cmp_gt_i32 s17, 22
	s_cbranch_scc0 .LBB409_1455
; %bb.1446:
	s_cmp_lt_i32 s17, 24
	s_cbranch_scc1 .LBB409_1458
; %bb.1447:
	s_cmp_gt_i32 s17, 24
	s_cbranch_scc0 .LBB409_1459
; %bb.1448:
	global_load_ubyte v5, v[10:11], off
	s_movk_i32 s8, 0x7f
	s_waitcnt vmcnt(0)
	v_cmp_lt_i16_e32 vcc, s8, v5
	s_mov_b64 s[8:9], 0
	s_and_saveexec_b64 s[10:11], vcc
	s_xor_b64 s[10:11], exec, s[10:11]
	s_cbranch_execz .LBB409_1471
; %bb.1449:
	s_movk_i32 s8, 0x80
	v_cmp_eq_u16_e32 vcc, s8, v5
	s_mov_b64 s[8:9], -1
	s_and_saveexec_b64 s[12:13], vcc
; %bb.1450:
	s_xor_b64 s[8:9], exec, -1
; %bb.1451:
	s_or_b64 exec, exec, s[12:13]
	s_and_b64 s[8:9], s[8:9], exec
	s_or_saveexec_b64 s[10:11], s[10:11]
	v_mov_b32_e32 v12, 0x7e00
	s_xor_b64 exec, exec, s[10:11]
	s_cbranch_execnz .LBB409_1472
.LBB409_1452:
	s_or_b64 exec, exec, s[10:11]
	s_and_saveexec_b64 s[10:11], s[8:9]
	s_cbranch_execz .LBB409_1454
.LBB409_1453:
	v_lshlrev_b32_e32 v7, 24, v5
	v_and_b32_e32 v5, 0xffff, v5
	v_and_b32_e32 v9, 3, v5
	v_ffbh_u32_e32 v13, v9
	v_min_u32_e32 v13, 32, v13
	v_subrev_u32_e32 v14, 29, v13
	v_bfe_u32 v12, v5, 2, 5
	v_lshlrev_b32_e32 v5, v14, v5
	v_sub_u32_e32 v13, 30, v13
	v_and_b32_e32 v5, 3, v5
	v_cmp_eq_u32_e32 vcc, 0, v12
	v_and_b32_e32 v7, 0x80000000, v7
	s_nop 0
	v_cndmask_b32_e32 v12, v12, v13, vcc
	v_cndmask_b32_e32 v5, v9, v5, vcc
	v_mov_b32_e32 v9, 0x37800000
	v_lshlrev_b32_e32 v5, 21, v5
	v_lshl_add_u32 v9, v12, 23, v9
	v_or3_b32 v5, v7, v9, v5
	v_cvt_f16_f32_e32 v12, v5
.LBB409_1454:
	s_or_b64 exec, exec, s[10:11]
	s_mov_b64 s[8:9], 0
	s_branch .LBB409_1460
.LBB409_1455:
	s_mov_b64 s[8:9], -1
                                        ; implicit-def: $vgpr12
	s_branch .LBB409_1466
.LBB409_1456:
	s_or_saveexec_b64 s[12:13], s[12:13]
	v_mov_b32_e32 v12, 0x7e00
	s_xor_b64 exec, exec, s[12:13]
	s_cbranch_execz .LBB409_1439
.LBB409_1457:
	v_cmp_ne_u16_e32 vcc, 0, v5
	s_andn2_b64 s[10:11], s[10:11], exec
	s_and_b64 s[14:15], vcc, exec
	s_or_b64 s[10:11], s[10:11], s[14:15]
	v_mov_b32_e32 v12, v5
	s_or_b64 exec, exec, s[12:13]
	s_and_saveexec_b64 s[12:13], s[10:11]
	s_cbranch_execnz .LBB409_1440
	s_branch .LBB409_1441
.LBB409_1458:
	s_mov_b64 s[8:9], -1
                                        ; implicit-def: $vgpr12
	s_branch .LBB409_1463
.LBB409_1459:
	s_mov_b64 s[8:9], -1
                                        ; implicit-def: $vgpr12
.LBB409_1460:
	s_and_b64 vcc, exec, s[8:9]
	s_cbranch_vccz .LBB409_1462
; %bb.1461:
	global_load_ubyte v5, v[10:11], off
	s_mov_b32 s8, 0x7f800000
	s_waitcnt vmcnt(0)
	v_lshlrev_b32_e32 v5, 24, v5
	v_and_b32_e32 v7, 0x7f000000, v5
	v_ffbh_u32_e32 v9, v7
	v_min_u32_e32 v9, 32, v9
	v_sub_u32_e64 v9, v9, 4 clamp
	v_lshlrev_b32_e32 v13, v9, v7
	v_lshlrev_b32_e32 v9, 23, v9
	v_lshrrev_b32_e32 v13, 4, v13
	v_add_u32_e32 v12, 0x1000000, v7
	v_sub_u32_e32 v9, v13, v9
	v_ashrrev_i32_e32 v12, 8, v12
	v_add_u32_e32 v9, 0x3c000000, v9
	v_and_or_b32 v9, v12, s8, v9
	v_cmp_ne_u32_e32 vcc, 0, v7
	s_brev_b32 s8, 1
	s_nop 0
	v_cndmask_b32_e32 v7, 0, v9, vcc
	v_and_or_b32 v5, v5, s8, v7
	v_cvt_f16_f32_e32 v12, v5
.LBB409_1462:
	s_mov_b64 s[8:9], 0
.LBB409_1463:
	s_andn2_b64 vcc, exec, s[8:9]
	s_cbranch_vccnz .LBB409_1465
; %bb.1464:
	global_load_ubyte v5, v[10:11], off
	s_movk_i32 s8, 0x7f00
	s_brev_b32 s9, 16
	s_waitcnt vmcnt(0)
	v_lshlrev_b16_e32 v7, 8, v5
	v_lshlrev_b32_e32 v5, 25, v5
	v_lshrrev_b32_e32 v9, 4, v5
	v_and_or_b32 v12, v7, s8, 0.5
	v_or_b32_e32 v9, 0x70000000, v9
	v_add_f32_e32 v12, -0.5, v12
	v_mul_f32_e32 v9, 0x7800000, v9
	v_cmp_gt_u32_e32 vcc, s9, v5
	v_bfe_i32 v7, v7, 0, 16
	s_brev_b32 s8, 1
	v_cndmask_b32_e32 v5, v9, v12, vcc
	v_and_or_b32 v5, v7, s8, v5
	v_cvt_f16_f32_e32 v12, v5
.LBB409_1465:
	s_mov_b64 s[8:9], 0
	s_mov_b64 s[10:11], -1
.LBB409_1466:
	s_andn2_b64 vcc, exec, s[8:9]
	s_mov_b64 s[8:9], 0
	s_cbranch_vccnz .LBB409_1477
; %bb.1467:
	s_cmp_gt_i32 s17, 14
	s_cbranch_scc0 .LBB409_1470
; %bb.1468:
	s_cmp_eq_u32 s17, 15
	s_cbranch_scc0 .LBB409_1473
; %bb.1469:
	global_load_ushort v5, v[10:11], off
	s_mov_b64 s[0:1], 0
	s_mov_b64 s[10:11], -1
	s_waitcnt vmcnt(0)
	v_lshlrev_b32_e32 v5, 16, v5
	v_cvt_f16_f32_e32 v12, v5
	s_branch .LBB409_1474
.LBB409_1470:
	s_mov_b64 s[12:13], -1
                                        ; implicit-def: $vgpr12
	s_branch .LBB409_1475
.LBB409_1471:
	s_or_saveexec_b64 s[10:11], s[10:11]
	v_mov_b32_e32 v12, 0x7e00
	s_xor_b64 exec, exec, s[10:11]
	s_cbranch_execz .LBB409_1452
.LBB409_1472:
	v_cmp_ne_u16_e32 vcc, 0, v5
	s_andn2_b64 s[8:9], s[8:9], exec
	s_and_b64 s[12:13], vcc, exec
	s_or_b64 s[8:9], s[8:9], s[12:13]
	v_mov_b32_e32 v12, v5
	s_or_b64 exec, exec, s[10:11]
	s_and_saveexec_b64 s[10:11], s[8:9]
	s_cbranch_execnz .LBB409_1453
	s_branch .LBB409_1454
.LBB409_1473:
	s_mov_b64 s[0:1], -1
                                        ; implicit-def: $vgpr12
.LBB409_1474:
	s_mov_b64 s[12:13], 0
.LBB409_1475:
	s_and_b64 vcc, exec, s[12:13]
	s_cbranch_vccz .LBB409_1477
; %bb.1476:
	s_cmp_lg_u32 s17, 11
	s_mov_b64 s[8:9], -1
	s_cselect_b64 s[0:1], -1, 0
.LBB409_1477:
	s_and_b64 vcc, exec, s[0:1]
	s_cbranch_vccnz .LBB409_1540
; %bb.1478:
	s_andn2_b64 vcc, exec, s[8:9]
	s_cbranch_vccnz .LBB409_1480
.LBB409_1479:
	global_load_ubyte v5, v[10:11], off
	v_mov_b32_e32 v7, 0x3c00
	s_mov_b64 s[10:11], -1
	s_waitcnt vmcnt(0)
	v_cmp_ne_u16_e32 vcc, 0, v5
	s_nop 1
	v_cndmask_b32_e32 v12, 0, v7, vcc
.LBB409_1480:
	s_branch .LBB409_1408
.LBB409_1481:
	s_cmp_lt_i32 s17, 5
	s_cbranch_scc1 .LBB409_1486
; %bb.1482:
	s_cmp_lt_i32 s17, 8
	s_cbranch_scc1 .LBB409_1487
; %bb.1483:
	;; [unrolled: 3-line block ×3, first 2 shown]
	s_cmp_gt_i32 s17, 9
	s_cbranch_scc0 .LBB409_1489
; %bb.1485:
	global_load_dwordx2 v[12:13], v[10:11], off
	s_movk_i32 s0, 0x1ff
	s_movk_i32 s1, 0xffe
	v_mov_b32_e32 v5, 0x7c00
	v_mov_b32_e32 v7, 0x7e00
	s_movk_i32 s8, 0x40f
	s_mov_b32 s9, 0x8000
	s_waitcnt vmcnt(0)
	v_and_or_b32 v9, v13, s0, v12
	v_cmp_ne_u32_e32 vcc, 0, v9
	v_lshrrev_b32_e32 v12, 8, v13
	v_bfe_u32 v14, v13, 20, 11
	v_cndmask_b32_e64 v9, 0, 1, vcc
	v_sub_u32_e32 v15, 0x3f1, v14
	v_and_or_b32 v9, v12, s1, v9
	v_add_u32_e32 v14, 0xfffffc10, v14
	v_med3_i32 v12, v15, 0, 13
	v_or_b32_e32 v15, 0x1000, v9
	v_lshl_or_b32 v16, v14, 12, v9
	v_cmp_ne_u32_e32 vcc, 0, v9
	v_lshrrev_b32_e32 v9, v12, v15
	v_lshlrev_b32_e32 v12, v12, v9
	v_cndmask_b32_e32 v7, v5, v7, vcc
	v_cmp_ne_u32_e32 vcc, v12, v15
	v_lshrrev_b32_e32 v13, 16, v13
	s_mov_b64 s[0:1], 0
	v_cndmask_b32_e64 v12, 0, 1, vcc
	v_or_b32_e32 v9, v9, v12
	v_cmp_gt_i32_e32 vcc, 1, v14
	s_nop 1
	v_cndmask_b32_e32 v9, v16, v9, vcc
	v_and_b32_e32 v12, 7, v9
	v_cmp_lt_i32_e32 vcc, 5, v12
	v_lshrrev_b32_e32 v9, 2, v9
	s_nop 0
	v_cndmask_b32_e64 v15, 0, 1, vcc
	v_cmp_eq_u32_e32 vcc, 3, v12
	s_nop 1
	v_cndmask_b32_e64 v12, 0, 1, vcc
	v_or_b32_e32 v12, v12, v15
	v_add_u32_e32 v9, v9, v12
	v_cmp_gt_i32_e32 vcc, 31, v14
	s_nop 1
	v_cndmask_b32_e32 v5, v5, v9, vcc
	v_cmp_eq_u32_e32 vcc, s8, v14
	s_nop 1
	v_cndmask_b32_e32 v5, v5, v7, vcc
	v_and_or_b32 v12, v13, s9, v5
	s_branch .LBB409_1490
.LBB409_1486:
	s_mov_b64 s[0:1], -1
                                        ; implicit-def: $vgpr12
	s_branch .LBB409_1508
.LBB409_1487:
	s_mov_b64 s[0:1], -1
                                        ; implicit-def: $vgpr12
	s_branch .LBB409_1496
.LBB409_1488:
	s_mov_b64 s[0:1], -1
                                        ; implicit-def: $vgpr12
	s_branch .LBB409_1493
.LBB409_1489:
	s_mov_b64 s[0:1], -1
                                        ; implicit-def: $vgpr12
.LBB409_1490:
	s_andn2_b64 vcc, exec, s[0:1]
	s_cbranch_vccnz .LBB409_1492
; %bb.1491:
	global_load_dword v5, v[10:11], off
	s_waitcnt vmcnt(0)
	v_cvt_f16_f32_e32 v12, v5
.LBB409_1492:
	s_mov_b64 s[0:1], 0
.LBB409_1493:
	s_andn2_b64 vcc, exec, s[0:1]
	s_cbranch_vccnz .LBB409_1495
; %bb.1494:
	global_load_dword v12, v[10:11], off
.LBB409_1495:
	s_mov_b64 s[0:1], 0
.LBB409_1496:
	s_andn2_b64 vcc, exec, s[0:1]
	s_cbranch_vccnz .LBB409_1507
; %bb.1497:
	s_cmp_lt_i32 s17, 6
	s_cbranch_scc1 .LBB409_1500
; %bb.1498:
	s_cmp_gt_i32 s17, 6
	s_cbranch_scc0 .LBB409_1501
; %bb.1499:
	global_load_dwordx2 v[12:13], v[10:11], off
	s_movk_i32 s0, 0x1ff
	s_movk_i32 s1, 0xffe
	v_mov_b32_e32 v5, 0x7c00
	v_mov_b32_e32 v7, 0x7e00
	s_movk_i32 s8, 0x40f
	s_mov_b32 s9, 0x8000
	s_waitcnt vmcnt(0)
	v_and_or_b32 v9, v13, s0, v12
	v_cmp_ne_u32_e32 vcc, 0, v9
	v_lshrrev_b32_e32 v12, 8, v13
	v_bfe_u32 v14, v13, 20, 11
	v_cndmask_b32_e64 v9, 0, 1, vcc
	v_sub_u32_e32 v15, 0x3f1, v14
	v_and_or_b32 v9, v12, s1, v9
	v_add_u32_e32 v14, 0xfffffc10, v14
	v_med3_i32 v12, v15, 0, 13
	v_or_b32_e32 v15, 0x1000, v9
	v_lshl_or_b32 v16, v14, 12, v9
	v_cmp_ne_u32_e32 vcc, 0, v9
	v_lshrrev_b32_e32 v9, v12, v15
	v_lshlrev_b32_e32 v12, v12, v9
	v_cndmask_b32_e32 v7, v5, v7, vcc
	v_cmp_ne_u32_e32 vcc, v12, v15
	v_lshrrev_b32_e32 v13, 16, v13
	s_mov_b64 s[0:1], 0
	v_cndmask_b32_e64 v12, 0, 1, vcc
	v_or_b32_e32 v9, v9, v12
	v_cmp_gt_i32_e32 vcc, 1, v14
	s_nop 1
	v_cndmask_b32_e32 v9, v16, v9, vcc
	v_and_b32_e32 v12, 7, v9
	v_cmp_lt_i32_e32 vcc, 5, v12
	v_lshrrev_b32_e32 v9, 2, v9
	s_nop 0
	v_cndmask_b32_e64 v15, 0, 1, vcc
	v_cmp_eq_u32_e32 vcc, 3, v12
	s_nop 1
	v_cndmask_b32_e64 v12, 0, 1, vcc
	v_or_b32_e32 v12, v12, v15
	v_add_u32_e32 v9, v9, v12
	v_cmp_gt_i32_e32 vcc, 31, v14
	s_nop 1
	v_cndmask_b32_e32 v5, v5, v9, vcc
	v_cmp_eq_u32_e32 vcc, s8, v14
	s_nop 1
	v_cndmask_b32_e32 v5, v5, v7, vcc
	v_and_or_b32 v12, v13, s9, v5
	s_branch .LBB409_1502
.LBB409_1500:
	s_mov_b64 s[0:1], -1
                                        ; implicit-def: $vgpr12
	s_branch .LBB409_1505
.LBB409_1501:
	s_mov_b64 s[0:1], -1
                                        ; implicit-def: $vgpr12
.LBB409_1502:
	s_andn2_b64 vcc, exec, s[0:1]
	s_cbranch_vccnz .LBB409_1504
; %bb.1503:
	global_load_dword v5, v[10:11], off
	s_waitcnt vmcnt(0)
	v_cvt_f16_f32_e32 v12, v5
.LBB409_1504:
	s_mov_b64 s[0:1], 0
.LBB409_1505:
	s_andn2_b64 vcc, exec, s[0:1]
	s_cbranch_vccnz .LBB409_1507
; %bb.1506:
	global_load_ushort v12, v[10:11], off
.LBB409_1507:
	s_mov_b64 s[0:1], 0
.LBB409_1508:
	s_andn2_b64 vcc, exec, s[0:1]
	s_cbranch_vccnz .LBB409_1528
; %bb.1509:
	s_cmp_lt_i32 s17, 2
	s_cbranch_scc1 .LBB409_1513
; %bb.1510:
	s_cmp_lt_i32 s17, 3
	s_cbranch_scc1 .LBB409_1514
; %bb.1511:
	s_cmp_gt_i32 s17, 3
	s_cbranch_scc0 .LBB409_1515
; %bb.1512:
	global_load_dwordx2 v[12:13], v[10:11], off
	s_mov_b64 s[0:1], 0
	s_waitcnt vmcnt(0)
	v_xor_b32_e32 v7, v12, v13
	v_ffbh_i32_e32 v5, v13
	v_ashrrev_i32_e32 v7, 31, v7
	v_add_u32_e32 v5, -1, v5
	v_add_u32_e32 v7, 32, v7
	v_min_u32_e32 v5, v5, v7
	v_lshlrev_b64 v[12:13], v5, v[12:13]
	v_min_u32_e32 v7, 1, v12
	v_or_b32_e32 v7, v13, v7
	v_cvt_f32_i32_e32 v7, v7
	v_sub_u32_e32 v5, 32, v5
	v_ldexp_f32 v5, v7, v5
	v_cvt_f16_f32_e32 v12, v5
	s_branch .LBB409_1516
.LBB409_1513:
	s_mov_b64 s[0:1], -1
                                        ; implicit-def: $vgpr12
	s_branch .LBB409_1522
.LBB409_1514:
	s_mov_b64 s[0:1], -1
                                        ; implicit-def: $vgpr12
	s_branch .LBB409_1519
.LBB409_1515:
	s_mov_b64 s[0:1], -1
                                        ; implicit-def: $vgpr12
.LBB409_1516:
	s_andn2_b64 vcc, exec, s[0:1]
	s_cbranch_vccnz .LBB409_1518
; %bb.1517:
	global_load_dword v5, v[10:11], off
	s_waitcnt vmcnt(0)
	v_cvt_f32_i32_e32 v5, v5
	v_cvt_f16_f32_e32 v12, v5
.LBB409_1518:
	s_mov_b64 s[0:1], 0
.LBB409_1519:
	s_andn2_b64 vcc, exec, s[0:1]
	s_cbranch_vccnz .LBB409_1521
; %bb.1520:
	global_load_ushort v5, v[10:11], off
	s_waitcnt vmcnt(0)
	v_cvt_f16_i16_e32 v12, v5
.LBB409_1521:
	s_mov_b64 s[0:1], 0
.LBB409_1522:
	s_andn2_b64 vcc, exec, s[0:1]
	s_cbranch_vccnz .LBB409_1528
; %bb.1523:
	s_cmp_gt_i32 s17, 0
	s_cbranch_scc0 .LBB409_1525
; %bb.1524:
	global_load_sbyte v5, v[10:11], off
	s_mov_b64 s[0:1], 0
	s_waitcnt vmcnt(0)
	v_cvt_f16_i16_e32 v12, v5
	s_branch .LBB409_1526
.LBB409_1525:
	s_mov_b64 s[0:1], -1
                                        ; implicit-def: $vgpr12
.LBB409_1526:
	s_andn2_b64 vcc, exec, s[0:1]
	s_cbranch_vccnz .LBB409_1528
; %bb.1527:
	global_load_ubyte v5, v[10:11], off
	s_waitcnt vmcnt(0)
	v_cvt_f16_u16_e32 v12, v5
.LBB409_1528:
.LBB409_1529:
	v_mov_b32_e32 v9, 0
	s_cmp_lt_i32 s17, 11
	v_lshl_add_u64 v[8:9], s[6:7], 0, v[8:9]
	s_cbranch_scc1 .LBB409_1536
; %bb.1530:
	s_cmp_gt_i32 s17, 25
	s_mov_b64 s[6:7], 0
	s_cbranch_scc0 .LBB409_1537
; %bb.1531:
	s_cmp_gt_i32 s17, 28
	s_cbranch_scc0 .LBB409_1538
; %bb.1532:
	s_cmp_gt_i32 s17, 43
	;; [unrolled: 3-line block ×3, first 2 shown]
	s_cbranch_scc0 .LBB409_1541
; %bb.1534:
	s_cmp_eq_u32 s17, 46
	s_mov_b64 s[10:11], 0
	s_cbranch_scc0 .LBB409_1542
; %bb.1535:
	global_load_dword v5, v[8:9], off
	s_mov_b64 s[0:1], 0
	s_mov_b64 s[8:9], -1
	s_waitcnt vmcnt(0)
	v_lshlrev_b32_e32 v5, 16, v5
	v_cvt_f16_f32_e32 v10, v5
	s_branch .LBB409_1543
.LBB409_1536:
	s_mov_b64 s[0:1], -1
	s_mov_b64 s[8:9], 0
                                        ; implicit-def: $vgpr10
	s_branch .LBB409_1609
.LBB409_1537:
	s_mov_b64 s[10:11], -1
	s_mov_b64 s[8:9], 0
	s_mov_b64 s[0:1], 0
                                        ; implicit-def: $vgpr10
	s_branch .LBB409_1572
.LBB409_1538:
	s_mov_b64 s[10:11], -1
	s_mov_b64 s[8:9], 0
	s_mov_b64 s[0:1], 0
                                        ; implicit-def: $vgpr10
	s_branch .LBB409_1553
.LBB409_1539:
	s_mov_b64 s[10:11], -1
	s_mov_b64 s[8:9], 0
	s_mov_b64 s[0:1], 0
                                        ; implicit-def: $vgpr10
	s_branch .LBB409_1548
.LBB409_1540:
	s_trap 2
	s_or_b64 s[2:3], s[2:3], exec
	s_cbranch_execz .LBB409_1479
	s_branch .LBB409_1480
.LBB409_1541:
	s_mov_b64 s[10:11], -1
	s_mov_b64 s[8:9], 0
	s_mov_b64 s[0:1], 0
                                        ; implicit-def: $vgpr10
	s_branch .LBB409_1543
.LBB409_1542:
	s_mov_b64 s[0:1], -1
                                        ; implicit-def: $vgpr10
	s_mov_b64 s[8:9], 0
.LBB409_1543:
	s_and_b64 vcc, exec, s[10:11]
	s_cbranch_vccz .LBB409_1547
; %bb.1544:
	s_cmp_eq_u32 s17, 44
	s_cbranch_scc0 .LBB409_1546
; %bb.1545:
	global_load_ubyte v5, v[8:9], off
	s_movk_i32 s8, 0xff
	v_mov_b32_e32 v10, 0x7e00
	s_mov_b64 s[0:1], 0
	s_waitcnt vmcnt(0)
	v_lshlrev_b32_e32 v7, 23, v5
	v_cvt_f16_f32_e32 v7, v7
	v_cmp_ne_u32_e32 vcc, s8, v5
	s_mov_b64 s[8:9], -1
	s_nop 0
	v_cndmask_b32_e32 v7, v10, v7, vcc
	v_cmp_ne_u32_e32 vcc, 0, v5
	s_nop 1
	v_cndmask_b32_e32 v10, 0, v7, vcc
	s_branch .LBB409_1547
.LBB409_1546:
	s_mov_b64 s[0:1], -1
                                        ; implicit-def: $vgpr10
.LBB409_1547:
	s_mov_b64 s[10:11], 0
.LBB409_1548:
	s_and_b64 vcc, exec, s[10:11]
	s_cbranch_vccz .LBB409_1552
; %bb.1549:
	s_cmp_eq_u32 s17, 29
	s_cbranch_scc0 .LBB409_1551
; %bb.1550:
	global_load_dwordx2 v[10:11], v[8:9], off
	s_mov_b64 s[0:1], 0
	s_mov_b64 s[8:9], -1
	s_mov_b64 s[10:11], 0
	s_waitcnt vmcnt(0)
	v_ffbh_u32_e32 v5, v11
	v_min_u32_e32 v5, 32, v5
	v_lshlrev_b64 v[10:11], v5, v[10:11]
	v_min_u32_e32 v7, 1, v10
	v_or_b32_e32 v7, v11, v7
	v_cvt_f32_u32_e32 v7, v7
	v_sub_u32_e32 v5, 32, v5
	v_ldexp_f32 v5, v7, v5
	v_cvt_f16_f32_e32 v10, v5
	s_branch .LBB409_1553
.LBB409_1551:
	s_mov_b64 s[0:1], -1
                                        ; implicit-def: $vgpr10
.LBB409_1552:
	s_mov_b64 s[10:11], 0
.LBB409_1553:
	s_and_b64 vcc, exec, s[10:11]
	s_cbranch_vccz .LBB409_1571
; %bb.1554:
	s_cmp_lt_i32 s17, 27
	s_cbranch_scc1 .LBB409_1557
; %bb.1555:
	s_cmp_gt_i32 s17, 27
	s_cbranch_scc0 .LBB409_1558
; %bb.1556:
	global_load_dword v5, v[8:9], off
	s_mov_b64 s[8:9], 0
	s_waitcnt vmcnt(0)
	v_cvt_f32_u32_e32 v5, v5
	v_cvt_f16_f32_e32 v10, v5
	s_branch .LBB409_1559
.LBB409_1557:
	s_mov_b64 s[8:9], -1
                                        ; implicit-def: $vgpr10
	s_branch .LBB409_1562
.LBB409_1558:
	s_mov_b64 s[8:9], -1
                                        ; implicit-def: $vgpr10
.LBB409_1559:
	s_andn2_b64 vcc, exec, s[8:9]
	s_cbranch_vccnz .LBB409_1561
; %bb.1560:
	global_load_ushort v5, v[8:9], off
	s_waitcnt vmcnt(0)
	v_cvt_f16_u16_e32 v10, v5
.LBB409_1561:
	s_mov_b64 s[8:9], 0
.LBB409_1562:
	s_andn2_b64 vcc, exec, s[8:9]
	s_cbranch_vccnz .LBB409_1570
; %bb.1563:
	global_load_ubyte v5, v[8:9], off
	s_movk_i32 s8, 0x7f
	s_waitcnt vmcnt(0)
	v_cmp_lt_i16_e32 vcc, s8, v5
	s_mov_b64 s[8:9], 0
	s_and_saveexec_b64 s[10:11], vcc
	s_xor_b64 s[10:11], exec, s[10:11]
	s_cbranch_execz .LBB409_1584
; %bb.1564:
	s_movk_i32 s8, 0x80
	v_cmp_eq_u16_e32 vcc, s8, v5
	s_mov_b64 s[8:9], -1
	s_and_saveexec_b64 s[12:13], vcc
; %bb.1565:
	s_xor_b64 s[8:9], exec, -1
; %bb.1566:
	s_or_b64 exec, exec, s[12:13]
	s_and_b64 s[8:9], s[8:9], exec
	s_or_saveexec_b64 s[10:11], s[10:11]
	v_mov_b32_e32 v10, 0x7e00
	s_xor_b64 exec, exec, s[10:11]
	s_cbranch_execnz .LBB409_1585
.LBB409_1567:
	s_or_b64 exec, exec, s[10:11]
	s_and_saveexec_b64 s[10:11], s[8:9]
	s_cbranch_execz .LBB409_1569
.LBB409_1568:
	v_lshlrev_b32_e32 v7, 24, v5
	v_and_b32_e32 v5, 0xffff, v5
	v_and_b32_e32 v10, 7, v5
	v_ffbh_u32_e32 v13, v10
	v_min_u32_e32 v13, 32, v13
	v_subrev_u32_e32 v14, 28, v13
	v_bfe_u32 v11, v5, 3, 4
	v_lshlrev_b32_e32 v5, v14, v5
	v_sub_u32_e32 v13, 29, v13
	v_and_b32_e32 v5, 7, v5
	v_cmp_eq_u32_e32 vcc, 0, v11
	v_and_b32_e32 v7, 0x80000000, v7
	s_nop 0
	v_cndmask_b32_e32 v11, v11, v13, vcc
	v_cndmask_b32_e32 v5, v10, v5, vcc
	v_mov_b32_e32 v10, 0x3b800000
	v_lshlrev_b32_e32 v5, 20, v5
	v_lshl_add_u32 v10, v11, 23, v10
	v_or3_b32 v5, v7, v10, v5
	v_cvt_f16_f32_e32 v10, v5
.LBB409_1569:
	s_or_b64 exec, exec, s[10:11]
.LBB409_1570:
	s_mov_b64 s[8:9], -1
.LBB409_1571:
	s_mov_b64 s[10:11], 0
.LBB409_1572:
	s_and_b64 vcc, exec, s[10:11]
	s_cbranch_vccz .LBB409_1605
; %bb.1573:
	s_cmp_gt_i32 s17, 22
	s_cbranch_scc0 .LBB409_1583
; %bb.1574:
	s_cmp_lt_i32 s17, 24
	s_cbranch_scc1 .LBB409_1586
; %bb.1575:
	s_cmp_gt_i32 s17, 24
	s_cbranch_scc0 .LBB409_1587
; %bb.1576:
	global_load_ubyte v5, v[8:9], off
	s_movk_i32 s6, 0x7f
	s_waitcnt vmcnt(0)
	v_cmp_lt_i16_e32 vcc, s6, v5
	s_mov_b64 s[6:7], 0
	s_and_saveexec_b64 s[8:9], vcc
	s_xor_b64 s[8:9], exec, s[8:9]
	s_cbranch_execz .LBB409_1599
; %bb.1577:
	s_movk_i32 s6, 0x80
	v_cmp_eq_u16_e32 vcc, s6, v5
	s_mov_b64 s[6:7], -1
	s_and_saveexec_b64 s[10:11], vcc
; %bb.1578:
	s_xor_b64 s[6:7], exec, -1
; %bb.1579:
	s_or_b64 exec, exec, s[10:11]
	s_and_b64 s[6:7], s[6:7], exec
	s_or_saveexec_b64 s[8:9], s[8:9]
	v_mov_b32_e32 v10, 0x7e00
	s_xor_b64 exec, exec, s[8:9]
	s_cbranch_execnz .LBB409_1600
.LBB409_1580:
	s_or_b64 exec, exec, s[8:9]
	s_and_saveexec_b64 s[8:9], s[6:7]
	s_cbranch_execz .LBB409_1582
.LBB409_1581:
	v_lshlrev_b32_e32 v7, 24, v5
	v_and_b32_e32 v5, 0xffff, v5
	v_and_b32_e32 v10, 3, v5
	v_ffbh_u32_e32 v13, v10
	v_min_u32_e32 v13, 32, v13
	v_subrev_u32_e32 v14, 29, v13
	v_bfe_u32 v11, v5, 2, 5
	v_lshlrev_b32_e32 v5, v14, v5
	v_sub_u32_e32 v13, 30, v13
	v_and_b32_e32 v5, 3, v5
	v_cmp_eq_u32_e32 vcc, 0, v11
	v_and_b32_e32 v7, 0x80000000, v7
	s_nop 0
	v_cndmask_b32_e32 v11, v11, v13, vcc
	v_cndmask_b32_e32 v5, v10, v5, vcc
	v_mov_b32_e32 v10, 0x37800000
	v_lshlrev_b32_e32 v5, 21, v5
	v_lshl_add_u32 v10, v11, 23, v10
	v_or3_b32 v5, v7, v10, v5
	v_cvt_f16_f32_e32 v10, v5
.LBB409_1582:
	s_or_b64 exec, exec, s[8:9]
	s_mov_b64 s[6:7], 0
	s_branch .LBB409_1588
.LBB409_1583:
	s_mov_b64 s[6:7], -1
                                        ; implicit-def: $vgpr10
	s_branch .LBB409_1594
.LBB409_1584:
	s_or_saveexec_b64 s[10:11], s[10:11]
	v_mov_b32_e32 v10, 0x7e00
	s_xor_b64 exec, exec, s[10:11]
	s_cbranch_execz .LBB409_1567
.LBB409_1585:
	v_cmp_ne_u16_e32 vcc, 0, v5
	s_andn2_b64 s[8:9], s[8:9], exec
	s_and_b64 s[12:13], vcc, exec
	s_or_b64 s[8:9], s[8:9], s[12:13]
	v_mov_b32_e32 v10, v5
	s_or_b64 exec, exec, s[10:11]
	s_and_saveexec_b64 s[10:11], s[8:9]
	s_cbranch_execnz .LBB409_1568
	s_branch .LBB409_1569
.LBB409_1586:
	s_mov_b64 s[6:7], -1
                                        ; implicit-def: $vgpr10
	s_branch .LBB409_1591
.LBB409_1587:
	s_mov_b64 s[6:7], -1
                                        ; implicit-def: $vgpr10
.LBB409_1588:
	s_and_b64 vcc, exec, s[6:7]
	s_cbranch_vccz .LBB409_1590
; %bb.1589:
	global_load_ubyte v5, v[8:9], off
	s_mov_b32 s6, 0x7f800000
	s_waitcnt vmcnt(0)
	v_lshlrev_b32_e32 v5, 24, v5
	v_and_b32_e32 v7, 0x7f000000, v5
	v_ffbh_u32_e32 v10, v7
	v_min_u32_e32 v10, 32, v10
	v_sub_u32_e64 v10, v10, 4 clamp
	v_lshlrev_b32_e32 v13, v10, v7
	v_lshlrev_b32_e32 v10, 23, v10
	v_lshrrev_b32_e32 v13, 4, v13
	v_add_u32_e32 v11, 0x1000000, v7
	v_sub_u32_e32 v10, v13, v10
	v_ashrrev_i32_e32 v11, 8, v11
	v_add_u32_e32 v10, 0x3c000000, v10
	v_and_or_b32 v10, v11, s6, v10
	v_cmp_ne_u32_e32 vcc, 0, v7
	s_brev_b32 s6, 1
	s_nop 0
	v_cndmask_b32_e32 v7, 0, v10, vcc
	v_and_or_b32 v5, v5, s6, v7
	v_cvt_f16_f32_e32 v10, v5
.LBB409_1590:
	s_mov_b64 s[6:7], 0
.LBB409_1591:
	s_andn2_b64 vcc, exec, s[6:7]
	s_cbranch_vccnz .LBB409_1593
; %bb.1592:
	global_load_ubyte v5, v[8:9], off
	s_movk_i32 s6, 0x7f00
	s_brev_b32 s7, 16
	s_waitcnt vmcnt(0)
	v_lshlrev_b16_e32 v7, 8, v5
	v_lshlrev_b32_e32 v5, 25, v5
	v_lshrrev_b32_e32 v10, 4, v5
	v_and_or_b32 v11, v7, s6, 0.5
	v_or_b32_e32 v10, 0x70000000, v10
	v_add_f32_e32 v11, -0.5, v11
	v_mul_f32_e32 v10, 0x7800000, v10
	v_cmp_gt_u32_e32 vcc, s7, v5
	v_bfe_i32 v7, v7, 0, 16
	s_brev_b32 s6, 1
	v_cndmask_b32_e32 v5, v10, v11, vcc
	v_and_or_b32 v5, v7, s6, v5
	v_cvt_f16_f32_e32 v10, v5
.LBB409_1593:
	s_mov_b64 s[6:7], 0
	s_mov_b64 s[8:9], -1
.LBB409_1594:
	s_andn2_b64 vcc, exec, s[6:7]
	s_mov_b64 s[6:7], 0
	s_cbranch_vccnz .LBB409_1605
; %bb.1595:
	s_cmp_gt_i32 s17, 14
	s_cbranch_scc0 .LBB409_1598
; %bb.1596:
	s_cmp_eq_u32 s17, 15
	s_cbranch_scc0 .LBB409_1601
; %bb.1597:
	global_load_ushort v5, v[8:9], off
	s_mov_b64 s[0:1], 0
	s_mov_b64 s[8:9], -1
	s_waitcnt vmcnt(0)
	v_lshlrev_b32_e32 v5, 16, v5
	v_cvt_f16_f32_e32 v10, v5
	s_branch .LBB409_1602
.LBB409_1598:
	s_mov_b64 s[10:11], -1
                                        ; implicit-def: $vgpr10
	s_branch .LBB409_1603
.LBB409_1599:
	s_or_saveexec_b64 s[8:9], s[8:9]
	v_mov_b32_e32 v10, 0x7e00
	s_xor_b64 exec, exec, s[8:9]
	s_cbranch_execz .LBB409_1580
.LBB409_1600:
	v_cmp_ne_u16_e32 vcc, 0, v5
	s_andn2_b64 s[6:7], s[6:7], exec
	s_and_b64 s[10:11], vcc, exec
	s_or_b64 s[6:7], s[6:7], s[10:11]
	v_mov_b32_e32 v10, v5
	s_or_b64 exec, exec, s[8:9]
	s_and_saveexec_b64 s[8:9], s[6:7]
	s_cbranch_execnz .LBB409_1581
	s_branch .LBB409_1582
.LBB409_1601:
	s_mov_b64 s[0:1], -1
                                        ; implicit-def: $vgpr10
.LBB409_1602:
	s_mov_b64 s[10:11], 0
.LBB409_1603:
	s_and_b64 vcc, exec, s[10:11]
	s_cbranch_vccz .LBB409_1605
; %bb.1604:
	s_cmp_lg_u32 s17, 11
	s_mov_b64 s[6:7], -1
	s_cselect_b64 s[0:1], -1, 0
.LBB409_1605:
	s_and_b64 vcc, exec, s[0:1]
	s_cbranch_vccnz .LBB409_2138
; %bb.1606:
	s_andn2_b64 vcc, exec, s[6:7]
	s_cbranch_vccnz .LBB409_1608
.LBB409_1607:
	global_load_ubyte v5, v[8:9], off
	v_mov_b32_e32 v7, 0x3c00
	s_mov_b64 s[8:9], -1
	s_waitcnt vmcnt(0)
	v_cmp_ne_u16_e32 vcc, 0, v5
	s_nop 1
	v_cndmask_b32_e32 v10, 0, v7, vcc
.LBB409_1608:
	s_mov_b64 s[0:1], 0
.LBB409_1609:
	s_and_b64 vcc, exec, s[0:1]
	s_cbranch_vccz .LBB409_1658
; %bb.1610:
	s_cmp_lt_i32 s17, 5
	s_cbranch_scc1 .LBB409_1615
; %bb.1611:
	s_cmp_lt_i32 s17, 8
	s_cbranch_scc1 .LBB409_1616
	;; [unrolled: 3-line block ×3, first 2 shown]
; %bb.1613:
	s_cmp_gt_i32 s17, 9
	s_cbranch_scc0 .LBB409_1618
; %bb.1614:
	global_load_dwordx2 v[10:11], v[8:9], off
	s_movk_i32 s0, 0x1ff
	s_movk_i32 s1, 0xffe
	v_mov_b32_e32 v5, 0x7c00
	v_mov_b32_e32 v7, 0x7e00
	s_movk_i32 s6, 0x40f
	s_mov_b32 s7, 0x8000
	s_waitcnt vmcnt(0)
	v_and_or_b32 v10, v11, s0, v10
	v_cmp_ne_u32_e32 vcc, 0, v10
	v_lshrrev_b32_e32 v13, 8, v11
	v_bfe_u32 v14, v11, 20, 11
	v_cndmask_b32_e64 v10, 0, 1, vcc
	v_sub_u32_e32 v15, 0x3f1, v14
	v_and_or_b32 v10, v13, s1, v10
	v_add_u32_e32 v14, 0xfffffc10, v14
	v_med3_i32 v13, v15, 0, 13
	v_or_b32_e32 v15, 0x1000, v10
	v_lshl_or_b32 v16, v14, 12, v10
	v_cmp_ne_u32_e32 vcc, 0, v10
	v_lshrrev_b32_e32 v10, v13, v15
	v_lshlrev_b32_e32 v13, v13, v10
	v_cndmask_b32_e32 v7, v5, v7, vcc
	v_cmp_ne_u32_e32 vcc, v13, v15
	v_lshrrev_b32_e32 v11, 16, v11
	s_mov_b64 s[0:1], 0
	v_cndmask_b32_e64 v13, 0, 1, vcc
	v_or_b32_e32 v10, v10, v13
	v_cmp_gt_i32_e32 vcc, 1, v14
	s_nop 1
	v_cndmask_b32_e32 v10, v16, v10, vcc
	v_and_b32_e32 v13, 7, v10
	v_cmp_lt_i32_e32 vcc, 5, v13
	v_lshrrev_b32_e32 v10, 2, v10
	s_nop 0
	v_cndmask_b32_e64 v15, 0, 1, vcc
	v_cmp_eq_u32_e32 vcc, 3, v13
	s_nop 1
	v_cndmask_b32_e64 v13, 0, 1, vcc
	v_or_b32_e32 v13, v13, v15
	v_add_u32_e32 v10, v10, v13
	v_cmp_gt_i32_e32 vcc, 31, v14
	s_nop 1
	v_cndmask_b32_e32 v5, v5, v10, vcc
	v_cmp_eq_u32_e32 vcc, s6, v14
	s_nop 1
	v_cndmask_b32_e32 v5, v5, v7, vcc
	v_and_or_b32 v10, v11, s7, v5
	s_branch .LBB409_1619
.LBB409_1615:
	s_mov_b64 s[0:1], -1
                                        ; implicit-def: $vgpr10
	s_branch .LBB409_1637
.LBB409_1616:
	s_mov_b64 s[0:1], -1
                                        ; implicit-def: $vgpr10
	s_branch .LBB409_1625
.LBB409_1617:
	s_mov_b64 s[0:1], -1
                                        ; implicit-def: $vgpr10
	s_branch .LBB409_1622
.LBB409_1618:
	s_mov_b64 s[0:1], -1
                                        ; implicit-def: $vgpr10
.LBB409_1619:
	s_andn2_b64 vcc, exec, s[0:1]
	s_cbranch_vccnz .LBB409_1621
; %bb.1620:
	global_load_dword v5, v[8:9], off
	s_waitcnt vmcnt(0)
	v_cvt_f16_f32_e32 v10, v5
.LBB409_1621:
	s_mov_b64 s[0:1], 0
.LBB409_1622:
	s_andn2_b64 vcc, exec, s[0:1]
	s_cbranch_vccnz .LBB409_1624
; %bb.1623:
	global_load_dword v10, v[8:9], off
.LBB409_1624:
	s_mov_b64 s[0:1], 0
.LBB409_1625:
	s_andn2_b64 vcc, exec, s[0:1]
	s_cbranch_vccnz .LBB409_1636
; %bb.1626:
	s_cmp_lt_i32 s17, 6
	s_cbranch_scc1 .LBB409_1629
; %bb.1627:
	s_cmp_gt_i32 s17, 6
	s_cbranch_scc0 .LBB409_1630
; %bb.1628:
	global_load_dwordx2 v[10:11], v[8:9], off
	s_movk_i32 s0, 0x1ff
	s_movk_i32 s1, 0xffe
	v_mov_b32_e32 v5, 0x7c00
	v_mov_b32_e32 v7, 0x7e00
	s_movk_i32 s6, 0x40f
	s_mov_b32 s7, 0x8000
	s_waitcnt vmcnt(0)
	v_and_or_b32 v10, v11, s0, v10
	v_cmp_ne_u32_e32 vcc, 0, v10
	v_lshrrev_b32_e32 v13, 8, v11
	v_bfe_u32 v14, v11, 20, 11
	v_cndmask_b32_e64 v10, 0, 1, vcc
	v_sub_u32_e32 v15, 0x3f1, v14
	v_and_or_b32 v10, v13, s1, v10
	v_add_u32_e32 v14, 0xfffffc10, v14
	v_med3_i32 v13, v15, 0, 13
	v_or_b32_e32 v15, 0x1000, v10
	v_lshl_or_b32 v16, v14, 12, v10
	v_cmp_ne_u32_e32 vcc, 0, v10
	v_lshrrev_b32_e32 v10, v13, v15
	v_lshlrev_b32_e32 v13, v13, v10
	v_cndmask_b32_e32 v7, v5, v7, vcc
	v_cmp_ne_u32_e32 vcc, v13, v15
	v_lshrrev_b32_e32 v11, 16, v11
	s_mov_b64 s[0:1], 0
	v_cndmask_b32_e64 v13, 0, 1, vcc
	v_or_b32_e32 v10, v10, v13
	v_cmp_gt_i32_e32 vcc, 1, v14
	s_nop 1
	v_cndmask_b32_e32 v10, v16, v10, vcc
	v_and_b32_e32 v13, 7, v10
	v_cmp_lt_i32_e32 vcc, 5, v13
	v_lshrrev_b32_e32 v10, 2, v10
	s_nop 0
	v_cndmask_b32_e64 v15, 0, 1, vcc
	v_cmp_eq_u32_e32 vcc, 3, v13
	s_nop 1
	v_cndmask_b32_e64 v13, 0, 1, vcc
	v_or_b32_e32 v13, v13, v15
	v_add_u32_e32 v10, v10, v13
	v_cmp_gt_i32_e32 vcc, 31, v14
	s_nop 1
	v_cndmask_b32_e32 v5, v5, v10, vcc
	v_cmp_eq_u32_e32 vcc, s6, v14
	s_nop 1
	v_cndmask_b32_e32 v5, v5, v7, vcc
	v_and_or_b32 v10, v11, s7, v5
	s_branch .LBB409_1631
.LBB409_1629:
	s_mov_b64 s[0:1], -1
                                        ; implicit-def: $vgpr10
	s_branch .LBB409_1634
.LBB409_1630:
	s_mov_b64 s[0:1], -1
                                        ; implicit-def: $vgpr10
.LBB409_1631:
	s_andn2_b64 vcc, exec, s[0:1]
	s_cbranch_vccnz .LBB409_1633
; %bb.1632:
	global_load_dword v5, v[8:9], off
	s_waitcnt vmcnt(0)
	v_cvt_f16_f32_e32 v10, v5
.LBB409_1633:
	s_mov_b64 s[0:1], 0
.LBB409_1634:
	s_andn2_b64 vcc, exec, s[0:1]
	s_cbranch_vccnz .LBB409_1636
; %bb.1635:
	global_load_ushort v10, v[8:9], off
.LBB409_1636:
	s_mov_b64 s[0:1], 0
.LBB409_1637:
	s_andn2_b64 vcc, exec, s[0:1]
	s_cbranch_vccnz .LBB409_1657
; %bb.1638:
	s_cmp_lt_i32 s17, 2
	s_cbranch_scc1 .LBB409_1642
; %bb.1639:
	s_cmp_lt_i32 s17, 3
	s_cbranch_scc1 .LBB409_1643
; %bb.1640:
	s_cmp_gt_i32 s17, 3
	s_cbranch_scc0 .LBB409_1644
; %bb.1641:
	global_load_dwordx2 v[10:11], v[8:9], off
	s_mov_b64 s[0:1], 0
	s_waitcnt vmcnt(0)
	v_xor_b32_e32 v7, v10, v11
	v_ffbh_i32_e32 v5, v11
	v_ashrrev_i32_e32 v7, 31, v7
	v_add_u32_e32 v5, -1, v5
	v_add_u32_e32 v7, 32, v7
	v_min_u32_e32 v5, v5, v7
	v_lshlrev_b64 v[10:11], v5, v[10:11]
	v_min_u32_e32 v7, 1, v10
	v_or_b32_e32 v7, v11, v7
	v_cvt_f32_i32_e32 v7, v7
	v_sub_u32_e32 v5, 32, v5
	v_ldexp_f32 v5, v7, v5
	v_cvt_f16_f32_e32 v10, v5
	s_branch .LBB409_1645
.LBB409_1642:
	s_mov_b64 s[0:1], -1
                                        ; implicit-def: $vgpr10
	s_branch .LBB409_1651
.LBB409_1643:
	s_mov_b64 s[0:1], -1
                                        ; implicit-def: $vgpr10
	s_branch .LBB409_1648
.LBB409_1644:
	s_mov_b64 s[0:1], -1
                                        ; implicit-def: $vgpr10
.LBB409_1645:
	s_andn2_b64 vcc, exec, s[0:1]
	s_cbranch_vccnz .LBB409_1647
; %bb.1646:
	global_load_dword v5, v[8:9], off
	s_waitcnt vmcnt(0)
	v_cvt_f32_i32_e32 v5, v5
	v_cvt_f16_f32_e32 v10, v5
.LBB409_1647:
	s_mov_b64 s[0:1], 0
.LBB409_1648:
	s_andn2_b64 vcc, exec, s[0:1]
	s_cbranch_vccnz .LBB409_1650
; %bb.1649:
	global_load_ushort v5, v[8:9], off
	s_waitcnt vmcnt(0)
	v_cvt_f16_i16_e32 v10, v5
.LBB409_1650:
	s_mov_b64 s[0:1], 0
.LBB409_1651:
	s_andn2_b64 vcc, exec, s[0:1]
	s_cbranch_vccnz .LBB409_1657
; %bb.1652:
	s_cmp_gt_i32 s17, 0
	s_cbranch_scc0 .LBB409_1654
; %bb.1653:
	global_load_sbyte v5, v[8:9], off
	s_mov_b64 s[0:1], 0
	s_waitcnt vmcnt(0)
	v_cvt_f16_i16_e32 v10, v5
	s_branch .LBB409_1655
.LBB409_1654:
	s_mov_b64 s[0:1], -1
                                        ; implicit-def: $vgpr10
.LBB409_1655:
	s_andn2_b64 vcc, exec, s[0:1]
	s_cbranch_vccnz .LBB409_1657
; %bb.1656:
	global_load_ubyte v5, v[8:9], off
	s_waitcnt vmcnt(0)
	v_cvt_f16_u16_e32 v10, v5
.LBB409_1657:
	s_mov_b64 s[8:9], -1
.LBB409_1658:
	s_andn2_b64 vcc, exec, s[8:9]
	s_cbranch_vccnz .LBB409_2092
; %bb.1659:
	s_load_dword s15, s[34:35], 0x158
	s_waitcnt vmcnt(0)
	v_cmp_u_f16_e32 vcc, v1, v1
	s_bfe_u32 s14, s16, 0x80010
	v_mov_b32_e32 v7, 0
	v_lshl_add_u64 v[6:7], s[4:5], 0, v[6:7]
	s_waitcnt lgkmcnt(0)
	v_cmp_lt_f16_e64 s[0:1], s15, v1
	v_mov_b32_e32 v5, s15
	s_or_b64 vcc, vcc, s[0:1]
	v_cndmask_b32_e32 v1, v5, v1, vcc
	s_cmp_lt_i32 s14, 11
	s_cbranch_scc1 .LBB409_1737
; %bb.1660:
	s_and_b32 s17, 0xffff, s14
	s_mov_b64 s[10:11], -1
	s_mov_b64 s[6:7], 0
	s_cmp_gt_i32 s17, 25
	s_mov_b64 s[8:9], 0
	s_mov_b64 s[0:1], 0
	s_cbranch_scc0 .LBB409_1693
; %bb.1661:
	s_cmp_gt_i32 s17, 28
	s_cbranch_scc0 .LBB409_1676
; %bb.1662:
	s_cmp_gt_i32 s17, 43
	;; [unrolled: 3-line block ×3, first 2 shown]
	s_cbranch_scc0 .LBB409_1666
; %bb.1664:
	s_mov_b64 s[0:1], -1
	s_mov_b64 s[10:11], 0
	s_cmp_eq_u32 s17, 46
	s_cbranch_scc0 .LBB409_1666
; %bb.1665:
	v_cvt_f32_f16_e32 v5, v1
	s_movk_i32 s0, 0x7fff
	v_cmp_o_f16_e32 vcc, v1, v1
	v_mov_b32_e32 v8, 0x7fc0
	v_bfe_u32 v9, v5, 16, 1
	v_add3_u32 v5, v5, v9, s0
	v_cndmask_b32_sdwa v5, v8, v5, vcc dst_sel:DWORD dst_unused:UNUSED_PAD src0_sel:DWORD src1_sel:WORD_1
	global_store_dword v[6:7], v5, off
	s_mov_b64 s[0:1], 0
	s_mov_b64 s[8:9], -1
.LBB409_1666:
	s_and_b64 vcc, exec, s[10:11]
	s_cbranch_vccz .LBB409_1671
; %bb.1667:
	s_cmp_eq_u32 s17, 44
	s_mov_b64 s[0:1], -1
	s_cbranch_scc0 .LBB409_1671
; %bb.1668:
	v_cvt_f32_f16_e32 v5, v1
	s_movk_i32 s0, 0xff
	v_mov_b32_e32 v9, 0xff
	v_bfe_u32 v8, v5, 23, 8
	v_cmp_ne_u32_e32 vcc, s0, v8
	s_and_saveexec_b64 s[8:9], vcc
; %bb.1669:
	s_mov_b32 s0, 0x3fffff
	v_lshrrev_b32_e32 v9, 23, v5
	v_and_b32_e32 v11, 0x400000, v5
	v_and_or_b32 v5, v5, s0, v8
	v_cmp_ne_u32_e32 vcc, 0, v11
	v_cmp_ne_u32_e64 s[0:1], 0, v5
	s_and_b64 s[0:1], vcc, s[0:1]
	s_nop 0
	v_cndmask_b32_e64 v5, 0, 1, s[0:1]
	v_add_u32_e32 v9, v9, v5
; %bb.1670:
	s_or_b64 exec, exec, s[8:9]
	s_mov_b64 s[0:1], 0
	s_mov_b64 s[8:9], -1
	global_store_byte v[6:7], v9, off
.LBB409_1671:
	s_mov_b64 s[10:11], 0
.LBB409_1672:
	s_and_b64 vcc, exec, s[10:11]
	s_cbranch_vccz .LBB409_1675
; %bb.1673:
	s_cmp_eq_u32 s17, 29
	s_mov_b64 s[0:1], -1
	s_cbranch_scc0 .LBB409_1675
; %bb.1674:
	v_cvt_f32_f16_e32 v5, v1
	v_mov_b32_e32 v9, 0
	s_mov_b64 s[0:1], 0
	s_mov_b64 s[8:9], -1
	v_cvt_u32_f32_e32 v8, v5
	global_store_dwordx2 v[6:7], v[8:9], off
.LBB409_1675:
	s_mov_b64 s[10:11], 0
.LBB409_1676:
	s_and_b64 vcc, exec, s[10:11]
	s_cbranch_vccz .LBB409_1692
; %bb.1677:
	s_cmp_lt_i32 s17, 27
	s_mov_b64 s[8:9], -1
	s_cbranch_scc1 .LBB409_1683
; %bb.1678:
	s_cmp_gt_i32 s17, 27
	s_cbranch_scc0 .LBB409_1680
; %bb.1679:
	v_cvt_f32_f16_e32 v5, v1
	s_mov_b64 s[8:9], 0
	v_cvt_u32_f32_e32 v5, v5
	global_store_dword v[6:7], v5, off
.LBB409_1680:
	s_andn2_b64 vcc, exec, s[8:9]
	s_cbranch_vccnz .LBB409_1682
; %bb.1681:
	v_cvt_u16_f16_e32 v5, v1
	global_store_short v[6:7], v5, off
.LBB409_1682:
	s_mov_b64 s[8:9], 0
.LBB409_1683:
	s_andn2_b64 vcc, exec, s[8:9]
	s_cbranch_vccnz .LBB409_1691
; %bb.1684:
	v_cvt_f32_f16_e32 v5, v1
	s_mov_b32 s8, 0x43800000
	v_mov_b32_e32 v9, 0x80
	v_and_b32_e32 v8, 0x7fffffff, v5
	v_cmp_gt_u32_e32 vcc, s8, v8
	s_and_saveexec_b64 s[8:9], vcc
	s_cbranch_execz .LBB409_1690
; %bb.1685:
	s_mov_b32 s10, 0x3bffffff
	v_cmp_lt_u32_e32 vcc, s10, v8
	s_mov_b64 s[10:11], 0
                                        ; implicit-def: $vgpr8
	s_and_saveexec_b64 s[12:13], vcc
	s_xor_b64 s[12:13], exec, s[12:13]
	s_cbranch_execz .LBB409_2139
; %bb.1686:
	v_bfe_u32 v8, v5, 20, 1
	s_mov_b32 s18, 0x487ffff
	v_add3_u32 v8, v5, v8, s18
	s_mov_b64 s[10:11], exec
	v_lshrrev_b32_e32 v8, 20, v8
	s_andn2_saveexec_b64 s[12:13], s[12:13]
	s_cbranch_execnz .LBB409_2140
.LBB409_1687:
	s_or_b64 exec, exec, s[12:13]
	v_mov_b32_e32 v9, 0
	s_and_saveexec_b64 s[12:13], s[10:11]
.LBB409_1688:
	v_lshrrev_b32_e32 v5, 24, v5
	s_movk_i32 s10, 0x80
	v_and_or_b32 v9, v5, s10, v8
.LBB409_1689:
	s_or_b64 exec, exec, s[12:13]
.LBB409_1690:
	s_or_b64 exec, exec, s[8:9]
	global_store_byte v[6:7], v9, off
.LBB409_1691:
	s_mov_b64 s[8:9], -1
.LBB409_1692:
	s_mov_b64 s[10:11], 0
.LBB409_1693:
	s_and_b64 vcc, exec, s[10:11]
	s_cbranch_vccz .LBB409_1733
; %bb.1694:
	s_cmp_gt_i32 s17, 22
	s_mov_b64 s[6:7], -1
	s_cbranch_scc0 .LBB409_1726
; %bb.1695:
	s_cmp_lt_i32 s17, 24
	s_cbranch_scc1 .LBB409_1715
; %bb.1696:
	s_cmp_gt_i32 s17, 24
	s_cbranch_scc0 .LBB409_1704
; %bb.1697:
	v_cvt_f32_f16_e32 v5, v1
	s_mov_b32 s6, 0x47800000
	v_mov_b32_e32 v9, 0x80
	v_and_b32_e32 v8, 0x7fffffff, v5
	v_cmp_gt_u32_e32 vcc, s6, v8
	s_and_saveexec_b64 s[6:7], vcc
	s_cbranch_execz .LBB409_1703
; %bb.1698:
	s_mov_b32 s8, 0x37ffffff
	v_cmp_lt_u32_e32 vcc, s8, v8
	s_mov_b64 s[8:9], 0
                                        ; implicit-def: $vgpr8
	s_and_saveexec_b64 s[10:11], vcc
	s_xor_b64 s[10:11], exec, s[10:11]
	s_cbranch_execz .LBB409_2142
; %bb.1699:
	v_bfe_u32 v8, v5, 21, 1
	s_mov_b32 s12, 0x88fffff
	v_add3_u32 v8, v5, v8, s12
	s_mov_b64 s[8:9], exec
	v_lshrrev_b32_e32 v8, 21, v8
	s_andn2_saveexec_b64 s[10:11], s[10:11]
	s_cbranch_execnz .LBB409_2143
.LBB409_1700:
	s_or_b64 exec, exec, s[10:11]
	v_mov_b32_e32 v9, 0
	s_and_saveexec_b64 s[10:11], s[8:9]
.LBB409_1701:
	v_lshrrev_b32_e32 v5, 24, v5
	s_movk_i32 s8, 0x80
	v_and_or_b32 v9, v5, s8, v8
.LBB409_1702:
	s_or_b64 exec, exec, s[10:11]
.LBB409_1703:
	s_or_b64 exec, exec, s[6:7]
	s_mov_b64 s[6:7], 0
	global_store_byte v[6:7], v9, off
.LBB409_1704:
	s_and_b64 vcc, exec, s[6:7]
	s_cbranch_vccz .LBB409_1714
; %bb.1705:
	v_cvt_f32_f16_e32 v5, v1
	s_mov_b32 s6, 0x43f00000
                                        ; implicit-def: $vgpr8
	v_and_b32_e32 v9, 0x7fffffff, v5
	v_cmp_gt_u32_e32 vcc, s6, v9
	s_and_saveexec_b64 s[6:7], vcc
	s_xor_b64 s[6:7], exec, s[6:7]
	s_cbranch_execz .LBB409_1711
; %bb.1706:
	s_mov_b32 s8, 0x3c7fffff
	v_cmp_lt_u32_e32 vcc, s8, v9
                                        ; implicit-def: $vgpr8
	s_and_saveexec_b64 s[8:9], vcc
	s_xor_b64 s[8:9], exec, s[8:9]
; %bb.1707:
	v_bfe_u32 v8, v5, 20, 1
	s_mov_b32 s10, 0x407ffff
	v_add3_u32 v8, v5, v8, s10
	v_lshrrev_b32_e32 v9, 20, v8
	v_and_b32_e32 v8, 0xff00000, v8
	s_mov_b32 s10, 0x7f00000
	v_mov_b32_e32 v11, 0x7e
	v_cmp_ne_u32_e32 vcc, s10, v8
	s_nop 1
	v_cndmask_b32_e32 v8, v11, v9, vcc
; %bb.1708:
	s_andn2_saveexec_b64 s[8:9], s[8:9]
; %bb.1709:
	s_mov_b32 s10, 0x46800000
	v_add_f32_e64 v8, |v5|, s10
; %bb.1710:
	s_or_b64 exec, exec, s[8:9]
                                        ; implicit-def: $vgpr9
.LBB409_1711:
	s_andn2_saveexec_b64 s[6:7], s[6:7]
; %bb.1712:
	s_mov_b32 s8, 0x7f800000
	v_mov_b32_e32 v8, 0x7e
	v_mov_b32_e32 v11, 0x7f
	v_cmp_lt_u32_e32 vcc, s8, v9
	s_nop 1
	v_cndmask_b32_e32 v8, v8, v11, vcc
; %bb.1713:
	s_or_b64 exec, exec, s[6:7]
	v_lshrrev_b32_e32 v5, 24, v5
	s_movk_i32 s6, 0x80
	v_and_or_b32 v5, v5, s6, v8
	global_store_byte v[6:7], v5, off
.LBB409_1714:
	s_mov_b64 s[6:7], 0
.LBB409_1715:
	s_andn2_b64 vcc, exec, s[6:7]
	s_cbranch_vccnz .LBB409_1725
; %bb.1716:
	v_cvt_f32_f16_e32 v5, v1
	s_mov_b32 s6, 0x47800000
                                        ; implicit-def: $vgpr8
	v_and_b32_e32 v9, 0x7fffffff, v5
	v_cmp_gt_u32_e32 vcc, s6, v9
	s_and_saveexec_b64 s[6:7], vcc
	s_xor_b64 s[6:7], exec, s[6:7]
	s_cbranch_execz .LBB409_1722
; %bb.1717:
	s_mov_b32 s8, 0x387fffff
	v_cmp_lt_u32_e32 vcc, s8, v9
                                        ; implicit-def: $vgpr8
	s_and_saveexec_b64 s[8:9], vcc
	s_xor_b64 s[8:9], exec, s[8:9]
; %bb.1718:
	v_bfe_u32 v8, v5, 21, 1
	s_mov_b32 s10, 0x80fffff
	v_add3_u32 v8, v5, v8, s10
	v_lshrrev_b32_e32 v8, 21, v8
; %bb.1719:
	s_andn2_saveexec_b64 s[8:9], s[8:9]
; %bb.1720:
	s_mov_b32 s10, 0x43000000
	v_add_f32_e64 v8, |v5|, s10
; %bb.1721:
	s_or_b64 exec, exec, s[8:9]
                                        ; implicit-def: $vgpr9
.LBB409_1722:
	s_andn2_saveexec_b64 s[6:7], s[6:7]
; %bb.1723:
	s_mov_b32 s8, 0x7f800000
	v_mov_b32_e32 v8, 0x7c
	v_mov_b32_e32 v11, 0x7f
	v_cmp_lt_u32_e32 vcc, s8, v9
	s_nop 1
	v_cndmask_b32_e32 v8, v8, v11, vcc
; %bb.1724:
	s_or_b64 exec, exec, s[6:7]
	v_lshrrev_b32_e32 v5, 24, v5
	s_movk_i32 s6, 0x80
	v_and_or_b32 v5, v5, s6, v8
	global_store_byte v[6:7], v5, off
.LBB409_1725:
	s_mov_b64 s[6:7], 0
	s_mov_b64 s[8:9], -1
.LBB409_1726:
	s_andn2_b64 vcc, exec, s[6:7]
	s_mov_b64 s[6:7], 0
	s_cbranch_vccnz .LBB409_1733
; %bb.1727:
	s_cmp_gt_i32 s17, 14
	s_mov_b64 s[10:11], -1
	s_cbranch_scc0 .LBB409_1731
; %bb.1728:
	s_cmp_eq_u32 s17, 15
	s_mov_b64 s[0:1], -1
	s_cbranch_scc0 .LBB409_1730
; %bb.1729:
	v_cvt_f32_f16_e32 v5, v1
	s_movk_i32 s0, 0x7fff
	v_cmp_o_f16_e32 vcc, v1, v1
	v_mov_b32_e32 v8, 0x7fc0
	v_bfe_u32 v9, v5, 16, 1
	v_add3_u32 v5, v5, v9, s0
	v_cndmask_b32_sdwa v5, v8, v5, vcc dst_sel:DWORD dst_unused:UNUSED_PAD src0_sel:DWORD src1_sel:WORD_1
	global_store_short v[6:7], v5, off
	s_mov_b64 s[0:1], 0
	s_mov_b64 s[8:9], -1
.LBB409_1730:
	s_mov_b64 s[10:11], 0
.LBB409_1731:
	s_and_b64 vcc, exec, s[10:11]
	s_cbranch_vccz .LBB409_1733
; %bb.1732:
	s_cmp_lg_u32 s17, 11
	s_mov_b64 s[6:7], -1
	s_cselect_b64 s[0:1], -1, 0
.LBB409_1733:
	s_and_b64 vcc, exec, s[0:1]
	s_cbranch_vccnz .LBB409_2141
; %bb.1734:
	s_andn2_b64 vcc, exec, s[6:7]
	s_cbranch_vccnz .LBB409_1736
.LBB409_1735:
	v_and_b32_e32 v5, 0x7fff, v1
	v_cmp_ne_u16_e32 vcc, 0, v5
	s_mov_b64 s[8:9], -1
	s_nop 0
	v_cndmask_b32_e64 v5, 0, 1, vcc
	global_store_byte v[6:7], v5, off
.LBB409_1736:
	s_mov_b64 s[0:1], 0
	s_branch .LBB409_1738
.LBB409_1737:
	s_mov_b64 s[0:1], -1
	s_mov_b64 s[8:9], 0
.LBB409_1738:
	s_and_b64 vcc, exec, s[0:1]
	s_cbranch_vccz .LBB409_1777
; %bb.1739:
	s_and_b32 s6, 0xffff, s14
	s_cmp_lt_i32 s6, 5
	s_mov_b64 s[0:1], -1
	s_cbranch_scc1 .LBB409_1760
; %bb.1740:
	s_cmp_lt_i32 s6, 8
	s_cbranch_scc1 .LBB409_1750
; %bb.1741:
	s_cmp_lt_i32 s6, 9
	s_cbranch_scc1 .LBB409_1747
; %bb.1742:
	s_cmp_gt_i32 s6, 9
	s_cbranch_scc0 .LBB409_1744
; %bb.1743:
	v_cvt_f32_f16_e32 v5, v1
	v_mov_b32_e32 v16, 0
	v_mov_b32_e32 v17, v16
	s_mov_b64 s[0:1], 0
	v_cvt_f64_f32_e32 v[14:15], v5
	global_store_dwordx4 v[6:7], v[14:17], off
.LBB409_1744:
	s_andn2_b64 vcc, exec, s[0:1]
	s_cbranch_vccnz .LBB409_1746
; %bb.1745:
	v_cvt_f32_f16_e32 v8, v1
	v_mov_b32_e32 v9, 0
	global_store_dwordx2 v[6:7], v[8:9], off
.LBB409_1746:
	s_mov_b64 s[0:1], 0
.LBB409_1747:
	s_andn2_b64 vcc, exec, s[0:1]
	s_cbranch_vccnz .LBB409_1749
; %bb.1748:
	v_and_b32_e32 v5, 0xffff, v1
	global_store_dword v[6:7], v5, off
.LBB409_1749:
	s_mov_b64 s[0:1], 0
.LBB409_1750:
	s_andn2_b64 vcc, exec, s[0:1]
	s_cbranch_vccnz .LBB409_1759
; %bb.1751:
	s_cmp_lt_i32 s6, 6
	s_mov_b64 s[0:1], -1
	s_cbranch_scc1 .LBB409_1757
; %bb.1752:
	s_cmp_gt_i32 s6, 6
	s_cbranch_scc0 .LBB409_1754
; %bb.1753:
	v_cvt_f32_f16_e32 v5, v1
	s_mov_b64 s[0:1], 0
	v_cvt_f64_f32_e32 v[8:9], v5
	global_store_dwordx2 v[6:7], v[8:9], off
.LBB409_1754:
	s_andn2_b64 vcc, exec, s[0:1]
	s_cbranch_vccnz .LBB409_1756
; %bb.1755:
	v_cvt_f32_f16_e32 v5, v1
	global_store_dword v[6:7], v5, off
.LBB409_1756:
	s_mov_b64 s[0:1], 0
.LBB409_1757:
	s_andn2_b64 vcc, exec, s[0:1]
	s_cbranch_vccnz .LBB409_1759
; %bb.1758:
	global_store_short v[6:7], v1, off
.LBB409_1759:
	s_mov_b64 s[0:1], 0
.LBB409_1760:
	s_andn2_b64 vcc, exec, s[0:1]
	s_cbranch_vccnz .LBB409_1776
; %bb.1761:
	s_cmp_lt_i32 s6, 2
	s_mov_b64 s[0:1], -1
	s_cbranch_scc1 .LBB409_1771
; %bb.1762:
	s_cmp_lt_i32 s6, 3
	s_cbranch_scc1 .LBB409_1768
; %bb.1763:
	s_cmp_gt_i32 s6, 3
	s_cbranch_scc0 .LBB409_1765
; %bb.1764:
	v_cvt_f32_f16_e32 v5, v1
	s_mov_b64 s[0:1], 0
	v_cvt_i32_f32_e32 v8, v5
	v_ashrrev_i32_e32 v9, 31, v8
	global_store_dwordx2 v[6:7], v[8:9], off
.LBB409_1765:
	s_andn2_b64 vcc, exec, s[0:1]
	s_cbranch_vccnz .LBB409_1767
; %bb.1766:
	v_cvt_f32_f16_e32 v5, v1
	v_cvt_i32_f32_e32 v5, v5
	global_store_dword v[6:7], v5, off
.LBB409_1767:
	s_mov_b64 s[0:1], 0
.LBB409_1768:
	s_andn2_b64 vcc, exec, s[0:1]
	s_cbranch_vccnz .LBB409_1770
; %bb.1769:
	v_cvt_i16_f16_e32 v5, v1
	global_store_short v[6:7], v5, off
.LBB409_1770:
	s_mov_b64 s[0:1], 0
.LBB409_1771:
	s_andn2_b64 vcc, exec, s[0:1]
	s_cbranch_vccnz .LBB409_1776
; %bb.1772:
	s_cmp_gt_i32 s6, 0
	s_mov_b64 s[0:1], -1
	s_cbranch_scc0 .LBB409_1774
; %bb.1773:
	v_cvt_i16_f16_e32 v5, v1
	global_store_byte v[6:7], v5, off
	s_mov_b64 s[0:1], 0
.LBB409_1774:
	s_andn2_b64 vcc, exec, s[0:1]
	s_cbranch_vccnz .LBB409_1776
; %bb.1775:
	v_cvt_f32_f16_e32 v1, v1
	v_cvt_i32_f32_e32 v1, v1
	global_store_byte v[6:7], v1, off
.LBB409_1776:
	s_mov_b64 s[8:9], -1
.LBB409_1777:
	s_andn2_b64 vcc, exec, s[8:9]
	s_cbranch_vccnz .LBB409_2092
; %bb.1778:
	s_lshr_b32 s0, s16, 16
	s_and_b32 s14, s0, 0xff
	v_cmp_u_f16_e32 vcc, v3, v3
	v_cmp_lt_f16_e64 s[0:1], s15, v3
	v_mov_b32_e32 v1, s15
	s_or_b64 vcc, vcc, s[0:1]
	v_mov_b32_e32 v5, 0
	v_cndmask_b32_e32 v1, v1, v3, vcc
	s_cmp_lt_i32 s14, 11
	v_lshl_add_u64 v[4:5], s[4:5], 0, v[4:5]
	s_cbranch_scc1 .LBB409_1856
; %bb.1779:
	s_and_b32 s16, 0xffff, s14
	s_mov_b64 s[10:11], -1
	s_mov_b64 s[6:7], 0
	s_cmp_gt_i32 s16, 25
	s_mov_b64 s[8:9], 0
	s_mov_b64 s[0:1], 0
	s_cbranch_scc0 .LBB409_1812
; %bb.1780:
	s_cmp_gt_i32 s16, 28
	s_cbranch_scc0 .LBB409_1795
; %bb.1781:
	s_cmp_gt_i32 s16, 43
	;; [unrolled: 3-line block ×3, first 2 shown]
	s_cbranch_scc0 .LBB409_1785
; %bb.1783:
	s_mov_b64 s[0:1], -1
	s_mov_b64 s[10:11], 0
	s_cmp_eq_u32 s16, 46
	s_cbranch_scc0 .LBB409_1785
; %bb.1784:
	v_cvt_f32_f16_e32 v3, v1
	s_movk_i32 s0, 0x7fff
	v_cmp_o_f16_e32 vcc, v1, v1
	v_mov_b32_e32 v6, 0x7fc0
	v_bfe_u32 v7, v3, 16, 1
	v_add3_u32 v3, v3, v7, s0
	v_cndmask_b32_sdwa v3, v6, v3, vcc dst_sel:DWORD dst_unused:UNUSED_PAD src0_sel:DWORD src1_sel:WORD_1
	global_store_dword v[4:5], v3, off
	s_mov_b64 s[0:1], 0
	s_mov_b64 s[8:9], -1
.LBB409_1785:
	s_and_b64 vcc, exec, s[10:11]
	s_cbranch_vccz .LBB409_1790
; %bb.1786:
	s_cmp_eq_u32 s16, 44
	s_mov_b64 s[0:1], -1
	s_cbranch_scc0 .LBB409_1790
; %bb.1787:
	v_cvt_f32_f16_e32 v3, v1
	s_movk_i32 s0, 0xff
	v_mov_b32_e32 v7, 0xff
	v_bfe_u32 v6, v3, 23, 8
	v_cmp_ne_u32_e32 vcc, s0, v6
	s_and_saveexec_b64 s[8:9], vcc
; %bb.1788:
	s_mov_b32 s0, 0x3fffff
	v_lshrrev_b32_e32 v7, 23, v3
	v_and_b32_e32 v8, 0x400000, v3
	v_and_or_b32 v3, v3, s0, v6
	v_cmp_ne_u32_e32 vcc, 0, v8
	v_cmp_ne_u32_e64 s[0:1], 0, v3
	s_and_b64 s[0:1], vcc, s[0:1]
	s_nop 0
	v_cndmask_b32_e64 v3, 0, 1, s[0:1]
	v_add_u32_e32 v7, v7, v3
; %bb.1789:
	s_or_b64 exec, exec, s[8:9]
	s_mov_b64 s[0:1], 0
	s_mov_b64 s[8:9], -1
	global_store_byte v[4:5], v7, off
.LBB409_1790:
	s_mov_b64 s[10:11], 0
.LBB409_1791:
	s_and_b64 vcc, exec, s[10:11]
	s_cbranch_vccz .LBB409_1794
; %bb.1792:
	s_cmp_eq_u32 s16, 29
	s_mov_b64 s[0:1], -1
	s_cbranch_scc0 .LBB409_1794
; %bb.1793:
	v_cvt_f32_f16_e32 v3, v1
	v_mov_b32_e32 v7, 0
	s_mov_b64 s[0:1], 0
	s_mov_b64 s[8:9], -1
	v_cvt_u32_f32_e32 v6, v3
	global_store_dwordx2 v[4:5], v[6:7], off
.LBB409_1794:
	s_mov_b64 s[10:11], 0
.LBB409_1795:
	s_and_b64 vcc, exec, s[10:11]
	s_cbranch_vccz .LBB409_1811
; %bb.1796:
	s_cmp_lt_i32 s16, 27
	s_mov_b64 s[8:9], -1
	s_cbranch_scc1 .LBB409_1802
; %bb.1797:
	s_cmp_gt_i32 s16, 27
	s_cbranch_scc0 .LBB409_1799
; %bb.1798:
	v_cvt_f32_f16_e32 v3, v1
	s_mov_b64 s[8:9], 0
	v_cvt_u32_f32_e32 v3, v3
	global_store_dword v[4:5], v3, off
.LBB409_1799:
	s_andn2_b64 vcc, exec, s[8:9]
	s_cbranch_vccnz .LBB409_1801
; %bb.1800:
	v_cvt_u16_f16_e32 v3, v1
	global_store_short v[4:5], v3, off
.LBB409_1801:
	s_mov_b64 s[8:9], 0
.LBB409_1802:
	s_andn2_b64 vcc, exec, s[8:9]
	s_cbranch_vccnz .LBB409_1810
; %bb.1803:
	v_cvt_f32_f16_e32 v3, v1
	s_mov_b32 s8, 0x43800000
	v_mov_b32_e32 v7, 0x80
	v_and_b32_e32 v6, 0x7fffffff, v3
	v_cmp_gt_u32_e32 vcc, s8, v6
	s_and_saveexec_b64 s[8:9], vcc
	s_cbranch_execz .LBB409_1809
; %bb.1804:
	s_mov_b32 s10, 0x3bffffff
	v_cmp_lt_u32_e32 vcc, s10, v6
	s_mov_b64 s[10:11], 0
                                        ; implicit-def: $vgpr6
	s_and_saveexec_b64 s[12:13], vcc
	s_xor_b64 s[12:13], exec, s[12:13]
	s_cbranch_execz .LBB409_2144
; %bb.1805:
	v_bfe_u32 v6, v3, 20, 1
	s_mov_b32 s17, 0x487ffff
	v_add3_u32 v6, v3, v6, s17
	s_mov_b64 s[10:11], exec
	v_lshrrev_b32_e32 v6, 20, v6
	s_andn2_saveexec_b64 s[12:13], s[12:13]
	s_cbranch_execnz .LBB409_2145
.LBB409_1806:
	s_or_b64 exec, exec, s[12:13]
	v_mov_b32_e32 v7, 0
	s_and_saveexec_b64 s[12:13], s[10:11]
.LBB409_1807:
	v_lshrrev_b32_e32 v3, 24, v3
	s_movk_i32 s10, 0x80
	v_and_or_b32 v7, v3, s10, v6
.LBB409_1808:
	s_or_b64 exec, exec, s[12:13]
.LBB409_1809:
	s_or_b64 exec, exec, s[8:9]
	global_store_byte v[4:5], v7, off
.LBB409_1810:
	s_mov_b64 s[8:9], -1
.LBB409_1811:
	s_mov_b64 s[10:11], 0
.LBB409_1812:
	s_and_b64 vcc, exec, s[10:11]
	s_cbranch_vccz .LBB409_1852
; %bb.1813:
	s_cmp_gt_i32 s16, 22
	s_mov_b64 s[6:7], -1
	s_cbranch_scc0 .LBB409_1845
; %bb.1814:
	s_cmp_lt_i32 s16, 24
	s_cbranch_scc1 .LBB409_1834
; %bb.1815:
	s_cmp_gt_i32 s16, 24
	s_cbranch_scc0 .LBB409_1823
; %bb.1816:
	v_cvt_f32_f16_e32 v3, v1
	s_mov_b32 s6, 0x47800000
	v_mov_b32_e32 v7, 0x80
	v_and_b32_e32 v6, 0x7fffffff, v3
	v_cmp_gt_u32_e32 vcc, s6, v6
	s_and_saveexec_b64 s[6:7], vcc
	s_cbranch_execz .LBB409_1822
; %bb.1817:
	s_mov_b32 s8, 0x37ffffff
	v_cmp_lt_u32_e32 vcc, s8, v6
	s_mov_b64 s[8:9], 0
                                        ; implicit-def: $vgpr6
	s_and_saveexec_b64 s[10:11], vcc
	s_xor_b64 s[10:11], exec, s[10:11]
	s_cbranch_execz .LBB409_2147
; %bb.1818:
	v_bfe_u32 v6, v3, 21, 1
	s_mov_b32 s12, 0x88fffff
	v_add3_u32 v6, v3, v6, s12
	s_mov_b64 s[8:9], exec
	v_lshrrev_b32_e32 v6, 21, v6
	s_andn2_saveexec_b64 s[10:11], s[10:11]
	s_cbranch_execnz .LBB409_2148
.LBB409_1819:
	s_or_b64 exec, exec, s[10:11]
	v_mov_b32_e32 v7, 0
	s_and_saveexec_b64 s[10:11], s[8:9]
.LBB409_1820:
	v_lshrrev_b32_e32 v3, 24, v3
	s_movk_i32 s8, 0x80
	v_and_or_b32 v7, v3, s8, v6
.LBB409_1821:
	s_or_b64 exec, exec, s[10:11]
.LBB409_1822:
	s_or_b64 exec, exec, s[6:7]
	s_mov_b64 s[6:7], 0
	global_store_byte v[4:5], v7, off
.LBB409_1823:
	s_and_b64 vcc, exec, s[6:7]
	s_cbranch_vccz .LBB409_1833
; %bb.1824:
	v_cvt_f32_f16_e32 v3, v1
	s_mov_b32 s6, 0x43f00000
                                        ; implicit-def: $vgpr6
	v_and_b32_e32 v7, 0x7fffffff, v3
	v_cmp_gt_u32_e32 vcc, s6, v7
	s_and_saveexec_b64 s[6:7], vcc
	s_xor_b64 s[6:7], exec, s[6:7]
	s_cbranch_execz .LBB409_1830
; %bb.1825:
	s_mov_b32 s8, 0x3c7fffff
	v_cmp_lt_u32_e32 vcc, s8, v7
                                        ; implicit-def: $vgpr6
	s_and_saveexec_b64 s[8:9], vcc
	s_xor_b64 s[8:9], exec, s[8:9]
; %bb.1826:
	v_bfe_u32 v6, v3, 20, 1
	s_mov_b32 s10, 0x407ffff
	v_add3_u32 v6, v3, v6, s10
	v_lshrrev_b32_e32 v7, 20, v6
	v_and_b32_e32 v6, 0xff00000, v6
	s_mov_b32 s10, 0x7f00000
	v_mov_b32_e32 v8, 0x7e
	v_cmp_ne_u32_e32 vcc, s10, v6
	s_nop 1
	v_cndmask_b32_e32 v6, v8, v7, vcc
; %bb.1827:
	s_andn2_saveexec_b64 s[8:9], s[8:9]
; %bb.1828:
	s_mov_b32 s10, 0x46800000
	v_add_f32_e64 v6, |v3|, s10
; %bb.1829:
	s_or_b64 exec, exec, s[8:9]
                                        ; implicit-def: $vgpr7
.LBB409_1830:
	s_andn2_saveexec_b64 s[6:7], s[6:7]
; %bb.1831:
	s_mov_b32 s8, 0x7f800000
	v_mov_b32_e32 v6, 0x7e
	v_mov_b32_e32 v8, 0x7f
	v_cmp_lt_u32_e32 vcc, s8, v7
	s_nop 1
	v_cndmask_b32_e32 v6, v6, v8, vcc
; %bb.1832:
	s_or_b64 exec, exec, s[6:7]
	v_lshrrev_b32_e32 v3, 24, v3
	s_movk_i32 s6, 0x80
	v_and_or_b32 v3, v3, s6, v6
	global_store_byte v[4:5], v3, off
.LBB409_1833:
	s_mov_b64 s[6:7], 0
.LBB409_1834:
	s_andn2_b64 vcc, exec, s[6:7]
	s_cbranch_vccnz .LBB409_1844
; %bb.1835:
	v_cvt_f32_f16_e32 v3, v1
	s_mov_b32 s6, 0x47800000
                                        ; implicit-def: $vgpr6
	v_and_b32_e32 v7, 0x7fffffff, v3
	v_cmp_gt_u32_e32 vcc, s6, v7
	s_and_saveexec_b64 s[6:7], vcc
	s_xor_b64 s[6:7], exec, s[6:7]
	s_cbranch_execz .LBB409_1841
; %bb.1836:
	s_mov_b32 s8, 0x387fffff
	v_cmp_lt_u32_e32 vcc, s8, v7
                                        ; implicit-def: $vgpr6
	s_and_saveexec_b64 s[8:9], vcc
	s_xor_b64 s[8:9], exec, s[8:9]
; %bb.1837:
	v_bfe_u32 v6, v3, 21, 1
	s_mov_b32 s10, 0x80fffff
	v_add3_u32 v6, v3, v6, s10
	v_lshrrev_b32_e32 v6, 21, v6
; %bb.1838:
	s_andn2_saveexec_b64 s[8:9], s[8:9]
; %bb.1839:
	s_mov_b32 s10, 0x43000000
	v_add_f32_e64 v6, |v3|, s10
; %bb.1840:
	s_or_b64 exec, exec, s[8:9]
                                        ; implicit-def: $vgpr7
.LBB409_1841:
	s_andn2_saveexec_b64 s[6:7], s[6:7]
; %bb.1842:
	s_mov_b32 s8, 0x7f800000
	v_mov_b32_e32 v6, 0x7c
	v_mov_b32_e32 v8, 0x7f
	v_cmp_lt_u32_e32 vcc, s8, v7
	s_nop 1
	v_cndmask_b32_e32 v6, v6, v8, vcc
; %bb.1843:
	s_or_b64 exec, exec, s[6:7]
	v_lshrrev_b32_e32 v3, 24, v3
	s_movk_i32 s6, 0x80
	v_and_or_b32 v3, v3, s6, v6
	global_store_byte v[4:5], v3, off
.LBB409_1844:
	s_mov_b64 s[6:7], 0
	s_mov_b64 s[8:9], -1
.LBB409_1845:
	s_andn2_b64 vcc, exec, s[6:7]
	s_mov_b64 s[6:7], 0
	s_cbranch_vccnz .LBB409_1852
; %bb.1846:
	s_cmp_gt_i32 s16, 14
	s_mov_b64 s[10:11], -1
	s_cbranch_scc0 .LBB409_1850
; %bb.1847:
	s_cmp_eq_u32 s16, 15
	s_mov_b64 s[0:1], -1
	s_cbranch_scc0 .LBB409_1849
; %bb.1848:
	v_cvt_f32_f16_e32 v3, v1
	s_movk_i32 s0, 0x7fff
	v_cmp_o_f16_e32 vcc, v1, v1
	v_mov_b32_e32 v6, 0x7fc0
	v_bfe_u32 v7, v3, 16, 1
	v_add3_u32 v3, v3, v7, s0
	v_cndmask_b32_sdwa v3, v6, v3, vcc dst_sel:DWORD dst_unused:UNUSED_PAD src0_sel:DWORD src1_sel:WORD_1
	global_store_short v[4:5], v3, off
	s_mov_b64 s[0:1], 0
	s_mov_b64 s[8:9], -1
.LBB409_1849:
	s_mov_b64 s[10:11], 0
.LBB409_1850:
	s_and_b64 vcc, exec, s[10:11]
	s_cbranch_vccz .LBB409_1852
; %bb.1851:
	s_cmp_lg_u32 s16, 11
	s_mov_b64 s[6:7], -1
	s_cselect_b64 s[0:1], -1, 0
.LBB409_1852:
	s_and_b64 vcc, exec, s[0:1]
	s_cbranch_vccnz .LBB409_2146
; %bb.1853:
	s_andn2_b64 vcc, exec, s[6:7]
	s_cbranch_vccnz .LBB409_1855
.LBB409_1854:
	v_and_b32_e32 v3, 0x7fff, v1
	v_cmp_ne_u16_e32 vcc, 0, v3
	s_mov_b64 s[8:9], -1
	s_nop 0
	v_cndmask_b32_e64 v3, 0, 1, vcc
	global_store_byte v[4:5], v3, off
.LBB409_1855:
	s_mov_b64 s[0:1], 0
	s_branch .LBB409_1857
.LBB409_1856:
	s_mov_b64 s[0:1], -1
	s_mov_b64 s[8:9], 0
.LBB409_1857:
	s_and_b64 vcc, exec, s[0:1]
	s_cbranch_vccz .LBB409_1896
; %bb.1858:
	s_and_b32 s6, 0xffff, s14
	s_cmp_lt_i32 s6, 5
	s_mov_b64 s[0:1], -1
	s_cbranch_scc1 .LBB409_1879
; %bb.1859:
	s_cmp_lt_i32 s6, 8
	s_cbranch_scc1 .LBB409_1869
; %bb.1860:
	s_cmp_lt_i32 s6, 9
	s_cbranch_scc1 .LBB409_1866
; %bb.1861:
	s_cmp_gt_i32 s6, 9
	s_cbranch_scc0 .LBB409_1863
; %bb.1862:
	v_cvt_f32_f16_e32 v3, v1
	v_mov_b32_e32 v8, 0
	v_mov_b32_e32 v9, v8
	s_mov_b64 s[0:1], 0
	v_cvt_f64_f32_e32 v[6:7], v3
	global_store_dwordx4 v[4:5], v[6:9], off
.LBB409_1863:
	s_andn2_b64 vcc, exec, s[0:1]
	s_cbranch_vccnz .LBB409_1865
; %bb.1864:
	v_cvt_f32_f16_e32 v6, v1
	v_mov_b32_e32 v7, 0
	global_store_dwordx2 v[4:5], v[6:7], off
.LBB409_1865:
	s_mov_b64 s[0:1], 0
.LBB409_1866:
	s_andn2_b64 vcc, exec, s[0:1]
	s_cbranch_vccnz .LBB409_1868
; %bb.1867:
	v_and_b32_e32 v3, 0xffff, v1
	global_store_dword v[4:5], v3, off
.LBB409_1868:
	s_mov_b64 s[0:1], 0
.LBB409_1869:
	s_andn2_b64 vcc, exec, s[0:1]
	s_cbranch_vccnz .LBB409_1878
; %bb.1870:
	s_cmp_lt_i32 s6, 6
	s_mov_b64 s[0:1], -1
	s_cbranch_scc1 .LBB409_1876
; %bb.1871:
	s_cmp_gt_i32 s6, 6
	s_cbranch_scc0 .LBB409_1873
; %bb.1872:
	v_cvt_f32_f16_e32 v3, v1
	s_mov_b64 s[0:1], 0
	v_cvt_f64_f32_e32 v[6:7], v3
	global_store_dwordx2 v[4:5], v[6:7], off
.LBB409_1873:
	s_andn2_b64 vcc, exec, s[0:1]
	s_cbranch_vccnz .LBB409_1875
; %bb.1874:
	v_cvt_f32_f16_e32 v3, v1
	global_store_dword v[4:5], v3, off
.LBB409_1875:
	s_mov_b64 s[0:1], 0
.LBB409_1876:
	s_andn2_b64 vcc, exec, s[0:1]
	s_cbranch_vccnz .LBB409_1878
; %bb.1877:
	global_store_short v[4:5], v1, off
.LBB409_1878:
	s_mov_b64 s[0:1], 0
.LBB409_1879:
	s_andn2_b64 vcc, exec, s[0:1]
	s_cbranch_vccnz .LBB409_1895
; %bb.1880:
	s_cmp_lt_i32 s6, 2
	s_mov_b64 s[0:1], -1
	s_cbranch_scc1 .LBB409_1890
; %bb.1881:
	s_cmp_lt_i32 s6, 3
	s_cbranch_scc1 .LBB409_1887
; %bb.1882:
	s_cmp_gt_i32 s6, 3
	s_cbranch_scc0 .LBB409_1884
; %bb.1883:
	v_cvt_f32_f16_e32 v3, v1
	s_mov_b64 s[0:1], 0
	v_cvt_i32_f32_e32 v6, v3
	v_ashrrev_i32_e32 v7, 31, v6
	global_store_dwordx2 v[4:5], v[6:7], off
.LBB409_1884:
	s_andn2_b64 vcc, exec, s[0:1]
	s_cbranch_vccnz .LBB409_1886
; %bb.1885:
	v_cvt_f32_f16_e32 v3, v1
	v_cvt_i32_f32_e32 v3, v3
	global_store_dword v[4:5], v3, off
.LBB409_1886:
	s_mov_b64 s[0:1], 0
.LBB409_1887:
	s_andn2_b64 vcc, exec, s[0:1]
	s_cbranch_vccnz .LBB409_1889
; %bb.1888:
	v_cvt_i16_f16_e32 v3, v1
	global_store_short v[4:5], v3, off
.LBB409_1889:
	s_mov_b64 s[0:1], 0
.LBB409_1890:
	s_andn2_b64 vcc, exec, s[0:1]
	s_cbranch_vccnz .LBB409_1895
; %bb.1891:
	s_cmp_gt_i32 s6, 0
	s_mov_b64 s[0:1], -1
	s_cbranch_scc0 .LBB409_1893
; %bb.1892:
	v_cvt_i16_f16_e32 v3, v1
	global_store_byte v[4:5], v3, off
	s_mov_b64 s[0:1], 0
.LBB409_1893:
	s_andn2_b64 vcc, exec, s[0:1]
	s_cbranch_vccnz .LBB409_1895
; %bb.1894:
	v_cvt_f32_f16_e32 v1, v1
	v_cvt_i32_f32_e32 v1, v1
	global_store_byte v[4:5], v1, off
.LBB409_1895:
	s_mov_b64 s[8:9], -1
.LBB409_1896:
	s_andn2_b64 vcc, exec, s[8:9]
	s_cbranch_vccnz .LBB409_2092
; %bb.1897:
	v_cmp_u_f16_e32 vcc, v12, v12
	v_cmp_lt_f16_e64 s[0:1], s15, v12
	v_mov_b32_e32 v1, s15
	s_or_b64 vcc, vcc, s[0:1]
	v_mov_b32_e32 v3, 0
	v_cndmask_b32_e32 v1, v1, v12, vcc
	s_cmp_lt_i32 s14, 11
	v_lshl_add_u64 v[2:3], s[4:5], 0, v[2:3]
	s_cbranch_scc1 .LBB409_1975
; %bb.1898:
	s_and_b32 s16, 0xffff, s14
	s_mov_b64 s[10:11], -1
	s_mov_b64 s[6:7], 0
	s_cmp_gt_i32 s16, 25
	s_mov_b64 s[8:9], 0
	s_mov_b64 s[0:1], 0
	s_cbranch_scc0 .LBB409_1931
; %bb.1899:
	s_cmp_gt_i32 s16, 28
	s_cbranch_scc0 .LBB409_1914
; %bb.1900:
	s_cmp_gt_i32 s16, 43
	;; [unrolled: 3-line block ×3, first 2 shown]
	s_cbranch_scc0 .LBB409_1904
; %bb.1902:
	s_mov_b64 s[0:1], -1
	s_mov_b64 s[10:11], 0
	s_cmp_eq_u32 s16, 46
	s_cbranch_scc0 .LBB409_1904
; %bb.1903:
	v_cvt_f32_f16_e32 v4, v1
	s_movk_i32 s0, 0x7fff
	v_cmp_o_f16_e32 vcc, v1, v1
	v_mov_b32_e32 v5, 0x7fc0
	v_bfe_u32 v6, v4, 16, 1
	v_add3_u32 v4, v4, v6, s0
	v_cndmask_b32_sdwa v4, v5, v4, vcc dst_sel:DWORD dst_unused:UNUSED_PAD src0_sel:DWORD src1_sel:WORD_1
	global_store_dword v[2:3], v4, off
	s_mov_b64 s[0:1], 0
	s_mov_b64 s[8:9], -1
.LBB409_1904:
	s_and_b64 vcc, exec, s[10:11]
	s_cbranch_vccz .LBB409_1909
; %bb.1905:
	s_cmp_eq_u32 s16, 44
	s_mov_b64 s[0:1], -1
	s_cbranch_scc0 .LBB409_1909
; %bb.1906:
	v_cvt_f32_f16_e32 v4, v1
	s_movk_i32 s0, 0xff
	v_mov_b32_e32 v6, 0xff
	v_bfe_u32 v5, v4, 23, 8
	v_cmp_ne_u32_e32 vcc, s0, v5
	s_and_saveexec_b64 s[8:9], vcc
; %bb.1907:
	s_mov_b32 s0, 0x3fffff
	v_lshrrev_b32_e32 v6, 23, v4
	v_and_b32_e32 v7, 0x400000, v4
	v_and_or_b32 v4, v4, s0, v5
	v_cmp_ne_u32_e32 vcc, 0, v7
	v_cmp_ne_u32_e64 s[0:1], 0, v4
	s_and_b64 s[0:1], vcc, s[0:1]
	s_nop 0
	v_cndmask_b32_e64 v4, 0, 1, s[0:1]
	v_add_u32_e32 v6, v6, v4
; %bb.1908:
	s_or_b64 exec, exec, s[8:9]
	s_mov_b64 s[0:1], 0
	s_mov_b64 s[8:9], -1
	global_store_byte v[2:3], v6, off
.LBB409_1909:
	s_mov_b64 s[10:11], 0
.LBB409_1910:
	s_and_b64 vcc, exec, s[10:11]
	s_cbranch_vccz .LBB409_1913
; %bb.1911:
	s_cmp_eq_u32 s16, 29
	s_mov_b64 s[0:1], -1
	s_cbranch_scc0 .LBB409_1913
; %bb.1912:
	v_cvt_f32_f16_e32 v4, v1
	v_mov_b32_e32 v5, 0
	s_mov_b64 s[0:1], 0
	s_mov_b64 s[8:9], -1
	v_cvt_u32_f32_e32 v4, v4
	global_store_dwordx2 v[2:3], v[4:5], off
.LBB409_1913:
	s_mov_b64 s[10:11], 0
.LBB409_1914:
	s_and_b64 vcc, exec, s[10:11]
	s_cbranch_vccz .LBB409_1930
; %bb.1915:
	s_cmp_lt_i32 s16, 27
	s_mov_b64 s[8:9], -1
	s_cbranch_scc1 .LBB409_1921
; %bb.1916:
	s_cmp_gt_i32 s16, 27
	s_cbranch_scc0 .LBB409_1918
; %bb.1917:
	v_cvt_f32_f16_e32 v4, v1
	s_mov_b64 s[8:9], 0
	v_cvt_u32_f32_e32 v4, v4
	global_store_dword v[2:3], v4, off
.LBB409_1918:
	s_andn2_b64 vcc, exec, s[8:9]
	s_cbranch_vccnz .LBB409_1920
; %bb.1919:
	v_cvt_u16_f16_e32 v4, v1
	global_store_short v[2:3], v4, off
.LBB409_1920:
	s_mov_b64 s[8:9], 0
.LBB409_1921:
	s_andn2_b64 vcc, exec, s[8:9]
	s_cbranch_vccnz .LBB409_1929
; %bb.1922:
	v_cvt_f32_f16_e32 v4, v1
	s_mov_b32 s8, 0x43800000
	v_mov_b32_e32 v6, 0x80
	v_and_b32_e32 v5, 0x7fffffff, v4
	v_cmp_gt_u32_e32 vcc, s8, v5
	s_and_saveexec_b64 s[8:9], vcc
	s_cbranch_execz .LBB409_1928
; %bb.1923:
	s_mov_b32 s10, 0x3bffffff
	v_cmp_lt_u32_e32 vcc, s10, v5
	s_mov_b64 s[10:11], 0
                                        ; implicit-def: $vgpr5
	s_and_saveexec_b64 s[12:13], vcc
	s_xor_b64 s[12:13], exec, s[12:13]
	s_cbranch_execz .LBB409_2149
; %bb.1924:
	v_bfe_u32 v5, v4, 20, 1
	s_mov_b32 s17, 0x487ffff
	v_add3_u32 v5, v4, v5, s17
	s_mov_b64 s[10:11], exec
	v_lshrrev_b32_e32 v5, 20, v5
	s_andn2_saveexec_b64 s[12:13], s[12:13]
	s_cbranch_execnz .LBB409_2150
.LBB409_1925:
	s_or_b64 exec, exec, s[12:13]
	v_mov_b32_e32 v6, 0
	s_and_saveexec_b64 s[12:13], s[10:11]
.LBB409_1926:
	v_lshrrev_b32_e32 v4, 24, v4
	s_movk_i32 s10, 0x80
	v_and_or_b32 v6, v4, s10, v5
.LBB409_1927:
	s_or_b64 exec, exec, s[12:13]
.LBB409_1928:
	s_or_b64 exec, exec, s[8:9]
	global_store_byte v[2:3], v6, off
.LBB409_1929:
	s_mov_b64 s[8:9], -1
.LBB409_1930:
	s_mov_b64 s[10:11], 0
.LBB409_1931:
	s_and_b64 vcc, exec, s[10:11]
	s_cbranch_vccz .LBB409_1971
; %bb.1932:
	s_cmp_gt_i32 s16, 22
	s_mov_b64 s[6:7], -1
	s_cbranch_scc0 .LBB409_1964
; %bb.1933:
	s_cmp_lt_i32 s16, 24
	s_cbranch_scc1 .LBB409_1953
; %bb.1934:
	s_cmp_gt_i32 s16, 24
	s_cbranch_scc0 .LBB409_1942
; %bb.1935:
	v_cvt_f32_f16_e32 v4, v1
	s_mov_b32 s6, 0x47800000
	v_mov_b32_e32 v6, 0x80
	v_and_b32_e32 v5, 0x7fffffff, v4
	v_cmp_gt_u32_e32 vcc, s6, v5
	s_and_saveexec_b64 s[6:7], vcc
	s_cbranch_execz .LBB409_1941
; %bb.1936:
	s_mov_b32 s8, 0x37ffffff
	v_cmp_lt_u32_e32 vcc, s8, v5
	s_mov_b64 s[8:9], 0
                                        ; implicit-def: $vgpr5
	s_and_saveexec_b64 s[10:11], vcc
	s_xor_b64 s[10:11], exec, s[10:11]
	s_cbranch_execz .LBB409_2152
; %bb.1937:
	v_bfe_u32 v5, v4, 21, 1
	s_mov_b32 s12, 0x88fffff
	v_add3_u32 v5, v4, v5, s12
	s_mov_b64 s[8:9], exec
	v_lshrrev_b32_e32 v5, 21, v5
	s_andn2_saveexec_b64 s[10:11], s[10:11]
	s_cbranch_execnz .LBB409_2153
.LBB409_1938:
	s_or_b64 exec, exec, s[10:11]
	v_mov_b32_e32 v6, 0
	s_and_saveexec_b64 s[10:11], s[8:9]
.LBB409_1939:
	v_lshrrev_b32_e32 v4, 24, v4
	s_movk_i32 s8, 0x80
	v_and_or_b32 v6, v4, s8, v5
.LBB409_1940:
	s_or_b64 exec, exec, s[10:11]
.LBB409_1941:
	s_or_b64 exec, exec, s[6:7]
	s_mov_b64 s[6:7], 0
	global_store_byte v[2:3], v6, off
.LBB409_1942:
	s_and_b64 vcc, exec, s[6:7]
	s_cbranch_vccz .LBB409_1952
; %bb.1943:
	v_cvt_f32_f16_e32 v4, v1
	s_mov_b32 s6, 0x43f00000
                                        ; implicit-def: $vgpr5
	v_and_b32_e32 v6, 0x7fffffff, v4
	v_cmp_gt_u32_e32 vcc, s6, v6
	s_and_saveexec_b64 s[6:7], vcc
	s_xor_b64 s[6:7], exec, s[6:7]
	s_cbranch_execz .LBB409_1949
; %bb.1944:
	s_mov_b32 s8, 0x3c7fffff
	v_cmp_lt_u32_e32 vcc, s8, v6
                                        ; implicit-def: $vgpr5
	s_and_saveexec_b64 s[8:9], vcc
	s_xor_b64 s[8:9], exec, s[8:9]
; %bb.1945:
	v_bfe_u32 v5, v4, 20, 1
	s_mov_b32 s10, 0x407ffff
	v_add3_u32 v5, v4, v5, s10
	v_lshrrev_b32_e32 v6, 20, v5
	v_and_b32_e32 v5, 0xff00000, v5
	s_mov_b32 s10, 0x7f00000
	v_mov_b32_e32 v7, 0x7e
	v_cmp_ne_u32_e32 vcc, s10, v5
	s_nop 1
	v_cndmask_b32_e32 v5, v7, v6, vcc
; %bb.1946:
	s_andn2_saveexec_b64 s[8:9], s[8:9]
; %bb.1947:
	s_mov_b32 s10, 0x46800000
	v_add_f32_e64 v5, |v4|, s10
; %bb.1948:
	s_or_b64 exec, exec, s[8:9]
                                        ; implicit-def: $vgpr6
.LBB409_1949:
	s_andn2_saveexec_b64 s[6:7], s[6:7]
; %bb.1950:
	s_mov_b32 s8, 0x7f800000
	v_mov_b32_e32 v5, 0x7e
	v_mov_b32_e32 v7, 0x7f
	v_cmp_lt_u32_e32 vcc, s8, v6
	s_nop 1
	v_cndmask_b32_e32 v5, v5, v7, vcc
; %bb.1951:
	s_or_b64 exec, exec, s[6:7]
	v_lshrrev_b32_e32 v4, 24, v4
	s_movk_i32 s6, 0x80
	v_and_or_b32 v4, v4, s6, v5
	global_store_byte v[2:3], v4, off
.LBB409_1952:
	s_mov_b64 s[6:7], 0
.LBB409_1953:
	s_andn2_b64 vcc, exec, s[6:7]
	s_cbranch_vccnz .LBB409_1963
; %bb.1954:
	v_cvt_f32_f16_e32 v4, v1
	s_mov_b32 s6, 0x47800000
                                        ; implicit-def: $vgpr5
	v_and_b32_e32 v6, 0x7fffffff, v4
	v_cmp_gt_u32_e32 vcc, s6, v6
	s_and_saveexec_b64 s[6:7], vcc
	s_xor_b64 s[6:7], exec, s[6:7]
	s_cbranch_execz .LBB409_1960
; %bb.1955:
	s_mov_b32 s8, 0x387fffff
	v_cmp_lt_u32_e32 vcc, s8, v6
                                        ; implicit-def: $vgpr5
	s_and_saveexec_b64 s[8:9], vcc
	s_xor_b64 s[8:9], exec, s[8:9]
; %bb.1956:
	v_bfe_u32 v5, v4, 21, 1
	s_mov_b32 s10, 0x80fffff
	v_add3_u32 v5, v4, v5, s10
	v_lshrrev_b32_e32 v5, 21, v5
; %bb.1957:
	s_andn2_saveexec_b64 s[8:9], s[8:9]
; %bb.1958:
	s_mov_b32 s10, 0x43000000
	v_add_f32_e64 v5, |v4|, s10
; %bb.1959:
	s_or_b64 exec, exec, s[8:9]
                                        ; implicit-def: $vgpr6
.LBB409_1960:
	s_andn2_saveexec_b64 s[6:7], s[6:7]
; %bb.1961:
	s_mov_b32 s8, 0x7f800000
	v_mov_b32_e32 v5, 0x7c
	v_mov_b32_e32 v7, 0x7f
	v_cmp_lt_u32_e32 vcc, s8, v6
	s_nop 1
	v_cndmask_b32_e32 v5, v5, v7, vcc
; %bb.1962:
	s_or_b64 exec, exec, s[6:7]
	v_lshrrev_b32_e32 v4, 24, v4
	s_movk_i32 s6, 0x80
	v_and_or_b32 v4, v4, s6, v5
	global_store_byte v[2:3], v4, off
.LBB409_1963:
	s_mov_b64 s[6:7], 0
	s_mov_b64 s[8:9], -1
.LBB409_1964:
	s_andn2_b64 vcc, exec, s[6:7]
	s_mov_b64 s[6:7], 0
	s_cbranch_vccnz .LBB409_1971
; %bb.1965:
	s_cmp_gt_i32 s16, 14
	s_mov_b64 s[10:11], -1
	s_cbranch_scc0 .LBB409_1969
; %bb.1966:
	s_cmp_eq_u32 s16, 15
	s_mov_b64 s[0:1], -1
	s_cbranch_scc0 .LBB409_1968
; %bb.1967:
	v_cvt_f32_f16_e32 v4, v1
	s_movk_i32 s0, 0x7fff
	v_cmp_o_f16_e32 vcc, v1, v1
	v_mov_b32_e32 v5, 0x7fc0
	v_bfe_u32 v6, v4, 16, 1
	v_add3_u32 v4, v4, v6, s0
	v_cndmask_b32_sdwa v4, v5, v4, vcc dst_sel:DWORD dst_unused:UNUSED_PAD src0_sel:DWORD src1_sel:WORD_1
	global_store_short v[2:3], v4, off
	s_mov_b64 s[0:1], 0
	s_mov_b64 s[8:9], -1
.LBB409_1968:
	s_mov_b64 s[10:11], 0
.LBB409_1969:
	s_and_b64 vcc, exec, s[10:11]
	s_cbranch_vccz .LBB409_1971
; %bb.1970:
	s_cmp_lg_u32 s16, 11
	s_mov_b64 s[6:7], -1
	s_cselect_b64 s[0:1], -1, 0
.LBB409_1971:
	s_and_b64 vcc, exec, s[0:1]
	s_cbranch_vccnz .LBB409_2151
; %bb.1972:
	s_andn2_b64 vcc, exec, s[6:7]
	s_cbranch_vccnz .LBB409_1974
.LBB409_1973:
	v_and_b32_e32 v4, 0x7fff, v1
	v_cmp_ne_u16_e32 vcc, 0, v4
	s_mov_b64 s[8:9], -1
	s_nop 0
	v_cndmask_b32_e64 v4, 0, 1, vcc
	global_store_byte v[2:3], v4, off
.LBB409_1974:
	s_mov_b64 s[0:1], 0
	s_branch .LBB409_1976
.LBB409_1975:
	s_mov_b64 s[0:1], -1
	s_mov_b64 s[8:9], 0
.LBB409_1976:
	s_and_b64 vcc, exec, s[0:1]
	s_cbranch_vccz .LBB409_2015
; %bb.1977:
	s_and_b32 s6, 0xffff, s14
	s_cmp_lt_i32 s6, 5
	s_mov_b64 s[0:1], -1
	s_cbranch_scc1 .LBB409_1998
; %bb.1978:
	s_cmp_lt_i32 s6, 8
	s_cbranch_scc1 .LBB409_1988
; %bb.1979:
	s_cmp_lt_i32 s6, 9
	s_cbranch_scc1 .LBB409_1985
; %bb.1980:
	s_cmp_gt_i32 s6, 9
	s_cbranch_scc0 .LBB409_1982
; %bb.1981:
	v_cvt_f32_f16_e32 v4, v1
	v_mov_b32_e32 v6, 0
	v_mov_b32_e32 v7, v6
	s_mov_b64 s[0:1], 0
	v_cvt_f64_f32_e32 v[4:5], v4
	global_store_dwordx4 v[2:3], v[4:7], off
.LBB409_1982:
	s_andn2_b64 vcc, exec, s[0:1]
	s_cbranch_vccnz .LBB409_1984
; %bb.1983:
	v_cvt_f32_f16_e32 v4, v1
	v_mov_b32_e32 v5, 0
	global_store_dwordx2 v[2:3], v[4:5], off
.LBB409_1984:
	s_mov_b64 s[0:1], 0
.LBB409_1985:
	s_andn2_b64 vcc, exec, s[0:1]
	s_cbranch_vccnz .LBB409_1987
; %bb.1986:
	v_and_b32_e32 v4, 0xffff, v1
	global_store_dword v[2:3], v4, off
.LBB409_1987:
	s_mov_b64 s[0:1], 0
.LBB409_1988:
	s_andn2_b64 vcc, exec, s[0:1]
	s_cbranch_vccnz .LBB409_1997
; %bb.1989:
	s_cmp_lt_i32 s6, 6
	s_mov_b64 s[0:1], -1
	s_cbranch_scc1 .LBB409_1995
; %bb.1990:
	s_cmp_gt_i32 s6, 6
	s_cbranch_scc0 .LBB409_1992
; %bb.1991:
	v_cvt_f32_f16_e32 v4, v1
	s_mov_b64 s[0:1], 0
	v_cvt_f64_f32_e32 v[4:5], v4
	global_store_dwordx2 v[2:3], v[4:5], off
.LBB409_1992:
	s_andn2_b64 vcc, exec, s[0:1]
	s_cbranch_vccnz .LBB409_1994
; %bb.1993:
	v_cvt_f32_f16_e32 v4, v1
	global_store_dword v[2:3], v4, off
.LBB409_1994:
	s_mov_b64 s[0:1], 0
.LBB409_1995:
	s_andn2_b64 vcc, exec, s[0:1]
	s_cbranch_vccnz .LBB409_1997
; %bb.1996:
	global_store_short v[2:3], v1, off
.LBB409_1997:
	s_mov_b64 s[0:1], 0
.LBB409_1998:
	s_andn2_b64 vcc, exec, s[0:1]
	s_cbranch_vccnz .LBB409_2014
; %bb.1999:
	s_cmp_lt_i32 s6, 2
	s_mov_b64 s[0:1], -1
	s_cbranch_scc1 .LBB409_2009
; %bb.2000:
	s_cmp_lt_i32 s6, 3
	s_cbranch_scc1 .LBB409_2006
; %bb.2001:
	s_cmp_gt_i32 s6, 3
	s_cbranch_scc0 .LBB409_2003
; %bb.2002:
	v_cvt_f32_f16_e32 v4, v1
	s_mov_b64 s[0:1], 0
	v_cvt_i32_f32_e32 v4, v4
	v_ashrrev_i32_e32 v5, 31, v4
	global_store_dwordx2 v[2:3], v[4:5], off
.LBB409_2003:
	s_andn2_b64 vcc, exec, s[0:1]
	s_cbranch_vccnz .LBB409_2005
; %bb.2004:
	v_cvt_f32_f16_e32 v4, v1
	v_cvt_i32_f32_e32 v4, v4
	global_store_dword v[2:3], v4, off
.LBB409_2005:
	s_mov_b64 s[0:1], 0
.LBB409_2006:
	s_andn2_b64 vcc, exec, s[0:1]
	s_cbranch_vccnz .LBB409_2008
; %bb.2007:
	v_cvt_i16_f16_e32 v4, v1
	global_store_short v[2:3], v4, off
.LBB409_2008:
	s_mov_b64 s[0:1], 0
.LBB409_2009:
	s_andn2_b64 vcc, exec, s[0:1]
	s_cbranch_vccnz .LBB409_2014
; %bb.2010:
	s_cmp_gt_i32 s6, 0
	s_mov_b64 s[0:1], -1
	s_cbranch_scc0 .LBB409_2012
; %bb.2011:
	v_cvt_i16_f16_e32 v4, v1
	global_store_byte v[2:3], v4, off
	s_mov_b64 s[0:1], 0
.LBB409_2012:
	s_andn2_b64 vcc, exec, s[0:1]
	s_cbranch_vccnz .LBB409_2014
; %bb.2013:
	v_cvt_f32_f16_e32 v1, v1
	v_cvt_i32_f32_e32 v1, v1
	global_store_byte v[2:3], v1, off
.LBB409_2014:
	s_mov_b64 s[8:9], -1
.LBB409_2015:
	s_andn2_b64 vcc, exec, s[8:9]
	s_cbranch_vccnz .LBB409_2092
; %bb.2016:
	v_cmp_u_f16_e32 vcc, v10, v10
	v_cmp_lt_f16_e64 s[0:1], s15, v10
	v_mov_b32_e32 v1, s15
	s_or_b64 vcc, vcc, s[0:1]
	v_cndmask_b32_e32 v2, v1, v10, vcc
	v_mov_b32_e32 v1, 0
	s_cmp_lt_i32 s14, 11
	v_lshl_add_u64 v[0:1], s[4:5], 0, v[0:1]
	s_cbranch_scc1 .LBB409_2137
; %bb.2017:
	s_and_b32 s12, 0xffff, s14
	s_mov_b64 s[6:7], -1
	s_mov_b64 s[4:5], 0
	s_cmp_gt_i32 s12, 25
	s_mov_b64 s[0:1], 0
	s_cbranch_scc0 .LBB409_2050
; %bb.2018:
	s_cmp_gt_i32 s12, 28
	s_cbranch_scc0 .LBB409_2034
; %bb.2019:
	s_cmp_gt_i32 s12, 43
	;; [unrolled: 3-line block ×3, first 2 shown]
	s_cbranch_scc0 .LBB409_2024
; %bb.2021:
	s_cmp_eq_u32 s12, 46
	s_mov_b64 s[0:1], -1
	s_cbranch_scc0 .LBB409_2023
; %bb.2022:
	v_cvt_f32_f16_e32 v3, v2
	s_movk_i32 s0, 0x7fff
	v_cmp_o_f16_e32 vcc, v2, v2
	v_mov_b32_e32 v4, 0x7fc0
	v_bfe_u32 v5, v3, 16, 1
	v_add3_u32 v3, v3, v5, s0
	v_cndmask_b32_sdwa v3, v4, v3, vcc dst_sel:DWORD dst_unused:UNUSED_PAD src0_sel:DWORD src1_sel:WORD_1
	global_store_dword v[0:1], v3, off
	s_mov_b64 s[0:1], 0
.LBB409_2023:
	s_mov_b64 s[6:7], 0
.LBB409_2024:
	s_and_b64 vcc, exec, s[6:7]
	s_cbranch_vccz .LBB409_2029
; %bb.2025:
	s_cmp_eq_u32 s12, 44
	s_mov_b64 s[0:1], -1
	s_cbranch_scc0 .LBB409_2029
; %bb.2026:
	v_cvt_f32_f16_e32 v3, v2
	s_movk_i32 s0, 0xff
	v_mov_b32_e32 v5, 0xff
	v_bfe_u32 v4, v3, 23, 8
	v_cmp_ne_u32_e32 vcc, s0, v4
	s_and_saveexec_b64 s[6:7], vcc
; %bb.2027:
	s_mov_b32 s0, 0x3fffff
	v_lshrrev_b32_e32 v5, 23, v3
	v_and_b32_e32 v6, 0x400000, v3
	v_and_or_b32 v3, v3, s0, v4
	v_cmp_ne_u32_e32 vcc, 0, v6
	v_cmp_ne_u32_e64 s[0:1], 0, v3
	s_and_b64 s[0:1], vcc, s[0:1]
	s_nop 0
	v_cndmask_b32_e64 v3, 0, 1, s[0:1]
	v_add_u32_e32 v5, v5, v3
; %bb.2028:
	s_or_b64 exec, exec, s[6:7]
	s_mov_b64 s[0:1], 0
	global_store_byte v[0:1], v5, off
.LBB409_2029:
	s_mov_b64 s[6:7], 0
.LBB409_2030:
	s_and_b64 vcc, exec, s[6:7]
	s_cbranch_vccz .LBB409_2033
; %bb.2031:
	s_cmp_eq_u32 s12, 29
	s_mov_b64 s[0:1], -1
	s_cbranch_scc0 .LBB409_2033
; %bb.2032:
	v_cvt_f32_f16_e32 v3, v2
	v_mov_b32_e32 v5, 0
	s_mov_b64 s[0:1], 0
	v_cvt_u32_f32_e32 v4, v3
	global_store_dwordx2 v[0:1], v[4:5], off
.LBB409_2033:
	s_mov_b64 s[6:7], 0
.LBB409_2034:
	s_and_b64 vcc, exec, s[6:7]
	s_cbranch_vccz .LBB409_2049
; %bb.2035:
	s_cmp_lt_i32 s12, 27
	s_mov_b64 s[6:7], -1
	s_cbranch_scc1 .LBB409_2041
; %bb.2036:
	s_cmp_gt_i32 s12, 27
	s_cbranch_scc0 .LBB409_2038
; %bb.2037:
	v_cvt_f32_f16_e32 v3, v2
	s_mov_b64 s[6:7], 0
	v_cvt_u32_f32_e32 v3, v3
	global_store_dword v[0:1], v3, off
.LBB409_2038:
	s_andn2_b64 vcc, exec, s[6:7]
	s_cbranch_vccnz .LBB409_2040
; %bb.2039:
	v_cvt_u16_f16_e32 v3, v2
	global_store_short v[0:1], v3, off
.LBB409_2040:
	s_mov_b64 s[6:7], 0
.LBB409_2041:
	s_andn2_b64 vcc, exec, s[6:7]
	s_cbranch_vccnz .LBB409_2049
; %bb.2042:
	v_cvt_f32_f16_e32 v3, v2
	s_mov_b32 s6, 0x43800000
	v_mov_b32_e32 v5, 0x80
	v_and_b32_e32 v4, 0x7fffffff, v3
	v_cmp_gt_u32_e32 vcc, s6, v4
	s_and_saveexec_b64 s[6:7], vcc
	s_cbranch_execz .LBB409_2048
; %bb.2043:
	s_mov_b32 s8, 0x3bffffff
	v_cmp_lt_u32_e32 vcc, s8, v4
	s_mov_b64 s[8:9], 0
                                        ; implicit-def: $vgpr4
	s_and_saveexec_b64 s[10:11], vcc
	s_xor_b64 s[10:11], exec, s[10:11]
	s_cbranch_execz .LBB409_2154
; %bb.2044:
	v_bfe_u32 v4, v3, 20, 1
	s_mov_b32 s13, 0x487ffff
	v_add3_u32 v4, v3, v4, s13
	s_mov_b64 s[8:9], exec
	v_lshrrev_b32_e32 v4, 20, v4
	s_andn2_saveexec_b64 s[10:11], s[10:11]
	s_cbranch_execnz .LBB409_2155
.LBB409_2045:
	s_or_b64 exec, exec, s[10:11]
	v_mov_b32_e32 v5, 0
	s_and_saveexec_b64 s[10:11], s[8:9]
.LBB409_2046:
	v_lshrrev_b32_e32 v3, 24, v3
	s_movk_i32 s8, 0x80
	v_and_or_b32 v5, v3, s8, v4
.LBB409_2047:
	s_or_b64 exec, exec, s[10:11]
.LBB409_2048:
	s_or_b64 exec, exec, s[6:7]
	global_store_byte v[0:1], v5, off
.LBB409_2049:
	s_mov_b64 s[6:7], 0
.LBB409_2050:
	s_and_b64 vcc, exec, s[6:7]
	s_cbranch_vccz .LBB409_2090
; %bb.2051:
	s_cmp_gt_i32 s12, 22
	s_mov_b64 s[4:5], -1
	s_cbranch_scc0 .LBB409_2083
; %bb.2052:
	s_cmp_lt_i32 s12, 24
	s_cbranch_scc1 .LBB409_2072
; %bb.2053:
	s_cmp_gt_i32 s12, 24
	s_cbranch_scc0 .LBB409_2061
; %bb.2054:
	v_cvt_f32_f16_e32 v3, v2
	s_mov_b32 s4, 0x47800000
	v_mov_b32_e32 v5, 0x80
	v_and_b32_e32 v4, 0x7fffffff, v3
	v_cmp_gt_u32_e32 vcc, s4, v4
	s_and_saveexec_b64 s[4:5], vcc
	s_cbranch_execz .LBB409_2060
; %bb.2055:
	s_mov_b32 s6, 0x37ffffff
	v_cmp_lt_u32_e32 vcc, s6, v4
	s_mov_b64 s[6:7], 0
                                        ; implicit-def: $vgpr4
	s_and_saveexec_b64 s[8:9], vcc
	s_xor_b64 s[8:9], exec, s[8:9]
	s_cbranch_execz .LBB409_2157
; %bb.2056:
	v_bfe_u32 v4, v3, 21, 1
	s_mov_b32 s10, 0x88fffff
	v_add3_u32 v4, v3, v4, s10
	s_mov_b64 s[6:7], exec
	v_lshrrev_b32_e32 v4, 21, v4
	s_andn2_saveexec_b64 s[8:9], s[8:9]
	s_cbranch_execnz .LBB409_2158
.LBB409_2057:
	s_or_b64 exec, exec, s[8:9]
	v_mov_b32_e32 v5, 0
	s_and_saveexec_b64 s[8:9], s[6:7]
.LBB409_2058:
	v_lshrrev_b32_e32 v3, 24, v3
	s_movk_i32 s6, 0x80
	v_and_or_b32 v5, v3, s6, v4
.LBB409_2059:
	s_or_b64 exec, exec, s[8:9]
.LBB409_2060:
	s_or_b64 exec, exec, s[4:5]
	s_mov_b64 s[4:5], 0
	global_store_byte v[0:1], v5, off
.LBB409_2061:
	s_and_b64 vcc, exec, s[4:5]
	s_cbranch_vccz .LBB409_2071
; %bb.2062:
	v_cvt_f32_f16_e32 v3, v2
	s_mov_b32 s4, 0x43f00000
                                        ; implicit-def: $vgpr4
	v_and_b32_e32 v5, 0x7fffffff, v3
	v_cmp_gt_u32_e32 vcc, s4, v5
	s_and_saveexec_b64 s[4:5], vcc
	s_xor_b64 s[4:5], exec, s[4:5]
	s_cbranch_execz .LBB409_2068
; %bb.2063:
	s_mov_b32 s6, 0x3c7fffff
	v_cmp_lt_u32_e32 vcc, s6, v5
                                        ; implicit-def: $vgpr4
	s_and_saveexec_b64 s[6:7], vcc
	s_xor_b64 s[6:7], exec, s[6:7]
; %bb.2064:
	v_bfe_u32 v4, v3, 20, 1
	s_mov_b32 s8, 0x407ffff
	v_add3_u32 v4, v3, v4, s8
	v_lshrrev_b32_e32 v5, 20, v4
	v_and_b32_e32 v4, 0xff00000, v4
	s_mov_b32 s8, 0x7f00000
	v_mov_b32_e32 v6, 0x7e
	v_cmp_ne_u32_e32 vcc, s8, v4
	s_nop 1
	v_cndmask_b32_e32 v4, v6, v5, vcc
; %bb.2065:
	s_andn2_saveexec_b64 s[6:7], s[6:7]
; %bb.2066:
	s_mov_b32 s8, 0x46800000
	v_add_f32_e64 v4, |v3|, s8
; %bb.2067:
	s_or_b64 exec, exec, s[6:7]
                                        ; implicit-def: $vgpr5
.LBB409_2068:
	s_andn2_saveexec_b64 s[4:5], s[4:5]
; %bb.2069:
	s_mov_b32 s6, 0x7f800000
	v_mov_b32_e32 v4, 0x7e
	v_mov_b32_e32 v6, 0x7f
	v_cmp_lt_u32_e32 vcc, s6, v5
	s_nop 1
	v_cndmask_b32_e32 v4, v4, v6, vcc
; %bb.2070:
	s_or_b64 exec, exec, s[4:5]
	v_lshrrev_b32_e32 v3, 24, v3
	s_movk_i32 s4, 0x80
	v_and_or_b32 v3, v3, s4, v4
	global_store_byte v[0:1], v3, off
.LBB409_2071:
	s_mov_b64 s[4:5], 0
.LBB409_2072:
	s_andn2_b64 vcc, exec, s[4:5]
	s_cbranch_vccnz .LBB409_2082
; %bb.2073:
	v_cvt_f32_f16_e32 v3, v2
	s_mov_b32 s4, 0x47800000
                                        ; implicit-def: $vgpr4
	v_and_b32_e32 v5, 0x7fffffff, v3
	v_cmp_gt_u32_e32 vcc, s4, v5
	s_and_saveexec_b64 s[4:5], vcc
	s_xor_b64 s[4:5], exec, s[4:5]
	s_cbranch_execz .LBB409_2079
; %bb.2074:
	s_mov_b32 s6, 0x387fffff
	v_cmp_lt_u32_e32 vcc, s6, v5
                                        ; implicit-def: $vgpr4
	s_and_saveexec_b64 s[6:7], vcc
	s_xor_b64 s[6:7], exec, s[6:7]
; %bb.2075:
	v_bfe_u32 v4, v3, 21, 1
	s_mov_b32 s8, 0x80fffff
	v_add3_u32 v4, v3, v4, s8
	v_lshrrev_b32_e32 v4, 21, v4
; %bb.2076:
	s_andn2_saveexec_b64 s[6:7], s[6:7]
; %bb.2077:
	s_mov_b32 s8, 0x43000000
	v_add_f32_e64 v4, |v3|, s8
; %bb.2078:
	s_or_b64 exec, exec, s[6:7]
                                        ; implicit-def: $vgpr5
.LBB409_2079:
	s_andn2_saveexec_b64 s[4:5], s[4:5]
; %bb.2080:
	s_mov_b32 s6, 0x7f800000
	v_mov_b32_e32 v4, 0x7c
	v_mov_b32_e32 v6, 0x7f
	v_cmp_lt_u32_e32 vcc, s6, v5
	s_nop 1
	v_cndmask_b32_e32 v4, v4, v6, vcc
; %bb.2081:
	s_or_b64 exec, exec, s[4:5]
	v_lshrrev_b32_e32 v3, 24, v3
	s_movk_i32 s4, 0x80
	v_and_or_b32 v3, v3, s4, v4
	global_store_byte v[0:1], v3, off
.LBB409_2082:
	s_mov_b64 s[4:5], 0
.LBB409_2083:
	s_andn2_b64 vcc, exec, s[4:5]
	s_mov_b64 s[4:5], 0
	s_cbranch_vccnz .LBB409_2090
; %bb.2084:
	s_cmp_gt_i32 s12, 14
	s_mov_b64 s[6:7], -1
	s_cbranch_scc0 .LBB409_2088
; %bb.2085:
	s_cmp_eq_u32 s12, 15
	s_mov_b64 s[0:1], -1
	s_cbranch_scc0 .LBB409_2087
; %bb.2086:
	v_cvt_f32_f16_e32 v3, v2
	s_movk_i32 s0, 0x7fff
	v_cmp_o_f16_e32 vcc, v2, v2
	v_mov_b32_e32 v4, 0x7fc0
	v_bfe_u32 v5, v3, 16, 1
	v_add3_u32 v3, v3, v5, s0
	v_cndmask_b32_sdwa v3, v4, v3, vcc dst_sel:DWORD dst_unused:UNUSED_PAD src0_sel:DWORD src1_sel:WORD_1
	global_store_short v[0:1], v3, off
	s_mov_b64 s[0:1], 0
.LBB409_2087:
	s_mov_b64 s[6:7], 0
.LBB409_2088:
	s_and_b64 vcc, exec, s[6:7]
	s_cbranch_vccz .LBB409_2090
; %bb.2089:
	s_cmp_lg_u32 s12, 11
	s_mov_b64 s[4:5], -1
	s_cselect_b64 s[0:1], -1, 0
.LBB409_2090:
	s_and_b64 vcc, exec, s[0:1]
	s_cbranch_vccnz .LBB409_2156
.LBB409_2091:
	s_mov_b64 s[0:1], 0
	s_branch .LBB409_2093
.LBB409_2092:
	s_mov_b64 s[0:1], 0
	s_mov_b64 s[4:5], 0
                                        ; implicit-def: $vgpr0_vgpr1
                                        ; implicit-def: $sgpr14
                                        ; implicit-def: $vgpr2
.LBB409_2093:
	s_and_b64 s[6:7], s[0:1], exec
	s_andn2_b64 s[0:1], s[24:25], exec
	s_and_b64 s[2:3], s[2:3], exec
	s_and_b64 s[40:41], s[4:5], exec
	s_or_b64 s[24:25], s[0:1], s[2:3]
.LBB409_2094:
	s_or_b64 exec, exec, s[26:27]
	s_and_saveexec_b64 s[0:1], s[24:25]
	s_cbranch_execz .LBB409_2097
; %bb.2095:
	; divergent unreachable
	s_or_b64 exec, exec, s[0:1]
	s_and_saveexec_b64 s[0:1], s[40:41]
	s_xor_b64 s[0:1], exec, s[0:1]
	s_cbranch_execnz .LBB409_2098
.LBB409_2096:
	s_or_b64 exec, exec, s[0:1]
	s_and_saveexec_b64 s[0:1], s[6:7]
	s_cbranch_execnz .LBB409_2099
	s_branch .LBB409_2136
.LBB409_2097:
	s_or_b64 exec, exec, s[0:1]
	s_and_saveexec_b64 s[0:1], s[40:41]
	s_xor_b64 s[0:1], exec, s[0:1]
	s_cbranch_execz .LBB409_2096
.LBB409_2098:
	s_waitcnt vmcnt(0)
	v_and_b32_e32 v3, 0x7fff, v2
	v_cmp_ne_u16_e32 vcc, 0, v3
	s_nop 1
	v_cndmask_b32_e64 v3, 0, 1, vcc
	global_store_byte v[0:1], v3, off
	s_or_b64 exec, exec, s[0:1]
	s_and_saveexec_b64 s[0:1], s[6:7]
	s_cbranch_execz .LBB409_2136
.LBB409_2099:
	s_sext_i32_i16 s2, s14
	s_cmp_lt_i32 s2, 5
	s_mov_b64 s[0:1], -1
	s_cbranch_scc1 .LBB409_2120
; %bb.2100:
	s_cmp_lt_i32 s2, 8
	s_cbranch_scc1 .LBB409_2110
; %bb.2101:
	s_cmp_lt_i32 s2, 9
	s_cbranch_scc1 .LBB409_2107
; %bb.2102:
	s_cmp_gt_i32 s2, 9
	s_cbranch_scc0 .LBB409_2104
; %bb.2103:
	s_waitcnt vmcnt(0)
	v_cvt_f32_f16_e32 v3, v2
	v_mov_b32_e32 v6, 0
	v_mov_b32_e32 v7, v6
	s_mov_b64 s[0:1], 0
	v_cvt_f64_f32_e32 v[4:5], v3
	global_store_dwordx4 v[0:1], v[4:7], off
.LBB409_2104:
	s_andn2_b64 vcc, exec, s[0:1]
	s_cbranch_vccnz .LBB409_2106
; %bb.2105:
	v_cvt_f32_f16_e32 v4, v2
	v_mov_b32_e32 v5, 0
	s_waitcnt vmcnt(0)
	global_store_dwordx2 v[0:1], v[4:5], off
.LBB409_2106:
	s_mov_b64 s[0:1], 0
.LBB409_2107:
	s_andn2_b64 vcc, exec, s[0:1]
	s_cbranch_vccnz .LBB409_2109
; %bb.2108:
	s_waitcnt vmcnt(0)
	v_and_b32_e32 v3, 0xffff, v2
	global_store_dword v[0:1], v3, off
.LBB409_2109:
	s_mov_b64 s[0:1], 0
.LBB409_2110:
	s_andn2_b64 vcc, exec, s[0:1]
	s_cbranch_vccnz .LBB409_2119
; %bb.2111:
	s_sext_i32_i16 s2, s14
	s_cmp_lt_i32 s2, 6
	s_mov_b64 s[0:1], -1
	s_cbranch_scc1 .LBB409_2117
; %bb.2112:
	s_cmp_gt_i32 s2, 6
	s_cbranch_scc0 .LBB409_2114
; %bb.2113:
	s_waitcnt vmcnt(0)
	v_cvt_f32_f16_e32 v3, v2
	s_mov_b64 s[0:1], 0
	v_cvt_f64_f32_e32 v[4:5], v3
	global_store_dwordx2 v[0:1], v[4:5], off
.LBB409_2114:
	s_andn2_b64 vcc, exec, s[0:1]
	s_cbranch_vccnz .LBB409_2116
; %bb.2115:
	s_waitcnt vmcnt(0)
	v_cvt_f32_f16_e32 v3, v2
	global_store_dword v[0:1], v3, off
.LBB409_2116:
	s_mov_b64 s[0:1], 0
.LBB409_2117:
	s_andn2_b64 vcc, exec, s[0:1]
	s_cbranch_vccnz .LBB409_2119
; %bb.2118:
	s_waitcnt vmcnt(0)
	global_store_short v[0:1], v2, off
.LBB409_2119:
	s_mov_b64 s[0:1], 0
.LBB409_2120:
	s_andn2_b64 vcc, exec, s[0:1]
	s_cbranch_vccnz .LBB409_2136
; %bb.2121:
	s_sext_i32_i16 s2, s14
	s_cmp_lt_i32 s2, 2
	s_mov_b64 s[0:1], -1
	s_cbranch_scc1 .LBB409_2131
; %bb.2122:
	s_cmp_lt_i32 s2, 3
	s_cbranch_scc1 .LBB409_2128
; %bb.2123:
	s_cmp_gt_i32 s2, 3
	s_cbranch_scc0 .LBB409_2125
; %bb.2124:
	s_waitcnt vmcnt(0)
	v_cvt_f32_f16_e32 v3, v2
	s_mov_b64 s[0:1], 0
	v_cvt_i32_f32_e32 v4, v3
	v_ashrrev_i32_e32 v5, 31, v4
	global_store_dwordx2 v[0:1], v[4:5], off
.LBB409_2125:
	s_andn2_b64 vcc, exec, s[0:1]
	s_cbranch_vccnz .LBB409_2127
; %bb.2126:
	s_waitcnt vmcnt(0)
	v_cvt_f32_f16_e32 v3, v2
	v_cvt_i32_f32_e32 v3, v3
	global_store_dword v[0:1], v3, off
.LBB409_2127:
	s_mov_b64 s[0:1], 0
.LBB409_2128:
	s_andn2_b64 vcc, exec, s[0:1]
	s_cbranch_vccnz .LBB409_2130
; %bb.2129:
	s_waitcnt vmcnt(0)
	v_cvt_i16_f16_e32 v3, v2
	global_store_short v[0:1], v3, off
.LBB409_2130:
	s_mov_b64 s[0:1], 0
.LBB409_2131:
	s_andn2_b64 vcc, exec, s[0:1]
	s_cbranch_vccnz .LBB409_2136
; %bb.2132:
	s_sext_i32_i16 s0, s14
	s_cmp_gt_i32 s0, 0
	s_mov_b64 s[0:1], -1
	s_cbranch_scc0 .LBB409_2134
; %bb.2133:
	s_waitcnt vmcnt(0)
	v_cvt_i16_f16_e32 v3, v2
	global_store_byte v[0:1], v3, off
	s_mov_b64 s[0:1], 0
.LBB409_2134:
	s_andn2_b64 vcc, exec, s[0:1]
	s_cbranch_vccnz .LBB409_2136
; %bb.2135:
	v_cvt_f32_f16_e32 v2, v2
	v_cvt_i32_f32_e32 v2, v2
	s_waitcnt vmcnt(0)
	global_store_byte v[0:1], v2, off
	s_endpgm
.LBB409_2136:
	s_endpgm
.LBB409_2137:
	s_mov_b64 s[4:5], 0
	s_mov_b64 s[0:1], -1
	s_branch .LBB409_2093
.LBB409_2138:
	s_trap 2
	s_or_b64 s[2:3], s[2:3], exec
	s_cbranch_execz .LBB409_1607
	s_branch .LBB409_1608
.LBB409_2139:
	s_andn2_saveexec_b64 s[12:13], s[12:13]
	s_cbranch_execz .LBB409_1687
.LBB409_2140:
	s_mov_b32 s18, 0x46000000
	v_add_f32_e64 v8, |v5|, s18
	v_and_b32_e32 v8, 0xff, v8
	v_cmp_ne_u32_e32 vcc, 0, v8
	s_andn2_b64 s[10:11], s[10:11], exec
	s_and_b64 s[18:19], vcc, exec
	s_or_b64 s[10:11], s[10:11], s[18:19]
	s_or_b64 exec, exec, s[12:13]
	v_mov_b32_e32 v9, 0
	s_and_saveexec_b64 s[12:13], s[10:11]
	s_cbranch_execnz .LBB409_1688
	s_branch .LBB409_1689
.LBB409_2141:
	s_trap 2
	s_or_b64 s[2:3], s[2:3], exec
	s_cbranch_execz .LBB409_1735
	s_branch .LBB409_1736
.LBB409_2142:
	s_andn2_saveexec_b64 s[10:11], s[10:11]
	s_cbranch_execz .LBB409_1700
.LBB409_2143:
	s_mov_b32 s12, 0x42800000
	v_add_f32_e64 v8, |v5|, s12
	v_and_b32_e32 v8, 0xff, v8
	v_cmp_ne_u32_e32 vcc, 0, v8
	s_andn2_b64 s[8:9], s[8:9], exec
	s_and_b64 s[12:13], vcc, exec
	s_or_b64 s[8:9], s[8:9], s[12:13]
	s_or_b64 exec, exec, s[10:11]
	v_mov_b32_e32 v9, 0
	s_and_saveexec_b64 s[10:11], s[8:9]
	s_cbranch_execnz .LBB409_1701
	s_branch .LBB409_1702
.LBB409_2144:
	s_andn2_saveexec_b64 s[12:13], s[12:13]
	s_cbranch_execz .LBB409_1806
.LBB409_2145:
	s_mov_b32 s17, 0x46000000
	v_add_f32_e64 v6, |v3|, s17
	v_and_b32_e32 v6, 0xff, v6
	v_cmp_ne_u32_e32 vcc, 0, v6
	s_andn2_b64 s[10:11], s[10:11], exec
	s_and_b64 s[18:19], vcc, exec
	s_or_b64 s[10:11], s[10:11], s[18:19]
	s_or_b64 exec, exec, s[12:13]
	v_mov_b32_e32 v7, 0
	s_and_saveexec_b64 s[12:13], s[10:11]
	s_cbranch_execnz .LBB409_1807
	s_branch .LBB409_1808
.LBB409_2146:
	s_trap 2
	s_or_b64 s[2:3], s[2:3], exec
	s_cbranch_execz .LBB409_1854
	s_branch .LBB409_1855
.LBB409_2147:
	s_andn2_saveexec_b64 s[10:11], s[10:11]
	s_cbranch_execz .LBB409_1819
.LBB409_2148:
	s_mov_b32 s12, 0x42800000
	v_add_f32_e64 v6, |v3|, s12
	v_and_b32_e32 v6, 0xff, v6
	v_cmp_ne_u32_e32 vcc, 0, v6
	s_andn2_b64 s[8:9], s[8:9], exec
	s_and_b64 s[12:13], vcc, exec
	s_or_b64 s[8:9], s[8:9], s[12:13]
	s_or_b64 exec, exec, s[10:11]
	v_mov_b32_e32 v7, 0
	s_and_saveexec_b64 s[10:11], s[8:9]
	s_cbranch_execnz .LBB409_1820
	s_branch .LBB409_1821
.LBB409_2149:
	s_andn2_saveexec_b64 s[12:13], s[12:13]
	s_cbranch_execz .LBB409_1925
.LBB409_2150:
	s_mov_b32 s17, 0x46000000
	v_add_f32_e64 v5, |v4|, s17
	v_and_b32_e32 v5, 0xff, v5
	v_cmp_ne_u32_e32 vcc, 0, v5
	s_andn2_b64 s[10:11], s[10:11], exec
	s_and_b64 s[18:19], vcc, exec
	s_or_b64 s[10:11], s[10:11], s[18:19]
	s_or_b64 exec, exec, s[12:13]
	v_mov_b32_e32 v6, 0
	s_and_saveexec_b64 s[12:13], s[10:11]
	s_cbranch_execnz .LBB409_1926
	s_branch .LBB409_1927
.LBB409_2151:
	s_trap 2
	s_or_b64 s[2:3], s[2:3], exec
	s_cbranch_execz .LBB409_1973
	s_branch .LBB409_1974
.LBB409_2152:
	s_andn2_saveexec_b64 s[10:11], s[10:11]
	s_cbranch_execz .LBB409_1938
.LBB409_2153:
	s_mov_b32 s12, 0x42800000
	v_add_f32_e64 v5, |v4|, s12
	v_and_b32_e32 v5, 0xff, v5
	v_cmp_ne_u32_e32 vcc, 0, v5
	s_andn2_b64 s[8:9], s[8:9], exec
	s_and_b64 s[12:13], vcc, exec
	s_or_b64 s[8:9], s[8:9], s[12:13]
	s_or_b64 exec, exec, s[10:11]
	v_mov_b32_e32 v6, 0
	s_and_saveexec_b64 s[10:11], s[8:9]
	s_cbranch_execnz .LBB409_1939
	s_branch .LBB409_1940
.LBB409_2154:
	s_andn2_saveexec_b64 s[10:11], s[10:11]
	s_cbranch_execz .LBB409_2045
.LBB409_2155:
	s_mov_b32 s13, 0x46000000
	v_add_f32_e64 v4, |v3|, s13
	v_and_b32_e32 v4, 0xff, v4
	v_cmp_ne_u32_e32 vcc, 0, v4
	s_andn2_b64 s[8:9], s[8:9], exec
	s_and_b64 s[16:17], vcc, exec
	s_or_b64 s[8:9], s[8:9], s[16:17]
	s_or_b64 exec, exec, s[10:11]
	v_mov_b32_e32 v5, 0
	s_and_saveexec_b64 s[10:11], s[8:9]
	s_cbranch_execnz .LBB409_2046
	s_branch .LBB409_2047
.LBB409_2156:
	s_mov_b64 s[4:5], 0
	s_or_b64 s[2:3], s[2:3], exec
	s_trap 2
	s_branch .LBB409_2091
.LBB409_2157:
	s_andn2_saveexec_b64 s[8:9], s[8:9]
	s_cbranch_execz .LBB409_2057
.LBB409_2158:
	s_mov_b32 s10, 0x42800000
	v_add_f32_e64 v4, |v3|, s10
	v_and_b32_e32 v4, 0xff, v4
	v_cmp_ne_u32_e32 vcc, 0, v4
	s_andn2_b64 s[6:7], s[6:7], exec
	s_and_b64 s[10:11], vcc, exec
	s_or_b64 s[6:7], s[6:7], s[10:11]
	s_or_b64 exec, exec, s[8:9]
	v_mov_b32_e32 v5, 0
	s_and_saveexec_b64 s[8:9], s[6:7]
	s_cbranch_execnz .LBB409_2058
	s_branch .LBB409_2059
	.section	.rodata,"a",@progbits
	.p2align	6, 0x0
	.amdhsa_kernel _ZN2at6native32elementwise_kernel_manual_unrollILi128ELi4EZNS0_15gpu_kernel_implIZZZNS0_21clamp_min_kernel_cudaERNS_18TensorIteratorBaseERKN3c106ScalarEENKUlvE_clEvENKUlvE6_clEvEUlNS5_4HalfEE_EEvS4_RKT_EUlibE0_EEviT1_
		.amdhsa_group_segment_fixed_size 0
		.amdhsa_private_segment_fixed_size 0
		.amdhsa_kernarg_size 360
		.amdhsa_user_sgpr_count 2
		.amdhsa_user_sgpr_dispatch_ptr 0
		.amdhsa_user_sgpr_queue_ptr 0
		.amdhsa_user_sgpr_kernarg_segment_ptr 1
		.amdhsa_user_sgpr_dispatch_id 0
		.amdhsa_user_sgpr_kernarg_preload_length 0
		.amdhsa_user_sgpr_kernarg_preload_offset 0
		.amdhsa_user_sgpr_private_segment_size 0
		.amdhsa_uses_dynamic_stack 0
		.amdhsa_enable_private_segment 0
		.amdhsa_system_sgpr_workgroup_id_x 1
		.amdhsa_system_sgpr_workgroup_id_y 0
		.amdhsa_system_sgpr_workgroup_id_z 0
		.amdhsa_system_sgpr_workgroup_info 0
		.amdhsa_system_vgpr_workitem_id 0
		.amdhsa_next_free_vgpr 18
		.amdhsa_next_free_sgpr 79
		.amdhsa_accum_offset 20
		.amdhsa_reserve_vcc 1
		.amdhsa_float_round_mode_32 0
		.amdhsa_float_round_mode_16_64 0
		.amdhsa_float_denorm_mode_32 3
		.amdhsa_float_denorm_mode_16_64 3
		.amdhsa_dx10_clamp 1
		.amdhsa_ieee_mode 1
		.amdhsa_fp16_overflow 0
		.amdhsa_tg_split 0
		.amdhsa_exception_fp_ieee_invalid_op 0
		.amdhsa_exception_fp_denorm_src 0
		.amdhsa_exception_fp_ieee_div_zero 0
		.amdhsa_exception_fp_ieee_overflow 0
		.amdhsa_exception_fp_ieee_underflow 0
		.amdhsa_exception_fp_ieee_inexact 0
		.amdhsa_exception_int_div_zero 0
	.end_amdhsa_kernel
	.section	.text._ZN2at6native32elementwise_kernel_manual_unrollILi128ELi4EZNS0_15gpu_kernel_implIZZZNS0_21clamp_min_kernel_cudaERNS_18TensorIteratorBaseERKN3c106ScalarEENKUlvE_clEvENKUlvE6_clEvEUlNS5_4HalfEE_EEvS4_RKT_EUlibE0_EEviT1_,"axG",@progbits,_ZN2at6native32elementwise_kernel_manual_unrollILi128ELi4EZNS0_15gpu_kernel_implIZZZNS0_21clamp_min_kernel_cudaERNS_18TensorIteratorBaseERKN3c106ScalarEENKUlvE_clEvENKUlvE6_clEvEUlNS5_4HalfEE_EEvS4_RKT_EUlibE0_EEviT1_,comdat
.Lfunc_end409:
	.size	_ZN2at6native32elementwise_kernel_manual_unrollILi128ELi4EZNS0_15gpu_kernel_implIZZZNS0_21clamp_min_kernel_cudaERNS_18TensorIteratorBaseERKN3c106ScalarEENKUlvE_clEvENKUlvE6_clEvEUlNS5_4HalfEE_EEvS4_RKT_EUlibE0_EEviT1_, .Lfunc_end409-_ZN2at6native32elementwise_kernel_manual_unrollILi128ELi4EZNS0_15gpu_kernel_implIZZZNS0_21clamp_min_kernel_cudaERNS_18TensorIteratorBaseERKN3c106ScalarEENKUlvE_clEvENKUlvE6_clEvEUlNS5_4HalfEE_EEvS4_RKT_EUlibE0_EEviT1_
                                        ; -- End function
	.set _ZN2at6native32elementwise_kernel_manual_unrollILi128ELi4EZNS0_15gpu_kernel_implIZZZNS0_21clamp_min_kernel_cudaERNS_18TensorIteratorBaseERKN3c106ScalarEENKUlvE_clEvENKUlvE6_clEvEUlNS5_4HalfEE_EEvS4_RKT_EUlibE0_EEviT1_.num_vgpr, 18
	.set _ZN2at6native32elementwise_kernel_manual_unrollILi128ELi4EZNS0_15gpu_kernel_implIZZZNS0_21clamp_min_kernel_cudaERNS_18TensorIteratorBaseERKN3c106ScalarEENKUlvE_clEvENKUlvE6_clEvEUlNS5_4HalfEE_EEvS4_RKT_EUlibE0_EEviT1_.num_agpr, 0
	.set _ZN2at6native32elementwise_kernel_manual_unrollILi128ELi4EZNS0_15gpu_kernel_implIZZZNS0_21clamp_min_kernel_cudaERNS_18TensorIteratorBaseERKN3c106ScalarEENKUlvE_clEvENKUlvE6_clEvEUlNS5_4HalfEE_EEvS4_RKT_EUlibE0_EEviT1_.numbered_sgpr, 79
	.set _ZN2at6native32elementwise_kernel_manual_unrollILi128ELi4EZNS0_15gpu_kernel_implIZZZNS0_21clamp_min_kernel_cudaERNS_18TensorIteratorBaseERKN3c106ScalarEENKUlvE_clEvENKUlvE6_clEvEUlNS5_4HalfEE_EEvS4_RKT_EUlibE0_EEviT1_.num_named_barrier, 0
	.set _ZN2at6native32elementwise_kernel_manual_unrollILi128ELi4EZNS0_15gpu_kernel_implIZZZNS0_21clamp_min_kernel_cudaERNS_18TensorIteratorBaseERKN3c106ScalarEENKUlvE_clEvENKUlvE6_clEvEUlNS5_4HalfEE_EEvS4_RKT_EUlibE0_EEviT1_.private_seg_size, 0
	.set _ZN2at6native32elementwise_kernel_manual_unrollILi128ELi4EZNS0_15gpu_kernel_implIZZZNS0_21clamp_min_kernel_cudaERNS_18TensorIteratorBaseERKN3c106ScalarEENKUlvE_clEvENKUlvE6_clEvEUlNS5_4HalfEE_EEvS4_RKT_EUlibE0_EEviT1_.uses_vcc, 1
	.set _ZN2at6native32elementwise_kernel_manual_unrollILi128ELi4EZNS0_15gpu_kernel_implIZZZNS0_21clamp_min_kernel_cudaERNS_18TensorIteratorBaseERKN3c106ScalarEENKUlvE_clEvENKUlvE6_clEvEUlNS5_4HalfEE_EEvS4_RKT_EUlibE0_EEviT1_.uses_flat_scratch, 0
	.set _ZN2at6native32elementwise_kernel_manual_unrollILi128ELi4EZNS0_15gpu_kernel_implIZZZNS0_21clamp_min_kernel_cudaERNS_18TensorIteratorBaseERKN3c106ScalarEENKUlvE_clEvENKUlvE6_clEvEUlNS5_4HalfEE_EEvS4_RKT_EUlibE0_EEviT1_.has_dyn_sized_stack, 0
	.set _ZN2at6native32elementwise_kernel_manual_unrollILi128ELi4EZNS0_15gpu_kernel_implIZZZNS0_21clamp_min_kernel_cudaERNS_18TensorIteratorBaseERKN3c106ScalarEENKUlvE_clEvENKUlvE6_clEvEUlNS5_4HalfEE_EEvS4_RKT_EUlibE0_EEviT1_.has_recursion, 0
	.set _ZN2at6native32elementwise_kernel_manual_unrollILi128ELi4EZNS0_15gpu_kernel_implIZZZNS0_21clamp_min_kernel_cudaERNS_18TensorIteratorBaseERKN3c106ScalarEENKUlvE_clEvENKUlvE6_clEvEUlNS5_4HalfEE_EEvS4_RKT_EUlibE0_EEviT1_.has_indirect_call, 0
	.section	.AMDGPU.csdata,"",@progbits
; Kernel info:
; codeLenInByte = 41800
; TotalNumSgprs: 85
; NumVgprs: 18
; NumAgprs: 0
; TotalNumVgprs: 18
; ScratchSize: 0
; MemoryBound: 0
; FloatMode: 240
; IeeeMode: 1
; LDSByteSize: 0 bytes/workgroup (compile time only)
; SGPRBlocks: 10
; VGPRBlocks: 2
; NumSGPRsForWavesPerEU: 85
; NumVGPRsForWavesPerEU: 18
; AccumOffset: 20
; Occupancy: 8
; WaveLimiterHint : 1
; COMPUTE_PGM_RSRC2:SCRATCH_EN: 0
; COMPUTE_PGM_RSRC2:USER_SGPR: 2
; COMPUTE_PGM_RSRC2:TRAP_HANDLER: 0
; COMPUTE_PGM_RSRC2:TGID_X_EN: 1
; COMPUTE_PGM_RSRC2:TGID_Y_EN: 0
; COMPUTE_PGM_RSRC2:TGID_Z_EN: 0
; COMPUTE_PGM_RSRC2:TIDIG_COMP_CNT: 0
; COMPUTE_PGM_RSRC3_GFX90A:ACCUM_OFFSET: 4
; COMPUTE_PGM_RSRC3_GFX90A:TG_SPLIT: 0
	.section	.text._ZN2at6native29vectorized_elementwise_kernelILi16EZZZNS0_21clamp_min_kernel_cudaERNS_18TensorIteratorBaseERKN3c106ScalarEENKUlvE_clEvENKUlvE7_clEvEUlNS4_8BFloat16EE_St5arrayIPcLm2EEEEviT0_T1_,"axG",@progbits,_ZN2at6native29vectorized_elementwise_kernelILi16EZZZNS0_21clamp_min_kernel_cudaERNS_18TensorIteratorBaseERKN3c106ScalarEENKUlvE_clEvENKUlvE7_clEvEUlNS4_8BFloat16EE_St5arrayIPcLm2EEEEviT0_T1_,comdat
	.globl	_ZN2at6native29vectorized_elementwise_kernelILi16EZZZNS0_21clamp_min_kernel_cudaERNS_18TensorIteratorBaseERKN3c106ScalarEENKUlvE_clEvENKUlvE7_clEvEUlNS4_8BFloat16EE_St5arrayIPcLm2EEEEviT0_T1_ ; -- Begin function _ZN2at6native29vectorized_elementwise_kernelILi16EZZZNS0_21clamp_min_kernel_cudaERNS_18TensorIteratorBaseERKN3c106ScalarEENKUlvE_clEvENKUlvE7_clEvEUlNS4_8BFloat16EE_St5arrayIPcLm2EEEEviT0_T1_
	.p2align	8
	.type	_ZN2at6native29vectorized_elementwise_kernelILi16EZZZNS0_21clamp_min_kernel_cudaERNS_18TensorIteratorBaseERKN3c106ScalarEENKUlvE_clEvENKUlvE7_clEvEUlNS4_8BFloat16EE_St5arrayIPcLm2EEEEviT0_T1_,@function
_ZN2at6native29vectorized_elementwise_kernelILi16EZZZNS0_21clamp_min_kernel_cudaERNS_18TensorIteratorBaseERKN3c106ScalarEENKUlvE_clEvENKUlvE7_clEvEUlNS4_8BFloat16EE_St5arrayIPcLm2EEEEviT0_T1_: ; @_ZN2at6native29vectorized_elementwise_kernelILi16EZZZNS0_21clamp_min_kernel_cudaERNS_18TensorIteratorBaseERKN3c106ScalarEENKUlvE_clEvENKUlvE7_clEvEUlNS4_8BFloat16EE_St5arrayIPcLm2EEEEviT0_T1_
; %bb.0:
	s_load_dwordx2 s[30:31], s[0:1], 0x0
	s_load_dwordx4 s[36:39], s[0:1], 0x8
	s_lshl_b32 s34, s2, 11
	s_mov_b64 s[0:1], -1
	s_waitcnt lgkmcnt(0)
	s_sub_i32 s30, s30, s34
	s_cmpk_gt_i32 s30, 0x7ff
	s_cbranch_scc0 .LBB410_2
; %bb.1:
	s_ashr_i32 s35, s34, 31
	s_lshl_b64 s[0:1], s[34:35], 1
	s_add_u32 s2, s38, s0
	s_addc_u32 s3, s39, s1
	v_lshlrev_b32_e32 v1, 4, v0
	global_load_dwordx4 v[2:5], v1, s[2:3]
	s_lshl_b32 s28, s31, 16
	s_add_u32 s40, s36, s0
	v_mov_b32_e32 v6, s31
	s_addc_u32 s41, s37, s1
	s_mov_b32 s33, 0x5040100
	s_waitcnt vmcnt(0)
	v_and_b32_e32 v8, 0xffff0000, v2
	v_lshlrev_b32_e32 v7, 16, v2
	v_cmp_u_f32_e32 vcc, v8, v8
	v_cmp_lt_f32_e64 s[2:3], s28, v8
	v_lshrrev_b32_e32 v9, 16, v2
	v_and_b32_e32 v11, 0xffff0000, v3
	v_cmp_u_f32_e64 s[0:1], v7, v7
	v_cmp_lt_f32_e64 s[4:5], s28, v7
	s_or_b64 vcc, vcc, s[2:3]
	v_lshlrev_b32_e32 v10, 16, v3
	v_cmp_u_f32_e64 s[6:7], v11, v11
	v_cmp_lt_f32_e64 s[10:11], s28, v11
	v_cndmask_b32_e32 v7, v6, v9, vcc
	s_or_b64 vcc, s[0:1], s[4:5]
	v_lshrrev_b32_e32 v12, 16, v3
	v_and_b32_e32 v14, 0xffff0000, v4
	v_cmp_u_f32_e64 s[8:9], v10, v10
	v_cmp_lt_f32_e64 s[12:13], s28, v10
	v_cndmask_b32_e32 v2, v6, v2, vcc
	s_or_b64 vcc, s[6:7], s[10:11]
	v_lshlrev_b32_e32 v13, 16, v4
	v_cmp_u_f32_e64 s[14:15], v14, v14
	v_cmp_lt_f32_e64 s[18:19], s28, v14
	v_cndmask_b32_e32 v8, v6, v12, vcc
	s_or_b64 vcc, s[8:9], s[12:13]
	v_lshrrev_b32_e32 v15, 16, v4
	v_and_b32_e32 v17, 0xffff0000, v5
	v_cmp_u_f32_e64 s[16:17], v13, v13
	v_cmp_lt_f32_e64 s[20:21], s28, v13
	v_cndmask_b32_e32 v3, v6, v3, vcc
	s_or_b64 vcc, s[14:15], s[18:19]
	v_lshlrev_b32_e32 v16, 16, v5
	v_cmp_u_f32_e64 s[22:23], v17, v17
	v_cmp_lt_f32_e64 s[26:27], s28, v17
	v_cndmask_b32_e32 v9, v6, v15, vcc
	s_or_b64 vcc, s[16:17], s[20:21]
	v_lshrrev_b32_e32 v18, 16, v5
	v_cmp_u_f32_e64 s[24:25], v16, v16
	v_cmp_lt_f32_e64 s[28:29], s28, v16
	v_cndmask_b32_e32 v4, v6, v4, vcc
	s_or_b64 vcc, s[22:23], s[26:27]
	v_cndmask_b32_e32 v10, v6, v18, vcc
	s_or_b64 vcc, s[24:25], s[28:29]
	v_cndmask_b32_e32 v5, v6, v5, vcc
	v_perm_b32 v5, v10, v5, s33
	v_perm_b32 v4, v9, v4, s33
	;; [unrolled: 1-line block ×4, first 2 shown]
	global_store_dwordx4 v1, v[2:5], s[40:41]
	s_mov_b64 s[0:1], 0
.LBB410_2:
	s_andn2_b64 vcc, exec, s[0:1]
	s_cbranch_vccnz .LBB410_28
; %bb.3:
	v_cmp_gt_i32_e32 vcc, s30, v0
	v_mov_b32_e32 v6, 0
	v_or_b32_e32 v2, s34, v0
	v_mov_b32_e32 v9, 0
	v_mov_b32_e32 v3, v0
	s_and_saveexec_b64 s[0:1], vcc
	s_cbranch_execz .LBB410_5
; %bb.4:
	v_mov_b32_e32 v3, 0
	v_lshl_add_u64 v[4:5], v[2:3], 1, s[38:39]
	global_load_ushort v9, v[4:5], off
	v_or_b32_e32 v3, 0x100, v0
.LBB410_5:
	s_or_b64 exec, exec, s[0:1]
	v_cmp_gt_i32_e64 s[0:1], s30, v3
	s_and_saveexec_b64 s[2:3], s[0:1]
	s_cbranch_execz .LBB410_7
; %bb.6:
	v_add_u32_e32 v4, s34, v3
	v_mov_b32_e32 v5, 0
	v_lshl_add_u64 v[4:5], v[4:5], 1, s[38:39]
	global_load_ushort v6, v[4:5], off
	v_add_u32_e32 v3, 0x100, v3
.LBB410_7:
	s_or_b64 exec, exec, s[2:3]
	v_cmp_gt_i32_e64 s[0:1], s30, v3
	v_mov_b32_e32 v5, 0
	v_mov_b32_e32 v10, 0
	s_and_saveexec_b64 s[2:3], s[0:1]
	s_cbranch_execz .LBB410_9
; %bb.8:
	v_add_u32_e32 v10, s34, v3
	v_mov_b32_e32 v11, 0
	v_lshl_add_u64 v[10:11], v[10:11], 1, s[38:39]
	global_load_ushort v10, v[10:11], off
	v_add_u32_e32 v3, 0x100, v3
.LBB410_9:
	s_or_b64 exec, exec, s[2:3]
	v_cmp_gt_i32_e64 s[0:1], s30, v3
	s_and_saveexec_b64 s[2:3], s[0:1]
	s_cbranch_execz .LBB410_11
; %bb.10:
	v_add_u32_e32 v4, s34, v3
	v_mov_b32_e32 v5, 0
	v_lshl_add_u64 v[4:5], v[4:5], 1, s[38:39]
	global_load_ushort v5, v[4:5], off
	v_add_u32_e32 v3, 0x100, v3
.LBB410_11:
	s_or_b64 exec, exec, s[2:3]
	v_cmp_gt_i32_e64 s[0:1], s30, v3
	v_mov_b32_e32 v4, 0
	v_mov_b32_e32 v8, 0
	s_and_saveexec_b64 s[2:3], s[0:1]
	s_cbranch_execz .LBB410_13
; %bb.12:
	v_add_u32_e32 v12, s34, v3
	v_mov_b32_e32 v13, 0
	v_lshl_add_u64 v[12:13], v[12:13], 1, s[38:39]
	global_load_ushort v8, v[12:13], off
	v_add_u32_e32 v3, 0x100, v3
.LBB410_13:
	;; [unrolled: 24-line block ×3, first 2 shown]
	s_or_b64 exec, exec, s[2:3]
	v_cmp_gt_i32_e64 s[0:1], s30, v3
	s_and_saveexec_b64 s[2:3], s[0:1]
	s_cbranch_execz .LBB410_19
; %bb.18:
	v_add_u32_e32 v12, s34, v3
	v_mov_b32_e32 v13, 0
	v_lshl_add_u64 v[12:13], v[12:13], 1, s[38:39]
	global_load_ushort v1, v[12:13], off
.LBB410_19:
	s_or_b64 exec, exec, s[2:3]
	s_lshl_b32 s0, s31, 16
	v_mov_b32_e32 v11, s0
	s_and_saveexec_b64 s[2:3], vcc
	s_cbranch_execnz .LBB410_29
; %bb.20:
	s_or_b64 exec, exec, s[2:3]
	v_cmp_gt_i32_e32 vcc, s30, v0
	s_and_saveexec_b64 s[2:3], vcc
	s_cbranch_execnz .LBB410_30
.LBB410_21:
	s_or_b64 exec, exec, s[2:3]
	v_cmp_gt_i32_e32 vcc, s30, v0
	s_and_saveexec_b64 s[2:3], vcc
	s_cbranch_execnz .LBB410_31
.LBB410_22:
	s_or_b64 exec, exec, s[2:3]
	v_cmp_gt_i32_e32 vcc, s30, v0
	s_and_saveexec_b64 s[2:3], vcc
	s_cbranch_execnz .LBB410_32
.LBB410_23:
	s_or_b64 exec, exec, s[2:3]
	v_cmp_gt_i32_e32 vcc, s30, v0
	s_and_saveexec_b64 s[2:3], vcc
	s_cbranch_execnz .LBB410_33
.LBB410_24:
	s_or_b64 exec, exec, s[2:3]
	v_cmp_gt_i32_e32 vcc, s30, v0
	s_and_saveexec_b64 s[2:3], vcc
	s_cbranch_execnz .LBB410_34
.LBB410_25:
	s_or_b64 exec, exec, s[2:3]
	v_cmp_gt_i32_e32 vcc, s30, v0
	s_and_saveexec_b64 s[2:3], vcc
	s_cbranch_execnz .LBB410_35
.LBB410_26:
	s_or_b64 exec, exec, s[2:3]
	v_cmp_gt_i32_e32 vcc, s30, v0
	s_and_saveexec_b64 s[0:1], vcc
	s_cbranch_execz .LBB410_28
.LBB410_27:
	s_waitcnt vmcnt(0)
	v_lshlrev_b32_e32 v2, 16, v1
	v_cmp_u_f32_e32 vcc, v2, v2
	v_cmp_gt_f32_e64 s[0:1], v2, v11
	v_mov_b32_e32 v2, s31
	s_or_b64 vcc, vcc, s[0:1]
	v_cndmask_b32_e32 v2, v2, v1, vcc
	v_add_u32_e32 v0, s34, v0
	v_mov_b32_e32 v1, 0
	v_lshl_add_u64 v[0:1], v[0:1], 1, s[36:37]
	global_store_short v[0:1], v2, off
.LBB410_28:
	s_endpgm
.LBB410_29:
	s_waitcnt vmcnt(0)
	v_lshlrev_b32_e32 v12, 16, v9
	v_cmp_u_f32_e32 vcc, v12, v12
	v_cmp_lt_f32_e64 s[0:1], v11, v12
	v_mov_b32_e32 v3, 0
	v_mov_b32_e32 v12, s31
	s_or_b64 vcc, vcc, s[0:1]
	v_lshl_add_u64 v[2:3], v[2:3], 1, s[36:37]
	v_or_b32_e32 v0, 0x100, v0
	v_cndmask_b32_e32 v9, v12, v9, vcc
	global_store_short v[2:3], v9, off
	s_or_b64 exec, exec, s[2:3]
	v_cmp_gt_i32_e32 vcc, s30, v0
	s_and_saveexec_b64 s[2:3], vcc
	s_cbranch_execz .LBB410_21
.LBB410_30:
	s_waitcnt vmcnt(0)
	v_lshlrev_b32_e32 v2, 16, v6
	v_cmp_u_f32_e32 vcc, v2, v2
	v_cmp_lt_f32_e64 s[0:1], v11, v2
	v_mov_b32_e32 v2, s31
	s_or_b64 vcc, vcc, s[0:1]
	v_cndmask_b32_e32 v6, v2, v6, vcc
	v_add_u32_e32 v2, s34, v0
	v_mov_b32_e32 v3, 0
	v_lshl_add_u64 v[2:3], v[2:3], 1, s[36:37]
	v_add_u32_e32 v0, 0x100, v0
	global_store_short v[2:3], v6, off
	s_or_b64 exec, exec, s[2:3]
	v_cmp_gt_i32_e32 vcc, s30, v0
	s_and_saveexec_b64 s[2:3], vcc
	s_cbranch_execz .LBB410_22
.LBB410_31:
	s_waitcnt vmcnt(0)
	v_lshlrev_b32_e32 v2, 16, v10
	v_cmp_u_f32_e32 vcc, v2, v2
	v_cmp_lt_f32_e64 s[0:1], v11, v2
	v_mov_b32_e32 v2, s31
	s_or_b64 vcc, vcc, s[0:1]
	v_cndmask_b32_e32 v6, v2, v10, vcc
	v_add_u32_e32 v2, s34, v0
	v_mov_b32_e32 v3, 0
	v_lshl_add_u64 v[2:3], v[2:3], 1, s[36:37]
	v_add_u32_e32 v0, 0x100, v0
	global_store_short v[2:3], v6, off
	s_or_b64 exec, exec, s[2:3]
	v_cmp_gt_i32_e32 vcc, s30, v0
	s_and_saveexec_b64 s[2:3], vcc
	s_cbranch_execz .LBB410_23
.LBB410_32:
	s_waitcnt vmcnt(0)
	v_lshlrev_b32_e32 v2, 16, v5
	v_cmp_u_f32_e32 vcc, v2, v2
	v_cmp_lt_f32_e64 s[0:1], v11, v2
	v_mov_b32_e32 v2, s31
	s_or_b64 vcc, vcc, s[0:1]
	v_cndmask_b32_e32 v5, v2, v5, vcc
	v_add_u32_e32 v2, s34, v0
	v_mov_b32_e32 v3, 0
	v_lshl_add_u64 v[2:3], v[2:3], 1, s[36:37]
	v_add_u32_e32 v0, 0x100, v0
	global_store_short v[2:3], v5, off
	s_or_b64 exec, exec, s[2:3]
	v_cmp_gt_i32_e32 vcc, s30, v0
	s_and_saveexec_b64 s[2:3], vcc
	s_cbranch_execz .LBB410_24
.LBB410_33:
	s_waitcnt vmcnt(0)
	v_lshlrev_b32_e32 v2, 16, v8
	v_cmp_u_f32_e32 vcc, v2, v2
	v_cmp_lt_f32_e64 s[0:1], v11, v2
	v_mov_b32_e32 v2, s31
	s_or_b64 vcc, vcc, s[0:1]
	v_cndmask_b32_e32 v5, v2, v8, vcc
	v_add_u32_e32 v2, s34, v0
	v_mov_b32_e32 v3, 0
	v_lshl_add_u64 v[2:3], v[2:3], 1, s[36:37]
	v_add_u32_e32 v0, 0x100, v0
	global_store_short v[2:3], v5, off
	s_or_b64 exec, exec, s[2:3]
	v_cmp_gt_i32_e32 vcc, s30, v0
	s_and_saveexec_b64 s[2:3], vcc
	s_cbranch_execz .LBB410_25
.LBB410_34:
	s_waitcnt vmcnt(0)
	v_lshlrev_b32_e32 v2, 16, v4
	v_cmp_u_f32_e32 vcc, v2, v2
	v_cmp_lt_f32_e64 s[0:1], v11, v2
	v_mov_b32_e32 v2, s31
	s_or_b64 vcc, vcc, s[0:1]
	v_cndmask_b32_e32 v4, v2, v4, vcc
	v_add_u32_e32 v2, s34, v0
	v_mov_b32_e32 v3, 0
	v_lshl_add_u64 v[2:3], v[2:3], 1, s[36:37]
	v_add_u32_e32 v0, 0x100, v0
	global_store_short v[2:3], v4, off
	s_or_b64 exec, exec, s[2:3]
	v_cmp_gt_i32_e32 vcc, s30, v0
	s_and_saveexec_b64 s[2:3], vcc
	s_cbranch_execz .LBB410_26
.LBB410_35:
	s_waitcnt vmcnt(0)
	v_lshlrev_b32_e32 v2, 16, v7
	v_cmp_u_f32_e32 vcc, v2, v2
	v_cmp_lt_f32_e64 s[0:1], v11, v2
	v_mov_b32_e32 v2, s31
	s_or_b64 vcc, vcc, s[0:1]
	v_cndmask_b32_e32 v4, v2, v7, vcc
	v_add_u32_e32 v2, s34, v0
	v_mov_b32_e32 v3, 0
	v_lshl_add_u64 v[2:3], v[2:3], 1, s[36:37]
	v_add_u32_e32 v0, 0x100, v0
	global_store_short v[2:3], v4, off
	s_or_b64 exec, exec, s[2:3]
	v_cmp_gt_i32_e32 vcc, s30, v0
	s_and_saveexec_b64 s[0:1], vcc
	s_cbranch_execnz .LBB410_27
	s_branch .LBB410_28
	.section	.rodata,"a",@progbits
	.p2align	6, 0x0
	.amdhsa_kernel _ZN2at6native29vectorized_elementwise_kernelILi16EZZZNS0_21clamp_min_kernel_cudaERNS_18TensorIteratorBaseERKN3c106ScalarEENKUlvE_clEvENKUlvE7_clEvEUlNS4_8BFloat16EE_St5arrayIPcLm2EEEEviT0_T1_
		.amdhsa_group_segment_fixed_size 0
		.amdhsa_private_segment_fixed_size 0
		.amdhsa_kernarg_size 24
		.amdhsa_user_sgpr_count 2
		.amdhsa_user_sgpr_dispatch_ptr 0
		.amdhsa_user_sgpr_queue_ptr 0
		.amdhsa_user_sgpr_kernarg_segment_ptr 1
		.amdhsa_user_sgpr_dispatch_id 0
		.amdhsa_user_sgpr_kernarg_preload_length 0
		.amdhsa_user_sgpr_kernarg_preload_offset 0
		.amdhsa_user_sgpr_private_segment_size 0
		.amdhsa_uses_dynamic_stack 0
		.amdhsa_enable_private_segment 0
		.amdhsa_system_sgpr_workgroup_id_x 1
		.amdhsa_system_sgpr_workgroup_id_y 0
		.amdhsa_system_sgpr_workgroup_id_z 0
		.amdhsa_system_sgpr_workgroup_info 0
		.amdhsa_system_vgpr_workitem_id 0
		.amdhsa_next_free_vgpr 19
		.amdhsa_next_free_sgpr 42
		.amdhsa_accum_offset 20
		.amdhsa_reserve_vcc 1
		.amdhsa_float_round_mode_32 0
		.amdhsa_float_round_mode_16_64 0
		.amdhsa_float_denorm_mode_32 3
		.amdhsa_float_denorm_mode_16_64 3
		.amdhsa_dx10_clamp 1
		.amdhsa_ieee_mode 1
		.amdhsa_fp16_overflow 0
		.amdhsa_tg_split 0
		.amdhsa_exception_fp_ieee_invalid_op 0
		.amdhsa_exception_fp_denorm_src 0
		.amdhsa_exception_fp_ieee_div_zero 0
		.amdhsa_exception_fp_ieee_overflow 0
		.amdhsa_exception_fp_ieee_underflow 0
		.amdhsa_exception_fp_ieee_inexact 0
		.amdhsa_exception_int_div_zero 0
	.end_amdhsa_kernel
	.section	.text._ZN2at6native29vectorized_elementwise_kernelILi16EZZZNS0_21clamp_min_kernel_cudaERNS_18TensorIteratorBaseERKN3c106ScalarEENKUlvE_clEvENKUlvE7_clEvEUlNS4_8BFloat16EE_St5arrayIPcLm2EEEEviT0_T1_,"axG",@progbits,_ZN2at6native29vectorized_elementwise_kernelILi16EZZZNS0_21clamp_min_kernel_cudaERNS_18TensorIteratorBaseERKN3c106ScalarEENKUlvE_clEvENKUlvE7_clEvEUlNS4_8BFloat16EE_St5arrayIPcLm2EEEEviT0_T1_,comdat
.Lfunc_end410:
	.size	_ZN2at6native29vectorized_elementwise_kernelILi16EZZZNS0_21clamp_min_kernel_cudaERNS_18TensorIteratorBaseERKN3c106ScalarEENKUlvE_clEvENKUlvE7_clEvEUlNS4_8BFloat16EE_St5arrayIPcLm2EEEEviT0_T1_, .Lfunc_end410-_ZN2at6native29vectorized_elementwise_kernelILi16EZZZNS0_21clamp_min_kernel_cudaERNS_18TensorIteratorBaseERKN3c106ScalarEENKUlvE_clEvENKUlvE7_clEvEUlNS4_8BFloat16EE_St5arrayIPcLm2EEEEviT0_T1_
                                        ; -- End function
	.set _ZN2at6native29vectorized_elementwise_kernelILi16EZZZNS0_21clamp_min_kernel_cudaERNS_18TensorIteratorBaseERKN3c106ScalarEENKUlvE_clEvENKUlvE7_clEvEUlNS4_8BFloat16EE_St5arrayIPcLm2EEEEviT0_T1_.num_vgpr, 19
	.set _ZN2at6native29vectorized_elementwise_kernelILi16EZZZNS0_21clamp_min_kernel_cudaERNS_18TensorIteratorBaseERKN3c106ScalarEENKUlvE_clEvENKUlvE7_clEvEUlNS4_8BFloat16EE_St5arrayIPcLm2EEEEviT0_T1_.num_agpr, 0
	.set _ZN2at6native29vectorized_elementwise_kernelILi16EZZZNS0_21clamp_min_kernel_cudaERNS_18TensorIteratorBaseERKN3c106ScalarEENKUlvE_clEvENKUlvE7_clEvEUlNS4_8BFloat16EE_St5arrayIPcLm2EEEEviT0_T1_.numbered_sgpr, 42
	.set _ZN2at6native29vectorized_elementwise_kernelILi16EZZZNS0_21clamp_min_kernel_cudaERNS_18TensorIteratorBaseERKN3c106ScalarEENKUlvE_clEvENKUlvE7_clEvEUlNS4_8BFloat16EE_St5arrayIPcLm2EEEEviT0_T1_.num_named_barrier, 0
	.set _ZN2at6native29vectorized_elementwise_kernelILi16EZZZNS0_21clamp_min_kernel_cudaERNS_18TensorIteratorBaseERKN3c106ScalarEENKUlvE_clEvENKUlvE7_clEvEUlNS4_8BFloat16EE_St5arrayIPcLm2EEEEviT0_T1_.private_seg_size, 0
	.set _ZN2at6native29vectorized_elementwise_kernelILi16EZZZNS0_21clamp_min_kernel_cudaERNS_18TensorIteratorBaseERKN3c106ScalarEENKUlvE_clEvENKUlvE7_clEvEUlNS4_8BFloat16EE_St5arrayIPcLm2EEEEviT0_T1_.uses_vcc, 1
	.set _ZN2at6native29vectorized_elementwise_kernelILi16EZZZNS0_21clamp_min_kernel_cudaERNS_18TensorIteratorBaseERKN3c106ScalarEENKUlvE_clEvENKUlvE7_clEvEUlNS4_8BFloat16EE_St5arrayIPcLm2EEEEviT0_T1_.uses_flat_scratch, 0
	.set _ZN2at6native29vectorized_elementwise_kernelILi16EZZZNS0_21clamp_min_kernel_cudaERNS_18TensorIteratorBaseERKN3c106ScalarEENKUlvE_clEvENKUlvE7_clEvEUlNS4_8BFloat16EE_St5arrayIPcLm2EEEEviT0_T1_.has_dyn_sized_stack, 0
	.set _ZN2at6native29vectorized_elementwise_kernelILi16EZZZNS0_21clamp_min_kernel_cudaERNS_18TensorIteratorBaseERKN3c106ScalarEENKUlvE_clEvENKUlvE7_clEvEUlNS4_8BFloat16EE_St5arrayIPcLm2EEEEviT0_T1_.has_recursion, 0
	.set _ZN2at6native29vectorized_elementwise_kernelILi16EZZZNS0_21clamp_min_kernel_cudaERNS_18TensorIteratorBaseERKN3c106ScalarEENKUlvE_clEvENKUlvE7_clEvEUlNS4_8BFloat16EE_St5arrayIPcLm2EEEEviT0_T1_.has_indirect_call, 0
	.section	.AMDGPU.csdata,"",@progbits
; Kernel info:
; codeLenInByte = 1588
; TotalNumSgprs: 48
; NumVgprs: 19
; NumAgprs: 0
; TotalNumVgprs: 19
; ScratchSize: 0
; MemoryBound: 0
; FloatMode: 240
; IeeeMode: 1
; LDSByteSize: 0 bytes/workgroup (compile time only)
; SGPRBlocks: 5
; VGPRBlocks: 2
; NumSGPRsForWavesPerEU: 48
; NumVGPRsForWavesPerEU: 19
; AccumOffset: 20
; Occupancy: 8
; WaveLimiterHint : 0
; COMPUTE_PGM_RSRC2:SCRATCH_EN: 0
; COMPUTE_PGM_RSRC2:USER_SGPR: 2
; COMPUTE_PGM_RSRC2:TRAP_HANDLER: 0
; COMPUTE_PGM_RSRC2:TGID_X_EN: 1
; COMPUTE_PGM_RSRC2:TGID_Y_EN: 0
; COMPUTE_PGM_RSRC2:TGID_Z_EN: 0
; COMPUTE_PGM_RSRC2:TIDIG_COMP_CNT: 0
; COMPUTE_PGM_RSRC3_GFX90A:ACCUM_OFFSET: 4
; COMPUTE_PGM_RSRC3_GFX90A:TG_SPLIT: 0
	.section	.text._ZN2at6native29vectorized_elementwise_kernelILi8EZZZNS0_21clamp_min_kernel_cudaERNS_18TensorIteratorBaseERKN3c106ScalarEENKUlvE_clEvENKUlvE7_clEvEUlNS4_8BFloat16EE_St5arrayIPcLm2EEEEviT0_T1_,"axG",@progbits,_ZN2at6native29vectorized_elementwise_kernelILi8EZZZNS0_21clamp_min_kernel_cudaERNS_18TensorIteratorBaseERKN3c106ScalarEENKUlvE_clEvENKUlvE7_clEvEUlNS4_8BFloat16EE_St5arrayIPcLm2EEEEviT0_T1_,comdat
	.globl	_ZN2at6native29vectorized_elementwise_kernelILi8EZZZNS0_21clamp_min_kernel_cudaERNS_18TensorIteratorBaseERKN3c106ScalarEENKUlvE_clEvENKUlvE7_clEvEUlNS4_8BFloat16EE_St5arrayIPcLm2EEEEviT0_T1_ ; -- Begin function _ZN2at6native29vectorized_elementwise_kernelILi8EZZZNS0_21clamp_min_kernel_cudaERNS_18TensorIteratorBaseERKN3c106ScalarEENKUlvE_clEvENKUlvE7_clEvEUlNS4_8BFloat16EE_St5arrayIPcLm2EEEEviT0_T1_
	.p2align	8
	.type	_ZN2at6native29vectorized_elementwise_kernelILi8EZZZNS0_21clamp_min_kernel_cudaERNS_18TensorIteratorBaseERKN3c106ScalarEENKUlvE_clEvENKUlvE7_clEvEUlNS4_8BFloat16EE_St5arrayIPcLm2EEEEviT0_T1_,@function
_ZN2at6native29vectorized_elementwise_kernelILi8EZZZNS0_21clamp_min_kernel_cudaERNS_18TensorIteratorBaseERKN3c106ScalarEENKUlvE_clEvENKUlvE7_clEvEUlNS4_8BFloat16EE_St5arrayIPcLm2EEEEviT0_T1_: ; @_ZN2at6native29vectorized_elementwise_kernelILi8EZZZNS0_21clamp_min_kernel_cudaERNS_18TensorIteratorBaseERKN3c106ScalarEENKUlvE_clEvENKUlvE7_clEvEUlNS4_8BFloat16EE_St5arrayIPcLm2EEEEviT0_T1_
; %bb.0:
	s_load_dwordx2 s[30:31], s[0:1], 0x0
	s_load_dwordx4 s[36:39], s[0:1], 0x8
	s_lshl_b32 s34, s2, 11
	s_mov_b64 s[0:1], -1
	s_waitcnt lgkmcnt(0)
	s_sub_i32 s30, s30, s34
	s_cmpk_gt_i32 s30, 0x7ff
	s_cbranch_scc0 .LBB411_2
; %bb.1:
	s_ashr_i32 s35, s34, 31
	s_lshl_b64 s[0:1], s[34:35], 1
	s_add_u32 s2, s38, s0
	s_addc_u32 s3, s39, s1
	v_lshlrev_b32_e32 v1, 4, v0
	global_load_dwordx4 v[2:5], v1, s[2:3]
	s_lshl_b32 s28, s31, 16
	s_add_u32 s40, s36, s0
	v_mov_b32_e32 v6, s31
	s_addc_u32 s41, s37, s1
	s_mov_b32 s33, 0x5040100
	s_waitcnt vmcnt(0)
	v_and_b32_e32 v8, 0xffff0000, v2
	v_lshlrev_b32_e32 v7, 16, v2
	v_cmp_u_f32_e32 vcc, v8, v8
	v_cmp_lt_f32_e64 s[2:3], s28, v8
	v_lshrrev_b32_e32 v9, 16, v2
	v_and_b32_e32 v11, 0xffff0000, v3
	v_cmp_u_f32_e64 s[0:1], v7, v7
	v_cmp_lt_f32_e64 s[4:5], s28, v7
	s_or_b64 vcc, vcc, s[2:3]
	v_lshlrev_b32_e32 v10, 16, v3
	v_cmp_u_f32_e64 s[6:7], v11, v11
	v_cmp_lt_f32_e64 s[10:11], s28, v11
	v_cndmask_b32_e32 v7, v6, v9, vcc
	s_or_b64 vcc, s[0:1], s[4:5]
	v_lshrrev_b32_e32 v12, 16, v3
	v_and_b32_e32 v14, 0xffff0000, v4
	v_cmp_u_f32_e64 s[8:9], v10, v10
	v_cmp_lt_f32_e64 s[12:13], s28, v10
	v_cndmask_b32_e32 v2, v6, v2, vcc
	s_or_b64 vcc, s[6:7], s[10:11]
	v_lshlrev_b32_e32 v13, 16, v4
	v_cmp_u_f32_e64 s[14:15], v14, v14
	v_cmp_lt_f32_e64 s[18:19], s28, v14
	v_cndmask_b32_e32 v8, v6, v12, vcc
	s_or_b64 vcc, s[8:9], s[12:13]
	v_lshrrev_b32_e32 v15, 16, v4
	v_and_b32_e32 v17, 0xffff0000, v5
	v_cmp_u_f32_e64 s[16:17], v13, v13
	v_cmp_lt_f32_e64 s[20:21], s28, v13
	v_cndmask_b32_e32 v3, v6, v3, vcc
	s_or_b64 vcc, s[14:15], s[18:19]
	v_lshlrev_b32_e32 v16, 16, v5
	v_cmp_u_f32_e64 s[22:23], v17, v17
	v_cmp_lt_f32_e64 s[26:27], s28, v17
	v_cndmask_b32_e32 v9, v6, v15, vcc
	s_or_b64 vcc, s[16:17], s[20:21]
	v_lshrrev_b32_e32 v18, 16, v5
	v_cmp_u_f32_e64 s[24:25], v16, v16
	v_cmp_lt_f32_e64 s[28:29], s28, v16
	v_cndmask_b32_e32 v4, v6, v4, vcc
	s_or_b64 vcc, s[22:23], s[26:27]
	v_cndmask_b32_e32 v10, v6, v18, vcc
	s_or_b64 vcc, s[24:25], s[28:29]
	v_cndmask_b32_e32 v5, v6, v5, vcc
	v_perm_b32 v5, v10, v5, s33
	v_perm_b32 v4, v9, v4, s33
	;; [unrolled: 1-line block ×4, first 2 shown]
	global_store_dwordx4 v1, v[2:5], s[40:41]
	s_mov_b64 s[0:1], 0
.LBB411_2:
	s_andn2_b64 vcc, exec, s[0:1]
	s_cbranch_vccnz .LBB411_28
; %bb.3:
	v_cmp_gt_i32_e32 vcc, s30, v0
	v_mov_b32_e32 v6, 0
	v_or_b32_e32 v2, s34, v0
	v_mov_b32_e32 v9, 0
	v_mov_b32_e32 v3, v0
	s_and_saveexec_b64 s[0:1], vcc
	s_cbranch_execz .LBB411_5
; %bb.4:
	v_mov_b32_e32 v3, 0
	v_lshl_add_u64 v[4:5], v[2:3], 1, s[38:39]
	global_load_ushort v9, v[4:5], off
	v_or_b32_e32 v3, 0x100, v0
.LBB411_5:
	s_or_b64 exec, exec, s[0:1]
	v_cmp_gt_i32_e64 s[0:1], s30, v3
	s_and_saveexec_b64 s[2:3], s[0:1]
	s_cbranch_execz .LBB411_7
; %bb.6:
	v_add_u32_e32 v4, s34, v3
	v_mov_b32_e32 v5, 0
	v_lshl_add_u64 v[4:5], v[4:5], 1, s[38:39]
	global_load_ushort v6, v[4:5], off
	v_add_u32_e32 v3, 0x100, v3
.LBB411_7:
	s_or_b64 exec, exec, s[2:3]
	v_cmp_gt_i32_e64 s[0:1], s30, v3
	v_mov_b32_e32 v5, 0
	v_mov_b32_e32 v10, 0
	s_and_saveexec_b64 s[2:3], s[0:1]
	s_cbranch_execz .LBB411_9
; %bb.8:
	v_add_u32_e32 v10, s34, v3
	v_mov_b32_e32 v11, 0
	v_lshl_add_u64 v[10:11], v[10:11], 1, s[38:39]
	global_load_ushort v10, v[10:11], off
	v_add_u32_e32 v3, 0x100, v3
.LBB411_9:
	s_or_b64 exec, exec, s[2:3]
	v_cmp_gt_i32_e64 s[0:1], s30, v3
	s_and_saveexec_b64 s[2:3], s[0:1]
	s_cbranch_execz .LBB411_11
; %bb.10:
	v_add_u32_e32 v4, s34, v3
	v_mov_b32_e32 v5, 0
	v_lshl_add_u64 v[4:5], v[4:5], 1, s[38:39]
	global_load_ushort v5, v[4:5], off
	v_add_u32_e32 v3, 0x100, v3
.LBB411_11:
	s_or_b64 exec, exec, s[2:3]
	v_cmp_gt_i32_e64 s[0:1], s30, v3
	v_mov_b32_e32 v4, 0
	v_mov_b32_e32 v8, 0
	s_and_saveexec_b64 s[2:3], s[0:1]
	s_cbranch_execz .LBB411_13
; %bb.12:
	v_add_u32_e32 v12, s34, v3
	v_mov_b32_e32 v13, 0
	v_lshl_add_u64 v[12:13], v[12:13], 1, s[38:39]
	global_load_ushort v8, v[12:13], off
	v_add_u32_e32 v3, 0x100, v3
.LBB411_13:
	;; [unrolled: 24-line block ×3, first 2 shown]
	s_or_b64 exec, exec, s[2:3]
	v_cmp_gt_i32_e64 s[0:1], s30, v3
	s_and_saveexec_b64 s[2:3], s[0:1]
	s_cbranch_execz .LBB411_19
; %bb.18:
	v_add_u32_e32 v12, s34, v3
	v_mov_b32_e32 v13, 0
	v_lshl_add_u64 v[12:13], v[12:13], 1, s[38:39]
	global_load_ushort v1, v[12:13], off
.LBB411_19:
	s_or_b64 exec, exec, s[2:3]
	s_lshl_b32 s0, s31, 16
	v_mov_b32_e32 v11, s0
	s_and_saveexec_b64 s[2:3], vcc
	s_cbranch_execnz .LBB411_29
; %bb.20:
	s_or_b64 exec, exec, s[2:3]
	v_cmp_gt_i32_e32 vcc, s30, v0
	s_and_saveexec_b64 s[2:3], vcc
	s_cbranch_execnz .LBB411_30
.LBB411_21:
	s_or_b64 exec, exec, s[2:3]
	v_cmp_gt_i32_e32 vcc, s30, v0
	s_and_saveexec_b64 s[2:3], vcc
	s_cbranch_execnz .LBB411_31
.LBB411_22:
	s_or_b64 exec, exec, s[2:3]
	v_cmp_gt_i32_e32 vcc, s30, v0
	s_and_saveexec_b64 s[2:3], vcc
	s_cbranch_execnz .LBB411_32
.LBB411_23:
	s_or_b64 exec, exec, s[2:3]
	v_cmp_gt_i32_e32 vcc, s30, v0
	s_and_saveexec_b64 s[2:3], vcc
	s_cbranch_execnz .LBB411_33
.LBB411_24:
	s_or_b64 exec, exec, s[2:3]
	v_cmp_gt_i32_e32 vcc, s30, v0
	s_and_saveexec_b64 s[2:3], vcc
	s_cbranch_execnz .LBB411_34
.LBB411_25:
	s_or_b64 exec, exec, s[2:3]
	v_cmp_gt_i32_e32 vcc, s30, v0
	s_and_saveexec_b64 s[2:3], vcc
	s_cbranch_execnz .LBB411_35
.LBB411_26:
	s_or_b64 exec, exec, s[2:3]
	v_cmp_gt_i32_e32 vcc, s30, v0
	s_and_saveexec_b64 s[0:1], vcc
	s_cbranch_execz .LBB411_28
.LBB411_27:
	s_waitcnt vmcnt(0)
	v_lshlrev_b32_e32 v2, 16, v1
	v_cmp_u_f32_e32 vcc, v2, v2
	v_cmp_gt_f32_e64 s[0:1], v2, v11
	v_mov_b32_e32 v2, s31
	s_or_b64 vcc, vcc, s[0:1]
	v_cndmask_b32_e32 v2, v2, v1, vcc
	v_add_u32_e32 v0, s34, v0
	v_mov_b32_e32 v1, 0
	v_lshl_add_u64 v[0:1], v[0:1], 1, s[36:37]
	global_store_short v[0:1], v2, off
.LBB411_28:
	s_endpgm
.LBB411_29:
	s_waitcnt vmcnt(0)
	v_lshlrev_b32_e32 v12, 16, v9
	v_cmp_u_f32_e32 vcc, v12, v12
	v_cmp_lt_f32_e64 s[0:1], v11, v12
	v_mov_b32_e32 v3, 0
	v_mov_b32_e32 v12, s31
	s_or_b64 vcc, vcc, s[0:1]
	v_lshl_add_u64 v[2:3], v[2:3], 1, s[36:37]
	v_or_b32_e32 v0, 0x100, v0
	v_cndmask_b32_e32 v9, v12, v9, vcc
	global_store_short v[2:3], v9, off
	s_or_b64 exec, exec, s[2:3]
	v_cmp_gt_i32_e32 vcc, s30, v0
	s_and_saveexec_b64 s[2:3], vcc
	s_cbranch_execz .LBB411_21
.LBB411_30:
	s_waitcnt vmcnt(0)
	v_lshlrev_b32_e32 v2, 16, v6
	v_cmp_u_f32_e32 vcc, v2, v2
	v_cmp_lt_f32_e64 s[0:1], v11, v2
	v_mov_b32_e32 v2, s31
	s_or_b64 vcc, vcc, s[0:1]
	v_cndmask_b32_e32 v6, v2, v6, vcc
	v_add_u32_e32 v2, s34, v0
	v_mov_b32_e32 v3, 0
	v_lshl_add_u64 v[2:3], v[2:3], 1, s[36:37]
	v_add_u32_e32 v0, 0x100, v0
	global_store_short v[2:3], v6, off
	s_or_b64 exec, exec, s[2:3]
	v_cmp_gt_i32_e32 vcc, s30, v0
	s_and_saveexec_b64 s[2:3], vcc
	s_cbranch_execz .LBB411_22
.LBB411_31:
	s_waitcnt vmcnt(0)
	v_lshlrev_b32_e32 v2, 16, v10
	v_cmp_u_f32_e32 vcc, v2, v2
	v_cmp_lt_f32_e64 s[0:1], v11, v2
	v_mov_b32_e32 v2, s31
	s_or_b64 vcc, vcc, s[0:1]
	v_cndmask_b32_e32 v6, v2, v10, vcc
	v_add_u32_e32 v2, s34, v0
	v_mov_b32_e32 v3, 0
	v_lshl_add_u64 v[2:3], v[2:3], 1, s[36:37]
	v_add_u32_e32 v0, 0x100, v0
	global_store_short v[2:3], v6, off
	s_or_b64 exec, exec, s[2:3]
	v_cmp_gt_i32_e32 vcc, s30, v0
	s_and_saveexec_b64 s[2:3], vcc
	s_cbranch_execz .LBB411_23
.LBB411_32:
	s_waitcnt vmcnt(0)
	v_lshlrev_b32_e32 v2, 16, v5
	v_cmp_u_f32_e32 vcc, v2, v2
	v_cmp_lt_f32_e64 s[0:1], v11, v2
	v_mov_b32_e32 v2, s31
	s_or_b64 vcc, vcc, s[0:1]
	v_cndmask_b32_e32 v5, v2, v5, vcc
	v_add_u32_e32 v2, s34, v0
	v_mov_b32_e32 v3, 0
	v_lshl_add_u64 v[2:3], v[2:3], 1, s[36:37]
	v_add_u32_e32 v0, 0x100, v0
	global_store_short v[2:3], v5, off
	s_or_b64 exec, exec, s[2:3]
	v_cmp_gt_i32_e32 vcc, s30, v0
	s_and_saveexec_b64 s[2:3], vcc
	s_cbranch_execz .LBB411_24
.LBB411_33:
	s_waitcnt vmcnt(0)
	v_lshlrev_b32_e32 v2, 16, v8
	v_cmp_u_f32_e32 vcc, v2, v2
	v_cmp_lt_f32_e64 s[0:1], v11, v2
	v_mov_b32_e32 v2, s31
	s_or_b64 vcc, vcc, s[0:1]
	v_cndmask_b32_e32 v5, v2, v8, vcc
	v_add_u32_e32 v2, s34, v0
	v_mov_b32_e32 v3, 0
	v_lshl_add_u64 v[2:3], v[2:3], 1, s[36:37]
	v_add_u32_e32 v0, 0x100, v0
	global_store_short v[2:3], v5, off
	s_or_b64 exec, exec, s[2:3]
	v_cmp_gt_i32_e32 vcc, s30, v0
	s_and_saveexec_b64 s[2:3], vcc
	s_cbranch_execz .LBB411_25
.LBB411_34:
	s_waitcnt vmcnt(0)
	v_lshlrev_b32_e32 v2, 16, v4
	v_cmp_u_f32_e32 vcc, v2, v2
	v_cmp_lt_f32_e64 s[0:1], v11, v2
	v_mov_b32_e32 v2, s31
	s_or_b64 vcc, vcc, s[0:1]
	v_cndmask_b32_e32 v4, v2, v4, vcc
	v_add_u32_e32 v2, s34, v0
	v_mov_b32_e32 v3, 0
	v_lshl_add_u64 v[2:3], v[2:3], 1, s[36:37]
	v_add_u32_e32 v0, 0x100, v0
	global_store_short v[2:3], v4, off
	s_or_b64 exec, exec, s[2:3]
	v_cmp_gt_i32_e32 vcc, s30, v0
	s_and_saveexec_b64 s[2:3], vcc
	s_cbranch_execz .LBB411_26
.LBB411_35:
	s_waitcnt vmcnt(0)
	v_lshlrev_b32_e32 v2, 16, v7
	v_cmp_u_f32_e32 vcc, v2, v2
	v_cmp_lt_f32_e64 s[0:1], v11, v2
	v_mov_b32_e32 v2, s31
	s_or_b64 vcc, vcc, s[0:1]
	v_cndmask_b32_e32 v4, v2, v7, vcc
	v_add_u32_e32 v2, s34, v0
	v_mov_b32_e32 v3, 0
	v_lshl_add_u64 v[2:3], v[2:3], 1, s[36:37]
	v_add_u32_e32 v0, 0x100, v0
	global_store_short v[2:3], v4, off
	s_or_b64 exec, exec, s[2:3]
	v_cmp_gt_i32_e32 vcc, s30, v0
	s_and_saveexec_b64 s[0:1], vcc
	s_cbranch_execnz .LBB411_27
	s_branch .LBB411_28
	.section	.rodata,"a",@progbits
	.p2align	6, 0x0
	.amdhsa_kernel _ZN2at6native29vectorized_elementwise_kernelILi8EZZZNS0_21clamp_min_kernel_cudaERNS_18TensorIteratorBaseERKN3c106ScalarEENKUlvE_clEvENKUlvE7_clEvEUlNS4_8BFloat16EE_St5arrayIPcLm2EEEEviT0_T1_
		.amdhsa_group_segment_fixed_size 0
		.amdhsa_private_segment_fixed_size 0
		.amdhsa_kernarg_size 24
		.amdhsa_user_sgpr_count 2
		.amdhsa_user_sgpr_dispatch_ptr 0
		.amdhsa_user_sgpr_queue_ptr 0
		.amdhsa_user_sgpr_kernarg_segment_ptr 1
		.amdhsa_user_sgpr_dispatch_id 0
		.amdhsa_user_sgpr_kernarg_preload_length 0
		.amdhsa_user_sgpr_kernarg_preload_offset 0
		.amdhsa_user_sgpr_private_segment_size 0
		.amdhsa_uses_dynamic_stack 0
		.amdhsa_enable_private_segment 0
		.amdhsa_system_sgpr_workgroup_id_x 1
		.amdhsa_system_sgpr_workgroup_id_y 0
		.amdhsa_system_sgpr_workgroup_id_z 0
		.amdhsa_system_sgpr_workgroup_info 0
		.amdhsa_system_vgpr_workitem_id 0
		.amdhsa_next_free_vgpr 19
		.amdhsa_next_free_sgpr 42
		.amdhsa_accum_offset 20
		.amdhsa_reserve_vcc 1
		.amdhsa_float_round_mode_32 0
		.amdhsa_float_round_mode_16_64 0
		.amdhsa_float_denorm_mode_32 3
		.amdhsa_float_denorm_mode_16_64 3
		.amdhsa_dx10_clamp 1
		.amdhsa_ieee_mode 1
		.amdhsa_fp16_overflow 0
		.amdhsa_tg_split 0
		.amdhsa_exception_fp_ieee_invalid_op 0
		.amdhsa_exception_fp_denorm_src 0
		.amdhsa_exception_fp_ieee_div_zero 0
		.amdhsa_exception_fp_ieee_overflow 0
		.amdhsa_exception_fp_ieee_underflow 0
		.amdhsa_exception_fp_ieee_inexact 0
		.amdhsa_exception_int_div_zero 0
	.end_amdhsa_kernel
	.section	.text._ZN2at6native29vectorized_elementwise_kernelILi8EZZZNS0_21clamp_min_kernel_cudaERNS_18TensorIteratorBaseERKN3c106ScalarEENKUlvE_clEvENKUlvE7_clEvEUlNS4_8BFloat16EE_St5arrayIPcLm2EEEEviT0_T1_,"axG",@progbits,_ZN2at6native29vectorized_elementwise_kernelILi8EZZZNS0_21clamp_min_kernel_cudaERNS_18TensorIteratorBaseERKN3c106ScalarEENKUlvE_clEvENKUlvE7_clEvEUlNS4_8BFloat16EE_St5arrayIPcLm2EEEEviT0_T1_,comdat
.Lfunc_end411:
	.size	_ZN2at6native29vectorized_elementwise_kernelILi8EZZZNS0_21clamp_min_kernel_cudaERNS_18TensorIteratorBaseERKN3c106ScalarEENKUlvE_clEvENKUlvE7_clEvEUlNS4_8BFloat16EE_St5arrayIPcLm2EEEEviT0_T1_, .Lfunc_end411-_ZN2at6native29vectorized_elementwise_kernelILi8EZZZNS0_21clamp_min_kernel_cudaERNS_18TensorIteratorBaseERKN3c106ScalarEENKUlvE_clEvENKUlvE7_clEvEUlNS4_8BFloat16EE_St5arrayIPcLm2EEEEviT0_T1_
                                        ; -- End function
	.set _ZN2at6native29vectorized_elementwise_kernelILi8EZZZNS0_21clamp_min_kernel_cudaERNS_18TensorIteratorBaseERKN3c106ScalarEENKUlvE_clEvENKUlvE7_clEvEUlNS4_8BFloat16EE_St5arrayIPcLm2EEEEviT0_T1_.num_vgpr, 19
	.set _ZN2at6native29vectorized_elementwise_kernelILi8EZZZNS0_21clamp_min_kernel_cudaERNS_18TensorIteratorBaseERKN3c106ScalarEENKUlvE_clEvENKUlvE7_clEvEUlNS4_8BFloat16EE_St5arrayIPcLm2EEEEviT0_T1_.num_agpr, 0
	.set _ZN2at6native29vectorized_elementwise_kernelILi8EZZZNS0_21clamp_min_kernel_cudaERNS_18TensorIteratorBaseERKN3c106ScalarEENKUlvE_clEvENKUlvE7_clEvEUlNS4_8BFloat16EE_St5arrayIPcLm2EEEEviT0_T1_.numbered_sgpr, 42
	.set _ZN2at6native29vectorized_elementwise_kernelILi8EZZZNS0_21clamp_min_kernel_cudaERNS_18TensorIteratorBaseERKN3c106ScalarEENKUlvE_clEvENKUlvE7_clEvEUlNS4_8BFloat16EE_St5arrayIPcLm2EEEEviT0_T1_.num_named_barrier, 0
	.set _ZN2at6native29vectorized_elementwise_kernelILi8EZZZNS0_21clamp_min_kernel_cudaERNS_18TensorIteratorBaseERKN3c106ScalarEENKUlvE_clEvENKUlvE7_clEvEUlNS4_8BFloat16EE_St5arrayIPcLm2EEEEviT0_T1_.private_seg_size, 0
	.set _ZN2at6native29vectorized_elementwise_kernelILi8EZZZNS0_21clamp_min_kernel_cudaERNS_18TensorIteratorBaseERKN3c106ScalarEENKUlvE_clEvENKUlvE7_clEvEUlNS4_8BFloat16EE_St5arrayIPcLm2EEEEviT0_T1_.uses_vcc, 1
	.set _ZN2at6native29vectorized_elementwise_kernelILi8EZZZNS0_21clamp_min_kernel_cudaERNS_18TensorIteratorBaseERKN3c106ScalarEENKUlvE_clEvENKUlvE7_clEvEUlNS4_8BFloat16EE_St5arrayIPcLm2EEEEviT0_T1_.uses_flat_scratch, 0
	.set _ZN2at6native29vectorized_elementwise_kernelILi8EZZZNS0_21clamp_min_kernel_cudaERNS_18TensorIteratorBaseERKN3c106ScalarEENKUlvE_clEvENKUlvE7_clEvEUlNS4_8BFloat16EE_St5arrayIPcLm2EEEEviT0_T1_.has_dyn_sized_stack, 0
	.set _ZN2at6native29vectorized_elementwise_kernelILi8EZZZNS0_21clamp_min_kernel_cudaERNS_18TensorIteratorBaseERKN3c106ScalarEENKUlvE_clEvENKUlvE7_clEvEUlNS4_8BFloat16EE_St5arrayIPcLm2EEEEviT0_T1_.has_recursion, 0
	.set _ZN2at6native29vectorized_elementwise_kernelILi8EZZZNS0_21clamp_min_kernel_cudaERNS_18TensorIteratorBaseERKN3c106ScalarEENKUlvE_clEvENKUlvE7_clEvEUlNS4_8BFloat16EE_St5arrayIPcLm2EEEEviT0_T1_.has_indirect_call, 0
	.section	.AMDGPU.csdata,"",@progbits
; Kernel info:
; codeLenInByte = 1588
; TotalNumSgprs: 48
; NumVgprs: 19
; NumAgprs: 0
; TotalNumVgprs: 19
; ScratchSize: 0
; MemoryBound: 0
; FloatMode: 240
; IeeeMode: 1
; LDSByteSize: 0 bytes/workgroup (compile time only)
; SGPRBlocks: 5
; VGPRBlocks: 2
; NumSGPRsForWavesPerEU: 48
; NumVGPRsForWavesPerEU: 19
; AccumOffset: 20
; Occupancy: 8
; WaveLimiterHint : 0
; COMPUTE_PGM_RSRC2:SCRATCH_EN: 0
; COMPUTE_PGM_RSRC2:USER_SGPR: 2
; COMPUTE_PGM_RSRC2:TRAP_HANDLER: 0
; COMPUTE_PGM_RSRC2:TGID_X_EN: 1
; COMPUTE_PGM_RSRC2:TGID_Y_EN: 0
; COMPUTE_PGM_RSRC2:TGID_Z_EN: 0
; COMPUTE_PGM_RSRC2:TIDIG_COMP_CNT: 0
; COMPUTE_PGM_RSRC3_GFX90A:ACCUM_OFFSET: 4
; COMPUTE_PGM_RSRC3_GFX90A:TG_SPLIT: 0
	.section	.text._ZN2at6native29vectorized_elementwise_kernelILi4EZZZNS0_21clamp_min_kernel_cudaERNS_18TensorIteratorBaseERKN3c106ScalarEENKUlvE_clEvENKUlvE7_clEvEUlNS4_8BFloat16EE_St5arrayIPcLm2EEEEviT0_T1_,"axG",@progbits,_ZN2at6native29vectorized_elementwise_kernelILi4EZZZNS0_21clamp_min_kernel_cudaERNS_18TensorIteratorBaseERKN3c106ScalarEENKUlvE_clEvENKUlvE7_clEvEUlNS4_8BFloat16EE_St5arrayIPcLm2EEEEviT0_T1_,comdat
	.globl	_ZN2at6native29vectorized_elementwise_kernelILi4EZZZNS0_21clamp_min_kernel_cudaERNS_18TensorIteratorBaseERKN3c106ScalarEENKUlvE_clEvENKUlvE7_clEvEUlNS4_8BFloat16EE_St5arrayIPcLm2EEEEviT0_T1_ ; -- Begin function _ZN2at6native29vectorized_elementwise_kernelILi4EZZZNS0_21clamp_min_kernel_cudaERNS_18TensorIteratorBaseERKN3c106ScalarEENKUlvE_clEvENKUlvE7_clEvEUlNS4_8BFloat16EE_St5arrayIPcLm2EEEEviT0_T1_
	.p2align	8
	.type	_ZN2at6native29vectorized_elementwise_kernelILi4EZZZNS0_21clamp_min_kernel_cudaERNS_18TensorIteratorBaseERKN3c106ScalarEENKUlvE_clEvENKUlvE7_clEvEUlNS4_8BFloat16EE_St5arrayIPcLm2EEEEviT0_T1_,@function
_ZN2at6native29vectorized_elementwise_kernelILi4EZZZNS0_21clamp_min_kernel_cudaERNS_18TensorIteratorBaseERKN3c106ScalarEENKUlvE_clEvENKUlvE7_clEvEUlNS4_8BFloat16EE_St5arrayIPcLm2EEEEviT0_T1_: ; @_ZN2at6native29vectorized_elementwise_kernelILi4EZZZNS0_21clamp_min_kernel_cudaERNS_18TensorIteratorBaseERKN3c106ScalarEENKUlvE_clEvENKUlvE7_clEvEUlNS4_8BFloat16EE_St5arrayIPcLm2EEEEviT0_T1_
; %bb.0:
	s_load_dwordx2 s[30:31], s[0:1], 0x0
	s_load_dwordx4 s[36:39], s[0:1], 0x8
	s_lshl_b32 s34, s2, 11
	s_mov_b64 s[0:1], -1
	s_waitcnt lgkmcnt(0)
	s_sub_i32 s30, s30, s34
	s_cmpk_gt_i32 s30, 0x7ff
	s_cbranch_scc0 .LBB412_2
; %bb.1:
	s_ashr_i32 s35, s34, 31
	s_lshl_b64 s[40:41], s[34:35], 1
	s_add_u32 s0, s38, s40
	s_addc_u32 s1, s39, s41
	v_lshlrev_b32_e32 v1, 3, v0
	global_load_dwordx2 v[2:3], v1, s[0:1]
	global_load_dwordx2 v[4:5], v1, s[0:1] offset:2048
	s_lshl_b32 s26, s31, 16
	v_mov_b32_e32 v6, s31
	s_waitcnt vmcnt(1)
	v_lshlrev_b32_e32 v7, 16, v2
	v_and_b32_e32 v9, 0xffff0000, v2
	v_cmp_u_f32_e32 vcc, v7, v7
	v_cmp_lt_f32_e64 s[10:11], s26, v7
	v_lshlrev_b32_e32 v10, 16, v3
	v_cmp_u_f32_e64 s[0:1], v9, v9
	v_cmp_lt_f32_e64 s[12:13], s26, v9
	s_or_b64 vcc, vcc, s[10:11]
	v_lshrrev_b32_e32 v8, 16, v2
	v_and_b32_e32 v12, 0xffff0000, v3
	v_cmp_u_f32_e64 s[2:3], v10, v10
	v_cmp_lt_f32_e64 s[14:15], s26, v10
	v_cndmask_b32_e32 v2, v6, v2, vcc
	s_or_b64 vcc, s[0:1], s[12:13]
	s_waitcnt vmcnt(0)
	v_lshlrev_b32_e32 v13, 16, v4
	v_cmp_u_f32_e64 s[4:5], v12, v12
	v_cmp_lt_f32_e64 s[16:17], s26, v12
	v_cndmask_b32_e32 v7, v6, v8, vcc
	s_or_b64 vcc, s[2:3], s[14:15]
	v_lshrrev_b32_e32 v11, 16, v3
	v_and_b32_e32 v16, 0xffff0000, v4
	v_cmp_u_f32_e64 s[6:7], v13, v13
	v_cmp_lt_f32_e64 s[18:19], s26, v13
	v_cndmask_b32_e32 v3, v6, v3, vcc
	s_or_b64 vcc, s[4:5], s[16:17]
	v_and_b32_e32 v15, 0xffff0000, v5
	v_lshlrev_b32_e32 v17, 16, v5
	v_cmp_u_f32_e64 s[8:9], v16, v16
	v_cmp_lt_f32_e64 s[22:23], s26, v16
	v_cndmask_b32_e32 v8, v6, v11, vcc
	s_or_b64 vcc, s[6:7], s[18:19]
	v_lshrrev_b32_e32 v14, 16, v4
	v_cmp_lt_f32_e64 s[20:21], s26, v15
	v_cmp_u_f32_e64 s[24:25], v17, v17
	v_cmp_lt_f32_e64 s[26:27], s26, v17
	v_cndmask_b32_e32 v4, v6, v4, vcc
	s_or_b64 vcc, s[8:9], s[22:23]
	v_cmp_u_f32_e64 s[28:29], v15, v15
	v_cndmask_b32_e32 v9, v6, v14, vcc
	s_or_b64 vcc, s[24:25], s[26:27]
	v_lshrrev_b32_e32 v18, 16, v5
	v_cndmask_b32_e32 v5, v6, v5, vcc
	s_or_b64 vcc, s[28:29], s[20:21]
	v_and_b32_e32 v2, 0xffff, v2
	v_lshlrev_b32_e32 v7, 16, v7
	v_cndmask_b32_e32 v6, v6, v18, vcc
	v_and_b32_e32 v3, 0xffff, v3
	v_lshlrev_b32_e32 v8, 16, v8
	v_and_b32_e32 v4, 0xffff, v4
	v_lshlrev_b32_e32 v9, 16, v9
	s_add_u32 s0, s36, s40
	v_or_b32_e32 v2, v7, v2
	v_and_b32_e32 v5, 0xffff, v5
	v_lshlrev_b32_e32 v6, 16, v6
	v_or3_b32 v3, 0, v3, v8
	v_or_b32_e32 v4, v9, v4
	s_addc_u32 s1, s37, s41
	v_or3_b32 v2, v2, 0, 0
	v_or3_b32 v5, 0, v5, v6
	;; [unrolled: 1-line block ×3, first 2 shown]
	global_store_dwordx2 v1, v[2:3], s[0:1]
	global_store_dwordx2 v1, v[4:5], s[0:1] offset:2048
	s_mov_b64 s[0:1], 0
.LBB412_2:
	s_andn2_b64 vcc, exec, s[0:1]
	s_cbranch_vccnz .LBB412_28
; %bb.3:
	v_cmp_gt_i32_e32 vcc, s30, v0
	v_mov_b32_e32 v6, 0
	v_or_b32_e32 v2, s34, v0
	v_mov_b32_e32 v9, 0
	v_mov_b32_e32 v3, v0
	s_and_saveexec_b64 s[0:1], vcc
	s_cbranch_execz .LBB412_5
; %bb.4:
	v_mov_b32_e32 v3, 0
	v_lshl_add_u64 v[4:5], v[2:3], 1, s[38:39]
	global_load_ushort v9, v[4:5], off
	v_or_b32_e32 v3, 0x100, v0
.LBB412_5:
	s_or_b64 exec, exec, s[0:1]
	v_cmp_gt_i32_e64 s[0:1], s30, v3
	s_and_saveexec_b64 s[2:3], s[0:1]
	s_cbranch_execz .LBB412_7
; %bb.6:
	v_add_u32_e32 v4, s34, v3
	v_mov_b32_e32 v5, 0
	v_lshl_add_u64 v[4:5], v[4:5], 1, s[38:39]
	global_load_ushort v6, v[4:5], off
	v_add_u32_e32 v3, 0x100, v3
.LBB412_7:
	s_or_b64 exec, exec, s[2:3]
	v_cmp_gt_i32_e64 s[0:1], s30, v3
	v_mov_b32_e32 v5, 0
	v_mov_b32_e32 v10, 0
	s_and_saveexec_b64 s[2:3], s[0:1]
	s_cbranch_execz .LBB412_9
; %bb.8:
	v_add_u32_e32 v10, s34, v3
	v_mov_b32_e32 v11, 0
	v_lshl_add_u64 v[10:11], v[10:11], 1, s[38:39]
	global_load_ushort v10, v[10:11], off
	v_add_u32_e32 v3, 0x100, v3
.LBB412_9:
	s_or_b64 exec, exec, s[2:3]
	v_cmp_gt_i32_e64 s[0:1], s30, v3
	s_and_saveexec_b64 s[2:3], s[0:1]
	s_cbranch_execz .LBB412_11
; %bb.10:
	v_add_u32_e32 v4, s34, v3
	v_mov_b32_e32 v5, 0
	v_lshl_add_u64 v[4:5], v[4:5], 1, s[38:39]
	global_load_ushort v5, v[4:5], off
	v_add_u32_e32 v3, 0x100, v3
.LBB412_11:
	s_or_b64 exec, exec, s[2:3]
	v_cmp_gt_i32_e64 s[0:1], s30, v3
	v_mov_b32_e32 v4, 0
	v_mov_b32_e32 v8, 0
	s_and_saveexec_b64 s[2:3], s[0:1]
	s_cbranch_execz .LBB412_13
; %bb.12:
	v_add_u32_e32 v12, s34, v3
	v_mov_b32_e32 v13, 0
	v_lshl_add_u64 v[12:13], v[12:13], 1, s[38:39]
	global_load_ushort v8, v[12:13], off
	v_add_u32_e32 v3, 0x100, v3
.LBB412_13:
	;; [unrolled: 24-line block ×3, first 2 shown]
	s_or_b64 exec, exec, s[2:3]
	v_cmp_gt_i32_e64 s[0:1], s30, v3
	s_and_saveexec_b64 s[2:3], s[0:1]
	s_cbranch_execz .LBB412_19
; %bb.18:
	v_add_u32_e32 v12, s34, v3
	v_mov_b32_e32 v13, 0
	v_lshl_add_u64 v[12:13], v[12:13], 1, s[38:39]
	global_load_ushort v1, v[12:13], off
.LBB412_19:
	s_or_b64 exec, exec, s[2:3]
	s_lshl_b32 s0, s31, 16
	v_mov_b32_e32 v11, s0
	s_and_saveexec_b64 s[2:3], vcc
	s_cbranch_execnz .LBB412_29
; %bb.20:
	s_or_b64 exec, exec, s[2:3]
	v_cmp_gt_i32_e32 vcc, s30, v0
	s_and_saveexec_b64 s[2:3], vcc
	s_cbranch_execnz .LBB412_30
.LBB412_21:
	s_or_b64 exec, exec, s[2:3]
	v_cmp_gt_i32_e32 vcc, s30, v0
	s_and_saveexec_b64 s[2:3], vcc
	s_cbranch_execnz .LBB412_31
.LBB412_22:
	s_or_b64 exec, exec, s[2:3]
	v_cmp_gt_i32_e32 vcc, s30, v0
	s_and_saveexec_b64 s[2:3], vcc
	s_cbranch_execnz .LBB412_32
.LBB412_23:
	s_or_b64 exec, exec, s[2:3]
	v_cmp_gt_i32_e32 vcc, s30, v0
	s_and_saveexec_b64 s[2:3], vcc
	s_cbranch_execnz .LBB412_33
.LBB412_24:
	s_or_b64 exec, exec, s[2:3]
	v_cmp_gt_i32_e32 vcc, s30, v0
	s_and_saveexec_b64 s[2:3], vcc
	s_cbranch_execnz .LBB412_34
.LBB412_25:
	s_or_b64 exec, exec, s[2:3]
	v_cmp_gt_i32_e32 vcc, s30, v0
	s_and_saveexec_b64 s[2:3], vcc
	s_cbranch_execnz .LBB412_35
.LBB412_26:
	s_or_b64 exec, exec, s[2:3]
	v_cmp_gt_i32_e32 vcc, s30, v0
	s_and_saveexec_b64 s[0:1], vcc
	s_cbranch_execz .LBB412_28
.LBB412_27:
	s_waitcnt vmcnt(0)
	v_lshlrev_b32_e32 v2, 16, v1
	v_cmp_u_f32_e32 vcc, v2, v2
	v_cmp_gt_f32_e64 s[0:1], v2, v11
	v_mov_b32_e32 v2, s31
	s_or_b64 vcc, vcc, s[0:1]
	v_cndmask_b32_e32 v2, v2, v1, vcc
	v_add_u32_e32 v0, s34, v0
	v_mov_b32_e32 v1, 0
	v_lshl_add_u64 v[0:1], v[0:1], 1, s[36:37]
	global_store_short v[0:1], v2, off
.LBB412_28:
	s_endpgm
.LBB412_29:
	s_waitcnt vmcnt(0)
	v_lshlrev_b32_e32 v12, 16, v9
	v_cmp_u_f32_e32 vcc, v12, v12
	v_cmp_lt_f32_e64 s[0:1], v11, v12
	v_mov_b32_e32 v3, 0
	v_mov_b32_e32 v12, s31
	s_or_b64 vcc, vcc, s[0:1]
	v_lshl_add_u64 v[2:3], v[2:3], 1, s[36:37]
	v_or_b32_e32 v0, 0x100, v0
	v_cndmask_b32_e32 v9, v12, v9, vcc
	global_store_short v[2:3], v9, off
	s_or_b64 exec, exec, s[2:3]
	v_cmp_gt_i32_e32 vcc, s30, v0
	s_and_saveexec_b64 s[2:3], vcc
	s_cbranch_execz .LBB412_21
.LBB412_30:
	s_waitcnt vmcnt(0)
	v_lshlrev_b32_e32 v2, 16, v6
	v_cmp_u_f32_e32 vcc, v2, v2
	v_cmp_lt_f32_e64 s[0:1], v11, v2
	v_mov_b32_e32 v2, s31
	s_or_b64 vcc, vcc, s[0:1]
	v_cndmask_b32_e32 v6, v2, v6, vcc
	v_add_u32_e32 v2, s34, v0
	v_mov_b32_e32 v3, 0
	v_lshl_add_u64 v[2:3], v[2:3], 1, s[36:37]
	v_add_u32_e32 v0, 0x100, v0
	global_store_short v[2:3], v6, off
	s_or_b64 exec, exec, s[2:3]
	v_cmp_gt_i32_e32 vcc, s30, v0
	s_and_saveexec_b64 s[2:3], vcc
	s_cbranch_execz .LBB412_22
.LBB412_31:
	s_waitcnt vmcnt(0)
	v_lshlrev_b32_e32 v2, 16, v10
	v_cmp_u_f32_e32 vcc, v2, v2
	v_cmp_lt_f32_e64 s[0:1], v11, v2
	v_mov_b32_e32 v2, s31
	s_or_b64 vcc, vcc, s[0:1]
	v_cndmask_b32_e32 v6, v2, v10, vcc
	v_add_u32_e32 v2, s34, v0
	v_mov_b32_e32 v3, 0
	v_lshl_add_u64 v[2:3], v[2:3], 1, s[36:37]
	v_add_u32_e32 v0, 0x100, v0
	global_store_short v[2:3], v6, off
	s_or_b64 exec, exec, s[2:3]
	v_cmp_gt_i32_e32 vcc, s30, v0
	s_and_saveexec_b64 s[2:3], vcc
	s_cbranch_execz .LBB412_23
.LBB412_32:
	s_waitcnt vmcnt(0)
	v_lshlrev_b32_e32 v2, 16, v5
	v_cmp_u_f32_e32 vcc, v2, v2
	v_cmp_lt_f32_e64 s[0:1], v11, v2
	v_mov_b32_e32 v2, s31
	s_or_b64 vcc, vcc, s[0:1]
	v_cndmask_b32_e32 v5, v2, v5, vcc
	v_add_u32_e32 v2, s34, v0
	v_mov_b32_e32 v3, 0
	v_lshl_add_u64 v[2:3], v[2:3], 1, s[36:37]
	v_add_u32_e32 v0, 0x100, v0
	global_store_short v[2:3], v5, off
	s_or_b64 exec, exec, s[2:3]
	v_cmp_gt_i32_e32 vcc, s30, v0
	s_and_saveexec_b64 s[2:3], vcc
	s_cbranch_execz .LBB412_24
.LBB412_33:
	s_waitcnt vmcnt(0)
	v_lshlrev_b32_e32 v2, 16, v8
	v_cmp_u_f32_e32 vcc, v2, v2
	v_cmp_lt_f32_e64 s[0:1], v11, v2
	v_mov_b32_e32 v2, s31
	s_or_b64 vcc, vcc, s[0:1]
	v_cndmask_b32_e32 v5, v2, v8, vcc
	v_add_u32_e32 v2, s34, v0
	v_mov_b32_e32 v3, 0
	v_lshl_add_u64 v[2:3], v[2:3], 1, s[36:37]
	v_add_u32_e32 v0, 0x100, v0
	global_store_short v[2:3], v5, off
	s_or_b64 exec, exec, s[2:3]
	v_cmp_gt_i32_e32 vcc, s30, v0
	s_and_saveexec_b64 s[2:3], vcc
	s_cbranch_execz .LBB412_25
.LBB412_34:
	s_waitcnt vmcnt(0)
	v_lshlrev_b32_e32 v2, 16, v4
	v_cmp_u_f32_e32 vcc, v2, v2
	v_cmp_lt_f32_e64 s[0:1], v11, v2
	v_mov_b32_e32 v2, s31
	s_or_b64 vcc, vcc, s[0:1]
	v_cndmask_b32_e32 v4, v2, v4, vcc
	v_add_u32_e32 v2, s34, v0
	v_mov_b32_e32 v3, 0
	v_lshl_add_u64 v[2:3], v[2:3], 1, s[36:37]
	v_add_u32_e32 v0, 0x100, v0
	global_store_short v[2:3], v4, off
	s_or_b64 exec, exec, s[2:3]
	v_cmp_gt_i32_e32 vcc, s30, v0
	s_and_saveexec_b64 s[2:3], vcc
	s_cbranch_execz .LBB412_26
.LBB412_35:
	s_waitcnt vmcnt(0)
	v_lshlrev_b32_e32 v2, 16, v7
	v_cmp_u_f32_e32 vcc, v2, v2
	v_cmp_lt_f32_e64 s[0:1], v11, v2
	v_mov_b32_e32 v2, s31
	s_or_b64 vcc, vcc, s[0:1]
	v_cndmask_b32_e32 v4, v2, v7, vcc
	v_add_u32_e32 v2, s34, v0
	v_mov_b32_e32 v3, 0
	v_lshl_add_u64 v[2:3], v[2:3], 1, s[36:37]
	v_add_u32_e32 v0, 0x100, v0
	global_store_short v[2:3], v4, off
	s_or_b64 exec, exec, s[2:3]
	v_cmp_gt_i32_e32 vcc, s30, v0
	s_and_saveexec_b64 s[0:1], vcc
	s_cbranch_execnz .LBB412_27
	s_branch .LBB412_28
	.section	.rodata,"a",@progbits
	.p2align	6, 0x0
	.amdhsa_kernel _ZN2at6native29vectorized_elementwise_kernelILi4EZZZNS0_21clamp_min_kernel_cudaERNS_18TensorIteratorBaseERKN3c106ScalarEENKUlvE_clEvENKUlvE7_clEvEUlNS4_8BFloat16EE_St5arrayIPcLm2EEEEviT0_T1_
		.amdhsa_group_segment_fixed_size 0
		.amdhsa_private_segment_fixed_size 0
		.amdhsa_kernarg_size 24
		.amdhsa_user_sgpr_count 2
		.amdhsa_user_sgpr_dispatch_ptr 0
		.amdhsa_user_sgpr_queue_ptr 0
		.amdhsa_user_sgpr_kernarg_segment_ptr 1
		.amdhsa_user_sgpr_dispatch_id 0
		.amdhsa_user_sgpr_kernarg_preload_length 0
		.amdhsa_user_sgpr_kernarg_preload_offset 0
		.amdhsa_user_sgpr_private_segment_size 0
		.amdhsa_uses_dynamic_stack 0
		.amdhsa_enable_private_segment 0
		.amdhsa_system_sgpr_workgroup_id_x 1
		.amdhsa_system_sgpr_workgroup_id_y 0
		.amdhsa_system_sgpr_workgroup_id_z 0
		.amdhsa_system_sgpr_workgroup_info 0
		.amdhsa_system_vgpr_workitem_id 0
		.amdhsa_next_free_vgpr 19
		.amdhsa_next_free_sgpr 42
		.amdhsa_accum_offset 20
		.amdhsa_reserve_vcc 1
		.amdhsa_float_round_mode_32 0
		.amdhsa_float_round_mode_16_64 0
		.amdhsa_float_denorm_mode_32 3
		.amdhsa_float_denorm_mode_16_64 3
		.amdhsa_dx10_clamp 1
		.amdhsa_ieee_mode 1
		.amdhsa_fp16_overflow 0
		.amdhsa_tg_split 0
		.amdhsa_exception_fp_ieee_invalid_op 0
		.amdhsa_exception_fp_denorm_src 0
		.amdhsa_exception_fp_ieee_div_zero 0
		.amdhsa_exception_fp_ieee_overflow 0
		.amdhsa_exception_fp_ieee_underflow 0
		.amdhsa_exception_fp_ieee_inexact 0
		.amdhsa_exception_int_div_zero 0
	.end_amdhsa_kernel
	.section	.text._ZN2at6native29vectorized_elementwise_kernelILi4EZZZNS0_21clamp_min_kernel_cudaERNS_18TensorIteratorBaseERKN3c106ScalarEENKUlvE_clEvENKUlvE7_clEvEUlNS4_8BFloat16EE_St5arrayIPcLm2EEEEviT0_T1_,"axG",@progbits,_ZN2at6native29vectorized_elementwise_kernelILi4EZZZNS0_21clamp_min_kernel_cudaERNS_18TensorIteratorBaseERKN3c106ScalarEENKUlvE_clEvENKUlvE7_clEvEUlNS4_8BFloat16EE_St5arrayIPcLm2EEEEviT0_T1_,comdat
.Lfunc_end412:
	.size	_ZN2at6native29vectorized_elementwise_kernelILi4EZZZNS0_21clamp_min_kernel_cudaERNS_18TensorIteratorBaseERKN3c106ScalarEENKUlvE_clEvENKUlvE7_clEvEUlNS4_8BFloat16EE_St5arrayIPcLm2EEEEviT0_T1_, .Lfunc_end412-_ZN2at6native29vectorized_elementwise_kernelILi4EZZZNS0_21clamp_min_kernel_cudaERNS_18TensorIteratorBaseERKN3c106ScalarEENKUlvE_clEvENKUlvE7_clEvEUlNS4_8BFloat16EE_St5arrayIPcLm2EEEEviT0_T1_
                                        ; -- End function
	.set _ZN2at6native29vectorized_elementwise_kernelILi4EZZZNS0_21clamp_min_kernel_cudaERNS_18TensorIteratorBaseERKN3c106ScalarEENKUlvE_clEvENKUlvE7_clEvEUlNS4_8BFloat16EE_St5arrayIPcLm2EEEEviT0_T1_.num_vgpr, 19
	.set _ZN2at6native29vectorized_elementwise_kernelILi4EZZZNS0_21clamp_min_kernel_cudaERNS_18TensorIteratorBaseERKN3c106ScalarEENKUlvE_clEvENKUlvE7_clEvEUlNS4_8BFloat16EE_St5arrayIPcLm2EEEEviT0_T1_.num_agpr, 0
	.set _ZN2at6native29vectorized_elementwise_kernelILi4EZZZNS0_21clamp_min_kernel_cudaERNS_18TensorIteratorBaseERKN3c106ScalarEENKUlvE_clEvENKUlvE7_clEvEUlNS4_8BFloat16EE_St5arrayIPcLm2EEEEviT0_T1_.numbered_sgpr, 42
	.set _ZN2at6native29vectorized_elementwise_kernelILi4EZZZNS0_21clamp_min_kernel_cudaERNS_18TensorIteratorBaseERKN3c106ScalarEENKUlvE_clEvENKUlvE7_clEvEUlNS4_8BFloat16EE_St5arrayIPcLm2EEEEviT0_T1_.num_named_barrier, 0
	.set _ZN2at6native29vectorized_elementwise_kernelILi4EZZZNS0_21clamp_min_kernel_cudaERNS_18TensorIteratorBaseERKN3c106ScalarEENKUlvE_clEvENKUlvE7_clEvEUlNS4_8BFloat16EE_St5arrayIPcLm2EEEEviT0_T1_.private_seg_size, 0
	.set _ZN2at6native29vectorized_elementwise_kernelILi4EZZZNS0_21clamp_min_kernel_cudaERNS_18TensorIteratorBaseERKN3c106ScalarEENKUlvE_clEvENKUlvE7_clEvEUlNS4_8BFloat16EE_St5arrayIPcLm2EEEEviT0_T1_.uses_vcc, 1
	.set _ZN2at6native29vectorized_elementwise_kernelILi4EZZZNS0_21clamp_min_kernel_cudaERNS_18TensorIteratorBaseERKN3c106ScalarEENKUlvE_clEvENKUlvE7_clEvEUlNS4_8BFloat16EE_St5arrayIPcLm2EEEEviT0_T1_.uses_flat_scratch, 0
	.set _ZN2at6native29vectorized_elementwise_kernelILi4EZZZNS0_21clamp_min_kernel_cudaERNS_18TensorIteratorBaseERKN3c106ScalarEENKUlvE_clEvENKUlvE7_clEvEUlNS4_8BFloat16EE_St5arrayIPcLm2EEEEviT0_T1_.has_dyn_sized_stack, 0
	.set _ZN2at6native29vectorized_elementwise_kernelILi4EZZZNS0_21clamp_min_kernel_cudaERNS_18TensorIteratorBaseERKN3c106ScalarEENKUlvE_clEvENKUlvE7_clEvEUlNS4_8BFloat16EE_St5arrayIPcLm2EEEEviT0_T1_.has_recursion, 0
	.set _ZN2at6native29vectorized_elementwise_kernelILi4EZZZNS0_21clamp_min_kernel_cudaERNS_18TensorIteratorBaseERKN3c106ScalarEENKUlvE_clEvENKUlvE7_clEvEUlNS4_8BFloat16EE_St5arrayIPcLm2EEEEviT0_T1_.has_indirect_call, 0
	.section	.AMDGPU.csdata,"",@progbits
; Kernel info:
; codeLenInByte = 1656
; TotalNumSgprs: 48
; NumVgprs: 19
; NumAgprs: 0
; TotalNumVgprs: 19
; ScratchSize: 0
; MemoryBound: 0
; FloatMode: 240
; IeeeMode: 1
; LDSByteSize: 0 bytes/workgroup (compile time only)
; SGPRBlocks: 5
; VGPRBlocks: 2
; NumSGPRsForWavesPerEU: 48
; NumVGPRsForWavesPerEU: 19
; AccumOffset: 20
; Occupancy: 8
; WaveLimiterHint : 1
; COMPUTE_PGM_RSRC2:SCRATCH_EN: 0
; COMPUTE_PGM_RSRC2:USER_SGPR: 2
; COMPUTE_PGM_RSRC2:TRAP_HANDLER: 0
; COMPUTE_PGM_RSRC2:TGID_X_EN: 1
; COMPUTE_PGM_RSRC2:TGID_Y_EN: 0
; COMPUTE_PGM_RSRC2:TGID_Z_EN: 0
; COMPUTE_PGM_RSRC2:TIDIG_COMP_CNT: 0
; COMPUTE_PGM_RSRC3_GFX90A:ACCUM_OFFSET: 4
; COMPUTE_PGM_RSRC3_GFX90A:TG_SPLIT: 0
	.section	.text._ZN2at6native29vectorized_elementwise_kernelILi2EZZZNS0_21clamp_min_kernel_cudaERNS_18TensorIteratorBaseERKN3c106ScalarEENKUlvE_clEvENKUlvE7_clEvEUlNS4_8BFloat16EE_St5arrayIPcLm2EEEEviT0_T1_,"axG",@progbits,_ZN2at6native29vectorized_elementwise_kernelILi2EZZZNS0_21clamp_min_kernel_cudaERNS_18TensorIteratorBaseERKN3c106ScalarEENKUlvE_clEvENKUlvE7_clEvEUlNS4_8BFloat16EE_St5arrayIPcLm2EEEEviT0_T1_,comdat
	.globl	_ZN2at6native29vectorized_elementwise_kernelILi2EZZZNS0_21clamp_min_kernel_cudaERNS_18TensorIteratorBaseERKN3c106ScalarEENKUlvE_clEvENKUlvE7_clEvEUlNS4_8BFloat16EE_St5arrayIPcLm2EEEEviT0_T1_ ; -- Begin function _ZN2at6native29vectorized_elementwise_kernelILi2EZZZNS0_21clamp_min_kernel_cudaERNS_18TensorIteratorBaseERKN3c106ScalarEENKUlvE_clEvENKUlvE7_clEvEUlNS4_8BFloat16EE_St5arrayIPcLm2EEEEviT0_T1_
	.p2align	8
	.type	_ZN2at6native29vectorized_elementwise_kernelILi2EZZZNS0_21clamp_min_kernel_cudaERNS_18TensorIteratorBaseERKN3c106ScalarEENKUlvE_clEvENKUlvE7_clEvEUlNS4_8BFloat16EE_St5arrayIPcLm2EEEEviT0_T1_,@function
_ZN2at6native29vectorized_elementwise_kernelILi2EZZZNS0_21clamp_min_kernel_cudaERNS_18TensorIteratorBaseERKN3c106ScalarEENKUlvE_clEvENKUlvE7_clEvEUlNS4_8BFloat16EE_St5arrayIPcLm2EEEEviT0_T1_: ; @_ZN2at6native29vectorized_elementwise_kernelILi2EZZZNS0_21clamp_min_kernel_cudaERNS_18TensorIteratorBaseERKN3c106ScalarEENKUlvE_clEvENKUlvE7_clEvEUlNS4_8BFloat16EE_St5arrayIPcLm2EEEEviT0_T1_
; %bb.0:
	s_load_dwordx2 s[30:31], s[0:1], 0x0
	s_load_dwordx4 s[36:39], s[0:1], 0x8
	s_lshl_b32 s34, s2, 11
	s_mov_b64 s[0:1], -1
	s_waitcnt lgkmcnt(0)
	s_sub_i32 s30, s30, s34
	s_cmpk_gt_i32 s30, 0x7ff
	s_cbranch_scc0 .LBB413_2
; %bb.1:
	s_ashr_i32 s35, s34, 31
	s_lshl_b64 s[40:41], s[34:35], 1
	s_add_u32 s0, s38, s40
	s_addc_u32 s1, s39, s41
	v_lshlrev_b32_e32 v1, 2, v0
	global_load_dword v2, v1, s[0:1]
	global_load_dword v3, v1, s[0:1] offset:1024
	global_load_dword v4, v1, s[0:1] offset:2048
	;; [unrolled: 1-line block ×3, first 2 shown]
	s_lshl_b32 s28, s31, 16
	v_mov_b32_e32 v6, s31
	s_waitcnt vmcnt(3)
	v_lshlrev_b32_e32 v7, 16, v2
	v_and_b32_e32 v9, 0xffff0000, v2
	v_cmp_u_f32_e32 vcc, v7, v7
	v_cmp_lt_f32_e64 s[10:11], s28, v7
	s_waitcnt vmcnt(2)
	v_lshlrev_b32_e32 v10, 16, v3
	v_cmp_u_f32_e64 s[0:1], v9, v9
	v_cmp_lt_f32_e64 s[12:13], s28, v9
	s_or_b64 vcc, vcc, s[10:11]
	v_lshrrev_b32_e32 v8, 16, v2
	v_and_b32_e32 v12, 0xffff0000, v3
	v_cmp_u_f32_e64 s[2:3], v10, v10
	v_cmp_lt_f32_e64 s[14:15], s28, v10
	v_cndmask_b32_e32 v2, v6, v2, vcc
	s_or_b64 vcc, s[0:1], s[12:13]
	s_waitcnt vmcnt(1)
	v_lshlrev_b32_e32 v13, 16, v4
	v_cmp_u_f32_e64 s[4:5], v12, v12
	v_cmp_lt_f32_e64 s[16:17], s28, v12
	v_cndmask_b32_e32 v7, v6, v8, vcc
	s_or_b64 vcc, s[2:3], s[14:15]
	v_lshrrev_b32_e32 v11, 16, v3
	v_and_b32_e32 v15, 0xffff0000, v4
	v_cmp_u_f32_e64 s[6:7], v13, v13
	v_cmp_lt_f32_e64 s[18:19], s28, v13
	v_cndmask_b32_e32 v3, v6, v3, vcc
	s_or_b64 vcc, s[4:5], s[16:17]
	s_waitcnt vmcnt(0)
	v_lshlrev_b32_e32 v16, 16, v5
	v_cmp_u_f32_e64 s[8:9], v15, v15
	v_cmp_lt_f32_e64 s[20:21], s28, v15
	v_cndmask_b32_e32 v8, v6, v11, vcc
	s_or_b64 vcc, s[6:7], s[18:19]
	v_lshrrev_b32_e32 v14, 16, v4
	v_and_b32_e32 v18, 0xffff0000, v5
	v_cmp_u_f32_e64 s[22:23], v16, v16
	v_cmp_lt_f32_e64 s[24:25], s28, v16
	v_cndmask_b32_e32 v4, v6, v4, vcc
	s_or_b64 vcc, s[8:9], s[20:21]
	v_cmp_u_f32_e64 s[26:27], v18, v18
	v_cmp_lt_f32_e64 s[28:29], s28, v18
	v_cndmask_b32_e32 v9, v6, v14, vcc
	s_or_b64 vcc, s[22:23], s[24:25]
	v_lshrrev_b32_e32 v17, 16, v5
	v_cndmask_b32_e32 v5, v6, v5, vcc
	s_or_b64 vcc, s[26:27], s[28:29]
	v_cndmask_b32_e32 v6, v6, v17, vcc
	v_lshlrev_b32_e32 v7, 16, v7
	s_add_u32 s0, s36, s40
	v_lshlrev_b32_e32 v8, 16, v8
	v_lshlrev_b32_e32 v9, 16, v9
	;; [unrolled: 1-line block ×3, first 2 shown]
	v_or_b32_sdwa v2, v7, v2 dst_sel:DWORD dst_unused:UNUSED_PAD src0_sel:DWORD src1_sel:WORD_0
	s_addc_u32 s1, s37, s41
	v_or_b32_sdwa v3, v8, v3 dst_sel:DWORD dst_unused:UNUSED_PAD src0_sel:DWORD src1_sel:WORD_0
	v_or_b32_sdwa v4, v9, v4 dst_sel:DWORD dst_unused:UNUSED_PAD src0_sel:DWORD src1_sel:WORD_0
	;; [unrolled: 1-line block ×3, first 2 shown]
	global_store_dword v1, v2, s[0:1]
	global_store_dword v1, v3, s[0:1] offset:1024
	global_store_dword v1, v4, s[0:1] offset:2048
	;; [unrolled: 1-line block ×3, first 2 shown]
	s_mov_b64 s[0:1], 0
.LBB413_2:
	s_andn2_b64 vcc, exec, s[0:1]
	s_cbranch_vccnz .LBB413_28
; %bb.3:
	v_cmp_gt_i32_e32 vcc, s30, v0
	v_mov_b32_e32 v6, 0
	v_or_b32_e32 v2, s34, v0
	v_mov_b32_e32 v9, 0
	v_mov_b32_e32 v3, v0
	s_and_saveexec_b64 s[0:1], vcc
	s_cbranch_execz .LBB413_5
; %bb.4:
	v_mov_b32_e32 v3, 0
	v_lshl_add_u64 v[4:5], v[2:3], 1, s[38:39]
	global_load_ushort v9, v[4:5], off
	v_or_b32_e32 v3, 0x100, v0
.LBB413_5:
	s_or_b64 exec, exec, s[0:1]
	v_cmp_gt_i32_e64 s[0:1], s30, v3
	s_and_saveexec_b64 s[2:3], s[0:1]
	s_cbranch_execz .LBB413_7
; %bb.6:
	v_add_u32_e32 v4, s34, v3
	v_mov_b32_e32 v5, 0
	v_lshl_add_u64 v[4:5], v[4:5], 1, s[38:39]
	global_load_ushort v6, v[4:5], off
	v_add_u32_e32 v3, 0x100, v3
.LBB413_7:
	s_or_b64 exec, exec, s[2:3]
	v_cmp_gt_i32_e64 s[0:1], s30, v3
	v_mov_b32_e32 v5, 0
	v_mov_b32_e32 v10, 0
	s_and_saveexec_b64 s[2:3], s[0:1]
	s_cbranch_execz .LBB413_9
; %bb.8:
	v_add_u32_e32 v10, s34, v3
	v_mov_b32_e32 v11, 0
	v_lshl_add_u64 v[10:11], v[10:11], 1, s[38:39]
	global_load_ushort v10, v[10:11], off
	v_add_u32_e32 v3, 0x100, v3
.LBB413_9:
	s_or_b64 exec, exec, s[2:3]
	v_cmp_gt_i32_e64 s[0:1], s30, v3
	s_and_saveexec_b64 s[2:3], s[0:1]
	s_cbranch_execz .LBB413_11
; %bb.10:
	v_add_u32_e32 v4, s34, v3
	v_mov_b32_e32 v5, 0
	v_lshl_add_u64 v[4:5], v[4:5], 1, s[38:39]
	global_load_ushort v5, v[4:5], off
	v_add_u32_e32 v3, 0x100, v3
.LBB413_11:
	s_or_b64 exec, exec, s[2:3]
	v_cmp_gt_i32_e64 s[0:1], s30, v3
	v_mov_b32_e32 v4, 0
	v_mov_b32_e32 v8, 0
	s_and_saveexec_b64 s[2:3], s[0:1]
	s_cbranch_execz .LBB413_13
; %bb.12:
	v_add_u32_e32 v12, s34, v3
	v_mov_b32_e32 v13, 0
	v_lshl_add_u64 v[12:13], v[12:13], 1, s[38:39]
	global_load_ushort v8, v[12:13], off
	v_add_u32_e32 v3, 0x100, v3
.LBB413_13:
	;; [unrolled: 24-line block ×3, first 2 shown]
	s_or_b64 exec, exec, s[2:3]
	v_cmp_gt_i32_e64 s[0:1], s30, v3
	s_and_saveexec_b64 s[2:3], s[0:1]
	s_cbranch_execz .LBB413_19
; %bb.18:
	v_add_u32_e32 v12, s34, v3
	v_mov_b32_e32 v13, 0
	v_lshl_add_u64 v[12:13], v[12:13], 1, s[38:39]
	global_load_ushort v1, v[12:13], off
.LBB413_19:
	s_or_b64 exec, exec, s[2:3]
	s_lshl_b32 s0, s31, 16
	v_mov_b32_e32 v11, s0
	s_and_saveexec_b64 s[2:3], vcc
	s_cbranch_execnz .LBB413_29
; %bb.20:
	s_or_b64 exec, exec, s[2:3]
	v_cmp_gt_i32_e32 vcc, s30, v0
	s_and_saveexec_b64 s[2:3], vcc
	s_cbranch_execnz .LBB413_30
.LBB413_21:
	s_or_b64 exec, exec, s[2:3]
	v_cmp_gt_i32_e32 vcc, s30, v0
	s_and_saveexec_b64 s[2:3], vcc
	s_cbranch_execnz .LBB413_31
.LBB413_22:
	s_or_b64 exec, exec, s[2:3]
	v_cmp_gt_i32_e32 vcc, s30, v0
	s_and_saveexec_b64 s[2:3], vcc
	s_cbranch_execnz .LBB413_32
.LBB413_23:
	s_or_b64 exec, exec, s[2:3]
	v_cmp_gt_i32_e32 vcc, s30, v0
	s_and_saveexec_b64 s[2:3], vcc
	s_cbranch_execnz .LBB413_33
.LBB413_24:
	s_or_b64 exec, exec, s[2:3]
	v_cmp_gt_i32_e32 vcc, s30, v0
	s_and_saveexec_b64 s[2:3], vcc
	s_cbranch_execnz .LBB413_34
.LBB413_25:
	s_or_b64 exec, exec, s[2:3]
	v_cmp_gt_i32_e32 vcc, s30, v0
	s_and_saveexec_b64 s[2:3], vcc
	s_cbranch_execnz .LBB413_35
.LBB413_26:
	s_or_b64 exec, exec, s[2:3]
	v_cmp_gt_i32_e32 vcc, s30, v0
	s_and_saveexec_b64 s[0:1], vcc
	s_cbranch_execz .LBB413_28
.LBB413_27:
	s_waitcnt vmcnt(0)
	v_lshlrev_b32_e32 v2, 16, v1
	v_cmp_u_f32_e32 vcc, v2, v2
	v_cmp_gt_f32_e64 s[0:1], v2, v11
	v_mov_b32_e32 v2, s31
	s_or_b64 vcc, vcc, s[0:1]
	v_cndmask_b32_e32 v2, v2, v1, vcc
	v_add_u32_e32 v0, s34, v0
	v_mov_b32_e32 v1, 0
	v_lshl_add_u64 v[0:1], v[0:1], 1, s[36:37]
	global_store_short v[0:1], v2, off
.LBB413_28:
	s_endpgm
.LBB413_29:
	s_waitcnt vmcnt(0)
	v_lshlrev_b32_e32 v12, 16, v9
	v_cmp_u_f32_e32 vcc, v12, v12
	v_cmp_lt_f32_e64 s[0:1], v11, v12
	v_mov_b32_e32 v3, 0
	v_mov_b32_e32 v12, s31
	s_or_b64 vcc, vcc, s[0:1]
	v_lshl_add_u64 v[2:3], v[2:3], 1, s[36:37]
	v_or_b32_e32 v0, 0x100, v0
	v_cndmask_b32_e32 v9, v12, v9, vcc
	global_store_short v[2:3], v9, off
	s_or_b64 exec, exec, s[2:3]
	v_cmp_gt_i32_e32 vcc, s30, v0
	s_and_saveexec_b64 s[2:3], vcc
	s_cbranch_execz .LBB413_21
.LBB413_30:
	s_waitcnt vmcnt(0)
	v_lshlrev_b32_e32 v2, 16, v6
	v_cmp_u_f32_e32 vcc, v2, v2
	v_cmp_lt_f32_e64 s[0:1], v11, v2
	v_mov_b32_e32 v2, s31
	s_or_b64 vcc, vcc, s[0:1]
	v_cndmask_b32_e32 v6, v2, v6, vcc
	v_add_u32_e32 v2, s34, v0
	v_mov_b32_e32 v3, 0
	v_lshl_add_u64 v[2:3], v[2:3], 1, s[36:37]
	v_add_u32_e32 v0, 0x100, v0
	global_store_short v[2:3], v6, off
	s_or_b64 exec, exec, s[2:3]
	v_cmp_gt_i32_e32 vcc, s30, v0
	s_and_saveexec_b64 s[2:3], vcc
	s_cbranch_execz .LBB413_22
.LBB413_31:
	s_waitcnt vmcnt(0)
	v_lshlrev_b32_e32 v2, 16, v10
	v_cmp_u_f32_e32 vcc, v2, v2
	v_cmp_lt_f32_e64 s[0:1], v11, v2
	v_mov_b32_e32 v2, s31
	s_or_b64 vcc, vcc, s[0:1]
	v_cndmask_b32_e32 v6, v2, v10, vcc
	v_add_u32_e32 v2, s34, v0
	v_mov_b32_e32 v3, 0
	v_lshl_add_u64 v[2:3], v[2:3], 1, s[36:37]
	v_add_u32_e32 v0, 0x100, v0
	global_store_short v[2:3], v6, off
	s_or_b64 exec, exec, s[2:3]
	v_cmp_gt_i32_e32 vcc, s30, v0
	s_and_saveexec_b64 s[2:3], vcc
	s_cbranch_execz .LBB413_23
.LBB413_32:
	s_waitcnt vmcnt(0)
	v_lshlrev_b32_e32 v2, 16, v5
	v_cmp_u_f32_e32 vcc, v2, v2
	v_cmp_lt_f32_e64 s[0:1], v11, v2
	v_mov_b32_e32 v2, s31
	s_or_b64 vcc, vcc, s[0:1]
	v_cndmask_b32_e32 v5, v2, v5, vcc
	v_add_u32_e32 v2, s34, v0
	v_mov_b32_e32 v3, 0
	v_lshl_add_u64 v[2:3], v[2:3], 1, s[36:37]
	v_add_u32_e32 v0, 0x100, v0
	global_store_short v[2:3], v5, off
	s_or_b64 exec, exec, s[2:3]
	v_cmp_gt_i32_e32 vcc, s30, v0
	s_and_saveexec_b64 s[2:3], vcc
	s_cbranch_execz .LBB413_24
.LBB413_33:
	s_waitcnt vmcnt(0)
	v_lshlrev_b32_e32 v2, 16, v8
	v_cmp_u_f32_e32 vcc, v2, v2
	v_cmp_lt_f32_e64 s[0:1], v11, v2
	v_mov_b32_e32 v2, s31
	s_or_b64 vcc, vcc, s[0:1]
	v_cndmask_b32_e32 v5, v2, v8, vcc
	v_add_u32_e32 v2, s34, v0
	v_mov_b32_e32 v3, 0
	v_lshl_add_u64 v[2:3], v[2:3], 1, s[36:37]
	v_add_u32_e32 v0, 0x100, v0
	global_store_short v[2:3], v5, off
	s_or_b64 exec, exec, s[2:3]
	v_cmp_gt_i32_e32 vcc, s30, v0
	s_and_saveexec_b64 s[2:3], vcc
	s_cbranch_execz .LBB413_25
.LBB413_34:
	s_waitcnt vmcnt(0)
	v_lshlrev_b32_e32 v2, 16, v4
	v_cmp_u_f32_e32 vcc, v2, v2
	v_cmp_lt_f32_e64 s[0:1], v11, v2
	v_mov_b32_e32 v2, s31
	s_or_b64 vcc, vcc, s[0:1]
	v_cndmask_b32_e32 v4, v2, v4, vcc
	v_add_u32_e32 v2, s34, v0
	v_mov_b32_e32 v3, 0
	v_lshl_add_u64 v[2:3], v[2:3], 1, s[36:37]
	v_add_u32_e32 v0, 0x100, v0
	global_store_short v[2:3], v4, off
	s_or_b64 exec, exec, s[2:3]
	v_cmp_gt_i32_e32 vcc, s30, v0
	s_and_saveexec_b64 s[2:3], vcc
	s_cbranch_execz .LBB413_26
.LBB413_35:
	s_waitcnt vmcnt(0)
	v_lshlrev_b32_e32 v2, 16, v7
	v_cmp_u_f32_e32 vcc, v2, v2
	v_cmp_lt_f32_e64 s[0:1], v11, v2
	v_mov_b32_e32 v2, s31
	s_or_b64 vcc, vcc, s[0:1]
	v_cndmask_b32_e32 v4, v2, v7, vcc
	v_add_u32_e32 v2, s34, v0
	v_mov_b32_e32 v3, 0
	v_lshl_add_u64 v[2:3], v[2:3], 1, s[36:37]
	v_add_u32_e32 v0, 0x100, v0
	global_store_short v[2:3], v4, off
	s_or_b64 exec, exec, s[2:3]
	v_cmp_gt_i32_e32 vcc, s30, v0
	s_and_saveexec_b64 s[0:1], vcc
	s_cbranch_execnz .LBB413_27
	s_branch .LBB413_28
	.section	.rodata,"a",@progbits
	.p2align	6, 0x0
	.amdhsa_kernel _ZN2at6native29vectorized_elementwise_kernelILi2EZZZNS0_21clamp_min_kernel_cudaERNS_18TensorIteratorBaseERKN3c106ScalarEENKUlvE_clEvENKUlvE7_clEvEUlNS4_8BFloat16EE_St5arrayIPcLm2EEEEviT0_T1_
		.amdhsa_group_segment_fixed_size 0
		.amdhsa_private_segment_fixed_size 0
		.amdhsa_kernarg_size 24
		.amdhsa_user_sgpr_count 2
		.amdhsa_user_sgpr_dispatch_ptr 0
		.amdhsa_user_sgpr_queue_ptr 0
		.amdhsa_user_sgpr_kernarg_segment_ptr 1
		.amdhsa_user_sgpr_dispatch_id 0
		.amdhsa_user_sgpr_kernarg_preload_length 0
		.amdhsa_user_sgpr_kernarg_preload_offset 0
		.amdhsa_user_sgpr_private_segment_size 0
		.amdhsa_uses_dynamic_stack 0
		.amdhsa_enable_private_segment 0
		.amdhsa_system_sgpr_workgroup_id_x 1
		.amdhsa_system_sgpr_workgroup_id_y 0
		.amdhsa_system_sgpr_workgroup_id_z 0
		.amdhsa_system_sgpr_workgroup_info 0
		.amdhsa_system_vgpr_workitem_id 0
		.amdhsa_next_free_vgpr 19
		.amdhsa_next_free_sgpr 42
		.amdhsa_accum_offset 20
		.amdhsa_reserve_vcc 1
		.amdhsa_float_round_mode_32 0
		.amdhsa_float_round_mode_16_64 0
		.amdhsa_float_denorm_mode_32 3
		.amdhsa_float_denorm_mode_16_64 3
		.amdhsa_dx10_clamp 1
		.amdhsa_ieee_mode 1
		.amdhsa_fp16_overflow 0
		.amdhsa_tg_split 0
		.amdhsa_exception_fp_ieee_invalid_op 0
		.amdhsa_exception_fp_denorm_src 0
		.amdhsa_exception_fp_ieee_div_zero 0
		.amdhsa_exception_fp_ieee_overflow 0
		.amdhsa_exception_fp_ieee_underflow 0
		.amdhsa_exception_fp_ieee_inexact 0
		.amdhsa_exception_int_div_zero 0
	.end_amdhsa_kernel
	.section	.text._ZN2at6native29vectorized_elementwise_kernelILi2EZZZNS0_21clamp_min_kernel_cudaERNS_18TensorIteratorBaseERKN3c106ScalarEENKUlvE_clEvENKUlvE7_clEvEUlNS4_8BFloat16EE_St5arrayIPcLm2EEEEviT0_T1_,"axG",@progbits,_ZN2at6native29vectorized_elementwise_kernelILi2EZZZNS0_21clamp_min_kernel_cudaERNS_18TensorIteratorBaseERKN3c106ScalarEENKUlvE_clEvENKUlvE7_clEvEUlNS4_8BFloat16EE_St5arrayIPcLm2EEEEviT0_T1_,comdat
.Lfunc_end413:
	.size	_ZN2at6native29vectorized_elementwise_kernelILi2EZZZNS0_21clamp_min_kernel_cudaERNS_18TensorIteratorBaseERKN3c106ScalarEENKUlvE_clEvENKUlvE7_clEvEUlNS4_8BFloat16EE_St5arrayIPcLm2EEEEviT0_T1_, .Lfunc_end413-_ZN2at6native29vectorized_elementwise_kernelILi2EZZZNS0_21clamp_min_kernel_cudaERNS_18TensorIteratorBaseERKN3c106ScalarEENKUlvE_clEvENKUlvE7_clEvEUlNS4_8BFloat16EE_St5arrayIPcLm2EEEEviT0_T1_
                                        ; -- End function
	.set _ZN2at6native29vectorized_elementwise_kernelILi2EZZZNS0_21clamp_min_kernel_cudaERNS_18TensorIteratorBaseERKN3c106ScalarEENKUlvE_clEvENKUlvE7_clEvEUlNS4_8BFloat16EE_St5arrayIPcLm2EEEEviT0_T1_.num_vgpr, 19
	.set _ZN2at6native29vectorized_elementwise_kernelILi2EZZZNS0_21clamp_min_kernel_cudaERNS_18TensorIteratorBaseERKN3c106ScalarEENKUlvE_clEvENKUlvE7_clEvEUlNS4_8BFloat16EE_St5arrayIPcLm2EEEEviT0_T1_.num_agpr, 0
	.set _ZN2at6native29vectorized_elementwise_kernelILi2EZZZNS0_21clamp_min_kernel_cudaERNS_18TensorIteratorBaseERKN3c106ScalarEENKUlvE_clEvENKUlvE7_clEvEUlNS4_8BFloat16EE_St5arrayIPcLm2EEEEviT0_T1_.numbered_sgpr, 42
	.set _ZN2at6native29vectorized_elementwise_kernelILi2EZZZNS0_21clamp_min_kernel_cudaERNS_18TensorIteratorBaseERKN3c106ScalarEENKUlvE_clEvENKUlvE7_clEvEUlNS4_8BFloat16EE_St5arrayIPcLm2EEEEviT0_T1_.num_named_barrier, 0
	.set _ZN2at6native29vectorized_elementwise_kernelILi2EZZZNS0_21clamp_min_kernel_cudaERNS_18TensorIteratorBaseERKN3c106ScalarEENKUlvE_clEvENKUlvE7_clEvEUlNS4_8BFloat16EE_St5arrayIPcLm2EEEEviT0_T1_.private_seg_size, 0
	.set _ZN2at6native29vectorized_elementwise_kernelILi2EZZZNS0_21clamp_min_kernel_cudaERNS_18TensorIteratorBaseERKN3c106ScalarEENKUlvE_clEvENKUlvE7_clEvEUlNS4_8BFloat16EE_St5arrayIPcLm2EEEEviT0_T1_.uses_vcc, 1
	.set _ZN2at6native29vectorized_elementwise_kernelILi2EZZZNS0_21clamp_min_kernel_cudaERNS_18TensorIteratorBaseERKN3c106ScalarEENKUlvE_clEvENKUlvE7_clEvEUlNS4_8BFloat16EE_St5arrayIPcLm2EEEEviT0_T1_.uses_flat_scratch, 0
	.set _ZN2at6native29vectorized_elementwise_kernelILi2EZZZNS0_21clamp_min_kernel_cudaERNS_18TensorIteratorBaseERKN3c106ScalarEENKUlvE_clEvENKUlvE7_clEvEUlNS4_8BFloat16EE_St5arrayIPcLm2EEEEviT0_T1_.has_dyn_sized_stack, 0
	.set _ZN2at6native29vectorized_elementwise_kernelILi2EZZZNS0_21clamp_min_kernel_cudaERNS_18TensorIteratorBaseERKN3c106ScalarEENKUlvE_clEvENKUlvE7_clEvEUlNS4_8BFloat16EE_St5arrayIPcLm2EEEEviT0_T1_.has_recursion, 0
	.set _ZN2at6native29vectorized_elementwise_kernelILi2EZZZNS0_21clamp_min_kernel_cudaERNS_18TensorIteratorBaseERKN3c106ScalarEENKUlvE_clEvENKUlvE7_clEvEUlNS4_8BFloat16EE_St5arrayIPcLm2EEEEviT0_T1_.has_indirect_call, 0
	.section	.AMDGPU.csdata,"",@progbits
; Kernel info:
; codeLenInByte = 1656
; TotalNumSgprs: 48
; NumVgprs: 19
; NumAgprs: 0
; TotalNumVgprs: 19
; ScratchSize: 0
; MemoryBound: 0
; FloatMode: 240
; IeeeMode: 1
; LDSByteSize: 0 bytes/workgroup (compile time only)
; SGPRBlocks: 5
; VGPRBlocks: 2
; NumSGPRsForWavesPerEU: 48
; NumVGPRsForWavesPerEU: 19
; AccumOffset: 20
; Occupancy: 8
; WaveLimiterHint : 1
; COMPUTE_PGM_RSRC2:SCRATCH_EN: 0
; COMPUTE_PGM_RSRC2:USER_SGPR: 2
; COMPUTE_PGM_RSRC2:TRAP_HANDLER: 0
; COMPUTE_PGM_RSRC2:TGID_X_EN: 1
; COMPUTE_PGM_RSRC2:TGID_Y_EN: 0
; COMPUTE_PGM_RSRC2:TGID_Z_EN: 0
; COMPUTE_PGM_RSRC2:TIDIG_COMP_CNT: 0
; COMPUTE_PGM_RSRC3_GFX90A:ACCUM_OFFSET: 4
; COMPUTE_PGM_RSRC3_GFX90A:TG_SPLIT: 0
	.section	.text._ZN2at6native27unrolled_elementwise_kernelIZZZNS0_21clamp_min_kernel_cudaERNS_18TensorIteratorBaseERKN3c106ScalarEENKUlvE_clEvENKUlvE7_clEvEUlNS4_8BFloat16EE_St5arrayIPcLm2EELi4E23TrivialOffsetCalculatorILi1EjESG_NS0_6memory15LoadWithoutCastENSH_16StoreWithoutCastEEEviT_T0_T2_T3_T4_T5_,"axG",@progbits,_ZN2at6native27unrolled_elementwise_kernelIZZZNS0_21clamp_min_kernel_cudaERNS_18TensorIteratorBaseERKN3c106ScalarEENKUlvE_clEvENKUlvE7_clEvEUlNS4_8BFloat16EE_St5arrayIPcLm2EELi4E23TrivialOffsetCalculatorILi1EjESG_NS0_6memory15LoadWithoutCastENSH_16StoreWithoutCastEEEviT_T0_T2_T3_T4_T5_,comdat
	.globl	_ZN2at6native27unrolled_elementwise_kernelIZZZNS0_21clamp_min_kernel_cudaERNS_18TensorIteratorBaseERKN3c106ScalarEENKUlvE_clEvENKUlvE7_clEvEUlNS4_8BFloat16EE_St5arrayIPcLm2EELi4E23TrivialOffsetCalculatorILi1EjESG_NS0_6memory15LoadWithoutCastENSH_16StoreWithoutCastEEEviT_T0_T2_T3_T4_T5_ ; -- Begin function _ZN2at6native27unrolled_elementwise_kernelIZZZNS0_21clamp_min_kernel_cudaERNS_18TensorIteratorBaseERKN3c106ScalarEENKUlvE_clEvENKUlvE7_clEvEUlNS4_8BFloat16EE_St5arrayIPcLm2EELi4E23TrivialOffsetCalculatorILi1EjESG_NS0_6memory15LoadWithoutCastENSH_16StoreWithoutCastEEEviT_T0_T2_T3_T4_T5_
	.p2align	8
	.type	_ZN2at6native27unrolled_elementwise_kernelIZZZNS0_21clamp_min_kernel_cudaERNS_18TensorIteratorBaseERKN3c106ScalarEENKUlvE_clEvENKUlvE7_clEvEUlNS4_8BFloat16EE_St5arrayIPcLm2EELi4E23TrivialOffsetCalculatorILi1EjESG_NS0_6memory15LoadWithoutCastENSH_16StoreWithoutCastEEEviT_T0_T2_T3_T4_T5_,@function
_ZN2at6native27unrolled_elementwise_kernelIZZZNS0_21clamp_min_kernel_cudaERNS_18TensorIteratorBaseERKN3c106ScalarEENKUlvE_clEvENKUlvE7_clEvEUlNS4_8BFloat16EE_St5arrayIPcLm2EELi4E23TrivialOffsetCalculatorILi1EjESG_NS0_6memory15LoadWithoutCastENSH_16StoreWithoutCastEEEviT_T0_T2_T3_T4_T5_: ; @_ZN2at6native27unrolled_elementwise_kernelIZZZNS0_21clamp_min_kernel_cudaERNS_18TensorIteratorBaseERKN3c106ScalarEENKUlvE_clEvENKUlvE7_clEvEUlNS4_8BFloat16EE_St5arrayIPcLm2EELi4E23TrivialOffsetCalculatorILi1EjESG_NS0_6memory15LoadWithoutCastENSH_16StoreWithoutCastEEEviT_T0_T2_T3_T4_T5_
; %bb.0:
	s_load_dwordx2 s[8:9], s[0:1], 0x0
	s_load_dwordx4 s[4:7], s[0:1], 0x8
	s_lshl_b32 s10, s2, 10
	v_mov_b32_e32 v4, 0
	v_or_b32_e32 v2, s10, v0
	s_waitcnt lgkmcnt(0)
	s_sub_i32 s8, s8, s10
	v_cmp_gt_i32_e32 vcc, s8, v0
	v_mov_b32_e32 v5, 0
	v_mov_b32_e32 v3, v0
	s_and_saveexec_b64 s[0:1], vcc
	s_cbranch_execz .LBB414_2
; %bb.1:
	v_mov_b32_e32 v3, 0
	v_lshl_add_u64 v[6:7], v[2:3], 1, s[6:7]
	global_load_ushort v5, v[6:7], off
	v_or_b32_e32 v3, 0x100, v0
.LBB414_2:
	s_or_b64 exec, exec, s[0:1]
	v_cmp_gt_i32_e64 s[0:1], s8, v3
	s_and_saveexec_b64 s[2:3], s[0:1]
	s_cbranch_execz .LBB414_4
; %bb.3:
	v_add_u32_e32 v6, s10, v3
	v_mov_b32_e32 v7, 0
	v_lshl_add_u64 v[6:7], v[6:7], 1, s[6:7]
	global_load_ushort v4, v[6:7], off
	v_add_u32_e32 v3, 0x100, v3
.LBB414_4:
	s_or_b64 exec, exec, s[2:3]
	v_cmp_gt_i32_e64 s[0:1], s8, v3
	v_mov_b32_e32 v1, 0
	v_mov_b32_e32 v6, 0
	s_and_saveexec_b64 s[2:3], s[0:1]
	s_cbranch_execz .LBB414_6
; %bb.5:
	v_add_u32_e32 v6, s10, v3
	v_mov_b32_e32 v7, 0
	v_lshl_add_u64 v[6:7], v[6:7], 1, s[6:7]
	global_load_ushort v6, v[6:7], off
	v_add_u32_e32 v3, 0x100, v3
.LBB414_6:
	s_or_b64 exec, exec, s[2:3]
	v_cmp_gt_i32_e64 s[0:1], s8, v3
	s_and_saveexec_b64 s[2:3], s[0:1]
	s_cbranch_execz .LBB414_8
; %bb.7:
	v_add_u32_e32 v8, s10, v3
	v_mov_b32_e32 v9, 0
	v_lshl_add_u64 v[8:9], v[8:9], 1, s[6:7]
	global_load_ushort v1, v[8:9], off
.LBB414_8:
	s_or_b64 exec, exec, s[2:3]
	s_lshl_b32 s0, s9, 16
	v_mov_b32_e32 v7, s0
	s_and_saveexec_b64 s[2:3], vcc
	s_cbranch_execnz .LBB414_13
; %bb.9:
	s_or_b64 exec, exec, s[2:3]
	v_cmp_gt_i32_e32 vcc, s8, v0
	s_and_saveexec_b64 s[2:3], vcc
	s_cbranch_execnz .LBB414_14
.LBB414_10:
	s_or_b64 exec, exec, s[2:3]
	v_cmp_gt_i32_e32 vcc, s8, v0
	s_and_saveexec_b64 s[2:3], vcc
	s_cbranch_execnz .LBB414_15
.LBB414_11:
	s_or_b64 exec, exec, s[2:3]
	v_cmp_gt_i32_e32 vcc, s8, v0
	s_and_saveexec_b64 s[0:1], vcc
	s_cbranch_execnz .LBB414_16
.LBB414_12:
	s_endpgm
.LBB414_13:
	s_waitcnt vmcnt(0)
	v_lshlrev_b32_e32 v8, 16, v5
	v_cmp_u_f32_e32 vcc, v8, v8
	v_cmp_lt_f32_e64 s[0:1], v7, v8
	v_mov_b32_e32 v3, 0
	v_mov_b32_e32 v8, s9
	s_or_b64 vcc, vcc, s[0:1]
	v_lshl_add_u64 v[2:3], v[2:3], 1, s[4:5]
	v_or_b32_e32 v0, 0x100, v0
	v_cndmask_b32_e32 v5, v8, v5, vcc
	global_store_short v[2:3], v5, off
	s_or_b64 exec, exec, s[2:3]
	v_cmp_gt_i32_e32 vcc, s8, v0
	s_and_saveexec_b64 s[2:3], vcc
	s_cbranch_execz .LBB414_10
.LBB414_14:
	s_waitcnt vmcnt(0)
	v_lshlrev_b32_e32 v2, 16, v4
	v_cmp_u_f32_e32 vcc, v2, v2
	v_cmp_lt_f32_e64 s[0:1], v7, v2
	v_mov_b32_e32 v2, s9
	s_or_b64 vcc, vcc, s[0:1]
	v_cndmask_b32_e32 v4, v2, v4, vcc
	v_add_u32_e32 v5, 0x100, v0
	v_add_u32_e32 v2, s10, v0
	v_mov_b32_e32 v3, 0
	v_lshl_add_u64 v[2:3], v[2:3], 1, s[4:5]
	v_mov_b32_e32 v0, v5
	global_store_short v[2:3], v4, off
	s_or_b64 exec, exec, s[2:3]
	v_cmp_gt_i32_e32 vcc, s8, v0
	s_and_saveexec_b64 s[2:3], vcc
	s_cbranch_execz .LBB414_11
.LBB414_15:
	s_waitcnt vmcnt(0)
	v_lshlrev_b32_e32 v2, 16, v6
	v_cmp_u_f32_e32 vcc, v2, v2
	v_cmp_lt_f32_e64 s[0:1], v7, v2
	v_mov_b32_e32 v2, s9
	s_or_b64 vcc, vcc, s[0:1]
	v_cndmask_b32_e32 v4, v2, v6, vcc
	v_add_u32_e32 v5, 0x100, v0
	v_add_u32_e32 v2, s10, v0
	v_mov_b32_e32 v3, 0
	v_lshl_add_u64 v[2:3], v[2:3], 1, s[4:5]
	v_mov_b32_e32 v0, v5
	global_store_short v[2:3], v4, off
	s_or_b64 exec, exec, s[2:3]
	v_cmp_gt_i32_e32 vcc, s8, v0
	s_and_saveexec_b64 s[0:1], vcc
	s_cbranch_execz .LBB414_12
.LBB414_16:
	s_waitcnt vmcnt(0)
	v_lshlrev_b32_e32 v2, 16, v1
	v_cmp_u_f32_e32 vcc, v2, v2
	v_cmp_gt_f32_e64 s[0:1], v2, v7
	v_mov_b32_e32 v2, s9
	s_or_b64 vcc, vcc, s[0:1]
	v_cndmask_b32_e32 v2, v2, v1, vcc
	v_add_u32_e32 v0, s10, v0
	v_mov_b32_e32 v1, 0
	v_lshl_add_u64 v[0:1], v[0:1], 1, s[4:5]
	global_store_short v[0:1], v2, off
	s_endpgm
	.section	.rodata,"a",@progbits
	.p2align	6, 0x0
	.amdhsa_kernel _ZN2at6native27unrolled_elementwise_kernelIZZZNS0_21clamp_min_kernel_cudaERNS_18TensorIteratorBaseERKN3c106ScalarEENKUlvE_clEvENKUlvE7_clEvEUlNS4_8BFloat16EE_St5arrayIPcLm2EELi4E23TrivialOffsetCalculatorILi1EjESG_NS0_6memory15LoadWithoutCastENSH_16StoreWithoutCastEEEviT_T0_T2_T3_T4_T5_
		.amdhsa_group_segment_fixed_size 0
		.amdhsa_private_segment_fixed_size 0
		.amdhsa_kernarg_size 28
		.amdhsa_user_sgpr_count 2
		.amdhsa_user_sgpr_dispatch_ptr 0
		.amdhsa_user_sgpr_queue_ptr 0
		.amdhsa_user_sgpr_kernarg_segment_ptr 1
		.amdhsa_user_sgpr_dispatch_id 0
		.amdhsa_user_sgpr_kernarg_preload_length 0
		.amdhsa_user_sgpr_kernarg_preload_offset 0
		.amdhsa_user_sgpr_private_segment_size 0
		.amdhsa_uses_dynamic_stack 0
		.amdhsa_enable_private_segment 0
		.amdhsa_system_sgpr_workgroup_id_x 1
		.amdhsa_system_sgpr_workgroup_id_y 0
		.amdhsa_system_sgpr_workgroup_id_z 0
		.amdhsa_system_sgpr_workgroup_info 0
		.amdhsa_system_vgpr_workitem_id 0
		.amdhsa_next_free_vgpr 10
		.amdhsa_next_free_sgpr 11
		.amdhsa_accum_offset 12
		.amdhsa_reserve_vcc 1
		.amdhsa_float_round_mode_32 0
		.amdhsa_float_round_mode_16_64 0
		.amdhsa_float_denorm_mode_32 3
		.amdhsa_float_denorm_mode_16_64 3
		.amdhsa_dx10_clamp 1
		.amdhsa_ieee_mode 1
		.amdhsa_fp16_overflow 0
		.amdhsa_tg_split 0
		.amdhsa_exception_fp_ieee_invalid_op 0
		.amdhsa_exception_fp_denorm_src 0
		.amdhsa_exception_fp_ieee_div_zero 0
		.amdhsa_exception_fp_ieee_overflow 0
		.amdhsa_exception_fp_ieee_underflow 0
		.amdhsa_exception_fp_ieee_inexact 0
		.amdhsa_exception_int_div_zero 0
	.end_amdhsa_kernel
	.section	.text._ZN2at6native27unrolled_elementwise_kernelIZZZNS0_21clamp_min_kernel_cudaERNS_18TensorIteratorBaseERKN3c106ScalarEENKUlvE_clEvENKUlvE7_clEvEUlNS4_8BFloat16EE_St5arrayIPcLm2EELi4E23TrivialOffsetCalculatorILi1EjESG_NS0_6memory15LoadWithoutCastENSH_16StoreWithoutCastEEEviT_T0_T2_T3_T4_T5_,"axG",@progbits,_ZN2at6native27unrolled_elementwise_kernelIZZZNS0_21clamp_min_kernel_cudaERNS_18TensorIteratorBaseERKN3c106ScalarEENKUlvE_clEvENKUlvE7_clEvEUlNS4_8BFloat16EE_St5arrayIPcLm2EELi4E23TrivialOffsetCalculatorILi1EjESG_NS0_6memory15LoadWithoutCastENSH_16StoreWithoutCastEEEviT_T0_T2_T3_T4_T5_,comdat
.Lfunc_end414:
	.size	_ZN2at6native27unrolled_elementwise_kernelIZZZNS0_21clamp_min_kernel_cudaERNS_18TensorIteratorBaseERKN3c106ScalarEENKUlvE_clEvENKUlvE7_clEvEUlNS4_8BFloat16EE_St5arrayIPcLm2EELi4E23TrivialOffsetCalculatorILi1EjESG_NS0_6memory15LoadWithoutCastENSH_16StoreWithoutCastEEEviT_T0_T2_T3_T4_T5_, .Lfunc_end414-_ZN2at6native27unrolled_elementwise_kernelIZZZNS0_21clamp_min_kernel_cudaERNS_18TensorIteratorBaseERKN3c106ScalarEENKUlvE_clEvENKUlvE7_clEvEUlNS4_8BFloat16EE_St5arrayIPcLm2EELi4E23TrivialOffsetCalculatorILi1EjESG_NS0_6memory15LoadWithoutCastENSH_16StoreWithoutCastEEEviT_T0_T2_T3_T4_T5_
                                        ; -- End function
	.set _ZN2at6native27unrolled_elementwise_kernelIZZZNS0_21clamp_min_kernel_cudaERNS_18TensorIteratorBaseERKN3c106ScalarEENKUlvE_clEvENKUlvE7_clEvEUlNS4_8BFloat16EE_St5arrayIPcLm2EELi4E23TrivialOffsetCalculatorILi1EjESG_NS0_6memory15LoadWithoutCastENSH_16StoreWithoutCastEEEviT_T0_T2_T3_T4_T5_.num_vgpr, 10
	.set _ZN2at6native27unrolled_elementwise_kernelIZZZNS0_21clamp_min_kernel_cudaERNS_18TensorIteratorBaseERKN3c106ScalarEENKUlvE_clEvENKUlvE7_clEvEUlNS4_8BFloat16EE_St5arrayIPcLm2EELi4E23TrivialOffsetCalculatorILi1EjESG_NS0_6memory15LoadWithoutCastENSH_16StoreWithoutCastEEEviT_T0_T2_T3_T4_T5_.num_agpr, 0
	.set _ZN2at6native27unrolled_elementwise_kernelIZZZNS0_21clamp_min_kernel_cudaERNS_18TensorIteratorBaseERKN3c106ScalarEENKUlvE_clEvENKUlvE7_clEvEUlNS4_8BFloat16EE_St5arrayIPcLm2EELi4E23TrivialOffsetCalculatorILi1EjESG_NS0_6memory15LoadWithoutCastENSH_16StoreWithoutCastEEEviT_T0_T2_T3_T4_T5_.numbered_sgpr, 11
	.set _ZN2at6native27unrolled_elementwise_kernelIZZZNS0_21clamp_min_kernel_cudaERNS_18TensorIteratorBaseERKN3c106ScalarEENKUlvE_clEvENKUlvE7_clEvEUlNS4_8BFloat16EE_St5arrayIPcLm2EELi4E23TrivialOffsetCalculatorILi1EjESG_NS0_6memory15LoadWithoutCastENSH_16StoreWithoutCastEEEviT_T0_T2_T3_T4_T5_.num_named_barrier, 0
	.set _ZN2at6native27unrolled_elementwise_kernelIZZZNS0_21clamp_min_kernel_cudaERNS_18TensorIteratorBaseERKN3c106ScalarEENKUlvE_clEvENKUlvE7_clEvEUlNS4_8BFloat16EE_St5arrayIPcLm2EELi4E23TrivialOffsetCalculatorILi1EjESG_NS0_6memory15LoadWithoutCastENSH_16StoreWithoutCastEEEviT_T0_T2_T3_T4_T5_.private_seg_size, 0
	.set _ZN2at6native27unrolled_elementwise_kernelIZZZNS0_21clamp_min_kernel_cudaERNS_18TensorIteratorBaseERKN3c106ScalarEENKUlvE_clEvENKUlvE7_clEvEUlNS4_8BFloat16EE_St5arrayIPcLm2EELi4E23TrivialOffsetCalculatorILi1EjESG_NS0_6memory15LoadWithoutCastENSH_16StoreWithoutCastEEEviT_T0_T2_T3_T4_T5_.uses_vcc, 1
	.set _ZN2at6native27unrolled_elementwise_kernelIZZZNS0_21clamp_min_kernel_cudaERNS_18TensorIteratorBaseERKN3c106ScalarEENKUlvE_clEvENKUlvE7_clEvEUlNS4_8BFloat16EE_St5arrayIPcLm2EELi4E23TrivialOffsetCalculatorILi1EjESG_NS0_6memory15LoadWithoutCastENSH_16StoreWithoutCastEEEviT_T0_T2_T3_T4_T5_.uses_flat_scratch, 0
	.set _ZN2at6native27unrolled_elementwise_kernelIZZZNS0_21clamp_min_kernel_cudaERNS_18TensorIteratorBaseERKN3c106ScalarEENKUlvE_clEvENKUlvE7_clEvEUlNS4_8BFloat16EE_St5arrayIPcLm2EELi4E23TrivialOffsetCalculatorILi1EjESG_NS0_6memory15LoadWithoutCastENSH_16StoreWithoutCastEEEviT_T0_T2_T3_T4_T5_.has_dyn_sized_stack, 0
	.set _ZN2at6native27unrolled_elementwise_kernelIZZZNS0_21clamp_min_kernel_cudaERNS_18TensorIteratorBaseERKN3c106ScalarEENKUlvE_clEvENKUlvE7_clEvEUlNS4_8BFloat16EE_St5arrayIPcLm2EELi4E23TrivialOffsetCalculatorILi1EjESG_NS0_6memory15LoadWithoutCastENSH_16StoreWithoutCastEEEviT_T0_T2_T3_T4_T5_.has_recursion, 0
	.set _ZN2at6native27unrolled_elementwise_kernelIZZZNS0_21clamp_min_kernel_cudaERNS_18TensorIteratorBaseERKN3c106ScalarEENKUlvE_clEvENKUlvE7_clEvEUlNS4_8BFloat16EE_St5arrayIPcLm2EELi4E23TrivialOffsetCalculatorILi1EjESG_NS0_6memory15LoadWithoutCastENSH_16StoreWithoutCastEEEviT_T0_T2_T3_T4_T5_.has_indirect_call, 0
	.section	.AMDGPU.csdata,"",@progbits
; Kernel info:
; codeLenInByte = 616
; TotalNumSgprs: 17
; NumVgprs: 10
; NumAgprs: 0
; TotalNumVgprs: 10
; ScratchSize: 0
; MemoryBound: 0
; FloatMode: 240
; IeeeMode: 1
; LDSByteSize: 0 bytes/workgroup (compile time only)
; SGPRBlocks: 2
; VGPRBlocks: 1
; NumSGPRsForWavesPerEU: 17
; NumVGPRsForWavesPerEU: 10
; AccumOffset: 12
; Occupancy: 8
; WaveLimiterHint : 0
; COMPUTE_PGM_RSRC2:SCRATCH_EN: 0
; COMPUTE_PGM_RSRC2:USER_SGPR: 2
; COMPUTE_PGM_RSRC2:TRAP_HANDLER: 0
; COMPUTE_PGM_RSRC2:TGID_X_EN: 1
; COMPUTE_PGM_RSRC2:TGID_Y_EN: 0
; COMPUTE_PGM_RSRC2:TGID_Z_EN: 0
; COMPUTE_PGM_RSRC2:TIDIG_COMP_CNT: 0
; COMPUTE_PGM_RSRC3_GFX90A:ACCUM_OFFSET: 2
; COMPUTE_PGM_RSRC3_GFX90A:TG_SPLIT: 0
	.section	.text._ZN2at6native32elementwise_kernel_manual_unrollILi128ELi8EZNS0_22gpu_kernel_impl_nocastIZZZNS0_21clamp_min_kernel_cudaERNS_18TensorIteratorBaseERKN3c106ScalarEENKUlvE_clEvENKUlvE7_clEvEUlNS5_8BFloat16EE_EEvS4_RKT_EUlibE_EEviT1_,"axG",@progbits,_ZN2at6native32elementwise_kernel_manual_unrollILi128ELi8EZNS0_22gpu_kernel_impl_nocastIZZZNS0_21clamp_min_kernel_cudaERNS_18TensorIteratorBaseERKN3c106ScalarEENKUlvE_clEvENKUlvE7_clEvEUlNS5_8BFloat16EE_EEvS4_RKT_EUlibE_EEviT1_,comdat
	.globl	_ZN2at6native32elementwise_kernel_manual_unrollILi128ELi8EZNS0_22gpu_kernel_impl_nocastIZZZNS0_21clamp_min_kernel_cudaERNS_18TensorIteratorBaseERKN3c106ScalarEENKUlvE_clEvENKUlvE7_clEvEUlNS5_8BFloat16EE_EEvS4_RKT_EUlibE_EEviT1_ ; -- Begin function _ZN2at6native32elementwise_kernel_manual_unrollILi128ELi8EZNS0_22gpu_kernel_impl_nocastIZZZNS0_21clamp_min_kernel_cudaERNS_18TensorIteratorBaseERKN3c106ScalarEENKUlvE_clEvENKUlvE7_clEvEUlNS5_8BFloat16EE_EEvS4_RKT_EUlibE_EEviT1_
	.p2align	8
	.type	_ZN2at6native32elementwise_kernel_manual_unrollILi128ELi8EZNS0_22gpu_kernel_impl_nocastIZZZNS0_21clamp_min_kernel_cudaERNS_18TensorIteratorBaseERKN3c106ScalarEENKUlvE_clEvENKUlvE7_clEvEUlNS5_8BFloat16EE_EEvS4_RKT_EUlibE_EEviT1_,@function
_ZN2at6native32elementwise_kernel_manual_unrollILi128ELi8EZNS0_22gpu_kernel_impl_nocastIZZZNS0_21clamp_min_kernel_cudaERNS_18TensorIteratorBaseERKN3c106ScalarEENKUlvE_clEvENKUlvE7_clEvEUlNS5_8BFloat16EE_EEvS4_RKT_EUlibE_EEviT1_: ; @_ZN2at6native32elementwise_kernel_manual_unrollILi128ELi8EZNS0_22gpu_kernel_impl_nocastIZZZNS0_21clamp_min_kernel_cudaERNS_18TensorIteratorBaseERKN3c106ScalarEENKUlvE_clEvENKUlvE7_clEvEUlNS5_8BFloat16EE_EEvS4_RKT_EUlibE_EEviT1_
; %bb.0:
	s_load_dword s57, s[0:1], 0x0
	s_load_dword s33, s[0:1], 0x8
	s_add_u32 s34, s0, 8
	s_addc_u32 s35, s1, 0
	v_lshl_or_b32 v24, s2, 10, v0
	v_or_b32_e32 v32, 0x380, v24
	s_waitcnt lgkmcnt(0)
	s_add_i32 s54, s33, -1
	s_cmp_gt_u32 s54, 1
	v_cmp_le_i32_e32 vcc, s57, v32
	s_cselect_b64 s[36:37], -1, 0
	s_and_saveexec_b64 s[0:1], vcc
	s_xor_b64 s[38:39], exec, s[0:1]
	s_cbranch_execz .LBB415_8
; %bb.1:
	s_cmp_lg_u32 s33, 0
	s_cselect_b64 s[46:47], -1, 0
	s_add_u32 s44, s34, 0xc4
	s_load_dwordx4 s[20:23], s[34:35], 0x4
	s_load_dwordx2 s[40:41], s[34:35], 0x14
	s_load_dword s55, s[34:35], 0x158
	s_load_dwordx4 s[24:27], s[34:35], 0xc4
	s_load_dwordx4 s[16:19], s[34:35], 0x148
	s_addc_u32 s45, s35, 0
	s_min_u32 s58, s54, 15
	s_cmp_gt_u32 s33, 1
	s_cselect_b64 s[42:43], -1, 0
	s_waitcnt lgkmcnt(0)
	s_lshl_b32 s56, s55, 16
	v_cmp_gt_i32_e32 vcc, s57, v24
	s_and_saveexec_b64 s[48:49], vcc
	s_cbranch_execz .LBB415_15
; %bb.2:
	s_andn2_b64 vcc, exec, s[36:37]
	s_cbranch_vccnz .LBB415_23
; %bb.3:
	s_andn2_b64 vcc, exec, s[46:47]
	s_cbranch_vccnz .LBB415_131
; %bb.4:
	s_add_i32 s60, s58, 1
	s_cmp_eq_u32 s54, 2
	s_cbranch_scc1 .LBB415_133
; %bb.5:
	s_and_b32 s59, s60, 28
	s_mov_b32 s61, 0
	v_mov_b32_e32 v0, 0
	v_mov_b32_e32 v2, 0
	s_mov_b64 s[50:51], s[34:35]
	s_mov_b64 s[52:53], s[44:45]
	v_mov_b32_e32 v4, v24
.LBB415_6:                              ; =>This Inner Loop Header: Depth=1
	s_load_dwordx8 s[8:15], s[50:51], 0x4
	s_load_dwordx4 s[28:31], s[50:51], 0x24
	s_load_dwordx8 s[0:7], s[52:53], 0x0
	s_add_u32 s50, s50, 48
	s_addc_u32 s51, s51, 0
	s_waitcnt lgkmcnt(0)
	v_mul_hi_u32 v1, s9, v4
	v_add_u32_e32 v1, v4, v1
	v_lshrrev_b32_e32 v1, s10, v1
	v_mul_lo_u32 v3, v1, s8
	v_mul_hi_u32 v5, s12, v1
	v_sub_u32_e32 v3, v4, v3
	v_add_u32_e32 v4, v1, v5
	v_lshrrev_b32_e32 v4, s13, v4
	v_mul_lo_u32 v6, v4, s11
	v_mul_hi_u32 v7, s15, v4
	v_sub_u32_e32 v1, v1, v6
	v_add_u32_e32 v6, v4, v7
	v_mul_lo_u32 v5, v3, s1
	v_mul_lo_u32 v3, v3, s0
	;; [unrolled: 1-line block ×4, first 2 shown]
	v_lshrrev_b32_e32 v6, s28, v6
	v_add3_u32 v0, v3, v0, v1
	v_mul_hi_u32 v3, s30, v6
	v_add3_u32 v1, v5, v2, v7
	v_mul_lo_u32 v2, v6, s14
	v_add_u32_e32 v3, v6, v3
	v_sub_u32_e32 v2, v4, v2
	v_lshrrev_b32_e32 v4, s31, v3
	s_add_i32 s61, s61, 4
	v_mul_lo_u32 v3, v4, s29
	s_add_u32 s52, s52, 32
	v_sub_u32_e32 v3, v6, v3
	s_addc_u32 s53, s53, 0
	v_mul_lo_u32 v5, v2, s4
	v_mul_lo_u32 v2, v2, s5
	;; [unrolled: 1-line block ×4, first 2 shown]
	s_cmp_lg_u32 s59, s61
	v_add3_u32 v2, v2, v1, v3
	v_add3_u32 v0, v5, v0, v6
	s_cbranch_scc1 .LBB415_6
; %bb.7:
	v_mov_b32_e32 v1, v2
	s_branch .LBB415_134
.LBB415_8:
	s_andn2_saveexec_b64 s[0:1], s[38:39]
	s_cbranch_execz .LBB415_228
.LBB415_9:
	v_cndmask_b32_e64 v0, 0, 1, s[36:37]
	v_cmp_ne_u32_e64 s[0:1], 1, v0
	s_andn2_b64 vcc, exec, s[36:37]
	s_cbranch_vccnz .LBB415_22
; %bb.10:
	s_cmp_lg_u32 s33, 0
	s_mov_b32 s26, 0
	s_cbranch_scc0 .LBB415_25
; %bb.11:
	s_min_u32 s27, s54, 15
	s_add_i32 s27, s27, 1
	s_cmp_eq_u32 s54, 2
	s_cbranch_scc1 .LBB415_26
; %bb.12:
	s_and_b32 s26, s27, 28
	s_add_u32 s2, s34, 0xc4
	s_addc_u32 s3, s35, 0
	s_mov_b32 s28, 0
	v_mov_b32_e32 v0, 0
	v_mov_b32_e32 v2, 0
	s_mov_b64 s[24:25], s[34:35]
	v_mov_b32_e32 v4, v24
.LBB415_13:                             ; =>This Inner Loop Header: Depth=1
	s_load_dwordx8 s[12:19], s[24:25], 0x4
	s_load_dwordx4 s[20:23], s[24:25], 0x24
	s_load_dwordx8 s[4:11], s[2:3], 0x0
	s_add_u32 s24, s24, 48
	s_addc_u32 s25, s25, 0
	s_waitcnt lgkmcnt(0)
	v_mul_hi_u32 v1, s13, v4
	v_add_u32_e32 v1, v4, v1
	v_lshrrev_b32_e32 v1, s14, v1
	v_mul_lo_u32 v3, v1, s12
	v_mul_hi_u32 v5, s16, v1
	v_sub_u32_e32 v3, v4, v3
	v_add_u32_e32 v4, v1, v5
	v_lshrrev_b32_e32 v4, s17, v4
	v_mul_lo_u32 v6, v4, s15
	v_mul_hi_u32 v7, s19, v4
	v_sub_u32_e32 v1, v1, v6
	v_add_u32_e32 v6, v4, v7
	v_mul_lo_u32 v5, v3, s5
	v_mul_lo_u32 v3, v3, s4
	;; [unrolled: 1-line block ×4, first 2 shown]
	v_lshrrev_b32_e32 v6, s20, v6
	v_add3_u32 v0, v3, v0, v1
	v_mul_hi_u32 v3, s22, v6
	v_add3_u32 v1, v5, v2, v7
	v_mul_lo_u32 v2, v6, s18
	v_add_u32_e32 v3, v6, v3
	v_sub_u32_e32 v2, v4, v2
	v_lshrrev_b32_e32 v4, s23, v3
	s_add_i32 s28, s28, 4
	v_mul_lo_u32 v3, v4, s21
	s_add_u32 s2, s2, 32
	v_sub_u32_e32 v3, v6, v3
	s_addc_u32 s3, s3, 0
	v_mul_lo_u32 v5, v2, s8
	v_mul_lo_u32 v2, v2, s9
	;; [unrolled: 1-line block ×4, first 2 shown]
	s_cmp_lg_u32 s26, s28
	v_add3_u32 v2, v2, v1, v3
	v_add3_u32 v0, v5, v0, v6
	s_cbranch_scc1 .LBB415_13
; %bb.14:
	v_mov_b32_e32 v1, v2
	s_and_b32 s6, s27, 3
	s_cmp_eq_u32 s6, 0
	s_cbranch_scc0 .LBB415_27
	s_branch .LBB415_29
.LBB415_15:
	s_or_b64 exec, exec, s[48:49]
	v_cmp_gt_i32_e32 vcc, s57, v24
	s_and_saveexec_b64 s[48:49], vcc
	s_cbranch_execz .LBB415_141
.LBB415_16:
	s_andn2_b64 vcc, exec, s[36:37]
	s_cbranch_vccnz .LBB415_24
; %bb.17:
	s_andn2_b64 vcc, exec, s[46:47]
	s_cbranch_vccnz .LBB415_132
; %bb.18:
	s_add_i32 s60, s58, 1
	s_cmp_eq_u32 s54, 2
	s_cbranch_scc1 .LBB415_150
; %bb.19:
	s_and_b32 s59, s60, 28
	s_mov_b32 s61, 0
	v_mov_b32_e32 v0, 0
	v_mov_b32_e32 v2, 0
	s_mov_b64 s[50:51], s[34:35]
	s_mov_b64 s[52:53], s[44:45]
	v_mov_b32_e32 v4, v24
.LBB415_20:                             ; =>This Inner Loop Header: Depth=1
	s_load_dwordx8 s[8:15], s[50:51], 0x4
	s_load_dwordx4 s[28:31], s[50:51], 0x24
	s_load_dwordx8 s[0:7], s[52:53], 0x0
	s_add_u32 s50, s50, 48
	s_addc_u32 s51, s51, 0
	s_waitcnt lgkmcnt(0)
	v_mul_hi_u32 v1, s9, v4
	v_add_u32_e32 v1, v4, v1
	v_lshrrev_b32_e32 v1, s10, v1
	v_mul_lo_u32 v3, v1, s8
	v_mul_hi_u32 v5, s12, v1
	v_sub_u32_e32 v3, v4, v3
	v_add_u32_e32 v4, v1, v5
	v_lshrrev_b32_e32 v4, s13, v4
	v_mul_lo_u32 v6, v4, s11
	v_mul_hi_u32 v7, s15, v4
	v_sub_u32_e32 v1, v1, v6
	v_add_u32_e32 v6, v4, v7
	v_mul_lo_u32 v5, v3, s1
	v_mul_lo_u32 v3, v3, s0
	;; [unrolled: 1-line block ×4, first 2 shown]
	v_lshrrev_b32_e32 v6, s28, v6
	v_add3_u32 v0, v3, v0, v1
	v_mul_hi_u32 v3, s30, v6
	v_add3_u32 v1, v5, v2, v7
	v_mul_lo_u32 v2, v6, s14
	v_add_u32_e32 v3, v6, v3
	v_sub_u32_e32 v2, v4, v2
	v_lshrrev_b32_e32 v4, s31, v3
	s_add_i32 s61, s61, 4
	v_mul_lo_u32 v3, v4, s29
	s_add_u32 s52, s52, 32
	v_sub_u32_e32 v3, v6, v3
	s_addc_u32 s53, s53, 0
	v_mul_lo_u32 v5, v2, s4
	v_mul_lo_u32 v2, v2, s5
	;; [unrolled: 1-line block ×4, first 2 shown]
	s_cmp_eq_u32 s59, s61
	v_add3_u32 v2, v2, v1, v3
	v_add3_u32 v0, v5, v0, v6
	s_cbranch_scc0 .LBB415_20
; %bb.21:
	v_mov_b32_e32 v1, v2
	s_branch .LBB415_151
.LBB415_22:
                                        ; implicit-def: $vgpr2
                                        ; implicit-def: $vgpr0
	s_branch .LBB415_30
.LBB415_23:
                                        ; implicit-def: $vgpr2
                                        ; implicit-def: $vgpr0
	s_branch .LBB415_138
.LBB415_24:
                                        ; implicit-def: $vgpr2
                                        ; implicit-def: $vgpr0
	s_branch .LBB415_155
.LBB415_25:
	v_mov_b32_e32 v2, 0
	v_mov_b32_e32 v0, 0
	s_branch .LBB415_29
.LBB415_26:
	v_mov_b32_e32 v0, 0
                                        ; implicit-def: $vgpr2
	v_mov_b32_e32 v1, v0
	v_mov_b32_e32 v4, v24
	s_and_b32 s6, s27, 3
	s_cmp_eq_u32 s6, 0
	s_cbranch_scc1 .LBB415_29
.LBB415_27:
	s_lshl_b32 s2, s26, 3
	s_add_u32 s2, s34, s2
	s_addc_u32 s3, s35, 0
	s_add_u32 s2, s2, 0xc4
	s_addc_u32 s3, s3, 0
	s_mul_i32 s4, s26, 12
	s_add_u32 s4, s34, s4
	s_addc_u32 s5, s35, 0
.LBB415_28:                             ; =>This Inner Loop Header: Depth=1
	s_load_dwordx2 s[8:9], s[4:5], 0x4
	s_load_dword s7, s[4:5], 0xc
	s_load_dwordx2 s[10:11], s[2:3], 0x0
	v_mov_b32_e32 v2, v1
	s_add_u32 s4, s4, 12
	s_waitcnt lgkmcnt(0)
	v_mul_hi_u32 v1, s9, v4
	v_add_u32_e32 v1, v4, v1
	v_lshrrev_b32_e32 v1, s7, v1
	s_addc_u32 s5, s5, 0
	v_mul_lo_u32 v3, v1, s8
	s_add_u32 s2, s2, 8
	v_sub_u32_e32 v5, v4, v3
	s_addc_u32 s3, s3, 0
	s_add_i32 s6, s6, -1
	v_mov_b32_e32 v4, v1
	v_mad_u64_u32 v[2:3], s[8:9], v5, s11, v[2:3]
	v_mad_u64_u32 v[0:1], s[8:9], v5, s10, v[0:1]
	s_cmp_lg_u32 s6, 0
	v_mov_b32_e32 v1, v2
	s_cbranch_scc1 .LBB415_28
.LBB415_29:
	s_cbranch_execnz .LBB415_32
.LBB415_30:
	s_load_dwordx4 s[4:7], s[34:35], 0x4
	s_load_dwordx2 s[2:3], s[34:35], 0xc4
	s_cmp_lt_u32 s33, 2
	s_waitcnt lgkmcnt(0)
	v_mul_hi_u32 v0, s5, v24
	v_add_u32_e32 v0, v24, v0
	v_lshrrev_b32_e32 v1, s6, v0
	v_mul_lo_u32 v0, v1, s4
	v_sub_u32_e32 v0, v24, v0
	v_mul_lo_u32 v2, v0, s3
	v_mul_lo_u32 v0, v0, s2
	s_cbranch_scc1 .LBB415_32
; %bb.31:
	s_load_dwordx4 s[4:7], s[34:35], 0x10
	s_load_dwordx2 s[2:3], s[34:35], 0xcc
	s_waitcnt lgkmcnt(0)
	v_mul_hi_u32 v3, s5, v1
	v_add_u32_e32 v3, v1, v3
	v_lshrrev_b32_e32 v3, s6, v3
	v_mul_lo_u32 v3, v3, s4
	v_sub_u32_e32 v3, v1, v3
	v_mad_u64_u32 v[0:1], s[4:5], v3, s2, v[0:1]
	v_mad_u64_u32 v[2:3], s[2:3], v3, s3, v[2:3]
.LBB415_32:
	s_and_b64 vcc, exec, s[0:1]
	v_add_u32_e32 v3, 0x80, v24
	s_cbranch_vccnz .LBB415_38
; %bb.33:
	s_cmp_lg_u32 s33, 0
	s_mov_b32 s26, 0
	s_cbranch_scc0 .LBB415_39
; %bb.34:
	s_min_u32 s27, s54, 15
	s_add_i32 s27, s27, 1
	s_cmp_eq_u32 s54, 2
	s_cbranch_scc1 .LBB415_40
; %bb.35:
	s_and_b32 s26, s27, 28
	s_add_u32 s2, s34, 0xc4
	s_addc_u32 s3, s35, 0
	s_mov_b32 s28, 0
	v_mov_b32_e32 v4, 0
	v_mov_b32_e32 v6, 0
	s_mov_b64 s[24:25], s[34:35]
	v_mov_b32_e32 v8, v3
.LBB415_36:                             ; =>This Inner Loop Header: Depth=1
	s_load_dwordx8 s[12:19], s[24:25], 0x4
	s_load_dwordx4 s[20:23], s[24:25], 0x24
	s_load_dwordx8 s[4:11], s[2:3], 0x0
	s_add_u32 s24, s24, 48
	s_addc_u32 s25, s25, 0
	s_waitcnt lgkmcnt(0)
	v_mul_hi_u32 v1, s13, v8
	v_add_u32_e32 v1, v8, v1
	v_lshrrev_b32_e32 v1, s14, v1
	v_mul_hi_u32 v7, s16, v1
	v_add_u32_e32 v7, v1, v7
	v_lshrrev_b32_e32 v7, s17, v7
	v_mul_lo_u32 v5, v1, s12
	v_mul_lo_u32 v9, v7, s15
	v_mul_hi_u32 v10, s19, v7
	v_sub_u32_e32 v5, v8, v5
	v_sub_u32_e32 v1, v1, v9
	v_add_u32_e32 v9, v7, v10
	v_mul_lo_u32 v8, v5, s5
	v_mul_lo_u32 v5, v5, s4
	;; [unrolled: 1-line block ×4, first 2 shown]
	v_lshrrev_b32_e32 v9, s20, v9
	v_add3_u32 v1, v5, v4, v1
	v_add3_u32 v4, v8, v6, v10
	v_mul_hi_u32 v6, s22, v9
	v_add_u32_e32 v6, v9, v6
	v_lshrrev_b32_e32 v8, s23, v6
	s_add_i32 s28, s28, 4
	v_mul_lo_u32 v5, v9, s18
	v_mul_lo_u32 v6, v8, s21
	s_add_u32 s2, s2, 32
	v_sub_u32_e32 v5, v7, v5
	v_sub_u32_e32 v6, v9, v6
	s_addc_u32 s3, s3, 0
	v_mul_lo_u32 v7, v5, s8
	v_mul_lo_u32 v5, v5, s9
	v_mul_lo_u32 v9, v6, s10
	v_mul_lo_u32 v6, v6, s11
	s_cmp_lg_u32 s26, s28
	v_add3_u32 v6, v5, v4, v6
	v_add3_u32 v4, v7, v1, v9
	s_cbranch_scc1 .LBB415_36
; %bb.37:
	v_mov_b32_e32 v1, v6
	s_and_b32 s6, s27, 3
	s_cmp_eq_u32 s6, 0
	s_cbranch_scc0 .LBB415_41
	s_branch .LBB415_43
.LBB415_38:
                                        ; implicit-def: $vgpr6
                                        ; implicit-def: $vgpr4
	s_branch .LBB415_44
.LBB415_39:
	v_mov_b32_e32 v6, 0
	v_mov_b32_e32 v4, 0
	s_branch .LBB415_43
.LBB415_40:
	v_mov_b32_e32 v4, 0
                                        ; implicit-def: $vgpr6
	v_mov_b32_e32 v1, v4
	v_mov_b32_e32 v8, v3
	s_and_b32 s6, s27, 3
	s_cmp_eq_u32 s6, 0
	s_cbranch_scc1 .LBB415_43
.LBB415_41:
	s_lshl_b32 s2, s26, 3
	s_add_u32 s2, s34, s2
	s_addc_u32 s3, s35, 0
	s_add_u32 s2, s2, 0xc4
	s_addc_u32 s3, s3, 0
	s_mul_i32 s4, s26, 12
	s_add_u32 s4, s34, s4
	s_addc_u32 s5, s35, 0
.LBB415_42:                             ; =>This Inner Loop Header: Depth=1
	s_load_dwordx2 s[8:9], s[4:5], 0x4
	s_load_dword s7, s[4:5], 0xc
	s_load_dwordx2 s[10:11], s[2:3], 0x0
	v_mov_b32_e32 v6, v1
	s_add_u32 s4, s4, 12
	s_waitcnt lgkmcnt(0)
	v_mul_hi_u32 v1, s9, v8
	v_add_u32_e32 v1, v8, v1
	v_lshrrev_b32_e32 v1, s7, v1
	s_addc_u32 s5, s5, 0
	v_mul_lo_u32 v5, v1, s8
	s_add_u32 s2, s2, 8
	v_sub_u32_e32 v5, v8, v5
	s_addc_u32 s3, s3, 0
	s_add_i32 s6, s6, -1
	v_mad_u64_u32 v[6:7], s[8:9], v5, s11, v[6:7]
	s_cmp_lg_u32 s6, 0
	v_mov_b32_e32 v8, v1
	v_mad_u64_u32 v[4:5], s[8:9], v5, s10, v[4:5]
	v_mov_b32_e32 v1, v6
	s_cbranch_scc1 .LBB415_42
.LBB415_43:
	s_cbranch_execnz .LBB415_46
.LBB415_44:
	s_load_dwordx4 s[4:7], s[34:35], 0x4
	s_load_dwordx2 s[2:3], s[34:35], 0xc4
	s_cmp_lt_u32 s33, 2
	s_waitcnt lgkmcnt(0)
	v_mul_hi_u32 v1, s5, v3
	v_add_u32_e32 v1, v3, v1
	v_lshrrev_b32_e32 v1, s6, v1
	v_mul_lo_u32 v4, v1, s4
	v_sub_u32_e32 v3, v3, v4
	v_mul_lo_u32 v6, v3, s3
	v_mul_lo_u32 v4, v3, s2
	s_cbranch_scc1 .LBB415_46
; %bb.45:
	s_load_dwordx4 s[4:7], s[34:35], 0x10
	s_load_dwordx2 s[2:3], s[34:35], 0xcc
	s_waitcnt lgkmcnt(0)
	v_mul_hi_u32 v3, s5, v1
	v_add_u32_e32 v3, v1, v3
	v_lshrrev_b32_e32 v3, s6, v3
	v_mul_lo_u32 v3, v3, s4
	v_sub_u32_e32 v1, v1, v3
	v_mad_u64_u32 v[4:5], s[4:5], v1, s2, v[4:5]
	v_mad_u64_u32 v[6:7], s[2:3], v1, s3, v[6:7]
.LBB415_46:
	s_and_b64 vcc, exec, s[0:1]
	v_add_u32_e32 v3, 0x100, v24
	s_cbranch_vccnz .LBB415_52
; %bb.47:
	s_cmp_lg_u32 s33, 0
	s_mov_b32 s26, 0
	s_cbranch_scc0 .LBB415_53
; %bb.48:
	s_min_u32 s27, s54, 15
	s_add_i32 s27, s27, 1
	s_cmp_eq_u32 s54, 2
	s_cbranch_scc1 .LBB415_54
; %bb.49:
	s_and_b32 s26, s27, 28
	s_add_u32 s2, s34, 0xc4
	s_addc_u32 s3, s35, 0
	s_mov_b32 s28, 0
	v_mov_b32_e32 v8, 0
	v_mov_b32_e32 v10, 0
	s_mov_b64 s[24:25], s[34:35]
	v_mov_b32_e32 v5, v3
.LBB415_50:                             ; =>This Inner Loop Header: Depth=1
	s_load_dwordx8 s[12:19], s[24:25], 0x4
	s_load_dwordx4 s[20:23], s[24:25], 0x24
	s_load_dwordx8 s[4:11], s[2:3], 0x0
	s_add_u32 s24, s24, 48
	s_addc_u32 s25, s25, 0
	s_waitcnt lgkmcnt(0)
	v_mul_hi_u32 v1, s13, v5
	v_add_u32_e32 v1, v5, v1
	v_lshrrev_b32_e32 v1, s14, v1
	v_mul_lo_u32 v7, v1, s12
	v_mul_hi_u32 v9, s16, v1
	v_sub_u32_e32 v5, v5, v7
	v_add_u32_e32 v7, v1, v9
	v_lshrrev_b32_e32 v7, s17, v7
	v_mul_lo_u32 v11, v7, s15
	v_mul_hi_u32 v12, s19, v7
	v_sub_u32_e32 v1, v1, v11
	v_add_u32_e32 v11, v7, v12
	v_mul_lo_u32 v9, v5, s5
	v_mul_lo_u32 v5, v5, s4
	;; [unrolled: 1-line block ×4, first 2 shown]
	v_lshrrev_b32_e32 v11, s20, v11
	v_add3_u32 v1, v5, v8, v1
	v_add3_u32 v8, v9, v10, v12
	v_mul_lo_u32 v5, v11, s18
	v_mul_hi_u32 v9, s22, v11
	v_sub_u32_e32 v5, v7, v5
	v_add_u32_e32 v7, v11, v9
	v_mul_lo_u32 v9, v5, s8
	v_mul_lo_u32 v10, v5, s9
	v_lshrrev_b32_e32 v5, s23, v7
	s_add_i32 s28, s28, 4
	v_mul_lo_u32 v7, v5, s21
	s_add_u32 s2, s2, 32
	v_sub_u32_e32 v7, v11, v7
	s_addc_u32 s3, s3, 0
	v_mul_lo_u32 v11, v7, s10
	v_mul_lo_u32 v7, v7, s11
	s_cmp_lg_u32 s26, s28
	v_add3_u32 v10, v10, v8, v7
	v_add3_u32 v8, v9, v1, v11
	s_cbranch_scc1 .LBB415_50
; %bb.51:
	v_mov_b32_e32 v1, v10
	s_and_b32 s6, s27, 3
	s_cmp_eq_u32 s6, 0
	s_cbranch_scc0 .LBB415_55
	s_branch .LBB415_57
.LBB415_52:
                                        ; implicit-def: $vgpr10
                                        ; implicit-def: $vgpr8
	s_branch .LBB415_58
.LBB415_53:
	v_mov_b32_e32 v10, 0
	v_mov_b32_e32 v8, 0
	s_branch .LBB415_57
.LBB415_54:
	v_mov_b32_e32 v8, 0
                                        ; implicit-def: $vgpr10
	v_mov_b32_e32 v1, v8
	v_mov_b32_e32 v5, v3
	s_and_b32 s6, s27, 3
	s_cmp_eq_u32 s6, 0
	s_cbranch_scc1 .LBB415_57
.LBB415_55:
	s_lshl_b32 s2, s26, 3
	s_add_u32 s2, s34, s2
	s_addc_u32 s3, s35, 0
	s_add_u32 s2, s2, 0xc4
	s_addc_u32 s3, s3, 0
	s_mul_i32 s4, s26, 12
	s_add_u32 s4, s34, s4
	s_addc_u32 s5, s35, 0
.LBB415_56:                             ; =>This Inner Loop Header: Depth=1
	s_load_dwordx2 s[8:9], s[4:5], 0x4
	s_load_dword s7, s[4:5], 0xc
	s_load_dwordx2 s[10:11], s[2:3], 0x0
	v_mov_b32_e32 v10, v1
	s_add_u32 s4, s4, 12
	s_waitcnt lgkmcnt(0)
	v_mul_hi_u32 v1, s9, v5
	v_add_u32_e32 v1, v5, v1
	v_lshrrev_b32_e32 v1, s7, v1
	s_addc_u32 s5, s5, 0
	v_mul_lo_u32 v7, v1, s8
	s_add_u32 s2, s2, 8
	v_sub_u32_e32 v7, v5, v7
	s_addc_u32 s3, s3, 0
	s_add_i32 s6, s6, -1
	v_mad_u64_u32 v[10:11], s[8:9], v7, s11, v[10:11]
	s_cmp_lg_u32 s6, 0
	v_mov_b32_e32 v5, v1
	v_mad_u64_u32 v[8:9], s[8:9], v7, s10, v[8:9]
	v_mov_b32_e32 v1, v10
	s_cbranch_scc1 .LBB415_56
.LBB415_57:
	s_cbranch_execnz .LBB415_60
.LBB415_58:
	s_load_dwordx4 s[4:7], s[34:35], 0x4
	s_load_dwordx2 s[2:3], s[34:35], 0xc4
	s_cmp_lt_u32 s33, 2
	s_waitcnt lgkmcnt(0)
	v_mul_hi_u32 v1, s5, v3
	v_add_u32_e32 v1, v3, v1
	v_lshrrev_b32_e32 v1, s6, v1
	v_mul_lo_u32 v5, v1, s4
	v_sub_u32_e32 v3, v3, v5
	v_mul_lo_u32 v10, v3, s3
	v_mul_lo_u32 v8, v3, s2
	s_cbranch_scc1 .LBB415_60
; %bb.59:
	s_load_dwordx4 s[4:7], s[34:35], 0x10
	s_load_dwordx2 s[2:3], s[34:35], 0xcc
	s_waitcnt lgkmcnt(0)
	v_mul_hi_u32 v3, s5, v1
	v_add_u32_e32 v3, v1, v3
	v_lshrrev_b32_e32 v3, s6, v3
	v_mul_lo_u32 v3, v3, s4
	v_sub_u32_e32 v1, v1, v3
	v_mad_u64_u32 v[8:9], s[4:5], v1, s2, v[8:9]
	v_mad_u64_u32 v[10:11], s[2:3], v1, s3, v[10:11]
.LBB415_60:
	s_and_b64 vcc, exec, s[0:1]
	v_add_u32_e32 v3, 0x180, v24
	s_cbranch_vccnz .LBB415_66
; %bb.61:
	s_cmp_lg_u32 s33, 0
	s_mov_b32 s26, 0
	s_cbranch_scc0 .LBB415_67
; %bb.62:
	s_min_u32 s27, s54, 15
	s_add_i32 s27, s27, 1
	s_cmp_eq_u32 s54, 2
	s_cbranch_scc1 .LBB415_68
; %bb.63:
	s_and_b32 s26, s27, 28
	s_add_u32 s2, s34, 0xc4
	s_addc_u32 s3, s35, 0
	s_mov_b32 s28, 0
	v_mov_b32_e32 v12, 0
	v_mov_b32_e32 v14, 0
	s_mov_b64 s[24:25], s[34:35]
	v_mov_b32_e32 v5, v3
.LBB415_64:                             ; =>This Inner Loop Header: Depth=1
	s_load_dwordx8 s[12:19], s[24:25], 0x4
	s_load_dwordx4 s[20:23], s[24:25], 0x24
	s_load_dwordx8 s[4:11], s[2:3], 0x0
	s_add_u32 s24, s24, 48
	s_addc_u32 s25, s25, 0
	s_waitcnt lgkmcnt(0)
	v_mul_hi_u32 v1, s13, v5
	v_add_u32_e32 v1, v5, v1
	v_lshrrev_b32_e32 v1, s14, v1
	v_mul_lo_u32 v7, v1, s12
	v_mul_hi_u32 v9, s16, v1
	v_sub_u32_e32 v5, v5, v7
	v_add_u32_e32 v7, v1, v9
	v_lshrrev_b32_e32 v7, s17, v7
	v_mul_lo_u32 v11, v7, s15
	v_mul_hi_u32 v13, s19, v7
	v_sub_u32_e32 v1, v1, v11
	v_add_u32_e32 v11, v7, v13
	v_mul_lo_u32 v9, v5, s5
	v_mul_lo_u32 v5, v5, s4
	v_mul_lo_u32 v13, v1, s7
	v_mul_lo_u32 v1, v1, s6
	v_lshrrev_b32_e32 v11, s20, v11
	v_add3_u32 v1, v5, v12, v1
	v_mul_lo_u32 v5, v11, s18
	v_mul_hi_u32 v12, s22, v11
	v_sub_u32_e32 v5, v7, v5
	v_add_u32_e32 v7, v11, v12
	v_add3_u32 v9, v9, v14, v13
	v_mul_lo_u32 v12, v5, s8
	v_mul_lo_u32 v13, v5, s9
	v_lshrrev_b32_e32 v5, s23, v7
	s_add_i32 s28, s28, 4
	v_mul_lo_u32 v7, v5, s21
	s_add_u32 s2, s2, 32
	v_sub_u32_e32 v7, v11, v7
	s_addc_u32 s3, s3, 0
	v_mul_lo_u32 v11, v7, s10
	v_mul_lo_u32 v7, v7, s11
	s_cmp_lg_u32 s26, s28
	v_add3_u32 v14, v13, v9, v7
	v_add3_u32 v12, v12, v1, v11
	s_cbranch_scc1 .LBB415_64
; %bb.65:
	v_mov_b32_e32 v1, v14
	s_and_b32 s6, s27, 3
	s_cmp_eq_u32 s6, 0
	s_cbranch_scc0 .LBB415_69
	s_branch .LBB415_71
.LBB415_66:
                                        ; implicit-def: $vgpr14
                                        ; implicit-def: $vgpr12
	s_branch .LBB415_72
.LBB415_67:
	v_mov_b32_e32 v14, 0
	v_mov_b32_e32 v12, 0
	s_branch .LBB415_71
.LBB415_68:
	v_mov_b32_e32 v12, 0
                                        ; implicit-def: $vgpr14
	v_mov_b32_e32 v1, v12
	v_mov_b32_e32 v5, v3
	s_and_b32 s6, s27, 3
	s_cmp_eq_u32 s6, 0
	s_cbranch_scc1 .LBB415_71
.LBB415_69:
	s_lshl_b32 s2, s26, 3
	s_add_u32 s2, s34, s2
	s_addc_u32 s3, s35, 0
	s_add_u32 s2, s2, 0xc4
	s_addc_u32 s3, s3, 0
	s_mul_i32 s4, s26, 12
	s_add_u32 s4, s34, s4
	s_addc_u32 s5, s35, 0
.LBB415_70:                             ; =>This Inner Loop Header: Depth=1
	s_load_dwordx2 s[8:9], s[4:5], 0x4
	s_load_dword s7, s[4:5], 0xc
	s_load_dwordx2 s[10:11], s[2:3], 0x0
	v_mov_b32_e32 v14, v1
	s_add_u32 s4, s4, 12
	s_waitcnt lgkmcnt(0)
	v_mul_hi_u32 v1, s9, v5
	v_add_u32_e32 v1, v5, v1
	v_lshrrev_b32_e32 v1, s7, v1
	s_addc_u32 s5, s5, 0
	v_mul_lo_u32 v7, v1, s8
	s_add_u32 s2, s2, 8
	v_sub_u32_e32 v7, v5, v7
	s_addc_u32 s3, s3, 0
	s_add_i32 s6, s6, -1
	v_mad_u64_u32 v[14:15], s[8:9], v7, s11, v[14:15]
	s_cmp_lg_u32 s6, 0
	v_mov_b32_e32 v5, v1
	v_mad_u64_u32 v[12:13], s[8:9], v7, s10, v[12:13]
	v_mov_b32_e32 v1, v14
	s_cbranch_scc1 .LBB415_70
.LBB415_71:
	s_cbranch_execnz .LBB415_74
.LBB415_72:
	s_load_dwordx4 s[4:7], s[34:35], 0x4
	s_load_dwordx2 s[2:3], s[34:35], 0xc4
	s_cmp_lt_u32 s33, 2
	s_waitcnt lgkmcnt(0)
	v_mul_hi_u32 v1, s5, v3
	v_add_u32_e32 v1, v3, v1
	v_lshrrev_b32_e32 v1, s6, v1
	v_mul_lo_u32 v5, v1, s4
	v_sub_u32_e32 v3, v3, v5
	v_mul_lo_u32 v14, v3, s3
	v_mul_lo_u32 v12, v3, s2
	s_cbranch_scc1 .LBB415_74
; %bb.73:
	s_load_dwordx4 s[4:7], s[34:35], 0x10
	s_load_dwordx2 s[2:3], s[34:35], 0xcc
	s_waitcnt lgkmcnt(0)
	v_mul_hi_u32 v3, s5, v1
	v_add_u32_e32 v3, v1, v3
	v_lshrrev_b32_e32 v3, s6, v3
	v_mul_lo_u32 v3, v3, s4
	v_sub_u32_e32 v1, v1, v3
	v_mad_u64_u32 v[12:13], s[4:5], v1, s2, v[12:13]
	v_mad_u64_u32 v[14:15], s[2:3], v1, s3, v[14:15]
.LBB415_74:
	s_and_b64 vcc, exec, s[0:1]
	v_add_u32_e32 v3, 0x200, v24
	s_cbranch_vccnz .LBB415_80
; %bb.75:
	s_cmp_lg_u32 s33, 0
	s_mov_b32 s26, 0
	s_cbranch_scc0 .LBB415_81
; %bb.76:
	s_min_u32 s27, s54, 15
	s_add_i32 s27, s27, 1
	s_cmp_eq_u32 s54, 2
	s_cbranch_scc1 .LBB415_82
; %bb.77:
	s_and_b32 s26, s27, 28
	s_add_u32 s2, s34, 0xc4
	s_addc_u32 s3, s35, 0
	s_mov_b32 s28, 0
	v_mov_b32_e32 v16, 0
	v_mov_b32_e32 v18, 0
	s_mov_b64 s[24:25], s[34:35]
	v_mov_b32_e32 v5, v3
.LBB415_78:                             ; =>This Inner Loop Header: Depth=1
	s_load_dwordx8 s[12:19], s[24:25], 0x4
	s_load_dwordx4 s[20:23], s[24:25], 0x24
	s_load_dwordx8 s[4:11], s[2:3], 0x0
	s_add_u32 s24, s24, 48
	s_addc_u32 s25, s25, 0
	s_waitcnt lgkmcnt(0)
	v_mul_hi_u32 v1, s13, v5
	v_add_u32_e32 v1, v5, v1
	v_lshrrev_b32_e32 v1, s14, v1
	v_mul_lo_u32 v7, v1, s12
	v_mul_hi_u32 v9, s16, v1
	v_sub_u32_e32 v5, v5, v7
	v_add_u32_e32 v7, v1, v9
	v_lshrrev_b32_e32 v7, s17, v7
	v_mul_lo_u32 v11, v7, s15
	v_mul_hi_u32 v13, s19, v7
	v_sub_u32_e32 v1, v1, v11
	v_add_u32_e32 v11, v7, v13
	v_mul_lo_u32 v9, v5, s5
	v_mul_lo_u32 v5, v5, s4
	;; [unrolled: 1-line block ×4, first 2 shown]
	v_lshrrev_b32_e32 v11, s20, v11
	v_add3_u32 v1, v5, v16, v1
	v_add3_u32 v9, v9, v18, v13
	v_mul_lo_u32 v5, v11, s18
	v_mul_hi_u32 v13, s22, v11
	v_sub_u32_e32 v5, v7, v5
	v_add_u32_e32 v7, v11, v13
	v_mul_lo_u32 v13, v5, s8
	v_mul_lo_u32 v15, v5, s9
	v_lshrrev_b32_e32 v5, s23, v7
	s_add_i32 s28, s28, 4
	v_mul_lo_u32 v7, v5, s21
	s_add_u32 s2, s2, 32
	v_sub_u32_e32 v7, v11, v7
	s_addc_u32 s3, s3, 0
	v_mul_lo_u32 v11, v7, s10
	v_mul_lo_u32 v7, v7, s11
	s_cmp_lg_u32 s26, s28
	v_add3_u32 v18, v15, v9, v7
	v_add3_u32 v16, v13, v1, v11
	s_cbranch_scc1 .LBB415_78
; %bb.79:
	v_mov_b32_e32 v1, v18
	s_and_b32 s6, s27, 3
	s_cmp_eq_u32 s6, 0
	s_cbranch_scc0 .LBB415_83
	s_branch .LBB415_85
.LBB415_80:
                                        ; implicit-def: $vgpr18
                                        ; implicit-def: $vgpr16
	s_branch .LBB415_86
.LBB415_81:
	v_mov_b32_e32 v18, 0
	v_mov_b32_e32 v16, 0
	s_branch .LBB415_85
.LBB415_82:
	v_mov_b32_e32 v16, 0
                                        ; implicit-def: $vgpr18
	v_mov_b32_e32 v1, v16
	v_mov_b32_e32 v5, v3
	s_and_b32 s6, s27, 3
	s_cmp_eq_u32 s6, 0
	s_cbranch_scc1 .LBB415_85
.LBB415_83:
	s_lshl_b32 s2, s26, 3
	s_add_u32 s2, s34, s2
	s_addc_u32 s3, s35, 0
	s_add_u32 s2, s2, 0xc4
	s_addc_u32 s3, s3, 0
	s_mul_i32 s4, s26, 12
	s_add_u32 s4, s34, s4
	s_addc_u32 s5, s35, 0
.LBB415_84:                             ; =>This Inner Loop Header: Depth=1
	s_load_dwordx2 s[8:9], s[4:5], 0x4
	s_load_dword s7, s[4:5], 0xc
	s_load_dwordx2 s[10:11], s[2:3], 0x0
	v_mov_b32_e32 v18, v1
	s_add_u32 s4, s4, 12
	s_waitcnt lgkmcnt(0)
	v_mul_hi_u32 v1, s9, v5
	v_add_u32_e32 v1, v5, v1
	v_lshrrev_b32_e32 v1, s7, v1
	s_addc_u32 s5, s5, 0
	v_mul_lo_u32 v7, v1, s8
	s_add_u32 s2, s2, 8
	v_sub_u32_e32 v7, v5, v7
	s_addc_u32 s3, s3, 0
	s_add_i32 s6, s6, -1
	v_mad_u64_u32 v[18:19], s[8:9], v7, s11, v[18:19]
	s_cmp_lg_u32 s6, 0
	v_mov_b32_e32 v5, v1
	v_mad_u64_u32 v[16:17], s[8:9], v7, s10, v[16:17]
	v_mov_b32_e32 v1, v18
	s_cbranch_scc1 .LBB415_84
.LBB415_85:
	s_cbranch_execnz .LBB415_88
.LBB415_86:
	s_load_dwordx4 s[4:7], s[34:35], 0x4
	s_load_dwordx2 s[2:3], s[34:35], 0xc4
	s_cmp_lt_u32 s33, 2
	s_waitcnt lgkmcnt(0)
	v_mul_hi_u32 v1, s5, v3
	v_add_u32_e32 v1, v3, v1
	v_lshrrev_b32_e32 v1, s6, v1
	v_mul_lo_u32 v5, v1, s4
	v_sub_u32_e32 v3, v3, v5
	v_mul_lo_u32 v18, v3, s3
	v_mul_lo_u32 v16, v3, s2
	s_cbranch_scc1 .LBB415_88
; %bb.87:
	s_load_dwordx4 s[4:7], s[34:35], 0x10
	s_load_dwordx2 s[2:3], s[34:35], 0xcc
	s_waitcnt lgkmcnt(0)
	v_mul_hi_u32 v3, s5, v1
	v_add_u32_e32 v3, v1, v3
	v_lshrrev_b32_e32 v3, s6, v3
	v_mul_lo_u32 v3, v3, s4
	v_sub_u32_e32 v1, v1, v3
	v_mad_u64_u32 v[16:17], s[4:5], v1, s2, v[16:17]
	v_mad_u64_u32 v[18:19], s[2:3], v1, s3, v[18:19]
.LBB415_88:
	s_and_b64 vcc, exec, s[0:1]
	v_add_u32_e32 v3, 0x280, v24
	s_cbranch_vccnz .LBB415_94
; %bb.89:
	s_cmp_lg_u32 s33, 0
	s_mov_b32 s26, 0
	s_cbranch_scc0 .LBB415_95
; %bb.90:
	s_min_u32 s27, s54, 15
	s_add_i32 s27, s27, 1
	s_cmp_eq_u32 s54, 2
	s_cbranch_scc1 .LBB415_96
; %bb.91:
	s_and_b32 s26, s27, 28
	s_add_u32 s2, s34, 0xc4
	s_addc_u32 s3, s35, 0
	s_mov_b32 s28, 0
	v_mov_b32_e32 v20, 0
	v_mov_b32_e32 v22, 0
	s_mov_b64 s[24:25], s[34:35]
	v_mov_b32_e32 v5, v3
.LBB415_92:                             ; =>This Inner Loop Header: Depth=1
	s_load_dwordx8 s[12:19], s[24:25], 0x4
	s_load_dwordx4 s[20:23], s[24:25], 0x24
	s_load_dwordx8 s[4:11], s[2:3], 0x0
	s_add_u32 s24, s24, 48
	s_addc_u32 s25, s25, 0
	s_waitcnt lgkmcnt(0)
	v_mul_hi_u32 v1, s13, v5
	v_add_u32_e32 v1, v5, v1
	v_lshrrev_b32_e32 v1, s14, v1
	v_mul_lo_u32 v7, v1, s12
	v_mul_hi_u32 v9, s16, v1
	v_sub_u32_e32 v5, v5, v7
	v_add_u32_e32 v7, v1, v9
	v_lshrrev_b32_e32 v7, s17, v7
	v_mul_lo_u32 v11, v7, s15
	v_mul_hi_u32 v13, s19, v7
	v_sub_u32_e32 v1, v1, v11
	v_add_u32_e32 v11, v7, v13
	v_mul_lo_u32 v9, v5, s5
	v_mul_lo_u32 v5, v5, s4
	;; [unrolled: 1-line block ×4, first 2 shown]
	v_lshrrev_b32_e32 v11, s20, v11
	v_add3_u32 v1, v5, v20, v1
	v_add3_u32 v9, v9, v22, v13
	v_mul_lo_u32 v5, v11, s18
	v_mul_hi_u32 v13, s22, v11
	v_sub_u32_e32 v5, v7, v5
	v_add_u32_e32 v7, v11, v13
	v_mul_lo_u32 v13, v5, s8
	v_mul_lo_u32 v15, v5, s9
	v_lshrrev_b32_e32 v5, s23, v7
	s_add_i32 s28, s28, 4
	v_mul_lo_u32 v7, v5, s21
	s_add_u32 s2, s2, 32
	v_sub_u32_e32 v7, v11, v7
	s_addc_u32 s3, s3, 0
	v_mul_lo_u32 v11, v7, s10
	v_mul_lo_u32 v7, v7, s11
	s_cmp_lg_u32 s26, s28
	v_add3_u32 v22, v15, v9, v7
	v_add3_u32 v20, v13, v1, v11
	s_cbranch_scc1 .LBB415_92
; %bb.93:
	v_mov_b32_e32 v1, v22
	s_and_b32 s6, s27, 3
	s_cmp_eq_u32 s6, 0
	s_cbranch_scc0 .LBB415_97
	s_branch .LBB415_99
.LBB415_94:
                                        ; implicit-def: $vgpr22
                                        ; implicit-def: $vgpr20
	s_branch .LBB415_100
.LBB415_95:
	v_mov_b32_e32 v22, 0
	v_mov_b32_e32 v20, 0
	s_branch .LBB415_99
.LBB415_96:
	v_mov_b32_e32 v20, 0
                                        ; implicit-def: $vgpr22
	v_mov_b32_e32 v1, v20
	v_mov_b32_e32 v5, v3
	s_and_b32 s6, s27, 3
	s_cmp_eq_u32 s6, 0
	s_cbranch_scc1 .LBB415_99
.LBB415_97:
	s_lshl_b32 s2, s26, 3
	s_add_u32 s2, s34, s2
	s_addc_u32 s3, s35, 0
	s_add_u32 s2, s2, 0xc4
	s_addc_u32 s3, s3, 0
	s_mul_i32 s4, s26, 12
	s_add_u32 s4, s34, s4
	s_addc_u32 s5, s35, 0
.LBB415_98:                             ; =>This Inner Loop Header: Depth=1
	s_load_dwordx2 s[8:9], s[4:5], 0x4
	s_load_dword s7, s[4:5], 0xc
	s_load_dwordx2 s[10:11], s[2:3], 0x0
	v_mov_b32_e32 v22, v1
	s_add_u32 s4, s4, 12
	s_waitcnt lgkmcnt(0)
	v_mul_hi_u32 v1, s9, v5
	v_add_u32_e32 v1, v5, v1
	v_lshrrev_b32_e32 v1, s7, v1
	s_addc_u32 s5, s5, 0
	v_mul_lo_u32 v7, v1, s8
	s_add_u32 s2, s2, 8
	v_sub_u32_e32 v7, v5, v7
	s_addc_u32 s3, s3, 0
	s_add_i32 s6, s6, -1
	v_mad_u64_u32 v[22:23], s[8:9], v7, s11, v[22:23]
	s_cmp_lg_u32 s6, 0
	v_mov_b32_e32 v5, v1
	v_mad_u64_u32 v[20:21], s[8:9], v7, s10, v[20:21]
	v_mov_b32_e32 v1, v22
	s_cbranch_scc1 .LBB415_98
.LBB415_99:
	s_cbranch_execnz .LBB415_102
.LBB415_100:
	s_load_dwordx4 s[4:7], s[34:35], 0x4
	s_load_dwordx2 s[2:3], s[34:35], 0xc4
	s_cmp_lt_u32 s33, 2
	s_waitcnt lgkmcnt(0)
	v_mul_hi_u32 v1, s5, v3
	v_add_u32_e32 v1, v3, v1
	v_lshrrev_b32_e32 v1, s6, v1
	v_mul_lo_u32 v5, v1, s4
	v_sub_u32_e32 v3, v3, v5
	v_mul_lo_u32 v22, v3, s3
	v_mul_lo_u32 v20, v3, s2
	s_cbranch_scc1 .LBB415_102
; %bb.101:
	s_load_dwordx4 s[4:7], s[34:35], 0x10
	s_load_dwordx2 s[2:3], s[34:35], 0xcc
	s_waitcnt lgkmcnt(0)
	v_mul_hi_u32 v3, s5, v1
	v_add_u32_e32 v3, v1, v3
	v_lshrrev_b32_e32 v3, s6, v3
	v_mul_lo_u32 v3, v3, s4
	v_sub_u32_e32 v1, v1, v3
	v_mad_u64_u32 v[20:21], s[4:5], v1, s2, v[20:21]
	v_mad_u64_u32 v[22:23], s[2:3], v1, s3, v[22:23]
.LBB415_102:
	s_and_b64 vcc, exec, s[0:1]
	v_add_u32_e32 v3, 0x300, v24
	s_cbranch_vccnz .LBB415_108
; %bb.103:
	s_cmp_lg_u32 s33, 0
	s_mov_b32 s26, 0
	s_cbranch_scc0 .LBB415_109
; %bb.104:
	s_min_u32 s27, s54, 15
	s_add_i32 s27, s27, 1
	s_cmp_eq_u32 s54, 2
	s_cbranch_scc1 .LBB415_110
; %bb.105:
	s_and_b32 s26, s27, 28
	s_add_u32 s2, s34, 0xc4
	s_addc_u32 s3, s35, 0
	s_mov_b32 s28, 0
	v_mov_b32_e32 v24, 0
	v_mov_b32_e32 v26, 0
	s_mov_b64 s[24:25], s[34:35]
	v_mov_b32_e32 v5, v3
.LBB415_106:                            ; =>This Inner Loop Header: Depth=1
	s_load_dwordx8 s[12:19], s[24:25], 0x4
	s_load_dwordx4 s[20:23], s[24:25], 0x24
	s_load_dwordx8 s[4:11], s[2:3], 0x0
	s_add_u32 s24, s24, 48
	s_addc_u32 s25, s25, 0
	s_waitcnt lgkmcnt(0)
	v_mul_hi_u32 v1, s13, v5
	v_add_u32_e32 v1, v5, v1
	v_lshrrev_b32_e32 v1, s14, v1
	v_mul_lo_u32 v7, v1, s12
	v_mul_hi_u32 v9, s16, v1
	v_sub_u32_e32 v5, v5, v7
	v_add_u32_e32 v7, v1, v9
	v_lshrrev_b32_e32 v7, s17, v7
	v_mul_lo_u32 v11, v7, s15
	v_mul_hi_u32 v13, s19, v7
	v_sub_u32_e32 v1, v1, v11
	v_add_u32_e32 v11, v7, v13
	v_mul_lo_u32 v9, v5, s5
	v_mul_lo_u32 v5, v5, s4
	;; [unrolled: 1-line block ×4, first 2 shown]
	v_lshrrev_b32_e32 v11, s20, v11
	v_add3_u32 v1, v5, v24, v1
	v_add3_u32 v9, v9, v26, v13
	v_mul_lo_u32 v5, v11, s18
	v_mul_hi_u32 v13, s22, v11
	v_sub_u32_e32 v5, v7, v5
	v_add_u32_e32 v7, v11, v13
	v_mul_lo_u32 v13, v5, s8
	v_mul_lo_u32 v15, v5, s9
	v_lshrrev_b32_e32 v5, s23, v7
	s_add_i32 s28, s28, 4
	v_mul_lo_u32 v7, v5, s21
	s_add_u32 s2, s2, 32
	v_sub_u32_e32 v7, v11, v7
	s_addc_u32 s3, s3, 0
	v_mul_lo_u32 v11, v7, s10
	v_mul_lo_u32 v7, v7, s11
	s_cmp_lg_u32 s26, s28
	v_add3_u32 v26, v15, v9, v7
	v_add3_u32 v24, v13, v1, v11
	s_cbranch_scc1 .LBB415_106
; %bb.107:
	v_mov_b32_e32 v1, v26
	s_and_b32 s6, s27, 3
	s_cmp_eq_u32 s6, 0
	s_cbranch_scc0 .LBB415_111
	s_branch .LBB415_113
.LBB415_108:
                                        ; implicit-def: $vgpr26
                                        ; implicit-def: $vgpr24
	s_branch .LBB415_114
.LBB415_109:
	v_mov_b32_e32 v26, 0
	v_mov_b32_e32 v24, 0
	s_branch .LBB415_113
.LBB415_110:
	v_mov_b32_e32 v24, 0
                                        ; implicit-def: $vgpr26
	v_mov_b32_e32 v1, v24
	v_mov_b32_e32 v5, v3
	s_and_b32 s6, s27, 3
	s_cmp_eq_u32 s6, 0
	s_cbranch_scc1 .LBB415_113
.LBB415_111:
	s_lshl_b32 s2, s26, 3
	s_add_u32 s2, s34, s2
	s_addc_u32 s3, s35, 0
	s_add_u32 s2, s2, 0xc4
	s_addc_u32 s3, s3, 0
	s_mul_i32 s4, s26, 12
	s_add_u32 s4, s34, s4
	s_addc_u32 s5, s35, 0
.LBB415_112:                            ; =>This Inner Loop Header: Depth=1
	s_load_dwordx2 s[8:9], s[4:5], 0x4
	s_load_dword s7, s[4:5], 0xc
	s_load_dwordx2 s[10:11], s[2:3], 0x0
	v_mov_b32_e32 v26, v1
	s_add_u32 s4, s4, 12
	s_waitcnt lgkmcnt(0)
	v_mul_hi_u32 v1, s9, v5
	v_add_u32_e32 v1, v5, v1
	v_lshrrev_b32_e32 v1, s7, v1
	s_addc_u32 s5, s5, 0
	v_mul_lo_u32 v7, v1, s8
	s_add_u32 s2, s2, 8
	v_sub_u32_e32 v7, v5, v7
	s_addc_u32 s3, s3, 0
	s_add_i32 s6, s6, -1
	v_mad_u64_u32 v[26:27], s[8:9], v7, s11, v[26:27]
	s_cmp_lg_u32 s6, 0
	v_mov_b32_e32 v5, v1
	v_mad_u64_u32 v[24:25], s[8:9], v7, s10, v[24:25]
	v_mov_b32_e32 v1, v26
	s_cbranch_scc1 .LBB415_112
.LBB415_113:
	s_cbranch_execnz .LBB415_116
.LBB415_114:
	s_load_dwordx4 s[4:7], s[34:35], 0x4
	s_load_dwordx2 s[2:3], s[34:35], 0xc4
	s_cmp_lt_u32 s33, 2
	s_waitcnt lgkmcnt(0)
	v_mul_hi_u32 v1, s5, v3
	v_add_u32_e32 v1, v3, v1
	v_lshrrev_b32_e32 v1, s6, v1
	v_mul_lo_u32 v5, v1, s4
	v_sub_u32_e32 v3, v3, v5
	v_mul_lo_u32 v26, v3, s3
	v_mul_lo_u32 v24, v3, s2
	s_cbranch_scc1 .LBB415_116
; %bb.115:
	s_load_dwordx4 s[4:7], s[34:35], 0x10
	s_load_dwordx2 s[2:3], s[34:35], 0xcc
	s_waitcnt lgkmcnt(0)
	v_mul_hi_u32 v3, s5, v1
	v_add_u32_e32 v3, v1, v3
	v_lshrrev_b32_e32 v3, s6, v3
	v_mul_lo_u32 v3, v3, s4
	v_sub_u32_e32 v1, v1, v3
	v_mad_u64_u32 v[24:25], s[4:5], v1, s2, v[24:25]
	v_mad_u64_u32 v[26:27], s[2:3], v1, s3, v[26:27]
.LBB415_116:
	s_and_b64 vcc, exec, s[0:1]
	s_cbranch_vccnz .LBB415_122
; %bb.117:
	s_cmp_lg_u32 s33, 0
	s_mov_b32 s24, 0
	s_cbranch_scc0 .LBB415_123
; %bb.118:
	s_min_u32 s25, s54, 15
	s_add_i32 s25, s25, 1
	s_cmp_eq_u32 s54, 2
	s_cbranch_scc1 .LBB415_124
; %bb.119:
	s_and_b32 s24, s25, 28
	s_add_u32 s20, s34, 0xc4
	s_addc_u32 s21, s35, 0
	s_mov_b32 s26, 0
	v_mov_b32_e32 v28, 0
	v_mov_b32_e32 v30, 0
	s_mov_b64 s[22:23], s[34:35]
	v_mov_b32_e32 v3, v32
.LBB415_120:                            ; =>This Inner Loop Header: Depth=1
	s_load_dwordx8 s[8:15], s[22:23], 0x4
	s_load_dwordx4 s[16:19], s[22:23], 0x24
	s_load_dwordx8 s[0:7], s[20:21], 0x0
	s_add_u32 s22, s22, 48
	s_addc_u32 s23, s23, 0
	s_waitcnt lgkmcnt(0)
	v_mul_hi_u32 v1, s9, v3
	v_add_u32_e32 v1, v3, v1
	v_lshrrev_b32_e32 v1, s10, v1
	v_mul_lo_u32 v5, v1, s8
	v_mul_hi_u32 v7, s12, v1
	v_sub_u32_e32 v3, v3, v5
	v_add_u32_e32 v5, v1, v7
	v_lshrrev_b32_e32 v5, s13, v5
	v_mul_lo_u32 v9, v5, s11
	v_mul_hi_u32 v11, s15, v5
	v_sub_u32_e32 v1, v1, v9
	v_add_u32_e32 v9, v5, v11
	v_mul_lo_u32 v7, v3, s1
	v_mul_lo_u32 v3, v3, s0
	;; [unrolled: 1-line block ×4, first 2 shown]
	v_lshrrev_b32_e32 v9, s16, v9
	v_add3_u32 v1, v3, v28, v1
	v_add3_u32 v7, v7, v30, v11
	v_mul_lo_u32 v3, v9, s14
	v_mul_hi_u32 v11, s18, v9
	v_sub_u32_e32 v3, v5, v3
	v_add_u32_e32 v5, v9, v11
	v_mul_lo_u32 v11, v3, s4
	v_mul_lo_u32 v13, v3, s5
	v_lshrrev_b32_e32 v3, s19, v5
	s_add_i32 s26, s26, 4
	v_mul_lo_u32 v5, v3, s17
	s_add_u32 s20, s20, 32
	v_sub_u32_e32 v5, v9, v5
	s_addc_u32 s21, s21, 0
	v_mul_lo_u32 v9, v5, s6
	v_mul_lo_u32 v5, v5, s7
	s_cmp_lg_u32 s24, s26
	v_add3_u32 v30, v13, v7, v5
	v_add3_u32 v28, v11, v1, v9
	s_cbranch_scc1 .LBB415_120
; %bb.121:
	v_mov_b32_e32 v1, v30
	s_and_b32 s4, s25, 3
	s_cmp_eq_u32 s4, 0
	s_cbranch_scc0 .LBB415_125
	s_branch .LBB415_127
.LBB415_122:
                                        ; implicit-def: $vgpr30
                                        ; implicit-def: $vgpr28
	s_branch .LBB415_128
.LBB415_123:
	v_mov_b32_e32 v30, 0
	v_mov_b32_e32 v28, 0
	s_branch .LBB415_127
.LBB415_124:
	v_mov_b32_e32 v28, 0
                                        ; implicit-def: $vgpr30
	v_mov_b32_e32 v1, v28
	v_mov_b32_e32 v3, v32
	s_and_b32 s4, s25, 3
	s_cmp_eq_u32 s4, 0
	s_cbranch_scc1 .LBB415_127
.LBB415_125:
	s_lshl_b32 s0, s24, 3
	s_add_u32 s0, s34, s0
	s_addc_u32 s1, s35, 0
	s_add_u32 s0, s0, 0xc4
	s_addc_u32 s1, s1, 0
	s_mul_i32 s2, s24, 12
	s_add_u32 s2, s34, s2
	s_addc_u32 s3, s35, 0
.LBB415_126:                            ; =>This Inner Loop Header: Depth=1
	s_load_dwordx2 s[6:7], s[2:3], 0x4
	s_load_dword s5, s[2:3], 0xc
	s_load_dwordx2 s[8:9], s[0:1], 0x0
	v_mov_b32_e32 v30, v1
	s_add_u32 s2, s2, 12
	s_waitcnt lgkmcnt(0)
	v_mul_hi_u32 v1, s7, v3
	v_add_u32_e32 v1, v3, v1
	v_lshrrev_b32_e32 v1, s5, v1
	s_addc_u32 s3, s3, 0
	v_mul_lo_u32 v5, v1, s6
	s_add_u32 s0, s0, 8
	v_sub_u32_e32 v5, v3, v5
	s_addc_u32 s1, s1, 0
	s_add_i32 s4, s4, -1
	v_mad_u64_u32 v[30:31], s[6:7], v5, s9, v[30:31]
	s_cmp_lg_u32 s4, 0
	v_mov_b32_e32 v3, v1
	v_mad_u64_u32 v[28:29], s[6:7], v5, s8, v[28:29]
	v_mov_b32_e32 v1, v30
	s_cbranch_scc1 .LBB415_126
.LBB415_127:
	s_cbranch_execnz .LBB415_130
.LBB415_128:
	s_load_dwordx4 s[0:3], s[34:35], 0x4
	s_load_dwordx2 s[4:5], s[34:35], 0xc4
	s_cmp_lt_u32 s33, 2
	s_waitcnt lgkmcnt(0)
	v_mul_hi_u32 v1, s1, v32
	v_add_u32_e32 v1, v32, v1
	v_lshrrev_b32_e32 v1, s2, v1
	v_mul_lo_u32 v3, v1, s0
	v_sub_u32_e32 v3, v32, v3
	v_mul_lo_u32 v30, v3, s5
	v_mul_lo_u32 v28, v3, s4
	s_cbranch_scc1 .LBB415_130
; %bb.129:
	s_load_dwordx4 s[0:3], s[34:35], 0x10
	s_load_dwordx2 s[4:5], s[34:35], 0xcc
	s_waitcnt lgkmcnt(0)
	v_mul_hi_u32 v3, s1, v1
	v_add_u32_e32 v3, v1, v3
	v_lshrrev_b32_e32 v3, s2, v3
	v_mul_lo_u32 v3, v3, s0
	v_sub_u32_e32 v1, v1, v3
	v_mad_u64_u32 v[28:29], s[0:1], v1, s4, v[28:29]
	v_mad_u64_u32 v[30:31], s[0:1], v1, s5, v[30:31]
.LBB415_130:
	s_load_dwordx4 s[36:39], s[34:35], 0x148
	s_load_dword s0, s[34:35], 0x158
	s_waitcnt lgkmcnt(0)
	global_load_ushort v1, v2, s[38:39]
	global_load_ushort v3, v6, s[38:39]
	;; [unrolled: 1-line block ×8, first 2 shown]
	s_lshl_b32 s28, s0, 16
	v_mov_b32_e32 v2, s0
	s_waitcnt vmcnt(7)
	v_lshlrev_b32_e32 v6, 16, v1
	s_waitcnt vmcnt(6)
	v_lshlrev_b32_e32 v10, 16, v3
	v_cmp_u_f32_e32 vcc, v6, v6
	v_cmp_lt_f32_e64 s[12:13], s28, v6
	s_waitcnt vmcnt(5)
	v_lshlrev_b32_e32 v14, 16, v5
	v_cmp_u_f32_e64 s[0:1], v10, v10
	v_cmp_lt_f32_e64 s[14:15], s28, v10
	s_or_b64 vcc, vcc, s[12:13]
	s_waitcnt vmcnt(4)
	v_lshlrev_b32_e32 v17, 16, v7
	v_cmp_u_f32_e64 s[2:3], v14, v14
	v_cmp_lt_f32_e64 s[16:17], s28, v14
	v_cndmask_b32_e32 v1, v2, v1, vcc
	s_or_b64 vcc, s[0:1], s[14:15]
	s_waitcnt vmcnt(3)
	v_lshlrev_b32_e32 v18, 16, v9
	v_cmp_u_f32_e64 s[4:5], v17, v17
	v_cmp_lt_f32_e64 s[18:19], s28, v17
	v_cndmask_b32_e32 v3, v2, v3, vcc
	s_or_b64 vcc, s[2:3], s[16:17]
	;; [unrolled: 6-line block ×5, first 2 shown]
	v_cmp_u_f32_e64 s[26:27], v22, v22
	v_cmp_lt_f32_e64 s[28:29], s28, v22
	v_cndmask_b32_e32 v9, v2, v11, vcc
	s_or_b64 vcc, s[10:11], s[24:25]
	v_cndmask_b32_e32 v10, v2, v13, vcc
	s_or_b64 vcc, s[26:27], s[28:29]
	v_cndmask_b32_e32 v2, v2, v15, vcc
	global_store_short v0, v1, s[36:37]
	global_store_short v4, v3, s[36:37]
	global_store_short v8, v5, s[36:37]
	global_store_short v12, v6, s[36:37]
	global_store_short v16, v7, s[36:37]
	global_store_short v20, v9, s[36:37]
	global_store_short v24, v10, s[36:37]
	global_store_short v28, v2, s[36:37]
	s_endpgm
.LBB415_131:
	v_mov_b32_e32 v2, 0
	v_mov_b32_e32 v0, 0
	s_branch .LBB415_137
.LBB415_132:
	v_mov_b32_e32 v2, 0
	v_mov_b32_e32 v0, 0
	s_branch .LBB415_154
.LBB415_133:
	v_mov_b32_e32 v0, 0
	s_mov_b32 s59, 0
	v_mov_b32_e32 v1, v0
                                        ; implicit-def: $vgpr2
	v_mov_b32_e32 v4, v24
.LBB415_134:
	s_and_b32 s4, s60, 3
	s_cmp_eq_u32 s4, 0
	s_cbranch_scc1 .LBB415_137
; %bb.135:
	s_lshl_b32 s0, s59, 3
	s_add_u32 s0, s34, s0
	s_addc_u32 s1, s35, 0
	s_add_u32 s0, s0, 0xc4
	s_addc_u32 s1, s1, 0
	s_mul_i32 s2, s59, 12
	s_add_u32 s2, s34, s2
	s_addc_u32 s3, s35, 0
.LBB415_136:                            ; =>This Inner Loop Header: Depth=1
	s_load_dwordx2 s[6:7], s[2:3], 0x4
	s_load_dword s5, s[2:3], 0xc
	s_load_dwordx2 s[8:9], s[0:1], 0x0
	v_mov_b32_e32 v2, v1
	s_add_u32 s2, s2, 12
	s_waitcnt lgkmcnt(0)
	v_mul_hi_u32 v1, s7, v4
	v_add_u32_e32 v1, v4, v1
	v_lshrrev_b32_e32 v1, s5, v1
	s_addc_u32 s3, s3, 0
	v_mul_lo_u32 v3, v1, s6
	s_add_u32 s0, s0, 8
	v_sub_u32_e32 v5, v4, v3
	s_addc_u32 s1, s1, 0
	s_add_i32 s4, s4, -1
	v_mov_b32_e32 v4, v1
	v_mad_u64_u32 v[2:3], s[6:7], v5, s9, v[2:3]
	v_mad_u64_u32 v[0:1], s[6:7], v5, s8, v[0:1]
	s_cmp_lg_u32 s4, 0
	v_mov_b32_e32 v1, v2
	s_cbranch_scc1 .LBB415_136
.LBB415_137:
	s_cbranch_execnz .LBB415_140
.LBB415_138:
	v_mul_hi_u32 v0, s21, v24
	v_add_u32_e32 v0, v24, v0
	v_lshrrev_b32_e32 v1, s22, v0
	v_mul_lo_u32 v0, v1, s20
	v_sub_u32_e32 v0, v24, v0
	v_mul_lo_u32 v2, v0, s25
	s_andn2_b64 vcc, exec, s[42:43]
	v_mul_lo_u32 v0, v0, s24
	s_cbranch_vccnz .LBB415_140
; %bb.139:
	v_mul_hi_u32 v3, s40, v1
	v_add_u32_e32 v3, v1, v3
	v_lshrrev_b32_e32 v3, s41, v3
	v_mul_lo_u32 v3, v3, s23
	v_sub_u32_e32 v3, v1, v3
	v_mad_u64_u32 v[0:1], s[0:1], v3, s26, v[0:1]
	v_mad_u64_u32 v[2:3], s[0:1], v3, s27, v[2:3]
.LBB415_140:
	global_load_ushort v1, v2, s[18:19]
	v_mov_b32_e32 v2, s55
	v_add_u32_e32 v24, 0x80, v24
	s_waitcnt vmcnt(0)
	v_lshlrev_b32_e32 v3, 16, v1
	v_cmp_u_f32_e32 vcc, v3, v3
	v_cmp_lt_f32_e64 s[0:1], s56, v3
	s_or_b64 vcc, vcc, s[0:1]
	v_cndmask_b32_e32 v1, v2, v1, vcc
	global_store_short v0, v1, s[16:17]
	s_or_b64 exec, exec, s[48:49]
	v_cmp_gt_i32_e32 vcc, s57, v24
	s_and_saveexec_b64 s[48:49], vcc
	s_cbranch_execnz .LBB415_16
.LBB415_141:
	s_or_b64 exec, exec, s[48:49]
	v_cmp_gt_i32_e32 vcc, s57, v24
	s_and_saveexec_b64 s[48:49], vcc
	s_cbranch_execz .LBB415_158
.LBB415_142:
	s_andn2_b64 vcc, exec, s[36:37]
	s_cbranch_vccnz .LBB415_148
; %bb.143:
	s_andn2_b64 vcc, exec, s[46:47]
	s_cbranch_vccnz .LBB415_149
; %bb.144:
	s_add_i32 s60, s58, 1
	s_cmp_eq_u32 s54, 2
	s_cbranch_scc1 .LBB415_167
; %bb.145:
	s_and_b32 s59, s60, 28
	s_mov_b32 s61, 0
	v_mov_b32_e32 v0, 0
	v_mov_b32_e32 v2, 0
	s_mov_b64 s[50:51], s[34:35]
	s_mov_b64 s[52:53], s[44:45]
	v_mov_b32_e32 v4, v24
.LBB415_146:                            ; =>This Inner Loop Header: Depth=1
	s_load_dwordx8 s[8:15], s[50:51], 0x4
	s_load_dwordx4 s[28:31], s[50:51], 0x24
	s_load_dwordx8 s[0:7], s[52:53], 0x0
	s_add_u32 s50, s50, 48
	s_addc_u32 s51, s51, 0
	s_waitcnt lgkmcnt(0)
	v_mul_hi_u32 v1, s9, v4
	v_add_u32_e32 v1, v4, v1
	v_lshrrev_b32_e32 v1, s10, v1
	v_mul_lo_u32 v3, v1, s8
	v_mul_hi_u32 v5, s12, v1
	v_sub_u32_e32 v3, v4, v3
	v_add_u32_e32 v4, v1, v5
	v_lshrrev_b32_e32 v4, s13, v4
	v_mul_lo_u32 v6, v4, s11
	v_mul_hi_u32 v7, s15, v4
	v_sub_u32_e32 v1, v1, v6
	v_add_u32_e32 v6, v4, v7
	v_mul_lo_u32 v5, v3, s1
	v_mul_lo_u32 v3, v3, s0
	;; [unrolled: 1-line block ×4, first 2 shown]
	v_lshrrev_b32_e32 v6, s28, v6
	v_add3_u32 v0, v3, v0, v1
	v_mul_hi_u32 v3, s30, v6
	v_add3_u32 v1, v5, v2, v7
	v_mul_lo_u32 v2, v6, s14
	v_add_u32_e32 v3, v6, v3
	v_sub_u32_e32 v2, v4, v2
	v_lshrrev_b32_e32 v4, s31, v3
	s_add_i32 s61, s61, 4
	v_mul_lo_u32 v3, v4, s29
	s_add_u32 s52, s52, 32
	v_sub_u32_e32 v3, v6, v3
	s_addc_u32 s53, s53, 0
	v_mul_lo_u32 v5, v2, s4
	v_mul_lo_u32 v2, v2, s5
	;; [unrolled: 1-line block ×4, first 2 shown]
	s_cmp_eq_u32 s59, s61
	v_add3_u32 v2, v2, v1, v3
	v_add3_u32 v0, v5, v0, v6
	s_cbranch_scc0 .LBB415_146
; %bb.147:
	v_mov_b32_e32 v1, v2
	s_branch .LBB415_168
.LBB415_148:
                                        ; implicit-def: $vgpr2
                                        ; implicit-def: $vgpr0
	s_branch .LBB415_172
.LBB415_149:
	v_mov_b32_e32 v2, 0
	v_mov_b32_e32 v0, 0
	s_branch .LBB415_171
.LBB415_150:
	v_mov_b32_e32 v0, 0
	s_mov_b32 s59, 0
	v_mov_b32_e32 v1, v0
                                        ; implicit-def: $vgpr2
	v_mov_b32_e32 v4, v24
.LBB415_151:
	s_and_b32 s4, s60, 3
	s_cmp_eq_u32 s4, 0
	s_cbranch_scc1 .LBB415_154
; %bb.152:
	s_lshl_b32 s0, s59, 3
	s_add_u32 s0, s34, s0
	s_addc_u32 s1, s35, 0
	s_add_u32 s0, s0, 0xc4
	s_addc_u32 s1, s1, 0
	s_mul_i32 s2, s59, 12
	s_add_u32 s2, s34, s2
	s_addc_u32 s3, s35, 0
.LBB415_153:                            ; =>This Inner Loop Header: Depth=1
	s_load_dwordx2 s[6:7], s[2:3], 0x4
	s_load_dword s5, s[2:3], 0xc
	s_load_dwordx2 s[8:9], s[0:1], 0x0
	v_mov_b32_e32 v2, v1
	s_add_u32 s2, s2, 12
	s_waitcnt lgkmcnt(0)
	v_mul_hi_u32 v1, s7, v4
	v_add_u32_e32 v1, v4, v1
	v_lshrrev_b32_e32 v1, s5, v1
	s_addc_u32 s3, s3, 0
	v_mul_lo_u32 v3, v1, s6
	s_add_u32 s0, s0, 8
	v_sub_u32_e32 v5, v4, v3
	s_addc_u32 s1, s1, 0
	s_add_i32 s4, s4, -1
	v_mov_b32_e32 v4, v1
	v_mad_u64_u32 v[2:3], s[6:7], v5, s9, v[2:3]
	v_mad_u64_u32 v[0:1], s[6:7], v5, s8, v[0:1]
	s_cmp_lg_u32 s4, 0
	v_mov_b32_e32 v1, v2
	s_cbranch_scc1 .LBB415_153
.LBB415_154:
	s_cbranch_execnz .LBB415_157
.LBB415_155:
	v_mul_hi_u32 v0, s21, v24
	v_add_u32_e32 v0, v24, v0
	v_lshrrev_b32_e32 v1, s22, v0
	v_mul_lo_u32 v0, v1, s20
	v_sub_u32_e32 v0, v24, v0
	v_mul_lo_u32 v2, v0, s25
	s_andn2_b64 vcc, exec, s[42:43]
	v_mul_lo_u32 v0, v0, s24
	s_cbranch_vccnz .LBB415_157
; %bb.156:
	v_mul_hi_u32 v3, s40, v1
	v_add_u32_e32 v3, v1, v3
	v_lshrrev_b32_e32 v3, s41, v3
	v_mul_lo_u32 v3, v3, s23
	v_sub_u32_e32 v3, v1, v3
	v_mad_u64_u32 v[0:1], s[0:1], v3, s26, v[0:1]
	v_mad_u64_u32 v[2:3], s[0:1], v3, s27, v[2:3]
.LBB415_157:
	global_load_ushort v1, v2, s[18:19]
	v_mov_b32_e32 v2, s55
	v_add_u32_e32 v24, 0x80, v24
	s_waitcnt vmcnt(0)
	v_lshlrev_b32_e32 v3, 16, v1
	v_cmp_u_f32_e32 vcc, v3, v3
	v_cmp_lt_f32_e64 s[0:1], s56, v3
	s_or_b64 vcc, vcc, s[0:1]
	v_cndmask_b32_e32 v1, v2, v1, vcc
	global_store_short v0, v1, s[16:17]
	s_or_b64 exec, exec, s[48:49]
	v_cmp_gt_i32_e32 vcc, s57, v24
	s_and_saveexec_b64 s[48:49], vcc
	s_cbranch_execnz .LBB415_142
.LBB415_158:
	s_or_b64 exec, exec, s[48:49]
	v_cmp_gt_i32_e32 vcc, s57, v24
	s_and_saveexec_b64 s[48:49], vcc
	s_cbranch_execz .LBB415_175
.LBB415_159:
	s_andn2_b64 vcc, exec, s[36:37]
	s_cbranch_vccnz .LBB415_165
; %bb.160:
	s_andn2_b64 vcc, exec, s[46:47]
	s_cbranch_vccnz .LBB415_166
; %bb.161:
	s_add_i32 s60, s58, 1
	s_cmp_eq_u32 s54, 2
	s_cbranch_scc1 .LBB415_184
; %bb.162:
	s_and_b32 s59, s60, 28
	s_mov_b32 s61, 0
	v_mov_b32_e32 v0, 0
	v_mov_b32_e32 v2, 0
	s_mov_b64 s[50:51], s[34:35]
	s_mov_b64 s[52:53], s[44:45]
	v_mov_b32_e32 v4, v24
.LBB415_163:                            ; =>This Inner Loop Header: Depth=1
	s_load_dwordx8 s[8:15], s[50:51], 0x4
	s_load_dwordx4 s[28:31], s[50:51], 0x24
	s_load_dwordx8 s[0:7], s[52:53], 0x0
	s_add_u32 s50, s50, 48
	s_addc_u32 s51, s51, 0
	s_waitcnt lgkmcnt(0)
	v_mul_hi_u32 v1, s9, v4
	v_add_u32_e32 v1, v4, v1
	v_lshrrev_b32_e32 v1, s10, v1
	v_mul_lo_u32 v3, v1, s8
	v_mul_hi_u32 v5, s12, v1
	v_sub_u32_e32 v3, v4, v3
	v_add_u32_e32 v4, v1, v5
	v_lshrrev_b32_e32 v4, s13, v4
	v_mul_lo_u32 v6, v4, s11
	v_mul_hi_u32 v7, s15, v4
	v_sub_u32_e32 v1, v1, v6
	v_add_u32_e32 v6, v4, v7
	v_mul_lo_u32 v5, v3, s1
	v_mul_lo_u32 v3, v3, s0
	;; [unrolled: 1-line block ×4, first 2 shown]
	v_lshrrev_b32_e32 v6, s28, v6
	v_add3_u32 v0, v3, v0, v1
	v_mul_hi_u32 v3, s30, v6
	v_add3_u32 v1, v5, v2, v7
	v_mul_lo_u32 v2, v6, s14
	v_add_u32_e32 v3, v6, v3
	v_sub_u32_e32 v2, v4, v2
	v_lshrrev_b32_e32 v4, s31, v3
	s_add_i32 s61, s61, 4
	v_mul_lo_u32 v3, v4, s29
	s_add_u32 s52, s52, 32
	v_sub_u32_e32 v3, v6, v3
	s_addc_u32 s53, s53, 0
	v_mul_lo_u32 v5, v2, s4
	v_mul_lo_u32 v2, v2, s5
	;; [unrolled: 1-line block ×4, first 2 shown]
	s_cmp_eq_u32 s59, s61
	v_add3_u32 v2, v2, v1, v3
	v_add3_u32 v0, v5, v0, v6
	s_cbranch_scc0 .LBB415_163
; %bb.164:
	v_mov_b32_e32 v1, v2
	s_branch .LBB415_185
.LBB415_165:
                                        ; implicit-def: $vgpr2
                                        ; implicit-def: $vgpr0
	s_branch .LBB415_189
.LBB415_166:
	v_mov_b32_e32 v2, 0
	v_mov_b32_e32 v0, 0
	s_branch .LBB415_188
.LBB415_167:
	v_mov_b32_e32 v0, 0
	s_mov_b32 s59, 0
	v_mov_b32_e32 v1, v0
                                        ; implicit-def: $vgpr2
	v_mov_b32_e32 v4, v24
.LBB415_168:
	s_and_b32 s4, s60, 3
	s_cmp_eq_u32 s4, 0
	s_cbranch_scc1 .LBB415_171
; %bb.169:
	s_lshl_b32 s0, s59, 3
	s_add_u32 s0, s34, s0
	s_addc_u32 s1, s35, 0
	s_add_u32 s0, s0, 0xc4
	s_addc_u32 s1, s1, 0
	s_mul_i32 s2, s59, 12
	s_add_u32 s2, s34, s2
	s_addc_u32 s3, s35, 0
.LBB415_170:                            ; =>This Inner Loop Header: Depth=1
	s_load_dwordx2 s[6:7], s[2:3], 0x4
	s_load_dword s5, s[2:3], 0xc
	s_load_dwordx2 s[8:9], s[0:1], 0x0
	v_mov_b32_e32 v2, v1
	s_add_u32 s2, s2, 12
	s_waitcnt lgkmcnt(0)
	v_mul_hi_u32 v1, s7, v4
	v_add_u32_e32 v1, v4, v1
	v_lshrrev_b32_e32 v1, s5, v1
	s_addc_u32 s3, s3, 0
	v_mul_lo_u32 v3, v1, s6
	s_add_u32 s0, s0, 8
	v_sub_u32_e32 v5, v4, v3
	s_addc_u32 s1, s1, 0
	s_add_i32 s4, s4, -1
	v_mov_b32_e32 v4, v1
	v_mad_u64_u32 v[2:3], s[6:7], v5, s9, v[2:3]
	v_mad_u64_u32 v[0:1], s[6:7], v5, s8, v[0:1]
	s_cmp_lg_u32 s4, 0
	v_mov_b32_e32 v1, v2
	s_cbranch_scc1 .LBB415_170
.LBB415_171:
	s_cbranch_execnz .LBB415_174
.LBB415_172:
	v_mul_hi_u32 v0, s21, v24
	v_add_u32_e32 v0, v24, v0
	v_lshrrev_b32_e32 v1, s22, v0
	v_mul_lo_u32 v0, v1, s20
	v_sub_u32_e32 v0, v24, v0
	v_mul_lo_u32 v2, v0, s25
	s_andn2_b64 vcc, exec, s[42:43]
	v_mul_lo_u32 v0, v0, s24
	s_cbranch_vccnz .LBB415_174
; %bb.173:
	v_mul_hi_u32 v3, s40, v1
	v_add_u32_e32 v3, v1, v3
	v_lshrrev_b32_e32 v3, s41, v3
	v_mul_lo_u32 v3, v3, s23
	v_sub_u32_e32 v3, v1, v3
	v_mad_u64_u32 v[0:1], s[0:1], v3, s26, v[0:1]
	v_mad_u64_u32 v[2:3], s[0:1], v3, s27, v[2:3]
.LBB415_174:
	global_load_ushort v1, v2, s[18:19]
	v_mov_b32_e32 v2, s55
	v_add_u32_e32 v24, 0x80, v24
	s_waitcnt vmcnt(0)
	v_lshlrev_b32_e32 v3, 16, v1
	v_cmp_u_f32_e32 vcc, v3, v3
	v_cmp_lt_f32_e64 s[0:1], s56, v3
	s_or_b64 vcc, vcc, s[0:1]
	v_cndmask_b32_e32 v1, v2, v1, vcc
	global_store_short v0, v1, s[16:17]
	s_or_b64 exec, exec, s[48:49]
	v_cmp_gt_i32_e32 vcc, s57, v24
	s_and_saveexec_b64 s[48:49], vcc
	s_cbranch_execnz .LBB415_159
.LBB415_175:
	s_or_b64 exec, exec, s[48:49]
	v_cmp_gt_i32_e32 vcc, s57, v24
	s_and_saveexec_b64 s[48:49], vcc
	s_cbranch_execz .LBB415_192
.LBB415_176:
	s_andn2_b64 vcc, exec, s[36:37]
	s_cbranch_vccnz .LBB415_182
; %bb.177:
	s_andn2_b64 vcc, exec, s[46:47]
	s_cbranch_vccnz .LBB415_183
; %bb.178:
	s_add_i32 s60, s58, 1
	s_cmp_eq_u32 s54, 2
	s_cbranch_scc1 .LBB415_201
; %bb.179:
	s_and_b32 s59, s60, 28
	s_mov_b32 s61, 0
	v_mov_b32_e32 v0, 0
	v_mov_b32_e32 v2, 0
	s_mov_b64 s[50:51], s[34:35]
	s_mov_b64 s[52:53], s[44:45]
	v_mov_b32_e32 v4, v24
.LBB415_180:                            ; =>This Inner Loop Header: Depth=1
	s_load_dwordx8 s[8:15], s[50:51], 0x4
	s_load_dwordx4 s[28:31], s[50:51], 0x24
	s_load_dwordx8 s[0:7], s[52:53], 0x0
	s_add_u32 s50, s50, 48
	s_addc_u32 s51, s51, 0
	s_waitcnt lgkmcnt(0)
	v_mul_hi_u32 v1, s9, v4
	v_add_u32_e32 v1, v4, v1
	v_lshrrev_b32_e32 v1, s10, v1
	v_mul_lo_u32 v3, v1, s8
	v_mul_hi_u32 v5, s12, v1
	v_sub_u32_e32 v3, v4, v3
	v_add_u32_e32 v4, v1, v5
	v_lshrrev_b32_e32 v4, s13, v4
	v_mul_lo_u32 v6, v4, s11
	v_mul_hi_u32 v7, s15, v4
	v_sub_u32_e32 v1, v1, v6
	v_add_u32_e32 v6, v4, v7
	v_mul_lo_u32 v5, v3, s1
	v_mul_lo_u32 v3, v3, s0
	;; [unrolled: 1-line block ×4, first 2 shown]
	v_lshrrev_b32_e32 v6, s28, v6
	v_add3_u32 v0, v3, v0, v1
	v_mul_hi_u32 v3, s30, v6
	v_add3_u32 v1, v5, v2, v7
	v_mul_lo_u32 v2, v6, s14
	v_add_u32_e32 v3, v6, v3
	v_sub_u32_e32 v2, v4, v2
	v_lshrrev_b32_e32 v4, s31, v3
	s_add_i32 s61, s61, 4
	v_mul_lo_u32 v3, v4, s29
	s_add_u32 s52, s52, 32
	v_sub_u32_e32 v3, v6, v3
	s_addc_u32 s53, s53, 0
	v_mul_lo_u32 v5, v2, s4
	v_mul_lo_u32 v2, v2, s5
	;; [unrolled: 1-line block ×4, first 2 shown]
	s_cmp_eq_u32 s59, s61
	v_add3_u32 v2, v2, v1, v3
	v_add3_u32 v0, v5, v0, v6
	s_cbranch_scc0 .LBB415_180
; %bb.181:
	v_mov_b32_e32 v1, v2
	s_branch .LBB415_202
.LBB415_182:
                                        ; implicit-def: $vgpr2
                                        ; implicit-def: $vgpr0
	s_branch .LBB415_206
.LBB415_183:
	v_mov_b32_e32 v2, 0
	v_mov_b32_e32 v0, 0
	s_branch .LBB415_205
.LBB415_184:
	v_mov_b32_e32 v0, 0
	s_mov_b32 s59, 0
	v_mov_b32_e32 v1, v0
                                        ; implicit-def: $vgpr2
	v_mov_b32_e32 v4, v24
.LBB415_185:
	s_and_b32 s4, s60, 3
	s_cmp_eq_u32 s4, 0
	s_cbranch_scc1 .LBB415_188
; %bb.186:
	s_lshl_b32 s0, s59, 3
	s_add_u32 s0, s34, s0
	s_addc_u32 s1, s35, 0
	s_add_u32 s0, s0, 0xc4
	s_addc_u32 s1, s1, 0
	s_mul_i32 s2, s59, 12
	s_add_u32 s2, s34, s2
	s_addc_u32 s3, s35, 0
.LBB415_187:                            ; =>This Inner Loop Header: Depth=1
	s_load_dwordx2 s[6:7], s[2:3], 0x4
	s_load_dword s5, s[2:3], 0xc
	s_load_dwordx2 s[8:9], s[0:1], 0x0
	v_mov_b32_e32 v2, v1
	s_add_u32 s2, s2, 12
	s_waitcnt lgkmcnt(0)
	v_mul_hi_u32 v1, s7, v4
	v_add_u32_e32 v1, v4, v1
	v_lshrrev_b32_e32 v1, s5, v1
	s_addc_u32 s3, s3, 0
	v_mul_lo_u32 v3, v1, s6
	s_add_u32 s0, s0, 8
	v_sub_u32_e32 v5, v4, v3
	s_addc_u32 s1, s1, 0
	s_add_i32 s4, s4, -1
	v_mov_b32_e32 v4, v1
	v_mad_u64_u32 v[2:3], s[6:7], v5, s9, v[2:3]
	v_mad_u64_u32 v[0:1], s[6:7], v5, s8, v[0:1]
	s_cmp_lg_u32 s4, 0
	v_mov_b32_e32 v1, v2
	s_cbranch_scc1 .LBB415_187
.LBB415_188:
	s_cbranch_execnz .LBB415_191
.LBB415_189:
	v_mul_hi_u32 v0, s21, v24
	v_add_u32_e32 v0, v24, v0
	v_lshrrev_b32_e32 v1, s22, v0
	v_mul_lo_u32 v0, v1, s20
	v_sub_u32_e32 v0, v24, v0
	v_mul_lo_u32 v2, v0, s25
	s_andn2_b64 vcc, exec, s[42:43]
	v_mul_lo_u32 v0, v0, s24
	s_cbranch_vccnz .LBB415_191
; %bb.190:
	v_mul_hi_u32 v3, s40, v1
	v_add_u32_e32 v3, v1, v3
	v_lshrrev_b32_e32 v3, s41, v3
	v_mul_lo_u32 v3, v3, s23
	v_sub_u32_e32 v3, v1, v3
	v_mad_u64_u32 v[0:1], s[0:1], v3, s26, v[0:1]
	v_mad_u64_u32 v[2:3], s[0:1], v3, s27, v[2:3]
.LBB415_191:
	global_load_ushort v1, v2, s[18:19]
	v_mov_b32_e32 v2, s55
	v_add_u32_e32 v24, 0x80, v24
	s_waitcnt vmcnt(0)
	v_lshlrev_b32_e32 v3, 16, v1
	v_cmp_u_f32_e32 vcc, v3, v3
	v_cmp_lt_f32_e64 s[0:1], s56, v3
	s_or_b64 vcc, vcc, s[0:1]
	v_cndmask_b32_e32 v1, v2, v1, vcc
	global_store_short v0, v1, s[16:17]
	s_or_b64 exec, exec, s[48:49]
	v_cmp_gt_i32_e32 vcc, s57, v24
	s_and_saveexec_b64 s[48:49], vcc
	s_cbranch_execnz .LBB415_176
.LBB415_192:
	s_or_b64 exec, exec, s[48:49]
	v_cmp_gt_i32_e32 vcc, s57, v24
	s_and_saveexec_b64 s[48:49], vcc
	s_cbranch_execz .LBB415_209
.LBB415_193:
	s_andn2_b64 vcc, exec, s[36:37]
	s_cbranch_vccnz .LBB415_199
; %bb.194:
	s_andn2_b64 vcc, exec, s[46:47]
	s_cbranch_vccnz .LBB415_200
; %bb.195:
	s_add_i32 s60, s58, 1
	s_cmp_eq_u32 s54, 2
	s_cbranch_scc1 .LBB415_218
; %bb.196:
	s_and_b32 s59, s60, 28
	s_mov_b32 s61, 0
	v_mov_b32_e32 v0, 0
	v_mov_b32_e32 v2, 0
	s_mov_b64 s[50:51], s[34:35]
	s_mov_b64 s[52:53], s[44:45]
	v_mov_b32_e32 v4, v24
.LBB415_197:                            ; =>This Inner Loop Header: Depth=1
	s_load_dwordx8 s[8:15], s[50:51], 0x4
	s_load_dwordx4 s[28:31], s[50:51], 0x24
	s_load_dwordx8 s[0:7], s[52:53], 0x0
	s_add_u32 s50, s50, 48
	s_addc_u32 s51, s51, 0
	s_waitcnt lgkmcnt(0)
	v_mul_hi_u32 v1, s9, v4
	v_add_u32_e32 v1, v4, v1
	v_lshrrev_b32_e32 v1, s10, v1
	v_mul_lo_u32 v3, v1, s8
	v_mul_hi_u32 v5, s12, v1
	v_sub_u32_e32 v3, v4, v3
	v_add_u32_e32 v4, v1, v5
	v_lshrrev_b32_e32 v4, s13, v4
	v_mul_lo_u32 v6, v4, s11
	v_mul_hi_u32 v7, s15, v4
	v_sub_u32_e32 v1, v1, v6
	v_add_u32_e32 v6, v4, v7
	v_mul_lo_u32 v5, v3, s1
	v_mul_lo_u32 v3, v3, s0
	;; [unrolled: 1-line block ×4, first 2 shown]
	v_lshrrev_b32_e32 v6, s28, v6
	v_add3_u32 v0, v3, v0, v1
	v_mul_hi_u32 v3, s30, v6
	v_add3_u32 v1, v5, v2, v7
	v_mul_lo_u32 v2, v6, s14
	v_add_u32_e32 v3, v6, v3
	v_sub_u32_e32 v2, v4, v2
	v_lshrrev_b32_e32 v4, s31, v3
	s_add_i32 s61, s61, 4
	v_mul_lo_u32 v3, v4, s29
	s_add_u32 s52, s52, 32
	v_sub_u32_e32 v3, v6, v3
	s_addc_u32 s53, s53, 0
	v_mul_lo_u32 v5, v2, s4
	v_mul_lo_u32 v2, v2, s5
	v_mul_lo_u32 v6, v3, s6
	v_mul_lo_u32 v3, v3, s7
	s_cmp_eq_u32 s59, s61
	v_add3_u32 v2, v2, v1, v3
	v_add3_u32 v0, v5, v0, v6
	s_cbranch_scc0 .LBB415_197
; %bb.198:
	v_mov_b32_e32 v1, v2
	s_branch .LBB415_219
.LBB415_199:
                                        ; implicit-def: $vgpr2
                                        ; implicit-def: $vgpr0
	s_branch .LBB415_223
.LBB415_200:
	v_mov_b32_e32 v2, 0
	v_mov_b32_e32 v0, 0
	s_branch .LBB415_222
.LBB415_201:
	v_mov_b32_e32 v0, 0
	s_mov_b32 s59, 0
	v_mov_b32_e32 v1, v0
                                        ; implicit-def: $vgpr2
	v_mov_b32_e32 v4, v24
.LBB415_202:
	s_and_b32 s4, s60, 3
	s_cmp_eq_u32 s4, 0
	s_cbranch_scc1 .LBB415_205
; %bb.203:
	s_lshl_b32 s0, s59, 3
	s_add_u32 s0, s34, s0
	s_addc_u32 s1, s35, 0
	s_add_u32 s0, s0, 0xc4
	s_addc_u32 s1, s1, 0
	s_mul_i32 s2, s59, 12
	s_add_u32 s2, s34, s2
	s_addc_u32 s3, s35, 0
.LBB415_204:                            ; =>This Inner Loop Header: Depth=1
	s_load_dwordx2 s[6:7], s[2:3], 0x4
	s_load_dword s5, s[2:3], 0xc
	s_load_dwordx2 s[8:9], s[0:1], 0x0
	v_mov_b32_e32 v2, v1
	s_add_u32 s2, s2, 12
	s_waitcnt lgkmcnt(0)
	v_mul_hi_u32 v1, s7, v4
	v_add_u32_e32 v1, v4, v1
	v_lshrrev_b32_e32 v1, s5, v1
	s_addc_u32 s3, s3, 0
	v_mul_lo_u32 v3, v1, s6
	s_add_u32 s0, s0, 8
	v_sub_u32_e32 v5, v4, v3
	s_addc_u32 s1, s1, 0
	s_add_i32 s4, s4, -1
	v_mov_b32_e32 v4, v1
	v_mad_u64_u32 v[2:3], s[6:7], v5, s9, v[2:3]
	v_mad_u64_u32 v[0:1], s[6:7], v5, s8, v[0:1]
	s_cmp_lg_u32 s4, 0
	v_mov_b32_e32 v1, v2
	s_cbranch_scc1 .LBB415_204
.LBB415_205:
	s_cbranch_execnz .LBB415_208
.LBB415_206:
	v_mul_hi_u32 v0, s21, v24
	v_add_u32_e32 v0, v24, v0
	v_lshrrev_b32_e32 v1, s22, v0
	v_mul_lo_u32 v0, v1, s20
	v_sub_u32_e32 v0, v24, v0
	v_mul_lo_u32 v2, v0, s25
	s_andn2_b64 vcc, exec, s[42:43]
	v_mul_lo_u32 v0, v0, s24
	s_cbranch_vccnz .LBB415_208
; %bb.207:
	v_mul_hi_u32 v3, s40, v1
	v_add_u32_e32 v3, v1, v3
	v_lshrrev_b32_e32 v3, s41, v3
	v_mul_lo_u32 v3, v3, s23
	v_sub_u32_e32 v3, v1, v3
	v_mad_u64_u32 v[0:1], s[0:1], v3, s26, v[0:1]
	v_mad_u64_u32 v[2:3], s[0:1], v3, s27, v[2:3]
.LBB415_208:
	global_load_ushort v1, v2, s[18:19]
	v_mov_b32_e32 v2, s55
	v_add_u32_e32 v24, 0x80, v24
	s_waitcnt vmcnt(0)
	v_lshlrev_b32_e32 v3, 16, v1
	v_cmp_u_f32_e32 vcc, v3, v3
	v_cmp_lt_f32_e64 s[0:1], s56, v3
	s_or_b64 vcc, vcc, s[0:1]
	v_cndmask_b32_e32 v1, v2, v1, vcc
	global_store_short v0, v1, s[16:17]
	s_or_b64 exec, exec, s[48:49]
	v_cmp_gt_i32_e32 vcc, s57, v24
	s_and_saveexec_b64 s[48:49], vcc
	s_cbranch_execnz .LBB415_193
.LBB415_209:
	s_or_b64 exec, exec, s[48:49]
	v_cmp_gt_i32_e32 vcc, s57, v24
	s_and_saveexec_b64 s[48:49], vcc
	s_cbranch_execz .LBB415_226
.LBB415_210:
	s_andn2_b64 vcc, exec, s[36:37]
	s_cbranch_vccnz .LBB415_216
; %bb.211:
	s_andn2_b64 vcc, exec, s[46:47]
	s_cbranch_vccnz .LBB415_217
; %bb.212:
	s_add_i32 s60, s58, 1
	s_cmp_eq_u32 s54, 2
	s_cbranch_scc1 .LBB415_229
; %bb.213:
	s_and_b32 s59, s60, 28
	s_mov_b32 s61, 0
	v_mov_b32_e32 v0, 0
	v_mov_b32_e32 v2, 0
	s_mov_b64 s[50:51], s[34:35]
	s_mov_b64 s[52:53], s[44:45]
	v_mov_b32_e32 v4, v24
.LBB415_214:                            ; =>This Inner Loop Header: Depth=1
	s_load_dwordx8 s[8:15], s[50:51], 0x4
	s_load_dwordx4 s[28:31], s[50:51], 0x24
	s_load_dwordx8 s[0:7], s[52:53], 0x0
	s_add_u32 s50, s50, 48
	s_addc_u32 s51, s51, 0
	s_waitcnt lgkmcnt(0)
	v_mul_hi_u32 v1, s9, v4
	v_add_u32_e32 v1, v4, v1
	v_lshrrev_b32_e32 v1, s10, v1
	v_mul_lo_u32 v3, v1, s8
	v_mul_hi_u32 v5, s12, v1
	v_sub_u32_e32 v3, v4, v3
	v_add_u32_e32 v4, v1, v5
	v_lshrrev_b32_e32 v4, s13, v4
	v_mul_lo_u32 v6, v4, s11
	v_mul_hi_u32 v7, s15, v4
	v_sub_u32_e32 v1, v1, v6
	v_add_u32_e32 v6, v4, v7
	v_mul_lo_u32 v5, v3, s1
	v_mul_lo_u32 v3, v3, s0
	;; [unrolled: 1-line block ×4, first 2 shown]
	v_lshrrev_b32_e32 v6, s28, v6
	v_add3_u32 v0, v3, v0, v1
	v_mul_hi_u32 v3, s30, v6
	v_add3_u32 v1, v5, v2, v7
	v_mul_lo_u32 v2, v6, s14
	v_add_u32_e32 v3, v6, v3
	v_sub_u32_e32 v2, v4, v2
	v_lshrrev_b32_e32 v4, s31, v3
	s_add_i32 s61, s61, 4
	v_mul_lo_u32 v3, v4, s29
	s_add_u32 s52, s52, 32
	v_sub_u32_e32 v3, v6, v3
	s_addc_u32 s53, s53, 0
	v_mul_lo_u32 v5, v2, s4
	v_mul_lo_u32 v2, v2, s5
	;; [unrolled: 1-line block ×4, first 2 shown]
	s_cmp_eq_u32 s59, s61
	v_add3_u32 v2, v2, v1, v3
	v_add3_u32 v0, v5, v0, v6
	s_cbranch_scc0 .LBB415_214
; %bb.215:
	v_mov_b32_e32 v1, v2
	s_branch .LBB415_230
.LBB415_216:
                                        ; implicit-def: $vgpr2
                                        ; implicit-def: $vgpr0
	s_branch .LBB415_234
.LBB415_217:
	v_mov_b32_e32 v2, 0
	v_mov_b32_e32 v0, 0
	s_branch .LBB415_233
.LBB415_218:
	v_mov_b32_e32 v0, 0
	s_mov_b32 s59, 0
	v_mov_b32_e32 v1, v0
                                        ; implicit-def: $vgpr2
	v_mov_b32_e32 v4, v24
.LBB415_219:
	s_and_b32 s4, s60, 3
	s_cmp_eq_u32 s4, 0
	s_cbranch_scc1 .LBB415_222
; %bb.220:
	s_lshl_b32 s0, s59, 3
	s_add_u32 s0, s34, s0
	s_addc_u32 s1, s35, 0
	s_add_u32 s0, s0, 0xc4
	s_addc_u32 s1, s1, 0
	s_mul_i32 s2, s59, 12
	s_add_u32 s2, s34, s2
	s_addc_u32 s3, s35, 0
.LBB415_221:                            ; =>This Inner Loop Header: Depth=1
	s_load_dwordx2 s[6:7], s[2:3], 0x4
	s_load_dword s5, s[2:3], 0xc
	s_load_dwordx2 s[8:9], s[0:1], 0x0
	v_mov_b32_e32 v2, v1
	s_add_u32 s2, s2, 12
	s_waitcnt lgkmcnt(0)
	v_mul_hi_u32 v1, s7, v4
	v_add_u32_e32 v1, v4, v1
	v_lshrrev_b32_e32 v1, s5, v1
	s_addc_u32 s3, s3, 0
	v_mul_lo_u32 v3, v1, s6
	s_add_u32 s0, s0, 8
	v_sub_u32_e32 v5, v4, v3
	s_addc_u32 s1, s1, 0
	s_add_i32 s4, s4, -1
	v_mov_b32_e32 v4, v1
	v_mad_u64_u32 v[2:3], s[6:7], v5, s9, v[2:3]
	v_mad_u64_u32 v[0:1], s[6:7], v5, s8, v[0:1]
	s_cmp_lg_u32 s4, 0
	v_mov_b32_e32 v1, v2
	s_cbranch_scc1 .LBB415_221
.LBB415_222:
	s_cbranch_execnz .LBB415_225
.LBB415_223:
	v_mul_hi_u32 v0, s21, v24
	v_add_u32_e32 v0, v24, v0
	v_lshrrev_b32_e32 v1, s22, v0
	v_mul_lo_u32 v0, v1, s20
	v_sub_u32_e32 v0, v24, v0
	v_mul_lo_u32 v2, v0, s25
	s_andn2_b64 vcc, exec, s[42:43]
	v_mul_lo_u32 v0, v0, s24
	s_cbranch_vccnz .LBB415_225
; %bb.224:
	v_mul_hi_u32 v3, s40, v1
	v_add_u32_e32 v3, v1, v3
	v_lshrrev_b32_e32 v3, s41, v3
	v_mul_lo_u32 v3, v3, s23
	v_sub_u32_e32 v3, v1, v3
	v_mad_u64_u32 v[0:1], s[0:1], v3, s26, v[0:1]
	v_mad_u64_u32 v[2:3], s[0:1], v3, s27, v[2:3]
.LBB415_225:
	global_load_ushort v1, v2, s[18:19]
	v_mov_b32_e32 v2, s55
	v_add_u32_e32 v24, 0x80, v24
	s_waitcnt vmcnt(0)
	v_lshlrev_b32_e32 v3, 16, v1
	v_cmp_u_f32_e32 vcc, v3, v3
	v_cmp_lt_f32_e64 s[0:1], s56, v3
	s_or_b64 vcc, vcc, s[0:1]
	v_cndmask_b32_e32 v1, v2, v1, vcc
	global_store_short v0, v1, s[16:17]
	s_or_b64 exec, exec, s[48:49]
	v_cmp_gt_i32_e32 vcc, s57, v24
	s_and_saveexec_b64 s[48:49], vcc
	s_cbranch_execnz .LBB415_210
.LBB415_226:
	s_or_b64 exec, exec, s[48:49]
	v_cmp_gt_i32_e32 vcc, s57, v24
	s_and_saveexec_b64 s[48:49], vcc
	s_cbranch_execnz .LBB415_237
.LBB415_227:
	s_or_b64 exec, exec, s[48:49]
                                        ; implicit-def: $vgpr32
                                        ; implicit-def: $vgpr24
	s_andn2_saveexec_b64 s[0:1], s[38:39]
	s_cbranch_execnz .LBB415_9
.LBB415_228:
	s_endpgm
.LBB415_229:
	v_mov_b32_e32 v0, 0
	s_mov_b32 s59, 0
	v_mov_b32_e32 v1, v0
                                        ; implicit-def: $vgpr2
	v_mov_b32_e32 v4, v24
.LBB415_230:
	s_and_b32 s4, s60, 3
	s_cmp_eq_u32 s4, 0
	s_cbranch_scc1 .LBB415_233
; %bb.231:
	s_lshl_b32 s0, s59, 3
	s_add_u32 s0, s34, s0
	s_addc_u32 s1, s35, 0
	s_add_u32 s0, s0, 0xc4
	s_addc_u32 s1, s1, 0
	s_mul_i32 s2, s59, 12
	s_add_u32 s2, s34, s2
	s_addc_u32 s3, s35, 0
.LBB415_232:                            ; =>This Inner Loop Header: Depth=1
	s_load_dwordx2 s[6:7], s[2:3], 0x4
	s_load_dword s5, s[2:3], 0xc
	s_load_dwordx2 s[8:9], s[0:1], 0x0
	v_mov_b32_e32 v2, v1
	s_add_u32 s2, s2, 12
	s_waitcnt lgkmcnt(0)
	v_mul_hi_u32 v1, s7, v4
	v_add_u32_e32 v1, v4, v1
	v_lshrrev_b32_e32 v1, s5, v1
	s_addc_u32 s3, s3, 0
	v_mul_lo_u32 v3, v1, s6
	s_add_u32 s0, s0, 8
	v_sub_u32_e32 v5, v4, v3
	s_addc_u32 s1, s1, 0
	s_add_i32 s4, s4, -1
	v_mov_b32_e32 v4, v1
	v_mad_u64_u32 v[2:3], s[6:7], v5, s9, v[2:3]
	v_mad_u64_u32 v[0:1], s[6:7], v5, s8, v[0:1]
	s_cmp_lg_u32 s4, 0
	v_mov_b32_e32 v1, v2
	s_cbranch_scc1 .LBB415_232
.LBB415_233:
	s_cbranch_execnz .LBB415_236
.LBB415_234:
	v_mul_hi_u32 v0, s21, v24
	v_add_u32_e32 v0, v24, v0
	v_lshrrev_b32_e32 v1, s22, v0
	v_mul_lo_u32 v0, v1, s20
	v_sub_u32_e32 v0, v24, v0
	v_mul_lo_u32 v2, v0, s25
	s_andn2_b64 vcc, exec, s[42:43]
	v_mul_lo_u32 v0, v0, s24
	s_cbranch_vccnz .LBB415_236
; %bb.235:
	v_mul_hi_u32 v3, s40, v1
	v_add_u32_e32 v3, v1, v3
	v_lshrrev_b32_e32 v3, s41, v3
	v_mul_lo_u32 v3, v3, s23
	v_sub_u32_e32 v3, v1, v3
	v_mad_u64_u32 v[0:1], s[0:1], v3, s26, v[0:1]
	v_mad_u64_u32 v[2:3], s[0:1], v3, s27, v[2:3]
.LBB415_236:
	global_load_ushort v1, v2, s[18:19]
	v_mov_b32_e32 v2, s55
	v_add_u32_e32 v24, 0x80, v24
	s_waitcnt vmcnt(0)
	v_lshlrev_b32_e32 v3, 16, v1
	v_cmp_u_f32_e32 vcc, v3, v3
	v_cmp_lt_f32_e64 s[0:1], s56, v3
	s_or_b64 vcc, vcc, s[0:1]
	v_cndmask_b32_e32 v1, v2, v1, vcc
	global_store_short v0, v1, s[16:17]
	s_or_b64 exec, exec, s[48:49]
	v_cmp_gt_i32_e32 vcc, s57, v24
	s_and_saveexec_b64 s[48:49], vcc
	s_cbranch_execz .LBB415_227
.LBB415_237:
	s_andn2_b64 vcc, exec, s[36:37]
	s_cbranch_vccnz .LBB415_243
; %bb.238:
	s_andn2_b64 vcc, exec, s[46:47]
	s_cbranch_vccnz .LBB415_244
; %bb.239:
	s_add_i32 s58, s58, 1
	s_cmp_eq_u32 s54, 2
	s_cbranch_scc1 .LBB415_245
; %bb.240:
	s_and_b32 s50, s58, 28
	s_mov_b32 s51, 0
	v_mov_b32_e32 v0, 0
	v_mov_b32_e32 v2, 0
	s_mov_b64 s[46:47], s[34:35]
	v_mov_b32_e32 v4, v24
.LBB415_241:                            ; =>This Inner Loop Header: Depth=1
	s_load_dwordx8 s[8:15], s[46:47], 0x4
	s_load_dwordx4 s[28:31], s[46:47], 0x24
	s_load_dwordx8 s[0:7], s[44:45], 0x0
	s_add_u32 s46, s46, 48
	s_addc_u32 s47, s47, 0
	s_waitcnt lgkmcnt(0)
	v_mul_hi_u32 v1, s9, v4
	v_add_u32_e32 v1, v4, v1
	v_lshrrev_b32_e32 v1, s10, v1
	v_mul_lo_u32 v3, v1, s8
	v_mul_hi_u32 v5, s12, v1
	v_sub_u32_e32 v3, v4, v3
	v_add_u32_e32 v4, v1, v5
	v_lshrrev_b32_e32 v4, s13, v4
	v_mul_lo_u32 v6, v4, s11
	v_mul_hi_u32 v7, s15, v4
	v_sub_u32_e32 v1, v1, v6
	v_add_u32_e32 v6, v4, v7
	v_mul_lo_u32 v5, v3, s1
	v_mul_lo_u32 v3, v3, s0
	;; [unrolled: 1-line block ×4, first 2 shown]
	v_lshrrev_b32_e32 v6, s28, v6
	v_add3_u32 v0, v3, v0, v1
	v_mul_hi_u32 v3, s30, v6
	v_add3_u32 v1, v5, v2, v7
	v_mul_lo_u32 v2, v6, s14
	v_add_u32_e32 v3, v6, v3
	v_sub_u32_e32 v2, v4, v2
	v_lshrrev_b32_e32 v4, s31, v3
	s_add_i32 s51, s51, 4
	v_mul_lo_u32 v3, v4, s29
	s_add_u32 s44, s44, 32
	v_sub_u32_e32 v3, v6, v3
	s_addc_u32 s45, s45, 0
	v_mul_lo_u32 v5, v2, s4
	v_mul_lo_u32 v2, v2, s5
	;; [unrolled: 1-line block ×4, first 2 shown]
	s_cmp_eq_u32 s50, s51
	v_add3_u32 v2, v2, v1, v3
	v_add3_u32 v0, v5, v0, v6
	s_cbranch_scc0 .LBB415_241
; %bb.242:
	v_mov_b32_e32 v1, v2
	s_branch .LBB415_246
.LBB415_243:
                                        ; implicit-def: $vgpr2
                                        ; implicit-def: $vgpr0
	s_branch .LBB415_250
.LBB415_244:
	v_mov_b32_e32 v2, 0
	v_mov_b32_e32 v0, 0
	s_branch .LBB415_249
.LBB415_245:
	v_mov_b32_e32 v0, 0
	s_mov_b32 s50, 0
	v_mov_b32_e32 v1, v0
                                        ; implicit-def: $vgpr2
	v_mov_b32_e32 v4, v24
.LBB415_246:
	s_and_b32 s4, s58, 3
	s_cmp_eq_u32 s4, 0
	s_cbranch_scc1 .LBB415_249
; %bb.247:
	s_lshl_b32 s0, s50, 3
	s_add_u32 s0, s34, s0
	s_addc_u32 s1, s35, 0
	s_add_u32 s0, s0, 0xc4
	s_addc_u32 s1, s1, 0
	s_mul_i32 s2, s50, 12
	s_add_u32 s2, s34, s2
	s_addc_u32 s3, s35, 0
.LBB415_248:                            ; =>This Inner Loop Header: Depth=1
	s_load_dwordx2 s[6:7], s[2:3], 0x4
	s_load_dword s5, s[2:3], 0xc
	s_load_dwordx2 s[8:9], s[0:1], 0x0
	v_mov_b32_e32 v2, v1
	s_add_u32 s2, s2, 12
	s_waitcnt lgkmcnt(0)
	v_mul_hi_u32 v1, s7, v4
	v_add_u32_e32 v1, v4, v1
	v_lshrrev_b32_e32 v1, s5, v1
	s_addc_u32 s3, s3, 0
	v_mul_lo_u32 v3, v1, s6
	s_add_u32 s0, s0, 8
	v_sub_u32_e32 v5, v4, v3
	s_addc_u32 s1, s1, 0
	s_add_i32 s4, s4, -1
	v_mov_b32_e32 v4, v1
	v_mad_u64_u32 v[2:3], s[6:7], v5, s9, v[2:3]
	v_mad_u64_u32 v[0:1], s[6:7], v5, s8, v[0:1]
	s_cmp_lg_u32 s4, 0
	v_mov_b32_e32 v1, v2
	s_cbranch_scc1 .LBB415_248
.LBB415_249:
	s_cbranch_execnz .LBB415_252
.LBB415_250:
	v_mul_hi_u32 v0, s21, v24
	v_add_u32_e32 v0, v24, v0
	v_lshrrev_b32_e32 v1, s22, v0
	v_mul_lo_u32 v0, v1, s20
	v_sub_u32_e32 v0, v24, v0
	v_mul_lo_u32 v2, v0, s25
	s_andn2_b64 vcc, exec, s[42:43]
	v_mul_lo_u32 v0, v0, s24
	s_cbranch_vccnz .LBB415_252
; %bb.251:
	v_mul_hi_u32 v3, s40, v1
	v_add_u32_e32 v3, v1, v3
	v_lshrrev_b32_e32 v3, s41, v3
	v_mul_lo_u32 v3, v3, s23
	v_sub_u32_e32 v3, v1, v3
	v_mad_u64_u32 v[0:1], s[0:1], v3, s26, v[0:1]
	v_mad_u64_u32 v[2:3], s[0:1], v3, s27, v[2:3]
.LBB415_252:
	global_load_ushort v1, v2, s[18:19]
	v_mov_b32_e32 v2, s55
	s_waitcnt vmcnt(0)
	v_lshlrev_b32_e32 v3, 16, v1
	v_cmp_u_f32_e32 vcc, v3, v3
	v_cmp_lt_f32_e64 s[0:1], s56, v3
	s_or_b64 vcc, vcc, s[0:1]
	v_cndmask_b32_e32 v1, v2, v1, vcc
	global_store_short v0, v1, s[16:17]
	s_or_b64 exec, exec, s[48:49]
                                        ; implicit-def: $vgpr32
                                        ; implicit-def: $vgpr24
	s_andn2_saveexec_b64 s[0:1], s[38:39]
	s_cbranch_execz .LBB415_228
	s_branch .LBB415_9
	.section	.rodata,"a",@progbits
	.p2align	6, 0x0
	.amdhsa_kernel _ZN2at6native32elementwise_kernel_manual_unrollILi128ELi8EZNS0_22gpu_kernel_impl_nocastIZZZNS0_21clamp_min_kernel_cudaERNS_18TensorIteratorBaseERKN3c106ScalarEENKUlvE_clEvENKUlvE7_clEvEUlNS5_8BFloat16EE_EEvS4_RKT_EUlibE_EEviT1_
		.amdhsa_group_segment_fixed_size 0
		.amdhsa_private_segment_fixed_size 0
		.amdhsa_kernarg_size 360
		.amdhsa_user_sgpr_count 2
		.amdhsa_user_sgpr_dispatch_ptr 0
		.amdhsa_user_sgpr_queue_ptr 0
		.amdhsa_user_sgpr_kernarg_segment_ptr 1
		.amdhsa_user_sgpr_dispatch_id 0
		.amdhsa_user_sgpr_kernarg_preload_length 0
		.amdhsa_user_sgpr_kernarg_preload_offset 0
		.amdhsa_user_sgpr_private_segment_size 0
		.amdhsa_uses_dynamic_stack 0
		.amdhsa_enable_private_segment 0
		.amdhsa_system_sgpr_workgroup_id_x 1
		.amdhsa_system_sgpr_workgroup_id_y 0
		.amdhsa_system_sgpr_workgroup_id_z 0
		.amdhsa_system_sgpr_workgroup_info 0
		.amdhsa_system_vgpr_workitem_id 0
		.amdhsa_next_free_vgpr 33
		.amdhsa_next_free_sgpr 62
		.amdhsa_accum_offset 36
		.amdhsa_reserve_vcc 1
		.amdhsa_float_round_mode_32 0
		.amdhsa_float_round_mode_16_64 0
		.amdhsa_float_denorm_mode_32 3
		.amdhsa_float_denorm_mode_16_64 3
		.amdhsa_dx10_clamp 1
		.amdhsa_ieee_mode 1
		.amdhsa_fp16_overflow 0
		.amdhsa_tg_split 0
		.amdhsa_exception_fp_ieee_invalid_op 0
		.amdhsa_exception_fp_denorm_src 0
		.amdhsa_exception_fp_ieee_div_zero 0
		.amdhsa_exception_fp_ieee_overflow 0
		.amdhsa_exception_fp_ieee_underflow 0
		.amdhsa_exception_fp_ieee_inexact 0
		.amdhsa_exception_int_div_zero 0
	.end_amdhsa_kernel
	.section	.text._ZN2at6native32elementwise_kernel_manual_unrollILi128ELi8EZNS0_22gpu_kernel_impl_nocastIZZZNS0_21clamp_min_kernel_cudaERNS_18TensorIteratorBaseERKN3c106ScalarEENKUlvE_clEvENKUlvE7_clEvEUlNS5_8BFloat16EE_EEvS4_RKT_EUlibE_EEviT1_,"axG",@progbits,_ZN2at6native32elementwise_kernel_manual_unrollILi128ELi8EZNS0_22gpu_kernel_impl_nocastIZZZNS0_21clamp_min_kernel_cudaERNS_18TensorIteratorBaseERKN3c106ScalarEENKUlvE_clEvENKUlvE7_clEvEUlNS5_8BFloat16EE_EEvS4_RKT_EUlibE_EEviT1_,comdat
.Lfunc_end415:
	.size	_ZN2at6native32elementwise_kernel_manual_unrollILi128ELi8EZNS0_22gpu_kernel_impl_nocastIZZZNS0_21clamp_min_kernel_cudaERNS_18TensorIteratorBaseERKN3c106ScalarEENKUlvE_clEvENKUlvE7_clEvEUlNS5_8BFloat16EE_EEvS4_RKT_EUlibE_EEviT1_, .Lfunc_end415-_ZN2at6native32elementwise_kernel_manual_unrollILi128ELi8EZNS0_22gpu_kernel_impl_nocastIZZZNS0_21clamp_min_kernel_cudaERNS_18TensorIteratorBaseERKN3c106ScalarEENKUlvE_clEvENKUlvE7_clEvEUlNS5_8BFloat16EE_EEvS4_RKT_EUlibE_EEviT1_
                                        ; -- End function
	.set _ZN2at6native32elementwise_kernel_manual_unrollILi128ELi8EZNS0_22gpu_kernel_impl_nocastIZZZNS0_21clamp_min_kernel_cudaERNS_18TensorIteratorBaseERKN3c106ScalarEENKUlvE_clEvENKUlvE7_clEvEUlNS5_8BFloat16EE_EEvS4_RKT_EUlibE_EEviT1_.num_vgpr, 33
	.set _ZN2at6native32elementwise_kernel_manual_unrollILi128ELi8EZNS0_22gpu_kernel_impl_nocastIZZZNS0_21clamp_min_kernel_cudaERNS_18TensorIteratorBaseERKN3c106ScalarEENKUlvE_clEvENKUlvE7_clEvEUlNS5_8BFloat16EE_EEvS4_RKT_EUlibE_EEviT1_.num_agpr, 0
	.set _ZN2at6native32elementwise_kernel_manual_unrollILi128ELi8EZNS0_22gpu_kernel_impl_nocastIZZZNS0_21clamp_min_kernel_cudaERNS_18TensorIteratorBaseERKN3c106ScalarEENKUlvE_clEvENKUlvE7_clEvEUlNS5_8BFloat16EE_EEvS4_RKT_EUlibE_EEviT1_.numbered_sgpr, 62
	.set _ZN2at6native32elementwise_kernel_manual_unrollILi128ELi8EZNS0_22gpu_kernel_impl_nocastIZZZNS0_21clamp_min_kernel_cudaERNS_18TensorIteratorBaseERKN3c106ScalarEENKUlvE_clEvENKUlvE7_clEvEUlNS5_8BFloat16EE_EEvS4_RKT_EUlibE_EEviT1_.num_named_barrier, 0
	.set _ZN2at6native32elementwise_kernel_manual_unrollILi128ELi8EZNS0_22gpu_kernel_impl_nocastIZZZNS0_21clamp_min_kernel_cudaERNS_18TensorIteratorBaseERKN3c106ScalarEENKUlvE_clEvENKUlvE7_clEvEUlNS5_8BFloat16EE_EEvS4_RKT_EUlibE_EEviT1_.private_seg_size, 0
	.set _ZN2at6native32elementwise_kernel_manual_unrollILi128ELi8EZNS0_22gpu_kernel_impl_nocastIZZZNS0_21clamp_min_kernel_cudaERNS_18TensorIteratorBaseERKN3c106ScalarEENKUlvE_clEvENKUlvE7_clEvEUlNS5_8BFloat16EE_EEvS4_RKT_EUlibE_EEviT1_.uses_vcc, 1
	.set _ZN2at6native32elementwise_kernel_manual_unrollILi128ELi8EZNS0_22gpu_kernel_impl_nocastIZZZNS0_21clamp_min_kernel_cudaERNS_18TensorIteratorBaseERKN3c106ScalarEENKUlvE_clEvENKUlvE7_clEvEUlNS5_8BFloat16EE_EEvS4_RKT_EUlibE_EEviT1_.uses_flat_scratch, 0
	.set _ZN2at6native32elementwise_kernel_manual_unrollILi128ELi8EZNS0_22gpu_kernel_impl_nocastIZZZNS0_21clamp_min_kernel_cudaERNS_18TensorIteratorBaseERKN3c106ScalarEENKUlvE_clEvENKUlvE7_clEvEUlNS5_8BFloat16EE_EEvS4_RKT_EUlibE_EEviT1_.has_dyn_sized_stack, 0
	.set _ZN2at6native32elementwise_kernel_manual_unrollILi128ELi8EZNS0_22gpu_kernel_impl_nocastIZZZNS0_21clamp_min_kernel_cudaERNS_18TensorIteratorBaseERKN3c106ScalarEENKUlvE_clEvENKUlvE7_clEvEUlNS5_8BFloat16EE_EEvS4_RKT_EUlibE_EEviT1_.has_recursion, 0
	.set _ZN2at6native32elementwise_kernel_manual_unrollILi128ELi8EZNS0_22gpu_kernel_impl_nocastIZZZNS0_21clamp_min_kernel_cudaERNS_18TensorIteratorBaseERKN3c106ScalarEENKUlvE_clEvENKUlvE7_clEvEUlNS5_8BFloat16EE_EEvS4_RKT_EUlibE_EEviT1_.has_indirect_call, 0
	.section	.AMDGPU.csdata,"",@progbits
; Kernel info:
; codeLenInByte = 11772
; TotalNumSgprs: 68
; NumVgprs: 33
; NumAgprs: 0
; TotalNumVgprs: 33
; ScratchSize: 0
; MemoryBound: 0
; FloatMode: 240
; IeeeMode: 1
; LDSByteSize: 0 bytes/workgroup (compile time only)
; SGPRBlocks: 8
; VGPRBlocks: 4
; NumSGPRsForWavesPerEU: 68
; NumVGPRsForWavesPerEU: 33
; AccumOffset: 36
; Occupancy: 8
; WaveLimiterHint : 1
; COMPUTE_PGM_RSRC2:SCRATCH_EN: 0
; COMPUTE_PGM_RSRC2:USER_SGPR: 2
; COMPUTE_PGM_RSRC2:TRAP_HANDLER: 0
; COMPUTE_PGM_RSRC2:TGID_X_EN: 1
; COMPUTE_PGM_RSRC2:TGID_Y_EN: 0
; COMPUTE_PGM_RSRC2:TGID_Z_EN: 0
; COMPUTE_PGM_RSRC2:TIDIG_COMP_CNT: 0
; COMPUTE_PGM_RSRC3_GFX90A:ACCUM_OFFSET: 8
; COMPUTE_PGM_RSRC3_GFX90A:TG_SPLIT: 0
	.section	.text._ZN2at6native32elementwise_kernel_manual_unrollILi128ELi4EZNS0_15gpu_kernel_implIZZZNS0_21clamp_min_kernel_cudaERNS_18TensorIteratorBaseERKN3c106ScalarEENKUlvE_clEvENKUlvE7_clEvEUlNS5_8BFloat16EE_EEvS4_RKT_EUlibE_EEviT1_,"axG",@progbits,_ZN2at6native32elementwise_kernel_manual_unrollILi128ELi4EZNS0_15gpu_kernel_implIZZZNS0_21clamp_min_kernel_cudaERNS_18TensorIteratorBaseERKN3c106ScalarEENKUlvE_clEvENKUlvE7_clEvEUlNS5_8BFloat16EE_EEvS4_RKT_EUlibE_EEviT1_,comdat
	.globl	_ZN2at6native32elementwise_kernel_manual_unrollILi128ELi4EZNS0_15gpu_kernel_implIZZZNS0_21clamp_min_kernel_cudaERNS_18TensorIteratorBaseERKN3c106ScalarEENKUlvE_clEvENKUlvE7_clEvEUlNS5_8BFloat16EE_EEvS4_RKT_EUlibE_EEviT1_ ; -- Begin function _ZN2at6native32elementwise_kernel_manual_unrollILi128ELi4EZNS0_15gpu_kernel_implIZZZNS0_21clamp_min_kernel_cudaERNS_18TensorIteratorBaseERKN3c106ScalarEENKUlvE_clEvENKUlvE7_clEvEUlNS5_8BFloat16EE_EEvS4_RKT_EUlibE_EEviT1_
	.p2align	8
	.type	_ZN2at6native32elementwise_kernel_manual_unrollILi128ELi4EZNS0_15gpu_kernel_implIZZZNS0_21clamp_min_kernel_cudaERNS_18TensorIteratorBaseERKN3c106ScalarEENKUlvE_clEvENKUlvE7_clEvEUlNS5_8BFloat16EE_EEvS4_RKT_EUlibE_EEviT1_,@function
_ZN2at6native32elementwise_kernel_manual_unrollILi128ELi4EZNS0_15gpu_kernel_implIZZZNS0_21clamp_min_kernel_cudaERNS_18TensorIteratorBaseERKN3c106ScalarEENKUlvE_clEvENKUlvE7_clEvEUlNS5_8BFloat16EE_EEvS4_RKT_EUlibE_EEviT1_: ; @_ZN2at6native32elementwise_kernel_manual_unrollILi128ELi4EZNS0_15gpu_kernel_implIZZZNS0_21clamp_min_kernel_cudaERNS_18TensorIteratorBaseERKN3c106ScalarEENKUlvE_clEvENKUlvE7_clEvEUlNS5_8BFloat16EE_EEvS4_RKT_EUlibE_EEviT1_
; %bb.0:
	s_load_dword s3, s[0:1], 0x20
	s_load_dwordx2 s[8:9], s[0:1], 0x18
	s_load_dword s38, s[0:1], 0x0
	s_load_dwordx4 s[4:7], s[0:1], 0x8
	v_lshl_or_b32 v4, s2, 9, v0
	v_or_b32_e32 v0, 0x180, v4
	s_waitcnt lgkmcnt(0)
	s_and_b32 s33, s3, 0xffff
	s_lshr_b32 s42, s3, 16
	s_lshr_b32 s43, s3, 24
	v_cmp_le_i32_e32 vcc, s38, v0
	s_mov_b64 s[2:3], 0
	s_mov_b64 s[12:13], 0
	s_and_saveexec_b64 s[0:1], vcc
	s_xor_b64 s[10:11], exec, s[0:1]
	s_cbranch_execz .LBB416_1029
; %bb.1:
	s_lshl_b32 s44, s33, 16
	v_cmp_gt_i32_e32 vcc, s38, v4
	s_mov_b64 s[18:19], -1
	s_mov_b64 s[20:21], 0
	s_mov_b64 s[14:15], 0
	s_and_saveexec_b64 s[16:17], vcc
	s_cbranch_execz .LBB416_252
; %bb.2:
	v_mul_lo_u32 v0, v4, s9
	v_ashrrev_i32_e32 v1, 31, v0
	s_and_b32 s22, 0xffff, s43
	s_cmp_lt_i32 s22, 11
	v_lshl_add_u64 v[0:1], s[6:7], 0, v[0:1]
	s_cbranch_scc1 .LBB416_9
; %bb.3:
	s_cmp_gt_i32 s22, 25
	s_cbranch_scc0 .LBB416_18
; %bb.4:
	s_cmp_gt_i32 s22, 28
	s_cbranch_scc0 .LBB416_22
	;; [unrolled: 3-line block ×4, first 2 shown]
; %bb.7:
	s_cmp_eq_u32 s22, 46
	s_cbranch_scc0 .LBB416_28
; %bb.8:
	global_load_dword v2, v[0:1], off
	s_mov_b64 s[0:1], -1
	s_branch .LBB416_30
.LBB416_9:
                                        ; implicit-def: $vgpr2
	s_mov_b64 s[0:1], 0
	s_cbranch_execnz .LBB416_203
.LBB416_10:
	s_andn2_b64 vcc, exec, s[0:1]
	s_cbranch_vccnz .LBB416_250
.LBB416_11:
	s_waitcnt vmcnt(0)
	v_lshlrev_b32_e32 v0, 16, v2
	v_cmp_u_f32_e32 vcc, v0, v0
	v_cmp_lt_f32_e64 s[0:1], s44, v0
	v_mov_b32_e32 v0, s33
	s_or_b64 vcc, vcc, s[0:1]
	v_cndmask_b32_e32 v2, v0, v2, vcc
	v_mul_lo_u32 v0, v4, s8
	v_ashrrev_i32_e32 v1, 31, v0
	s_and_b32 s24, s42, 0xff
	s_cmp_lt_i32 s24, 11
	v_lshl_add_u64 v[0:1], s[4:5], 0, v[0:1]
	s_cbranch_scc1 .LBB416_19
; %bb.12:
	s_and_b32 s25, 0xffff, s24
	s_cmp_gt_i32 s25, 25
	s_cbranch_scc0 .LBB416_23
; %bb.13:
	s_cmp_gt_i32 s25, 28
	s_cbranch_scc0 .LBB416_25
; %bb.14:
	;; [unrolled: 3-line block ×4, first 2 shown]
	s_mov_b64 s[18:19], 0
	s_mov_b64 s[0:1], -1
	s_cmp_eq_u32 s25, 46
	s_mov_b64 s[12:13], 0
	s_cbranch_scc0 .LBB416_34
; %bb.17:
	v_and_b32_e32 v3, 0xffff, v2
	global_store_dword v[0:1], v3, off
	s_mov_b64 s[12:13], -1
	s_mov_b64 s[0:1], 0
	s_branch .LBB416_34
.LBB416_18:
	s_mov_b64 s[0:1], 0
                                        ; implicit-def: $vgpr2
	s_cbranch_execnz .LBB416_168
	s_branch .LBB416_202
.LBB416_19:
	s_mov_b64 s[0:1], 0
	s_mov_b64 s[12:13], 0
	s_cbranch_execnz .LBB416_103
.LBB416_20:
	s_andn2_b64 vcc, exec, s[12:13]
	s_cbranch_vccnz .LBB416_141
.LBB416_21:
	v_add_u32_e32 v4, 0x80, v4
	s_mov_b64 s[18:19], -1
	s_branch .LBB416_251
.LBB416_22:
	s_mov_b64 s[12:13], -1
	s_mov_b64 s[0:1], 0
                                        ; implicit-def: $vgpr2
	s_branch .LBB416_149
.LBB416_23:
	s_mov_b64 s[18:19], -1
	s_mov_b64 s[0:1], 0
	s_mov_b64 s[12:13], 0
	s_branch .LBB416_61
.LBB416_24:
	s_mov_b64 s[12:13], -1
	s_mov_b64 s[0:1], 0
                                        ; implicit-def: $vgpr2
	s_branch .LBB416_144
.LBB416_25:
	s_mov_b64 s[18:19], -1
	s_mov_b64 s[0:1], 0
	s_mov_b64 s[12:13], 0
	s_branch .LBB416_44
.LBB416_26:
	s_mov_b64 s[12:13], -1
	s_branch .LBB416_29
.LBB416_27:
	s_mov_b64 s[18:19], -1
	s_mov_b64 s[0:1], 0
	s_mov_b64 s[12:13], 0
	s_branch .LBB416_40
.LBB416_28:
	s_mov_b64 s[14:15], -1
.LBB416_29:
	s_mov_b64 s[0:1], 0
                                        ; implicit-def: $vgpr2
.LBB416_30:
	s_and_b64 vcc, exec, s[12:13]
	s_cbranch_vccz .LBB416_143
; %bb.31:
	s_cmp_eq_u32 s22, 44
	s_cbranch_scc0 .LBB416_142
; %bb.32:
	global_load_ubyte v2, v[0:1], off
	s_movk_i32 s12, 0xff
	v_mov_b32_e32 v3, 0x7f800001
	v_mov_b32_e32 v5, 0x400000
	;; [unrolled: 1-line block ×3, first 2 shown]
	s_mov_b64 s[0:1], -1
	s_mov_b64 s[14:15], 0
	s_waitcnt vmcnt(0)
	v_lshlrev_b32_e32 v7, 23, v2
	v_cmp_ne_u32_e32 vcc, s12, v2
	s_nop 1
	v_cndmask_b32_e32 v3, v3, v7, vcc
	v_cmp_ne_u32_e32 vcc, 0, v2
	s_nop 1
	v_cndmask_b32_e32 v2, v5, v3, vcc
	v_add_u32_e32 v3, 0x7fff, v2
	v_cmp_o_f32_e32 vcc, v2, v2
	s_nop 1
	v_cndmask_b32_sdwa v2, v6, v3, vcc dst_sel:DWORD dst_unused:UNUSED_PAD src0_sel:DWORD src1_sel:WORD_1
	s_branch .LBB416_143
.LBB416_33:
	s_mov_b64 s[18:19], -1
	s_mov_b64 s[0:1], 0
	s_mov_b64 s[12:13], 0
.LBB416_34:
	s_and_b64 vcc, exec, s[18:19]
	s_cbranch_vccz .LBB416_39
; %bb.35:
	s_cmp_eq_u32 s25, 44
	s_mov_b64 s[0:1], -1
	s_cbranch_scc0 .LBB416_39
; %bb.36:
	v_and_b32_e32 v5, 0xffff, v2
	v_bfe_u32 v3, v5, 7, 8
	s_movk_i32 s0, 0xff
	v_cmp_ne_u32_e32 vcc, s0, v3
	v_mov_b32_e32 v6, 0xff
	s_and_saveexec_b64 s[12:13], vcc
	s_cbranch_execz .LBB416_38
; %bb.37:
	v_lshlrev_b32_e32 v7, 16, v5
	s_mov_b32 s0, 0x3f0000
	v_lshrrev_b32_e32 v6, 7, v5
	v_and_b32_e32 v5, 64, v5
	v_and_or_b32 v3, v7, s0, v3
	v_cmp_ne_u32_e32 vcc, 0, v5
	v_cmp_ne_u32_e64 s[0:1], 0, v3
	s_and_b64 s[0:1], vcc, s[0:1]
	s_nop 0
	v_cndmask_b32_e64 v3, 0, 1, s[0:1]
	v_add_u32_e32 v6, v6, v3
.LBB416_38:
	s_or_b64 exec, exec, s[12:13]
	s_mov_b64 s[12:13], -1
	s_mov_b64 s[0:1], 0
	global_store_byte v[0:1], v6, off
.LBB416_39:
	s_mov_b64 s[18:19], 0
.LBB416_40:
	s_and_b64 vcc, exec, s[18:19]
	s_cbranch_vccz .LBB416_43
; %bb.41:
	s_cmp_eq_u32 s25, 29
	s_mov_b64 s[0:1], -1
	s_cbranch_scc0 .LBB416_43
; %bb.42:
	v_lshlrev_b32_e32 v3, 16, v2
	v_trunc_f32_e32 v3, v3
	v_mul_f32_e32 v5, 0x2f800000, v3
	v_floor_f32_e32 v5, v5
	v_fmamk_f32 v3, v5, 0xcf800000, v3
	v_cvt_u32_f32_e32 v7, v5
	v_cvt_u32_f32_e32 v6, v3
	s_mov_b64 s[12:13], -1
	s_mov_b64 s[0:1], 0
	s_mov_b64 s[18:19], 0
	global_store_dwordx2 v[0:1], v[6:7], off
	s_branch .LBB416_44
.LBB416_43:
	s_mov_b64 s[18:19], 0
.LBB416_44:
	s_and_b64 vcc, exec, s[18:19]
	s_cbranch_vccz .LBB416_60
; %bb.45:
	s_cmp_lt_i32 s25, 27
	s_mov_b64 s[12:13], -1
	s_cbranch_scc1 .LBB416_51
; %bb.46:
	s_cmp_gt_i32 s25, 27
	s_cbranch_scc0 .LBB416_48
; %bb.47:
	v_lshlrev_b32_e32 v3, 16, v2
	v_cvt_u32_f32_e32 v3, v3
	s_mov_b64 s[12:13], 0
	global_store_dword v[0:1], v3, off
.LBB416_48:
	s_andn2_b64 vcc, exec, s[12:13]
	s_cbranch_vccnz .LBB416_50
; %bb.49:
	v_lshlrev_b32_e32 v3, 16, v2
	v_cvt_u32_f32_e32 v3, v3
	global_store_short v[0:1], v3, off
.LBB416_50:
	s_mov_b64 s[12:13], 0
.LBB416_51:
	s_andn2_b64 vcc, exec, s[12:13]
	s_cbranch_vccnz .LBB416_59
; %bb.52:
	v_lshlrev_b32_e32 v6, 16, v2
	v_and_b32_e32 v5, 0x7fffffff, v6
	s_mov_b32 s12, 0x43800000
	v_cmp_gt_u32_e32 vcc, s12, v5
	v_mov_b32_e32 v7, 0x80
	s_and_saveexec_b64 s[12:13], vcc
	s_cbranch_execz .LBB416_58
; %bb.53:
	s_mov_b32 s18, 0x3bffffff
	v_and_b32_e32 v3, 0xffff, v2
	v_cmp_lt_u32_e32 vcc, s18, v5
	s_mov_b64 s[18:19], 0
                                        ; implicit-def: $vgpr5
	s_and_saveexec_b64 s[22:23], vcc
	s_xor_b64 s[22:23], exec, s[22:23]
	s_cbranch_execz .LBB416_279
; %bb.54:
	v_bfe_u32 v5, v3, 4, 1
	s_mov_b32 s26, 0x487ffff
	v_add3_u32 v5, v6, v5, s26
	s_mov_b64 s[18:19], exec
	v_lshrrev_b32_e32 v5, 20, v5
                                        ; implicit-def: $vgpr6
	s_andn2_saveexec_b64 s[22:23], s[22:23]
	s_cbranch_execnz .LBB416_280
.LBB416_55:
	s_or_b64 exec, exec, s[22:23]
	v_mov_b32_e32 v7, 0
	s_and_saveexec_b64 s[22:23], s[18:19]
.LBB416_56:
	v_lshrrev_b32_e32 v3, 8, v3
	s_movk_i32 s18, 0x80
	v_and_or_b32 v7, v3, s18, v5
.LBB416_57:
	s_or_b64 exec, exec, s[22:23]
.LBB416_58:
	s_or_b64 exec, exec, s[12:13]
	global_store_byte v[0:1], v7, off
.LBB416_59:
	s_mov_b64 s[12:13], -1
.LBB416_60:
	s_mov_b64 s[18:19], 0
.LBB416_61:
	s_and_b64 vcc, exec, s[18:19]
	s_cbranch_vccz .LBB416_102
; %bb.62:
	s_cmp_gt_i32 s25, 22
	s_mov_b64 s[18:19], -1
	s_cbranch_scc0 .LBB416_94
; %bb.63:
	s_cmp_lt_i32 s25, 24
	s_mov_b64 s[12:13], -1
	s_cbranch_scc1 .LBB416_83
; %bb.64:
	s_cmp_gt_i32 s25, 24
	s_cbranch_scc0 .LBB416_72
; %bb.65:
	v_lshlrev_b32_e32 v6, 16, v2
	v_and_b32_e32 v5, 0x7fffffff, v6
	s_mov_b32 s12, 0x47800000
	v_cmp_gt_u32_e32 vcc, s12, v5
	v_mov_b32_e32 v7, 0x80
	s_and_saveexec_b64 s[12:13], vcc
	s_cbranch_execz .LBB416_71
; %bb.66:
	s_mov_b32 s18, 0x37ffffff
	v_and_b32_e32 v3, 0xffff, v2
	v_cmp_lt_u32_e32 vcc, s18, v5
	s_mov_b64 s[18:19], 0
                                        ; implicit-def: $vgpr5
	s_and_saveexec_b64 s[22:23], vcc
	s_xor_b64 s[22:23], exec, s[22:23]
	s_cbranch_execz .LBB416_283
; %bb.67:
	v_bfe_u32 v5, v3, 5, 1
	s_mov_b32 s26, 0x88fffff
	v_add3_u32 v5, v6, v5, s26
	s_mov_b64 s[18:19], exec
	v_lshrrev_b32_e32 v5, 21, v5
                                        ; implicit-def: $vgpr6
	s_andn2_saveexec_b64 s[22:23], s[22:23]
	s_cbranch_execnz .LBB416_284
.LBB416_68:
	s_or_b64 exec, exec, s[22:23]
	v_mov_b32_e32 v7, 0
	s_and_saveexec_b64 s[22:23], s[18:19]
.LBB416_69:
	v_lshrrev_b32_e32 v3, 8, v3
	s_movk_i32 s18, 0x80
	v_and_or_b32 v7, v3, s18, v5
.LBB416_70:
	s_or_b64 exec, exec, s[22:23]
.LBB416_71:
	s_or_b64 exec, exec, s[12:13]
	s_mov_b64 s[12:13], 0
	global_store_byte v[0:1], v7, off
.LBB416_72:
	s_and_b64 vcc, exec, s[12:13]
	s_cbranch_vccz .LBB416_82
; %bb.73:
	v_lshlrev_b32_e32 v6, 16, v2
	v_and_b32_e32 v7, 0x7fffffff, v6
	s_mov_b32 s12, 0x43f00000
	v_and_b32_e32 v3, 0xffff, v2
	v_cmp_gt_u32_e32 vcc, s12, v7
                                        ; implicit-def: $vgpr5
	s_and_saveexec_b64 s[12:13], vcc
	s_xor_b64 s[12:13], exec, s[12:13]
	s_cbranch_execz .LBB416_79
; %bb.74:
	s_mov_b32 s18, 0x3c7fffff
	v_cmp_lt_u32_e32 vcc, s18, v7
                                        ; implicit-def: $vgpr5
	s_and_saveexec_b64 s[18:19], vcc
	s_xor_b64 s[18:19], exec, s[18:19]
; %bb.75:
	v_bfe_u32 v5, v3, 4, 1
	s_mov_b32 s22, 0x407ffff
	v_add3_u32 v5, v6, v5, s22
	v_lshrrev_b32_e32 v6, 20, v5
	v_and_b32_e32 v5, 0xff00000, v5
	s_mov_b32 s22, 0x7f00000
	v_mov_b32_e32 v7, 0x7e
	v_cmp_ne_u32_e32 vcc, s22, v5
	s_nop 1
	v_cndmask_b32_e32 v5, v7, v6, vcc
                                        ; implicit-def: $vgpr6
; %bb.76:
	s_andn2_saveexec_b64 s[18:19], s[18:19]
; %bb.77:
	s_mov_b32 s22, 0x46800000
	v_add_f32_e64 v5, |v6|, s22
; %bb.78:
	s_or_b64 exec, exec, s[18:19]
                                        ; implicit-def: $vgpr7
.LBB416_79:
	s_andn2_saveexec_b64 s[12:13], s[12:13]
; %bb.80:
	s_mov_b32 s18, 0x7f800000
	v_mov_b32_e32 v5, 0x7e
	v_mov_b32_e32 v6, 0x7f
	v_cmp_lt_u32_e32 vcc, s18, v7
	s_nop 1
	v_cndmask_b32_e32 v5, v5, v6, vcc
; %bb.81:
	s_or_b64 exec, exec, s[12:13]
	v_lshrrev_b32_e32 v3, 8, v3
	s_movk_i32 s12, 0x80
	v_and_or_b32 v3, v3, s12, v5
	global_store_byte v[0:1], v3, off
.LBB416_82:
	s_mov_b64 s[12:13], 0
.LBB416_83:
	s_andn2_b64 vcc, exec, s[12:13]
	s_cbranch_vccnz .LBB416_93
; %bb.84:
	v_lshlrev_b32_e32 v6, 16, v2
	v_and_b32_e32 v7, 0x7fffffff, v6
	s_mov_b32 s12, 0x47800000
	v_and_b32_e32 v3, 0xffff, v2
	v_cmp_gt_u32_e32 vcc, s12, v7
                                        ; implicit-def: $vgpr5
	s_and_saveexec_b64 s[12:13], vcc
	s_xor_b64 s[12:13], exec, s[12:13]
	s_cbranch_execz .LBB416_90
; %bb.85:
	s_mov_b32 s18, 0x387fffff
	v_cmp_lt_u32_e32 vcc, s18, v7
                                        ; implicit-def: $vgpr5
	s_and_saveexec_b64 s[18:19], vcc
	s_xor_b64 s[18:19], exec, s[18:19]
; %bb.86:
	v_bfe_u32 v5, v3, 5, 1
	s_mov_b32 s22, 0x80fffff
	v_add3_u32 v5, v6, v5, s22
	v_lshrrev_b32_e32 v5, 21, v5
                                        ; implicit-def: $vgpr6
; %bb.87:
	s_andn2_saveexec_b64 s[18:19], s[18:19]
; %bb.88:
	s_mov_b32 s22, 0x43000000
	v_add_f32_e64 v5, |v6|, s22
; %bb.89:
	s_or_b64 exec, exec, s[18:19]
                                        ; implicit-def: $vgpr7
.LBB416_90:
	s_andn2_saveexec_b64 s[12:13], s[12:13]
; %bb.91:
	s_mov_b32 s18, 0x7f800000
	v_mov_b32_e32 v5, 0x7c
	v_mov_b32_e32 v6, 0x7f
	v_cmp_lt_u32_e32 vcc, s18, v7
	s_nop 1
	v_cndmask_b32_e32 v5, v5, v6, vcc
; %bb.92:
	s_or_b64 exec, exec, s[12:13]
	v_lshrrev_b32_e32 v3, 8, v3
	s_movk_i32 s12, 0x80
	v_and_or_b32 v3, v3, s12, v5
	global_store_byte v[0:1], v3, off
.LBB416_93:
	s_mov_b64 s[18:19], 0
	s_mov_b64 s[12:13], -1
.LBB416_94:
	s_andn2_b64 vcc, exec, s[18:19]
	s_cbranch_vccnz .LBB416_102
; %bb.95:
	s_cmp_gt_i32 s25, 14
	s_mov_b64 s[18:19], -1
	s_cbranch_scc0 .LBB416_99
; %bb.96:
	s_cmp_eq_u32 s25, 15
	s_mov_b64 s[0:1], -1
	s_cbranch_scc0 .LBB416_98
; %bb.97:
	global_store_short v[0:1], v2, off
	s_mov_b64 s[12:13], -1
	s_mov_b64 s[0:1], 0
.LBB416_98:
	s_mov_b64 s[18:19], 0
.LBB416_99:
	s_and_b64 vcc, exec, s[18:19]
	s_cbranch_vccz .LBB416_102
; %bb.100:
	s_cmp_eq_u32 s25, 11
	s_mov_b64 s[0:1], -1
	s_cbranch_scc0 .LBB416_102
; %bb.101:
	v_and_b32_e32 v3, 0x7fff, v2
	v_cmp_ne_u16_e32 vcc, 0, v3
	s_mov_b64 s[12:13], -1
	s_mov_b64 s[0:1], 0
	v_cndmask_b32_e64 v3, 0, 1, vcc
	global_store_byte v[0:1], v3, off
.LBB416_102:
	s_branch .LBB416_20
.LBB416_103:
	s_and_b32 s18, 0xffff, s24
	s_cmp_lt_i32 s18, 5
	s_mov_b64 s[12:13], -1
	s_cbranch_scc1 .LBB416_124
; %bb.104:
	s_cmp_lt_i32 s18, 8
	s_cbranch_scc1 .LBB416_114
; %bb.105:
	s_cmp_lt_i32 s18, 9
	s_cbranch_scc1 .LBB416_111
; %bb.106:
	s_cmp_gt_i32 s18, 9
	s_cbranch_scc0 .LBB416_108
; %bb.107:
	v_lshlrev_b32_e32 v3, 16, v2
	v_mov_b32_e32 v8, 0
	v_cvt_f64_f32_e32 v[6:7], v3
	v_mov_b32_e32 v9, v8
	global_store_dwordx4 v[0:1], v[6:9], off
	s_mov_b64 s[12:13], 0
.LBB416_108:
	s_andn2_b64 vcc, exec, s[12:13]
	s_cbranch_vccnz .LBB416_110
; %bb.109:
	v_lshlrev_b32_e32 v6, 16, v2
	v_mov_b32_e32 v7, 0
	global_store_dwordx2 v[0:1], v[6:7], off
.LBB416_110:
	s_mov_b64 s[12:13], 0
.LBB416_111:
	s_andn2_b64 vcc, exec, s[12:13]
	s_cbranch_vccnz .LBB416_113
; %bb.112:
	v_lshlrev_b32_e32 v3, 16, v2
	v_cvt_f16_f32_e32 v3, v3
	global_store_dword v[0:1], v3, off
.LBB416_113:
	s_mov_b64 s[12:13], 0
.LBB416_114:
	s_andn2_b64 vcc, exec, s[12:13]
	s_cbranch_vccnz .LBB416_123
; %bb.115:
	s_cmp_lt_i32 s18, 6
	s_mov_b64 s[12:13], -1
	s_cbranch_scc1 .LBB416_121
; %bb.116:
	s_cmp_gt_i32 s18, 6
	s_cbranch_scc0 .LBB416_118
; %bb.117:
	v_lshlrev_b32_e32 v3, 16, v2
	v_cvt_f64_f32_e32 v[6:7], v3
	global_store_dwordx2 v[0:1], v[6:7], off
	s_mov_b64 s[12:13], 0
.LBB416_118:
	s_andn2_b64 vcc, exec, s[12:13]
	s_cbranch_vccnz .LBB416_120
; %bb.119:
	v_lshlrev_b32_e32 v3, 16, v2
	global_store_dword v[0:1], v3, off
.LBB416_120:
	s_mov_b64 s[12:13], 0
.LBB416_121:
	s_andn2_b64 vcc, exec, s[12:13]
	s_cbranch_vccnz .LBB416_123
; %bb.122:
	v_lshlrev_b32_e32 v3, 16, v2
	v_cvt_f16_f32_e32 v3, v3
	global_store_short v[0:1], v3, off
.LBB416_123:
	s_mov_b64 s[12:13], 0
.LBB416_124:
	s_andn2_b64 vcc, exec, s[12:13]
	s_cbranch_vccnz .LBB416_140
; %bb.125:
	s_cmp_lt_i32 s18, 2
	s_mov_b64 s[12:13], -1
	s_cbranch_scc1 .LBB416_135
; %bb.126:
	s_cmp_lt_i32 s18, 3
	s_cbranch_scc1 .LBB416_132
; %bb.127:
	s_cmp_gt_i32 s18, 3
	s_cbranch_scc0 .LBB416_129
; %bb.128:
	v_lshlrev_b32_e32 v3, 16, v2
	v_trunc_f32_e32 v3, v3
	s_mov_b32 s12, 0x2f800000
	v_mul_f32_e64 v5, |v3|, s12
	v_floor_f32_e32 v5, v5
	s_mov_b32 s12, 0xcf800000
	v_cvt_u32_f32_e32 v6, v5
	v_fma_f32 v5, v5, s12, |v3|
	v_cvt_u32_f32_e32 v5, v5
	v_ashrrev_i32_e32 v3, 31, v3
	v_xor_b32_e32 v7, v6, v3
	s_mov_b64 s[12:13], 0
	v_xor_b32_e32 v5, v5, v3
	v_sub_co_u32_e32 v6, vcc, v5, v3
	s_nop 1
	v_subb_co_u32_e32 v7, vcc, v7, v3, vcc
	global_store_dwordx2 v[0:1], v[6:7], off
.LBB416_129:
	s_andn2_b64 vcc, exec, s[12:13]
	s_cbranch_vccnz .LBB416_131
; %bb.130:
	v_lshlrev_b32_e32 v3, 16, v2
	v_cvt_i32_f32_e32 v3, v3
	global_store_dword v[0:1], v3, off
.LBB416_131:
	s_mov_b64 s[12:13], 0
.LBB416_132:
	s_andn2_b64 vcc, exec, s[12:13]
	s_cbranch_vccnz .LBB416_134
; %bb.133:
	v_lshlrev_b32_e32 v3, 16, v2
	v_cvt_i32_f32_e32 v3, v3
	global_store_short v[0:1], v3, off
.LBB416_134:
	s_mov_b64 s[12:13], 0
.LBB416_135:
	s_andn2_b64 vcc, exec, s[12:13]
	s_cbranch_vccnz .LBB416_140
; %bb.136:
	s_mov_b64 s[12:13], -1
	s_cmp_gt_i32 s18, 0
	v_lshlrev_b32_e32 v2, 16, v2
	s_cbranch_scc0 .LBB416_138
; %bb.137:
	v_cvt_i32_f32_e32 v3, v2
	s_mov_b64 s[12:13], 0
	global_store_byte v[0:1], v3, off
.LBB416_138:
	s_andn2_b64 vcc, exec, s[12:13]
	s_cbranch_vccnz .LBB416_140
; %bb.139:
	v_trunc_f32_e32 v2, v2
	s_mov_b32 s12, 0x2f800000
	v_mul_f32_e64 v3, |v2|, s12
	v_floor_f32_e32 v3, v3
	s_mov_b32 s12, 0xcf800000
	v_fma_f32 v3, v3, s12, |v2|
	v_cvt_u32_f32_e32 v3, v3
	v_ashrrev_i32_e32 v2, 31, v2
	v_xor_b32_e32 v3, v3, v2
	v_sub_u32_e32 v2, v3, v2
	global_store_byte v[0:1], v2, off
.LBB416_140:
	s_branch .LBB416_21
.LBB416_141:
	s_mov_b64 s[18:19], 0
                                        ; implicit-def: $vgpr4
	s_branch .LBB416_251
.LBB416_142:
	s_mov_b64 s[14:15], -1
                                        ; implicit-def: $vgpr2
.LBB416_143:
	s_mov_b64 s[12:13], 0
.LBB416_144:
	s_and_b64 vcc, exec, s[12:13]
	s_cbranch_vccz .LBB416_148
; %bb.145:
	s_cmp_eq_u32 s22, 29
	s_cbranch_scc0 .LBB416_147
; %bb.146:
	global_load_dwordx2 v[2:3], v[0:1], off
	s_movk_i32 s12, 0x7fff
	s_mov_b64 s[0:1], -1
	s_mov_b64 s[14:15], 0
	s_waitcnt vmcnt(0)
	v_ffbh_u32_e32 v5, v3
	v_min_u32_e32 v5, 32, v5
	v_lshlrev_b64 v[2:3], v5, v[2:3]
	v_min_u32_e32 v2, 1, v2
	v_or_b32_e32 v2, v3, v2
	v_cvt_f32_u32_e32 v2, v2
	v_sub_u32_e32 v3, 32, v5
	v_ldexp_f32 v2, v2, v3
	v_bfe_u32 v3, v2, 16, 1
	v_add3_u32 v2, v2, v3, s12
	v_lshrrev_b32_e32 v2, 16, v2
	s_branch .LBB416_148
.LBB416_147:
	s_mov_b64 s[14:15], -1
                                        ; implicit-def: $vgpr2
.LBB416_148:
	s_mov_b64 s[12:13], 0
.LBB416_149:
	s_and_b64 vcc, exec, s[12:13]
	s_cbranch_vccz .LBB416_167
; %bb.150:
	s_cmp_lt_i32 s22, 27
	s_cbranch_scc1 .LBB416_153
; %bb.151:
	s_cmp_gt_i32 s22, 27
	s_cbranch_scc0 .LBB416_154
; %bb.152:
	global_load_dword v2, v[0:1], off
	s_movk_i32 s0, 0x7fff
	s_waitcnt vmcnt(0)
	v_cvt_f32_u32_e32 v2, v2
	v_bfe_u32 v3, v2, 16, 1
	v_add3_u32 v2, v2, v3, s0
	v_lshrrev_b32_e32 v2, 16, v2
	s_mov_b64 s[0:1], 0
	s_branch .LBB416_155
.LBB416_153:
	s_mov_b64 s[0:1], -1
                                        ; implicit-def: $vgpr2
	s_branch .LBB416_158
.LBB416_154:
	s_mov_b64 s[0:1], -1
                                        ; implicit-def: $vgpr2
.LBB416_155:
	s_andn2_b64 vcc, exec, s[0:1]
	s_cbranch_vccnz .LBB416_157
; %bb.156:
	global_load_ushort v2, v[0:1], off
	s_movk_i32 s0, 0x7fff
	s_waitcnt vmcnt(0)
	v_cvt_f32_u32_e32 v2, v2
	v_bfe_u32 v3, v2, 16, 1
	v_add3_u32 v2, v2, v3, s0
	v_lshrrev_b32_e32 v2, 16, v2
.LBB416_157:
	s_mov_b64 s[0:1], 0
.LBB416_158:
	s_andn2_b64 vcc, exec, s[0:1]
	s_cbranch_vccnz .LBB416_166
; %bb.159:
	global_load_ubyte v2, v[0:1], off
	s_movk_i32 s0, 0x7f
	s_waitcnt vmcnt(0)
	v_cmp_lt_i16_e32 vcc, s0, v2
	s_mov_b64 s[0:1], 0
	s_and_saveexec_b64 s[12:13], vcc
	s_xor_b64 s[12:13], exec, s[12:13]
	s_cbranch_execz .LBB416_179
; %bb.160:
	s_movk_i32 s0, 0x80
	v_cmp_eq_u16_e32 vcc, s0, v2
	s_mov_b64 s[0:1], -1
	s_and_saveexec_b64 s[18:19], vcc
; %bb.161:
	s_xor_b64 s[0:1], exec, -1
; %bb.162:
	s_or_b64 exec, exec, s[18:19]
	s_and_b64 s[0:1], s[0:1], exec
	s_or_saveexec_b64 s[12:13], s[12:13]
	v_mov_b32_e32 v3, 0x7f800001
	s_xor_b64 exec, exec, s[12:13]
	s_cbranch_execnz .LBB416_180
.LBB416_163:
	s_or_b64 exec, exec, s[12:13]
	s_and_saveexec_b64 s[12:13], s[0:1]
	s_cbranch_execz .LBB416_165
.LBB416_164:
	v_lshlrev_b32_e32 v3, 24, v2
	v_and_b32_e32 v2, 0xffff, v2
	v_and_b32_e32 v5, 7, v2
	v_ffbh_u32_e32 v7, v5
	v_min_u32_e32 v7, 32, v7
	v_subrev_u32_e32 v8, 28, v7
	v_bfe_u32 v6, v2, 3, 4
	v_lshlrev_b32_e32 v2, v8, v2
	v_sub_u32_e32 v7, 29, v7
	v_and_b32_e32 v2, 7, v2
	v_cmp_eq_u32_e32 vcc, 0, v6
	v_and_b32_e32 v3, 0x80000000, v3
	s_nop 0
	v_cndmask_b32_e32 v6, v6, v7, vcc
	v_cndmask_b32_e32 v2, v5, v2, vcc
	v_mov_b32_e32 v5, 0x3b800000
	v_lshlrev_b32_e32 v2, 20, v2
	v_lshl_add_u32 v5, v6, 23, v5
	v_or3_b32 v3, v3, v5, v2
.LBB416_165:
	s_or_b64 exec, exec, s[12:13]
	v_bfe_u32 v2, v3, 16, 1
	s_movk_i32 s0, 0x7fff
	v_add3_u32 v2, v3, v2, s0
	v_cmp_o_f32_e32 vcc, v3, v3
	v_mov_b32_e32 v3, 0x7fc0
	s_nop 0
	v_cndmask_b32_sdwa v2, v3, v2, vcc dst_sel:DWORD dst_unused:UNUSED_PAD src0_sel:DWORD src1_sel:WORD_1
.LBB416_166:
	s_mov_b64 s[0:1], -1
.LBB416_167:
	s_branch .LBB416_202
.LBB416_168:
	s_cmp_gt_i32 s22, 22
	s_cbranch_scc0 .LBB416_178
; %bb.169:
	s_cmp_lt_i32 s22, 24
	s_cbranch_scc1 .LBB416_181
; %bb.170:
	s_cmp_gt_i32 s22, 24
	s_cbranch_scc0 .LBB416_182
; %bb.171:
	global_load_ubyte v2, v[0:1], off
	s_movk_i32 s0, 0x7f
	s_waitcnt vmcnt(0)
	v_cmp_lt_i16_e32 vcc, s0, v2
	s_mov_b64 s[0:1], 0
	s_and_saveexec_b64 s[12:13], vcc
	s_xor_b64 s[12:13], exec, s[12:13]
	s_cbranch_execz .LBB416_194
; %bb.172:
	s_movk_i32 s0, 0x80
	v_cmp_eq_u16_e32 vcc, s0, v2
	s_mov_b64 s[0:1], -1
	s_and_saveexec_b64 s[18:19], vcc
; %bb.173:
	s_xor_b64 s[0:1], exec, -1
; %bb.174:
	s_or_b64 exec, exec, s[18:19]
	s_and_b64 s[0:1], s[0:1], exec
	s_or_saveexec_b64 s[12:13], s[12:13]
	v_mov_b32_e32 v3, 0x7f800001
	s_xor_b64 exec, exec, s[12:13]
	s_cbranch_execnz .LBB416_195
.LBB416_175:
	s_or_b64 exec, exec, s[12:13]
	s_and_saveexec_b64 s[12:13], s[0:1]
	s_cbranch_execz .LBB416_177
.LBB416_176:
	v_lshlrev_b32_e32 v3, 24, v2
	v_and_b32_e32 v2, 0xffff, v2
	v_and_b32_e32 v5, 3, v2
	v_ffbh_u32_e32 v7, v5
	v_min_u32_e32 v7, 32, v7
	v_subrev_u32_e32 v8, 29, v7
	v_bfe_u32 v6, v2, 2, 5
	v_lshlrev_b32_e32 v2, v8, v2
	v_sub_u32_e32 v7, 30, v7
	v_and_b32_e32 v2, 3, v2
	v_cmp_eq_u32_e32 vcc, 0, v6
	v_and_b32_e32 v3, 0x80000000, v3
	s_nop 0
	v_cndmask_b32_e32 v6, v6, v7, vcc
	v_cndmask_b32_e32 v2, v5, v2, vcc
	v_mov_b32_e32 v5, 0x37800000
	v_lshlrev_b32_e32 v2, 21, v2
	v_lshl_add_u32 v5, v6, 23, v5
	v_or3_b32 v3, v3, v5, v2
.LBB416_177:
	s_or_b64 exec, exec, s[12:13]
	v_bfe_u32 v2, v3, 16, 1
	s_movk_i32 s0, 0x7fff
	v_add3_u32 v2, v3, v2, s0
	v_cmp_o_f32_e32 vcc, v3, v3
	v_mov_b32_e32 v3, 0x7fc0
	s_mov_b64 s[0:1], 0
	v_cndmask_b32_sdwa v2, v3, v2, vcc dst_sel:DWORD dst_unused:UNUSED_PAD src0_sel:DWORD src1_sel:WORD_1
	s_branch .LBB416_183
.LBB416_178:
	s_mov_b64 s[12:13], -1
                                        ; implicit-def: $vgpr2
	s_branch .LBB416_189
.LBB416_179:
	s_or_saveexec_b64 s[12:13], s[12:13]
	v_mov_b32_e32 v3, 0x7f800001
	s_xor_b64 exec, exec, s[12:13]
	s_cbranch_execz .LBB416_163
.LBB416_180:
	v_cmp_ne_u16_e32 vcc, 0, v2
	s_andn2_b64 s[0:1], s[0:1], exec
	s_and_b64 s[18:19], vcc, exec
	v_mov_b32_e32 v3, 0
	s_or_b64 s[0:1], s[0:1], s[18:19]
	s_or_b64 exec, exec, s[12:13]
	s_and_saveexec_b64 s[12:13], s[0:1]
	s_cbranch_execnz .LBB416_164
	s_branch .LBB416_165
.LBB416_181:
	s_mov_b64 s[0:1], -1
                                        ; implicit-def: $vgpr2
	s_branch .LBB416_186
.LBB416_182:
	s_mov_b64 s[0:1], -1
                                        ; implicit-def: $vgpr2
.LBB416_183:
	s_and_b64 vcc, exec, s[0:1]
	s_cbranch_vccz .LBB416_185
; %bb.184:
	global_load_ubyte v2, v[0:1], off
	s_mov_b32 s0, 0x7f800000
	s_brev_b32 s1, 1
	s_movk_i32 s12, 0x7fff
	s_waitcnt vmcnt(0)
	v_lshlrev_b32_e32 v2, 24, v2
	v_and_b32_e32 v3, 0x7f000000, v2
	v_ffbh_u32_e32 v5, v3
	v_min_u32_e32 v5, 32, v5
	v_sub_u32_e64 v5, v5, 4 clamp
	v_lshlrev_b32_e32 v7, v5, v3
	v_lshlrev_b32_e32 v5, 23, v5
	v_lshrrev_b32_e32 v7, 4, v7
	v_add_u32_e32 v6, 0x1000000, v3
	v_sub_u32_e32 v5, v7, v5
	v_ashrrev_i32_e32 v6, 8, v6
	v_add_u32_e32 v5, 0x3c000000, v5
	v_and_or_b32 v5, v6, s0, v5
	v_cmp_ne_u32_e32 vcc, 0, v3
	s_nop 1
	v_cndmask_b32_e32 v3, 0, v5, vcc
	v_and_or_b32 v2, v2, s1, v3
	v_bfe_u32 v3, v3, 16, 1
	v_add3_u32 v3, v2, v3, s12
	v_cmp_o_f32_e32 vcc, v2, v2
	v_mov_b32_e32 v2, 0x7fc0
	s_nop 0
	v_cndmask_b32_sdwa v2, v2, v3, vcc dst_sel:DWORD dst_unused:UNUSED_PAD src0_sel:DWORD src1_sel:WORD_1
.LBB416_185:
	s_mov_b64 s[0:1], 0
.LBB416_186:
	s_andn2_b64 vcc, exec, s[0:1]
	s_cbranch_vccnz .LBB416_188
; %bb.187:
	global_load_ubyte v2, v[0:1], off
	s_movk_i32 s0, 0x7f00
	s_brev_b32 s1, 16
	s_brev_b32 s12, 1
	s_movk_i32 s13, 0x7fff
	s_waitcnt vmcnt(0)
	v_lshlrev_b16_e32 v3, 8, v2
	v_lshlrev_b32_e32 v2, 25, v2
	v_lshrrev_b32_e32 v5, 4, v2
	v_and_or_b32 v6, v3, s0, 0.5
	v_or_b32_e32 v5, 0x70000000, v5
	v_add_f32_e32 v6, -0.5, v6
	v_mul_f32_e32 v5, 0x7800000, v5
	v_cmp_gt_u32_e32 vcc, s1, v2
	v_bfe_i32 v3, v3, 0, 16
	s_nop 0
	v_cndmask_b32_e32 v2, v5, v6, vcc
	v_and_or_b32 v3, v3, s12, v2
	v_bfe_u32 v2, v2, 16, 1
	v_add3_u32 v2, v3, v2, s13
	v_cmp_o_f32_e32 vcc, v3, v3
	v_mov_b32_e32 v3, 0x7fc0
	s_nop 0
	v_cndmask_b32_sdwa v2, v3, v2, vcc dst_sel:DWORD dst_unused:UNUSED_PAD src0_sel:DWORD src1_sel:WORD_1
.LBB416_188:
	s_mov_b64 s[12:13], 0
	s_mov_b64 s[0:1], -1
.LBB416_189:
	s_andn2_b64 vcc, exec, s[12:13]
	s_cbranch_vccnz .LBB416_202
; %bb.190:
	s_cmp_gt_i32 s22, 14
	s_cbranch_scc0 .LBB416_193
; %bb.191:
	s_cmp_eq_u32 s22, 15
	s_cbranch_scc0 .LBB416_196
; %bb.192:
	global_load_ushort v2, v[0:1], off
	s_mov_b64 s[0:1], -1
	s_mov_b64 s[14:15], 0
	s_branch .LBB416_197
.LBB416_193:
	s_mov_b64 s[12:13], -1
                                        ; implicit-def: $vgpr2
	s_branch .LBB416_198
.LBB416_194:
	s_or_saveexec_b64 s[12:13], s[12:13]
	v_mov_b32_e32 v3, 0x7f800001
	s_xor_b64 exec, exec, s[12:13]
	s_cbranch_execz .LBB416_175
.LBB416_195:
	v_cmp_ne_u16_e32 vcc, 0, v2
	s_andn2_b64 s[0:1], s[0:1], exec
	s_and_b64 s[18:19], vcc, exec
	v_mov_b32_e32 v3, 0
	s_or_b64 s[0:1], s[0:1], s[18:19]
	s_or_b64 exec, exec, s[12:13]
	s_and_saveexec_b64 s[12:13], s[0:1]
	s_cbranch_execnz .LBB416_176
	s_branch .LBB416_177
.LBB416_196:
	s_mov_b64 s[14:15], -1
                                        ; implicit-def: $vgpr2
.LBB416_197:
	s_mov_b64 s[12:13], 0
.LBB416_198:
	s_and_b64 vcc, exec, s[12:13]
	s_cbranch_vccz .LBB416_202
; %bb.199:
	s_cmp_eq_u32 s22, 11
	s_cbranch_scc0 .LBB416_201
; %bb.200:
	global_load_ubyte v2, v[0:1], off
	s_mov_b64 s[0:1], -1
	s_mov_b64 s[14:15], 0
	s_waitcnt vmcnt(0)
	v_cmp_ne_u16_e32 vcc, 0, v2
	s_nop 1
	v_cndmask_b32_e64 v2, 0, 1.0, vcc
	v_lshrrev_b32_e32 v2, 16, v2
	s_branch .LBB416_202
.LBB416_201:
	s_mov_b64 s[14:15], -1
                                        ; implicit-def: $vgpr2
.LBB416_202:
	s_branch .LBB416_10
.LBB416_203:
	s_cmp_lt_i32 s22, 5
	s_cbranch_scc1 .LBB416_208
; %bb.204:
	s_cmp_lt_i32 s22, 8
	s_cbranch_scc1 .LBB416_209
; %bb.205:
	s_cmp_lt_i32 s22, 9
	s_cbranch_scc1 .LBB416_210
; %bb.206:
	s_cmp_gt_i32 s22, 9
	s_cbranch_scc0 .LBB416_211
; %bb.207:
	global_load_dwordx2 v[2:3], v[0:1], off
	s_movk_i32 s0, 0x7fff
	v_mov_b32_e32 v5, 0x7fc0
	s_waitcnt vmcnt(0)
	v_cvt_f32_f64_e32 v2, v[2:3]
	v_bfe_u32 v3, v2, 16, 1
	v_cmp_o_f32_e32 vcc, v2, v2
	v_add3_u32 v2, v2, v3, s0
	s_mov_b64 s[0:1], 0
	v_cndmask_b32_sdwa v2, v5, v2, vcc dst_sel:DWORD dst_unused:UNUSED_PAD src0_sel:DWORD src1_sel:WORD_1
	s_branch .LBB416_212
.LBB416_208:
                                        ; implicit-def: $vgpr2
	s_branch .LBB416_230
.LBB416_209:
	s_mov_b64 s[0:1], -1
                                        ; implicit-def: $vgpr2
	s_branch .LBB416_218
.LBB416_210:
	s_mov_b64 s[0:1], -1
                                        ; implicit-def: $vgpr2
	s_branch .LBB416_215
.LBB416_211:
	s_mov_b64 s[0:1], -1
                                        ; implicit-def: $vgpr2
.LBB416_212:
	s_andn2_b64 vcc, exec, s[0:1]
	s_cbranch_vccnz .LBB416_214
; %bb.213:
	global_load_dword v2, v[0:1], off
	s_movk_i32 s0, 0x7fff
	v_mov_b32_e32 v3, 0x7fc0
	s_waitcnt vmcnt(0)
	v_bfe_u32 v5, v2, 16, 1
	v_cmp_o_f32_e32 vcc, v2, v2
	v_add3_u32 v2, v2, v5, s0
	s_nop 0
	v_cndmask_b32_sdwa v2, v3, v2, vcc dst_sel:DWORD dst_unused:UNUSED_PAD src0_sel:DWORD src1_sel:WORD_1
.LBB416_214:
	s_mov_b64 s[0:1], 0
.LBB416_215:
	s_andn2_b64 vcc, exec, s[0:1]
	s_cbranch_vccnz .LBB416_217
; %bb.216:
	global_load_dword v2, v[0:1], off
	s_movk_i32 s0, 0x7fff
	v_mov_b32_e32 v5, 0x7fc0
	s_waitcnt vmcnt(0)
	v_cvt_f32_f16_e32 v3, v2
	v_cmp_o_f16_e32 vcc, v2, v2
	v_bfe_u32 v2, v3, 16, 1
	v_add3_u32 v2, v3, v2, s0
	v_cndmask_b32_sdwa v2, v5, v2, vcc dst_sel:DWORD dst_unused:UNUSED_PAD src0_sel:DWORD src1_sel:WORD_1
.LBB416_217:
	s_mov_b64 s[0:1], 0
.LBB416_218:
	s_andn2_b64 vcc, exec, s[0:1]
	s_cbranch_vccnz .LBB416_229
; %bb.219:
	s_cmp_lt_i32 s22, 6
	s_cbranch_scc1 .LBB416_222
; %bb.220:
	s_cmp_gt_i32 s22, 6
	s_cbranch_scc0 .LBB416_223
; %bb.221:
	global_load_dwordx2 v[2:3], v[0:1], off
	s_movk_i32 s0, 0x7fff
	v_mov_b32_e32 v5, 0x7fc0
	s_waitcnt vmcnt(0)
	v_cvt_f32_f64_e32 v2, v[2:3]
	v_bfe_u32 v3, v2, 16, 1
	v_cmp_o_f32_e32 vcc, v2, v2
	v_add3_u32 v2, v2, v3, s0
	s_mov_b64 s[0:1], 0
	v_cndmask_b32_sdwa v2, v5, v2, vcc dst_sel:DWORD dst_unused:UNUSED_PAD src0_sel:DWORD src1_sel:WORD_1
	s_branch .LBB416_224
.LBB416_222:
	s_mov_b64 s[0:1], -1
                                        ; implicit-def: $vgpr2
	s_branch .LBB416_227
.LBB416_223:
	s_mov_b64 s[0:1], -1
                                        ; implicit-def: $vgpr2
.LBB416_224:
	s_andn2_b64 vcc, exec, s[0:1]
	s_cbranch_vccnz .LBB416_226
; %bb.225:
	global_load_dword v2, v[0:1], off
	s_movk_i32 s0, 0x7fff
	v_mov_b32_e32 v3, 0x7fc0
	s_waitcnt vmcnt(0)
	v_bfe_u32 v5, v2, 16, 1
	v_cmp_o_f32_e32 vcc, v2, v2
	v_add3_u32 v2, v2, v5, s0
	s_nop 0
	v_cndmask_b32_sdwa v2, v3, v2, vcc dst_sel:DWORD dst_unused:UNUSED_PAD src0_sel:DWORD src1_sel:WORD_1
.LBB416_226:
	s_mov_b64 s[0:1], 0
.LBB416_227:
	s_andn2_b64 vcc, exec, s[0:1]
	s_cbranch_vccnz .LBB416_229
; %bb.228:
	global_load_ushort v2, v[0:1], off
	s_movk_i32 s0, 0x7fff
	v_mov_b32_e32 v5, 0x7fc0
	s_waitcnt vmcnt(0)
	v_cvt_f32_f16_e32 v3, v2
	v_cmp_o_f16_e32 vcc, v2, v2
	v_bfe_u32 v2, v3, 16, 1
	v_add3_u32 v2, v3, v2, s0
	v_cndmask_b32_sdwa v2, v5, v2, vcc dst_sel:DWORD dst_unused:UNUSED_PAD src0_sel:DWORD src1_sel:WORD_1
.LBB416_229:
	s_cbranch_execnz .LBB416_249
.LBB416_230:
	s_cmp_lt_i32 s22, 2
	s_cbranch_scc1 .LBB416_234
; %bb.231:
	s_cmp_lt_i32 s22, 3
	s_cbranch_scc1 .LBB416_235
; %bb.232:
	s_cmp_gt_i32 s22, 3
	s_cbranch_scc0 .LBB416_236
; %bb.233:
	global_load_dwordx2 v[2:3], v[0:1], off
	s_movk_i32 s0, 0x7fff
	s_waitcnt vmcnt(0)
	v_xor_b32_e32 v6, v2, v3
	v_ffbh_i32_e32 v5, v3
	v_ashrrev_i32_e32 v6, 31, v6
	v_add_u32_e32 v5, -1, v5
	v_add_u32_e32 v6, 32, v6
	v_min_u32_e32 v5, v5, v6
	v_lshlrev_b64 v[2:3], v5, v[2:3]
	v_min_u32_e32 v2, 1, v2
	v_or_b32_e32 v2, v3, v2
	v_cvt_f32_i32_e32 v2, v2
	v_sub_u32_e32 v3, 32, v5
	v_ldexp_f32 v2, v2, v3
	v_bfe_u32 v3, v2, 16, 1
	v_add3_u32 v2, v2, v3, s0
	v_lshrrev_b32_e32 v2, 16, v2
	s_mov_b64 s[0:1], 0
	s_branch .LBB416_237
.LBB416_234:
	s_mov_b64 s[0:1], -1
                                        ; implicit-def: $vgpr2
	s_branch .LBB416_243
.LBB416_235:
	s_mov_b64 s[0:1], -1
                                        ; implicit-def: $vgpr2
	s_branch .LBB416_240
.LBB416_236:
	s_mov_b64 s[0:1], -1
                                        ; implicit-def: $vgpr2
.LBB416_237:
	s_andn2_b64 vcc, exec, s[0:1]
	s_cbranch_vccnz .LBB416_239
; %bb.238:
	global_load_dword v2, v[0:1], off
	s_movk_i32 s0, 0x7fff
	s_waitcnt vmcnt(0)
	v_cvt_f32_i32_e32 v2, v2
	v_bfe_u32 v3, v2, 16, 1
	v_add3_u32 v2, v2, v3, s0
	v_lshrrev_b32_e32 v2, 16, v2
.LBB416_239:
	s_mov_b64 s[0:1], 0
.LBB416_240:
	s_andn2_b64 vcc, exec, s[0:1]
	s_cbranch_vccnz .LBB416_242
; %bb.241:
	global_load_sshort v2, v[0:1], off
	s_movk_i32 s0, 0x7fff
	s_waitcnt vmcnt(0)
	v_cvt_f32_i32_e32 v2, v2
	v_bfe_u32 v3, v2, 16, 1
	v_add3_u32 v2, v2, v3, s0
	v_lshrrev_b32_e32 v2, 16, v2
.LBB416_242:
	s_mov_b64 s[0:1], 0
.LBB416_243:
	s_andn2_b64 vcc, exec, s[0:1]
	s_cbranch_vccnz .LBB416_249
; %bb.244:
	s_cmp_gt_i32 s22, 0
	s_cbranch_scc0 .LBB416_246
; %bb.245:
	global_load_sbyte v2, v[0:1], off
	s_movk_i32 s0, 0x7fff
	s_waitcnt vmcnt(0)
	v_cvt_f32_i32_e32 v2, v2
	v_bfe_u32 v3, v2, 16, 1
	v_add3_u32 v2, v2, v3, s0
	v_lshrrev_b32_e32 v2, 16, v2
	s_mov_b64 s[0:1], 0
	s_branch .LBB416_247
.LBB416_246:
	s_mov_b64 s[0:1], -1
                                        ; implicit-def: $vgpr2
.LBB416_247:
	s_andn2_b64 vcc, exec, s[0:1]
	s_cbranch_vccnz .LBB416_249
; %bb.248:
	global_load_ubyte v0, v[0:1], off
	s_movk_i32 s0, 0x7fff
	s_waitcnt vmcnt(0)
	v_cvt_f32_ubyte0_e32 v0, v0
	v_bfe_u32 v1, v0, 16, 1
	v_add3_u32 v0, v0, v1, s0
	v_lshrrev_b32_e32 v2, 16, v0
.LBB416_249:
	s_branch .LBB416_11
.LBB416_250:
	s_mov_b64 s[0:1], 0
                                        ; implicit-def: $vgpr4
	s_mov_b64 s[18:19], 0
.LBB416_251:
	s_and_b64 s[12:13], s[0:1], exec
	s_and_b64 s[14:15], s[14:15], exec
	s_orn2_b64 s[18:19], s[18:19], exec
.LBB416_252:
	s_or_b64 exec, exec, s[16:17]
	s_mov_b64 s[22:23], 0
	s_mov_b64 s[0:1], 0
                                        ; implicit-def: $vgpr0_vgpr1
                                        ; implicit-def: $vgpr3
	s_and_saveexec_b64 s[16:17], s[18:19]
	s_cbranch_execz .LBB416_261
; %bb.253:
	v_cmp_gt_i32_e32 vcc, s38, v4
	s_mov_b64 s[0:1], -1
	s_mov_b64 s[18:19], s[14:15]
	s_mov_b64 s[20:21], s[12:13]
	s_and_saveexec_b64 s[22:23], vcc
	s_cbranch_execz .LBB416_514
; %bb.254:
	v_mul_lo_u32 v0, v4, s9
	v_ashrrev_i32_e32 v1, 31, v0
	s_and_b32 s26, 0xffff, s43
	s_cmp_lt_i32 s26, 11
	v_lshl_add_u64 v[0:1], s[6:7], 0, v[0:1]
	s_cbranch_scc1 .LBB416_264
; %bb.255:
	s_cmp_gt_i32 s26, 25
	s_cbranch_scc0 .LBB416_273
; %bb.256:
	s_cmp_gt_i32 s26, 28
	s_cbranch_scc0 .LBB416_275
	;; [unrolled: 3-line block ×4, first 2 shown]
; %bb.259:
	s_cmp_eq_u32 s26, 46
	s_mov_b64 s[20:21], 0
	s_cbranch_scc0 .LBB416_285
; %bb.260:
	global_load_dword v2, v[0:1], off
	s_mov_b64 s[18:19], 0
	s_branch .LBB416_286
.LBB416_261:
	s_or_b64 exec, exec, s[16:17]
	s_mov_b64 s[16:17], 0
	s_and_saveexec_b64 s[18:19], s[14:15]
	s_cbranch_execnz .LBB416_861
.LBB416_262:
	s_or_b64 exec, exec, s[18:19]
	s_and_saveexec_b64 s[14:15], s[20:21]
	s_xor_b64 s[14:15], exec, s[14:15]
	s_cbranch_execz .LBB416_862
.LBB416_263:
	global_load_ubyte v2, v[0:1], off
	s_or_b64 s[0:1], s[0:1], exec
	s_waitcnt vmcnt(0)
	v_cmp_ne_u16_e32 vcc, 0, v2
	s_nop 1
	v_cndmask_b32_e64 v2, 0, 1.0, vcc
	v_lshrrev_b32_e32 v3, 16, v2
	s_or_b64 exec, exec, s[14:15]
	s_and_saveexec_b64 s[14:15], s[22:23]
	s_cbranch_execz .LBB416_908
	s_branch .LBB416_863
.LBB416_264:
	s_mov_b64 s[0:1], 0
                                        ; implicit-def: $vgpr2
	s_mov_b64 s[18:19], s[14:15]
	s_cbranch_execnz .LBB416_463
.LBB416_265:
	s_andn2_b64 vcc, exec, s[0:1]
	s_cbranch_vccnz .LBB416_511
.LBB416_266:
	s_waitcnt vmcnt(0)
	v_lshlrev_b32_e32 v0, 16, v2
	v_cmp_u_f32_e32 vcc, v0, v0
	v_cmp_lt_f32_e64 s[0:1], s44, v0
	v_mov_b32_e32 v0, s33
	s_or_b64 vcc, vcc, s[0:1]
	v_cndmask_b32_e32 v2, v0, v2, vcc
	v_mul_lo_u32 v0, v4, s8
	v_ashrrev_i32_e32 v1, 31, v0
	s_and_b32 s28, s42, 0xff
	s_cmp_lt_i32 s28, 11
	v_lshl_add_u64 v[0:1], s[4:5], 0, v[0:1]
	s_cbranch_scc1 .LBB416_274
; %bb.267:
	s_and_b32 s29, 0xffff, s28
	s_cmp_gt_i32 s29, 25
	s_cbranch_scc0 .LBB416_276
; %bb.268:
	s_cmp_gt_i32 s29, 28
	s_cbranch_scc0 .LBB416_278
; %bb.269:
	;; [unrolled: 3-line block ×4, first 2 shown]
	s_mov_b64 s[24:25], 0
	s_mov_b64 s[0:1], -1
	s_cmp_eq_u32 s29, 46
	s_mov_b64 s[20:21], 0
	s_cbranch_scc0 .LBB416_290
; %bb.272:
	v_and_b32_e32 v3, 0xffff, v2
	global_store_dword v[0:1], v3, off
	s_mov_b64 s[20:21], -1
	s_mov_b64 s[0:1], 0
	s_branch .LBB416_290
.LBB416_273:
	s_mov_b64 s[20:21], -1
	s_mov_b64 s[0:1], 0
	s_mov_b64 s[18:19], s[14:15]
                                        ; implicit-def: $vgpr2
	s_branch .LBB416_427
.LBB416_274:
	s_mov_b64 s[24:25], -1
	s_mov_b64 s[20:21], 0
	s_mov_b64 s[0:1], s[12:13]
	s_branch .LBB416_359
.LBB416_275:
	s_mov_b64 s[20:21], -1
	s_mov_b64 s[0:1], 0
	s_mov_b64 s[18:19], s[14:15]
                                        ; implicit-def: $vgpr2
	s_branch .LBB416_408
.LBB416_276:
	s_mov_b64 s[24:25], -1
	s_mov_b64 s[20:21], 0
	s_mov_b64 s[0:1], s[12:13]
	s_branch .LBB416_317
.LBB416_277:
	s_mov_b64 s[20:21], -1
	s_mov_b64 s[0:1], 0
	s_mov_b64 s[18:19], s[14:15]
                                        ; implicit-def: $vgpr2
	s_branch .LBB416_403
.LBB416_278:
	s_mov_b64 s[24:25], -1
	s_mov_b64 s[20:21], 0
	s_mov_b64 s[0:1], s[12:13]
	s_branch .LBB416_300
.LBB416_279:
	s_andn2_saveexec_b64 s[22:23], s[22:23]
	s_cbranch_execz .LBB416_55
.LBB416_280:
	s_mov_b32 s26, 0x46000000
	v_add_f32_e64 v5, |v6|, s26
	v_and_b32_e32 v5, 0xff, v5
	v_cmp_ne_u32_e32 vcc, 0, v5
	s_andn2_b64 s[18:19], s[18:19], exec
	s_and_b64 s[26:27], vcc, exec
	s_or_b64 s[18:19], s[18:19], s[26:27]
	s_or_b64 exec, exec, s[22:23]
	v_mov_b32_e32 v7, 0
	s_and_saveexec_b64 s[22:23], s[18:19]
	s_cbranch_execnz .LBB416_56
	s_branch .LBB416_57
.LBB416_281:
	s_mov_b64 s[20:21], -1
	s_mov_b64 s[0:1], 0
	s_mov_b64 s[18:19], s[14:15]
                                        ; implicit-def: $vgpr2
	s_branch .LBB416_286
.LBB416_282:
	s_mov_b64 s[24:25], -1
	s_mov_b64 s[20:21], 0
	s_mov_b64 s[0:1], s[12:13]
	s_branch .LBB416_296
.LBB416_283:
	s_andn2_saveexec_b64 s[22:23], s[22:23]
	s_cbranch_execz .LBB416_68
.LBB416_284:
	s_mov_b32 s26, 0x42800000
	v_add_f32_e64 v5, |v6|, s26
	v_and_b32_e32 v5, 0xff, v5
	v_cmp_ne_u32_e32 vcc, 0, v5
	s_andn2_b64 s[18:19], s[18:19], exec
	s_and_b64 s[26:27], vcc, exec
	s_or_b64 s[18:19], s[18:19], s[26:27]
	s_or_b64 exec, exec, s[22:23]
	v_mov_b32_e32 v7, 0
	s_and_saveexec_b64 s[22:23], s[18:19]
	s_cbranch_execnz .LBB416_69
	s_branch .LBB416_70
.LBB416_285:
	s_mov_b64 s[18:19], -1
                                        ; implicit-def: $vgpr2
	s_mov_b64 s[0:1], 0
.LBB416_286:
	s_and_b64 vcc, exec, s[20:21]
	s_cbranch_vccz .LBB416_402
; %bb.287:
	s_cmp_eq_u32 s26, 44
	s_cbranch_scc0 .LBB416_401
; %bb.288:
	global_load_ubyte v2, v[0:1], off
	s_movk_i32 s18, 0xff
	v_mov_b32_e32 v3, 0x7f800001
	v_mov_b32_e32 v5, 0x400000
	;; [unrolled: 1-line block ×3, first 2 shown]
	s_mov_b64 s[0:1], -1
	s_waitcnt vmcnt(0)
	v_lshlrev_b32_e32 v7, 23, v2
	v_cmp_ne_u32_e32 vcc, s18, v2
	s_mov_b64 s[18:19], 0
	s_nop 0
	v_cndmask_b32_e32 v3, v3, v7, vcc
	v_cmp_ne_u32_e32 vcc, 0, v2
	s_nop 1
	v_cndmask_b32_e32 v2, v5, v3, vcc
	v_add_u32_e32 v3, 0x7fff, v2
	v_cmp_o_f32_e32 vcc, v2, v2
	s_nop 1
	v_cndmask_b32_sdwa v2, v6, v3, vcc dst_sel:DWORD dst_unused:UNUSED_PAD src0_sel:DWORD src1_sel:WORD_1
	s_branch .LBB416_402
.LBB416_289:
	s_mov_b64 s[24:25], -1
	s_mov_b64 s[20:21], 0
	s_mov_b64 s[0:1], s[12:13]
.LBB416_290:
	s_and_b64 vcc, exec, s[24:25]
	s_cbranch_vccz .LBB416_295
; %bb.291:
	s_cmp_eq_u32 s29, 44
	s_mov_b64 s[0:1], -1
	s_cbranch_scc0 .LBB416_295
; %bb.292:
	v_and_b32_e32 v5, 0xffff, v2
	v_bfe_u32 v3, v5, 7, 8
	s_movk_i32 s0, 0xff
	v_cmp_ne_u32_e32 vcc, s0, v3
	v_mov_b32_e32 v6, 0xff
	s_and_saveexec_b64 s[20:21], vcc
	s_cbranch_execz .LBB416_294
; %bb.293:
	v_lshlrev_b32_e32 v7, 16, v5
	s_mov_b32 s0, 0x3f0000
	v_lshrrev_b32_e32 v6, 7, v5
	v_and_b32_e32 v5, 64, v5
	v_and_or_b32 v3, v7, s0, v3
	v_cmp_ne_u32_e32 vcc, 0, v5
	v_cmp_ne_u32_e64 s[0:1], 0, v3
	s_and_b64 s[0:1], vcc, s[0:1]
	s_nop 0
	v_cndmask_b32_e64 v3, 0, 1, s[0:1]
	v_add_u32_e32 v6, v6, v3
.LBB416_294:
	s_or_b64 exec, exec, s[20:21]
	s_mov_b64 s[20:21], -1
	s_mov_b64 s[0:1], 0
	global_store_byte v[0:1], v6, off
.LBB416_295:
	s_mov_b64 s[24:25], 0
.LBB416_296:
	s_and_b64 vcc, exec, s[24:25]
	s_cbranch_vccz .LBB416_299
; %bb.297:
	s_cmp_eq_u32 s29, 29
	s_mov_b64 s[0:1], -1
	s_cbranch_scc0 .LBB416_299
; %bb.298:
	v_lshlrev_b32_e32 v3, 16, v2
	v_trunc_f32_e32 v3, v3
	v_mul_f32_e32 v5, 0x2f800000, v3
	v_floor_f32_e32 v5, v5
	v_fmamk_f32 v3, v5, 0xcf800000, v3
	v_cvt_u32_f32_e32 v7, v5
	v_cvt_u32_f32_e32 v6, v3
	s_mov_b64 s[20:21], -1
	s_mov_b64 s[0:1], 0
	s_mov_b64 s[24:25], 0
	global_store_dwordx2 v[0:1], v[6:7], off
	s_branch .LBB416_300
.LBB416_299:
	s_mov_b64 s[24:25], 0
.LBB416_300:
	s_and_b64 vcc, exec, s[24:25]
	s_cbranch_vccz .LBB416_316
; %bb.301:
	s_cmp_lt_i32 s29, 27
	s_mov_b64 s[20:21], -1
	s_cbranch_scc1 .LBB416_307
; %bb.302:
	s_cmp_gt_i32 s29, 27
	s_cbranch_scc0 .LBB416_304
; %bb.303:
	v_lshlrev_b32_e32 v3, 16, v2
	v_cvt_u32_f32_e32 v3, v3
	s_mov_b64 s[20:21], 0
	global_store_dword v[0:1], v3, off
.LBB416_304:
	s_andn2_b64 vcc, exec, s[20:21]
	s_cbranch_vccnz .LBB416_306
; %bb.305:
	v_lshlrev_b32_e32 v3, 16, v2
	v_cvt_u32_f32_e32 v3, v3
	global_store_short v[0:1], v3, off
.LBB416_306:
	s_mov_b64 s[20:21], 0
.LBB416_307:
	s_andn2_b64 vcc, exec, s[20:21]
	s_cbranch_vccnz .LBB416_315
; %bb.308:
	v_lshlrev_b32_e32 v6, 16, v2
	v_and_b32_e32 v5, 0x7fffffff, v6
	s_mov_b32 s20, 0x43800000
	v_cmp_gt_u32_e32 vcc, s20, v5
	v_mov_b32_e32 v7, 0x80
	s_and_saveexec_b64 s[20:21], vcc
	s_cbranch_execz .LBB416_314
; %bb.309:
	s_mov_b32 s24, 0x3bffffff
	v_and_b32_e32 v3, 0xffff, v2
	v_cmp_lt_u32_e32 vcc, s24, v5
	s_mov_b64 s[24:25], 0
                                        ; implicit-def: $vgpr5
	s_and_saveexec_b64 s[26:27], vcc
	s_xor_b64 s[26:27], exec, s[26:27]
	s_cbranch_execz .LBB416_527
; %bb.310:
	v_bfe_u32 v5, v3, 4, 1
	s_mov_b32 s30, 0x487ffff
	v_add3_u32 v5, v6, v5, s30
	s_mov_b64 s[24:25], exec
	v_lshrrev_b32_e32 v5, 20, v5
                                        ; implicit-def: $vgpr6
	s_andn2_saveexec_b64 s[26:27], s[26:27]
	s_cbranch_execnz .LBB416_528
.LBB416_311:
	s_or_b64 exec, exec, s[26:27]
	v_mov_b32_e32 v7, 0
	s_and_saveexec_b64 s[26:27], s[24:25]
.LBB416_312:
	v_lshrrev_b32_e32 v3, 8, v3
	s_movk_i32 s24, 0x80
	v_and_or_b32 v7, v3, s24, v5
.LBB416_313:
	s_or_b64 exec, exec, s[26:27]
.LBB416_314:
	s_or_b64 exec, exec, s[20:21]
	global_store_byte v[0:1], v7, off
.LBB416_315:
	s_mov_b64 s[20:21], -1
.LBB416_316:
	s_mov_b64 s[24:25], 0
.LBB416_317:
	s_and_b64 vcc, exec, s[24:25]
	s_cbranch_vccz .LBB416_358
; %bb.318:
	s_cmp_gt_i32 s29, 22
	s_mov_b64 s[24:25], -1
	s_cbranch_scc0 .LBB416_350
; %bb.319:
	s_cmp_lt_i32 s29, 24
	s_mov_b64 s[20:21], -1
	s_cbranch_scc1 .LBB416_339
; %bb.320:
	s_cmp_gt_i32 s29, 24
	s_cbranch_scc0 .LBB416_328
; %bb.321:
	v_lshlrev_b32_e32 v6, 16, v2
	v_and_b32_e32 v5, 0x7fffffff, v6
	s_mov_b32 s20, 0x47800000
	v_cmp_gt_u32_e32 vcc, s20, v5
	v_mov_b32_e32 v7, 0x80
	s_and_saveexec_b64 s[20:21], vcc
	s_cbranch_execz .LBB416_327
; %bb.322:
	s_mov_b32 s24, 0x37ffffff
	v_and_b32_e32 v3, 0xffff, v2
	v_cmp_lt_u32_e32 vcc, s24, v5
	s_mov_b64 s[24:25], 0
                                        ; implicit-def: $vgpr5
	s_and_saveexec_b64 s[26:27], vcc
	s_xor_b64 s[26:27], exec, s[26:27]
	s_cbranch_execz .LBB416_530
; %bb.323:
	v_bfe_u32 v5, v3, 5, 1
	s_mov_b32 s30, 0x88fffff
	v_add3_u32 v5, v6, v5, s30
	s_mov_b64 s[24:25], exec
	v_lshrrev_b32_e32 v5, 21, v5
                                        ; implicit-def: $vgpr6
	s_andn2_saveexec_b64 s[26:27], s[26:27]
	s_cbranch_execnz .LBB416_531
.LBB416_324:
	s_or_b64 exec, exec, s[26:27]
	v_mov_b32_e32 v7, 0
	s_and_saveexec_b64 s[26:27], s[24:25]
.LBB416_325:
	v_lshrrev_b32_e32 v3, 8, v3
	s_movk_i32 s24, 0x80
	v_and_or_b32 v7, v3, s24, v5
.LBB416_326:
	s_or_b64 exec, exec, s[26:27]
.LBB416_327:
	s_or_b64 exec, exec, s[20:21]
	s_mov_b64 s[20:21], 0
	global_store_byte v[0:1], v7, off
.LBB416_328:
	s_and_b64 vcc, exec, s[20:21]
	s_cbranch_vccz .LBB416_338
; %bb.329:
	v_lshlrev_b32_e32 v6, 16, v2
	v_and_b32_e32 v7, 0x7fffffff, v6
	s_mov_b32 s20, 0x43f00000
	v_and_b32_e32 v3, 0xffff, v2
	v_cmp_gt_u32_e32 vcc, s20, v7
                                        ; implicit-def: $vgpr5
	s_and_saveexec_b64 s[20:21], vcc
	s_xor_b64 s[20:21], exec, s[20:21]
	s_cbranch_execz .LBB416_335
; %bb.330:
	s_mov_b32 s24, 0x3c7fffff
	v_cmp_lt_u32_e32 vcc, s24, v7
                                        ; implicit-def: $vgpr5
	s_and_saveexec_b64 s[24:25], vcc
	s_xor_b64 s[24:25], exec, s[24:25]
; %bb.331:
	v_bfe_u32 v5, v3, 4, 1
	s_mov_b32 s26, 0x407ffff
	v_add3_u32 v5, v6, v5, s26
	v_lshrrev_b32_e32 v6, 20, v5
	v_and_b32_e32 v5, 0xff00000, v5
	s_mov_b32 s26, 0x7f00000
	v_mov_b32_e32 v7, 0x7e
	v_cmp_ne_u32_e32 vcc, s26, v5
	s_nop 1
	v_cndmask_b32_e32 v5, v7, v6, vcc
                                        ; implicit-def: $vgpr6
; %bb.332:
	s_andn2_saveexec_b64 s[24:25], s[24:25]
; %bb.333:
	s_mov_b32 s26, 0x46800000
	v_add_f32_e64 v5, |v6|, s26
; %bb.334:
	s_or_b64 exec, exec, s[24:25]
                                        ; implicit-def: $vgpr7
.LBB416_335:
	s_andn2_saveexec_b64 s[20:21], s[20:21]
; %bb.336:
	s_mov_b32 s24, 0x7f800000
	v_mov_b32_e32 v5, 0x7e
	v_mov_b32_e32 v6, 0x7f
	v_cmp_lt_u32_e32 vcc, s24, v7
	s_nop 1
	v_cndmask_b32_e32 v5, v5, v6, vcc
; %bb.337:
	s_or_b64 exec, exec, s[20:21]
	v_lshrrev_b32_e32 v3, 8, v3
	s_movk_i32 s20, 0x80
	v_and_or_b32 v3, v3, s20, v5
	global_store_byte v[0:1], v3, off
.LBB416_338:
	s_mov_b64 s[20:21], 0
.LBB416_339:
	s_andn2_b64 vcc, exec, s[20:21]
	s_cbranch_vccnz .LBB416_349
; %bb.340:
	v_lshlrev_b32_e32 v6, 16, v2
	v_and_b32_e32 v7, 0x7fffffff, v6
	s_mov_b32 s20, 0x47800000
	v_and_b32_e32 v3, 0xffff, v2
	v_cmp_gt_u32_e32 vcc, s20, v7
                                        ; implicit-def: $vgpr5
	s_and_saveexec_b64 s[20:21], vcc
	s_xor_b64 s[20:21], exec, s[20:21]
	s_cbranch_execz .LBB416_346
; %bb.341:
	s_mov_b32 s24, 0x387fffff
	v_cmp_lt_u32_e32 vcc, s24, v7
                                        ; implicit-def: $vgpr5
	s_and_saveexec_b64 s[24:25], vcc
	s_xor_b64 s[24:25], exec, s[24:25]
; %bb.342:
	v_bfe_u32 v5, v3, 5, 1
	s_mov_b32 s26, 0x80fffff
	v_add3_u32 v5, v6, v5, s26
	v_lshrrev_b32_e32 v5, 21, v5
                                        ; implicit-def: $vgpr6
; %bb.343:
	s_andn2_saveexec_b64 s[24:25], s[24:25]
; %bb.344:
	s_mov_b32 s26, 0x43000000
	v_add_f32_e64 v5, |v6|, s26
; %bb.345:
	s_or_b64 exec, exec, s[24:25]
                                        ; implicit-def: $vgpr7
.LBB416_346:
	s_andn2_saveexec_b64 s[20:21], s[20:21]
; %bb.347:
	s_mov_b32 s24, 0x7f800000
	v_mov_b32_e32 v5, 0x7c
	v_mov_b32_e32 v6, 0x7f
	v_cmp_lt_u32_e32 vcc, s24, v7
	s_nop 1
	v_cndmask_b32_e32 v5, v5, v6, vcc
; %bb.348:
	s_or_b64 exec, exec, s[20:21]
	v_lshrrev_b32_e32 v3, 8, v3
	s_movk_i32 s20, 0x80
	v_and_or_b32 v3, v3, s20, v5
	global_store_byte v[0:1], v3, off
.LBB416_349:
	s_mov_b64 s[24:25], 0
	s_mov_b64 s[20:21], -1
.LBB416_350:
	s_andn2_b64 vcc, exec, s[24:25]
	s_cbranch_vccnz .LBB416_358
; %bb.351:
	s_cmp_gt_i32 s29, 14
	s_mov_b64 s[24:25], -1
	s_cbranch_scc0 .LBB416_355
; %bb.352:
	s_cmp_eq_u32 s29, 15
	s_mov_b64 s[0:1], -1
	s_cbranch_scc0 .LBB416_354
; %bb.353:
	global_store_short v[0:1], v2, off
	s_mov_b64 s[20:21], -1
	s_mov_b64 s[0:1], 0
.LBB416_354:
	s_mov_b64 s[24:25], 0
.LBB416_355:
	s_and_b64 vcc, exec, s[24:25]
	s_cbranch_vccz .LBB416_358
; %bb.356:
	s_cmp_eq_u32 s29, 11
	s_mov_b64 s[0:1], -1
	s_cbranch_scc0 .LBB416_358
; %bb.357:
	v_and_b32_e32 v3, 0x7fff, v2
	v_cmp_ne_u16_e32 vcc, 0, v3
	s_mov_b64 s[20:21], -1
	s_mov_b64 s[0:1], 0
	v_cndmask_b32_e64 v3, 0, 1, vcc
	global_store_byte v[0:1], v3, off
.LBB416_358:
	s_mov_b64 s[24:25], 0
.LBB416_359:
	s_and_b64 vcc, exec, s[24:25]
	s_cbranch_vccz .LBB416_398
; %bb.360:
	s_and_b32 s24, 0xffff, s28
	s_cmp_lt_i32 s24, 5
	s_mov_b64 s[20:21], -1
	s_cbranch_scc1 .LBB416_381
; %bb.361:
	s_cmp_lt_i32 s24, 8
	s_cbranch_scc1 .LBB416_371
; %bb.362:
	s_cmp_lt_i32 s24, 9
	s_cbranch_scc1 .LBB416_368
; %bb.363:
	s_cmp_gt_i32 s24, 9
	s_cbranch_scc0 .LBB416_365
; %bb.364:
	v_lshlrev_b32_e32 v3, 16, v2
	v_mov_b32_e32 v8, 0
	v_cvt_f64_f32_e32 v[6:7], v3
	v_mov_b32_e32 v9, v8
	s_mov_b64 s[20:21], 0
	global_store_dwordx4 v[0:1], v[6:9], off
.LBB416_365:
	s_andn2_b64 vcc, exec, s[20:21]
	s_cbranch_vccnz .LBB416_367
; %bb.366:
	v_lshlrev_b32_e32 v6, 16, v2
	v_mov_b32_e32 v7, 0
	global_store_dwordx2 v[0:1], v[6:7], off
.LBB416_367:
	s_mov_b64 s[20:21], 0
.LBB416_368:
	s_andn2_b64 vcc, exec, s[20:21]
	s_cbranch_vccnz .LBB416_370
; %bb.369:
	v_lshlrev_b32_e32 v3, 16, v2
	v_cvt_f16_f32_e32 v3, v3
	global_store_dword v[0:1], v3, off
.LBB416_370:
	s_mov_b64 s[20:21], 0
.LBB416_371:
	s_andn2_b64 vcc, exec, s[20:21]
	s_cbranch_vccnz .LBB416_380
; %bb.372:
	s_cmp_lt_i32 s24, 6
	s_mov_b64 s[20:21], -1
	s_cbranch_scc1 .LBB416_378
; %bb.373:
	s_cmp_gt_i32 s24, 6
	s_cbranch_scc0 .LBB416_375
; %bb.374:
	v_lshlrev_b32_e32 v3, 16, v2
	v_cvt_f64_f32_e32 v[6:7], v3
	s_mov_b64 s[20:21], 0
	global_store_dwordx2 v[0:1], v[6:7], off
.LBB416_375:
	s_andn2_b64 vcc, exec, s[20:21]
	s_cbranch_vccnz .LBB416_377
; %bb.376:
	v_lshlrev_b32_e32 v3, 16, v2
	global_store_dword v[0:1], v3, off
.LBB416_377:
	s_mov_b64 s[20:21], 0
.LBB416_378:
	s_andn2_b64 vcc, exec, s[20:21]
	s_cbranch_vccnz .LBB416_380
; %bb.379:
	v_lshlrev_b32_e32 v3, 16, v2
	v_cvt_f16_f32_e32 v3, v3
	global_store_short v[0:1], v3, off
.LBB416_380:
	s_mov_b64 s[20:21], 0
.LBB416_381:
	s_andn2_b64 vcc, exec, s[20:21]
	s_cbranch_vccnz .LBB416_397
; %bb.382:
	s_cmp_lt_i32 s24, 2
	s_mov_b64 s[20:21], -1
	s_cbranch_scc1 .LBB416_392
; %bb.383:
	s_cmp_lt_i32 s24, 3
	s_cbranch_scc1 .LBB416_389
; %bb.384:
	s_cmp_gt_i32 s24, 3
	s_cbranch_scc0 .LBB416_386
; %bb.385:
	v_lshlrev_b32_e32 v3, 16, v2
	v_trunc_f32_e32 v3, v3
	s_mov_b32 s20, 0x2f800000
	v_mul_f32_e64 v5, |v3|, s20
	v_floor_f32_e32 v5, v5
	s_mov_b32 s20, 0xcf800000
	v_cvt_u32_f32_e32 v6, v5
	v_fma_f32 v5, v5, s20, |v3|
	v_cvt_u32_f32_e32 v5, v5
	v_ashrrev_i32_e32 v3, 31, v3
	v_xor_b32_e32 v7, v6, v3
	s_mov_b64 s[20:21], 0
	v_xor_b32_e32 v5, v5, v3
	v_sub_co_u32_e32 v6, vcc, v5, v3
	s_nop 1
	v_subb_co_u32_e32 v7, vcc, v7, v3, vcc
	global_store_dwordx2 v[0:1], v[6:7], off
.LBB416_386:
	s_andn2_b64 vcc, exec, s[20:21]
	s_cbranch_vccnz .LBB416_388
; %bb.387:
	v_lshlrev_b32_e32 v3, 16, v2
	v_cvt_i32_f32_e32 v3, v3
	global_store_dword v[0:1], v3, off
.LBB416_388:
	s_mov_b64 s[20:21], 0
.LBB416_389:
	s_andn2_b64 vcc, exec, s[20:21]
	s_cbranch_vccnz .LBB416_391
; %bb.390:
	v_lshlrev_b32_e32 v3, 16, v2
	v_cvt_i32_f32_e32 v3, v3
	global_store_short v[0:1], v3, off
.LBB416_391:
	s_mov_b64 s[20:21], 0
.LBB416_392:
	s_andn2_b64 vcc, exec, s[20:21]
	s_cbranch_vccnz .LBB416_397
; %bb.393:
	s_mov_b64 s[20:21], -1
	s_cmp_gt_i32 s24, 0
	v_lshlrev_b32_e32 v2, 16, v2
	s_cbranch_scc0 .LBB416_395
; %bb.394:
	v_cvt_i32_f32_e32 v3, v2
	s_mov_b64 s[20:21], 0
	global_store_byte v[0:1], v3, off
.LBB416_395:
	s_andn2_b64 vcc, exec, s[20:21]
	s_cbranch_vccnz .LBB416_397
; %bb.396:
	v_trunc_f32_e32 v2, v2
	s_mov_b32 s20, 0x2f800000
	v_mul_f32_e64 v3, |v2|, s20
	v_floor_f32_e32 v3, v3
	s_mov_b32 s20, 0xcf800000
	v_fma_f32 v3, v3, s20, |v2|
	v_cvt_u32_f32_e32 v3, v3
	v_ashrrev_i32_e32 v2, 31, v2
	v_xor_b32_e32 v3, v3, v2
	v_sub_u32_e32 v2, v3, v2
	global_store_byte v[0:1], v2, off
.LBB416_397:
	s_mov_b64 s[20:21], -1
.LBB416_398:
	s_andn2_b64 vcc, exec, s[20:21]
	s_cbranch_vccnz .LBB416_400
; %bb.399:
	v_add_u32_e32 v4, 0x80, v4
	s_mov_b64 s[24:25], -1
	s_branch .LBB416_513
.LBB416_400:
	s_mov_b64 s[24:25], 0
	s_branch .LBB416_512
.LBB416_401:
	s_mov_b64 s[18:19], -1
                                        ; implicit-def: $vgpr2
.LBB416_402:
	s_mov_b64 s[20:21], 0
.LBB416_403:
	s_and_b64 vcc, exec, s[20:21]
	s_cbranch_vccz .LBB416_407
; %bb.404:
	s_cmp_eq_u32 s26, 29
	s_cbranch_scc0 .LBB416_406
; %bb.405:
	global_load_dwordx2 v[2:3], v[0:1], off
	s_movk_i32 s18, 0x7fff
	s_mov_b64 s[0:1], -1
	s_mov_b64 s[20:21], 0
	s_waitcnt vmcnt(0)
	v_ffbh_u32_e32 v5, v3
	v_min_u32_e32 v5, 32, v5
	v_lshlrev_b64 v[2:3], v5, v[2:3]
	v_min_u32_e32 v2, 1, v2
	v_or_b32_e32 v2, v3, v2
	v_cvt_f32_u32_e32 v2, v2
	v_sub_u32_e32 v3, 32, v5
	v_ldexp_f32 v2, v2, v3
	v_bfe_u32 v3, v2, 16, 1
	v_add3_u32 v2, v2, v3, s18
	v_lshrrev_b32_e32 v2, 16, v2
	s_mov_b64 s[18:19], 0
	s_branch .LBB416_408
.LBB416_406:
	s_mov_b64 s[18:19], -1
                                        ; implicit-def: $vgpr2
.LBB416_407:
	s_mov_b64 s[20:21], 0
.LBB416_408:
	s_and_b64 vcc, exec, s[20:21]
	s_cbranch_vccz .LBB416_426
; %bb.409:
	s_cmp_lt_i32 s26, 27
	s_cbranch_scc1 .LBB416_412
; %bb.410:
	s_cmp_gt_i32 s26, 27
	s_cbranch_scc0 .LBB416_413
; %bb.411:
	global_load_dword v2, v[0:1], off
	s_movk_i32 s0, 0x7fff
	s_waitcnt vmcnt(0)
	v_cvt_f32_u32_e32 v2, v2
	v_bfe_u32 v3, v2, 16, 1
	v_add3_u32 v2, v2, v3, s0
	v_lshrrev_b32_e32 v2, 16, v2
	s_mov_b64 s[0:1], 0
	s_branch .LBB416_414
.LBB416_412:
	s_mov_b64 s[0:1], -1
                                        ; implicit-def: $vgpr2
	s_branch .LBB416_417
.LBB416_413:
	s_mov_b64 s[0:1], -1
                                        ; implicit-def: $vgpr2
.LBB416_414:
	s_andn2_b64 vcc, exec, s[0:1]
	s_cbranch_vccnz .LBB416_416
; %bb.415:
	global_load_ushort v2, v[0:1], off
	s_movk_i32 s0, 0x7fff
	s_waitcnt vmcnt(0)
	v_cvt_f32_u32_e32 v2, v2
	v_bfe_u32 v3, v2, 16, 1
	v_add3_u32 v2, v2, v3, s0
	v_lshrrev_b32_e32 v2, 16, v2
.LBB416_416:
	s_mov_b64 s[0:1], 0
.LBB416_417:
	s_andn2_b64 vcc, exec, s[0:1]
	s_cbranch_vccnz .LBB416_425
; %bb.418:
	global_load_ubyte v2, v[0:1], off
	s_movk_i32 s0, 0x7f
	s_waitcnt vmcnt(0)
	v_cmp_lt_i16_e32 vcc, s0, v2
	s_mov_b64 s[0:1], 0
	s_and_saveexec_b64 s[20:21], vcc
	s_xor_b64 s[20:21], exec, s[20:21]
	s_cbranch_execz .LBB416_439
; %bb.419:
	s_movk_i32 s0, 0x80
	v_cmp_eq_u16_e32 vcc, s0, v2
	s_mov_b64 s[0:1], -1
	s_and_saveexec_b64 s[24:25], vcc
; %bb.420:
	s_xor_b64 s[0:1], exec, -1
; %bb.421:
	s_or_b64 exec, exec, s[24:25]
	s_and_b64 s[0:1], s[0:1], exec
	s_or_saveexec_b64 s[20:21], s[20:21]
	v_mov_b32_e32 v3, 0x7f800001
	s_xor_b64 exec, exec, s[20:21]
	s_cbranch_execnz .LBB416_440
.LBB416_422:
	s_or_b64 exec, exec, s[20:21]
	s_and_saveexec_b64 s[20:21], s[0:1]
	s_cbranch_execz .LBB416_424
.LBB416_423:
	v_lshlrev_b32_e32 v3, 24, v2
	v_and_b32_e32 v2, 0xffff, v2
	v_and_b32_e32 v5, 7, v2
	v_ffbh_u32_e32 v7, v5
	v_min_u32_e32 v7, 32, v7
	v_subrev_u32_e32 v8, 28, v7
	v_bfe_u32 v6, v2, 3, 4
	v_lshlrev_b32_e32 v2, v8, v2
	v_sub_u32_e32 v7, 29, v7
	v_and_b32_e32 v2, 7, v2
	v_cmp_eq_u32_e32 vcc, 0, v6
	v_and_b32_e32 v3, 0x80000000, v3
	s_nop 0
	v_cndmask_b32_e32 v6, v6, v7, vcc
	v_cndmask_b32_e32 v2, v5, v2, vcc
	v_mov_b32_e32 v5, 0x3b800000
	v_lshlrev_b32_e32 v2, 20, v2
	v_lshl_add_u32 v5, v6, 23, v5
	v_or3_b32 v3, v3, v5, v2
.LBB416_424:
	s_or_b64 exec, exec, s[20:21]
	v_bfe_u32 v2, v3, 16, 1
	s_movk_i32 s0, 0x7fff
	v_add3_u32 v2, v3, v2, s0
	v_cmp_o_f32_e32 vcc, v3, v3
	v_mov_b32_e32 v3, 0x7fc0
	s_nop 0
	v_cndmask_b32_sdwa v2, v3, v2, vcc dst_sel:DWORD dst_unused:UNUSED_PAD src0_sel:DWORD src1_sel:WORD_1
.LBB416_425:
	s_mov_b64 s[0:1], -1
.LBB416_426:
	s_mov_b64 s[20:21], 0
.LBB416_427:
	s_and_b64 vcc, exec, s[20:21]
	s_cbranch_vccz .LBB416_462
; %bb.428:
	s_cmp_gt_i32 s26, 22
	s_cbranch_scc0 .LBB416_438
; %bb.429:
	s_cmp_lt_i32 s26, 24
	s_cbranch_scc1 .LBB416_441
; %bb.430:
	s_cmp_gt_i32 s26, 24
	s_cbranch_scc0 .LBB416_442
; %bb.431:
	global_load_ubyte v2, v[0:1], off
	s_movk_i32 s0, 0x7f
	s_waitcnt vmcnt(0)
	v_cmp_lt_i16_e32 vcc, s0, v2
	s_mov_b64 s[0:1], 0
	s_and_saveexec_b64 s[20:21], vcc
	s_xor_b64 s[20:21], exec, s[20:21]
	s_cbranch_execz .LBB416_454
; %bb.432:
	s_movk_i32 s0, 0x80
	v_cmp_eq_u16_e32 vcc, s0, v2
	s_mov_b64 s[0:1], -1
	s_and_saveexec_b64 s[24:25], vcc
; %bb.433:
	s_xor_b64 s[0:1], exec, -1
; %bb.434:
	s_or_b64 exec, exec, s[24:25]
	s_and_b64 s[0:1], s[0:1], exec
	s_or_saveexec_b64 s[20:21], s[20:21]
	v_mov_b32_e32 v3, 0x7f800001
	s_xor_b64 exec, exec, s[20:21]
	s_cbranch_execnz .LBB416_455
.LBB416_435:
	s_or_b64 exec, exec, s[20:21]
	s_and_saveexec_b64 s[20:21], s[0:1]
	s_cbranch_execz .LBB416_437
.LBB416_436:
	v_lshlrev_b32_e32 v3, 24, v2
	v_and_b32_e32 v2, 0xffff, v2
	v_and_b32_e32 v5, 3, v2
	v_ffbh_u32_e32 v7, v5
	v_min_u32_e32 v7, 32, v7
	v_subrev_u32_e32 v8, 29, v7
	v_bfe_u32 v6, v2, 2, 5
	v_lshlrev_b32_e32 v2, v8, v2
	v_sub_u32_e32 v7, 30, v7
	v_and_b32_e32 v2, 3, v2
	v_cmp_eq_u32_e32 vcc, 0, v6
	v_and_b32_e32 v3, 0x80000000, v3
	s_nop 0
	v_cndmask_b32_e32 v6, v6, v7, vcc
	v_cndmask_b32_e32 v2, v5, v2, vcc
	v_mov_b32_e32 v5, 0x37800000
	v_lshlrev_b32_e32 v2, 21, v2
	v_lshl_add_u32 v5, v6, 23, v5
	v_or3_b32 v3, v3, v5, v2
.LBB416_437:
	s_or_b64 exec, exec, s[20:21]
	v_bfe_u32 v2, v3, 16, 1
	s_movk_i32 s0, 0x7fff
	v_add3_u32 v2, v3, v2, s0
	v_cmp_o_f32_e32 vcc, v3, v3
	v_mov_b32_e32 v3, 0x7fc0
	s_mov_b64 s[0:1], 0
	v_cndmask_b32_sdwa v2, v3, v2, vcc dst_sel:DWORD dst_unused:UNUSED_PAD src0_sel:DWORD src1_sel:WORD_1
	s_branch .LBB416_443
.LBB416_438:
	s_mov_b64 s[20:21], -1
                                        ; implicit-def: $vgpr2
	s_branch .LBB416_449
.LBB416_439:
	s_or_saveexec_b64 s[20:21], s[20:21]
	v_mov_b32_e32 v3, 0x7f800001
	s_xor_b64 exec, exec, s[20:21]
	s_cbranch_execz .LBB416_422
.LBB416_440:
	v_cmp_ne_u16_e32 vcc, 0, v2
	s_andn2_b64 s[0:1], s[0:1], exec
	s_and_b64 s[24:25], vcc, exec
	v_mov_b32_e32 v3, 0
	s_or_b64 s[0:1], s[0:1], s[24:25]
	s_or_b64 exec, exec, s[20:21]
	s_and_saveexec_b64 s[20:21], s[0:1]
	s_cbranch_execnz .LBB416_423
	s_branch .LBB416_424
.LBB416_441:
	s_mov_b64 s[0:1], -1
                                        ; implicit-def: $vgpr2
	s_branch .LBB416_446
.LBB416_442:
	s_mov_b64 s[0:1], -1
                                        ; implicit-def: $vgpr2
.LBB416_443:
	s_and_b64 vcc, exec, s[0:1]
	s_cbranch_vccz .LBB416_445
; %bb.444:
	global_load_ubyte v2, v[0:1], off
	s_mov_b32 s0, 0x7f800000
	s_brev_b32 s1, 1
	s_movk_i32 s20, 0x7fff
	s_waitcnt vmcnt(0)
	v_lshlrev_b32_e32 v2, 24, v2
	v_and_b32_e32 v3, 0x7f000000, v2
	v_ffbh_u32_e32 v5, v3
	v_min_u32_e32 v5, 32, v5
	v_sub_u32_e64 v5, v5, 4 clamp
	v_lshlrev_b32_e32 v7, v5, v3
	v_lshlrev_b32_e32 v5, 23, v5
	v_lshrrev_b32_e32 v7, 4, v7
	v_add_u32_e32 v6, 0x1000000, v3
	v_sub_u32_e32 v5, v7, v5
	v_ashrrev_i32_e32 v6, 8, v6
	v_add_u32_e32 v5, 0x3c000000, v5
	v_and_or_b32 v5, v6, s0, v5
	v_cmp_ne_u32_e32 vcc, 0, v3
	s_nop 1
	v_cndmask_b32_e32 v3, 0, v5, vcc
	v_and_or_b32 v2, v2, s1, v3
	v_bfe_u32 v3, v3, 16, 1
	v_add3_u32 v3, v2, v3, s20
	v_cmp_o_f32_e32 vcc, v2, v2
	v_mov_b32_e32 v2, 0x7fc0
	s_nop 0
	v_cndmask_b32_sdwa v2, v2, v3, vcc dst_sel:DWORD dst_unused:UNUSED_PAD src0_sel:DWORD src1_sel:WORD_1
.LBB416_445:
	s_mov_b64 s[0:1], 0
.LBB416_446:
	s_andn2_b64 vcc, exec, s[0:1]
	s_cbranch_vccnz .LBB416_448
; %bb.447:
	global_load_ubyte v2, v[0:1], off
	s_movk_i32 s0, 0x7f00
	s_brev_b32 s1, 16
	s_brev_b32 s20, 1
	s_movk_i32 s21, 0x7fff
	s_waitcnt vmcnt(0)
	v_lshlrev_b16_e32 v3, 8, v2
	v_lshlrev_b32_e32 v2, 25, v2
	v_lshrrev_b32_e32 v5, 4, v2
	v_and_or_b32 v6, v3, s0, 0.5
	v_or_b32_e32 v5, 0x70000000, v5
	v_add_f32_e32 v6, -0.5, v6
	v_mul_f32_e32 v5, 0x7800000, v5
	v_cmp_gt_u32_e32 vcc, s1, v2
	v_bfe_i32 v3, v3, 0, 16
	s_nop 0
	v_cndmask_b32_e32 v2, v5, v6, vcc
	v_and_or_b32 v3, v3, s20, v2
	v_bfe_u32 v2, v2, 16, 1
	v_add3_u32 v2, v3, v2, s21
	v_cmp_o_f32_e32 vcc, v3, v3
	v_mov_b32_e32 v3, 0x7fc0
	s_nop 0
	v_cndmask_b32_sdwa v2, v3, v2, vcc dst_sel:DWORD dst_unused:UNUSED_PAD src0_sel:DWORD src1_sel:WORD_1
.LBB416_448:
	s_mov_b64 s[20:21], 0
	s_mov_b64 s[0:1], -1
.LBB416_449:
	s_andn2_b64 vcc, exec, s[20:21]
	s_cbranch_vccnz .LBB416_462
; %bb.450:
	s_cmp_gt_i32 s26, 14
	s_cbranch_scc0 .LBB416_453
; %bb.451:
	s_cmp_eq_u32 s26, 15
	s_cbranch_scc0 .LBB416_456
; %bb.452:
	global_load_ushort v2, v[0:1], off
	s_mov_b64 s[0:1], -1
	s_mov_b64 s[18:19], 0
	s_branch .LBB416_457
.LBB416_453:
	s_mov_b64 s[20:21], -1
                                        ; implicit-def: $vgpr2
	s_branch .LBB416_458
.LBB416_454:
	s_or_saveexec_b64 s[20:21], s[20:21]
	v_mov_b32_e32 v3, 0x7f800001
	s_xor_b64 exec, exec, s[20:21]
	s_cbranch_execz .LBB416_435
.LBB416_455:
	v_cmp_ne_u16_e32 vcc, 0, v2
	s_andn2_b64 s[0:1], s[0:1], exec
	s_and_b64 s[24:25], vcc, exec
	v_mov_b32_e32 v3, 0
	s_or_b64 s[0:1], s[0:1], s[24:25]
	s_or_b64 exec, exec, s[20:21]
	s_and_saveexec_b64 s[20:21], s[0:1]
	s_cbranch_execnz .LBB416_436
	s_branch .LBB416_437
.LBB416_456:
	s_mov_b64 s[18:19], -1
                                        ; implicit-def: $vgpr2
.LBB416_457:
	s_mov_b64 s[20:21], 0
.LBB416_458:
	s_and_b64 vcc, exec, s[20:21]
	s_cbranch_vccz .LBB416_462
; %bb.459:
	s_cmp_eq_u32 s26, 11
	s_cbranch_scc0 .LBB416_461
; %bb.460:
	global_load_ubyte v2, v[0:1], off
	s_mov_b64 s[0:1], -1
	s_mov_b64 s[18:19], 0
	s_waitcnt vmcnt(0)
	v_cmp_ne_u16_e32 vcc, 0, v2
	s_nop 1
	v_cndmask_b32_e64 v2, 0, 1.0, vcc
	v_lshrrev_b32_e32 v2, 16, v2
	s_branch .LBB416_462
.LBB416_461:
	s_mov_b64 s[18:19], -1
                                        ; implicit-def: $vgpr2
.LBB416_462:
	s_branch .LBB416_265
.LBB416_463:
	s_cmp_lt_i32 s26, 5
	s_cbranch_scc1 .LBB416_468
; %bb.464:
	s_cmp_lt_i32 s26, 8
	s_cbranch_scc1 .LBB416_469
; %bb.465:
	;; [unrolled: 3-line block ×3, first 2 shown]
	s_cmp_gt_i32 s26, 9
	s_cbranch_scc0 .LBB416_471
; %bb.467:
	global_load_dwordx2 v[2:3], v[0:1], off
	s_movk_i32 s0, 0x7fff
	v_mov_b32_e32 v5, 0x7fc0
	s_waitcnt vmcnt(0)
	v_cvt_f32_f64_e32 v2, v[2:3]
	v_bfe_u32 v3, v2, 16, 1
	v_cmp_o_f32_e32 vcc, v2, v2
	v_add3_u32 v2, v2, v3, s0
	s_mov_b64 s[0:1], 0
	v_cndmask_b32_sdwa v2, v5, v2, vcc dst_sel:DWORD dst_unused:UNUSED_PAD src0_sel:DWORD src1_sel:WORD_1
	s_branch .LBB416_472
.LBB416_468:
	s_mov_b64 s[0:1], -1
                                        ; implicit-def: $vgpr2
	s_branch .LBB416_490
.LBB416_469:
	s_mov_b64 s[0:1], -1
                                        ; implicit-def: $vgpr2
	s_branch .LBB416_478
.LBB416_470:
	s_mov_b64 s[0:1], -1
                                        ; implicit-def: $vgpr2
	s_branch .LBB416_475
.LBB416_471:
	s_mov_b64 s[0:1], -1
                                        ; implicit-def: $vgpr2
.LBB416_472:
	s_andn2_b64 vcc, exec, s[0:1]
	s_cbranch_vccnz .LBB416_474
; %bb.473:
	global_load_dword v2, v[0:1], off
	s_movk_i32 s0, 0x7fff
	v_mov_b32_e32 v3, 0x7fc0
	s_waitcnt vmcnt(0)
	v_bfe_u32 v5, v2, 16, 1
	v_cmp_o_f32_e32 vcc, v2, v2
	v_add3_u32 v2, v2, v5, s0
	s_nop 0
	v_cndmask_b32_sdwa v2, v3, v2, vcc dst_sel:DWORD dst_unused:UNUSED_PAD src0_sel:DWORD src1_sel:WORD_1
.LBB416_474:
	s_mov_b64 s[0:1], 0
.LBB416_475:
	s_andn2_b64 vcc, exec, s[0:1]
	s_cbranch_vccnz .LBB416_477
; %bb.476:
	global_load_dword v2, v[0:1], off
	s_movk_i32 s0, 0x7fff
	v_mov_b32_e32 v5, 0x7fc0
	s_waitcnt vmcnt(0)
	v_cvt_f32_f16_e32 v3, v2
	v_cmp_o_f16_e32 vcc, v2, v2
	v_bfe_u32 v2, v3, 16, 1
	v_add3_u32 v2, v3, v2, s0
	v_cndmask_b32_sdwa v2, v5, v2, vcc dst_sel:DWORD dst_unused:UNUSED_PAD src0_sel:DWORD src1_sel:WORD_1
.LBB416_477:
	s_mov_b64 s[0:1], 0
.LBB416_478:
	s_andn2_b64 vcc, exec, s[0:1]
	s_cbranch_vccnz .LBB416_489
; %bb.479:
	s_cmp_lt_i32 s26, 6
	s_cbranch_scc1 .LBB416_482
; %bb.480:
	s_cmp_gt_i32 s26, 6
	s_cbranch_scc0 .LBB416_483
; %bb.481:
	global_load_dwordx2 v[2:3], v[0:1], off
	s_movk_i32 s0, 0x7fff
	v_mov_b32_e32 v5, 0x7fc0
	s_waitcnt vmcnt(0)
	v_cvt_f32_f64_e32 v2, v[2:3]
	v_bfe_u32 v3, v2, 16, 1
	v_cmp_o_f32_e32 vcc, v2, v2
	v_add3_u32 v2, v2, v3, s0
	s_mov_b64 s[0:1], 0
	v_cndmask_b32_sdwa v2, v5, v2, vcc dst_sel:DWORD dst_unused:UNUSED_PAD src0_sel:DWORD src1_sel:WORD_1
	s_branch .LBB416_484
.LBB416_482:
	s_mov_b64 s[0:1], -1
                                        ; implicit-def: $vgpr2
	s_branch .LBB416_487
.LBB416_483:
	s_mov_b64 s[0:1], -1
                                        ; implicit-def: $vgpr2
.LBB416_484:
	s_andn2_b64 vcc, exec, s[0:1]
	s_cbranch_vccnz .LBB416_486
; %bb.485:
	global_load_dword v2, v[0:1], off
	s_movk_i32 s0, 0x7fff
	v_mov_b32_e32 v3, 0x7fc0
	s_waitcnt vmcnt(0)
	v_bfe_u32 v5, v2, 16, 1
	v_cmp_o_f32_e32 vcc, v2, v2
	v_add3_u32 v2, v2, v5, s0
	s_nop 0
	v_cndmask_b32_sdwa v2, v3, v2, vcc dst_sel:DWORD dst_unused:UNUSED_PAD src0_sel:DWORD src1_sel:WORD_1
.LBB416_486:
	s_mov_b64 s[0:1], 0
.LBB416_487:
	s_andn2_b64 vcc, exec, s[0:1]
	s_cbranch_vccnz .LBB416_489
; %bb.488:
	global_load_ushort v2, v[0:1], off
	s_movk_i32 s0, 0x7fff
	v_mov_b32_e32 v5, 0x7fc0
	s_waitcnt vmcnt(0)
	v_cvt_f32_f16_e32 v3, v2
	v_cmp_o_f16_e32 vcc, v2, v2
	v_bfe_u32 v2, v3, 16, 1
	v_add3_u32 v2, v3, v2, s0
	v_cndmask_b32_sdwa v2, v5, v2, vcc dst_sel:DWORD dst_unused:UNUSED_PAD src0_sel:DWORD src1_sel:WORD_1
.LBB416_489:
	s_mov_b64 s[0:1], 0
.LBB416_490:
	s_andn2_b64 vcc, exec, s[0:1]
	s_cbranch_vccnz .LBB416_510
; %bb.491:
	s_cmp_lt_i32 s26, 2
	s_cbranch_scc1 .LBB416_495
; %bb.492:
	s_cmp_lt_i32 s26, 3
	s_cbranch_scc1 .LBB416_496
; %bb.493:
	s_cmp_gt_i32 s26, 3
	s_cbranch_scc0 .LBB416_497
; %bb.494:
	global_load_dwordx2 v[2:3], v[0:1], off
	s_movk_i32 s0, 0x7fff
	s_waitcnt vmcnt(0)
	v_xor_b32_e32 v6, v2, v3
	v_ffbh_i32_e32 v5, v3
	v_ashrrev_i32_e32 v6, 31, v6
	v_add_u32_e32 v5, -1, v5
	v_add_u32_e32 v6, 32, v6
	v_min_u32_e32 v5, v5, v6
	v_lshlrev_b64 v[2:3], v5, v[2:3]
	v_min_u32_e32 v2, 1, v2
	v_or_b32_e32 v2, v3, v2
	v_cvt_f32_i32_e32 v2, v2
	v_sub_u32_e32 v3, 32, v5
	v_ldexp_f32 v2, v2, v3
	v_bfe_u32 v3, v2, 16, 1
	v_add3_u32 v2, v2, v3, s0
	v_lshrrev_b32_e32 v2, 16, v2
	s_mov_b64 s[0:1], 0
	s_branch .LBB416_498
.LBB416_495:
	s_mov_b64 s[0:1], -1
                                        ; implicit-def: $vgpr2
	s_branch .LBB416_504
.LBB416_496:
	s_mov_b64 s[0:1], -1
                                        ; implicit-def: $vgpr2
	s_branch .LBB416_501
.LBB416_497:
	s_mov_b64 s[0:1], -1
                                        ; implicit-def: $vgpr2
.LBB416_498:
	s_andn2_b64 vcc, exec, s[0:1]
	s_cbranch_vccnz .LBB416_500
; %bb.499:
	global_load_dword v2, v[0:1], off
	s_movk_i32 s0, 0x7fff
	s_waitcnt vmcnt(0)
	v_cvt_f32_i32_e32 v2, v2
	v_bfe_u32 v3, v2, 16, 1
	v_add3_u32 v2, v2, v3, s0
	v_lshrrev_b32_e32 v2, 16, v2
.LBB416_500:
	s_mov_b64 s[0:1], 0
.LBB416_501:
	s_andn2_b64 vcc, exec, s[0:1]
	s_cbranch_vccnz .LBB416_503
; %bb.502:
	global_load_sshort v2, v[0:1], off
	s_movk_i32 s0, 0x7fff
	s_waitcnt vmcnt(0)
	v_cvt_f32_i32_e32 v2, v2
	v_bfe_u32 v3, v2, 16, 1
	v_add3_u32 v2, v2, v3, s0
	v_lshrrev_b32_e32 v2, 16, v2
.LBB416_503:
	s_mov_b64 s[0:1], 0
.LBB416_504:
	s_andn2_b64 vcc, exec, s[0:1]
	s_cbranch_vccnz .LBB416_510
; %bb.505:
	s_cmp_gt_i32 s26, 0
	s_cbranch_scc0 .LBB416_507
; %bb.506:
	global_load_sbyte v2, v[0:1], off
	s_movk_i32 s0, 0x7fff
	s_waitcnt vmcnt(0)
	v_cvt_f32_i32_e32 v2, v2
	v_bfe_u32 v3, v2, 16, 1
	v_add3_u32 v2, v2, v3, s0
	v_lshrrev_b32_e32 v2, 16, v2
	s_mov_b64 s[0:1], 0
	s_branch .LBB416_508
.LBB416_507:
	s_mov_b64 s[0:1], -1
                                        ; implicit-def: $vgpr2
.LBB416_508:
	s_andn2_b64 vcc, exec, s[0:1]
	s_cbranch_vccnz .LBB416_510
; %bb.509:
	global_load_ubyte v0, v[0:1], off
	s_movk_i32 s0, 0x7fff
	s_waitcnt vmcnt(0)
	v_cvt_f32_ubyte0_e32 v0, v0
	v_bfe_u32 v1, v0, 16, 1
	v_add3_u32 v0, v0, v1, s0
	v_lshrrev_b32_e32 v2, 16, v0
.LBB416_510:
	s_branch .LBB416_266
.LBB416_511:
	s_mov_b64 s[24:25], 0
	s_mov_b64 s[0:1], s[12:13]
.LBB416_512:
                                        ; implicit-def: $vgpr4
.LBB416_513:
	s_andn2_b64 s[20:21], s[12:13], exec
	s_and_b64 s[0:1], s[0:1], exec
	s_or_b64 s[20:21], s[20:21], s[0:1]
	s_andn2_b64 s[0:1], s[14:15], exec
	s_and_b64 s[18:19], s[18:19], exec
	s_or_b64 s[18:19], s[0:1], s[18:19]
	s_orn2_b64 s[0:1], s[24:25], exec
.LBB416_514:
	s_or_b64 exec, exec, s[22:23]
	s_mov_b64 s[24:25], 0
	s_mov_b64 s[26:27], 0
	;; [unrolled: 1-line block ×3, first 2 shown]
                                        ; implicit-def: $vgpr0_vgpr1
                                        ; implicit-def: $vgpr3
	s_and_saveexec_b64 s[22:23], s[0:1]
	s_cbranch_execz .LBB416_860
; %bb.515:
	v_cmp_gt_i32_e32 vcc, s38, v4
	s_mov_b64 s[34:35], -1
	s_mov_b64 s[0:1], s[18:19]
	s_mov_b64 s[28:29], s[20:21]
	s_and_saveexec_b64 s[24:25], vcc
	s_cbranch_execz .LBB416_774
; %bb.516:
	v_mul_lo_u32 v0, v4, s9
	v_ashrrev_i32_e32 v1, 31, v0
	s_and_b32 s34, 0xffff, s43
	s_cmp_lt_i32 s34, 11
	v_lshl_add_u64 v[0:1], s[6:7], 0, v[0:1]
	s_cbranch_scc1 .LBB416_523
; %bb.517:
	s_cmp_gt_i32 s34, 25
	s_cbranch_scc0 .LBB416_524
; %bb.518:
	s_cmp_gt_i32 s34, 28
	s_cbranch_scc0 .LBB416_525
	;; [unrolled: 3-line block ×4, first 2 shown]
; %bb.521:
	s_cmp_eq_u32 s34, 46
	s_mov_b64 s[28:29], 0
	s_cbranch_scc0 .LBB416_532
; %bb.522:
	global_load_dword v2, v[0:1], off
	s_mov_b64 s[0:1], -1
	s_branch .LBB416_533
.LBB416_523:
	s_mov_b64 s[28:29], -1
	s_mov_b64 s[0:1], 0
                                        ; implicit-def: $vgpr2
	s_mov_b64 s[26:27], s[18:19]
	s_branch .LBB416_598
.LBB416_524:
	s_mov_b64 s[28:29], -1
	s_mov_b64 s[0:1], 0
	s_mov_b64 s[26:27], s[18:19]
                                        ; implicit-def: $vgpr2
	s_branch .LBB416_562
.LBB416_525:
	s_mov_b64 s[28:29], -1
	s_mov_b64 s[0:1], 0
	s_mov_b64 s[26:27], s[18:19]
                                        ; implicit-def: $vgpr2
	s_branch .LBB416_543
.LBB416_526:
	s_mov_b64 s[28:29], -1
	s_mov_b64 s[0:1], 0
	s_mov_b64 s[26:27], s[18:19]
                                        ; implicit-def: $vgpr2
	s_branch .LBB416_538
.LBB416_527:
	s_andn2_saveexec_b64 s[26:27], s[26:27]
	s_cbranch_execz .LBB416_311
.LBB416_528:
	s_mov_b32 s30, 0x46000000
	v_add_f32_e64 v5, |v6|, s30
	v_and_b32_e32 v5, 0xff, v5
	v_cmp_ne_u32_e32 vcc, 0, v5
	s_andn2_b64 s[24:25], s[24:25], exec
	s_and_b64 s[30:31], vcc, exec
	s_or_b64 s[24:25], s[24:25], s[30:31]
	s_or_b64 exec, exec, s[26:27]
	v_mov_b32_e32 v7, 0
	s_and_saveexec_b64 s[26:27], s[24:25]
	s_cbranch_execnz .LBB416_312
	s_branch .LBB416_313
.LBB416_529:
	s_mov_b64 s[28:29], -1
	s_mov_b64 s[0:1], 0
	s_mov_b64 s[26:27], s[18:19]
                                        ; implicit-def: $vgpr2
	s_branch .LBB416_533
.LBB416_530:
	s_andn2_saveexec_b64 s[26:27], s[26:27]
	s_cbranch_execz .LBB416_324
.LBB416_531:
	s_mov_b32 s30, 0x42800000
	v_add_f32_e64 v5, |v6|, s30
	v_and_b32_e32 v5, 0xff, v5
	v_cmp_ne_u32_e32 vcc, 0, v5
	s_andn2_b64 s[24:25], s[24:25], exec
	s_and_b64 s[30:31], vcc, exec
	s_or_b64 s[24:25], s[24:25], s[30:31]
	s_or_b64 exec, exec, s[26:27]
	v_mov_b32_e32 v7, 0
	s_and_saveexec_b64 s[26:27], s[24:25]
	s_cbranch_execnz .LBB416_325
	s_branch .LBB416_326
.LBB416_532:
	s_mov_b64 s[26:27], -1
                                        ; implicit-def: $vgpr2
	s_mov_b64 s[0:1], 0
.LBB416_533:
	s_and_b64 vcc, exec, s[28:29]
	s_cbranch_vccz .LBB416_537
; %bb.534:
	s_cmp_eq_u32 s34, 44
	s_cbranch_scc0 .LBB416_536
; %bb.535:
	global_load_ubyte v2, v[0:1], off
	s_movk_i32 s26, 0xff
	v_mov_b32_e32 v3, 0x7f800001
	v_mov_b32_e32 v5, 0x400000
	;; [unrolled: 1-line block ×3, first 2 shown]
	s_mov_b64 s[0:1], -1
	s_waitcnt vmcnt(0)
	v_lshlrev_b32_e32 v7, 23, v2
	v_cmp_ne_u32_e32 vcc, s26, v2
	s_mov_b64 s[26:27], 0
	s_nop 0
	v_cndmask_b32_e32 v3, v3, v7, vcc
	v_cmp_ne_u32_e32 vcc, 0, v2
	s_nop 1
	v_cndmask_b32_e32 v2, v5, v3, vcc
	v_add_u32_e32 v3, 0x7fff, v2
	v_cmp_o_f32_e32 vcc, v2, v2
	s_nop 1
	v_cndmask_b32_sdwa v2, v6, v3, vcc dst_sel:DWORD dst_unused:UNUSED_PAD src0_sel:DWORD src1_sel:WORD_1
	s_branch .LBB416_537
.LBB416_536:
	s_mov_b64 s[26:27], -1
                                        ; implicit-def: $vgpr2
.LBB416_537:
	s_mov_b64 s[28:29], 0
.LBB416_538:
	s_and_b64 vcc, exec, s[28:29]
	s_cbranch_vccz .LBB416_542
; %bb.539:
	s_cmp_eq_u32 s34, 29
	s_cbranch_scc0 .LBB416_541
; %bb.540:
	global_load_dwordx2 v[2:3], v[0:1], off
	s_movk_i32 s26, 0x7fff
	s_mov_b64 s[0:1], -1
	s_mov_b64 s[28:29], 0
	s_waitcnt vmcnt(0)
	v_ffbh_u32_e32 v5, v3
	v_min_u32_e32 v5, 32, v5
	v_lshlrev_b64 v[2:3], v5, v[2:3]
	v_min_u32_e32 v2, 1, v2
	v_or_b32_e32 v2, v3, v2
	v_cvt_f32_u32_e32 v2, v2
	v_sub_u32_e32 v3, 32, v5
	v_ldexp_f32 v2, v2, v3
	v_bfe_u32 v3, v2, 16, 1
	v_add3_u32 v2, v2, v3, s26
	v_lshrrev_b32_e32 v2, 16, v2
	s_mov_b64 s[26:27], 0
	s_branch .LBB416_543
.LBB416_541:
	s_mov_b64 s[26:27], -1
                                        ; implicit-def: $vgpr2
.LBB416_542:
	s_mov_b64 s[28:29], 0
.LBB416_543:
	s_and_b64 vcc, exec, s[28:29]
	s_cbranch_vccz .LBB416_561
; %bb.544:
	s_cmp_lt_i32 s34, 27
	s_cbranch_scc1 .LBB416_547
; %bb.545:
	s_cmp_gt_i32 s34, 27
	s_cbranch_scc0 .LBB416_548
; %bb.546:
	global_load_dword v2, v[0:1], off
	s_movk_i32 s0, 0x7fff
	s_waitcnt vmcnt(0)
	v_cvt_f32_u32_e32 v2, v2
	v_bfe_u32 v3, v2, 16, 1
	v_add3_u32 v2, v2, v3, s0
	v_lshrrev_b32_e32 v2, 16, v2
	s_mov_b64 s[0:1], 0
	s_branch .LBB416_549
.LBB416_547:
	s_mov_b64 s[0:1], -1
                                        ; implicit-def: $vgpr2
	s_branch .LBB416_552
.LBB416_548:
	s_mov_b64 s[0:1], -1
                                        ; implicit-def: $vgpr2
.LBB416_549:
	s_andn2_b64 vcc, exec, s[0:1]
	s_cbranch_vccnz .LBB416_551
; %bb.550:
	global_load_ushort v2, v[0:1], off
	s_movk_i32 s0, 0x7fff
	s_waitcnt vmcnt(0)
	v_cvt_f32_u32_e32 v2, v2
	v_bfe_u32 v3, v2, 16, 1
	v_add3_u32 v2, v2, v3, s0
	v_lshrrev_b32_e32 v2, 16, v2
.LBB416_551:
	s_mov_b64 s[0:1], 0
.LBB416_552:
	s_andn2_b64 vcc, exec, s[0:1]
	s_cbranch_vccnz .LBB416_560
; %bb.553:
	global_load_ubyte v2, v[0:1], off
	s_movk_i32 s0, 0x7f
	s_waitcnt vmcnt(0)
	v_cmp_lt_i16_e32 vcc, s0, v2
	s_mov_b64 s[0:1], 0
	s_and_saveexec_b64 s[28:29], vcc
	s_xor_b64 s[28:29], exec, s[28:29]
	s_cbranch_execz .LBB416_574
; %bb.554:
	s_movk_i32 s0, 0x80
	v_cmp_eq_u16_e32 vcc, s0, v2
	s_mov_b64 s[0:1], -1
	s_and_saveexec_b64 s[30:31], vcc
; %bb.555:
	s_xor_b64 s[0:1], exec, -1
; %bb.556:
	s_or_b64 exec, exec, s[30:31]
	s_and_b64 s[0:1], s[0:1], exec
	s_or_saveexec_b64 s[28:29], s[28:29]
	v_mov_b32_e32 v3, 0x7f800001
	s_xor_b64 exec, exec, s[28:29]
	s_cbranch_execnz .LBB416_575
.LBB416_557:
	s_or_b64 exec, exec, s[28:29]
	s_and_saveexec_b64 s[28:29], s[0:1]
	s_cbranch_execz .LBB416_559
.LBB416_558:
	v_lshlrev_b32_e32 v3, 24, v2
	v_and_b32_e32 v2, 0xffff, v2
	v_and_b32_e32 v5, 7, v2
	v_ffbh_u32_e32 v7, v5
	v_min_u32_e32 v7, 32, v7
	v_subrev_u32_e32 v8, 28, v7
	v_bfe_u32 v6, v2, 3, 4
	v_lshlrev_b32_e32 v2, v8, v2
	v_sub_u32_e32 v7, 29, v7
	v_and_b32_e32 v2, 7, v2
	v_cmp_eq_u32_e32 vcc, 0, v6
	v_and_b32_e32 v3, 0x80000000, v3
	s_nop 0
	v_cndmask_b32_e32 v6, v6, v7, vcc
	v_cndmask_b32_e32 v2, v5, v2, vcc
	v_mov_b32_e32 v5, 0x3b800000
	v_lshlrev_b32_e32 v2, 20, v2
	v_lshl_add_u32 v5, v6, 23, v5
	v_or3_b32 v3, v3, v5, v2
.LBB416_559:
	s_or_b64 exec, exec, s[28:29]
	v_bfe_u32 v2, v3, 16, 1
	s_movk_i32 s0, 0x7fff
	v_add3_u32 v2, v3, v2, s0
	v_cmp_o_f32_e32 vcc, v3, v3
	v_mov_b32_e32 v3, 0x7fc0
	s_nop 0
	v_cndmask_b32_sdwa v2, v3, v2, vcc dst_sel:DWORD dst_unused:UNUSED_PAD src0_sel:DWORD src1_sel:WORD_1
.LBB416_560:
	s_mov_b64 s[0:1], -1
.LBB416_561:
	s_mov_b64 s[28:29], 0
.LBB416_562:
	s_and_b64 vcc, exec, s[28:29]
	s_cbranch_vccz .LBB416_597
; %bb.563:
	s_cmp_gt_i32 s34, 22
	s_cbranch_scc0 .LBB416_573
; %bb.564:
	s_cmp_lt_i32 s34, 24
	s_cbranch_scc1 .LBB416_576
; %bb.565:
	s_cmp_gt_i32 s34, 24
	s_cbranch_scc0 .LBB416_577
; %bb.566:
	global_load_ubyte v2, v[0:1], off
	s_movk_i32 s0, 0x7f
	s_waitcnt vmcnt(0)
	v_cmp_lt_i16_e32 vcc, s0, v2
	s_mov_b64 s[0:1], 0
	s_and_saveexec_b64 s[28:29], vcc
	s_xor_b64 s[28:29], exec, s[28:29]
	s_cbranch_execz .LBB416_589
; %bb.567:
	s_movk_i32 s0, 0x80
	v_cmp_eq_u16_e32 vcc, s0, v2
	s_mov_b64 s[0:1], -1
	s_and_saveexec_b64 s[30:31], vcc
; %bb.568:
	s_xor_b64 s[0:1], exec, -1
; %bb.569:
	s_or_b64 exec, exec, s[30:31]
	s_and_b64 s[0:1], s[0:1], exec
	s_or_saveexec_b64 s[28:29], s[28:29]
	v_mov_b32_e32 v3, 0x7f800001
	s_xor_b64 exec, exec, s[28:29]
	s_cbranch_execnz .LBB416_590
.LBB416_570:
	s_or_b64 exec, exec, s[28:29]
	s_and_saveexec_b64 s[28:29], s[0:1]
	s_cbranch_execz .LBB416_572
.LBB416_571:
	v_lshlrev_b32_e32 v3, 24, v2
	v_and_b32_e32 v2, 0xffff, v2
	v_and_b32_e32 v5, 3, v2
	v_ffbh_u32_e32 v7, v5
	v_min_u32_e32 v7, 32, v7
	v_subrev_u32_e32 v8, 29, v7
	v_bfe_u32 v6, v2, 2, 5
	v_lshlrev_b32_e32 v2, v8, v2
	v_sub_u32_e32 v7, 30, v7
	v_and_b32_e32 v2, 3, v2
	v_cmp_eq_u32_e32 vcc, 0, v6
	v_and_b32_e32 v3, 0x80000000, v3
	s_nop 0
	v_cndmask_b32_e32 v6, v6, v7, vcc
	v_cndmask_b32_e32 v2, v5, v2, vcc
	v_mov_b32_e32 v5, 0x37800000
	v_lshlrev_b32_e32 v2, 21, v2
	v_lshl_add_u32 v5, v6, 23, v5
	v_or3_b32 v3, v3, v5, v2
.LBB416_572:
	s_or_b64 exec, exec, s[28:29]
	v_bfe_u32 v2, v3, 16, 1
	s_movk_i32 s0, 0x7fff
	v_add3_u32 v2, v3, v2, s0
	v_cmp_o_f32_e32 vcc, v3, v3
	v_mov_b32_e32 v3, 0x7fc0
	s_mov_b64 s[0:1], 0
	v_cndmask_b32_sdwa v2, v3, v2, vcc dst_sel:DWORD dst_unused:UNUSED_PAD src0_sel:DWORD src1_sel:WORD_1
	s_branch .LBB416_578
.LBB416_573:
	s_mov_b64 s[28:29], -1
                                        ; implicit-def: $vgpr2
	s_branch .LBB416_584
.LBB416_574:
	s_or_saveexec_b64 s[28:29], s[28:29]
	v_mov_b32_e32 v3, 0x7f800001
	s_xor_b64 exec, exec, s[28:29]
	s_cbranch_execz .LBB416_557
.LBB416_575:
	v_cmp_ne_u16_e32 vcc, 0, v2
	s_andn2_b64 s[0:1], s[0:1], exec
	s_and_b64 s[30:31], vcc, exec
	v_mov_b32_e32 v3, 0
	s_or_b64 s[0:1], s[0:1], s[30:31]
	s_or_b64 exec, exec, s[28:29]
	s_and_saveexec_b64 s[28:29], s[0:1]
	s_cbranch_execnz .LBB416_558
	s_branch .LBB416_559
.LBB416_576:
	s_mov_b64 s[0:1], -1
                                        ; implicit-def: $vgpr2
	s_branch .LBB416_581
.LBB416_577:
	s_mov_b64 s[0:1], -1
                                        ; implicit-def: $vgpr2
.LBB416_578:
	s_and_b64 vcc, exec, s[0:1]
	s_cbranch_vccz .LBB416_580
; %bb.579:
	global_load_ubyte v2, v[0:1], off
	s_mov_b32 s0, 0x7f800000
	s_brev_b32 s1, 1
	s_movk_i32 s28, 0x7fff
	s_waitcnt vmcnt(0)
	v_lshlrev_b32_e32 v2, 24, v2
	v_and_b32_e32 v3, 0x7f000000, v2
	v_ffbh_u32_e32 v5, v3
	v_min_u32_e32 v5, 32, v5
	v_sub_u32_e64 v5, v5, 4 clamp
	v_lshlrev_b32_e32 v7, v5, v3
	v_lshlrev_b32_e32 v5, 23, v5
	v_lshrrev_b32_e32 v7, 4, v7
	v_add_u32_e32 v6, 0x1000000, v3
	v_sub_u32_e32 v5, v7, v5
	v_ashrrev_i32_e32 v6, 8, v6
	v_add_u32_e32 v5, 0x3c000000, v5
	v_and_or_b32 v5, v6, s0, v5
	v_cmp_ne_u32_e32 vcc, 0, v3
	s_nop 1
	v_cndmask_b32_e32 v3, 0, v5, vcc
	v_and_or_b32 v2, v2, s1, v3
	v_bfe_u32 v3, v3, 16, 1
	v_add3_u32 v3, v2, v3, s28
	v_cmp_o_f32_e32 vcc, v2, v2
	v_mov_b32_e32 v2, 0x7fc0
	s_nop 0
	v_cndmask_b32_sdwa v2, v2, v3, vcc dst_sel:DWORD dst_unused:UNUSED_PAD src0_sel:DWORD src1_sel:WORD_1
.LBB416_580:
	s_mov_b64 s[0:1], 0
.LBB416_581:
	s_andn2_b64 vcc, exec, s[0:1]
	s_cbranch_vccnz .LBB416_583
; %bb.582:
	global_load_ubyte v2, v[0:1], off
	s_movk_i32 s0, 0x7f00
	s_brev_b32 s1, 16
	s_brev_b32 s28, 1
	s_movk_i32 s29, 0x7fff
	s_waitcnt vmcnt(0)
	v_lshlrev_b16_e32 v3, 8, v2
	v_lshlrev_b32_e32 v2, 25, v2
	v_lshrrev_b32_e32 v5, 4, v2
	v_and_or_b32 v6, v3, s0, 0.5
	v_or_b32_e32 v5, 0x70000000, v5
	v_add_f32_e32 v6, -0.5, v6
	v_mul_f32_e32 v5, 0x7800000, v5
	v_cmp_gt_u32_e32 vcc, s1, v2
	v_bfe_i32 v3, v3, 0, 16
	s_nop 0
	v_cndmask_b32_e32 v2, v5, v6, vcc
	v_and_or_b32 v3, v3, s28, v2
	v_bfe_u32 v2, v2, 16, 1
	v_add3_u32 v2, v3, v2, s29
	v_cmp_o_f32_e32 vcc, v3, v3
	v_mov_b32_e32 v3, 0x7fc0
	s_nop 0
	v_cndmask_b32_sdwa v2, v3, v2, vcc dst_sel:DWORD dst_unused:UNUSED_PAD src0_sel:DWORD src1_sel:WORD_1
.LBB416_583:
	s_mov_b64 s[28:29], 0
	s_mov_b64 s[0:1], -1
.LBB416_584:
	s_andn2_b64 vcc, exec, s[28:29]
	s_cbranch_vccnz .LBB416_597
; %bb.585:
	s_cmp_gt_i32 s34, 14
	s_cbranch_scc0 .LBB416_588
; %bb.586:
	s_cmp_eq_u32 s34, 15
	s_cbranch_scc0 .LBB416_591
; %bb.587:
	global_load_ushort v2, v[0:1], off
	s_mov_b64 s[0:1], -1
	s_mov_b64 s[26:27], 0
	s_branch .LBB416_592
.LBB416_588:
	s_mov_b64 s[28:29], -1
                                        ; implicit-def: $vgpr2
	s_branch .LBB416_593
.LBB416_589:
	s_or_saveexec_b64 s[28:29], s[28:29]
	v_mov_b32_e32 v3, 0x7f800001
	s_xor_b64 exec, exec, s[28:29]
	s_cbranch_execz .LBB416_570
.LBB416_590:
	v_cmp_ne_u16_e32 vcc, 0, v2
	s_andn2_b64 s[0:1], s[0:1], exec
	s_and_b64 s[30:31], vcc, exec
	v_mov_b32_e32 v3, 0
	s_or_b64 s[0:1], s[0:1], s[30:31]
	s_or_b64 exec, exec, s[28:29]
	s_and_saveexec_b64 s[28:29], s[0:1]
	s_cbranch_execnz .LBB416_571
	s_branch .LBB416_572
.LBB416_591:
	s_mov_b64 s[26:27], -1
                                        ; implicit-def: $vgpr2
.LBB416_592:
	s_mov_b64 s[28:29], 0
.LBB416_593:
	s_and_b64 vcc, exec, s[28:29]
	s_cbranch_vccz .LBB416_597
; %bb.594:
	s_cmp_eq_u32 s34, 11
	s_cbranch_scc0 .LBB416_596
; %bb.595:
	global_load_ubyte v2, v[0:1], off
	s_mov_b64 s[0:1], -1
	s_mov_b64 s[26:27], 0
	s_waitcnt vmcnt(0)
	v_cmp_ne_u16_e32 vcc, 0, v2
	s_nop 1
	v_cndmask_b32_e64 v2, 0, 1.0, vcc
	v_lshrrev_b32_e32 v2, 16, v2
	s_branch .LBB416_597
.LBB416_596:
	s_mov_b64 s[26:27], -1
                                        ; implicit-def: $vgpr2
.LBB416_597:
	s_mov_b64 s[28:29], 0
.LBB416_598:
	s_and_b64 vcc, exec, s[28:29]
	s_cbranch_vccz .LBB416_647
; %bb.599:
	s_cmp_lt_i32 s34, 5
	s_cbranch_scc1 .LBB416_604
; %bb.600:
	s_cmp_lt_i32 s34, 8
	s_cbranch_scc1 .LBB416_605
	;; [unrolled: 3-line block ×3, first 2 shown]
; %bb.602:
	s_cmp_gt_i32 s34, 9
	s_cbranch_scc0 .LBB416_607
; %bb.603:
	global_load_dwordx2 v[2:3], v[0:1], off
	s_movk_i32 s0, 0x7fff
	v_mov_b32_e32 v5, 0x7fc0
	s_waitcnt vmcnt(0)
	v_cvt_f32_f64_e32 v2, v[2:3]
	v_bfe_u32 v3, v2, 16, 1
	v_cmp_o_f32_e32 vcc, v2, v2
	v_add3_u32 v2, v2, v3, s0
	s_mov_b64 s[0:1], 0
	v_cndmask_b32_sdwa v2, v5, v2, vcc dst_sel:DWORD dst_unused:UNUSED_PAD src0_sel:DWORD src1_sel:WORD_1
	s_branch .LBB416_608
.LBB416_604:
	s_mov_b64 s[0:1], -1
                                        ; implicit-def: $vgpr2
	s_branch .LBB416_626
.LBB416_605:
	s_mov_b64 s[0:1], -1
                                        ; implicit-def: $vgpr2
	s_branch .LBB416_614
.LBB416_606:
	s_mov_b64 s[0:1], -1
                                        ; implicit-def: $vgpr2
	s_branch .LBB416_611
.LBB416_607:
	s_mov_b64 s[0:1], -1
                                        ; implicit-def: $vgpr2
.LBB416_608:
	s_andn2_b64 vcc, exec, s[0:1]
	s_cbranch_vccnz .LBB416_610
; %bb.609:
	global_load_dword v2, v[0:1], off
	s_movk_i32 s0, 0x7fff
	v_mov_b32_e32 v3, 0x7fc0
	s_waitcnt vmcnt(0)
	v_bfe_u32 v5, v2, 16, 1
	v_cmp_o_f32_e32 vcc, v2, v2
	v_add3_u32 v2, v2, v5, s0
	s_nop 0
	v_cndmask_b32_sdwa v2, v3, v2, vcc dst_sel:DWORD dst_unused:UNUSED_PAD src0_sel:DWORD src1_sel:WORD_1
.LBB416_610:
	s_mov_b64 s[0:1], 0
.LBB416_611:
	s_andn2_b64 vcc, exec, s[0:1]
	s_cbranch_vccnz .LBB416_613
; %bb.612:
	global_load_dword v2, v[0:1], off
	s_movk_i32 s0, 0x7fff
	v_mov_b32_e32 v5, 0x7fc0
	s_waitcnt vmcnt(0)
	v_cvt_f32_f16_e32 v3, v2
	v_cmp_o_f16_e32 vcc, v2, v2
	v_bfe_u32 v2, v3, 16, 1
	v_add3_u32 v2, v3, v2, s0
	v_cndmask_b32_sdwa v2, v5, v2, vcc dst_sel:DWORD dst_unused:UNUSED_PAD src0_sel:DWORD src1_sel:WORD_1
.LBB416_613:
	s_mov_b64 s[0:1], 0
.LBB416_614:
	s_andn2_b64 vcc, exec, s[0:1]
	s_cbranch_vccnz .LBB416_625
; %bb.615:
	s_cmp_lt_i32 s34, 6
	s_cbranch_scc1 .LBB416_618
; %bb.616:
	s_cmp_gt_i32 s34, 6
	s_cbranch_scc0 .LBB416_619
; %bb.617:
	global_load_dwordx2 v[2:3], v[0:1], off
	s_movk_i32 s0, 0x7fff
	v_mov_b32_e32 v5, 0x7fc0
	s_waitcnt vmcnt(0)
	v_cvt_f32_f64_e32 v2, v[2:3]
	v_bfe_u32 v3, v2, 16, 1
	v_cmp_o_f32_e32 vcc, v2, v2
	v_add3_u32 v2, v2, v3, s0
	s_mov_b64 s[0:1], 0
	v_cndmask_b32_sdwa v2, v5, v2, vcc dst_sel:DWORD dst_unused:UNUSED_PAD src0_sel:DWORD src1_sel:WORD_1
	s_branch .LBB416_620
.LBB416_618:
	s_mov_b64 s[0:1], -1
                                        ; implicit-def: $vgpr2
	s_branch .LBB416_623
.LBB416_619:
	s_mov_b64 s[0:1], -1
                                        ; implicit-def: $vgpr2
.LBB416_620:
	s_andn2_b64 vcc, exec, s[0:1]
	s_cbranch_vccnz .LBB416_622
; %bb.621:
	global_load_dword v2, v[0:1], off
	s_movk_i32 s0, 0x7fff
	v_mov_b32_e32 v3, 0x7fc0
	s_waitcnt vmcnt(0)
	v_bfe_u32 v5, v2, 16, 1
	v_cmp_o_f32_e32 vcc, v2, v2
	v_add3_u32 v2, v2, v5, s0
	s_nop 0
	v_cndmask_b32_sdwa v2, v3, v2, vcc dst_sel:DWORD dst_unused:UNUSED_PAD src0_sel:DWORD src1_sel:WORD_1
.LBB416_622:
	s_mov_b64 s[0:1], 0
.LBB416_623:
	s_andn2_b64 vcc, exec, s[0:1]
	s_cbranch_vccnz .LBB416_625
; %bb.624:
	global_load_ushort v2, v[0:1], off
	s_movk_i32 s0, 0x7fff
	v_mov_b32_e32 v5, 0x7fc0
	s_waitcnt vmcnt(0)
	v_cvt_f32_f16_e32 v3, v2
	v_cmp_o_f16_e32 vcc, v2, v2
	v_bfe_u32 v2, v3, 16, 1
	v_add3_u32 v2, v3, v2, s0
	v_cndmask_b32_sdwa v2, v5, v2, vcc dst_sel:DWORD dst_unused:UNUSED_PAD src0_sel:DWORD src1_sel:WORD_1
.LBB416_625:
	s_mov_b64 s[0:1], 0
.LBB416_626:
	s_andn2_b64 vcc, exec, s[0:1]
	s_cbranch_vccnz .LBB416_646
; %bb.627:
	s_cmp_lt_i32 s34, 2
	s_cbranch_scc1 .LBB416_631
; %bb.628:
	s_cmp_lt_i32 s34, 3
	s_cbranch_scc1 .LBB416_632
; %bb.629:
	s_cmp_gt_i32 s34, 3
	s_cbranch_scc0 .LBB416_633
; %bb.630:
	global_load_dwordx2 v[2:3], v[0:1], off
	s_movk_i32 s0, 0x7fff
	s_waitcnt vmcnt(0)
	v_xor_b32_e32 v6, v2, v3
	v_ffbh_i32_e32 v5, v3
	v_ashrrev_i32_e32 v6, 31, v6
	v_add_u32_e32 v5, -1, v5
	v_add_u32_e32 v6, 32, v6
	v_min_u32_e32 v5, v5, v6
	v_lshlrev_b64 v[2:3], v5, v[2:3]
	v_min_u32_e32 v2, 1, v2
	v_or_b32_e32 v2, v3, v2
	v_cvt_f32_i32_e32 v2, v2
	v_sub_u32_e32 v3, 32, v5
	v_ldexp_f32 v2, v2, v3
	v_bfe_u32 v3, v2, 16, 1
	v_add3_u32 v2, v2, v3, s0
	v_lshrrev_b32_e32 v2, 16, v2
	s_mov_b64 s[0:1], 0
	s_branch .LBB416_634
.LBB416_631:
	s_mov_b64 s[0:1], -1
                                        ; implicit-def: $vgpr2
	s_branch .LBB416_640
.LBB416_632:
	s_mov_b64 s[0:1], -1
                                        ; implicit-def: $vgpr2
	s_branch .LBB416_637
.LBB416_633:
	s_mov_b64 s[0:1], -1
                                        ; implicit-def: $vgpr2
.LBB416_634:
	s_andn2_b64 vcc, exec, s[0:1]
	s_cbranch_vccnz .LBB416_636
; %bb.635:
	global_load_dword v2, v[0:1], off
	s_movk_i32 s0, 0x7fff
	s_waitcnt vmcnt(0)
	v_cvt_f32_i32_e32 v2, v2
	v_bfe_u32 v3, v2, 16, 1
	v_add3_u32 v2, v2, v3, s0
	v_lshrrev_b32_e32 v2, 16, v2
.LBB416_636:
	s_mov_b64 s[0:1], 0
.LBB416_637:
	s_andn2_b64 vcc, exec, s[0:1]
	s_cbranch_vccnz .LBB416_639
; %bb.638:
	global_load_sshort v2, v[0:1], off
	s_movk_i32 s0, 0x7fff
	s_waitcnt vmcnt(0)
	v_cvt_f32_i32_e32 v2, v2
	v_bfe_u32 v3, v2, 16, 1
	v_add3_u32 v2, v2, v3, s0
	v_lshrrev_b32_e32 v2, 16, v2
.LBB416_639:
	s_mov_b64 s[0:1], 0
.LBB416_640:
	s_andn2_b64 vcc, exec, s[0:1]
	s_cbranch_vccnz .LBB416_646
; %bb.641:
	s_cmp_gt_i32 s34, 0
	s_cbranch_scc0 .LBB416_643
; %bb.642:
	global_load_sbyte v2, v[0:1], off
	s_movk_i32 s0, 0x7fff
	s_waitcnt vmcnt(0)
	v_cvt_f32_i32_e32 v2, v2
	v_bfe_u32 v3, v2, 16, 1
	v_add3_u32 v2, v2, v3, s0
	v_lshrrev_b32_e32 v2, 16, v2
	s_mov_b64 s[0:1], 0
	s_branch .LBB416_644
.LBB416_643:
	s_mov_b64 s[0:1], -1
                                        ; implicit-def: $vgpr2
.LBB416_644:
	s_andn2_b64 vcc, exec, s[0:1]
	s_cbranch_vccnz .LBB416_646
; %bb.645:
	global_load_ubyte v0, v[0:1], off
	s_movk_i32 s0, 0x7fff
	s_waitcnt vmcnt(0)
	v_cvt_f32_ubyte0_e32 v0, v0
	v_bfe_u32 v1, v0, 16, 1
	v_add3_u32 v0, v0, v1, s0
	v_lshrrev_b32_e32 v2, 16, v0
.LBB416_646:
	s_mov_b64 s[0:1], -1
.LBB416_647:
	s_andn2_b64 vcc, exec, s[0:1]
	s_cbranch_vccnz .LBB416_655
; %bb.648:
	s_waitcnt vmcnt(0)
	v_lshlrev_b32_e32 v0, 16, v2
	v_cmp_u_f32_e32 vcc, v0, v0
	v_cmp_lt_f32_e64 s[0:1], s44, v0
	v_mov_b32_e32 v0, s33
	s_or_b64 vcc, vcc, s[0:1]
	v_cndmask_b32_e32 v2, v0, v2, vcc
	v_mul_lo_u32 v0, v4, s8
	v_ashrrev_i32_e32 v1, 31, v0
	s_and_b32 s36, s42, 0xff
	s_cmp_lt_i32 s36, 11
	v_lshl_add_u64 v[0:1], s[4:5], 0, v[0:1]
	s_cbranch_scc1 .LBB416_656
; %bb.649:
	s_and_b32 s37, 0xffff, s36
	s_cmp_gt_i32 s37, 25
	s_cbranch_scc0 .LBB416_657
; %bb.650:
	s_cmp_gt_i32 s37, 28
	s_cbranch_scc0 .LBB416_658
; %bb.651:
	;; [unrolled: 3-line block ×4, first 2 shown]
	s_mov_b64 s[30:31], 0
	s_mov_b64 s[0:1], -1
	s_cmp_eq_u32 s37, 46
	s_mov_b64 s[28:29], 0
	s_cbranch_scc0 .LBB416_661
; %bb.654:
	v_and_b32_e32 v3, 0xffff, v2
	global_store_dword v[0:1], v3, off
	s_mov_b64 s[28:29], -1
	s_mov_b64 s[0:1], 0
	s_branch .LBB416_661
.LBB416_655:
	s_mov_b64 s[30:31], 0
	s_mov_b64 s[0:1], s[20:21]
	s_branch .LBB416_772
.LBB416_656:
	s_mov_b64 s[30:31], -1
	s_mov_b64 s[28:29], 0
	s_mov_b64 s[0:1], s[20:21]
	s_branch .LBB416_730
.LBB416_657:
	s_mov_b64 s[30:31], -1
	s_mov_b64 s[28:29], 0
	s_mov_b64 s[0:1], s[20:21]
	s_branch .LBB416_688
.LBB416_658:
	s_mov_b64 s[30:31], -1
	s_mov_b64 s[28:29], 0
	s_mov_b64 s[0:1], s[20:21]
	s_branch .LBB416_671
.LBB416_659:
	s_mov_b64 s[30:31], -1
	s_mov_b64 s[28:29], 0
	s_mov_b64 s[0:1], s[20:21]
	s_branch .LBB416_667
.LBB416_660:
	s_mov_b64 s[30:31], -1
	s_mov_b64 s[28:29], 0
	s_mov_b64 s[0:1], s[20:21]
.LBB416_661:
	s_and_b64 vcc, exec, s[30:31]
	s_cbranch_vccz .LBB416_666
; %bb.662:
	s_cmp_eq_u32 s37, 44
	s_mov_b64 s[0:1], -1
	s_cbranch_scc0 .LBB416_666
; %bb.663:
	v_and_b32_e32 v5, 0xffff, v2
	v_bfe_u32 v3, v5, 7, 8
	s_movk_i32 s0, 0xff
	v_cmp_ne_u32_e32 vcc, s0, v3
	v_mov_b32_e32 v6, 0xff
	s_and_saveexec_b64 s[28:29], vcc
	s_cbranch_execz .LBB416_665
; %bb.664:
	v_lshlrev_b32_e32 v7, 16, v5
	s_mov_b32 s0, 0x3f0000
	v_lshrrev_b32_e32 v6, 7, v5
	v_and_b32_e32 v5, 64, v5
	v_and_or_b32 v3, v7, s0, v3
	v_cmp_ne_u32_e32 vcc, 0, v5
	v_cmp_ne_u32_e64 s[0:1], 0, v3
	s_and_b64 s[0:1], vcc, s[0:1]
	s_nop 0
	v_cndmask_b32_e64 v3, 0, 1, s[0:1]
	v_add_u32_e32 v6, v6, v3
.LBB416_665:
	s_or_b64 exec, exec, s[28:29]
	s_mov_b64 s[28:29], -1
	s_mov_b64 s[0:1], 0
	global_store_byte v[0:1], v6, off
.LBB416_666:
	s_mov_b64 s[30:31], 0
.LBB416_667:
	s_and_b64 vcc, exec, s[30:31]
	s_cbranch_vccz .LBB416_670
; %bb.668:
	s_cmp_eq_u32 s37, 29
	s_mov_b64 s[0:1], -1
	s_cbranch_scc0 .LBB416_670
; %bb.669:
	v_lshlrev_b32_e32 v3, 16, v2
	v_trunc_f32_e32 v3, v3
	v_mul_f32_e32 v5, 0x2f800000, v3
	v_floor_f32_e32 v5, v5
	v_fmamk_f32 v3, v5, 0xcf800000, v3
	v_cvt_u32_f32_e32 v7, v5
	v_cvt_u32_f32_e32 v6, v3
	s_mov_b64 s[28:29], -1
	s_mov_b64 s[0:1], 0
	s_mov_b64 s[30:31], 0
	global_store_dwordx2 v[0:1], v[6:7], off
	s_branch .LBB416_671
.LBB416_670:
	s_mov_b64 s[30:31], 0
.LBB416_671:
	s_and_b64 vcc, exec, s[30:31]
	s_cbranch_vccz .LBB416_687
; %bb.672:
	s_cmp_lt_i32 s37, 27
	s_mov_b64 s[28:29], -1
	s_cbranch_scc1 .LBB416_678
; %bb.673:
	s_cmp_gt_i32 s37, 27
	s_cbranch_scc0 .LBB416_675
; %bb.674:
	v_lshlrev_b32_e32 v3, 16, v2
	v_cvt_u32_f32_e32 v3, v3
	s_mov_b64 s[28:29], 0
	global_store_dword v[0:1], v3, off
.LBB416_675:
	s_andn2_b64 vcc, exec, s[28:29]
	s_cbranch_vccnz .LBB416_677
; %bb.676:
	v_lshlrev_b32_e32 v3, 16, v2
	v_cvt_u32_f32_e32 v3, v3
	global_store_short v[0:1], v3, off
.LBB416_677:
	s_mov_b64 s[28:29], 0
.LBB416_678:
	s_andn2_b64 vcc, exec, s[28:29]
	s_cbranch_vccnz .LBB416_686
; %bb.679:
	v_lshlrev_b32_e32 v6, 16, v2
	v_and_b32_e32 v5, 0x7fffffff, v6
	s_mov_b32 s28, 0x43800000
	v_cmp_gt_u32_e32 vcc, s28, v5
	v_mov_b32_e32 v7, 0x80
	s_and_saveexec_b64 s[28:29], vcc
	s_cbranch_execz .LBB416_685
; %bb.680:
	s_mov_b32 s30, 0x3bffffff
	v_and_b32_e32 v3, 0xffff, v2
	v_cmp_lt_u32_e32 vcc, s30, v5
	s_mov_b64 s[30:31], 0
                                        ; implicit-def: $vgpr5
	s_and_saveexec_b64 s[34:35], vcc
	s_xor_b64 s[34:35], exec, s[34:35]
	s_cbranch_execz .LBB416_787
; %bb.681:
	v_bfe_u32 v5, v3, 4, 1
	s_mov_b32 s39, 0x487ffff
	v_add3_u32 v5, v6, v5, s39
	s_mov_b64 s[30:31], exec
	v_lshrrev_b32_e32 v5, 20, v5
                                        ; implicit-def: $vgpr6
	s_andn2_saveexec_b64 s[34:35], s[34:35]
	s_cbranch_execnz .LBB416_788
.LBB416_682:
	s_or_b64 exec, exec, s[34:35]
	v_mov_b32_e32 v7, 0
	s_and_saveexec_b64 s[34:35], s[30:31]
.LBB416_683:
	v_lshrrev_b32_e32 v3, 8, v3
	s_movk_i32 s30, 0x80
	v_and_or_b32 v7, v3, s30, v5
.LBB416_684:
	s_or_b64 exec, exec, s[34:35]
.LBB416_685:
	s_or_b64 exec, exec, s[28:29]
	global_store_byte v[0:1], v7, off
.LBB416_686:
	s_mov_b64 s[28:29], -1
.LBB416_687:
	s_mov_b64 s[30:31], 0
.LBB416_688:
	s_and_b64 vcc, exec, s[30:31]
	s_cbranch_vccz .LBB416_729
; %bb.689:
	s_cmp_gt_i32 s37, 22
	s_mov_b64 s[30:31], -1
	s_cbranch_scc0 .LBB416_721
; %bb.690:
	s_cmp_lt_i32 s37, 24
	s_mov_b64 s[28:29], -1
	s_cbranch_scc1 .LBB416_710
; %bb.691:
	s_cmp_gt_i32 s37, 24
	s_cbranch_scc0 .LBB416_699
; %bb.692:
	v_lshlrev_b32_e32 v6, 16, v2
	v_and_b32_e32 v5, 0x7fffffff, v6
	s_mov_b32 s28, 0x47800000
	v_cmp_gt_u32_e32 vcc, s28, v5
	v_mov_b32_e32 v7, 0x80
	s_and_saveexec_b64 s[28:29], vcc
	s_cbranch_execz .LBB416_698
; %bb.693:
	s_mov_b32 s30, 0x37ffffff
	v_and_b32_e32 v3, 0xffff, v2
	v_cmp_lt_u32_e32 vcc, s30, v5
	s_mov_b64 s[30:31], 0
                                        ; implicit-def: $vgpr5
	s_and_saveexec_b64 s[34:35], vcc
	s_xor_b64 s[34:35], exec, s[34:35]
	s_cbranch_execz .LBB416_790
; %bb.694:
	v_bfe_u32 v5, v3, 5, 1
	s_mov_b32 s39, 0x88fffff
	v_add3_u32 v5, v6, v5, s39
	s_mov_b64 s[30:31], exec
	v_lshrrev_b32_e32 v5, 21, v5
                                        ; implicit-def: $vgpr6
	s_andn2_saveexec_b64 s[34:35], s[34:35]
	s_cbranch_execnz .LBB416_791
.LBB416_695:
	s_or_b64 exec, exec, s[34:35]
	v_mov_b32_e32 v7, 0
	s_and_saveexec_b64 s[34:35], s[30:31]
.LBB416_696:
	v_lshrrev_b32_e32 v3, 8, v3
	s_movk_i32 s30, 0x80
	v_and_or_b32 v7, v3, s30, v5
.LBB416_697:
	s_or_b64 exec, exec, s[34:35]
.LBB416_698:
	s_or_b64 exec, exec, s[28:29]
	s_mov_b64 s[28:29], 0
	global_store_byte v[0:1], v7, off
.LBB416_699:
	s_and_b64 vcc, exec, s[28:29]
	s_cbranch_vccz .LBB416_709
; %bb.700:
	v_lshlrev_b32_e32 v6, 16, v2
	v_and_b32_e32 v7, 0x7fffffff, v6
	s_mov_b32 s28, 0x43f00000
	v_and_b32_e32 v3, 0xffff, v2
	v_cmp_gt_u32_e32 vcc, s28, v7
                                        ; implicit-def: $vgpr5
	s_and_saveexec_b64 s[28:29], vcc
	s_xor_b64 s[28:29], exec, s[28:29]
	s_cbranch_execz .LBB416_706
; %bb.701:
	s_mov_b32 s30, 0x3c7fffff
	v_cmp_lt_u32_e32 vcc, s30, v7
                                        ; implicit-def: $vgpr5
	s_and_saveexec_b64 s[30:31], vcc
	s_xor_b64 s[30:31], exec, s[30:31]
; %bb.702:
	v_bfe_u32 v5, v3, 4, 1
	s_mov_b32 s34, 0x407ffff
	v_add3_u32 v5, v6, v5, s34
	v_lshrrev_b32_e32 v6, 20, v5
	v_and_b32_e32 v5, 0xff00000, v5
	s_mov_b32 s34, 0x7f00000
	v_mov_b32_e32 v7, 0x7e
	v_cmp_ne_u32_e32 vcc, s34, v5
	s_nop 1
	v_cndmask_b32_e32 v5, v7, v6, vcc
                                        ; implicit-def: $vgpr6
; %bb.703:
	s_andn2_saveexec_b64 s[30:31], s[30:31]
; %bb.704:
	s_mov_b32 s34, 0x46800000
	v_add_f32_e64 v5, |v6|, s34
; %bb.705:
	s_or_b64 exec, exec, s[30:31]
                                        ; implicit-def: $vgpr7
.LBB416_706:
	s_andn2_saveexec_b64 s[28:29], s[28:29]
; %bb.707:
	s_mov_b32 s30, 0x7f800000
	v_mov_b32_e32 v5, 0x7e
	v_mov_b32_e32 v6, 0x7f
	v_cmp_lt_u32_e32 vcc, s30, v7
	s_nop 1
	v_cndmask_b32_e32 v5, v5, v6, vcc
; %bb.708:
	s_or_b64 exec, exec, s[28:29]
	v_lshrrev_b32_e32 v3, 8, v3
	s_movk_i32 s28, 0x80
	v_and_or_b32 v3, v3, s28, v5
	global_store_byte v[0:1], v3, off
.LBB416_709:
	s_mov_b64 s[28:29], 0
.LBB416_710:
	s_andn2_b64 vcc, exec, s[28:29]
	s_cbranch_vccnz .LBB416_720
; %bb.711:
	v_lshlrev_b32_e32 v6, 16, v2
	v_and_b32_e32 v7, 0x7fffffff, v6
	s_mov_b32 s28, 0x47800000
	v_and_b32_e32 v3, 0xffff, v2
	v_cmp_gt_u32_e32 vcc, s28, v7
                                        ; implicit-def: $vgpr5
	s_and_saveexec_b64 s[28:29], vcc
	s_xor_b64 s[28:29], exec, s[28:29]
	s_cbranch_execz .LBB416_717
; %bb.712:
	s_mov_b32 s30, 0x387fffff
	v_cmp_lt_u32_e32 vcc, s30, v7
                                        ; implicit-def: $vgpr5
	s_and_saveexec_b64 s[30:31], vcc
	s_xor_b64 s[30:31], exec, s[30:31]
; %bb.713:
	v_bfe_u32 v5, v3, 5, 1
	s_mov_b32 s34, 0x80fffff
	v_add3_u32 v5, v6, v5, s34
	v_lshrrev_b32_e32 v5, 21, v5
                                        ; implicit-def: $vgpr6
; %bb.714:
	s_andn2_saveexec_b64 s[30:31], s[30:31]
; %bb.715:
	s_mov_b32 s34, 0x43000000
	v_add_f32_e64 v5, |v6|, s34
; %bb.716:
	s_or_b64 exec, exec, s[30:31]
                                        ; implicit-def: $vgpr7
.LBB416_717:
	s_andn2_saveexec_b64 s[28:29], s[28:29]
; %bb.718:
	s_mov_b32 s30, 0x7f800000
	v_mov_b32_e32 v5, 0x7c
	v_mov_b32_e32 v6, 0x7f
	v_cmp_lt_u32_e32 vcc, s30, v7
	s_nop 1
	v_cndmask_b32_e32 v5, v5, v6, vcc
; %bb.719:
	s_or_b64 exec, exec, s[28:29]
	v_lshrrev_b32_e32 v3, 8, v3
	s_movk_i32 s28, 0x80
	v_and_or_b32 v3, v3, s28, v5
	global_store_byte v[0:1], v3, off
.LBB416_720:
	s_mov_b64 s[30:31], 0
	s_mov_b64 s[28:29], -1
.LBB416_721:
	s_andn2_b64 vcc, exec, s[30:31]
	s_cbranch_vccnz .LBB416_729
; %bb.722:
	s_cmp_gt_i32 s37, 14
	s_mov_b64 s[30:31], -1
	s_cbranch_scc0 .LBB416_726
; %bb.723:
	s_cmp_eq_u32 s37, 15
	s_mov_b64 s[0:1], -1
	s_cbranch_scc0 .LBB416_725
; %bb.724:
	global_store_short v[0:1], v2, off
	s_mov_b64 s[28:29], -1
	s_mov_b64 s[0:1], 0
.LBB416_725:
	s_mov_b64 s[30:31], 0
.LBB416_726:
	s_and_b64 vcc, exec, s[30:31]
	s_cbranch_vccz .LBB416_729
; %bb.727:
	s_cmp_eq_u32 s37, 11
	s_mov_b64 s[0:1], -1
	s_cbranch_scc0 .LBB416_729
; %bb.728:
	v_and_b32_e32 v3, 0x7fff, v2
	v_cmp_ne_u16_e32 vcc, 0, v3
	s_mov_b64 s[28:29], -1
	s_mov_b64 s[0:1], 0
	v_cndmask_b32_e64 v3, 0, 1, vcc
	global_store_byte v[0:1], v3, off
.LBB416_729:
	s_mov_b64 s[30:31], 0
.LBB416_730:
	s_and_b64 vcc, exec, s[30:31]
	s_cbranch_vccz .LBB416_769
; %bb.731:
	s_and_b32 s30, 0xffff, s36
	s_cmp_lt_i32 s30, 5
	s_mov_b64 s[28:29], -1
	s_cbranch_scc1 .LBB416_752
; %bb.732:
	s_cmp_lt_i32 s30, 8
	s_cbranch_scc1 .LBB416_742
; %bb.733:
	s_cmp_lt_i32 s30, 9
	s_cbranch_scc1 .LBB416_739
; %bb.734:
	s_cmp_gt_i32 s30, 9
	s_cbranch_scc0 .LBB416_736
; %bb.735:
	v_lshlrev_b32_e32 v3, 16, v2
	v_mov_b32_e32 v8, 0
	v_cvt_f64_f32_e32 v[6:7], v3
	v_mov_b32_e32 v9, v8
	s_mov_b64 s[28:29], 0
	global_store_dwordx4 v[0:1], v[6:9], off
.LBB416_736:
	s_andn2_b64 vcc, exec, s[28:29]
	s_cbranch_vccnz .LBB416_738
; %bb.737:
	v_lshlrev_b32_e32 v6, 16, v2
	v_mov_b32_e32 v7, 0
	global_store_dwordx2 v[0:1], v[6:7], off
.LBB416_738:
	s_mov_b64 s[28:29], 0
.LBB416_739:
	s_andn2_b64 vcc, exec, s[28:29]
	s_cbranch_vccnz .LBB416_741
; %bb.740:
	v_lshlrev_b32_e32 v3, 16, v2
	v_cvt_f16_f32_e32 v3, v3
	global_store_dword v[0:1], v3, off
.LBB416_741:
	s_mov_b64 s[28:29], 0
.LBB416_742:
	s_andn2_b64 vcc, exec, s[28:29]
	s_cbranch_vccnz .LBB416_751
; %bb.743:
	s_cmp_lt_i32 s30, 6
	s_mov_b64 s[28:29], -1
	s_cbranch_scc1 .LBB416_749
; %bb.744:
	s_cmp_gt_i32 s30, 6
	s_cbranch_scc0 .LBB416_746
; %bb.745:
	v_lshlrev_b32_e32 v3, 16, v2
	v_cvt_f64_f32_e32 v[6:7], v3
	s_mov_b64 s[28:29], 0
	global_store_dwordx2 v[0:1], v[6:7], off
.LBB416_746:
	s_andn2_b64 vcc, exec, s[28:29]
	s_cbranch_vccnz .LBB416_748
; %bb.747:
	v_lshlrev_b32_e32 v3, 16, v2
	global_store_dword v[0:1], v3, off
.LBB416_748:
	s_mov_b64 s[28:29], 0
.LBB416_749:
	s_andn2_b64 vcc, exec, s[28:29]
	s_cbranch_vccnz .LBB416_751
; %bb.750:
	v_lshlrev_b32_e32 v3, 16, v2
	v_cvt_f16_f32_e32 v3, v3
	global_store_short v[0:1], v3, off
.LBB416_751:
	s_mov_b64 s[28:29], 0
.LBB416_752:
	s_andn2_b64 vcc, exec, s[28:29]
	s_cbranch_vccnz .LBB416_768
; %bb.753:
	s_cmp_lt_i32 s30, 2
	s_mov_b64 s[28:29], -1
	s_cbranch_scc1 .LBB416_763
; %bb.754:
	s_cmp_lt_i32 s30, 3
	s_cbranch_scc1 .LBB416_760
; %bb.755:
	s_cmp_gt_i32 s30, 3
	s_cbranch_scc0 .LBB416_757
; %bb.756:
	v_lshlrev_b32_e32 v3, 16, v2
	v_trunc_f32_e32 v3, v3
	s_mov_b32 s28, 0x2f800000
	v_mul_f32_e64 v5, |v3|, s28
	v_floor_f32_e32 v5, v5
	s_mov_b32 s28, 0xcf800000
	v_cvt_u32_f32_e32 v6, v5
	v_fma_f32 v5, v5, s28, |v3|
	v_cvt_u32_f32_e32 v5, v5
	v_ashrrev_i32_e32 v3, 31, v3
	v_xor_b32_e32 v7, v6, v3
	s_mov_b64 s[28:29], 0
	v_xor_b32_e32 v5, v5, v3
	v_sub_co_u32_e32 v6, vcc, v5, v3
	s_nop 1
	v_subb_co_u32_e32 v7, vcc, v7, v3, vcc
	global_store_dwordx2 v[0:1], v[6:7], off
.LBB416_757:
	s_andn2_b64 vcc, exec, s[28:29]
	s_cbranch_vccnz .LBB416_759
; %bb.758:
	v_lshlrev_b32_e32 v3, 16, v2
	v_cvt_i32_f32_e32 v3, v3
	global_store_dword v[0:1], v3, off
.LBB416_759:
	s_mov_b64 s[28:29], 0
.LBB416_760:
	s_andn2_b64 vcc, exec, s[28:29]
	s_cbranch_vccnz .LBB416_762
; %bb.761:
	v_lshlrev_b32_e32 v3, 16, v2
	v_cvt_i32_f32_e32 v3, v3
	global_store_short v[0:1], v3, off
.LBB416_762:
	s_mov_b64 s[28:29], 0
.LBB416_763:
	s_andn2_b64 vcc, exec, s[28:29]
	s_cbranch_vccnz .LBB416_768
; %bb.764:
	s_mov_b64 s[28:29], -1
	s_cmp_gt_i32 s30, 0
	v_lshlrev_b32_e32 v2, 16, v2
	s_cbranch_scc0 .LBB416_766
; %bb.765:
	v_cvt_i32_f32_e32 v3, v2
	s_mov_b64 s[28:29], 0
	global_store_byte v[0:1], v3, off
.LBB416_766:
	s_andn2_b64 vcc, exec, s[28:29]
	s_cbranch_vccnz .LBB416_768
; %bb.767:
	v_trunc_f32_e32 v2, v2
	s_mov_b32 s28, 0x2f800000
	v_mul_f32_e64 v3, |v2|, s28
	v_floor_f32_e32 v3, v3
	s_mov_b32 s28, 0xcf800000
	v_fma_f32 v3, v3, s28, |v2|
	v_cvt_u32_f32_e32 v3, v3
	v_ashrrev_i32_e32 v2, 31, v2
	v_xor_b32_e32 v3, v3, v2
	v_sub_u32_e32 v2, v3, v2
	global_store_byte v[0:1], v2, off
.LBB416_768:
	s_mov_b64 s[28:29], -1
.LBB416_769:
	s_andn2_b64 vcc, exec, s[28:29]
	s_cbranch_vccnz .LBB416_771
; %bb.770:
	v_add_u32_e32 v4, 0x80, v4
	s_mov_b64 s[30:31], -1
	s_branch .LBB416_773
.LBB416_771:
	s_mov_b64 s[30:31], 0
.LBB416_772:
                                        ; implicit-def: $vgpr4
.LBB416_773:
	s_andn2_b64 s[28:29], s[20:21], exec
	s_and_b64 s[0:1], s[0:1], exec
	s_or_b64 s[28:29], s[28:29], s[0:1]
	s_andn2_b64 s[0:1], s[18:19], exec
	s_and_b64 s[26:27], s[26:27], exec
	s_or_b64 s[0:1], s[0:1], s[26:27]
	s_orn2_b64 s[34:35], s[30:31], exec
.LBB416_774:
	s_or_b64 exec, exec, s[24:25]
	s_mov_b64 s[30:31], 0
	s_mov_b64 s[26:27], 0
	;; [unrolled: 1-line block ×3, first 2 shown]
                                        ; implicit-def: $vgpr0_vgpr1
                                        ; implicit-def: $vgpr3
	s_and_saveexec_b64 s[24:25], s[34:35]
	s_cbranch_execz .LBB416_859
; %bb.775:
	v_cmp_gt_i32_e32 vcc, s38, v4
	s_mov_b64 s[34:35], 0
	s_mov_b64 s[38:39], s[0:1]
	;; [unrolled: 1-line block ×3, first 2 shown]
                                        ; implicit-def: $vgpr0_vgpr1
                                        ; implicit-def: $vgpr3
	s_and_saveexec_b64 s[26:27], vcc
	s_cbranch_execz .LBB416_858
; %bb.776:
	v_mul_lo_u32 v0, v4, s9
	v_ashrrev_i32_e32 v1, 31, v0
	s_and_b32 s45, 0xffff, s43
	s_cmp_lt_i32 s45, 11
	v_lshl_add_u64 v[0:1], s[6:7], 0, v[0:1]
	s_cbranch_scc1 .LBB416_783
; %bb.777:
	s_cmp_gt_i32 s45, 25
	s_cbranch_scc0 .LBB416_784
; %bb.778:
	s_cmp_gt_i32 s45, 28
	s_cbranch_scc0 .LBB416_785
	;; [unrolled: 3-line block ×4, first 2 shown]
; %bb.781:
	s_cmp_eq_u32 s45, 46
	s_mov_b64 s[38:39], 0
	s_cbranch_scc0 .LBB416_792
; %bb.782:
	global_load_dword v3, v[0:1], off
	s_mov_b64 s[36:37], -1
	s_branch .LBB416_794
.LBB416_783:
	s_mov_b64 s[38:39], -1
                                        ; implicit-def: $vgpr3
	s_mov_b64 s[30:31], s[0:1]
	s_branch .LBB416_857
.LBB416_784:
	s_mov_b64 s[38:39], -1
	s_mov_b64 s[30:31], s[0:1]
                                        ; implicit-def: $vgpr3
	s_branch .LBB416_823
.LBB416_785:
	s_mov_b64 s[38:39], -1
	s_mov_b64 s[30:31], s[0:1]
                                        ; implicit-def: $vgpr3
	s_branch .LBB416_804
.LBB416_786:
	s_mov_b64 s[38:39], -1
	s_mov_b64 s[30:31], s[0:1]
                                        ; implicit-def: $vgpr3
	s_branch .LBB416_799
.LBB416_787:
	s_andn2_saveexec_b64 s[34:35], s[34:35]
	s_cbranch_execz .LBB416_682
.LBB416_788:
	s_mov_b32 s39, 0x46000000
	v_add_f32_e64 v5, |v6|, s39
	v_and_b32_e32 v5, 0xff, v5
	v_cmp_ne_u32_e32 vcc, 0, v5
	s_andn2_b64 s[30:31], s[30:31], exec
	s_and_b64 s[40:41], vcc, exec
	s_or_b64 s[30:31], s[30:31], s[40:41]
	s_or_b64 exec, exec, s[34:35]
	v_mov_b32_e32 v7, 0
	s_and_saveexec_b64 s[34:35], s[30:31]
	s_cbranch_execnz .LBB416_683
	s_branch .LBB416_684
.LBB416_789:
	s_mov_b64 s[38:39], -1
	s_mov_b64 s[30:31], s[0:1]
	s_branch .LBB416_793
.LBB416_790:
	s_andn2_saveexec_b64 s[34:35], s[34:35]
	s_cbranch_execz .LBB416_695
.LBB416_791:
	s_mov_b32 s39, 0x42800000
	v_add_f32_e64 v5, |v6|, s39
	v_and_b32_e32 v5, 0xff, v5
	v_cmp_ne_u32_e32 vcc, 0, v5
	s_andn2_b64 s[30:31], s[30:31], exec
	s_and_b64 s[40:41], vcc, exec
	s_or_b64 s[30:31], s[30:31], s[40:41]
	s_or_b64 exec, exec, s[34:35]
	v_mov_b32_e32 v7, 0
	s_and_saveexec_b64 s[34:35], s[30:31]
	s_cbranch_execnz .LBB416_696
	s_branch .LBB416_697
.LBB416_792:
	s_mov_b64 s[30:31], -1
.LBB416_793:
                                        ; implicit-def: $vgpr3
.LBB416_794:
	s_and_b64 vcc, exec, s[38:39]
	s_cbranch_vccz .LBB416_798
; %bb.795:
	s_cmp_eq_u32 s45, 44
	s_cbranch_scc0 .LBB416_797
; %bb.796:
	global_load_ubyte v2, v[0:1], off
	s_movk_i32 s36, 0xff
	s_waitcnt vmcnt(1)
	v_mov_b32_e32 v3, 0x7f800001
	v_mov_b32_e32 v5, 0x400000
	;; [unrolled: 1-line block ×3, first 2 shown]
	s_mov_b64 s[30:31], 0
	s_waitcnt vmcnt(0)
	v_lshlrev_b32_e32 v7, 23, v2
	v_cmp_ne_u32_e32 vcc, s36, v2
	s_mov_b64 s[36:37], -1
	s_nop 0
	v_cndmask_b32_e32 v3, v3, v7, vcc
	v_cmp_ne_u32_e32 vcc, 0, v2
	s_nop 1
	v_cndmask_b32_e32 v2, v5, v3, vcc
	v_add_u32_e32 v3, 0x7fff, v2
	v_cmp_o_f32_e32 vcc, v2, v2
	s_nop 1
	v_cndmask_b32_sdwa v3, v6, v3, vcc dst_sel:DWORD dst_unused:UNUSED_PAD src0_sel:DWORD src1_sel:WORD_1
	s_branch .LBB416_798
.LBB416_797:
	s_mov_b64 s[30:31], -1
                                        ; implicit-def: $vgpr3
.LBB416_798:
	s_mov_b64 s[38:39], 0
.LBB416_799:
	s_and_b64 vcc, exec, s[38:39]
	s_cbranch_vccz .LBB416_803
; %bb.800:
	s_cmp_eq_u32 s45, 29
	s_cbranch_scc0 .LBB416_802
; %bb.801:
	global_load_dwordx2 v[2:3], v[0:1], off
	s_movk_i32 s36, 0x7fff
	s_mov_b64 s[30:31], 0
	s_mov_b64 s[38:39], 0
	s_waitcnt vmcnt(0)
	v_ffbh_u32_e32 v5, v3
	v_min_u32_e32 v5, 32, v5
	v_lshlrev_b64 v[2:3], v5, v[2:3]
	v_min_u32_e32 v2, 1, v2
	v_or_b32_e32 v2, v3, v2
	v_cvt_f32_u32_e32 v2, v2
	v_sub_u32_e32 v3, 32, v5
	v_ldexp_f32 v2, v2, v3
	v_bfe_u32 v3, v2, 16, 1
	v_add3_u32 v2, v2, v3, s36
	v_lshrrev_b32_e32 v3, 16, v2
	s_mov_b64 s[36:37], -1
	s_branch .LBB416_804
.LBB416_802:
	s_mov_b64 s[30:31], -1
                                        ; implicit-def: $vgpr3
.LBB416_803:
	s_mov_b64 s[38:39], 0
.LBB416_804:
	s_and_b64 vcc, exec, s[38:39]
	s_cbranch_vccz .LBB416_822
; %bb.805:
	s_cmp_lt_i32 s45, 27
	s_cbranch_scc1 .LBB416_808
; %bb.806:
	s_cmp_gt_i32 s45, 27
	s_cbranch_scc0 .LBB416_809
; %bb.807:
	global_load_dword v2, v[0:1], off
	s_movk_i32 s36, 0x7fff
	s_waitcnt vmcnt(0)
	v_cvt_f32_u32_e32 v2, v2
	v_bfe_u32 v3, v2, 16, 1
	v_add3_u32 v2, v2, v3, s36
	v_lshrrev_b32_e32 v3, 16, v2
	s_mov_b64 s[36:37], 0
	s_branch .LBB416_810
.LBB416_808:
	s_mov_b64 s[36:37], -1
                                        ; implicit-def: $vgpr3
	s_branch .LBB416_813
.LBB416_809:
	s_mov_b64 s[36:37], -1
                                        ; implicit-def: $vgpr3
.LBB416_810:
	s_andn2_b64 vcc, exec, s[36:37]
	s_cbranch_vccnz .LBB416_812
; %bb.811:
	global_load_ushort v2, v[0:1], off
	s_movk_i32 s36, 0x7fff
	s_waitcnt vmcnt(0)
	v_cvt_f32_u32_e32 v2, v2
	v_bfe_u32 v3, v2, 16, 1
	v_add3_u32 v2, v2, v3, s36
	v_lshrrev_b32_e32 v3, 16, v2
.LBB416_812:
	s_mov_b64 s[36:37], 0
.LBB416_813:
	s_andn2_b64 vcc, exec, s[36:37]
	s_cbranch_vccnz .LBB416_821
; %bb.814:
	global_load_ubyte v2, v[0:1], off
	s_movk_i32 s36, 0x7f
	s_waitcnt vmcnt(0)
	v_cmp_lt_i16_e32 vcc, s36, v2
	s_mov_b64 s[36:37], 0
	s_and_saveexec_b64 s[38:39], vcc
	s_xor_b64 s[38:39], exec, s[38:39]
	s_cbranch_execz .LBB416_835
; %bb.815:
	s_movk_i32 s36, 0x80
	v_cmp_eq_u16_e32 vcc, s36, v2
	s_mov_b64 s[36:37], -1
	s_and_saveexec_b64 s[40:41], vcc
; %bb.816:
	s_xor_b64 s[36:37], exec, -1
; %bb.817:
	s_or_b64 exec, exec, s[40:41]
	s_and_b64 s[36:37], s[36:37], exec
	s_or_saveexec_b64 s[38:39], s[38:39]
	v_mov_b32_e32 v3, 0x7f800001
	s_xor_b64 exec, exec, s[38:39]
	s_cbranch_execnz .LBB416_836
.LBB416_818:
	s_or_b64 exec, exec, s[38:39]
	s_and_saveexec_b64 s[38:39], s[36:37]
	s_cbranch_execz .LBB416_820
.LBB416_819:
	v_lshlrev_b32_e32 v3, 24, v2
	v_and_b32_e32 v2, 0xffff, v2
	v_and_b32_e32 v5, 7, v2
	v_ffbh_u32_e32 v7, v5
	v_min_u32_e32 v7, 32, v7
	v_subrev_u32_e32 v8, 28, v7
	v_bfe_u32 v6, v2, 3, 4
	v_lshlrev_b32_e32 v2, v8, v2
	v_sub_u32_e32 v7, 29, v7
	v_and_b32_e32 v2, 7, v2
	v_cmp_eq_u32_e32 vcc, 0, v6
	v_and_b32_e32 v3, 0x80000000, v3
	s_nop 0
	v_cndmask_b32_e32 v6, v6, v7, vcc
	v_cndmask_b32_e32 v2, v5, v2, vcc
	v_mov_b32_e32 v5, 0x3b800000
	v_lshlrev_b32_e32 v2, 20, v2
	v_lshl_add_u32 v5, v6, 23, v5
	v_or3_b32 v3, v3, v5, v2
.LBB416_820:
	s_or_b64 exec, exec, s[38:39]
	v_bfe_u32 v2, v3, 16, 1
	s_movk_i32 s36, 0x7fff
	v_add3_u32 v2, v3, v2, s36
	v_cmp_o_f32_e32 vcc, v3, v3
	v_mov_b32_e32 v3, 0x7fc0
	s_nop 0
	v_cndmask_b32_sdwa v3, v3, v2, vcc dst_sel:DWORD dst_unused:UNUSED_PAD src0_sel:DWORD src1_sel:WORD_1
.LBB416_821:
	s_mov_b64 s[36:37], -1
.LBB416_822:
	s_mov_b64 s[38:39], 0
.LBB416_823:
	s_and_b64 vcc, exec, s[38:39]
	s_cbranch_vccz .LBB416_856
; %bb.824:
	s_cmp_gt_i32 s45, 22
	s_cbranch_scc0 .LBB416_834
; %bb.825:
	s_cmp_lt_i32 s45, 24
	s_cbranch_scc1 .LBB416_837
; %bb.826:
	s_cmp_gt_i32 s45, 24
	s_cbranch_scc0 .LBB416_838
; %bb.827:
	global_load_ubyte v2, v[0:1], off
	s_movk_i32 s34, 0x7f
	s_waitcnt vmcnt(0)
	v_cmp_lt_i16_e32 vcc, s34, v2
	s_mov_b64 s[34:35], 0
	s_and_saveexec_b64 s[36:37], vcc
	s_xor_b64 s[36:37], exec, s[36:37]
	s_cbranch_execz .LBB416_850
; %bb.828:
	s_movk_i32 s34, 0x80
	v_cmp_eq_u16_e32 vcc, s34, v2
	s_mov_b64 s[34:35], -1
	s_and_saveexec_b64 s[38:39], vcc
; %bb.829:
	s_xor_b64 s[34:35], exec, -1
; %bb.830:
	s_or_b64 exec, exec, s[38:39]
	s_and_b64 s[34:35], s[34:35], exec
	s_or_saveexec_b64 s[36:37], s[36:37]
	v_mov_b32_e32 v3, 0x7f800001
	s_xor_b64 exec, exec, s[36:37]
	s_cbranch_execnz .LBB416_851
.LBB416_831:
	s_or_b64 exec, exec, s[36:37]
	s_and_saveexec_b64 s[36:37], s[34:35]
	s_cbranch_execz .LBB416_833
.LBB416_832:
	v_lshlrev_b32_e32 v3, 24, v2
	v_and_b32_e32 v2, 0xffff, v2
	v_and_b32_e32 v5, 3, v2
	v_ffbh_u32_e32 v7, v5
	v_min_u32_e32 v7, 32, v7
	v_subrev_u32_e32 v8, 29, v7
	v_bfe_u32 v6, v2, 2, 5
	v_lshlrev_b32_e32 v2, v8, v2
	v_sub_u32_e32 v7, 30, v7
	v_and_b32_e32 v2, 3, v2
	v_cmp_eq_u32_e32 vcc, 0, v6
	v_and_b32_e32 v3, 0x80000000, v3
	s_nop 0
	v_cndmask_b32_e32 v6, v6, v7, vcc
	v_cndmask_b32_e32 v2, v5, v2, vcc
	v_mov_b32_e32 v5, 0x37800000
	v_lshlrev_b32_e32 v2, 21, v2
	v_lshl_add_u32 v5, v6, 23, v5
	v_or3_b32 v3, v3, v5, v2
.LBB416_833:
	s_or_b64 exec, exec, s[36:37]
	v_bfe_u32 v2, v3, 16, 1
	s_movk_i32 s34, 0x7fff
	v_add3_u32 v2, v3, v2, s34
	v_cmp_o_f32_e32 vcc, v3, v3
	v_mov_b32_e32 v3, 0x7fc0
	s_mov_b64 s[34:35], 0
	v_cndmask_b32_sdwa v3, v3, v2, vcc dst_sel:DWORD dst_unused:UNUSED_PAD src0_sel:DWORD src1_sel:WORD_1
	s_branch .LBB416_839
.LBB416_834:
	s_mov_b64 s[34:35], -1
                                        ; implicit-def: $vgpr3
	s_branch .LBB416_845
.LBB416_835:
	s_or_saveexec_b64 s[38:39], s[38:39]
	v_mov_b32_e32 v3, 0x7f800001
	s_xor_b64 exec, exec, s[38:39]
	s_cbranch_execz .LBB416_818
.LBB416_836:
	v_cmp_ne_u16_e32 vcc, 0, v2
	s_andn2_b64 s[36:37], s[36:37], exec
	s_and_b64 s[40:41], vcc, exec
	v_mov_b32_e32 v3, 0
	s_or_b64 s[36:37], s[36:37], s[40:41]
	s_or_b64 exec, exec, s[38:39]
	s_and_saveexec_b64 s[38:39], s[36:37]
	s_cbranch_execnz .LBB416_819
	s_branch .LBB416_820
.LBB416_837:
	s_mov_b64 s[34:35], -1
                                        ; implicit-def: $vgpr3
	s_branch .LBB416_842
.LBB416_838:
	s_mov_b64 s[34:35], -1
                                        ; implicit-def: $vgpr3
.LBB416_839:
	s_and_b64 vcc, exec, s[34:35]
	s_cbranch_vccz .LBB416_841
; %bb.840:
	global_load_ubyte v2, v[0:1], off
	s_mov_b32 s34, 0x7f800000
	s_brev_b32 s35, 1
	s_movk_i32 s36, 0x7fff
	s_waitcnt vmcnt(0)
	v_lshlrev_b32_e32 v2, 24, v2
	v_and_b32_e32 v3, 0x7f000000, v2
	v_ffbh_u32_e32 v5, v3
	v_min_u32_e32 v5, 32, v5
	v_sub_u32_e64 v5, v5, 4 clamp
	v_lshlrev_b32_e32 v7, v5, v3
	v_lshlrev_b32_e32 v5, 23, v5
	v_lshrrev_b32_e32 v7, 4, v7
	v_add_u32_e32 v6, 0x1000000, v3
	v_sub_u32_e32 v5, v7, v5
	v_ashrrev_i32_e32 v6, 8, v6
	v_add_u32_e32 v5, 0x3c000000, v5
	v_and_or_b32 v5, v6, s34, v5
	v_cmp_ne_u32_e32 vcc, 0, v3
	s_nop 1
	v_cndmask_b32_e32 v3, 0, v5, vcc
	v_and_or_b32 v2, v2, s35, v3
	v_bfe_u32 v3, v3, 16, 1
	v_add3_u32 v3, v2, v3, s36
	v_cmp_o_f32_e32 vcc, v2, v2
	v_mov_b32_e32 v2, 0x7fc0
	s_nop 0
	v_cndmask_b32_sdwa v3, v2, v3, vcc dst_sel:DWORD dst_unused:UNUSED_PAD src0_sel:DWORD src1_sel:WORD_1
.LBB416_841:
	s_mov_b64 s[34:35], 0
.LBB416_842:
	s_andn2_b64 vcc, exec, s[34:35]
	s_cbranch_vccnz .LBB416_844
; %bb.843:
	global_load_ubyte v2, v[0:1], off
	s_movk_i32 s34, 0x7f00
	s_brev_b32 s35, 16
	s_brev_b32 s36, 1
	s_movk_i32 s37, 0x7fff
	s_waitcnt vmcnt(0)
	v_lshlrev_b16_e32 v3, 8, v2
	v_lshlrev_b32_e32 v2, 25, v2
	v_lshrrev_b32_e32 v5, 4, v2
	v_and_or_b32 v6, v3, s34, 0.5
	v_or_b32_e32 v5, 0x70000000, v5
	v_add_f32_e32 v6, -0.5, v6
	v_mul_f32_e32 v5, 0x7800000, v5
	v_cmp_gt_u32_e32 vcc, s35, v2
	v_bfe_i32 v3, v3, 0, 16
	s_nop 0
	v_cndmask_b32_e32 v2, v5, v6, vcc
	v_and_or_b32 v3, v3, s36, v2
	v_bfe_u32 v2, v2, 16, 1
	v_add3_u32 v2, v3, v2, s37
	v_cmp_o_f32_e32 vcc, v3, v3
	v_mov_b32_e32 v3, 0x7fc0
	s_nop 0
	v_cndmask_b32_sdwa v3, v3, v2, vcc dst_sel:DWORD dst_unused:UNUSED_PAD src0_sel:DWORD src1_sel:WORD_1
.LBB416_844:
	s_mov_b64 s[34:35], 0
	s_mov_b64 s[36:37], -1
.LBB416_845:
	s_andn2_b64 vcc, exec, s[34:35]
	s_mov_b64 s[34:35], 0
	s_cbranch_vccnz .LBB416_856
; %bb.846:
	s_cmp_gt_i32 s45, 14
	s_cbranch_scc0 .LBB416_849
; %bb.847:
	s_cmp_eq_u32 s45, 15
	s_cbranch_scc0 .LBB416_852
; %bb.848:
	global_load_ushort v3, v[0:1], off
	s_mov_b64 s[30:31], 0
	s_mov_b64 s[36:37], -1
	s_branch .LBB416_853
.LBB416_849:
	s_mov_b64 s[38:39], -1
                                        ; implicit-def: $vgpr3
	s_branch .LBB416_854
.LBB416_850:
	s_or_saveexec_b64 s[36:37], s[36:37]
	v_mov_b32_e32 v3, 0x7f800001
	s_xor_b64 exec, exec, s[36:37]
	s_cbranch_execz .LBB416_831
.LBB416_851:
	v_cmp_ne_u16_e32 vcc, 0, v2
	s_andn2_b64 s[34:35], s[34:35], exec
	s_and_b64 s[38:39], vcc, exec
	v_mov_b32_e32 v3, 0
	s_or_b64 s[34:35], s[34:35], s[38:39]
	s_or_b64 exec, exec, s[36:37]
	s_and_saveexec_b64 s[36:37], s[34:35]
	s_cbranch_execnz .LBB416_832
	s_branch .LBB416_833
.LBB416_852:
	s_mov_b64 s[30:31], -1
                                        ; implicit-def: $vgpr3
.LBB416_853:
	s_mov_b64 s[38:39], 0
.LBB416_854:
	s_and_b64 vcc, exec, s[38:39]
	s_cbranch_vccz .LBB416_856
; %bb.855:
	s_cmp_lg_u32 s45, 11
	s_cselect_b64 s[38:39], -1, 0
	s_andn2_b64 s[30:31], s[30:31], exec
	s_and_b64 s[38:39], s[38:39], exec
	s_mov_b64 s[34:35], -1
	s_or_b64 s[30:31], s[30:31], s[38:39]
.LBB416_856:
	s_mov_b64 s[38:39], 0
.LBB416_857:
	s_and_b64 s[40:41], s[38:39], exec
	s_andn2_b64 s[38:39], s[0:1], exec
	s_and_b64 s[30:31], s[30:31], exec
	s_and_b64 s[36:37], s[36:37], exec
	;; [unrolled: 1-line block ×3, first 2 shown]
	s_or_b64 s[38:39], s[38:39], s[30:31]
.LBB416_858:
	s_or_b64 exec, exec, s[26:27]
	s_and_b64 s[30:31], s[34:35], exec
	s_andn2_b64 s[0:1], s[0:1], exec
	s_and_b64 s[34:35], s[38:39], exec
	s_and_b64 s[36:37], s[36:37], exec
	;; [unrolled: 1-line block ×3, first 2 shown]
	s_or_b64 s[0:1], s[0:1], s[34:35]
.LBB416_859:
	s_or_b64 exec, exec, s[24:25]
	s_andn2_b64 s[20:21], s[20:21], exec
	s_and_b64 s[24:25], s[28:29], exec
	s_andn2_b64 s[18:19], s[18:19], exec
	s_and_b64 s[0:1], s[0:1], exec
	s_or_b64 s[20:21], s[20:21], s[24:25]
	s_and_b64 s[28:29], s[36:37], exec
	s_and_b64 s[26:27], s[26:27], exec
	s_and_b64 s[24:25], s[30:31], exec
	s_or_b64 s[18:19], s[18:19], s[0:1]
.LBB416_860:
	s_or_b64 exec, exec, s[22:23]
	s_andn2_b64 s[0:1], s[12:13], exec
	s_and_b64 s[12:13], s[20:21], exec
	s_andn2_b64 s[14:15], s[14:15], exec
	s_and_b64 s[18:19], s[18:19], exec
	s_or_b64 s[12:13], s[0:1], s[12:13]
	s_and_b64 s[0:1], s[28:29], exec
	s_and_b64 s[22:23], s[26:27], exec
	;; [unrolled: 1-line block ×3, first 2 shown]
	s_or_b64 s[14:15], s[14:15], s[18:19]
	s_or_b64 exec, exec, s[16:17]
	s_mov_b64 s[16:17], 0
	s_and_saveexec_b64 s[18:19], s[14:15]
	s_cbranch_execz .LBB416_262
.LBB416_861:
	s_mov_b64 s[16:17], exec
	s_andn2_b64 s[20:21], s[20:21], exec
	s_trap 2
	s_or_b64 exec, exec, s[18:19]
	s_and_saveexec_b64 s[14:15], s[20:21]
	s_xor_b64 s[14:15], exec, s[14:15]
	s_cbranch_execnz .LBB416_263
.LBB416_862:
	s_or_b64 exec, exec, s[14:15]
	s_and_saveexec_b64 s[14:15], s[22:23]
	s_cbranch_execz .LBB416_908
.LBB416_863:
	s_sext_i32_i16 s18, s43
	s_cmp_lt_i32 s18, 5
	s_cbranch_scc1 .LBB416_868
; %bb.864:
	s_cmp_lt_i32 s18, 8
	s_cbranch_scc1 .LBB416_869
; %bb.865:
	;; [unrolled: 3-line block ×3, first 2 shown]
	s_cmp_gt_i32 s18, 9
	s_cbranch_scc0 .LBB416_871
; %bb.867:
	global_load_dwordx2 v[2:3], v[0:1], off
	s_movk_i32 s18, 0x7fff
	v_mov_b32_e32 v5, 0x7fc0
	s_waitcnt vmcnt(0)
	v_cvt_f32_f64_e32 v2, v[2:3]
	v_bfe_u32 v3, v2, 16, 1
	v_cmp_o_f32_e32 vcc, v2, v2
	v_add3_u32 v2, v2, v3, s18
	s_mov_b64 s[18:19], 0
	v_cndmask_b32_sdwa v3, v5, v2, vcc dst_sel:DWORD dst_unused:UNUSED_PAD src0_sel:DWORD src1_sel:WORD_1
	s_branch .LBB416_872
.LBB416_868:
                                        ; implicit-def: $vgpr3
	s_branch .LBB416_889
.LBB416_869:
                                        ; implicit-def: $vgpr3
	s_branch .LBB416_878
.LBB416_870:
	s_mov_b64 s[18:19], -1
                                        ; implicit-def: $vgpr3
	s_branch .LBB416_875
.LBB416_871:
	s_mov_b64 s[18:19], -1
                                        ; implicit-def: $vgpr3
.LBB416_872:
	s_andn2_b64 vcc, exec, s[18:19]
	s_cbranch_vccnz .LBB416_874
; %bb.873:
	global_load_dword v2, v[0:1], off
	s_movk_i32 s18, 0x7fff
	s_waitcnt vmcnt(1)
	v_mov_b32_e32 v3, 0x7fc0
	s_waitcnt vmcnt(0)
	v_bfe_u32 v5, v2, 16, 1
	v_cmp_o_f32_e32 vcc, v2, v2
	v_add3_u32 v2, v2, v5, s18
	s_nop 0
	v_cndmask_b32_sdwa v3, v3, v2, vcc dst_sel:DWORD dst_unused:UNUSED_PAD src0_sel:DWORD src1_sel:WORD_1
.LBB416_874:
	s_mov_b64 s[18:19], 0
.LBB416_875:
	s_andn2_b64 vcc, exec, s[18:19]
	s_cbranch_vccnz .LBB416_877
; %bb.876:
	global_load_dword v2, v[0:1], off
	s_movk_i32 s18, 0x7fff
	v_mov_b32_e32 v5, 0x7fc0
	s_waitcnt vmcnt(0)
	v_cvt_f32_f16_e32 v3, v2
	v_cmp_o_f16_e32 vcc, v2, v2
	v_bfe_u32 v2, v3, 16, 1
	v_add3_u32 v2, v3, v2, s18
	v_cndmask_b32_sdwa v3, v5, v2, vcc dst_sel:DWORD dst_unused:UNUSED_PAD src0_sel:DWORD src1_sel:WORD_1
.LBB416_877:
	s_cbranch_execnz .LBB416_888
.LBB416_878:
	s_sext_i32_i16 s18, s43
	s_cmp_lt_i32 s18, 6
	s_cbranch_scc1 .LBB416_881
; %bb.879:
	s_cmp_gt_i32 s18, 6
	s_cbranch_scc0 .LBB416_882
; %bb.880:
	global_load_dwordx2 v[2:3], v[0:1], off
	s_movk_i32 s18, 0x7fff
	v_mov_b32_e32 v5, 0x7fc0
	s_waitcnt vmcnt(0)
	v_cvt_f32_f64_e32 v2, v[2:3]
	v_bfe_u32 v3, v2, 16, 1
	v_cmp_o_f32_e32 vcc, v2, v2
	v_add3_u32 v2, v2, v3, s18
	s_mov_b64 s[18:19], 0
	v_cndmask_b32_sdwa v3, v5, v2, vcc dst_sel:DWORD dst_unused:UNUSED_PAD src0_sel:DWORD src1_sel:WORD_1
	s_branch .LBB416_883
.LBB416_881:
	s_mov_b64 s[18:19], -1
                                        ; implicit-def: $vgpr3
	s_branch .LBB416_886
.LBB416_882:
	s_mov_b64 s[18:19], -1
                                        ; implicit-def: $vgpr3
.LBB416_883:
	s_andn2_b64 vcc, exec, s[18:19]
	s_cbranch_vccnz .LBB416_885
; %bb.884:
	global_load_dword v2, v[0:1], off
	s_movk_i32 s18, 0x7fff
	s_waitcnt vmcnt(1)
	v_mov_b32_e32 v3, 0x7fc0
	s_waitcnt vmcnt(0)
	v_bfe_u32 v5, v2, 16, 1
	v_cmp_o_f32_e32 vcc, v2, v2
	v_add3_u32 v2, v2, v5, s18
	s_nop 0
	v_cndmask_b32_sdwa v3, v3, v2, vcc dst_sel:DWORD dst_unused:UNUSED_PAD src0_sel:DWORD src1_sel:WORD_1
.LBB416_885:
	s_mov_b64 s[18:19], 0
.LBB416_886:
	s_andn2_b64 vcc, exec, s[18:19]
	s_cbranch_vccnz .LBB416_888
; %bb.887:
	global_load_ushort v2, v[0:1], off
	s_movk_i32 s18, 0x7fff
	v_mov_b32_e32 v5, 0x7fc0
	s_waitcnt vmcnt(0)
	v_cvt_f32_f16_e32 v3, v2
	v_cmp_o_f16_e32 vcc, v2, v2
	v_bfe_u32 v2, v3, 16, 1
	v_add3_u32 v2, v3, v2, s18
	v_cndmask_b32_sdwa v3, v5, v2, vcc dst_sel:DWORD dst_unused:UNUSED_PAD src0_sel:DWORD src1_sel:WORD_1
.LBB416_888:
	s_cbranch_execnz .LBB416_907
.LBB416_889:
	s_sext_i32_i16 s18, s43
	s_cmp_lt_i32 s18, 2
	s_cbranch_scc1 .LBB416_893
; %bb.890:
	s_cmp_lt_i32 s18, 3
	s_cbranch_scc1 .LBB416_894
; %bb.891:
	s_cmp_gt_i32 s18, 3
	s_cbranch_scc0 .LBB416_895
; %bb.892:
	global_load_dwordx2 v[2:3], v[0:1], off
	s_movk_i32 s18, 0x7fff
	s_waitcnt vmcnt(0)
	v_xor_b32_e32 v6, v2, v3
	v_ffbh_i32_e32 v5, v3
	v_ashrrev_i32_e32 v6, 31, v6
	v_add_u32_e32 v5, -1, v5
	v_add_u32_e32 v6, 32, v6
	v_min_u32_e32 v5, v5, v6
	v_lshlrev_b64 v[2:3], v5, v[2:3]
	v_min_u32_e32 v2, 1, v2
	v_or_b32_e32 v2, v3, v2
	v_cvt_f32_i32_e32 v2, v2
	v_sub_u32_e32 v3, 32, v5
	v_ldexp_f32 v2, v2, v3
	v_bfe_u32 v3, v2, 16, 1
	v_add3_u32 v2, v2, v3, s18
	v_lshrrev_b32_e32 v3, 16, v2
	s_mov_b64 s[18:19], 0
	s_branch .LBB416_896
.LBB416_893:
                                        ; implicit-def: $vgpr3
	s_branch .LBB416_902
.LBB416_894:
	s_mov_b64 s[18:19], -1
                                        ; implicit-def: $vgpr3
	s_branch .LBB416_899
.LBB416_895:
	s_mov_b64 s[18:19], -1
                                        ; implicit-def: $vgpr3
.LBB416_896:
	s_andn2_b64 vcc, exec, s[18:19]
	s_cbranch_vccnz .LBB416_898
; %bb.897:
	global_load_dword v2, v[0:1], off
	s_movk_i32 s18, 0x7fff
	s_waitcnt vmcnt(0)
	v_cvt_f32_i32_e32 v2, v2
	v_bfe_u32 v3, v2, 16, 1
	v_add3_u32 v2, v2, v3, s18
	v_lshrrev_b32_e32 v3, 16, v2
.LBB416_898:
	s_mov_b64 s[18:19], 0
.LBB416_899:
	s_andn2_b64 vcc, exec, s[18:19]
	s_cbranch_vccnz .LBB416_901
; %bb.900:
	global_load_sshort v2, v[0:1], off
	s_movk_i32 s18, 0x7fff
	s_waitcnt vmcnt(0)
	v_cvt_f32_i32_e32 v2, v2
	v_bfe_u32 v3, v2, 16, 1
	v_add3_u32 v2, v2, v3, s18
	v_lshrrev_b32_e32 v3, 16, v2
.LBB416_901:
	s_cbranch_execnz .LBB416_907
.LBB416_902:
	s_sext_i32_i16 s18, s43
	s_cmp_gt_i32 s18, 0
	s_cbranch_scc0 .LBB416_904
; %bb.903:
	global_load_sbyte v2, v[0:1], off
	s_movk_i32 s18, 0x7fff
	s_waitcnt vmcnt(0)
	v_cvt_f32_i32_e32 v2, v2
	v_bfe_u32 v3, v2, 16, 1
	v_add3_u32 v2, v2, v3, s18
	v_lshrrev_b32_e32 v3, 16, v2
	s_mov_b64 s[18:19], 0
	s_branch .LBB416_905
.LBB416_904:
	s_mov_b64 s[18:19], -1
                                        ; implicit-def: $vgpr3
.LBB416_905:
	s_andn2_b64 vcc, exec, s[18:19]
	s_cbranch_vccnz .LBB416_907
; %bb.906:
	global_load_ubyte v0, v[0:1], off
	s_movk_i32 s18, 0x7fff
	s_waitcnt vmcnt(0)
	v_cvt_f32_ubyte0_e32 v0, v0
	v_bfe_u32 v1, v0, 16, 1
	v_add3_u32 v0, v0, v1, s18
	v_lshrrev_b32_e32 v3, 16, v0
.LBB416_907:
	s_or_b64 s[0:1], s[0:1], exec
.LBB416_908:
	s_or_b64 exec, exec, s[14:15]
	s_mov_b64 s[20:21], 0
	s_mov_b64 s[18:19], 0
                                        ; implicit-def: $sgpr26
                                        ; implicit-def: $vgpr0_vgpr1
                                        ; implicit-def: $vgpr2
	s_and_saveexec_b64 s[14:15], s[0:1]
	s_cbranch_execz .LBB416_926
; %bb.909:
	s_waitcnt vmcnt(0)
	v_lshlrev_b32_e32 v0, 16, v3
	v_cmp_u_f32_e32 vcc, v0, v0
	v_cmp_lt_f32_e64 s[0:1], s44, v0
	v_mov_b32_e32 v0, s33
	s_or_b64 vcc, vcc, s[0:1]
	v_cndmask_b32_e32 v2, v0, v3, vcc
	v_mul_lo_u32 v0, v4, s8
	v_ashrrev_i32_e32 v1, 31, v0
	s_and_b32 s26, s42, 0xff
	s_cmp_lt_i32 s26, 11
	v_lshl_add_u64 v[0:1], s[4:5], 0, v[0:1]
	s_cbranch_scc1 .LBB416_929
; %bb.910:
	s_and_b32 s27, 0xffff, s26
	s_mov_b64 s[20:21], -1
	s_cmp_gt_i32 s27, 25
	s_mov_b64 s[0:1], s[12:13]
	s_cbranch_scc0 .LBB416_947
; %bb.911:
	s_mov_b64 s[18:19], -1
	s_cmp_gt_i32 s27, 28
	s_mov_b64 s[0:1], s[12:13]
	s_cbranch_scc0 .LBB416_931
; %bb.912:
	s_cmp_gt_i32 s27, 43
	s_mov_b64 s[0:1], s[12:13]
	s_cbranch_scc0 .LBB416_923
; %bb.913:
	;; [unrolled: 4-line block ×3, first 2 shown]
	s_cmp_eq_u32 s27, 46
	s_mov_b64 s[0:1], -1
	s_cbranch_scc0 .LBB416_916
; %bb.915:
	v_and_b32_e32 v3, 0xffff, v2
	global_store_dword v[0:1], v3, off
	s_mov_b64 s[0:1], 0
.LBB416_916:
	s_mov_b64 s[18:19], 0
.LBB416_917:
	s_and_b64 vcc, exec, s[18:19]
	s_cbranch_vccz .LBB416_922
; %bb.918:
	s_cmp_eq_u32 s27, 44
	s_mov_b64 s[0:1], -1
	s_cbranch_scc0 .LBB416_922
; %bb.919:
	v_and_b32_e32 v4, 0xffff, v2
	v_bfe_u32 v3, v4, 7, 8
	s_movk_i32 s0, 0xff
	v_cmp_ne_u32_e32 vcc, s0, v3
	v_mov_b32_e32 v5, 0xff
	s_and_saveexec_b64 s[18:19], vcc
	s_cbranch_execz .LBB416_921
; %bb.920:
	v_lshlrev_b32_e32 v6, 16, v4
	s_mov_b32 s0, 0x3f0000
	v_lshrrev_b32_e32 v5, 7, v4
	v_and_b32_e32 v4, 64, v4
	v_and_or_b32 v3, v6, s0, v3
	v_cmp_ne_u32_e32 vcc, 0, v4
	v_cmp_ne_u32_e64 s[0:1], 0, v3
	s_and_b64 s[0:1], vcc, s[0:1]
	s_nop 0
	v_cndmask_b32_e64 v3, 0, 1, s[0:1]
	v_add_u32_e32 v5, v5, v3
.LBB416_921:
	s_or_b64 exec, exec, s[18:19]
	s_mov_b64 s[0:1], 0
	global_store_byte v[0:1], v5, off
.LBB416_922:
	s_mov_b64 s[18:19], 0
.LBB416_923:
	s_and_b64 vcc, exec, s[18:19]
	s_cbranch_vccz .LBB416_930
; %bb.924:
	s_cmp_eq_u32 s27, 29
	s_mov_b64 s[0:1], -1
	s_cbranch_scc0 .LBB416_930
; %bb.925:
	v_lshlrev_b32_e32 v3, 16, v2
	v_trunc_f32_e32 v3, v3
	v_mul_f32_e32 v4, 0x2f800000, v3
	v_floor_f32_e32 v4, v4
	v_fmamk_f32 v3, v4, 0xcf800000, v3
	v_cvt_u32_f32_e32 v5, v4
	v_cvt_u32_f32_e32 v4, v3
	s_mov_b64 s[0:1], 0
	s_mov_b64 s[18:19], 0
	global_store_dwordx2 v[0:1], v[4:5], off
	s_branch .LBB416_931
.LBB416_926:
	s_or_b64 exec, exec, s[14:15]
	s_and_saveexec_b64 s[0:1], s[12:13]
	s_cbranch_execnz .LBB416_989
.LBB416_927:
	s_or_b64 exec, exec, s[0:1]
	s_and_saveexec_b64 s[0:1], s[20:21]
	s_xor_b64 s[0:1], exec, s[0:1]
	s_cbranch_execz .LBB416_990
.LBB416_928:
	s_waitcnt vmcnt(0)
	v_and_b32_e32 v3, 0x7fff, v2
	v_cmp_ne_u16_e32 vcc, 0, v3
	s_nop 1
	v_cndmask_b32_e64 v3, 0, 1, vcc
	global_store_byte v[0:1], v3, off
	s_or_b64 exec, exec, s[0:1]
	s_and_saveexec_b64 s[0:1], s[18:19]
	s_xor_b64 s[0:1], exec, s[0:1]
	s_cbranch_execz .LBB416_1028
	s_branch .LBB416_991
.LBB416_929:
	s_mov_b64 s[18:19], -1
	s_mov_b64 s[0:1], s[12:13]
	s_branch .LBB416_988
.LBB416_930:
	s_mov_b64 s[18:19], 0
.LBB416_931:
	s_and_b64 vcc, exec, s[18:19]
	s_cbranch_vccz .LBB416_946
; %bb.932:
	s_cmp_lt_i32 s27, 27
	s_mov_b64 s[18:19], -1
	s_cbranch_scc1 .LBB416_938
; %bb.933:
	s_cmp_gt_i32 s27, 27
	s_cbranch_scc0 .LBB416_935
; %bb.934:
	v_lshlrev_b32_e32 v3, 16, v2
	v_cvt_u32_f32_e32 v3, v3
	s_mov_b64 s[18:19], 0
	global_store_dword v[0:1], v3, off
.LBB416_935:
	s_andn2_b64 vcc, exec, s[18:19]
	s_cbranch_vccnz .LBB416_937
; %bb.936:
	v_lshlrev_b32_e32 v3, 16, v2
	v_cvt_u32_f32_e32 v3, v3
	global_store_short v[0:1], v3, off
.LBB416_937:
	s_mov_b64 s[18:19], 0
.LBB416_938:
	s_andn2_b64 vcc, exec, s[18:19]
	s_cbranch_vccnz .LBB416_946
; %bb.939:
	v_lshlrev_b32_e32 v5, 16, v2
	v_and_b32_e32 v4, 0x7fffffff, v5
	s_mov_b32 s18, 0x43800000
	v_cmp_gt_u32_e32 vcc, s18, v4
	v_mov_b32_e32 v6, 0x80
	s_and_saveexec_b64 s[18:19], vcc
	s_cbranch_execz .LBB416_945
; %bb.940:
	s_mov_b32 s20, 0x3bffffff
	v_and_b32_e32 v3, 0xffff, v2
	v_cmp_lt_u32_e32 vcc, s20, v4
	s_mov_b64 s[20:21], 0
                                        ; implicit-def: $vgpr4
	s_and_saveexec_b64 s[22:23], vcc
	s_xor_b64 s[22:23], exec, s[22:23]
	s_cbranch_execz .LBB416_1043
; %bb.941:
	v_bfe_u32 v4, v3, 4, 1
	s_mov_b32 s24, 0x487ffff
	v_add3_u32 v4, v5, v4, s24
	s_mov_b64 s[20:21], exec
	v_lshrrev_b32_e32 v4, 20, v4
                                        ; implicit-def: $vgpr5
	s_andn2_saveexec_b64 s[22:23], s[22:23]
	s_cbranch_execnz .LBB416_1044
.LBB416_942:
	s_or_b64 exec, exec, s[22:23]
	v_mov_b32_e32 v6, 0
	s_and_saveexec_b64 s[22:23], s[20:21]
.LBB416_943:
	v_lshrrev_b32_e32 v3, 8, v3
	s_movk_i32 s20, 0x80
	v_and_or_b32 v6, v3, s20, v4
.LBB416_944:
	s_or_b64 exec, exec, s[22:23]
.LBB416_945:
	s_or_b64 exec, exec, s[18:19]
	global_store_byte v[0:1], v6, off
.LBB416_946:
	s_mov_b64 s[20:21], 0
.LBB416_947:
	s_mov_b64 s[18:19], 0
	s_and_b64 vcc, exec, s[20:21]
	s_cbranch_vccz .LBB416_987
; %bb.948:
	s_cmp_gt_i32 s27, 22
	s_mov_b64 s[20:21], -1
	s_cbranch_scc0 .LBB416_980
; %bb.949:
	s_cmp_lt_i32 s27, 24
	s_cbranch_scc1 .LBB416_969
; %bb.950:
	s_cmp_gt_i32 s27, 24
	s_cbranch_scc0 .LBB416_958
; %bb.951:
	v_lshlrev_b32_e32 v5, 16, v2
	v_and_b32_e32 v4, 0x7fffffff, v5
	s_mov_b32 s20, 0x47800000
	v_cmp_gt_u32_e32 vcc, s20, v4
	v_mov_b32_e32 v6, 0x80
	s_and_saveexec_b64 s[20:21], vcc
	s_cbranch_execz .LBB416_957
; %bb.952:
	s_mov_b32 s22, 0x37ffffff
	v_and_b32_e32 v3, 0xffff, v2
	v_cmp_lt_u32_e32 vcc, s22, v4
	s_mov_b64 s[22:23], 0
                                        ; implicit-def: $vgpr4
	s_and_saveexec_b64 s[24:25], vcc
	s_xor_b64 s[24:25], exec, s[24:25]
	s_cbranch_execz .LBB416_1167
; %bb.953:
	v_bfe_u32 v4, v3, 5, 1
	s_mov_b32 s28, 0x88fffff
	v_add3_u32 v4, v5, v4, s28
	s_mov_b64 s[22:23], exec
	v_lshrrev_b32_e32 v4, 21, v4
                                        ; implicit-def: $vgpr5
	s_andn2_saveexec_b64 s[24:25], s[24:25]
	s_cbranch_execnz .LBB416_1168
.LBB416_954:
	s_or_b64 exec, exec, s[24:25]
	v_mov_b32_e32 v6, 0
	s_and_saveexec_b64 s[24:25], s[22:23]
.LBB416_955:
	v_lshrrev_b32_e32 v3, 8, v3
	s_movk_i32 s22, 0x80
	v_and_or_b32 v6, v3, s22, v4
.LBB416_956:
	s_or_b64 exec, exec, s[24:25]
.LBB416_957:
	s_or_b64 exec, exec, s[20:21]
	s_mov_b64 s[20:21], 0
	global_store_byte v[0:1], v6, off
.LBB416_958:
	s_and_b64 vcc, exec, s[20:21]
	s_cbranch_vccz .LBB416_968
; %bb.959:
	v_lshlrev_b32_e32 v5, 16, v2
	v_and_b32_e32 v6, 0x7fffffff, v5
	s_mov_b32 s20, 0x43f00000
	v_and_b32_e32 v3, 0xffff, v2
	v_cmp_gt_u32_e32 vcc, s20, v6
                                        ; implicit-def: $vgpr4
	s_and_saveexec_b64 s[20:21], vcc
	s_xor_b64 s[20:21], exec, s[20:21]
	s_cbranch_execz .LBB416_965
; %bb.960:
	s_mov_b32 s22, 0x3c7fffff
	v_cmp_lt_u32_e32 vcc, s22, v6
                                        ; implicit-def: $vgpr4
	s_and_saveexec_b64 s[22:23], vcc
	s_xor_b64 s[22:23], exec, s[22:23]
; %bb.961:
	v_bfe_u32 v4, v3, 4, 1
	s_mov_b32 s24, 0x407ffff
	v_add3_u32 v4, v5, v4, s24
	v_lshrrev_b32_e32 v5, 20, v4
	v_and_b32_e32 v4, 0xff00000, v4
	s_mov_b32 s24, 0x7f00000
	v_mov_b32_e32 v6, 0x7e
	v_cmp_ne_u32_e32 vcc, s24, v4
	s_nop 1
	v_cndmask_b32_e32 v4, v6, v5, vcc
                                        ; implicit-def: $vgpr5
; %bb.962:
	s_andn2_saveexec_b64 s[22:23], s[22:23]
; %bb.963:
	s_mov_b32 s24, 0x46800000
	v_add_f32_e64 v4, |v5|, s24
; %bb.964:
	s_or_b64 exec, exec, s[22:23]
                                        ; implicit-def: $vgpr6
.LBB416_965:
	s_andn2_saveexec_b64 s[20:21], s[20:21]
; %bb.966:
	s_mov_b32 s22, 0x7f800000
	v_mov_b32_e32 v4, 0x7e
	v_mov_b32_e32 v5, 0x7f
	v_cmp_lt_u32_e32 vcc, s22, v6
	s_nop 1
	v_cndmask_b32_e32 v4, v4, v5, vcc
; %bb.967:
	s_or_b64 exec, exec, s[20:21]
	v_lshrrev_b32_e32 v3, 8, v3
	s_movk_i32 s20, 0x80
	v_and_or_b32 v3, v3, s20, v4
	global_store_byte v[0:1], v3, off
.LBB416_968:
	s_mov_b64 s[20:21], 0
.LBB416_969:
	s_andn2_b64 vcc, exec, s[20:21]
	s_cbranch_vccnz .LBB416_979
; %bb.970:
	v_lshlrev_b32_e32 v5, 16, v2
	v_and_b32_e32 v6, 0x7fffffff, v5
	s_mov_b32 s20, 0x47800000
	v_and_b32_e32 v3, 0xffff, v2
	v_cmp_gt_u32_e32 vcc, s20, v6
                                        ; implicit-def: $vgpr4
	s_and_saveexec_b64 s[20:21], vcc
	s_xor_b64 s[20:21], exec, s[20:21]
	s_cbranch_execz .LBB416_976
; %bb.971:
	s_mov_b32 s22, 0x387fffff
	v_cmp_lt_u32_e32 vcc, s22, v6
                                        ; implicit-def: $vgpr4
	s_and_saveexec_b64 s[22:23], vcc
	s_xor_b64 s[22:23], exec, s[22:23]
; %bb.972:
	v_bfe_u32 v4, v3, 5, 1
	s_mov_b32 s24, 0x80fffff
	v_add3_u32 v4, v5, v4, s24
	v_lshrrev_b32_e32 v4, 21, v4
                                        ; implicit-def: $vgpr5
; %bb.973:
	s_andn2_saveexec_b64 s[22:23], s[22:23]
; %bb.974:
	s_mov_b32 s24, 0x43000000
	v_add_f32_e64 v4, |v5|, s24
; %bb.975:
	s_or_b64 exec, exec, s[22:23]
                                        ; implicit-def: $vgpr6
.LBB416_976:
	s_andn2_saveexec_b64 s[20:21], s[20:21]
; %bb.977:
	s_mov_b32 s22, 0x7f800000
	v_mov_b32_e32 v4, 0x7c
	v_mov_b32_e32 v5, 0x7f
	v_cmp_lt_u32_e32 vcc, s22, v6
	s_nop 1
	v_cndmask_b32_e32 v4, v4, v5, vcc
; %bb.978:
	s_or_b64 exec, exec, s[20:21]
	v_lshrrev_b32_e32 v3, 8, v3
	s_movk_i32 s20, 0x80
	v_and_or_b32 v3, v3, s20, v4
	global_store_byte v[0:1], v3, off
.LBB416_979:
	s_mov_b64 s[20:21], 0
.LBB416_980:
	s_andn2_b64 vcc, exec, s[20:21]
	s_mov_b64 s[20:21], 0
	s_cbranch_vccnz .LBB416_988
; %bb.981:
	s_cmp_gt_i32 s27, 14
	s_mov_b64 s[22:23], -1
	s_cbranch_scc0 .LBB416_985
; %bb.982:
	s_cmp_eq_u32 s27, 15
	s_mov_b64 s[0:1], -1
	s_cbranch_scc0 .LBB416_984
; %bb.983:
	global_store_short v[0:1], v2, off
	s_mov_b64 s[0:1], 0
.LBB416_984:
	s_mov_b64 s[22:23], 0
.LBB416_985:
	s_and_b64 vcc, exec, s[22:23]
	s_cbranch_vccz .LBB416_988
; %bb.986:
	s_cmp_lg_u32 s27, 11
	s_cselect_b64 s[22:23], -1, 0
	s_andn2_b64 s[0:1], s[0:1], exec
	s_and_b64 s[22:23], s[22:23], exec
	s_mov_b64 s[20:21], -1
	s_or_b64 s[0:1], s[0:1], s[22:23]
	s_branch .LBB416_988
.LBB416_987:
	s_mov_b64 s[20:21], 0
.LBB416_988:
	s_andn2_b64 s[12:13], s[12:13], exec
	s_and_b64 s[0:1], s[0:1], exec
	s_and_b64 s[18:19], s[18:19], exec
	;; [unrolled: 1-line block ×3, first 2 shown]
	s_or_b64 s[12:13], s[12:13], s[0:1]
	s_or_b64 exec, exec, s[14:15]
	s_and_saveexec_b64 s[0:1], s[12:13]
	s_cbranch_execz .LBB416_927
.LBB416_989:
	s_or_b64 s[16:17], s[16:17], exec
	s_andn2_b64 s[20:21], s[20:21], exec
	s_trap 2
	s_or_b64 exec, exec, s[0:1]
	s_and_saveexec_b64 s[0:1], s[20:21]
	s_xor_b64 s[0:1], exec, s[0:1]
	s_cbranch_execnz .LBB416_928
.LBB416_990:
	s_or_b64 exec, exec, s[0:1]
	s_and_saveexec_b64 s[0:1], s[18:19]
	s_xor_b64 s[0:1], exec, s[0:1]
	s_cbranch_execz .LBB416_1028
.LBB416_991:
	s_sext_i32_i16 s14, s26
	s_cmp_lt_i32 s14, 5
	s_mov_b64 s[12:13], -1
	s_cbranch_scc1 .LBB416_1012
; %bb.992:
	s_cmp_lt_i32 s14, 8
	s_cbranch_scc1 .LBB416_1002
; %bb.993:
	s_cmp_lt_i32 s14, 9
	s_cbranch_scc1 .LBB416_999
; %bb.994:
	s_cmp_gt_i32 s14, 9
	s_cbranch_scc0 .LBB416_996
; %bb.995:
	s_waitcnt vmcnt(0)
	v_lshlrev_b32_e32 v3, 16, v2
	v_mov_b32_e32 v6, 0
	v_cvt_f64_f32_e32 v[4:5], v3
	v_mov_b32_e32 v7, v6
	s_mov_b64 s[12:13], 0
	global_store_dwordx4 v[0:1], v[4:7], off
.LBB416_996:
	s_andn2_b64 vcc, exec, s[12:13]
	s_cbranch_vccnz .LBB416_998
; %bb.997:
	s_waitcnt vmcnt(0)
	v_lshlrev_b32_e32 v4, 16, v2
	v_mov_b32_e32 v5, 0
	global_store_dwordx2 v[0:1], v[4:5], off
.LBB416_998:
	s_mov_b64 s[12:13], 0
.LBB416_999:
	s_andn2_b64 vcc, exec, s[12:13]
	s_cbranch_vccnz .LBB416_1001
; %bb.1000:
	s_waitcnt vmcnt(0)
	v_lshlrev_b32_e32 v3, 16, v2
	v_cvt_f16_f32_e32 v3, v3
	global_store_dword v[0:1], v3, off
.LBB416_1001:
	s_mov_b64 s[12:13], 0
.LBB416_1002:
	s_andn2_b64 vcc, exec, s[12:13]
	s_cbranch_vccnz .LBB416_1011
; %bb.1003:
	s_sext_i32_i16 s14, s26
	s_cmp_lt_i32 s14, 6
	s_mov_b64 s[12:13], -1
	s_cbranch_scc1 .LBB416_1009
; %bb.1004:
	s_cmp_gt_i32 s14, 6
	s_cbranch_scc0 .LBB416_1006
; %bb.1005:
	s_waitcnt vmcnt(0)
	v_lshlrev_b32_e32 v3, 16, v2
	v_cvt_f64_f32_e32 v[4:5], v3
	s_mov_b64 s[12:13], 0
	global_store_dwordx2 v[0:1], v[4:5], off
.LBB416_1006:
	s_andn2_b64 vcc, exec, s[12:13]
	s_cbranch_vccnz .LBB416_1008
; %bb.1007:
	s_waitcnt vmcnt(0)
	v_lshlrev_b32_e32 v3, 16, v2
	global_store_dword v[0:1], v3, off
.LBB416_1008:
	s_mov_b64 s[12:13], 0
.LBB416_1009:
	s_andn2_b64 vcc, exec, s[12:13]
	s_cbranch_vccnz .LBB416_1011
; %bb.1010:
	s_waitcnt vmcnt(0)
	v_lshlrev_b32_e32 v3, 16, v2
	v_cvt_f16_f32_e32 v3, v3
	global_store_short v[0:1], v3, off
.LBB416_1011:
	s_mov_b64 s[12:13], 0
.LBB416_1012:
	s_andn2_b64 vcc, exec, s[12:13]
	s_cbranch_vccnz .LBB416_1028
; %bb.1013:
	s_sext_i32_i16 s14, s26
	s_cmp_lt_i32 s14, 2
	s_mov_b64 s[12:13], -1
	s_cbranch_scc1 .LBB416_1023
; %bb.1014:
	s_cmp_lt_i32 s14, 3
	s_cbranch_scc1 .LBB416_1020
; %bb.1015:
	s_cmp_gt_i32 s14, 3
	s_cbranch_scc0 .LBB416_1017
; %bb.1016:
	s_waitcnt vmcnt(0)
	v_lshlrev_b32_e32 v3, 16, v2
	v_trunc_f32_e32 v3, v3
	s_mov_b32 s12, 0x2f800000
	v_mul_f32_e64 v4, |v3|, s12
	v_floor_f32_e32 v4, v4
	s_mov_b32 s12, 0xcf800000
	v_cvt_u32_f32_e32 v5, v4
	v_fma_f32 v4, v4, s12, |v3|
	v_cvt_u32_f32_e32 v4, v4
	v_ashrrev_i32_e32 v3, 31, v3
	v_xor_b32_e32 v5, v5, v3
	s_mov_b64 s[12:13], 0
	v_xor_b32_e32 v4, v4, v3
	v_sub_co_u32_e32 v4, vcc, v4, v3
	s_nop 1
	v_subb_co_u32_e32 v5, vcc, v5, v3, vcc
	global_store_dwordx2 v[0:1], v[4:5], off
.LBB416_1017:
	s_andn2_b64 vcc, exec, s[12:13]
	s_cbranch_vccnz .LBB416_1019
; %bb.1018:
	s_waitcnt vmcnt(0)
	v_lshlrev_b32_e32 v3, 16, v2
	v_cvt_i32_f32_e32 v3, v3
	global_store_dword v[0:1], v3, off
.LBB416_1019:
	s_mov_b64 s[12:13], 0
.LBB416_1020:
	s_andn2_b64 vcc, exec, s[12:13]
	s_cbranch_vccnz .LBB416_1022
; %bb.1021:
	s_waitcnt vmcnt(0)
	v_lshlrev_b32_e32 v3, 16, v2
	v_cvt_i32_f32_e32 v3, v3
	global_store_short v[0:1], v3, off
.LBB416_1022:
	s_mov_b64 s[12:13], 0
.LBB416_1023:
	s_andn2_b64 vcc, exec, s[12:13]
	s_cbranch_vccnz .LBB416_1028
; %bb.1024:
	s_sext_i32_i16 s14, s26
	s_mov_b64 s[12:13], -1
	s_cmp_gt_i32 s14, 0
	s_waitcnt vmcnt(0)
	v_lshlrev_b32_e32 v2, 16, v2
	s_cbranch_scc0 .LBB416_1026
; %bb.1025:
	v_cvt_i32_f32_e32 v3, v2
	s_mov_b64 s[12:13], 0
	global_store_byte v[0:1], v3, off
.LBB416_1026:
	s_andn2_b64 vcc, exec, s[12:13]
	s_cbranch_vccnz .LBB416_1028
; %bb.1027:
	v_trunc_f32_e32 v2, v2
	s_mov_b32 s12, 0x2f800000
	v_mul_f32_e64 v3, |v2|, s12
	v_floor_f32_e32 v3, v3
	s_mov_b32 s12, 0xcf800000
	v_fma_f32 v3, v3, s12, |v2|
	v_cvt_u32_f32_e32 v3, v3
	v_ashrrev_i32_e32 v2, 31, v2
	v_xor_b32_e32 v3, v3, v2
	v_sub_u32_e32 v2, v3, v2
	global_store_byte v[0:1], v2, off
.LBB416_1028:
	s_or_b64 exec, exec, s[0:1]
	s_and_b64 s[12:13], s[16:17], exec
                                        ; implicit-def: $vgpr4
.LBB416_1029:
	s_or_saveexec_b64 s[10:11], s[10:11]
	s_mov_b64 s[0:1], 0
                                        ; implicit-def: $sgpr20
                                        ; implicit-def: $vgpr0_vgpr1
                                        ; implicit-def: $vgpr2
	s_xor_b64 exec, exec, s[10:11]
	s_cbranch_execz .LBB416_1976
; %bb.1030:
	v_mul_lo_u32 v0, s9, v4
	v_ashrrev_i32_e32 v1, 31, v0
	s_and_b32 s22, 0xffff, s43
	s_cmp_lt_i32 s22, 11
	s_waitcnt vmcnt(0)
	v_lshl_add_u64 v[2:3], s[6:7], 0, v[0:1]
	s_cbranch_scc1 .LBB416_1037
; %bb.1031:
	s_cmp_gt_i32 s22, 25
	s_cbranch_scc0 .LBB416_1039
; %bb.1032:
	s_cmp_gt_i32 s22, 28
	s_cbranch_scc0 .LBB416_1040
	;; [unrolled: 3-line block ×4, first 2 shown]
; %bb.1035:
	s_cmp_eq_u32 s22, 46
	s_mov_b64 s[14:15], 0
	s_cbranch_scc0 .LBB416_1045
; %bb.1036:
	global_load_dword v5, v[2:3], off
	s_mov_b64 s[16:17], -1
	s_branch .LBB416_1046
.LBB416_1037:
	s_mov_b64 s[16:17], 0
                                        ; implicit-def: $vgpr5
	s_mov_b64 s[14:15], s[12:13]
	s_cbranch_execnz .LBB416_1108
.LBB416_1038:
	s_andn2_b64 vcc, exec, s[16:17]
	s_cbranch_vccz .LBB416_1153
	s_branch .LBB416_1974
.LBB416_1039:
	s_mov_b64 s[16:17], 0
                                        ; implicit-def: $vgpr5
	s_cbranch_execnz .LBB416_1073
	s_branch .LBB416_1104
.LBB416_1040:
	s_mov_b64 s[16:17], 0
                                        ; implicit-def: $vgpr5
	s_cbranch_execz .LBB416_1072
	s_branch .LBB416_1055
.LBB416_1041:
	s_mov_b64 s[16:17], 0
                                        ; implicit-def: $vgpr5
	s_cbranch_execnz .LBB416_1051
	s_branch .LBB416_1054
.LBB416_1042:
	s_mov_b64 s[14:15], -1
	s_mov_b64 s[16:17], 0
                                        ; implicit-def: $vgpr5
	s_branch .LBB416_1046
.LBB416_1043:
	s_andn2_saveexec_b64 s[22:23], s[22:23]
	s_cbranch_execz .LBB416_942
.LBB416_1044:
	s_mov_b32 s24, 0x46000000
	v_add_f32_e64 v4, |v5|, s24
	v_and_b32_e32 v4, 0xff, v4
	v_cmp_ne_u32_e32 vcc, 0, v4
	s_andn2_b64 s[20:21], s[20:21], exec
	s_and_b64 s[24:25], vcc, exec
	s_or_b64 s[20:21], s[20:21], s[24:25]
	s_or_b64 exec, exec, s[22:23]
	v_mov_b32_e32 v6, 0
	s_and_saveexec_b64 s[22:23], s[20:21]
	s_cbranch_execnz .LBB416_943
	s_branch .LBB416_944
.LBB416_1045:
	s_mov_b64 s[0:1], -1
                                        ; implicit-def: $vgpr5
	s_mov_b64 s[16:17], 0
.LBB416_1046:
	s_and_b64 vcc, exec, s[14:15]
	s_cbranch_vccz .LBB416_1049
; %bb.1047:
	s_cmp_eq_u32 s22, 44
	s_cbranch_scc0 .LBB416_1050
; %bb.1048:
	global_load_ubyte v1, v[2:3], off
	s_movk_i32 s14, 0xff
	s_waitcnt vmcnt(1)
	v_mov_b32_e32 v5, 0x7f800001
	v_mov_b32_e32 v6, 0x400000
	;; [unrolled: 1-line block ×3, first 2 shown]
	s_mov_b64 s[0:1], 0
	s_mov_b64 s[16:17], -1
	s_waitcnt vmcnt(0)
	v_lshlrev_b32_e32 v8, 23, v1
	v_cmp_ne_u32_e32 vcc, s14, v1
	s_nop 1
	v_cndmask_b32_e32 v5, v5, v8, vcc
	v_cmp_ne_u32_e32 vcc, 0, v1
	s_nop 1
	v_cndmask_b32_e32 v1, v6, v5, vcc
	v_add_u32_e32 v5, 0x7fff, v1
	v_cmp_o_f32_e32 vcc, v1, v1
	s_nop 1
	v_cndmask_b32_sdwa v5, v7, v5, vcc dst_sel:DWORD dst_unused:UNUSED_PAD src0_sel:DWORD src1_sel:WORD_1
.LBB416_1049:
	s_branch .LBB416_1054
.LBB416_1050:
	s_mov_b64 s[0:1], -1
                                        ; implicit-def: $vgpr5
	s_branch .LBB416_1054
.LBB416_1051:
	s_cmp_eq_u32 s22, 29
	s_cbranch_scc0 .LBB416_1053
; %bb.1052:
	global_load_dwordx2 v[6:7], v[2:3], off
	s_movk_i32 s14, 0x7fff
	s_mov_b64 s[0:1], 0
	s_mov_b64 s[16:17], -1
	s_waitcnt vmcnt(0)
	v_ffbh_u32_e32 v1, v7
	v_min_u32_e32 v1, 32, v1
	v_lshlrev_b64 v[6:7], v1, v[6:7]
	v_min_u32_e32 v5, 1, v6
	v_or_b32_e32 v5, v7, v5
	v_cvt_f32_u32_e32 v5, v5
	v_sub_u32_e32 v1, 32, v1
	v_ldexp_f32 v1, v5, v1
	v_bfe_u32 v5, v1, 16, 1
	v_add3_u32 v1, v1, v5, s14
	v_lshrrev_b32_e32 v5, 16, v1
	s_branch .LBB416_1054
.LBB416_1053:
	s_mov_b64 s[0:1], -1
                                        ; implicit-def: $vgpr5
.LBB416_1054:
	s_branch .LBB416_1072
.LBB416_1055:
	s_cmp_lt_i32 s22, 27
	s_cbranch_scc1 .LBB416_1058
; %bb.1056:
	s_cmp_gt_i32 s22, 27
	s_cbranch_scc0 .LBB416_1059
; %bb.1057:
	global_load_dword v1, v[2:3], off
	s_movk_i32 s14, 0x7fff
	s_waitcnt vmcnt(0)
	v_cvt_f32_u32_e32 v1, v1
	v_bfe_u32 v5, v1, 16, 1
	v_add3_u32 v1, v1, v5, s14
	v_lshrrev_b32_e32 v5, 16, v1
	s_mov_b64 s[14:15], 0
	s_branch .LBB416_1060
.LBB416_1058:
	s_mov_b64 s[14:15], -1
                                        ; implicit-def: $vgpr5
	s_branch .LBB416_1063
.LBB416_1059:
	s_mov_b64 s[14:15], -1
                                        ; implicit-def: $vgpr5
.LBB416_1060:
	s_andn2_b64 vcc, exec, s[14:15]
	s_cbranch_vccnz .LBB416_1062
; %bb.1061:
	global_load_ushort v1, v[2:3], off
	s_movk_i32 s14, 0x7fff
	s_waitcnt vmcnt(0)
	v_cvt_f32_u32_e32 v1, v1
	v_bfe_u32 v5, v1, 16, 1
	v_add3_u32 v1, v1, v5, s14
	v_lshrrev_b32_e32 v5, 16, v1
.LBB416_1062:
	s_mov_b64 s[14:15], 0
.LBB416_1063:
	s_andn2_b64 vcc, exec, s[14:15]
	s_cbranch_vccnz .LBB416_1071
; %bb.1064:
	global_load_ubyte v1, v[2:3], off
	s_movk_i32 s14, 0x7f
	s_waitcnt vmcnt(0)
	v_cmp_lt_i16_e32 vcc, s14, v1
	s_mov_b64 s[14:15], 0
	s_and_saveexec_b64 s[16:17], vcc
	s_xor_b64 s[16:17], exec, s[16:17]
	s_cbranch_execz .LBB416_1084
; %bb.1065:
	s_movk_i32 s14, 0x80
	v_cmp_eq_u16_e32 vcc, s14, v1
	s_mov_b64 s[14:15], -1
	s_and_saveexec_b64 s[18:19], vcc
; %bb.1066:
	s_xor_b64 s[14:15], exec, -1
; %bb.1067:
	s_or_b64 exec, exec, s[18:19]
	s_and_b64 s[14:15], s[14:15], exec
	s_or_saveexec_b64 s[16:17], s[16:17]
	v_mov_b32_e32 v5, 0x7f800001
	s_xor_b64 exec, exec, s[16:17]
	s_cbranch_execnz .LBB416_1085
.LBB416_1068:
	s_or_b64 exec, exec, s[16:17]
	s_and_saveexec_b64 s[16:17], s[14:15]
	s_cbranch_execz .LBB416_1070
.LBB416_1069:
	v_lshlrev_b32_e32 v5, 24, v1
	v_and_b32_e32 v1, 0xffff, v1
	v_and_b32_e32 v6, 7, v1
	v_ffbh_u32_e32 v8, v6
	v_min_u32_e32 v8, 32, v8
	v_subrev_u32_e32 v9, 28, v8
	v_bfe_u32 v7, v1, 3, 4
	v_lshlrev_b32_e32 v1, v9, v1
	v_sub_u32_e32 v8, 29, v8
	v_and_b32_e32 v1, 7, v1
	v_cmp_eq_u32_e32 vcc, 0, v7
	v_and_b32_e32 v5, 0x80000000, v5
	s_nop 0
	v_cndmask_b32_e32 v7, v7, v8, vcc
	v_cndmask_b32_e32 v1, v6, v1, vcc
	v_mov_b32_e32 v6, 0x3b800000
	v_lshlrev_b32_e32 v1, 20, v1
	v_lshl_add_u32 v6, v7, 23, v6
	v_or3_b32 v5, v5, v6, v1
.LBB416_1070:
	s_or_b64 exec, exec, s[16:17]
	v_bfe_u32 v1, v5, 16, 1
	s_movk_i32 s14, 0x7fff
	v_add3_u32 v1, v5, v1, s14
	v_cmp_o_f32_e32 vcc, v5, v5
	v_mov_b32_e32 v5, 0x7fc0
	s_nop 0
	v_cndmask_b32_sdwa v5, v5, v1, vcc dst_sel:DWORD dst_unused:UNUSED_PAD src0_sel:DWORD src1_sel:WORD_1
.LBB416_1071:
	s_mov_b64 s[16:17], -1
.LBB416_1072:
	s_branch .LBB416_1104
.LBB416_1073:
	s_cmp_gt_i32 s22, 22
	s_cbranch_scc0 .LBB416_1083
; %bb.1074:
	s_cmp_lt_i32 s22, 24
	s_cbranch_scc1 .LBB416_1086
; %bb.1075:
	s_cmp_gt_i32 s22, 24
	s_cbranch_scc0 .LBB416_1087
; %bb.1076:
	global_load_ubyte v1, v[2:3], off
	s_movk_i32 s2, 0x7f
	s_waitcnt vmcnt(0)
	v_cmp_lt_i16_e32 vcc, s2, v1
	s_mov_b64 s[2:3], 0
	s_and_saveexec_b64 s[14:15], vcc
	s_xor_b64 s[14:15], exec, s[14:15]
	s_cbranch_execz .LBB416_1098
; %bb.1077:
	s_movk_i32 s2, 0x80
	v_cmp_eq_u16_e32 vcc, s2, v1
	s_mov_b64 s[2:3], -1
	s_and_saveexec_b64 s[16:17], vcc
; %bb.1078:
	s_xor_b64 s[2:3], exec, -1
; %bb.1079:
	s_or_b64 exec, exec, s[16:17]
	s_and_b64 s[2:3], s[2:3], exec
	s_or_saveexec_b64 s[14:15], s[14:15]
	v_mov_b32_e32 v5, 0x7f800001
	s_xor_b64 exec, exec, s[14:15]
	s_cbranch_execnz .LBB416_1099
.LBB416_1080:
	s_or_b64 exec, exec, s[14:15]
	s_and_saveexec_b64 s[14:15], s[2:3]
	s_cbranch_execz .LBB416_1082
.LBB416_1081:
	v_lshlrev_b32_e32 v5, 24, v1
	v_and_b32_e32 v1, 0xffff, v1
	v_and_b32_e32 v6, 3, v1
	v_ffbh_u32_e32 v8, v6
	v_min_u32_e32 v8, 32, v8
	v_subrev_u32_e32 v9, 29, v8
	v_bfe_u32 v7, v1, 2, 5
	v_lshlrev_b32_e32 v1, v9, v1
	v_sub_u32_e32 v8, 30, v8
	v_and_b32_e32 v1, 3, v1
	v_cmp_eq_u32_e32 vcc, 0, v7
	v_and_b32_e32 v5, 0x80000000, v5
	s_nop 0
	v_cndmask_b32_e32 v7, v7, v8, vcc
	v_cndmask_b32_e32 v1, v6, v1, vcc
	v_mov_b32_e32 v6, 0x37800000
	v_lshlrev_b32_e32 v1, 21, v1
	v_lshl_add_u32 v6, v7, 23, v6
	v_or3_b32 v5, v5, v6, v1
.LBB416_1082:
	s_or_b64 exec, exec, s[14:15]
	v_bfe_u32 v1, v5, 16, 1
	s_movk_i32 s2, 0x7fff
	v_add3_u32 v1, v5, v1, s2
	v_cmp_o_f32_e32 vcc, v5, v5
	v_mov_b32_e32 v5, 0x7fc0
	s_mov_b64 s[2:3], 0
	v_cndmask_b32_sdwa v5, v5, v1, vcc dst_sel:DWORD dst_unused:UNUSED_PAD src0_sel:DWORD src1_sel:WORD_1
	s_branch .LBB416_1088
.LBB416_1083:
                                        ; implicit-def: $vgpr5
	s_mov_b64 s[2:3], 0
	s_branch .LBB416_1094
.LBB416_1084:
	s_or_saveexec_b64 s[16:17], s[16:17]
	v_mov_b32_e32 v5, 0x7f800001
	s_xor_b64 exec, exec, s[16:17]
	s_cbranch_execz .LBB416_1068
.LBB416_1085:
	v_cmp_ne_u16_e32 vcc, 0, v1
	s_andn2_b64 s[14:15], s[14:15], exec
	s_and_b64 s[18:19], vcc, exec
	v_mov_b32_e32 v5, 0
	s_or_b64 s[14:15], s[14:15], s[18:19]
	s_or_b64 exec, exec, s[16:17]
	s_and_saveexec_b64 s[16:17], s[14:15]
	s_cbranch_execnz .LBB416_1069
	s_branch .LBB416_1070
.LBB416_1086:
	s_mov_b64 s[2:3], -1
                                        ; implicit-def: $vgpr5
	s_branch .LBB416_1091
.LBB416_1087:
	s_mov_b64 s[2:3], -1
                                        ; implicit-def: $vgpr5
.LBB416_1088:
	s_and_b64 vcc, exec, s[2:3]
	s_cbranch_vccz .LBB416_1090
; %bb.1089:
	global_load_ubyte v1, v[2:3], off
	s_mov_b32 s2, 0x7f800000
	s_brev_b32 s3, 1
	s_movk_i32 s14, 0x7fff
	s_waitcnt vmcnt(0)
	v_lshlrev_b32_e32 v1, 24, v1
	v_and_b32_e32 v5, 0x7f000000, v1
	v_ffbh_u32_e32 v6, v5
	v_min_u32_e32 v6, 32, v6
	v_sub_u32_e64 v6, v6, 4 clamp
	v_lshlrev_b32_e32 v8, v6, v5
	v_lshlrev_b32_e32 v6, 23, v6
	v_lshrrev_b32_e32 v8, 4, v8
	v_add_u32_e32 v7, 0x1000000, v5
	v_sub_u32_e32 v6, v8, v6
	v_ashrrev_i32_e32 v7, 8, v7
	v_add_u32_e32 v6, 0x3c000000, v6
	v_and_or_b32 v6, v7, s2, v6
	v_cmp_ne_u32_e32 vcc, 0, v5
	s_nop 1
	v_cndmask_b32_e32 v5, 0, v6, vcc
	v_and_or_b32 v1, v1, s3, v5
	v_bfe_u32 v5, v5, 16, 1
	v_add3_u32 v5, v1, v5, s14
	v_cmp_o_f32_e32 vcc, v1, v1
	v_mov_b32_e32 v1, 0x7fc0
	s_nop 0
	v_cndmask_b32_sdwa v5, v1, v5, vcc dst_sel:DWORD dst_unused:UNUSED_PAD src0_sel:DWORD src1_sel:WORD_1
.LBB416_1090:
	s_mov_b64 s[2:3], 0
.LBB416_1091:
	s_andn2_b64 vcc, exec, s[2:3]
	s_cbranch_vccnz .LBB416_1093
; %bb.1092:
	global_load_ubyte v1, v[2:3], off
	s_movk_i32 s2, 0x7f00
	s_brev_b32 s3, 16
	s_brev_b32 s14, 1
	s_movk_i32 s15, 0x7fff
	s_waitcnt vmcnt(0)
	v_lshlrev_b16_e32 v5, 8, v1
	v_lshlrev_b32_e32 v1, 25, v1
	v_lshrrev_b32_e32 v6, 4, v1
	v_and_or_b32 v7, v5, s2, 0.5
	v_or_b32_e32 v6, 0x70000000, v6
	v_add_f32_e32 v7, -0.5, v7
	v_mul_f32_e32 v6, 0x7800000, v6
	v_cmp_gt_u32_e32 vcc, s3, v1
	v_bfe_i32 v5, v5, 0, 16
	s_nop 0
	v_cndmask_b32_e32 v1, v6, v7, vcc
	v_and_or_b32 v5, v5, s14, v1
	v_bfe_u32 v1, v1, 16, 1
	v_add3_u32 v1, v5, v1, s15
	v_cmp_o_f32_e32 vcc, v5, v5
	v_mov_b32_e32 v5, 0x7fc0
	s_nop 0
	v_cndmask_b32_sdwa v5, v5, v1, vcc dst_sel:DWORD dst_unused:UNUSED_PAD src0_sel:DWORD src1_sel:WORD_1
.LBB416_1093:
	s_mov_b64 s[16:17], -1
	s_mov_b64 s[2:3], 0
	s_cbranch_execnz .LBB416_1104
.LBB416_1094:
	s_cmp_gt_i32 s22, 14
	s_cbranch_scc0 .LBB416_1097
; %bb.1095:
	s_cmp_eq_u32 s22, 15
	s_cbranch_scc0 .LBB416_1100
; %bb.1096:
	global_load_ushort v5, v[2:3], off
	s_mov_b64 s[0:1], 0
	s_mov_b64 s[16:17], -1
	s_branch .LBB416_1101
.LBB416_1097:
	s_mov_b64 s[14:15], -1
                                        ; implicit-def: $vgpr5
	s_branch .LBB416_1102
.LBB416_1098:
	s_or_saveexec_b64 s[14:15], s[14:15]
	v_mov_b32_e32 v5, 0x7f800001
	s_xor_b64 exec, exec, s[14:15]
	s_cbranch_execz .LBB416_1080
.LBB416_1099:
	v_cmp_ne_u16_e32 vcc, 0, v1
	s_andn2_b64 s[2:3], s[2:3], exec
	s_and_b64 s[16:17], vcc, exec
	v_mov_b32_e32 v5, 0
	s_or_b64 s[2:3], s[2:3], s[16:17]
	s_or_b64 exec, exec, s[14:15]
	s_and_saveexec_b64 s[14:15], s[2:3]
	s_cbranch_execnz .LBB416_1081
	s_branch .LBB416_1082
.LBB416_1100:
	s_mov_b64 s[0:1], -1
                                        ; implicit-def: $vgpr5
.LBB416_1101:
	s_mov_b64 s[14:15], 0
.LBB416_1102:
	s_and_b64 vcc, exec, s[14:15]
	s_cbranch_vccz .LBB416_1104
; %bb.1103:
	s_cmp_lg_u32 s22, 11
	s_mov_b64 s[2:3], -1
	s_cselect_b64 s[0:1], -1, 0
.LBB416_1104:
	s_and_b64 vcc, exec, s[0:1]
	s_mov_b64 s[14:15], s[12:13]
	s_cbranch_vccnz .LBB416_1165
; %bb.1105:
	s_andn2_b64 vcc, exec, s[2:3]
	s_cbranch_vccnz .LBB416_1107
.LBB416_1106:
	global_load_ubyte v1, v[2:3], off
	s_mov_b64 s[16:17], -1
	s_waitcnt vmcnt(0)
	v_cmp_ne_u16_e32 vcc, 0, v1
	s_nop 1
	v_cndmask_b32_e64 v1, 0, 1.0, vcc
	v_lshrrev_b32_e32 v5, 16, v1
.LBB416_1107:
	s_branch .LBB416_1038
.LBB416_1108:
	s_cmp_lt_i32 s22, 5
	s_cbranch_scc1 .LBB416_1113
; %bb.1109:
	s_cmp_lt_i32 s22, 8
	s_cbranch_scc1 .LBB416_1114
; %bb.1110:
	;; [unrolled: 3-line block ×3, first 2 shown]
	s_cmp_gt_i32 s22, 9
	s_cbranch_scc0 .LBB416_1116
; %bb.1112:
	global_load_dwordx2 v[6:7], v[2:3], off
	s_movk_i32 s0, 0x7fff
	v_mov_b32_e32 v1, 0x7fc0
	s_waitcnt vmcnt(0)
	v_cvt_f32_f64_e32 v5, v[6:7]
	v_bfe_u32 v6, v5, 16, 1
	v_cmp_o_f32_e32 vcc, v5, v5
	v_add3_u32 v5, v5, v6, s0
	s_mov_b64 s[0:1], 0
	v_cndmask_b32_sdwa v5, v1, v5, vcc dst_sel:DWORD dst_unused:UNUSED_PAD src0_sel:DWORD src1_sel:WORD_1
	s_branch .LBB416_1117
.LBB416_1113:
                                        ; implicit-def: $vgpr5
	s_branch .LBB416_1134
.LBB416_1114:
                                        ; implicit-def: $vgpr5
	s_branch .LBB416_1123
.LBB416_1115:
	s_mov_b64 s[0:1], -1
                                        ; implicit-def: $vgpr5
	s_branch .LBB416_1120
.LBB416_1116:
	s_mov_b64 s[0:1], -1
                                        ; implicit-def: $vgpr5
.LBB416_1117:
	s_andn2_b64 vcc, exec, s[0:1]
	s_cbranch_vccnz .LBB416_1119
; %bb.1118:
	global_load_dword v1, v[2:3], off
	s_movk_i32 s0, 0x7fff
	s_waitcnt vmcnt(1)
	v_mov_b32_e32 v5, 0x7fc0
	s_waitcnt vmcnt(0)
	v_bfe_u32 v6, v1, 16, 1
	v_cmp_o_f32_e32 vcc, v1, v1
	v_add3_u32 v1, v1, v6, s0
	s_nop 0
	v_cndmask_b32_sdwa v5, v5, v1, vcc dst_sel:DWORD dst_unused:UNUSED_PAD src0_sel:DWORD src1_sel:WORD_1
.LBB416_1119:
	s_mov_b64 s[0:1], 0
.LBB416_1120:
	s_andn2_b64 vcc, exec, s[0:1]
	s_cbranch_vccnz .LBB416_1122
; %bb.1121:
	global_load_dword v1, v[2:3], off
	s_movk_i32 s0, 0x7fff
	v_mov_b32_e32 v6, 0x7fc0
	s_waitcnt vmcnt(0)
	v_cvt_f32_f16_e32 v5, v1
	v_cmp_o_f16_e32 vcc, v1, v1
	v_bfe_u32 v1, v5, 16, 1
	v_add3_u32 v1, v5, v1, s0
	v_cndmask_b32_sdwa v5, v6, v1, vcc dst_sel:DWORD dst_unused:UNUSED_PAD src0_sel:DWORD src1_sel:WORD_1
.LBB416_1122:
	s_cbranch_execnz .LBB416_1133
.LBB416_1123:
	s_cmp_lt_i32 s22, 6
	s_cbranch_scc1 .LBB416_1126
; %bb.1124:
	s_cmp_gt_i32 s22, 6
	s_cbranch_scc0 .LBB416_1127
; %bb.1125:
	global_load_dwordx2 v[6:7], v[2:3], off
	s_movk_i32 s0, 0x7fff
	v_mov_b32_e32 v1, 0x7fc0
	s_waitcnt vmcnt(0)
	v_cvt_f32_f64_e32 v5, v[6:7]
	v_bfe_u32 v6, v5, 16, 1
	v_cmp_o_f32_e32 vcc, v5, v5
	v_add3_u32 v5, v5, v6, s0
	s_mov_b64 s[0:1], 0
	v_cndmask_b32_sdwa v5, v1, v5, vcc dst_sel:DWORD dst_unused:UNUSED_PAD src0_sel:DWORD src1_sel:WORD_1
	s_branch .LBB416_1128
.LBB416_1126:
	s_mov_b64 s[0:1], -1
                                        ; implicit-def: $vgpr5
	s_branch .LBB416_1131
.LBB416_1127:
	s_mov_b64 s[0:1], -1
                                        ; implicit-def: $vgpr5
.LBB416_1128:
	s_andn2_b64 vcc, exec, s[0:1]
	s_cbranch_vccnz .LBB416_1130
; %bb.1129:
	global_load_dword v1, v[2:3], off
	s_movk_i32 s0, 0x7fff
	s_waitcnt vmcnt(1)
	v_mov_b32_e32 v5, 0x7fc0
	s_waitcnt vmcnt(0)
	v_bfe_u32 v6, v1, 16, 1
	v_cmp_o_f32_e32 vcc, v1, v1
	v_add3_u32 v1, v1, v6, s0
	s_nop 0
	v_cndmask_b32_sdwa v5, v5, v1, vcc dst_sel:DWORD dst_unused:UNUSED_PAD src0_sel:DWORD src1_sel:WORD_1
.LBB416_1130:
	s_mov_b64 s[0:1], 0
.LBB416_1131:
	s_andn2_b64 vcc, exec, s[0:1]
	s_cbranch_vccnz .LBB416_1133
; %bb.1132:
	global_load_ushort v1, v[2:3], off
	s_movk_i32 s0, 0x7fff
	v_mov_b32_e32 v6, 0x7fc0
	s_waitcnt vmcnt(0)
	v_cvt_f32_f16_e32 v5, v1
	v_cmp_o_f16_e32 vcc, v1, v1
	v_bfe_u32 v1, v5, 16, 1
	v_add3_u32 v1, v5, v1, s0
	v_cndmask_b32_sdwa v5, v6, v1, vcc dst_sel:DWORD dst_unused:UNUSED_PAD src0_sel:DWORD src1_sel:WORD_1
.LBB416_1133:
	s_cbranch_execnz .LBB416_1152
.LBB416_1134:
	s_cmp_lt_i32 s22, 2
	s_cbranch_scc1 .LBB416_1138
; %bb.1135:
	s_cmp_lt_i32 s22, 3
	s_cbranch_scc1 .LBB416_1139
; %bb.1136:
	s_cmp_gt_i32 s22, 3
	s_cbranch_scc0 .LBB416_1140
; %bb.1137:
	global_load_dwordx2 v[6:7], v[2:3], off
	s_movk_i32 s0, 0x7fff
	s_waitcnt vmcnt(0)
	v_xor_b32_e32 v5, v6, v7
	v_ffbh_i32_e32 v1, v7
	v_ashrrev_i32_e32 v5, 31, v5
	v_add_u32_e32 v1, -1, v1
	v_add_u32_e32 v5, 32, v5
	v_min_u32_e32 v1, v1, v5
	v_lshlrev_b64 v[6:7], v1, v[6:7]
	v_min_u32_e32 v5, 1, v6
	v_or_b32_e32 v5, v7, v5
	v_cvt_f32_i32_e32 v5, v5
	v_sub_u32_e32 v1, 32, v1
	v_ldexp_f32 v1, v5, v1
	v_bfe_u32 v5, v1, 16, 1
	v_add3_u32 v1, v1, v5, s0
	v_lshrrev_b32_e32 v5, 16, v1
	s_mov_b64 s[0:1], 0
	s_branch .LBB416_1141
.LBB416_1138:
                                        ; implicit-def: $vgpr5
	s_branch .LBB416_1147
.LBB416_1139:
	s_mov_b64 s[0:1], -1
                                        ; implicit-def: $vgpr5
	s_branch .LBB416_1144
.LBB416_1140:
	s_mov_b64 s[0:1], -1
                                        ; implicit-def: $vgpr5
.LBB416_1141:
	s_andn2_b64 vcc, exec, s[0:1]
	s_cbranch_vccnz .LBB416_1143
; %bb.1142:
	global_load_dword v1, v[2:3], off
	s_movk_i32 s0, 0x7fff
	s_waitcnt vmcnt(0)
	v_cvt_f32_i32_e32 v1, v1
	v_bfe_u32 v5, v1, 16, 1
	v_add3_u32 v1, v1, v5, s0
	v_lshrrev_b32_e32 v5, 16, v1
.LBB416_1143:
	s_mov_b64 s[0:1], 0
.LBB416_1144:
	s_andn2_b64 vcc, exec, s[0:1]
	s_cbranch_vccnz .LBB416_1146
; %bb.1145:
	global_load_sshort v1, v[2:3], off
	s_movk_i32 s0, 0x7fff
	s_waitcnt vmcnt(0)
	v_cvt_f32_i32_e32 v1, v1
	v_bfe_u32 v5, v1, 16, 1
	v_add3_u32 v1, v1, v5, s0
	v_lshrrev_b32_e32 v5, 16, v1
.LBB416_1146:
	s_cbranch_execnz .LBB416_1152
.LBB416_1147:
	s_cmp_gt_i32 s22, 0
	s_cbranch_scc0 .LBB416_1149
; %bb.1148:
	global_load_sbyte v1, v[2:3], off
	s_movk_i32 s0, 0x7fff
	s_waitcnt vmcnt(0)
	v_cvt_f32_i32_e32 v1, v1
	v_bfe_u32 v5, v1, 16, 1
	v_add3_u32 v1, v1, v5, s0
	v_lshrrev_b32_e32 v5, 16, v1
	s_mov_b64 s[0:1], 0
	s_branch .LBB416_1150
.LBB416_1149:
	s_mov_b64 s[0:1], -1
                                        ; implicit-def: $vgpr5
.LBB416_1150:
	s_andn2_b64 vcc, exec, s[0:1]
	s_cbranch_vccnz .LBB416_1152
; %bb.1151:
	global_load_ubyte v1, v[2:3], off
	s_movk_i32 s0, 0x7fff
	s_waitcnt vmcnt(0)
	v_cvt_f32_ubyte0_e32 v1, v1
	v_bfe_u32 v2, v1, 16, 1
	v_add3_u32 v1, v1, v2, s0
	v_lshrrev_b32_e32 v5, 16, v1
.LBB416_1152:
.LBB416_1153:
	s_lshl_b32 s9, s9, 7
	v_add_u32_e32 v0, s9, v0
	v_ashrrev_i32_e32 v1, 31, v0
	s_cmp_lt_i32 s22, 11
	v_lshl_add_u64 v[2:3], s[6:7], 0, v[0:1]
	s_cbranch_scc1 .LBB416_1160
; %bb.1154:
	s_cmp_gt_i32 s22, 25
	s_mov_b64 s[2:3], 0
	s_cbranch_scc0 .LBB416_1162
; %bb.1155:
	s_cmp_gt_i32 s22, 28
	s_cbranch_scc0 .LBB416_1163
; %bb.1156:
	s_cmp_gt_i32 s22, 43
	;; [unrolled: 3-line block ×3, first 2 shown]
	s_cbranch_scc0 .LBB416_1166
; %bb.1158:
	s_cmp_eq_u32 s22, 46
	s_mov_b64 s[18:19], 0
	s_cbranch_scc0 .LBB416_1169
; %bb.1159:
	global_load_dword v6, v[2:3], off
	s_mov_b64 s[0:1], 0
	s_mov_b64 s[16:17], -1
	s_branch .LBB416_1170
.LBB416_1160:
	s_mov_b64 s[16:17], 0
                                        ; implicit-def: $vgpr6
	s_cbranch_execnz .LBB416_1235
.LBB416_1161:
	s_andn2_b64 vcc, exec, s[16:17]
	s_cbranch_vccnz .LBB416_1974
	s_branch .LBB416_1282
.LBB416_1162:
	s_mov_b64 s[16:17], 0
	s_mov_b64 s[0:1], 0
                                        ; implicit-def: $vgpr6
	s_cbranch_execnz .LBB416_1199
	s_branch .LBB416_1231
.LBB416_1163:
	s_mov_b64 s[18:19], -1
	s_mov_b64 s[16:17], 0
	s_mov_b64 s[0:1], 0
                                        ; implicit-def: $vgpr6
	s_branch .LBB416_1180
.LBB416_1164:
	s_mov_b64 s[18:19], -1
	s_mov_b64 s[16:17], 0
	s_mov_b64 s[0:1], 0
                                        ; implicit-def: $vgpr6
	s_branch .LBB416_1175
.LBB416_1165:
	s_or_b64 s[14:15], s[12:13], exec
	s_trap 2
	s_cbranch_execz .LBB416_1106
	s_branch .LBB416_1107
.LBB416_1166:
	s_mov_b64 s[18:19], -1
	s_mov_b64 s[16:17], 0
	s_mov_b64 s[0:1], 0
                                        ; implicit-def: $vgpr6
	s_branch .LBB416_1170
.LBB416_1167:
	s_andn2_saveexec_b64 s[24:25], s[24:25]
	s_cbranch_execz .LBB416_954
.LBB416_1168:
	s_mov_b32 s28, 0x42800000
	v_add_f32_e64 v4, |v5|, s28
	v_and_b32_e32 v4, 0xff, v4
	v_cmp_ne_u32_e32 vcc, 0, v4
	s_andn2_b64 s[22:23], s[22:23], exec
	s_and_b64 s[28:29], vcc, exec
	s_or_b64 s[22:23], s[22:23], s[28:29]
	s_or_b64 exec, exec, s[24:25]
	v_mov_b32_e32 v6, 0
	s_and_saveexec_b64 s[24:25], s[22:23]
	s_cbranch_execnz .LBB416_955
	s_branch .LBB416_956
.LBB416_1169:
	s_mov_b64 s[0:1], -1
                                        ; implicit-def: $vgpr6
	s_mov_b64 s[16:17], 0
.LBB416_1170:
	s_and_b64 vcc, exec, s[18:19]
	s_cbranch_vccz .LBB416_1174
; %bb.1171:
	s_cmp_eq_u32 s22, 44
	s_cbranch_scc0 .LBB416_1173
; %bb.1172:
	global_load_ubyte v1, v[2:3], off
	s_movk_i32 s16, 0xff
	s_waitcnt vmcnt(1)
	v_mov_b32_e32 v6, 0x7f800001
	v_mov_b32_e32 v7, 0x400000
	v_mov_b32_e32 v8, 0x7fc0
	s_mov_b64 s[0:1], 0
	s_waitcnt vmcnt(0)
	v_lshlrev_b32_e32 v9, 23, v1
	v_cmp_ne_u32_e32 vcc, s16, v1
	s_mov_b64 s[16:17], -1
	s_nop 0
	v_cndmask_b32_e32 v6, v6, v9, vcc
	v_cmp_ne_u32_e32 vcc, 0, v1
	s_nop 1
	v_cndmask_b32_e32 v1, v7, v6, vcc
	v_add_u32_e32 v6, 0x7fff, v1
	v_cmp_o_f32_e32 vcc, v1, v1
	s_nop 1
	v_cndmask_b32_sdwa v6, v8, v6, vcc dst_sel:DWORD dst_unused:UNUSED_PAD src0_sel:DWORD src1_sel:WORD_1
	s_branch .LBB416_1174
.LBB416_1173:
	s_mov_b64 s[0:1], -1
                                        ; implicit-def: $vgpr6
.LBB416_1174:
	s_mov_b64 s[18:19], 0
.LBB416_1175:
	s_and_b64 vcc, exec, s[18:19]
	s_cbranch_vccz .LBB416_1179
; %bb.1176:
	s_cmp_eq_u32 s22, 29
	s_cbranch_scc0 .LBB416_1178
; %bb.1177:
	global_load_dwordx2 v[6:7], v[2:3], off
	s_movk_i32 s16, 0x7fff
	s_mov_b64 s[0:1], 0
	s_mov_b64 s[18:19], 0
	s_waitcnt vmcnt(0)
	v_ffbh_u32_e32 v1, v7
	v_min_u32_e32 v1, 32, v1
	v_lshlrev_b64 v[6:7], v1, v[6:7]
	v_min_u32_e32 v6, 1, v6
	v_or_b32_e32 v6, v7, v6
	v_cvt_f32_u32_e32 v6, v6
	v_sub_u32_e32 v1, 32, v1
	v_ldexp_f32 v1, v6, v1
	v_bfe_u32 v6, v1, 16, 1
	v_add3_u32 v1, v1, v6, s16
	v_lshrrev_b32_e32 v6, 16, v1
	s_mov_b64 s[16:17], -1
	s_branch .LBB416_1180
.LBB416_1178:
	s_mov_b64 s[0:1], -1
                                        ; implicit-def: $vgpr6
.LBB416_1179:
	s_mov_b64 s[18:19], 0
.LBB416_1180:
	s_and_b64 vcc, exec, s[18:19]
	s_cbranch_vccz .LBB416_1198
; %bb.1181:
	s_cmp_lt_i32 s22, 27
	s_cbranch_scc1 .LBB416_1184
; %bb.1182:
	s_cmp_gt_i32 s22, 27
	s_cbranch_scc0 .LBB416_1185
; %bb.1183:
	global_load_dword v1, v[2:3], off
	s_movk_i32 s16, 0x7fff
	s_waitcnt vmcnt(0)
	v_cvt_f32_u32_e32 v1, v1
	v_bfe_u32 v6, v1, 16, 1
	v_add3_u32 v1, v1, v6, s16
	v_lshrrev_b32_e32 v6, 16, v1
	s_mov_b64 s[16:17], 0
	s_branch .LBB416_1186
.LBB416_1184:
	s_mov_b64 s[16:17], -1
                                        ; implicit-def: $vgpr6
	s_branch .LBB416_1189
.LBB416_1185:
	s_mov_b64 s[16:17], -1
                                        ; implicit-def: $vgpr6
.LBB416_1186:
	s_andn2_b64 vcc, exec, s[16:17]
	s_cbranch_vccnz .LBB416_1188
; %bb.1187:
	global_load_ushort v1, v[2:3], off
	s_movk_i32 s16, 0x7fff
	s_waitcnt vmcnt(0)
	v_cvt_f32_u32_e32 v1, v1
	v_bfe_u32 v6, v1, 16, 1
	v_add3_u32 v1, v1, v6, s16
	v_lshrrev_b32_e32 v6, 16, v1
.LBB416_1188:
	s_mov_b64 s[16:17], 0
.LBB416_1189:
	s_andn2_b64 vcc, exec, s[16:17]
	s_cbranch_vccnz .LBB416_1197
; %bb.1190:
	global_load_ubyte v1, v[2:3], off
	s_movk_i32 s16, 0x7f
	s_waitcnt vmcnt(0)
	v_cmp_lt_i16_e32 vcc, s16, v1
	s_mov_b64 s[16:17], 0
	s_and_saveexec_b64 s[18:19], vcc
	s_xor_b64 s[18:19], exec, s[18:19]
	s_cbranch_execz .LBB416_1210
; %bb.1191:
	s_movk_i32 s16, 0x80
	v_cmp_eq_u16_e32 vcc, s16, v1
	s_mov_b64 s[16:17], -1
	s_and_saveexec_b64 s[20:21], vcc
; %bb.1192:
	s_xor_b64 s[16:17], exec, -1
; %bb.1193:
	s_or_b64 exec, exec, s[20:21]
	s_and_b64 s[16:17], s[16:17], exec
	s_or_saveexec_b64 s[18:19], s[18:19]
	v_mov_b32_e32 v6, 0x7f800001
	s_xor_b64 exec, exec, s[18:19]
	s_cbranch_execnz .LBB416_1211
.LBB416_1194:
	s_or_b64 exec, exec, s[18:19]
	s_and_saveexec_b64 s[18:19], s[16:17]
	s_cbranch_execz .LBB416_1196
.LBB416_1195:
	v_lshlrev_b32_e32 v6, 24, v1
	v_and_b32_e32 v1, 0xffff, v1
	v_and_b32_e32 v7, 7, v1
	v_ffbh_u32_e32 v9, v7
	v_min_u32_e32 v9, 32, v9
	v_subrev_u32_e32 v10, 28, v9
	v_bfe_u32 v8, v1, 3, 4
	v_lshlrev_b32_e32 v1, v10, v1
	v_sub_u32_e32 v9, 29, v9
	v_and_b32_e32 v1, 7, v1
	v_cmp_eq_u32_e32 vcc, 0, v8
	v_and_b32_e32 v6, 0x80000000, v6
	s_nop 0
	v_cndmask_b32_e32 v8, v8, v9, vcc
	v_cndmask_b32_e32 v1, v7, v1, vcc
	v_mov_b32_e32 v7, 0x3b800000
	v_lshlrev_b32_e32 v1, 20, v1
	v_lshl_add_u32 v7, v8, 23, v7
	v_or3_b32 v6, v6, v7, v1
.LBB416_1196:
	s_or_b64 exec, exec, s[18:19]
	v_bfe_u32 v1, v6, 16, 1
	s_movk_i32 s16, 0x7fff
	v_add3_u32 v1, v6, v1, s16
	v_cmp_o_f32_e32 vcc, v6, v6
	v_mov_b32_e32 v6, 0x7fc0
	s_nop 0
	v_cndmask_b32_sdwa v6, v6, v1, vcc dst_sel:DWORD dst_unused:UNUSED_PAD src0_sel:DWORD src1_sel:WORD_1
.LBB416_1197:
	s_mov_b64 s[16:17], -1
.LBB416_1198:
	s_branch .LBB416_1231
.LBB416_1199:
	s_cmp_gt_i32 s22, 22
	s_cbranch_scc0 .LBB416_1209
; %bb.1200:
	s_cmp_lt_i32 s22, 24
	s_cbranch_scc1 .LBB416_1212
; %bb.1201:
	s_cmp_gt_i32 s22, 24
	s_cbranch_scc0 .LBB416_1213
; %bb.1202:
	global_load_ubyte v1, v[2:3], off
	s_movk_i32 s2, 0x7f
	s_waitcnt vmcnt(0)
	v_cmp_lt_i16_e32 vcc, s2, v1
	s_mov_b64 s[2:3], 0
	s_and_saveexec_b64 s[16:17], vcc
	s_xor_b64 s[16:17], exec, s[16:17]
	s_cbranch_execz .LBB416_1225
; %bb.1203:
	s_movk_i32 s2, 0x80
	v_cmp_eq_u16_e32 vcc, s2, v1
	s_mov_b64 s[2:3], -1
	s_and_saveexec_b64 s[18:19], vcc
; %bb.1204:
	s_xor_b64 s[2:3], exec, -1
; %bb.1205:
	s_or_b64 exec, exec, s[18:19]
	s_and_b64 s[2:3], s[2:3], exec
	s_or_saveexec_b64 s[16:17], s[16:17]
	v_mov_b32_e32 v6, 0x7f800001
	s_xor_b64 exec, exec, s[16:17]
	s_cbranch_execnz .LBB416_1226
.LBB416_1206:
	s_or_b64 exec, exec, s[16:17]
	s_and_saveexec_b64 s[16:17], s[2:3]
	s_cbranch_execz .LBB416_1208
.LBB416_1207:
	v_lshlrev_b32_e32 v6, 24, v1
	v_and_b32_e32 v1, 0xffff, v1
	v_and_b32_e32 v7, 3, v1
	v_ffbh_u32_e32 v9, v7
	v_min_u32_e32 v9, 32, v9
	v_subrev_u32_e32 v10, 29, v9
	v_bfe_u32 v8, v1, 2, 5
	v_lshlrev_b32_e32 v1, v10, v1
	v_sub_u32_e32 v9, 30, v9
	v_and_b32_e32 v1, 3, v1
	v_cmp_eq_u32_e32 vcc, 0, v8
	v_and_b32_e32 v6, 0x80000000, v6
	s_nop 0
	v_cndmask_b32_e32 v8, v8, v9, vcc
	v_cndmask_b32_e32 v1, v7, v1, vcc
	v_mov_b32_e32 v7, 0x37800000
	v_lshlrev_b32_e32 v1, 21, v1
	v_lshl_add_u32 v7, v8, 23, v7
	v_or3_b32 v6, v6, v7, v1
.LBB416_1208:
	s_or_b64 exec, exec, s[16:17]
	v_bfe_u32 v1, v6, 16, 1
	s_movk_i32 s2, 0x7fff
	v_add3_u32 v1, v6, v1, s2
	v_cmp_o_f32_e32 vcc, v6, v6
	v_mov_b32_e32 v6, 0x7fc0
	s_mov_b64 s[2:3], 0
	v_cndmask_b32_sdwa v6, v6, v1, vcc dst_sel:DWORD dst_unused:UNUSED_PAD src0_sel:DWORD src1_sel:WORD_1
	s_branch .LBB416_1214
.LBB416_1209:
	s_mov_b64 s[2:3], -1
                                        ; implicit-def: $vgpr6
	s_branch .LBB416_1220
.LBB416_1210:
	s_or_saveexec_b64 s[18:19], s[18:19]
	v_mov_b32_e32 v6, 0x7f800001
	s_xor_b64 exec, exec, s[18:19]
	s_cbranch_execz .LBB416_1194
.LBB416_1211:
	v_cmp_ne_u16_e32 vcc, 0, v1
	s_andn2_b64 s[16:17], s[16:17], exec
	s_and_b64 s[20:21], vcc, exec
	v_mov_b32_e32 v6, 0
	s_or_b64 s[16:17], s[16:17], s[20:21]
	s_or_b64 exec, exec, s[18:19]
	s_and_saveexec_b64 s[18:19], s[16:17]
	s_cbranch_execnz .LBB416_1195
	s_branch .LBB416_1196
.LBB416_1212:
	s_mov_b64 s[2:3], -1
                                        ; implicit-def: $vgpr6
	s_branch .LBB416_1217
.LBB416_1213:
	s_mov_b64 s[2:3], -1
                                        ; implicit-def: $vgpr6
.LBB416_1214:
	s_and_b64 vcc, exec, s[2:3]
	s_cbranch_vccz .LBB416_1216
; %bb.1215:
	global_load_ubyte v1, v[2:3], off
	s_mov_b32 s2, 0x7f800000
	s_brev_b32 s3, 1
	s_movk_i32 s16, 0x7fff
	s_waitcnt vmcnt(0)
	v_lshlrev_b32_e32 v1, 24, v1
	v_and_b32_e32 v6, 0x7f000000, v1
	v_ffbh_u32_e32 v7, v6
	v_min_u32_e32 v7, 32, v7
	v_sub_u32_e64 v7, v7, 4 clamp
	v_lshlrev_b32_e32 v9, v7, v6
	v_lshlrev_b32_e32 v7, 23, v7
	v_lshrrev_b32_e32 v9, 4, v9
	v_add_u32_e32 v8, 0x1000000, v6
	v_sub_u32_e32 v7, v9, v7
	v_ashrrev_i32_e32 v8, 8, v8
	v_add_u32_e32 v7, 0x3c000000, v7
	v_and_or_b32 v7, v8, s2, v7
	v_cmp_ne_u32_e32 vcc, 0, v6
	s_nop 1
	v_cndmask_b32_e32 v6, 0, v7, vcc
	v_and_or_b32 v1, v1, s3, v6
	v_bfe_u32 v6, v6, 16, 1
	v_add3_u32 v6, v1, v6, s16
	v_cmp_o_f32_e32 vcc, v1, v1
	v_mov_b32_e32 v1, 0x7fc0
	s_nop 0
	v_cndmask_b32_sdwa v6, v1, v6, vcc dst_sel:DWORD dst_unused:UNUSED_PAD src0_sel:DWORD src1_sel:WORD_1
.LBB416_1216:
	s_mov_b64 s[2:3], 0
.LBB416_1217:
	s_andn2_b64 vcc, exec, s[2:3]
	s_cbranch_vccnz .LBB416_1219
; %bb.1218:
	global_load_ubyte v1, v[2:3], off
	s_movk_i32 s2, 0x7f00
	s_brev_b32 s3, 16
	s_brev_b32 s16, 1
	s_movk_i32 s17, 0x7fff
	s_waitcnt vmcnt(0)
	v_lshlrev_b16_e32 v6, 8, v1
	v_lshlrev_b32_e32 v1, 25, v1
	v_lshrrev_b32_e32 v7, 4, v1
	v_and_or_b32 v8, v6, s2, 0.5
	v_or_b32_e32 v7, 0x70000000, v7
	v_add_f32_e32 v8, -0.5, v8
	v_mul_f32_e32 v7, 0x7800000, v7
	v_cmp_gt_u32_e32 vcc, s3, v1
	v_bfe_i32 v6, v6, 0, 16
	s_nop 0
	v_cndmask_b32_e32 v1, v7, v8, vcc
	v_and_or_b32 v6, v6, s16, v1
	v_bfe_u32 v1, v1, 16, 1
	v_add3_u32 v1, v6, v1, s17
	v_cmp_o_f32_e32 vcc, v6, v6
	v_mov_b32_e32 v6, 0x7fc0
	s_nop 0
	v_cndmask_b32_sdwa v6, v6, v1, vcc dst_sel:DWORD dst_unused:UNUSED_PAD src0_sel:DWORD src1_sel:WORD_1
.LBB416_1219:
	s_mov_b64 s[2:3], 0
	s_mov_b64 s[16:17], -1
.LBB416_1220:
	s_andn2_b64 vcc, exec, s[2:3]
	s_mov_b64 s[2:3], 0
	s_cbranch_vccnz .LBB416_1231
; %bb.1221:
	s_cmp_gt_i32 s22, 14
	s_cbranch_scc0 .LBB416_1224
; %bb.1222:
	s_cmp_eq_u32 s22, 15
	s_cbranch_scc0 .LBB416_1227
; %bb.1223:
	global_load_ushort v6, v[2:3], off
	s_mov_b64 s[0:1], 0
	s_mov_b64 s[16:17], -1
	s_branch .LBB416_1228
.LBB416_1224:
	s_mov_b64 s[18:19], -1
                                        ; implicit-def: $vgpr6
	s_branch .LBB416_1229
.LBB416_1225:
	s_or_saveexec_b64 s[16:17], s[16:17]
	v_mov_b32_e32 v6, 0x7f800001
	s_xor_b64 exec, exec, s[16:17]
	s_cbranch_execz .LBB416_1206
.LBB416_1226:
	v_cmp_ne_u16_e32 vcc, 0, v1
	s_andn2_b64 s[2:3], s[2:3], exec
	s_and_b64 s[18:19], vcc, exec
	v_mov_b32_e32 v6, 0
	s_or_b64 s[2:3], s[2:3], s[18:19]
	s_or_b64 exec, exec, s[16:17]
	s_and_saveexec_b64 s[16:17], s[2:3]
	s_cbranch_execnz .LBB416_1207
	s_branch .LBB416_1208
.LBB416_1227:
	s_mov_b64 s[0:1], -1
                                        ; implicit-def: $vgpr6
.LBB416_1228:
	s_mov_b64 s[18:19], 0
.LBB416_1229:
	s_and_b64 vcc, exec, s[18:19]
	s_cbranch_vccz .LBB416_1231
; %bb.1230:
	s_cmp_lg_u32 s22, 11
	s_mov_b64 s[2:3], -1
	s_cselect_b64 s[0:1], -1, 0
.LBB416_1231:
	s_and_b64 vcc, exec, s[0:1]
	s_cbranch_vccnz .LBB416_1294
; %bb.1232:
	s_andn2_b64 vcc, exec, s[2:3]
	s_cbranch_vccnz .LBB416_1234
.LBB416_1233:
	global_load_ubyte v1, v[2:3], off
	s_mov_b64 s[16:17], -1
	s_waitcnt vmcnt(0)
	v_cmp_ne_u16_e32 vcc, 0, v1
	s_nop 1
	v_cndmask_b32_e64 v1, 0, 1.0, vcc
	v_lshrrev_b32_e32 v6, 16, v1
.LBB416_1234:
	s_branch .LBB416_1161
.LBB416_1235:
	s_cmp_lt_i32 s22, 5
	s_cbranch_scc1 .LBB416_1240
; %bb.1236:
	s_cmp_lt_i32 s22, 8
	s_cbranch_scc1 .LBB416_1241
; %bb.1237:
	;; [unrolled: 3-line block ×3, first 2 shown]
	s_cmp_gt_i32 s22, 9
	s_cbranch_scc0 .LBB416_1243
; %bb.1239:
	global_load_dwordx2 v[6:7], v[2:3], off
	s_movk_i32 s0, 0x7fff
	v_mov_b32_e32 v1, 0x7fc0
	s_waitcnt vmcnt(0)
	v_cvt_f32_f64_e32 v6, v[6:7]
	v_bfe_u32 v7, v6, 16, 1
	v_cmp_o_f32_e32 vcc, v6, v6
	v_add3_u32 v6, v6, v7, s0
	s_mov_b64 s[0:1], 0
	v_cndmask_b32_sdwa v6, v1, v6, vcc dst_sel:DWORD dst_unused:UNUSED_PAD src0_sel:DWORD src1_sel:WORD_1
	s_branch .LBB416_1244
.LBB416_1240:
                                        ; implicit-def: $vgpr6
	s_branch .LBB416_1262
.LBB416_1241:
	s_mov_b64 s[0:1], -1
                                        ; implicit-def: $vgpr6
	s_branch .LBB416_1250
.LBB416_1242:
	s_mov_b64 s[0:1], -1
                                        ; implicit-def: $vgpr6
	s_branch .LBB416_1247
.LBB416_1243:
	s_mov_b64 s[0:1], -1
                                        ; implicit-def: $vgpr6
.LBB416_1244:
	s_andn2_b64 vcc, exec, s[0:1]
	s_cbranch_vccnz .LBB416_1246
; %bb.1245:
	global_load_dword v1, v[2:3], off
	s_movk_i32 s0, 0x7fff
	s_waitcnt vmcnt(1)
	v_mov_b32_e32 v6, 0x7fc0
	s_waitcnt vmcnt(0)
	v_bfe_u32 v7, v1, 16, 1
	v_cmp_o_f32_e32 vcc, v1, v1
	v_add3_u32 v1, v1, v7, s0
	s_nop 0
	v_cndmask_b32_sdwa v6, v6, v1, vcc dst_sel:DWORD dst_unused:UNUSED_PAD src0_sel:DWORD src1_sel:WORD_1
.LBB416_1246:
	s_mov_b64 s[0:1], 0
.LBB416_1247:
	s_andn2_b64 vcc, exec, s[0:1]
	s_cbranch_vccnz .LBB416_1249
; %bb.1248:
	global_load_dword v1, v[2:3], off
	s_movk_i32 s0, 0x7fff
	v_mov_b32_e32 v7, 0x7fc0
	s_waitcnt vmcnt(0)
	v_cvt_f32_f16_e32 v6, v1
	v_cmp_o_f16_e32 vcc, v1, v1
	v_bfe_u32 v1, v6, 16, 1
	v_add3_u32 v1, v6, v1, s0
	v_cndmask_b32_sdwa v6, v7, v1, vcc dst_sel:DWORD dst_unused:UNUSED_PAD src0_sel:DWORD src1_sel:WORD_1
.LBB416_1249:
	s_mov_b64 s[0:1], 0
.LBB416_1250:
	s_andn2_b64 vcc, exec, s[0:1]
	s_cbranch_vccnz .LBB416_1261
; %bb.1251:
	s_cmp_lt_i32 s22, 6
	s_cbranch_scc1 .LBB416_1254
; %bb.1252:
	s_cmp_gt_i32 s22, 6
	s_cbranch_scc0 .LBB416_1255
; %bb.1253:
	global_load_dwordx2 v[6:7], v[2:3], off
	s_movk_i32 s0, 0x7fff
	v_mov_b32_e32 v1, 0x7fc0
	s_waitcnt vmcnt(0)
	v_cvt_f32_f64_e32 v6, v[6:7]
	v_bfe_u32 v7, v6, 16, 1
	v_cmp_o_f32_e32 vcc, v6, v6
	v_add3_u32 v6, v6, v7, s0
	s_mov_b64 s[0:1], 0
	v_cndmask_b32_sdwa v6, v1, v6, vcc dst_sel:DWORD dst_unused:UNUSED_PAD src0_sel:DWORD src1_sel:WORD_1
	s_branch .LBB416_1256
.LBB416_1254:
	s_mov_b64 s[0:1], -1
                                        ; implicit-def: $vgpr6
	s_branch .LBB416_1259
.LBB416_1255:
	s_mov_b64 s[0:1], -1
                                        ; implicit-def: $vgpr6
.LBB416_1256:
	s_andn2_b64 vcc, exec, s[0:1]
	s_cbranch_vccnz .LBB416_1258
; %bb.1257:
	global_load_dword v1, v[2:3], off
	s_movk_i32 s0, 0x7fff
	s_waitcnt vmcnt(1)
	v_mov_b32_e32 v6, 0x7fc0
	s_waitcnt vmcnt(0)
	v_bfe_u32 v7, v1, 16, 1
	v_cmp_o_f32_e32 vcc, v1, v1
	v_add3_u32 v1, v1, v7, s0
	s_nop 0
	v_cndmask_b32_sdwa v6, v6, v1, vcc dst_sel:DWORD dst_unused:UNUSED_PAD src0_sel:DWORD src1_sel:WORD_1
.LBB416_1258:
	s_mov_b64 s[0:1], 0
.LBB416_1259:
	s_andn2_b64 vcc, exec, s[0:1]
	s_cbranch_vccnz .LBB416_1261
; %bb.1260:
	global_load_ushort v1, v[2:3], off
	s_movk_i32 s0, 0x7fff
	v_mov_b32_e32 v7, 0x7fc0
	s_waitcnt vmcnt(0)
	v_cvt_f32_f16_e32 v6, v1
	v_cmp_o_f16_e32 vcc, v1, v1
	v_bfe_u32 v1, v6, 16, 1
	v_add3_u32 v1, v6, v1, s0
	v_cndmask_b32_sdwa v6, v7, v1, vcc dst_sel:DWORD dst_unused:UNUSED_PAD src0_sel:DWORD src1_sel:WORD_1
.LBB416_1261:
	s_cbranch_execnz .LBB416_1281
.LBB416_1262:
	s_cmp_lt_i32 s22, 2
	s_cbranch_scc1 .LBB416_1266
; %bb.1263:
	s_cmp_lt_i32 s22, 3
	s_cbranch_scc1 .LBB416_1267
; %bb.1264:
	s_cmp_gt_i32 s22, 3
	s_cbranch_scc0 .LBB416_1268
; %bb.1265:
	global_load_dwordx2 v[6:7], v[2:3], off
	s_movk_i32 s0, 0x7fff
	s_waitcnt vmcnt(0)
	v_xor_b32_e32 v8, v6, v7
	v_ffbh_i32_e32 v1, v7
	v_ashrrev_i32_e32 v8, 31, v8
	v_add_u32_e32 v1, -1, v1
	v_add_u32_e32 v8, 32, v8
	v_min_u32_e32 v1, v1, v8
	v_lshlrev_b64 v[6:7], v1, v[6:7]
	v_min_u32_e32 v6, 1, v6
	v_or_b32_e32 v6, v7, v6
	v_cvt_f32_i32_e32 v6, v6
	v_sub_u32_e32 v1, 32, v1
	v_ldexp_f32 v1, v6, v1
	v_bfe_u32 v6, v1, 16, 1
	v_add3_u32 v1, v1, v6, s0
	v_lshrrev_b32_e32 v6, 16, v1
	s_mov_b64 s[0:1], 0
	s_branch .LBB416_1269
.LBB416_1266:
	s_mov_b64 s[0:1], -1
                                        ; implicit-def: $vgpr6
	s_branch .LBB416_1275
.LBB416_1267:
	s_mov_b64 s[0:1], -1
                                        ; implicit-def: $vgpr6
	s_branch .LBB416_1272
.LBB416_1268:
	s_mov_b64 s[0:1], -1
                                        ; implicit-def: $vgpr6
.LBB416_1269:
	s_andn2_b64 vcc, exec, s[0:1]
	s_cbranch_vccnz .LBB416_1271
; %bb.1270:
	global_load_dword v1, v[2:3], off
	s_movk_i32 s0, 0x7fff
	s_waitcnt vmcnt(0)
	v_cvt_f32_i32_e32 v1, v1
	v_bfe_u32 v6, v1, 16, 1
	v_add3_u32 v1, v1, v6, s0
	v_lshrrev_b32_e32 v6, 16, v1
.LBB416_1271:
	s_mov_b64 s[0:1], 0
.LBB416_1272:
	s_andn2_b64 vcc, exec, s[0:1]
	s_cbranch_vccnz .LBB416_1274
; %bb.1273:
	global_load_sshort v1, v[2:3], off
	s_movk_i32 s0, 0x7fff
	s_waitcnt vmcnt(0)
	v_cvt_f32_i32_e32 v1, v1
	v_bfe_u32 v6, v1, 16, 1
	v_add3_u32 v1, v1, v6, s0
	v_lshrrev_b32_e32 v6, 16, v1
.LBB416_1274:
	s_mov_b64 s[0:1], 0
.LBB416_1275:
	s_andn2_b64 vcc, exec, s[0:1]
	s_cbranch_vccnz .LBB416_1281
; %bb.1276:
	s_cmp_gt_i32 s22, 0
	s_cbranch_scc0 .LBB416_1278
; %bb.1277:
	global_load_sbyte v1, v[2:3], off
	s_movk_i32 s0, 0x7fff
	s_waitcnt vmcnt(0)
	v_cvt_f32_i32_e32 v1, v1
	v_bfe_u32 v6, v1, 16, 1
	v_add3_u32 v1, v1, v6, s0
	v_lshrrev_b32_e32 v6, 16, v1
	s_mov_b64 s[0:1], 0
	s_branch .LBB416_1279
.LBB416_1278:
	s_mov_b64 s[0:1], -1
                                        ; implicit-def: $vgpr6
.LBB416_1279:
	s_andn2_b64 vcc, exec, s[0:1]
	s_cbranch_vccnz .LBB416_1281
; %bb.1280:
	global_load_ubyte v1, v[2:3], off
	s_movk_i32 s0, 0x7fff
	s_waitcnt vmcnt(0)
	v_cvt_f32_ubyte0_e32 v1, v1
	v_bfe_u32 v2, v1, 16, 1
	v_add3_u32 v1, v1, v2, s0
	v_lshrrev_b32_e32 v6, 16, v1
.LBB416_1281:
.LBB416_1282:
	v_add_u32_e32 v0, s9, v0
	v_ashrrev_i32_e32 v1, 31, v0
	s_cmp_lt_i32 s22, 11
	v_lshl_add_u64 v[2:3], s[6:7], 0, v[0:1]
	s_cbranch_scc1 .LBB416_1289
; %bb.1283:
	s_cmp_gt_i32 s22, 25
	s_mov_b64 s[2:3], 0
	s_cbranch_scc0 .LBB416_1291
; %bb.1284:
	s_cmp_gt_i32 s22, 28
	s_cbranch_scc0 .LBB416_1292
; %bb.1285:
	s_cmp_gt_i32 s22, 43
	;; [unrolled: 3-line block ×3, first 2 shown]
	s_cbranch_scc0 .LBB416_1295
; %bb.1287:
	s_cmp_eq_u32 s22, 46
	s_mov_b64 s[18:19], 0
	s_cbranch_scc0 .LBB416_1296
; %bb.1288:
	global_load_dword v7, v[2:3], off
	s_mov_b64 s[0:1], 0
	s_mov_b64 s[16:17], -1
	s_branch .LBB416_1297
.LBB416_1289:
	s_mov_b64 s[16:17], 0
                                        ; implicit-def: $vgpr7
	s_cbranch_execnz .LBB416_1363
.LBB416_1290:
	s_andn2_b64 vcc, exec, s[16:17]
	s_cbranch_vccnz .LBB416_1974
	s_branch .LBB416_1411
.LBB416_1291:
	s_mov_b64 s[18:19], -1
	s_mov_b64 s[16:17], 0
	s_mov_b64 s[0:1], 0
                                        ; implicit-def: $vgpr7
	s_branch .LBB416_1326
.LBB416_1292:
	s_mov_b64 s[18:19], -1
	s_mov_b64 s[16:17], 0
	s_mov_b64 s[0:1], 0
                                        ; implicit-def: $vgpr7
	s_branch .LBB416_1307
.LBB416_1293:
	s_mov_b64 s[18:19], -1
	s_mov_b64 s[16:17], 0
	s_mov_b64 s[0:1], 0
                                        ; implicit-def: $vgpr7
	s_branch .LBB416_1302
.LBB416_1294:
	s_trap 2
	s_or_b64 s[14:15], s[14:15], exec
	s_cbranch_execz .LBB416_1233
	s_branch .LBB416_1234
.LBB416_1295:
	s_mov_b64 s[18:19], -1
	s_mov_b64 s[16:17], 0
	s_mov_b64 s[0:1], 0
                                        ; implicit-def: $vgpr7
	s_branch .LBB416_1297
.LBB416_1296:
	s_mov_b64 s[0:1], -1
                                        ; implicit-def: $vgpr7
	s_mov_b64 s[16:17], 0
.LBB416_1297:
	s_and_b64 vcc, exec, s[18:19]
	s_cbranch_vccz .LBB416_1301
; %bb.1298:
	s_cmp_eq_u32 s22, 44
	s_cbranch_scc0 .LBB416_1300
; %bb.1299:
	global_load_ubyte v1, v[2:3], off
	s_movk_i32 s16, 0xff
	s_waitcnt vmcnt(1)
	v_mov_b32_e32 v7, 0x7f800001
	v_mov_b32_e32 v8, 0x400000
	;; [unrolled: 1-line block ×3, first 2 shown]
	s_mov_b64 s[0:1], 0
	s_waitcnt vmcnt(0)
	v_lshlrev_b32_e32 v10, 23, v1
	v_cmp_ne_u32_e32 vcc, s16, v1
	s_mov_b64 s[16:17], -1
	s_nop 0
	v_cndmask_b32_e32 v7, v7, v10, vcc
	v_cmp_ne_u32_e32 vcc, 0, v1
	s_nop 1
	v_cndmask_b32_e32 v1, v8, v7, vcc
	v_add_u32_e32 v7, 0x7fff, v1
	v_cmp_o_f32_e32 vcc, v1, v1
	s_nop 1
	v_cndmask_b32_sdwa v7, v9, v7, vcc dst_sel:DWORD dst_unused:UNUSED_PAD src0_sel:DWORD src1_sel:WORD_1
	s_branch .LBB416_1301
.LBB416_1300:
	s_mov_b64 s[0:1], -1
                                        ; implicit-def: $vgpr7
.LBB416_1301:
	s_mov_b64 s[18:19], 0
.LBB416_1302:
	s_and_b64 vcc, exec, s[18:19]
	s_cbranch_vccz .LBB416_1306
; %bb.1303:
	s_cmp_eq_u32 s22, 29
	s_cbranch_scc0 .LBB416_1305
; %bb.1304:
	global_load_dwordx2 v[8:9], v[2:3], off
	s_movk_i32 s16, 0x7fff
	s_mov_b64 s[0:1], 0
	s_mov_b64 s[18:19], 0
	s_waitcnt vmcnt(0)
	v_ffbh_u32_e32 v1, v9
	v_min_u32_e32 v1, 32, v1
	v_lshlrev_b64 v[8:9], v1, v[8:9]
	v_min_u32_e32 v7, 1, v8
	v_or_b32_e32 v7, v9, v7
	v_cvt_f32_u32_e32 v7, v7
	v_sub_u32_e32 v1, 32, v1
	v_ldexp_f32 v1, v7, v1
	v_bfe_u32 v7, v1, 16, 1
	v_add3_u32 v1, v1, v7, s16
	v_lshrrev_b32_e32 v7, 16, v1
	s_mov_b64 s[16:17], -1
	s_branch .LBB416_1307
.LBB416_1305:
	s_mov_b64 s[0:1], -1
                                        ; implicit-def: $vgpr7
.LBB416_1306:
	s_mov_b64 s[18:19], 0
.LBB416_1307:
	s_and_b64 vcc, exec, s[18:19]
	s_cbranch_vccz .LBB416_1325
; %bb.1308:
	s_cmp_lt_i32 s22, 27
	s_cbranch_scc1 .LBB416_1311
; %bb.1309:
	s_cmp_gt_i32 s22, 27
	s_cbranch_scc0 .LBB416_1312
; %bb.1310:
	global_load_dword v1, v[2:3], off
	s_movk_i32 s16, 0x7fff
	s_waitcnt vmcnt(0)
	v_cvt_f32_u32_e32 v1, v1
	v_bfe_u32 v7, v1, 16, 1
	v_add3_u32 v1, v1, v7, s16
	v_lshrrev_b32_e32 v7, 16, v1
	s_mov_b64 s[16:17], 0
	s_branch .LBB416_1313
.LBB416_1311:
	s_mov_b64 s[16:17], -1
                                        ; implicit-def: $vgpr7
	s_branch .LBB416_1316
.LBB416_1312:
	s_mov_b64 s[16:17], -1
                                        ; implicit-def: $vgpr7
.LBB416_1313:
	s_andn2_b64 vcc, exec, s[16:17]
	s_cbranch_vccnz .LBB416_1315
; %bb.1314:
	global_load_ushort v1, v[2:3], off
	s_movk_i32 s16, 0x7fff
	s_waitcnt vmcnt(0)
	v_cvt_f32_u32_e32 v1, v1
	v_bfe_u32 v7, v1, 16, 1
	v_add3_u32 v1, v1, v7, s16
	v_lshrrev_b32_e32 v7, 16, v1
.LBB416_1315:
	s_mov_b64 s[16:17], 0
.LBB416_1316:
	s_andn2_b64 vcc, exec, s[16:17]
	s_cbranch_vccnz .LBB416_1324
; %bb.1317:
	global_load_ubyte v1, v[2:3], off
	s_movk_i32 s16, 0x7f
	s_waitcnt vmcnt(0)
	v_cmp_lt_i16_e32 vcc, s16, v1
	s_mov_b64 s[16:17], 0
	s_and_saveexec_b64 s[18:19], vcc
	s_xor_b64 s[18:19], exec, s[18:19]
	s_cbranch_execz .LBB416_1338
; %bb.1318:
	s_movk_i32 s16, 0x80
	v_cmp_eq_u16_e32 vcc, s16, v1
	s_mov_b64 s[16:17], -1
	s_and_saveexec_b64 s[20:21], vcc
; %bb.1319:
	s_xor_b64 s[16:17], exec, -1
; %bb.1320:
	s_or_b64 exec, exec, s[20:21]
	s_and_b64 s[16:17], s[16:17], exec
	s_or_saveexec_b64 s[18:19], s[18:19]
	v_mov_b32_e32 v7, 0x7f800001
	s_xor_b64 exec, exec, s[18:19]
	s_cbranch_execnz .LBB416_1339
.LBB416_1321:
	s_or_b64 exec, exec, s[18:19]
	s_and_saveexec_b64 s[18:19], s[16:17]
	s_cbranch_execz .LBB416_1323
.LBB416_1322:
	v_lshlrev_b32_e32 v7, 24, v1
	v_and_b32_e32 v1, 0xffff, v1
	v_and_b32_e32 v8, 7, v1
	v_ffbh_u32_e32 v10, v8
	v_min_u32_e32 v10, 32, v10
	v_subrev_u32_e32 v11, 28, v10
	v_bfe_u32 v9, v1, 3, 4
	v_lshlrev_b32_e32 v1, v11, v1
	v_sub_u32_e32 v10, 29, v10
	v_and_b32_e32 v1, 7, v1
	v_cmp_eq_u32_e32 vcc, 0, v9
	v_and_b32_e32 v7, 0x80000000, v7
	s_nop 0
	v_cndmask_b32_e32 v9, v9, v10, vcc
	v_cndmask_b32_e32 v1, v8, v1, vcc
	v_mov_b32_e32 v8, 0x3b800000
	v_lshlrev_b32_e32 v1, 20, v1
	v_lshl_add_u32 v8, v9, 23, v8
	v_or3_b32 v7, v7, v8, v1
.LBB416_1323:
	s_or_b64 exec, exec, s[18:19]
	v_bfe_u32 v1, v7, 16, 1
	s_movk_i32 s16, 0x7fff
	v_add3_u32 v1, v7, v1, s16
	v_cmp_o_f32_e32 vcc, v7, v7
	v_mov_b32_e32 v7, 0x7fc0
	s_nop 0
	v_cndmask_b32_sdwa v7, v7, v1, vcc dst_sel:DWORD dst_unused:UNUSED_PAD src0_sel:DWORD src1_sel:WORD_1
.LBB416_1324:
	s_mov_b64 s[16:17], -1
.LBB416_1325:
	s_mov_b64 s[18:19], 0
.LBB416_1326:
	s_and_b64 vcc, exec, s[18:19]
	s_cbranch_vccz .LBB416_1359
; %bb.1327:
	s_cmp_gt_i32 s22, 22
	s_cbranch_scc0 .LBB416_1337
; %bb.1328:
	s_cmp_lt_i32 s22, 24
	s_cbranch_scc1 .LBB416_1340
; %bb.1329:
	s_cmp_gt_i32 s22, 24
	s_cbranch_scc0 .LBB416_1341
; %bb.1330:
	global_load_ubyte v1, v[2:3], off
	s_movk_i32 s2, 0x7f
	s_waitcnt vmcnt(0)
	v_cmp_lt_i16_e32 vcc, s2, v1
	s_mov_b64 s[2:3], 0
	s_and_saveexec_b64 s[16:17], vcc
	s_xor_b64 s[16:17], exec, s[16:17]
	s_cbranch_execz .LBB416_1353
; %bb.1331:
	s_movk_i32 s2, 0x80
	v_cmp_eq_u16_e32 vcc, s2, v1
	s_mov_b64 s[2:3], -1
	s_and_saveexec_b64 s[18:19], vcc
; %bb.1332:
	s_xor_b64 s[2:3], exec, -1
; %bb.1333:
	s_or_b64 exec, exec, s[18:19]
	s_and_b64 s[2:3], s[2:3], exec
	s_or_saveexec_b64 s[16:17], s[16:17]
	v_mov_b32_e32 v7, 0x7f800001
	s_xor_b64 exec, exec, s[16:17]
	s_cbranch_execnz .LBB416_1354
.LBB416_1334:
	s_or_b64 exec, exec, s[16:17]
	s_and_saveexec_b64 s[16:17], s[2:3]
	s_cbranch_execz .LBB416_1336
.LBB416_1335:
	v_lshlrev_b32_e32 v7, 24, v1
	v_and_b32_e32 v1, 0xffff, v1
	v_and_b32_e32 v8, 3, v1
	v_ffbh_u32_e32 v10, v8
	v_min_u32_e32 v10, 32, v10
	v_subrev_u32_e32 v11, 29, v10
	v_bfe_u32 v9, v1, 2, 5
	v_lshlrev_b32_e32 v1, v11, v1
	v_sub_u32_e32 v10, 30, v10
	v_and_b32_e32 v1, 3, v1
	v_cmp_eq_u32_e32 vcc, 0, v9
	v_and_b32_e32 v7, 0x80000000, v7
	s_nop 0
	v_cndmask_b32_e32 v9, v9, v10, vcc
	v_cndmask_b32_e32 v1, v8, v1, vcc
	v_mov_b32_e32 v8, 0x37800000
	v_lshlrev_b32_e32 v1, 21, v1
	v_lshl_add_u32 v8, v9, 23, v8
	v_or3_b32 v7, v7, v8, v1
.LBB416_1336:
	s_or_b64 exec, exec, s[16:17]
	v_bfe_u32 v1, v7, 16, 1
	s_movk_i32 s2, 0x7fff
	v_add3_u32 v1, v7, v1, s2
	v_cmp_o_f32_e32 vcc, v7, v7
	v_mov_b32_e32 v7, 0x7fc0
	s_mov_b64 s[2:3], 0
	v_cndmask_b32_sdwa v7, v7, v1, vcc dst_sel:DWORD dst_unused:UNUSED_PAD src0_sel:DWORD src1_sel:WORD_1
	s_branch .LBB416_1342
.LBB416_1337:
	s_mov_b64 s[2:3], -1
                                        ; implicit-def: $vgpr7
	s_branch .LBB416_1348
.LBB416_1338:
	s_or_saveexec_b64 s[18:19], s[18:19]
	v_mov_b32_e32 v7, 0x7f800001
	s_xor_b64 exec, exec, s[18:19]
	s_cbranch_execz .LBB416_1321
.LBB416_1339:
	v_cmp_ne_u16_e32 vcc, 0, v1
	s_andn2_b64 s[16:17], s[16:17], exec
	s_and_b64 s[20:21], vcc, exec
	v_mov_b32_e32 v7, 0
	s_or_b64 s[16:17], s[16:17], s[20:21]
	s_or_b64 exec, exec, s[18:19]
	s_and_saveexec_b64 s[18:19], s[16:17]
	s_cbranch_execnz .LBB416_1322
	s_branch .LBB416_1323
.LBB416_1340:
	s_mov_b64 s[2:3], -1
                                        ; implicit-def: $vgpr7
	s_branch .LBB416_1345
.LBB416_1341:
	s_mov_b64 s[2:3], -1
                                        ; implicit-def: $vgpr7
.LBB416_1342:
	s_and_b64 vcc, exec, s[2:3]
	s_cbranch_vccz .LBB416_1344
; %bb.1343:
	global_load_ubyte v1, v[2:3], off
	s_mov_b32 s2, 0x7f800000
	s_brev_b32 s3, 1
	s_movk_i32 s16, 0x7fff
	s_waitcnt vmcnt(0)
	v_lshlrev_b32_e32 v1, 24, v1
	v_and_b32_e32 v7, 0x7f000000, v1
	v_ffbh_u32_e32 v8, v7
	v_min_u32_e32 v8, 32, v8
	v_sub_u32_e64 v8, v8, 4 clamp
	v_lshlrev_b32_e32 v10, v8, v7
	v_lshlrev_b32_e32 v8, 23, v8
	v_lshrrev_b32_e32 v10, 4, v10
	v_add_u32_e32 v9, 0x1000000, v7
	v_sub_u32_e32 v8, v10, v8
	v_ashrrev_i32_e32 v9, 8, v9
	v_add_u32_e32 v8, 0x3c000000, v8
	v_and_or_b32 v8, v9, s2, v8
	v_cmp_ne_u32_e32 vcc, 0, v7
	s_nop 1
	v_cndmask_b32_e32 v7, 0, v8, vcc
	v_and_or_b32 v1, v1, s3, v7
	v_bfe_u32 v7, v7, 16, 1
	v_add3_u32 v7, v1, v7, s16
	v_cmp_o_f32_e32 vcc, v1, v1
	v_mov_b32_e32 v1, 0x7fc0
	s_nop 0
	v_cndmask_b32_sdwa v7, v1, v7, vcc dst_sel:DWORD dst_unused:UNUSED_PAD src0_sel:DWORD src1_sel:WORD_1
.LBB416_1344:
	s_mov_b64 s[2:3], 0
.LBB416_1345:
	s_andn2_b64 vcc, exec, s[2:3]
	s_cbranch_vccnz .LBB416_1347
; %bb.1346:
	global_load_ubyte v1, v[2:3], off
	s_movk_i32 s2, 0x7f00
	s_brev_b32 s3, 16
	s_brev_b32 s16, 1
	s_movk_i32 s17, 0x7fff
	s_waitcnt vmcnt(0)
	v_lshlrev_b16_e32 v7, 8, v1
	v_lshlrev_b32_e32 v1, 25, v1
	v_lshrrev_b32_e32 v8, 4, v1
	v_and_or_b32 v9, v7, s2, 0.5
	v_or_b32_e32 v8, 0x70000000, v8
	v_add_f32_e32 v9, -0.5, v9
	v_mul_f32_e32 v8, 0x7800000, v8
	v_cmp_gt_u32_e32 vcc, s3, v1
	v_bfe_i32 v7, v7, 0, 16
	s_nop 0
	v_cndmask_b32_e32 v1, v8, v9, vcc
	v_and_or_b32 v7, v7, s16, v1
	v_bfe_u32 v1, v1, 16, 1
	v_add3_u32 v1, v7, v1, s17
	v_cmp_o_f32_e32 vcc, v7, v7
	v_mov_b32_e32 v7, 0x7fc0
	s_nop 0
	v_cndmask_b32_sdwa v7, v7, v1, vcc dst_sel:DWORD dst_unused:UNUSED_PAD src0_sel:DWORD src1_sel:WORD_1
.LBB416_1347:
	s_mov_b64 s[2:3], 0
	s_mov_b64 s[16:17], -1
.LBB416_1348:
	s_andn2_b64 vcc, exec, s[2:3]
	s_mov_b64 s[2:3], 0
	s_cbranch_vccnz .LBB416_1359
; %bb.1349:
	s_cmp_gt_i32 s22, 14
	s_cbranch_scc0 .LBB416_1352
; %bb.1350:
	s_cmp_eq_u32 s22, 15
	s_cbranch_scc0 .LBB416_1355
; %bb.1351:
	global_load_ushort v7, v[2:3], off
	s_mov_b64 s[0:1], 0
	s_mov_b64 s[16:17], -1
	s_branch .LBB416_1356
.LBB416_1352:
	s_mov_b64 s[18:19], -1
                                        ; implicit-def: $vgpr7
	s_branch .LBB416_1357
.LBB416_1353:
	s_or_saveexec_b64 s[16:17], s[16:17]
	v_mov_b32_e32 v7, 0x7f800001
	s_xor_b64 exec, exec, s[16:17]
	s_cbranch_execz .LBB416_1334
.LBB416_1354:
	v_cmp_ne_u16_e32 vcc, 0, v1
	s_andn2_b64 s[2:3], s[2:3], exec
	s_and_b64 s[18:19], vcc, exec
	v_mov_b32_e32 v7, 0
	s_or_b64 s[2:3], s[2:3], s[18:19]
	s_or_b64 exec, exec, s[16:17]
	s_and_saveexec_b64 s[16:17], s[2:3]
	s_cbranch_execnz .LBB416_1335
	s_branch .LBB416_1336
.LBB416_1355:
	s_mov_b64 s[0:1], -1
                                        ; implicit-def: $vgpr7
.LBB416_1356:
	s_mov_b64 s[18:19], 0
.LBB416_1357:
	s_and_b64 vcc, exec, s[18:19]
	s_cbranch_vccz .LBB416_1359
; %bb.1358:
	s_cmp_lg_u32 s22, 11
	s_mov_b64 s[2:3], -1
	s_cselect_b64 s[0:1], -1, 0
.LBB416_1359:
	s_and_b64 vcc, exec, s[0:1]
	s_cbranch_vccnz .LBB416_1422
; %bb.1360:
	s_andn2_b64 vcc, exec, s[2:3]
	s_cbranch_vccnz .LBB416_1362
.LBB416_1361:
	global_load_ubyte v1, v[2:3], off
	s_mov_b64 s[16:17], -1
	s_waitcnt vmcnt(0)
	v_cmp_ne_u16_e32 vcc, 0, v1
	s_nop 1
	v_cndmask_b32_e64 v1, 0, 1.0, vcc
	v_lshrrev_b32_e32 v7, 16, v1
.LBB416_1362:
	s_branch .LBB416_1290
.LBB416_1363:
	s_cmp_lt_i32 s22, 5
	s_cbranch_scc1 .LBB416_1368
; %bb.1364:
	s_cmp_lt_i32 s22, 8
	s_cbranch_scc1 .LBB416_1369
; %bb.1365:
	;; [unrolled: 3-line block ×3, first 2 shown]
	s_cmp_gt_i32 s22, 9
	s_cbranch_scc0 .LBB416_1371
; %bb.1367:
	global_load_dwordx2 v[8:9], v[2:3], off
	s_movk_i32 s0, 0x7fff
	v_mov_b32_e32 v1, 0x7fc0
	s_waitcnt vmcnt(0)
	v_cvt_f32_f64_e32 v7, v[8:9]
	v_bfe_u32 v8, v7, 16, 1
	v_cmp_o_f32_e32 vcc, v7, v7
	v_add3_u32 v7, v7, v8, s0
	s_mov_b64 s[0:1], 0
	v_cndmask_b32_sdwa v7, v1, v7, vcc dst_sel:DWORD dst_unused:UNUSED_PAD src0_sel:DWORD src1_sel:WORD_1
	s_branch .LBB416_1372
.LBB416_1368:
	s_mov_b64 s[0:1], -1
                                        ; implicit-def: $vgpr7
	s_branch .LBB416_1390
.LBB416_1369:
	s_mov_b64 s[0:1], -1
                                        ; implicit-def: $vgpr7
	s_branch .LBB416_1378
.LBB416_1370:
	s_mov_b64 s[0:1], -1
                                        ; implicit-def: $vgpr7
	s_branch .LBB416_1375
.LBB416_1371:
	s_mov_b64 s[0:1], -1
                                        ; implicit-def: $vgpr7
.LBB416_1372:
	s_andn2_b64 vcc, exec, s[0:1]
	s_cbranch_vccnz .LBB416_1374
; %bb.1373:
	global_load_dword v1, v[2:3], off
	s_movk_i32 s0, 0x7fff
	s_waitcnt vmcnt(1)
	v_mov_b32_e32 v7, 0x7fc0
	s_waitcnt vmcnt(0)
	v_bfe_u32 v8, v1, 16, 1
	v_cmp_o_f32_e32 vcc, v1, v1
	v_add3_u32 v1, v1, v8, s0
	s_nop 0
	v_cndmask_b32_sdwa v7, v7, v1, vcc dst_sel:DWORD dst_unused:UNUSED_PAD src0_sel:DWORD src1_sel:WORD_1
.LBB416_1374:
	s_mov_b64 s[0:1], 0
.LBB416_1375:
	s_andn2_b64 vcc, exec, s[0:1]
	s_cbranch_vccnz .LBB416_1377
; %bb.1376:
	global_load_dword v1, v[2:3], off
	s_movk_i32 s0, 0x7fff
	v_mov_b32_e32 v8, 0x7fc0
	s_waitcnt vmcnt(0)
	v_cvt_f32_f16_e32 v7, v1
	v_cmp_o_f16_e32 vcc, v1, v1
	v_bfe_u32 v1, v7, 16, 1
	v_add3_u32 v1, v7, v1, s0
	v_cndmask_b32_sdwa v7, v8, v1, vcc dst_sel:DWORD dst_unused:UNUSED_PAD src0_sel:DWORD src1_sel:WORD_1
.LBB416_1377:
	s_mov_b64 s[0:1], 0
.LBB416_1378:
	s_andn2_b64 vcc, exec, s[0:1]
	s_cbranch_vccnz .LBB416_1389
; %bb.1379:
	s_cmp_lt_i32 s22, 6
	s_cbranch_scc1 .LBB416_1382
; %bb.1380:
	s_cmp_gt_i32 s22, 6
	s_cbranch_scc0 .LBB416_1383
; %bb.1381:
	global_load_dwordx2 v[8:9], v[2:3], off
	s_movk_i32 s0, 0x7fff
	v_mov_b32_e32 v1, 0x7fc0
	s_waitcnt vmcnt(0)
	v_cvt_f32_f64_e32 v7, v[8:9]
	v_bfe_u32 v8, v7, 16, 1
	v_cmp_o_f32_e32 vcc, v7, v7
	v_add3_u32 v7, v7, v8, s0
	s_mov_b64 s[0:1], 0
	v_cndmask_b32_sdwa v7, v1, v7, vcc dst_sel:DWORD dst_unused:UNUSED_PAD src0_sel:DWORD src1_sel:WORD_1
	s_branch .LBB416_1384
.LBB416_1382:
	s_mov_b64 s[0:1], -1
                                        ; implicit-def: $vgpr7
	s_branch .LBB416_1387
.LBB416_1383:
	s_mov_b64 s[0:1], -1
                                        ; implicit-def: $vgpr7
.LBB416_1384:
	s_andn2_b64 vcc, exec, s[0:1]
	s_cbranch_vccnz .LBB416_1386
; %bb.1385:
	global_load_dword v1, v[2:3], off
	s_movk_i32 s0, 0x7fff
	s_waitcnt vmcnt(1)
	v_mov_b32_e32 v7, 0x7fc0
	s_waitcnt vmcnt(0)
	v_bfe_u32 v8, v1, 16, 1
	v_cmp_o_f32_e32 vcc, v1, v1
	v_add3_u32 v1, v1, v8, s0
	s_nop 0
	v_cndmask_b32_sdwa v7, v7, v1, vcc dst_sel:DWORD dst_unused:UNUSED_PAD src0_sel:DWORD src1_sel:WORD_1
.LBB416_1386:
	s_mov_b64 s[0:1], 0
.LBB416_1387:
	s_andn2_b64 vcc, exec, s[0:1]
	s_cbranch_vccnz .LBB416_1389
; %bb.1388:
	global_load_ushort v1, v[2:3], off
	s_movk_i32 s0, 0x7fff
	v_mov_b32_e32 v8, 0x7fc0
	s_waitcnt vmcnt(0)
	v_cvt_f32_f16_e32 v7, v1
	v_cmp_o_f16_e32 vcc, v1, v1
	v_bfe_u32 v1, v7, 16, 1
	v_add3_u32 v1, v7, v1, s0
	v_cndmask_b32_sdwa v7, v8, v1, vcc dst_sel:DWORD dst_unused:UNUSED_PAD src0_sel:DWORD src1_sel:WORD_1
.LBB416_1389:
	s_mov_b64 s[0:1], 0
.LBB416_1390:
	s_andn2_b64 vcc, exec, s[0:1]
	s_cbranch_vccnz .LBB416_1410
; %bb.1391:
	s_cmp_lt_i32 s22, 2
	s_cbranch_scc1 .LBB416_1395
; %bb.1392:
	s_cmp_lt_i32 s22, 3
	s_cbranch_scc1 .LBB416_1396
; %bb.1393:
	s_cmp_gt_i32 s22, 3
	s_cbranch_scc0 .LBB416_1397
; %bb.1394:
	global_load_dwordx2 v[8:9], v[2:3], off
	s_movk_i32 s0, 0x7fff
	s_waitcnt vmcnt(0)
	v_xor_b32_e32 v7, v8, v9
	v_ffbh_i32_e32 v1, v9
	v_ashrrev_i32_e32 v7, 31, v7
	v_add_u32_e32 v1, -1, v1
	v_add_u32_e32 v7, 32, v7
	v_min_u32_e32 v1, v1, v7
	v_lshlrev_b64 v[8:9], v1, v[8:9]
	v_min_u32_e32 v7, 1, v8
	v_or_b32_e32 v7, v9, v7
	v_cvt_f32_i32_e32 v7, v7
	v_sub_u32_e32 v1, 32, v1
	v_ldexp_f32 v1, v7, v1
	v_bfe_u32 v7, v1, 16, 1
	v_add3_u32 v1, v1, v7, s0
	v_lshrrev_b32_e32 v7, 16, v1
	s_mov_b64 s[0:1], 0
	s_branch .LBB416_1398
.LBB416_1395:
	s_mov_b64 s[0:1], -1
                                        ; implicit-def: $vgpr7
	s_branch .LBB416_1404
.LBB416_1396:
	s_mov_b64 s[0:1], -1
                                        ; implicit-def: $vgpr7
	s_branch .LBB416_1401
.LBB416_1397:
	s_mov_b64 s[0:1], -1
                                        ; implicit-def: $vgpr7
.LBB416_1398:
	s_andn2_b64 vcc, exec, s[0:1]
	s_cbranch_vccnz .LBB416_1400
; %bb.1399:
	global_load_dword v1, v[2:3], off
	s_movk_i32 s0, 0x7fff
	s_waitcnt vmcnt(0)
	v_cvt_f32_i32_e32 v1, v1
	v_bfe_u32 v7, v1, 16, 1
	v_add3_u32 v1, v1, v7, s0
	v_lshrrev_b32_e32 v7, 16, v1
.LBB416_1400:
	s_mov_b64 s[0:1], 0
.LBB416_1401:
	s_andn2_b64 vcc, exec, s[0:1]
	s_cbranch_vccnz .LBB416_1403
; %bb.1402:
	global_load_sshort v1, v[2:3], off
	s_movk_i32 s0, 0x7fff
	s_waitcnt vmcnt(0)
	v_cvt_f32_i32_e32 v1, v1
	v_bfe_u32 v7, v1, 16, 1
	v_add3_u32 v1, v1, v7, s0
	v_lshrrev_b32_e32 v7, 16, v1
.LBB416_1403:
	s_mov_b64 s[0:1], 0
.LBB416_1404:
	s_andn2_b64 vcc, exec, s[0:1]
	s_cbranch_vccnz .LBB416_1410
; %bb.1405:
	s_cmp_gt_i32 s22, 0
	s_cbranch_scc0 .LBB416_1407
; %bb.1406:
	global_load_sbyte v1, v[2:3], off
	s_movk_i32 s0, 0x7fff
	s_waitcnt vmcnt(0)
	v_cvt_f32_i32_e32 v1, v1
	v_bfe_u32 v7, v1, 16, 1
	v_add3_u32 v1, v1, v7, s0
	v_lshrrev_b32_e32 v7, 16, v1
	s_mov_b64 s[0:1], 0
	s_branch .LBB416_1408
.LBB416_1407:
	s_mov_b64 s[0:1], -1
                                        ; implicit-def: $vgpr7
.LBB416_1408:
	s_andn2_b64 vcc, exec, s[0:1]
	s_cbranch_vccnz .LBB416_1410
; %bb.1409:
	global_load_ubyte v1, v[2:3], off
	s_movk_i32 s0, 0x7fff
	s_waitcnt vmcnt(0)
	v_cvt_f32_ubyte0_e32 v1, v1
	v_bfe_u32 v2, v1, 16, 1
	v_add3_u32 v1, v1, v2, s0
	v_lshrrev_b32_e32 v7, 16, v1
.LBB416_1410:
.LBB416_1411:
	v_add_u32_e32 v0, s9, v0
	v_ashrrev_i32_e32 v1, 31, v0
	s_cmp_lt_i32 s22, 11
	v_lshl_add_u64 v[0:1], s[6:7], 0, v[0:1]
	s_cbranch_scc1 .LBB416_1418
; %bb.1412:
	s_cmp_gt_i32 s22, 25
	s_mov_b64 s[2:3], 0
	s_cbranch_scc0 .LBB416_1419
; %bb.1413:
	s_cmp_gt_i32 s22, 28
	s_cbranch_scc0 .LBB416_1420
; %bb.1414:
	s_cmp_gt_i32 s22, 43
	s_cbranch_scc0 .LBB416_1421
; %bb.1415:
	s_cmp_gt_i32 s22, 45
	s_cbranch_scc0 .LBB416_1423
; %bb.1416:
	s_cmp_eq_u32 s22, 46
	s_mov_b64 s[16:17], 0
	s_cbranch_scc0 .LBB416_1424
; %bb.1417:
	global_load_dword v8, v[0:1], off
	s_mov_b64 s[0:1], 0
	s_mov_b64 s[6:7], -1
	s_branch .LBB416_1425
.LBB416_1418:
	s_mov_b64 s[0:1], -1
	s_mov_b64 s[6:7], 0
                                        ; implicit-def: $vgpr8
	s_branch .LBB416_1491
.LBB416_1419:
	s_mov_b64 s[16:17], -1
	s_mov_b64 s[6:7], 0
	s_mov_b64 s[0:1], 0
                                        ; implicit-def: $vgpr8
	s_branch .LBB416_1454
.LBB416_1420:
	s_mov_b64 s[16:17], -1
	s_mov_b64 s[6:7], 0
	s_mov_b64 s[0:1], 0
                                        ; implicit-def: $vgpr8
	s_branch .LBB416_1435
.LBB416_1421:
	s_mov_b64 s[16:17], -1
	s_mov_b64 s[6:7], 0
	s_mov_b64 s[0:1], 0
                                        ; implicit-def: $vgpr8
	s_branch .LBB416_1430
.LBB416_1422:
	s_trap 2
	s_or_b64 s[14:15], s[14:15], exec
	s_cbranch_execz .LBB416_1361
	s_branch .LBB416_1362
.LBB416_1423:
	s_mov_b64 s[16:17], -1
	s_mov_b64 s[6:7], 0
	s_mov_b64 s[0:1], 0
                                        ; implicit-def: $vgpr8
	s_branch .LBB416_1425
.LBB416_1424:
	s_mov_b64 s[0:1], -1
                                        ; implicit-def: $vgpr8
	s_mov_b64 s[6:7], 0
.LBB416_1425:
	s_and_b64 vcc, exec, s[16:17]
	s_cbranch_vccz .LBB416_1429
; %bb.1426:
	s_cmp_eq_u32 s22, 44
	s_cbranch_scc0 .LBB416_1428
; %bb.1427:
	global_load_ubyte v2, v[0:1], off
	s_movk_i32 s6, 0xff
	v_mov_b32_e32 v3, 0x7f800001
	s_waitcnt vmcnt(1)
	v_mov_b32_e32 v8, 0x400000
	v_mov_b32_e32 v9, 0x7fc0
	s_mov_b64 s[0:1], 0
	s_waitcnt vmcnt(0)
	v_lshlrev_b32_e32 v10, 23, v2
	v_cmp_ne_u32_e32 vcc, s6, v2
	s_mov_b64 s[6:7], -1
	s_nop 0
	v_cndmask_b32_e32 v3, v3, v10, vcc
	v_cmp_ne_u32_e32 vcc, 0, v2
	s_nop 1
	v_cndmask_b32_e32 v2, v8, v3, vcc
	v_add_u32_e32 v3, 0x7fff, v2
	v_cmp_o_f32_e32 vcc, v2, v2
	s_nop 1
	v_cndmask_b32_sdwa v8, v9, v3, vcc dst_sel:DWORD dst_unused:UNUSED_PAD src0_sel:DWORD src1_sel:WORD_1
	s_branch .LBB416_1429
.LBB416_1428:
	s_mov_b64 s[0:1], -1
                                        ; implicit-def: $vgpr8
.LBB416_1429:
	s_mov_b64 s[16:17], 0
.LBB416_1430:
	s_and_b64 vcc, exec, s[16:17]
	s_cbranch_vccz .LBB416_1434
; %bb.1431:
	s_cmp_eq_u32 s22, 29
	s_cbranch_scc0 .LBB416_1433
; %bb.1432:
	global_load_dwordx2 v[2:3], v[0:1], off
	s_movk_i32 s6, 0x7fff
	s_mov_b64 s[0:1], 0
	s_mov_b64 s[16:17], 0
	s_waitcnt vmcnt(0)
	v_ffbh_u32_e32 v8, v3
	v_min_u32_e32 v8, 32, v8
	v_lshlrev_b64 v[2:3], v8, v[2:3]
	v_min_u32_e32 v2, 1, v2
	v_or_b32_e32 v2, v3, v2
	v_cvt_f32_u32_e32 v2, v2
	v_sub_u32_e32 v3, 32, v8
	v_ldexp_f32 v2, v2, v3
	v_bfe_u32 v3, v2, 16, 1
	v_add3_u32 v2, v2, v3, s6
	v_lshrrev_b32_e32 v8, 16, v2
	s_mov_b64 s[6:7], -1
	s_branch .LBB416_1435
.LBB416_1433:
	s_mov_b64 s[0:1], -1
                                        ; implicit-def: $vgpr8
.LBB416_1434:
	s_mov_b64 s[16:17], 0
.LBB416_1435:
	s_and_b64 vcc, exec, s[16:17]
	s_cbranch_vccz .LBB416_1453
; %bb.1436:
	s_cmp_lt_i32 s22, 27
	s_cbranch_scc1 .LBB416_1439
; %bb.1437:
	s_cmp_gt_i32 s22, 27
	s_cbranch_scc0 .LBB416_1440
; %bb.1438:
	global_load_dword v2, v[0:1], off
	s_movk_i32 s6, 0x7fff
	s_waitcnt vmcnt(0)
	v_cvt_f32_u32_e32 v2, v2
	v_bfe_u32 v3, v2, 16, 1
	v_add3_u32 v2, v2, v3, s6
	v_lshrrev_b32_e32 v8, 16, v2
	s_mov_b64 s[6:7], 0
	s_branch .LBB416_1441
.LBB416_1439:
	s_mov_b64 s[6:7], -1
                                        ; implicit-def: $vgpr8
	s_branch .LBB416_1444
.LBB416_1440:
	s_mov_b64 s[6:7], -1
                                        ; implicit-def: $vgpr8
.LBB416_1441:
	s_andn2_b64 vcc, exec, s[6:7]
	s_cbranch_vccnz .LBB416_1443
; %bb.1442:
	global_load_ushort v2, v[0:1], off
	s_movk_i32 s6, 0x7fff
	s_waitcnt vmcnt(0)
	v_cvt_f32_u32_e32 v2, v2
	v_bfe_u32 v3, v2, 16, 1
	v_add3_u32 v2, v2, v3, s6
	v_lshrrev_b32_e32 v8, 16, v2
.LBB416_1443:
	s_mov_b64 s[6:7], 0
.LBB416_1444:
	s_andn2_b64 vcc, exec, s[6:7]
	s_cbranch_vccnz .LBB416_1452
; %bb.1445:
	global_load_ubyte v2, v[0:1], off
	s_movk_i32 s6, 0x7f
	s_waitcnt vmcnt(0)
	v_cmp_lt_i16_e32 vcc, s6, v2
	s_mov_b64 s[6:7], 0
	s_and_saveexec_b64 s[16:17], vcc
	s_xor_b64 s[16:17], exec, s[16:17]
	s_cbranch_execz .LBB416_1466
; %bb.1446:
	s_movk_i32 s6, 0x80
	v_cmp_eq_u16_e32 vcc, s6, v2
	s_mov_b64 s[6:7], -1
	s_and_saveexec_b64 s[18:19], vcc
; %bb.1447:
	s_xor_b64 s[6:7], exec, -1
; %bb.1448:
	s_or_b64 exec, exec, s[18:19]
	s_and_b64 s[6:7], s[6:7], exec
	s_or_saveexec_b64 s[16:17], s[16:17]
	v_mov_b32_e32 v3, 0x7f800001
	s_xor_b64 exec, exec, s[16:17]
	s_cbranch_execnz .LBB416_1467
.LBB416_1449:
	s_or_b64 exec, exec, s[16:17]
	s_and_saveexec_b64 s[16:17], s[6:7]
	s_cbranch_execz .LBB416_1451
.LBB416_1450:
	v_lshlrev_b32_e32 v3, 24, v2
	v_and_b32_e32 v2, 0xffff, v2
	v_and_b32_e32 v8, 7, v2
	v_ffbh_u32_e32 v10, v8
	v_min_u32_e32 v10, 32, v10
	v_subrev_u32_e32 v11, 28, v10
	v_bfe_u32 v9, v2, 3, 4
	v_lshlrev_b32_e32 v2, v11, v2
	v_sub_u32_e32 v10, 29, v10
	v_and_b32_e32 v2, 7, v2
	v_cmp_eq_u32_e32 vcc, 0, v9
	v_and_b32_e32 v3, 0x80000000, v3
	s_nop 0
	v_cndmask_b32_e32 v9, v9, v10, vcc
	v_cndmask_b32_e32 v2, v8, v2, vcc
	v_mov_b32_e32 v8, 0x3b800000
	v_lshlrev_b32_e32 v2, 20, v2
	v_lshl_add_u32 v8, v9, 23, v8
	v_or3_b32 v3, v3, v8, v2
.LBB416_1451:
	s_or_b64 exec, exec, s[16:17]
	v_bfe_u32 v2, v3, 16, 1
	s_movk_i32 s6, 0x7fff
	v_add3_u32 v2, v3, v2, s6
	v_cmp_o_f32_e32 vcc, v3, v3
	v_mov_b32_e32 v3, 0x7fc0
	s_nop 0
	v_cndmask_b32_sdwa v8, v3, v2, vcc dst_sel:DWORD dst_unused:UNUSED_PAD src0_sel:DWORD src1_sel:WORD_1
.LBB416_1452:
	s_mov_b64 s[6:7], -1
.LBB416_1453:
	s_mov_b64 s[16:17], 0
.LBB416_1454:
	s_and_b64 vcc, exec, s[16:17]
	s_cbranch_vccz .LBB416_1487
; %bb.1455:
	s_cmp_gt_i32 s22, 22
	s_cbranch_scc0 .LBB416_1465
; %bb.1456:
	s_cmp_lt_i32 s22, 24
	s_cbranch_scc1 .LBB416_1468
; %bb.1457:
	s_cmp_gt_i32 s22, 24
	s_cbranch_scc0 .LBB416_1469
; %bb.1458:
	global_load_ubyte v2, v[0:1], off
	s_movk_i32 s2, 0x7f
	s_waitcnt vmcnt(0)
	v_cmp_lt_i16_e32 vcc, s2, v2
	s_mov_b64 s[2:3], 0
	s_and_saveexec_b64 s[6:7], vcc
	s_xor_b64 s[6:7], exec, s[6:7]
	s_cbranch_execz .LBB416_1481
; %bb.1459:
	s_movk_i32 s2, 0x80
	v_cmp_eq_u16_e32 vcc, s2, v2
	s_mov_b64 s[2:3], -1
	s_and_saveexec_b64 s[16:17], vcc
; %bb.1460:
	s_xor_b64 s[2:3], exec, -1
; %bb.1461:
	s_or_b64 exec, exec, s[16:17]
	s_and_b64 s[2:3], s[2:3], exec
	s_or_saveexec_b64 s[6:7], s[6:7]
	v_mov_b32_e32 v3, 0x7f800001
	s_xor_b64 exec, exec, s[6:7]
	s_cbranch_execnz .LBB416_1482
.LBB416_1462:
	s_or_b64 exec, exec, s[6:7]
	s_and_saveexec_b64 s[6:7], s[2:3]
	s_cbranch_execz .LBB416_1464
.LBB416_1463:
	v_lshlrev_b32_e32 v3, 24, v2
	v_and_b32_e32 v2, 0xffff, v2
	v_and_b32_e32 v8, 3, v2
	v_ffbh_u32_e32 v10, v8
	v_min_u32_e32 v10, 32, v10
	v_subrev_u32_e32 v11, 29, v10
	v_bfe_u32 v9, v2, 2, 5
	v_lshlrev_b32_e32 v2, v11, v2
	v_sub_u32_e32 v10, 30, v10
	v_and_b32_e32 v2, 3, v2
	v_cmp_eq_u32_e32 vcc, 0, v9
	v_and_b32_e32 v3, 0x80000000, v3
	s_nop 0
	v_cndmask_b32_e32 v9, v9, v10, vcc
	v_cndmask_b32_e32 v2, v8, v2, vcc
	v_mov_b32_e32 v8, 0x37800000
	v_lshlrev_b32_e32 v2, 21, v2
	v_lshl_add_u32 v8, v9, 23, v8
	v_or3_b32 v3, v3, v8, v2
.LBB416_1464:
	s_or_b64 exec, exec, s[6:7]
	v_bfe_u32 v2, v3, 16, 1
	s_movk_i32 s2, 0x7fff
	v_add3_u32 v2, v3, v2, s2
	v_cmp_o_f32_e32 vcc, v3, v3
	v_mov_b32_e32 v3, 0x7fc0
	s_mov_b64 s[2:3], 0
	v_cndmask_b32_sdwa v8, v3, v2, vcc dst_sel:DWORD dst_unused:UNUSED_PAD src0_sel:DWORD src1_sel:WORD_1
	s_branch .LBB416_1470
.LBB416_1465:
	s_mov_b64 s[2:3], -1
                                        ; implicit-def: $vgpr8
	s_branch .LBB416_1476
.LBB416_1466:
	s_or_saveexec_b64 s[16:17], s[16:17]
	v_mov_b32_e32 v3, 0x7f800001
	s_xor_b64 exec, exec, s[16:17]
	s_cbranch_execz .LBB416_1449
.LBB416_1467:
	v_cmp_ne_u16_e32 vcc, 0, v2
	s_andn2_b64 s[6:7], s[6:7], exec
	s_and_b64 s[18:19], vcc, exec
	v_mov_b32_e32 v3, 0
	s_or_b64 s[6:7], s[6:7], s[18:19]
	s_or_b64 exec, exec, s[16:17]
	s_and_saveexec_b64 s[16:17], s[6:7]
	s_cbranch_execnz .LBB416_1450
	s_branch .LBB416_1451
.LBB416_1468:
	s_mov_b64 s[2:3], -1
                                        ; implicit-def: $vgpr8
	s_branch .LBB416_1473
.LBB416_1469:
	s_mov_b64 s[2:3], -1
                                        ; implicit-def: $vgpr8
.LBB416_1470:
	s_and_b64 vcc, exec, s[2:3]
	s_cbranch_vccz .LBB416_1472
; %bb.1471:
	global_load_ubyte v2, v[0:1], off
	s_mov_b32 s2, 0x7f800000
	s_brev_b32 s3, 1
	s_movk_i32 s6, 0x7fff
	s_waitcnt vmcnt(0)
	v_lshlrev_b32_e32 v2, 24, v2
	v_and_b32_e32 v3, 0x7f000000, v2
	v_ffbh_u32_e32 v8, v3
	v_min_u32_e32 v8, 32, v8
	v_sub_u32_e64 v8, v8, 4 clamp
	v_lshlrev_b32_e32 v10, v8, v3
	v_lshlrev_b32_e32 v8, 23, v8
	v_lshrrev_b32_e32 v10, 4, v10
	v_add_u32_e32 v9, 0x1000000, v3
	v_sub_u32_e32 v8, v10, v8
	v_ashrrev_i32_e32 v9, 8, v9
	v_add_u32_e32 v8, 0x3c000000, v8
	v_and_or_b32 v8, v9, s2, v8
	v_cmp_ne_u32_e32 vcc, 0, v3
	s_nop 1
	v_cndmask_b32_e32 v3, 0, v8, vcc
	v_and_or_b32 v2, v2, s3, v3
	v_bfe_u32 v3, v3, 16, 1
	v_add3_u32 v3, v2, v3, s6
	v_cmp_o_f32_e32 vcc, v2, v2
	v_mov_b32_e32 v2, 0x7fc0
	s_nop 0
	v_cndmask_b32_sdwa v8, v2, v3, vcc dst_sel:DWORD dst_unused:UNUSED_PAD src0_sel:DWORD src1_sel:WORD_1
.LBB416_1472:
	s_mov_b64 s[2:3], 0
.LBB416_1473:
	s_andn2_b64 vcc, exec, s[2:3]
	s_cbranch_vccnz .LBB416_1475
; %bb.1474:
	global_load_ubyte v2, v[0:1], off
	s_movk_i32 s2, 0x7f00
	s_brev_b32 s3, 16
	s_brev_b32 s6, 1
	s_movk_i32 s7, 0x7fff
	s_waitcnt vmcnt(0)
	v_lshlrev_b16_e32 v3, 8, v2
	v_lshlrev_b32_e32 v2, 25, v2
	v_lshrrev_b32_e32 v8, 4, v2
	v_and_or_b32 v9, v3, s2, 0.5
	v_or_b32_e32 v8, 0x70000000, v8
	v_add_f32_e32 v9, -0.5, v9
	v_mul_f32_e32 v8, 0x7800000, v8
	v_cmp_gt_u32_e32 vcc, s3, v2
	v_bfe_i32 v3, v3, 0, 16
	s_nop 0
	v_cndmask_b32_e32 v2, v8, v9, vcc
	v_and_or_b32 v3, v3, s6, v2
	v_bfe_u32 v2, v2, 16, 1
	v_add3_u32 v2, v3, v2, s7
	v_cmp_o_f32_e32 vcc, v3, v3
	v_mov_b32_e32 v3, 0x7fc0
	s_nop 0
	v_cndmask_b32_sdwa v8, v3, v2, vcc dst_sel:DWORD dst_unused:UNUSED_PAD src0_sel:DWORD src1_sel:WORD_1
.LBB416_1475:
	s_mov_b64 s[2:3], 0
	s_mov_b64 s[6:7], -1
.LBB416_1476:
	s_andn2_b64 vcc, exec, s[2:3]
	s_mov_b64 s[2:3], 0
	s_cbranch_vccnz .LBB416_1487
; %bb.1477:
	s_cmp_gt_i32 s22, 14
	s_cbranch_scc0 .LBB416_1480
; %bb.1478:
	s_cmp_eq_u32 s22, 15
	s_cbranch_scc0 .LBB416_1483
; %bb.1479:
	global_load_ushort v8, v[0:1], off
	s_mov_b64 s[0:1], 0
	s_mov_b64 s[6:7], -1
	s_branch .LBB416_1484
.LBB416_1480:
	s_mov_b64 s[16:17], -1
                                        ; implicit-def: $vgpr8
	s_branch .LBB416_1485
.LBB416_1481:
	s_or_saveexec_b64 s[6:7], s[6:7]
	v_mov_b32_e32 v3, 0x7f800001
	s_xor_b64 exec, exec, s[6:7]
	s_cbranch_execz .LBB416_1462
.LBB416_1482:
	v_cmp_ne_u16_e32 vcc, 0, v2
	s_andn2_b64 s[2:3], s[2:3], exec
	s_and_b64 s[16:17], vcc, exec
	v_mov_b32_e32 v3, 0
	s_or_b64 s[2:3], s[2:3], s[16:17]
	s_or_b64 exec, exec, s[6:7]
	s_and_saveexec_b64 s[6:7], s[2:3]
	s_cbranch_execnz .LBB416_1463
	s_branch .LBB416_1464
.LBB416_1483:
	s_mov_b64 s[0:1], -1
                                        ; implicit-def: $vgpr8
.LBB416_1484:
	s_mov_b64 s[16:17], 0
.LBB416_1485:
	s_and_b64 vcc, exec, s[16:17]
	s_cbranch_vccz .LBB416_1487
; %bb.1486:
	s_cmp_lg_u32 s22, 11
	s_mov_b64 s[2:3], -1
	s_cselect_b64 s[0:1], -1, 0
.LBB416_1487:
	s_and_b64 vcc, exec, s[0:1]
	s_cbranch_vccnz .LBB416_2020
; %bb.1488:
	s_andn2_b64 vcc, exec, s[2:3]
	s_cbranch_vccnz .LBB416_1490
.LBB416_1489:
	global_load_ubyte v2, v[0:1], off
	s_mov_b64 s[6:7], -1
	s_waitcnt vmcnt(0)
	v_cmp_ne_u16_e32 vcc, 0, v2
	s_nop 1
	v_cndmask_b32_e64 v2, 0, 1.0, vcc
	v_lshrrev_b32_e32 v8, 16, v2
.LBB416_1490:
	s_mov_b64 s[0:1], 0
.LBB416_1491:
	s_and_b64 vcc, exec, s[0:1]
	s_cbranch_vccz .LBB416_1540
; %bb.1492:
	s_cmp_lt_i32 s22, 5
	s_cbranch_scc1 .LBB416_1497
; %bb.1493:
	s_cmp_lt_i32 s22, 8
	s_cbranch_scc1 .LBB416_1498
	;; [unrolled: 3-line block ×3, first 2 shown]
; %bb.1495:
	s_cmp_gt_i32 s22, 9
	s_cbranch_scc0 .LBB416_1500
; %bb.1496:
	global_load_dwordx2 v[2:3], v[0:1], off
	s_movk_i32 s0, 0x7fff
	s_waitcnt vmcnt(1)
	v_mov_b32_e32 v8, 0x7fc0
	s_waitcnt vmcnt(0)
	v_cvt_f32_f64_e32 v2, v[2:3]
	v_bfe_u32 v3, v2, 16, 1
	v_cmp_o_f32_e32 vcc, v2, v2
	v_add3_u32 v2, v2, v3, s0
	s_mov_b64 s[0:1], 0
	v_cndmask_b32_sdwa v8, v8, v2, vcc dst_sel:DWORD dst_unused:UNUSED_PAD src0_sel:DWORD src1_sel:WORD_1
	s_branch .LBB416_1501
.LBB416_1497:
	s_mov_b64 s[0:1], -1
                                        ; implicit-def: $vgpr8
	s_branch .LBB416_1519
.LBB416_1498:
	s_mov_b64 s[0:1], -1
                                        ; implicit-def: $vgpr8
	s_branch .LBB416_1507
.LBB416_1499:
	s_mov_b64 s[0:1], -1
                                        ; implicit-def: $vgpr8
	s_branch .LBB416_1504
.LBB416_1500:
	s_mov_b64 s[0:1], -1
                                        ; implicit-def: $vgpr8
.LBB416_1501:
	s_andn2_b64 vcc, exec, s[0:1]
	s_cbranch_vccnz .LBB416_1503
; %bb.1502:
	global_load_dword v2, v[0:1], off
	s_movk_i32 s0, 0x7fff
	v_mov_b32_e32 v3, 0x7fc0
	s_waitcnt vmcnt(0)
	v_bfe_u32 v8, v2, 16, 1
	v_cmp_o_f32_e32 vcc, v2, v2
	v_add3_u32 v2, v2, v8, s0
	s_nop 0
	v_cndmask_b32_sdwa v8, v3, v2, vcc dst_sel:DWORD dst_unused:UNUSED_PAD src0_sel:DWORD src1_sel:WORD_1
.LBB416_1503:
	s_mov_b64 s[0:1], 0
.LBB416_1504:
	s_andn2_b64 vcc, exec, s[0:1]
	s_cbranch_vccnz .LBB416_1506
; %bb.1505:
	global_load_dword v2, v[0:1], off
	s_movk_i32 s0, 0x7fff
	s_waitcnt vmcnt(1)
	v_mov_b32_e32 v8, 0x7fc0
	s_waitcnt vmcnt(0)
	v_cvt_f32_f16_e32 v3, v2
	v_cmp_o_f16_e32 vcc, v2, v2
	v_bfe_u32 v2, v3, 16, 1
	v_add3_u32 v2, v3, v2, s0
	v_cndmask_b32_sdwa v8, v8, v2, vcc dst_sel:DWORD dst_unused:UNUSED_PAD src0_sel:DWORD src1_sel:WORD_1
.LBB416_1506:
	s_mov_b64 s[0:1], 0
.LBB416_1507:
	s_andn2_b64 vcc, exec, s[0:1]
	s_cbranch_vccnz .LBB416_1518
; %bb.1508:
	s_cmp_lt_i32 s22, 6
	s_cbranch_scc1 .LBB416_1511
; %bb.1509:
	s_cmp_gt_i32 s22, 6
	s_cbranch_scc0 .LBB416_1512
; %bb.1510:
	global_load_dwordx2 v[2:3], v[0:1], off
	s_movk_i32 s0, 0x7fff
	s_waitcnt vmcnt(1)
	v_mov_b32_e32 v8, 0x7fc0
	s_waitcnt vmcnt(0)
	v_cvt_f32_f64_e32 v2, v[2:3]
	v_bfe_u32 v3, v2, 16, 1
	v_cmp_o_f32_e32 vcc, v2, v2
	v_add3_u32 v2, v2, v3, s0
	s_mov_b64 s[0:1], 0
	v_cndmask_b32_sdwa v8, v8, v2, vcc dst_sel:DWORD dst_unused:UNUSED_PAD src0_sel:DWORD src1_sel:WORD_1
	s_branch .LBB416_1513
.LBB416_1511:
	s_mov_b64 s[0:1], -1
                                        ; implicit-def: $vgpr8
	s_branch .LBB416_1516
.LBB416_1512:
	s_mov_b64 s[0:1], -1
                                        ; implicit-def: $vgpr8
.LBB416_1513:
	s_andn2_b64 vcc, exec, s[0:1]
	s_cbranch_vccnz .LBB416_1515
; %bb.1514:
	global_load_dword v2, v[0:1], off
	s_movk_i32 s0, 0x7fff
	v_mov_b32_e32 v3, 0x7fc0
	s_waitcnt vmcnt(0)
	v_bfe_u32 v8, v2, 16, 1
	v_cmp_o_f32_e32 vcc, v2, v2
	v_add3_u32 v2, v2, v8, s0
	s_nop 0
	v_cndmask_b32_sdwa v8, v3, v2, vcc dst_sel:DWORD dst_unused:UNUSED_PAD src0_sel:DWORD src1_sel:WORD_1
.LBB416_1515:
	s_mov_b64 s[0:1], 0
.LBB416_1516:
	s_andn2_b64 vcc, exec, s[0:1]
	s_cbranch_vccnz .LBB416_1518
; %bb.1517:
	global_load_ushort v2, v[0:1], off
	s_movk_i32 s0, 0x7fff
	s_waitcnt vmcnt(1)
	v_mov_b32_e32 v8, 0x7fc0
	s_waitcnt vmcnt(0)
	v_cvt_f32_f16_e32 v3, v2
	v_cmp_o_f16_e32 vcc, v2, v2
	v_bfe_u32 v2, v3, 16, 1
	v_add3_u32 v2, v3, v2, s0
	v_cndmask_b32_sdwa v8, v8, v2, vcc dst_sel:DWORD dst_unused:UNUSED_PAD src0_sel:DWORD src1_sel:WORD_1
.LBB416_1518:
	s_mov_b64 s[0:1], 0
.LBB416_1519:
	s_andn2_b64 vcc, exec, s[0:1]
	s_cbranch_vccnz .LBB416_1539
; %bb.1520:
	s_cmp_lt_i32 s22, 2
	s_cbranch_scc1 .LBB416_1524
; %bb.1521:
	s_cmp_lt_i32 s22, 3
	s_cbranch_scc1 .LBB416_1525
; %bb.1522:
	s_cmp_gt_i32 s22, 3
	s_cbranch_scc0 .LBB416_1526
; %bb.1523:
	global_load_dwordx2 v[2:3], v[0:1], off
	s_movk_i32 s0, 0x7fff
	s_waitcnt vmcnt(0)
	v_xor_b32_e32 v9, v2, v3
	v_ffbh_i32_e32 v8, v3
	v_ashrrev_i32_e32 v9, 31, v9
	v_add_u32_e32 v8, -1, v8
	v_add_u32_e32 v9, 32, v9
	v_min_u32_e32 v8, v8, v9
	v_lshlrev_b64 v[2:3], v8, v[2:3]
	v_min_u32_e32 v2, 1, v2
	v_or_b32_e32 v2, v3, v2
	v_cvt_f32_i32_e32 v2, v2
	v_sub_u32_e32 v3, 32, v8
	v_ldexp_f32 v2, v2, v3
	v_bfe_u32 v3, v2, 16, 1
	v_add3_u32 v2, v2, v3, s0
	v_lshrrev_b32_e32 v8, 16, v2
	s_mov_b64 s[0:1], 0
	s_branch .LBB416_1527
.LBB416_1524:
	s_mov_b64 s[0:1], -1
                                        ; implicit-def: $vgpr8
	s_branch .LBB416_1533
.LBB416_1525:
	s_mov_b64 s[0:1], -1
                                        ; implicit-def: $vgpr8
	s_branch .LBB416_1530
.LBB416_1526:
	s_mov_b64 s[0:1], -1
                                        ; implicit-def: $vgpr8
.LBB416_1527:
	s_andn2_b64 vcc, exec, s[0:1]
	s_cbranch_vccnz .LBB416_1529
; %bb.1528:
	global_load_dword v2, v[0:1], off
	s_movk_i32 s0, 0x7fff
	s_waitcnt vmcnt(0)
	v_cvt_f32_i32_e32 v2, v2
	v_bfe_u32 v3, v2, 16, 1
	v_add3_u32 v2, v2, v3, s0
	v_lshrrev_b32_e32 v8, 16, v2
.LBB416_1529:
	s_mov_b64 s[0:1], 0
.LBB416_1530:
	s_andn2_b64 vcc, exec, s[0:1]
	s_cbranch_vccnz .LBB416_1532
; %bb.1531:
	global_load_sshort v2, v[0:1], off
	s_movk_i32 s0, 0x7fff
	s_waitcnt vmcnt(0)
	v_cvt_f32_i32_e32 v2, v2
	v_bfe_u32 v3, v2, 16, 1
	v_add3_u32 v2, v2, v3, s0
	v_lshrrev_b32_e32 v8, 16, v2
.LBB416_1532:
	s_mov_b64 s[0:1], 0
.LBB416_1533:
	s_andn2_b64 vcc, exec, s[0:1]
	s_cbranch_vccnz .LBB416_1539
; %bb.1534:
	s_cmp_gt_i32 s22, 0
	s_cbranch_scc0 .LBB416_1536
; %bb.1535:
	global_load_sbyte v2, v[0:1], off
	s_movk_i32 s0, 0x7fff
	s_waitcnt vmcnt(0)
	v_cvt_f32_i32_e32 v2, v2
	v_bfe_u32 v3, v2, 16, 1
	v_add3_u32 v2, v2, v3, s0
	v_lshrrev_b32_e32 v8, 16, v2
	s_mov_b64 s[0:1], 0
	s_branch .LBB416_1537
.LBB416_1536:
	s_mov_b64 s[0:1], -1
                                        ; implicit-def: $vgpr8
.LBB416_1537:
	s_andn2_b64 vcc, exec, s[0:1]
	s_cbranch_vccnz .LBB416_1539
; %bb.1538:
	global_load_ubyte v0, v[0:1], off
	s_movk_i32 s0, 0x7fff
	s_waitcnt vmcnt(0)
	v_cvt_f32_ubyte0_e32 v0, v0
	v_bfe_u32 v1, v0, 16, 1
	v_add3_u32 v0, v0, v1, s0
	v_lshrrev_b32_e32 v8, 16, v0
.LBB416_1539:
	s_mov_b64 s[6:7], -1
.LBB416_1540:
	s_andn2_b64 vcc, exec, s[6:7]
	s_cbranch_vccnz .LBB416_1974
; %bb.1541:
	s_lshl_b32 s21, s33, 16
	s_waitcnt vmcnt(0)
	v_lshlrev_b32_e32 v0, 16, v5
	v_cmp_u_f32_e32 vcc, v0, v0
	v_cmp_lt_f32_e64 s[0:1], s21, v0
	v_mov_b32_e32 v0, s33
	s_or_b64 vcc, vcc, s[0:1]
	v_cndmask_b32_e32 v5, v0, v5, vcc
	v_mul_lo_u32 v0, s8, v4
	v_ashrrev_i32_e32 v1, 31, v0
	s_and_b32 s20, s42, 0xff
	s_cmp_lt_i32 s20, 11
	v_lshl_add_u64 v[2:3], s[4:5], 0, v[0:1]
	s_cbranch_scc1 .LBB416_1619
; %bb.1542:
	s_and_b32 s9, 0xffff, s20
	s_mov_b64 s[16:17], -1
	s_mov_b64 s[2:3], 0
	s_cmp_gt_i32 s9, 25
	s_mov_b64 s[6:7], 0
	s_mov_b64 s[0:1], 0
	s_cbranch_scc0 .LBB416_1575
; %bb.1543:
	s_cmp_gt_i32 s9, 28
	s_cbranch_scc0 .LBB416_1558
; %bb.1544:
	s_cmp_gt_i32 s9, 43
	;; [unrolled: 3-line block ×3, first 2 shown]
	s_cbranch_scc0 .LBB416_1548
; %bb.1546:
	s_mov_b64 s[0:1], -1
	s_mov_b64 s[16:17], 0
	s_cmp_eq_u32 s9, 46
	s_cbranch_scc0 .LBB416_1548
; %bb.1547:
	v_and_b32_e32 v1, 0xffff, v5
	global_store_dword v[2:3], v1, off
	s_mov_b64 s[0:1], 0
	s_mov_b64 s[6:7], -1
.LBB416_1548:
	s_and_b64 vcc, exec, s[16:17]
	s_cbranch_vccz .LBB416_1553
; %bb.1549:
	s_cmp_eq_u32 s9, 44
	s_mov_b64 s[0:1], -1
	s_cbranch_scc0 .LBB416_1553
; %bb.1550:
	v_and_b32_e32 v4, 0xffff, v5
	v_bfe_u32 v1, v4, 7, 8
	s_movk_i32 s0, 0xff
	v_cmp_ne_u32_e32 vcc, s0, v1
	v_mov_b32_e32 v9, 0xff
	s_and_saveexec_b64 s[6:7], vcc
	s_cbranch_execz .LBB416_1552
; %bb.1551:
	v_lshlrev_b32_e32 v10, 16, v4
	s_mov_b32 s0, 0x3f0000
	v_lshrrev_b32_e32 v9, 7, v4
	v_and_b32_e32 v4, 64, v4
	v_and_or_b32 v1, v10, s0, v1
	v_cmp_ne_u32_e32 vcc, 0, v4
	v_cmp_ne_u32_e64 s[0:1], 0, v1
	s_and_b64 s[0:1], vcc, s[0:1]
	s_nop 0
	v_cndmask_b32_e64 v1, 0, 1, s[0:1]
	v_add_u32_e32 v9, v9, v1
.LBB416_1552:
	s_or_b64 exec, exec, s[6:7]
	s_mov_b64 s[0:1], 0
	s_mov_b64 s[6:7], -1
	global_store_byte v[2:3], v9, off
.LBB416_1553:
	s_mov_b64 s[16:17], 0
.LBB416_1554:
	s_and_b64 vcc, exec, s[16:17]
	s_cbranch_vccz .LBB416_1557
; %bb.1555:
	s_cmp_eq_u32 s9, 29
	s_mov_b64 s[0:1], -1
	s_cbranch_scc0 .LBB416_1557
; %bb.1556:
	v_lshlrev_b32_e32 v1, 16, v5
	v_trunc_f32_e32 v1, v1
	v_mul_f32_e32 v4, 0x2f800000, v1
	v_floor_f32_e32 v4, v4
	v_fmamk_f32 v1, v4, 0xcf800000, v1
	v_cvt_u32_f32_e32 v11, v4
	v_cvt_u32_f32_e32 v10, v1
	s_mov_b64 s[0:1], 0
	s_mov_b64 s[6:7], -1
	global_store_dwordx2 v[2:3], v[10:11], off
.LBB416_1557:
	s_mov_b64 s[16:17], 0
.LBB416_1558:
	s_and_b64 vcc, exec, s[16:17]
	s_cbranch_vccz .LBB416_1574
; %bb.1559:
	s_cmp_lt_i32 s9, 27
	s_mov_b64 s[6:7], -1
	s_cbranch_scc1 .LBB416_1565
; %bb.1560:
	s_cmp_gt_i32 s9, 27
	s_cbranch_scc0 .LBB416_1562
; %bb.1561:
	v_lshlrev_b32_e32 v1, 16, v5
	v_cvt_u32_f32_e32 v1, v1
	s_mov_b64 s[6:7], 0
	global_store_dword v[2:3], v1, off
.LBB416_1562:
	s_andn2_b64 vcc, exec, s[6:7]
	s_cbranch_vccnz .LBB416_1564
; %bb.1563:
	v_lshlrev_b32_e32 v1, 16, v5
	v_cvt_u32_f32_e32 v1, v1
	global_store_short v[2:3], v1, off
.LBB416_1564:
	s_mov_b64 s[6:7], 0
.LBB416_1565:
	s_andn2_b64 vcc, exec, s[6:7]
	s_cbranch_vccnz .LBB416_1573
; %bb.1566:
	v_lshlrev_b32_e32 v9, 16, v5
	v_and_b32_e32 v4, 0x7fffffff, v9
	s_mov_b32 s6, 0x43800000
	v_cmp_gt_u32_e32 vcc, s6, v4
	v_mov_b32_e32 v10, 0x80
	s_and_saveexec_b64 s[6:7], vcc
	s_cbranch_execz .LBB416_1572
; %bb.1567:
	s_mov_b32 s16, 0x3bffffff
	v_and_b32_e32 v1, 0xffff, v5
	v_cmp_lt_u32_e32 vcc, s16, v4
	s_mov_b64 s[16:17], 0
                                        ; implicit-def: $vgpr4
	s_and_saveexec_b64 s[18:19], vcc
	s_xor_b64 s[18:19], exec, s[18:19]
	s_cbranch_execz .LBB416_2021
; %bb.1568:
	v_bfe_u32 v4, v1, 4, 1
	s_mov_b32 s22, 0x487ffff
	v_add3_u32 v4, v9, v4, s22
	s_mov_b64 s[16:17], exec
	v_lshrrev_b32_e32 v4, 20, v4
                                        ; implicit-def: $vgpr9
	s_andn2_saveexec_b64 s[18:19], s[18:19]
	s_cbranch_execnz .LBB416_2022
.LBB416_1569:
	s_or_b64 exec, exec, s[18:19]
	v_mov_b32_e32 v10, 0
	s_and_saveexec_b64 s[18:19], s[16:17]
.LBB416_1570:
	v_lshrrev_b32_e32 v1, 8, v1
	s_movk_i32 s16, 0x80
	v_and_or_b32 v10, v1, s16, v4
.LBB416_1571:
	s_or_b64 exec, exec, s[18:19]
.LBB416_1572:
	s_or_b64 exec, exec, s[6:7]
	global_store_byte v[2:3], v10, off
.LBB416_1573:
	s_mov_b64 s[6:7], -1
.LBB416_1574:
	s_mov_b64 s[16:17], 0
.LBB416_1575:
	s_and_b64 vcc, exec, s[16:17]
	s_cbranch_vccz .LBB416_1615
; %bb.1576:
	s_cmp_gt_i32 s9, 22
	s_mov_b64 s[2:3], -1
	s_cbranch_scc0 .LBB416_1608
; %bb.1577:
	s_cmp_lt_i32 s9, 24
	s_cbranch_scc1 .LBB416_1597
; %bb.1578:
	s_cmp_gt_i32 s9, 24
	s_cbranch_scc0 .LBB416_1586
; %bb.1579:
	v_lshlrev_b32_e32 v9, 16, v5
	v_and_b32_e32 v4, 0x7fffffff, v9
	s_mov_b32 s2, 0x47800000
	v_cmp_gt_u32_e32 vcc, s2, v4
	v_mov_b32_e32 v10, 0x80
	s_and_saveexec_b64 s[2:3], vcc
	s_cbranch_execz .LBB416_1585
; %bb.1580:
	s_mov_b32 s6, 0x37ffffff
	v_and_b32_e32 v1, 0xffff, v5
	v_cmp_lt_u32_e32 vcc, s6, v4
	s_mov_b64 s[6:7], 0
                                        ; implicit-def: $vgpr4
	s_and_saveexec_b64 s[16:17], vcc
	s_xor_b64 s[16:17], exec, s[16:17]
	s_cbranch_execz .LBB416_2024
; %bb.1581:
	v_bfe_u32 v4, v1, 5, 1
	s_mov_b32 s18, 0x88fffff
	v_add3_u32 v4, v9, v4, s18
	s_mov_b64 s[6:7], exec
	v_lshrrev_b32_e32 v4, 21, v4
                                        ; implicit-def: $vgpr9
	s_andn2_saveexec_b64 s[16:17], s[16:17]
	s_cbranch_execnz .LBB416_2025
.LBB416_1582:
	s_or_b64 exec, exec, s[16:17]
	v_mov_b32_e32 v10, 0
	s_and_saveexec_b64 s[16:17], s[6:7]
.LBB416_1583:
	v_lshrrev_b32_e32 v1, 8, v1
	s_movk_i32 s6, 0x80
	v_and_or_b32 v10, v1, s6, v4
.LBB416_1584:
	s_or_b64 exec, exec, s[16:17]
.LBB416_1585:
	s_or_b64 exec, exec, s[2:3]
	s_mov_b64 s[2:3], 0
	global_store_byte v[2:3], v10, off
.LBB416_1586:
	s_and_b64 vcc, exec, s[2:3]
	s_cbranch_vccz .LBB416_1596
; %bb.1587:
	v_lshlrev_b32_e32 v9, 16, v5
	v_and_b32_e32 v10, 0x7fffffff, v9
	s_mov_b32 s2, 0x43f00000
	v_and_b32_e32 v1, 0xffff, v5
	v_cmp_gt_u32_e32 vcc, s2, v10
                                        ; implicit-def: $vgpr4
	s_and_saveexec_b64 s[2:3], vcc
	s_xor_b64 s[2:3], exec, s[2:3]
	s_cbranch_execz .LBB416_1593
; %bb.1588:
	s_mov_b32 s6, 0x3c7fffff
	v_cmp_lt_u32_e32 vcc, s6, v10
                                        ; implicit-def: $vgpr4
	s_and_saveexec_b64 s[6:7], vcc
	s_xor_b64 s[6:7], exec, s[6:7]
; %bb.1589:
	v_bfe_u32 v4, v1, 4, 1
	s_mov_b32 s16, 0x407ffff
	v_add3_u32 v4, v9, v4, s16
	v_lshrrev_b32_e32 v9, 20, v4
	v_and_b32_e32 v4, 0xff00000, v4
	s_mov_b32 s16, 0x7f00000
	v_mov_b32_e32 v10, 0x7e
	v_cmp_ne_u32_e32 vcc, s16, v4
	s_nop 1
	v_cndmask_b32_e32 v4, v10, v9, vcc
                                        ; implicit-def: $vgpr9
; %bb.1590:
	s_andn2_saveexec_b64 s[6:7], s[6:7]
; %bb.1591:
	s_mov_b32 s16, 0x46800000
	v_add_f32_e64 v4, |v9|, s16
; %bb.1592:
	s_or_b64 exec, exec, s[6:7]
                                        ; implicit-def: $vgpr10
.LBB416_1593:
	s_andn2_saveexec_b64 s[2:3], s[2:3]
; %bb.1594:
	s_mov_b32 s6, 0x7f800000
	v_mov_b32_e32 v4, 0x7e
	v_mov_b32_e32 v9, 0x7f
	v_cmp_lt_u32_e32 vcc, s6, v10
	s_nop 1
	v_cndmask_b32_e32 v4, v4, v9, vcc
; %bb.1595:
	s_or_b64 exec, exec, s[2:3]
	v_lshrrev_b32_e32 v1, 8, v1
	s_movk_i32 s2, 0x80
	v_and_or_b32 v1, v1, s2, v4
	global_store_byte v[2:3], v1, off
.LBB416_1596:
	s_mov_b64 s[2:3], 0
.LBB416_1597:
	s_andn2_b64 vcc, exec, s[2:3]
	s_cbranch_vccnz .LBB416_1607
; %bb.1598:
	v_lshlrev_b32_e32 v9, 16, v5
	v_and_b32_e32 v10, 0x7fffffff, v9
	s_mov_b32 s2, 0x47800000
	v_and_b32_e32 v1, 0xffff, v5
	v_cmp_gt_u32_e32 vcc, s2, v10
                                        ; implicit-def: $vgpr4
	s_and_saveexec_b64 s[2:3], vcc
	s_xor_b64 s[2:3], exec, s[2:3]
	s_cbranch_execz .LBB416_1604
; %bb.1599:
	s_mov_b32 s6, 0x387fffff
	v_cmp_lt_u32_e32 vcc, s6, v10
                                        ; implicit-def: $vgpr4
	s_and_saveexec_b64 s[6:7], vcc
	s_xor_b64 s[6:7], exec, s[6:7]
; %bb.1600:
	v_bfe_u32 v4, v1, 5, 1
	s_mov_b32 s16, 0x80fffff
	v_add3_u32 v4, v9, v4, s16
	v_lshrrev_b32_e32 v4, 21, v4
                                        ; implicit-def: $vgpr9
; %bb.1601:
	s_andn2_saveexec_b64 s[6:7], s[6:7]
; %bb.1602:
	s_mov_b32 s16, 0x43000000
	v_add_f32_e64 v4, |v9|, s16
; %bb.1603:
	s_or_b64 exec, exec, s[6:7]
                                        ; implicit-def: $vgpr10
.LBB416_1604:
	s_andn2_saveexec_b64 s[2:3], s[2:3]
; %bb.1605:
	s_mov_b32 s6, 0x7f800000
	v_mov_b32_e32 v4, 0x7c
	v_mov_b32_e32 v9, 0x7f
	v_cmp_lt_u32_e32 vcc, s6, v10
	s_nop 1
	v_cndmask_b32_e32 v4, v4, v9, vcc
; %bb.1606:
	s_or_b64 exec, exec, s[2:3]
	v_lshrrev_b32_e32 v1, 8, v1
	s_movk_i32 s2, 0x80
	v_and_or_b32 v1, v1, s2, v4
	global_store_byte v[2:3], v1, off
.LBB416_1607:
	s_mov_b64 s[2:3], 0
	s_mov_b64 s[6:7], -1
.LBB416_1608:
	s_andn2_b64 vcc, exec, s[2:3]
	s_mov_b64 s[2:3], 0
	s_cbranch_vccnz .LBB416_1615
; %bb.1609:
	s_cmp_gt_i32 s9, 14
	s_mov_b64 s[16:17], -1
	s_cbranch_scc0 .LBB416_1613
; %bb.1610:
	s_cmp_eq_u32 s9, 15
	s_mov_b64 s[0:1], -1
	s_cbranch_scc0 .LBB416_1612
; %bb.1611:
	global_store_short v[2:3], v5, off
	s_mov_b64 s[0:1], 0
	s_mov_b64 s[6:7], -1
.LBB416_1612:
	s_mov_b64 s[16:17], 0
.LBB416_1613:
	s_and_b64 vcc, exec, s[16:17]
	s_cbranch_vccz .LBB416_1615
; %bb.1614:
	s_cmp_lg_u32 s9, 11
	s_mov_b64 s[2:3], -1
	s_cselect_b64 s[0:1], -1, 0
.LBB416_1615:
	s_and_b64 vcc, exec, s[0:1]
	s_cbranch_vccnz .LBB416_2023
; %bb.1616:
	s_andn2_b64 vcc, exec, s[2:3]
	s_cbranch_vccnz .LBB416_1618
.LBB416_1617:
	v_and_b32_e32 v1, 0x7fff, v5
	v_cmp_ne_u16_e32 vcc, 0, v1
	s_mov_b64 s[6:7], -1
	s_nop 0
	v_cndmask_b32_e64 v1, 0, 1, vcc
	global_store_byte v[2:3], v1, off
.LBB416_1618:
	s_mov_b64 s[0:1], 0
	s_branch .LBB416_1620
.LBB416_1619:
	s_mov_b64 s[0:1], -1
	s_mov_b64 s[6:7], 0
.LBB416_1620:
	s_and_b64 vcc, exec, s[0:1]
	s_cbranch_vccz .LBB416_1659
; %bb.1621:
	s_and_b32 s2, 0xffff, s20
	s_cmp_lt_i32 s2, 5
	s_mov_b64 s[0:1], -1
	s_cbranch_scc1 .LBB416_1642
; %bb.1622:
	s_cmp_lt_i32 s2, 8
	s_cbranch_scc1 .LBB416_1632
; %bb.1623:
	s_cmp_lt_i32 s2, 9
	s_cbranch_scc1 .LBB416_1629
; %bb.1624:
	s_cmp_gt_i32 s2, 9
	s_cbranch_scc0 .LBB416_1626
; %bb.1625:
	v_lshlrev_b32_e32 v1, 16, v5
	v_mov_b32_e32 v12, 0
	v_cvt_f64_f32_e32 v[10:11], v1
	v_mov_b32_e32 v13, v12
	global_store_dwordx4 v[2:3], v[10:13], off
	s_mov_b64 s[0:1], 0
.LBB416_1626:
	s_andn2_b64 vcc, exec, s[0:1]
	s_cbranch_vccnz .LBB416_1628
; %bb.1627:
	v_lshlrev_b32_e32 v10, 16, v5
	v_mov_b32_e32 v11, 0
	global_store_dwordx2 v[2:3], v[10:11], off
.LBB416_1628:
	s_mov_b64 s[0:1], 0
.LBB416_1629:
	s_andn2_b64 vcc, exec, s[0:1]
	s_cbranch_vccnz .LBB416_1631
; %bb.1630:
	v_lshlrev_b32_e32 v1, 16, v5
	v_cvt_f16_f32_e32 v1, v1
	global_store_dword v[2:3], v1, off
.LBB416_1631:
	s_mov_b64 s[0:1], 0
.LBB416_1632:
	s_andn2_b64 vcc, exec, s[0:1]
	s_cbranch_vccnz .LBB416_1641
; %bb.1633:
	s_cmp_lt_i32 s2, 6
	s_mov_b64 s[0:1], -1
	s_cbranch_scc1 .LBB416_1639
; %bb.1634:
	s_cmp_gt_i32 s2, 6
	s_cbranch_scc0 .LBB416_1636
; %bb.1635:
	v_lshlrev_b32_e32 v1, 16, v5
	v_cvt_f64_f32_e32 v[10:11], v1
	global_store_dwordx2 v[2:3], v[10:11], off
	s_mov_b64 s[0:1], 0
.LBB416_1636:
	s_andn2_b64 vcc, exec, s[0:1]
	s_cbranch_vccnz .LBB416_1638
; %bb.1637:
	v_lshlrev_b32_e32 v1, 16, v5
	global_store_dword v[2:3], v1, off
.LBB416_1638:
	s_mov_b64 s[0:1], 0
.LBB416_1639:
	s_andn2_b64 vcc, exec, s[0:1]
	s_cbranch_vccnz .LBB416_1641
; %bb.1640:
	v_lshlrev_b32_e32 v1, 16, v5
	v_cvt_f16_f32_e32 v1, v1
	global_store_short v[2:3], v1, off
.LBB416_1641:
	s_mov_b64 s[0:1], 0
.LBB416_1642:
	s_andn2_b64 vcc, exec, s[0:1]
	s_cbranch_vccnz .LBB416_1658
; %bb.1643:
	s_cmp_lt_i32 s2, 2
	s_mov_b64 s[0:1], -1
	s_cbranch_scc1 .LBB416_1653
; %bb.1644:
	s_cmp_lt_i32 s2, 3
	s_cbranch_scc1 .LBB416_1650
; %bb.1645:
	s_cmp_gt_i32 s2, 3
	s_cbranch_scc0 .LBB416_1647
; %bb.1646:
	v_lshlrev_b32_e32 v1, 16, v5
	v_trunc_f32_e32 v1, v1
	s_mov_b32 s0, 0x2f800000
	v_mul_f32_e64 v4, |v1|, s0
	v_floor_f32_e32 v4, v4
	s_mov_b32 s0, 0xcf800000
	v_cvt_u32_f32_e32 v9, v4
	v_fma_f32 v4, v4, s0, |v1|
	v_cvt_u32_f32_e32 v4, v4
	v_ashrrev_i32_e32 v1, 31, v1
	v_xor_b32_e32 v9, v9, v1
	s_mov_b64 s[0:1], 0
	v_xor_b32_e32 v4, v4, v1
	v_sub_co_u32_e32 v10, vcc, v4, v1
	s_nop 1
	v_subb_co_u32_e32 v11, vcc, v9, v1, vcc
	global_store_dwordx2 v[2:3], v[10:11], off
.LBB416_1647:
	s_andn2_b64 vcc, exec, s[0:1]
	s_cbranch_vccnz .LBB416_1649
; %bb.1648:
	v_lshlrev_b32_e32 v1, 16, v5
	v_cvt_i32_f32_e32 v1, v1
	global_store_dword v[2:3], v1, off
.LBB416_1649:
	s_mov_b64 s[0:1], 0
.LBB416_1650:
	s_andn2_b64 vcc, exec, s[0:1]
	s_cbranch_vccnz .LBB416_1652
; %bb.1651:
	v_lshlrev_b32_e32 v1, 16, v5
	v_cvt_i32_f32_e32 v1, v1
	global_store_short v[2:3], v1, off
.LBB416_1652:
	s_mov_b64 s[0:1], 0
.LBB416_1653:
	s_andn2_b64 vcc, exec, s[0:1]
	s_cbranch_vccnz .LBB416_1658
; %bb.1654:
	s_mov_b64 s[0:1], -1
	s_cmp_gt_i32 s2, 0
	v_lshlrev_b32_e32 v1, 16, v5
	s_cbranch_scc0 .LBB416_1656
; %bb.1655:
	v_cvt_i32_f32_e32 v4, v1
	s_mov_b64 s[0:1], 0
	global_store_byte v[2:3], v4, off
.LBB416_1656:
	s_andn2_b64 vcc, exec, s[0:1]
	s_cbranch_vccnz .LBB416_1658
; %bb.1657:
	v_trunc_f32_e32 v1, v1
	s_mov_b32 s0, 0x2f800000
	v_mul_f32_e64 v4, |v1|, s0
	v_floor_f32_e32 v4, v4
	s_mov_b32 s0, 0xcf800000
	v_fma_f32 v4, v4, s0, |v1|
	v_cvt_u32_f32_e32 v4, v4
	v_ashrrev_i32_e32 v1, 31, v1
	v_xor_b32_e32 v4, v4, v1
	v_sub_u32_e32 v1, v4, v1
	global_store_byte v[2:3], v1, off
.LBB416_1658:
	s_mov_b64 s[6:7], -1
.LBB416_1659:
	s_andn2_b64 vcc, exec, s[6:7]
	s_cbranch_vccnz .LBB416_1974
; %bb.1660:
	v_lshlrev_b32_e32 v1, 16, v6
	v_cmp_u_f32_e32 vcc, v1, v1
	v_cmp_lt_f32_e64 s[0:1], s21, v1
	s_lshl_b32 s18, s8, 7
	v_mov_b32_e32 v1, s33
	s_or_b64 vcc, vcc, s[0:1]
	v_add_u32_e32 v0, s18, v0
	v_cndmask_b32_e32 v4, v1, v6, vcc
	v_ashrrev_i32_e32 v1, 31, v0
	s_cmp_lt_i32 s20, 11
	v_lshl_add_u64 v[2:3], s[4:5], 0, v[0:1]
	s_cbranch_scc1 .LBB416_1738
; %bb.1661:
	s_and_b32 s19, 0xffff, s20
	s_mov_b64 s[8:9], -1
	s_mov_b64 s[2:3], 0
	s_cmp_gt_i32 s19, 25
	s_mov_b64 s[6:7], 0
	s_mov_b64 s[0:1], 0
	s_cbranch_scc0 .LBB416_1694
; %bb.1662:
	s_cmp_gt_i32 s19, 28
	s_cbranch_scc0 .LBB416_1677
; %bb.1663:
	s_cmp_gt_i32 s19, 43
	;; [unrolled: 3-line block ×3, first 2 shown]
	s_cbranch_scc0 .LBB416_1667
; %bb.1665:
	s_mov_b64 s[0:1], -1
	s_mov_b64 s[8:9], 0
	s_cmp_eq_u32 s19, 46
	s_cbranch_scc0 .LBB416_1667
; %bb.1666:
	v_and_b32_e32 v1, 0xffff, v4
	global_store_dword v[2:3], v1, off
	s_mov_b64 s[0:1], 0
	s_mov_b64 s[6:7], -1
.LBB416_1667:
	s_and_b64 vcc, exec, s[8:9]
	s_cbranch_vccz .LBB416_1672
; %bb.1668:
	s_cmp_eq_u32 s19, 44
	s_mov_b64 s[0:1], -1
	s_cbranch_scc0 .LBB416_1672
; %bb.1669:
	v_and_b32_e32 v5, 0xffff, v4
	v_bfe_u32 v1, v5, 7, 8
	s_movk_i32 s0, 0xff
	v_cmp_ne_u32_e32 vcc, s0, v1
	v_mov_b32_e32 v6, 0xff
	s_and_saveexec_b64 s[6:7], vcc
	s_cbranch_execz .LBB416_1671
; %bb.1670:
	v_lshlrev_b32_e32 v9, 16, v5
	s_mov_b32 s0, 0x3f0000
	v_lshrrev_b32_e32 v6, 7, v5
	v_and_b32_e32 v5, 64, v5
	v_and_or_b32 v1, v9, s0, v1
	v_cmp_ne_u32_e32 vcc, 0, v5
	v_cmp_ne_u32_e64 s[0:1], 0, v1
	s_and_b64 s[0:1], vcc, s[0:1]
	s_nop 0
	v_cndmask_b32_e64 v1, 0, 1, s[0:1]
	v_add_u32_e32 v6, v6, v1
.LBB416_1671:
	s_or_b64 exec, exec, s[6:7]
	s_mov_b64 s[0:1], 0
	s_mov_b64 s[6:7], -1
	global_store_byte v[2:3], v6, off
.LBB416_1672:
	s_mov_b64 s[8:9], 0
.LBB416_1673:
	s_and_b64 vcc, exec, s[8:9]
	s_cbranch_vccz .LBB416_1676
; %bb.1674:
	s_cmp_eq_u32 s19, 29
	s_mov_b64 s[0:1], -1
	s_cbranch_scc0 .LBB416_1676
; %bb.1675:
	v_lshlrev_b32_e32 v1, 16, v4
	v_trunc_f32_e32 v1, v1
	v_mul_f32_e32 v5, 0x2f800000, v1
	v_floor_f32_e32 v5, v5
	v_fmamk_f32 v1, v5, 0xcf800000, v1
	v_cvt_u32_f32_e32 v11, v5
	v_cvt_u32_f32_e32 v10, v1
	s_mov_b64 s[0:1], 0
	s_mov_b64 s[6:7], -1
	global_store_dwordx2 v[2:3], v[10:11], off
.LBB416_1676:
	s_mov_b64 s[8:9], 0
.LBB416_1677:
	s_and_b64 vcc, exec, s[8:9]
	s_cbranch_vccz .LBB416_1693
; %bb.1678:
	s_cmp_lt_i32 s19, 27
	s_mov_b64 s[6:7], -1
	s_cbranch_scc1 .LBB416_1684
; %bb.1679:
	s_cmp_gt_i32 s19, 27
	s_cbranch_scc0 .LBB416_1681
; %bb.1680:
	v_lshlrev_b32_e32 v1, 16, v4
	v_cvt_u32_f32_e32 v1, v1
	s_mov_b64 s[6:7], 0
	global_store_dword v[2:3], v1, off
.LBB416_1681:
	s_andn2_b64 vcc, exec, s[6:7]
	s_cbranch_vccnz .LBB416_1683
; %bb.1682:
	v_lshlrev_b32_e32 v1, 16, v4
	v_cvt_u32_f32_e32 v1, v1
	global_store_short v[2:3], v1, off
.LBB416_1683:
	s_mov_b64 s[6:7], 0
.LBB416_1684:
	s_andn2_b64 vcc, exec, s[6:7]
	s_cbranch_vccnz .LBB416_1692
; %bb.1685:
	v_lshlrev_b32_e32 v6, 16, v4
	v_and_b32_e32 v5, 0x7fffffff, v6
	s_mov_b32 s6, 0x43800000
	v_cmp_gt_u32_e32 vcc, s6, v5
	v_mov_b32_e32 v9, 0x80
	s_and_saveexec_b64 s[6:7], vcc
	s_cbranch_execz .LBB416_1691
; %bb.1686:
	s_mov_b32 s8, 0x3bffffff
	v_and_b32_e32 v1, 0xffff, v4
	v_cmp_lt_u32_e32 vcc, s8, v5
	s_mov_b64 s[8:9], 0
                                        ; implicit-def: $vgpr5
	s_and_saveexec_b64 s[16:17], vcc
	s_xor_b64 s[16:17], exec, s[16:17]
	s_cbranch_execz .LBB416_2026
; %bb.1687:
	v_bfe_u32 v5, v1, 4, 1
	s_mov_b32 s22, 0x487ffff
	v_add3_u32 v5, v6, v5, s22
	s_mov_b64 s[8:9], exec
	v_lshrrev_b32_e32 v5, 20, v5
                                        ; implicit-def: $vgpr6
	s_andn2_saveexec_b64 s[16:17], s[16:17]
	s_cbranch_execnz .LBB416_2027
.LBB416_1688:
	s_or_b64 exec, exec, s[16:17]
	v_mov_b32_e32 v9, 0
	s_and_saveexec_b64 s[16:17], s[8:9]
.LBB416_1689:
	v_lshrrev_b32_e32 v1, 8, v1
	s_movk_i32 s8, 0x80
	v_and_or_b32 v9, v1, s8, v5
.LBB416_1690:
	s_or_b64 exec, exec, s[16:17]
.LBB416_1691:
	s_or_b64 exec, exec, s[6:7]
	global_store_byte v[2:3], v9, off
.LBB416_1692:
	s_mov_b64 s[6:7], -1
.LBB416_1693:
	s_mov_b64 s[8:9], 0
.LBB416_1694:
	s_and_b64 vcc, exec, s[8:9]
	s_cbranch_vccz .LBB416_1734
; %bb.1695:
	s_cmp_gt_i32 s19, 22
	s_mov_b64 s[2:3], -1
	s_cbranch_scc0 .LBB416_1727
; %bb.1696:
	s_cmp_lt_i32 s19, 24
	s_cbranch_scc1 .LBB416_1716
; %bb.1697:
	s_cmp_gt_i32 s19, 24
	s_cbranch_scc0 .LBB416_1705
; %bb.1698:
	v_lshlrev_b32_e32 v6, 16, v4
	v_and_b32_e32 v5, 0x7fffffff, v6
	s_mov_b32 s2, 0x47800000
	v_cmp_gt_u32_e32 vcc, s2, v5
	v_mov_b32_e32 v9, 0x80
	s_and_saveexec_b64 s[2:3], vcc
	s_cbranch_execz .LBB416_1704
; %bb.1699:
	s_mov_b32 s6, 0x37ffffff
	v_and_b32_e32 v1, 0xffff, v4
	v_cmp_lt_u32_e32 vcc, s6, v5
	s_mov_b64 s[6:7], 0
                                        ; implicit-def: $vgpr5
	s_and_saveexec_b64 s[8:9], vcc
	s_xor_b64 s[8:9], exec, s[8:9]
	s_cbranch_execz .LBB416_2029
; %bb.1700:
	v_bfe_u32 v5, v1, 5, 1
	s_mov_b32 s16, 0x88fffff
	v_add3_u32 v5, v6, v5, s16
	s_mov_b64 s[6:7], exec
	v_lshrrev_b32_e32 v5, 21, v5
                                        ; implicit-def: $vgpr6
	s_andn2_saveexec_b64 s[8:9], s[8:9]
	s_cbranch_execnz .LBB416_2030
.LBB416_1701:
	s_or_b64 exec, exec, s[8:9]
	v_mov_b32_e32 v9, 0
	s_and_saveexec_b64 s[8:9], s[6:7]
.LBB416_1702:
	v_lshrrev_b32_e32 v1, 8, v1
	s_movk_i32 s6, 0x80
	v_and_or_b32 v9, v1, s6, v5
.LBB416_1703:
	s_or_b64 exec, exec, s[8:9]
.LBB416_1704:
	s_or_b64 exec, exec, s[2:3]
	s_mov_b64 s[2:3], 0
	global_store_byte v[2:3], v9, off
.LBB416_1705:
	s_and_b64 vcc, exec, s[2:3]
	s_cbranch_vccz .LBB416_1715
; %bb.1706:
	v_lshlrev_b32_e32 v6, 16, v4
	v_and_b32_e32 v9, 0x7fffffff, v6
	s_mov_b32 s2, 0x43f00000
	v_and_b32_e32 v1, 0xffff, v4
	v_cmp_gt_u32_e32 vcc, s2, v9
                                        ; implicit-def: $vgpr5
	s_and_saveexec_b64 s[2:3], vcc
	s_xor_b64 s[2:3], exec, s[2:3]
	s_cbranch_execz .LBB416_1712
; %bb.1707:
	s_mov_b32 s6, 0x3c7fffff
	v_cmp_lt_u32_e32 vcc, s6, v9
                                        ; implicit-def: $vgpr5
	s_and_saveexec_b64 s[6:7], vcc
	s_xor_b64 s[6:7], exec, s[6:7]
; %bb.1708:
	v_bfe_u32 v5, v1, 4, 1
	s_mov_b32 s8, 0x407ffff
	v_add3_u32 v5, v6, v5, s8
	v_lshrrev_b32_e32 v6, 20, v5
	v_and_b32_e32 v5, 0xff00000, v5
	s_mov_b32 s8, 0x7f00000
	v_mov_b32_e32 v9, 0x7e
	v_cmp_ne_u32_e32 vcc, s8, v5
	s_nop 1
	v_cndmask_b32_e32 v5, v9, v6, vcc
                                        ; implicit-def: $vgpr6
; %bb.1709:
	s_andn2_saveexec_b64 s[6:7], s[6:7]
; %bb.1710:
	s_mov_b32 s8, 0x46800000
	v_add_f32_e64 v5, |v6|, s8
; %bb.1711:
	s_or_b64 exec, exec, s[6:7]
                                        ; implicit-def: $vgpr9
.LBB416_1712:
	s_andn2_saveexec_b64 s[2:3], s[2:3]
; %bb.1713:
	s_mov_b32 s6, 0x7f800000
	v_mov_b32_e32 v5, 0x7e
	v_mov_b32_e32 v6, 0x7f
	v_cmp_lt_u32_e32 vcc, s6, v9
	s_nop 1
	v_cndmask_b32_e32 v5, v5, v6, vcc
; %bb.1714:
	s_or_b64 exec, exec, s[2:3]
	v_lshrrev_b32_e32 v1, 8, v1
	s_movk_i32 s2, 0x80
	v_and_or_b32 v1, v1, s2, v5
	global_store_byte v[2:3], v1, off
.LBB416_1715:
	s_mov_b64 s[2:3], 0
.LBB416_1716:
	s_andn2_b64 vcc, exec, s[2:3]
	s_cbranch_vccnz .LBB416_1726
; %bb.1717:
	v_lshlrev_b32_e32 v6, 16, v4
	v_and_b32_e32 v9, 0x7fffffff, v6
	s_mov_b32 s2, 0x47800000
	v_and_b32_e32 v1, 0xffff, v4
	v_cmp_gt_u32_e32 vcc, s2, v9
                                        ; implicit-def: $vgpr5
	s_and_saveexec_b64 s[2:3], vcc
	s_xor_b64 s[2:3], exec, s[2:3]
	s_cbranch_execz .LBB416_1723
; %bb.1718:
	s_mov_b32 s6, 0x387fffff
	v_cmp_lt_u32_e32 vcc, s6, v9
                                        ; implicit-def: $vgpr5
	s_and_saveexec_b64 s[6:7], vcc
	s_xor_b64 s[6:7], exec, s[6:7]
; %bb.1719:
	v_bfe_u32 v5, v1, 5, 1
	s_mov_b32 s8, 0x80fffff
	v_add3_u32 v5, v6, v5, s8
	v_lshrrev_b32_e32 v5, 21, v5
                                        ; implicit-def: $vgpr6
; %bb.1720:
	s_andn2_saveexec_b64 s[6:7], s[6:7]
; %bb.1721:
	s_mov_b32 s8, 0x43000000
	v_add_f32_e64 v5, |v6|, s8
; %bb.1722:
	s_or_b64 exec, exec, s[6:7]
                                        ; implicit-def: $vgpr9
.LBB416_1723:
	s_andn2_saveexec_b64 s[2:3], s[2:3]
; %bb.1724:
	s_mov_b32 s6, 0x7f800000
	v_mov_b32_e32 v5, 0x7c
	v_mov_b32_e32 v6, 0x7f
	v_cmp_lt_u32_e32 vcc, s6, v9
	s_nop 1
	v_cndmask_b32_e32 v5, v5, v6, vcc
; %bb.1725:
	s_or_b64 exec, exec, s[2:3]
	v_lshrrev_b32_e32 v1, 8, v1
	s_movk_i32 s2, 0x80
	v_and_or_b32 v1, v1, s2, v5
	global_store_byte v[2:3], v1, off
.LBB416_1726:
	s_mov_b64 s[2:3], 0
	s_mov_b64 s[6:7], -1
.LBB416_1727:
	s_andn2_b64 vcc, exec, s[2:3]
	s_mov_b64 s[2:3], 0
	s_cbranch_vccnz .LBB416_1734
; %bb.1728:
	s_cmp_gt_i32 s19, 14
	s_mov_b64 s[8:9], -1
	s_cbranch_scc0 .LBB416_1732
; %bb.1729:
	s_cmp_eq_u32 s19, 15
	s_mov_b64 s[0:1], -1
	s_cbranch_scc0 .LBB416_1731
; %bb.1730:
	global_store_short v[2:3], v4, off
	s_mov_b64 s[0:1], 0
	s_mov_b64 s[6:7], -1
.LBB416_1731:
	s_mov_b64 s[8:9], 0
.LBB416_1732:
	s_and_b64 vcc, exec, s[8:9]
	s_cbranch_vccz .LBB416_1734
; %bb.1733:
	s_cmp_lg_u32 s19, 11
	s_mov_b64 s[2:3], -1
	s_cselect_b64 s[0:1], -1, 0
.LBB416_1734:
	s_and_b64 vcc, exec, s[0:1]
	s_cbranch_vccnz .LBB416_2028
; %bb.1735:
	s_andn2_b64 vcc, exec, s[2:3]
	s_cbranch_vccnz .LBB416_1737
.LBB416_1736:
	v_and_b32_e32 v1, 0x7fff, v4
	v_cmp_ne_u16_e32 vcc, 0, v1
	s_mov_b64 s[6:7], -1
	s_nop 0
	v_cndmask_b32_e64 v1, 0, 1, vcc
	global_store_byte v[2:3], v1, off
.LBB416_1737:
	s_mov_b64 s[0:1], 0
	s_branch .LBB416_1739
.LBB416_1738:
	s_mov_b64 s[0:1], -1
	s_mov_b64 s[6:7], 0
.LBB416_1739:
	s_and_b64 vcc, exec, s[0:1]
	s_cbranch_vccz .LBB416_1778
; %bb.1740:
	s_and_b32 s2, 0xffff, s20
	s_cmp_lt_i32 s2, 5
	s_mov_b64 s[0:1], -1
	s_cbranch_scc1 .LBB416_1761
; %bb.1741:
	s_cmp_lt_i32 s2, 8
	s_cbranch_scc1 .LBB416_1751
; %bb.1742:
	s_cmp_lt_i32 s2, 9
	s_cbranch_scc1 .LBB416_1748
; %bb.1743:
	s_cmp_gt_i32 s2, 9
	s_cbranch_scc0 .LBB416_1745
; %bb.1744:
	v_lshlrev_b32_e32 v1, 16, v4
	v_mov_b32_e32 v12, 0
	v_cvt_f64_f32_e32 v[10:11], v1
	v_mov_b32_e32 v13, v12
	global_store_dwordx4 v[2:3], v[10:13], off
	s_mov_b64 s[0:1], 0
.LBB416_1745:
	s_andn2_b64 vcc, exec, s[0:1]
	s_cbranch_vccnz .LBB416_1747
; %bb.1746:
	v_lshlrev_b32_e32 v10, 16, v4
	v_mov_b32_e32 v11, 0
	global_store_dwordx2 v[2:3], v[10:11], off
.LBB416_1747:
	s_mov_b64 s[0:1], 0
.LBB416_1748:
	s_andn2_b64 vcc, exec, s[0:1]
	s_cbranch_vccnz .LBB416_1750
; %bb.1749:
	v_lshlrev_b32_e32 v1, 16, v4
	v_cvt_f16_f32_e32 v1, v1
	global_store_dword v[2:3], v1, off
.LBB416_1750:
	s_mov_b64 s[0:1], 0
.LBB416_1751:
	s_andn2_b64 vcc, exec, s[0:1]
	s_cbranch_vccnz .LBB416_1760
; %bb.1752:
	s_cmp_lt_i32 s2, 6
	s_mov_b64 s[0:1], -1
	s_cbranch_scc1 .LBB416_1758
; %bb.1753:
	s_cmp_gt_i32 s2, 6
	s_cbranch_scc0 .LBB416_1755
; %bb.1754:
	v_lshlrev_b32_e32 v1, 16, v4
	v_cvt_f64_f32_e32 v[10:11], v1
	global_store_dwordx2 v[2:3], v[10:11], off
	s_mov_b64 s[0:1], 0
.LBB416_1755:
	s_andn2_b64 vcc, exec, s[0:1]
	s_cbranch_vccnz .LBB416_1757
; %bb.1756:
	v_lshlrev_b32_e32 v1, 16, v4
	global_store_dword v[2:3], v1, off
.LBB416_1757:
	s_mov_b64 s[0:1], 0
.LBB416_1758:
	s_andn2_b64 vcc, exec, s[0:1]
	s_cbranch_vccnz .LBB416_1760
; %bb.1759:
	v_lshlrev_b32_e32 v1, 16, v4
	v_cvt_f16_f32_e32 v1, v1
	global_store_short v[2:3], v1, off
.LBB416_1760:
	s_mov_b64 s[0:1], 0
.LBB416_1761:
	s_andn2_b64 vcc, exec, s[0:1]
	s_cbranch_vccnz .LBB416_1777
; %bb.1762:
	s_cmp_lt_i32 s2, 2
	s_mov_b64 s[0:1], -1
	s_cbranch_scc1 .LBB416_1772
; %bb.1763:
	s_cmp_lt_i32 s2, 3
	s_cbranch_scc1 .LBB416_1769
; %bb.1764:
	s_cmp_gt_i32 s2, 3
	s_cbranch_scc0 .LBB416_1766
; %bb.1765:
	v_lshlrev_b32_e32 v1, 16, v4
	v_trunc_f32_e32 v1, v1
	s_mov_b32 s0, 0x2f800000
	v_mul_f32_e64 v5, |v1|, s0
	v_floor_f32_e32 v5, v5
	s_mov_b32 s0, 0xcf800000
	v_cvt_u32_f32_e32 v6, v5
	v_fma_f32 v5, v5, s0, |v1|
	v_cvt_u32_f32_e32 v5, v5
	v_ashrrev_i32_e32 v1, 31, v1
	v_xor_b32_e32 v6, v6, v1
	s_mov_b64 s[0:1], 0
	v_xor_b32_e32 v5, v5, v1
	v_sub_co_u32_e32 v10, vcc, v5, v1
	s_nop 1
	v_subb_co_u32_e32 v11, vcc, v6, v1, vcc
	global_store_dwordx2 v[2:3], v[10:11], off
.LBB416_1766:
	s_andn2_b64 vcc, exec, s[0:1]
	s_cbranch_vccnz .LBB416_1768
; %bb.1767:
	v_lshlrev_b32_e32 v1, 16, v4
	v_cvt_i32_f32_e32 v1, v1
	global_store_dword v[2:3], v1, off
.LBB416_1768:
	s_mov_b64 s[0:1], 0
.LBB416_1769:
	s_andn2_b64 vcc, exec, s[0:1]
	s_cbranch_vccnz .LBB416_1771
; %bb.1770:
	v_lshlrev_b32_e32 v1, 16, v4
	v_cvt_i32_f32_e32 v1, v1
	global_store_short v[2:3], v1, off
.LBB416_1771:
	s_mov_b64 s[0:1], 0
.LBB416_1772:
	s_andn2_b64 vcc, exec, s[0:1]
	s_cbranch_vccnz .LBB416_1777
; %bb.1773:
	s_mov_b64 s[0:1], -1
	s_cmp_gt_i32 s2, 0
	v_lshlrev_b32_e32 v1, 16, v4
	s_cbranch_scc0 .LBB416_1775
; %bb.1774:
	v_cvt_i32_f32_e32 v4, v1
	s_mov_b64 s[0:1], 0
	global_store_byte v[2:3], v4, off
.LBB416_1775:
	s_andn2_b64 vcc, exec, s[0:1]
	s_cbranch_vccnz .LBB416_1777
; %bb.1776:
	v_trunc_f32_e32 v1, v1
	s_mov_b32 s0, 0x2f800000
	v_mul_f32_e64 v4, |v1|, s0
	v_floor_f32_e32 v4, v4
	s_mov_b32 s0, 0xcf800000
	v_fma_f32 v4, v4, s0, |v1|
	v_cvt_u32_f32_e32 v4, v4
	v_ashrrev_i32_e32 v1, 31, v1
	v_xor_b32_e32 v4, v4, v1
	v_sub_u32_e32 v1, v4, v1
	global_store_byte v[2:3], v1, off
.LBB416_1777:
	s_mov_b64 s[6:7], -1
.LBB416_1778:
	s_andn2_b64 vcc, exec, s[6:7]
	s_cbranch_vccnz .LBB416_1974
; %bb.1779:
	v_lshlrev_b32_e32 v1, 16, v7
	v_cmp_u_f32_e32 vcc, v1, v1
	v_cmp_lt_f32_e64 s[0:1], s21, v1
	v_mov_b32_e32 v1, s33
	s_or_b64 vcc, vcc, s[0:1]
	v_add_u32_e32 v0, s18, v0
	v_cndmask_b32_e32 v4, v1, v7, vcc
	v_ashrrev_i32_e32 v1, 31, v0
	s_cmp_lt_i32 s20, 11
	v_lshl_add_u64 v[2:3], s[4:5], 0, v[0:1]
	s_cbranch_scc1 .LBB416_1857
; %bb.1780:
	s_and_b32 s19, 0xffff, s20
	s_mov_b64 s[8:9], -1
	s_mov_b64 s[2:3], 0
	s_cmp_gt_i32 s19, 25
	s_mov_b64 s[6:7], 0
	s_mov_b64 s[0:1], 0
	s_cbranch_scc0 .LBB416_1813
; %bb.1781:
	s_cmp_gt_i32 s19, 28
	s_cbranch_scc0 .LBB416_1796
; %bb.1782:
	s_cmp_gt_i32 s19, 43
	;; [unrolled: 3-line block ×3, first 2 shown]
	s_cbranch_scc0 .LBB416_1786
; %bb.1784:
	s_mov_b64 s[0:1], -1
	s_mov_b64 s[8:9], 0
	s_cmp_eq_u32 s19, 46
	s_cbranch_scc0 .LBB416_1786
; %bb.1785:
	v_and_b32_e32 v1, 0xffff, v4
	global_store_dword v[2:3], v1, off
	s_mov_b64 s[0:1], 0
	s_mov_b64 s[6:7], -1
.LBB416_1786:
	s_and_b64 vcc, exec, s[8:9]
	s_cbranch_vccz .LBB416_1791
; %bb.1787:
	s_cmp_eq_u32 s19, 44
	s_mov_b64 s[0:1], -1
	s_cbranch_scc0 .LBB416_1791
; %bb.1788:
	v_and_b32_e32 v5, 0xffff, v4
	v_bfe_u32 v1, v5, 7, 8
	s_movk_i32 s0, 0xff
	v_cmp_ne_u32_e32 vcc, s0, v1
	v_mov_b32_e32 v6, 0xff
	s_and_saveexec_b64 s[6:7], vcc
	s_cbranch_execz .LBB416_1790
; %bb.1789:
	v_lshlrev_b32_e32 v7, 16, v5
	s_mov_b32 s0, 0x3f0000
	v_lshrrev_b32_e32 v6, 7, v5
	v_and_b32_e32 v5, 64, v5
	v_and_or_b32 v1, v7, s0, v1
	v_cmp_ne_u32_e32 vcc, 0, v5
	v_cmp_ne_u32_e64 s[0:1], 0, v1
	s_and_b64 s[0:1], vcc, s[0:1]
	s_nop 0
	v_cndmask_b32_e64 v1, 0, 1, s[0:1]
	v_add_u32_e32 v6, v6, v1
.LBB416_1790:
	s_or_b64 exec, exec, s[6:7]
	s_mov_b64 s[0:1], 0
	s_mov_b64 s[6:7], -1
	global_store_byte v[2:3], v6, off
.LBB416_1791:
	s_mov_b64 s[8:9], 0
.LBB416_1792:
	s_and_b64 vcc, exec, s[8:9]
	s_cbranch_vccz .LBB416_1795
; %bb.1793:
	s_cmp_eq_u32 s19, 29
	s_mov_b64 s[0:1], -1
	s_cbranch_scc0 .LBB416_1795
; %bb.1794:
	v_lshlrev_b32_e32 v1, 16, v4
	v_trunc_f32_e32 v1, v1
	v_mul_f32_e32 v5, 0x2f800000, v1
	v_floor_f32_e32 v5, v5
	v_fmamk_f32 v1, v5, 0xcf800000, v1
	v_cvt_u32_f32_e32 v7, v5
	v_cvt_u32_f32_e32 v6, v1
	s_mov_b64 s[0:1], 0
	s_mov_b64 s[6:7], -1
	global_store_dwordx2 v[2:3], v[6:7], off
.LBB416_1795:
	s_mov_b64 s[8:9], 0
.LBB416_1796:
	s_and_b64 vcc, exec, s[8:9]
	s_cbranch_vccz .LBB416_1812
; %bb.1797:
	s_cmp_lt_i32 s19, 27
	s_mov_b64 s[6:7], -1
	s_cbranch_scc1 .LBB416_1803
; %bb.1798:
	s_cmp_gt_i32 s19, 27
	s_cbranch_scc0 .LBB416_1800
; %bb.1799:
	v_lshlrev_b32_e32 v1, 16, v4
	v_cvt_u32_f32_e32 v1, v1
	s_mov_b64 s[6:7], 0
	global_store_dword v[2:3], v1, off
.LBB416_1800:
	s_andn2_b64 vcc, exec, s[6:7]
	s_cbranch_vccnz .LBB416_1802
; %bb.1801:
	v_lshlrev_b32_e32 v1, 16, v4
	v_cvt_u32_f32_e32 v1, v1
	global_store_short v[2:3], v1, off
.LBB416_1802:
	s_mov_b64 s[6:7], 0
.LBB416_1803:
	s_andn2_b64 vcc, exec, s[6:7]
	s_cbranch_vccnz .LBB416_1811
; %bb.1804:
	v_lshlrev_b32_e32 v6, 16, v4
	v_and_b32_e32 v5, 0x7fffffff, v6
	s_mov_b32 s6, 0x43800000
	v_cmp_gt_u32_e32 vcc, s6, v5
	v_mov_b32_e32 v7, 0x80
	s_and_saveexec_b64 s[6:7], vcc
	s_cbranch_execz .LBB416_1810
; %bb.1805:
	s_mov_b32 s8, 0x3bffffff
	v_and_b32_e32 v1, 0xffff, v4
	v_cmp_lt_u32_e32 vcc, s8, v5
	s_mov_b64 s[8:9], 0
                                        ; implicit-def: $vgpr5
	s_and_saveexec_b64 s[16:17], vcc
	s_xor_b64 s[16:17], exec, s[16:17]
	s_cbranch_execz .LBB416_2031
; %bb.1806:
	v_bfe_u32 v5, v1, 4, 1
	s_mov_b32 s22, 0x487ffff
	v_add3_u32 v5, v6, v5, s22
	s_mov_b64 s[8:9], exec
	v_lshrrev_b32_e32 v5, 20, v5
                                        ; implicit-def: $vgpr6
	s_andn2_saveexec_b64 s[16:17], s[16:17]
	s_cbranch_execnz .LBB416_2032
.LBB416_1807:
	s_or_b64 exec, exec, s[16:17]
	v_mov_b32_e32 v7, 0
	s_and_saveexec_b64 s[16:17], s[8:9]
.LBB416_1808:
	v_lshrrev_b32_e32 v1, 8, v1
	s_movk_i32 s8, 0x80
	v_and_or_b32 v7, v1, s8, v5
.LBB416_1809:
	s_or_b64 exec, exec, s[16:17]
.LBB416_1810:
	s_or_b64 exec, exec, s[6:7]
	global_store_byte v[2:3], v7, off
.LBB416_1811:
	s_mov_b64 s[6:7], -1
.LBB416_1812:
	s_mov_b64 s[8:9], 0
.LBB416_1813:
	s_and_b64 vcc, exec, s[8:9]
	s_cbranch_vccz .LBB416_1853
; %bb.1814:
	s_cmp_gt_i32 s19, 22
	s_mov_b64 s[2:3], -1
	s_cbranch_scc0 .LBB416_1846
; %bb.1815:
	s_cmp_lt_i32 s19, 24
	s_cbranch_scc1 .LBB416_1835
; %bb.1816:
	s_cmp_gt_i32 s19, 24
	s_cbranch_scc0 .LBB416_1824
; %bb.1817:
	v_lshlrev_b32_e32 v6, 16, v4
	v_and_b32_e32 v5, 0x7fffffff, v6
	s_mov_b32 s2, 0x47800000
	v_cmp_gt_u32_e32 vcc, s2, v5
	v_mov_b32_e32 v7, 0x80
	s_and_saveexec_b64 s[2:3], vcc
	s_cbranch_execz .LBB416_1823
; %bb.1818:
	s_mov_b32 s6, 0x37ffffff
	v_and_b32_e32 v1, 0xffff, v4
	v_cmp_lt_u32_e32 vcc, s6, v5
	s_mov_b64 s[6:7], 0
                                        ; implicit-def: $vgpr5
	s_and_saveexec_b64 s[8:9], vcc
	s_xor_b64 s[8:9], exec, s[8:9]
	s_cbranch_execz .LBB416_2034
; %bb.1819:
	v_bfe_u32 v5, v1, 5, 1
	s_mov_b32 s16, 0x88fffff
	v_add3_u32 v5, v6, v5, s16
	s_mov_b64 s[6:7], exec
	v_lshrrev_b32_e32 v5, 21, v5
                                        ; implicit-def: $vgpr6
	s_andn2_saveexec_b64 s[8:9], s[8:9]
	s_cbranch_execnz .LBB416_2035
.LBB416_1820:
	s_or_b64 exec, exec, s[8:9]
	v_mov_b32_e32 v7, 0
	s_and_saveexec_b64 s[8:9], s[6:7]
.LBB416_1821:
	v_lshrrev_b32_e32 v1, 8, v1
	s_movk_i32 s6, 0x80
	v_and_or_b32 v7, v1, s6, v5
.LBB416_1822:
	s_or_b64 exec, exec, s[8:9]
.LBB416_1823:
	s_or_b64 exec, exec, s[2:3]
	s_mov_b64 s[2:3], 0
	global_store_byte v[2:3], v7, off
.LBB416_1824:
	s_and_b64 vcc, exec, s[2:3]
	s_cbranch_vccz .LBB416_1834
; %bb.1825:
	v_lshlrev_b32_e32 v6, 16, v4
	v_and_b32_e32 v7, 0x7fffffff, v6
	s_mov_b32 s2, 0x43f00000
	v_and_b32_e32 v1, 0xffff, v4
	v_cmp_gt_u32_e32 vcc, s2, v7
                                        ; implicit-def: $vgpr5
	s_and_saveexec_b64 s[2:3], vcc
	s_xor_b64 s[2:3], exec, s[2:3]
	s_cbranch_execz .LBB416_1831
; %bb.1826:
	s_mov_b32 s6, 0x3c7fffff
	v_cmp_lt_u32_e32 vcc, s6, v7
                                        ; implicit-def: $vgpr5
	s_and_saveexec_b64 s[6:7], vcc
	s_xor_b64 s[6:7], exec, s[6:7]
; %bb.1827:
	v_bfe_u32 v5, v1, 4, 1
	s_mov_b32 s8, 0x407ffff
	v_add3_u32 v5, v6, v5, s8
	v_lshrrev_b32_e32 v6, 20, v5
	v_and_b32_e32 v5, 0xff00000, v5
	s_mov_b32 s8, 0x7f00000
	v_mov_b32_e32 v7, 0x7e
	v_cmp_ne_u32_e32 vcc, s8, v5
	s_nop 1
	v_cndmask_b32_e32 v5, v7, v6, vcc
                                        ; implicit-def: $vgpr6
; %bb.1828:
	s_andn2_saveexec_b64 s[6:7], s[6:7]
; %bb.1829:
	s_mov_b32 s8, 0x46800000
	v_add_f32_e64 v5, |v6|, s8
; %bb.1830:
	s_or_b64 exec, exec, s[6:7]
                                        ; implicit-def: $vgpr7
.LBB416_1831:
	s_andn2_saveexec_b64 s[2:3], s[2:3]
; %bb.1832:
	s_mov_b32 s6, 0x7f800000
	v_mov_b32_e32 v5, 0x7e
	v_mov_b32_e32 v6, 0x7f
	v_cmp_lt_u32_e32 vcc, s6, v7
	s_nop 1
	v_cndmask_b32_e32 v5, v5, v6, vcc
; %bb.1833:
	s_or_b64 exec, exec, s[2:3]
	v_lshrrev_b32_e32 v1, 8, v1
	s_movk_i32 s2, 0x80
	v_and_or_b32 v1, v1, s2, v5
	global_store_byte v[2:3], v1, off
.LBB416_1834:
	s_mov_b64 s[2:3], 0
.LBB416_1835:
	s_andn2_b64 vcc, exec, s[2:3]
	s_cbranch_vccnz .LBB416_1845
; %bb.1836:
	v_lshlrev_b32_e32 v6, 16, v4
	v_and_b32_e32 v7, 0x7fffffff, v6
	s_mov_b32 s2, 0x47800000
	v_and_b32_e32 v1, 0xffff, v4
	v_cmp_gt_u32_e32 vcc, s2, v7
                                        ; implicit-def: $vgpr5
	s_and_saveexec_b64 s[2:3], vcc
	s_xor_b64 s[2:3], exec, s[2:3]
	s_cbranch_execz .LBB416_1842
; %bb.1837:
	s_mov_b32 s6, 0x387fffff
	v_cmp_lt_u32_e32 vcc, s6, v7
                                        ; implicit-def: $vgpr5
	s_and_saveexec_b64 s[6:7], vcc
	s_xor_b64 s[6:7], exec, s[6:7]
; %bb.1838:
	v_bfe_u32 v5, v1, 5, 1
	s_mov_b32 s8, 0x80fffff
	v_add3_u32 v5, v6, v5, s8
	v_lshrrev_b32_e32 v5, 21, v5
                                        ; implicit-def: $vgpr6
; %bb.1839:
	s_andn2_saveexec_b64 s[6:7], s[6:7]
; %bb.1840:
	s_mov_b32 s8, 0x43000000
	v_add_f32_e64 v5, |v6|, s8
; %bb.1841:
	s_or_b64 exec, exec, s[6:7]
                                        ; implicit-def: $vgpr7
.LBB416_1842:
	s_andn2_saveexec_b64 s[2:3], s[2:3]
; %bb.1843:
	s_mov_b32 s6, 0x7f800000
	v_mov_b32_e32 v5, 0x7c
	v_mov_b32_e32 v6, 0x7f
	v_cmp_lt_u32_e32 vcc, s6, v7
	s_nop 1
	v_cndmask_b32_e32 v5, v5, v6, vcc
; %bb.1844:
	s_or_b64 exec, exec, s[2:3]
	v_lshrrev_b32_e32 v1, 8, v1
	s_movk_i32 s2, 0x80
	v_and_or_b32 v1, v1, s2, v5
	global_store_byte v[2:3], v1, off
.LBB416_1845:
	s_mov_b64 s[2:3], 0
	s_mov_b64 s[6:7], -1
.LBB416_1846:
	s_andn2_b64 vcc, exec, s[2:3]
	s_mov_b64 s[2:3], 0
	s_cbranch_vccnz .LBB416_1853
; %bb.1847:
	s_cmp_gt_i32 s19, 14
	s_mov_b64 s[8:9], -1
	s_cbranch_scc0 .LBB416_1851
; %bb.1848:
	s_cmp_eq_u32 s19, 15
	s_mov_b64 s[0:1], -1
	s_cbranch_scc0 .LBB416_1850
; %bb.1849:
	global_store_short v[2:3], v4, off
	s_mov_b64 s[0:1], 0
	s_mov_b64 s[6:7], -1
.LBB416_1850:
	s_mov_b64 s[8:9], 0
.LBB416_1851:
	s_and_b64 vcc, exec, s[8:9]
	s_cbranch_vccz .LBB416_1853
; %bb.1852:
	s_cmp_lg_u32 s19, 11
	s_mov_b64 s[2:3], -1
	s_cselect_b64 s[0:1], -1, 0
.LBB416_1853:
	s_and_b64 vcc, exec, s[0:1]
	s_cbranch_vccnz .LBB416_2033
; %bb.1854:
	s_andn2_b64 vcc, exec, s[2:3]
	s_cbranch_vccnz .LBB416_1856
.LBB416_1855:
	v_and_b32_e32 v1, 0x7fff, v4
	v_cmp_ne_u16_e32 vcc, 0, v1
	s_mov_b64 s[6:7], -1
	s_nop 0
	v_cndmask_b32_e64 v1, 0, 1, vcc
	global_store_byte v[2:3], v1, off
.LBB416_1856:
	s_mov_b64 s[0:1], 0
	s_branch .LBB416_1858
.LBB416_1857:
	s_mov_b64 s[0:1], -1
	s_mov_b64 s[6:7], 0
.LBB416_1858:
	s_and_b64 vcc, exec, s[0:1]
	s_cbranch_vccz .LBB416_1897
; %bb.1859:
	s_and_b32 s2, 0xffff, s20
	s_cmp_lt_i32 s2, 5
	s_mov_b64 s[0:1], -1
	s_cbranch_scc1 .LBB416_1880
; %bb.1860:
	s_cmp_lt_i32 s2, 8
	s_cbranch_scc1 .LBB416_1870
; %bb.1861:
	s_cmp_lt_i32 s2, 9
	s_cbranch_scc1 .LBB416_1867
; %bb.1862:
	s_cmp_gt_i32 s2, 9
	s_cbranch_scc0 .LBB416_1864
; %bb.1863:
	v_lshlrev_b32_e32 v1, 16, v4
	v_mov_b32_e32 v12, 0
	v_cvt_f64_f32_e32 v[10:11], v1
	v_mov_b32_e32 v13, v12
	global_store_dwordx4 v[2:3], v[10:13], off
	s_mov_b64 s[0:1], 0
.LBB416_1864:
	s_andn2_b64 vcc, exec, s[0:1]
	s_cbranch_vccnz .LBB416_1866
; %bb.1865:
	v_lshlrev_b32_e32 v6, 16, v4
	v_mov_b32_e32 v7, 0
	global_store_dwordx2 v[2:3], v[6:7], off
.LBB416_1866:
	s_mov_b64 s[0:1], 0
.LBB416_1867:
	s_andn2_b64 vcc, exec, s[0:1]
	s_cbranch_vccnz .LBB416_1869
; %bb.1868:
	v_lshlrev_b32_e32 v1, 16, v4
	v_cvt_f16_f32_e32 v1, v1
	global_store_dword v[2:3], v1, off
.LBB416_1869:
	s_mov_b64 s[0:1], 0
.LBB416_1870:
	s_andn2_b64 vcc, exec, s[0:1]
	s_cbranch_vccnz .LBB416_1879
; %bb.1871:
	s_cmp_lt_i32 s2, 6
	s_mov_b64 s[0:1], -1
	s_cbranch_scc1 .LBB416_1877
; %bb.1872:
	s_cmp_gt_i32 s2, 6
	s_cbranch_scc0 .LBB416_1874
; %bb.1873:
	v_lshlrev_b32_e32 v1, 16, v4
	v_cvt_f64_f32_e32 v[6:7], v1
	global_store_dwordx2 v[2:3], v[6:7], off
	s_mov_b64 s[0:1], 0
.LBB416_1874:
	s_andn2_b64 vcc, exec, s[0:1]
	s_cbranch_vccnz .LBB416_1876
; %bb.1875:
	v_lshlrev_b32_e32 v1, 16, v4
	global_store_dword v[2:3], v1, off
.LBB416_1876:
	s_mov_b64 s[0:1], 0
.LBB416_1877:
	s_andn2_b64 vcc, exec, s[0:1]
	s_cbranch_vccnz .LBB416_1879
; %bb.1878:
	v_lshlrev_b32_e32 v1, 16, v4
	v_cvt_f16_f32_e32 v1, v1
	global_store_short v[2:3], v1, off
.LBB416_1879:
	s_mov_b64 s[0:1], 0
.LBB416_1880:
	s_andn2_b64 vcc, exec, s[0:1]
	s_cbranch_vccnz .LBB416_1896
; %bb.1881:
	s_cmp_lt_i32 s2, 2
	s_mov_b64 s[0:1], -1
	s_cbranch_scc1 .LBB416_1891
; %bb.1882:
	s_cmp_lt_i32 s2, 3
	s_cbranch_scc1 .LBB416_1888
; %bb.1883:
	s_cmp_gt_i32 s2, 3
	s_cbranch_scc0 .LBB416_1885
; %bb.1884:
	v_lshlrev_b32_e32 v1, 16, v4
	v_trunc_f32_e32 v1, v1
	s_mov_b32 s0, 0x2f800000
	v_mul_f32_e64 v5, |v1|, s0
	v_floor_f32_e32 v5, v5
	s_mov_b32 s0, 0xcf800000
	v_cvt_u32_f32_e32 v6, v5
	v_fma_f32 v5, v5, s0, |v1|
	v_cvt_u32_f32_e32 v5, v5
	v_ashrrev_i32_e32 v1, 31, v1
	v_xor_b32_e32 v7, v6, v1
	s_mov_b64 s[0:1], 0
	v_xor_b32_e32 v5, v5, v1
	v_sub_co_u32_e32 v6, vcc, v5, v1
	s_nop 1
	v_subb_co_u32_e32 v7, vcc, v7, v1, vcc
	global_store_dwordx2 v[2:3], v[6:7], off
.LBB416_1885:
	s_andn2_b64 vcc, exec, s[0:1]
	s_cbranch_vccnz .LBB416_1887
; %bb.1886:
	v_lshlrev_b32_e32 v1, 16, v4
	v_cvt_i32_f32_e32 v1, v1
	global_store_dword v[2:3], v1, off
.LBB416_1887:
	s_mov_b64 s[0:1], 0
.LBB416_1888:
	s_andn2_b64 vcc, exec, s[0:1]
	s_cbranch_vccnz .LBB416_1890
; %bb.1889:
	v_lshlrev_b32_e32 v1, 16, v4
	v_cvt_i32_f32_e32 v1, v1
	global_store_short v[2:3], v1, off
.LBB416_1890:
	s_mov_b64 s[0:1], 0
.LBB416_1891:
	s_andn2_b64 vcc, exec, s[0:1]
	s_cbranch_vccnz .LBB416_1896
; %bb.1892:
	s_mov_b64 s[0:1], -1
	s_cmp_gt_i32 s2, 0
	v_lshlrev_b32_e32 v1, 16, v4
	s_cbranch_scc0 .LBB416_1894
; %bb.1893:
	v_cvt_i32_f32_e32 v4, v1
	s_mov_b64 s[0:1], 0
	global_store_byte v[2:3], v4, off
.LBB416_1894:
	s_andn2_b64 vcc, exec, s[0:1]
	s_cbranch_vccnz .LBB416_1896
; %bb.1895:
	v_trunc_f32_e32 v1, v1
	s_mov_b32 s0, 0x2f800000
	v_mul_f32_e64 v4, |v1|, s0
	v_floor_f32_e32 v4, v4
	s_mov_b32 s0, 0xcf800000
	v_fma_f32 v4, v4, s0, |v1|
	v_cvt_u32_f32_e32 v4, v4
	v_ashrrev_i32_e32 v1, 31, v1
	v_xor_b32_e32 v4, v4, v1
	v_sub_u32_e32 v1, v4, v1
	global_store_byte v[2:3], v1, off
.LBB416_1896:
	s_mov_b64 s[6:7], -1
.LBB416_1897:
	s_andn2_b64 vcc, exec, s[6:7]
	s_cbranch_vccnz .LBB416_1974
; %bb.1898:
	v_lshlrev_b32_e32 v1, 16, v8
	v_cmp_u_f32_e32 vcc, v1, v1
	v_cmp_lt_f32_e64 s[0:1], s21, v1
	v_mov_b32_e32 v1, s33
	s_or_b64 vcc, vcc, s[0:1]
	v_add_u32_e32 v0, s18, v0
	v_cndmask_b32_e32 v2, v1, v8, vcc
	v_ashrrev_i32_e32 v1, 31, v0
	s_cmp_lt_i32 s20, 11
	v_lshl_add_u64 v[0:1], s[4:5], 0, v[0:1]
	s_cbranch_scc1 .LBB416_2019
; %bb.1899:
	s_and_b32 s16, 0xffff, s20
	s_mov_b64 s[4:5], -1
	s_mov_b64 s[2:3], 0
	s_cmp_gt_i32 s16, 25
	s_mov_b64 s[0:1], 0
	s_cbranch_scc0 .LBB416_1932
; %bb.1900:
	s_cmp_gt_i32 s16, 28
	s_cbranch_scc0 .LBB416_1916
; %bb.1901:
	s_cmp_gt_i32 s16, 43
	;; [unrolled: 3-line block ×3, first 2 shown]
	s_cbranch_scc0 .LBB416_1906
; %bb.1903:
	s_cmp_eq_u32 s16, 46
	s_mov_b64 s[0:1], -1
	s_cbranch_scc0 .LBB416_1905
; %bb.1904:
	v_and_b32_e32 v3, 0xffff, v2
	global_store_dword v[0:1], v3, off
	s_mov_b64 s[0:1], 0
.LBB416_1905:
	s_mov_b64 s[4:5], 0
.LBB416_1906:
	s_and_b64 vcc, exec, s[4:5]
	s_cbranch_vccz .LBB416_1911
; %bb.1907:
	s_cmp_eq_u32 s16, 44
	s_mov_b64 s[0:1], -1
	s_cbranch_scc0 .LBB416_1911
; %bb.1908:
	v_and_b32_e32 v4, 0xffff, v2
	v_bfe_u32 v3, v4, 7, 8
	s_movk_i32 s0, 0xff
	v_cmp_ne_u32_e32 vcc, s0, v3
	v_mov_b32_e32 v5, 0xff
	s_and_saveexec_b64 s[4:5], vcc
	s_cbranch_execz .LBB416_1910
; %bb.1909:
	v_lshlrev_b32_e32 v6, 16, v4
	s_mov_b32 s0, 0x3f0000
	v_lshrrev_b32_e32 v5, 7, v4
	v_and_b32_e32 v4, 64, v4
	v_and_or_b32 v3, v6, s0, v3
	v_cmp_ne_u32_e32 vcc, 0, v4
	v_cmp_ne_u32_e64 s[0:1], 0, v3
	s_and_b64 s[0:1], vcc, s[0:1]
	s_nop 0
	v_cndmask_b32_e64 v3, 0, 1, s[0:1]
	v_add_u32_e32 v5, v5, v3
.LBB416_1910:
	s_or_b64 exec, exec, s[4:5]
	s_mov_b64 s[0:1], 0
	global_store_byte v[0:1], v5, off
.LBB416_1911:
	s_mov_b64 s[4:5], 0
.LBB416_1912:
	s_and_b64 vcc, exec, s[4:5]
	s_cbranch_vccz .LBB416_1915
; %bb.1913:
	s_cmp_eq_u32 s16, 29
	s_mov_b64 s[0:1], -1
	s_cbranch_scc0 .LBB416_1915
; %bb.1914:
	v_lshlrev_b32_e32 v3, 16, v2
	v_trunc_f32_e32 v3, v3
	v_mul_f32_e32 v4, 0x2f800000, v3
	v_floor_f32_e32 v4, v4
	v_fmamk_f32 v3, v4, 0xcf800000, v3
	v_cvt_u32_f32_e32 v5, v4
	v_cvt_u32_f32_e32 v4, v3
	s_mov_b64 s[0:1], 0
	global_store_dwordx2 v[0:1], v[4:5], off
.LBB416_1915:
	s_mov_b64 s[4:5], 0
.LBB416_1916:
	s_and_b64 vcc, exec, s[4:5]
	s_cbranch_vccz .LBB416_1931
; %bb.1917:
	s_cmp_lt_i32 s16, 27
	s_mov_b64 s[4:5], -1
	s_cbranch_scc1 .LBB416_1923
; %bb.1918:
	s_cmp_gt_i32 s16, 27
	s_cbranch_scc0 .LBB416_1920
; %bb.1919:
	v_lshlrev_b32_e32 v3, 16, v2
	v_cvt_u32_f32_e32 v3, v3
	s_mov_b64 s[4:5], 0
	global_store_dword v[0:1], v3, off
.LBB416_1920:
	s_andn2_b64 vcc, exec, s[4:5]
	s_cbranch_vccnz .LBB416_1922
; %bb.1921:
	v_lshlrev_b32_e32 v3, 16, v2
	v_cvt_u32_f32_e32 v3, v3
	global_store_short v[0:1], v3, off
.LBB416_1922:
	s_mov_b64 s[4:5], 0
.LBB416_1923:
	s_andn2_b64 vcc, exec, s[4:5]
	s_cbranch_vccnz .LBB416_1931
; %bb.1924:
	v_lshlrev_b32_e32 v5, 16, v2
	v_and_b32_e32 v4, 0x7fffffff, v5
	s_mov_b32 s4, 0x43800000
	v_cmp_gt_u32_e32 vcc, s4, v4
	v_mov_b32_e32 v6, 0x80
	s_and_saveexec_b64 s[4:5], vcc
	s_cbranch_execz .LBB416_1930
; %bb.1925:
	s_mov_b32 s6, 0x3bffffff
	v_and_b32_e32 v3, 0xffff, v2
	v_cmp_lt_u32_e32 vcc, s6, v4
	s_mov_b64 s[6:7], 0
                                        ; implicit-def: $vgpr4
	s_and_saveexec_b64 s[8:9], vcc
	s_xor_b64 s[8:9], exec, s[8:9]
	s_cbranch_execz .LBB416_2036
; %bb.1926:
	v_bfe_u32 v4, v3, 4, 1
	s_mov_b32 s17, 0x487ffff
	v_add3_u32 v4, v5, v4, s17
	s_mov_b64 s[6:7], exec
	v_lshrrev_b32_e32 v4, 20, v4
                                        ; implicit-def: $vgpr5
	s_andn2_saveexec_b64 s[8:9], s[8:9]
	s_cbranch_execnz .LBB416_2037
.LBB416_1927:
	s_or_b64 exec, exec, s[8:9]
	v_mov_b32_e32 v6, 0
	s_and_saveexec_b64 s[8:9], s[6:7]
.LBB416_1928:
	v_lshrrev_b32_e32 v3, 8, v3
	s_movk_i32 s6, 0x80
	v_and_or_b32 v6, v3, s6, v4
.LBB416_1929:
	s_or_b64 exec, exec, s[8:9]
.LBB416_1930:
	s_or_b64 exec, exec, s[4:5]
	global_store_byte v[0:1], v6, off
.LBB416_1931:
	s_mov_b64 s[4:5], 0
.LBB416_1932:
	s_and_b64 vcc, exec, s[4:5]
	s_cbranch_vccz .LBB416_1972
; %bb.1933:
	s_cmp_gt_i32 s16, 22
	s_mov_b64 s[2:3], -1
	s_cbranch_scc0 .LBB416_1965
; %bb.1934:
	s_cmp_lt_i32 s16, 24
	s_cbranch_scc1 .LBB416_1954
; %bb.1935:
	s_cmp_gt_i32 s16, 24
	s_cbranch_scc0 .LBB416_1943
; %bb.1936:
	v_lshlrev_b32_e32 v5, 16, v2
	v_and_b32_e32 v4, 0x7fffffff, v5
	s_mov_b32 s2, 0x47800000
	v_cmp_gt_u32_e32 vcc, s2, v4
	v_mov_b32_e32 v6, 0x80
	s_and_saveexec_b64 s[2:3], vcc
	s_cbranch_execz .LBB416_1942
; %bb.1937:
	s_mov_b32 s4, 0x37ffffff
	v_and_b32_e32 v3, 0xffff, v2
	v_cmp_lt_u32_e32 vcc, s4, v4
	s_mov_b64 s[4:5], 0
                                        ; implicit-def: $vgpr4
	s_and_saveexec_b64 s[6:7], vcc
	s_xor_b64 s[6:7], exec, s[6:7]
	s_cbranch_execz .LBB416_2039
; %bb.1938:
	v_bfe_u32 v4, v3, 5, 1
	s_mov_b32 s8, 0x88fffff
	v_add3_u32 v4, v5, v4, s8
	s_mov_b64 s[4:5], exec
	v_lshrrev_b32_e32 v4, 21, v4
                                        ; implicit-def: $vgpr5
	s_andn2_saveexec_b64 s[6:7], s[6:7]
	s_cbranch_execnz .LBB416_2040
.LBB416_1939:
	s_or_b64 exec, exec, s[6:7]
	v_mov_b32_e32 v6, 0
	s_and_saveexec_b64 s[6:7], s[4:5]
.LBB416_1940:
	v_lshrrev_b32_e32 v3, 8, v3
	s_movk_i32 s4, 0x80
	v_and_or_b32 v6, v3, s4, v4
.LBB416_1941:
	s_or_b64 exec, exec, s[6:7]
.LBB416_1942:
	s_or_b64 exec, exec, s[2:3]
	s_mov_b64 s[2:3], 0
	global_store_byte v[0:1], v6, off
.LBB416_1943:
	s_and_b64 vcc, exec, s[2:3]
	s_cbranch_vccz .LBB416_1953
; %bb.1944:
	v_lshlrev_b32_e32 v5, 16, v2
	v_and_b32_e32 v6, 0x7fffffff, v5
	s_mov_b32 s2, 0x43f00000
	v_and_b32_e32 v3, 0xffff, v2
	v_cmp_gt_u32_e32 vcc, s2, v6
                                        ; implicit-def: $vgpr4
	s_and_saveexec_b64 s[2:3], vcc
	s_xor_b64 s[2:3], exec, s[2:3]
	s_cbranch_execz .LBB416_1950
; %bb.1945:
	s_mov_b32 s4, 0x3c7fffff
	v_cmp_lt_u32_e32 vcc, s4, v6
                                        ; implicit-def: $vgpr4
	s_and_saveexec_b64 s[4:5], vcc
	s_xor_b64 s[4:5], exec, s[4:5]
; %bb.1946:
	v_bfe_u32 v4, v3, 4, 1
	s_mov_b32 s6, 0x407ffff
	v_add3_u32 v4, v5, v4, s6
	v_lshrrev_b32_e32 v5, 20, v4
	v_and_b32_e32 v4, 0xff00000, v4
	s_mov_b32 s6, 0x7f00000
	v_mov_b32_e32 v6, 0x7e
	v_cmp_ne_u32_e32 vcc, s6, v4
	s_nop 1
	v_cndmask_b32_e32 v4, v6, v5, vcc
                                        ; implicit-def: $vgpr5
; %bb.1947:
	s_andn2_saveexec_b64 s[4:5], s[4:5]
; %bb.1948:
	s_mov_b32 s6, 0x46800000
	v_add_f32_e64 v4, |v5|, s6
; %bb.1949:
	s_or_b64 exec, exec, s[4:5]
                                        ; implicit-def: $vgpr6
.LBB416_1950:
	s_andn2_saveexec_b64 s[2:3], s[2:3]
; %bb.1951:
	s_mov_b32 s4, 0x7f800000
	v_mov_b32_e32 v4, 0x7e
	v_mov_b32_e32 v5, 0x7f
	v_cmp_lt_u32_e32 vcc, s4, v6
	s_nop 1
	v_cndmask_b32_e32 v4, v4, v5, vcc
; %bb.1952:
	s_or_b64 exec, exec, s[2:3]
	v_lshrrev_b32_e32 v3, 8, v3
	s_movk_i32 s2, 0x80
	v_and_or_b32 v3, v3, s2, v4
	global_store_byte v[0:1], v3, off
.LBB416_1953:
	s_mov_b64 s[2:3], 0
.LBB416_1954:
	s_andn2_b64 vcc, exec, s[2:3]
	s_cbranch_vccnz .LBB416_1964
; %bb.1955:
	v_lshlrev_b32_e32 v5, 16, v2
	v_and_b32_e32 v6, 0x7fffffff, v5
	s_mov_b32 s2, 0x47800000
	v_and_b32_e32 v3, 0xffff, v2
	v_cmp_gt_u32_e32 vcc, s2, v6
                                        ; implicit-def: $vgpr4
	s_and_saveexec_b64 s[2:3], vcc
	s_xor_b64 s[2:3], exec, s[2:3]
	s_cbranch_execz .LBB416_1961
; %bb.1956:
	s_mov_b32 s4, 0x387fffff
	v_cmp_lt_u32_e32 vcc, s4, v6
                                        ; implicit-def: $vgpr4
	s_and_saveexec_b64 s[4:5], vcc
	s_xor_b64 s[4:5], exec, s[4:5]
; %bb.1957:
	v_bfe_u32 v4, v3, 5, 1
	s_mov_b32 s6, 0x80fffff
	v_add3_u32 v4, v5, v4, s6
	v_lshrrev_b32_e32 v4, 21, v4
                                        ; implicit-def: $vgpr5
; %bb.1958:
	s_andn2_saveexec_b64 s[4:5], s[4:5]
; %bb.1959:
	s_mov_b32 s6, 0x43000000
	v_add_f32_e64 v4, |v5|, s6
; %bb.1960:
	s_or_b64 exec, exec, s[4:5]
                                        ; implicit-def: $vgpr6
.LBB416_1961:
	s_andn2_saveexec_b64 s[2:3], s[2:3]
; %bb.1962:
	s_mov_b32 s4, 0x7f800000
	v_mov_b32_e32 v4, 0x7c
	v_mov_b32_e32 v5, 0x7f
	v_cmp_lt_u32_e32 vcc, s4, v6
	s_nop 1
	v_cndmask_b32_e32 v4, v4, v5, vcc
; %bb.1963:
	s_or_b64 exec, exec, s[2:3]
	v_lshrrev_b32_e32 v3, 8, v3
	s_movk_i32 s2, 0x80
	v_and_or_b32 v3, v3, s2, v4
	global_store_byte v[0:1], v3, off
.LBB416_1964:
	s_mov_b64 s[2:3], 0
.LBB416_1965:
	s_andn2_b64 vcc, exec, s[2:3]
	s_mov_b64 s[2:3], 0
	s_cbranch_vccnz .LBB416_1972
; %bb.1966:
	s_cmp_gt_i32 s16, 14
	s_mov_b64 s[4:5], -1
	s_cbranch_scc0 .LBB416_1970
; %bb.1967:
	s_cmp_eq_u32 s16, 15
	s_mov_b64 s[0:1], -1
	s_cbranch_scc0 .LBB416_1969
; %bb.1968:
	global_store_short v[0:1], v2, off
	s_mov_b64 s[0:1], 0
.LBB416_1969:
	s_mov_b64 s[4:5], 0
.LBB416_1970:
	s_and_b64 vcc, exec, s[4:5]
	s_cbranch_vccz .LBB416_1972
; %bb.1971:
	s_cmp_lg_u32 s16, 11
	s_mov_b64 s[2:3], -1
	s_cselect_b64 s[0:1], -1, 0
.LBB416_1972:
	s_and_b64 vcc, exec, s[0:1]
	s_cbranch_vccnz .LBB416_2038
.LBB416_1973:
	s_mov_b64 s[0:1], 0
	s_branch .LBB416_1975
.LBB416_1974:
	s_mov_b64 s[0:1], 0
	s_mov_b64 s[2:3], 0
                                        ; implicit-def: $sgpr20
                                        ; implicit-def: $vgpr0_vgpr1
                                        ; implicit-def: $vgpr2
.LBB416_1975:
	s_andn2_b64 s[4:5], s[12:13], exec
	s_and_b64 s[6:7], s[14:15], exec
	s_and_b64 s[0:1], s[0:1], exec
	;; [unrolled: 1-line block ×3, first 2 shown]
	s_or_b64 s[12:13], s[4:5], s[6:7]
.LBB416_1976:
	s_or_b64 exec, exec, s[10:11]
	s_and_saveexec_b64 s[4:5], s[12:13]
	s_cbranch_execz .LBB416_1979
; %bb.1977:
	; divergent unreachable
	s_or_b64 exec, exec, s[4:5]
	s_and_saveexec_b64 s[4:5], s[2:3]
	s_xor_b64 s[2:3], exec, s[4:5]
	s_cbranch_execnz .LBB416_1980
.LBB416_1978:
	s_or_b64 exec, exec, s[2:3]
	s_and_saveexec_b64 s[2:3], s[0:1]
	s_cbranch_execnz .LBB416_1981
	s_branch .LBB416_2018
.LBB416_1979:
	s_or_b64 exec, exec, s[4:5]
	s_and_saveexec_b64 s[4:5], s[2:3]
	s_xor_b64 s[2:3], exec, s[4:5]
	s_cbranch_execz .LBB416_1978
.LBB416_1980:
	s_waitcnt vmcnt(0)
	v_and_b32_e32 v3, 0x7fff, v2
	v_cmp_ne_u16_e32 vcc, 0, v3
	s_nop 1
	v_cndmask_b32_e64 v3, 0, 1, vcc
	global_store_byte v[0:1], v3, off
	s_or_b64 exec, exec, s[2:3]
	s_and_saveexec_b64 s[2:3], s[0:1]
	s_cbranch_execz .LBB416_2018
.LBB416_1981:
	s_sext_i32_i16 s2, s20
	s_cmp_lt_i32 s2, 5
	s_mov_b64 s[0:1], -1
	s_cbranch_scc1 .LBB416_2002
; %bb.1982:
	s_cmp_lt_i32 s2, 8
	s_cbranch_scc1 .LBB416_1992
; %bb.1983:
	s_cmp_lt_i32 s2, 9
	s_cbranch_scc1 .LBB416_1989
; %bb.1984:
	s_cmp_gt_i32 s2, 9
	s_cbranch_scc0 .LBB416_1986
; %bb.1985:
	s_waitcnt vmcnt(0)
	v_lshlrev_b32_e32 v3, 16, v2
	v_mov_b32_e32 v6, 0
	v_cvt_f64_f32_e32 v[4:5], v3
	v_mov_b32_e32 v7, v6
	global_store_dwordx4 v[0:1], v[4:7], off
	s_mov_b64 s[0:1], 0
.LBB416_1986:
	s_andn2_b64 vcc, exec, s[0:1]
	s_cbranch_vccnz .LBB416_1988
; %bb.1987:
	s_waitcnt vmcnt(0)
	v_lshlrev_b32_e32 v4, 16, v2
	v_mov_b32_e32 v5, 0
	global_store_dwordx2 v[0:1], v[4:5], off
.LBB416_1988:
	s_mov_b64 s[0:1], 0
.LBB416_1989:
	s_andn2_b64 vcc, exec, s[0:1]
	s_cbranch_vccnz .LBB416_1991
; %bb.1990:
	s_waitcnt vmcnt(0)
	v_lshlrev_b32_e32 v3, 16, v2
	v_cvt_f16_f32_e32 v3, v3
	global_store_dword v[0:1], v3, off
.LBB416_1991:
	s_mov_b64 s[0:1], 0
.LBB416_1992:
	s_andn2_b64 vcc, exec, s[0:1]
	s_cbranch_vccnz .LBB416_2001
; %bb.1993:
	s_sext_i32_i16 s2, s20
	s_cmp_lt_i32 s2, 6
	s_mov_b64 s[0:1], -1
	s_cbranch_scc1 .LBB416_1999
; %bb.1994:
	s_cmp_gt_i32 s2, 6
	s_cbranch_scc0 .LBB416_1996
; %bb.1995:
	s_waitcnt vmcnt(0)
	v_lshlrev_b32_e32 v3, 16, v2
	v_cvt_f64_f32_e32 v[4:5], v3
	global_store_dwordx2 v[0:1], v[4:5], off
	s_mov_b64 s[0:1], 0
.LBB416_1996:
	s_andn2_b64 vcc, exec, s[0:1]
	s_cbranch_vccnz .LBB416_1998
; %bb.1997:
	s_waitcnt vmcnt(0)
	v_lshlrev_b32_e32 v3, 16, v2
	global_store_dword v[0:1], v3, off
.LBB416_1998:
	s_mov_b64 s[0:1], 0
.LBB416_1999:
	s_andn2_b64 vcc, exec, s[0:1]
	s_cbranch_vccnz .LBB416_2001
; %bb.2000:
	s_waitcnt vmcnt(0)
	v_lshlrev_b32_e32 v3, 16, v2
	v_cvt_f16_f32_e32 v3, v3
	global_store_short v[0:1], v3, off
.LBB416_2001:
	s_mov_b64 s[0:1], 0
.LBB416_2002:
	s_andn2_b64 vcc, exec, s[0:1]
	s_cbranch_vccnz .LBB416_2018
; %bb.2003:
	s_sext_i32_i16 s2, s20
	s_cmp_lt_i32 s2, 2
	s_mov_b64 s[0:1], -1
	s_cbranch_scc1 .LBB416_2013
; %bb.2004:
	s_cmp_lt_i32 s2, 3
	s_cbranch_scc1 .LBB416_2010
; %bb.2005:
	s_cmp_gt_i32 s2, 3
	s_cbranch_scc0 .LBB416_2007
; %bb.2006:
	s_waitcnt vmcnt(0)
	v_lshlrev_b32_e32 v3, 16, v2
	v_trunc_f32_e32 v3, v3
	s_mov_b32 s0, 0x2f800000
	v_mul_f32_e64 v4, |v3|, s0
	v_floor_f32_e32 v4, v4
	s_mov_b32 s0, 0xcf800000
	v_cvt_u32_f32_e32 v5, v4
	v_fma_f32 v4, v4, s0, |v3|
	v_cvt_u32_f32_e32 v4, v4
	v_ashrrev_i32_e32 v3, 31, v3
	v_xor_b32_e32 v5, v5, v3
	s_mov_b64 s[0:1], 0
	v_xor_b32_e32 v4, v4, v3
	v_sub_co_u32_e32 v4, vcc, v4, v3
	s_nop 1
	v_subb_co_u32_e32 v5, vcc, v5, v3, vcc
	global_store_dwordx2 v[0:1], v[4:5], off
.LBB416_2007:
	s_andn2_b64 vcc, exec, s[0:1]
	s_cbranch_vccnz .LBB416_2009
; %bb.2008:
	s_waitcnt vmcnt(0)
	v_lshlrev_b32_e32 v3, 16, v2
	v_cvt_i32_f32_e32 v3, v3
	global_store_dword v[0:1], v3, off
.LBB416_2009:
	s_mov_b64 s[0:1], 0
.LBB416_2010:
	s_andn2_b64 vcc, exec, s[0:1]
	s_cbranch_vccnz .LBB416_2012
; %bb.2011:
	s_waitcnt vmcnt(0)
	v_lshlrev_b32_e32 v3, 16, v2
	v_cvt_i32_f32_e32 v3, v3
	global_store_short v[0:1], v3, off
.LBB416_2012:
	s_mov_b64 s[0:1], 0
.LBB416_2013:
	s_andn2_b64 vcc, exec, s[0:1]
	s_cbranch_vccnz .LBB416_2018
; %bb.2014:
	s_sext_i32_i16 s2, s20
	s_mov_b64 s[0:1], -1
	s_cmp_gt_i32 s2, 0
	s_waitcnt vmcnt(0)
	v_lshlrev_b32_e32 v2, 16, v2
	s_cbranch_scc0 .LBB416_2016
; %bb.2015:
	v_cvt_i32_f32_e32 v3, v2
	s_mov_b64 s[0:1], 0
	global_store_byte v[0:1], v3, off
.LBB416_2016:
	s_andn2_b64 vcc, exec, s[0:1]
	s_cbranch_vccnz .LBB416_2018
; %bb.2017:
	v_trunc_f32_e32 v2, v2
	s_mov_b32 s0, 0x2f800000
	v_mul_f32_e64 v3, |v2|, s0
	v_floor_f32_e32 v3, v3
	s_mov_b32 s0, 0xcf800000
	v_fma_f32 v3, v3, s0, |v2|
	v_cvt_u32_f32_e32 v3, v3
	v_ashrrev_i32_e32 v2, 31, v2
	v_xor_b32_e32 v3, v3, v2
	v_sub_u32_e32 v2, v3, v2
	global_store_byte v[0:1], v2, off
	s_endpgm
.LBB416_2018:
	s_endpgm
.LBB416_2019:
	s_mov_b64 s[2:3], 0
	s_mov_b64 s[0:1], -1
	s_branch .LBB416_1975
.LBB416_2020:
	s_trap 2
	s_or_b64 s[14:15], s[14:15], exec
	s_cbranch_execz .LBB416_1489
	s_branch .LBB416_1490
.LBB416_2021:
	s_andn2_saveexec_b64 s[18:19], s[18:19]
	s_cbranch_execz .LBB416_1569
.LBB416_2022:
	s_mov_b32 s22, 0x46000000
	v_add_f32_e64 v4, |v9|, s22
	v_and_b32_e32 v4, 0xff, v4
	v_cmp_ne_u32_e32 vcc, 0, v4
	s_andn2_b64 s[16:17], s[16:17], exec
	s_and_b64 s[22:23], vcc, exec
	s_or_b64 s[16:17], s[16:17], s[22:23]
	s_or_b64 exec, exec, s[18:19]
	v_mov_b32_e32 v10, 0
	s_and_saveexec_b64 s[18:19], s[16:17]
	s_cbranch_execnz .LBB416_1570
	s_branch .LBB416_1571
.LBB416_2023:
	s_trap 2
	s_or_b64 s[14:15], s[14:15], exec
	s_cbranch_execz .LBB416_1617
	s_branch .LBB416_1618
.LBB416_2024:
	s_andn2_saveexec_b64 s[16:17], s[16:17]
	s_cbranch_execz .LBB416_1582
.LBB416_2025:
	s_mov_b32 s18, 0x42800000
	v_add_f32_e64 v4, |v9|, s18
	v_and_b32_e32 v4, 0xff, v4
	v_cmp_ne_u32_e32 vcc, 0, v4
	s_andn2_b64 s[6:7], s[6:7], exec
	s_and_b64 s[18:19], vcc, exec
	s_or_b64 s[6:7], s[6:7], s[18:19]
	s_or_b64 exec, exec, s[16:17]
	v_mov_b32_e32 v10, 0
	s_and_saveexec_b64 s[16:17], s[6:7]
	s_cbranch_execnz .LBB416_1583
	s_branch .LBB416_1584
.LBB416_2026:
	s_andn2_saveexec_b64 s[16:17], s[16:17]
	s_cbranch_execz .LBB416_1688
.LBB416_2027:
	s_mov_b32 s22, 0x46000000
	v_add_f32_e64 v5, |v6|, s22
	v_and_b32_e32 v5, 0xff, v5
	v_cmp_ne_u32_e32 vcc, 0, v5
	s_andn2_b64 s[8:9], s[8:9], exec
	s_and_b64 s[22:23], vcc, exec
	s_or_b64 s[8:9], s[8:9], s[22:23]
	s_or_b64 exec, exec, s[16:17]
	v_mov_b32_e32 v9, 0
	s_and_saveexec_b64 s[16:17], s[8:9]
	s_cbranch_execnz .LBB416_1689
	s_branch .LBB416_1690
.LBB416_2028:
	s_trap 2
	s_or_b64 s[14:15], s[14:15], exec
	s_cbranch_execz .LBB416_1736
	s_branch .LBB416_1737
.LBB416_2029:
	s_andn2_saveexec_b64 s[8:9], s[8:9]
	s_cbranch_execz .LBB416_1701
.LBB416_2030:
	s_mov_b32 s16, 0x42800000
	v_add_f32_e64 v5, |v6|, s16
	v_and_b32_e32 v5, 0xff, v5
	v_cmp_ne_u32_e32 vcc, 0, v5
	s_andn2_b64 s[6:7], s[6:7], exec
	s_and_b64 s[16:17], vcc, exec
	s_or_b64 s[6:7], s[6:7], s[16:17]
	s_or_b64 exec, exec, s[8:9]
	v_mov_b32_e32 v9, 0
	s_and_saveexec_b64 s[8:9], s[6:7]
	s_cbranch_execnz .LBB416_1702
	s_branch .LBB416_1703
.LBB416_2031:
	s_andn2_saveexec_b64 s[16:17], s[16:17]
	s_cbranch_execz .LBB416_1807
.LBB416_2032:
	s_mov_b32 s22, 0x46000000
	v_add_f32_e64 v5, |v6|, s22
	v_and_b32_e32 v5, 0xff, v5
	v_cmp_ne_u32_e32 vcc, 0, v5
	s_andn2_b64 s[8:9], s[8:9], exec
	s_and_b64 s[22:23], vcc, exec
	s_or_b64 s[8:9], s[8:9], s[22:23]
	s_or_b64 exec, exec, s[16:17]
	v_mov_b32_e32 v7, 0
	s_and_saveexec_b64 s[16:17], s[8:9]
	s_cbranch_execnz .LBB416_1808
	s_branch .LBB416_1809
.LBB416_2033:
	s_trap 2
	s_or_b64 s[14:15], s[14:15], exec
	s_cbranch_execz .LBB416_1855
	s_branch .LBB416_1856
.LBB416_2034:
	s_andn2_saveexec_b64 s[8:9], s[8:9]
	s_cbranch_execz .LBB416_1820
.LBB416_2035:
	s_mov_b32 s16, 0x42800000
	v_add_f32_e64 v5, |v6|, s16
	v_and_b32_e32 v5, 0xff, v5
	v_cmp_ne_u32_e32 vcc, 0, v5
	s_andn2_b64 s[6:7], s[6:7], exec
	s_and_b64 s[16:17], vcc, exec
	s_or_b64 s[6:7], s[6:7], s[16:17]
	s_or_b64 exec, exec, s[8:9]
	v_mov_b32_e32 v7, 0
	s_and_saveexec_b64 s[8:9], s[6:7]
	s_cbranch_execnz .LBB416_1821
	s_branch .LBB416_1822
.LBB416_2036:
	s_andn2_saveexec_b64 s[8:9], s[8:9]
	s_cbranch_execz .LBB416_1927
.LBB416_2037:
	s_mov_b32 s17, 0x46000000
	v_add_f32_e64 v4, |v5|, s17
	v_and_b32_e32 v4, 0xff, v4
	v_cmp_ne_u32_e32 vcc, 0, v4
	s_andn2_b64 s[6:7], s[6:7], exec
	s_and_b64 s[18:19], vcc, exec
	s_or_b64 s[6:7], s[6:7], s[18:19]
	s_or_b64 exec, exec, s[8:9]
	v_mov_b32_e32 v6, 0
	s_and_saveexec_b64 s[8:9], s[6:7]
	s_cbranch_execnz .LBB416_1928
	s_branch .LBB416_1929
.LBB416_2038:
	s_mov_b64 s[2:3], 0
	s_or_b64 s[14:15], s[14:15], exec
	s_trap 2
	s_branch .LBB416_1973
.LBB416_2039:
	s_andn2_saveexec_b64 s[6:7], s[6:7]
	s_cbranch_execz .LBB416_1939
.LBB416_2040:
	s_mov_b32 s8, 0x42800000
	v_add_f32_e64 v4, |v5|, s8
	v_and_b32_e32 v4, 0xff, v4
	v_cmp_ne_u32_e32 vcc, 0, v4
	s_andn2_b64 s[4:5], s[4:5], exec
	s_and_b64 s[8:9], vcc, exec
	s_or_b64 s[4:5], s[4:5], s[8:9]
	s_or_b64 exec, exec, s[6:7]
	v_mov_b32_e32 v6, 0
	s_and_saveexec_b64 s[6:7], s[4:5]
	s_cbranch_execnz .LBB416_1940
	s_branch .LBB416_1941
	.section	.rodata,"a",@progbits
	.p2align	6, 0x0
	.amdhsa_kernel _ZN2at6native32elementwise_kernel_manual_unrollILi128ELi4EZNS0_15gpu_kernel_implIZZZNS0_21clamp_min_kernel_cudaERNS_18TensorIteratorBaseERKN3c106ScalarEENKUlvE_clEvENKUlvE7_clEvEUlNS5_8BFloat16EE_EEvS4_RKT_EUlibE_EEviT1_
		.amdhsa_group_segment_fixed_size 0
		.amdhsa_private_segment_fixed_size 0
		.amdhsa_kernarg_size 40
		.amdhsa_user_sgpr_count 2
		.amdhsa_user_sgpr_dispatch_ptr 0
		.amdhsa_user_sgpr_queue_ptr 0
		.amdhsa_user_sgpr_kernarg_segment_ptr 1
		.amdhsa_user_sgpr_dispatch_id 0
		.amdhsa_user_sgpr_kernarg_preload_length 0
		.amdhsa_user_sgpr_kernarg_preload_offset 0
		.amdhsa_user_sgpr_private_segment_size 0
		.amdhsa_uses_dynamic_stack 0
		.amdhsa_enable_private_segment 0
		.amdhsa_system_sgpr_workgroup_id_x 1
		.amdhsa_system_sgpr_workgroup_id_y 0
		.amdhsa_system_sgpr_workgroup_id_z 0
		.amdhsa_system_sgpr_workgroup_info 0
		.amdhsa_system_vgpr_workitem_id 0
		.amdhsa_next_free_vgpr 14
		.amdhsa_next_free_sgpr 46
		.amdhsa_accum_offset 16
		.amdhsa_reserve_vcc 1
		.amdhsa_float_round_mode_32 0
		.amdhsa_float_round_mode_16_64 0
		.amdhsa_float_denorm_mode_32 3
		.amdhsa_float_denorm_mode_16_64 3
		.amdhsa_dx10_clamp 1
		.amdhsa_ieee_mode 1
		.amdhsa_fp16_overflow 0
		.amdhsa_tg_split 0
		.amdhsa_exception_fp_ieee_invalid_op 0
		.amdhsa_exception_fp_denorm_src 0
		.amdhsa_exception_fp_ieee_div_zero 0
		.amdhsa_exception_fp_ieee_overflow 0
		.amdhsa_exception_fp_ieee_underflow 0
		.amdhsa_exception_fp_ieee_inexact 0
		.amdhsa_exception_int_div_zero 0
	.end_amdhsa_kernel
	.section	.text._ZN2at6native32elementwise_kernel_manual_unrollILi128ELi4EZNS0_15gpu_kernel_implIZZZNS0_21clamp_min_kernel_cudaERNS_18TensorIteratorBaseERKN3c106ScalarEENKUlvE_clEvENKUlvE7_clEvEUlNS5_8BFloat16EE_EEvS4_RKT_EUlibE_EEviT1_,"axG",@progbits,_ZN2at6native32elementwise_kernel_manual_unrollILi128ELi4EZNS0_15gpu_kernel_implIZZZNS0_21clamp_min_kernel_cudaERNS_18TensorIteratorBaseERKN3c106ScalarEENKUlvE_clEvENKUlvE7_clEvEUlNS5_8BFloat16EE_EEvS4_RKT_EUlibE_EEviT1_,comdat
.Lfunc_end416:
	.size	_ZN2at6native32elementwise_kernel_manual_unrollILi128ELi4EZNS0_15gpu_kernel_implIZZZNS0_21clamp_min_kernel_cudaERNS_18TensorIteratorBaseERKN3c106ScalarEENKUlvE_clEvENKUlvE7_clEvEUlNS5_8BFloat16EE_EEvS4_RKT_EUlibE_EEviT1_, .Lfunc_end416-_ZN2at6native32elementwise_kernel_manual_unrollILi128ELi4EZNS0_15gpu_kernel_implIZZZNS0_21clamp_min_kernel_cudaERNS_18TensorIteratorBaseERKN3c106ScalarEENKUlvE_clEvENKUlvE7_clEvEUlNS5_8BFloat16EE_EEvS4_RKT_EUlibE_EEviT1_
                                        ; -- End function
	.set _ZN2at6native32elementwise_kernel_manual_unrollILi128ELi4EZNS0_15gpu_kernel_implIZZZNS0_21clamp_min_kernel_cudaERNS_18TensorIteratorBaseERKN3c106ScalarEENKUlvE_clEvENKUlvE7_clEvEUlNS5_8BFloat16EE_EEvS4_RKT_EUlibE_EEviT1_.num_vgpr, 14
	.set _ZN2at6native32elementwise_kernel_manual_unrollILi128ELi4EZNS0_15gpu_kernel_implIZZZNS0_21clamp_min_kernel_cudaERNS_18TensorIteratorBaseERKN3c106ScalarEENKUlvE_clEvENKUlvE7_clEvEUlNS5_8BFloat16EE_EEvS4_RKT_EUlibE_EEviT1_.num_agpr, 0
	.set _ZN2at6native32elementwise_kernel_manual_unrollILi128ELi4EZNS0_15gpu_kernel_implIZZZNS0_21clamp_min_kernel_cudaERNS_18TensorIteratorBaseERKN3c106ScalarEENKUlvE_clEvENKUlvE7_clEvEUlNS5_8BFloat16EE_EEvS4_RKT_EUlibE_EEviT1_.numbered_sgpr, 46
	.set _ZN2at6native32elementwise_kernel_manual_unrollILi128ELi4EZNS0_15gpu_kernel_implIZZZNS0_21clamp_min_kernel_cudaERNS_18TensorIteratorBaseERKN3c106ScalarEENKUlvE_clEvENKUlvE7_clEvEUlNS5_8BFloat16EE_EEvS4_RKT_EUlibE_EEviT1_.num_named_barrier, 0
	.set _ZN2at6native32elementwise_kernel_manual_unrollILi128ELi4EZNS0_15gpu_kernel_implIZZZNS0_21clamp_min_kernel_cudaERNS_18TensorIteratorBaseERKN3c106ScalarEENKUlvE_clEvENKUlvE7_clEvEUlNS5_8BFloat16EE_EEvS4_RKT_EUlibE_EEviT1_.private_seg_size, 0
	.set _ZN2at6native32elementwise_kernel_manual_unrollILi128ELi4EZNS0_15gpu_kernel_implIZZZNS0_21clamp_min_kernel_cudaERNS_18TensorIteratorBaseERKN3c106ScalarEENKUlvE_clEvENKUlvE7_clEvEUlNS5_8BFloat16EE_EEvS4_RKT_EUlibE_EEviT1_.uses_vcc, 1
	.set _ZN2at6native32elementwise_kernel_manual_unrollILi128ELi4EZNS0_15gpu_kernel_implIZZZNS0_21clamp_min_kernel_cudaERNS_18TensorIteratorBaseERKN3c106ScalarEENKUlvE_clEvENKUlvE7_clEvEUlNS5_8BFloat16EE_EEvS4_RKT_EUlibE_EEviT1_.uses_flat_scratch, 0
	.set _ZN2at6native32elementwise_kernel_manual_unrollILi128ELi4EZNS0_15gpu_kernel_implIZZZNS0_21clamp_min_kernel_cudaERNS_18TensorIteratorBaseERKN3c106ScalarEENKUlvE_clEvENKUlvE7_clEvEUlNS5_8BFloat16EE_EEvS4_RKT_EUlibE_EEviT1_.has_dyn_sized_stack, 0
	.set _ZN2at6native32elementwise_kernel_manual_unrollILi128ELi4EZNS0_15gpu_kernel_implIZZZNS0_21clamp_min_kernel_cudaERNS_18TensorIteratorBaseERKN3c106ScalarEENKUlvE_clEvENKUlvE7_clEvEUlNS5_8BFloat16EE_EEvS4_RKT_EUlibE_EEviT1_.has_recursion, 0
	.set _ZN2at6native32elementwise_kernel_manual_unrollILi128ELi4EZNS0_15gpu_kernel_implIZZZNS0_21clamp_min_kernel_cudaERNS_18TensorIteratorBaseERKN3c106ScalarEENKUlvE_clEvENKUlvE7_clEvEUlNS5_8BFloat16EE_EEvS4_RKT_EUlibE_EEviT1_.has_indirect_call, 0
	.section	.AMDGPU.csdata,"",@progbits
; Kernel info:
; codeLenInByte = 38320
; TotalNumSgprs: 52
; NumVgprs: 14
; NumAgprs: 0
; TotalNumVgprs: 14
; ScratchSize: 0
; MemoryBound: 0
; FloatMode: 240
; IeeeMode: 1
; LDSByteSize: 0 bytes/workgroup (compile time only)
; SGPRBlocks: 6
; VGPRBlocks: 1
; NumSGPRsForWavesPerEU: 52
; NumVGPRsForWavesPerEU: 14
; AccumOffset: 16
; Occupancy: 8
; WaveLimiterHint : 0
; COMPUTE_PGM_RSRC2:SCRATCH_EN: 0
; COMPUTE_PGM_RSRC2:USER_SGPR: 2
; COMPUTE_PGM_RSRC2:TRAP_HANDLER: 0
; COMPUTE_PGM_RSRC2:TGID_X_EN: 1
; COMPUTE_PGM_RSRC2:TGID_Y_EN: 0
; COMPUTE_PGM_RSRC2:TGID_Z_EN: 0
; COMPUTE_PGM_RSRC2:TIDIG_COMP_CNT: 0
; COMPUTE_PGM_RSRC3_GFX90A:ACCUM_OFFSET: 3
; COMPUTE_PGM_RSRC3_GFX90A:TG_SPLIT: 0
	.section	.text._ZN2at6native32elementwise_kernel_manual_unrollILi128ELi4EZNS0_15gpu_kernel_implIZZZNS0_21clamp_min_kernel_cudaERNS_18TensorIteratorBaseERKN3c106ScalarEENKUlvE_clEvENKUlvE7_clEvEUlNS5_8BFloat16EE_EEvS4_RKT_EUlibE0_EEviT1_,"axG",@progbits,_ZN2at6native32elementwise_kernel_manual_unrollILi128ELi4EZNS0_15gpu_kernel_implIZZZNS0_21clamp_min_kernel_cudaERNS_18TensorIteratorBaseERKN3c106ScalarEENKUlvE_clEvENKUlvE7_clEvEUlNS5_8BFloat16EE_EEvS4_RKT_EUlibE0_EEviT1_,comdat
	.globl	_ZN2at6native32elementwise_kernel_manual_unrollILi128ELi4EZNS0_15gpu_kernel_implIZZZNS0_21clamp_min_kernel_cudaERNS_18TensorIteratorBaseERKN3c106ScalarEENKUlvE_clEvENKUlvE7_clEvEUlNS5_8BFloat16EE_EEvS4_RKT_EUlibE0_EEviT1_ ; -- Begin function _ZN2at6native32elementwise_kernel_manual_unrollILi128ELi4EZNS0_15gpu_kernel_implIZZZNS0_21clamp_min_kernel_cudaERNS_18TensorIteratorBaseERKN3c106ScalarEENKUlvE_clEvENKUlvE7_clEvEUlNS5_8BFloat16EE_EEvS4_RKT_EUlibE0_EEviT1_
	.p2align	8
	.type	_ZN2at6native32elementwise_kernel_manual_unrollILi128ELi4EZNS0_15gpu_kernel_implIZZZNS0_21clamp_min_kernel_cudaERNS_18TensorIteratorBaseERKN3c106ScalarEENKUlvE_clEvENKUlvE7_clEvEUlNS5_8BFloat16EE_EEvS4_RKT_EUlibE0_EEviT1_,@function
_ZN2at6native32elementwise_kernel_manual_unrollILi128ELi4EZNS0_15gpu_kernel_implIZZZNS0_21clamp_min_kernel_cudaERNS_18TensorIteratorBaseERKN3c106ScalarEENKUlvE_clEvENKUlvE7_clEvEUlNS5_8BFloat16EE_EEvS4_RKT_EUlibE0_EEviT1_: ; @_ZN2at6native32elementwise_kernel_manual_unrollILi128ELi4EZNS0_15gpu_kernel_implIZZZNS0_21clamp_min_kernel_cudaERNS_18TensorIteratorBaseERKN3c106ScalarEENKUlvE_clEvENKUlvE7_clEvEUlNS5_8BFloat16EE_EEvS4_RKT_EUlibE0_EEviT1_
; %bb.0:
	s_load_dword s70, s[0:1], 0x0
	s_load_dword s33, s[0:1], 0x8
	s_add_u32 s34, s0, 8
	s_addc_u32 s35, s1, 0
	v_lshl_or_b32 v8, s2, 9, v0
	v_or_b32_e32 v16, 0x180, v8
	s_waitcnt lgkmcnt(0)
	s_add_i32 s72, s33, -1
	s_cmp_gt_u32 s72, 1
	v_cmp_le_i32_e32 vcc, s70, v16
	s_cselect_b64 s[42:43], -1, 0
	s_mov_b64 s[40:41], 0
	s_mov_b64 s[24:25], 0
	s_and_saveexec_b64 s[2:3], vcc
	s_xor_b64 s[44:45], exec, s[2:3]
	s_cbranch_execz .LBB417_1090
; %bb.1:
	s_load_dwordx4 s[24:27], s[34:35], 0x4
	s_load_dwordx2 s[46:47], s[34:35], 0x14
	s_load_dword s74, s[34:35], 0x158
	s_load_dword s2, s[0:1], 0x160
	s_cmp_lg_u32 s33, 0
	s_load_dwordx4 s[28:31], s[34:35], 0xc4
	s_load_dwordx4 s[20:23], s[34:35], 0x148
	s_cselect_b64 s[52:53], -1, 0
	s_add_u32 s50, s34, 0xc4
	s_addc_u32 s51, s35, 0
	s_min_u32 s77, s72, 15
	s_cmp_gt_u32 s33, 1
	s_cselect_b64 s[48:49], -1, 0
	s_waitcnt lgkmcnt(0)
	s_lshr_b32 s73, s2, 16
	s_lshr_b32 s76, s2, 24
	s_lshl_b32 s75, s74, 16
	v_cmp_gt_i32_e32 vcc, s70, v8
	s_mov_b64 s[4:5], -1
	s_mov_b64 s[62:63], 0
	s_mov_b64 s[56:57], 0
	s_mov_b64 s[54:55], 0
	s_and_saveexec_b64 s[58:59], vcc
	s_cbranch_execz .LBB417_267
; %bb.2:
	s_andn2_b64 vcc, exec, s[42:43]
	s_cbranch_vccnz .LBB417_8
; %bb.3:
	s_andn2_b64 vcc, exec, s[52:53]
	s_cbranch_vccnz .LBB417_9
; %bb.4:
	s_add_i32 s57, s77, 1
	s_cmp_eq_u32 s72, 2
	s_cbranch_scc1 .LBB417_10
; %bb.5:
	s_and_b32 s56, s57, 28
	s_mov_b32 s60, 0
	v_mov_b32_e32 v0, 0
	v_mov_b32_e32 v2, 0
	s_mov_b64 s[2:3], s[34:35]
	s_mov_b64 s[54:55], s[50:51]
	v_mov_b32_e32 v4, v8
.LBB417_6:                              ; =>This Inner Loop Header: Depth=1
	s_load_dwordx8 s[12:19], s[2:3], 0x4
	s_load_dwordx4 s[36:39], s[2:3], 0x24
	s_load_dwordx8 s[4:11], s[54:55], 0x0
	s_add_u32 s2, s2, 48
	s_addc_u32 s3, s3, 0
	s_waitcnt lgkmcnt(0)
	v_mul_hi_u32 v1, s13, v4
	v_add_u32_e32 v1, v4, v1
	v_lshrrev_b32_e32 v1, s14, v1
	v_mul_lo_u32 v3, v1, s12
	v_mul_hi_u32 v5, s16, v1
	v_sub_u32_e32 v3, v4, v3
	v_add_u32_e32 v4, v1, v5
	v_lshrrev_b32_e32 v4, s17, v4
	v_mul_lo_u32 v6, v4, s15
	v_mul_hi_u32 v7, s19, v4
	v_sub_u32_e32 v1, v1, v6
	v_add_u32_e32 v6, v4, v7
	v_mul_lo_u32 v5, v3, s5
	v_mul_lo_u32 v3, v3, s4
	;; [unrolled: 1-line block ×4, first 2 shown]
	v_lshrrev_b32_e32 v6, s36, v6
	v_add3_u32 v0, v3, v0, v1
	v_mul_hi_u32 v3, s38, v6
	v_add3_u32 v1, v5, v2, v7
	v_mul_lo_u32 v2, v6, s18
	v_add_u32_e32 v3, v6, v3
	v_sub_u32_e32 v2, v4, v2
	v_lshrrev_b32_e32 v4, s39, v3
	s_add_i32 s60, s60, 4
	v_mul_lo_u32 v3, v4, s37
	s_add_u32 s54, s54, 32
	v_sub_u32_e32 v3, v6, v3
	s_addc_u32 s55, s55, 0
	v_mul_lo_u32 v5, v2, s8
	v_mul_lo_u32 v2, v2, s9
	;; [unrolled: 1-line block ×4, first 2 shown]
	s_cmp_lg_u32 s56, s60
	v_add3_u32 v2, v2, v1, v3
	v_add3_u32 v0, v5, v0, v6
	s_cbranch_scc1 .LBB417_6
; %bb.7:
	v_mov_b32_e32 v1, v2
	s_branch .LBB417_11
.LBB417_8:
                                        ; implicit-def: $vgpr2
                                        ; implicit-def: $vgpr0
	s_branch .LBB417_15
.LBB417_9:
	v_mov_b32_e32 v2, 0
	v_mov_b32_e32 v0, 0
	s_branch .LBB417_14
.LBB417_10:
	v_mov_b32_e32 v0, 0
	s_mov_b32 s56, 0
	v_mov_b32_e32 v1, v0
                                        ; implicit-def: $vgpr2
	v_mov_b32_e32 v4, v8
.LBB417_11:
	s_and_b32 s6, s57, 3
	s_cmp_eq_u32 s6, 0
	s_cbranch_scc1 .LBB417_14
; %bb.12:
	s_lshl_b32 s2, s56, 3
	s_add_u32 s2, s34, s2
	s_addc_u32 s3, s35, 0
	s_add_u32 s2, s2, 0xc4
	s_addc_u32 s3, s3, 0
	s_mul_i32 s4, s56, 12
	s_add_u32 s4, s34, s4
	s_addc_u32 s5, s35, 0
.LBB417_13:                             ; =>This Inner Loop Header: Depth=1
	s_load_dwordx2 s[8:9], s[4:5], 0x4
	s_load_dword s7, s[4:5], 0xc
	s_load_dwordx2 s[10:11], s[2:3], 0x0
	v_mov_b32_e32 v2, v1
	s_add_u32 s4, s4, 12
	s_waitcnt lgkmcnt(0)
	v_mul_hi_u32 v1, s9, v4
	v_add_u32_e32 v1, v4, v1
	v_lshrrev_b32_e32 v1, s7, v1
	s_addc_u32 s5, s5, 0
	v_mul_lo_u32 v3, v1, s8
	s_add_u32 s2, s2, 8
	v_sub_u32_e32 v5, v4, v3
	s_addc_u32 s3, s3, 0
	s_add_i32 s6, s6, -1
	v_mov_b32_e32 v4, v1
	v_mad_u64_u32 v[2:3], s[8:9], v5, s11, v[2:3]
	v_mad_u64_u32 v[0:1], s[8:9], v5, s10, v[0:1]
	s_cmp_lg_u32 s6, 0
	v_mov_b32_e32 v1, v2
	s_cbranch_scc1 .LBB417_13
.LBB417_14:
	s_cbranch_execnz .LBB417_17
.LBB417_15:
	v_mul_hi_u32 v0, s25, v8
	v_add_u32_e32 v0, v8, v0
	v_lshrrev_b32_e32 v1, s26, v0
	v_mul_lo_u32 v0, v1, s24
	v_sub_u32_e32 v0, v8, v0
	v_mul_lo_u32 v2, v0, s29
	s_andn2_b64 vcc, exec, s[48:49]
	v_mul_lo_u32 v0, v0, s28
	s_cbranch_vccnz .LBB417_17
; %bb.16:
	v_mul_hi_u32 v3, s46, v1
	v_add_u32_e32 v3, v1, v3
	v_lshrrev_b32_e32 v3, s47, v3
	v_mul_lo_u32 v3, v3, s27
	v_sub_u32_e32 v3, v1, v3
	v_mad_u64_u32 v[0:1], s[2:3], v3, s30, v[0:1]
	v_mad_u64_u32 v[2:3], s[2:3], v3, s31, v[2:3]
.LBB417_17:
	v_mov_b32_e32 v3, 0
	s_and_b32 s10, 0xffff, s76
	s_cmp_lt_i32 s10, 11
	v_lshl_add_u64 v[2:3], s[22:23], 0, v[2:3]
	s_cbranch_scc1 .LBB417_24
; %bb.18:
	s_cmp_gt_i32 s10, 25
	s_cbranch_scc0 .LBB417_33
; %bb.19:
	s_cmp_gt_i32 s10, 28
	s_cbranch_scc0 .LBB417_36
	;; [unrolled: 3-line block ×4, first 2 shown]
; %bb.22:
	s_cmp_eq_u32 s10, 46
	s_mov_b64 s[6:7], 0
	s_cbranch_scc0 .LBB417_42
; %bb.23:
	global_load_dword v1, v[2:3], off
	s_mov_b64 s[2:3], -1
	s_mov_b64 s[4:5], 0
	s_branch .LBB417_44
.LBB417_24:
	s_mov_b64 s[4:5], 0
                                        ; implicit-def: $vgpr1
	s_mov_b64 s[2:3], 0
	s_cbranch_execnz .LBB417_217
.LBB417_25:
	s_andn2_b64 vcc, exec, s[2:3]
	s_cbranch_vccnz .LBB417_264
.LBB417_26:
	s_waitcnt vmcnt(0)
	v_lshlrev_b32_e32 v2, 16, v1
	v_cmp_u_f32_e32 vcc, v2, v2
	v_cmp_lt_f32_e64 s[2:3], s75, v2
	v_mov_b32_e32 v2, s74
	s_or_b64 vcc, vcc, s[2:3]
	v_cndmask_b32_e32 v2, v2, v1, vcc
	v_mov_b32_e32 v1, 0
	s_and_b32 s12, s73, 0xff
	s_cmp_lt_i32 s12, 11
	v_lshl_add_u64 v[0:1], s[20:21], 0, v[0:1]
	s_cbranch_scc1 .LBB417_34
; %bb.27:
	s_and_b32 s13, 0xffff, s12
	s_cmp_gt_i32 s13, 25
	s_cbranch_scc0 .LBB417_37
; %bb.28:
	s_cmp_gt_i32 s13, 28
	s_cbranch_scc0 .LBB417_39
; %bb.29:
	;; [unrolled: 3-line block ×4, first 2 shown]
	s_mov_b64 s[8:9], 0
	s_mov_b64 s[2:3], -1
	s_cmp_eq_u32 s13, 46
	s_mov_b64 s[6:7], 0
	s_cbranch_scc0 .LBB417_48
; %bb.32:
	v_and_b32_e32 v3, 0xffff, v2
	global_store_dword v[0:1], v3, off
	s_mov_b64 s[6:7], -1
	s_mov_b64 s[2:3], 0
	s_branch .LBB417_48
.LBB417_33:
	s_mov_b64 s[4:5], 0
	s_mov_b64 s[2:3], 0
                                        ; implicit-def: $vgpr1
	s_cbranch_execnz .LBB417_182
	s_branch .LBB417_216
.LBB417_34:
	s_mov_b64 s[2:3], 0
	s_mov_b64 s[6:7], 0
	s_cbranch_execnz .LBB417_117
.LBB417_35:
	s_andn2_b64 vcc, exec, s[6:7]
	s_cbranch_vccnz .LBB417_265
	s_branch .LBB417_155
.LBB417_36:
	s_mov_b64 s[6:7], -1
	s_mov_b64 s[4:5], 0
	s_mov_b64 s[2:3], 0
                                        ; implicit-def: $vgpr1
	s_branch .LBB417_163
.LBB417_37:
	s_mov_b64 s[8:9], -1
	s_mov_b64 s[2:3], 0
	s_mov_b64 s[6:7], 0
	s_branch .LBB417_75
.LBB417_38:
	s_mov_b64 s[6:7], -1
	s_mov_b64 s[4:5], 0
	s_mov_b64 s[2:3], 0
                                        ; implicit-def: $vgpr1
	s_branch .LBB417_158
.LBB417_39:
	s_mov_b64 s[8:9], -1
	s_mov_b64 s[2:3], 0
	s_mov_b64 s[6:7], 0
	s_branch .LBB417_58
.LBB417_40:
	s_mov_b64 s[6:7], -1
	s_mov_b64 s[4:5], 0
	s_branch .LBB417_43
.LBB417_41:
	s_mov_b64 s[8:9], -1
	s_mov_b64 s[2:3], 0
	s_mov_b64 s[6:7], 0
	s_branch .LBB417_54
.LBB417_42:
	s_mov_b64 s[4:5], -1
.LBB417_43:
	s_mov_b64 s[2:3], 0
                                        ; implicit-def: $vgpr1
.LBB417_44:
	s_and_b64 vcc, exec, s[6:7]
	s_cbranch_vccz .LBB417_157
; %bb.45:
	s_cmp_eq_u32 s10, 44
	s_cbranch_scc0 .LBB417_156
; %bb.46:
	global_load_ubyte v1, v[2:3], off
	s_movk_i32 s4, 0xff
	v_mov_b32_e32 v4, 0x7f800001
	v_mov_b32_e32 v5, 0x400000
	;; [unrolled: 1-line block ×3, first 2 shown]
	s_mov_b64 s[2:3], -1
	s_waitcnt vmcnt(0)
	v_lshlrev_b32_e32 v7, 23, v1
	v_cmp_ne_u32_e32 vcc, s4, v1
	s_mov_b64 s[4:5], 0
	s_nop 0
	v_cndmask_b32_e32 v4, v4, v7, vcc
	v_cmp_ne_u32_e32 vcc, 0, v1
	s_nop 1
	v_cndmask_b32_e32 v1, v5, v4, vcc
	v_add_u32_e32 v4, 0x7fff, v1
	v_cmp_o_f32_e32 vcc, v1, v1
	s_nop 1
	v_cndmask_b32_sdwa v1, v6, v4, vcc dst_sel:DWORD dst_unused:UNUSED_PAD src0_sel:DWORD src1_sel:WORD_1
	s_branch .LBB417_157
.LBB417_47:
	s_mov_b64 s[8:9], -1
	s_mov_b64 s[2:3], 0
	s_mov_b64 s[6:7], 0
.LBB417_48:
	s_and_b64 vcc, exec, s[8:9]
	s_cbranch_vccz .LBB417_53
; %bb.49:
	s_cmp_eq_u32 s13, 44
	s_mov_b64 s[2:3], -1
	s_cbranch_scc0 .LBB417_53
; %bb.50:
	v_and_b32_e32 v4, 0xffff, v2
	v_bfe_u32 v3, v4, 7, 8
	s_movk_i32 s2, 0xff
	v_cmp_ne_u32_e32 vcc, s2, v3
	v_mov_b32_e32 v5, 0xff
	s_and_saveexec_b64 s[6:7], vcc
	s_cbranch_execz .LBB417_52
; %bb.51:
	v_lshlrev_b32_e32 v6, 16, v4
	s_mov_b32 s2, 0x3f0000
	v_lshrrev_b32_e32 v5, 7, v4
	v_and_b32_e32 v4, 64, v4
	v_and_or_b32 v3, v6, s2, v3
	v_cmp_ne_u32_e32 vcc, 0, v4
	v_cmp_ne_u32_e64 s[2:3], 0, v3
	s_and_b64 s[2:3], vcc, s[2:3]
	s_nop 0
	v_cndmask_b32_e64 v3, 0, 1, s[2:3]
	v_add_u32_e32 v5, v5, v3
.LBB417_52:
	s_or_b64 exec, exec, s[6:7]
	s_mov_b64 s[6:7], -1
	s_mov_b64 s[2:3], 0
	global_store_byte v[0:1], v5, off
.LBB417_53:
	s_mov_b64 s[8:9], 0
.LBB417_54:
	s_and_b64 vcc, exec, s[8:9]
	s_cbranch_vccz .LBB417_57
; %bb.55:
	s_cmp_eq_u32 s13, 29
	s_mov_b64 s[2:3], -1
	s_cbranch_scc0 .LBB417_57
; %bb.56:
	v_lshlrev_b32_e32 v3, 16, v2
	v_trunc_f32_e32 v3, v3
	v_mul_f32_e32 v4, 0x2f800000, v3
	v_floor_f32_e32 v4, v4
	v_fmamk_f32 v3, v4, 0xcf800000, v3
	v_cvt_u32_f32_e32 v5, v4
	v_cvt_u32_f32_e32 v4, v3
	s_mov_b64 s[6:7], -1
	s_mov_b64 s[2:3], 0
	s_mov_b64 s[8:9], 0
	global_store_dwordx2 v[0:1], v[4:5], off
	s_branch .LBB417_58
.LBB417_57:
	s_mov_b64 s[8:9], 0
.LBB417_58:
	s_and_b64 vcc, exec, s[8:9]
	s_cbranch_vccz .LBB417_74
; %bb.59:
	s_cmp_lt_i32 s13, 27
	s_mov_b64 s[6:7], -1
	s_cbranch_scc1 .LBB417_65
; %bb.60:
	s_cmp_gt_i32 s13, 27
	s_cbranch_scc0 .LBB417_62
; %bb.61:
	v_lshlrev_b32_e32 v3, 16, v2
	v_cvt_u32_f32_e32 v3, v3
	s_mov_b64 s[6:7], 0
	global_store_dword v[0:1], v3, off
.LBB417_62:
	s_andn2_b64 vcc, exec, s[6:7]
	s_cbranch_vccnz .LBB417_64
; %bb.63:
	v_lshlrev_b32_e32 v3, 16, v2
	v_cvt_u32_f32_e32 v3, v3
	global_store_short v[0:1], v3, off
.LBB417_64:
	s_mov_b64 s[6:7], 0
.LBB417_65:
	s_andn2_b64 vcc, exec, s[6:7]
	s_cbranch_vccnz .LBB417_73
; %bb.66:
	v_lshlrev_b32_e32 v5, 16, v2
	v_and_b32_e32 v4, 0x7fffffff, v5
	s_mov_b32 s6, 0x43800000
	v_cmp_gt_u32_e32 vcc, s6, v4
	v_mov_b32_e32 v6, 0x80
	s_and_saveexec_b64 s[6:7], vcc
	s_cbranch_execz .LBB417_72
; %bb.67:
	s_mov_b32 s8, 0x3bffffff
	v_and_b32_e32 v3, 0xffff, v2
	v_cmp_lt_u32_e32 vcc, s8, v4
	s_mov_b64 s[8:9], 0
                                        ; implicit-def: $vgpr4
	s_and_saveexec_b64 s[10:11], vcc
	s_xor_b64 s[10:11], exec, s[10:11]
	s_cbranch_execz .LBB417_309
; %bb.68:
	v_bfe_u32 v4, v3, 4, 1
	s_mov_b32 s14, 0x487ffff
	v_add3_u32 v4, v5, v4, s14
	s_mov_b64 s[8:9], exec
	v_lshrrev_b32_e32 v4, 20, v4
                                        ; implicit-def: $vgpr5
	s_andn2_saveexec_b64 s[10:11], s[10:11]
	s_cbranch_execnz .LBB417_310
.LBB417_69:
	s_or_b64 exec, exec, s[10:11]
	v_mov_b32_e32 v6, 0
	s_and_saveexec_b64 s[10:11], s[8:9]
.LBB417_70:
	v_lshrrev_b32_e32 v3, 8, v3
	s_movk_i32 s8, 0x80
	v_and_or_b32 v6, v3, s8, v4
.LBB417_71:
	s_or_b64 exec, exec, s[10:11]
.LBB417_72:
	s_or_b64 exec, exec, s[6:7]
	global_store_byte v[0:1], v6, off
.LBB417_73:
	s_mov_b64 s[6:7], -1
.LBB417_74:
	s_mov_b64 s[8:9], 0
.LBB417_75:
	s_and_b64 vcc, exec, s[8:9]
	s_cbranch_vccz .LBB417_116
; %bb.76:
	s_cmp_gt_i32 s13, 22
	s_mov_b64 s[8:9], -1
	s_cbranch_scc0 .LBB417_108
; %bb.77:
	s_cmp_lt_i32 s13, 24
	s_mov_b64 s[6:7], -1
	s_cbranch_scc1 .LBB417_97
; %bb.78:
	s_cmp_gt_i32 s13, 24
	s_cbranch_scc0 .LBB417_86
; %bb.79:
	v_lshlrev_b32_e32 v5, 16, v2
	v_and_b32_e32 v4, 0x7fffffff, v5
	s_mov_b32 s6, 0x47800000
	v_cmp_gt_u32_e32 vcc, s6, v4
	v_mov_b32_e32 v6, 0x80
	s_and_saveexec_b64 s[6:7], vcc
	s_cbranch_execz .LBB417_85
; %bb.80:
	s_mov_b32 s8, 0x37ffffff
	v_and_b32_e32 v3, 0xffff, v2
	v_cmp_lt_u32_e32 vcc, s8, v4
	s_mov_b64 s[8:9], 0
                                        ; implicit-def: $vgpr4
	s_and_saveexec_b64 s[10:11], vcc
	s_xor_b64 s[10:11], exec, s[10:11]
	s_cbranch_execz .LBB417_313
; %bb.81:
	v_bfe_u32 v4, v3, 5, 1
	s_mov_b32 s14, 0x88fffff
	v_add3_u32 v4, v5, v4, s14
	s_mov_b64 s[8:9], exec
	v_lshrrev_b32_e32 v4, 21, v4
                                        ; implicit-def: $vgpr5
	s_andn2_saveexec_b64 s[10:11], s[10:11]
	s_cbranch_execnz .LBB417_314
.LBB417_82:
	s_or_b64 exec, exec, s[10:11]
	v_mov_b32_e32 v6, 0
	s_and_saveexec_b64 s[10:11], s[8:9]
.LBB417_83:
	v_lshrrev_b32_e32 v3, 8, v3
	s_movk_i32 s8, 0x80
	v_and_or_b32 v6, v3, s8, v4
.LBB417_84:
	s_or_b64 exec, exec, s[10:11]
.LBB417_85:
	s_or_b64 exec, exec, s[6:7]
	s_mov_b64 s[6:7], 0
	global_store_byte v[0:1], v6, off
.LBB417_86:
	s_and_b64 vcc, exec, s[6:7]
	s_cbranch_vccz .LBB417_96
; %bb.87:
	v_lshlrev_b32_e32 v5, 16, v2
	v_and_b32_e32 v6, 0x7fffffff, v5
	s_mov_b32 s6, 0x43f00000
	v_and_b32_e32 v3, 0xffff, v2
	v_cmp_gt_u32_e32 vcc, s6, v6
                                        ; implicit-def: $vgpr4
	s_and_saveexec_b64 s[6:7], vcc
	s_xor_b64 s[6:7], exec, s[6:7]
	s_cbranch_execz .LBB417_93
; %bb.88:
	s_mov_b32 s8, 0x3c7fffff
	v_cmp_lt_u32_e32 vcc, s8, v6
                                        ; implicit-def: $vgpr4
	s_and_saveexec_b64 s[8:9], vcc
	s_xor_b64 s[8:9], exec, s[8:9]
; %bb.89:
	v_bfe_u32 v4, v3, 4, 1
	s_mov_b32 s10, 0x407ffff
	v_add3_u32 v4, v5, v4, s10
	v_lshrrev_b32_e32 v5, 20, v4
	v_and_b32_e32 v4, 0xff00000, v4
	s_mov_b32 s10, 0x7f00000
	v_mov_b32_e32 v6, 0x7e
	v_cmp_ne_u32_e32 vcc, s10, v4
	s_nop 1
	v_cndmask_b32_e32 v4, v6, v5, vcc
                                        ; implicit-def: $vgpr5
; %bb.90:
	s_andn2_saveexec_b64 s[8:9], s[8:9]
; %bb.91:
	s_mov_b32 s10, 0x46800000
	v_add_f32_e64 v4, |v5|, s10
; %bb.92:
	s_or_b64 exec, exec, s[8:9]
                                        ; implicit-def: $vgpr6
.LBB417_93:
	s_andn2_saveexec_b64 s[6:7], s[6:7]
; %bb.94:
	s_mov_b32 s8, 0x7f800000
	v_mov_b32_e32 v4, 0x7e
	v_mov_b32_e32 v5, 0x7f
	v_cmp_lt_u32_e32 vcc, s8, v6
	s_nop 1
	v_cndmask_b32_e32 v4, v4, v5, vcc
; %bb.95:
	s_or_b64 exec, exec, s[6:7]
	v_lshrrev_b32_e32 v3, 8, v3
	s_movk_i32 s6, 0x80
	v_and_or_b32 v3, v3, s6, v4
	global_store_byte v[0:1], v3, off
.LBB417_96:
	s_mov_b64 s[6:7], 0
.LBB417_97:
	s_andn2_b64 vcc, exec, s[6:7]
	s_cbranch_vccnz .LBB417_107
; %bb.98:
	v_lshlrev_b32_e32 v5, 16, v2
	v_and_b32_e32 v6, 0x7fffffff, v5
	s_mov_b32 s6, 0x47800000
	v_and_b32_e32 v3, 0xffff, v2
	v_cmp_gt_u32_e32 vcc, s6, v6
                                        ; implicit-def: $vgpr4
	s_and_saveexec_b64 s[6:7], vcc
	s_xor_b64 s[6:7], exec, s[6:7]
	s_cbranch_execz .LBB417_104
; %bb.99:
	s_mov_b32 s8, 0x387fffff
	v_cmp_lt_u32_e32 vcc, s8, v6
                                        ; implicit-def: $vgpr4
	s_and_saveexec_b64 s[8:9], vcc
	s_xor_b64 s[8:9], exec, s[8:9]
; %bb.100:
	v_bfe_u32 v4, v3, 5, 1
	s_mov_b32 s10, 0x80fffff
	v_add3_u32 v4, v5, v4, s10
	v_lshrrev_b32_e32 v4, 21, v4
                                        ; implicit-def: $vgpr5
; %bb.101:
	s_andn2_saveexec_b64 s[8:9], s[8:9]
; %bb.102:
	s_mov_b32 s10, 0x43000000
	v_add_f32_e64 v4, |v5|, s10
; %bb.103:
	s_or_b64 exec, exec, s[8:9]
                                        ; implicit-def: $vgpr6
.LBB417_104:
	s_andn2_saveexec_b64 s[6:7], s[6:7]
; %bb.105:
	s_mov_b32 s8, 0x7f800000
	v_mov_b32_e32 v4, 0x7c
	v_mov_b32_e32 v5, 0x7f
	v_cmp_lt_u32_e32 vcc, s8, v6
	s_nop 1
	v_cndmask_b32_e32 v4, v4, v5, vcc
; %bb.106:
	s_or_b64 exec, exec, s[6:7]
	v_lshrrev_b32_e32 v3, 8, v3
	s_movk_i32 s6, 0x80
	v_and_or_b32 v3, v3, s6, v4
	global_store_byte v[0:1], v3, off
.LBB417_107:
	s_mov_b64 s[8:9], 0
	s_mov_b64 s[6:7], -1
.LBB417_108:
	s_andn2_b64 vcc, exec, s[8:9]
	s_cbranch_vccnz .LBB417_116
; %bb.109:
	s_cmp_gt_i32 s13, 14
	s_mov_b64 s[8:9], -1
	s_cbranch_scc0 .LBB417_113
; %bb.110:
	s_cmp_eq_u32 s13, 15
	s_mov_b64 s[2:3], -1
	s_cbranch_scc0 .LBB417_112
; %bb.111:
	global_store_short v[0:1], v2, off
	s_mov_b64 s[6:7], -1
	s_mov_b64 s[2:3], 0
.LBB417_112:
	s_mov_b64 s[8:9], 0
.LBB417_113:
	s_and_b64 vcc, exec, s[8:9]
	s_cbranch_vccz .LBB417_116
; %bb.114:
	s_cmp_eq_u32 s13, 11
	s_mov_b64 s[2:3], -1
	s_cbranch_scc0 .LBB417_116
; %bb.115:
	v_and_b32_e32 v3, 0x7fff, v2
	v_cmp_ne_u16_e32 vcc, 0, v3
	s_mov_b64 s[6:7], -1
	s_mov_b64 s[2:3], 0
	v_cndmask_b32_e64 v3, 0, 1, vcc
	global_store_byte v[0:1], v3, off
.LBB417_116:
	s_branch .LBB417_35
.LBB417_117:
	s_and_b32 s8, 0xffff, s12
	s_cmp_lt_i32 s8, 5
	s_mov_b64 s[6:7], -1
	s_cbranch_scc1 .LBB417_138
; %bb.118:
	s_cmp_lt_i32 s8, 8
	s_cbranch_scc1 .LBB417_128
; %bb.119:
	s_cmp_lt_i32 s8, 9
	s_cbranch_scc1 .LBB417_125
; %bb.120:
	s_cmp_gt_i32 s8, 9
	s_cbranch_scc0 .LBB417_122
; %bb.121:
	v_lshlrev_b32_e32 v3, 16, v2
	v_mov_b32_e32 v6, 0
	v_cvt_f64_f32_e32 v[4:5], v3
	v_mov_b32_e32 v7, v6
	global_store_dwordx4 v[0:1], v[4:7], off
	s_mov_b64 s[6:7], 0
.LBB417_122:
	s_andn2_b64 vcc, exec, s[6:7]
	s_cbranch_vccnz .LBB417_124
; %bb.123:
	v_lshlrev_b32_e32 v4, 16, v2
	v_mov_b32_e32 v5, 0
	global_store_dwordx2 v[0:1], v[4:5], off
.LBB417_124:
	s_mov_b64 s[6:7], 0
.LBB417_125:
	s_andn2_b64 vcc, exec, s[6:7]
	s_cbranch_vccnz .LBB417_127
; %bb.126:
	v_lshlrev_b32_e32 v3, 16, v2
	v_cvt_f16_f32_e32 v3, v3
	global_store_dword v[0:1], v3, off
.LBB417_127:
	s_mov_b64 s[6:7], 0
.LBB417_128:
	s_andn2_b64 vcc, exec, s[6:7]
	s_cbranch_vccnz .LBB417_137
; %bb.129:
	s_cmp_lt_i32 s8, 6
	s_mov_b64 s[6:7], -1
	s_cbranch_scc1 .LBB417_135
; %bb.130:
	s_cmp_gt_i32 s8, 6
	s_cbranch_scc0 .LBB417_132
; %bb.131:
	v_lshlrev_b32_e32 v3, 16, v2
	v_cvt_f64_f32_e32 v[4:5], v3
	global_store_dwordx2 v[0:1], v[4:5], off
	s_mov_b64 s[6:7], 0
.LBB417_132:
	s_andn2_b64 vcc, exec, s[6:7]
	s_cbranch_vccnz .LBB417_134
; %bb.133:
	v_lshlrev_b32_e32 v3, 16, v2
	global_store_dword v[0:1], v3, off
.LBB417_134:
	s_mov_b64 s[6:7], 0
.LBB417_135:
	s_andn2_b64 vcc, exec, s[6:7]
	s_cbranch_vccnz .LBB417_137
; %bb.136:
	v_lshlrev_b32_e32 v3, 16, v2
	v_cvt_f16_f32_e32 v3, v3
	global_store_short v[0:1], v3, off
.LBB417_137:
	s_mov_b64 s[6:7], 0
.LBB417_138:
	s_andn2_b64 vcc, exec, s[6:7]
	s_cbranch_vccnz .LBB417_154
; %bb.139:
	s_cmp_lt_i32 s8, 2
	s_mov_b64 s[6:7], -1
	s_cbranch_scc1 .LBB417_149
; %bb.140:
	s_cmp_lt_i32 s8, 3
	s_cbranch_scc1 .LBB417_146
; %bb.141:
	s_cmp_gt_i32 s8, 3
	s_cbranch_scc0 .LBB417_143
; %bb.142:
	v_lshlrev_b32_e32 v3, 16, v2
	v_trunc_f32_e32 v3, v3
	s_mov_b32 s6, 0x2f800000
	v_mul_f32_e64 v4, |v3|, s6
	v_floor_f32_e32 v4, v4
	s_mov_b32 s6, 0xcf800000
	v_cvt_u32_f32_e32 v5, v4
	v_fma_f32 v4, v4, s6, |v3|
	v_cvt_u32_f32_e32 v4, v4
	v_ashrrev_i32_e32 v3, 31, v3
	v_xor_b32_e32 v5, v5, v3
	s_mov_b64 s[6:7], 0
	v_xor_b32_e32 v4, v4, v3
	v_sub_co_u32_e32 v4, vcc, v4, v3
	s_nop 1
	v_subb_co_u32_e32 v5, vcc, v5, v3, vcc
	global_store_dwordx2 v[0:1], v[4:5], off
.LBB417_143:
	s_andn2_b64 vcc, exec, s[6:7]
	s_cbranch_vccnz .LBB417_145
; %bb.144:
	v_lshlrev_b32_e32 v3, 16, v2
	v_cvt_i32_f32_e32 v3, v3
	global_store_dword v[0:1], v3, off
.LBB417_145:
	s_mov_b64 s[6:7], 0
.LBB417_146:
	s_andn2_b64 vcc, exec, s[6:7]
	s_cbranch_vccnz .LBB417_148
; %bb.147:
	v_lshlrev_b32_e32 v3, 16, v2
	v_cvt_i32_f32_e32 v3, v3
	global_store_short v[0:1], v3, off
.LBB417_148:
	s_mov_b64 s[6:7], 0
.LBB417_149:
	s_andn2_b64 vcc, exec, s[6:7]
	s_cbranch_vccnz .LBB417_154
; %bb.150:
	s_cmp_gt_i32 s8, 0
	s_mov_b64 s[6:7], -1
	s_cbranch_scc0 .LBB417_152
; %bb.151:
	v_lshlrev_b32_e32 v3, 16, v2
	v_cvt_i32_f32_e32 v3, v3
	s_mov_b64 s[6:7], 0
	global_store_byte v[0:1], v3, off
.LBB417_152:
	s_andn2_b64 vcc, exec, s[6:7]
	s_cbranch_vccnz .LBB417_154
; %bb.153:
	v_lshlrev_b32_e32 v2, 16, v2
	v_trunc_f32_e32 v2, v2
	s_mov_b32 s6, 0x2f800000
	v_mul_f32_e64 v3, |v2|, s6
	v_floor_f32_e32 v3, v3
	s_mov_b32 s6, 0xcf800000
	v_fma_f32 v3, v3, s6, |v2|
	v_cvt_u32_f32_e32 v3, v3
	v_ashrrev_i32_e32 v2, 31, v2
	v_xor_b32_e32 v3, v3, v2
	v_sub_u32_e32 v2, v3, v2
	global_store_byte v[0:1], v2, off
.LBB417_154:
.LBB417_155:
	v_add_u32_e32 v8, 0x80, v8
	s_mov_b64 s[6:7], -1
	s_branch .LBB417_266
.LBB417_156:
	s_mov_b64 s[4:5], -1
                                        ; implicit-def: $vgpr1
.LBB417_157:
	s_mov_b64 s[6:7], 0
.LBB417_158:
	s_and_b64 vcc, exec, s[6:7]
	s_cbranch_vccz .LBB417_162
; %bb.159:
	s_cmp_eq_u32 s10, 29
	s_cbranch_scc0 .LBB417_161
; %bb.160:
	global_load_dwordx2 v[4:5], v[2:3], off
	s_movk_i32 s4, 0x7fff
	s_mov_b64 s[2:3], -1
	s_mov_b64 s[6:7], 0
	s_waitcnt vmcnt(0)
	v_ffbh_u32_e32 v1, v5
	v_min_u32_e32 v1, 32, v1
	v_lshlrev_b64 v[4:5], v1, v[4:5]
	v_min_u32_e32 v4, 1, v4
	v_or_b32_e32 v4, v5, v4
	v_cvt_f32_u32_e32 v4, v4
	v_sub_u32_e32 v1, 32, v1
	v_ldexp_f32 v1, v4, v1
	v_bfe_u32 v4, v1, 16, 1
	v_add3_u32 v1, v1, v4, s4
	v_lshrrev_b32_e32 v1, 16, v1
	s_mov_b64 s[4:5], 0
	s_branch .LBB417_163
.LBB417_161:
	s_mov_b64 s[4:5], -1
                                        ; implicit-def: $vgpr1
.LBB417_162:
	s_mov_b64 s[6:7], 0
.LBB417_163:
	s_and_b64 vcc, exec, s[6:7]
	s_cbranch_vccz .LBB417_181
; %bb.164:
	s_cmp_lt_i32 s10, 27
	s_cbranch_scc1 .LBB417_167
; %bb.165:
	s_cmp_gt_i32 s10, 27
	s_cbranch_scc0 .LBB417_168
; %bb.166:
	global_load_dword v1, v[2:3], off
	s_movk_i32 s2, 0x7fff
	s_waitcnt vmcnt(0)
	v_cvt_f32_u32_e32 v1, v1
	v_bfe_u32 v4, v1, 16, 1
	v_add3_u32 v1, v1, v4, s2
	v_lshrrev_b32_e32 v1, 16, v1
	s_mov_b64 s[2:3], 0
	s_branch .LBB417_169
.LBB417_167:
	s_mov_b64 s[2:3], -1
                                        ; implicit-def: $vgpr1
	s_branch .LBB417_172
.LBB417_168:
	s_mov_b64 s[2:3], -1
                                        ; implicit-def: $vgpr1
.LBB417_169:
	s_andn2_b64 vcc, exec, s[2:3]
	s_cbranch_vccnz .LBB417_171
; %bb.170:
	global_load_ushort v1, v[2:3], off
	s_movk_i32 s2, 0x7fff
	s_waitcnt vmcnt(0)
	v_cvt_f32_u32_e32 v1, v1
	v_bfe_u32 v4, v1, 16, 1
	v_add3_u32 v1, v1, v4, s2
	v_lshrrev_b32_e32 v1, 16, v1
.LBB417_171:
	s_mov_b64 s[2:3], 0
.LBB417_172:
	s_andn2_b64 vcc, exec, s[2:3]
	s_cbranch_vccnz .LBB417_180
; %bb.173:
	global_load_ubyte v1, v[2:3], off
	s_movk_i32 s2, 0x7f
	s_waitcnt vmcnt(0)
	v_cmp_lt_i16_e32 vcc, s2, v1
	s_mov_b64 s[2:3], 0
	s_and_saveexec_b64 s[6:7], vcc
	s_xor_b64 s[6:7], exec, s[6:7]
	s_cbranch_execz .LBB417_193
; %bb.174:
	s_movk_i32 s2, 0x80
	v_cmp_eq_u16_e32 vcc, s2, v1
	s_mov_b64 s[2:3], -1
	s_and_saveexec_b64 s[8:9], vcc
; %bb.175:
	s_xor_b64 s[2:3], exec, -1
; %bb.176:
	s_or_b64 exec, exec, s[8:9]
	s_and_b64 s[2:3], s[2:3], exec
	s_or_saveexec_b64 s[6:7], s[6:7]
	v_mov_b32_e32 v4, 0x7f800001
	s_xor_b64 exec, exec, s[6:7]
	s_cbranch_execnz .LBB417_194
.LBB417_177:
	s_or_b64 exec, exec, s[6:7]
	s_and_saveexec_b64 s[6:7], s[2:3]
	s_cbranch_execz .LBB417_179
.LBB417_178:
	v_lshlrev_b32_e32 v4, 24, v1
	v_and_b32_e32 v1, 0xffff, v1
	v_and_b32_e32 v5, 7, v1
	v_ffbh_u32_e32 v7, v5
	v_min_u32_e32 v7, 32, v7
	v_subrev_u32_e32 v9, 28, v7
	v_bfe_u32 v6, v1, 3, 4
	v_lshlrev_b32_e32 v1, v9, v1
	v_sub_u32_e32 v7, 29, v7
	v_and_b32_e32 v1, 7, v1
	v_cmp_eq_u32_e32 vcc, 0, v6
	v_and_b32_e32 v4, 0x80000000, v4
	s_nop 0
	v_cndmask_b32_e32 v6, v6, v7, vcc
	v_cndmask_b32_e32 v1, v5, v1, vcc
	v_mov_b32_e32 v5, 0x3b800000
	v_lshlrev_b32_e32 v1, 20, v1
	v_lshl_add_u32 v5, v6, 23, v5
	v_or3_b32 v4, v4, v5, v1
.LBB417_179:
	s_or_b64 exec, exec, s[6:7]
	v_bfe_u32 v1, v4, 16, 1
	s_movk_i32 s2, 0x7fff
	v_add3_u32 v1, v4, v1, s2
	v_cmp_o_f32_e32 vcc, v4, v4
	v_mov_b32_e32 v4, 0x7fc0
	s_nop 0
	v_cndmask_b32_sdwa v1, v4, v1, vcc dst_sel:DWORD dst_unused:UNUSED_PAD src0_sel:DWORD src1_sel:WORD_1
.LBB417_180:
	s_mov_b64 s[2:3], -1
.LBB417_181:
	s_branch .LBB417_216
.LBB417_182:
	s_cmp_gt_i32 s10, 22
	s_cbranch_scc0 .LBB417_192
; %bb.183:
	s_cmp_lt_i32 s10, 24
	s_cbranch_scc1 .LBB417_195
; %bb.184:
	s_cmp_gt_i32 s10, 24
	s_cbranch_scc0 .LBB417_196
; %bb.185:
	global_load_ubyte v1, v[2:3], off
	s_movk_i32 s2, 0x7f
	s_waitcnt vmcnt(0)
	v_cmp_lt_i16_e32 vcc, s2, v1
	s_mov_b64 s[2:3], 0
	s_and_saveexec_b64 s[6:7], vcc
	s_xor_b64 s[6:7], exec, s[6:7]
	s_cbranch_execz .LBB417_208
; %bb.186:
	s_movk_i32 s2, 0x80
	v_cmp_eq_u16_e32 vcc, s2, v1
	s_mov_b64 s[2:3], -1
	s_and_saveexec_b64 s[8:9], vcc
; %bb.187:
	s_xor_b64 s[2:3], exec, -1
; %bb.188:
	s_or_b64 exec, exec, s[8:9]
	s_and_b64 s[2:3], s[2:3], exec
	s_or_saveexec_b64 s[6:7], s[6:7]
	v_mov_b32_e32 v4, 0x7f800001
	s_xor_b64 exec, exec, s[6:7]
	s_cbranch_execnz .LBB417_209
.LBB417_189:
	s_or_b64 exec, exec, s[6:7]
	s_and_saveexec_b64 s[6:7], s[2:3]
	s_cbranch_execz .LBB417_191
.LBB417_190:
	v_lshlrev_b32_e32 v4, 24, v1
	v_and_b32_e32 v1, 0xffff, v1
	v_and_b32_e32 v5, 3, v1
	v_ffbh_u32_e32 v7, v5
	v_min_u32_e32 v7, 32, v7
	v_subrev_u32_e32 v9, 29, v7
	v_bfe_u32 v6, v1, 2, 5
	v_lshlrev_b32_e32 v1, v9, v1
	v_sub_u32_e32 v7, 30, v7
	v_and_b32_e32 v1, 3, v1
	v_cmp_eq_u32_e32 vcc, 0, v6
	v_and_b32_e32 v4, 0x80000000, v4
	s_nop 0
	v_cndmask_b32_e32 v6, v6, v7, vcc
	v_cndmask_b32_e32 v1, v5, v1, vcc
	v_mov_b32_e32 v5, 0x37800000
	v_lshlrev_b32_e32 v1, 21, v1
	v_lshl_add_u32 v5, v6, 23, v5
	v_or3_b32 v4, v4, v5, v1
.LBB417_191:
	s_or_b64 exec, exec, s[6:7]
	v_bfe_u32 v1, v4, 16, 1
	s_movk_i32 s2, 0x7fff
	v_add3_u32 v1, v4, v1, s2
	v_cmp_o_f32_e32 vcc, v4, v4
	v_mov_b32_e32 v4, 0x7fc0
	s_mov_b64 s[2:3], 0
	v_cndmask_b32_sdwa v1, v4, v1, vcc dst_sel:DWORD dst_unused:UNUSED_PAD src0_sel:DWORD src1_sel:WORD_1
	s_branch .LBB417_197
.LBB417_192:
	s_mov_b64 s[6:7], -1
                                        ; implicit-def: $vgpr1
	s_branch .LBB417_203
.LBB417_193:
	s_or_saveexec_b64 s[6:7], s[6:7]
	v_mov_b32_e32 v4, 0x7f800001
	s_xor_b64 exec, exec, s[6:7]
	s_cbranch_execz .LBB417_177
.LBB417_194:
	v_cmp_ne_u16_e32 vcc, 0, v1
	s_andn2_b64 s[2:3], s[2:3], exec
	s_and_b64 s[8:9], vcc, exec
	v_mov_b32_e32 v4, 0
	s_or_b64 s[2:3], s[2:3], s[8:9]
	s_or_b64 exec, exec, s[6:7]
	s_and_saveexec_b64 s[6:7], s[2:3]
	s_cbranch_execnz .LBB417_178
	s_branch .LBB417_179
.LBB417_195:
	s_mov_b64 s[2:3], -1
                                        ; implicit-def: $vgpr1
	s_branch .LBB417_200
.LBB417_196:
	s_mov_b64 s[2:3], -1
                                        ; implicit-def: $vgpr1
.LBB417_197:
	s_and_b64 vcc, exec, s[2:3]
	s_cbranch_vccz .LBB417_199
; %bb.198:
	global_load_ubyte v1, v[2:3], off
	s_mov_b32 s2, 0x7f800000
	s_brev_b32 s3, 1
	s_movk_i32 s6, 0x7fff
	s_waitcnt vmcnt(0)
	v_lshlrev_b32_e32 v1, 24, v1
	v_and_b32_e32 v4, 0x7f000000, v1
	v_ffbh_u32_e32 v5, v4
	v_min_u32_e32 v5, 32, v5
	v_sub_u32_e64 v5, v5, 4 clamp
	v_lshlrev_b32_e32 v7, v5, v4
	v_lshlrev_b32_e32 v5, 23, v5
	v_lshrrev_b32_e32 v7, 4, v7
	v_add_u32_e32 v6, 0x1000000, v4
	v_sub_u32_e32 v5, v7, v5
	v_ashrrev_i32_e32 v6, 8, v6
	v_add_u32_e32 v5, 0x3c000000, v5
	v_and_or_b32 v5, v6, s2, v5
	v_cmp_ne_u32_e32 vcc, 0, v4
	s_nop 1
	v_cndmask_b32_e32 v4, 0, v5, vcc
	v_and_or_b32 v1, v1, s3, v4
	v_bfe_u32 v4, v4, 16, 1
	v_add3_u32 v4, v1, v4, s6
	v_cmp_o_f32_e32 vcc, v1, v1
	v_mov_b32_e32 v1, 0x7fc0
	s_nop 0
	v_cndmask_b32_sdwa v1, v1, v4, vcc dst_sel:DWORD dst_unused:UNUSED_PAD src0_sel:DWORD src1_sel:WORD_1
.LBB417_199:
	s_mov_b64 s[2:3], 0
.LBB417_200:
	s_andn2_b64 vcc, exec, s[2:3]
	s_cbranch_vccnz .LBB417_202
; %bb.201:
	global_load_ubyte v1, v[2:3], off
	s_movk_i32 s2, 0x7f00
	s_brev_b32 s3, 16
	s_brev_b32 s6, 1
	s_movk_i32 s7, 0x7fff
	s_waitcnt vmcnt(0)
	v_lshlrev_b16_e32 v4, 8, v1
	v_lshlrev_b32_e32 v1, 25, v1
	v_lshrrev_b32_e32 v5, 4, v1
	v_and_or_b32 v6, v4, s2, 0.5
	v_or_b32_e32 v5, 0x70000000, v5
	v_add_f32_e32 v6, -0.5, v6
	v_mul_f32_e32 v5, 0x7800000, v5
	v_cmp_gt_u32_e32 vcc, s3, v1
	v_bfe_i32 v4, v4, 0, 16
	s_nop 0
	v_cndmask_b32_e32 v1, v5, v6, vcc
	v_and_or_b32 v4, v4, s6, v1
	v_bfe_u32 v1, v1, 16, 1
	v_add3_u32 v1, v4, v1, s7
	v_cmp_o_f32_e32 vcc, v4, v4
	v_mov_b32_e32 v4, 0x7fc0
	s_nop 0
	v_cndmask_b32_sdwa v1, v4, v1, vcc dst_sel:DWORD dst_unused:UNUSED_PAD src0_sel:DWORD src1_sel:WORD_1
.LBB417_202:
	s_mov_b64 s[6:7], 0
	s_mov_b64 s[2:3], -1
.LBB417_203:
	s_andn2_b64 vcc, exec, s[6:7]
	s_cbranch_vccnz .LBB417_216
; %bb.204:
	s_cmp_gt_i32 s10, 14
	s_cbranch_scc0 .LBB417_207
; %bb.205:
	s_cmp_eq_u32 s10, 15
	s_cbranch_scc0 .LBB417_210
; %bb.206:
	global_load_ushort v1, v[2:3], off
	s_mov_b64 s[2:3], -1
	s_mov_b64 s[4:5], 0
	s_branch .LBB417_211
.LBB417_207:
	s_mov_b64 s[6:7], -1
                                        ; implicit-def: $vgpr1
	s_branch .LBB417_212
.LBB417_208:
	s_or_saveexec_b64 s[6:7], s[6:7]
	v_mov_b32_e32 v4, 0x7f800001
	s_xor_b64 exec, exec, s[6:7]
	s_cbranch_execz .LBB417_189
.LBB417_209:
	v_cmp_ne_u16_e32 vcc, 0, v1
	s_andn2_b64 s[2:3], s[2:3], exec
	s_and_b64 s[8:9], vcc, exec
	v_mov_b32_e32 v4, 0
	s_or_b64 s[2:3], s[2:3], s[8:9]
	s_or_b64 exec, exec, s[6:7]
	s_and_saveexec_b64 s[6:7], s[2:3]
	s_cbranch_execnz .LBB417_190
	s_branch .LBB417_191
.LBB417_210:
	s_mov_b64 s[4:5], -1
                                        ; implicit-def: $vgpr1
.LBB417_211:
	s_mov_b64 s[6:7], 0
.LBB417_212:
	s_and_b64 vcc, exec, s[6:7]
	s_cbranch_vccz .LBB417_216
; %bb.213:
	s_cmp_eq_u32 s10, 11
	s_cbranch_scc0 .LBB417_215
; %bb.214:
	global_load_ubyte v1, v[2:3], off
	s_mov_b64 s[2:3], -1
	s_mov_b64 s[4:5], 0
	s_waitcnt vmcnt(0)
	v_cmp_ne_u16_e32 vcc, 0, v1
	s_nop 1
	v_cndmask_b32_e64 v1, 0, 1.0, vcc
	v_lshrrev_b32_e32 v1, 16, v1
	s_branch .LBB417_216
.LBB417_215:
	s_mov_b64 s[4:5], -1
                                        ; implicit-def: $vgpr1
.LBB417_216:
	s_branch .LBB417_25
.LBB417_217:
	s_cmp_lt_i32 s10, 5
	s_cbranch_scc1 .LBB417_222
; %bb.218:
	s_cmp_lt_i32 s10, 8
	s_cbranch_scc1 .LBB417_223
; %bb.219:
	;; [unrolled: 3-line block ×3, first 2 shown]
	s_cmp_gt_i32 s10, 9
	s_cbranch_scc0 .LBB417_225
; %bb.221:
	global_load_dwordx2 v[4:5], v[2:3], off
	s_movk_i32 s2, 0x7fff
	s_waitcnt vmcnt(1)
	v_mov_b32_e32 v1, 0x7fc0
	s_waitcnt vmcnt(0)
	v_cvt_f32_f64_e32 v4, v[4:5]
	v_bfe_u32 v5, v4, 16, 1
	v_cmp_o_f32_e32 vcc, v4, v4
	v_add3_u32 v4, v4, v5, s2
	s_mov_b64 s[2:3], 0
	v_cndmask_b32_sdwa v1, v1, v4, vcc dst_sel:DWORD dst_unused:UNUSED_PAD src0_sel:DWORD src1_sel:WORD_1
	s_branch .LBB417_226
.LBB417_222:
                                        ; implicit-def: $vgpr1
	s_branch .LBB417_244
.LBB417_223:
	s_mov_b64 s[2:3], -1
                                        ; implicit-def: $vgpr1
	s_branch .LBB417_232
.LBB417_224:
	s_mov_b64 s[2:3], -1
                                        ; implicit-def: $vgpr1
	s_branch .LBB417_229
.LBB417_225:
	s_mov_b64 s[2:3], -1
                                        ; implicit-def: $vgpr1
.LBB417_226:
	s_andn2_b64 vcc, exec, s[2:3]
	s_cbranch_vccnz .LBB417_228
; %bb.227:
	global_load_dword v1, v[2:3], off
	s_movk_i32 s2, 0x7fff
	v_mov_b32_e32 v4, 0x7fc0
	s_waitcnt vmcnt(0)
	v_bfe_u32 v5, v1, 16, 1
	v_cmp_o_f32_e32 vcc, v1, v1
	v_add3_u32 v1, v1, v5, s2
	s_nop 0
	v_cndmask_b32_sdwa v1, v4, v1, vcc dst_sel:DWORD dst_unused:UNUSED_PAD src0_sel:DWORD src1_sel:WORD_1
.LBB417_228:
	s_mov_b64 s[2:3], 0
.LBB417_229:
	s_andn2_b64 vcc, exec, s[2:3]
	s_cbranch_vccnz .LBB417_231
; %bb.230:
	global_load_dword v1, v[2:3], off
	s_movk_i32 s2, 0x7fff
	v_mov_b32_e32 v5, 0x7fc0
	s_waitcnt vmcnt(0)
	v_cvt_f32_f16_e32 v4, v1
	v_cmp_o_f16_e32 vcc, v1, v1
	v_bfe_u32 v1, v4, 16, 1
	v_add3_u32 v1, v4, v1, s2
	v_cndmask_b32_sdwa v1, v5, v1, vcc dst_sel:DWORD dst_unused:UNUSED_PAD src0_sel:DWORD src1_sel:WORD_1
.LBB417_231:
	s_mov_b64 s[2:3], 0
.LBB417_232:
	s_andn2_b64 vcc, exec, s[2:3]
	s_cbranch_vccnz .LBB417_243
; %bb.233:
	s_cmp_lt_i32 s10, 6
	s_cbranch_scc1 .LBB417_236
; %bb.234:
	s_cmp_gt_i32 s10, 6
	s_cbranch_scc0 .LBB417_237
; %bb.235:
	global_load_dwordx2 v[4:5], v[2:3], off
	s_movk_i32 s2, 0x7fff
	s_waitcnt vmcnt(1)
	v_mov_b32_e32 v1, 0x7fc0
	s_waitcnt vmcnt(0)
	v_cvt_f32_f64_e32 v4, v[4:5]
	v_bfe_u32 v5, v4, 16, 1
	v_cmp_o_f32_e32 vcc, v4, v4
	v_add3_u32 v4, v4, v5, s2
	s_mov_b64 s[2:3], 0
	v_cndmask_b32_sdwa v1, v1, v4, vcc dst_sel:DWORD dst_unused:UNUSED_PAD src0_sel:DWORD src1_sel:WORD_1
	s_branch .LBB417_238
.LBB417_236:
	s_mov_b64 s[2:3], -1
                                        ; implicit-def: $vgpr1
	s_branch .LBB417_241
.LBB417_237:
	s_mov_b64 s[2:3], -1
                                        ; implicit-def: $vgpr1
.LBB417_238:
	s_andn2_b64 vcc, exec, s[2:3]
	s_cbranch_vccnz .LBB417_240
; %bb.239:
	global_load_dword v1, v[2:3], off
	s_movk_i32 s2, 0x7fff
	v_mov_b32_e32 v4, 0x7fc0
	s_waitcnt vmcnt(0)
	v_bfe_u32 v5, v1, 16, 1
	v_cmp_o_f32_e32 vcc, v1, v1
	v_add3_u32 v1, v1, v5, s2
	s_nop 0
	v_cndmask_b32_sdwa v1, v4, v1, vcc dst_sel:DWORD dst_unused:UNUSED_PAD src0_sel:DWORD src1_sel:WORD_1
.LBB417_240:
	s_mov_b64 s[2:3], 0
.LBB417_241:
	s_andn2_b64 vcc, exec, s[2:3]
	s_cbranch_vccnz .LBB417_243
; %bb.242:
	global_load_ushort v1, v[2:3], off
	s_movk_i32 s2, 0x7fff
	v_mov_b32_e32 v5, 0x7fc0
	s_waitcnt vmcnt(0)
	v_cvt_f32_f16_e32 v4, v1
	v_cmp_o_f16_e32 vcc, v1, v1
	v_bfe_u32 v1, v4, 16, 1
	v_add3_u32 v1, v4, v1, s2
	v_cndmask_b32_sdwa v1, v5, v1, vcc dst_sel:DWORD dst_unused:UNUSED_PAD src0_sel:DWORD src1_sel:WORD_1
.LBB417_243:
	s_cbranch_execnz .LBB417_263
.LBB417_244:
	s_cmp_lt_i32 s10, 2
	s_cbranch_scc1 .LBB417_248
; %bb.245:
	s_cmp_lt_i32 s10, 3
	s_cbranch_scc1 .LBB417_249
; %bb.246:
	s_cmp_gt_i32 s10, 3
	s_cbranch_scc0 .LBB417_250
; %bb.247:
	global_load_dwordx2 v[4:5], v[2:3], off
	s_movk_i32 s2, 0x7fff
	s_waitcnt vmcnt(0)
	v_xor_b32_e32 v6, v4, v5
	v_ffbh_i32_e32 v1, v5
	v_ashrrev_i32_e32 v6, 31, v6
	v_add_u32_e32 v1, -1, v1
	v_add_u32_e32 v6, 32, v6
	v_min_u32_e32 v1, v1, v6
	v_lshlrev_b64 v[4:5], v1, v[4:5]
	v_min_u32_e32 v4, 1, v4
	v_or_b32_e32 v4, v5, v4
	v_cvt_f32_i32_e32 v4, v4
	v_sub_u32_e32 v1, 32, v1
	v_ldexp_f32 v1, v4, v1
	v_bfe_u32 v4, v1, 16, 1
	v_add3_u32 v1, v1, v4, s2
	v_lshrrev_b32_e32 v1, 16, v1
	s_mov_b64 s[2:3], 0
	s_branch .LBB417_251
.LBB417_248:
	s_mov_b64 s[2:3], -1
                                        ; implicit-def: $vgpr1
	s_branch .LBB417_257
.LBB417_249:
	s_mov_b64 s[2:3], -1
                                        ; implicit-def: $vgpr1
	s_branch .LBB417_254
.LBB417_250:
	s_mov_b64 s[2:3], -1
                                        ; implicit-def: $vgpr1
.LBB417_251:
	s_andn2_b64 vcc, exec, s[2:3]
	s_cbranch_vccnz .LBB417_253
; %bb.252:
	global_load_dword v1, v[2:3], off
	s_movk_i32 s2, 0x7fff
	s_waitcnt vmcnt(0)
	v_cvt_f32_i32_e32 v1, v1
	v_bfe_u32 v4, v1, 16, 1
	v_add3_u32 v1, v1, v4, s2
	v_lshrrev_b32_e32 v1, 16, v1
.LBB417_253:
	s_mov_b64 s[2:3], 0
.LBB417_254:
	s_andn2_b64 vcc, exec, s[2:3]
	s_cbranch_vccnz .LBB417_256
; %bb.255:
	global_load_sshort v1, v[2:3], off
	s_movk_i32 s2, 0x7fff
	s_waitcnt vmcnt(0)
	v_cvt_f32_i32_e32 v1, v1
	v_bfe_u32 v4, v1, 16, 1
	v_add3_u32 v1, v1, v4, s2
	v_lshrrev_b32_e32 v1, 16, v1
.LBB417_256:
	s_mov_b64 s[2:3], 0
.LBB417_257:
	s_andn2_b64 vcc, exec, s[2:3]
	s_cbranch_vccnz .LBB417_263
; %bb.258:
	s_cmp_gt_i32 s10, 0
	s_cbranch_scc0 .LBB417_260
; %bb.259:
	global_load_sbyte v1, v[2:3], off
	s_movk_i32 s2, 0x7fff
	s_waitcnt vmcnt(0)
	v_cvt_f32_i32_e32 v1, v1
	v_bfe_u32 v4, v1, 16, 1
	v_add3_u32 v1, v1, v4, s2
	v_lshrrev_b32_e32 v1, 16, v1
	s_mov_b64 s[2:3], 0
	s_branch .LBB417_261
.LBB417_260:
	s_mov_b64 s[2:3], -1
                                        ; implicit-def: $vgpr1
.LBB417_261:
	s_andn2_b64 vcc, exec, s[2:3]
	s_cbranch_vccnz .LBB417_263
; %bb.262:
	global_load_ubyte v1, v[2:3], off
	s_movk_i32 s2, 0x7fff
	s_waitcnt vmcnt(0)
	v_cvt_f32_ubyte0_e32 v1, v1
	v_bfe_u32 v2, v1, 16, 1
	v_add3_u32 v1, v1, v2, s2
	v_lshrrev_b32_e32 v1, 16, v1
.LBB417_263:
	s_branch .LBB417_26
.LBB417_264:
	s_mov_b64 s[2:3], 0
.LBB417_265:
	s_mov_b64 s[6:7], 0
                                        ; implicit-def: $vgpr8
.LBB417_266:
	s_and_b64 s[54:55], s[2:3], exec
	s_and_b64 s[56:57], s[4:5], exec
	s_orn2_b64 s[4:5], s[6:7], exec
.LBB417_267:
	s_or_b64 exec, exec, s[58:59]
	s_mov_b64 s[8:9], 0
	s_mov_b64 s[2:3], 0
                                        ; implicit-def: $vgpr2_vgpr3
                                        ; implicit-def: $vgpr0
                                        ; implicit-def: $vgpr1
	s_and_saveexec_b64 s[58:59], s[4:5]
	s_cbranch_execz .LBB417_275
; %bb.268:
	v_cmp_gt_i32_e32 vcc, s70, v8
	s_mov_b64 s[2:3], -1
	s_mov_b64 s[60:61], s[56:57]
	s_mov_b64 s[62:63], s[54:55]
	s_and_saveexec_b64 s[64:65], vcc
	s_cbranch_execz .LBB417_544
; %bb.269:
	s_andn2_b64 vcc, exec, s[42:43]
	s_cbranch_vccnz .LBB417_278
; %bb.270:
	s_andn2_b64 vcc, exec, s[52:53]
	s_cbranch_vccnz .LBB417_279
; %bb.271:
	s_add_i32 s63, s77, 1
	s_cmp_eq_u32 s72, 2
	s_cbranch_scc1 .LBB417_280
; %bb.272:
	s_and_b32 s62, s63, 28
	s_mov_b32 s66, 0
	v_mov_b32_e32 v0, 0
	v_mov_b32_e32 v2, 0
	s_mov_b64 s[2:3], s[34:35]
	s_mov_b64 s[60:61], s[50:51]
	v_mov_b32_e32 v4, v8
.LBB417_273:                            ; =>This Inner Loop Header: Depth=1
	s_load_dwordx8 s[12:19], s[2:3], 0x4
	s_load_dwordx4 s[36:39], s[2:3], 0x24
	s_load_dwordx8 s[4:11], s[60:61], 0x0
	s_add_u32 s2, s2, 48
	s_addc_u32 s3, s3, 0
	s_waitcnt vmcnt(0) lgkmcnt(0)
	v_mul_hi_u32 v1, s13, v4
	v_add_u32_e32 v1, v4, v1
	v_lshrrev_b32_e32 v1, s14, v1
	v_mul_lo_u32 v3, v1, s12
	v_mul_hi_u32 v5, s16, v1
	v_sub_u32_e32 v3, v4, v3
	v_add_u32_e32 v4, v1, v5
	v_lshrrev_b32_e32 v4, s17, v4
	v_mul_lo_u32 v6, v4, s15
	v_mul_hi_u32 v7, s19, v4
	v_sub_u32_e32 v1, v1, v6
	v_add_u32_e32 v6, v4, v7
	v_mul_lo_u32 v5, v3, s5
	v_mul_lo_u32 v3, v3, s4
	v_mul_lo_u32 v7, v1, s7
	v_mul_lo_u32 v1, v1, s6
	v_lshrrev_b32_e32 v6, s36, v6
	v_add3_u32 v0, v3, v0, v1
	v_mul_hi_u32 v3, s38, v6
	v_add3_u32 v1, v5, v2, v7
	v_mul_lo_u32 v2, v6, s18
	v_add_u32_e32 v3, v6, v3
	v_sub_u32_e32 v2, v4, v2
	v_lshrrev_b32_e32 v4, s39, v3
	s_add_i32 s66, s66, 4
	v_mul_lo_u32 v3, v4, s37
	s_add_u32 s60, s60, 32
	v_sub_u32_e32 v3, v6, v3
	s_addc_u32 s61, s61, 0
	v_mul_lo_u32 v5, v2, s8
	v_mul_lo_u32 v2, v2, s9
	;; [unrolled: 1-line block ×4, first 2 shown]
	s_cmp_eq_u32 s62, s66
	v_add3_u32 v2, v2, v1, v3
	v_add3_u32 v0, v5, v0, v6
	s_cbranch_scc0 .LBB417_273
; %bb.274:
	v_mov_b32_e32 v1, v2
	s_branch .LBB417_281
.LBB417_275:
	s_or_b64 exec, exec, s[58:59]
	s_mov_b64 s[4:5], 0
	s_and_saveexec_b64 s[6:7], s[56:57]
	s_cbranch_execnz .LBB417_922
.LBB417_276:
	s_or_b64 exec, exec, s[6:7]
	s_and_saveexec_b64 s[6:7], s[62:63]
	s_xor_b64 s[6:7], exec, s[6:7]
	s_cbranch_execz .LBB417_923
.LBB417_277:
	global_load_ubyte v1, v[2:3], off
	s_or_b64 s[2:3], s[2:3], exec
	s_waitcnt vmcnt(0)
	v_cmp_ne_u16_e32 vcc, 0, v1
	s_nop 1
	v_cndmask_b32_e64 v1, 0, 1.0, vcc
	v_lshrrev_b32_e32 v1, 16, v1
	s_or_b64 exec, exec, s[6:7]
	s_and_saveexec_b64 s[6:7], s[8:9]
	s_cbranch_execz .LBB417_969
	s_branch .LBB417_924
.LBB417_278:
                                        ; implicit-def: $vgpr2
                                        ; implicit-def: $vgpr0
	s_andn2_b64 vcc, exec, s[2:3]
	s_cbranch_vccz .LBB417_285
	s_branch .LBB417_287
.LBB417_279:
	v_mov_b32_e32 v2, 0
	v_mov_b32_e32 v0, 0
	s_branch .LBB417_284
.LBB417_280:
	v_mov_b32_e32 v0, 0
	s_mov_b32 s62, 0
	s_waitcnt vmcnt(0)
	v_mov_b32_e32 v1, v0
                                        ; implicit-def: $vgpr2
	v_mov_b32_e32 v4, v8
.LBB417_281:
	s_and_b32 s6, s63, 3
	s_cmp_eq_u32 s6, 0
	s_cbranch_scc1 .LBB417_284
; %bb.282:
	s_lshl_b32 s2, s62, 3
	s_add_u32 s2, s34, s2
	s_addc_u32 s3, s35, 0
	s_add_u32 s2, s2, 0xc4
	s_addc_u32 s3, s3, 0
	s_mul_i32 s4, s62, 12
	s_add_u32 s4, s34, s4
	s_addc_u32 s5, s35, 0
.LBB417_283:                            ; =>This Inner Loop Header: Depth=1
	s_load_dwordx2 s[8:9], s[4:5], 0x4
	s_load_dword s7, s[4:5], 0xc
	s_load_dwordx2 s[10:11], s[2:3], 0x0
	v_mov_b32_e32 v2, v1
	s_add_u32 s4, s4, 12
	s_waitcnt lgkmcnt(0)
	v_mul_hi_u32 v1, s9, v4
	v_add_u32_e32 v1, v4, v1
	v_lshrrev_b32_e32 v1, s7, v1
	s_addc_u32 s5, s5, 0
	v_mul_lo_u32 v3, v1, s8
	s_add_u32 s2, s2, 8
	v_sub_u32_e32 v5, v4, v3
	s_addc_u32 s3, s3, 0
	s_add_i32 s6, s6, -1
	v_mov_b32_e32 v4, v1
	v_mad_u64_u32 v[2:3], s[8:9], v5, s11, v[2:3]
	v_mad_u64_u32 v[0:1], s[8:9], v5, s10, v[0:1]
	s_cmp_lg_u32 s6, 0
	v_mov_b32_e32 v1, v2
	s_cbranch_scc1 .LBB417_283
.LBB417_284:
	s_cbranch_execnz .LBB417_287
.LBB417_285:
	v_mul_hi_u32 v0, s25, v8
	v_add_u32_e32 v0, v8, v0
	s_waitcnt vmcnt(0)
	v_lshrrev_b32_e32 v1, s26, v0
	v_mul_lo_u32 v0, v1, s24
	v_sub_u32_e32 v0, v8, v0
	v_mul_lo_u32 v2, v0, s29
	s_andn2_b64 vcc, exec, s[48:49]
	v_mul_lo_u32 v0, v0, s28
	s_cbranch_vccnz .LBB417_287
; %bb.286:
	v_mul_hi_u32 v3, s46, v1
	v_add_u32_e32 v3, v1, v3
	v_lshrrev_b32_e32 v3, s47, v3
	v_mul_lo_u32 v3, v3, s27
	v_sub_u32_e32 v3, v1, v3
	v_mad_u64_u32 v[0:1], s[2:3], v3, s30, v[0:1]
	v_mad_u64_u32 v[2:3], s[2:3], v3, s31, v[2:3]
.LBB417_287:
	v_mov_b32_e32 v3, 0
	s_and_b32 s10, 0xffff, s76
	s_cmp_lt_i32 s10, 11
	v_lshl_add_u64 v[2:3], s[22:23], 0, v[2:3]
	s_cbranch_scc1 .LBB417_294
; %bb.288:
	s_cmp_gt_i32 s10, 25
	s_cbranch_scc0 .LBB417_303
; %bb.289:
	s_cmp_gt_i32 s10, 28
	s_cbranch_scc0 .LBB417_305
; %bb.290:
	s_cmp_gt_i32 s10, 43
	s_cbranch_scc0 .LBB417_307
; %bb.291:
	s_cmp_gt_i32 s10, 45
	s_cbranch_scc0 .LBB417_311
; %bb.292:
	s_cmp_eq_u32 s10, 46
	s_mov_b64 s[6:7], 0
	s_cbranch_scc0 .LBB417_315
; %bb.293:
	global_load_dword v1, v[2:3], off
	s_mov_b64 s[2:3], -1
	s_mov_b64 s[4:5], 0
	s_branch .LBB417_316
.LBB417_294:
	s_mov_b64 s[2:3], 0
                                        ; implicit-def: $vgpr1
	s_mov_b64 s[4:5], s[56:57]
	s_cbranch_execnz .LBB417_493
.LBB417_295:
	s_andn2_b64 vcc, exec, s[2:3]
	s_cbranch_vccnz .LBB417_541
.LBB417_296:
	s_waitcnt vmcnt(0)
	v_lshlrev_b32_e32 v2, 16, v1
	v_cmp_u_f32_e32 vcc, v2, v2
	v_cmp_lt_f32_e64 s[2:3], s75, v2
	v_mov_b32_e32 v2, s74
	s_or_b64 vcc, vcc, s[2:3]
	v_cndmask_b32_e32 v2, v2, v1, vcc
	v_mov_b32_e32 v1, 0
	s_and_b32 s12, s73, 0xff
	s_cmp_lt_i32 s12, 11
	v_lshl_add_u64 v[0:1], s[20:21], 0, v[0:1]
	s_cbranch_scc1 .LBB417_304
; %bb.297:
	s_and_b32 s13, 0xffff, s12
	s_cmp_gt_i32 s13, 25
	s_cbranch_scc0 .LBB417_306
; %bb.298:
	s_cmp_gt_i32 s13, 28
	s_cbranch_scc0 .LBB417_308
; %bb.299:
	;; [unrolled: 3-line block ×4, first 2 shown]
	s_mov_b64 s[8:9], 0
	s_mov_b64 s[2:3], -1
	s_cmp_eq_u32 s13, 46
	s_mov_b64 s[6:7], 0
	s_cbranch_scc0 .LBB417_320
; %bb.302:
	v_and_b32_e32 v3, 0xffff, v2
	global_store_dword v[0:1], v3, off
	s_mov_b64 s[6:7], -1
	s_mov_b64 s[2:3], 0
	s_branch .LBB417_320
.LBB417_303:
	s_mov_b64 s[6:7], -1
	s_mov_b64 s[2:3], 0
	s_mov_b64 s[4:5], s[56:57]
                                        ; implicit-def: $vgpr1
	s_branch .LBB417_457
.LBB417_304:
	s_mov_b64 s[8:9], -1
	s_mov_b64 s[6:7], 0
	s_mov_b64 s[2:3], s[54:55]
	s_branch .LBB417_389
.LBB417_305:
	s_mov_b64 s[6:7], -1
	s_mov_b64 s[2:3], 0
	s_mov_b64 s[4:5], s[56:57]
                                        ; implicit-def: $vgpr1
	s_branch .LBB417_438
.LBB417_306:
	s_mov_b64 s[8:9], -1
	s_mov_b64 s[6:7], 0
	s_mov_b64 s[2:3], s[54:55]
	s_branch .LBB417_347
.LBB417_307:
	s_mov_b64 s[6:7], -1
	s_mov_b64 s[2:3], 0
	s_mov_b64 s[4:5], s[56:57]
                                        ; implicit-def: $vgpr1
	s_branch .LBB417_433
.LBB417_308:
	s_mov_b64 s[8:9], -1
	s_mov_b64 s[6:7], 0
	s_mov_b64 s[2:3], s[54:55]
	s_branch .LBB417_330
.LBB417_309:
	s_andn2_saveexec_b64 s[10:11], s[10:11]
	s_cbranch_execz .LBB417_69
.LBB417_310:
	s_mov_b32 s14, 0x46000000
	v_add_f32_e64 v4, |v5|, s14
	v_and_b32_e32 v4, 0xff, v4
	v_cmp_ne_u32_e32 vcc, 0, v4
	s_andn2_b64 s[8:9], s[8:9], exec
	s_and_b64 s[14:15], vcc, exec
	s_or_b64 s[8:9], s[8:9], s[14:15]
	s_or_b64 exec, exec, s[10:11]
	v_mov_b32_e32 v6, 0
	s_and_saveexec_b64 s[10:11], s[8:9]
	s_cbranch_execnz .LBB417_70
	s_branch .LBB417_71
.LBB417_311:
	s_mov_b64 s[6:7], -1
	s_mov_b64 s[2:3], 0
	s_mov_b64 s[4:5], s[56:57]
                                        ; implicit-def: $vgpr1
	s_branch .LBB417_316
.LBB417_312:
	s_mov_b64 s[8:9], -1
	s_mov_b64 s[6:7], 0
	s_mov_b64 s[2:3], s[54:55]
	s_branch .LBB417_326
.LBB417_313:
	s_andn2_saveexec_b64 s[10:11], s[10:11]
	s_cbranch_execz .LBB417_82
.LBB417_314:
	s_mov_b32 s14, 0x42800000
	v_add_f32_e64 v4, |v5|, s14
	v_and_b32_e32 v4, 0xff, v4
	v_cmp_ne_u32_e32 vcc, 0, v4
	s_andn2_b64 s[8:9], s[8:9], exec
	s_and_b64 s[14:15], vcc, exec
	s_or_b64 s[8:9], s[8:9], s[14:15]
	s_or_b64 exec, exec, s[10:11]
	v_mov_b32_e32 v6, 0
	s_and_saveexec_b64 s[10:11], s[8:9]
	s_cbranch_execnz .LBB417_83
	s_branch .LBB417_84
.LBB417_315:
	s_mov_b64 s[4:5], -1
                                        ; implicit-def: $vgpr1
	s_mov_b64 s[2:3], 0
.LBB417_316:
	s_and_b64 vcc, exec, s[6:7]
	s_cbranch_vccz .LBB417_432
; %bb.317:
	s_cmp_eq_u32 s10, 44
	s_cbranch_scc0 .LBB417_431
; %bb.318:
	global_load_ubyte v1, v[2:3], off
	s_movk_i32 s4, 0xff
	v_mov_b32_e32 v4, 0x7f800001
	v_mov_b32_e32 v5, 0x400000
	;; [unrolled: 1-line block ×3, first 2 shown]
	s_mov_b64 s[2:3], -1
	s_waitcnt vmcnt(0)
	v_lshlrev_b32_e32 v7, 23, v1
	v_cmp_ne_u32_e32 vcc, s4, v1
	s_mov_b64 s[4:5], 0
	s_nop 0
	v_cndmask_b32_e32 v4, v4, v7, vcc
	v_cmp_ne_u32_e32 vcc, 0, v1
	s_nop 1
	v_cndmask_b32_e32 v1, v5, v4, vcc
	v_add_u32_e32 v4, 0x7fff, v1
	v_cmp_o_f32_e32 vcc, v1, v1
	s_nop 1
	v_cndmask_b32_sdwa v1, v6, v4, vcc dst_sel:DWORD dst_unused:UNUSED_PAD src0_sel:DWORD src1_sel:WORD_1
	s_branch .LBB417_432
.LBB417_319:
	s_mov_b64 s[8:9], -1
	s_mov_b64 s[6:7], 0
	s_mov_b64 s[2:3], s[54:55]
.LBB417_320:
	s_and_b64 vcc, exec, s[8:9]
	s_cbranch_vccz .LBB417_325
; %bb.321:
	s_cmp_eq_u32 s13, 44
	s_mov_b64 s[2:3], -1
	s_cbranch_scc0 .LBB417_325
; %bb.322:
	v_and_b32_e32 v4, 0xffff, v2
	v_bfe_u32 v3, v4, 7, 8
	s_movk_i32 s2, 0xff
	v_cmp_ne_u32_e32 vcc, s2, v3
	v_mov_b32_e32 v5, 0xff
	s_and_saveexec_b64 s[6:7], vcc
	s_cbranch_execz .LBB417_324
; %bb.323:
	v_lshlrev_b32_e32 v6, 16, v4
	s_mov_b32 s2, 0x3f0000
	v_lshrrev_b32_e32 v5, 7, v4
	v_and_b32_e32 v4, 64, v4
	v_and_or_b32 v3, v6, s2, v3
	v_cmp_ne_u32_e32 vcc, 0, v4
	v_cmp_ne_u32_e64 s[2:3], 0, v3
	s_and_b64 s[2:3], vcc, s[2:3]
	s_nop 0
	v_cndmask_b32_e64 v3, 0, 1, s[2:3]
	v_add_u32_e32 v5, v5, v3
.LBB417_324:
	s_or_b64 exec, exec, s[6:7]
	s_mov_b64 s[6:7], -1
	s_mov_b64 s[2:3], 0
	global_store_byte v[0:1], v5, off
.LBB417_325:
	s_mov_b64 s[8:9], 0
.LBB417_326:
	s_and_b64 vcc, exec, s[8:9]
	s_cbranch_vccz .LBB417_329
; %bb.327:
	s_cmp_eq_u32 s13, 29
	s_mov_b64 s[2:3], -1
	s_cbranch_scc0 .LBB417_329
; %bb.328:
	v_lshlrev_b32_e32 v3, 16, v2
	v_trunc_f32_e32 v3, v3
	v_mul_f32_e32 v4, 0x2f800000, v3
	v_floor_f32_e32 v4, v4
	v_fmamk_f32 v3, v4, 0xcf800000, v3
	v_cvt_u32_f32_e32 v5, v4
	v_cvt_u32_f32_e32 v4, v3
	s_mov_b64 s[6:7], -1
	s_mov_b64 s[2:3], 0
	s_mov_b64 s[8:9], 0
	global_store_dwordx2 v[0:1], v[4:5], off
	s_branch .LBB417_330
.LBB417_329:
	s_mov_b64 s[8:9], 0
.LBB417_330:
	s_and_b64 vcc, exec, s[8:9]
	s_cbranch_vccz .LBB417_346
; %bb.331:
	s_cmp_lt_i32 s13, 27
	s_mov_b64 s[6:7], -1
	s_cbranch_scc1 .LBB417_337
; %bb.332:
	s_cmp_gt_i32 s13, 27
	s_cbranch_scc0 .LBB417_334
; %bb.333:
	v_lshlrev_b32_e32 v3, 16, v2
	v_cvt_u32_f32_e32 v3, v3
	s_mov_b64 s[6:7], 0
	global_store_dword v[0:1], v3, off
.LBB417_334:
	s_andn2_b64 vcc, exec, s[6:7]
	s_cbranch_vccnz .LBB417_336
; %bb.335:
	v_lshlrev_b32_e32 v3, 16, v2
	v_cvt_u32_f32_e32 v3, v3
	global_store_short v[0:1], v3, off
.LBB417_336:
	s_mov_b64 s[6:7], 0
.LBB417_337:
	s_andn2_b64 vcc, exec, s[6:7]
	s_cbranch_vccnz .LBB417_345
; %bb.338:
	v_lshlrev_b32_e32 v5, 16, v2
	v_and_b32_e32 v4, 0x7fffffff, v5
	s_mov_b32 s6, 0x43800000
	v_cmp_gt_u32_e32 vcc, s6, v4
	v_mov_b32_e32 v6, 0x80
	s_and_saveexec_b64 s[6:7], vcc
	s_cbranch_execz .LBB417_344
; %bb.339:
	s_mov_b32 s8, 0x3bffffff
	v_and_b32_e32 v3, 0xffff, v2
	v_cmp_lt_u32_e32 vcc, s8, v4
	s_mov_b64 s[8:9], 0
                                        ; implicit-def: $vgpr4
	s_and_saveexec_b64 s[10:11], vcc
	s_xor_b64 s[10:11], exec, s[10:11]
	s_cbranch_execz .LBB417_573
; %bb.340:
	v_bfe_u32 v4, v3, 4, 1
	s_mov_b32 s14, 0x487ffff
	v_add3_u32 v4, v5, v4, s14
	s_mov_b64 s[8:9], exec
	v_lshrrev_b32_e32 v4, 20, v4
                                        ; implicit-def: $vgpr5
	s_andn2_saveexec_b64 s[10:11], s[10:11]
	s_cbranch_execnz .LBB417_574
.LBB417_341:
	s_or_b64 exec, exec, s[10:11]
	v_mov_b32_e32 v6, 0
	s_and_saveexec_b64 s[10:11], s[8:9]
.LBB417_342:
	v_lshrrev_b32_e32 v3, 8, v3
	s_movk_i32 s8, 0x80
	v_and_or_b32 v6, v3, s8, v4
.LBB417_343:
	s_or_b64 exec, exec, s[10:11]
.LBB417_344:
	s_or_b64 exec, exec, s[6:7]
	global_store_byte v[0:1], v6, off
.LBB417_345:
	s_mov_b64 s[6:7], -1
.LBB417_346:
	s_mov_b64 s[8:9], 0
.LBB417_347:
	s_and_b64 vcc, exec, s[8:9]
	s_cbranch_vccz .LBB417_388
; %bb.348:
	s_cmp_gt_i32 s13, 22
	s_mov_b64 s[8:9], -1
	s_cbranch_scc0 .LBB417_380
; %bb.349:
	s_cmp_lt_i32 s13, 24
	s_mov_b64 s[6:7], -1
	s_cbranch_scc1 .LBB417_369
; %bb.350:
	s_cmp_gt_i32 s13, 24
	s_cbranch_scc0 .LBB417_358
; %bb.351:
	v_lshlrev_b32_e32 v5, 16, v2
	v_and_b32_e32 v4, 0x7fffffff, v5
	s_mov_b32 s6, 0x47800000
	v_cmp_gt_u32_e32 vcc, s6, v4
	v_mov_b32_e32 v6, 0x80
	s_and_saveexec_b64 s[6:7], vcc
	s_cbranch_execz .LBB417_357
; %bb.352:
	s_mov_b32 s8, 0x37ffffff
	v_and_b32_e32 v3, 0xffff, v2
	v_cmp_lt_u32_e32 vcc, s8, v4
	s_mov_b64 s[8:9], 0
                                        ; implicit-def: $vgpr4
	s_and_saveexec_b64 s[10:11], vcc
	s_xor_b64 s[10:11], exec, s[10:11]
	s_cbranch_execz .LBB417_576
; %bb.353:
	v_bfe_u32 v4, v3, 5, 1
	s_mov_b32 s14, 0x88fffff
	v_add3_u32 v4, v5, v4, s14
	s_mov_b64 s[8:9], exec
	v_lshrrev_b32_e32 v4, 21, v4
                                        ; implicit-def: $vgpr5
	s_andn2_saveexec_b64 s[10:11], s[10:11]
	s_cbranch_execnz .LBB417_577
.LBB417_354:
	s_or_b64 exec, exec, s[10:11]
	v_mov_b32_e32 v6, 0
	s_and_saveexec_b64 s[10:11], s[8:9]
.LBB417_355:
	v_lshrrev_b32_e32 v3, 8, v3
	s_movk_i32 s8, 0x80
	v_and_or_b32 v6, v3, s8, v4
.LBB417_356:
	s_or_b64 exec, exec, s[10:11]
.LBB417_357:
	s_or_b64 exec, exec, s[6:7]
	s_mov_b64 s[6:7], 0
	global_store_byte v[0:1], v6, off
.LBB417_358:
	s_and_b64 vcc, exec, s[6:7]
	s_cbranch_vccz .LBB417_368
; %bb.359:
	v_lshlrev_b32_e32 v5, 16, v2
	v_and_b32_e32 v6, 0x7fffffff, v5
	s_mov_b32 s6, 0x43f00000
	v_and_b32_e32 v3, 0xffff, v2
	v_cmp_gt_u32_e32 vcc, s6, v6
                                        ; implicit-def: $vgpr4
	s_and_saveexec_b64 s[6:7], vcc
	s_xor_b64 s[6:7], exec, s[6:7]
	s_cbranch_execz .LBB417_365
; %bb.360:
	s_mov_b32 s8, 0x3c7fffff
	v_cmp_lt_u32_e32 vcc, s8, v6
                                        ; implicit-def: $vgpr4
	s_and_saveexec_b64 s[8:9], vcc
	s_xor_b64 s[8:9], exec, s[8:9]
; %bb.361:
	v_bfe_u32 v4, v3, 4, 1
	s_mov_b32 s10, 0x407ffff
	v_add3_u32 v4, v5, v4, s10
	v_lshrrev_b32_e32 v5, 20, v4
	v_and_b32_e32 v4, 0xff00000, v4
	s_mov_b32 s10, 0x7f00000
	v_mov_b32_e32 v6, 0x7e
	v_cmp_ne_u32_e32 vcc, s10, v4
	s_nop 1
	v_cndmask_b32_e32 v4, v6, v5, vcc
                                        ; implicit-def: $vgpr5
; %bb.362:
	s_andn2_saveexec_b64 s[8:9], s[8:9]
; %bb.363:
	s_mov_b32 s10, 0x46800000
	v_add_f32_e64 v4, |v5|, s10
; %bb.364:
	s_or_b64 exec, exec, s[8:9]
                                        ; implicit-def: $vgpr6
.LBB417_365:
	s_andn2_saveexec_b64 s[6:7], s[6:7]
; %bb.366:
	s_mov_b32 s8, 0x7f800000
	v_mov_b32_e32 v4, 0x7e
	v_mov_b32_e32 v5, 0x7f
	v_cmp_lt_u32_e32 vcc, s8, v6
	s_nop 1
	v_cndmask_b32_e32 v4, v4, v5, vcc
; %bb.367:
	s_or_b64 exec, exec, s[6:7]
	v_lshrrev_b32_e32 v3, 8, v3
	s_movk_i32 s6, 0x80
	v_and_or_b32 v3, v3, s6, v4
	global_store_byte v[0:1], v3, off
.LBB417_368:
	s_mov_b64 s[6:7], 0
.LBB417_369:
	s_andn2_b64 vcc, exec, s[6:7]
	s_cbranch_vccnz .LBB417_379
; %bb.370:
	v_lshlrev_b32_e32 v5, 16, v2
	v_and_b32_e32 v6, 0x7fffffff, v5
	s_mov_b32 s6, 0x47800000
	v_and_b32_e32 v3, 0xffff, v2
	v_cmp_gt_u32_e32 vcc, s6, v6
                                        ; implicit-def: $vgpr4
	s_and_saveexec_b64 s[6:7], vcc
	s_xor_b64 s[6:7], exec, s[6:7]
	s_cbranch_execz .LBB417_376
; %bb.371:
	s_mov_b32 s8, 0x387fffff
	v_cmp_lt_u32_e32 vcc, s8, v6
                                        ; implicit-def: $vgpr4
	s_and_saveexec_b64 s[8:9], vcc
	s_xor_b64 s[8:9], exec, s[8:9]
; %bb.372:
	v_bfe_u32 v4, v3, 5, 1
	s_mov_b32 s10, 0x80fffff
	v_add3_u32 v4, v5, v4, s10
	v_lshrrev_b32_e32 v4, 21, v4
                                        ; implicit-def: $vgpr5
; %bb.373:
	s_andn2_saveexec_b64 s[8:9], s[8:9]
; %bb.374:
	s_mov_b32 s10, 0x43000000
	v_add_f32_e64 v4, |v5|, s10
; %bb.375:
	s_or_b64 exec, exec, s[8:9]
                                        ; implicit-def: $vgpr6
.LBB417_376:
	s_andn2_saveexec_b64 s[6:7], s[6:7]
; %bb.377:
	s_mov_b32 s8, 0x7f800000
	v_mov_b32_e32 v4, 0x7c
	v_mov_b32_e32 v5, 0x7f
	v_cmp_lt_u32_e32 vcc, s8, v6
	s_nop 1
	v_cndmask_b32_e32 v4, v4, v5, vcc
; %bb.378:
	s_or_b64 exec, exec, s[6:7]
	v_lshrrev_b32_e32 v3, 8, v3
	s_movk_i32 s6, 0x80
	v_and_or_b32 v3, v3, s6, v4
	global_store_byte v[0:1], v3, off
.LBB417_379:
	s_mov_b64 s[8:9], 0
	s_mov_b64 s[6:7], -1
.LBB417_380:
	s_andn2_b64 vcc, exec, s[8:9]
	s_cbranch_vccnz .LBB417_388
; %bb.381:
	s_cmp_gt_i32 s13, 14
	s_mov_b64 s[8:9], -1
	s_cbranch_scc0 .LBB417_385
; %bb.382:
	s_cmp_eq_u32 s13, 15
	s_mov_b64 s[2:3], -1
	s_cbranch_scc0 .LBB417_384
; %bb.383:
	global_store_short v[0:1], v2, off
	s_mov_b64 s[6:7], -1
	s_mov_b64 s[2:3], 0
.LBB417_384:
	s_mov_b64 s[8:9], 0
.LBB417_385:
	s_and_b64 vcc, exec, s[8:9]
	s_cbranch_vccz .LBB417_388
; %bb.386:
	s_cmp_eq_u32 s13, 11
	s_mov_b64 s[2:3], -1
	s_cbranch_scc0 .LBB417_388
; %bb.387:
	v_and_b32_e32 v3, 0x7fff, v2
	v_cmp_ne_u16_e32 vcc, 0, v3
	s_mov_b64 s[6:7], -1
	s_mov_b64 s[2:3], 0
	v_cndmask_b32_e64 v3, 0, 1, vcc
	global_store_byte v[0:1], v3, off
.LBB417_388:
	s_mov_b64 s[8:9], 0
.LBB417_389:
	s_and_b64 vcc, exec, s[8:9]
	s_cbranch_vccz .LBB417_428
; %bb.390:
	s_and_b32 s8, 0xffff, s12
	s_cmp_lt_i32 s8, 5
	s_mov_b64 s[6:7], -1
	s_cbranch_scc1 .LBB417_411
; %bb.391:
	s_cmp_lt_i32 s8, 8
	s_cbranch_scc1 .LBB417_401
; %bb.392:
	s_cmp_lt_i32 s8, 9
	s_cbranch_scc1 .LBB417_398
; %bb.393:
	s_cmp_gt_i32 s8, 9
	s_cbranch_scc0 .LBB417_395
; %bb.394:
	v_lshlrev_b32_e32 v3, 16, v2
	v_mov_b32_e32 v6, 0
	v_cvt_f64_f32_e32 v[4:5], v3
	v_mov_b32_e32 v7, v6
	s_mov_b64 s[6:7], 0
	global_store_dwordx4 v[0:1], v[4:7], off
.LBB417_395:
	s_andn2_b64 vcc, exec, s[6:7]
	s_cbranch_vccnz .LBB417_397
; %bb.396:
	v_lshlrev_b32_e32 v4, 16, v2
	v_mov_b32_e32 v5, 0
	global_store_dwordx2 v[0:1], v[4:5], off
.LBB417_397:
	s_mov_b64 s[6:7], 0
.LBB417_398:
	s_andn2_b64 vcc, exec, s[6:7]
	s_cbranch_vccnz .LBB417_400
; %bb.399:
	v_lshlrev_b32_e32 v3, 16, v2
	v_cvt_f16_f32_e32 v3, v3
	global_store_dword v[0:1], v3, off
.LBB417_400:
	s_mov_b64 s[6:7], 0
.LBB417_401:
	s_andn2_b64 vcc, exec, s[6:7]
	s_cbranch_vccnz .LBB417_410
; %bb.402:
	s_cmp_lt_i32 s8, 6
	s_mov_b64 s[6:7], -1
	s_cbranch_scc1 .LBB417_408
; %bb.403:
	s_cmp_gt_i32 s8, 6
	s_cbranch_scc0 .LBB417_405
; %bb.404:
	v_lshlrev_b32_e32 v3, 16, v2
	v_cvt_f64_f32_e32 v[4:5], v3
	s_mov_b64 s[6:7], 0
	global_store_dwordx2 v[0:1], v[4:5], off
.LBB417_405:
	s_andn2_b64 vcc, exec, s[6:7]
	s_cbranch_vccnz .LBB417_407
; %bb.406:
	v_lshlrev_b32_e32 v3, 16, v2
	global_store_dword v[0:1], v3, off
.LBB417_407:
	s_mov_b64 s[6:7], 0
.LBB417_408:
	s_andn2_b64 vcc, exec, s[6:7]
	s_cbranch_vccnz .LBB417_410
; %bb.409:
	v_lshlrev_b32_e32 v3, 16, v2
	v_cvt_f16_f32_e32 v3, v3
	global_store_short v[0:1], v3, off
.LBB417_410:
	s_mov_b64 s[6:7], 0
.LBB417_411:
	s_andn2_b64 vcc, exec, s[6:7]
	s_cbranch_vccnz .LBB417_427
; %bb.412:
	s_cmp_lt_i32 s8, 2
	s_mov_b64 s[6:7], -1
	s_cbranch_scc1 .LBB417_422
; %bb.413:
	s_cmp_lt_i32 s8, 3
	s_cbranch_scc1 .LBB417_419
; %bb.414:
	s_cmp_gt_i32 s8, 3
	s_cbranch_scc0 .LBB417_416
; %bb.415:
	v_lshlrev_b32_e32 v3, 16, v2
	v_trunc_f32_e32 v3, v3
	s_mov_b32 s6, 0x2f800000
	v_mul_f32_e64 v4, |v3|, s6
	v_floor_f32_e32 v4, v4
	s_mov_b32 s6, 0xcf800000
	v_cvt_u32_f32_e32 v5, v4
	v_fma_f32 v4, v4, s6, |v3|
	v_cvt_u32_f32_e32 v4, v4
	v_ashrrev_i32_e32 v3, 31, v3
	v_xor_b32_e32 v5, v5, v3
	s_mov_b64 s[6:7], 0
	v_xor_b32_e32 v4, v4, v3
	v_sub_co_u32_e32 v4, vcc, v4, v3
	s_nop 1
	v_subb_co_u32_e32 v5, vcc, v5, v3, vcc
	global_store_dwordx2 v[0:1], v[4:5], off
.LBB417_416:
	s_andn2_b64 vcc, exec, s[6:7]
	s_cbranch_vccnz .LBB417_418
; %bb.417:
	v_lshlrev_b32_e32 v3, 16, v2
	v_cvt_i32_f32_e32 v3, v3
	global_store_dword v[0:1], v3, off
.LBB417_418:
	s_mov_b64 s[6:7], 0
.LBB417_419:
	s_andn2_b64 vcc, exec, s[6:7]
	s_cbranch_vccnz .LBB417_421
; %bb.420:
	v_lshlrev_b32_e32 v3, 16, v2
	v_cvt_i32_f32_e32 v3, v3
	global_store_short v[0:1], v3, off
.LBB417_421:
	s_mov_b64 s[6:7], 0
.LBB417_422:
	s_andn2_b64 vcc, exec, s[6:7]
	s_cbranch_vccnz .LBB417_427
; %bb.423:
	s_mov_b64 s[6:7], -1
	s_cmp_gt_i32 s8, 0
	v_lshlrev_b32_e32 v2, 16, v2
	s_cbranch_scc0 .LBB417_425
; %bb.424:
	v_cvt_i32_f32_e32 v3, v2
	s_mov_b64 s[6:7], 0
	global_store_byte v[0:1], v3, off
.LBB417_425:
	s_andn2_b64 vcc, exec, s[6:7]
	s_cbranch_vccnz .LBB417_427
; %bb.426:
	v_trunc_f32_e32 v2, v2
	s_mov_b32 s6, 0x2f800000
	v_mul_f32_e64 v3, |v2|, s6
	v_floor_f32_e32 v3, v3
	s_mov_b32 s6, 0xcf800000
	v_fma_f32 v3, v3, s6, |v2|
	v_cvt_u32_f32_e32 v3, v3
	v_ashrrev_i32_e32 v2, 31, v2
	v_xor_b32_e32 v3, v3, v2
	v_sub_u32_e32 v2, v3, v2
	global_store_byte v[0:1], v2, off
.LBB417_427:
	s_mov_b64 s[6:7], -1
.LBB417_428:
	s_andn2_b64 vcc, exec, s[6:7]
	s_cbranch_vccnz .LBB417_430
; %bb.429:
	v_add_u32_e32 v8, 0x80, v8
	s_mov_b64 s[6:7], -1
	s_branch .LBB417_543
.LBB417_430:
	s_mov_b64 s[6:7], 0
	s_branch .LBB417_542
.LBB417_431:
	s_mov_b64 s[4:5], -1
                                        ; implicit-def: $vgpr1
.LBB417_432:
	s_mov_b64 s[6:7], 0
.LBB417_433:
	s_and_b64 vcc, exec, s[6:7]
	s_cbranch_vccz .LBB417_437
; %bb.434:
	s_cmp_eq_u32 s10, 29
	s_cbranch_scc0 .LBB417_436
; %bb.435:
	global_load_dwordx2 v[4:5], v[2:3], off
	s_movk_i32 s4, 0x7fff
	s_mov_b64 s[2:3], -1
	s_mov_b64 s[6:7], 0
	s_waitcnt vmcnt(0)
	v_ffbh_u32_e32 v1, v5
	v_min_u32_e32 v1, 32, v1
	v_lshlrev_b64 v[4:5], v1, v[4:5]
	v_min_u32_e32 v4, 1, v4
	v_or_b32_e32 v4, v5, v4
	v_cvt_f32_u32_e32 v4, v4
	v_sub_u32_e32 v1, 32, v1
	v_ldexp_f32 v1, v4, v1
	v_bfe_u32 v4, v1, 16, 1
	v_add3_u32 v1, v1, v4, s4
	v_lshrrev_b32_e32 v1, 16, v1
	s_mov_b64 s[4:5], 0
	s_branch .LBB417_438
.LBB417_436:
	s_mov_b64 s[4:5], -1
                                        ; implicit-def: $vgpr1
.LBB417_437:
	s_mov_b64 s[6:7], 0
.LBB417_438:
	s_and_b64 vcc, exec, s[6:7]
	s_cbranch_vccz .LBB417_456
; %bb.439:
	s_cmp_lt_i32 s10, 27
	s_cbranch_scc1 .LBB417_442
; %bb.440:
	s_cmp_gt_i32 s10, 27
	s_cbranch_scc0 .LBB417_443
; %bb.441:
	global_load_dword v1, v[2:3], off
	s_movk_i32 s2, 0x7fff
	s_waitcnt vmcnt(0)
	v_cvt_f32_u32_e32 v1, v1
	v_bfe_u32 v4, v1, 16, 1
	v_add3_u32 v1, v1, v4, s2
	v_lshrrev_b32_e32 v1, 16, v1
	s_mov_b64 s[2:3], 0
	s_branch .LBB417_444
.LBB417_442:
	s_mov_b64 s[2:3], -1
                                        ; implicit-def: $vgpr1
	s_branch .LBB417_447
.LBB417_443:
	s_mov_b64 s[2:3], -1
                                        ; implicit-def: $vgpr1
.LBB417_444:
	s_andn2_b64 vcc, exec, s[2:3]
	s_cbranch_vccnz .LBB417_446
; %bb.445:
	global_load_ushort v1, v[2:3], off
	s_movk_i32 s2, 0x7fff
	s_waitcnt vmcnt(0)
	v_cvt_f32_u32_e32 v1, v1
	v_bfe_u32 v4, v1, 16, 1
	v_add3_u32 v1, v1, v4, s2
	v_lshrrev_b32_e32 v1, 16, v1
.LBB417_446:
	s_mov_b64 s[2:3], 0
.LBB417_447:
	s_andn2_b64 vcc, exec, s[2:3]
	s_cbranch_vccnz .LBB417_455
; %bb.448:
	global_load_ubyte v1, v[2:3], off
	s_movk_i32 s2, 0x7f
	s_waitcnt vmcnt(0)
	v_cmp_lt_i16_e32 vcc, s2, v1
	s_mov_b64 s[2:3], 0
	s_and_saveexec_b64 s[6:7], vcc
	s_xor_b64 s[6:7], exec, s[6:7]
	s_cbranch_execz .LBB417_469
; %bb.449:
	s_movk_i32 s2, 0x80
	v_cmp_eq_u16_e32 vcc, s2, v1
	s_mov_b64 s[2:3], -1
	s_and_saveexec_b64 s[8:9], vcc
; %bb.450:
	s_xor_b64 s[2:3], exec, -1
; %bb.451:
	s_or_b64 exec, exec, s[8:9]
	s_and_b64 s[2:3], s[2:3], exec
	s_or_saveexec_b64 s[6:7], s[6:7]
	v_mov_b32_e32 v4, 0x7f800001
	s_xor_b64 exec, exec, s[6:7]
	s_cbranch_execnz .LBB417_470
.LBB417_452:
	s_or_b64 exec, exec, s[6:7]
	s_and_saveexec_b64 s[6:7], s[2:3]
	s_cbranch_execz .LBB417_454
.LBB417_453:
	v_lshlrev_b32_e32 v4, 24, v1
	v_and_b32_e32 v1, 0xffff, v1
	v_and_b32_e32 v5, 7, v1
	v_ffbh_u32_e32 v7, v5
	v_min_u32_e32 v7, 32, v7
	v_subrev_u32_e32 v9, 28, v7
	v_bfe_u32 v6, v1, 3, 4
	v_lshlrev_b32_e32 v1, v9, v1
	v_sub_u32_e32 v7, 29, v7
	v_and_b32_e32 v1, 7, v1
	v_cmp_eq_u32_e32 vcc, 0, v6
	v_and_b32_e32 v4, 0x80000000, v4
	s_nop 0
	v_cndmask_b32_e32 v6, v6, v7, vcc
	v_cndmask_b32_e32 v1, v5, v1, vcc
	v_mov_b32_e32 v5, 0x3b800000
	v_lshlrev_b32_e32 v1, 20, v1
	v_lshl_add_u32 v5, v6, 23, v5
	v_or3_b32 v4, v4, v5, v1
.LBB417_454:
	s_or_b64 exec, exec, s[6:7]
	v_bfe_u32 v1, v4, 16, 1
	s_movk_i32 s2, 0x7fff
	v_add3_u32 v1, v4, v1, s2
	v_cmp_o_f32_e32 vcc, v4, v4
	v_mov_b32_e32 v4, 0x7fc0
	s_nop 0
	v_cndmask_b32_sdwa v1, v4, v1, vcc dst_sel:DWORD dst_unused:UNUSED_PAD src0_sel:DWORD src1_sel:WORD_1
.LBB417_455:
	s_mov_b64 s[2:3], -1
.LBB417_456:
	s_mov_b64 s[6:7], 0
.LBB417_457:
	s_and_b64 vcc, exec, s[6:7]
	s_cbranch_vccz .LBB417_492
; %bb.458:
	s_cmp_gt_i32 s10, 22
	s_cbranch_scc0 .LBB417_468
; %bb.459:
	s_cmp_lt_i32 s10, 24
	s_cbranch_scc1 .LBB417_471
; %bb.460:
	s_cmp_gt_i32 s10, 24
	s_cbranch_scc0 .LBB417_472
; %bb.461:
	global_load_ubyte v1, v[2:3], off
	s_movk_i32 s2, 0x7f
	s_waitcnt vmcnt(0)
	v_cmp_lt_i16_e32 vcc, s2, v1
	s_mov_b64 s[2:3], 0
	s_and_saveexec_b64 s[6:7], vcc
	s_xor_b64 s[6:7], exec, s[6:7]
	s_cbranch_execz .LBB417_484
; %bb.462:
	s_movk_i32 s2, 0x80
	v_cmp_eq_u16_e32 vcc, s2, v1
	s_mov_b64 s[2:3], -1
	s_and_saveexec_b64 s[8:9], vcc
; %bb.463:
	s_xor_b64 s[2:3], exec, -1
; %bb.464:
	s_or_b64 exec, exec, s[8:9]
	s_and_b64 s[2:3], s[2:3], exec
	s_or_saveexec_b64 s[6:7], s[6:7]
	v_mov_b32_e32 v4, 0x7f800001
	s_xor_b64 exec, exec, s[6:7]
	s_cbranch_execnz .LBB417_485
.LBB417_465:
	s_or_b64 exec, exec, s[6:7]
	s_and_saveexec_b64 s[6:7], s[2:3]
	s_cbranch_execz .LBB417_467
.LBB417_466:
	v_lshlrev_b32_e32 v4, 24, v1
	v_and_b32_e32 v1, 0xffff, v1
	v_and_b32_e32 v5, 3, v1
	v_ffbh_u32_e32 v7, v5
	v_min_u32_e32 v7, 32, v7
	v_subrev_u32_e32 v9, 29, v7
	v_bfe_u32 v6, v1, 2, 5
	v_lshlrev_b32_e32 v1, v9, v1
	v_sub_u32_e32 v7, 30, v7
	v_and_b32_e32 v1, 3, v1
	v_cmp_eq_u32_e32 vcc, 0, v6
	v_and_b32_e32 v4, 0x80000000, v4
	s_nop 0
	v_cndmask_b32_e32 v6, v6, v7, vcc
	v_cndmask_b32_e32 v1, v5, v1, vcc
	v_mov_b32_e32 v5, 0x37800000
	v_lshlrev_b32_e32 v1, 21, v1
	v_lshl_add_u32 v5, v6, 23, v5
	v_or3_b32 v4, v4, v5, v1
.LBB417_467:
	s_or_b64 exec, exec, s[6:7]
	v_bfe_u32 v1, v4, 16, 1
	s_movk_i32 s2, 0x7fff
	v_add3_u32 v1, v4, v1, s2
	v_cmp_o_f32_e32 vcc, v4, v4
	v_mov_b32_e32 v4, 0x7fc0
	s_mov_b64 s[2:3], 0
	v_cndmask_b32_sdwa v1, v4, v1, vcc dst_sel:DWORD dst_unused:UNUSED_PAD src0_sel:DWORD src1_sel:WORD_1
	s_branch .LBB417_473
.LBB417_468:
	s_mov_b64 s[6:7], -1
                                        ; implicit-def: $vgpr1
	s_branch .LBB417_479
.LBB417_469:
	s_or_saveexec_b64 s[6:7], s[6:7]
	v_mov_b32_e32 v4, 0x7f800001
	s_xor_b64 exec, exec, s[6:7]
	s_cbranch_execz .LBB417_452
.LBB417_470:
	v_cmp_ne_u16_e32 vcc, 0, v1
	s_andn2_b64 s[2:3], s[2:3], exec
	s_and_b64 s[8:9], vcc, exec
	v_mov_b32_e32 v4, 0
	s_or_b64 s[2:3], s[2:3], s[8:9]
	s_or_b64 exec, exec, s[6:7]
	s_and_saveexec_b64 s[6:7], s[2:3]
	s_cbranch_execnz .LBB417_453
	s_branch .LBB417_454
.LBB417_471:
	s_mov_b64 s[2:3], -1
                                        ; implicit-def: $vgpr1
	s_branch .LBB417_476
.LBB417_472:
	s_mov_b64 s[2:3], -1
                                        ; implicit-def: $vgpr1
.LBB417_473:
	s_and_b64 vcc, exec, s[2:3]
	s_cbranch_vccz .LBB417_475
; %bb.474:
	global_load_ubyte v1, v[2:3], off
	s_mov_b32 s2, 0x7f800000
	s_brev_b32 s3, 1
	s_movk_i32 s6, 0x7fff
	s_waitcnt vmcnt(0)
	v_lshlrev_b32_e32 v1, 24, v1
	v_and_b32_e32 v4, 0x7f000000, v1
	v_ffbh_u32_e32 v5, v4
	v_min_u32_e32 v5, 32, v5
	v_sub_u32_e64 v5, v5, 4 clamp
	v_lshlrev_b32_e32 v7, v5, v4
	v_lshlrev_b32_e32 v5, 23, v5
	v_lshrrev_b32_e32 v7, 4, v7
	v_add_u32_e32 v6, 0x1000000, v4
	v_sub_u32_e32 v5, v7, v5
	v_ashrrev_i32_e32 v6, 8, v6
	v_add_u32_e32 v5, 0x3c000000, v5
	v_and_or_b32 v5, v6, s2, v5
	v_cmp_ne_u32_e32 vcc, 0, v4
	s_nop 1
	v_cndmask_b32_e32 v4, 0, v5, vcc
	v_and_or_b32 v1, v1, s3, v4
	v_bfe_u32 v4, v4, 16, 1
	v_add3_u32 v4, v1, v4, s6
	v_cmp_o_f32_e32 vcc, v1, v1
	v_mov_b32_e32 v1, 0x7fc0
	s_nop 0
	v_cndmask_b32_sdwa v1, v1, v4, vcc dst_sel:DWORD dst_unused:UNUSED_PAD src0_sel:DWORD src1_sel:WORD_1
.LBB417_475:
	s_mov_b64 s[2:3], 0
.LBB417_476:
	s_andn2_b64 vcc, exec, s[2:3]
	s_cbranch_vccnz .LBB417_478
; %bb.477:
	global_load_ubyte v1, v[2:3], off
	s_movk_i32 s2, 0x7f00
	s_brev_b32 s3, 16
	s_brev_b32 s6, 1
	s_movk_i32 s7, 0x7fff
	s_waitcnt vmcnt(0)
	v_lshlrev_b16_e32 v4, 8, v1
	v_lshlrev_b32_e32 v1, 25, v1
	v_lshrrev_b32_e32 v5, 4, v1
	v_and_or_b32 v6, v4, s2, 0.5
	v_or_b32_e32 v5, 0x70000000, v5
	v_add_f32_e32 v6, -0.5, v6
	v_mul_f32_e32 v5, 0x7800000, v5
	v_cmp_gt_u32_e32 vcc, s3, v1
	v_bfe_i32 v4, v4, 0, 16
	s_nop 0
	v_cndmask_b32_e32 v1, v5, v6, vcc
	v_and_or_b32 v4, v4, s6, v1
	v_bfe_u32 v1, v1, 16, 1
	v_add3_u32 v1, v4, v1, s7
	v_cmp_o_f32_e32 vcc, v4, v4
	v_mov_b32_e32 v4, 0x7fc0
	s_nop 0
	v_cndmask_b32_sdwa v1, v4, v1, vcc dst_sel:DWORD dst_unused:UNUSED_PAD src0_sel:DWORD src1_sel:WORD_1
.LBB417_478:
	s_mov_b64 s[6:7], 0
	s_mov_b64 s[2:3], -1
.LBB417_479:
	s_andn2_b64 vcc, exec, s[6:7]
	s_cbranch_vccnz .LBB417_492
; %bb.480:
	s_cmp_gt_i32 s10, 14
	s_cbranch_scc0 .LBB417_483
; %bb.481:
	s_cmp_eq_u32 s10, 15
	s_cbranch_scc0 .LBB417_486
; %bb.482:
	global_load_ushort v1, v[2:3], off
	s_mov_b64 s[2:3], -1
	s_mov_b64 s[4:5], 0
	s_branch .LBB417_487
.LBB417_483:
	s_mov_b64 s[6:7], -1
                                        ; implicit-def: $vgpr1
	s_branch .LBB417_488
.LBB417_484:
	s_or_saveexec_b64 s[6:7], s[6:7]
	v_mov_b32_e32 v4, 0x7f800001
	s_xor_b64 exec, exec, s[6:7]
	s_cbranch_execz .LBB417_465
.LBB417_485:
	v_cmp_ne_u16_e32 vcc, 0, v1
	s_andn2_b64 s[2:3], s[2:3], exec
	s_and_b64 s[8:9], vcc, exec
	v_mov_b32_e32 v4, 0
	s_or_b64 s[2:3], s[2:3], s[8:9]
	s_or_b64 exec, exec, s[6:7]
	s_and_saveexec_b64 s[6:7], s[2:3]
	s_cbranch_execnz .LBB417_466
	s_branch .LBB417_467
.LBB417_486:
	s_mov_b64 s[4:5], -1
                                        ; implicit-def: $vgpr1
.LBB417_487:
	s_mov_b64 s[6:7], 0
.LBB417_488:
	s_and_b64 vcc, exec, s[6:7]
	s_cbranch_vccz .LBB417_492
; %bb.489:
	s_cmp_eq_u32 s10, 11
	s_cbranch_scc0 .LBB417_491
; %bb.490:
	global_load_ubyte v1, v[2:3], off
	s_mov_b64 s[2:3], -1
	s_mov_b64 s[4:5], 0
	s_waitcnt vmcnt(0)
	v_cmp_ne_u16_e32 vcc, 0, v1
	s_nop 1
	v_cndmask_b32_e64 v1, 0, 1.0, vcc
	v_lshrrev_b32_e32 v1, 16, v1
	s_branch .LBB417_492
.LBB417_491:
	s_mov_b64 s[4:5], -1
                                        ; implicit-def: $vgpr1
.LBB417_492:
	s_branch .LBB417_295
.LBB417_493:
	s_cmp_lt_i32 s10, 5
	s_cbranch_scc1 .LBB417_498
; %bb.494:
	s_cmp_lt_i32 s10, 8
	s_cbranch_scc1 .LBB417_499
; %bb.495:
	;; [unrolled: 3-line block ×3, first 2 shown]
	s_cmp_gt_i32 s10, 9
	s_cbranch_scc0 .LBB417_501
; %bb.497:
	global_load_dwordx2 v[4:5], v[2:3], off
	s_movk_i32 s2, 0x7fff
	s_waitcnt vmcnt(1)
	v_mov_b32_e32 v1, 0x7fc0
	s_waitcnt vmcnt(0)
	v_cvt_f32_f64_e32 v4, v[4:5]
	v_bfe_u32 v5, v4, 16, 1
	v_cmp_o_f32_e32 vcc, v4, v4
	v_add3_u32 v4, v4, v5, s2
	s_mov_b64 s[2:3], 0
	v_cndmask_b32_sdwa v1, v1, v4, vcc dst_sel:DWORD dst_unused:UNUSED_PAD src0_sel:DWORD src1_sel:WORD_1
	s_branch .LBB417_502
.LBB417_498:
	s_mov_b64 s[2:3], -1
                                        ; implicit-def: $vgpr1
	s_branch .LBB417_520
.LBB417_499:
	s_mov_b64 s[2:3], -1
                                        ; implicit-def: $vgpr1
	s_branch .LBB417_508
.LBB417_500:
	s_mov_b64 s[2:3], -1
                                        ; implicit-def: $vgpr1
	s_branch .LBB417_505
.LBB417_501:
	s_mov_b64 s[2:3], -1
                                        ; implicit-def: $vgpr1
.LBB417_502:
	s_andn2_b64 vcc, exec, s[2:3]
	s_cbranch_vccnz .LBB417_504
; %bb.503:
	global_load_dword v1, v[2:3], off
	s_movk_i32 s2, 0x7fff
	v_mov_b32_e32 v4, 0x7fc0
	s_waitcnt vmcnt(0)
	v_bfe_u32 v5, v1, 16, 1
	v_cmp_o_f32_e32 vcc, v1, v1
	v_add3_u32 v1, v1, v5, s2
	s_nop 0
	v_cndmask_b32_sdwa v1, v4, v1, vcc dst_sel:DWORD dst_unused:UNUSED_PAD src0_sel:DWORD src1_sel:WORD_1
.LBB417_504:
	s_mov_b64 s[2:3], 0
.LBB417_505:
	s_andn2_b64 vcc, exec, s[2:3]
	s_cbranch_vccnz .LBB417_507
; %bb.506:
	global_load_dword v1, v[2:3], off
	s_movk_i32 s2, 0x7fff
	v_mov_b32_e32 v5, 0x7fc0
	s_waitcnt vmcnt(0)
	v_cvt_f32_f16_e32 v4, v1
	v_cmp_o_f16_e32 vcc, v1, v1
	v_bfe_u32 v1, v4, 16, 1
	v_add3_u32 v1, v4, v1, s2
	v_cndmask_b32_sdwa v1, v5, v1, vcc dst_sel:DWORD dst_unused:UNUSED_PAD src0_sel:DWORD src1_sel:WORD_1
.LBB417_507:
	s_mov_b64 s[2:3], 0
.LBB417_508:
	s_andn2_b64 vcc, exec, s[2:3]
	s_cbranch_vccnz .LBB417_519
; %bb.509:
	s_cmp_lt_i32 s10, 6
	s_cbranch_scc1 .LBB417_512
; %bb.510:
	s_cmp_gt_i32 s10, 6
	s_cbranch_scc0 .LBB417_513
; %bb.511:
	global_load_dwordx2 v[4:5], v[2:3], off
	s_movk_i32 s2, 0x7fff
	s_waitcnt vmcnt(1)
	v_mov_b32_e32 v1, 0x7fc0
	s_waitcnt vmcnt(0)
	v_cvt_f32_f64_e32 v4, v[4:5]
	v_bfe_u32 v5, v4, 16, 1
	v_cmp_o_f32_e32 vcc, v4, v4
	v_add3_u32 v4, v4, v5, s2
	s_mov_b64 s[2:3], 0
	v_cndmask_b32_sdwa v1, v1, v4, vcc dst_sel:DWORD dst_unused:UNUSED_PAD src0_sel:DWORD src1_sel:WORD_1
	s_branch .LBB417_514
.LBB417_512:
	s_mov_b64 s[2:3], -1
                                        ; implicit-def: $vgpr1
	s_branch .LBB417_517
.LBB417_513:
	s_mov_b64 s[2:3], -1
                                        ; implicit-def: $vgpr1
.LBB417_514:
	s_andn2_b64 vcc, exec, s[2:3]
	s_cbranch_vccnz .LBB417_516
; %bb.515:
	global_load_dword v1, v[2:3], off
	s_movk_i32 s2, 0x7fff
	v_mov_b32_e32 v4, 0x7fc0
	s_waitcnt vmcnt(0)
	v_bfe_u32 v5, v1, 16, 1
	v_cmp_o_f32_e32 vcc, v1, v1
	v_add3_u32 v1, v1, v5, s2
	s_nop 0
	v_cndmask_b32_sdwa v1, v4, v1, vcc dst_sel:DWORD dst_unused:UNUSED_PAD src0_sel:DWORD src1_sel:WORD_1
.LBB417_516:
	s_mov_b64 s[2:3], 0
.LBB417_517:
	s_andn2_b64 vcc, exec, s[2:3]
	s_cbranch_vccnz .LBB417_519
; %bb.518:
	global_load_ushort v1, v[2:3], off
	s_movk_i32 s2, 0x7fff
	v_mov_b32_e32 v5, 0x7fc0
	s_waitcnt vmcnt(0)
	v_cvt_f32_f16_e32 v4, v1
	v_cmp_o_f16_e32 vcc, v1, v1
	v_bfe_u32 v1, v4, 16, 1
	v_add3_u32 v1, v4, v1, s2
	v_cndmask_b32_sdwa v1, v5, v1, vcc dst_sel:DWORD dst_unused:UNUSED_PAD src0_sel:DWORD src1_sel:WORD_1
.LBB417_519:
	s_mov_b64 s[2:3], 0
.LBB417_520:
	s_andn2_b64 vcc, exec, s[2:3]
	s_cbranch_vccnz .LBB417_540
; %bb.521:
	s_cmp_lt_i32 s10, 2
	s_cbranch_scc1 .LBB417_525
; %bb.522:
	s_cmp_lt_i32 s10, 3
	s_cbranch_scc1 .LBB417_526
; %bb.523:
	s_cmp_gt_i32 s10, 3
	s_cbranch_scc0 .LBB417_527
; %bb.524:
	global_load_dwordx2 v[4:5], v[2:3], off
	s_movk_i32 s2, 0x7fff
	s_waitcnt vmcnt(0)
	v_xor_b32_e32 v6, v4, v5
	v_ffbh_i32_e32 v1, v5
	v_ashrrev_i32_e32 v6, 31, v6
	v_add_u32_e32 v1, -1, v1
	v_add_u32_e32 v6, 32, v6
	v_min_u32_e32 v1, v1, v6
	v_lshlrev_b64 v[4:5], v1, v[4:5]
	v_min_u32_e32 v4, 1, v4
	v_or_b32_e32 v4, v5, v4
	v_cvt_f32_i32_e32 v4, v4
	v_sub_u32_e32 v1, 32, v1
	v_ldexp_f32 v1, v4, v1
	v_bfe_u32 v4, v1, 16, 1
	v_add3_u32 v1, v1, v4, s2
	v_lshrrev_b32_e32 v1, 16, v1
	s_mov_b64 s[2:3], 0
	s_branch .LBB417_528
.LBB417_525:
	s_mov_b64 s[2:3], -1
                                        ; implicit-def: $vgpr1
	s_branch .LBB417_534
.LBB417_526:
	s_mov_b64 s[2:3], -1
                                        ; implicit-def: $vgpr1
	s_branch .LBB417_531
.LBB417_527:
	s_mov_b64 s[2:3], -1
                                        ; implicit-def: $vgpr1
.LBB417_528:
	s_andn2_b64 vcc, exec, s[2:3]
	s_cbranch_vccnz .LBB417_530
; %bb.529:
	global_load_dword v1, v[2:3], off
	s_movk_i32 s2, 0x7fff
	s_waitcnt vmcnt(0)
	v_cvt_f32_i32_e32 v1, v1
	v_bfe_u32 v4, v1, 16, 1
	v_add3_u32 v1, v1, v4, s2
	v_lshrrev_b32_e32 v1, 16, v1
.LBB417_530:
	s_mov_b64 s[2:3], 0
.LBB417_531:
	s_andn2_b64 vcc, exec, s[2:3]
	s_cbranch_vccnz .LBB417_533
; %bb.532:
	global_load_sshort v1, v[2:3], off
	s_movk_i32 s2, 0x7fff
	s_waitcnt vmcnt(0)
	v_cvt_f32_i32_e32 v1, v1
	v_bfe_u32 v4, v1, 16, 1
	v_add3_u32 v1, v1, v4, s2
	v_lshrrev_b32_e32 v1, 16, v1
.LBB417_533:
	s_mov_b64 s[2:3], 0
.LBB417_534:
	s_andn2_b64 vcc, exec, s[2:3]
	s_cbranch_vccnz .LBB417_540
; %bb.535:
	s_cmp_gt_i32 s10, 0
	s_cbranch_scc0 .LBB417_537
; %bb.536:
	global_load_sbyte v1, v[2:3], off
	s_movk_i32 s2, 0x7fff
	s_waitcnt vmcnt(0)
	v_cvt_f32_i32_e32 v1, v1
	v_bfe_u32 v4, v1, 16, 1
	v_add3_u32 v1, v1, v4, s2
	v_lshrrev_b32_e32 v1, 16, v1
	s_mov_b64 s[2:3], 0
	s_branch .LBB417_538
.LBB417_537:
	s_mov_b64 s[2:3], -1
                                        ; implicit-def: $vgpr1
.LBB417_538:
	s_andn2_b64 vcc, exec, s[2:3]
	s_cbranch_vccnz .LBB417_540
; %bb.539:
	global_load_ubyte v1, v[2:3], off
	s_movk_i32 s2, 0x7fff
	s_waitcnt vmcnt(0)
	v_cvt_f32_ubyte0_e32 v1, v1
	v_bfe_u32 v2, v1, 16, 1
	v_add3_u32 v1, v1, v2, s2
	v_lshrrev_b32_e32 v1, 16, v1
.LBB417_540:
	s_branch .LBB417_296
.LBB417_541:
	s_mov_b64 s[6:7], 0
	s_mov_b64 s[2:3], s[54:55]
.LBB417_542:
                                        ; implicit-def: $vgpr8
.LBB417_543:
	s_andn2_b64 s[8:9], s[54:55], exec
	s_and_b64 s[2:3], s[2:3], exec
	s_or_b64 s[62:63], s[8:9], s[2:3]
	s_andn2_b64 s[2:3], s[56:57], exec
	s_and_b64 s[4:5], s[4:5], exec
	s_or_b64 s[60:61], s[2:3], s[4:5]
	s_orn2_b64 s[2:3], s[6:7], exec
.LBB417_544:
	s_or_b64 exec, exec, s[64:65]
	s_mov_b64 s[4:5], 0
	s_mov_b64 s[6:7], 0
	;; [unrolled: 1-line block ×3, first 2 shown]
                                        ; implicit-def: $vgpr2_vgpr3
                                        ; implicit-def: $vgpr0
                                        ; implicit-def: $vgpr1
	s_and_saveexec_b64 s[64:65], s[2:3]
	s_cbranch_execz .LBB417_921
; %bb.545:
	v_cmp_gt_i32_e32 vcc, s70, v8
	s_mov_b64 s[6:7], -1
	s_mov_b64 s[2:3], s[60:61]
	s_mov_b64 s[68:69], s[62:63]
	s_and_saveexec_b64 s[66:67], vcc
	s_cbranch_execz .LBB417_820
; %bb.546:
	s_andn2_b64 vcc, exec, s[42:43]
	s_cbranch_vccnz .LBB417_552
; %bb.547:
	s_andn2_b64 vcc, exec, s[52:53]
	s_cbranch_vccnz .LBB417_553
; %bb.548:
	s_add_i32 s78, s77, 1
	s_cmp_eq_u32 s72, 2
	s_cbranch_scc1 .LBB417_554
; %bb.549:
	s_and_b32 s71, s78, 28
	s_mov_b32 s79, 0
	v_mov_b32_e32 v0, 0
	v_mov_b32_e32 v2, 0
	s_mov_b64 s[2:3], s[34:35]
	s_mov_b64 s[68:69], s[50:51]
	v_mov_b32_e32 v4, v8
.LBB417_550:                            ; =>This Inner Loop Header: Depth=1
	s_load_dwordx8 s[12:19], s[2:3], 0x4
	s_load_dwordx4 s[36:39], s[2:3], 0x24
	s_load_dwordx8 s[4:11], s[68:69], 0x0
	s_add_u32 s2, s2, 48
	s_addc_u32 s3, s3, 0
	s_waitcnt vmcnt(0) lgkmcnt(0)
	v_mul_hi_u32 v1, s13, v4
	v_add_u32_e32 v1, v4, v1
	v_lshrrev_b32_e32 v1, s14, v1
	v_mul_lo_u32 v3, v1, s12
	v_mul_hi_u32 v5, s16, v1
	v_sub_u32_e32 v3, v4, v3
	v_add_u32_e32 v4, v1, v5
	v_lshrrev_b32_e32 v4, s17, v4
	v_mul_lo_u32 v6, v4, s15
	v_mul_hi_u32 v7, s19, v4
	v_sub_u32_e32 v1, v1, v6
	v_add_u32_e32 v6, v4, v7
	v_mul_lo_u32 v5, v3, s5
	v_mul_lo_u32 v3, v3, s4
	;; [unrolled: 1-line block ×4, first 2 shown]
	v_lshrrev_b32_e32 v6, s36, v6
	v_add3_u32 v0, v3, v0, v1
	v_mul_hi_u32 v3, s38, v6
	v_add3_u32 v1, v5, v2, v7
	v_mul_lo_u32 v2, v6, s18
	v_add_u32_e32 v3, v6, v3
	v_sub_u32_e32 v2, v4, v2
	v_lshrrev_b32_e32 v4, s39, v3
	s_add_i32 s79, s79, 4
	v_mul_lo_u32 v3, v4, s37
	s_add_u32 s68, s68, 32
	v_sub_u32_e32 v3, v6, v3
	s_addc_u32 s69, s69, 0
	v_mul_lo_u32 v5, v2, s8
	v_mul_lo_u32 v2, v2, s9
	;; [unrolled: 1-line block ×4, first 2 shown]
	s_cmp_eq_u32 s71, s79
	v_add3_u32 v2, v2, v1, v3
	v_add3_u32 v0, v5, v0, v6
	s_cbranch_scc0 .LBB417_550
; %bb.551:
	v_mov_b32_e32 v1, v2
	s_branch .LBB417_555
.LBB417_552:
	s_mov_b64 s[2:3], -1
                                        ; implicit-def: $vgpr2
                                        ; implicit-def: $vgpr0
	s_branch .LBB417_559
.LBB417_553:
	v_mov_b32_e32 v2, 0
	v_mov_b32_e32 v0, 0
	s_branch .LBB417_558
.LBB417_554:
	v_mov_b32_e32 v0, 0
	s_mov_b32 s71, 0
	s_waitcnt vmcnt(0)
	v_mov_b32_e32 v1, v0
                                        ; implicit-def: $vgpr2
	v_mov_b32_e32 v4, v8
.LBB417_555:
	s_and_b32 s6, s78, 3
	s_cmp_eq_u32 s6, 0
	s_cbranch_scc1 .LBB417_558
; %bb.556:
	s_lshl_b32 s2, s71, 3
	s_add_u32 s2, s34, s2
	s_addc_u32 s3, s35, 0
	s_add_u32 s2, s2, 0xc4
	s_addc_u32 s3, s3, 0
	s_mul_i32 s4, s71, 12
	s_add_u32 s4, s34, s4
	s_addc_u32 s5, s35, 0
.LBB417_557:                            ; =>This Inner Loop Header: Depth=1
	s_load_dwordx2 s[8:9], s[4:5], 0x4
	s_load_dword s7, s[4:5], 0xc
	s_load_dwordx2 s[10:11], s[2:3], 0x0
	v_mov_b32_e32 v2, v1
	s_add_u32 s4, s4, 12
	s_waitcnt lgkmcnt(0)
	v_mul_hi_u32 v1, s9, v4
	v_add_u32_e32 v1, v4, v1
	v_lshrrev_b32_e32 v1, s7, v1
	s_addc_u32 s5, s5, 0
	v_mul_lo_u32 v3, v1, s8
	s_add_u32 s2, s2, 8
	v_sub_u32_e32 v5, v4, v3
	s_addc_u32 s3, s3, 0
	s_add_i32 s6, s6, -1
	v_mov_b32_e32 v4, v1
	v_mad_u64_u32 v[2:3], s[8:9], v5, s11, v[2:3]
	v_mad_u64_u32 v[0:1], s[8:9], v5, s10, v[0:1]
	s_cmp_lg_u32 s6, 0
	v_mov_b32_e32 v1, v2
	s_cbranch_scc1 .LBB417_557
.LBB417_558:
	s_mov_b64 s[2:3], 0
.LBB417_559:
	s_andn2_b64 vcc, exec, s[2:3]
	s_cbranch_vccnz .LBB417_562
; %bb.560:
	v_mul_hi_u32 v0, s25, v8
	v_add_u32_e32 v0, v8, v0
	s_waitcnt vmcnt(0)
	v_lshrrev_b32_e32 v1, s26, v0
	v_mul_lo_u32 v0, v1, s24
	v_sub_u32_e32 v0, v8, v0
	v_mul_lo_u32 v2, v0, s29
	s_andn2_b64 vcc, exec, s[48:49]
	v_mul_lo_u32 v0, v0, s28
	s_cbranch_vccnz .LBB417_562
; %bb.561:
	v_mul_hi_u32 v3, s46, v1
	v_add_u32_e32 v3, v1, v3
	v_lshrrev_b32_e32 v3, s47, v3
	v_mul_lo_u32 v3, v3, s27
	v_sub_u32_e32 v3, v1, v3
	v_mad_u64_u32 v[0:1], s[2:3], v3, s30, v[0:1]
	v_mad_u64_u32 v[2:3], s[2:3], v3, s31, v[2:3]
.LBB417_562:
	v_mov_b32_e32 v3, 0
	s_and_b32 s10, 0xffff, s76
	s_cmp_lt_i32 s10, 11
	v_lshl_add_u64 v[2:3], s[22:23], 0, v[2:3]
	s_cbranch_scc1 .LBB417_569
; %bb.563:
	s_cmp_gt_i32 s10, 25
	s_cbranch_scc0 .LBB417_570
; %bb.564:
	s_cmp_gt_i32 s10, 28
	s_cbranch_scc0 .LBB417_571
	;; [unrolled: 3-line block ×4, first 2 shown]
; %bb.567:
	s_cmp_eq_u32 s10, 46
	s_mov_b64 s[6:7], 0
	s_cbranch_scc0 .LBB417_578
; %bb.568:
	global_load_dword v1, v[2:3], off
	s_mov_b64 s[2:3], -1
	s_mov_b64 s[4:5], 0
	s_branch .LBB417_579
.LBB417_569:
	s_mov_b64 s[6:7], -1
	s_mov_b64 s[2:3], 0
                                        ; implicit-def: $vgpr1
	s_mov_b64 s[4:5], s[60:61]
	s_branch .LBB417_644
.LBB417_570:
	s_mov_b64 s[6:7], -1
	s_mov_b64 s[2:3], 0
	s_mov_b64 s[4:5], s[60:61]
                                        ; implicit-def: $vgpr1
	s_branch .LBB417_608
.LBB417_571:
	s_mov_b64 s[6:7], -1
	s_mov_b64 s[2:3], 0
	s_mov_b64 s[4:5], s[60:61]
                                        ; implicit-def: $vgpr1
	s_branch .LBB417_589
.LBB417_572:
	s_mov_b64 s[6:7], -1
	s_mov_b64 s[2:3], 0
	s_mov_b64 s[4:5], s[60:61]
                                        ; implicit-def: $vgpr1
	s_branch .LBB417_584
.LBB417_573:
	s_andn2_saveexec_b64 s[10:11], s[10:11]
	s_cbranch_execz .LBB417_341
.LBB417_574:
	s_mov_b32 s14, 0x46000000
	v_add_f32_e64 v4, |v5|, s14
	v_and_b32_e32 v4, 0xff, v4
	v_cmp_ne_u32_e32 vcc, 0, v4
	s_andn2_b64 s[8:9], s[8:9], exec
	s_and_b64 s[14:15], vcc, exec
	s_or_b64 s[8:9], s[8:9], s[14:15]
	s_or_b64 exec, exec, s[10:11]
	v_mov_b32_e32 v6, 0
	s_and_saveexec_b64 s[10:11], s[8:9]
	s_cbranch_execnz .LBB417_342
	s_branch .LBB417_343
.LBB417_575:
	s_mov_b64 s[6:7], -1
	s_mov_b64 s[2:3], 0
	s_mov_b64 s[4:5], s[60:61]
                                        ; implicit-def: $vgpr1
	s_branch .LBB417_579
.LBB417_576:
	s_andn2_saveexec_b64 s[10:11], s[10:11]
	s_cbranch_execz .LBB417_354
.LBB417_577:
	s_mov_b32 s14, 0x42800000
	v_add_f32_e64 v4, |v5|, s14
	v_and_b32_e32 v4, 0xff, v4
	v_cmp_ne_u32_e32 vcc, 0, v4
	s_andn2_b64 s[8:9], s[8:9], exec
	s_and_b64 s[14:15], vcc, exec
	s_or_b64 s[8:9], s[8:9], s[14:15]
	s_or_b64 exec, exec, s[10:11]
	v_mov_b32_e32 v6, 0
	s_and_saveexec_b64 s[10:11], s[8:9]
	s_cbranch_execnz .LBB417_355
	s_branch .LBB417_356
.LBB417_578:
	s_mov_b64 s[4:5], -1
                                        ; implicit-def: $vgpr1
	s_mov_b64 s[2:3], 0
.LBB417_579:
	s_and_b64 vcc, exec, s[6:7]
	s_cbranch_vccz .LBB417_583
; %bb.580:
	s_cmp_eq_u32 s10, 44
	s_cbranch_scc0 .LBB417_582
; %bb.581:
	global_load_ubyte v1, v[2:3], off
	s_movk_i32 s4, 0xff
	v_mov_b32_e32 v4, 0x7f800001
	v_mov_b32_e32 v5, 0x400000
	;; [unrolled: 1-line block ×3, first 2 shown]
	s_mov_b64 s[2:3], -1
	s_waitcnt vmcnt(0)
	v_lshlrev_b32_e32 v7, 23, v1
	v_cmp_ne_u32_e32 vcc, s4, v1
	s_mov_b64 s[4:5], 0
	s_nop 0
	v_cndmask_b32_e32 v4, v4, v7, vcc
	v_cmp_ne_u32_e32 vcc, 0, v1
	s_nop 1
	v_cndmask_b32_e32 v1, v5, v4, vcc
	v_add_u32_e32 v4, 0x7fff, v1
	v_cmp_o_f32_e32 vcc, v1, v1
	s_nop 1
	v_cndmask_b32_sdwa v1, v6, v4, vcc dst_sel:DWORD dst_unused:UNUSED_PAD src0_sel:DWORD src1_sel:WORD_1
	s_branch .LBB417_583
.LBB417_582:
	s_mov_b64 s[4:5], -1
                                        ; implicit-def: $vgpr1
.LBB417_583:
	s_mov_b64 s[6:7], 0
.LBB417_584:
	s_and_b64 vcc, exec, s[6:7]
	s_cbranch_vccz .LBB417_588
; %bb.585:
	s_cmp_eq_u32 s10, 29
	s_cbranch_scc0 .LBB417_587
; %bb.586:
	global_load_dwordx2 v[4:5], v[2:3], off
	s_movk_i32 s4, 0x7fff
	s_mov_b64 s[2:3], -1
	s_mov_b64 s[6:7], 0
	s_waitcnt vmcnt(0)
	v_ffbh_u32_e32 v1, v5
	v_min_u32_e32 v1, 32, v1
	v_lshlrev_b64 v[4:5], v1, v[4:5]
	v_min_u32_e32 v4, 1, v4
	v_or_b32_e32 v4, v5, v4
	v_cvt_f32_u32_e32 v4, v4
	v_sub_u32_e32 v1, 32, v1
	v_ldexp_f32 v1, v4, v1
	v_bfe_u32 v4, v1, 16, 1
	v_add3_u32 v1, v1, v4, s4
	v_lshrrev_b32_e32 v1, 16, v1
	s_mov_b64 s[4:5], 0
	s_branch .LBB417_589
.LBB417_587:
	s_mov_b64 s[4:5], -1
                                        ; implicit-def: $vgpr1
.LBB417_588:
	s_mov_b64 s[6:7], 0
.LBB417_589:
	s_and_b64 vcc, exec, s[6:7]
	s_cbranch_vccz .LBB417_607
; %bb.590:
	s_cmp_lt_i32 s10, 27
	s_cbranch_scc1 .LBB417_593
; %bb.591:
	s_cmp_gt_i32 s10, 27
	s_cbranch_scc0 .LBB417_594
; %bb.592:
	global_load_dword v1, v[2:3], off
	s_movk_i32 s2, 0x7fff
	s_waitcnt vmcnt(0)
	v_cvt_f32_u32_e32 v1, v1
	v_bfe_u32 v4, v1, 16, 1
	v_add3_u32 v1, v1, v4, s2
	v_lshrrev_b32_e32 v1, 16, v1
	s_mov_b64 s[2:3], 0
	s_branch .LBB417_595
.LBB417_593:
	s_mov_b64 s[2:3], -1
                                        ; implicit-def: $vgpr1
	s_branch .LBB417_598
.LBB417_594:
	s_mov_b64 s[2:3], -1
                                        ; implicit-def: $vgpr1
.LBB417_595:
	s_andn2_b64 vcc, exec, s[2:3]
	s_cbranch_vccnz .LBB417_597
; %bb.596:
	global_load_ushort v1, v[2:3], off
	s_movk_i32 s2, 0x7fff
	s_waitcnt vmcnt(0)
	v_cvt_f32_u32_e32 v1, v1
	v_bfe_u32 v4, v1, 16, 1
	v_add3_u32 v1, v1, v4, s2
	v_lshrrev_b32_e32 v1, 16, v1
.LBB417_597:
	s_mov_b64 s[2:3], 0
.LBB417_598:
	s_andn2_b64 vcc, exec, s[2:3]
	s_cbranch_vccnz .LBB417_606
; %bb.599:
	global_load_ubyte v1, v[2:3], off
	s_movk_i32 s2, 0x7f
	s_waitcnt vmcnt(0)
	v_cmp_lt_i16_e32 vcc, s2, v1
	s_mov_b64 s[2:3], 0
	s_and_saveexec_b64 s[6:7], vcc
	s_xor_b64 s[6:7], exec, s[6:7]
	s_cbranch_execz .LBB417_620
; %bb.600:
	s_movk_i32 s2, 0x80
	v_cmp_eq_u16_e32 vcc, s2, v1
	s_mov_b64 s[2:3], -1
	s_and_saveexec_b64 s[8:9], vcc
; %bb.601:
	s_xor_b64 s[2:3], exec, -1
; %bb.602:
	s_or_b64 exec, exec, s[8:9]
	s_and_b64 s[2:3], s[2:3], exec
	s_or_saveexec_b64 s[6:7], s[6:7]
	v_mov_b32_e32 v4, 0x7f800001
	s_xor_b64 exec, exec, s[6:7]
	s_cbranch_execnz .LBB417_621
.LBB417_603:
	s_or_b64 exec, exec, s[6:7]
	s_and_saveexec_b64 s[6:7], s[2:3]
	s_cbranch_execz .LBB417_605
.LBB417_604:
	v_lshlrev_b32_e32 v4, 24, v1
	v_and_b32_e32 v1, 0xffff, v1
	v_and_b32_e32 v5, 7, v1
	v_ffbh_u32_e32 v7, v5
	v_min_u32_e32 v7, 32, v7
	v_subrev_u32_e32 v9, 28, v7
	v_bfe_u32 v6, v1, 3, 4
	v_lshlrev_b32_e32 v1, v9, v1
	v_sub_u32_e32 v7, 29, v7
	v_and_b32_e32 v1, 7, v1
	v_cmp_eq_u32_e32 vcc, 0, v6
	v_and_b32_e32 v4, 0x80000000, v4
	s_nop 0
	v_cndmask_b32_e32 v6, v6, v7, vcc
	v_cndmask_b32_e32 v1, v5, v1, vcc
	v_mov_b32_e32 v5, 0x3b800000
	v_lshlrev_b32_e32 v1, 20, v1
	v_lshl_add_u32 v5, v6, 23, v5
	v_or3_b32 v4, v4, v5, v1
.LBB417_605:
	s_or_b64 exec, exec, s[6:7]
	v_bfe_u32 v1, v4, 16, 1
	s_movk_i32 s2, 0x7fff
	v_add3_u32 v1, v4, v1, s2
	v_cmp_o_f32_e32 vcc, v4, v4
	v_mov_b32_e32 v4, 0x7fc0
	s_nop 0
	v_cndmask_b32_sdwa v1, v4, v1, vcc dst_sel:DWORD dst_unused:UNUSED_PAD src0_sel:DWORD src1_sel:WORD_1
.LBB417_606:
	s_mov_b64 s[2:3], -1
.LBB417_607:
	s_mov_b64 s[6:7], 0
.LBB417_608:
	s_and_b64 vcc, exec, s[6:7]
	s_cbranch_vccz .LBB417_643
; %bb.609:
	s_cmp_gt_i32 s10, 22
	s_cbranch_scc0 .LBB417_619
; %bb.610:
	s_cmp_lt_i32 s10, 24
	s_cbranch_scc1 .LBB417_622
; %bb.611:
	s_cmp_gt_i32 s10, 24
	s_cbranch_scc0 .LBB417_623
; %bb.612:
	global_load_ubyte v1, v[2:3], off
	s_movk_i32 s2, 0x7f
	s_waitcnt vmcnt(0)
	v_cmp_lt_i16_e32 vcc, s2, v1
	s_mov_b64 s[2:3], 0
	s_and_saveexec_b64 s[6:7], vcc
	s_xor_b64 s[6:7], exec, s[6:7]
	s_cbranch_execz .LBB417_635
; %bb.613:
	s_movk_i32 s2, 0x80
	v_cmp_eq_u16_e32 vcc, s2, v1
	s_mov_b64 s[2:3], -1
	s_and_saveexec_b64 s[8:9], vcc
; %bb.614:
	s_xor_b64 s[2:3], exec, -1
; %bb.615:
	s_or_b64 exec, exec, s[8:9]
	s_and_b64 s[2:3], s[2:3], exec
	s_or_saveexec_b64 s[6:7], s[6:7]
	v_mov_b32_e32 v4, 0x7f800001
	s_xor_b64 exec, exec, s[6:7]
	s_cbranch_execnz .LBB417_636
.LBB417_616:
	s_or_b64 exec, exec, s[6:7]
	s_and_saveexec_b64 s[6:7], s[2:3]
	s_cbranch_execz .LBB417_618
.LBB417_617:
	v_lshlrev_b32_e32 v4, 24, v1
	v_and_b32_e32 v1, 0xffff, v1
	v_and_b32_e32 v5, 3, v1
	v_ffbh_u32_e32 v7, v5
	v_min_u32_e32 v7, 32, v7
	v_subrev_u32_e32 v9, 29, v7
	v_bfe_u32 v6, v1, 2, 5
	v_lshlrev_b32_e32 v1, v9, v1
	v_sub_u32_e32 v7, 30, v7
	v_and_b32_e32 v1, 3, v1
	v_cmp_eq_u32_e32 vcc, 0, v6
	v_and_b32_e32 v4, 0x80000000, v4
	s_nop 0
	v_cndmask_b32_e32 v6, v6, v7, vcc
	v_cndmask_b32_e32 v1, v5, v1, vcc
	v_mov_b32_e32 v5, 0x37800000
	v_lshlrev_b32_e32 v1, 21, v1
	v_lshl_add_u32 v5, v6, 23, v5
	v_or3_b32 v4, v4, v5, v1
.LBB417_618:
	s_or_b64 exec, exec, s[6:7]
	v_bfe_u32 v1, v4, 16, 1
	s_movk_i32 s2, 0x7fff
	v_add3_u32 v1, v4, v1, s2
	v_cmp_o_f32_e32 vcc, v4, v4
	v_mov_b32_e32 v4, 0x7fc0
	s_mov_b64 s[2:3], 0
	v_cndmask_b32_sdwa v1, v4, v1, vcc dst_sel:DWORD dst_unused:UNUSED_PAD src0_sel:DWORD src1_sel:WORD_1
	s_branch .LBB417_624
.LBB417_619:
	s_mov_b64 s[6:7], -1
                                        ; implicit-def: $vgpr1
	s_branch .LBB417_630
.LBB417_620:
	s_or_saveexec_b64 s[6:7], s[6:7]
	v_mov_b32_e32 v4, 0x7f800001
	s_xor_b64 exec, exec, s[6:7]
	s_cbranch_execz .LBB417_603
.LBB417_621:
	v_cmp_ne_u16_e32 vcc, 0, v1
	s_andn2_b64 s[2:3], s[2:3], exec
	s_and_b64 s[8:9], vcc, exec
	v_mov_b32_e32 v4, 0
	s_or_b64 s[2:3], s[2:3], s[8:9]
	s_or_b64 exec, exec, s[6:7]
	s_and_saveexec_b64 s[6:7], s[2:3]
	s_cbranch_execnz .LBB417_604
	s_branch .LBB417_605
.LBB417_622:
	s_mov_b64 s[2:3], -1
                                        ; implicit-def: $vgpr1
	s_branch .LBB417_627
.LBB417_623:
	s_mov_b64 s[2:3], -1
                                        ; implicit-def: $vgpr1
.LBB417_624:
	s_and_b64 vcc, exec, s[2:3]
	s_cbranch_vccz .LBB417_626
; %bb.625:
	global_load_ubyte v1, v[2:3], off
	s_mov_b32 s2, 0x7f800000
	s_brev_b32 s3, 1
	s_movk_i32 s6, 0x7fff
	s_waitcnt vmcnt(0)
	v_lshlrev_b32_e32 v1, 24, v1
	v_and_b32_e32 v4, 0x7f000000, v1
	v_ffbh_u32_e32 v5, v4
	v_min_u32_e32 v5, 32, v5
	v_sub_u32_e64 v5, v5, 4 clamp
	v_lshlrev_b32_e32 v7, v5, v4
	v_lshlrev_b32_e32 v5, 23, v5
	v_lshrrev_b32_e32 v7, 4, v7
	v_add_u32_e32 v6, 0x1000000, v4
	v_sub_u32_e32 v5, v7, v5
	v_ashrrev_i32_e32 v6, 8, v6
	v_add_u32_e32 v5, 0x3c000000, v5
	v_and_or_b32 v5, v6, s2, v5
	v_cmp_ne_u32_e32 vcc, 0, v4
	s_nop 1
	v_cndmask_b32_e32 v4, 0, v5, vcc
	v_and_or_b32 v1, v1, s3, v4
	v_bfe_u32 v4, v4, 16, 1
	v_add3_u32 v4, v1, v4, s6
	v_cmp_o_f32_e32 vcc, v1, v1
	v_mov_b32_e32 v1, 0x7fc0
	s_nop 0
	v_cndmask_b32_sdwa v1, v1, v4, vcc dst_sel:DWORD dst_unused:UNUSED_PAD src0_sel:DWORD src1_sel:WORD_1
.LBB417_626:
	s_mov_b64 s[2:3], 0
.LBB417_627:
	s_andn2_b64 vcc, exec, s[2:3]
	s_cbranch_vccnz .LBB417_629
; %bb.628:
	global_load_ubyte v1, v[2:3], off
	s_movk_i32 s2, 0x7f00
	s_brev_b32 s3, 16
	s_brev_b32 s6, 1
	s_movk_i32 s7, 0x7fff
	s_waitcnt vmcnt(0)
	v_lshlrev_b16_e32 v4, 8, v1
	v_lshlrev_b32_e32 v1, 25, v1
	v_lshrrev_b32_e32 v5, 4, v1
	v_and_or_b32 v6, v4, s2, 0.5
	v_or_b32_e32 v5, 0x70000000, v5
	v_add_f32_e32 v6, -0.5, v6
	v_mul_f32_e32 v5, 0x7800000, v5
	v_cmp_gt_u32_e32 vcc, s3, v1
	v_bfe_i32 v4, v4, 0, 16
	s_nop 0
	v_cndmask_b32_e32 v1, v5, v6, vcc
	v_and_or_b32 v4, v4, s6, v1
	v_bfe_u32 v1, v1, 16, 1
	v_add3_u32 v1, v4, v1, s7
	v_cmp_o_f32_e32 vcc, v4, v4
	v_mov_b32_e32 v4, 0x7fc0
	s_nop 0
	v_cndmask_b32_sdwa v1, v4, v1, vcc dst_sel:DWORD dst_unused:UNUSED_PAD src0_sel:DWORD src1_sel:WORD_1
.LBB417_629:
	s_mov_b64 s[6:7], 0
	s_mov_b64 s[2:3], -1
.LBB417_630:
	s_andn2_b64 vcc, exec, s[6:7]
	s_cbranch_vccnz .LBB417_643
; %bb.631:
	s_cmp_gt_i32 s10, 14
	s_cbranch_scc0 .LBB417_634
; %bb.632:
	s_cmp_eq_u32 s10, 15
	s_cbranch_scc0 .LBB417_637
; %bb.633:
	global_load_ushort v1, v[2:3], off
	s_mov_b64 s[2:3], -1
	s_mov_b64 s[4:5], 0
	s_branch .LBB417_638
.LBB417_634:
	s_mov_b64 s[6:7], -1
                                        ; implicit-def: $vgpr1
	s_branch .LBB417_639
.LBB417_635:
	s_or_saveexec_b64 s[6:7], s[6:7]
	v_mov_b32_e32 v4, 0x7f800001
	s_xor_b64 exec, exec, s[6:7]
	s_cbranch_execz .LBB417_616
.LBB417_636:
	v_cmp_ne_u16_e32 vcc, 0, v1
	s_andn2_b64 s[2:3], s[2:3], exec
	s_and_b64 s[8:9], vcc, exec
	v_mov_b32_e32 v4, 0
	s_or_b64 s[2:3], s[2:3], s[8:9]
	s_or_b64 exec, exec, s[6:7]
	s_and_saveexec_b64 s[6:7], s[2:3]
	s_cbranch_execnz .LBB417_617
	s_branch .LBB417_618
.LBB417_637:
	s_mov_b64 s[4:5], -1
                                        ; implicit-def: $vgpr1
.LBB417_638:
	s_mov_b64 s[6:7], 0
.LBB417_639:
	s_and_b64 vcc, exec, s[6:7]
	s_cbranch_vccz .LBB417_643
; %bb.640:
	s_cmp_eq_u32 s10, 11
	s_cbranch_scc0 .LBB417_642
; %bb.641:
	global_load_ubyte v1, v[2:3], off
	s_mov_b64 s[2:3], -1
	s_mov_b64 s[4:5], 0
	s_waitcnt vmcnt(0)
	v_cmp_ne_u16_e32 vcc, 0, v1
	s_nop 1
	v_cndmask_b32_e64 v1, 0, 1.0, vcc
	v_lshrrev_b32_e32 v1, 16, v1
	s_branch .LBB417_643
.LBB417_642:
	s_mov_b64 s[4:5], -1
                                        ; implicit-def: $vgpr1
.LBB417_643:
	s_mov_b64 s[6:7], 0
.LBB417_644:
	s_and_b64 vcc, exec, s[6:7]
	s_cbranch_vccz .LBB417_693
; %bb.645:
	s_cmp_lt_i32 s10, 5
	s_cbranch_scc1 .LBB417_650
; %bb.646:
	s_cmp_lt_i32 s10, 8
	s_cbranch_scc1 .LBB417_651
	;; [unrolled: 3-line block ×3, first 2 shown]
; %bb.648:
	s_cmp_gt_i32 s10, 9
	s_cbranch_scc0 .LBB417_653
; %bb.649:
	global_load_dwordx2 v[4:5], v[2:3], off
	s_movk_i32 s2, 0x7fff
	s_waitcnt vmcnt(1)
	v_mov_b32_e32 v1, 0x7fc0
	s_waitcnt vmcnt(0)
	v_cvt_f32_f64_e32 v4, v[4:5]
	v_bfe_u32 v5, v4, 16, 1
	v_cmp_o_f32_e32 vcc, v4, v4
	v_add3_u32 v4, v4, v5, s2
	s_mov_b64 s[2:3], 0
	v_cndmask_b32_sdwa v1, v1, v4, vcc dst_sel:DWORD dst_unused:UNUSED_PAD src0_sel:DWORD src1_sel:WORD_1
	s_branch .LBB417_654
.LBB417_650:
	s_mov_b64 s[2:3], -1
                                        ; implicit-def: $vgpr1
	s_branch .LBB417_672
.LBB417_651:
	s_mov_b64 s[2:3], -1
                                        ; implicit-def: $vgpr1
	s_branch .LBB417_660
.LBB417_652:
	s_mov_b64 s[2:3], -1
                                        ; implicit-def: $vgpr1
	s_branch .LBB417_657
.LBB417_653:
	s_mov_b64 s[2:3], -1
                                        ; implicit-def: $vgpr1
.LBB417_654:
	s_andn2_b64 vcc, exec, s[2:3]
	s_cbranch_vccnz .LBB417_656
; %bb.655:
	global_load_dword v1, v[2:3], off
	s_movk_i32 s2, 0x7fff
	v_mov_b32_e32 v4, 0x7fc0
	s_waitcnt vmcnt(0)
	v_bfe_u32 v5, v1, 16, 1
	v_cmp_o_f32_e32 vcc, v1, v1
	v_add3_u32 v1, v1, v5, s2
	s_nop 0
	v_cndmask_b32_sdwa v1, v4, v1, vcc dst_sel:DWORD dst_unused:UNUSED_PAD src0_sel:DWORD src1_sel:WORD_1
.LBB417_656:
	s_mov_b64 s[2:3], 0
.LBB417_657:
	s_andn2_b64 vcc, exec, s[2:3]
	s_cbranch_vccnz .LBB417_659
; %bb.658:
	global_load_dword v1, v[2:3], off
	s_movk_i32 s2, 0x7fff
	v_mov_b32_e32 v5, 0x7fc0
	s_waitcnt vmcnt(0)
	v_cvt_f32_f16_e32 v4, v1
	v_cmp_o_f16_e32 vcc, v1, v1
	v_bfe_u32 v1, v4, 16, 1
	v_add3_u32 v1, v4, v1, s2
	v_cndmask_b32_sdwa v1, v5, v1, vcc dst_sel:DWORD dst_unused:UNUSED_PAD src0_sel:DWORD src1_sel:WORD_1
.LBB417_659:
	s_mov_b64 s[2:3], 0
.LBB417_660:
	s_andn2_b64 vcc, exec, s[2:3]
	s_cbranch_vccnz .LBB417_671
; %bb.661:
	s_cmp_lt_i32 s10, 6
	s_cbranch_scc1 .LBB417_664
; %bb.662:
	s_cmp_gt_i32 s10, 6
	s_cbranch_scc0 .LBB417_665
; %bb.663:
	global_load_dwordx2 v[4:5], v[2:3], off
	s_movk_i32 s2, 0x7fff
	s_waitcnt vmcnt(1)
	v_mov_b32_e32 v1, 0x7fc0
	s_waitcnt vmcnt(0)
	v_cvt_f32_f64_e32 v4, v[4:5]
	v_bfe_u32 v5, v4, 16, 1
	v_cmp_o_f32_e32 vcc, v4, v4
	v_add3_u32 v4, v4, v5, s2
	s_mov_b64 s[2:3], 0
	v_cndmask_b32_sdwa v1, v1, v4, vcc dst_sel:DWORD dst_unused:UNUSED_PAD src0_sel:DWORD src1_sel:WORD_1
	s_branch .LBB417_666
.LBB417_664:
	s_mov_b64 s[2:3], -1
                                        ; implicit-def: $vgpr1
	s_branch .LBB417_669
.LBB417_665:
	s_mov_b64 s[2:3], -1
                                        ; implicit-def: $vgpr1
.LBB417_666:
	s_andn2_b64 vcc, exec, s[2:3]
	s_cbranch_vccnz .LBB417_668
; %bb.667:
	global_load_dword v1, v[2:3], off
	s_movk_i32 s2, 0x7fff
	v_mov_b32_e32 v4, 0x7fc0
	s_waitcnt vmcnt(0)
	v_bfe_u32 v5, v1, 16, 1
	v_cmp_o_f32_e32 vcc, v1, v1
	v_add3_u32 v1, v1, v5, s2
	s_nop 0
	v_cndmask_b32_sdwa v1, v4, v1, vcc dst_sel:DWORD dst_unused:UNUSED_PAD src0_sel:DWORD src1_sel:WORD_1
.LBB417_668:
	s_mov_b64 s[2:3], 0
.LBB417_669:
	s_andn2_b64 vcc, exec, s[2:3]
	s_cbranch_vccnz .LBB417_671
; %bb.670:
	global_load_ushort v1, v[2:3], off
	s_movk_i32 s2, 0x7fff
	v_mov_b32_e32 v5, 0x7fc0
	s_waitcnt vmcnt(0)
	v_cvt_f32_f16_e32 v4, v1
	v_cmp_o_f16_e32 vcc, v1, v1
	v_bfe_u32 v1, v4, 16, 1
	v_add3_u32 v1, v4, v1, s2
	v_cndmask_b32_sdwa v1, v5, v1, vcc dst_sel:DWORD dst_unused:UNUSED_PAD src0_sel:DWORD src1_sel:WORD_1
.LBB417_671:
	s_mov_b64 s[2:3], 0
.LBB417_672:
	s_andn2_b64 vcc, exec, s[2:3]
	s_cbranch_vccnz .LBB417_692
; %bb.673:
	s_cmp_lt_i32 s10, 2
	s_cbranch_scc1 .LBB417_677
; %bb.674:
	s_cmp_lt_i32 s10, 3
	s_cbranch_scc1 .LBB417_678
; %bb.675:
	s_cmp_gt_i32 s10, 3
	s_cbranch_scc0 .LBB417_679
; %bb.676:
	global_load_dwordx2 v[4:5], v[2:3], off
	s_movk_i32 s2, 0x7fff
	s_waitcnt vmcnt(0)
	v_xor_b32_e32 v6, v4, v5
	v_ffbh_i32_e32 v1, v5
	v_ashrrev_i32_e32 v6, 31, v6
	v_add_u32_e32 v1, -1, v1
	v_add_u32_e32 v6, 32, v6
	v_min_u32_e32 v1, v1, v6
	v_lshlrev_b64 v[4:5], v1, v[4:5]
	v_min_u32_e32 v4, 1, v4
	v_or_b32_e32 v4, v5, v4
	v_cvt_f32_i32_e32 v4, v4
	v_sub_u32_e32 v1, 32, v1
	v_ldexp_f32 v1, v4, v1
	v_bfe_u32 v4, v1, 16, 1
	v_add3_u32 v1, v1, v4, s2
	v_lshrrev_b32_e32 v1, 16, v1
	s_mov_b64 s[2:3], 0
	s_branch .LBB417_680
.LBB417_677:
	s_mov_b64 s[2:3], -1
                                        ; implicit-def: $vgpr1
	s_branch .LBB417_686
.LBB417_678:
	s_mov_b64 s[2:3], -1
                                        ; implicit-def: $vgpr1
	s_branch .LBB417_683
.LBB417_679:
	s_mov_b64 s[2:3], -1
                                        ; implicit-def: $vgpr1
.LBB417_680:
	s_andn2_b64 vcc, exec, s[2:3]
	s_cbranch_vccnz .LBB417_682
; %bb.681:
	global_load_dword v1, v[2:3], off
	s_movk_i32 s2, 0x7fff
	s_waitcnt vmcnt(0)
	v_cvt_f32_i32_e32 v1, v1
	v_bfe_u32 v4, v1, 16, 1
	v_add3_u32 v1, v1, v4, s2
	v_lshrrev_b32_e32 v1, 16, v1
.LBB417_682:
	s_mov_b64 s[2:3], 0
.LBB417_683:
	s_andn2_b64 vcc, exec, s[2:3]
	s_cbranch_vccnz .LBB417_685
; %bb.684:
	global_load_sshort v1, v[2:3], off
	s_movk_i32 s2, 0x7fff
	s_waitcnt vmcnt(0)
	v_cvt_f32_i32_e32 v1, v1
	v_bfe_u32 v4, v1, 16, 1
	v_add3_u32 v1, v1, v4, s2
	v_lshrrev_b32_e32 v1, 16, v1
.LBB417_685:
	s_mov_b64 s[2:3], 0
.LBB417_686:
	s_andn2_b64 vcc, exec, s[2:3]
	s_cbranch_vccnz .LBB417_692
; %bb.687:
	s_cmp_gt_i32 s10, 0
	s_cbranch_scc0 .LBB417_689
; %bb.688:
	global_load_sbyte v1, v[2:3], off
	s_movk_i32 s2, 0x7fff
	s_waitcnt vmcnt(0)
	v_cvt_f32_i32_e32 v1, v1
	v_bfe_u32 v4, v1, 16, 1
	v_add3_u32 v1, v1, v4, s2
	v_lshrrev_b32_e32 v1, 16, v1
	s_mov_b64 s[2:3], 0
	s_branch .LBB417_690
.LBB417_689:
	s_mov_b64 s[2:3], -1
                                        ; implicit-def: $vgpr1
.LBB417_690:
	s_andn2_b64 vcc, exec, s[2:3]
	s_cbranch_vccnz .LBB417_692
; %bb.691:
	global_load_ubyte v1, v[2:3], off
	s_movk_i32 s2, 0x7fff
	s_waitcnt vmcnt(0)
	v_cvt_f32_ubyte0_e32 v1, v1
	v_bfe_u32 v2, v1, 16, 1
	v_add3_u32 v1, v1, v2, s2
	v_lshrrev_b32_e32 v1, 16, v1
.LBB417_692:
	s_mov_b64 s[2:3], -1
.LBB417_693:
	s_andn2_b64 vcc, exec, s[2:3]
	s_cbranch_vccnz .LBB417_701
; %bb.694:
	s_waitcnt vmcnt(0)
	v_lshlrev_b32_e32 v2, 16, v1
	v_cmp_u_f32_e32 vcc, v2, v2
	v_cmp_lt_f32_e64 s[2:3], s75, v2
	v_mov_b32_e32 v2, s74
	s_or_b64 vcc, vcc, s[2:3]
	v_cndmask_b32_e32 v2, v2, v1, vcc
	v_mov_b32_e32 v1, 0
	s_and_b32 s12, s73, 0xff
	s_cmp_lt_i32 s12, 11
	v_lshl_add_u64 v[0:1], s[20:21], 0, v[0:1]
	s_cbranch_scc1 .LBB417_702
; %bb.695:
	s_and_b32 s13, 0xffff, s12
	s_cmp_gt_i32 s13, 25
	s_cbranch_scc0 .LBB417_703
; %bb.696:
	s_cmp_gt_i32 s13, 28
	s_cbranch_scc0 .LBB417_704
; %bb.697:
	s_cmp_gt_i32 s13, 43
	s_cbranch_scc0 .LBB417_705
; %bb.698:
	s_cmp_gt_i32 s13, 45
	s_cbranch_scc0 .LBB417_706
; %bb.699:
	s_mov_b64 s[8:9], 0
	s_mov_b64 s[2:3], -1
	s_cmp_eq_u32 s13, 46
	s_mov_b64 s[6:7], 0
	s_cbranch_scc0 .LBB417_707
; %bb.700:
	v_and_b32_e32 v3, 0xffff, v2
	global_store_dword v[0:1], v3, off
	s_mov_b64 s[6:7], -1
	s_mov_b64 s[2:3], 0
	s_branch .LBB417_707
.LBB417_701:
	s_mov_b64 s[6:7], 0
	s_mov_b64 s[2:3], s[62:63]
	s_branch .LBB417_818
.LBB417_702:
	s_mov_b64 s[8:9], -1
	s_mov_b64 s[6:7], 0
	s_mov_b64 s[2:3], s[62:63]
	s_branch .LBB417_776
.LBB417_703:
	s_mov_b64 s[8:9], -1
	s_mov_b64 s[6:7], 0
	s_mov_b64 s[2:3], s[62:63]
	s_branch .LBB417_734
.LBB417_704:
	s_mov_b64 s[8:9], -1
	s_mov_b64 s[6:7], 0
	s_mov_b64 s[2:3], s[62:63]
	s_branch .LBB417_717
.LBB417_705:
	s_mov_b64 s[8:9], -1
	s_mov_b64 s[6:7], 0
	s_mov_b64 s[2:3], s[62:63]
	s_branch .LBB417_713
.LBB417_706:
	s_mov_b64 s[8:9], -1
	s_mov_b64 s[6:7], 0
	s_mov_b64 s[2:3], s[62:63]
.LBB417_707:
	s_and_b64 vcc, exec, s[8:9]
	s_cbranch_vccz .LBB417_712
; %bb.708:
	s_cmp_eq_u32 s13, 44
	s_mov_b64 s[2:3], -1
	s_cbranch_scc0 .LBB417_712
; %bb.709:
	v_and_b32_e32 v4, 0xffff, v2
	v_bfe_u32 v3, v4, 7, 8
	s_movk_i32 s2, 0xff
	v_cmp_ne_u32_e32 vcc, s2, v3
	v_mov_b32_e32 v5, 0xff
	s_and_saveexec_b64 s[6:7], vcc
	s_cbranch_execz .LBB417_711
; %bb.710:
	v_lshlrev_b32_e32 v6, 16, v4
	s_mov_b32 s2, 0x3f0000
	v_lshrrev_b32_e32 v5, 7, v4
	v_and_b32_e32 v4, 64, v4
	v_and_or_b32 v3, v6, s2, v3
	v_cmp_ne_u32_e32 vcc, 0, v4
	v_cmp_ne_u32_e64 s[2:3], 0, v3
	s_and_b64 s[2:3], vcc, s[2:3]
	s_nop 0
	v_cndmask_b32_e64 v3, 0, 1, s[2:3]
	v_add_u32_e32 v5, v5, v3
.LBB417_711:
	s_or_b64 exec, exec, s[6:7]
	s_mov_b64 s[6:7], -1
	s_mov_b64 s[2:3], 0
	global_store_byte v[0:1], v5, off
.LBB417_712:
	s_mov_b64 s[8:9], 0
.LBB417_713:
	s_and_b64 vcc, exec, s[8:9]
	s_cbranch_vccz .LBB417_716
; %bb.714:
	s_cmp_eq_u32 s13, 29
	s_mov_b64 s[2:3], -1
	s_cbranch_scc0 .LBB417_716
; %bb.715:
	v_lshlrev_b32_e32 v3, 16, v2
	v_trunc_f32_e32 v3, v3
	v_mul_f32_e32 v4, 0x2f800000, v3
	v_floor_f32_e32 v4, v4
	v_fmamk_f32 v3, v4, 0xcf800000, v3
	v_cvt_u32_f32_e32 v5, v4
	v_cvt_u32_f32_e32 v4, v3
	s_mov_b64 s[6:7], -1
	s_mov_b64 s[2:3], 0
	s_mov_b64 s[8:9], 0
	global_store_dwordx2 v[0:1], v[4:5], off
	s_branch .LBB417_717
.LBB417_716:
	s_mov_b64 s[8:9], 0
.LBB417_717:
	s_and_b64 vcc, exec, s[8:9]
	s_cbranch_vccz .LBB417_733
; %bb.718:
	s_cmp_lt_i32 s13, 27
	s_mov_b64 s[6:7], -1
	s_cbranch_scc1 .LBB417_724
; %bb.719:
	s_cmp_gt_i32 s13, 27
	s_cbranch_scc0 .LBB417_721
; %bb.720:
	v_lshlrev_b32_e32 v3, 16, v2
	v_cvt_u32_f32_e32 v3, v3
	s_mov_b64 s[6:7], 0
	global_store_dword v[0:1], v3, off
.LBB417_721:
	s_andn2_b64 vcc, exec, s[6:7]
	s_cbranch_vccnz .LBB417_723
; %bb.722:
	v_lshlrev_b32_e32 v3, 16, v2
	v_cvt_u32_f32_e32 v3, v3
	global_store_short v[0:1], v3, off
.LBB417_723:
	s_mov_b64 s[6:7], 0
.LBB417_724:
	s_andn2_b64 vcc, exec, s[6:7]
	s_cbranch_vccnz .LBB417_732
; %bb.725:
	v_lshlrev_b32_e32 v5, 16, v2
	v_and_b32_e32 v4, 0x7fffffff, v5
	s_mov_b32 s6, 0x43800000
	v_cmp_gt_u32_e32 vcc, s6, v4
	v_mov_b32_e32 v6, 0x80
	s_and_saveexec_b64 s[6:7], vcc
	s_cbranch_execz .LBB417_731
; %bb.726:
	s_mov_b32 s8, 0x3bffffff
	v_and_b32_e32 v3, 0xffff, v2
	v_cmp_lt_u32_e32 vcc, s8, v4
	s_mov_b64 s[8:9], 0
                                        ; implicit-def: $vgpr4
	s_and_saveexec_b64 s[10:11], vcc
	s_xor_b64 s[10:11], exec, s[10:11]
	s_cbranch_execz .LBB417_849
; %bb.727:
	v_bfe_u32 v4, v3, 4, 1
	s_mov_b32 s14, 0x487ffff
	v_add3_u32 v4, v5, v4, s14
	s_mov_b64 s[8:9], exec
	v_lshrrev_b32_e32 v4, 20, v4
                                        ; implicit-def: $vgpr5
	s_andn2_saveexec_b64 s[10:11], s[10:11]
	s_cbranch_execnz .LBB417_850
.LBB417_728:
	s_or_b64 exec, exec, s[10:11]
	v_mov_b32_e32 v6, 0
	s_and_saveexec_b64 s[10:11], s[8:9]
.LBB417_729:
	v_lshrrev_b32_e32 v3, 8, v3
	s_movk_i32 s8, 0x80
	v_and_or_b32 v6, v3, s8, v4
.LBB417_730:
	s_or_b64 exec, exec, s[10:11]
.LBB417_731:
	s_or_b64 exec, exec, s[6:7]
	global_store_byte v[0:1], v6, off
.LBB417_732:
	s_mov_b64 s[6:7], -1
.LBB417_733:
	s_mov_b64 s[8:9], 0
.LBB417_734:
	s_and_b64 vcc, exec, s[8:9]
	s_cbranch_vccz .LBB417_775
; %bb.735:
	s_cmp_gt_i32 s13, 22
	s_mov_b64 s[8:9], -1
	s_cbranch_scc0 .LBB417_767
; %bb.736:
	s_cmp_lt_i32 s13, 24
	s_mov_b64 s[6:7], -1
	s_cbranch_scc1 .LBB417_756
; %bb.737:
	s_cmp_gt_i32 s13, 24
	s_cbranch_scc0 .LBB417_745
; %bb.738:
	v_lshlrev_b32_e32 v5, 16, v2
	v_and_b32_e32 v4, 0x7fffffff, v5
	s_mov_b32 s6, 0x47800000
	v_cmp_gt_u32_e32 vcc, s6, v4
	v_mov_b32_e32 v6, 0x80
	s_and_saveexec_b64 s[6:7], vcc
	s_cbranch_execz .LBB417_744
; %bb.739:
	s_mov_b32 s8, 0x37ffffff
	v_and_b32_e32 v3, 0xffff, v2
	v_cmp_lt_u32_e32 vcc, s8, v4
	s_mov_b64 s[8:9], 0
                                        ; implicit-def: $vgpr4
	s_and_saveexec_b64 s[10:11], vcc
	s_xor_b64 s[10:11], exec, s[10:11]
	s_cbranch_execz .LBB417_852
; %bb.740:
	v_bfe_u32 v4, v3, 5, 1
	s_mov_b32 s14, 0x88fffff
	v_add3_u32 v4, v5, v4, s14
	s_mov_b64 s[8:9], exec
	v_lshrrev_b32_e32 v4, 21, v4
                                        ; implicit-def: $vgpr5
	s_andn2_saveexec_b64 s[10:11], s[10:11]
	s_cbranch_execnz .LBB417_853
.LBB417_741:
	s_or_b64 exec, exec, s[10:11]
	v_mov_b32_e32 v6, 0
	s_and_saveexec_b64 s[10:11], s[8:9]
.LBB417_742:
	v_lshrrev_b32_e32 v3, 8, v3
	s_movk_i32 s8, 0x80
	v_and_or_b32 v6, v3, s8, v4
.LBB417_743:
	s_or_b64 exec, exec, s[10:11]
.LBB417_744:
	s_or_b64 exec, exec, s[6:7]
	s_mov_b64 s[6:7], 0
	global_store_byte v[0:1], v6, off
.LBB417_745:
	s_and_b64 vcc, exec, s[6:7]
	s_cbranch_vccz .LBB417_755
; %bb.746:
	v_lshlrev_b32_e32 v5, 16, v2
	v_and_b32_e32 v6, 0x7fffffff, v5
	s_mov_b32 s6, 0x43f00000
	v_and_b32_e32 v3, 0xffff, v2
	v_cmp_gt_u32_e32 vcc, s6, v6
                                        ; implicit-def: $vgpr4
	s_and_saveexec_b64 s[6:7], vcc
	s_xor_b64 s[6:7], exec, s[6:7]
	s_cbranch_execz .LBB417_752
; %bb.747:
	s_mov_b32 s8, 0x3c7fffff
	v_cmp_lt_u32_e32 vcc, s8, v6
                                        ; implicit-def: $vgpr4
	s_and_saveexec_b64 s[8:9], vcc
	s_xor_b64 s[8:9], exec, s[8:9]
; %bb.748:
	v_bfe_u32 v4, v3, 4, 1
	s_mov_b32 s10, 0x407ffff
	v_add3_u32 v4, v5, v4, s10
	v_lshrrev_b32_e32 v5, 20, v4
	v_and_b32_e32 v4, 0xff00000, v4
	s_mov_b32 s10, 0x7f00000
	v_mov_b32_e32 v6, 0x7e
	v_cmp_ne_u32_e32 vcc, s10, v4
	s_nop 1
	v_cndmask_b32_e32 v4, v6, v5, vcc
                                        ; implicit-def: $vgpr5
; %bb.749:
	s_andn2_saveexec_b64 s[8:9], s[8:9]
; %bb.750:
	s_mov_b32 s10, 0x46800000
	v_add_f32_e64 v4, |v5|, s10
; %bb.751:
	s_or_b64 exec, exec, s[8:9]
                                        ; implicit-def: $vgpr6
.LBB417_752:
	s_andn2_saveexec_b64 s[6:7], s[6:7]
; %bb.753:
	s_mov_b32 s8, 0x7f800000
	v_mov_b32_e32 v4, 0x7e
	v_mov_b32_e32 v5, 0x7f
	v_cmp_lt_u32_e32 vcc, s8, v6
	s_nop 1
	v_cndmask_b32_e32 v4, v4, v5, vcc
; %bb.754:
	s_or_b64 exec, exec, s[6:7]
	v_lshrrev_b32_e32 v3, 8, v3
	s_movk_i32 s6, 0x80
	v_and_or_b32 v3, v3, s6, v4
	global_store_byte v[0:1], v3, off
.LBB417_755:
	s_mov_b64 s[6:7], 0
.LBB417_756:
	s_andn2_b64 vcc, exec, s[6:7]
	s_cbranch_vccnz .LBB417_766
; %bb.757:
	v_lshlrev_b32_e32 v5, 16, v2
	v_and_b32_e32 v6, 0x7fffffff, v5
	s_mov_b32 s6, 0x47800000
	v_and_b32_e32 v3, 0xffff, v2
	v_cmp_gt_u32_e32 vcc, s6, v6
                                        ; implicit-def: $vgpr4
	s_and_saveexec_b64 s[6:7], vcc
	s_xor_b64 s[6:7], exec, s[6:7]
	s_cbranch_execz .LBB417_763
; %bb.758:
	s_mov_b32 s8, 0x387fffff
	v_cmp_lt_u32_e32 vcc, s8, v6
                                        ; implicit-def: $vgpr4
	s_and_saveexec_b64 s[8:9], vcc
	s_xor_b64 s[8:9], exec, s[8:9]
; %bb.759:
	v_bfe_u32 v4, v3, 5, 1
	s_mov_b32 s10, 0x80fffff
	v_add3_u32 v4, v5, v4, s10
	v_lshrrev_b32_e32 v4, 21, v4
                                        ; implicit-def: $vgpr5
; %bb.760:
	s_andn2_saveexec_b64 s[8:9], s[8:9]
; %bb.761:
	s_mov_b32 s10, 0x43000000
	v_add_f32_e64 v4, |v5|, s10
; %bb.762:
	s_or_b64 exec, exec, s[8:9]
                                        ; implicit-def: $vgpr6
.LBB417_763:
	s_andn2_saveexec_b64 s[6:7], s[6:7]
; %bb.764:
	s_mov_b32 s8, 0x7f800000
	v_mov_b32_e32 v4, 0x7c
	v_mov_b32_e32 v5, 0x7f
	v_cmp_lt_u32_e32 vcc, s8, v6
	s_nop 1
	v_cndmask_b32_e32 v4, v4, v5, vcc
; %bb.765:
	s_or_b64 exec, exec, s[6:7]
	v_lshrrev_b32_e32 v3, 8, v3
	s_movk_i32 s6, 0x80
	v_and_or_b32 v3, v3, s6, v4
	global_store_byte v[0:1], v3, off
.LBB417_766:
	s_mov_b64 s[8:9], 0
	s_mov_b64 s[6:7], -1
.LBB417_767:
	s_andn2_b64 vcc, exec, s[8:9]
	s_cbranch_vccnz .LBB417_775
; %bb.768:
	s_cmp_gt_i32 s13, 14
	s_mov_b64 s[8:9], -1
	s_cbranch_scc0 .LBB417_772
; %bb.769:
	s_cmp_eq_u32 s13, 15
	s_mov_b64 s[2:3], -1
	s_cbranch_scc0 .LBB417_771
; %bb.770:
	global_store_short v[0:1], v2, off
	s_mov_b64 s[6:7], -1
	s_mov_b64 s[2:3], 0
.LBB417_771:
	s_mov_b64 s[8:9], 0
.LBB417_772:
	s_and_b64 vcc, exec, s[8:9]
	s_cbranch_vccz .LBB417_775
; %bb.773:
	s_cmp_eq_u32 s13, 11
	s_mov_b64 s[2:3], -1
	s_cbranch_scc0 .LBB417_775
; %bb.774:
	v_and_b32_e32 v3, 0x7fff, v2
	v_cmp_ne_u16_e32 vcc, 0, v3
	s_mov_b64 s[6:7], -1
	s_mov_b64 s[2:3], 0
	v_cndmask_b32_e64 v3, 0, 1, vcc
	global_store_byte v[0:1], v3, off
.LBB417_775:
	s_mov_b64 s[8:9], 0
.LBB417_776:
	s_and_b64 vcc, exec, s[8:9]
	s_cbranch_vccz .LBB417_815
; %bb.777:
	s_and_b32 s8, 0xffff, s12
	s_cmp_lt_i32 s8, 5
	s_mov_b64 s[6:7], -1
	s_cbranch_scc1 .LBB417_798
; %bb.778:
	s_cmp_lt_i32 s8, 8
	s_cbranch_scc1 .LBB417_788
; %bb.779:
	s_cmp_lt_i32 s8, 9
	s_cbranch_scc1 .LBB417_785
; %bb.780:
	s_cmp_gt_i32 s8, 9
	s_cbranch_scc0 .LBB417_782
; %bb.781:
	v_lshlrev_b32_e32 v3, 16, v2
	v_mov_b32_e32 v6, 0
	v_cvt_f64_f32_e32 v[4:5], v3
	v_mov_b32_e32 v7, v6
	s_mov_b64 s[6:7], 0
	global_store_dwordx4 v[0:1], v[4:7], off
.LBB417_782:
	s_andn2_b64 vcc, exec, s[6:7]
	s_cbranch_vccnz .LBB417_784
; %bb.783:
	v_lshlrev_b32_e32 v4, 16, v2
	v_mov_b32_e32 v5, 0
	global_store_dwordx2 v[0:1], v[4:5], off
.LBB417_784:
	s_mov_b64 s[6:7], 0
.LBB417_785:
	s_andn2_b64 vcc, exec, s[6:7]
	s_cbranch_vccnz .LBB417_787
; %bb.786:
	v_lshlrev_b32_e32 v3, 16, v2
	v_cvt_f16_f32_e32 v3, v3
	global_store_dword v[0:1], v3, off
.LBB417_787:
	s_mov_b64 s[6:7], 0
.LBB417_788:
	s_andn2_b64 vcc, exec, s[6:7]
	s_cbranch_vccnz .LBB417_797
; %bb.789:
	s_cmp_lt_i32 s8, 6
	s_mov_b64 s[6:7], -1
	s_cbranch_scc1 .LBB417_795
; %bb.790:
	s_cmp_gt_i32 s8, 6
	s_cbranch_scc0 .LBB417_792
; %bb.791:
	v_lshlrev_b32_e32 v3, 16, v2
	v_cvt_f64_f32_e32 v[4:5], v3
	s_mov_b64 s[6:7], 0
	global_store_dwordx2 v[0:1], v[4:5], off
.LBB417_792:
	s_andn2_b64 vcc, exec, s[6:7]
	s_cbranch_vccnz .LBB417_794
; %bb.793:
	v_lshlrev_b32_e32 v3, 16, v2
	global_store_dword v[0:1], v3, off
.LBB417_794:
	s_mov_b64 s[6:7], 0
.LBB417_795:
	s_andn2_b64 vcc, exec, s[6:7]
	s_cbranch_vccnz .LBB417_797
; %bb.796:
	v_lshlrev_b32_e32 v3, 16, v2
	v_cvt_f16_f32_e32 v3, v3
	global_store_short v[0:1], v3, off
.LBB417_797:
	s_mov_b64 s[6:7], 0
.LBB417_798:
	s_andn2_b64 vcc, exec, s[6:7]
	s_cbranch_vccnz .LBB417_814
; %bb.799:
	s_cmp_lt_i32 s8, 2
	s_mov_b64 s[6:7], -1
	s_cbranch_scc1 .LBB417_809
; %bb.800:
	s_cmp_lt_i32 s8, 3
	s_cbranch_scc1 .LBB417_806
; %bb.801:
	s_cmp_gt_i32 s8, 3
	s_cbranch_scc0 .LBB417_803
; %bb.802:
	v_lshlrev_b32_e32 v3, 16, v2
	v_trunc_f32_e32 v3, v3
	s_mov_b32 s6, 0x2f800000
	v_mul_f32_e64 v4, |v3|, s6
	v_floor_f32_e32 v4, v4
	s_mov_b32 s6, 0xcf800000
	v_cvt_u32_f32_e32 v5, v4
	v_fma_f32 v4, v4, s6, |v3|
	v_cvt_u32_f32_e32 v4, v4
	v_ashrrev_i32_e32 v3, 31, v3
	v_xor_b32_e32 v5, v5, v3
	s_mov_b64 s[6:7], 0
	v_xor_b32_e32 v4, v4, v3
	v_sub_co_u32_e32 v4, vcc, v4, v3
	s_nop 1
	v_subb_co_u32_e32 v5, vcc, v5, v3, vcc
	global_store_dwordx2 v[0:1], v[4:5], off
.LBB417_803:
	s_andn2_b64 vcc, exec, s[6:7]
	s_cbranch_vccnz .LBB417_805
; %bb.804:
	v_lshlrev_b32_e32 v3, 16, v2
	v_cvt_i32_f32_e32 v3, v3
	global_store_dword v[0:1], v3, off
.LBB417_805:
	s_mov_b64 s[6:7], 0
.LBB417_806:
	s_andn2_b64 vcc, exec, s[6:7]
	s_cbranch_vccnz .LBB417_808
; %bb.807:
	v_lshlrev_b32_e32 v3, 16, v2
	v_cvt_i32_f32_e32 v3, v3
	global_store_short v[0:1], v3, off
.LBB417_808:
	s_mov_b64 s[6:7], 0
.LBB417_809:
	s_andn2_b64 vcc, exec, s[6:7]
	s_cbranch_vccnz .LBB417_814
; %bb.810:
	s_mov_b64 s[6:7], -1
	s_cmp_gt_i32 s8, 0
	v_lshlrev_b32_e32 v2, 16, v2
	s_cbranch_scc0 .LBB417_812
; %bb.811:
	v_cvt_i32_f32_e32 v3, v2
	s_mov_b64 s[6:7], 0
	global_store_byte v[0:1], v3, off
.LBB417_812:
	s_andn2_b64 vcc, exec, s[6:7]
	s_cbranch_vccnz .LBB417_814
; %bb.813:
	v_trunc_f32_e32 v2, v2
	s_mov_b32 s6, 0x2f800000
	v_mul_f32_e64 v3, |v2|, s6
	v_floor_f32_e32 v3, v3
	s_mov_b32 s6, 0xcf800000
	v_fma_f32 v3, v3, s6, |v2|
	v_cvt_u32_f32_e32 v3, v3
	v_ashrrev_i32_e32 v2, 31, v2
	v_xor_b32_e32 v3, v3, v2
	v_sub_u32_e32 v2, v3, v2
	global_store_byte v[0:1], v2, off
.LBB417_814:
	s_mov_b64 s[6:7], -1
.LBB417_815:
	s_andn2_b64 vcc, exec, s[6:7]
	s_cbranch_vccnz .LBB417_817
; %bb.816:
	v_add_u32_e32 v8, 0x80, v8
	s_mov_b64 s[6:7], -1
	s_branch .LBB417_819
.LBB417_817:
	s_mov_b64 s[6:7], 0
.LBB417_818:
                                        ; implicit-def: $vgpr8
.LBB417_819:
	s_andn2_b64 s[8:9], s[62:63], exec
	s_and_b64 s[2:3], s[2:3], exec
	s_or_b64 s[68:69], s[8:9], s[2:3]
	s_andn2_b64 s[2:3], s[60:61], exec
	s_and_b64 s[4:5], s[4:5], exec
	s_or_b64 s[2:3], s[2:3], s[4:5]
	s_orn2_b64 s[6:7], s[6:7], exec
.LBB417_820:
	s_or_b64 exec, exec, s[66:67]
	s_mov_b64 s[4:5], 0
	s_mov_b64 s[10:11], 0
	;; [unrolled: 1-line block ×3, first 2 shown]
                                        ; implicit-def: $vgpr2_vgpr3
                                        ; implicit-def: $vgpr0
                                        ; implicit-def: $vgpr1
	s_and_saveexec_b64 s[66:67], s[6:7]
	s_cbranch_execz .LBB417_920
; %bb.821:
	v_cmp_gt_i32_e32 vcc, s70, v8
	s_mov_b64 s[6:7], 0
	s_mov_b64 s[12:13], s[2:3]
                                        ; implicit-def: $vgpr2_vgpr3
                                        ; implicit-def: $vgpr0
                                        ; implicit-def: $vgpr1
	s_and_saveexec_b64 s[70:71], vcc
	s_cbranch_execz .LBB417_919
; %bb.822:
	s_andn2_b64 vcc, exec, s[42:43]
	s_cbranch_vccnz .LBB417_828
; %bb.823:
	s_andn2_b64 vcc, exec, s[52:53]
	s_cbranch_vccnz .LBB417_829
; %bb.824:
	s_add_i32 s78, s77, 1
	s_cmp_eq_u32 s72, 2
	s_cbranch_scc1 .LBB417_830
; %bb.825:
	s_and_b32 s77, s78, 28
	s_mov_b32 s79, 0
	v_mov_b32_e32 v0, 0
	v_mov_b32_e32 v2, 0
	s_mov_b64 s[52:53], s[34:35]
	v_mov_b32_e32 v4, v8
.LBB417_826:                            ; =>This Inner Loop Header: Depth=1
	s_load_dwordx8 s[12:19], s[52:53], 0x4
	s_load_dwordx4 s[36:39], s[52:53], 0x24
	s_load_dwordx8 s[4:11], s[50:51], 0x0
	s_add_u32 s52, s52, 48
	s_addc_u32 s53, s53, 0
	s_waitcnt vmcnt(0) lgkmcnt(0)
	v_mul_hi_u32 v1, s13, v4
	v_add_u32_e32 v1, v4, v1
	v_lshrrev_b32_e32 v1, s14, v1
	v_mul_lo_u32 v3, v1, s12
	v_mul_hi_u32 v5, s16, v1
	v_sub_u32_e32 v3, v4, v3
	v_add_u32_e32 v4, v1, v5
	v_lshrrev_b32_e32 v4, s17, v4
	v_mul_lo_u32 v6, v4, s15
	v_mul_hi_u32 v7, s19, v4
	v_sub_u32_e32 v1, v1, v6
	v_add_u32_e32 v6, v4, v7
	v_mul_lo_u32 v5, v3, s5
	v_mul_lo_u32 v3, v3, s4
	;; [unrolled: 1-line block ×4, first 2 shown]
	v_lshrrev_b32_e32 v6, s36, v6
	v_add3_u32 v0, v3, v0, v1
	v_mul_hi_u32 v3, s38, v6
	v_add3_u32 v1, v5, v2, v7
	v_mul_lo_u32 v2, v6, s18
	v_add_u32_e32 v3, v6, v3
	v_sub_u32_e32 v2, v4, v2
	v_lshrrev_b32_e32 v4, s39, v3
	s_add_i32 s79, s79, 4
	v_mul_lo_u32 v3, v4, s37
	s_add_u32 s50, s50, 32
	v_sub_u32_e32 v3, v6, v3
	s_addc_u32 s51, s51, 0
	v_mul_lo_u32 v5, v2, s8
	v_mul_lo_u32 v2, v2, s9
	;; [unrolled: 1-line block ×4, first 2 shown]
	s_cmp_eq_u32 s77, s79
	v_add3_u32 v2, v2, v1, v3
	v_add3_u32 v0, v5, v0, v6
	s_cbranch_scc0 .LBB417_826
; %bb.827:
	v_mov_b32_e32 v1, v2
	s_branch .LBB417_831
.LBB417_828:
	s_mov_b64 s[4:5], -1
                                        ; implicit-def: $vgpr2
                                        ; implicit-def: $vgpr0
	s_branch .LBB417_835
.LBB417_829:
	v_mov_b32_e32 v2, 0
	v_mov_b32_e32 v0, 0
	s_branch .LBB417_834
.LBB417_830:
	v_mov_b32_e32 v0, 0
	s_mov_b32 s77, 0
	s_waitcnt vmcnt(0)
	v_mov_b32_e32 v1, v0
                                        ; implicit-def: $vgpr2
	v_mov_b32_e32 v4, v8
.LBB417_831:
	s_and_b32 s8, s78, 3
	s_cmp_eq_u32 s8, 0
	s_cbranch_scc1 .LBB417_834
; %bb.832:
	s_lshl_b32 s4, s77, 3
	s_add_u32 s4, s34, s4
	s_addc_u32 s5, s35, 0
	s_add_u32 s4, s4, 0xc4
	s_addc_u32 s5, s5, 0
	s_mul_i32 s6, s77, 12
	s_add_u32 s6, s34, s6
	s_addc_u32 s7, s35, 0
.LBB417_833:                            ; =>This Inner Loop Header: Depth=1
	s_load_dwordx2 s[10:11], s[6:7], 0x4
	s_load_dword s9, s[6:7], 0xc
	s_load_dwordx2 s[12:13], s[4:5], 0x0
	v_mov_b32_e32 v2, v1
	s_add_u32 s6, s6, 12
	s_waitcnt lgkmcnt(0)
	v_mul_hi_u32 v1, s11, v4
	v_add_u32_e32 v1, v4, v1
	v_lshrrev_b32_e32 v1, s9, v1
	s_addc_u32 s7, s7, 0
	v_mul_lo_u32 v3, v1, s10
	s_add_u32 s4, s4, 8
	v_sub_u32_e32 v5, v4, v3
	s_addc_u32 s5, s5, 0
	s_add_i32 s8, s8, -1
	v_mov_b32_e32 v4, v1
	v_mad_u64_u32 v[2:3], s[10:11], v5, s13, v[2:3]
	v_mad_u64_u32 v[0:1], s[10:11], v5, s12, v[0:1]
	s_cmp_lg_u32 s8, 0
	v_mov_b32_e32 v1, v2
	s_cbranch_scc1 .LBB417_833
.LBB417_834:
	s_mov_b64 s[4:5], 0
.LBB417_835:
	s_andn2_b64 vcc, exec, s[4:5]
	s_cbranch_vccnz .LBB417_838
; %bb.836:
	v_mul_hi_u32 v0, s25, v8
	v_add_u32_e32 v0, v8, v0
	s_waitcnt vmcnt(0)
	v_lshrrev_b32_e32 v1, s26, v0
	v_mul_lo_u32 v0, v1, s24
	v_sub_u32_e32 v0, v8, v0
	v_mul_lo_u32 v2, v0, s29
	s_andn2_b64 vcc, exec, s[48:49]
	v_mul_lo_u32 v0, v0, s28
	s_cbranch_vccnz .LBB417_838
; %bb.837:
	v_mul_hi_u32 v3, s46, v1
	v_add_u32_e32 v3, v1, v3
	v_lshrrev_b32_e32 v3, s47, v3
	v_mul_lo_u32 v3, v3, s27
	v_sub_u32_e32 v3, v1, v3
	v_mad_u64_u32 v[0:1], s[4:5], v3, s30, v[0:1]
	v_mad_u64_u32 v[2:3], s[4:5], v3, s31, v[2:3]
.LBB417_838:
	v_mov_b32_e32 v3, 0
	s_and_b32 s14, 0xffff, s76
	s_cmp_lt_i32 s14, 11
	v_lshl_add_u64 v[2:3], s[22:23], 0, v[2:3]
	s_cbranch_scc1 .LBB417_845
; %bb.839:
	s_cmp_gt_i32 s14, 25
	s_mov_b64 s[6:7], 0
	s_cbranch_scc0 .LBB417_846
; %bb.840:
	s_cmp_gt_i32 s14, 28
	s_cbranch_scc0 .LBB417_847
; %bb.841:
	s_cmp_gt_i32 s14, 43
	;; [unrolled: 3-line block ×3, first 2 shown]
	s_cbranch_scc0 .LBB417_851
; %bb.843:
	s_cmp_eq_u32 s14, 46
	s_mov_b64 s[10:11], 0
	s_cbranch_scc0 .LBB417_854
; %bb.844:
	global_load_dword v1, v[2:3], off
	s_mov_b64 s[4:5], 0
	s_mov_b64 s[8:9], -1
	s_branch .LBB417_855
.LBB417_845:
	s_mov_b64 s[10:11], -1
	s_mov_b64 s[8:9], 0
	s_mov_b64 s[6:7], 0
	;; [unrolled: 1-line block ×3, first 2 shown]
                                        ; implicit-def: $vgpr1
	s_branch .LBB417_918
.LBB417_846:
	s_mov_b64 s[10:11], -1
	s_mov_b64 s[8:9], 0
	s_mov_b64 s[4:5], s[2:3]
                                        ; implicit-def: $vgpr1
	s_branch .LBB417_884
.LBB417_847:
	s_mov_b64 s[10:11], -1
	s_mov_b64 s[8:9], 0
	s_mov_b64 s[4:5], s[2:3]
                                        ; implicit-def: $vgpr1
	s_branch .LBB417_865
.LBB417_848:
	s_mov_b64 s[10:11], -1
	s_mov_b64 s[8:9], 0
	s_mov_b64 s[4:5], s[2:3]
                                        ; implicit-def: $vgpr1
	s_branch .LBB417_860
.LBB417_849:
	s_andn2_saveexec_b64 s[10:11], s[10:11]
	s_cbranch_execz .LBB417_728
.LBB417_850:
	s_mov_b32 s14, 0x46000000
	v_add_f32_e64 v4, |v5|, s14
	v_and_b32_e32 v4, 0xff, v4
	v_cmp_ne_u32_e32 vcc, 0, v4
	s_andn2_b64 s[8:9], s[8:9], exec
	s_and_b64 s[14:15], vcc, exec
	s_or_b64 s[8:9], s[8:9], s[14:15]
	s_or_b64 exec, exec, s[10:11]
	v_mov_b32_e32 v6, 0
	s_and_saveexec_b64 s[10:11], s[8:9]
	s_cbranch_execnz .LBB417_729
	s_branch .LBB417_730
.LBB417_851:
	s_mov_b64 s[10:11], -1
	s_mov_b64 s[8:9], 0
	s_mov_b64 s[4:5], s[2:3]
                                        ; implicit-def: $vgpr1
	s_branch .LBB417_855
.LBB417_852:
	s_andn2_saveexec_b64 s[10:11], s[10:11]
	s_cbranch_execz .LBB417_741
.LBB417_853:
	s_mov_b32 s14, 0x42800000
	v_add_f32_e64 v4, |v5|, s14
	v_and_b32_e32 v4, 0xff, v4
	v_cmp_ne_u32_e32 vcc, 0, v4
	s_andn2_b64 s[8:9], s[8:9], exec
	s_and_b64 s[14:15], vcc, exec
	s_or_b64 s[8:9], s[8:9], s[14:15]
	s_or_b64 exec, exec, s[10:11]
	v_mov_b32_e32 v6, 0
	s_and_saveexec_b64 s[10:11], s[8:9]
	s_cbranch_execnz .LBB417_742
	s_branch .LBB417_743
.LBB417_854:
	s_mov_b64 s[4:5], -1
                                        ; implicit-def: $vgpr1
	s_mov_b64 s[8:9], 0
.LBB417_855:
	s_and_b64 vcc, exec, s[10:11]
	s_cbranch_vccz .LBB417_859
; %bb.856:
	s_cmp_eq_u32 s14, 44
	s_cbranch_scc0 .LBB417_858
; %bb.857:
	global_load_ubyte v1, v[2:3], off
	s_movk_i32 s8, 0xff
	v_mov_b32_e32 v4, 0x7f800001
	v_mov_b32_e32 v5, 0x400000
	;; [unrolled: 1-line block ×3, first 2 shown]
	s_mov_b64 s[4:5], 0
	s_waitcnt vmcnt(0)
	v_lshlrev_b32_e32 v7, 23, v1
	v_cmp_ne_u32_e32 vcc, s8, v1
	s_mov_b64 s[8:9], -1
	s_nop 0
	v_cndmask_b32_e32 v4, v4, v7, vcc
	v_cmp_ne_u32_e32 vcc, 0, v1
	s_nop 1
	v_cndmask_b32_e32 v1, v5, v4, vcc
	v_add_u32_e32 v4, 0x7fff, v1
	v_cmp_o_f32_e32 vcc, v1, v1
	s_nop 1
	v_cndmask_b32_sdwa v1, v6, v4, vcc dst_sel:DWORD dst_unused:UNUSED_PAD src0_sel:DWORD src1_sel:WORD_1
	s_branch .LBB417_859
.LBB417_858:
	s_mov_b64 s[4:5], -1
                                        ; implicit-def: $vgpr1
.LBB417_859:
	s_mov_b64 s[10:11], 0
.LBB417_860:
	s_and_b64 vcc, exec, s[10:11]
	s_cbranch_vccz .LBB417_864
; %bb.861:
	s_cmp_eq_u32 s14, 29
	s_cbranch_scc0 .LBB417_863
; %bb.862:
	global_load_dwordx2 v[4:5], v[2:3], off
	s_movk_i32 s8, 0x7fff
	s_mov_b64 s[4:5], 0
	s_mov_b64 s[10:11], 0
	s_waitcnt vmcnt(0)
	v_ffbh_u32_e32 v1, v5
	v_min_u32_e32 v1, 32, v1
	v_lshlrev_b64 v[4:5], v1, v[4:5]
	v_min_u32_e32 v4, 1, v4
	v_or_b32_e32 v4, v5, v4
	v_cvt_f32_u32_e32 v4, v4
	v_sub_u32_e32 v1, 32, v1
	v_ldexp_f32 v1, v4, v1
	v_bfe_u32 v4, v1, 16, 1
	v_add3_u32 v1, v1, v4, s8
	v_lshrrev_b32_e32 v1, 16, v1
	s_mov_b64 s[8:9], -1
	s_branch .LBB417_865
.LBB417_863:
	s_mov_b64 s[4:5], -1
                                        ; implicit-def: $vgpr1
.LBB417_864:
	s_mov_b64 s[10:11], 0
.LBB417_865:
	s_and_b64 vcc, exec, s[10:11]
	s_cbranch_vccz .LBB417_883
; %bb.866:
	s_cmp_lt_i32 s14, 27
	s_cbranch_scc1 .LBB417_869
; %bb.867:
	s_cmp_gt_i32 s14, 27
	s_cbranch_scc0 .LBB417_870
; %bb.868:
	global_load_dword v1, v[2:3], off
	s_movk_i32 s8, 0x7fff
	s_waitcnt vmcnt(0)
	v_cvt_f32_u32_e32 v1, v1
	v_bfe_u32 v4, v1, 16, 1
	v_add3_u32 v1, v1, v4, s8
	v_lshrrev_b32_e32 v1, 16, v1
	s_mov_b64 s[8:9], 0
	s_branch .LBB417_871
.LBB417_869:
	s_mov_b64 s[8:9], -1
                                        ; implicit-def: $vgpr1
	s_branch .LBB417_874
.LBB417_870:
	s_mov_b64 s[8:9], -1
                                        ; implicit-def: $vgpr1
.LBB417_871:
	s_andn2_b64 vcc, exec, s[8:9]
	s_cbranch_vccnz .LBB417_873
; %bb.872:
	global_load_ushort v1, v[2:3], off
	s_movk_i32 s8, 0x7fff
	s_waitcnt vmcnt(0)
	v_cvt_f32_u32_e32 v1, v1
	v_bfe_u32 v4, v1, 16, 1
	v_add3_u32 v1, v1, v4, s8
	v_lshrrev_b32_e32 v1, 16, v1
.LBB417_873:
	s_mov_b64 s[8:9], 0
.LBB417_874:
	s_andn2_b64 vcc, exec, s[8:9]
	s_cbranch_vccnz .LBB417_882
; %bb.875:
	global_load_ubyte v1, v[2:3], off
	s_movk_i32 s8, 0x7f
	s_waitcnt vmcnt(0)
	v_cmp_lt_i16_e32 vcc, s8, v1
	s_mov_b64 s[8:9], 0
	s_and_saveexec_b64 s[10:11], vcc
	s_xor_b64 s[10:11], exec, s[10:11]
	s_cbranch_execz .LBB417_896
; %bb.876:
	s_movk_i32 s8, 0x80
	v_cmp_eq_u16_e32 vcc, s8, v1
	s_mov_b64 s[8:9], -1
	s_and_saveexec_b64 s[12:13], vcc
; %bb.877:
	s_xor_b64 s[8:9], exec, -1
; %bb.878:
	s_or_b64 exec, exec, s[12:13]
	s_and_b64 s[8:9], s[8:9], exec
	s_or_saveexec_b64 s[10:11], s[10:11]
	v_mov_b32_e32 v4, 0x7f800001
	s_xor_b64 exec, exec, s[10:11]
	s_cbranch_execnz .LBB417_897
.LBB417_879:
	s_or_b64 exec, exec, s[10:11]
	s_and_saveexec_b64 s[10:11], s[8:9]
	s_cbranch_execz .LBB417_881
.LBB417_880:
	v_lshlrev_b32_e32 v4, 24, v1
	v_and_b32_e32 v1, 0xffff, v1
	v_and_b32_e32 v5, 7, v1
	v_ffbh_u32_e32 v7, v5
	v_min_u32_e32 v7, 32, v7
	v_subrev_u32_e32 v8, 28, v7
	v_bfe_u32 v6, v1, 3, 4
	v_lshlrev_b32_e32 v1, v8, v1
	v_sub_u32_e32 v7, 29, v7
	v_and_b32_e32 v1, 7, v1
	v_cmp_eq_u32_e32 vcc, 0, v6
	v_and_b32_e32 v4, 0x80000000, v4
	s_nop 0
	v_cndmask_b32_e32 v6, v6, v7, vcc
	v_cndmask_b32_e32 v1, v5, v1, vcc
	v_mov_b32_e32 v5, 0x3b800000
	v_lshlrev_b32_e32 v1, 20, v1
	v_lshl_add_u32 v5, v6, 23, v5
	v_or3_b32 v4, v4, v5, v1
.LBB417_881:
	s_or_b64 exec, exec, s[10:11]
	v_bfe_u32 v1, v4, 16, 1
	s_movk_i32 s8, 0x7fff
	v_add3_u32 v1, v4, v1, s8
	v_cmp_o_f32_e32 vcc, v4, v4
	v_mov_b32_e32 v4, 0x7fc0
	s_nop 0
	v_cndmask_b32_sdwa v1, v4, v1, vcc dst_sel:DWORD dst_unused:UNUSED_PAD src0_sel:DWORD src1_sel:WORD_1
.LBB417_882:
	s_mov_b64 s[8:9], -1
.LBB417_883:
	s_mov_b64 s[10:11], 0
.LBB417_884:
	s_and_b64 vcc, exec, s[10:11]
	s_cbranch_vccz .LBB417_917
; %bb.885:
	s_cmp_gt_i32 s14, 22
	s_cbranch_scc0 .LBB417_895
; %bb.886:
	s_cmp_lt_i32 s14, 24
	s_cbranch_scc1 .LBB417_898
; %bb.887:
	s_cmp_gt_i32 s14, 24
	s_cbranch_scc0 .LBB417_899
; %bb.888:
	global_load_ubyte v1, v[2:3], off
	s_movk_i32 s6, 0x7f
	s_waitcnt vmcnt(0)
	v_cmp_lt_i16_e32 vcc, s6, v1
	s_mov_b64 s[6:7], 0
	s_and_saveexec_b64 s[8:9], vcc
	s_xor_b64 s[8:9], exec, s[8:9]
	s_cbranch_execz .LBB417_911
; %bb.889:
	s_movk_i32 s6, 0x80
	v_cmp_eq_u16_e32 vcc, s6, v1
	s_mov_b64 s[6:7], -1
	s_and_saveexec_b64 s[10:11], vcc
; %bb.890:
	s_xor_b64 s[6:7], exec, -1
; %bb.891:
	s_or_b64 exec, exec, s[10:11]
	s_and_b64 s[6:7], s[6:7], exec
	s_or_saveexec_b64 s[8:9], s[8:9]
	v_mov_b32_e32 v4, 0x7f800001
	s_xor_b64 exec, exec, s[8:9]
	s_cbranch_execnz .LBB417_912
.LBB417_892:
	s_or_b64 exec, exec, s[8:9]
	s_and_saveexec_b64 s[8:9], s[6:7]
	s_cbranch_execz .LBB417_894
.LBB417_893:
	v_lshlrev_b32_e32 v4, 24, v1
	v_and_b32_e32 v1, 0xffff, v1
	v_and_b32_e32 v5, 3, v1
	v_ffbh_u32_e32 v7, v5
	v_min_u32_e32 v7, 32, v7
	v_subrev_u32_e32 v8, 29, v7
	v_bfe_u32 v6, v1, 2, 5
	v_lshlrev_b32_e32 v1, v8, v1
	v_sub_u32_e32 v7, 30, v7
	v_and_b32_e32 v1, 3, v1
	v_cmp_eq_u32_e32 vcc, 0, v6
	v_and_b32_e32 v4, 0x80000000, v4
	s_nop 0
	v_cndmask_b32_e32 v6, v6, v7, vcc
	v_cndmask_b32_e32 v1, v5, v1, vcc
	v_mov_b32_e32 v5, 0x37800000
	v_lshlrev_b32_e32 v1, 21, v1
	v_lshl_add_u32 v5, v6, 23, v5
	v_or3_b32 v4, v4, v5, v1
.LBB417_894:
	s_or_b64 exec, exec, s[8:9]
	v_bfe_u32 v1, v4, 16, 1
	s_movk_i32 s6, 0x7fff
	v_add3_u32 v1, v4, v1, s6
	v_cmp_o_f32_e32 vcc, v4, v4
	v_mov_b32_e32 v4, 0x7fc0
	s_mov_b64 s[6:7], 0
	v_cndmask_b32_sdwa v1, v4, v1, vcc dst_sel:DWORD dst_unused:UNUSED_PAD src0_sel:DWORD src1_sel:WORD_1
	s_branch .LBB417_900
.LBB417_895:
	s_mov_b64 s[6:7], -1
                                        ; implicit-def: $vgpr1
	s_branch .LBB417_906
.LBB417_896:
	s_or_saveexec_b64 s[10:11], s[10:11]
	v_mov_b32_e32 v4, 0x7f800001
	s_xor_b64 exec, exec, s[10:11]
	s_cbranch_execz .LBB417_879
.LBB417_897:
	v_cmp_ne_u16_e32 vcc, 0, v1
	s_andn2_b64 s[8:9], s[8:9], exec
	s_and_b64 s[12:13], vcc, exec
	v_mov_b32_e32 v4, 0
	s_or_b64 s[8:9], s[8:9], s[12:13]
	s_or_b64 exec, exec, s[10:11]
	s_and_saveexec_b64 s[10:11], s[8:9]
	s_cbranch_execnz .LBB417_880
	s_branch .LBB417_881
.LBB417_898:
	s_mov_b64 s[6:7], -1
                                        ; implicit-def: $vgpr1
	s_branch .LBB417_903
.LBB417_899:
	s_mov_b64 s[6:7], -1
                                        ; implicit-def: $vgpr1
.LBB417_900:
	s_and_b64 vcc, exec, s[6:7]
	s_cbranch_vccz .LBB417_902
; %bb.901:
	global_load_ubyte v1, v[2:3], off
	s_mov_b32 s6, 0x7f800000
	s_brev_b32 s7, 1
	s_movk_i32 s8, 0x7fff
	s_waitcnt vmcnt(0)
	v_lshlrev_b32_e32 v1, 24, v1
	v_and_b32_e32 v4, 0x7f000000, v1
	v_ffbh_u32_e32 v5, v4
	v_min_u32_e32 v5, 32, v5
	v_sub_u32_e64 v5, v5, 4 clamp
	v_lshlrev_b32_e32 v7, v5, v4
	v_lshlrev_b32_e32 v5, 23, v5
	v_lshrrev_b32_e32 v7, 4, v7
	v_add_u32_e32 v6, 0x1000000, v4
	v_sub_u32_e32 v5, v7, v5
	v_ashrrev_i32_e32 v6, 8, v6
	v_add_u32_e32 v5, 0x3c000000, v5
	v_and_or_b32 v5, v6, s6, v5
	v_cmp_ne_u32_e32 vcc, 0, v4
	s_nop 1
	v_cndmask_b32_e32 v4, 0, v5, vcc
	v_and_or_b32 v1, v1, s7, v4
	v_bfe_u32 v4, v4, 16, 1
	v_add3_u32 v4, v1, v4, s8
	v_cmp_o_f32_e32 vcc, v1, v1
	v_mov_b32_e32 v1, 0x7fc0
	s_nop 0
	v_cndmask_b32_sdwa v1, v1, v4, vcc dst_sel:DWORD dst_unused:UNUSED_PAD src0_sel:DWORD src1_sel:WORD_1
.LBB417_902:
	s_mov_b64 s[6:7], 0
.LBB417_903:
	s_andn2_b64 vcc, exec, s[6:7]
	s_cbranch_vccnz .LBB417_905
; %bb.904:
	global_load_ubyte v1, v[2:3], off
	s_movk_i32 s6, 0x7f00
	s_brev_b32 s7, 16
	s_brev_b32 s8, 1
	s_movk_i32 s9, 0x7fff
	s_waitcnt vmcnt(0)
	v_lshlrev_b16_e32 v4, 8, v1
	v_lshlrev_b32_e32 v1, 25, v1
	v_lshrrev_b32_e32 v5, 4, v1
	v_and_or_b32 v6, v4, s6, 0.5
	v_or_b32_e32 v5, 0x70000000, v5
	v_add_f32_e32 v6, -0.5, v6
	v_mul_f32_e32 v5, 0x7800000, v5
	v_cmp_gt_u32_e32 vcc, s7, v1
	v_bfe_i32 v4, v4, 0, 16
	s_nop 0
	v_cndmask_b32_e32 v1, v5, v6, vcc
	v_and_or_b32 v4, v4, s8, v1
	v_bfe_u32 v1, v1, 16, 1
	v_add3_u32 v1, v4, v1, s9
	v_cmp_o_f32_e32 vcc, v4, v4
	v_mov_b32_e32 v4, 0x7fc0
	s_nop 0
	v_cndmask_b32_sdwa v1, v4, v1, vcc dst_sel:DWORD dst_unused:UNUSED_PAD src0_sel:DWORD src1_sel:WORD_1
.LBB417_905:
	s_mov_b64 s[6:7], 0
	s_mov_b64 s[8:9], -1
.LBB417_906:
	s_andn2_b64 vcc, exec, s[6:7]
	s_mov_b64 s[6:7], 0
	s_cbranch_vccnz .LBB417_917
; %bb.907:
	s_cmp_gt_i32 s14, 14
	s_cbranch_scc0 .LBB417_910
; %bb.908:
	s_cmp_eq_u32 s14, 15
	s_cbranch_scc0 .LBB417_913
; %bb.909:
	global_load_ushort v1, v[2:3], off
	s_mov_b64 s[4:5], 0
	s_mov_b64 s[8:9], -1
	s_branch .LBB417_914
.LBB417_910:
	s_mov_b64 s[10:11], -1
                                        ; implicit-def: $vgpr1
	s_branch .LBB417_915
.LBB417_911:
	s_or_saveexec_b64 s[8:9], s[8:9]
	v_mov_b32_e32 v4, 0x7f800001
	s_xor_b64 exec, exec, s[8:9]
	s_cbranch_execz .LBB417_892
.LBB417_912:
	v_cmp_ne_u16_e32 vcc, 0, v1
	s_andn2_b64 s[6:7], s[6:7], exec
	s_and_b64 s[10:11], vcc, exec
	v_mov_b32_e32 v4, 0
	s_or_b64 s[6:7], s[6:7], s[10:11]
	s_or_b64 exec, exec, s[8:9]
	s_and_saveexec_b64 s[8:9], s[6:7]
	s_cbranch_execnz .LBB417_893
	s_branch .LBB417_894
.LBB417_913:
	s_mov_b64 s[4:5], -1
                                        ; implicit-def: $vgpr1
.LBB417_914:
	s_mov_b64 s[10:11], 0
.LBB417_915:
	s_and_b64 vcc, exec, s[10:11]
	s_cbranch_vccz .LBB417_917
; %bb.916:
	s_cmp_lg_u32 s14, 11
	s_cselect_b64 s[10:11], -1, 0
	s_andn2_b64 s[4:5], s[4:5], exec
	s_and_b64 s[10:11], s[10:11], exec
	s_mov_b64 s[6:7], -1
	s_or_b64 s[4:5], s[4:5], s[10:11]
.LBB417_917:
	s_mov_b64 s[10:11], 0
.LBB417_918:
	s_andn2_b64 s[12:13], s[2:3], exec
	s_and_b64 s[4:5], s[4:5], exec
	s_and_b64 s[8:9], s[8:9], exec
	;; [unrolled: 1-line block ×4, first 2 shown]
	s_or_b64 s[12:13], s[12:13], s[4:5]
.LBB417_919:
	s_or_b64 exec, exec, s[70:71]
	s_and_b64 s[4:5], s[6:7], exec
	s_andn2_b64 s[2:3], s[2:3], exec
	s_and_b64 s[6:7], s[12:13], exec
	s_and_b64 s[8:9], s[8:9], exec
	;; [unrolled: 1-line block ×3, first 2 shown]
	s_or_b64 s[2:3], s[2:3], s[6:7]
.LBB417_920:
	s_or_b64 exec, exec, s[66:67]
	s_andn2_b64 s[6:7], s[62:63], exec
	s_and_b64 s[12:13], s[68:69], exec
	s_or_b64 s[62:63], s[6:7], s[12:13]
	s_and_b64 s[6:7], s[10:11], exec
	s_andn2_b64 s[10:11], s[60:61], exec
	s_and_b64 s[2:3], s[2:3], exec
	s_and_b64 s[8:9], s[8:9], exec
	;; [unrolled: 1-line block ×3, first 2 shown]
	s_or_b64 s[60:61], s[10:11], s[2:3]
.LBB417_921:
	s_or_b64 exec, exec, s[64:65]
	s_andn2_b64 s[2:3], s[54:55], exec
	s_and_b64 s[10:11], s[62:63], exec
	s_or_b64 s[54:55], s[2:3], s[10:11]
	s_and_b64 s[2:3], s[8:9], exec
	s_and_b64 s[8:9], s[6:7], exec
	;; [unrolled: 1-line block ×3, first 2 shown]
	s_andn2_b64 s[4:5], s[56:57], exec
	s_and_b64 s[6:7], s[60:61], exec
	s_or_b64 s[56:57], s[4:5], s[6:7]
	s_or_b64 exec, exec, s[58:59]
	s_mov_b64 s[4:5], 0
	s_and_saveexec_b64 s[6:7], s[56:57]
	s_cbranch_execz .LBB417_276
.LBB417_922:
	s_mov_b64 s[4:5], exec
	s_andn2_b64 s[62:63], s[62:63], exec
	s_trap 2
	s_or_b64 exec, exec, s[6:7]
	s_and_saveexec_b64 s[6:7], s[62:63]
	s_xor_b64 s[6:7], exec, s[6:7]
	s_cbranch_execnz .LBB417_277
.LBB417_923:
	s_or_b64 exec, exec, s[6:7]
	s_and_saveexec_b64 s[6:7], s[8:9]
	s_cbranch_execz .LBB417_969
.LBB417_924:
	s_sext_i32_i16 s8, s76
	s_cmp_lt_i32 s8, 5
	s_cbranch_scc1 .LBB417_929
; %bb.925:
	s_cmp_lt_i32 s8, 8
	s_cbranch_scc1 .LBB417_930
; %bb.926:
	s_cmp_lt_i32 s8, 9
	s_cbranch_scc1 .LBB417_931
; %bb.927:
	s_cmp_gt_i32 s8, 9
	s_cbranch_scc0 .LBB417_932
; %bb.928:
	global_load_dwordx2 v[4:5], v[2:3], off
	s_movk_i32 s8, 0x7fff
	s_waitcnt vmcnt(1)
	v_mov_b32_e32 v1, 0x7fc0
	s_waitcnt vmcnt(0)
	v_cvt_f32_f64_e32 v4, v[4:5]
	v_bfe_u32 v5, v4, 16, 1
	v_cmp_o_f32_e32 vcc, v4, v4
	v_add3_u32 v4, v4, v5, s8
	s_mov_b64 s[8:9], 0
	v_cndmask_b32_sdwa v1, v1, v4, vcc dst_sel:DWORD dst_unused:UNUSED_PAD src0_sel:DWORD src1_sel:WORD_1
	s_branch .LBB417_933
.LBB417_929:
                                        ; implicit-def: $vgpr1
	s_branch .LBB417_950
.LBB417_930:
                                        ; implicit-def: $vgpr1
	s_branch .LBB417_939
.LBB417_931:
	s_mov_b64 s[8:9], -1
                                        ; implicit-def: $vgpr1
	s_branch .LBB417_936
.LBB417_932:
	s_mov_b64 s[8:9], -1
                                        ; implicit-def: $vgpr1
.LBB417_933:
	s_andn2_b64 vcc, exec, s[8:9]
	s_cbranch_vccnz .LBB417_935
; %bb.934:
	global_load_dword v1, v[2:3], off
	s_movk_i32 s8, 0x7fff
	v_mov_b32_e32 v4, 0x7fc0
	s_waitcnt vmcnt(0)
	v_bfe_u32 v5, v1, 16, 1
	v_cmp_o_f32_e32 vcc, v1, v1
	v_add3_u32 v1, v1, v5, s8
	s_nop 0
	v_cndmask_b32_sdwa v1, v4, v1, vcc dst_sel:DWORD dst_unused:UNUSED_PAD src0_sel:DWORD src1_sel:WORD_1
.LBB417_935:
	s_mov_b64 s[8:9], 0
.LBB417_936:
	s_andn2_b64 vcc, exec, s[8:9]
	s_cbranch_vccnz .LBB417_938
; %bb.937:
	global_load_dword v1, v[2:3], off
	s_movk_i32 s8, 0x7fff
	v_mov_b32_e32 v5, 0x7fc0
	s_waitcnt vmcnt(0)
	v_cvt_f32_f16_e32 v4, v1
	v_cmp_o_f16_e32 vcc, v1, v1
	v_bfe_u32 v1, v4, 16, 1
	v_add3_u32 v1, v4, v1, s8
	v_cndmask_b32_sdwa v1, v5, v1, vcc dst_sel:DWORD dst_unused:UNUSED_PAD src0_sel:DWORD src1_sel:WORD_1
.LBB417_938:
	s_cbranch_execnz .LBB417_949
.LBB417_939:
	s_sext_i32_i16 s8, s76
	s_cmp_lt_i32 s8, 6
	s_cbranch_scc1 .LBB417_942
; %bb.940:
	s_cmp_gt_i32 s8, 6
	s_cbranch_scc0 .LBB417_943
; %bb.941:
	global_load_dwordx2 v[4:5], v[2:3], off
	s_movk_i32 s8, 0x7fff
	s_waitcnt vmcnt(1)
	v_mov_b32_e32 v1, 0x7fc0
	s_waitcnt vmcnt(0)
	v_cvt_f32_f64_e32 v4, v[4:5]
	v_bfe_u32 v5, v4, 16, 1
	v_cmp_o_f32_e32 vcc, v4, v4
	v_add3_u32 v4, v4, v5, s8
	s_mov_b64 s[8:9], 0
	v_cndmask_b32_sdwa v1, v1, v4, vcc dst_sel:DWORD dst_unused:UNUSED_PAD src0_sel:DWORD src1_sel:WORD_1
	s_branch .LBB417_944
.LBB417_942:
	s_mov_b64 s[8:9], -1
                                        ; implicit-def: $vgpr1
	s_branch .LBB417_947
.LBB417_943:
	s_mov_b64 s[8:9], -1
                                        ; implicit-def: $vgpr1
.LBB417_944:
	s_andn2_b64 vcc, exec, s[8:9]
	s_cbranch_vccnz .LBB417_946
; %bb.945:
	global_load_dword v1, v[2:3], off
	s_movk_i32 s8, 0x7fff
	v_mov_b32_e32 v4, 0x7fc0
	s_waitcnt vmcnt(0)
	v_bfe_u32 v5, v1, 16, 1
	v_cmp_o_f32_e32 vcc, v1, v1
	v_add3_u32 v1, v1, v5, s8
	s_nop 0
	v_cndmask_b32_sdwa v1, v4, v1, vcc dst_sel:DWORD dst_unused:UNUSED_PAD src0_sel:DWORD src1_sel:WORD_1
.LBB417_946:
	s_mov_b64 s[8:9], 0
.LBB417_947:
	s_andn2_b64 vcc, exec, s[8:9]
	s_cbranch_vccnz .LBB417_949
; %bb.948:
	global_load_ushort v1, v[2:3], off
	s_movk_i32 s8, 0x7fff
	v_mov_b32_e32 v5, 0x7fc0
	s_waitcnt vmcnt(0)
	v_cvt_f32_f16_e32 v4, v1
	v_cmp_o_f16_e32 vcc, v1, v1
	v_bfe_u32 v1, v4, 16, 1
	v_add3_u32 v1, v4, v1, s8
	v_cndmask_b32_sdwa v1, v5, v1, vcc dst_sel:DWORD dst_unused:UNUSED_PAD src0_sel:DWORD src1_sel:WORD_1
.LBB417_949:
	s_cbranch_execnz .LBB417_968
.LBB417_950:
	s_sext_i32_i16 s8, s76
	s_cmp_lt_i32 s8, 2
	s_cbranch_scc1 .LBB417_954
; %bb.951:
	s_cmp_lt_i32 s8, 3
	s_cbranch_scc1 .LBB417_955
; %bb.952:
	s_cmp_gt_i32 s8, 3
	s_cbranch_scc0 .LBB417_956
; %bb.953:
	global_load_dwordx2 v[4:5], v[2:3], off
	s_movk_i32 s8, 0x7fff
	s_waitcnt vmcnt(0)
	v_xor_b32_e32 v6, v4, v5
	v_ffbh_i32_e32 v1, v5
	v_ashrrev_i32_e32 v6, 31, v6
	v_add_u32_e32 v1, -1, v1
	v_add_u32_e32 v6, 32, v6
	v_min_u32_e32 v1, v1, v6
	v_lshlrev_b64 v[4:5], v1, v[4:5]
	v_min_u32_e32 v4, 1, v4
	v_or_b32_e32 v4, v5, v4
	v_cvt_f32_i32_e32 v4, v4
	v_sub_u32_e32 v1, 32, v1
	v_ldexp_f32 v1, v4, v1
	v_bfe_u32 v4, v1, 16, 1
	v_add3_u32 v1, v1, v4, s8
	v_lshrrev_b32_e32 v1, 16, v1
	s_mov_b64 s[8:9], 0
	s_branch .LBB417_957
.LBB417_954:
                                        ; implicit-def: $vgpr1
	s_branch .LBB417_963
.LBB417_955:
	s_mov_b64 s[8:9], -1
                                        ; implicit-def: $vgpr1
	s_branch .LBB417_960
.LBB417_956:
	s_mov_b64 s[8:9], -1
                                        ; implicit-def: $vgpr1
.LBB417_957:
	s_andn2_b64 vcc, exec, s[8:9]
	s_cbranch_vccnz .LBB417_959
; %bb.958:
	global_load_dword v1, v[2:3], off
	s_movk_i32 s8, 0x7fff
	s_waitcnt vmcnt(0)
	v_cvt_f32_i32_e32 v1, v1
	v_bfe_u32 v4, v1, 16, 1
	v_add3_u32 v1, v1, v4, s8
	v_lshrrev_b32_e32 v1, 16, v1
.LBB417_959:
	s_mov_b64 s[8:9], 0
.LBB417_960:
	s_andn2_b64 vcc, exec, s[8:9]
	s_cbranch_vccnz .LBB417_962
; %bb.961:
	global_load_sshort v1, v[2:3], off
	s_movk_i32 s8, 0x7fff
	s_waitcnt vmcnt(0)
	v_cvt_f32_i32_e32 v1, v1
	v_bfe_u32 v4, v1, 16, 1
	v_add3_u32 v1, v1, v4, s8
	v_lshrrev_b32_e32 v1, 16, v1
.LBB417_962:
	s_cbranch_execnz .LBB417_968
.LBB417_963:
	s_sext_i32_i16 s8, s76
	s_cmp_gt_i32 s8, 0
	s_cbranch_scc0 .LBB417_965
; %bb.964:
	global_load_sbyte v1, v[2:3], off
	s_movk_i32 s8, 0x7fff
	s_waitcnt vmcnt(0)
	v_cvt_f32_i32_e32 v1, v1
	v_bfe_u32 v4, v1, 16, 1
	v_add3_u32 v1, v1, v4, s8
	v_lshrrev_b32_e32 v1, 16, v1
	s_mov_b64 s[8:9], 0
	s_branch .LBB417_966
.LBB417_965:
	s_mov_b64 s[8:9], -1
                                        ; implicit-def: $vgpr1
.LBB417_966:
	s_andn2_b64 vcc, exec, s[8:9]
	s_cbranch_vccnz .LBB417_968
; %bb.967:
	global_load_ubyte v1, v[2:3], off
	s_movk_i32 s8, 0x7fff
	s_waitcnt vmcnt(0)
	v_cvt_f32_ubyte0_e32 v1, v1
	v_bfe_u32 v2, v1, 16, 1
	v_add3_u32 v1, v1, v2, s8
	v_lshrrev_b32_e32 v1, 16, v1
.LBB417_968:
	s_or_b64 s[2:3], s[2:3], exec
.LBB417_969:
	s_or_b64 exec, exec, s[6:7]
	s_mov_b64 s[10:11], 0
	s_mov_b64 s[8:9], 0
                                        ; implicit-def: $sgpr16
                                        ; implicit-def: $vgpr2_vgpr3
                                        ; implicit-def: $vgpr4
	s_and_saveexec_b64 s[6:7], s[2:3]
	s_cbranch_execz .LBB417_987
; %bb.970:
	s_waitcnt vmcnt(0)
	v_lshlrev_b32_e32 v2, 16, v1
	v_cmp_u_f32_e32 vcc, v2, v2
	v_cmp_lt_f32_e64 s[2:3], s75, v2
	v_mov_b32_e32 v2, s74
	s_or_b64 vcc, vcc, s[2:3]
	v_cndmask_b32_e32 v4, v2, v1, vcc
	v_mov_b32_e32 v1, 0
	s_and_b32 s16, s73, 0xff
	s_cmp_lt_i32 s16, 11
	v_lshl_add_u64 v[2:3], s[20:21], 0, v[0:1]
	s_cbranch_scc1 .LBB417_990
; %bb.971:
	s_and_b32 s17, 0xffff, s16
	s_mov_b64 s[10:11], -1
	s_cmp_gt_i32 s17, 25
	s_mov_b64 s[2:3], s[54:55]
	s_cbranch_scc0 .LBB417_1008
; %bb.972:
	s_mov_b64 s[8:9], -1
	s_cmp_gt_i32 s17, 28
	s_mov_b64 s[2:3], s[54:55]
	s_cbranch_scc0 .LBB417_992
; %bb.973:
	s_cmp_gt_i32 s17, 43
	s_mov_b64 s[2:3], s[54:55]
	s_cbranch_scc0 .LBB417_984
; %bb.974:
	;; [unrolled: 4-line block ×3, first 2 shown]
	s_cmp_eq_u32 s17, 46
	s_mov_b64 s[2:3], -1
	s_cbranch_scc0 .LBB417_977
; %bb.976:
	v_and_b32_e32 v0, 0xffff, v4
	global_store_dword v[2:3], v0, off
	s_mov_b64 s[2:3], 0
.LBB417_977:
	s_mov_b64 s[8:9], 0
.LBB417_978:
	s_and_b64 vcc, exec, s[8:9]
	s_cbranch_vccz .LBB417_983
; %bb.979:
	s_cmp_eq_u32 s17, 44
	s_mov_b64 s[2:3], -1
	s_cbranch_scc0 .LBB417_983
; %bb.980:
	v_and_b32_e32 v1, 0xffff, v4
	v_bfe_u32 v0, v1, 7, 8
	s_movk_i32 s2, 0xff
	v_cmp_ne_u32_e32 vcc, s2, v0
	v_mov_b32_e32 v5, 0xff
	s_and_saveexec_b64 s[8:9], vcc
	s_cbranch_execz .LBB417_982
; %bb.981:
	v_lshlrev_b32_e32 v6, 16, v1
	s_mov_b32 s2, 0x3f0000
	v_lshrrev_b32_e32 v5, 7, v1
	v_and_b32_e32 v1, 64, v1
	v_and_or_b32 v0, v6, s2, v0
	v_cmp_ne_u32_e32 vcc, 0, v1
	v_cmp_ne_u32_e64 s[2:3], 0, v0
	s_and_b64 s[2:3], vcc, s[2:3]
	s_nop 0
	v_cndmask_b32_e64 v0, 0, 1, s[2:3]
	v_add_u32_e32 v5, v5, v0
.LBB417_982:
	s_or_b64 exec, exec, s[8:9]
	s_mov_b64 s[2:3], 0
	global_store_byte v[2:3], v5, off
.LBB417_983:
	s_mov_b64 s[8:9], 0
.LBB417_984:
	s_and_b64 vcc, exec, s[8:9]
	s_cbranch_vccz .LBB417_991
; %bb.985:
	s_cmp_eq_u32 s17, 29
	s_mov_b64 s[2:3], -1
	s_cbranch_scc0 .LBB417_991
; %bb.986:
	v_lshlrev_b32_e32 v0, 16, v4
	v_trunc_f32_e32 v0, v0
	v_mul_f32_e32 v1, 0x2f800000, v0
	v_floor_f32_e32 v5, v1
	v_fmamk_f32 v0, v5, 0xcf800000, v0
	v_cvt_u32_f32_e32 v1, v5
	v_cvt_u32_f32_e32 v0, v0
	s_mov_b64 s[2:3], 0
	s_mov_b64 s[8:9], 0
	global_store_dwordx2 v[2:3], v[0:1], off
	s_branch .LBB417_992
.LBB417_987:
	s_or_b64 exec, exec, s[6:7]
	s_and_saveexec_b64 s[2:3], s[54:55]
	s_cbranch_execnz .LBB417_1050
.LBB417_988:
	s_or_b64 exec, exec, s[2:3]
	s_and_saveexec_b64 s[2:3], s[10:11]
	s_xor_b64 s[2:3], exec, s[2:3]
	s_cbranch_execz .LBB417_1051
.LBB417_989:
	v_and_b32_e32 v0, 0x7fff, v4
	v_cmp_ne_u16_e32 vcc, 0, v0
	s_nop 1
	v_cndmask_b32_e64 v0, 0, 1, vcc
	global_store_byte v[2:3], v0, off
	s_or_b64 exec, exec, s[2:3]
	s_and_saveexec_b64 s[2:3], s[8:9]
	s_xor_b64 s[2:3], exec, s[2:3]
	s_cbranch_execz .LBB417_1089
	s_branch .LBB417_1052
.LBB417_990:
	s_mov_b64 s[8:9], -1
	s_mov_b64 s[2:3], s[54:55]
	s_branch .LBB417_1049
.LBB417_991:
	s_mov_b64 s[8:9], 0
.LBB417_992:
	s_and_b64 vcc, exec, s[8:9]
	s_cbranch_vccz .LBB417_1007
; %bb.993:
	s_cmp_lt_i32 s17, 27
	s_mov_b64 s[8:9], -1
	s_cbranch_scc1 .LBB417_999
; %bb.994:
	s_cmp_gt_i32 s17, 27
	s_cbranch_scc0 .LBB417_996
; %bb.995:
	v_lshlrev_b32_e32 v0, 16, v4
	v_cvt_u32_f32_e32 v0, v0
	s_mov_b64 s[8:9], 0
	global_store_dword v[2:3], v0, off
.LBB417_996:
	s_andn2_b64 vcc, exec, s[8:9]
	s_cbranch_vccnz .LBB417_998
; %bb.997:
	v_lshlrev_b32_e32 v0, 16, v4
	v_cvt_u32_f32_e32 v0, v0
	global_store_short v[2:3], v0, off
.LBB417_998:
	s_mov_b64 s[8:9], 0
.LBB417_999:
	s_andn2_b64 vcc, exec, s[8:9]
	s_cbranch_vccnz .LBB417_1007
; %bb.1000:
	v_lshlrev_b32_e32 v5, 16, v4
	v_and_b32_e32 v1, 0x7fffffff, v5
	s_mov_b32 s8, 0x43800000
	v_cmp_gt_u32_e32 vcc, s8, v1
	v_mov_b32_e32 v6, 0x80
	s_and_saveexec_b64 s[8:9], vcc
	s_cbranch_execz .LBB417_1006
; %bb.1001:
	s_mov_b32 s10, 0x3bffffff
	v_and_b32_e32 v0, 0xffff, v4
	v_cmp_lt_u32_e32 vcc, s10, v1
	s_mov_b64 s[10:11], 0
                                        ; implicit-def: $vgpr1
	s_and_saveexec_b64 s[12:13], vcc
	s_xor_b64 s[12:13], exec, s[12:13]
	s_cbranch_execz .LBB417_1160
; %bb.1002:
	v_bfe_u32 v1, v0, 4, 1
	s_mov_b32 s14, 0x487ffff
	v_add3_u32 v1, v5, v1, s14
	s_mov_b64 s[10:11], exec
	v_lshrrev_b32_e32 v1, 20, v1
                                        ; implicit-def: $vgpr5
	s_andn2_saveexec_b64 s[12:13], s[12:13]
	s_cbranch_execnz .LBB417_1161
.LBB417_1003:
	s_or_b64 exec, exec, s[12:13]
	v_mov_b32_e32 v6, 0
	s_and_saveexec_b64 s[12:13], s[10:11]
.LBB417_1004:
	v_lshrrev_b32_e32 v0, 8, v0
	s_movk_i32 s10, 0x80
	v_and_or_b32 v6, v0, s10, v1
.LBB417_1005:
	s_or_b64 exec, exec, s[12:13]
.LBB417_1006:
	s_or_b64 exec, exec, s[8:9]
	global_store_byte v[2:3], v6, off
.LBB417_1007:
	s_mov_b64 s[10:11], 0
.LBB417_1008:
	s_mov_b64 s[8:9], 0
	s_and_b64 vcc, exec, s[10:11]
	s_cbranch_vccz .LBB417_1048
; %bb.1009:
	s_cmp_gt_i32 s17, 22
	s_mov_b64 s[10:11], -1
	s_cbranch_scc0 .LBB417_1041
; %bb.1010:
	s_cmp_lt_i32 s17, 24
	s_cbranch_scc1 .LBB417_1030
; %bb.1011:
	s_cmp_gt_i32 s17, 24
	s_cbranch_scc0 .LBB417_1019
; %bb.1012:
	v_lshlrev_b32_e32 v5, 16, v4
	v_and_b32_e32 v1, 0x7fffffff, v5
	s_mov_b32 s10, 0x47800000
	v_cmp_gt_u32_e32 vcc, s10, v1
	v_mov_b32_e32 v6, 0x80
	s_and_saveexec_b64 s[10:11], vcc
	s_cbranch_execz .LBB417_1018
; %bb.1013:
	s_mov_b32 s12, 0x37ffffff
	v_and_b32_e32 v0, 0xffff, v4
	v_cmp_lt_u32_e32 vcc, s12, v1
	s_mov_b64 s[12:13], 0
                                        ; implicit-def: $vgpr1
	s_and_saveexec_b64 s[14:15], vcc
	s_xor_b64 s[14:15], exec, s[14:15]
	s_cbranch_execz .LBB417_1284
; %bb.1014:
	v_bfe_u32 v1, v0, 5, 1
	s_mov_b32 s18, 0x88fffff
	v_add3_u32 v1, v5, v1, s18
	s_mov_b64 s[12:13], exec
	v_lshrrev_b32_e32 v1, 21, v1
                                        ; implicit-def: $vgpr5
	s_andn2_saveexec_b64 s[14:15], s[14:15]
	s_cbranch_execnz .LBB417_1285
.LBB417_1015:
	s_or_b64 exec, exec, s[14:15]
	v_mov_b32_e32 v6, 0
	s_and_saveexec_b64 s[14:15], s[12:13]
.LBB417_1016:
	v_lshrrev_b32_e32 v0, 8, v0
	s_movk_i32 s12, 0x80
	v_and_or_b32 v6, v0, s12, v1
.LBB417_1017:
	s_or_b64 exec, exec, s[14:15]
.LBB417_1018:
	s_or_b64 exec, exec, s[10:11]
	s_mov_b64 s[10:11], 0
	global_store_byte v[2:3], v6, off
.LBB417_1019:
	s_and_b64 vcc, exec, s[10:11]
	s_cbranch_vccz .LBB417_1029
; %bb.1020:
	v_lshlrev_b32_e32 v5, 16, v4
	v_and_b32_e32 v6, 0x7fffffff, v5
	s_mov_b32 s10, 0x43f00000
	v_and_b32_e32 v0, 0xffff, v4
	v_cmp_gt_u32_e32 vcc, s10, v6
                                        ; implicit-def: $vgpr1
	s_and_saveexec_b64 s[10:11], vcc
	s_xor_b64 s[10:11], exec, s[10:11]
	s_cbranch_execz .LBB417_1026
; %bb.1021:
	s_mov_b32 s12, 0x3c7fffff
	v_cmp_lt_u32_e32 vcc, s12, v6
                                        ; implicit-def: $vgpr1
	s_and_saveexec_b64 s[12:13], vcc
	s_xor_b64 s[12:13], exec, s[12:13]
; %bb.1022:
	v_bfe_u32 v1, v0, 4, 1
	s_mov_b32 s14, 0x407ffff
	v_add3_u32 v1, v5, v1, s14
	v_lshrrev_b32_e32 v5, 20, v1
	v_and_b32_e32 v1, 0xff00000, v1
	s_mov_b32 s14, 0x7f00000
	v_mov_b32_e32 v6, 0x7e
	v_cmp_ne_u32_e32 vcc, s14, v1
	s_nop 1
	v_cndmask_b32_e32 v1, v6, v5, vcc
                                        ; implicit-def: $vgpr5
; %bb.1023:
	s_andn2_saveexec_b64 s[12:13], s[12:13]
; %bb.1024:
	s_mov_b32 s14, 0x46800000
	v_add_f32_e64 v1, |v5|, s14
; %bb.1025:
	s_or_b64 exec, exec, s[12:13]
                                        ; implicit-def: $vgpr6
.LBB417_1026:
	s_andn2_saveexec_b64 s[10:11], s[10:11]
; %bb.1027:
	s_mov_b32 s12, 0x7f800000
	v_mov_b32_e32 v1, 0x7e
	v_mov_b32_e32 v5, 0x7f
	v_cmp_lt_u32_e32 vcc, s12, v6
	s_nop 1
	v_cndmask_b32_e32 v1, v1, v5, vcc
; %bb.1028:
	s_or_b64 exec, exec, s[10:11]
	v_lshrrev_b32_e32 v0, 8, v0
	s_movk_i32 s10, 0x80
	v_and_or_b32 v0, v0, s10, v1
	global_store_byte v[2:3], v0, off
.LBB417_1029:
	s_mov_b64 s[10:11], 0
.LBB417_1030:
	s_andn2_b64 vcc, exec, s[10:11]
	s_cbranch_vccnz .LBB417_1040
; %bb.1031:
	v_lshlrev_b32_e32 v5, 16, v4
	v_and_b32_e32 v6, 0x7fffffff, v5
	s_mov_b32 s10, 0x47800000
	v_and_b32_e32 v0, 0xffff, v4
	v_cmp_gt_u32_e32 vcc, s10, v6
                                        ; implicit-def: $vgpr1
	s_and_saveexec_b64 s[10:11], vcc
	s_xor_b64 s[10:11], exec, s[10:11]
	s_cbranch_execz .LBB417_1037
; %bb.1032:
	s_mov_b32 s12, 0x387fffff
	v_cmp_lt_u32_e32 vcc, s12, v6
                                        ; implicit-def: $vgpr1
	s_and_saveexec_b64 s[12:13], vcc
	s_xor_b64 s[12:13], exec, s[12:13]
; %bb.1033:
	v_bfe_u32 v1, v0, 5, 1
	s_mov_b32 s14, 0x80fffff
	v_add3_u32 v1, v5, v1, s14
	v_lshrrev_b32_e32 v1, 21, v1
                                        ; implicit-def: $vgpr5
; %bb.1034:
	s_andn2_saveexec_b64 s[12:13], s[12:13]
; %bb.1035:
	s_mov_b32 s14, 0x43000000
	v_add_f32_e64 v1, |v5|, s14
; %bb.1036:
	s_or_b64 exec, exec, s[12:13]
                                        ; implicit-def: $vgpr6
.LBB417_1037:
	s_andn2_saveexec_b64 s[10:11], s[10:11]
; %bb.1038:
	s_mov_b32 s12, 0x7f800000
	v_mov_b32_e32 v1, 0x7c
	v_mov_b32_e32 v5, 0x7f
	v_cmp_lt_u32_e32 vcc, s12, v6
	s_nop 1
	v_cndmask_b32_e32 v1, v1, v5, vcc
; %bb.1039:
	s_or_b64 exec, exec, s[10:11]
	v_lshrrev_b32_e32 v0, 8, v0
	s_movk_i32 s10, 0x80
	v_and_or_b32 v0, v0, s10, v1
	global_store_byte v[2:3], v0, off
.LBB417_1040:
	s_mov_b64 s[10:11], 0
.LBB417_1041:
	s_andn2_b64 vcc, exec, s[10:11]
	s_mov_b64 s[10:11], 0
	s_cbranch_vccnz .LBB417_1049
; %bb.1042:
	s_cmp_gt_i32 s17, 14
	s_mov_b64 s[12:13], -1
	s_cbranch_scc0 .LBB417_1046
; %bb.1043:
	s_cmp_eq_u32 s17, 15
	s_mov_b64 s[2:3], -1
	s_cbranch_scc0 .LBB417_1045
; %bb.1044:
	global_store_short v[2:3], v4, off
	s_mov_b64 s[2:3], 0
.LBB417_1045:
	s_mov_b64 s[12:13], 0
.LBB417_1046:
	s_and_b64 vcc, exec, s[12:13]
	s_cbranch_vccz .LBB417_1049
; %bb.1047:
	s_cmp_lg_u32 s17, 11
	s_cselect_b64 s[12:13], -1, 0
	s_andn2_b64 s[2:3], s[2:3], exec
	s_and_b64 s[12:13], s[12:13], exec
	s_mov_b64 s[10:11], -1
	s_or_b64 s[2:3], s[2:3], s[12:13]
	s_branch .LBB417_1049
.LBB417_1048:
	s_mov_b64 s[10:11], 0
.LBB417_1049:
	s_andn2_b64 s[12:13], s[54:55], exec
	s_and_b64 s[2:3], s[2:3], exec
	s_and_b64 s[8:9], s[8:9], exec
	;; [unrolled: 1-line block ×3, first 2 shown]
	s_or_b64 s[54:55], s[12:13], s[2:3]
	s_or_b64 exec, exec, s[6:7]
	s_and_saveexec_b64 s[2:3], s[54:55]
	s_cbranch_execz .LBB417_988
.LBB417_1050:
	s_or_b64 s[4:5], s[4:5], exec
	s_andn2_b64 s[10:11], s[10:11], exec
	s_trap 2
	s_or_b64 exec, exec, s[2:3]
	s_and_saveexec_b64 s[2:3], s[10:11]
	s_xor_b64 s[2:3], exec, s[2:3]
	s_cbranch_execnz .LBB417_989
.LBB417_1051:
	s_or_b64 exec, exec, s[2:3]
	s_and_saveexec_b64 s[2:3], s[8:9]
	s_xor_b64 s[2:3], exec, s[2:3]
	s_cbranch_execz .LBB417_1089
.LBB417_1052:
	s_sext_i32_i16 s8, s16
	s_cmp_lt_i32 s8, 5
	s_mov_b64 s[6:7], -1
	s_cbranch_scc1 .LBB417_1073
; %bb.1053:
	s_cmp_lt_i32 s8, 8
	s_cbranch_scc1 .LBB417_1063
; %bb.1054:
	s_cmp_lt_i32 s8, 9
	s_cbranch_scc1 .LBB417_1060
; %bb.1055:
	s_cmp_gt_i32 s8, 9
	s_cbranch_scc0 .LBB417_1057
; %bb.1056:
	v_lshlrev_b32_e32 v0, 16, v4
	v_mov_b32_e32 v8, 0
	v_cvt_f64_f32_e32 v[6:7], v0
	v_mov_b32_e32 v9, v8
	s_mov_b64 s[6:7], 0
	global_store_dwordx4 v[2:3], v[6:9], off
.LBB417_1057:
	s_andn2_b64 vcc, exec, s[6:7]
	s_cbranch_vccnz .LBB417_1059
; %bb.1058:
	v_lshlrev_b32_e32 v0, 16, v4
	s_waitcnt vmcnt(0)
	v_mov_b32_e32 v1, 0
	global_store_dwordx2 v[2:3], v[0:1], off
.LBB417_1059:
	s_mov_b64 s[6:7], 0
.LBB417_1060:
	s_andn2_b64 vcc, exec, s[6:7]
	s_cbranch_vccnz .LBB417_1062
; %bb.1061:
	v_lshlrev_b32_e32 v0, 16, v4
	v_cvt_f16_f32_e32 v0, v0
	global_store_dword v[2:3], v0, off
.LBB417_1062:
	s_mov_b64 s[6:7], 0
.LBB417_1063:
	s_andn2_b64 vcc, exec, s[6:7]
	s_cbranch_vccnz .LBB417_1072
; %bb.1064:
	s_sext_i32_i16 s8, s16
	s_cmp_lt_i32 s8, 6
	s_mov_b64 s[6:7], -1
	s_cbranch_scc1 .LBB417_1070
; %bb.1065:
	s_cmp_gt_i32 s8, 6
	s_cbranch_scc0 .LBB417_1067
; %bb.1066:
	v_lshlrev_b32_e32 v0, 16, v4
	s_waitcnt vmcnt(0)
	v_cvt_f64_f32_e32 v[0:1], v0
	s_mov_b64 s[6:7], 0
	global_store_dwordx2 v[2:3], v[0:1], off
.LBB417_1067:
	s_andn2_b64 vcc, exec, s[6:7]
	s_cbranch_vccnz .LBB417_1069
; %bb.1068:
	v_lshlrev_b32_e32 v0, 16, v4
	global_store_dword v[2:3], v0, off
.LBB417_1069:
	s_mov_b64 s[6:7], 0
.LBB417_1070:
	s_andn2_b64 vcc, exec, s[6:7]
	s_cbranch_vccnz .LBB417_1072
; %bb.1071:
	v_lshlrev_b32_e32 v0, 16, v4
	v_cvt_f16_f32_e32 v0, v0
	global_store_short v[2:3], v0, off
.LBB417_1072:
	s_mov_b64 s[6:7], 0
.LBB417_1073:
	s_andn2_b64 vcc, exec, s[6:7]
	s_cbranch_vccnz .LBB417_1089
; %bb.1074:
	s_sext_i32_i16 s8, s16
	s_cmp_lt_i32 s8, 2
	s_mov_b64 s[6:7], -1
	s_cbranch_scc1 .LBB417_1084
; %bb.1075:
	s_cmp_lt_i32 s8, 3
	s_cbranch_scc1 .LBB417_1081
; %bb.1076:
	s_cmp_gt_i32 s8, 3
	s_cbranch_scc0 .LBB417_1078
; %bb.1077:
	v_lshlrev_b32_e32 v0, 16, v4
	v_trunc_f32_e32 v0, v0
	s_mov_b32 s6, 0x2f800000
	s_waitcnt vmcnt(0)
	v_mul_f32_e64 v1, |v0|, s6
	v_floor_f32_e32 v1, v1
	s_mov_b32 s6, 0xcf800000
	v_cvt_u32_f32_e32 v5, v1
	v_fma_f32 v1, v1, s6, |v0|
	v_cvt_u32_f32_e32 v1, v1
	v_ashrrev_i32_e32 v6, 31, v0
	v_xor_b32_e32 v5, v5, v6
	s_mov_b64 s[6:7], 0
	v_xor_b32_e32 v0, v1, v6
	v_sub_co_u32_e32 v0, vcc, v0, v6
	s_nop 1
	v_subb_co_u32_e32 v1, vcc, v5, v6, vcc
	global_store_dwordx2 v[2:3], v[0:1], off
.LBB417_1078:
	s_andn2_b64 vcc, exec, s[6:7]
	s_cbranch_vccnz .LBB417_1080
; %bb.1079:
	v_lshlrev_b32_e32 v0, 16, v4
	v_cvt_i32_f32_e32 v0, v0
	global_store_dword v[2:3], v0, off
.LBB417_1080:
	s_mov_b64 s[6:7], 0
.LBB417_1081:
	s_andn2_b64 vcc, exec, s[6:7]
	s_cbranch_vccnz .LBB417_1083
; %bb.1082:
	v_lshlrev_b32_e32 v0, 16, v4
	v_cvt_i32_f32_e32 v0, v0
	global_store_short v[2:3], v0, off
.LBB417_1083:
	s_mov_b64 s[6:7], 0
.LBB417_1084:
	s_andn2_b64 vcc, exec, s[6:7]
	s_cbranch_vccnz .LBB417_1089
; %bb.1085:
	s_sext_i32_i16 s6, s16
	s_cmp_gt_i32 s6, 0
	s_mov_b64 s[6:7], -1
	s_cbranch_scc0 .LBB417_1087
; %bb.1086:
	v_lshlrev_b32_e32 v0, 16, v4
	v_cvt_i32_f32_e32 v0, v0
	s_mov_b64 s[6:7], 0
	global_store_byte v[2:3], v0, off
.LBB417_1087:
	s_andn2_b64 vcc, exec, s[6:7]
	s_cbranch_vccnz .LBB417_1089
; %bb.1088:
	v_lshlrev_b32_e32 v0, 16, v4
	v_trunc_f32_e32 v0, v0
	s_mov_b32 s6, 0x2f800000
	s_waitcnt vmcnt(0)
	v_mul_f32_e64 v1, |v0|, s6
	v_floor_f32_e32 v1, v1
	s_mov_b32 s6, 0xcf800000
	v_fma_f32 v1, v1, s6, |v0|
	v_cvt_u32_f32_e32 v1, v1
	v_ashrrev_i32_e32 v0, 31, v0
	v_xor_b32_e32 v1, v1, v0
	v_sub_u32_e32 v0, v1, v0
	global_store_byte v[2:3], v0, off
.LBB417_1089:
	s_or_b64 exec, exec, s[2:3]
	s_and_b64 s[24:25], s[4:5], exec
                                        ; implicit-def: $vgpr16
                                        ; implicit-def: $vgpr8
.LBB417_1090:
	s_or_saveexec_b64 s[26:27], s[44:45]
	s_mov_b64 s[6:7], 0
                                        ; implicit-def: $vgpr0_vgpr1
                                        ; implicit-def: $sgpr14
                                        ; implicit-def: $vgpr2
	s_xor_b64 exec, exec, s[26:27]
	s_cbranch_execz .LBB417_2093
; %bb.1091:
	v_cndmask_b32_e64 v0, 0, 1, s[42:43]
	v_cmp_ne_u32_e64 s[2:3], 1, v0
	s_andn2_b64 vcc, exec, s[42:43]
	s_cbranch_vccnz .LBB417_1097
; %bb.1092:
	s_cmp_lg_u32 s33, 0
	s_mov_b32 s36, 0
	s_cbranch_scc0 .LBB417_1098
; %bb.1093:
	s_min_u32 s37, s72, 15
	s_add_i32 s37, s37, 1
	s_cmp_eq_u32 s72, 2
	s_cbranch_scc1 .LBB417_1099
; %bb.1094:
	s_and_b32 s36, s37, 28
	s_add_u32 s28, s34, 0xc4
	s_addc_u32 s29, s35, 0
	s_mov_b32 s38, 0
	v_mov_b32_e32 v6, 0
	v_mov_b32_e32 v14, 0
	s_mov_b64 s[30:31], s[34:35]
	v_mov_b32_e32 v0, v8
.LBB417_1095:                           ; =>This Inner Loop Header: Depth=1
	s_load_dwordx8 s[12:19], s[30:31], 0x4
	s_load_dwordx4 s[20:23], s[30:31], 0x24
	s_load_dwordx8 s[4:11], s[28:29], 0x0
	s_add_u32 s30, s30, 48
	s_addc_u32 s31, s31, 0
	s_waitcnt vmcnt(0) lgkmcnt(0)
	v_mul_hi_u32 v1, s13, v0
	v_add_u32_e32 v1, v0, v1
	v_lshrrev_b32_e32 v1, s14, v1
	v_mul_lo_u32 v2, v1, s12
	v_mul_hi_u32 v3, s16, v1
	v_sub_u32_e32 v0, v0, v2
	v_add_u32_e32 v2, v1, v3
	v_lshrrev_b32_e32 v2, s17, v2
	v_mul_lo_u32 v4, v2, s15
	v_mul_hi_u32 v5, s19, v2
	v_sub_u32_e32 v1, v1, v4
	v_add_u32_e32 v4, v2, v5
	v_mul_lo_u32 v3, v0, s5
	v_mul_lo_u32 v0, v0, s4
	;; [unrolled: 1-line block ×4, first 2 shown]
	v_lshrrev_b32_e32 v4, s20, v4
	v_add3_u32 v1, v0, v6, v1
	v_add3_u32 v3, v3, v14, v5
	v_mul_lo_u32 v0, v4, s18
	v_mul_hi_u32 v5, s22, v4
	v_sub_u32_e32 v0, v2, v0
	v_add_u32_e32 v2, v4, v5
	v_mul_lo_u32 v5, v0, s8
	v_mul_lo_u32 v6, v0, s9
	v_lshrrev_b32_e32 v0, s23, v2
	s_add_i32 s38, s38, 4
	v_mul_lo_u32 v2, v0, s21
	s_add_u32 s28, s28, 32
	v_sub_u32_e32 v2, v4, v2
	s_addc_u32 s29, s29, 0
	v_mul_lo_u32 v4, v2, s10
	v_mul_lo_u32 v2, v2, s11
	s_cmp_lg_u32 s36, s38
	v_add3_u32 v14, v6, v3, v2
	v_add3_u32 v6, v5, v1, v4
	s_cbranch_scc1 .LBB417_1095
; %bb.1096:
	v_mov_b32_e32 v1, v14
	s_and_b32 s8, s37, 3
	s_cmp_eq_u32 s8, 0
	s_cbranch_scc0 .LBB417_1100
	s_branch .LBB417_1102
.LBB417_1097:
                                        ; implicit-def: $vgpr14
                                        ; implicit-def: $vgpr6
	s_branch .LBB417_1103
.LBB417_1098:
	v_mov_b32_e32 v14, 0
	v_mov_b32_e32 v6, 0
	s_branch .LBB417_1102
.LBB417_1099:
	v_mov_b32_e32 v6, 0
                                        ; implicit-def: $vgpr14
	s_waitcnt vmcnt(0)
	v_mov_b32_e32 v1, v6
	v_mov_b32_e32 v0, v8
	s_and_b32 s8, s37, 3
	s_cmp_eq_u32 s8, 0
	s_cbranch_scc1 .LBB417_1102
.LBB417_1100:
	s_lshl_b32 s4, s36, 3
	s_add_u32 s4, s34, s4
	s_addc_u32 s5, s35, 0
	s_add_u32 s4, s4, 0xc4
	s_addc_u32 s5, s5, 0
	s_mul_i32 s6, s36, 12
	s_add_u32 s6, s34, s6
	s_addc_u32 s7, s35, 0
.LBB417_1101:                           ; =>This Inner Loop Header: Depth=1
	s_load_dwordx2 s[10:11], s[6:7], 0x4
	s_load_dword s9, s[6:7], 0xc
	s_load_dwordx2 s[12:13], s[4:5], 0x0
	v_mov_b32_e32 v2, v1
	s_add_u32 s6, s6, 12
	s_waitcnt lgkmcnt(0)
	v_mul_hi_u32 v1, s11, v0
	v_add_u32_e32 v1, v0, v1
	v_lshrrev_b32_e32 v1, s9, v1
	s_addc_u32 s7, s7, 0
	v_mul_lo_u32 v3, v1, s10
	s_add_u32 s4, s4, 8
	v_sub_u32_e32 v3, v0, v3
	s_addc_u32 s5, s5, 0
	s_add_i32 s8, s8, -1
	v_mad_u64_u32 v[14:15], s[10:11], v3, s13, v[2:3]
	s_cmp_lg_u32 s8, 0
	v_mov_b32_e32 v0, v1
	v_mad_u64_u32 v[6:7], s[10:11], v3, s12, v[6:7]
	v_mov_b32_e32 v1, v14
	s_cbranch_scc1 .LBB417_1101
.LBB417_1102:
	s_cbranch_execnz .LBB417_1105
.LBB417_1103:
	s_load_dwordx4 s[4:7], s[34:35], 0x4
	s_load_dwordx2 s[8:9], s[34:35], 0xc4
	s_cmp_lt_u32 s33, 2
	s_waitcnt lgkmcnt(0)
	v_mul_hi_u32 v0, s5, v8
	v_add_u32_e32 v0, v8, v0
	v_lshrrev_b32_e32 v0, s6, v0
	s_waitcnt vmcnt(0)
	v_mul_lo_u32 v1, v0, s4
	v_sub_u32_e32 v1, v8, v1
	v_mul_lo_u32 v14, v1, s9
	v_mul_lo_u32 v6, v1, s8
	s_cbranch_scc1 .LBB417_1105
; %bb.1104:
	s_load_dwordx4 s[4:7], s[34:35], 0x10
	s_load_dwordx2 s[8:9], s[34:35], 0xcc
	s_waitcnt lgkmcnt(0)
	v_mul_hi_u32 v1, s5, v0
	v_add_u32_e32 v1, v0, v1
	v_lshrrev_b32_e32 v1, s6, v1
	v_mul_lo_u32 v1, v1, s4
	v_sub_u32_e32 v0, v0, v1
	v_mad_u64_u32 v[6:7], s[4:5], v0, s8, v[6:7]
	v_mad_u64_u32 v[14:15], s[4:5], v0, s9, v[14:15]
.LBB417_1105:
	s_and_b64 vcc, exec, s[2:3]
	v_add_u32_e32 v0, 0x80, v8
	s_cbranch_vccnz .LBB417_1111
; %bb.1106:
	s_cmp_lg_u32 s33, 0
	s_mov_b32 s36, 0
	s_cbranch_scc0 .LBB417_1112
; %bb.1107:
	s_min_u32 s37, s72, 15
	s_add_i32 s37, s37, 1
	s_cmp_eq_u32 s72, 2
	s_cbranch_scc1 .LBB417_1113
; %bb.1108:
	s_and_b32 s36, s37, 28
	s_add_u32 s28, s34, 0xc4
	s_addc_u32 s29, s35, 0
	s_mov_b32 s38, 0
	v_mov_b32_e32 v4, 0
	v_mov_b32_e32 v12, 0
	s_mov_b64 s[30:31], s[34:35]
	v_mov_b32_e32 v2, v0
.LBB417_1109:                           ; =>This Inner Loop Header: Depth=1
	s_load_dwordx8 s[12:19], s[30:31], 0x4
	s_load_dwordx4 s[20:23], s[30:31], 0x24
	s_load_dwordx8 s[4:11], s[28:29], 0x0
	s_add_u32 s30, s30, 48
	s_addc_u32 s31, s31, 0
	s_waitcnt vmcnt(0) lgkmcnt(0)
	v_mul_hi_u32 v1, s13, v2
	v_add_u32_e32 v1, v2, v1
	v_lshrrev_b32_e32 v1, s14, v1
	v_mul_lo_u32 v3, v1, s12
	v_mul_hi_u32 v5, s16, v1
	v_sub_u32_e32 v2, v2, v3
	v_add_u32_e32 v3, v1, v5
	v_lshrrev_b32_e32 v3, s17, v3
	v_mul_lo_u32 v7, v3, s15
	v_mul_hi_u32 v9, s19, v3
	v_sub_u32_e32 v1, v1, v7
	v_add_u32_e32 v7, v3, v9
	v_mul_lo_u32 v5, v2, s5
	v_mul_lo_u32 v2, v2, s4
	;; [unrolled: 1-line block ×4, first 2 shown]
	v_lshrrev_b32_e32 v7, s20, v7
	v_add3_u32 v1, v2, v4, v1
	v_add3_u32 v4, v5, v12, v9
	v_mul_lo_u32 v2, v7, s18
	v_mul_hi_u32 v5, s22, v7
	v_sub_u32_e32 v2, v3, v2
	v_add_u32_e32 v3, v7, v5
	v_mul_lo_u32 v5, v2, s8
	v_mul_lo_u32 v9, v2, s9
	v_lshrrev_b32_e32 v2, s23, v3
	s_add_i32 s38, s38, 4
	v_mul_lo_u32 v3, v2, s21
	s_add_u32 s28, s28, 32
	v_sub_u32_e32 v3, v7, v3
	s_addc_u32 s29, s29, 0
	v_mul_lo_u32 v7, v3, s10
	v_mul_lo_u32 v3, v3, s11
	s_cmp_lg_u32 s36, s38
	v_add3_u32 v12, v9, v4, v3
	v_add3_u32 v4, v5, v1, v7
	s_cbranch_scc1 .LBB417_1109
; %bb.1110:
	v_mov_b32_e32 v1, v12
	s_and_b32 s8, s37, 3
	s_cmp_eq_u32 s8, 0
	s_cbranch_scc0 .LBB417_1114
	s_branch .LBB417_1116
.LBB417_1111:
                                        ; implicit-def: $vgpr12
                                        ; implicit-def: $vgpr4
	s_branch .LBB417_1117
.LBB417_1112:
	v_mov_b32_e32 v12, 0
	v_mov_b32_e32 v4, 0
	s_branch .LBB417_1116
.LBB417_1113:
	v_mov_b32_e32 v4, 0
                                        ; implicit-def: $vgpr12
	s_waitcnt vmcnt(0)
	v_mov_b32_e32 v1, v4
	v_mov_b32_e32 v2, v0
	s_and_b32 s8, s37, 3
	s_cmp_eq_u32 s8, 0
	s_cbranch_scc1 .LBB417_1116
.LBB417_1114:
	s_lshl_b32 s4, s36, 3
	s_add_u32 s4, s34, s4
	s_addc_u32 s5, s35, 0
	s_add_u32 s4, s4, 0xc4
	s_addc_u32 s5, s5, 0
	s_mul_i32 s6, s36, 12
	s_add_u32 s6, s34, s6
	s_addc_u32 s7, s35, 0
.LBB417_1115:                           ; =>This Inner Loop Header: Depth=1
	s_load_dwordx2 s[10:11], s[6:7], 0x4
	s_load_dword s9, s[6:7], 0xc
	s_load_dwordx2 s[12:13], s[4:5], 0x0
	v_mov_b32_e32 v10, v1
	s_add_u32 s6, s6, 12
	s_waitcnt lgkmcnt(0)
	v_mul_hi_u32 v1, s11, v2
	v_add_u32_e32 v1, v2, v1
	v_lshrrev_b32_e32 v1, s9, v1
	s_addc_u32 s7, s7, 0
	v_mul_lo_u32 v3, v1, s10
	s_add_u32 s4, s4, 8
	v_sub_u32_e32 v3, v2, v3
	s_addc_u32 s5, s5, 0
	s_add_i32 s8, s8, -1
	v_mad_u64_u32 v[12:13], s[10:11], v3, s13, v[10:11]
	s_cmp_lg_u32 s8, 0
	v_mov_b32_e32 v2, v1
	v_mad_u64_u32 v[4:5], s[10:11], v3, s12, v[4:5]
	v_mov_b32_e32 v1, v12
	s_cbranch_scc1 .LBB417_1115
.LBB417_1116:
	s_cbranch_execnz .LBB417_1119
.LBB417_1117:
	s_load_dwordx4 s[4:7], s[34:35], 0x4
	s_load_dwordx2 s[8:9], s[34:35], 0xc4
	s_cmp_lt_u32 s33, 2
	s_waitcnt vmcnt(0) lgkmcnt(0)
	v_mul_hi_u32 v1, s5, v0
	v_add_u32_e32 v1, v0, v1
	v_lshrrev_b32_e32 v1, s6, v1
	v_mul_lo_u32 v2, v1, s4
	v_sub_u32_e32 v0, v0, v2
	v_mul_lo_u32 v12, v0, s9
	v_mul_lo_u32 v4, v0, s8
	s_cbranch_scc1 .LBB417_1119
; %bb.1118:
	s_load_dwordx4 s[4:7], s[34:35], 0x10
	s_load_dwordx2 s[8:9], s[34:35], 0xcc
	s_waitcnt lgkmcnt(0)
	v_mul_hi_u32 v0, s5, v1
	v_add_u32_e32 v0, v1, v0
	v_lshrrev_b32_e32 v0, s6, v0
	v_mul_lo_u32 v0, v0, s4
	v_sub_u32_e32 v0, v1, v0
	v_mad_u64_u32 v[4:5], s[4:5], v0, s8, v[4:5]
	v_mad_u64_u32 v[12:13], s[4:5], v0, s9, v[12:13]
.LBB417_1119:
	s_and_b64 vcc, exec, s[2:3]
	v_add_u32_e32 v0, 0x100, v8
	s_cbranch_vccnz .LBB417_1125
; %bb.1120:
	s_cmp_lg_u32 s33, 0
	s_mov_b32 s36, 0
	s_cbranch_scc0 .LBB417_1126
; %bb.1121:
	s_min_u32 s37, s72, 15
	s_add_i32 s37, s37, 1
	s_cmp_eq_u32 s72, 2
	s_cbranch_scc1 .LBB417_1127
; %bb.1122:
	s_and_b32 s36, s37, 28
	s_add_u32 s28, s34, 0xc4
	s_addc_u32 s29, s35, 0
	s_mov_b32 s38, 0
	v_mov_b32_e32 v2, 0
	v_mov_b32_e32 v10, 0
	s_mov_b64 s[30:31], s[34:35]
	v_mov_b32_e32 v5, v0
.LBB417_1123:                           ; =>This Inner Loop Header: Depth=1
	s_load_dwordx8 s[12:19], s[30:31], 0x4
	s_load_dwordx4 s[20:23], s[30:31], 0x24
	s_load_dwordx8 s[4:11], s[28:29], 0x0
	s_add_u32 s30, s30, 48
	s_addc_u32 s31, s31, 0
	s_waitcnt vmcnt(0) lgkmcnt(0)
	v_mul_hi_u32 v1, s13, v5
	v_add_u32_e32 v1, v5, v1
	v_lshrrev_b32_e32 v1, s14, v1
	v_mul_lo_u32 v3, v1, s12
	v_mul_hi_u32 v7, s16, v1
	v_sub_u32_e32 v3, v5, v3
	v_add_u32_e32 v5, v1, v7
	v_lshrrev_b32_e32 v5, s17, v5
	v_mul_lo_u32 v8, v5, s15
	v_mul_hi_u32 v9, s19, v5
	v_sub_u32_e32 v1, v1, v8
	v_add_u32_e32 v8, v5, v9
	v_mul_lo_u32 v7, v3, s5
	v_mul_lo_u32 v3, v3, s4
	;; [unrolled: 1-line block ×4, first 2 shown]
	v_lshrrev_b32_e32 v8, s20, v8
	v_add3_u32 v1, v3, v2, v1
	v_add3_u32 v2, v7, v10, v9
	v_mul_lo_u32 v3, v8, s18
	v_mul_hi_u32 v7, s22, v8
	v_sub_u32_e32 v3, v5, v3
	v_add_u32_e32 v5, v8, v7
	v_lshrrev_b32_e32 v5, s23, v5
	s_add_i32 s38, s38, 4
	v_mul_lo_u32 v9, v5, s21
	s_add_u32 s28, s28, 32
	v_sub_u32_e32 v8, v8, v9
	s_addc_u32 s29, s29, 0
	v_mul_lo_u32 v7, v3, s8
	v_mul_lo_u32 v3, v3, s9
	;; [unrolled: 1-line block ×4, first 2 shown]
	s_cmp_lg_u32 s36, s38
	v_add3_u32 v10, v3, v2, v8
	v_add3_u32 v2, v7, v1, v9
	s_cbranch_scc1 .LBB417_1123
; %bb.1124:
	v_mov_b32_e32 v1, v10
	s_and_b32 s8, s37, 3
	s_cmp_eq_u32 s8, 0
	s_cbranch_scc0 .LBB417_1128
	s_branch .LBB417_1130
.LBB417_1125:
                                        ; implicit-def: $vgpr10
                                        ; implicit-def: $vgpr2
	s_branch .LBB417_1131
.LBB417_1126:
	v_mov_b32_e32 v10, 0
	v_mov_b32_e32 v2, 0
	s_branch .LBB417_1130
.LBB417_1127:
	v_mov_b32_e32 v2, 0
                                        ; implicit-def: $vgpr10
	s_waitcnt vmcnt(0)
	v_mov_b32_e32 v1, v2
	v_mov_b32_e32 v5, v0
	s_and_b32 s8, s37, 3
	s_cmp_eq_u32 s8, 0
	s_cbranch_scc1 .LBB417_1130
.LBB417_1128:
	s_lshl_b32 s4, s36, 3
	s_add_u32 s4, s34, s4
	s_addc_u32 s5, s35, 0
	s_add_u32 s4, s4, 0xc4
	s_addc_u32 s5, s5, 0
	s_mul_i32 s6, s36, 12
	s_add_u32 s6, s34, s6
	s_addc_u32 s7, s35, 0
.LBB417_1129:                           ; =>This Inner Loop Header: Depth=1
	s_load_dwordx2 s[10:11], s[6:7], 0x4
	s_load_dword s9, s[6:7], 0xc
	s_load_dwordx2 s[12:13], s[4:5], 0x0
	v_mov_b32_e32 v8, v1
	s_add_u32 s6, s6, 12
	s_waitcnt lgkmcnt(0)
	v_mul_hi_u32 v1, s11, v5
	v_add_u32_e32 v1, v5, v1
	v_lshrrev_b32_e32 v1, s9, v1
	s_addc_u32 s7, s7, 0
	v_mul_lo_u32 v3, v1, s10
	s_add_u32 s4, s4, 8
	v_sub_u32_e32 v3, v5, v3
	s_addc_u32 s5, s5, 0
	s_add_i32 s8, s8, -1
	v_mad_u64_u32 v[10:11], s[10:11], v3, s13, v[8:9]
	s_cmp_lg_u32 s8, 0
	v_mov_b32_e32 v5, v1
	v_mad_u64_u32 v[2:3], s[10:11], v3, s12, v[2:3]
	v_mov_b32_e32 v1, v10
	s_cbranch_scc1 .LBB417_1129
.LBB417_1130:
	s_cbranch_execnz .LBB417_1133
.LBB417_1131:
	s_load_dwordx4 s[4:7], s[34:35], 0x4
	s_load_dwordx2 s[8:9], s[34:35], 0xc4
	s_cmp_lt_u32 s33, 2
	s_waitcnt vmcnt(0) lgkmcnt(0)
	v_mul_hi_u32 v1, s5, v0
	v_add_u32_e32 v1, v0, v1
	v_lshrrev_b32_e32 v1, s6, v1
	v_mul_lo_u32 v2, v1, s4
	v_sub_u32_e32 v0, v0, v2
	v_mul_lo_u32 v10, v0, s9
	v_mul_lo_u32 v2, v0, s8
	s_cbranch_scc1 .LBB417_1133
; %bb.1132:
	s_load_dwordx4 s[4:7], s[34:35], 0x10
	s_load_dwordx2 s[8:9], s[34:35], 0xcc
	s_waitcnt lgkmcnt(0)
	v_mul_hi_u32 v0, s5, v1
	v_add_u32_e32 v0, v1, v0
	v_lshrrev_b32_e32 v0, s6, v0
	v_mul_lo_u32 v0, v0, s4
	v_sub_u32_e32 v0, v1, v0
	v_mad_u64_u32 v[2:3], s[4:5], v0, s8, v[2:3]
	v_mad_u64_u32 v[10:11], s[4:5], v0, s9, v[10:11]
.LBB417_1133:
	s_and_b64 vcc, exec, s[2:3]
	s_cbranch_vccnz .LBB417_1139
; %bb.1134:
	s_cmp_lg_u32 s33, 0
	s_mov_b32 s30, 0
	s_cbranch_scc0 .LBB417_1140
; %bb.1135:
	s_min_u32 s31, s72, 15
	s_add_i32 s31, s31, 1
	s_cmp_eq_u32 s72, 2
	s_cbranch_scc1 .LBB417_1141
; %bb.1136:
	s_and_b32 s30, s31, 28
	s_add_u32 s2, s34, 0xc4
	s_addc_u32 s3, s35, 0
	s_mov_b32 s36, 0
	v_mov_b32_e32 v0, 0
	v_mov_b32_e32 v8, 0
	s_mov_b64 s[28:29], s[34:35]
	v_mov_b32_e32 v3, v16
.LBB417_1137:                           ; =>This Inner Loop Header: Depth=1
	s_load_dwordx8 s[12:19], s[28:29], 0x4
	s_load_dwordx4 s[20:23], s[28:29], 0x24
	s_load_dwordx8 s[4:11], s[2:3], 0x0
	s_add_u32 s28, s28, 48
	s_addc_u32 s29, s29, 0
	s_waitcnt vmcnt(0) lgkmcnt(0)
	v_mul_hi_u32 v1, s13, v3
	v_add_u32_e32 v1, v3, v1
	v_lshrrev_b32_e32 v1, s14, v1
	v_mul_lo_u32 v5, v1, s12
	v_mul_hi_u32 v7, s16, v1
	v_sub_u32_e32 v3, v3, v5
	v_add_u32_e32 v5, v1, v7
	v_lshrrev_b32_e32 v5, s17, v5
	v_mul_lo_u32 v9, v5, s15
	v_mul_hi_u32 v11, s19, v5
	v_sub_u32_e32 v1, v1, v9
	v_add_u32_e32 v9, v5, v11
	v_mul_lo_u32 v7, v3, s5
	v_mul_lo_u32 v3, v3, s4
	;; [unrolled: 1-line block ×4, first 2 shown]
	v_lshrrev_b32_e32 v9, s20, v9
	v_add3_u32 v0, v3, v0, v1
	v_add3_u32 v1, v7, v8, v11
	v_mul_lo_u32 v3, v9, s18
	v_mul_hi_u32 v7, s22, v9
	v_sub_u32_e32 v3, v5, v3
	v_add_u32_e32 v5, v9, v7
	v_mul_lo_u32 v7, v3, s8
	v_mul_lo_u32 v8, v3, s9
	v_lshrrev_b32_e32 v3, s23, v5
	s_add_i32 s36, s36, 4
	v_mul_lo_u32 v5, v3, s21
	s_add_u32 s2, s2, 32
	v_sub_u32_e32 v5, v9, v5
	s_addc_u32 s3, s3, 0
	v_mul_lo_u32 v9, v5, s10
	v_mul_lo_u32 v5, v5, s11
	s_cmp_lg_u32 s30, s36
	v_add3_u32 v8, v8, v1, v5
	v_add3_u32 v0, v7, v0, v9
	s_cbranch_scc1 .LBB417_1137
; %bb.1138:
	v_mov_b32_e32 v1, v8
	s_and_b32 s6, s31, 3
	s_cmp_eq_u32 s6, 0
	s_cbranch_scc0 .LBB417_1142
	s_branch .LBB417_1144
.LBB417_1139:
                                        ; implicit-def: $vgpr8
                                        ; implicit-def: $vgpr0
	s_branch .LBB417_1145
.LBB417_1140:
	v_mov_b32_e32 v8, 0
	v_mov_b32_e32 v0, 0
	s_branch .LBB417_1144
.LBB417_1141:
	v_mov_b32_e32 v0, 0
                                        ; implicit-def: $vgpr8
	s_waitcnt vmcnt(0)
	v_mov_b32_e32 v1, v0
	v_mov_b32_e32 v3, v16
	s_and_b32 s6, s31, 3
	s_cmp_eq_u32 s6, 0
	s_cbranch_scc1 .LBB417_1144
.LBB417_1142:
	s_lshl_b32 s2, s30, 3
	s_add_u32 s2, s34, s2
	s_addc_u32 s3, s35, 0
	s_add_u32 s2, s2, 0xc4
	s_addc_u32 s3, s3, 0
	s_mul_i32 s4, s30, 12
	s_add_u32 s4, s34, s4
	s_addc_u32 s5, s35, 0
.LBB417_1143:                           ; =>This Inner Loop Header: Depth=1
	s_load_dwordx2 s[8:9], s[4:5], 0x4
	s_load_dword s7, s[4:5], 0xc
	s_load_dwordx2 s[10:11], s[2:3], 0x0
	v_mov_b32_e32 v8, v1
	s_add_u32 s4, s4, 12
	s_waitcnt lgkmcnt(0)
	v_mul_hi_u32 v1, s9, v3
	v_add_u32_e32 v1, v3, v1
	v_lshrrev_b32_e32 v1, s7, v1
	s_addc_u32 s5, s5, 0
	v_mul_lo_u32 v5, v1, s8
	s_add_u32 s2, s2, 8
	v_sub_u32_e32 v5, v3, v5
	s_addc_u32 s3, s3, 0
	s_add_i32 s6, s6, -1
	v_mov_b32_e32 v3, v1
	v_mad_u64_u32 v[8:9], s[8:9], v5, s11, v[8:9]
	v_mad_u64_u32 v[0:1], s[8:9], v5, s10, v[0:1]
	s_cmp_lg_u32 s6, 0
	v_mov_b32_e32 v1, v8
	s_cbranch_scc1 .LBB417_1143
.LBB417_1144:
	s_cbranch_execnz .LBB417_1147
.LBB417_1145:
	s_load_dwordx4 s[4:7], s[34:35], 0x4
	s_load_dwordx2 s[2:3], s[34:35], 0xc4
	s_cmp_lt_u32 s33, 2
	s_waitcnt lgkmcnt(0)
	v_mul_hi_u32 v0, s5, v16
	v_add_u32_e32 v0, v16, v0
	s_waitcnt vmcnt(0)
	v_lshrrev_b32_e32 v1, s6, v0
	v_mul_lo_u32 v0, v1, s4
	v_sub_u32_e32 v0, v16, v0
	v_mul_lo_u32 v8, v0, s3
	v_mul_lo_u32 v0, v0, s2
	s_cbranch_scc1 .LBB417_1147
; %bb.1146:
	s_load_dwordx4 s[4:7], s[34:35], 0x10
	s_load_dwordx2 s[2:3], s[34:35], 0xcc
	s_waitcnt lgkmcnt(0)
	v_mul_hi_u32 v3, s5, v1
	v_add_u32_e32 v3, v1, v3
	v_lshrrev_b32_e32 v3, s6, v3
	v_mul_lo_u32 v3, v3, s4
	v_sub_u32_e32 v3, v1, v3
	v_mad_u64_u32 v[0:1], s[4:5], v3, s2, v[0:1]
	v_mad_u64_u32 v[8:9], s[2:3], v3, s3, v[8:9]
.LBB417_1147:
	s_load_dword s16, s[0:1], 0x160
	s_load_dwordx4 s[4:7], s[34:35], 0x148
	v_mov_b32_e32 v15, 0
	s_waitcnt lgkmcnt(0)
	s_lshr_b32 s14, s16, 24
	s_cmp_lt_i32 s14, 11
	v_lshl_add_u64 v[14:15], s[6:7], 0, v[14:15]
	s_cbranch_scc1 .LBB417_1154
; %bb.1148:
	s_and_b32 s15, 0xffff, s14
	s_cmp_gt_i32 s15, 25
	s_mov_b64 s[8:9], 0
	s_cbranch_scc0 .LBB417_1156
; %bb.1149:
	s_cmp_gt_i32 s15, 28
	s_cbranch_scc0 .LBB417_1157
; %bb.1150:
	s_cmp_gt_i32 s15, 43
	;; [unrolled: 3-line block ×3, first 2 shown]
	s_cbranch_scc0 .LBB417_1159
; %bb.1152:
	s_cmp_eq_u32 s15, 46
	s_mov_b64 s[2:3], 0
	s_cbranch_scc0 .LBB417_1162
; %bb.1153:
	global_load_dword v1, v[14:15], off
	s_mov_b64 s[0:1], 0
	s_mov_b64 s[10:11], -1
	s_branch .LBB417_1163
.LBB417_1154:
	s_mov_b64 s[10:11], 0
                                        ; implicit-def: $vgpr1
	s_mov_b64 s[2:3], s[24:25]
	s_cbranch_execnz .LBB417_1225
.LBB417_1155:
	s_andn2_b64 vcc, exec, s[10:11]
	s_cbranch_vccz .LBB417_1270
	s_branch .LBB417_2091
.LBB417_1156:
	s_mov_b64 s[10:11], 0
	s_mov_b64 s[0:1], 0
                                        ; implicit-def: $vgpr1
	s_cbranch_execnz .LBB417_1190
	s_branch .LBB417_1221
.LBB417_1157:
	s_mov_b64 s[10:11], 0
	s_mov_b64 s[0:1], 0
                                        ; implicit-def: $vgpr1
	s_cbranch_execz .LBB417_1189
	s_branch .LBB417_1172
.LBB417_1158:
	s_mov_b64 s[10:11], 0
	s_mov_b64 s[0:1], 0
                                        ; implicit-def: $vgpr1
	s_cbranch_execnz .LBB417_1168
	s_branch .LBB417_1171
.LBB417_1159:
	s_mov_b64 s[2:3], -1
	s_mov_b64 s[10:11], 0
	s_mov_b64 s[0:1], 0
                                        ; implicit-def: $vgpr1
	s_branch .LBB417_1163
.LBB417_1160:
	s_andn2_saveexec_b64 s[12:13], s[12:13]
	s_cbranch_execz .LBB417_1003
.LBB417_1161:
	s_mov_b32 s14, 0x46000000
	v_add_f32_e64 v1, |v5|, s14
	v_and_b32_e32 v1, 0xff, v1
	v_cmp_ne_u32_e32 vcc, 0, v1
	s_andn2_b64 s[10:11], s[10:11], exec
	s_and_b64 s[14:15], vcc, exec
	s_or_b64 s[10:11], s[10:11], s[14:15]
	s_or_b64 exec, exec, s[12:13]
	v_mov_b32_e32 v6, 0
	s_and_saveexec_b64 s[12:13], s[10:11]
	s_cbranch_execnz .LBB417_1004
	s_branch .LBB417_1005
.LBB417_1162:
	s_mov_b64 s[0:1], -1
                                        ; implicit-def: $vgpr1
	s_mov_b64 s[10:11], 0
.LBB417_1163:
	s_and_b64 vcc, exec, s[2:3]
	s_cbranch_vccz .LBB417_1166
; %bb.1164:
	s_cmp_eq_u32 s15, 44
	s_cbranch_scc0 .LBB417_1167
; %bb.1165:
	global_load_ubyte v1, v[14:15], off
	s_movk_i32 s2, 0xff
	v_mov_b32_e32 v3, 0x7f800001
	v_mov_b32_e32 v5, 0x400000
	;; [unrolled: 1-line block ×3, first 2 shown]
	s_mov_b64 s[0:1], 0
	s_mov_b64 s[10:11], -1
	s_waitcnt vmcnt(0)
	v_lshlrev_b32_e32 v9, 23, v1
	v_cmp_ne_u32_e32 vcc, s2, v1
	s_nop 1
	v_cndmask_b32_e32 v3, v3, v9, vcc
	v_cmp_ne_u32_e32 vcc, 0, v1
	s_nop 1
	v_cndmask_b32_e32 v1, v5, v3, vcc
	v_add_u32_e32 v3, 0x7fff, v1
	v_cmp_o_f32_e32 vcc, v1, v1
	s_nop 1
	v_cndmask_b32_sdwa v1, v7, v3, vcc dst_sel:DWORD dst_unused:UNUSED_PAD src0_sel:DWORD src1_sel:WORD_1
.LBB417_1166:
	s_branch .LBB417_1171
.LBB417_1167:
	s_mov_b64 s[0:1], -1
                                        ; implicit-def: $vgpr1
	s_branch .LBB417_1171
.LBB417_1168:
	s_cmp_eq_u32 s15, 29
	s_cbranch_scc0 .LBB417_1170
; %bb.1169:
	global_load_dwordx2 v[16:17], v[14:15], off
	s_movk_i32 s2, 0x7fff
	s_mov_b64 s[0:1], 0
	s_mov_b64 s[10:11], -1
	s_waitcnt vmcnt(0)
	v_ffbh_u32_e32 v1, v17
	v_min_u32_e32 v1, 32, v1
	v_lshlrev_b64 v[16:17], v1, v[16:17]
	v_min_u32_e32 v3, 1, v16
	v_or_b32_e32 v3, v17, v3
	v_cvt_f32_u32_e32 v3, v3
	v_sub_u32_e32 v1, 32, v1
	v_ldexp_f32 v1, v3, v1
	v_bfe_u32 v3, v1, 16, 1
	v_add3_u32 v1, v1, v3, s2
	v_lshrrev_b32_e32 v1, 16, v1
	s_branch .LBB417_1171
.LBB417_1170:
	s_mov_b64 s[0:1], -1
                                        ; implicit-def: $vgpr1
.LBB417_1171:
	s_branch .LBB417_1189
.LBB417_1172:
	s_cmp_lt_i32 s15, 27
	s_cbranch_scc1 .LBB417_1175
; %bb.1173:
	s_cmp_gt_i32 s15, 27
	s_cbranch_scc0 .LBB417_1176
; %bb.1174:
	global_load_dword v1, v[14:15], off
	s_movk_i32 s2, 0x7fff
	s_waitcnt vmcnt(0)
	v_cvt_f32_u32_e32 v1, v1
	v_bfe_u32 v3, v1, 16, 1
	v_add3_u32 v1, v1, v3, s2
	v_lshrrev_b32_e32 v1, 16, v1
	s_mov_b64 s[2:3], 0
	s_branch .LBB417_1177
.LBB417_1175:
	s_mov_b64 s[2:3], -1
                                        ; implicit-def: $vgpr1
	s_branch .LBB417_1180
.LBB417_1176:
	s_mov_b64 s[2:3], -1
                                        ; implicit-def: $vgpr1
.LBB417_1177:
	s_andn2_b64 vcc, exec, s[2:3]
	s_cbranch_vccnz .LBB417_1179
; %bb.1178:
	global_load_ushort v1, v[14:15], off
	s_movk_i32 s2, 0x7fff
	s_waitcnt vmcnt(0)
	v_cvt_f32_u32_e32 v1, v1
	v_bfe_u32 v3, v1, 16, 1
	v_add3_u32 v1, v1, v3, s2
	v_lshrrev_b32_e32 v1, 16, v1
.LBB417_1179:
	s_mov_b64 s[2:3], 0
.LBB417_1180:
	s_andn2_b64 vcc, exec, s[2:3]
	s_cbranch_vccnz .LBB417_1188
; %bb.1181:
	global_load_ubyte v1, v[14:15], off
	s_movk_i32 s2, 0x7f
	s_waitcnt vmcnt(0)
	v_cmp_lt_i16_e32 vcc, s2, v1
	s_mov_b64 s[2:3], 0
	s_and_saveexec_b64 s[10:11], vcc
	s_xor_b64 s[10:11], exec, s[10:11]
	s_cbranch_execz .LBB417_1201
; %bb.1182:
	s_movk_i32 s2, 0x80
	v_cmp_eq_u16_e32 vcc, s2, v1
	s_mov_b64 s[2:3], -1
	s_and_saveexec_b64 s[12:13], vcc
; %bb.1183:
	s_xor_b64 s[2:3], exec, -1
; %bb.1184:
	s_or_b64 exec, exec, s[12:13]
	s_and_b64 s[2:3], s[2:3], exec
	s_or_saveexec_b64 s[10:11], s[10:11]
	v_mov_b32_e32 v3, 0x7f800001
	s_xor_b64 exec, exec, s[10:11]
	s_cbranch_execnz .LBB417_1202
.LBB417_1185:
	s_or_b64 exec, exec, s[10:11]
	s_and_saveexec_b64 s[10:11], s[2:3]
	s_cbranch_execz .LBB417_1187
.LBB417_1186:
	v_lshlrev_b32_e32 v3, 24, v1
	v_and_b32_e32 v1, 0xffff, v1
	v_and_b32_e32 v5, 7, v1
	v_ffbh_u32_e32 v9, v5
	v_min_u32_e32 v9, 32, v9
	v_subrev_u32_e32 v11, 28, v9
	v_bfe_u32 v7, v1, 3, 4
	v_lshlrev_b32_e32 v1, v11, v1
	v_sub_u32_e32 v9, 29, v9
	v_and_b32_e32 v1, 7, v1
	v_cmp_eq_u32_e32 vcc, 0, v7
	v_and_b32_e32 v3, 0x80000000, v3
	s_nop 0
	v_cndmask_b32_e32 v7, v7, v9, vcc
	v_cndmask_b32_e32 v1, v5, v1, vcc
	v_mov_b32_e32 v5, 0x3b800000
	v_lshlrev_b32_e32 v1, 20, v1
	v_lshl_add_u32 v5, v7, 23, v5
	v_or3_b32 v3, v3, v5, v1
.LBB417_1187:
	s_or_b64 exec, exec, s[10:11]
	v_bfe_u32 v1, v3, 16, 1
	s_movk_i32 s2, 0x7fff
	v_add3_u32 v1, v3, v1, s2
	v_cmp_o_f32_e32 vcc, v3, v3
	v_mov_b32_e32 v3, 0x7fc0
	s_nop 0
	v_cndmask_b32_sdwa v1, v3, v1, vcc dst_sel:DWORD dst_unused:UNUSED_PAD src0_sel:DWORD src1_sel:WORD_1
.LBB417_1188:
	s_mov_b64 s[10:11], -1
.LBB417_1189:
	s_branch .LBB417_1221
.LBB417_1190:
	s_cmp_gt_i32 s15, 22
	s_cbranch_scc0 .LBB417_1200
; %bb.1191:
	s_cmp_lt_i32 s15, 24
	s_cbranch_scc1 .LBB417_1203
; %bb.1192:
	s_cmp_gt_i32 s15, 24
	s_cbranch_scc0 .LBB417_1204
; %bb.1193:
	global_load_ubyte v1, v[14:15], off
	s_movk_i32 s2, 0x7f
	s_waitcnt vmcnt(0)
	v_cmp_lt_i16_e32 vcc, s2, v1
	s_mov_b64 s[2:3], 0
	s_and_saveexec_b64 s[8:9], vcc
	s_xor_b64 s[8:9], exec, s[8:9]
	s_cbranch_execz .LBB417_1215
; %bb.1194:
	s_movk_i32 s2, 0x80
	v_cmp_eq_u16_e32 vcc, s2, v1
	s_mov_b64 s[2:3], -1
	s_and_saveexec_b64 s[10:11], vcc
; %bb.1195:
	s_xor_b64 s[2:3], exec, -1
; %bb.1196:
	s_or_b64 exec, exec, s[10:11]
	s_and_b64 s[2:3], s[2:3], exec
	s_or_saveexec_b64 s[8:9], s[8:9]
	v_mov_b32_e32 v3, 0x7f800001
	s_xor_b64 exec, exec, s[8:9]
	s_cbranch_execnz .LBB417_1216
.LBB417_1197:
	s_or_b64 exec, exec, s[8:9]
	s_and_saveexec_b64 s[8:9], s[2:3]
	s_cbranch_execz .LBB417_1199
.LBB417_1198:
	v_lshlrev_b32_e32 v3, 24, v1
	v_and_b32_e32 v1, 0xffff, v1
	v_and_b32_e32 v5, 3, v1
	v_ffbh_u32_e32 v9, v5
	v_min_u32_e32 v9, 32, v9
	v_subrev_u32_e32 v11, 29, v9
	v_bfe_u32 v7, v1, 2, 5
	v_lshlrev_b32_e32 v1, v11, v1
	v_sub_u32_e32 v9, 30, v9
	v_and_b32_e32 v1, 3, v1
	v_cmp_eq_u32_e32 vcc, 0, v7
	v_and_b32_e32 v3, 0x80000000, v3
	s_nop 0
	v_cndmask_b32_e32 v7, v7, v9, vcc
	v_cndmask_b32_e32 v1, v5, v1, vcc
	v_mov_b32_e32 v5, 0x37800000
	v_lshlrev_b32_e32 v1, 21, v1
	v_lshl_add_u32 v5, v7, 23, v5
	v_or3_b32 v3, v3, v5, v1
.LBB417_1199:
	s_or_b64 exec, exec, s[8:9]
	v_bfe_u32 v1, v3, 16, 1
	s_movk_i32 s2, 0x7fff
	v_add3_u32 v1, v3, v1, s2
	v_cmp_o_f32_e32 vcc, v3, v3
	v_mov_b32_e32 v3, 0x7fc0
	s_mov_b64 s[2:3], 0
	v_cndmask_b32_sdwa v1, v3, v1, vcc dst_sel:DWORD dst_unused:UNUSED_PAD src0_sel:DWORD src1_sel:WORD_1
	s_branch .LBB417_1205
.LBB417_1200:
                                        ; implicit-def: $vgpr1
	s_mov_b64 s[8:9], 0
	s_branch .LBB417_1211
.LBB417_1201:
	s_or_saveexec_b64 s[10:11], s[10:11]
	v_mov_b32_e32 v3, 0x7f800001
	s_xor_b64 exec, exec, s[10:11]
	s_cbranch_execz .LBB417_1185
.LBB417_1202:
	v_cmp_ne_u16_e32 vcc, 0, v1
	s_andn2_b64 s[2:3], s[2:3], exec
	s_and_b64 s[12:13], vcc, exec
	v_mov_b32_e32 v3, 0
	s_or_b64 s[2:3], s[2:3], s[12:13]
	s_or_b64 exec, exec, s[10:11]
	s_and_saveexec_b64 s[10:11], s[2:3]
	s_cbranch_execnz .LBB417_1186
	s_branch .LBB417_1187
.LBB417_1203:
	s_mov_b64 s[2:3], -1
                                        ; implicit-def: $vgpr1
	s_branch .LBB417_1208
.LBB417_1204:
	s_mov_b64 s[2:3], -1
                                        ; implicit-def: $vgpr1
.LBB417_1205:
	s_and_b64 vcc, exec, s[2:3]
	s_cbranch_vccz .LBB417_1207
; %bb.1206:
	global_load_ubyte v1, v[14:15], off
	s_mov_b32 s2, 0x7f800000
	s_brev_b32 s3, 1
	s_movk_i32 s8, 0x7fff
	s_waitcnt vmcnt(0)
	v_lshlrev_b32_e32 v1, 24, v1
	v_and_b32_e32 v3, 0x7f000000, v1
	v_ffbh_u32_e32 v5, v3
	v_min_u32_e32 v5, 32, v5
	v_sub_u32_e64 v5, v5, 4 clamp
	v_lshlrev_b32_e32 v9, v5, v3
	v_lshlrev_b32_e32 v5, 23, v5
	v_lshrrev_b32_e32 v9, 4, v9
	v_add_u32_e32 v7, 0x1000000, v3
	v_sub_u32_e32 v5, v9, v5
	v_ashrrev_i32_e32 v7, 8, v7
	v_add_u32_e32 v5, 0x3c000000, v5
	v_and_or_b32 v5, v7, s2, v5
	v_cmp_ne_u32_e32 vcc, 0, v3
	s_nop 1
	v_cndmask_b32_e32 v3, 0, v5, vcc
	v_and_or_b32 v1, v1, s3, v3
	v_bfe_u32 v3, v3, 16, 1
	v_add3_u32 v3, v1, v3, s8
	v_cmp_o_f32_e32 vcc, v1, v1
	v_mov_b32_e32 v1, 0x7fc0
	s_nop 0
	v_cndmask_b32_sdwa v1, v1, v3, vcc dst_sel:DWORD dst_unused:UNUSED_PAD src0_sel:DWORD src1_sel:WORD_1
.LBB417_1207:
	s_mov_b64 s[2:3], 0
.LBB417_1208:
	s_andn2_b64 vcc, exec, s[2:3]
	s_cbranch_vccnz .LBB417_1210
; %bb.1209:
	global_load_ubyte v1, v[14:15], off
	s_movk_i32 s2, 0x7f00
	s_brev_b32 s3, 16
	s_brev_b32 s8, 1
	s_movk_i32 s9, 0x7fff
	s_waitcnt vmcnt(0)
	v_lshlrev_b16_e32 v3, 8, v1
	v_lshlrev_b32_e32 v1, 25, v1
	v_lshrrev_b32_e32 v5, 4, v1
	v_and_or_b32 v7, v3, s2, 0.5
	v_or_b32_e32 v5, 0x70000000, v5
	v_add_f32_e32 v7, -0.5, v7
	v_mul_f32_e32 v5, 0x7800000, v5
	v_cmp_gt_u32_e32 vcc, s3, v1
	v_bfe_i32 v3, v3, 0, 16
	s_nop 0
	v_cndmask_b32_e32 v1, v5, v7, vcc
	v_and_or_b32 v3, v3, s8, v1
	v_bfe_u32 v1, v1, 16, 1
	v_add3_u32 v1, v3, v1, s9
	v_cmp_o_f32_e32 vcc, v3, v3
	v_mov_b32_e32 v3, 0x7fc0
	s_nop 0
	v_cndmask_b32_sdwa v1, v3, v1, vcc dst_sel:DWORD dst_unused:UNUSED_PAD src0_sel:DWORD src1_sel:WORD_1
.LBB417_1210:
	s_mov_b64 s[10:11], -1
	s_mov_b64 s[8:9], 0
	s_cbranch_execnz .LBB417_1221
.LBB417_1211:
	s_cmp_gt_i32 s15, 14
	s_cbranch_scc0 .LBB417_1214
; %bb.1212:
	s_cmp_eq_u32 s15, 15
	s_cbranch_scc0 .LBB417_1217
; %bb.1213:
	global_load_ushort v1, v[14:15], off
	s_mov_b64 s[0:1], 0
	s_mov_b64 s[10:11], -1
	s_branch .LBB417_1218
.LBB417_1214:
	s_mov_b64 s[2:3], -1
                                        ; implicit-def: $vgpr1
	s_branch .LBB417_1219
.LBB417_1215:
	s_or_saveexec_b64 s[8:9], s[8:9]
	v_mov_b32_e32 v3, 0x7f800001
	s_xor_b64 exec, exec, s[8:9]
	s_cbranch_execz .LBB417_1197
.LBB417_1216:
	v_cmp_ne_u16_e32 vcc, 0, v1
	s_andn2_b64 s[2:3], s[2:3], exec
	s_and_b64 s[10:11], vcc, exec
	v_mov_b32_e32 v3, 0
	s_or_b64 s[2:3], s[2:3], s[10:11]
	s_or_b64 exec, exec, s[8:9]
	s_and_saveexec_b64 s[8:9], s[2:3]
	s_cbranch_execnz .LBB417_1198
	s_branch .LBB417_1199
.LBB417_1217:
	s_mov_b64 s[0:1], -1
                                        ; implicit-def: $vgpr1
.LBB417_1218:
	s_mov_b64 s[2:3], 0
.LBB417_1219:
	s_and_b64 vcc, exec, s[2:3]
	s_cbranch_vccz .LBB417_1221
; %bb.1220:
	s_cmp_lg_u32 s15, 11
	s_mov_b64 s[8:9], -1
	s_cselect_b64 s[0:1], -1, 0
.LBB417_1221:
	s_and_b64 vcc, exec, s[0:1]
	s_mov_b64 s[2:3], s[24:25]
	s_cbranch_vccnz .LBB417_1282
; %bb.1222:
	s_andn2_b64 vcc, exec, s[8:9]
	s_cbranch_vccnz .LBB417_1224
.LBB417_1223:
	global_load_ubyte v1, v[14:15], off
	s_mov_b64 s[10:11], -1
	s_waitcnt vmcnt(0)
	v_cmp_ne_u16_e32 vcc, 0, v1
	s_nop 1
	v_cndmask_b32_e64 v1, 0, 1.0, vcc
	v_lshrrev_b32_e32 v1, 16, v1
.LBB417_1224:
	s_branch .LBB417_1155
.LBB417_1225:
	s_and_b32 s8, 0xffff, s14
	s_cmp_lt_i32 s8, 5
	s_cbranch_scc1 .LBB417_1230
; %bb.1226:
	s_cmp_lt_i32 s8, 8
	s_cbranch_scc1 .LBB417_1231
; %bb.1227:
	;; [unrolled: 3-line block ×3, first 2 shown]
	s_cmp_gt_i32 s8, 9
	s_cbranch_scc0 .LBB417_1233
; %bb.1229:
	global_load_dwordx2 v[16:17], v[14:15], off
	s_movk_i32 s0, 0x7fff
	s_waitcnt vmcnt(1)
	v_mov_b32_e32 v1, 0x7fc0
	s_waitcnt vmcnt(0)
	v_cvt_f32_f64_e32 v3, v[16:17]
	v_bfe_u32 v5, v3, 16, 1
	v_cmp_o_f32_e32 vcc, v3, v3
	v_add3_u32 v3, v3, v5, s0
	s_mov_b64 s[0:1], 0
	v_cndmask_b32_sdwa v1, v1, v3, vcc dst_sel:DWORD dst_unused:UNUSED_PAD src0_sel:DWORD src1_sel:WORD_1
	s_branch .LBB417_1234
.LBB417_1230:
                                        ; implicit-def: $vgpr1
	s_branch .LBB417_1251
.LBB417_1231:
                                        ; implicit-def: $vgpr1
	s_branch .LBB417_1240
.LBB417_1232:
	s_mov_b64 s[0:1], -1
                                        ; implicit-def: $vgpr1
	s_branch .LBB417_1237
.LBB417_1233:
	s_mov_b64 s[0:1], -1
                                        ; implicit-def: $vgpr1
.LBB417_1234:
	s_andn2_b64 vcc, exec, s[0:1]
	s_cbranch_vccnz .LBB417_1236
; %bb.1235:
	global_load_dword v1, v[14:15], off
	s_movk_i32 s0, 0x7fff
	v_mov_b32_e32 v3, 0x7fc0
	s_waitcnt vmcnt(0)
	v_bfe_u32 v5, v1, 16, 1
	v_cmp_o_f32_e32 vcc, v1, v1
	v_add3_u32 v1, v1, v5, s0
	s_nop 0
	v_cndmask_b32_sdwa v1, v3, v1, vcc dst_sel:DWORD dst_unused:UNUSED_PAD src0_sel:DWORD src1_sel:WORD_1
.LBB417_1236:
	s_mov_b64 s[0:1], 0
.LBB417_1237:
	s_andn2_b64 vcc, exec, s[0:1]
	s_cbranch_vccnz .LBB417_1239
; %bb.1238:
	global_load_dword v1, v[14:15], off
	s_movk_i32 s0, 0x7fff
	v_mov_b32_e32 v5, 0x7fc0
	s_waitcnt vmcnt(0)
	v_cvt_f32_f16_e32 v3, v1
	v_cmp_o_f16_e32 vcc, v1, v1
	v_bfe_u32 v1, v3, 16, 1
	v_add3_u32 v1, v3, v1, s0
	v_cndmask_b32_sdwa v1, v5, v1, vcc dst_sel:DWORD dst_unused:UNUSED_PAD src0_sel:DWORD src1_sel:WORD_1
.LBB417_1239:
	s_cbranch_execnz .LBB417_1250
.LBB417_1240:
	s_cmp_lt_i32 s8, 6
	s_cbranch_scc1 .LBB417_1243
; %bb.1241:
	s_cmp_gt_i32 s8, 6
	s_cbranch_scc0 .LBB417_1244
; %bb.1242:
	global_load_dwordx2 v[16:17], v[14:15], off
	s_movk_i32 s0, 0x7fff
	s_waitcnt vmcnt(1)
	v_mov_b32_e32 v1, 0x7fc0
	s_waitcnt vmcnt(0)
	v_cvt_f32_f64_e32 v3, v[16:17]
	v_bfe_u32 v5, v3, 16, 1
	v_cmp_o_f32_e32 vcc, v3, v3
	v_add3_u32 v3, v3, v5, s0
	s_mov_b64 s[0:1], 0
	v_cndmask_b32_sdwa v1, v1, v3, vcc dst_sel:DWORD dst_unused:UNUSED_PAD src0_sel:DWORD src1_sel:WORD_1
	s_branch .LBB417_1245
.LBB417_1243:
	s_mov_b64 s[0:1], -1
                                        ; implicit-def: $vgpr1
	s_branch .LBB417_1248
.LBB417_1244:
	s_mov_b64 s[0:1], -1
                                        ; implicit-def: $vgpr1
.LBB417_1245:
	s_andn2_b64 vcc, exec, s[0:1]
	s_cbranch_vccnz .LBB417_1247
; %bb.1246:
	global_load_dword v1, v[14:15], off
	s_movk_i32 s0, 0x7fff
	v_mov_b32_e32 v3, 0x7fc0
	s_waitcnt vmcnt(0)
	v_bfe_u32 v5, v1, 16, 1
	v_cmp_o_f32_e32 vcc, v1, v1
	v_add3_u32 v1, v1, v5, s0
	s_nop 0
	v_cndmask_b32_sdwa v1, v3, v1, vcc dst_sel:DWORD dst_unused:UNUSED_PAD src0_sel:DWORD src1_sel:WORD_1
.LBB417_1247:
	s_mov_b64 s[0:1], 0
.LBB417_1248:
	s_andn2_b64 vcc, exec, s[0:1]
	s_cbranch_vccnz .LBB417_1250
; %bb.1249:
	global_load_ushort v1, v[14:15], off
	s_movk_i32 s0, 0x7fff
	v_mov_b32_e32 v5, 0x7fc0
	s_waitcnt vmcnt(0)
	v_cvt_f32_f16_e32 v3, v1
	v_cmp_o_f16_e32 vcc, v1, v1
	v_bfe_u32 v1, v3, 16, 1
	v_add3_u32 v1, v3, v1, s0
	v_cndmask_b32_sdwa v1, v5, v1, vcc dst_sel:DWORD dst_unused:UNUSED_PAD src0_sel:DWORD src1_sel:WORD_1
.LBB417_1250:
	s_cbranch_execnz .LBB417_1269
.LBB417_1251:
	s_cmp_lt_i32 s8, 2
	s_cbranch_scc1 .LBB417_1255
; %bb.1252:
	s_cmp_lt_i32 s8, 3
	s_cbranch_scc1 .LBB417_1256
; %bb.1253:
	s_cmp_gt_i32 s8, 3
	s_cbranch_scc0 .LBB417_1257
; %bb.1254:
	global_load_dwordx2 v[16:17], v[14:15], off
	s_movk_i32 s0, 0x7fff
	s_waitcnt vmcnt(0)
	v_xor_b32_e32 v3, v16, v17
	v_ffbh_i32_e32 v1, v17
	v_ashrrev_i32_e32 v3, 31, v3
	v_add_u32_e32 v1, -1, v1
	v_add_u32_e32 v3, 32, v3
	v_min_u32_e32 v1, v1, v3
	v_lshlrev_b64 v[16:17], v1, v[16:17]
	v_min_u32_e32 v3, 1, v16
	v_or_b32_e32 v3, v17, v3
	v_cvt_f32_i32_e32 v3, v3
	v_sub_u32_e32 v1, 32, v1
	v_ldexp_f32 v1, v3, v1
	v_bfe_u32 v3, v1, 16, 1
	v_add3_u32 v1, v1, v3, s0
	v_lshrrev_b32_e32 v1, 16, v1
	s_mov_b64 s[0:1], 0
	s_branch .LBB417_1258
.LBB417_1255:
                                        ; implicit-def: $vgpr1
	s_branch .LBB417_1264
.LBB417_1256:
	s_mov_b64 s[0:1], -1
                                        ; implicit-def: $vgpr1
	s_branch .LBB417_1261
.LBB417_1257:
	s_mov_b64 s[0:1], -1
                                        ; implicit-def: $vgpr1
.LBB417_1258:
	s_andn2_b64 vcc, exec, s[0:1]
	s_cbranch_vccnz .LBB417_1260
; %bb.1259:
	global_load_dword v1, v[14:15], off
	s_movk_i32 s0, 0x7fff
	s_waitcnt vmcnt(0)
	v_cvt_f32_i32_e32 v1, v1
	v_bfe_u32 v3, v1, 16, 1
	v_add3_u32 v1, v1, v3, s0
	v_lshrrev_b32_e32 v1, 16, v1
.LBB417_1260:
	s_mov_b64 s[0:1], 0
.LBB417_1261:
	s_andn2_b64 vcc, exec, s[0:1]
	s_cbranch_vccnz .LBB417_1263
; %bb.1262:
	global_load_sshort v1, v[14:15], off
	s_movk_i32 s0, 0x7fff
	s_waitcnt vmcnt(0)
	v_cvt_f32_i32_e32 v1, v1
	v_bfe_u32 v3, v1, 16, 1
	v_add3_u32 v1, v1, v3, s0
	v_lshrrev_b32_e32 v1, 16, v1
.LBB417_1263:
	s_cbranch_execnz .LBB417_1269
.LBB417_1264:
	s_cmp_gt_i32 s8, 0
	s_cbranch_scc0 .LBB417_1266
; %bb.1265:
	global_load_sbyte v1, v[14:15], off
	s_movk_i32 s0, 0x7fff
	s_waitcnt vmcnt(0)
	v_cvt_f32_i32_e32 v1, v1
	v_bfe_u32 v3, v1, 16, 1
	v_add3_u32 v1, v1, v3, s0
	v_lshrrev_b32_e32 v1, 16, v1
	s_mov_b64 s[0:1], 0
	s_branch .LBB417_1267
.LBB417_1266:
	s_mov_b64 s[0:1], -1
                                        ; implicit-def: $vgpr1
.LBB417_1267:
	s_andn2_b64 vcc, exec, s[0:1]
	s_cbranch_vccnz .LBB417_1269
; %bb.1268:
	global_load_ubyte v1, v[14:15], off
	s_movk_i32 s0, 0x7fff
	s_waitcnt vmcnt(0)
	v_cvt_f32_ubyte0_e32 v1, v1
	v_bfe_u32 v3, v1, 16, 1
	v_add3_u32 v1, v1, v3, s0
	v_lshrrev_b32_e32 v1, 16, v1
.LBB417_1269:
.LBB417_1270:
	v_mov_b32_e32 v13, 0
	s_and_b32 s17, 0xffff, s14
	s_cmp_lt_i32 s17, 11
	v_lshl_add_u64 v[12:13], s[6:7], 0, v[12:13]
	s_cbranch_scc1 .LBB417_1277
; %bb.1271:
	s_cmp_gt_i32 s17, 25
	s_mov_b64 s[8:9], 0
	s_cbranch_scc0 .LBB417_1279
; %bb.1272:
	s_cmp_gt_i32 s17, 28
	s_cbranch_scc0 .LBB417_1280
; %bb.1273:
	s_cmp_gt_i32 s17, 43
	;; [unrolled: 3-line block ×3, first 2 shown]
	s_cbranch_scc0 .LBB417_1283
; %bb.1275:
	s_cmp_eq_u32 s17, 46
	s_mov_b64 s[12:13], 0
	s_cbranch_scc0 .LBB417_1286
; %bb.1276:
	global_load_dword v3, v[12:13], off
	s_mov_b64 s[0:1], 0
	s_mov_b64 s[10:11], -1
	s_branch .LBB417_1287
.LBB417_1277:
	s_mov_b64 s[10:11], 0
                                        ; implicit-def: $vgpr3
	s_cbranch_execnz .LBB417_1352
.LBB417_1278:
	s_andn2_b64 vcc, exec, s[10:11]
	s_cbranch_vccnz .LBB417_2091
	s_branch .LBB417_1399
.LBB417_1279:
	s_mov_b64 s[10:11], 0
	s_mov_b64 s[0:1], 0
                                        ; implicit-def: $vgpr3
	s_cbranch_execnz .LBB417_1316
	s_branch .LBB417_1348
.LBB417_1280:
	s_mov_b64 s[12:13], -1
	s_mov_b64 s[10:11], 0
	s_mov_b64 s[0:1], 0
                                        ; implicit-def: $vgpr3
	s_branch .LBB417_1297
.LBB417_1281:
	s_mov_b64 s[12:13], -1
	s_mov_b64 s[10:11], 0
	s_mov_b64 s[0:1], 0
                                        ; implicit-def: $vgpr3
	s_branch .LBB417_1292
.LBB417_1282:
	s_or_b64 s[2:3], s[24:25], exec
	s_trap 2
	s_cbranch_execz .LBB417_1223
	s_branch .LBB417_1224
.LBB417_1283:
	s_mov_b64 s[12:13], -1
	s_mov_b64 s[10:11], 0
	s_mov_b64 s[0:1], 0
                                        ; implicit-def: $vgpr3
	s_branch .LBB417_1287
.LBB417_1284:
	s_andn2_saveexec_b64 s[14:15], s[14:15]
	s_cbranch_execz .LBB417_1015
.LBB417_1285:
	s_mov_b32 s18, 0x42800000
	v_add_f32_e64 v1, |v5|, s18
	v_and_b32_e32 v1, 0xff, v1
	v_cmp_ne_u32_e32 vcc, 0, v1
	s_andn2_b64 s[12:13], s[12:13], exec
	s_and_b64 s[18:19], vcc, exec
	s_or_b64 s[12:13], s[12:13], s[18:19]
	s_or_b64 exec, exec, s[14:15]
	v_mov_b32_e32 v6, 0
	s_and_saveexec_b64 s[14:15], s[12:13]
	s_cbranch_execnz .LBB417_1016
	s_branch .LBB417_1017
.LBB417_1286:
	s_mov_b64 s[0:1], -1
                                        ; implicit-def: $vgpr3
	s_mov_b64 s[10:11], 0
.LBB417_1287:
	s_and_b64 vcc, exec, s[12:13]
	s_cbranch_vccz .LBB417_1291
; %bb.1288:
	s_cmp_eq_u32 s17, 44
	s_cbranch_scc0 .LBB417_1290
; %bb.1289:
	global_load_ubyte v3, v[12:13], off
	s_movk_i32 s10, 0xff
	v_mov_b32_e32 v5, 0x7f800001
	v_mov_b32_e32 v7, 0x400000
	;; [unrolled: 1-line block ×3, first 2 shown]
	s_mov_b64 s[0:1], 0
	s_waitcnt vmcnt(0)
	v_lshlrev_b32_e32 v11, 23, v3
	v_cmp_ne_u32_e32 vcc, s10, v3
	s_mov_b64 s[10:11], -1
	s_nop 0
	v_cndmask_b32_e32 v5, v5, v11, vcc
	v_cmp_ne_u32_e32 vcc, 0, v3
	s_nop 1
	v_cndmask_b32_e32 v3, v7, v5, vcc
	v_add_u32_e32 v5, 0x7fff, v3
	v_cmp_o_f32_e32 vcc, v3, v3
	s_nop 1
	v_cndmask_b32_sdwa v3, v9, v5, vcc dst_sel:DWORD dst_unused:UNUSED_PAD src0_sel:DWORD src1_sel:WORD_1
	s_branch .LBB417_1291
.LBB417_1290:
	s_mov_b64 s[0:1], -1
                                        ; implicit-def: $vgpr3
.LBB417_1291:
	s_mov_b64 s[12:13], 0
.LBB417_1292:
	s_and_b64 vcc, exec, s[12:13]
	s_cbranch_vccz .LBB417_1296
; %bb.1293:
	s_cmp_eq_u32 s17, 29
	s_cbranch_scc0 .LBB417_1295
; %bb.1294:
	global_load_dwordx2 v[14:15], v[12:13], off
	s_movk_i32 s10, 0x7fff
	s_mov_b64 s[0:1], 0
	s_mov_b64 s[12:13], 0
	s_waitcnt vmcnt(0)
	v_ffbh_u32_e32 v3, v15
	v_min_u32_e32 v3, 32, v3
	v_lshlrev_b64 v[14:15], v3, v[14:15]
	v_min_u32_e32 v5, 1, v14
	v_or_b32_e32 v5, v15, v5
	v_cvt_f32_u32_e32 v5, v5
	v_sub_u32_e32 v3, 32, v3
	v_ldexp_f32 v3, v5, v3
	v_bfe_u32 v5, v3, 16, 1
	v_add3_u32 v3, v3, v5, s10
	v_lshrrev_b32_e32 v3, 16, v3
	s_mov_b64 s[10:11], -1
	s_branch .LBB417_1297
.LBB417_1295:
	s_mov_b64 s[0:1], -1
                                        ; implicit-def: $vgpr3
.LBB417_1296:
	s_mov_b64 s[12:13], 0
.LBB417_1297:
	s_and_b64 vcc, exec, s[12:13]
	s_cbranch_vccz .LBB417_1315
; %bb.1298:
	s_cmp_lt_i32 s17, 27
	s_cbranch_scc1 .LBB417_1301
; %bb.1299:
	s_cmp_gt_i32 s17, 27
	s_cbranch_scc0 .LBB417_1302
; %bb.1300:
	global_load_dword v3, v[12:13], off
	s_movk_i32 s10, 0x7fff
	s_waitcnt vmcnt(0)
	v_cvt_f32_u32_e32 v3, v3
	v_bfe_u32 v5, v3, 16, 1
	v_add3_u32 v3, v3, v5, s10
	v_lshrrev_b32_e32 v3, 16, v3
	s_mov_b64 s[10:11], 0
	s_branch .LBB417_1303
.LBB417_1301:
	s_mov_b64 s[10:11], -1
                                        ; implicit-def: $vgpr3
	s_branch .LBB417_1306
.LBB417_1302:
	s_mov_b64 s[10:11], -1
                                        ; implicit-def: $vgpr3
.LBB417_1303:
	s_andn2_b64 vcc, exec, s[10:11]
	s_cbranch_vccnz .LBB417_1305
; %bb.1304:
	global_load_ushort v3, v[12:13], off
	s_movk_i32 s10, 0x7fff
	s_waitcnt vmcnt(0)
	v_cvt_f32_u32_e32 v3, v3
	v_bfe_u32 v5, v3, 16, 1
	v_add3_u32 v3, v3, v5, s10
	v_lshrrev_b32_e32 v3, 16, v3
.LBB417_1305:
	s_mov_b64 s[10:11], 0
.LBB417_1306:
	s_andn2_b64 vcc, exec, s[10:11]
	s_cbranch_vccnz .LBB417_1314
; %bb.1307:
	global_load_ubyte v3, v[12:13], off
	s_movk_i32 s10, 0x7f
	s_waitcnt vmcnt(0)
	v_cmp_lt_i16_e32 vcc, s10, v3
	s_mov_b64 s[10:11], 0
	s_and_saveexec_b64 s[12:13], vcc
	s_xor_b64 s[12:13], exec, s[12:13]
	s_cbranch_execz .LBB417_1327
; %bb.1308:
	s_movk_i32 s10, 0x80
	v_cmp_eq_u16_e32 vcc, s10, v3
	s_mov_b64 s[10:11], -1
	s_and_saveexec_b64 s[14:15], vcc
; %bb.1309:
	s_xor_b64 s[10:11], exec, -1
; %bb.1310:
	s_or_b64 exec, exec, s[14:15]
	s_and_b64 s[10:11], s[10:11], exec
	s_or_saveexec_b64 s[12:13], s[12:13]
	v_mov_b32_e32 v5, 0x7f800001
	s_xor_b64 exec, exec, s[12:13]
	s_cbranch_execnz .LBB417_1328
.LBB417_1311:
	s_or_b64 exec, exec, s[12:13]
	s_and_saveexec_b64 s[12:13], s[10:11]
	s_cbranch_execz .LBB417_1313
.LBB417_1312:
	v_lshlrev_b32_e32 v5, 24, v3
	v_and_b32_e32 v3, 0xffff, v3
	v_and_b32_e32 v7, 7, v3
	v_ffbh_u32_e32 v11, v7
	v_min_u32_e32 v11, 32, v11
	v_subrev_u32_e32 v14, 28, v11
	v_bfe_u32 v9, v3, 3, 4
	v_lshlrev_b32_e32 v3, v14, v3
	v_sub_u32_e32 v11, 29, v11
	v_and_b32_e32 v3, 7, v3
	v_cmp_eq_u32_e32 vcc, 0, v9
	v_and_b32_e32 v5, 0x80000000, v5
	s_nop 0
	v_cndmask_b32_e32 v9, v9, v11, vcc
	v_cndmask_b32_e32 v3, v7, v3, vcc
	v_mov_b32_e32 v7, 0x3b800000
	v_lshlrev_b32_e32 v3, 20, v3
	v_lshl_add_u32 v7, v9, 23, v7
	v_or3_b32 v5, v5, v7, v3
.LBB417_1313:
	s_or_b64 exec, exec, s[12:13]
	v_bfe_u32 v3, v5, 16, 1
	s_movk_i32 s10, 0x7fff
	v_add3_u32 v3, v5, v3, s10
	v_cmp_o_f32_e32 vcc, v5, v5
	v_mov_b32_e32 v5, 0x7fc0
	s_nop 0
	v_cndmask_b32_sdwa v3, v5, v3, vcc dst_sel:DWORD dst_unused:UNUSED_PAD src0_sel:DWORD src1_sel:WORD_1
.LBB417_1314:
	s_mov_b64 s[10:11], -1
.LBB417_1315:
	s_branch .LBB417_1348
.LBB417_1316:
	s_cmp_gt_i32 s17, 22
	s_cbranch_scc0 .LBB417_1326
; %bb.1317:
	s_cmp_lt_i32 s17, 24
	s_cbranch_scc1 .LBB417_1329
; %bb.1318:
	s_cmp_gt_i32 s17, 24
	s_cbranch_scc0 .LBB417_1330
; %bb.1319:
	global_load_ubyte v3, v[12:13], off
	s_movk_i32 s8, 0x7f
	s_waitcnt vmcnt(0)
	v_cmp_lt_i16_e32 vcc, s8, v3
	s_mov_b64 s[8:9], 0
	s_and_saveexec_b64 s[10:11], vcc
	s_xor_b64 s[10:11], exec, s[10:11]
	s_cbranch_execz .LBB417_1342
; %bb.1320:
	s_movk_i32 s8, 0x80
	v_cmp_eq_u16_e32 vcc, s8, v3
	s_mov_b64 s[8:9], -1
	s_and_saveexec_b64 s[12:13], vcc
; %bb.1321:
	s_xor_b64 s[8:9], exec, -1
; %bb.1322:
	s_or_b64 exec, exec, s[12:13]
	s_and_b64 s[8:9], s[8:9], exec
	s_or_saveexec_b64 s[10:11], s[10:11]
	v_mov_b32_e32 v5, 0x7f800001
	s_xor_b64 exec, exec, s[10:11]
	s_cbranch_execnz .LBB417_1343
.LBB417_1323:
	s_or_b64 exec, exec, s[10:11]
	s_and_saveexec_b64 s[10:11], s[8:9]
	s_cbranch_execz .LBB417_1325
.LBB417_1324:
	v_lshlrev_b32_e32 v5, 24, v3
	v_and_b32_e32 v3, 0xffff, v3
	v_and_b32_e32 v7, 3, v3
	v_ffbh_u32_e32 v11, v7
	v_min_u32_e32 v11, 32, v11
	v_subrev_u32_e32 v14, 29, v11
	v_bfe_u32 v9, v3, 2, 5
	v_lshlrev_b32_e32 v3, v14, v3
	v_sub_u32_e32 v11, 30, v11
	v_and_b32_e32 v3, 3, v3
	v_cmp_eq_u32_e32 vcc, 0, v9
	v_and_b32_e32 v5, 0x80000000, v5
	s_nop 0
	v_cndmask_b32_e32 v9, v9, v11, vcc
	v_cndmask_b32_e32 v3, v7, v3, vcc
	v_mov_b32_e32 v7, 0x37800000
	v_lshlrev_b32_e32 v3, 21, v3
	v_lshl_add_u32 v7, v9, 23, v7
	v_or3_b32 v5, v5, v7, v3
.LBB417_1325:
	s_or_b64 exec, exec, s[10:11]
	v_bfe_u32 v3, v5, 16, 1
	s_movk_i32 s8, 0x7fff
	v_add3_u32 v3, v5, v3, s8
	v_cmp_o_f32_e32 vcc, v5, v5
	v_mov_b32_e32 v5, 0x7fc0
	s_mov_b64 s[8:9], 0
	v_cndmask_b32_sdwa v3, v5, v3, vcc dst_sel:DWORD dst_unused:UNUSED_PAD src0_sel:DWORD src1_sel:WORD_1
	s_branch .LBB417_1331
.LBB417_1326:
	s_mov_b64 s[8:9], -1
                                        ; implicit-def: $vgpr3
	s_branch .LBB417_1337
.LBB417_1327:
	s_or_saveexec_b64 s[12:13], s[12:13]
	v_mov_b32_e32 v5, 0x7f800001
	s_xor_b64 exec, exec, s[12:13]
	s_cbranch_execz .LBB417_1311
.LBB417_1328:
	v_cmp_ne_u16_e32 vcc, 0, v3
	s_andn2_b64 s[10:11], s[10:11], exec
	s_and_b64 s[14:15], vcc, exec
	v_mov_b32_e32 v5, 0
	s_or_b64 s[10:11], s[10:11], s[14:15]
	s_or_b64 exec, exec, s[12:13]
	s_and_saveexec_b64 s[12:13], s[10:11]
	s_cbranch_execnz .LBB417_1312
	s_branch .LBB417_1313
.LBB417_1329:
	s_mov_b64 s[8:9], -1
                                        ; implicit-def: $vgpr3
	s_branch .LBB417_1334
.LBB417_1330:
	s_mov_b64 s[8:9], -1
                                        ; implicit-def: $vgpr3
.LBB417_1331:
	s_and_b64 vcc, exec, s[8:9]
	s_cbranch_vccz .LBB417_1333
; %bb.1332:
	global_load_ubyte v3, v[12:13], off
	s_mov_b32 s8, 0x7f800000
	s_brev_b32 s9, 1
	s_movk_i32 s10, 0x7fff
	s_waitcnt vmcnt(0)
	v_lshlrev_b32_e32 v3, 24, v3
	v_and_b32_e32 v5, 0x7f000000, v3
	v_ffbh_u32_e32 v7, v5
	v_min_u32_e32 v7, 32, v7
	v_sub_u32_e64 v7, v7, 4 clamp
	v_lshlrev_b32_e32 v11, v7, v5
	v_lshlrev_b32_e32 v7, 23, v7
	v_lshrrev_b32_e32 v11, 4, v11
	v_add_u32_e32 v9, 0x1000000, v5
	v_sub_u32_e32 v7, v11, v7
	v_ashrrev_i32_e32 v9, 8, v9
	v_add_u32_e32 v7, 0x3c000000, v7
	v_and_or_b32 v7, v9, s8, v7
	v_cmp_ne_u32_e32 vcc, 0, v5
	s_nop 1
	v_cndmask_b32_e32 v5, 0, v7, vcc
	v_and_or_b32 v3, v3, s9, v5
	v_bfe_u32 v5, v5, 16, 1
	v_add3_u32 v5, v3, v5, s10
	v_cmp_o_f32_e32 vcc, v3, v3
	v_mov_b32_e32 v3, 0x7fc0
	s_nop 0
	v_cndmask_b32_sdwa v3, v3, v5, vcc dst_sel:DWORD dst_unused:UNUSED_PAD src0_sel:DWORD src1_sel:WORD_1
.LBB417_1333:
	s_mov_b64 s[8:9], 0
.LBB417_1334:
	s_andn2_b64 vcc, exec, s[8:9]
	s_cbranch_vccnz .LBB417_1336
; %bb.1335:
	global_load_ubyte v3, v[12:13], off
	s_movk_i32 s8, 0x7f00
	s_brev_b32 s9, 16
	s_brev_b32 s10, 1
	s_movk_i32 s11, 0x7fff
	s_waitcnt vmcnt(0)
	v_lshlrev_b16_e32 v5, 8, v3
	v_lshlrev_b32_e32 v3, 25, v3
	v_lshrrev_b32_e32 v7, 4, v3
	v_and_or_b32 v9, v5, s8, 0.5
	v_or_b32_e32 v7, 0x70000000, v7
	v_add_f32_e32 v9, -0.5, v9
	v_mul_f32_e32 v7, 0x7800000, v7
	v_cmp_gt_u32_e32 vcc, s9, v3
	v_bfe_i32 v5, v5, 0, 16
	s_nop 0
	v_cndmask_b32_e32 v3, v7, v9, vcc
	v_and_or_b32 v5, v5, s10, v3
	v_bfe_u32 v3, v3, 16, 1
	v_add3_u32 v3, v5, v3, s11
	v_cmp_o_f32_e32 vcc, v5, v5
	v_mov_b32_e32 v5, 0x7fc0
	s_nop 0
	v_cndmask_b32_sdwa v3, v5, v3, vcc dst_sel:DWORD dst_unused:UNUSED_PAD src0_sel:DWORD src1_sel:WORD_1
.LBB417_1336:
	s_mov_b64 s[8:9], 0
	s_mov_b64 s[10:11], -1
.LBB417_1337:
	s_andn2_b64 vcc, exec, s[8:9]
	s_mov_b64 s[8:9], 0
	s_cbranch_vccnz .LBB417_1348
; %bb.1338:
	s_cmp_gt_i32 s17, 14
	s_cbranch_scc0 .LBB417_1341
; %bb.1339:
	s_cmp_eq_u32 s17, 15
	s_cbranch_scc0 .LBB417_1344
; %bb.1340:
	global_load_ushort v3, v[12:13], off
	s_mov_b64 s[0:1], 0
	s_mov_b64 s[10:11], -1
	s_branch .LBB417_1345
.LBB417_1341:
	s_mov_b64 s[12:13], -1
                                        ; implicit-def: $vgpr3
	s_branch .LBB417_1346
.LBB417_1342:
	s_or_saveexec_b64 s[10:11], s[10:11]
	v_mov_b32_e32 v5, 0x7f800001
	s_xor_b64 exec, exec, s[10:11]
	s_cbranch_execz .LBB417_1323
.LBB417_1343:
	v_cmp_ne_u16_e32 vcc, 0, v3
	s_andn2_b64 s[8:9], s[8:9], exec
	s_and_b64 s[12:13], vcc, exec
	v_mov_b32_e32 v5, 0
	s_or_b64 s[8:9], s[8:9], s[12:13]
	s_or_b64 exec, exec, s[10:11]
	s_and_saveexec_b64 s[10:11], s[8:9]
	s_cbranch_execnz .LBB417_1324
	s_branch .LBB417_1325
.LBB417_1344:
	s_mov_b64 s[0:1], -1
                                        ; implicit-def: $vgpr3
.LBB417_1345:
	s_mov_b64 s[12:13], 0
.LBB417_1346:
	s_and_b64 vcc, exec, s[12:13]
	s_cbranch_vccz .LBB417_1348
; %bb.1347:
	s_cmp_lg_u32 s17, 11
	s_mov_b64 s[8:9], -1
	s_cselect_b64 s[0:1], -1, 0
.LBB417_1348:
	s_and_b64 vcc, exec, s[0:1]
	s_cbranch_vccnz .LBB417_1411
; %bb.1349:
	s_andn2_b64 vcc, exec, s[8:9]
	s_cbranch_vccnz .LBB417_1351
.LBB417_1350:
	global_load_ubyte v3, v[12:13], off
	s_mov_b64 s[10:11], -1
	s_waitcnt vmcnt(0)
	v_cmp_ne_u16_e32 vcc, 0, v3
	s_nop 1
	v_cndmask_b32_e64 v3, 0, 1.0, vcc
	v_lshrrev_b32_e32 v3, 16, v3
.LBB417_1351:
	s_branch .LBB417_1278
.LBB417_1352:
	s_cmp_lt_i32 s17, 5
	s_cbranch_scc1 .LBB417_1357
; %bb.1353:
	s_cmp_lt_i32 s17, 8
	s_cbranch_scc1 .LBB417_1358
; %bb.1354:
	;; [unrolled: 3-line block ×3, first 2 shown]
	s_cmp_gt_i32 s17, 9
	s_cbranch_scc0 .LBB417_1360
; %bb.1356:
	global_load_dwordx2 v[14:15], v[12:13], off
	s_movk_i32 s0, 0x7fff
	s_waitcnt vmcnt(1)
	v_mov_b32_e32 v3, 0x7fc0
	s_waitcnt vmcnt(0)
	v_cvt_f32_f64_e32 v5, v[14:15]
	v_bfe_u32 v7, v5, 16, 1
	v_cmp_o_f32_e32 vcc, v5, v5
	v_add3_u32 v5, v5, v7, s0
	s_mov_b64 s[0:1], 0
	v_cndmask_b32_sdwa v3, v3, v5, vcc dst_sel:DWORD dst_unused:UNUSED_PAD src0_sel:DWORD src1_sel:WORD_1
	s_branch .LBB417_1361
.LBB417_1357:
                                        ; implicit-def: $vgpr3
	s_branch .LBB417_1379
.LBB417_1358:
	s_mov_b64 s[0:1], -1
                                        ; implicit-def: $vgpr3
	s_branch .LBB417_1367
.LBB417_1359:
	s_mov_b64 s[0:1], -1
                                        ; implicit-def: $vgpr3
	s_branch .LBB417_1364
.LBB417_1360:
	s_mov_b64 s[0:1], -1
                                        ; implicit-def: $vgpr3
.LBB417_1361:
	s_andn2_b64 vcc, exec, s[0:1]
	s_cbranch_vccnz .LBB417_1363
; %bb.1362:
	global_load_dword v3, v[12:13], off
	s_movk_i32 s0, 0x7fff
	v_mov_b32_e32 v5, 0x7fc0
	s_waitcnt vmcnt(0)
	v_bfe_u32 v7, v3, 16, 1
	v_cmp_o_f32_e32 vcc, v3, v3
	v_add3_u32 v3, v3, v7, s0
	s_nop 0
	v_cndmask_b32_sdwa v3, v5, v3, vcc dst_sel:DWORD dst_unused:UNUSED_PAD src0_sel:DWORD src1_sel:WORD_1
.LBB417_1363:
	s_mov_b64 s[0:1], 0
.LBB417_1364:
	s_andn2_b64 vcc, exec, s[0:1]
	s_cbranch_vccnz .LBB417_1366
; %bb.1365:
	global_load_dword v3, v[12:13], off
	s_movk_i32 s0, 0x7fff
	v_mov_b32_e32 v7, 0x7fc0
	s_waitcnt vmcnt(0)
	v_cvt_f32_f16_e32 v5, v3
	v_cmp_o_f16_e32 vcc, v3, v3
	v_bfe_u32 v3, v5, 16, 1
	v_add3_u32 v3, v5, v3, s0
	v_cndmask_b32_sdwa v3, v7, v3, vcc dst_sel:DWORD dst_unused:UNUSED_PAD src0_sel:DWORD src1_sel:WORD_1
.LBB417_1366:
	s_mov_b64 s[0:1], 0
.LBB417_1367:
	s_andn2_b64 vcc, exec, s[0:1]
	s_cbranch_vccnz .LBB417_1378
; %bb.1368:
	s_cmp_lt_i32 s17, 6
	s_cbranch_scc1 .LBB417_1371
; %bb.1369:
	s_cmp_gt_i32 s17, 6
	s_cbranch_scc0 .LBB417_1372
; %bb.1370:
	global_load_dwordx2 v[14:15], v[12:13], off
	s_movk_i32 s0, 0x7fff
	s_waitcnt vmcnt(1)
	v_mov_b32_e32 v3, 0x7fc0
	s_waitcnt vmcnt(0)
	v_cvt_f32_f64_e32 v5, v[14:15]
	v_bfe_u32 v7, v5, 16, 1
	v_cmp_o_f32_e32 vcc, v5, v5
	v_add3_u32 v5, v5, v7, s0
	s_mov_b64 s[0:1], 0
	v_cndmask_b32_sdwa v3, v3, v5, vcc dst_sel:DWORD dst_unused:UNUSED_PAD src0_sel:DWORD src1_sel:WORD_1
	s_branch .LBB417_1373
.LBB417_1371:
	s_mov_b64 s[0:1], -1
                                        ; implicit-def: $vgpr3
	s_branch .LBB417_1376
.LBB417_1372:
	s_mov_b64 s[0:1], -1
                                        ; implicit-def: $vgpr3
.LBB417_1373:
	s_andn2_b64 vcc, exec, s[0:1]
	s_cbranch_vccnz .LBB417_1375
; %bb.1374:
	global_load_dword v3, v[12:13], off
	s_movk_i32 s0, 0x7fff
	v_mov_b32_e32 v5, 0x7fc0
	s_waitcnt vmcnt(0)
	v_bfe_u32 v7, v3, 16, 1
	v_cmp_o_f32_e32 vcc, v3, v3
	v_add3_u32 v3, v3, v7, s0
	s_nop 0
	v_cndmask_b32_sdwa v3, v5, v3, vcc dst_sel:DWORD dst_unused:UNUSED_PAD src0_sel:DWORD src1_sel:WORD_1
.LBB417_1375:
	s_mov_b64 s[0:1], 0
.LBB417_1376:
	s_andn2_b64 vcc, exec, s[0:1]
	s_cbranch_vccnz .LBB417_1378
; %bb.1377:
	global_load_ushort v3, v[12:13], off
	s_movk_i32 s0, 0x7fff
	v_mov_b32_e32 v7, 0x7fc0
	s_waitcnt vmcnt(0)
	v_cvt_f32_f16_e32 v5, v3
	v_cmp_o_f16_e32 vcc, v3, v3
	v_bfe_u32 v3, v5, 16, 1
	v_add3_u32 v3, v5, v3, s0
	v_cndmask_b32_sdwa v3, v7, v3, vcc dst_sel:DWORD dst_unused:UNUSED_PAD src0_sel:DWORD src1_sel:WORD_1
.LBB417_1378:
	s_cbranch_execnz .LBB417_1398
.LBB417_1379:
	s_cmp_lt_i32 s17, 2
	s_cbranch_scc1 .LBB417_1383
; %bb.1380:
	s_cmp_lt_i32 s17, 3
	s_cbranch_scc1 .LBB417_1384
; %bb.1381:
	s_cmp_gt_i32 s17, 3
	s_cbranch_scc0 .LBB417_1385
; %bb.1382:
	global_load_dwordx2 v[14:15], v[12:13], off
	s_movk_i32 s0, 0x7fff
	s_waitcnt vmcnt(0)
	v_xor_b32_e32 v5, v14, v15
	v_ffbh_i32_e32 v3, v15
	v_ashrrev_i32_e32 v5, 31, v5
	v_add_u32_e32 v3, -1, v3
	v_add_u32_e32 v5, 32, v5
	v_min_u32_e32 v3, v3, v5
	v_lshlrev_b64 v[14:15], v3, v[14:15]
	v_min_u32_e32 v5, 1, v14
	v_or_b32_e32 v5, v15, v5
	v_cvt_f32_i32_e32 v5, v5
	v_sub_u32_e32 v3, 32, v3
	v_ldexp_f32 v3, v5, v3
	v_bfe_u32 v5, v3, 16, 1
	v_add3_u32 v3, v3, v5, s0
	v_lshrrev_b32_e32 v3, 16, v3
	s_mov_b64 s[0:1], 0
	s_branch .LBB417_1386
.LBB417_1383:
	s_mov_b64 s[0:1], -1
                                        ; implicit-def: $vgpr3
	s_branch .LBB417_1392
.LBB417_1384:
	s_mov_b64 s[0:1], -1
                                        ; implicit-def: $vgpr3
	s_branch .LBB417_1389
.LBB417_1385:
	s_mov_b64 s[0:1], -1
                                        ; implicit-def: $vgpr3
.LBB417_1386:
	s_andn2_b64 vcc, exec, s[0:1]
	s_cbranch_vccnz .LBB417_1388
; %bb.1387:
	global_load_dword v3, v[12:13], off
	s_movk_i32 s0, 0x7fff
	s_waitcnt vmcnt(0)
	v_cvt_f32_i32_e32 v3, v3
	v_bfe_u32 v5, v3, 16, 1
	v_add3_u32 v3, v3, v5, s0
	v_lshrrev_b32_e32 v3, 16, v3
.LBB417_1388:
	s_mov_b64 s[0:1], 0
.LBB417_1389:
	s_andn2_b64 vcc, exec, s[0:1]
	s_cbranch_vccnz .LBB417_1391
; %bb.1390:
	global_load_sshort v3, v[12:13], off
	s_movk_i32 s0, 0x7fff
	s_waitcnt vmcnt(0)
	v_cvt_f32_i32_e32 v3, v3
	v_bfe_u32 v5, v3, 16, 1
	v_add3_u32 v3, v3, v5, s0
	v_lshrrev_b32_e32 v3, 16, v3
.LBB417_1391:
	s_mov_b64 s[0:1], 0
.LBB417_1392:
	s_andn2_b64 vcc, exec, s[0:1]
	s_cbranch_vccnz .LBB417_1398
; %bb.1393:
	s_cmp_gt_i32 s17, 0
	s_cbranch_scc0 .LBB417_1395
; %bb.1394:
	global_load_sbyte v3, v[12:13], off
	s_movk_i32 s0, 0x7fff
	s_waitcnt vmcnt(0)
	v_cvt_f32_i32_e32 v3, v3
	v_bfe_u32 v5, v3, 16, 1
	v_add3_u32 v3, v3, v5, s0
	v_lshrrev_b32_e32 v3, 16, v3
	s_mov_b64 s[0:1], 0
	s_branch .LBB417_1396
.LBB417_1395:
	s_mov_b64 s[0:1], -1
                                        ; implicit-def: $vgpr3
.LBB417_1396:
	s_andn2_b64 vcc, exec, s[0:1]
	s_cbranch_vccnz .LBB417_1398
; %bb.1397:
	global_load_ubyte v3, v[12:13], off
	s_movk_i32 s0, 0x7fff
	s_waitcnt vmcnt(0)
	v_cvt_f32_ubyte0_e32 v3, v3
	v_bfe_u32 v5, v3, 16, 1
	v_add3_u32 v3, v3, v5, s0
	v_lshrrev_b32_e32 v3, 16, v3
.LBB417_1398:
.LBB417_1399:
	v_mov_b32_e32 v11, 0
	s_cmp_lt_i32 s17, 11
	v_lshl_add_u64 v[10:11], s[6:7], 0, v[10:11]
	s_cbranch_scc1 .LBB417_1406
; %bb.1400:
	s_cmp_gt_i32 s17, 25
	s_mov_b64 s[8:9], 0
	s_cbranch_scc0 .LBB417_1408
; %bb.1401:
	s_cmp_gt_i32 s17, 28
	s_cbranch_scc0 .LBB417_1409
; %bb.1402:
	s_cmp_gt_i32 s17, 43
	;; [unrolled: 3-line block ×3, first 2 shown]
	s_cbranch_scc0 .LBB417_1412
; %bb.1404:
	s_cmp_eq_u32 s17, 46
	s_mov_b64 s[12:13], 0
	s_cbranch_scc0 .LBB417_1413
; %bb.1405:
	global_load_dword v12, v[10:11], off
	s_mov_b64 s[0:1], 0
	s_mov_b64 s[10:11], -1
	s_branch .LBB417_1414
.LBB417_1406:
	s_mov_b64 s[10:11], 0
                                        ; implicit-def: $vgpr12
	s_cbranch_execnz .LBB417_1480
.LBB417_1407:
	s_andn2_b64 vcc, exec, s[10:11]
	s_cbranch_vccnz .LBB417_2091
	s_branch .LBB417_1528
.LBB417_1408:
	s_mov_b64 s[12:13], -1
	s_mov_b64 s[10:11], 0
	s_mov_b64 s[0:1], 0
                                        ; implicit-def: $vgpr12
	s_branch .LBB417_1443
.LBB417_1409:
	s_mov_b64 s[12:13], -1
	s_mov_b64 s[10:11], 0
	s_mov_b64 s[0:1], 0
                                        ; implicit-def: $vgpr12
	s_branch .LBB417_1424
.LBB417_1410:
	s_mov_b64 s[12:13], -1
	s_mov_b64 s[10:11], 0
	s_mov_b64 s[0:1], 0
                                        ; implicit-def: $vgpr12
	s_branch .LBB417_1419
.LBB417_1411:
	s_trap 2
	s_or_b64 s[2:3], s[2:3], exec
	s_cbranch_execz .LBB417_1350
	s_branch .LBB417_1351
.LBB417_1412:
	s_mov_b64 s[12:13], -1
	s_mov_b64 s[10:11], 0
	s_mov_b64 s[0:1], 0
                                        ; implicit-def: $vgpr12
	s_branch .LBB417_1414
.LBB417_1413:
	s_mov_b64 s[0:1], -1
                                        ; implicit-def: $vgpr12
	s_mov_b64 s[10:11], 0
.LBB417_1414:
	s_and_b64 vcc, exec, s[12:13]
	s_cbranch_vccz .LBB417_1418
; %bb.1415:
	s_cmp_eq_u32 s17, 44
	s_cbranch_scc0 .LBB417_1417
; %bb.1416:
	global_load_ubyte v5, v[10:11], off
	s_movk_i32 s10, 0xff
	v_mov_b32_e32 v7, 0x7f800001
	v_mov_b32_e32 v9, 0x400000
	s_waitcnt vmcnt(1)
	v_mov_b32_e32 v12, 0x7fc0
	s_mov_b64 s[0:1], 0
	s_waitcnt vmcnt(0)
	v_lshlrev_b32_e32 v13, 23, v5
	v_cmp_ne_u32_e32 vcc, s10, v5
	s_mov_b64 s[10:11], -1
	s_nop 0
	v_cndmask_b32_e32 v7, v7, v13, vcc
	v_cmp_ne_u32_e32 vcc, 0, v5
	s_nop 1
	v_cndmask_b32_e32 v5, v9, v7, vcc
	v_add_u32_e32 v7, 0x7fff, v5
	v_cmp_o_f32_e32 vcc, v5, v5
	s_nop 1
	v_cndmask_b32_sdwa v12, v12, v7, vcc dst_sel:DWORD dst_unused:UNUSED_PAD src0_sel:DWORD src1_sel:WORD_1
	s_branch .LBB417_1418
.LBB417_1417:
	s_mov_b64 s[0:1], -1
                                        ; implicit-def: $vgpr12
.LBB417_1418:
	s_mov_b64 s[12:13], 0
.LBB417_1419:
	s_and_b64 vcc, exec, s[12:13]
	s_cbranch_vccz .LBB417_1423
; %bb.1420:
	s_cmp_eq_u32 s17, 29
	s_cbranch_scc0 .LBB417_1422
; %bb.1421:
	global_load_dwordx2 v[12:13], v[10:11], off
	s_movk_i32 s10, 0x7fff
	s_mov_b64 s[0:1], 0
	s_mov_b64 s[12:13], 0
	s_waitcnt vmcnt(0)
	v_ffbh_u32_e32 v5, v13
	v_min_u32_e32 v5, 32, v5
	v_lshlrev_b64 v[12:13], v5, v[12:13]
	v_min_u32_e32 v7, 1, v12
	v_or_b32_e32 v7, v13, v7
	v_cvt_f32_u32_e32 v7, v7
	v_sub_u32_e32 v5, 32, v5
	v_ldexp_f32 v5, v7, v5
	v_bfe_u32 v7, v5, 16, 1
	v_add3_u32 v5, v5, v7, s10
	v_lshrrev_b32_e32 v12, 16, v5
	s_mov_b64 s[10:11], -1
	s_branch .LBB417_1424
.LBB417_1422:
	s_mov_b64 s[0:1], -1
                                        ; implicit-def: $vgpr12
.LBB417_1423:
	s_mov_b64 s[12:13], 0
.LBB417_1424:
	s_and_b64 vcc, exec, s[12:13]
	s_cbranch_vccz .LBB417_1442
; %bb.1425:
	s_cmp_lt_i32 s17, 27
	s_cbranch_scc1 .LBB417_1428
; %bb.1426:
	s_cmp_gt_i32 s17, 27
	s_cbranch_scc0 .LBB417_1429
; %bb.1427:
	global_load_dword v5, v[10:11], off
	s_movk_i32 s10, 0x7fff
	s_waitcnt vmcnt(0)
	v_cvt_f32_u32_e32 v5, v5
	v_bfe_u32 v7, v5, 16, 1
	v_add3_u32 v5, v5, v7, s10
	v_lshrrev_b32_e32 v12, 16, v5
	s_mov_b64 s[10:11], 0
	s_branch .LBB417_1430
.LBB417_1428:
	s_mov_b64 s[10:11], -1
                                        ; implicit-def: $vgpr12
	s_branch .LBB417_1433
.LBB417_1429:
	s_mov_b64 s[10:11], -1
                                        ; implicit-def: $vgpr12
.LBB417_1430:
	s_andn2_b64 vcc, exec, s[10:11]
	s_cbranch_vccnz .LBB417_1432
; %bb.1431:
	global_load_ushort v5, v[10:11], off
	s_movk_i32 s10, 0x7fff
	s_waitcnt vmcnt(0)
	v_cvt_f32_u32_e32 v5, v5
	v_bfe_u32 v7, v5, 16, 1
	v_add3_u32 v5, v5, v7, s10
	v_lshrrev_b32_e32 v12, 16, v5
.LBB417_1432:
	s_mov_b64 s[10:11], 0
.LBB417_1433:
	s_andn2_b64 vcc, exec, s[10:11]
	s_cbranch_vccnz .LBB417_1441
; %bb.1434:
	global_load_ubyte v5, v[10:11], off
	s_movk_i32 s10, 0x7f
	s_waitcnt vmcnt(0)
	v_cmp_lt_i16_e32 vcc, s10, v5
	s_mov_b64 s[10:11], 0
	s_and_saveexec_b64 s[12:13], vcc
	s_xor_b64 s[12:13], exec, s[12:13]
	s_cbranch_execz .LBB417_1455
; %bb.1435:
	s_movk_i32 s10, 0x80
	v_cmp_eq_u16_e32 vcc, s10, v5
	s_mov_b64 s[10:11], -1
	s_and_saveexec_b64 s[14:15], vcc
; %bb.1436:
	s_xor_b64 s[10:11], exec, -1
; %bb.1437:
	s_or_b64 exec, exec, s[14:15]
	s_and_b64 s[10:11], s[10:11], exec
	s_or_saveexec_b64 s[12:13], s[12:13]
	v_mov_b32_e32 v7, 0x7f800001
	s_xor_b64 exec, exec, s[12:13]
	s_cbranch_execnz .LBB417_1456
.LBB417_1438:
	s_or_b64 exec, exec, s[12:13]
	s_and_saveexec_b64 s[12:13], s[10:11]
	s_cbranch_execz .LBB417_1440
.LBB417_1439:
	v_lshlrev_b32_e32 v7, 24, v5
	v_and_b32_e32 v5, 0xffff, v5
	v_and_b32_e32 v9, 7, v5
	v_ffbh_u32_e32 v13, v9
	v_min_u32_e32 v13, 32, v13
	v_subrev_u32_e32 v14, 28, v13
	v_bfe_u32 v12, v5, 3, 4
	v_lshlrev_b32_e32 v5, v14, v5
	v_sub_u32_e32 v13, 29, v13
	v_and_b32_e32 v5, 7, v5
	v_cmp_eq_u32_e32 vcc, 0, v12
	v_and_b32_e32 v7, 0x80000000, v7
	s_nop 0
	v_cndmask_b32_e32 v12, v12, v13, vcc
	v_cndmask_b32_e32 v5, v9, v5, vcc
	v_mov_b32_e32 v9, 0x3b800000
	v_lshlrev_b32_e32 v5, 20, v5
	v_lshl_add_u32 v9, v12, 23, v9
	v_or3_b32 v7, v7, v9, v5
.LBB417_1440:
	s_or_b64 exec, exec, s[12:13]
	v_bfe_u32 v5, v7, 16, 1
	s_movk_i32 s10, 0x7fff
	v_add3_u32 v5, v7, v5, s10
	v_cmp_o_f32_e32 vcc, v7, v7
	v_mov_b32_e32 v7, 0x7fc0
	s_nop 0
	v_cndmask_b32_sdwa v12, v7, v5, vcc dst_sel:DWORD dst_unused:UNUSED_PAD src0_sel:DWORD src1_sel:WORD_1
.LBB417_1441:
	s_mov_b64 s[10:11], -1
.LBB417_1442:
	s_mov_b64 s[12:13], 0
.LBB417_1443:
	s_and_b64 vcc, exec, s[12:13]
	s_cbranch_vccz .LBB417_1476
; %bb.1444:
	s_cmp_gt_i32 s17, 22
	s_cbranch_scc0 .LBB417_1454
; %bb.1445:
	s_cmp_lt_i32 s17, 24
	s_cbranch_scc1 .LBB417_1457
; %bb.1446:
	s_cmp_gt_i32 s17, 24
	s_cbranch_scc0 .LBB417_1458
; %bb.1447:
	global_load_ubyte v5, v[10:11], off
	s_movk_i32 s8, 0x7f
	s_waitcnt vmcnt(0)
	v_cmp_lt_i16_e32 vcc, s8, v5
	s_mov_b64 s[8:9], 0
	s_and_saveexec_b64 s[10:11], vcc
	s_xor_b64 s[10:11], exec, s[10:11]
	s_cbranch_execz .LBB417_1470
; %bb.1448:
	s_movk_i32 s8, 0x80
	v_cmp_eq_u16_e32 vcc, s8, v5
	s_mov_b64 s[8:9], -1
	s_and_saveexec_b64 s[12:13], vcc
; %bb.1449:
	s_xor_b64 s[8:9], exec, -1
; %bb.1450:
	s_or_b64 exec, exec, s[12:13]
	s_and_b64 s[8:9], s[8:9], exec
	s_or_saveexec_b64 s[10:11], s[10:11]
	v_mov_b32_e32 v7, 0x7f800001
	s_xor_b64 exec, exec, s[10:11]
	s_cbranch_execnz .LBB417_1471
.LBB417_1451:
	s_or_b64 exec, exec, s[10:11]
	s_and_saveexec_b64 s[10:11], s[8:9]
	s_cbranch_execz .LBB417_1453
.LBB417_1452:
	v_lshlrev_b32_e32 v7, 24, v5
	v_and_b32_e32 v5, 0xffff, v5
	v_and_b32_e32 v9, 3, v5
	v_ffbh_u32_e32 v13, v9
	v_min_u32_e32 v13, 32, v13
	v_subrev_u32_e32 v14, 29, v13
	v_bfe_u32 v12, v5, 2, 5
	v_lshlrev_b32_e32 v5, v14, v5
	v_sub_u32_e32 v13, 30, v13
	v_and_b32_e32 v5, 3, v5
	v_cmp_eq_u32_e32 vcc, 0, v12
	v_and_b32_e32 v7, 0x80000000, v7
	s_nop 0
	v_cndmask_b32_e32 v12, v12, v13, vcc
	v_cndmask_b32_e32 v5, v9, v5, vcc
	v_mov_b32_e32 v9, 0x37800000
	v_lshlrev_b32_e32 v5, 21, v5
	v_lshl_add_u32 v9, v12, 23, v9
	v_or3_b32 v7, v7, v9, v5
.LBB417_1453:
	s_or_b64 exec, exec, s[10:11]
	v_bfe_u32 v5, v7, 16, 1
	s_movk_i32 s8, 0x7fff
	v_add3_u32 v5, v7, v5, s8
	v_cmp_o_f32_e32 vcc, v7, v7
	v_mov_b32_e32 v7, 0x7fc0
	s_mov_b64 s[8:9], 0
	v_cndmask_b32_sdwa v12, v7, v5, vcc dst_sel:DWORD dst_unused:UNUSED_PAD src0_sel:DWORD src1_sel:WORD_1
	s_branch .LBB417_1459
.LBB417_1454:
	s_mov_b64 s[8:9], -1
                                        ; implicit-def: $vgpr12
	s_branch .LBB417_1465
.LBB417_1455:
	s_or_saveexec_b64 s[12:13], s[12:13]
	v_mov_b32_e32 v7, 0x7f800001
	s_xor_b64 exec, exec, s[12:13]
	s_cbranch_execz .LBB417_1438
.LBB417_1456:
	v_cmp_ne_u16_e32 vcc, 0, v5
	s_andn2_b64 s[10:11], s[10:11], exec
	s_and_b64 s[14:15], vcc, exec
	v_mov_b32_e32 v7, 0
	s_or_b64 s[10:11], s[10:11], s[14:15]
	s_or_b64 exec, exec, s[12:13]
	s_and_saveexec_b64 s[12:13], s[10:11]
	s_cbranch_execnz .LBB417_1439
	s_branch .LBB417_1440
.LBB417_1457:
	s_mov_b64 s[8:9], -1
                                        ; implicit-def: $vgpr12
	s_branch .LBB417_1462
.LBB417_1458:
	s_mov_b64 s[8:9], -1
                                        ; implicit-def: $vgpr12
.LBB417_1459:
	s_and_b64 vcc, exec, s[8:9]
	s_cbranch_vccz .LBB417_1461
; %bb.1460:
	global_load_ubyte v5, v[10:11], off
	s_mov_b32 s8, 0x7f800000
	s_brev_b32 s9, 1
	s_movk_i32 s10, 0x7fff
	s_waitcnt vmcnt(0)
	v_lshlrev_b32_e32 v5, 24, v5
	v_and_b32_e32 v7, 0x7f000000, v5
	v_ffbh_u32_e32 v9, v7
	v_min_u32_e32 v9, 32, v9
	v_sub_u32_e64 v9, v9, 4 clamp
	v_lshlrev_b32_e32 v13, v9, v7
	v_lshlrev_b32_e32 v9, 23, v9
	v_lshrrev_b32_e32 v13, 4, v13
	v_add_u32_e32 v12, 0x1000000, v7
	v_sub_u32_e32 v9, v13, v9
	v_ashrrev_i32_e32 v12, 8, v12
	v_add_u32_e32 v9, 0x3c000000, v9
	v_and_or_b32 v9, v12, s8, v9
	v_cmp_ne_u32_e32 vcc, 0, v7
	s_nop 1
	v_cndmask_b32_e32 v7, 0, v9, vcc
	v_and_or_b32 v5, v5, s9, v7
	v_bfe_u32 v7, v7, 16, 1
	v_add3_u32 v7, v5, v7, s10
	v_cmp_o_f32_e32 vcc, v5, v5
	v_mov_b32_e32 v5, 0x7fc0
	s_nop 0
	v_cndmask_b32_sdwa v12, v5, v7, vcc dst_sel:DWORD dst_unused:UNUSED_PAD src0_sel:DWORD src1_sel:WORD_1
.LBB417_1461:
	s_mov_b64 s[8:9], 0
.LBB417_1462:
	s_andn2_b64 vcc, exec, s[8:9]
	s_cbranch_vccnz .LBB417_1464
; %bb.1463:
	global_load_ubyte v5, v[10:11], off
	s_movk_i32 s8, 0x7f00
	s_brev_b32 s9, 16
	s_brev_b32 s10, 1
	s_movk_i32 s11, 0x7fff
	s_waitcnt vmcnt(0)
	v_lshlrev_b16_e32 v7, 8, v5
	v_lshlrev_b32_e32 v5, 25, v5
	v_lshrrev_b32_e32 v9, 4, v5
	v_and_or_b32 v12, v7, s8, 0.5
	v_or_b32_e32 v9, 0x70000000, v9
	v_add_f32_e32 v12, -0.5, v12
	v_mul_f32_e32 v9, 0x7800000, v9
	v_cmp_gt_u32_e32 vcc, s9, v5
	v_bfe_i32 v7, v7, 0, 16
	s_nop 0
	v_cndmask_b32_e32 v5, v9, v12, vcc
	v_and_or_b32 v7, v7, s10, v5
	v_bfe_u32 v5, v5, 16, 1
	v_add3_u32 v5, v7, v5, s11
	v_cmp_o_f32_e32 vcc, v7, v7
	v_mov_b32_e32 v7, 0x7fc0
	s_nop 0
	v_cndmask_b32_sdwa v12, v7, v5, vcc dst_sel:DWORD dst_unused:UNUSED_PAD src0_sel:DWORD src1_sel:WORD_1
.LBB417_1464:
	s_mov_b64 s[8:9], 0
	s_mov_b64 s[10:11], -1
.LBB417_1465:
	s_andn2_b64 vcc, exec, s[8:9]
	s_mov_b64 s[8:9], 0
	s_cbranch_vccnz .LBB417_1476
; %bb.1466:
	s_cmp_gt_i32 s17, 14
	s_cbranch_scc0 .LBB417_1469
; %bb.1467:
	s_cmp_eq_u32 s17, 15
	s_cbranch_scc0 .LBB417_1472
; %bb.1468:
	global_load_ushort v12, v[10:11], off
	s_mov_b64 s[0:1], 0
	s_mov_b64 s[10:11], -1
	s_branch .LBB417_1473
.LBB417_1469:
	s_mov_b64 s[12:13], -1
                                        ; implicit-def: $vgpr12
	s_branch .LBB417_1474
.LBB417_1470:
	s_or_saveexec_b64 s[10:11], s[10:11]
	v_mov_b32_e32 v7, 0x7f800001
	s_xor_b64 exec, exec, s[10:11]
	s_cbranch_execz .LBB417_1451
.LBB417_1471:
	v_cmp_ne_u16_e32 vcc, 0, v5
	s_andn2_b64 s[8:9], s[8:9], exec
	s_and_b64 s[12:13], vcc, exec
	v_mov_b32_e32 v7, 0
	s_or_b64 s[8:9], s[8:9], s[12:13]
	s_or_b64 exec, exec, s[10:11]
	s_and_saveexec_b64 s[10:11], s[8:9]
	s_cbranch_execnz .LBB417_1452
	s_branch .LBB417_1453
.LBB417_1472:
	s_mov_b64 s[0:1], -1
                                        ; implicit-def: $vgpr12
.LBB417_1473:
	s_mov_b64 s[12:13], 0
.LBB417_1474:
	s_and_b64 vcc, exec, s[12:13]
	s_cbranch_vccz .LBB417_1476
; %bb.1475:
	s_cmp_lg_u32 s17, 11
	s_mov_b64 s[8:9], -1
	s_cselect_b64 s[0:1], -1, 0
.LBB417_1476:
	s_and_b64 vcc, exec, s[0:1]
	s_cbranch_vccnz .LBB417_1539
; %bb.1477:
	s_andn2_b64 vcc, exec, s[8:9]
	s_cbranch_vccnz .LBB417_1479
.LBB417_1478:
	global_load_ubyte v5, v[10:11], off
	s_mov_b64 s[10:11], -1
	s_waitcnt vmcnt(0)
	v_cmp_ne_u16_e32 vcc, 0, v5
	s_nop 1
	v_cndmask_b32_e64 v5, 0, 1.0, vcc
	v_lshrrev_b32_e32 v12, 16, v5
.LBB417_1479:
	s_branch .LBB417_1407
.LBB417_1480:
	s_cmp_lt_i32 s17, 5
	s_cbranch_scc1 .LBB417_1485
; %bb.1481:
	s_cmp_lt_i32 s17, 8
	s_cbranch_scc1 .LBB417_1486
; %bb.1482:
	;; [unrolled: 3-line block ×3, first 2 shown]
	s_cmp_gt_i32 s17, 9
	s_cbranch_scc0 .LBB417_1488
; %bb.1484:
	global_load_dwordx2 v[12:13], v[10:11], off
	s_movk_i32 s0, 0x7fff
	v_mov_b32_e32 v5, 0x7fc0
	s_waitcnt vmcnt(0)
	v_cvt_f32_f64_e32 v7, v[12:13]
	v_bfe_u32 v9, v7, 16, 1
	v_cmp_o_f32_e32 vcc, v7, v7
	v_add3_u32 v7, v7, v9, s0
	s_mov_b64 s[0:1], 0
	v_cndmask_b32_sdwa v12, v5, v7, vcc dst_sel:DWORD dst_unused:UNUSED_PAD src0_sel:DWORD src1_sel:WORD_1
	s_branch .LBB417_1489
.LBB417_1485:
	s_mov_b64 s[0:1], -1
                                        ; implicit-def: $vgpr12
	s_branch .LBB417_1507
.LBB417_1486:
	s_mov_b64 s[0:1], -1
                                        ; implicit-def: $vgpr12
	s_branch .LBB417_1495
.LBB417_1487:
	s_mov_b64 s[0:1], -1
                                        ; implicit-def: $vgpr12
	s_branch .LBB417_1492
.LBB417_1488:
	s_mov_b64 s[0:1], -1
                                        ; implicit-def: $vgpr12
.LBB417_1489:
	s_andn2_b64 vcc, exec, s[0:1]
	s_cbranch_vccnz .LBB417_1491
; %bb.1490:
	global_load_dword v5, v[10:11], off
	s_movk_i32 s0, 0x7fff
	v_mov_b32_e32 v7, 0x7fc0
	s_waitcnt vmcnt(0)
	v_bfe_u32 v9, v5, 16, 1
	v_cmp_o_f32_e32 vcc, v5, v5
	v_add3_u32 v5, v5, v9, s0
	s_nop 0
	v_cndmask_b32_sdwa v12, v7, v5, vcc dst_sel:DWORD dst_unused:UNUSED_PAD src0_sel:DWORD src1_sel:WORD_1
.LBB417_1491:
	s_mov_b64 s[0:1], 0
.LBB417_1492:
	s_andn2_b64 vcc, exec, s[0:1]
	s_cbranch_vccnz .LBB417_1494
; %bb.1493:
	global_load_dword v5, v[10:11], off
	s_movk_i32 s0, 0x7fff
	v_mov_b32_e32 v9, 0x7fc0
	s_waitcnt vmcnt(0)
	v_cvt_f32_f16_e32 v7, v5
	v_cmp_o_f16_e32 vcc, v5, v5
	v_bfe_u32 v5, v7, 16, 1
	v_add3_u32 v5, v7, v5, s0
	v_cndmask_b32_sdwa v12, v9, v5, vcc dst_sel:DWORD dst_unused:UNUSED_PAD src0_sel:DWORD src1_sel:WORD_1
.LBB417_1494:
	s_mov_b64 s[0:1], 0
.LBB417_1495:
	s_andn2_b64 vcc, exec, s[0:1]
	s_cbranch_vccnz .LBB417_1506
; %bb.1496:
	s_cmp_lt_i32 s17, 6
	s_cbranch_scc1 .LBB417_1499
; %bb.1497:
	s_cmp_gt_i32 s17, 6
	s_cbranch_scc0 .LBB417_1500
; %bb.1498:
	global_load_dwordx2 v[12:13], v[10:11], off
	s_movk_i32 s0, 0x7fff
	v_mov_b32_e32 v5, 0x7fc0
	s_waitcnt vmcnt(0)
	v_cvt_f32_f64_e32 v7, v[12:13]
	v_bfe_u32 v9, v7, 16, 1
	v_cmp_o_f32_e32 vcc, v7, v7
	v_add3_u32 v7, v7, v9, s0
	s_mov_b64 s[0:1], 0
	v_cndmask_b32_sdwa v12, v5, v7, vcc dst_sel:DWORD dst_unused:UNUSED_PAD src0_sel:DWORD src1_sel:WORD_1
	s_branch .LBB417_1501
.LBB417_1499:
	s_mov_b64 s[0:1], -1
                                        ; implicit-def: $vgpr12
	s_branch .LBB417_1504
.LBB417_1500:
	s_mov_b64 s[0:1], -1
                                        ; implicit-def: $vgpr12
.LBB417_1501:
	s_andn2_b64 vcc, exec, s[0:1]
	s_cbranch_vccnz .LBB417_1503
; %bb.1502:
	global_load_dword v5, v[10:11], off
	s_movk_i32 s0, 0x7fff
	v_mov_b32_e32 v7, 0x7fc0
	s_waitcnt vmcnt(0)
	v_bfe_u32 v9, v5, 16, 1
	v_cmp_o_f32_e32 vcc, v5, v5
	v_add3_u32 v5, v5, v9, s0
	s_nop 0
	v_cndmask_b32_sdwa v12, v7, v5, vcc dst_sel:DWORD dst_unused:UNUSED_PAD src0_sel:DWORD src1_sel:WORD_1
.LBB417_1503:
	s_mov_b64 s[0:1], 0
.LBB417_1504:
	s_andn2_b64 vcc, exec, s[0:1]
	s_cbranch_vccnz .LBB417_1506
; %bb.1505:
	global_load_ushort v5, v[10:11], off
	s_movk_i32 s0, 0x7fff
	v_mov_b32_e32 v9, 0x7fc0
	s_waitcnt vmcnt(0)
	v_cvt_f32_f16_e32 v7, v5
	v_cmp_o_f16_e32 vcc, v5, v5
	v_bfe_u32 v5, v7, 16, 1
	v_add3_u32 v5, v7, v5, s0
	v_cndmask_b32_sdwa v12, v9, v5, vcc dst_sel:DWORD dst_unused:UNUSED_PAD src0_sel:DWORD src1_sel:WORD_1
.LBB417_1506:
	s_mov_b64 s[0:1], 0
.LBB417_1507:
	s_andn2_b64 vcc, exec, s[0:1]
	s_cbranch_vccnz .LBB417_1527
; %bb.1508:
	s_cmp_lt_i32 s17, 2
	s_cbranch_scc1 .LBB417_1512
; %bb.1509:
	s_cmp_lt_i32 s17, 3
	s_cbranch_scc1 .LBB417_1513
; %bb.1510:
	s_cmp_gt_i32 s17, 3
	s_cbranch_scc0 .LBB417_1514
; %bb.1511:
	global_load_dwordx2 v[12:13], v[10:11], off
	s_movk_i32 s0, 0x7fff
	s_waitcnt vmcnt(0)
	v_xor_b32_e32 v7, v12, v13
	v_ffbh_i32_e32 v5, v13
	v_ashrrev_i32_e32 v7, 31, v7
	v_add_u32_e32 v5, -1, v5
	v_add_u32_e32 v7, 32, v7
	v_min_u32_e32 v5, v5, v7
	v_lshlrev_b64 v[12:13], v5, v[12:13]
	v_min_u32_e32 v7, 1, v12
	v_or_b32_e32 v7, v13, v7
	v_cvt_f32_i32_e32 v7, v7
	v_sub_u32_e32 v5, 32, v5
	v_ldexp_f32 v5, v7, v5
	v_bfe_u32 v7, v5, 16, 1
	v_add3_u32 v5, v5, v7, s0
	v_lshrrev_b32_e32 v12, 16, v5
	s_mov_b64 s[0:1], 0
	s_branch .LBB417_1515
.LBB417_1512:
	s_mov_b64 s[0:1], -1
                                        ; implicit-def: $vgpr12
	s_branch .LBB417_1521
.LBB417_1513:
	s_mov_b64 s[0:1], -1
                                        ; implicit-def: $vgpr12
	s_branch .LBB417_1518
.LBB417_1514:
	s_mov_b64 s[0:1], -1
                                        ; implicit-def: $vgpr12
.LBB417_1515:
	s_andn2_b64 vcc, exec, s[0:1]
	s_cbranch_vccnz .LBB417_1517
; %bb.1516:
	global_load_dword v5, v[10:11], off
	s_movk_i32 s0, 0x7fff
	s_waitcnt vmcnt(0)
	v_cvt_f32_i32_e32 v5, v5
	v_bfe_u32 v7, v5, 16, 1
	v_add3_u32 v5, v5, v7, s0
	v_lshrrev_b32_e32 v12, 16, v5
.LBB417_1517:
	s_mov_b64 s[0:1], 0
.LBB417_1518:
	s_andn2_b64 vcc, exec, s[0:1]
	s_cbranch_vccnz .LBB417_1520
; %bb.1519:
	global_load_sshort v5, v[10:11], off
	s_movk_i32 s0, 0x7fff
	s_waitcnt vmcnt(0)
	v_cvt_f32_i32_e32 v5, v5
	v_bfe_u32 v7, v5, 16, 1
	v_add3_u32 v5, v5, v7, s0
	v_lshrrev_b32_e32 v12, 16, v5
.LBB417_1520:
	s_mov_b64 s[0:1], 0
.LBB417_1521:
	s_andn2_b64 vcc, exec, s[0:1]
	s_cbranch_vccnz .LBB417_1527
; %bb.1522:
	s_cmp_gt_i32 s17, 0
	s_cbranch_scc0 .LBB417_1524
; %bb.1523:
	global_load_sbyte v5, v[10:11], off
	s_movk_i32 s0, 0x7fff
	s_waitcnt vmcnt(0)
	v_cvt_f32_i32_e32 v5, v5
	v_bfe_u32 v7, v5, 16, 1
	v_add3_u32 v5, v5, v7, s0
	v_lshrrev_b32_e32 v12, 16, v5
	s_mov_b64 s[0:1], 0
	s_branch .LBB417_1525
.LBB417_1524:
	s_mov_b64 s[0:1], -1
                                        ; implicit-def: $vgpr12
.LBB417_1525:
	s_andn2_b64 vcc, exec, s[0:1]
	s_cbranch_vccnz .LBB417_1527
; %bb.1526:
	global_load_ubyte v5, v[10:11], off
	s_movk_i32 s0, 0x7fff
	s_waitcnt vmcnt(0)
	v_cvt_f32_ubyte0_e32 v5, v5
	v_bfe_u32 v7, v5, 16, 1
	v_add3_u32 v5, v5, v7, s0
	v_lshrrev_b32_e32 v12, 16, v5
.LBB417_1527:
.LBB417_1528:
	v_mov_b32_e32 v9, 0
	s_cmp_lt_i32 s17, 11
	v_lshl_add_u64 v[8:9], s[6:7], 0, v[8:9]
	s_cbranch_scc1 .LBB417_1535
; %bb.1529:
	s_cmp_gt_i32 s17, 25
	s_mov_b64 s[6:7], 0
	s_cbranch_scc0 .LBB417_1536
; %bb.1530:
	s_cmp_gt_i32 s17, 28
	s_cbranch_scc0 .LBB417_1537
; %bb.1531:
	s_cmp_gt_i32 s17, 43
	;; [unrolled: 3-line block ×3, first 2 shown]
	s_cbranch_scc0 .LBB417_1540
; %bb.1533:
	s_cmp_eq_u32 s17, 46
	s_mov_b64 s[10:11], 0
	s_cbranch_scc0 .LBB417_1541
; %bb.1534:
	global_load_dword v10, v[8:9], off
	s_mov_b64 s[0:1], 0
	s_mov_b64 s[8:9], -1
	s_branch .LBB417_1542
.LBB417_1535:
	s_mov_b64 s[0:1], -1
	s_mov_b64 s[8:9], 0
                                        ; implicit-def: $vgpr10
	s_branch .LBB417_1608
.LBB417_1536:
	s_mov_b64 s[10:11], -1
	s_mov_b64 s[8:9], 0
	s_mov_b64 s[0:1], 0
                                        ; implicit-def: $vgpr10
	s_branch .LBB417_1571
.LBB417_1537:
	s_mov_b64 s[10:11], -1
	s_mov_b64 s[8:9], 0
	s_mov_b64 s[0:1], 0
                                        ; implicit-def: $vgpr10
	s_branch .LBB417_1552
.LBB417_1538:
	s_mov_b64 s[10:11], -1
	s_mov_b64 s[8:9], 0
	s_mov_b64 s[0:1], 0
                                        ; implicit-def: $vgpr10
	s_branch .LBB417_1547
.LBB417_1539:
	s_trap 2
	s_or_b64 s[2:3], s[2:3], exec
	s_cbranch_execz .LBB417_1478
	s_branch .LBB417_1479
.LBB417_1540:
	s_mov_b64 s[10:11], -1
	s_mov_b64 s[8:9], 0
	s_mov_b64 s[0:1], 0
                                        ; implicit-def: $vgpr10
	s_branch .LBB417_1542
.LBB417_1541:
	s_mov_b64 s[0:1], -1
                                        ; implicit-def: $vgpr10
	s_mov_b64 s[8:9], 0
.LBB417_1542:
	s_and_b64 vcc, exec, s[10:11]
	s_cbranch_vccz .LBB417_1546
; %bb.1543:
	s_cmp_eq_u32 s17, 44
	s_cbranch_scc0 .LBB417_1545
; %bb.1544:
	global_load_ubyte v5, v[8:9], off
	s_movk_i32 s8, 0xff
	v_mov_b32_e32 v7, 0x7f800001
	s_waitcnt vmcnt(1)
	v_mov_b32_e32 v10, 0x400000
	v_mov_b32_e32 v11, 0x7fc0
	s_mov_b64 s[0:1], 0
	s_waitcnt vmcnt(0)
	v_lshlrev_b32_e32 v13, 23, v5
	v_cmp_ne_u32_e32 vcc, s8, v5
	s_mov_b64 s[8:9], -1
	s_nop 0
	v_cndmask_b32_e32 v7, v7, v13, vcc
	v_cmp_ne_u32_e32 vcc, 0, v5
	s_nop 1
	v_cndmask_b32_e32 v5, v10, v7, vcc
	v_add_u32_e32 v7, 0x7fff, v5
	v_cmp_o_f32_e32 vcc, v5, v5
	s_nop 1
	v_cndmask_b32_sdwa v10, v11, v7, vcc dst_sel:DWORD dst_unused:UNUSED_PAD src0_sel:DWORD src1_sel:WORD_1
	s_branch .LBB417_1546
.LBB417_1545:
	s_mov_b64 s[0:1], -1
                                        ; implicit-def: $vgpr10
.LBB417_1546:
	s_mov_b64 s[10:11], 0
.LBB417_1547:
	s_and_b64 vcc, exec, s[10:11]
	s_cbranch_vccz .LBB417_1551
; %bb.1548:
	s_cmp_eq_u32 s17, 29
	s_cbranch_scc0 .LBB417_1550
; %bb.1549:
	global_load_dwordx2 v[10:11], v[8:9], off
	s_movk_i32 s8, 0x7fff
	s_mov_b64 s[0:1], 0
	s_mov_b64 s[10:11], 0
	s_waitcnt vmcnt(0)
	v_ffbh_u32_e32 v5, v11
	v_min_u32_e32 v5, 32, v5
	v_lshlrev_b64 v[10:11], v5, v[10:11]
	v_min_u32_e32 v7, 1, v10
	v_or_b32_e32 v7, v11, v7
	v_cvt_f32_u32_e32 v7, v7
	v_sub_u32_e32 v5, 32, v5
	v_ldexp_f32 v5, v7, v5
	v_bfe_u32 v7, v5, 16, 1
	v_add3_u32 v5, v5, v7, s8
	v_lshrrev_b32_e32 v10, 16, v5
	s_mov_b64 s[8:9], -1
	s_branch .LBB417_1552
.LBB417_1550:
	s_mov_b64 s[0:1], -1
                                        ; implicit-def: $vgpr10
.LBB417_1551:
	s_mov_b64 s[10:11], 0
.LBB417_1552:
	s_and_b64 vcc, exec, s[10:11]
	s_cbranch_vccz .LBB417_1570
; %bb.1553:
	s_cmp_lt_i32 s17, 27
	s_cbranch_scc1 .LBB417_1556
; %bb.1554:
	s_cmp_gt_i32 s17, 27
	s_cbranch_scc0 .LBB417_1557
; %bb.1555:
	global_load_dword v5, v[8:9], off
	s_movk_i32 s8, 0x7fff
	s_waitcnt vmcnt(0)
	v_cvt_f32_u32_e32 v5, v5
	v_bfe_u32 v7, v5, 16, 1
	v_add3_u32 v5, v5, v7, s8
	v_lshrrev_b32_e32 v10, 16, v5
	s_mov_b64 s[8:9], 0
	s_branch .LBB417_1558
.LBB417_1556:
	s_mov_b64 s[8:9], -1
                                        ; implicit-def: $vgpr10
	s_branch .LBB417_1561
.LBB417_1557:
	s_mov_b64 s[8:9], -1
                                        ; implicit-def: $vgpr10
.LBB417_1558:
	s_andn2_b64 vcc, exec, s[8:9]
	s_cbranch_vccnz .LBB417_1560
; %bb.1559:
	global_load_ushort v5, v[8:9], off
	s_movk_i32 s8, 0x7fff
	s_waitcnt vmcnt(0)
	v_cvt_f32_u32_e32 v5, v5
	v_bfe_u32 v7, v5, 16, 1
	v_add3_u32 v5, v5, v7, s8
	v_lshrrev_b32_e32 v10, 16, v5
.LBB417_1560:
	s_mov_b64 s[8:9], 0
.LBB417_1561:
	s_andn2_b64 vcc, exec, s[8:9]
	s_cbranch_vccnz .LBB417_1569
; %bb.1562:
	global_load_ubyte v5, v[8:9], off
	s_movk_i32 s8, 0x7f
	s_waitcnt vmcnt(0)
	v_cmp_lt_i16_e32 vcc, s8, v5
	s_mov_b64 s[8:9], 0
	s_and_saveexec_b64 s[10:11], vcc
	s_xor_b64 s[10:11], exec, s[10:11]
	s_cbranch_execz .LBB417_1583
; %bb.1563:
	s_movk_i32 s8, 0x80
	v_cmp_eq_u16_e32 vcc, s8, v5
	s_mov_b64 s[8:9], -1
	s_and_saveexec_b64 s[12:13], vcc
; %bb.1564:
	s_xor_b64 s[8:9], exec, -1
; %bb.1565:
	s_or_b64 exec, exec, s[12:13]
	s_and_b64 s[8:9], s[8:9], exec
	s_or_saveexec_b64 s[10:11], s[10:11]
	v_mov_b32_e32 v7, 0x7f800001
	s_xor_b64 exec, exec, s[10:11]
	s_cbranch_execnz .LBB417_1584
.LBB417_1566:
	s_or_b64 exec, exec, s[10:11]
	s_and_saveexec_b64 s[10:11], s[8:9]
	s_cbranch_execz .LBB417_1568
.LBB417_1567:
	v_lshlrev_b32_e32 v7, 24, v5
	v_and_b32_e32 v5, 0xffff, v5
	v_and_b32_e32 v10, 7, v5
	v_ffbh_u32_e32 v13, v10
	v_min_u32_e32 v13, 32, v13
	v_subrev_u32_e32 v14, 28, v13
	v_bfe_u32 v11, v5, 3, 4
	v_lshlrev_b32_e32 v5, v14, v5
	v_sub_u32_e32 v13, 29, v13
	v_and_b32_e32 v5, 7, v5
	v_cmp_eq_u32_e32 vcc, 0, v11
	v_and_b32_e32 v7, 0x80000000, v7
	s_nop 0
	v_cndmask_b32_e32 v11, v11, v13, vcc
	v_cndmask_b32_e32 v5, v10, v5, vcc
	v_mov_b32_e32 v10, 0x3b800000
	v_lshlrev_b32_e32 v5, 20, v5
	v_lshl_add_u32 v10, v11, 23, v10
	v_or3_b32 v7, v7, v10, v5
.LBB417_1568:
	s_or_b64 exec, exec, s[10:11]
	v_bfe_u32 v5, v7, 16, 1
	s_movk_i32 s8, 0x7fff
	v_add3_u32 v5, v7, v5, s8
	v_cmp_o_f32_e32 vcc, v7, v7
	v_mov_b32_e32 v7, 0x7fc0
	s_nop 0
	v_cndmask_b32_sdwa v10, v7, v5, vcc dst_sel:DWORD dst_unused:UNUSED_PAD src0_sel:DWORD src1_sel:WORD_1
.LBB417_1569:
	s_mov_b64 s[8:9], -1
.LBB417_1570:
	s_mov_b64 s[10:11], 0
.LBB417_1571:
	s_and_b64 vcc, exec, s[10:11]
	s_cbranch_vccz .LBB417_1604
; %bb.1572:
	s_cmp_gt_i32 s17, 22
	s_cbranch_scc0 .LBB417_1582
; %bb.1573:
	s_cmp_lt_i32 s17, 24
	s_cbranch_scc1 .LBB417_1585
; %bb.1574:
	s_cmp_gt_i32 s17, 24
	s_cbranch_scc0 .LBB417_1586
; %bb.1575:
	global_load_ubyte v5, v[8:9], off
	s_movk_i32 s6, 0x7f
	s_waitcnt vmcnt(0)
	v_cmp_lt_i16_e32 vcc, s6, v5
	s_mov_b64 s[6:7], 0
	s_and_saveexec_b64 s[8:9], vcc
	s_xor_b64 s[8:9], exec, s[8:9]
	s_cbranch_execz .LBB417_1598
; %bb.1576:
	s_movk_i32 s6, 0x80
	v_cmp_eq_u16_e32 vcc, s6, v5
	s_mov_b64 s[6:7], -1
	s_and_saveexec_b64 s[10:11], vcc
; %bb.1577:
	s_xor_b64 s[6:7], exec, -1
; %bb.1578:
	s_or_b64 exec, exec, s[10:11]
	s_and_b64 s[6:7], s[6:7], exec
	s_or_saveexec_b64 s[8:9], s[8:9]
	v_mov_b32_e32 v7, 0x7f800001
	s_xor_b64 exec, exec, s[8:9]
	s_cbranch_execnz .LBB417_1599
.LBB417_1579:
	s_or_b64 exec, exec, s[8:9]
	s_and_saveexec_b64 s[8:9], s[6:7]
	s_cbranch_execz .LBB417_1581
.LBB417_1580:
	v_lshlrev_b32_e32 v7, 24, v5
	v_and_b32_e32 v5, 0xffff, v5
	v_and_b32_e32 v10, 3, v5
	v_ffbh_u32_e32 v13, v10
	v_min_u32_e32 v13, 32, v13
	v_subrev_u32_e32 v14, 29, v13
	v_bfe_u32 v11, v5, 2, 5
	v_lshlrev_b32_e32 v5, v14, v5
	v_sub_u32_e32 v13, 30, v13
	v_and_b32_e32 v5, 3, v5
	v_cmp_eq_u32_e32 vcc, 0, v11
	v_and_b32_e32 v7, 0x80000000, v7
	s_nop 0
	v_cndmask_b32_e32 v11, v11, v13, vcc
	v_cndmask_b32_e32 v5, v10, v5, vcc
	v_mov_b32_e32 v10, 0x37800000
	v_lshlrev_b32_e32 v5, 21, v5
	v_lshl_add_u32 v10, v11, 23, v10
	v_or3_b32 v7, v7, v10, v5
.LBB417_1581:
	s_or_b64 exec, exec, s[8:9]
	v_bfe_u32 v5, v7, 16, 1
	s_movk_i32 s6, 0x7fff
	v_add3_u32 v5, v7, v5, s6
	v_cmp_o_f32_e32 vcc, v7, v7
	v_mov_b32_e32 v7, 0x7fc0
	s_mov_b64 s[6:7], 0
	v_cndmask_b32_sdwa v10, v7, v5, vcc dst_sel:DWORD dst_unused:UNUSED_PAD src0_sel:DWORD src1_sel:WORD_1
	s_branch .LBB417_1587
.LBB417_1582:
	s_mov_b64 s[6:7], -1
                                        ; implicit-def: $vgpr10
	s_branch .LBB417_1593
.LBB417_1583:
	s_or_saveexec_b64 s[10:11], s[10:11]
	v_mov_b32_e32 v7, 0x7f800001
	s_xor_b64 exec, exec, s[10:11]
	s_cbranch_execz .LBB417_1566
.LBB417_1584:
	v_cmp_ne_u16_e32 vcc, 0, v5
	s_andn2_b64 s[8:9], s[8:9], exec
	s_and_b64 s[12:13], vcc, exec
	v_mov_b32_e32 v7, 0
	s_or_b64 s[8:9], s[8:9], s[12:13]
	s_or_b64 exec, exec, s[10:11]
	s_and_saveexec_b64 s[10:11], s[8:9]
	s_cbranch_execnz .LBB417_1567
	s_branch .LBB417_1568
.LBB417_1585:
	s_mov_b64 s[6:7], -1
                                        ; implicit-def: $vgpr10
	s_branch .LBB417_1590
.LBB417_1586:
	s_mov_b64 s[6:7], -1
                                        ; implicit-def: $vgpr10
.LBB417_1587:
	s_and_b64 vcc, exec, s[6:7]
	s_cbranch_vccz .LBB417_1589
; %bb.1588:
	global_load_ubyte v5, v[8:9], off
	s_mov_b32 s6, 0x7f800000
	s_brev_b32 s7, 1
	s_movk_i32 s8, 0x7fff
	s_waitcnt vmcnt(0)
	v_lshlrev_b32_e32 v5, 24, v5
	v_and_b32_e32 v7, 0x7f000000, v5
	v_ffbh_u32_e32 v10, v7
	v_min_u32_e32 v10, 32, v10
	v_sub_u32_e64 v10, v10, 4 clamp
	v_lshlrev_b32_e32 v13, v10, v7
	v_lshlrev_b32_e32 v10, 23, v10
	v_lshrrev_b32_e32 v13, 4, v13
	v_add_u32_e32 v11, 0x1000000, v7
	v_sub_u32_e32 v10, v13, v10
	v_ashrrev_i32_e32 v11, 8, v11
	v_add_u32_e32 v10, 0x3c000000, v10
	v_and_or_b32 v10, v11, s6, v10
	v_cmp_ne_u32_e32 vcc, 0, v7
	s_nop 1
	v_cndmask_b32_e32 v7, 0, v10, vcc
	v_and_or_b32 v5, v5, s7, v7
	v_bfe_u32 v7, v7, 16, 1
	v_add3_u32 v7, v5, v7, s8
	v_cmp_o_f32_e32 vcc, v5, v5
	v_mov_b32_e32 v5, 0x7fc0
	s_nop 0
	v_cndmask_b32_sdwa v10, v5, v7, vcc dst_sel:DWORD dst_unused:UNUSED_PAD src0_sel:DWORD src1_sel:WORD_1
.LBB417_1589:
	s_mov_b64 s[6:7], 0
.LBB417_1590:
	s_andn2_b64 vcc, exec, s[6:7]
	s_cbranch_vccnz .LBB417_1592
; %bb.1591:
	global_load_ubyte v5, v[8:9], off
	s_movk_i32 s6, 0x7f00
	s_brev_b32 s7, 16
	s_brev_b32 s8, 1
	s_movk_i32 s9, 0x7fff
	s_waitcnt vmcnt(0)
	v_lshlrev_b16_e32 v7, 8, v5
	v_lshlrev_b32_e32 v5, 25, v5
	v_lshrrev_b32_e32 v10, 4, v5
	v_and_or_b32 v11, v7, s6, 0.5
	v_or_b32_e32 v10, 0x70000000, v10
	v_add_f32_e32 v11, -0.5, v11
	v_mul_f32_e32 v10, 0x7800000, v10
	v_cmp_gt_u32_e32 vcc, s7, v5
	v_bfe_i32 v7, v7, 0, 16
	s_nop 0
	v_cndmask_b32_e32 v5, v10, v11, vcc
	v_and_or_b32 v7, v7, s8, v5
	v_bfe_u32 v5, v5, 16, 1
	v_add3_u32 v5, v7, v5, s9
	v_cmp_o_f32_e32 vcc, v7, v7
	v_mov_b32_e32 v7, 0x7fc0
	s_nop 0
	v_cndmask_b32_sdwa v10, v7, v5, vcc dst_sel:DWORD dst_unused:UNUSED_PAD src0_sel:DWORD src1_sel:WORD_1
.LBB417_1592:
	s_mov_b64 s[6:7], 0
	s_mov_b64 s[8:9], -1
.LBB417_1593:
	s_andn2_b64 vcc, exec, s[6:7]
	s_mov_b64 s[6:7], 0
	s_cbranch_vccnz .LBB417_1604
; %bb.1594:
	s_cmp_gt_i32 s17, 14
	s_cbranch_scc0 .LBB417_1597
; %bb.1595:
	s_cmp_eq_u32 s17, 15
	s_cbranch_scc0 .LBB417_1600
; %bb.1596:
	global_load_ushort v10, v[8:9], off
	s_mov_b64 s[0:1], 0
	s_mov_b64 s[8:9], -1
	s_branch .LBB417_1601
.LBB417_1597:
	s_mov_b64 s[10:11], -1
                                        ; implicit-def: $vgpr10
	s_branch .LBB417_1602
.LBB417_1598:
	s_or_saveexec_b64 s[8:9], s[8:9]
	v_mov_b32_e32 v7, 0x7f800001
	s_xor_b64 exec, exec, s[8:9]
	s_cbranch_execz .LBB417_1579
.LBB417_1599:
	v_cmp_ne_u16_e32 vcc, 0, v5
	s_andn2_b64 s[6:7], s[6:7], exec
	s_and_b64 s[10:11], vcc, exec
	v_mov_b32_e32 v7, 0
	s_or_b64 s[6:7], s[6:7], s[10:11]
	s_or_b64 exec, exec, s[8:9]
	s_and_saveexec_b64 s[8:9], s[6:7]
	s_cbranch_execnz .LBB417_1580
	s_branch .LBB417_1581
.LBB417_1600:
	s_mov_b64 s[0:1], -1
                                        ; implicit-def: $vgpr10
.LBB417_1601:
	s_mov_b64 s[10:11], 0
.LBB417_1602:
	s_and_b64 vcc, exec, s[10:11]
	s_cbranch_vccz .LBB417_1604
; %bb.1603:
	s_cmp_lg_u32 s17, 11
	s_mov_b64 s[6:7], -1
	s_cselect_b64 s[0:1], -1, 0
.LBB417_1604:
	s_and_b64 vcc, exec, s[0:1]
	s_cbranch_vccnz .LBB417_2137
; %bb.1605:
	s_andn2_b64 vcc, exec, s[6:7]
	s_cbranch_vccnz .LBB417_1607
.LBB417_1606:
	global_load_ubyte v5, v[8:9], off
	s_mov_b64 s[8:9], -1
	s_waitcnt vmcnt(0)
	v_cmp_ne_u16_e32 vcc, 0, v5
	s_nop 1
	v_cndmask_b32_e64 v5, 0, 1.0, vcc
	v_lshrrev_b32_e32 v10, 16, v5
.LBB417_1607:
	s_mov_b64 s[0:1], 0
.LBB417_1608:
	s_and_b64 vcc, exec, s[0:1]
	s_cbranch_vccz .LBB417_1657
; %bb.1609:
	s_cmp_lt_i32 s17, 5
	s_cbranch_scc1 .LBB417_1614
; %bb.1610:
	s_cmp_lt_i32 s17, 8
	s_cbranch_scc1 .LBB417_1615
	;; [unrolled: 3-line block ×3, first 2 shown]
; %bb.1612:
	s_cmp_gt_i32 s17, 9
	s_cbranch_scc0 .LBB417_1617
; %bb.1613:
	global_load_dwordx2 v[10:11], v[8:9], off
	s_movk_i32 s0, 0x7fff
	v_mov_b32_e32 v5, 0x7fc0
	s_waitcnt vmcnt(0)
	v_cvt_f32_f64_e32 v7, v[10:11]
	v_bfe_u32 v10, v7, 16, 1
	v_cmp_o_f32_e32 vcc, v7, v7
	v_add3_u32 v7, v7, v10, s0
	s_mov_b64 s[0:1], 0
	v_cndmask_b32_sdwa v10, v5, v7, vcc dst_sel:DWORD dst_unused:UNUSED_PAD src0_sel:DWORD src1_sel:WORD_1
	s_branch .LBB417_1618
.LBB417_1614:
	s_mov_b64 s[0:1], -1
                                        ; implicit-def: $vgpr10
	s_branch .LBB417_1636
.LBB417_1615:
	s_mov_b64 s[0:1], -1
                                        ; implicit-def: $vgpr10
	s_branch .LBB417_1624
.LBB417_1616:
	s_mov_b64 s[0:1], -1
                                        ; implicit-def: $vgpr10
	s_branch .LBB417_1621
.LBB417_1617:
	s_mov_b64 s[0:1], -1
                                        ; implicit-def: $vgpr10
.LBB417_1618:
	s_andn2_b64 vcc, exec, s[0:1]
	s_cbranch_vccnz .LBB417_1620
; %bb.1619:
	global_load_dword v5, v[8:9], off
	s_movk_i32 s0, 0x7fff
	v_mov_b32_e32 v7, 0x7fc0
	s_waitcnt vmcnt(0)
	v_bfe_u32 v10, v5, 16, 1
	v_cmp_o_f32_e32 vcc, v5, v5
	v_add3_u32 v5, v5, v10, s0
	s_nop 0
	v_cndmask_b32_sdwa v10, v7, v5, vcc dst_sel:DWORD dst_unused:UNUSED_PAD src0_sel:DWORD src1_sel:WORD_1
.LBB417_1620:
	s_mov_b64 s[0:1], 0
.LBB417_1621:
	s_andn2_b64 vcc, exec, s[0:1]
	s_cbranch_vccnz .LBB417_1623
; %bb.1622:
	global_load_dword v5, v[8:9], off
	s_movk_i32 s0, 0x7fff
	s_waitcnt vmcnt(1)
	v_mov_b32_e32 v10, 0x7fc0
	s_waitcnt vmcnt(0)
	v_cvt_f32_f16_e32 v7, v5
	v_cmp_o_f16_e32 vcc, v5, v5
	v_bfe_u32 v5, v7, 16, 1
	v_add3_u32 v5, v7, v5, s0
	v_cndmask_b32_sdwa v10, v10, v5, vcc dst_sel:DWORD dst_unused:UNUSED_PAD src0_sel:DWORD src1_sel:WORD_1
.LBB417_1623:
	s_mov_b64 s[0:1], 0
.LBB417_1624:
	s_andn2_b64 vcc, exec, s[0:1]
	s_cbranch_vccnz .LBB417_1635
; %bb.1625:
	s_cmp_lt_i32 s17, 6
	s_cbranch_scc1 .LBB417_1628
; %bb.1626:
	s_cmp_gt_i32 s17, 6
	s_cbranch_scc0 .LBB417_1629
; %bb.1627:
	global_load_dwordx2 v[10:11], v[8:9], off
	s_movk_i32 s0, 0x7fff
	v_mov_b32_e32 v5, 0x7fc0
	s_waitcnt vmcnt(0)
	v_cvt_f32_f64_e32 v7, v[10:11]
	v_bfe_u32 v10, v7, 16, 1
	v_cmp_o_f32_e32 vcc, v7, v7
	v_add3_u32 v7, v7, v10, s0
	s_mov_b64 s[0:1], 0
	v_cndmask_b32_sdwa v10, v5, v7, vcc dst_sel:DWORD dst_unused:UNUSED_PAD src0_sel:DWORD src1_sel:WORD_1
	s_branch .LBB417_1630
.LBB417_1628:
	s_mov_b64 s[0:1], -1
                                        ; implicit-def: $vgpr10
	s_branch .LBB417_1633
.LBB417_1629:
	s_mov_b64 s[0:1], -1
                                        ; implicit-def: $vgpr10
.LBB417_1630:
	s_andn2_b64 vcc, exec, s[0:1]
	s_cbranch_vccnz .LBB417_1632
; %bb.1631:
	global_load_dword v5, v[8:9], off
	s_movk_i32 s0, 0x7fff
	v_mov_b32_e32 v7, 0x7fc0
	s_waitcnt vmcnt(0)
	v_bfe_u32 v10, v5, 16, 1
	v_cmp_o_f32_e32 vcc, v5, v5
	v_add3_u32 v5, v5, v10, s0
	s_nop 0
	v_cndmask_b32_sdwa v10, v7, v5, vcc dst_sel:DWORD dst_unused:UNUSED_PAD src0_sel:DWORD src1_sel:WORD_1
.LBB417_1632:
	s_mov_b64 s[0:1], 0
.LBB417_1633:
	s_andn2_b64 vcc, exec, s[0:1]
	s_cbranch_vccnz .LBB417_1635
; %bb.1634:
	global_load_ushort v5, v[8:9], off
	s_movk_i32 s0, 0x7fff
	s_waitcnt vmcnt(1)
	v_mov_b32_e32 v10, 0x7fc0
	s_waitcnt vmcnt(0)
	v_cvt_f32_f16_e32 v7, v5
	v_cmp_o_f16_e32 vcc, v5, v5
	v_bfe_u32 v5, v7, 16, 1
	v_add3_u32 v5, v7, v5, s0
	v_cndmask_b32_sdwa v10, v10, v5, vcc dst_sel:DWORD dst_unused:UNUSED_PAD src0_sel:DWORD src1_sel:WORD_1
.LBB417_1635:
	s_mov_b64 s[0:1], 0
.LBB417_1636:
	s_andn2_b64 vcc, exec, s[0:1]
	s_cbranch_vccnz .LBB417_1656
; %bb.1637:
	s_cmp_lt_i32 s17, 2
	s_cbranch_scc1 .LBB417_1641
; %bb.1638:
	s_cmp_lt_i32 s17, 3
	s_cbranch_scc1 .LBB417_1642
; %bb.1639:
	s_cmp_gt_i32 s17, 3
	s_cbranch_scc0 .LBB417_1643
; %bb.1640:
	global_load_dwordx2 v[10:11], v[8:9], off
	s_movk_i32 s0, 0x7fff
	s_waitcnt vmcnt(0)
	v_xor_b32_e32 v7, v10, v11
	v_ffbh_i32_e32 v5, v11
	v_ashrrev_i32_e32 v7, 31, v7
	v_add_u32_e32 v5, -1, v5
	v_add_u32_e32 v7, 32, v7
	v_min_u32_e32 v5, v5, v7
	v_lshlrev_b64 v[10:11], v5, v[10:11]
	v_min_u32_e32 v7, 1, v10
	v_or_b32_e32 v7, v11, v7
	v_cvt_f32_i32_e32 v7, v7
	v_sub_u32_e32 v5, 32, v5
	v_ldexp_f32 v5, v7, v5
	v_bfe_u32 v7, v5, 16, 1
	v_add3_u32 v5, v5, v7, s0
	v_lshrrev_b32_e32 v10, 16, v5
	s_mov_b64 s[0:1], 0
	s_branch .LBB417_1644
.LBB417_1641:
	s_mov_b64 s[0:1], -1
                                        ; implicit-def: $vgpr10
	s_branch .LBB417_1650
.LBB417_1642:
	s_mov_b64 s[0:1], -1
                                        ; implicit-def: $vgpr10
	s_branch .LBB417_1647
.LBB417_1643:
	s_mov_b64 s[0:1], -1
                                        ; implicit-def: $vgpr10
.LBB417_1644:
	s_andn2_b64 vcc, exec, s[0:1]
	s_cbranch_vccnz .LBB417_1646
; %bb.1645:
	global_load_dword v5, v[8:9], off
	s_movk_i32 s0, 0x7fff
	s_waitcnt vmcnt(0)
	v_cvt_f32_i32_e32 v5, v5
	v_bfe_u32 v7, v5, 16, 1
	v_add3_u32 v5, v5, v7, s0
	v_lshrrev_b32_e32 v10, 16, v5
.LBB417_1646:
	s_mov_b64 s[0:1], 0
.LBB417_1647:
	s_andn2_b64 vcc, exec, s[0:1]
	s_cbranch_vccnz .LBB417_1649
; %bb.1648:
	global_load_sshort v5, v[8:9], off
	s_movk_i32 s0, 0x7fff
	s_waitcnt vmcnt(0)
	v_cvt_f32_i32_e32 v5, v5
	v_bfe_u32 v7, v5, 16, 1
	v_add3_u32 v5, v5, v7, s0
	v_lshrrev_b32_e32 v10, 16, v5
.LBB417_1649:
	s_mov_b64 s[0:1], 0
.LBB417_1650:
	s_andn2_b64 vcc, exec, s[0:1]
	s_cbranch_vccnz .LBB417_1656
; %bb.1651:
	s_cmp_gt_i32 s17, 0
	s_cbranch_scc0 .LBB417_1653
; %bb.1652:
	global_load_sbyte v5, v[8:9], off
	s_movk_i32 s0, 0x7fff
	s_waitcnt vmcnt(0)
	v_cvt_f32_i32_e32 v5, v5
	v_bfe_u32 v7, v5, 16, 1
	v_add3_u32 v5, v5, v7, s0
	v_lshrrev_b32_e32 v10, 16, v5
	s_mov_b64 s[0:1], 0
	s_branch .LBB417_1654
.LBB417_1653:
	s_mov_b64 s[0:1], -1
                                        ; implicit-def: $vgpr10
.LBB417_1654:
	s_andn2_b64 vcc, exec, s[0:1]
	s_cbranch_vccnz .LBB417_1656
; %bb.1655:
	global_load_ubyte v5, v[8:9], off
	s_movk_i32 s0, 0x7fff
	s_waitcnt vmcnt(0)
	v_cvt_f32_ubyte0_e32 v5, v5
	v_bfe_u32 v7, v5, 16, 1
	v_add3_u32 v5, v5, v7, s0
	v_lshrrev_b32_e32 v10, 16, v5
.LBB417_1656:
	s_mov_b64 s[8:9], -1
.LBB417_1657:
	s_andn2_b64 vcc, exec, s[8:9]
	s_cbranch_vccnz .LBB417_2091
; %bb.1658:
	s_load_dword s14, s[34:35], 0x158
	s_waitcnt vmcnt(0)
	v_lshlrev_b32_e32 v5, 16, v1
	v_cmp_u_f32_e32 vcc, v5, v5
	s_bfe_u32 s17, s16, 0x80010
	s_waitcnt lgkmcnt(0)
	s_lshl_b32 s15, s14, 16
	v_cmp_lt_f32_e64 s[0:1], s15, v5
	v_mov_b32_e32 v7, s14
	s_or_b64 vcc, vcc, s[0:1]
	v_cndmask_b32_e32 v1, v7, v1, vcc
	v_mov_b32_e32 v7, 0
	s_cmp_lt_i32 s17, 11
	v_lshl_add_u64 v[6:7], s[4:5], 0, v[6:7]
	s_cbranch_scc1 .LBB417_1736
; %bb.1659:
	s_and_b32 s18, 0xffff, s17
	s_mov_b64 s[10:11], -1
	s_mov_b64 s[6:7], 0
	s_cmp_gt_i32 s18, 25
	s_mov_b64 s[8:9], 0
	s_mov_b64 s[0:1], 0
	s_cbranch_scc0 .LBB417_1692
; %bb.1660:
	s_cmp_gt_i32 s18, 28
	s_cbranch_scc0 .LBB417_1675
; %bb.1661:
	s_cmp_gt_i32 s18, 43
	;; [unrolled: 3-line block ×3, first 2 shown]
	s_cbranch_scc0 .LBB417_1665
; %bb.1663:
	s_mov_b64 s[0:1], -1
	s_mov_b64 s[10:11], 0
	s_cmp_eq_u32 s18, 46
	s_cbranch_scc0 .LBB417_1665
; %bb.1664:
	v_and_b32_e32 v5, 0xffff, v1
	global_store_dword v[6:7], v5, off
	s_mov_b64 s[0:1], 0
	s_mov_b64 s[8:9], -1
.LBB417_1665:
	s_and_b64 vcc, exec, s[10:11]
	s_cbranch_vccz .LBB417_1670
; %bb.1666:
	s_cmp_eq_u32 s18, 44
	s_mov_b64 s[0:1], -1
	s_cbranch_scc0 .LBB417_1670
; %bb.1667:
	v_and_b32_e32 v8, 0xffff, v1
	v_bfe_u32 v5, v8, 7, 8
	s_movk_i32 s0, 0xff
	v_cmp_ne_u32_e32 vcc, s0, v5
	v_mov_b32_e32 v9, 0xff
	s_and_saveexec_b64 s[8:9], vcc
	s_cbranch_execz .LBB417_1669
; %bb.1668:
	v_lshlrev_b32_e32 v11, 16, v8
	s_mov_b32 s0, 0x3f0000
	v_lshrrev_b32_e32 v9, 7, v8
	v_and_b32_e32 v8, 64, v8
	v_and_or_b32 v5, v11, s0, v5
	v_cmp_ne_u32_e32 vcc, 0, v8
	v_cmp_ne_u32_e64 s[0:1], 0, v5
	s_and_b64 s[0:1], vcc, s[0:1]
	s_nop 0
	v_cndmask_b32_e64 v5, 0, 1, s[0:1]
	v_add_u32_e32 v9, v9, v5
.LBB417_1669:
	s_or_b64 exec, exec, s[8:9]
	s_mov_b64 s[0:1], 0
	s_mov_b64 s[8:9], -1
	global_store_byte v[6:7], v9, off
.LBB417_1670:
	s_mov_b64 s[10:11], 0
.LBB417_1671:
	s_and_b64 vcc, exec, s[10:11]
	s_cbranch_vccz .LBB417_1674
; %bb.1672:
	s_cmp_eq_u32 s18, 29
	s_mov_b64 s[0:1], -1
	s_cbranch_scc0 .LBB417_1674
; %bb.1673:
	v_lshlrev_b32_e32 v5, 16, v1
	v_trunc_f32_e32 v5, v5
	v_mul_f32_e32 v8, 0x2f800000, v5
	v_floor_f32_e32 v8, v8
	v_fmamk_f32 v5, v8, 0xcf800000, v5
	v_cvt_u32_f32_e32 v9, v8
	v_cvt_u32_f32_e32 v8, v5
	s_mov_b64 s[0:1], 0
	s_mov_b64 s[8:9], -1
	global_store_dwordx2 v[6:7], v[8:9], off
.LBB417_1674:
	s_mov_b64 s[10:11], 0
.LBB417_1675:
	s_and_b64 vcc, exec, s[10:11]
	s_cbranch_vccz .LBB417_1691
; %bb.1676:
	s_cmp_lt_i32 s18, 27
	s_mov_b64 s[8:9], -1
	s_cbranch_scc1 .LBB417_1682
; %bb.1677:
	s_cmp_gt_i32 s18, 27
	s_cbranch_scc0 .LBB417_1679
; %bb.1678:
	v_lshlrev_b32_e32 v5, 16, v1
	v_cvt_u32_f32_e32 v5, v5
	s_mov_b64 s[8:9], 0
	global_store_dword v[6:7], v5, off
.LBB417_1679:
	s_andn2_b64 vcc, exec, s[8:9]
	s_cbranch_vccnz .LBB417_1681
; %bb.1680:
	v_lshlrev_b32_e32 v5, 16, v1
	v_cvt_u32_f32_e32 v5, v5
	global_store_short v[6:7], v5, off
.LBB417_1681:
	s_mov_b64 s[8:9], 0
.LBB417_1682:
	s_andn2_b64 vcc, exec, s[8:9]
	s_cbranch_vccnz .LBB417_1690
; %bb.1683:
	v_lshlrev_b32_e32 v9, 16, v1
	v_and_b32_e32 v8, 0x7fffffff, v9
	s_mov_b32 s8, 0x43800000
	v_cmp_gt_u32_e32 vcc, s8, v8
	v_mov_b32_e32 v11, 0x80
	s_and_saveexec_b64 s[8:9], vcc
	s_cbranch_execz .LBB417_1689
; %bb.1684:
	s_mov_b32 s10, 0x3bffffff
	v_and_b32_e32 v5, 0xffff, v1
	v_cmp_lt_u32_e32 vcc, s10, v8
	s_mov_b64 s[10:11], 0
                                        ; implicit-def: $vgpr8
	s_and_saveexec_b64 s[12:13], vcc
	s_xor_b64 s[12:13], exec, s[12:13]
	s_cbranch_execz .LBB417_2138
; %bb.1685:
	v_bfe_u32 v8, v5, 4, 1
	s_mov_b32 s19, 0x487ffff
	v_add3_u32 v8, v9, v8, s19
	s_mov_b64 s[10:11], exec
	v_lshrrev_b32_e32 v8, 20, v8
                                        ; implicit-def: $vgpr9
	s_andn2_saveexec_b64 s[12:13], s[12:13]
	s_cbranch_execnz .LBB417_2139
.LBB417_1686:
	s_or_b64 exec, exec, s[12:13]
	v_mov_b32_e32 v11, 0
	s_and_saveexec_b64 s[12:13], s[10:11]
.LBB417_1687:
	v_lshrrev_b32_e32 v5, 8, v5
	s_movk_i32 s10, 0x80
	v_and_or_b32 v11, v5, s10, v8
.LBB417_1688:
	s_or_b64 exec, exec, s[12:13]
.LBB417_1689:
	s_or_b64 exec, exec, s[8:9]
	global_store_byte v[6:7], v11, off
.LBB417_1690:
	s_mov_b64 s[8:9], -1
.LBB417_1691:
	s_mov_b64 s[10:11], 0
.LBB417_1692:
	s_and_b64 vcc, exec, s[10:11]
	s_cbranch_vccz .LBB417_1732
; %bb.1693:
	s_cmp_gt_i32 s18, 22
	s_mov_b64 s[6:7], -1
	s_cbranch_scc0 .LBB417_1725
; %bb.1694:
	s_cmp_lt_i32 s18, 24
	s_cbranch_scc1 .LBB417_1714
; %bb.1695:
	s_cmp_gt_i32 s18, 24
	s_cbranch_scc0 .LBB417_1703
; %bb.1696:
	v_lshlrev_b32_e32 v9, 16, v1
	v_and_b32_e32 v8, 0x7fffffff, v9
	s_mov_b32 s6, 0x47800000
	v_cmp_gt_u32_e32 vcc, s6, v8
	v_mov_b32_e32 v11, 0x80
	s_and_saveexec_b64 s[6:7], vcc
	s_cbranch_execz .LBB417_1702
; %bb.1697:
	s_mov_b32 s8, 0x37ffffff
	v_and_b32_e32 v5, 0xffff, v1
	v_cmp_lt_u32_e32 vcc, s8, v8
	s_mov_b64 s[8:9], 0
                                        ; implicit-def: $vgpr8
	s_and_saveexec_b64 s[10:11], vcc
	s_xor_b64 s[10:11], exec, s[10:11]
	s_cbranch_execz .LBB417_2141
; %bb.1698:
	v_bfe_u32 v8, v5, 5, 1
	s_mov_b32 s12, 0x88fffff
	v_add3_u32 v8, v9, v8, s12
	s_mov_b64 s[8:9], exec
	v_lshrrev_b32_e32 v8, 21, v8
                                        ; implicit-def: $vgpr9
	s_andn2_saveexec_b64 s[10:11], s[10:11]
	s_cbranch_execnz .LBB417_2142
.LBB417_1699:
	s_or_b64 exec, exec, s[10:11]
	v_mov_b32_e32 v11, 0
	s_and_saveexec_b64 s[10:11], s[8:9]
.LBB417_1700:
	v_lshrrev_b32_e32 v5, 8, v5
	s_movk_i32 s8, 0x80
	v_and_or_b32 v11, v5, s8, v8
.LBB417_1701:
	s_or_b64 exec, exec, s[10:11]
.LBB417_1702:
	s_or_b64 exec, exec, s[6:7]
	s_mov_b64 s[6:7], 0
	global_store_byte v[6:7], v11, off
.LBB417_1703:
	s_and_b64 vcc, exec, s[6:7]
	s_cbranch_vccz .LBB417_1713
; %bb.1704:
	v_lshlrev_b32_e32 v9, 16, v1
	v_and_b32_e32 v11, 0x7fffffff, v9
	s_mov_b32 s6, 0x43f00000
	v_and_b32_e32 v5, 0xffff, v1
	v_cmp_gt_u32_e32 vcc, s6, v11
                                        ; implicit-def: $vgpr8
	s_and_saveexec_b64 s[6:7], vcc
	s_xor_b64 s[6:7], exec, s[6:7]
	s_cbranch_execz .LBB417_1710
; %bb.1705:
	s_mov_b32 s8, 0x3c7fffff
	v_cmp_lt_u32_e32 vcc, s8, v11
                                        ; implicit-def: $vgpr8
	s_and_saveexec_b64 s[8:9], vcc
	s_xor_b64 s[8:9], exec, s[8:9]
; %bb.1706:
	v_bfe_u32 v8, v5, 4, 1
	s_mov_b32 s10, 0x407ffff
	v_add3_u32 v8, v9, v8, s10
	v_lshrrev_b32_e32 v9, 20, v8
	v_and_b32_e32 v8, 0xff00000, v8
	s_mov_b32 s10, 0x7f00000
	v_mov_b32_e32 v11, 0x7e
	v_cmp_ne_u32_e32 vcc, s10, v8
	s_nop 1
	v_cndmask_b32_e32 v8, v11, v9, vcc
                                        ; implicit-def: $vgpr9
; %bb.1707:
	s_andn2_saveexec_b64 s[8:9], s[8:9]
; %bb.1708:
	s_mov_b32 s10, 0x46800000
	v_add_f32_e64 v8, |v9|, s10
; %bb.1709:
	s_or_b64 exec, exec, s[8:9]
                                        ; implicit-def: $vgpr11
.LBB417_1710:
	s_andn2_saveexec_b64 s[6:7], s[6:7]
; %bb.1711:
	s_mov_b32 s8, 0x7f800000
	v_mov_b32_e32 v8, 0x7e
	v_mov_b32_e32 v9, 0x7f
	v_cmp_lt_u32_e32 vcc, s8, v11
	s_nop 1
	v_cndmask_b32_e32 v8, v8, v9, vcc
; %bb.1712:
	s_or_b64 exec, exec, s[6:7]
	v_lshrrev_b32_e32 v5, 8, v5
	s_movk_i32 s6, 0x80
	v_and_or_b32 v5, v5, s6, v8
	global_store_byte v[6:7], v5, off
.LBB417_1713:
	s_mov_b64 s[6:7], 0
.LBB417_1714:
	s_andn2_b64 vcc, exec, s[6:7]
	s_cbranch_vccnz .LBB417_1724
; %bb.1715:
	v_lshlrev_b32_e32 v9, 16, v1
	v_and_b32_e32 v11, 0x7fffffff, v9
	s_mov_b32 s6, 0x47800000
	v_and_b32_e32 v5, 0xffff, v1
	v_cmp_gt_u32_e32 vcc, s6, v11
                                        ; implicit-def: $vgpr8
	s_and_saveexec_b64 s[6:7], vcc
	s_xor_b64 s[6:7], exec, s[6:7]
	s_cbranch_execz .LBB417_1721
; %bb.1716:
	s_mov_b32 s8, 0x387fffff
	v_cmp_lt_u32_e32 vcc, s8, v11
                                        ; implicit-def: $vgpr8
	s_and_saveexec_b64 s[8:9], vcc
	s_xor_b64 s[8:9], exec, s[8:9]
; %bb.1717:
	v_bfe_u32 v8, v5, 5, 1
	s_mov_b32 s10, 0x80fffff
	v_add3_u32 v8, v9, v8, s10
	v_lshrrev_b32_e32 v8, 21, v8
                                        ; implicit-def: $vgpr9
; %bb.1718:
	s_andn2_saveexec_b64 s[8:9], s[8:9]
; %bb.1719:
	s_mov_b32 s10, 0x43000000
	v_add_f32_e64 v8, |v9|, s10
; %bb.1720:
	s_or_b64 exec, exec, s[8:9]
                                        ; implicit-def: $vgpr11
.LBB417_1721:
	s_andn2_saveexec_b64 s[6:7], s[6:7]
; %bb.1722:
	s_mov_b32 s8, 0x7f800000
	v_mov_b32_e32 v8, 0x7c
	v_mov_b32_e32 v9, 0x7f
	v_cmp_lt_u32_e32 vcc, s8, v11
	s_nop 1
	v_cndmask_b32_e32 v8, v8, v9, vcc
; %bb.1723:
	s_or_b64 exec, exec, s[6:7]
	v_lshrrev_b32_e32 v5, 8, v5
	s_movk_i32 s6, 0x80
	v_and_or_b32 v5, v5, s6, v8
	global_store_byte v[6:7], v5, off
.LBB417_1724:
	s_mov_b64 s[6:7], 0
	s_mov_b64 s[8:9], -1
.LBB417_1725:
	s_andn2_b64 vcc, exec, s[6:7]
	s_mov_b64 s[6:7], 0
	s_cbranch_vccnz .LBB417_1732
; %bb.1726:
	s_cmp_gt_i32 s18, 14
	s_mov_b64 s[10:11], -1
	s_cbranch_scc0 .LBB417_1730
; %bb.1727:
	s_cmp_eq_u32 s18, 15
	s_mov_b64 s[0:1], -1
	s_cbranch_scc0 .LBB417_1729
; %bb.1728:
	global_store_short v[6:7], v1, off
	s_mov_b64 s[0:1], 0
	s_mov_b64 s[8:9], -1
.LBB417_1729:
	s_mov_b64 s[10:11], 0
.LBB417_1730:
	s_and_b64 vcc, exec, s[10:11]
	s_cbranch_vccz .LBB417_1732
; %bb.1731:
	s_cmp_lg_u32 s18, 11
	s_mov_b64 s[6:7], -1
	s_cselect_b64 s[0:1], -1, 0
.LBB417_1732:
	s_and_b64 vcc, exec, s[0:1]
	s_cbranch_vccnz .LBB417_2140
; %bb.1733:
	s_andn2_b64 vcc, exec, s[6:7]
	s_cbranch_vccnz .LBB417_1735
.LBB417_1734:
	v_and_b32_e32 v5, 0x7fff, v1
	v_cmp_ne_u16_e32 vcc, 0, v5
	s_mov_b64 s[8:9], -1
	s_nop 0
	v_cndmask_b32_e64 v5, 0, 1, vcc
	global_store_byte v[6:7], v5, off
.LBB417_1735:
	s_mov_b64 s[0:1], 0
	s_branch .LBB417_1737
.LBB417_1736:
	s_mov_b64 s[0:1], -1
	s_mov_b64 s[8:9], 0
.LBB417_1737:
	s_and_b64 vcc, exec, s[0:1]
	s_cbranch_vccz .LBB417_1776
; %bb.1738:
	s_and_b32 s6, 0xffff, s17
	s_cmp_lt_i32 s6, 5
	s_mov_b64 s[0:1], -1
	s_cbranch_scc1 .LBB417_1759
; %bb.1739:
	s_cmp_lt_i32 s6, 8
	s_cbranch_scc1 .LBB417_1749
; %bb.1740:
	s_cmp_lt_i32 s6, 9
	s_cbranch_scc1 .LBB417_1746
; %bb.1741:
	s_cmp_gt_i32 s6, 9
	s_cbranch_scc0 .LBB417_1743
; %bb.1742:
	v_lshlrev_b32_e32 v5, 16, v1
	v_mov_b32_e32 v16, 0
	v_cvt_f64_f32_e32 v[14:15], v5
	v_mov_b32_e32 v17, v16
	global_store_dwordx4 v[6:7], v[14:17], off
	s_mov_b64 s[0:1], 0
.LBB417_1743:
	s_andn2_b64 vcc, exec, s[0:1]
	s_cbranch_vccnz .LBB417_1745
; %bb.1744:
	v_lshlrev_b32_e32 v8, 16, v1
	v_mov_b32_e32 v9, 0
	global_store_dwordx2 v[6:7], v[8:9], off
.LBB417_1745:
	s_mov_b64 s[0:1], 0
.LBB417_1746:
	s_andn2_b64 vcc, exec, s[0:1]
	s_cbranch_vccnz .LBB417_1748
; %bb.1747:
	v_lshlrev_b32_e32 v5, 16, v1
	v_cvt_f16_f32_e32 v5, v5
	global_store_dword v[6:7], v5, off
.LBB417_1748:
	s_mov_b64 s[0:1], 0
.LBB417_1749:
	s_andn2_b64 vcc, exec, s[0:1]
	s_cbranch_vccnz .LBB417_1758
; %bb.1750:
	s_cmp_lt_i32 s6, 6
	s_mov_b64 s[0:1], -1
	s_cbranch_scc1 .LBB417_1756
; %bb.1751:
	s_cmp_gt_i32 s6, 6
	s_cbranch_scc0 .LBB417_1753
; %bb.1752:
	v_lshlrev_b32_e32 v5, 16, v1
	v_cvt_f64_f32_e32 v[8:9], v5
	global_store_dwordx2 v[6:7], v[8:9], off
	s_mov_b64 s[0:1], 0
.LBB417_1753:
	s_andn2_b64 vcc, exec, s[0:1]
	s_cbranch_vccnz .LBB417_1755
; %bb.1754:
	v_lshlrev_b32_e32 v5, 16, v1
	global_store_dword v[6:7], v5, off
.LBB417_1755:
	s_mov_b64 s[0:1], 0
.LBB417_1756:
	s_andn2_b64 vcc, exec, s[0:1]
	s_cbranch_vccnz .LBB417_1758
; %bb.1757:
	v_lshlrev_b32_e32 v5, 16, v1
	v_cvt_f16_f32_e32 v5, v5
	global_store_short v[6:7], v5, off
.LBB417_1758:
	s_mov_b64 s[0:1], 0
.LBB417_1759:
	s_andn2_b64 vcc, exec, s[0:1]
	s_cbranch_vccnz .LBB417_1775
; %bb.1760:
	s_cmp_lt_i32 s6, 2
	s_mov_b64 s[0:1], -1
	s_cbranch_scc1 .LBB417_1770
; %bb.1761:
	s_cmp_lt_i32 s6, 3
	s_cbranch_scc1 .LBB417_1767
; %bb.1762:
	s_cmp_gt_i32 s6, 3
	s_cbranch_scc0 .LBB417_1764
; %bb.1763:
	v_lshlrev_b32_e32 v5, 16, v1
	v_trunc_f32_e32 v5, v5
	s_mov_b32 s0, 0x2f800000
	v_mul_f32_e64 v8, |v5|, s0
	v_floor_f32_e32 v8, v8
	s_mov_b32 s0, 0xcf800000
	v_cvt_u32_f32_e32 v9, v8
	v_fma_f32 v8, v8, s0, |v5|
	v_cvt_u32_f32_e32 v8, v8
	v_ashrrev_i32_e32 v5, 31, v5
	v_xor_b32_e32 v9, v9, v5
	s_mov_b64 s[0:1], 0
	v_xor_b32_e32 v8, v8, v5
	v_sub_co_u32_e32 v8, vcc, v8, v5
	s_nop 1
	v_subb_co_u32_e32 v9, vcc, v9, v5, vcc
	global_store_dwordx2 v[6:7], v[8:9], off
.LBB417_1764:
	s_andn2_b64 vcc, exec, s[0:1]
	s_cbranch_vccnz .LBB417_1766
; %bb.1765:
	v_lshlrev_b32_e32 v5, 16, v1
	v_cvt_i32_f32_e32 v5, v5
	global_store_dword v[6:7], v5, off
.LBB417_1766:
	s_mov_b64 s[0:1], 0
.LBB417_1767:
	s_andn2_b64 vcc, exec, s[0:1]
	s_cbranch_vccnz .LBB417_1769
; %bb.1768:
	v_lshlrev_b32_e32 v5, 16, v1
	v_cvt_i32_f32_e32 v5, v5
	global_store_short v[6:7], v5, off
.LBB417_1769:
	s_mov_b64 s[0:1], 0
.LBB417_1770:
	s_andn2_b64 vcc, exec, s[0:1]
	s_cbranch_vccnz .LBB417_1775
; %bb.1771:
	s_mov_b64 s[0:1], -1
	s_cmp_gt_i32 s6, 0
	v_lshlrev_b32_e32 v1, 16, v1
	s_cbranch_scc0 .LBB417_1773
; %bb.1772:
	v_cvt_i32_f32_e32 v5, v1
	s_mov_b64 s[0:1], 0
	global_store_byte v[6:7], v5, off
.LBB417_1773:
	s_andn2_b64 vcc, exec, s[0:1]
	s_cbranch_vccnz .LBB417_1775
; %bb.1774:
	v_trunc_f32_e32 v1, v1
	s_mov_b32 s0, 0x2f800000
	v_mul_f32_e64 v5, |v1|, s0
	v_floor_f32_e32 v5, v5
	s_mov_b32 s0, 0xcf800000
	v_fma_f32 v5, v5, s0, |v1|
	v_cvt_u32_f32_e32 v5, v5
	v_ashrrev_i32_e32 v1, 31, v1
	v_xor_b32_e32 v5, v5, v1
	v_sub_u32_e32 v1, v5, v1
	global_store_byte v[6:7], v1, off
.LBB417_1775:
	s_mov_b64 s[8:9], -1
.LBB417_1776:
	s_andn2_b64 vcc, exec, s[8:9]
	s_cbranch_vccnz .LBB417_2091
; %bb.1777:
	s_lshr_b32 s0, s16, 16
	v_lshlrev_b32_e32 v1, 16, v3
	s_and_b32 s17, 0xffff, s14
	s_and_b32 s14, s0, 0xff
	v_cmp_u_f32_e32 vcc, v1, v1
	v_cmp_lt_f32_e64 s[0:1], s15, v1
	v_mov_b32_e32 v1, s17
	s_or_b64 vcc, vcc, s[0:1]
	v_mov_b32_e32 v5, 0
	v_cndmask_b32_e32 v1, v1, v3, vcc
	s_cmp_lt_i32 s14, 11
	v_lshl_add_u64 v[4:5], s[4:5], 0, v[4:5]
	s_cbranch_scc1 .LBB417_1855
; %bb.1778:
	s_and_b32 s16, 0xffff, s14
	s_mov_b64 s[10:11], -1
	s_mov_b64 s[6:7], 0
	s_cmp_gt_i32 s16, 25
	s_mov_b64 s[8:9], 0
	s_mov_b64 s[0:1], 0
	s_cbranch_scc0 .LBB417_1811
; %bb.1779:
	s_cmp_gt_i32 s16, 28
	s_cbranch_scc0 .LBB417_1794
; %bb.1780:
	s_cmp_gt_i32 s16, 43
	;; [unrolled: 3-line block ×3, first 2 shown]
	s_cbranch_scc0 .LBB417_1784
; %bb.1782:
	s_mov_b64 s[0:1], -1
	s_mov_b64 s[10:11], 0
	s_cmp_eq_u32 s16, 46
	s_cbranch_scc0 .LBB417_1784
; %bb.1783:
	v_and_b32_e32 v3, 0xffff, v1
	global_store_dword v[4:5], v3, off
	s_mov_b64 s[0:1], 0
	s_mov_b64 s[8:9], -1
.LBB417_1784:
	s_and_b64 vcc, exec, s[10:11]
	s_cbranch_vccz .LBB417_1789
; %bb.1785:
	s_cmp_eq_u32 s16, 44
	s_mov_b64 s[0:1], -1
	s_cbranch_scc0 .LBB417_1789
; %bb.1786:
	v_and_b32_e32 v6, 0xffff, v1
	v_bfe_u32 v3, v6, 7, 8
	s_movk_i32 s0, 0xff
	v_cmp_ne_u32_e32 vcc, s0, v3
	v_mov_b32_e32 v7, 0xff
	s_and_saveexec_b64 s[8:9], vcc
	s_cbranch_execz .LBB417_1788
; %bb.1787:
	v_lshlrev_b32_e32 v8, 16, v6
	s_mov_b32 s0, 0x3f0000
	v_lshrrev_b32_e32 v7, 7, v6
	v_and_b32_e32 v6, 64, v6
	v_and_or_b32 v3, v8, s0, v3
	v_cmp_ne_u32_e32 vcc, 0, v6
	v_cmp_ne_u32_e64 s[0:1], 0, v3
	s_and_b64 s[0:1], vcc, s[0:1]
	s_nop 0
	v_cndmask_b32_e64 v3, 0, 1, s[0:1]
	v_add_u32_e32 v7, v7, v3
.LBB417_1788:
	s_or_b64 exec, exec, s[8:9]
	s_mov_b64 s[0:1], 0
	s_mov_b64 s[8:9], -1
	global_store_byte v[4:5], v7, off
.LBB417_1789:
	s_mov_b64 s[10:11], 0
.LBB417_1790:
	s_and_b64 vcc, exec, s[10:11]
	s_cbranch_vccz .LBB417_1793
; %bb.1791:
	s_cmp_eq_u32 s16, 29
	s_mov_b64 s[0:1], -1
	s_cbranch_scc0 .LBB417_1793
; %bb.1792:
	v_lshlrev_b32_e32 v3, 16, v1
	v_trunc_f32_e32 v3, v3
	v_mul_f32_e32 v6, 0x2f800000, v3
	v_floor_f32_e32 v6, v6
	v_fmamk_f32 v3, v6, 0xcf800000, v3
	v_cvt_u32_f32_e32 v7, v6
	v_cvt_u32_f32_e32 v6, v3
	s_mov_b64 s[0:1], 0
	s_mov_b64 s[8:9], -1
	global_store_dwordx2 v[4:5], v[6:7], off
.LBB417_1793:
	s_mov_b64 s[10:11], 0
.LBB417_1794:
	s_and_b64 vcc, exec, s[10:11]
	s_cbranch_vccz .LBB417_1810
; %bb.1795:
	s_cmp_lt_i32 s16, 27
	s_mov_b64 s[8:9], -1
	s_cbranch_scc1 .LBB417_1801
; %bb.1796:
	s_cmp_gt_i32 s16, 27
	s_cbranch_scc0 .LBB417_1798
; %bb.1797:
	v_lshlrev_b32_e32 v3, 16, v1
	v_cvt_u32_f32_e32 v3, v3
	s_mov_b64 s[8:9], 0
	global_store_dword v[4:5], v3, off
.LBB417_1798:
	s_andn2_b64 vcc, exec, s[8:9]
	s_cbranch_vccnz .LBB417_1800
; %bb.1799:
	v_lshlrev_b32_e32 v3, 16, v1
	v_cvt_u32_f32_e32 v3, v3
	global_store_short v[4:5], v3, off
.LBB417_1800:
	s_mov_b64 s[8:9], 0
.LBB417_1801:
	s_andn2_b64 vcc, exec, s[8:9]
	s_cbranch_vccnz .LBB417_1809
; %bb.1802:
	v_lshlrev_b32_e32 v7, 16, v1
	v_and_b32_e32 v6, 0x7fffffff, v7
	s_mov_b32 s8, 0x43800000
	v_cmp_gt_u32_e32 vcc, s8, v6
	v_mov_b32_e32 v8, 0x80
	s_and_saveexec_b64 s[8:9], vcc
	s_cbranch_execz .LBB417_1808
; %bb.1803:
	s_mov_b32 s10, 0x3bffffff
	v_and_b32_e32 v3, 0xffff, v1
	v_cmp_lt_u32_e32 vcc, s10, v6
	s_mov_b64 s[10:11], 0
                                        ; implicit-def: $vgpr6
	s_and_saveexec_b64 s[12:13], vcc
	s_xor_b64 s[12:13], exec, s[12:13]
	s_cbranch_execz .LBB417_2143
; %bb.1804:
	v_bfe_u32 v6, v3, 4, 1
	s_mov_b32 s18, 0x487ffff
	v_add3_u32 v6, v7, v6, s18
	s_mov_b64 s[10:11], exec
	v_lshrrev_b32_e32 v6, 20, v6
                                        ; implicit-def: $vgpr7
	s_andn2_saveexec_b64 s[12:13], s[12:13]
	s_cbranch_execnz .LBB417_2144
.LBB417_1805:
	s_or_b64 exec, exec, s[12:13]
	v_mov_b32_e32 v8, 0
	s_and_saveexec_b64 s[12:13], s[10:11]
.LBB417_1806:
	v_lshrrev_b32_e32 v3, 8, v3
	s_movk_i32 s10, 0x80
	v_and_or_b32 v8, v3, s10, v6
.LBB417_1807:
	s_or_b64 exec, exec, s[12:13]
.LBB417_1808:
	s_or_b64 exec, exec, s[8:9]
	global_store_byte v[4:5], v8, off
.LBB417_1809:
	s_mov_b64 s[8:9], -1
.LBB417_1810:
	s_mov_b64 s[10:11], 0
.LBB417_1811:
	s_and_b64 vcc, exec, s[10:11]
	s_cbranch_vccz .LBB417_1851
; %bb.1812:
	s_cmp_gt_i32 s16, 22
	s_mov_b64 s[6:7], -1
	s_cbranch_scc0 .LBB417_1844
; %bb.1813:
	s_cmp_lt_i32 s16, 24
	s_cbranch_scc1 .LBB417_1833
; %bb.1814:
	s_cmp_gt_i32 s16, 24
	s_cbranch_scc0 .LBB417_1822
; %bb.1815:
	v_lshlrev_b32_e32 v7, 16, v1
	v_and_b32_e32 v6, 0x7fffffff, v7
	s_mov_b32 s6, 0x47800000
	v_cmp_gt_u32_e32 vcc, s6, v6
	v_mov_b32_e32 v8, 0x80
	s_and_saveexec_b64 s[6:7], vcc
	s_cbranch_execz .LBB417_1821
; %bb.1816:
	s_mov_b32 s8, 0x37ffffff
	v_and_b32_e32 v3, 0xffff, v1
	v_cmp_lt_u32_e32 vcc, s8, v6
	s_mov_b64 s[8:9], 0
                                        ; implicit-def: $vgpr6
	s_and_saveexec_b64 s[10:11], vcc
	s_xor_b64 s[10:11], exec, s[10:11]
	s_cbranch_execz .LBB417_2146
; %bb.1817:
	v_bfe_u32 v6, v3, 5, 1
	s_mov_b32 s12, 0x88fffff
	v_add3_u32 v6, v7, v6, s12
	s_mov_b64 s[8:9], exec
	v_lshrrev_b32_e32 v6, 21, v6
                                        ; implicit-def: $vgpr7
	s_andn2_saveexec_b64 s[10:11], s[10:11]
	s_cbranch_execnz .LBB417_2147
.LBB417_1818:
	s_or_b64 exec, exec, s[10:11]
	v_mov_b32_e32 v8, 0
	s_and_saveexec_b64 s[10:11], s[8:9]
.LBB417_1819:
	v_lshrrev_b32_e32 v3, 8, v3
	s_movk_i32 s8, 0x80
	v_and_or_b32 v8, v3, s8, v6
.LBB417_1820:
	s_or_b64 exec, exec, s[10:11]
.LBB417_1821:
	s_or_b64 exec, exec, s[6:7]
	s_mov_b64 s[6:7], 0
	global_store_byte v[4:5], v8, off
.LBB417_1822:
	s_and_b64 vcc, exec, s[6:7]
	s_cbranch_vccz .LBB417_1832
; %bb.1823:
	v_lshlrev_b32_e32 v7, 16, v1
	v_and_b32_e32 v8, 0x7fffffff, v7
	s_mov_b32 s6, 0x43f00000
	v_and_b32_e32 v3, 0xffff, v1
	v_cmp_gt_u32_e32 vcc, s6, v8
                                        ; implicit-def: $vgpr6
	s_and_saveexec_b64 s[6:7], vcc
	s_xor_b64 s[6:7], exec, s[6:7]
	s_cbranch_execz .LBB417_1829
; %bb.1824:
	s_mov_b32 s8, 0x3c7fffff
	v_cmp_lt_u32_e32 vcc, s8, v8
                                        ; implicit-def: $vgpr6
	s_and_saveexec_b64 s[8:9], vcc
	s_xor_b64 s[8:9], exec, s[8:9]
; %bb.1825:
	v_bfe_u32 v6, v3, 4, 1
	s_mov_b32 s10, 0x407ffff
	v_add3_u32 v6, v7, v6, s10
	v_lshrrev_b32_e32 v7, 20, v6
	v_and_b32_e32 v6, 0xff00000, v6
	s_mov_b32 s10, 0x7f00000
	v_mov_b32_e32 v8, 0x7e
	v_cmp_ne_u32_e32 vcc, s10, v6
	s_nop 1
	v_cndmask_b32_e32 v6, v8, v7, vcc
                                        ; implicit-def: $vgpr7
; %bb.1826:
	s_andn2_saveexec_b64 s[8:9], s[8:9]
; %bb.1827:
	s_mov_b32 s10, 0x46800000
	v_add_f32_e64 v6, |v7|, s10
; %bb.1828:
	s_or_b64 exec, exec, s[8:9]
                                        ; implicit-def: $vgpr8
.LBB417_1829:
	s_andn2_saveexec_b64 s[6:7], s[6:7]
; %bb.1830:
	s_mov_b32 s8, 0x7f800000
	v_mov_b32_e32 v6, 0x7e
	v_mov_b32_e32 v7, 0x7f
	v_cmp_lt_u32_e32 vcc, s8, v8
	s_nop 1
	v_cndmask_b32_e32 v6, v6, v7, vcc
; %bb.1831:
	s_or_b64 exec, exec, s[6:7]
	v_lshrrev_b32_e32 v3, 8, v3
	s_movk_i32 s6, 0x80
	v_and_or_b32 v3, v3, s6, v6
	global_store_byte v[4:5], v3, off
.LBB417_1832:
	s_mov_b64 s[6:7], 0
.LBB417_1833:
	s_andn2_b64 vcc, exec, s[6:7]
	s_cbranch_vccnz .LBB417_1843
; %bb.1834:
	v_lshlrev_b32_e32 v7, 16, v1
	v_and_b32_e32 v8, 0x7fffffff, v7
	s_mov_b32 s6, 0x47800000
	v_and_b32_e32 v3, 0xffff, v1
	v_cmp_gt_u32_e32 vcc, s6, v8
                                        ; implicit-def: $vgpr6
	s_and_saveexec_b64 s[6:7], vcc
	s_xor_b64 s[6:7], exec, s[6:7]
	s_cbranch_execz .LBB417_1840
; %bb.1835:
	s_mov_b32 s8, 0x387fffff
	v_cmp_lt_u32_e32 vcc, s8, v8
                                        ; implicit-def: $vgpr6
	s_and_saveexec_b64 s[8:9], vcc
	s_xor_b64 s[8:9], exec, s[8:9]
; %bb.1836:
	v_bfe_u32 v6, v3, 5, 1
	s_mov_b32 s10, 0x80fffff
	v_add3_u32 v6, v7, v6, s10
	v_lshrrev_b32_e32 v6, 21, v6
                                        ; implicit-def: $vgpr7
; %bb.1837:
	s_andn2_saveexec_b64 s[8:9], s[8:9]
; %bb.1838:
	s_mov_b32 s10, 0x43000000
	v_add_f32_e64 v6, |v7|, s10
; %bb.1839:
	s_or_b64 exec, exec, s[8:9]
                                        ; implicit-def: $vgpr8
.LBB417_1840:
	s_andn2_saveexec_b64 s[6:7], s[6:7]
; %bb.1841:
	s_mov_b32 s8, 0x7f800000
	v_mov_b32_e32 v6, 0x7c
	v_mov_b32_e32 v7, 0x7f
	v_cmp_lt_u32_e32 vcc, s8, v8
	s_nop 1
	v_cndmask_b32_e32 v6, v6, v7, vcc
; %bb.1842:
	s_or_b64 exec, exec, s[6:7]
	v_lshrrev_b32_e32 v3, 8, v3
	s_movk_i32 s6, 0x80
	v_and_or_b32 v3, v3, s6, v6
	global_store_byte v[4:5], v3, off
.LBB417_1843:
	s_mov_b64 s[6:7], 0
	s_mov_b64 s[8:9], -1
.LBB417_1844:
	s_andn2_b64 vcc, exec, s[6:7]
	s_mov_b64 s[6:7], 0
	s_cbranch_vccnz .LBB417_1851
; %bb.1845:
	s_cmp_gt_i32 s16, 14
	s_mov_b64 s[10:11], -1
	s_cbranch_scc0 .LBB417_1849
; %bb.1846:
	s_cmp_eq_u32 s16, 15
	s_mov_b64 s[0:1], -1
	s_cbranch_scc0 .LBB417_1848
; %bb.1847:
	global_store_short v[4:5], v1, off
	s_mov_b64 s[0:1], 0
	s_mov_b64 s[8:9], -1
.LBB417_1848:
	s_mov_b64 s[10:11], 0
.LBB417_1849:
	s_and_b64 vcc, exec, s[10:11]
	s_cbranch_vccz .LBB417_1851
; %bb.1850:
	s_cmp_lg_u32 s16, 11
	s_mov_b64 s[6:7], -1
	s_cselect_b64 s[0:1], -1, 0
.LBB417_1851:
	s_and_b64 vcc, exec, s[0:1]
	s_cbranch_vccnz .LBB417_2145
; %bb.1852:
	s_andn2_b64 vcc, exec, s[6:7]
	s_cbranch_vccnz .LBB417_1854
.LBB417_1853:
	v_and_b32_e32 v3, 0x7fff, v1
	v_cmp_ne_u16_e32 vcc, 0, v3
	s_mov_b64 s[8:9], -1
	s_nop 0
	v_cndmask_b32_e64 v3, 0, 1, vcc
	global_store_byte v[4:5], v3, off
.LBB417_1854:
	s_mov_b64 s[0:1], 0
	s_branch .LBB417_1856
.LBB417_1855:
	s_mov_b64 s[0:1], -1
	s_mov_b64 s[8:9], 0
.LBB417_1856:
	s_and_b64 vcc, exec, s[0:1]
	s_cbranch_vccz .LBB417_1895
; %bb.1857:
	s_and_b32 s6, 0xffff, s14
	s_cmp_lt_i32 s6, 5
	s_mov_b64 s[0:1], -1
	s_cbranch_scc1 .LBB417_1878
; %bb.1858:
	s_cmp_lt_i32 s6, 8
	s_cbranch_scc1 .LBB417_1868
; %bb.1859:
	s_cmp_lt_i32 s6, 9
	s_cbranch_scc1 .LBB417_1865
; %bb.1860:
	s_cmp_gt_i32 s6, 9
	s_cbranch_scc0 .LBB417_1862
; %bb.1861:
	v_lshlrev_b32_e32 v3, 16, v1
	v_mov_b32_e32 v8, 0
	v_cvt_f64_f32_e32 v[6:7], v3
	v_mov_b32_e32 v9, v8
	global_store_dwordx4 v[4:5], v[6:9], off
	s_mov_b64 s[0:1], 0
.LBB417_1862:
	s_andn2_b64 vcc, exec, s[0:1]
	s_cbranch_vccnz .LBB417_1864
; %bb.1863:
	v_lshlrev_b32_e32 v6, 16, v1
	v_mov_b32_e32 v7, 0
	global_store_dwordx2 v[4:5], v[6:7], off
.LBB417_1864:
	s_mov_b64 s[0:1], 0
.LBB417_1865:
	s_andn2_b64 vcc, exec, s[0:1]
	s_cbranch_vccnz .LBB417_1867
; %bb.1866:
	v_lshlrev_b32_e32 v3, 16, v1
	v_cvt_f16_f32_e32 v3, v3
	global_store_dword v[4:5], v3, off
.LBB417_1867:
	s_mov_b64 s[0:1], 0
.LBB417_1868:
	s_andn2_b64 vcc, exec, s[0:1]
	s_cbranch_vccnz .LBB417_1877
; %bb.1869:
	s_cmp_lt_i32 s6, 6
	s_mov_b64 s[0:1], -1
	s_cbranch_scc1 .LBB417_1875
; %bb.1870:
	s_cmp_gt_i32 s6, 6
	s_cbranch_scc0 .LBB417_1872
; %bb.1871:
	v_lshlrev_b32_e32 v3, 16, v1
	v_cvt_f64_f32_e32 v[6:7], v3
	global_store_dwordx2 v[4:5], v[6:7], off
	s_mov_b64 s[0:1], 0
.LBB417_1872:
	s_andn2_b64 vcc, exec, s[0:1]
	s_cbranch_vccnz .LBB417_1874
; %bb.1873:
	v_lshlrev_b32_e32 v3, 16, v1
	global_store_dword v[4:5], v3, off
.LBB417_1874:
	s_mov_b64 s[0:1], 0
.LBB417_1875:
	s_andn2_b64 vcc, exec, s[0:1]
	s_cbranch_vccnz .LBB417_1877
; %bb.1876:
	v_lshlrev_b32_e32 v3, 16, v1
	v_cvt_f16_f32_e32 v3, v3
	global_store_short v[4:5], v3, off
.LBB417_1877:
	s_mov_b64 s[0:1], 0
.LBB417_1878:
	s_andn2_b64 vcc, exec, s[0:1]
	s_cbranch_vccnz .LBB417_1894
; %bb.1879:
	s_cmp_lt_i32 s6, 2
	s_mov_b64 s[0:1], -1
	s_cbranch_scc1 .LBB417_1889
; %bb.1880:
	s_cmp_lt_i32 s6, 3
	s_cbranch_scc1 .LBB417_1886
; %bb.1881:
	s_cmp_gt_i32 s6, 3
	s_cbranch_scc0 .LBB417_1883
; %bb.1882:
	v_lshlrev_b32_e32 v3, 16, v1
	v_trunc_f32_e32 v3, v3
	s_mov_b32 s0, 0x2f800000
	v_mul_f32_e64 v6, |v3|, s0
	v_floor_f32_e32 v6, v6
	s_mov_b32 s0, 0xcf800000
	v_cvt_u32_f32_e32 v7, v6
	v_fma_f32 v6, v6, s0, |v3|
	v_cvt_u32_f32_e32 v6, v6
	v_ashrrev_i32_e32 v3, 31, v3
	v_xor_b32_e32 v7, v7, v3
	s_mov_b64 s[0:1], 0
	v_xor_b32_e32 v6, v6, v3
	v_sub_co_u32_e32 v6, vcc, v6, v3
	s_nop 1
	v_subb_co_u32_e32 v7, vcc, v7, v3, vcc
	global_store_dwordx2 v[4:5], v[6:7], off
.LBB417_1883:
	s_andn2_b64 vcc, exec, s[0:1]
	s_cbranch_vccnz .LBB417_1885
; %bb.1884:
	v_lshlrev_b32_e32 v3, 16, v1
	v_cvt_i32_f32_e32 v3, v3
	global_store_dword v[4:5], v3, off
.LBB417_1885:
	s_mov_b64 s[0:1], 0
.LBB417_1886:
	s_andn2_b64 vcc, exec, s[0:1]
	s_cbranch_vccnz .LBB417_1888
; %bb.1887:
	v_lshlrev_b32_e32 v3, 16, v1
	v_cvt_i32_f32_e32 v3, v3
	global_store_short v[4:5], v3, off
.LBB417_1888:
	s_mov_b64 s[0:1], 0
.LBB417_1889:
	s_andn2_b64 vcc, exec, s[0:1]
	s_cbranch_vccnz .LBB417_1894
; %bb.1890:
	s_mov_b64 s[0:1], -1
	s_cmp_gt_i32 s6, 0
	v_lshlrev_b32_e32 v1, 16, v1
	s_cbranch_scc0 .LBB417_1892
; %bb.1891:
	v_cvt_i32_f32_e32 v3, v1
	s_mov_b64 s[0:1], 0
	global_store_byte v[4:5], v3, off
.LBB417_1892:
	s_andn2_b64 vcc, exec, s[0:1]
	s_cbranch_vccnz .LBB417_1894
; %bb.1893:
	v_trunc_f32_e32 v1, v1
	s_mov_b32 s0, 0x2f800000
	v_mul_f32_e64 v3, |v1|, s0
	v_floor_f32_e32 v3, v3
	s_mov_b32 s0, 0xcf800000
	v_fma_f32 v3, v3, s0, |v1|
	v_cvt_u32_f32_e32 v3, v3
	v_ashrrev_i32_e32 v1, 31, v1
	v_xor_b32_e32 v3, v3, v1
	v_sub_u32_e32 v1, v3, v1
	global_store_byte v[4:5], v1, off
.LBB417_1894:
	s_mov_b64 s[8:9], -1
.LBB417_1895:
	s_andn2_b64 vcc, exec, s[8:9]
	s_cbranch_vccnz .LBB417_2091
; %bb.1896:
	v_lshlrev_b32_e32 v1, 16, v12
	v_cmp_u_f32_e32 vcc, v1, v1
	v_cmp_lt_f32_e64 s[0:1], s15, v1
	v_mov_b32_e32 v1, s17
	s_or_b64 vcc, vcc, s[0:1]
	v_mov_b32_e32 v3, 0
	v_cndmask_b32_e32 v1, v1, v12, vcc
	s_cmp_lt_i32 s14, 11
	v_lshl_add_u64 v[2:3], s[4:5], 0, v[2:3]
	s_cbranch_scc1 .LBB417_1974
; %bb.1897:
	s_and_b32 s16, 0xffff, s14
	s_mov_b64 s[10:11], -1
	s_mov_b64 s[6:7], 0
	s_cmp_gt_i32 s16, 25
	s_mov_b64 s[8:9], 0
	s_mov_b64 s[0:1], 0
	s_cbranch_scc0 .LBB417_1930
; %bb.1898:
	s_cmp_gt_i32 s16, 28
	s_cbranch_scc0 .LBB417_1913
; %bb.1899:
	s_cmp_gt_i32 s16, 43
	;; [unrolled: 3-line block ×3, first 2 shown]
	s_cbranch_scc0 .LBB417_1903
; %bb.1901:
	s_mov_b64 s[0:1], -1
	s_mov_b64 s[10:11], 0
	s_cmp_eq_u32 s16, 46
	s_cbranch_scc0 .LBB417_1903
; %bb.1902:
	v_and_b32_e32 v4, 0xffff, v1
	global_store_dword v[2:3], v4, off
	s_mov_b64 s[0:1], 0
	s_mov_b64 s[8:9], -1
.LBB417_1903:
	s_and_b64 vcc, exec, s[10:11]
	s_cbranch_vccz .LBB417_1908
; %bb.1904:
	s_cmp_eq_u32 s16, 44
	s_mov_b64 s[0:1], -1
	s_cbranch_scc0 .LBB417_1908
; %bb.1905:
	v_and_b32_e32 v5, 0xffff, v1
	v_bfe_u32 v4, v5, 7, 8
	s_movk_i32 s0, 0xff
	v_cmp_ne_u32_e32 vcc, s0, v4
	v_mov_b32_e32 v6, 0xff
	s_and_saveexec_b64 s[8:9], vcc
	s_cbranch_execz .LBB417_1907
; %bb.1906:
	v_lshlrev_b32_e32 v7, 16, v5
	s_mov_b32 s0, 0x3f0000
	v_lshrrev_b32_e32 v6, 7, v5
	v_and_b32_e32 v5, 64, v5
	v_and_or_b32 v4, v7, s0, v4
	v_cmp_ne_u32_e32 vcc, 0, v5
	v_cmp_ne_u32_e64 s[0:1], 0, v4
	s_and_b64 s[0:1], vcc, s[0:1]
	s_nop 0
	v_cndmask_b32_e64 v4, 0, 1, s[0:1]
	v_add_u32_e32 v6, v6, v4
.LBB417_1907:
	s_or_b64 exec, exec, s[8:9]
	s_mov_b64 s[0:1], 0
	s_mov_b64 s[8:9], -1
	global_store_byte v[2:3], v6, off
.LBB417_1908:
	s_mov_b64 s[10:11], 0
.LBB417_1909:
	s_and_b64 vcc, exec, s[10:11]
	s_cbranch_vccz .LBB417_1912
; %bb.1910:
	s_cmp_eq_u32 s16, 29
	s_mov_b64 s[0:1], -1
	s_cbranch_scc0 .LBB417_1912
; %bb.1911:
	v_lshlrev_b32_e32 v4, 16, v1
	v_trunc_f32_e32 v4, v4
	v_mul_f32_e32 v5, 0x2f800000, v4
	v_floor_f32_e32 v6, v5
	v_fmamk_f32 v4, v6, 0xcf800000, v4
	v_cvt_u32_f32_e32 v5, v6
	v_cvt_u32_f32_e32 v4, v4
	s_mov_b64 s[0:1], 0
	s_mov_b64 s[8:9], -1
	global_store_dwordx2 v[2:3], v[4:5], off
.LBB417_1912:
	s_mov_b64 s[10:11], 0
.LBB417_1913:
	s_and_b64 vcc, exec, s[10:11]
	s_cbranch_vccz .LBB417_1929
; %bb.1914:
	s_cmp_lt_i32 s16, 27
	s_mov_b64 s[8:9], -1
	s_cbranch_scc1 .LBB417_1920
; %bb.1915:
	s_cmp_gt_i32 s16, 27
	s_cbranch_scc0 .LBB417_1917
; %bb.1916:
	v_lshlrev_b32_e32 v4, 16, v1
	v_cvt_u32_f32_e32 v4, v4
	s_mov_b64 s[8:9], 0
	global_store_dword v[2:3], v4, off
.LBB417_1917:
	s_andn2_b64 vcc, exec, s[8:9]
	s_cbranch_vccnz .LBB417_1919
; %bb.1918:
	v_lshlrev_b32_e32 v4, 16, v1
	v_cvt_u32_f32_e32 v4, v4
	global_store_short v[2:3], v4, off
.LBB417_1919:
	s_mov_b64 s[8:9], 0
.LBB417_1920:
	s_andn2_b64 vcc, exec, s[8:9]
	s_cbranch_vccnz .LBB417_1928
; %bb.1921:
	v_lshlrev_b32_e32 v6, 16, v1
	v_and_b32_e32 v5, 0x7fffffff, v6
	s_mov_b32 s8, 0x43800000
	v_cmp_gt_u32_e32 vcc, s8, v5
	v_mov_b32_e32 v7, 0x80
	s_and_saveexec_b64 s[8:9], vcc
	s_cbranch_execz .LBB417_1927
; %bb.1922:
	s_mov_b32 s10, 0x3bffffff
	v_and_b32_e32 v4, 0xffff, v1
	v_cmp_lt_u32_e32 vcc, s10, v5
	s_mov_b64 s[10:11], 0
                                        ; implicit-def: $vgpr5
	s_and_saveexec_b64 s[12:13], vcc
	s_xor_b64 s[12:13], exec, s[12:13]
	s_cbranch_execz .LBB417_2148
; %bb.1923:
	v_bfe_u32 v5, v4, 4, 1
	s_mov_b32 s18, 0x487ffff
	v_add3_u32 v5, v6, v5, s18
	s_mov_b64 s[10:11], exec
	v_lshrrev_b32_e32 v5, 20, v5
                                        ; implicit-def: $vgpr6
	s_andn2_saveexec_b64 s[12:13], s[12:13]
	s_cbranch_execnz .LBB417_2149
.LBB417_1924:
	s_or_b64 exec, exec, s[12:13]
	v_mov_b32_e32 v7, 0
	s_and_saveexec_b64 s[12:13], s[10:11]
.LBB417_1925:
	v_lshrrev_b32_e32 v4, 8, v4
	s_movk_i32 s10, 0x80
	v_and_or_b32 v7, v4, s10, v5
.LBB417_1926:
	s_or_b64 exec, exec, s[12:13]
.LBB417_1927:
	s_or_b64 exec, exec, s[8:9]
	global_store_byte v[2:3], v7, off
.LBB417_1928:
	s_mov_b64 s[8:9], -1
.LBB417_1929:
	s_mov_b64 s[10:11], 0
.LBB417_1930:
	s_and_b64 vcc, exec, s[10:11]
	s_cbranch_vccz .LBB417_1970
; %bb.1931:
	s_cmp_gt_i32 s16, 22
	s_mov_b64 s[6:7], -1
	s_cbranch_scc0 .LBB417_1963
; %bb.1932:
	s_cmp_lt_i32 s16, 24
	s_cbranch_scc1 .LBB417_1952
; %bb.1933:
	s_cmp_gt_i32 s16, 24
	s_cbranch_scc0 .LBB417_1941
; %bb.1934:
	v_lshlrev_b32_e32 v6, 16, v1
	v_and_b32_e32 v5, 0x7fffffff, v6
	s_mov_b32 s6, 0x47800000
	v_cmp_gt_u32_e32 vcc, s6, v5
	v_mov_b32_e32 v7, 0x80
	s_and_saveexec_b64 s[6:7], vcc
	s_cbranch_execz .LBB417_1940
; %bb.1935:
	s_mov_b32 s8, 0x37ffffff
	v_and_b32_e32 v4, 0xffff, v1
	v_cmp_lt_u32_e32 vcc, s8, v5
	s_mov_b64 s[8:9], 0
                                        ; implicit-def: $vgpr5
	s_and_saveexec_b64 s[10:11], vcc
	s_xor_b64 s[10:11], exec, s[10:11]
	s_cbranch_execz .LBB417_2151
; %bb.1936:
	v_bfe_u32 v5, v4, 5, 1
	s_mov_b32 s12, 0x88fffff
	v_add3_u32 v5, v6, v5, s12
	s_mov_b64 s[8:9], exec
	v_lshrrev_b32_e32 v5, 21, v5
                                        ; implicit-def: $vgpr6
	s_andn2_saveexec_b64 s[10:11], s[10:11]
	s_cbranch_execnz .LBB417_2152
.LBB417_1937:
	s_or_b64 exec, exec, s[10:11]
	v_mov_b32_e32 v7, 0
	s_and_saveexec_b64 s[10:11], s[8:9]
.LBB417_1938:
	v_lshrrev_b32_e32 v4, 8, v4
	s_movk_i32 s8, 0x80
	v_and_or_b32 v7, v4, s8, v5
.LBB417_1939:
	s_or_b64 exec, exec, s[10:11]
.LBB417_1940:
	s_or_b64 exec, exec, s[6:7]
	s_mov_b64 s[6:7], 0
	global_store_byte v[2:3], v7, off
.LBB417_1941:
	s_and_b64 vcc, exec, s[6:7]
	s_cbranch_vccz .LBB417_1951
; %bb.1942:
	v_lshlrev_b32_e32 v6, 16, v1
	v_and_b32_e32 v7, 0x7fffffff, v6
	s_mov_b32 s6, 0x43f00000
	v_and_b32_e32 v4, 0xffff, v1
	v_cmp_gt_u32_e32 vcc, s6, v7
                                        ; implicit-def: $vgpr5
	s_and_saveexec_b64 s[6:7], vcc
	s_xor_b64 s[6:7], exec, s[6:7]
	s_cbranch_execz .LBB417_1948
; %bb.1943:
	s_mov_b32 s8, 0x3c7fffff
	v_cmp_lt_u32_e32 vcc, s8, v7
                                        ; implicit-def: $vgpr5
	s_and_saveexec_b64 s[8:9], vcc
	s_xor_b64 s[8:9], exec, s[8:9]
; %bb.1944:
	v_bfe_u32 v5, v4, 4, 1
	s_mov_b32 s10, 0x407ffff
	v_add3_u32 v5, v6, v5, s10
	v_lshrrev_b32_e32 v6, 20, v5
	v_and_b32_e32 v5, 0xff00000, v5
	s_mov_b32 s10, 0x7f00000
	v_mov_b32_e32 v7, 0x7e
	v_cmp_ne_u32_e32 vcc, s10, v5
	s_nop 1
	v_cndmask_b32_e32 v5, v7, v6, vcc
                                        ; implicit-def: $vgpr6
; %bb.1945:
	s_andn2_saveexec_b64 s[8:9], s[8:9]
; %bb.1946:
	s_mov_b32 s10, 0x46800000
	v_add_f32_e64 v5, |v6|, s10
; %bb.1947:
	s_or_b64 exec, exec, s[8:9]
                                        ; implicit-def: $vgpr7
.LBB417_1948:
	s_andn2_saveexec_b64 s[6:7], s[6:7]
; %bb.1949:
	s_mov_b32 s8, 0x7f800000
	v_mov_b32_e32 v5, 0x7e
	v_mov_b32_e32 v6, 0x7f
	v_cmp_lt_u32_e32 vcc, s8, v7
	s_nop 1
	v_cndmask_b32_e32 v5, v5, v6, vcc
; %bb.1950:
	s_or_b64 exec, exec, s[6:7]
	v_lshrrev_b32_e32 v4, 8, v4
	s_movk_i32 s6, 0x80
	v_and_or_b32 v4, v4, s6, v5
	global_store_byte v[2:3], v4, off
.LBB417_1951:
	s_mov_b64 s[6:7], 0
.LBB417_1952:
	s_andn2_b64 vcc, exec, s[6:7]
	s_cbranch_vccnz .LBB417_1962
; %bb.1953:
	v_lshlrev_b32_e32 v6, 16, v1
	v_and_b32_e32 v7, 0x7fffffff, v6
	s_mov_b32 s6, 0x47800000
	v_and_b32_e32 v4, 0xffff, v1
	v_cmp_gt_u32_e32 vcc, s6, v7
                                        ; implicit-def: $vgpr5
	s_and_saveexec_b64 s[6:7], vcc
	s_xor_b64 s[6:7], exec, s[6:7]
	s_cbranch_execz .LBB417_1959
; %bb.1954:
	s_mov_b32 s8, 0x387fffff
	v_cmp_lt_u32_e32 vcc, s8, v7
                                        ; implicit-def: $vgpr5
	s_and_saveexec_b64 s[8:9], vcc
	s_xor_b64 s[8:9], exec, s[8:9]
; %bb.1955:
	v_bfe_u32 v5, v4, 5, 1
	s_mov_b32 s10, 0x80fffff
	v_add3_u32 v5, v6, v5, s10
	v_lshrrev_b32_e32 v5, 21, v5
                                        ; implicit-def: $vgpr6
; %bb.1956:
	s_andn2_saveexec_b64 s[8:9], s[8:9]
; %bb.1957:
	s_mov_b32 s10, 0x43000000
	v_add_f32_e64 v5, |v6|, s10
; %bb.1958:
	s_or_b64 exec, exec, s[8:9]
                                        ; implicit-def: $vgpr7
.LBB417_1959:
	s_andn2_saveexec_b64 s[6:7], s[6:7]
; %bb.1960:
	s_mov_b32 s8, 0x7f800000
	v_mov_b32_e32 v5, 0x7c
	v_mov_b32_e32 v6, 0x7f
	v_cmp_lt_u32_e32 vcc, s8, v7
	s_nop 1
	v_cndmask_b32_e32 v5, v5, v6, vcc
; %bb.1961:
	s_or_b64 exec, exec, s[6:7]
	v_lshrrev_b32_e32 v4, 8, v4
	s_movk_i32 s6, 0x80
	v_and_or_b32 v4, v4, s6, v5
	global_store_byte v[2:3], v4, off
.LBB417_1962:
	s_mov_b64 s[6:7], 0
	s_mov_b64 s[8:9], -1
.LBB417_1963:
	s_andn2_b64 vcc, exec, s[6:7]
	s_mov_b64 s[6:7], 0
	s_cbranch_vccnz .LBB417_1970
; %bb.1964:
	s_cmp_gt_i32 s16, 14
	s_mov_b64 s[10:11], -1
	s_cbranch_scc0 .LBB417_1968
; %bb.1965:
	s_cmp_eq_u32 s16, 15
	s_mov_b64 s[0:1], -1
	s_cbranch_scc0 .LBB417_1967
; %bb.1966:
	global_store_short v[2:3], v1, off
	s_mov_b64 s[0:1], 0
	s_mov_b64 s[8:9], -1
.LBB417_1967:
	s_mov_b64 s[10:11], 0
.LBB417_1968:
	s_and_b64 vcc, exec, s[10:11]
	s_cbranch_vccz .LBB417_1970
; %bb.1969:
	s_cmp_lg_u32 s16, 11
	s_mov_b64 s[6:7], -1
	s_cselect_b64 s[0:1], -1, 0
.LBB417_1970:
	s_and_b64 vcc, exec, s[0:1]
	s_cbranch_vccnz .LBB417_2150
; %bb.1971:
	s_andn2_b64 vcc, exec, s[6:7]
	s_cbranch_vccnz .LBB417_1973
.LBB417_1972:
	v_and_b32_e32 v4, 0x7fff, v1
	v_cmp_ne_u16_e32 vcc, 0, v4
	s_mov_b64 s[8:9], -1
	s_nop 0
	v_cndmask_b32_e64 v4, 0, 1, vcc
	global_store_byte v[2:3], v4, off
.LBB417_1973:
	s_mov_b64 s[0:1], 0
	s_branch .LBB417_1975
.LBB417_1974:
	s_mov_b64 s[0:1], -1
	s_mov_b64 s[8:9], 0
.LBB417_1975:
	s_and_b64 vcc, exec, s[0:1]
	s_cbranch_vccz .LBB417_2014
; %bb.1976:
	s_and_b32 s6, 0xffff, s14
	s_cmp_lt_i32 s6, 5
	s_mov_b64 s[0:1], -1
	s_cbranch_scc1 .LBB417_1997
; %bb.1977:
	s_cmp_lt_i32 s6, 8
	s_cbranch_scc1 .LBB417_1987
; %bb.1978:
	s_cmp_lt_i32 s6, 9
	s_cbranch_scc1 .LBB417_1984
; %bb.1979:
	s_cmp_gt_i32 s6, 9
	s_cbranch_scc0 .LBB417_1981
; %bb.1980:
	v_lshlrev_b32_e32 v4, 16, v1
	v_mov_b32_e32 v6, 0
	v_cvt_f64_f32_e32 v[4:5], v4
	v_mov_b32_e32 v7, v6
	global_store_dwordx4 v[2:3], v[4:7], off
	s_mov_b64 s[0:1], 0
.LBB417_1981:
	s_andn2_b64 vcc, exec, s[0:1]
	s_cbranch_vccnz .LBB417_1983
; %bb.1982:
	v_lshlrev_b32_e32 v4, 16, v1
	v_mov_b32_e32 v5, 0
	global_store_dwordx2 v[2:3], v[4:5], off
.LBB417_1983:
	s_mov_b64 s[0:1], 0
.LBB417_1984:
	s_andn2_b64 vcc, exec, s[0:1]
	s_cbranch_vccnz .LBB417_1986
; %bb.1985:
	v_lshlrev_b32_e32 v4, 16, v1
	v_cvt_f16_f32_e32 v4, v4
	global_store_dword v[2:3], v4, off
.LBB417_1986:
	s_mov_b64 s[0:1], 0
.LBB417_1987:
	s_andn2_b64 vcc, exec, s[0:1]
	s_cbranch_vccnz .LBB417_1996
; %bb.1988:
	s_cmp_lt_i32 s6, 6
	s_mov_b64 s[0:1], -1
	s_cbranch_scc1 .LBB417_1994
; %bb.1989:
	s_cmp_gt_i32 s6, 6
	s_cbranch_scc0 .LBB417_1991
; %bb.1990:
	v_lshlrev_b32_e32 v4, 16, v1
	v_cvt_f64_f32_e32 v[4:5], v4
	global_store_dwordx2 v[2:3], v[4:5], off
	s_mov_b64 s[0:1], 0
.LBB417_1991:
	s_andn2_b64 vcc, exec, s[0:1]
	s_cbranch_vccnz .LBB417_1993
; %bb.1992:
	v_lshlrev_b32_e32 v4, 16, v1
	global_store_dword v[2:3], v4, off
.LBB417_1993:
	s_mov_b64 s[0:1], 0
.LBB417_1994:
	s_andn2_b64 vcc, exec, s[0:1]
	s_cbranch_vccnz .LBB417_1996
; %bb.1995:
	v_lshlrev_b32_e32 v4, 16, v1
	v_cvt_f16_f32_e32 v4, v4
	global_store_short v[2:3], v4, off
.LBB417_1996:
	s_mov_b64 s[0:1], 0
.LBB417_1997:
	s_andn2_b64 vcc, exec, s[0:1]
	s_cbranch_vccnz .LBB417_2013
; %bb.1998:
	s_cmp_lt_i32 s6, 2
	s_mov_b64 s[0:1], -1
	s_cbranch_scc1 .LBB417_2008
; %bb.1999:
	s_cmp_lt_i32 s6, 3
	s_cbranch_scc1 .LBB417_2005
; %bb.2000:
	s_cmp_gt_i32 s6, 3
	s_cbranch_scc0 .LBB417_2002
; %bb.2001:
	v_lshlrev_b32_e32 v4, 16, v1
	v_trunc_f32_e32 v4, v4
	s_mov_b32 s0, 0x2f800000
	v_mul_f32_e64 v5, |v4|, s0
	v_floor_f32_e32 v5, v5
	s_mov_b32 s0, 0xcf800000
	v_cvt_u32_f32_e32 v6, v5
	v_fma_f32 v5, v5, s0, |v4|
	v_cvt_u32_f32_e32 v5, v5
	v_ashrrev_i32_e32 v7, 31, v4
	v_xor_b32_e32 v6, v6, v7
	s_mov_b64 s[0:1], 0
	v_xor_b32_e32 v4, v5, v7
	v_sub_co_u32_e32 v4, vcc, v4, v7
	s_nop 1
	v_subb_co_u32_e32 v5, vcc, v6, v7, vcc
	global_store_dwordx2 v[2:3], v[4:5], off
.LBB417_2002:
	s_andn2_b64 vcc, exec, s[0:1]
	s_cbranch_vccnz .LBB417_2004
; %bb.2003:
	v_lshlrev_b32_e32 v4, 16, v1
	v_cvt_i32_f32_e32 v4, v4
	global_store_dword v[2:3], v4, off
.LBB417_2004:
	s_mov_b64 s[0:1], 0
.LBB417_2005:
	s_andn2_b64 vcc, exec, s[0:1]
	s_cbranch_vccnz .LBB417_2007
; %bb.2006:
	v_lshlrev_b32_e32 v4, 16, v1
	v_cvt_i32_f32_e32 v4, v4
	global_store_short v[2:3], v4, off
.LBB417_2007:
	s_mov_b64 s[0:1], 0
.LBB417_2008:
	s_andn2_b64 vcc, exec, s[0:1]
	s_cbranch_vccnz .LBB417_2013
; %bb.2009:
	s_cmp_gt_i32 s6, 0
	s_mov_b64 s[0:1], -1
	s_cbranch_scc0 .LBB417_2011
; %bb.2010:
	v_lshlrev_b32_e32 v4, 16, v1
	v_cvt_i32_f32_e32 v4, v4
	s_mov_b64 s[0:1], 0
	global_store_byte v[2:3], v4, off
.LBB417_2011:
	s_andn2_b64 vcc, exec, s[0:1]
	s_cbranch_vccnz .LBB417_2013
; %bb.2012:
	v_lshlrev_b32_e32 v1, 16, v1
	v_trunc_f32_e32 v1, v1
	s_mov_b32 s0, 0x2f800000
	v_mul_f32_e64 v4, |v1|, s0
	v_floor_f32_e32 v4, v4
	s_mov_b32 s0, 0xcf800000
	v_fma_f32 v4, v4, s0, |v1|
	v_cvt_u32_f32_e32 v4, v4
	v_ashrrev_i32_e32 v1, 31, v1
	v_xor_b32_e32 v4, v4, v1
	v_sub_u32_e32 v1, v4, v1
	global_store_byte v[2:3], v1, off
.LBB417_2013:
	s_mov_b64 s[8:9], -1
.LBB417_2014:
	s_andn2_b64 vcc, exec, s[8:9]
	s_cbranch_vccnz .LBB417_2091
; %bb.2015:
	v_lshlrev_b32_e32 v1, 16, v10
	v_cmp_u_f32_e32 vcc, v1, v1
	v_cmp_lt_f32_e64 s[0:1], s15, v1
	v_mov_b32_e32 v1, s17
	s_or_b64 vcc, vcc, s[0:1]
	v_cndmask_b32_e32 v2, v1, v10, vcc
	v_mov_b32_e32 v1, 0
	s_cmp_lt_i32 s14, 11
	v_lshl_add_u64 v[0:1], s[4:5], 0, v[0:1]
	s_cbranch_scc1 .LBB417_2136
; %bb.2016:
	s_and_b32 s12, 0xffff, s14
	s_mov_b64 s[6:7], -1
	s_mov_b64 s[4:5], 0
	s_cmp_gt_i32 s12, 25
	s_mov_b64 s[0:1], 0
	s_cbranch_scc0 .LBB417_2049
; %bb.2017:
	s_cmp_gt_i32 s12, 28
	s_cbranch_scc0 .LBB417_2033
; %bb.2018:
	s_cmp_gt_i32 s12, 43
	;; [unrolled: 3-line block ×3, first 2 shown]
	s_cbranch_scc0 .LBB417_2023
; %bb.2020:
	s_cmp_eq_u32 s12, 46
	s_mov_b64 s[0:1], -1
	s_cbranch_scc0 .LBB417_2022
; %bb.2021:
	v_and_b32_e32 v3, 0xffff, v2
	global_store_dword v[0:1], v3, off
	s_mov_b64 s[0:1], 0
.LBB417_2022:
	s_mov_b64 s[6:7], 0
.LBB417_2023:
	s_and_b64 vcc, exec, s[6:7]
	s_cbranch_vccz .LBB417_2028
; %bb.2024:
	s_cmp_eq_u32 s12, 44
	s_mov_b64 s[0:1], -1
	s_cbranch_scc0 .LBB417_2028
; %bb.2025:
	v_and_b32_e32 v4, 0xffff, v2
	v_bfe_u32 v3, v4, 7, 8
	s_movk_i32 s0, 0xff
	v_cmp_ne_u32_e32 vcc, s0, v3
	v_mov_b32_e32 v5, 0xff
	s_and_saveexec_b64 s[6:7], vcc
	s_cbranch_execz .LBB417_2027
; %bb.2026:
	v_lshlrev_b32_e32 v6, 16, v4
	s_mov_b32 s0, 0x3f0000
	v_lshrrev_b32_e32 v5, 7, v4
	v_and_b32_e32 v4, 64, v4
	v_and_or_b32 v3, v6, s0, v3
	v_cmp_ne_u32_e32 vcc, 0, v4
	v_cmp_ne_u32_e64 s[0:1], 0, v3
	s_and_b64 s[0:1], vcc, s[0:1]
	s_nop 0
	v_cndmask_b32_e64 v3, 0, 1, s[0:1]
	v_add_u32_e32 v5, v5, v3
.LBB417_2027:
	s_or_b64 exec, exec, s[6:7]
	s_mov_b64 s[0:1], 0
	global_store_byte v[0:1], v5, off
.LBB417_2028:
	s_mov_b64 s[6:7], 0
.LBB417_2029:
	s_and_b64 vcc, exec, s[6:7]
	s_cbranch_vccz .LBB417_2032
; %bb.2030:
	s_cmp_eq_u32 s12, 29
	s_mov_b64 s[0:1], -1
	s_cbranch_scc0 .LBB417_2032
; %bb.2031:
	v_lshlrev_b32_e32 v3, 16, v2
	v_trunc_f32_e32 v3, v3
	v_mul_f32_e32 v4, 0x2f800000, v3
	v_floor_f32_e32 v4, v4
	v_fmamk_f32 v3, v4, 0xcf800000, v3
	v_cvt_u32_f32_e32 v5, v4
	v_cvt_u32_f32_e32 v4, v3
	s_mov_b64 s[0:1], 0
	global_store_dwordx2 v[0:1], v[4:5], off
.LBB417_2032:
	s_mov_b64 s[6:7], 0
.LBB417_2033:
	s_and_b64 vcc, exec, s[6:7]
	s_cbranch_vccz .LBB417_2048
; %bb.2034:
	s_cmp_lt_i32 s12, 27
	s_mov_b64 s[6:7], -1
	s_cbranch_scc1 .LBB417_2040
; %bb.2035:
	s_cmp_gt_i32 s12, 27
	s_cbranch_scc0 .LBB417_2037
; %bb.2036:
	v_lshlrev_b32_e32 v3, 16, v2
	v_cvt_u32_f32_e32 v3, v3
	s_mov_b64 s[6:7], 0
	global_store_dword v[0:1], v3, off
.LBB417_2037:
	s_andn2_b64 vcc, exec, s[6:7]
	s_cbranch_vccnz .LBB417_2039
; %bb.2038:
	v_lshlrev_b32_e32 v3, 16, v2
	v_cvt_u32_f32_e32 v3, v3
	global_store_short v[0:1], v3, off
.LBB417_2039:
	s_mov_b64 s[6:7], 0
.LBB417_2040:
	s_andn2_b64 vcc, exec, s[6:7]
	s_cbranch_vccnz .LBB417_2048
; %bb.2041:
	v_lshlrev_b32_e32 v5, 16, v2
	v_and_b32_e32 v4, 0x7fffffff, v5
	s_mov_b32 s6, 0x43800000
	v_cmp_gt_u32_e32 vcc, s6, v4
	v_mov_b32_e32 v6, 0x80
	s_and_saveexec_b64 s[6:7], vcc
	s_cbranch_execz .LBB417_2047
; %bb.2042:
	s_mov_b32 s8, 0x3bffffff
	v_and_b32_e32 v3, 0xffff, v2
	v_cmp_lt_u32_e32 vcc, s8, v4
	s_mov_b64 s[8:9], 0
                                        ; implicit-def: $vgpr4
	s_and_saveexec_b64 s[10:11], vcc
	s_xor_b64 s[10:11], exec, s[10:11]
	s_cbranch_execz .LBB417_2153
; %bb.2043:
	v_bfe_u32 v4, v3, 4, 1
	s_mov_b32 s13, 0x487ffff
	v_add3_u32 v4, v5, v4, s13
	s_mov_b64 s[8:9], exec
	v_lshrrev_b32_e32 v4, 20, v4
                                        ; implicit-def: $vgpr5
	s_andn2_saveexec_b64 s[10:11], s[10:11]
	s_cbranch_execnz .LBB417_2154
.LBB417_2044:
	s_or_b64 exec, exec, s[10:11]
	v_mov_b32_e32 v6, 0
	s_and_saveexec_b64 s[10:11], s[8:9]
.LBB417_2045:
	v_lshrrev_b32_e32 v3, 8, v3
	s_movk_i32 s8, 0x80
	v_and_or_b32 v6, v3, s8, v4
.LBB417_2046:
	s_or_b64 exec, exec, s[10:11]
.LBB417_2047:
	s_or_b64 exec, exec, s[6:7]
	global_store_byte v[0:1], v6, off
.LBB417_2048:
	s_mov_b64 s[6:7], 0
.LBB417_2049:
	s_and_b64 vcc, exec, s[6:7]
	s_cbranch_vccz .LBB417_2089
; %bb.2050:
	s_cmp_gt_i32 s12, 22
	s_mov_b64 s[4:5], -1
	s_cbranch_scc0 .LBB417_2082
; %bb.2051:
	s_cmp_lt_i32 s12, 24
	s_cbranch_scc1 .LBB417_2071
; %bb.2052:
	s_cmp_gt_i32 s12, 24
	s_cbranch_scc0 .LBB417_2060
; %bb.2053:
	v_lshlrev_b32_e32 v5, 16, v2
	v_and_b32_e32 v4, 0x7fffffff, v5
	s_mov_b32 s4, 0x47800000
	v_cmp_gt_u32_e32 vcc, s4, v4
	v_mov_b32_e32 v6, 0x80
	s_and_saveexec_b64 s[4:5], vcc
	s_cbranch_execz .LBB417_2059
; %bb.2054:
	s_mov_b32 s6, 0x37ffffff
	v_and_b32_e32 v3, 0xffff, v2
	v_cmp_lt_u32_e32 vcc, s6, v4
	s_mov_b64 s[6:7], 0
                                        ; implicit-def: $vgpr4
	s_and_saveexec_b64 s[8:9], vcc
	s_xor_b64 s[8:9], exec, s[8:9]
	s_cbranch_execz .LBB417_2156
; %bb.2055:
	v_bfe_u32 v4, v3, 5, 1
	s_mov_b32 s10, 0x88fffff
	v_add3_u32 v4, v5, v4, s10
	s_mov_b64 s[6:7], exec
	v_lshrrev_b32_e32 v4, 21, v4
                                        ; implicit-def: $vgpr5
	s_andn2_saveexec_b64 s[8:9], s[8:9]
	s_cbranch_execnz .LBB417_2157
.LBB417_2056:
	s_or_b64 exec, exec, s[8:9]
	v_mov_b32_e32 v6, 0
	s_and_saveexec_b64 s[8:9], s[6:7]
.LBB417_2057:
	v_lshrrev_b32_e32 v3, 8, v3
	s_movk_i32 s6, 0x80
	v_and_or_b32 v6, v3, s6, v4
.LBB417_2058:
	s_or_b64 exec, exec, s[8:9]
.LBB417_2059:
	s_or_b64 exec, exec, s[4:5]
	s_mov_b64 s[4:5], 0
	global_store_byte v[0:1], v6, off
.LBB417_2060:
	s_and_b64 vcc, exec, s[4:5]
	s_cbranch_vccz .LBB417_2070
; %bb.2061:
	v_lshlrev_b32_e32 v5, 16, v2
	v_and_b32_e32 v6, 0x7fffffff, v5
	s_mov_b32 s4, 0x43f00000
	v_and_b32_e32 v3, 0xffff, v2
	v_cmp_gt_u32_e32 vcc, s4, v6
                                        ; implicit-def: $vgpr4
	s_and_saveexec_b64 s[4:5], vcc
	s_xor_b64 s[4:5], exec, s[4:5]
	s_cbranch_execz .LBB417_2067
; %bb.2062:
	s_mov_b32 s6, 0x3c7fffff
	v_cmp_lt_u32_e32 vcc, s6, v6
                                        ; implicit-def: $vgpr4
	s_and_saveexec_b64 s[6:7], vcc
	s_xor_b64 s[6:7], exec, s[6:7]
; %bb.2063:
	v_bfe_u32 v4, v3, 4, 1
	s_mov_b32 s8, 0x407ffff
	v_add3_u32 v4, v5, v4, s8
	v_lshrrev_b32_e32 v5, 20, v4
	v_and_b32_e32 v4, 0xff00000, v4
	s_mov_b32 s8, 0x7f00000
	v_mov_b32_e32 v6, 0x7e
	v_cmp_ne_u32_e32 vcc, s8, v4
	s_nop 1
	v_cndmask_b32_e32 v4, v6, v5, vcc
                                        ; implicit-def: $vgpr5
; %bb.2064:
	s_andn2_saveexec_b64 s[6:7], s[6:7]
; %bb.2065:
	s_mov_b32 s8, 0x46800000
	v_add_f32_e64 v4, |v5|, s8
; %bb.2066:
	s_or_b64 exec, exec, s[6:7]
                                        ; implicit-def: $vgpr6
.LBB417_2067:
	s_andn2_saveexec_b64 s[4:5], s[4:5]
; %bb.2068:
	s_mov_b32 s6, 0x7f800000
	v_mov_b32_e32 v4, 0x7e
	v_mov_b32_e32 v5, 0x7f
	v_cmp_lt_u32_e32 vcc, s6, v6
	s_nop 1
	v_cndmask_b32_e32 v4, v4, v5, vcc
; %bb.2069:
	s_or_b64 exec, exec, s[4:5]
	v_lshrrev_b32_e32 v3, 8, v3
	s_movk_i32 s4, 0x80
	v_and_or_b32 v3, v3, s4, v4
	global_store_byte v[0:1], v3, off
.LBB417_2070:
	s_mov_b64 s[4:5], 0
.LBB417_2071:
	s_andn2_b64 vcc, exec, s[4:5]
	s_cbranch_vccnz .LBB417_2081
; %bb.2072:
	v_lshlrev_b32_e32 v5, 16, v2
	v_and_b32_e32 v6, 0x7fffffff, v5
	s_mov_b32 s4, 0x47800000
	v_and_b32_e32 v3, 0xffff, v2
	v_cmp_gt_u32_e32 vcc, s4, v6
                                        ; implicit-def: $vgpr4
	s_and_saveexec_b64 s[4:5], vcc
	s_xor_b64 s[4:5], exec, s[4:5]
	s_cbranch_execz .LBB417_2078
; %bb.2073:
	s_mov_b32 s6, 0x387fffff
	v_cmp_lt_u32_e32 vcc, s6, v6
                                        ; implicit-def: $vgpr4
	s_and_saveexec_b64 s[6:7], vcc
	s_xor_b64 s[6:7], exec, s[6:7]
; %bb.2074:
	v_bfe_u32 v4, v3, 5, 1
	s_mov_b32 s8, 0x80fffff
	v_add3_u32 v4, v5, v4, s8
	v_lshrrev_b32_e32 v4, 21, v4
                                        ; implicit-def: $vgpr5
; %bb.2075:
	s_andn2_saveexec_b64 s[6:7], s[6:7]
; %bb.2076:
	s_mov_b32 s8, 0x43000000
	v_add_f32_e64 v4, |v5|, s8
; %bb.2077:
	s_or_b64 exec, exec, s[6:7]
                                        ; implicit-def: $vgpr6
.LBB417_2078:
	s_andn2_saveexec_b64 s[4:5], s[4:5]
; %bb.2079:
	s_mov_b32 s6, 0x7f800000
	v_mov_b32_e32 v4, 0x7c
	v_mov_b32_e32 v5, 0x7f
	v_cmp_lt_u32_e32 vcc, s6, v6
	s_nop 1
	v_cndmask_b32_e32 v4, v4, v5, vcc
; %bb.2080:
	s_or_b64 exec, exec, s[4:5]
	v_lshrrev_b32_e32 v3, 8, v3
	s_movk_i32 s4, 0x80
	v_and_or_b32 v3, v3, s4, v4
	global_store_byte v[0:1], v3, off
.LBB417_2081:
	s_mov_b64 s[4:5], 0
.LBB417_2082:
	s_andn2_b64 vcc, exec, s[4:5]
	s_mov_b64 s[4:5], 0
	s_cbranch_vccnz .LBB417_2089
; %bb.2083:
	s_cmp_gt_i32 s12, 14
	s_mov_b64 s[6:7], -1
	s_cbranch_scc0 .LBB417_2087
; %bb.2084:
	s_cmp_eq_u32 s12, 15
	s_mov_b64 s[0:1], -1
	s_cbranch_scc0 .LBB417_2086
; %bb.2085:
	global_store_short v[0:1], v2, off
	s_mov_b64 s[0:1], 0
.LBB417_2086:
	s_mov_b64 s[6:7], 0
.LBB417_2087:
	s_and_b64 vcc, exec, s[6:7]
	s_cbranch_vccz .LBB417_2089
; %bb.2088:
	s_cmp_lg_u32 s12, 11
	s_mov_b64 s[4:5], -1
	s_cselect_b64 s[0:1], -1, 0
.LBB417_2089:
	s_and_b64 vcc, exec, s[0:1]
	s_cbranch_vccnz .LBB417_2155
.LBB417_2090:
	s_mov_b64 s[0:1], 0
	s_branch .LBB417_2092
.LBB417_2091:
	s_mov_b64 s[0:1], 0
	s_mov_b64 s[4:5], 0
                                        ; implicit-def: $vgpr0_vgpr1
                                        ; implicit-def: $sgpr14
                                        ; implicit-def: $vgpr2
.LBB417_2092:
	s_and_b64 s[6:7], s[0:1], exec
	s_andn2_b64 s[0:1], s[24:25], exec
	s_and_b64 s[2:3], s[2:3], exec
	s_and_b64 s[40:41], s[4:5], exec
	s_or_b64 s[24:25], s[0:1], s[2:3]
.LBB417_2093:
	s_or_b64 exec, exec, s[26:27]
	s_and_saveexec_b64 s[0:1], s[24:25]
	s_cbranch_execz .LBB417_2096
; %bb.2094:
	; divergent unreachable
	s_or_b64 exec, exec, s[0:1]
	s_and_saveexec_b64 s[0:1], s[40:41]
	s_xor_b64 s[0:1], exec, s[0:1]
	s_cbranch_execnz .LBB417_2097
.LBB417_2095:
	s_or_b64 exec, exec, s[0:1]
	s_and_saveexec_b64 s[0:1], s[6:7]
	s_cbranch_execnz .LBB417_2098
	s_branch .LBB417_2135
.LBB417_2096:
	s_or_b64 exec, exec, s[0:1]
	s_and_saveexec_b64 s[0:1], s[40:41]
	s_xor_b64 s[0:1], exec, s[0:1]
	s_cbranch_execz .LBB417_2095
.LBB417_2097:
	s_waitcnt vmcnt(0)
	v_and_b32_e32 v3, 0x7fff, v2
	v_cmp_ne_u16_e32 vcc, 0, v3
	s_nop 1
	v_cndmask_b32_e64 v3, 0, 1, vcc
	global_store_byte v[0:1], v3, off
	s_or_b64 exec, exec, s[0:1]
	s_and_saveexec_b64 s[0:1], s[6:7]
	s_cbranch_execz .LBB417_2135
.LBB417_2098:
	s_sext_i32_i16 s2, s14
	s_cmp_lt_i32 s2, 5
	s_mov_b64 s[0:1], -1
	s_cbranch_scc1 .LBB417_2119
; %bb.2099:
	s_cmp_lt_i32 s2, 8
	s_cbranch_scc1 .LBB417_2109
; %bb.2100:
	s_cmp_lt_i32 s2, 9
	s_cbranch_scc1 .LBB417_2106
; %bb.2101:
	s_cmp_gt_i32 s2, 9
	s_cbranch_scc0 .LBB417_2103
; %bb.2102:
	s_waitcnt vmcnt(0)
	v_lshlrev_b32_e32 v3, 16, v2
	v_mov_b32_e32 v6, 0
	v_cvt_f64_f32_e32 v[4:5], v3
	v_mov_b32_e32 v7, v6
	global_store_dwordx4 v[0:1], v[4:7], off
	s_mov_b64 s[0:1], 0
.LBB417_2103:
	s_andn2_b64 vcc, exec, s[0:1]
	s_cbranch_vccnz .LBB417_2105
; %bb.2104:
	v_lshlrev_b32_e32 v4, 16, v2
	v_mov_b32_e32 v5, 0
	s_waitcnt vmcnt(0)
	global_store_dwordx2 v[0:1], v[4:5], off
.LBB417_2105:
	s_mov_b64 s[0:1], 0
.LBB417_2106:
	s_andn2_b64 vcc, exec, s[0:1]
	s_cbranch_vccnz .LBB417_2108
; %bb.2107:
	s_waitcnt vmcnt(0)
	v_lshlrev_b32_e32 v3, 16, v2
	v_cvt_f16_f32_e32 v3, v3
	global_store_dword v[0:1], v3, off
.LBB417_2108:
	s_mov_b64 s[0:1], 0
.LBB417_2109:
	s_andn2_b64 vcc, exec, s[0:1]
	s_cbranch_vccnz .LBB417_2118
; %bb.2110:
	s_sext_i32_i16 s2, s14
	s_cmp_lt_i32 s2, 6
	s_mov_b64 s[0:1], -1
	s_cbranch_scc1 .LBB417_2116
; %bb.2111:
	s_cmp_gt_i32 s2, 6
	s_cbranch_scc0 .LBB417_2113
; %bb.2112:
	s_waitcnt vmcnt(0)
	v_lshlrev_b32_e32 v3, 16, v2
	v_cvt_f64_f32_e32 v[4:5], v3
	global_store_dwordx2 v[0:1], v[4:5], off
	s_mov_b64 s[0:1], 0
.LBB417_2113:
	s_andn2_b64 vcc, exec, s[0:1]
	s_cbranch_vccnz .LBB417_2115
; %bb.2114:
	s_waitcnt vmcnt(0)
	v_lshlrev_b32_e32 v3, 16, v2
	global_store_dword v[0:1], v3, off
.LBB417_2115:
	s_mov_b64 s[0:1], 0
.LBB417_2116:
	s_andn2_b64 vcc, exec, s[0:1]
	s_cbranch_vccnz .LBB417_2118
; %bb.2117:
	s_waitcnt vmcnt(0)
	v_lshlrev_b32_e32 v3, 16, v2
	v_cvt_f16_f32_e32 v3, v3
	global_store_short v[0:1], v3, off
.LBB417_2118:
	s_mov_b64 s[0:1], 0
.LBB417_2119:
	s_andn2_b64 vcc, exec, s[0:1]
	s_cbranch_vccnz .LBB417_2135
; %bb.2120:
	s_sext_i32_i16 s2, s14
	s_cmp_lt_i32 s2, 2
	s_mov_b64 s[0:1], -1
	s_cbranch_scc1 .LBB417_2130
; %bb.2121:
	s_cmp_lt_i32 s2, 3
	s_cbranch_scc1 .LBB417_2127
; %bb.2122:
	s_cmp_gt_i32 s2, 3
	s_cbranch_scc0 .LBB417_2124
; %bb.2123:
	s_waitcnt vmcnt(0)
	v_lshlrev_b32_e32 v3, 16, v2
	v_trunc_f32_e32 v3, v3
	s_mov_b32 s0, 0x2f800000
	v_mul_f32_e64 v4, |v3|, s0
	v_floor_f32_e32 v4, v4
	s_mov_b32 s0, 0xcf800000
	v_cvt_u32_f32_e32 v5, v4
	v_fma_f32 v4, v4, s0, |v3|
	v_cvt_u32_f32_e32 v4, v4
	v_ashrrev_i32_e32 v3, 31, v3
	v_xor_b32_e32 v5, v5, v3
	s_mov_b64 s[0:1], 0
	v_xor_b32_e32 v4, v4, v3
	v_sub_co_u32_e32 v4, vcc, v4, v3
	s_nop 1
	v_subb_co_u32_e32 v5, vcc, v5, v3, vcc
	global_store_dwordx2 v[0:1], v[4:5], off
.LBB417_2124:
	s_andn2_b64 vcc, exec, s[0:1]
	s_cbranch_vccnz .LBB417_2126
; %bb.2125:
	s_waitcnt vmcnt(0)
	v_lshlrev_b32_e32 v3, 16, v2
	v_cvt_i32_f32_e32 v3, v3
	global_store_dword v[0:1], v3, off
.LBB417_2126:
	s_mov_b64 s[0:1], 0
.LBB417_2127:
	s_andn2_b64 vcc, exec, s[0:1]
	s_cbranch_vccnz .LBB417_2129
; %bb.2128:
	s_waitcnt vmcnt(0)
	v_lshlrev_b32_e32 v3, 16, v2
	v_cvt_i32_f32_e32 v3, v3
	global_store_short v[0:1], v3, off
.LBB417_2129:
	s_mov_b64 s[0:1], 0
.LBB417_2130:
	s_andn2_b64 vcc, exec, s[0:1]
	s_cbranch_vccnz .LBB417_2135
; %bb.2131:
	s_sext_i32_i16 s0, s14
	s_cmp_gt_i32 s0, 0
	s_mov_b64 s[0:1], -1
	s_cbranch_scc0 .LBB417_2133
; %bb.2132:
	s_waitcnt vmcnt(0)
	v_lshlrev_b32_e32 v3, 16, v2
	v_cvt_i32_f32_e32 v3, v3
	s_mov_b64 s[0:1], 0
	global_store_byte v[0:1], v3, off
.LBB417_2133:
	s_andn2_b64 vcc, exec, s[0:1]
	s_cbranch_vccnz .LBB417_2135
; %bb.2134:
	v_lshlrev_b32_e32 v2, 16, v2
	v_trunc_f32_e32 v2, v2
	s_mov_b32 s0, 0x2f800000
	s_waitcnt vmcnt(0)
	v_mul_f32_e64 v3, |v2|, s0
	v_floor_f32_e32 v3, v3
	s_mov_b32 s0, 0xcf800000
	v_fma_f32 v3, v3, s0, |v2|
	v_cvt_u32_f32_e32 v3, v3
	v_ashrrev_i32_e32 v2, 31, v2
	v_xor_b32_e32 v3, v3, v2
	v_sub_u32_e32 v2, v3, v2
	global_store_byte v[0:1], v2, off
	s_endpgm
.LBB417_2135:
	s_endpgm
.LBB417_2136:
	s_mov_b64 s[4:5], 0
	s_mov_b64 s[0:1], -1
	s_branch .LBB417_2092
.LBB417_2137:
	s_trap 2
	s_or_b64 s[2:3], s[2:3], exec
	s_cbranch_execz .LBB417_1606
	s_branch .LBB417_1607
.LBB417_2138:
	s_andn2_saveexec_b64 s[12:13], s[12:13]
	s_cbranch_execz .LBB417_1686
.LBB417_2139:
	s_mov_b32 s19, 0x46000000
	v_add_f32_e64 v8, |v9|, s19
	v_and_b32_e32 v8, 0xff, v8
	v_cmp_ne_u32_e32 vcc, 0, v8
	s_andn2_b64 s[10:11], s[10:11], exec
	s_and_b64 s[20:21], vcc, exec
	s_or_b64 s[10:11], s[10:11], s[20:21]
	s_or_b64 exec, exec, s[12:13]
	v_mov_b32_e32 v11, 0
	s_and_saveexec_b64 s[12:13], s[10:11]
	s_cbranch_execnz .LBB417_1687
	s_branch .LBB417_1688
.LBB417_2140:
	s_trap 2
	s_or_b64 s[2:3], s[2:3], exec
	s_cbranch_execz .LBB417_1734
	s_branch .LBB417_1735
.LBB417_2141:
	s_andn2_saveexec_b64 s[10:11], s[10:11]
	s_cbranch_execz .LBB417_1699
.LBB417_2142:
	s_mov_b32 s12, 0x42800000
	v_add_f32_e64 v8, |v9|, s12
	v_and_b32_e32 v8, 0xff, v8
	v_cmp_ne_u32_e32 vcc, 0, v8
	s_andn2_b64 s[8:9], s[8:9], exec
	s_and_b64 s[12:13], vcc, exec
	s_or_b64 s[8:9], s[8:9], s[12:13]
	s_or_b64 exec, exec, s[10:11]
	v_mov_b32_e32 v11, 0
	s_and_saveexec_b64 s[10:11], s[8:9]
	s_cbranch_execnz .LBB417_1700
	s_branch .LBB417_1701
.LBB417_2143:
	s_andn2_saveexec_b64 s[12:13], s[12:13]
	s_cbranch_execz .LBB417_1805
.LBB417_2144:
	s_mov_b32 s18, 0x46000000
	v_add_f32_e64 v6, |v7|, s18
	v_and_b32_e32 v6, 0xff, v6
	v_cmp_ne_u32_e32 vcc, 0, v6
	s_andn2_b64 s[10:11], s[10:11], exec
	s_and_b64 s[18:19], vcc, exec
	s_or_b64 s[10:11], s[10:11], s[18:19]
	s_or_b64 exec, exec, s[12:13]
	v_mov_b32_e32 v8, 0
	s_and_saveexec_b64 s[12:13], s[10:11]
	s_cbranch_execnz .LBB417_1806
	s_branch .LBB417_1807
.LBB417_2145:
	s_trap 2
	s_or_b64 s[2:3], s[2:3], exec
	s_cbranch_execz .LBB417_1853
	s_branch .LBB417_1854
.LBB417_2146:
	s_andn2_saveexec_b64 s[10:11], s[10:11]
	s_cbranch_execz .LBB417_1818
.LBB417_2147:
	s_mov_b32 s12, 0x42800000
	v_add_f32_e64 v6, |v7|, s12
	v_and_b32_e32 v6, 0xff, v6
	v_cmp_ne_u32_e32 vcc, 0, v6
	s_andn2_b64 s[8:9], s[8:9], exec
	s_and_b64 s[12:13], vcc, exec
	s_or_b64 s[8:9], s[8:9], s[12:13]
	s_or_b64 exec, exec, s[10:11]
	v_mov_b32_e32 v8, 0
	s_and_saveexec_b64 s[10:11], s[8:9]
	s_cbranch_execnz .LBB417_1819
	s_branch .LBB417_1820
.LBB417_2148:
	s_andn2_saveexec_b64 s[12:13], s[12:13]
	s_cbranch_execz .LBB417_1924
.LBB417_2149:
	s_mov_b32 s18, 0x46000000
	v_add_f32_e64 v5, |v6|, s18
	v_and_b32_e32 v5, 0xff, v5
	v_cmp_ne_u32_e32 vcc, 0, v5
	s_andn2_b64 s[10:11], s[10:11], exec
	s_and_b64 s[18:19], vcc, exec
	s_or_b64 s[10:11], s[10:11], s[18:19]
	s_or_b64 exec, exec, s[12:13]
	v_mov_b32_e32 v7, 0
	s_and_saveexec_b64 s[12:13], s[10:11]
	s_cbranch_execnz .LBB417_1925
	s_branch .LBB417_1926
.LBB417_2150:
	s_trap 2
	s_or_b64 s[2:3], s[2:3], exec
	s_cbranch_execz .LBB417_1972
	s_branch .LBB417_1973
.LBB417_2151:
	s_andn2_saveexec_b64 s[10:11], s[10:11]
	s_cbranch_execz .LBB417_1937
.LBB417_2152:
	s_mov_b32 s12, 0x42800000
	v_add_f32_e64 v5, |v6|, s12
	v_and_b32_e32 v5, 0xff, v5
	v_cmp_ne_u32_e32 vcc, 0, v5
	s_andn2_b64 s[8:9], s[8:9], exec
	s_and_b64 s[12:13], vcc, exec
	s_or_b64 s[8:9], s[8:9], s[12:13]
	s_or_b64 exec, exec, s[10:11]
	v_mov_b32_e32 v7, 0
	s_and_saveexec_b64 s[10:11], s[8:9]
	s_cbranch_execnz .LBB417_1938
	s_branch .LBB417_1939
.LBB417_2153:
	s_andn2_saveexec_b64 s[10:11], s[10:11]
	s_cbranch_execz .LBB417_2044
.LBB417_2154:
	s_mov_b32 s13, 0x46000000
	v_add_f32_e64 v4, |v5|, s13
	v_and_b32_e32 v4, 0xff, v4
	v_cmp_ne_u32_e32 vcc, 0, v4
	s_andn2_b64 s[8:9], s[8:9], exec
	s_and_b64 s[16:17], vcc, exec
	s_or_b64 s[8:9], s[8:9], s[16:17]
	s_or_b64 exec, exec, s[10:11]
	v_mov_b32_e32 v6, 0
	s_and_saveexec_b64 s[10:11], s[8:9]
	s_cbranch_execnz .LBB417_2045
	s_branch .LBB417_2046
.LBB417_2155:
	s_mov_b64 s[4:5], 0
	s_or_b64 s[2:3], s[2:3], exec
	s_trap 2
	s_branch .LBB417_2090
.LBB417_2156:
	s_andn2_saveexec_b64 s[8:9], s[8:9]
	s_cbranch_execz .LBB417_2056
.LBB417_2157:
	s_mov_b32 s10, 0x42800000
	v_add_f32_e64 v4, |v5|, s10
	v_and_b32_e32 v4, 0xff, v4
	v_cmp_ne_u32_e32 vcc, 0, v4
	s_andn2_b64 s[6:7], s[6:7], exec
	s_and_b64 s[10:11], vcc, exec
	s_or_b64 s[6:7], s[6:7], s[10:11]
	s_or_b64 exec, exec, s[8:9]
	v_mov_b32_e32 v6, 0
	s_and_saveexec_b64 s[8:9], s[6:7]
	s_cbranch_execnz .LBB417_2057
	s_branch .LBB417_2058
	.section	.rodata,"a",@progbits
	.p2align	6, 0x0
	.amdhsa_kernel _ZN2at6native32elementwise_kernel_manual_unrollILi128ELi4EZNS0_15gpu_kernel_implIZZZNS0_21clamp_min_kernel_cudaERNS_18TensorIteratorBaseERKN3c106ScalarEENKUlvE_clEvENKUlvE7_clEvEUlNS5_8BFloat16EE_EEvS4_RKT_EUlibE0_EEviT1_
		.amdhsa_group_segment_fixed_size 0
		.amdhsa_private_segment_fixed_size 0
		.amdhsa_kernarg_size 360
		.amdhsa_user_sgpr_count 2
		.amdhsa_user_sgpr_dispatch_ptr 0
		.amdhsa_user_sgpr_queue_ptr 0
		.amdhsa_user_sgpr_kernarg_segment_ptr 1
		.amdhsa_user_sgpr_dispatch_id 0
		.amdhsa_user_sgpr_kernarg_preload_length 0
		.amdhsa_user_sgpr_kernarg_preload_offset 0
		.amdhsa_user_sgpr_private_segment_size 0
		.amdhsa_uses_dynamic_stack 0
		.amdhsa_enable_private_segment 0
		.amdhsa_system_sgpr_workgroup_id_x 1
		.amdhsa_system_sgpr_workgroup_id_y 0
		.amdhsa_system_sgpr_workgroup_id_z 0
		.amdhsa_system_sgpr_workgroup_info 0
		.amdhsa_system_vgpr_workitem_id 0
		.amdhsa_next_free_vgpr 18
		.amdhsa_next_free_sgpr 80
		.amdhsa_accum_offset 20
		.amdhsa_reserve_vcc 1
		.amdhsa_float_round_mode_32 0
		.amdhsa_float_round_mode_16_64 0
		.amdhsa_float_denorm_mode_32 3
		.amdhsa_float_denorm_mode_16_64 3
		.amdhsa_dx10_clamp 1
		.amdhsa_ieee_mode 1
		.amdhsa_fp16_overflow 0
		.amdhsa_tg_split 0
		.amdhsa_exception_fp_ieee_invalid_op 0
		.amdhsa_exception_fp_denorm_src 0
		.amdhsa_exception_fp_ieee_div_zero 0
		.amdhsa_exception_fp_ieee_overflow 0
		.amdhsa_exception_fp_ieee_underflow 0
		.amdhsa_exception_fp_ieee_inexact 0
		.amdhsa_exception_int_div_zero 0
	.end_amdhsa_kernel
	.section	.text._ZN2at6native32elementwise_kernel_manual_unrollILi128ELi4EZNS0_15gpu_kernel_implIZZZNS0_21clamp_min_kernel_cudaERNS_18TensorIteratorBaseERKN3c106ScalarEENKUlvE_clEvENKUlvE7_clEvEUlNS5_8BFloat16EE_EEvS4_RKT_EUlibE0_EEviT1_,"axG",@progbits,_ZN2at6native32elementwise_kernel_manual_unrollILi128ELi4EZNS0_15gpu_kernel_implIZZZNS0_21clamp_min_kernel_cudaERNS_18TensorIteratorBaseERKN3c106ScalarEENKUlvE_clEvENKUlvE7_clEvEUlNS5_8BFloat16EE_EEvS4_RKT_EUlibE0_EEviT1_,comdat
.Lfunc_end417:
	.size	_ZN2at6native32elementwise_kernel_manual_unrollILi128ELi4EZNS0_15gpu_kernel_implIZZZNS0_21clamp_min_kernel_cudaERNS_18TensorIteratorBaseERKN3c106ScalarEENKUlvE_clEvENKUlvE7_clEvEUlNS5_8BFloat16EE_EEvS4_RKT_EUlibE0_EEviT1_, .Lfunc_end417-_ZN2at6native32elementwise_kernel_manual_unrollILi128ELi4EZNS0_15gpu_kernel_implIZZZNS0_21clamp_min_kernel_cudaERNS_18TensorIteratorBaseERKN3c106ScalarEENKUlvE_clEvENKUlvE7_clEvEUlNS5_8BFloat16EE_EEvS4_RKT_EUlibE0_EEviT1_
                                        ; -- End function
	.set _ZN2at6native32elementwise_kernel_manual_unrollILi128ELi4EZNS0_15gpu_kernel_implIZZZNS0_21clamp_min_kernel_cudaERNS_18TensorIteratorBaseERKN3c106ScalarEENKUlvE_clEvENKUlvE7_clEvEUlNS5_8BFloat16EE_EEvS4_RKT_EUlibE0_EEviT1_.num_vgpr, 18
	.set _ZN2at6native32elementwise_kernel_manual_unrollILi128ELi4EZNS0_15gpu_kernel_implIZZZNS0_21clamp_min_kernel_cudaERNS_18TensorIteratorBaseERKN3c106ScalarEENKUlvE_clEvENKUlvE7_clEvEUlNS5_8BFloat16EE_EEvS4_RKT_EUlibE0_EEviT1_.num_agpr, 0
	.set _ZN2at6native32elementwise_kernel_manual_unrollILi128ELi4EZNS0_15gpu_kernel_implIZZZNS0_21clamp_min_kernel_cudaERNS_18TensorIteratorBaseERKN3c106ScalarEENKUlvE_clEvENKUlvE7_clEvEUlNS5_8BFloat16EE_EEvS4_RKT_EUlibE0_EEviT1_.numbered_sgpr, 80
	.set _ZN2at6native32elementwise_kernel_manual_unrollILi128ELi4EZNS0_15gpu_kernel_implIZZZNS0_21clamp_min_kernel_cudaERNS_18TensorIteratorBaseERKN3c106ScalarEENKUlvE_clEvENKUlvE7_clEvEUlNS5_8BFloat16EE_EEvS4_RKT_EUlibE0_EEviT1_.num_named_barrier, 0
	.set _ZN2at6native32elementwise_kernel_manual_unrollILi128ELi4EZNS0_15gpu_kernel_implIZZZNS0_21clamp_min_kernel_cudaERNS_18TensorIteratorBaseERKN3c106ScalarEENKUlvE_clEvENKUlvE7_clEvEUlNS5_8BFloat16EE_EEvS4_RKT_EUlibE0_EEviT1_.private_seg_size, 0
	.set _ZN2at6native32elementwise_kernel_manual_unrollILi128ELi4EZNS0_15gpu_kernel_implIZZZNS0_21clamp_min_kernel_cudaERNS_18TensorIteratorBaseERKN3c106ScalarEENKUlvE_clEvENKUlvE7_clEvEUlNS5_8BFloat16EE_EEvS4_RKT_EUlibE0_EEviT1_.uses_vcc, 1
	.set _ZN2at6native32elementwise_kernel_manual_unrollILi128ELi4EZNS0_15gpu_kernel_implIZZZNS0_21clamp_min_kernel_cudaERNS_18TensorIteratorBaseERKN3c106ScalarEENKUlvE_clEvENKUlvE7_clEvEUlNS5_8BFloat16EE_EEvS4_RKT_EUlibE0_EEviT1_.uses_flat_scratch, 0
	.set _ZN2at6native32elementwise_kernel_manual_unrollILi128ELi4EZNS0_15gpu_kernel_implIZZZNS0_21clamp_min_kernel_cudaERNS_18TensorIteratorBaseERKN3c106ScalarEENKUlvE_clEvENKUlvE7_clEvEUlNS5_8BFloat16EE_EEvS4_RKT_EUlibE0_EEviT1_.has_dyn_sized_stack, 0
	.set _ZN2at6native32elementwise_kernel_manual_unrollILi128ELi4EZNS0_15gpu_kernel_implIZZZNS0_21clamp_min_kernel_cudaERNS_18TensorIteratorBaseERKN3c106ScalarEENKUlvE_clEvENKUlvE7_clEvEUlNS5_8BFloat16EE_EEvS4_RKT_EUlibE0_EEviT1_.has_recursion, 0
	.set _ZN2at6native32elementwise_kernel_manual_unrollILi128ELi4EZNS0_15gpu_kernel_implIZZZNS0_21clamp_min_kernel_cudaERNS_18TensorIteratorBaseERKN3c106ScalarEENKUlvE_clEvENKUlvE7_clEvEUlNS5_8BFloat16EE_EEvS4_RKT_EUlibE0_EEviT1_.has_indirect_call, 0
	.section	.AMDGPU.csdata,"",@progbits
; Kernel info:
; codeLenInByte = 43760
; TotalNumSgprs: 86
; NumVgprs: 18
; NumAgprs: 0
; TotalNumVgprs: 18
; ScratchSize: 0
; MemoryBound: 0
; FloatMode: 240
; IeeeMode: 1
; LDSByteSize: 0 bytes/workgroup (compile time only)
; SGPRBlocks: 10
; VGPRBlocks: 2
; NumSGPRsForWavesPerEU: 86
; NumVGPRsForWavesPerEU: 18
; AccumOffset: 20
; Occupancy: 8
; WaveLimiterHint : 1
; COMPUTE_PGM_RSRC2:SCRATCH_EN: 0
; COMPUTE_PGM_RSRC2:USER_SGPR: 2
; COMPUTE_PGM_RSRC2:TRAP_HANDLER: 0
; COMPUTE_PGM_RSRC2:TGID_X_EN: 1
; COMPUTE_PGM_RSRC2:TGID_Y_EN: 0
; COMPUTE_PGM_RSRC2:TGID_Z_EN: 0
; COMPUTE_PGM_RSRC2:TIDIG_COMP_CNT: 0
; COMPUTE_PGM_RSRC3_GFX90A:ACCUM_OFFSET: 4
; COMPUTE_PGM_RSRC3_GFX90A:TG_SPLIT: 0
	.section	.text._ZN2at6native29vectorized_elementwise_kernelILi16EZZZNS0_21clamp_max_kernel_cudaERNS_18TensorIteratorBaseERKN3c106ScalarEENKUlvE_clEvENKUlvE_clEvEUlhE_St5arrayIPcLm2EEEEviT0_T1_,"axG",@progbits,_ZN2at6native29vectorized_elementwise_kernelILi16EZZZNS0_21clamp_max_kernel_cudaERNS_18TensorIteratorBaseERKN3c106ScalarEENKUlvE_clEvENKUlvE_clEvEUlhE_St5arrayIPcLm2EEEEviT0_T1_,comdat
	.globl	_ZN2at6native29vectorized_elementwise_kernelILi16EZZZNS0_21clamp_max_kernel_cudaERNS_18TensorIteratorBaseERKN3c106ScalarEENKUlvE_clEvENKUlvE_clEvEUlhE_St5arrayIPcLm2EEEEviT0_T1_ ; -- Begin function _ZN2at6native29vectorized_elementwise_kernelILi16EZZZNS0_21clamp_max_kernel_cudaERNS_18TensorIteratorBaseERKN3c106ScalarEENKUlvE_clEvENKUlvE_clEvEUlhE_St5arrayIPcLm2EEEEviT0_T1_
	.p2align	8
	.type	_ZN2at6native29vectorized_elementwise_kernelILi16EZZZNS0_21clamp_max_kernel_cudaERNS_18TensorIteratorBaseERKN3c106ScalarEENKUlvE_clEvENKUlvE_clEvEUlhE_St5arrayIPcLm2EEEEviT0_T1_,@function
_ZN2at6native29vectorized_elementwise_kernelILi16EZZZNS0_21clamp_max_kernel_cudaERNS_18TensorIteratorBaseERKN3c106ScalarEENKUlvE_clEvENKUlvE_clEvEUlhE_St5arrayIPcLm2EEEEviT0_T1_: ; @_ZN2at6native29vectorized_elementwise_kernelILi16EZZZNS0_21clamp_max_kernel_cudaERNS_18TensorIteratorBaseERKN3c106ScalarEENKUlvE_clEvENKUlvE_clEvEUlhE_St5arrayIPcLm2EEEEviT0_T1_
; %bb.0:
	s_load_dwordx2 s[8:9], s[0:1], 0x0
	s_load_dwordx4 s[4:7], s[0:1], 0x8
	s_lshl_b32 s33, s2, 12
	s_mov_b64 s[0:1], -1
	s_waitcnt lgkmcnt(0)
	s_sub_i32 s8, s8, s33
	s_cmpk_gt_i32 s8, 0xfff
	s_cbranch_scc0 .LBB418_2
; %bb.1:
	s_ashr_i32 s2, s33, 31
	s_add_u32 s0, s6, s33
	s_addc_u32 s1, s7, s2
	v_lshlrev_b32_e32 v1, 4, v0
	global_load_dwordx4 v[2:5], v1, s[0:1]
	s_movk_i32 s3, 0xff
	s_add_u32 s0, s4, s33
	s_addc_u32 s1, s5, s2
	s_and_b32 s2, s9, 0xff
	s_waitcnt vmcnt(0)
	v_and_b32_sdwa v6, v2, s3 dst_sel:DWORD dst_unused:UNUSED_PAD src0_sel:WORD_1 src1_sel:DWORD
	v_and_b32_sdwa v7, v3, s3 dst_sel:DWORD dst_unused:UNUSED_PAD src0_sel:WORD_1 src1_sel:DWORD
	v_and_b32_sdwa v8, v4, s3 dst_sel:DWORD dst_unused:UNUSED_PAD src0_sel:WORD_1 src1_sel:DWORD
	v_and_b32_sdwa v9, v5, s3 dst_sel:DWORD dst_unused:UNUSED_PAD src0_sel:WORD_1 src1_sel:DWORD
	v_min_u16_sdwa v10, v3, s2 dst_sel:DWORD dst_unused:UNUSED_PAD src0_sel:BYTE_0 src1_sel:DWORD
	v_min_u16_sdwa v11, v3, s2 dst_sel:BYTE_1 dst_unused:UNUSED_PAD src0_sel:BYTE_1 src1_sel:DWORD
	v_min_u16_sdwa v3, v3, s2 dst_sel:BYTE_1 dst_unused:UNUSED_PAD src0_sel:BYTE_3 src1_sel:DWORD
	v_min_u16_sdwa v12, v2, s2 dst_sel:DWORD dst_unused:UNUSED_PAD src0_sel:BYTE_0 src1_sel:DWORD
	v_min_u16_sdwa v13, v2, s2 dst_sel:BYTE_1 dst_unused:UNUSED_PAD src0_sel:BYTE_1 src1_sel:DWORD
	v_min_u16_sdwa v2, v2, s2 dst_sel:BYTE_1 dst_unused:UNUSED_PAD src0_sel:BYTE_3 src1_sel:DWORD
	v_min_u16_sdwa v14, v5, s2 dst_sel:DWORD dst_unused:UNUSED_PAD src0_sel:BYTE_0 src1_sel:DWORD
	v_min_u16_sdwa v15, v5, s2 dst_sel:BYTE_1 dst_unused:UNUSED_PAD src0_sel:BYTE_1 src1_sel:DWORD
	v_min_u16_sdwa v5, v5, s2 dst_sel:BYTE_1 dst_unused:UNUSED_PAD src0_sel:BYTE_3 src1_sel:DWORD
	v_min_u16_sdwa v16, v4, s2 dst_sel:DWORD dst_unused:UNUSED_PAD src0_sel:BYTE_0 src1_sel:DWORD
	v_min_u16_sdwa v17, v4, s2 dst_sel:BYTE_1 dst_unused:UNUSED_PAD src0_sel:BYTE_1 src1_sel:DWORD
	v_min_u16_sdwa v4, v4, s2 dst_sel:BYTE_1 dst_unused:UNUSED_PAD src0_sel:BYTE_3 src1_sel:DWORD
	v_min_u16_e32 v7, s2, v7
	v_min_u16_e32 v6, s2, v6
	;; [unrolled: 1-line block ×4, first 2 shown]
	v_or_b32_e32 v10, v10, v11
	v_or_b32_e32 v11, v12, v13
	;; [unrolled: 1-line block ×4, first 2 shown]
	v_or_b32_sdwa v3, v7, v3 dst_sel:WORD_1 dst_unused:UNUSED_PAD src0_sel:DWORD src1_sel:DWORD
	v_or_b32_sdwa v2, v6, v2 dst_sel:WORD_1 dst_unused:UNUSED_PAD src0_sel:DWORD src1_sel:DWORD
	v_or_b32_sdwa v5, v9, v5 dst_sel:WORD_1 dst_unused:UNUSED_PAD src0_sel:DWORD src1_sel:DWORD
	v_or_b32_sdwa v4, v8, v4 dst_sel:WORD_1 dst_unused:UNUSED_PAD src0_sel:DWORD src1_sel:DWORD
	v_or_b32_sdwa v3, v10, v3 dst_sel:DWORD dst_unused:UNUSED_PAD src0_sel:WORD_0 src1_sel:DWORD
	v_or_b32_sdwa v2, v11, v2 dst_sel:DWORD dst_unused:UNUSED_PAD src0_sel:WORD_0 src1_sel:DWORD
	;; [unrolled: 1-line block ×4, first 2 shown]
	global_store_dwordx4 v1, v[2:5], s[0:1]
	s_mov_b64 s[0:1], 0
.LBB418_2:
	s_andn2_b64 vcc, exec, s[0:1]
	s_cbranch_vccnz .LBB418_52
; %bb.3:
	v_cmp_gt_i32_e32 vcc, s8, v0
	v_or_b32_e32 v1, 0x100, v0
	v_mov_b32_e32 v20, 0
	v_or_b32_e32 v6, s33, v0
	v_mov_b32_e32 v19, 0
	v_mov_b32_e32 v18, 0
	;; [unrolled: 1-line block ×15, first 2 shown]
	s_and_saveexec_b64 s[2:3], vcc
	s_cbranch_execz .LBB418_35
; %bb.4:
	global_load_ubyte v7, v6, s[6:7]
	v_cmp_gt_u32_e64 s[0:1], s8, v1
	v_mov_b32_e32 v8, 0
	v_mov_b32_e32 v3, 0
	;; [unrolled: 1-line block ×15, first 2 shown]
	s_and_saveexec_b64 s[10:11], s[0:1]
	s_cbranch_execz .LBB418_34
; %bb.5:
	v_add_u32_e32 v2, s33, v0
	global_load_ubyte v8, v2, s[6:7] offset:256
	v_or_b32_e32 v4, 0x200, v0
	v_mov_b32_e32 v3, 0
	v_cmp_gt_u32_e64 s[0:1], s8, v4
	v_mov_b32_e32 v4, 0
	v_mov_b32_e32 v10, 0
	;; [unrolled: 1-line block ×13, first 2 shown]
	s_and_saveexec_b64 s[12:13], s[0:1]
	s_cbranch_execz .LBB418_33
; %bb.6:
	v_lshl_add_u64 v[4:5], s[6:7], 0, v[2:3]
	global_load_ubyte v2, v[4:5], off offset:512
	v_or_b32_e32 v9, 0x300, v0
	v_cmp_gt_u32_e64 s[0:1], s8, v9
	v_mov_b32_e32 v10, 0
	v_mov_b32_e32 v9, 0
	;; [unrolled: 1-line block ×12, first 2 shown]
	s_and_saveexec_b64 s[6:7], s[0:1]
	s_cbranch_execz .LBB418_32
; %bb.7:
	global_load_ubyte v3, v[4:5], off offset:768
	v_or_b32_e32 v9, 0x400, v0
	v_cmp_gt_u32_e64 s[0:1], s8, v9
	v_mov_b32_e32 v10, 0
	v_mov_b32_e32 v9, 0
	;; [unrolled: 1-line block ×12, first 2 shown]
	s_and_saveexec_b64 s[14:15], s[0:1]
	s_cbranch_execz .LBB418_31
; %bb.8:
	global_load_ubyte v10, v[4:5], off offset:1024
	v_or_b32_e32 v9, 0x500, v0
	v_cmp_gt_u32_e64 s[0:1], s8, v9
	v_mov_b32_e32 v9, 0
	v_mov_b32_e32 v11, 0
	;; [unrolled: 1-line block ×11, first 2 shown]
	s_and_saveexec_b64 s[16:17], s[0:1]
	s_cbranch_execz .LBB418_30
; %bb.9:
	global_load_ubyte v9, v[4:5], off offset:1280
	v_or_b32_e32 v11, 0x600, v0
	v_cmp_gt_u32_e64 s[0:1], s8, v11
	v_mov_b32_e32 v11, 0
	v_mov_b32_e32 v12, 0
	;; [unrolled: 1-line block ×10, first 2 shown]
	s_and_saveexec_b64 s[18:19], s[0:1]
	s_cbranch_execz .LBB418_29
; %bb.10:
	global_load_ubyte v11, v[4:5], off offset:1536
	v_or_b32_e32 v12, 0x700, v0
	v_cmp_gt_u32_e64 s[0:1], s8, v12
	v_mov_b32_e32 v12, 0
	v_mov_b32_e32 v13, 0
	;; [unrolled: 1-line block ×9, first 2 shown]
	s_and_saveexec_b64 s[20:21], s[0:1]
	s_cbranch_execz .LBB418_28
; %bb.11:
	global_load_ubyte v12, v[4:5], off offset:1792
	v_or_b32_e32 v13, 0x800, v0
	v_cmp_gt_u32_e64 s[0:1], s8, v13
	v_mov_b32_e32 v13, 0
	v_mov_b32_e32 v14, 0
	;; [unrolled: 1-line block ×8, first 2 shown]
	s_and_saveexec_b64 s[22:23], s[0:1]
	s_cbranch_execz .LBB418_27
; %bb.12:
	global_load_ubyte v13, v[4:5], off offset:2048
	v_or_b32_e32 v14, 0x900, v0
	v_cmp_gt_u32_e64 s[0:1], s8, v14
	v_mov_b32_e32 v14, 0
	v_mov_b32_e32 v15, 0
	;; [unrolled: 1-line block ×7, first 2 shown]
	s_and_saveexec_b64 s[24:25], s[0:1]
	s_cbranch_execz .LBB418_26
; %bb.13:
	global_load_ubyte v14, v[4:5], off offset:2304
	v_or_b32_e32 v15, 0xa00, v0
	v_cmp_gt_u32_e64 s[0:1], s8, v15
	v_mov_b32_e32 v15, 0
	v_mov_b32_e32 v16, 0
	;; [unrolled: 1-line block ×6, first 2 shown]
	s_and_saveexec_b64 s[26:27], s[0:1]
	s_cbranch_execz .LBB418_25
; %bb.14:
	global_load_ubyte v15, v[4:5], off offset:2560
	v_or_b32_e32 v16, 0xb00, v0
	v_cmp_gt_u32_e64 s[0:1], s8, v16
	v_mov_b32_e32 v16, 0
	v_mov_b32_e32 v17, 0
	;; [unrolled: 1-line block ×5, first 2 shown]
	s_and_saveexec_b64 s[28:29], s[0:1]
	s_cbranch_execz .LBB418_24
; %bb.15:
	global_load_ubyte v16, v[4:5], off offset:2816
	v_or_b32_e32 v17, 0xc00, v0
	v_cmp_gt_u32_e64 s[0:1], s8, v17
	v_mov_b32_e32 v17, 0
	v_mov_b32_e32 v18, 0
	;; [unrolled: 1-line block ×4, first 2 shown]
	s_and_saveexec_b64 s[30:31], s[0:1]
	s_cbranch_execz .LBB418_23
; %bb.16:
	global_load_ubyte v17, v[4:5], off offset:3072
	v_or_b32_e32 v18, 0xd00, v0
	v_cmp_gt_u32_e64 s[0:1], s8, v18
	v_mov_b32_e32 v18, 0
	v_mov_b32_e32 v19, 0
	;; [unrolled: 1-line block ×3, first 2 shown]
	s_and_saveexec_b64 s[34:35], s[0:1]
	s_cbranch_execz .LBB418_22
; %bb.17:
	global_load_ubyte v18, v[4:5], off offset:3328
	v_or_b32_e32 v19, 0xe00, v0
	v_cmp_gt_u32_e64 s[0:1], s8, v19
	v_mov_b32_e32 v19, 0
	v_mov_b32_e32 v20, 0
	s_and_saveexec_b64 s[36:37], s[0:1]
	s_cbranch_execz .LBB418_21
; %bb.18:
	global_load_ubyte v19, v[4:5], off offset:3584
	v_or_b32_e32 v20, 0xf00, v0
	v_cmp_gt_u32_e64 s[0:1], s8, v20
	v_mov_b32_e32 v20, 0
	s_and_saveexec_b64 s[38:39], s[0:1]
	s_cbranch_execz .LBB418_20
; %bb.19:
	global_load_ubyte v4, v[4:5], off offset:3840
	s_and_b32 s0, s9, 0xff
	s_waitcnt vmcnt(0)
	v_min_u16_e32 v20, s0, v4
.LBB418_20:
	s_or_b64 exec, exec, s[38:39]
.LBB418_21:
	s_or_b64 exec, exec, s[36:37]
.LBB418_22:
	s_or_b64 exec, exec, s[34:35]
.LBB418_23:
	s_or_b64 exec, exec, s[30:31]
.LBB418_24:
	s_or_b64 exec, exec, s[28:29]
.LBB418_25:
	s_or_b64 exec, exec, s[26:27]
.LBB418_26:
	s_or_b64 exec, exec, s[24:25]
.LBB418_27:
	s_or_b64 exec, exec, s[22:23]
.LBB418_28:
	s_or_b64 exec, exec, s[20:21]
.LBB418_29:
	s_or_b64 exec, exec, s[18:19]
.LBB418_30:
	s_or_b64 exec, exec, s[16:17]
.LBB418_31:
	s_or_b64 exec, exec, s[14:15]
.LBB418_32:
	s_or_b64 exec, exec, s[6:7]
	s_waitcnt vmcnt(0)
	v_mov_b32_e32 v4, v3
	v_mov_b32_e32 v3, v2
.LBB418_33:
	s_or_b64 exec, exec, s[12:13]
.LBB418_34:
	s_or_b64 exec, exec, s[10:11]
.LBB418_35:
	s_or_b64 exec, exec, s[2:3]
	s_and_b32 s3, s9, 0xff
	s_waitcnt vmcnt(0)
	v_min_u16_sdwa v2, v7, s3 dst_sel:DWORD dst_unused:UNUSED_PAD src0_sel:BYTE_0 src1_sel:DWORD
	s_movk_i32 s2, 0xff
	v_cndmask_b32_e32 v2, 0, v2, vcc
	v_min_u16_sdwa v5, v8, s3 dst_sel:BYTE_1 dst_unused:UNUSED_PAD src0_sel:BYTE_0 src1_sel:DWORD
	v_cmp_gt_i32_e64 s[0:1], s8, v1
	v_bitop3_b16 v5, v2, v5, s2 bitop3:0xec
	v_and_b32_e32 v5, 0xffff, v5
	v_cndmask_b32_e64 v2, v2, v5, s[0:1]
	v_or_b32_e32 v5, 0x200, v0
	v_min_u16_sdwa v3, v3, s3 dst_sel:WORD_1 dst_unused:UNUSED_PAD src0_sel:BYTE_0 src1_sel:DWORD
	v_cmp_gt_i32_e64 s[0:1], s8, v5
	v_or_b32_e32 v3, v2, v3
	v_min_u16_sdwa v4, v4, s3 dst_sel:BYTE_1 dst_unused:UNUSED_PAD src0_sel:BYTE_0 src1_sel:DWORD
	v_cndmask_b32_e64 v2, v2, v3, s[0:1]
	v_lshrrev_b32_e32 v3, 16, v2
	v_bitop3_b16 v3, v3, v4, s2 bitop3:0xec
	s_mov_b32 s6, 0xffff
	v_or_b32_e32 v5, 0x300, v0
	v_lshlrev_b32_e32 v3, 16, v3
	v_and_or_b32 v3, v2, s6, v3
	v_cmp_gt_i32_e64 s[0:1], s8, v5
	s_movk_i32 s7, 0xff00
	v_min_u16_sdwa v4, v9, s3 dst_sel:BYTE_1 dst_unused:UNUSED_PAD src0_sel:BYTE_0 src1_sel:DWORD
	v_cndmask_b32_e64 v5, v2, v3, s[0:1]
	v_min_u16_sdwa v2, v10, s3 dst_sel:DWORD dst_unused:UNUSED_PAD src0_sel:BYTE_0 src1_sel:DWORD
	v_bitop3_b16 v2, v2, 0, s7 bitop3:0xf8
	v_or_b32_e32 v3, 0x400, v0
	v_and_b32_e32 v2, 0xffff, v2
	v_cmp_gt_i32_e64 s[0:1], s8, v3
	v_or_b32_e32 v3, 0x500, v0
	v_min_u16_sdwa v7, v12, s3 dst_sel:BYTE_1 dst_unused:UNUSED_PAD src0_sel:BYTE_0 src1_sel:DWORD
	v_cndmask_b32_e64 v2, 0, v2, s[0:1]
	v_bitop3_b16 v4, v2, v4, s2 bitop3:0xec
	v_and_b32_e32 v4, 0xffff, v4
	v_cmp_gt_i32_e64 s[0:1], s8, v3
	v_min_u16_sdwa v8, v16, s3 dst_sel:BYTE_1 dst_unused:UNUSED_PAD src0_sel:BYTE_0 src1_sel:DWORD
	s_nop 0
	v_cndmask_b32_e64 v2, v2, v4, s[0:1]
	v_lshrrev_b32_e32 v3, 16, v2
	v_min_u16_sdwa v4, v11, s3 dst_sel:DWORD dst_unused:UNUSED_PAD src0_sel:BYTE_0 src1_sel:DWORD
	v_bitop3_b16 v3, v4, v3, s7 bitop3:0xf8
	v_or_b32_e32 v4, 0x600, v0
	v_lshlrev_b32_e32 v3, 16, v3
	v_and_or_b32 v3, v2, s6, v3
	v_cmp_gt_i32_e64 s[0:1], s8, v4
	v_or_b32_e32 v4, 0x700, v0
	s_nop 0
	v_cndmask_b32_e64 v2, v2, v3, s[0:1]
	v_lshrrev_b32_e32 v3, 16, v2
	v_bitop3_b16 v3, v3, v7, s2 bitop3:0xec
	v_lshlrev_b32_e32 v3, 16, v3
	v_and_or_b32 v3, v2, s6, v3
	v_cmp_gt_i32_e64 s[0:1], s8, v4
	v_min_u16_sdwa v7, v14, s3 dst_sel:BYTE_1 dst_unused:UNUSED_PAD src0_sel:BYTE_0 src1_sel:DWORD
	s_nop 0
	v_cndmask_b32_e64 v4, v2, v3, s[0:1]
	v_or_b32_e32 v2, 0x800, v0
	v_min_u16_sdwa v3, v13, s3 dst_sel:DWORD dst_unused:UNUSED_PAD src0_sel:BYTE_0 src1_sel:DWORD
	v_cmp_gt_i32_e64 s[0:1], s8, v2
	s_nop 1
	v_cndmask_b32_e64 v2, 0, v3, s[0:1]
	v_or_b32_e32 v3, 0x900, v0
	v_bitop3_b16 v7, v2, v7, s2 bitop3:0xec
	v_and_b32_e32 v7, 0xffff, v7
	v_cmp_gt_i32_e64 s[0:1], s8, v3
	v_or_b32_e32 v3, 0xa00, v0
	s_nop 0
	v_cndmask_b32_e64 v2, v2, v7, s[0:1]
	v_min_u16_sdwa v7, v15, s3 dst_sel:WORD_1 dst_unused:UNUSED_PAD src0_sel:BYTE_0 src1_sel:DWORD
	v_cmp_gt_i32_e64 s[0:1], s8, v3
	v_or_b32_e32 v7, v2, v7
	s_nop 0
	v_cndmask_b32_e64 v2, v2, v7, s[0:1]
	v_lshrrev_b32_e32 v3, 16, v2
	v_bitop3_b16 v3, v3, v8, s2 bitop3:0xec
	v_or_b32_e32 v7, 0xb00, v0
	v_lshlrev_b32_e32 v3, 16, v3
	v_and_or_b32 v3, v2, s6, v3
	v_cmp_gt_i32_e64 s[0:1], s8, v7
	v_min_u16_sdwa v7, v17, s3 dst_sel:DWORD dst_unused:UNUSED_PAD src0_sel:BYTE_0 src1_sel:DWORD
	v_min_u16_sdwa v8, v18, s3 dst_sel:BYTE_1 dst_unused:UNUSED_PAD src0_sel:BYTE_0 src1_sel:DWORD
	v_cndmask_b32_e64 v3, v2, v3, s[0:1]
	v_or_b32_e32 v2, 0xc00, v0
	v_cmp_gt_i32_e64 s[0:1], s8, v2
	s_nop 1
	v_cndmask_b32_e64 v2, 0, v7, s[0:1]
	v_or_b32_e32 v7, 0xd00, v0
	v_bitop3_b16 v8, v2, v8, s2 bitop3:0xec
	v_and_b32_e32 v8, 0xffff, v8
	v_cmp_gt_i32_e64 s[0:1], s8, v7
	s_nop 1
	v_cndmask_b32_e64 v2, v2, v8, s[0:1]
	v_lshrrev_b32_e32 v7, 16, v2
	v_min_u16_sdwa v8, v19, s3 dst_sel:DWORD dst_unused:UNUSED_PAD src0_sel:BYTE_0 src1_sel:DWORD
	v_bitop3_b16 v7, v8, v7, s7 bitop3:0xf8
	v_or_b32_e32 v8, 0xe00, v0
	v_lshlrev_b32_e32 v7, 16, v7
	v_and_or_b32 v7, v2, s6, v7
	v_cmp_gt_i32_e64 s[0:1], s8, v8
	s_nop 1
	v_cndmask_b32_e64 v2, v2, v7, s[0:1]
	v_or_b32_e32 v7, 0xf00, v0
	s_mov_b32 s0, 0x60504
	v_perm_b32 v8, v2, v20, s0
	v_cmp_gt_i32_e64 s[0:1], s8, v7
	s_nop 1
	v_cndmask_b32_e64 v2, v2, v8, s[0:1]
	s_and_saveexec_b64 s[0:1], vcc
	s_cbranch_execnz .LBB418_53
; %bb.36:
	s_or_b64 exec, exec, s[0:1]
	v_cmp_gt_i32_e32 vcc, s8, v0
	s_and_saveexec_b64 s[0:1], vcc
	s_cbranch_execnz .LBB418_54
.LBB418_37:
	s_or_b64 exec, exec, s[0:1]
	v_cmp_gt_i32_e32 vcc, s8, v0
	s_and_saveexec_b64 s[0:1], vcc
	s_cbranch_execnz .LBB418_55
.LBB418_38:
	s_or_b64 exec, exec, s[0:1]
	v_cmp_gt_i32_e32 vcc, s8, v0
	s_and_saveexec_b64 s[0:1], vcc
	s_cbranch_execnz .LBB418_56
.LBB418_39:
	s_or_b64 exec, exec, s[0:1]
	v_cmp_gt_i32_e32 vcc, s8, v0
	s_and_saveexec_b64 s[0:1], vcc
	s_cbranch_execnz .LBB418_57
.LBB418_40:
	s_or_b64 exec, exec, s[0:1]
	v_cmp_gt_i32_e32 vcc, s8, v0
	s_and_saveexec_b64 s[0:1], vcc
	s_cbranch_execnz .LBB418_58
.LBB418_41:
	s_or_b64 exec, exec, s[0:1]
	v_cmp_gt_i32_e32 vcc, s8, v0
	s_and_saveexec_b64 s[0:1], vcc
	s_cbranch_execnz .LBB418_59
.LBB418_42:
	s_or_b64 exec, exec, s[0:1]
	v_cmp_gt_i32_e32 vcc, s8, v0
	s_and_saveexec_b64 s[0:1], vcc
	s_cbranch_execnz .LBB418_60
.LBB418_43:
	s_or_b64 exec, exec, s[0:1]
	v_cmp_gt_i32_e32 vcc, s8, v0
	s_and_saveexec_b64 s[0:1], vcc
	s_cbranch_execnz .LBB418_61
.LBB418_44:
	s_or_b64 exec, exec, s[0:1]
	v_cmp_gt_i32_e32 vcc, s8, v0
	s_and_saveexec_b64 s[0:1], vcc
	s_cbranch_execnz .LBB418_62
.LBB418_45:
	s_or_b64 exec, exec, s[0:1]
	v_cmp_gt_i32_e32 vcc, s8, v0
	s_and_saveexec_b64 s[0:1], vcc
	s_cbranch_execnz .LBB418_63
.LBB418_46:
	s_or_b64 exec, exec, s[0:1]
	v_cmp_gt_i32_e32 vcc, s8, v0
	s_and_saveexec_b64 s[0:1], vcc
	s_cbranch_execnz .LBB418_64
.LBB418_47:
	s_or_b64 exec, exec, s[0:1]
	v_cmp_gt_i32_e32 vcc, s8, v0
	s_and_saveexec_b64 s[0:1], vcc
	s_cbranch_execnz .LBB418_65
.LBB418_48:
	s_or_b64 exec, exec, s[0:1]
	v_cmp_gt_i32_e32 vcc, s8, v0
	s_and_saveexec_b64 s[0:1], vcc
	s_cbranch_execnz .LBB418_66
.LBB418_49:
	s_or_b64 exec, exec, s[0:1]
	v_cmp_gt_i32_e32 vcc, s8, v0
	s_and_saveexec_b64 s[0:1], vcc
	s_cbranch_execnz .LBB418_67
.LBB418_50:
	s_or_b64 exec, exec, s[0:1]
	v_cmp_gt_i32_e32 vcc, s8, v0
	s_and_saveexec_b64 s[0:1], vcc
	s_cbranch_execz .LBB418_52
.LBB418_51:
	v_lshrrev_b32_e32 v1, 24, v2
	v_add_u32_e32 v0, s33, v0
	global_store_byte v0, v1, s[4:5]
.LBB418_52:
	s_endpgm
.LBB418_53:
	v_mov_b32_e32 v0, v1
	global_store_byte v6, v5, s[4:5]
	s_or_b64 exec, exec, s[0:1]
	v_cmp_gt_i32_e32 vcc, s8, v0
	s_and_saveexec_b64 s[0:1], vcc
	s_cbranch_execz .LBB418_37
.LBB418_54:
	v_lshrrev_b32_e32 v1, 8, v5
	v_add_u32_e32 v6, s33, v0
	v_add_u32_e32 v0, 0x100, v0
	global_store_byte v6, v1, s[4:5]
	s_or_b64 exec, exec, s[0:1]
	v_cmp_gt_i32_e32 vcc, s8, v0
	s_and_saveexec_b64 s[0:1], vcc
	s_cbranch_execz .LBB418_38
.LBB418_55:
	v_add_u32_e32 v1, s33, v0
	v_add_u32_e32 v0, 0x100, v0
	global_store_byte_d16_hi v1, v5, s[4:5]
	s_or_b64 exec, exec, s[0:1]
	v_cmp_gt_i32_e32 vcc, s8, v0
	s_and_saveexec_b64 s[0:1], vcc
	s_cbranch_execz .LBB418_39
.LBB418_56:
	v_lshrrev_b32_e32 v1, 24, v5
	v_add_u32_e32 v5, s33, v0
	v_add_u32_e32 v0, 0x100, v0
	global_store_byte v5, v1, s[4:5]
	s_or_b64 exec, exec, s[0:1]
	v_cmp_gt_i32_e32 vcc, s8, v0
	s_and_saveexec_b64 s[0:1], vcc
	s_cbranch_execz .LBB418_40
.LBB418_57:
	v_add_u32_e32 v1, s33, v0
	v_add_u32_e32 v0, 0x100, v0
	global_store_byte v1, v4, s[4:5]
	s_or_b64 exec, exec, s[0:1]
	v_cmp_gt_i32_e32 vcc, s8, v0
	s_and_saveexec_b64 s[0:1], vcc
	s_cbranch_execz .LBB418_41
.LBB418_58:
	v_lshrrev_b32_e32 v1, 8, v4
	v_add_u32_e32 v5, s33, v0
	v_add_u32_e32 v0, 0x100, v0
	global_store_byte v5, v1, s[4:5]
	s_or_b64 exec, exec, s[0:1]
	v_cmp_gt_i32_e32 vcc, s8, v0
	s_and_saveexec_b64 s[0:1], vcc
	s_cbranch_execz .LBB418_42
.LBB418_59:
	v_add_u32_e32 v1, s33, v0
	v_add_u32_e32 v0, 0x100, v0
	global_store_byte_d16_hi v1, v4, s[4:5]
	s_or_b64 exec, exec, s[0:1]
	v_cmp_gt_i32_e32 vcc, s8, v0
	s_and_saveexec_b64 s[0:1], vcc
	s_cbranch_execz .LBB418_43
.LBB418_60:
	v_lshrrev_b32_e32 v1, 24, v4
	v_add_u32_e32 v4, s33, v0
	v_add_u32_e32 v0, 0x100, v0
	global_store_byte v4, v1, s[4:5]
	s_or_b64 exec, exec, s[0:1]
	v_cmp_gt_i32_e32 vcc, s8, v0
	s_and_saveexec_b64 s[0:1], vcc
	s_cbranch_execz .LBB418_44
.LBB418_61:
	v_add_u32_e32 v1, s33, v0
	v_add_u32_e32 v0, 0x100, v0
	global_store_byte v1, v3, s[4:5]
	s_or_b64 exec, exec, s[0:1]
	v_cmp_gt_i32_e32 vcc, s8, v0
	s_and_saveexec_b64 s[0:1], vcc
	s_cbranch_execz .LBB418_45
.LBB418_62:
	v_lshrrev_b32_e32 v1, 8, v3
	v_add_u32_e32 v4, s33, v0
	v_add_u32_e32 v0, 0x100, v0
	global_store_byte v4, v1, s[4:5]
	s_or_b64 exec, exec, s[0:1]
	v_cmp_gt_i32_e32 vcc, s8, v0
	s_and_saveexec_b64 s[0:1], vcc
	s_cbranch_execz .LBB418_46
.LBB418_63:
	v_add_u32_e32 v1, s33, v0
	v_add_u32_e32 v0, 0x100, v0
	global_store_byte_d16_hi v1, v3, s[4:5]
	s_or_b64 exec, exec, s[0:1]
	v_cmp_gt_i32_e32 vcc, s8, v0
	s_and_saveexec_b64 s[0:1], vcc
	s_cbranch_execz .LBB418_47
.LBB418_64:
	v_lshrrev_b32_e32 v1, 24, v3
	v_add_u32_e32 v3, s33, v0
	v_add_u32_e32 v0, 0x100, v0
	global_store_byte v3, v1, s[4:5]
	s_or_b64 exec, exec, s[0:1]
	v_cmp_gt_i32_e32 vcc, s8, v0
	s_and_saveexec_b64 s[0:1], vcc
	s_cbranch_execz .LBB418_48
.LBB418_65:
	v_add_u32_e32 v1, s33, v0
	v_add_u32_e32 v0, 0x100, v0
	global_store_byte v1, v2, s[4:5]
	s_or_b64 exec, exec, s[0:1]
	v_cmp_gt_i32_e32 vcc, s8, v0
	s_and_saveexec_b64 s[0:1], vcc
	s_cbranch_execz .LBB418_49
.LBB418_66:
	v_lshrrev_b32_e32 v1, 8, v2
	v_add_u32_e32 v3, s33, v0
	v_add_u32_e32 v0, 0x100, v0
	global_store_byte v3, v1, s[4:5]
	s_or_b64 exec, exec, s[0:1]
	v_cmp_gt_i32_e32 vcc, s8, v0
	s_and_saveexec_b64 s[0:1], vcc
	s_cbranch_execz .LBB418_50
.LBB418_67:
	v_add_u32_e32 v1, s33, v0
	v_add_u32_e32 v0, 0x100, v0
	global_store_byte_d16_hi v1, v2, s[4:5]
	s_or_b64 exec, exec, s[0:1]
	v_cmp_gt_i32_e32 vcc, s8, v0
	s_and_saveexec_b64 s[0:1], vcc
	s_cbranch_execnz .LBB418_51
	s_branch .LBB418_52
	.section	.rodata,"a",@progbits
	.p2align	6, 0x0
	.amdhsa_kernel _ZN2at6native29vectorized_elementwise_kernelILi16EZZZNS0_21clamp_max_kernel_cudaERNS_18TensorIteratorBaseERKN3c106ScalarEENKUlvE_clEvENKUlvE_clEvEUlhE_St5arrayIPcLm2EEEEviT0_T1_
		.amdhsa_group_segment_fixed_size 0
		.amdhsa_private_segment_fixed_size 0
		.amdhsa_kernarg_size 24
		.amdhsa_user_sgpr_count 2
		.amdhsa_user_sgpr_dispatch_ptr 0
		.amdhsa_user_sgpr_queue_ptr 0
		.amdhsa_user_sgpr_kernarg_segment_ptr 1
		.amdhsa_user_sgpr_dispatch_id 0
		.amdhsa_user_sgpr_kernarg_preload_length 0
		.amdhsa_user_sgpr_kernarg_preload_offset 0
		.amdhsa_user_sgpr_private_segment_size 0
		.amdhsa_uses_dynamic_stack 0
		.amdhsa_enable_private_segment 0
		.amdhsa_system_sgpr_workgroup_id_x 1
		.amdhsa_system_sgpr_workgroup_id_y 0
		.amdhsa_system_sgpr_workgroup_id_z 0
		.amdhsa_system_sgpr_workgroup_info 0
		.amdhsa_system_vgpr_workitem_id 0
		.amdhsa_next_free_vgpr 21
		.amdhsa_next_free_sgpr 40
		.amdhsa_accum_offset 24
		.amdhsa_reserve_vcc 1
		.amdhsa_float_round_mode_32 0
		.amdhsa_float_round_mode_16_64 0
		.amdhsa_float_denorm_mode_32 3
		.amdhsa_float_denorm_mode_16_64 3
		.amdhsa_dx10_clamp 1
		.amdhsa_ieee_mode 1
		.amdhsa_fp16_overflow 0
		.amdhsa_tg_split 0
		.amdhsa_exception_fp_ieee_invalid_op 0
		.amdhsa_exception_fp_denorm_src 0
		.amdhsa_exception_fp_ieee_div_zero 0
		.amdhsa_exception_fp_ieee_overflow 0
		.amdhsa_exception_fp_ieee_underflow 0
		.amdhsa_exception_fp_ieee_inexact 0
		.amdhsa_exception_int_div_zero 0
	.end_amdhsa_kernel
	.section	.text._ZN2at6native29vectorized_elementwise_kernelILi16EZZZNS0_21clamp_max_kernel_cudaERNS_18TensorIteratorBaseERKN3c106ScalarEENKUlvE_clEvENKUlvE_clEvEUlhE_St5arrayIPcLm2EEEEviT0_T1_,"axG",@progbits,_ZN2at6native29vectorized_elementwise_kernelILi16EZZZNS0_21clamp_max_kernel_cudaERNS_18TensorIteratorBaseERKN3c106ScalarEENKUlvE_clEvENKUlvE_clEvEUlhE_St5arrayIPcLm2EEEEviT0_T1_,comdat
.Lfunc_end418:
	.size	_ZN2at6native29vectorized_elementwise_kernelILi16EZZZNS0_21clamp_max_kernel_cudaERNS_18TensorIteratorBaseERKN3c106ScalarEENKUlvE_clEvENKUlvE_clEvEUlhE_St5arrayIPcLm2EEEEviT0_T1_, .Lfunc_end418-_ZN2at6native29vectorized_elementwise_kernelILi16EZZZNS0_21clamp_max_kernel_cudaERNS_18TensorIteratorBaseERKN3c106ScalarEENKUlvE_clEvENKUlvE_clEvEUlhE_St5arrayIPcLm2EEEEviT0_T1_
                                        ; -- End function
	.set _ZN2at6native29vectorized_elementwise_kernelILi16EZZZNS0_21clamp_max_kernel_cudaERNS_18TensorIteratorBaseERKN3c106ScalarEENKUlvE_clEvENKUlvE_clEvEUlhE_St5arrayIPcLm2EEEEviT0_T1_.num_vgpr, 21
	.set _ZN2at6native29vectorized_elementwise_kernelILi16EZZZNS0_21clamp_max_kernel_cudaERNS_18TensorIteratorBaseERKN3c106ScalarEENKUlvE_clEvENKUlvE_clEvEUlhE_St5arrayIPcLm2EEEEviT0_T1_.num_agpr, 0
	.set _ZN2at6native29vectorized_elementwise_kernelILi16EZZZNS0_21clamp_max_kernel_cudaERNS_18TensorIteratorBaseERKN3c106ScalarEENKUlvE_clEvENKUlvE_clEvEUlhE_St5arrayIPcLm2EEEEviT0_T1_.numbered_sgpr, 40
	.set _ZN2at6native29vectorized_elementwise_kernelILi16EZZZNS0_21clamp_max_kernel_cudaERNS_18TensorIteratorBaseERKN3c106ScalarEENKUlvE_clEvENKUlvE_clEvEUlhE_St5arrayIPcLm2EEEEviT0_T1_.num_named_barrier, 0
	.set _ZN2at6native29vectorized_elementwise_kernelILi16EZZZNS0_21clamp_max_kernel_cudaERNS_18TensorIteratorBaseERKN3c106ScalarEENKUlvE_clEvENKUlvE_clEvEUlhE_St5arrayIPcLm2EEEEviT0_T1_.private_seg_size, 0
	.set _ZN2at6native29vectorized_elementwise_kernelILi16EZZZNS0_21clamp_max_kernel_cudaERNS_18TensorIteratorBaseERKN3c106ScalarEENKUlvE_clEvENKUlvE_clEvEUlhE_St5arrayIPcLm2EEEEviT0_T1_.uses_vcc, 1
	.set _ZN2at6native29vectorized_elementwise_kernelILi16EZZZNS0_21clamp_max_kernel_cudaERNS_18TensorIteratorBaseERKN3c106ScalarEENKUlvE_clEvENKUlvE_clEvEUlhE_St5arrayIPcLm2EEEEviT0_T1_.uses_flat_scratch, 0
	.set _ZN2at6native29vectorized_elementwise_kernelILi16EZZZNS0_21clamp_max_kernel_cudaERNS_18TensorIteratorBaseERKN3c106ScalarEENKUlvE_clEvENKUlvE_clEvEUlhE_St5arrayIPcLm2EEEEviT0_T1_.has_dyn_sized_stack, 0
	.set _ZN2at6native29vectorized_elementwise_kernelILi16EZZZNS0_21clamp_max_kernel_cudaERNS_18TensorIteratorBaseERKN3c106ScalarEENKUlvE_clEvENKUlvE_clEvEUlhE_St5arrayIPcLm2EEEEviT0_T1_.has_recursion, 0
	.set _ZN2at6native29vectorized_elementwise_kernelILi16EZZZNS0_21clamp_max_kernel_cudaERNS_18TensorIteratorBaseERKN3c106ScalarEENKUlvE_clEvENKUlvE_clEvEUlhE_St5arrayIPcLm2EEEEviT0_T1_.has_indirect_call, 0
	.section	.AMDGPU.csdata,"",@progbits
; Kernel info:
; codeLenInByte = 3080
; TotalNumSgprs: 46
; NumVgprs: 21
; NumAgprs: 0
; TotalNumVgprs: 21
; ScratchSize: 0
; MemoryBound: 0
; FloatMode: 240
; IeeeMode: 1
; LDSByteSize: 0 bytes/workgroup (compile time only)
; SGPRBlocks: 5
; VGPRBlocks: 2
; NumSGPRsForWavesPerEU: 46
; NumVGPRsForWavesPerEU: 21
; AccumOffset: 24
; Occupancy: 8
; WaveLimiterHint : 0
; COMPUTE_PGM_RSRC2:SCRATCH_EN: 0
; COMPUTE_PGM_RSRC2:USER_SGPR: 2
; COMPUTE_PGM_RSRC2:TRAP_HANDLER: 0
; COMPUTE_PGM_RSRC2:TGID_X_EN: 1
; COMPUTE_PGM_RSRC2:TGID_Y_EN: 0
; COMPUTE_PGM_RSRC2:TGID_Z_EN: 0
; COMPUTE_PGM_RSRC2:TIDIG_COMP_CNT: 0
; COMPUTE_PGM_RSRC3_GFX90A:ACCUM_OFFSET: 5
; COMPUTE_PGM_RSRC3_GFX90A:TG_SPLIT: 0
	.section	.text._ZN2at6native29vectorized_elementwise_kernelILi8EZZZNS0_21clamp_max_kernel_cudaERNS_18TensorIteratorBaseERKN3c106ScalarEENKUlvE_clEvENKUlvE_clEvEUlhE_St5arrayIPcLm2EEEEviT0_T1_,"axG",@progbits,_ZN2at6native29vectorized_elementwise_kernelILi8EZZZNS0_21clamp_max_kernel_cudaERNS_18TensorIteratorBaseERKN3c106ScalarEENKUlvE_clEvENKUlvE_clEvEUlhE_St5arrayIPcLm2EEEEviT0_T1_,comdat
	.globl	_ZN2at6native29vectorized_elementwise_kernelILi8EZZZNS0_21clamp_max_kernel_cudaERNS_18TensorIteratorBaseERKN3c106ScalarEENKUlvE_clEvENKUlvE_clEvEUlhE_St5arrayIPcLm2EEEEviT0_T1_ ; -- Begin function _ZN2at6native29vectorized_elementwise_kernelILi8EZZZNS0_21clamp_max_kernel_cudaERNS_18TensorIteratorBaseERKN3c106ScalarEENKUlvE_clEvENKUlvE_clEvEUlhE_St5arrayIPcLm2EEEEviT0_T1_
	.p2align	8
	.type	_ZN2at6native29vectorized_elementwise_kernelILi8EZZZNS0_21clamp_max_kernel_cudaERNS_18TensorIteratorBaseERKN3c106ScalarEENKUlvE_clEvENKUlvE_clEvEUlhE_St5arrayIPcLm2EEEEviT0_T1_,@function
_ZN2at6native29vectorized_elementwise_kernelILi8EZZZNS0_21clamp_max_kernel_cudaERNS_18TensorIteratorBaseERKN3c106ScalarEENKUlvE_clEvENKUlvE_clEvEUlhE_St5arrayIPcLm2EEEEviT0_T1_: ; @_ZN2at6native29vectorized_elementwise_kernelILi8EZZZNS0_21clamp_max_kernel_cudaERNS_18TensorIteratorBaseERKN3c106ScalarEENKUlvE_clEvENKUlvE_clEvEUlhE_St5arrayIPcLm2EEEEviT0_T1_
; %bb.0:
	s_load_dwordx2 s[8:9], s[0:1], 0x0
	s_load_dwordx4 s[4:7], s[0:1], 0x8
	s_lshl_b32 s33, s2, 12
	s_mov_b64 s[0:1], -1
	s_waitcnt lgkmcnt(0)
	s_sub_i32 s8, s8, s33
	s_cmpk_gt_i32 s8, 0xfff
	s_cbranch_scc0 .LBB419_2
; %bb.1:
	s_ashr_i32 s2, s33, 31
	s_add_u32 s0, s6, s33
	s_addc_u32 s1, s7, s2
	v_lshlrev_b32_e32 v1, 3, v0
	global_load_dwordx2 v[2:3], v1, s[0:1]
	global_load_dwordx2 v[4:5], v1, s[0:1] offset:2048
	s_movk_i32 s3, 0xff
	s_and_b32 s10, s9, 0xff
	s_add_u32 s0, s4, s33
	s_addc_u32 s1, s5, s2
	s_waitcnt vmcnt(1)
	v_lshrrev_b32_e32 v7, 8, v2
	v_and_b32_sdwa v8, v2, s3 dst_sel:DWORD dst_unused:UNUSED_PAD src0_sel:WORD_1 src1_sel:DWORD
	v_lshrrev_b32_e32 v10, 8, v3
	v_and_b32_sdwa v11, v3, s3 dst_sel:DWORD dst_unused:UNUSED_PAD src0_sel:WORD_1 src1_sel:DWORD
	v_min_u16_sdwa v6, v2, s10 dst_sel:DWORD dst_unused:UNUSED_PAD src0_sel:BYTE_0 src1_sel:DWORD
	v_min_u16_sdwa v2, v2, s10 dst_sel:BYTE_1 dst_unused:UNUSED_PAD src0_sel:BYTE_3 src1_sel:DWORD
	v_min_u16_sdwa v9, v3, s10 dst_sel:DWORD dst_unused:UNUSED_PAD src0_sel:BYTE_0 src1_sel:DWORD
	v_min_u16_sdwa v3, v3, s10 dst_sel:BYTE_1 dst_unused:UNUSED_PAD src0_sel:BYTE_3 src1_sel:DWORD
	s_waitcnt vmcnt(0)
	v_lshrrev_b32_e32 v13, 8, v4
	v_and_b32_sdwa v14, v4, s3 dst_sel:DWORD dst_unused:UNUSED_PAD src0_sel:WORD_1 src1_sel:DWORD
	v_lshrrev_b32_e32 v16, 8, v5
	v_and_b32_sdwa v17, v5, s3 dst_sel:DWORD dst_unused:UNUSED_PAD src0_sel:WORD_1 src1_sel:DWORD
	v_min_u16_e32 v8, s10, v8
	v_min_u16_sdwa v7, v7, s10 dst_sel:BYTE_1 dst_unused:UNUSED_PAD src0_sel:BYTE_0 src1_sel:DWORD
	v_min_u16_sdwa v10, v10, s10 dst_sel:BYTE_1 dst_unused:UNUSED_PAD src0_sel:BYTE_0 src1_sel:DWORD
	v_min_u16_e32 v11, s10, v11
	v_min_u16_sdwa v12, v4, s10 dst_sel:DWORD dst_unused:UNUSED_PAD src0_sel:BYTE_0 src1_sel:DWORD
	v_min_u16_sdwa v4, v4, s10 dst_sel:BYTE_1 dst_unused:UNUSED_PAD src0_sel:BYTE_3 src1_sel:DWORD
	v_min_u16_sdwa v15, v5, s10 dst_sel:DWORD dst_unused:UNUSED_PAD src0_sel:BYTE_0 src1_sel:DWORD
	v_min_u16_sdwa v5, v5, s10 dst_sel:BYTE_1 dst_unused:UNUSED_PAD src0_sel:BYTE_3 src1_sel:DWORD
	v_min_u16_sdwa v13, v13, s10 dst_sel:BYTE_1 dst_unused:UNUSED_PAD src0_sel:BYTE_0 src1_sel:DWORD
	v_min_u16_e32 v14, s10, v14
	v_min_u16_sdwa v16, v16, s10 dst_sel:BYTE_1 dst_unused:UNUSED_PAD src0_sel:BYTE_0 src1_sel:DWORD
	v_min_u16_e32 v17, s10, v17
	v_or_b32_sdwa v2, v8, v2 dst_sel:WORD_1 dst_unused:UNUSED_PAD src0_sel:DWORD src1_sel:DWORD
	v_or_b32_e32 v6, v6, v7
	v_or_b32_e32 v7, v9, v10
	v_or_b32_sdwa v3, v11, v3 dst_sel:WORD_1 dst_unused:UNUSED_PAD src0_sel:DWORD src1_sel:DWORD
	v_or_b32_e32 v8, v12, v13
	v_or_b32_sdwa v4, v14, v4 dst_sel:WORD_1 dst_unused:UNUSED_PAD src0_sel:DWORD src1_sel:DWORD
	;; [unrolled: 2-line block ×3, first 2 shown]
	v_or_b32_sdwa v2, v6, v2 dst_sel:DWORD dst_unused:UNUSED_PAD src0_sel:WORD_0 src1_sel:DWORD
	v_or_b32_sdwa v3, v7, v3 dst_sel:DWORD dst_unused:UNUSED_PAD src0_sel:WORD_0 src1_sel:DWORD
	;; [unrolled: 1-line block ×4, first 2 shown]
	global_store_dwordx2 v1, v[2:3], s[0:1]
	global_store_dwordx2 v1, v[4:5], s[0:1] offset:2048
	s_mov_b64 s[0:1], 0
.LBB419_2:
	s_andn2_b64 vcc, exec, s[0:1]
	s_cbranch_vccnz .LBB419_52
; %bb.3:
	v_cmp_gt_i32_e32 vcc, s8, v0
	v_or_b32_e32 v1, 0x100, v0
	v_mov_b32_e32 v20, 0
	v_or_b32_e32 v6, s33, v0
	v_mov_b32_e32 v19, 0
	v_mov_b32_e32 v18, 0
	;; [unrolled: 1-line block ×15, first 2 shown]
	s_and_saveexec_b64 s[2:3], vcc
	s_cbranch_execz .LBB419_35
; %bb.4:
	global_load_ubyte v7, v6, s[6:7]
	v_cmp_gt_u32_e64 s[0:1], s8, v1
	v_mov_b32_e32 v8, 0
	v_mov_b32_e32 v3, 0
	;; [unrolled: 1-line block ×15, first 2 shown]
	s_and_saveexec_b64 s[10:11], s[0:1]
	s_cbranch_execz .LBB419_34
; %bb.5:
	v_add_u32_e32 v2, s33, v0
	global_load_ubyte v8, v2, s[6:7] offset:256
	v_or_b32_e32 v4, 0x200, v0
	v_mov_b32_e32 v3, 0
	v_cmp_gt_u32_e64 s[0:1], s8, v4
	v_mov_b32_e32 v4, 0
	v_mov_b32_e32 v10, 0
	;; [unrolled: 1-line block ×13, first 2 shown]
	s_and_saveexec_b64 s[12:13], s[0:1]
	s_cbranch_execz .LBB419_33
; %bb.6:
	v_lshl_add_u64 v[4:5], s[6:7], 0, v[2:3]
	global_load_ubyte v2, v[4:5], off offset:512
	v_or_b32_e32 v9, 0x300, v0
	v_cmp_gt_u32_e64 s[0:1], s8, v9
	v_mov_b32_e32 v10, 0
	v_mov_b32_e32 v9, 0
	v_mov_b32_e32 v11, 0
	v_mov_b32_e32 v12, 0
	v_mov_b32_e32 v13, 0
	v_mov_b32_e32 v14, 0
	v_mov_b32_e32 v15, 0
	v_mov_b32_e32 v16, 0
	v_mov_b32_e32 v17, 0
	v_mov_b32_e32 v18, 0
	v_mov_b32_e32 v19, 0
	v_mov_b32_e32 v20, 0
	s_and_saveexec_b64 s[6:7], s[0:1]
	s_cbranch_execz .LBB419_32
; %bb.7:
	global_load_ubyte v3, v[4:5], off offset:768
	v_or_b32_e32 v9, 0x400, v0
	v_cmp_gt_u32_e64 s[0:1], s8, v9
	v_mov_b32_e32 v10, 0
	v_mov_b32_e32 v9, 0
	;; [unrolled: 1-line block ×12, first 2 shown]
	s_and_saveexec_b64 s[14:15], s[0:1]
	s_cbranch_execz .LBB419_31
; %bb.8:
	global_load_ubyte v10, v[4:5], off offset:1024
	v_or_b32_e32 v9, 0x500, v0
	v_cmp_gt_u32_e64 s[0:1], s8, v9
	v_mov_b32_e32 v9, 0
	v_mov_b32_e32 v11, 0
	;; [unrolled: 1-line block ×11, first 2 shown]
	s_and_saveexec_b64 s[16:17], s[0:1]
	s_cbranch_execz .LBB419_30
; %bb.9:
	global_load_ubyte v9, v[4:5], off offset:1280
	v_or_b32_e32 v11, 0x600, v0
	v_cmp_gt_u32_e64 s[0:1], s8, v11
	v_mov_b32_e32 v11, 0
	v_mov_b32_e32 v12, 0
	;; [unrolled: 1-line block ×10, first 2 shown]
	s_and_saveexec_b64 s[18:19], s[0:1]
	s_cbranch_execz .LBB419_29
; %bb.10:
	global_load_ubyte v11, v[4:5], off offset:1536
	v_or_b32_e32 v12, 0x700, v0
	v_cmp_gt_u32_e64 s[0:1], s8, v12
	v_mov_b32_e32 v12, 0
	v_mov_b32_e32 v13, 0
	;; [unrolled: 1-line block ×9, first 2 shown]
	s_and_saveexec_b64 s[20:21], s[0:1]
	s_cbranch_execz .LBB419_28
; %bb.11:
	global_load_ubyte v12, v[4:5], off offset:1792
	v_or_b32_e32 v13, 0x800, v0
	v_cmp_gt_u32_e64 s[0:1], s8, v13
	v_mov_b32_e32 v13, 0
	v_mov_b32_e32 v14, 0
	;; [unrolled: 1-line block ×8, first 2 shown]
	s_and_saveexec_b64 s[22:23], s[0:1]
	s_cbranch_execz .LBB419_27
; %bb.12:
	global_load_ubyte v13, v[4:5], off offset:2048
	v_or_b32_e32 v14, 0x900, v0
	v_cmp_gt_u32_e64 s[0:1], s8, v14
	v_mov_b32_e32 v14, 0
	v_mov_b32_e32 v15, 0
	v_mov_b32_e32 v16, 0
	v_mov_b32_e32 v17, 0
	v_mov_b32_e32 v18, 0
	v_mov_b32_e32 v19, 0
	v_mov_b32_e32 v20, 0
	s_and_saveexec_b64 s[24:25], s[0:1]
	s_cbranch_execz .LBB419_26
; %bb.13:
	global_load_ubyte v14, v[4:5], off offset:2304
	v_or_b32_e32 v15, 0xa00, v0
	v_cmp_gt_u32_e64 s[0:1], s8, v15
	v_mov_b32_e32 v15, 0
	v_mov_b32_e32 v16, 0
	;; [unrolled: 1-line block ×6, first 2 shown]
	s_and_saveexec_b64 s[26:27], s[0:1]
	s_cbranch_execz .LBB419_25
; %bb.14:
	global_load_ubyte v15, v[4:5], off offset:2560
	v_or_b32_e32 v16, 0xb00, v0
	v_cmp_gt_u32_e64 s[0:1], s8, v16
	v_mov_b32_e32 v16, 0
	v_mov_b32_e32 v17, 0
	;; [unrolled: 1-line block ×5, first 2 shown]
	s_and_saveexec_b64 s[28:29], s[0:1]
	s_cbranch_execz .LBB419_24
; %bb.15:
	global_load_ubyte v16, v[4:5], off offset:2816
	v_or_b32_e32 v17, 0xc00, v0
	v_cmp_gt_u32_e64 s[0:1], s8, v17
	v_mov_b32_e32 v17, 0
	v_mov_b32_e32 v18, 0
	;; [unrolled: 1-line block ×4, first 2 shown]
	s_and_saveexec_b64 s[30:31], s[0:1]
	s_cbranch_execz .LBB419_23
; %bb.16:
	global_load_ubyte v17, v[4:5], off offset:3072
	v_or_b32_e32 v18, 0xd00, v0
	v_cmp_gt_u32_e64 s[0:1], s8, v18
	v_mov_b32_e32 v18, 0
	v_mov_b32_e32 v19, 0
	v_mov_b32_e32 v20, 0
	s_and_saveexec_b64 s[34:35], s[0:1]
	s_cbranch_execz .LBB419_22
; %bb.17:
	global_load_ubyte v18, v[4:5], off offset:3328
	v_or_b32_e32 v19, 0xe00, v0
	v_cmp_gt_u32_e64 s[0:1], s8, v19
	v_mov_b32_e32 v19, 0
	v_mov_b32_e32 v20, 0
	s_and_saveexec_b64 s[36:37], s[0:1]
	s_cbranch_execz .LBB419_21
; %bb.18:
	global_load_ubyte v19, v[4:5], off offset:3584
	v_or_b32_e32 v20, 0xf00, v0
	v_cmp_gt_u32_e64 s[0:1], s8, v20
	v_mov_b32_e32 v20, 0
	s_and_saveexec_b64 s[38:39], s[0:1]
	s_cbranch_execz .LBB419_20
; %bb.19:
	global_load_ubyte v4, v[4:5], off offset:3840
	s_and_b32 s0, s9, 0xff
	s_waitcnt vmcnt(0)
	v_min_u16_e32 v20, s0, v4
.LBB419_20:
	s_or_b64 exec, exec, s[38:39]
.LBB419_21:
	s_or_b64 exec, exec, s[36:37]
.LBB419_22:
	s_or_b64 exec, exec, s[34:35]
.LBB419_23:
	s_or_b64 exec, exec, s[30:31]
.LBB419_24:
	s_or_b64 exec, exec, s[28:29]
.LBB419_25:
	s_or_b64 exec, exec, s[26:27]
.LBB419_26:
	s_or_b64 exec, exec, s[24:25]
.LBB419_27:
	s_or_b64 exec, exec, s[22:23]
.LBB419_28:
	s_or_b64 exec, exec, s[20:21]
.LBB419_29:
	s_or_b64 exec, exec, s[18:19]
.LBB419_30:
	s_or_b64 exec, exec, s[16:17]
.LBB419_31:
	s_or_b64 exec, exec, s[14:15]
.LBB419_32:
	s_or_b64 exec, exec, s[6:7]
	s_waitcnt vmcnt(0)
	v_mov_b32_e32 v4, v3
	v_mov_b32_e32 v3, v2
.LBB419_33:
	s_or_b64 exec, exec, s[12:13]
.LBB419_34:
	s_or_b64 exec, exec, s[10:11]
.LBB419_35:
	s_or_b64 exec, exec, s[2:3]
	s_and_b32 s3, s9, 0xff
	s_waitcnt vmcnt(0)
	v_min_u16_sdwa v2, v7, s3 dst_sel:DWORD dst_unused:UNUSED_PAD src0_sel:BYTE_0 src1_sel:DWORD
	s_movk_i32 s2, 0xff
	v_cndmask_b32_e32 v2, 0, v2, vcc
	v_min_u16_sdwa v5, v8, s3 dst_sel:BYTE_1 dst_unused:UNUSED_PAD src0_sel:BYTE_0 src1_sel:DWORD
	v_cmp_gt_i32_e64 s[0:1], s8, v1
	v_bitop3_b16 v5, v2, v5, s2 bitop3:0xec
	v_and_b32_e32 v5, 0xffff, v5
	v_cndmask_b32_e64 v2, v2, v5, s[0:1]
	v_or_b32_e32 v5, 0x200, v0
	v_min_u16_sdwa v3, v3, s3 dst_sel:WORD_1 dst_unused:UNUSED_PAD src0_sel:BYTE_0 src1_sel:DWORD
	v_cmp_gt_i32_e64 s[0:1], s8, v5
	v_or_b32_e32 v3, v2, v3
	v_min_u16_sdwa v4, v4, s3 dst_sel:BYTE_1 dst_unused:UNUSED_PAD src0_sel:BYTE_0 src1_sel:DWORD
	v_cndmask_b32_e64 v2, v2, v3, s[0:1]
	v_lshrrev_b32_e32 v3, 16, v2
	v_bitop3_b16 v3, v3, v4, s2 bitop3:0xec
	s_mov_b32 s6, 0xffff
	v_or_b32_e32 v5, 0x300, v0
	v_lshlrev_b32_e32 v3, 16, v3
	v_and_or_b32 v3, v2, s6, v3
	v_cmp_gt_i32_e64 s[0:1], s8, v5
	s_movk_i32 s7, 0xff00
	v_min_u16_sdwa v4, v9, s3 dst_sel:BYTE_1 dst_unused:UNUSED_PAD src0_sel:BYTE_0 src1_sel:DWORD
	v_cndmask_b32_e64 v5, v2, v3, s[0:1]
	v_min_u16_sdwa v2, v10, s3 dst_sel:DWORD dst_unused:UNUSED_PAD src0_sel:BYTE_0 src1_sel:DWORD
	v_bitop3_b16 v2, v2, 0, s7 bitop3:0xf8
	v_or_b32_e32 v3, 0x400, v0
	v_and_b32_e32 v2, 0xffff, v2
	v_cmp_gt_i32_e64 s[0:1], s8, v3
	v_or_b32_e32 v3, 0x500, v0
	v_min_u16_sdwa v7, v12, s3 dst_sel:BYTE_1 dst_unused:UNUSED_PAD src0_sel:BYTE_0 src1_sel:DWORD
	v_cndmask_b32_e64 v2, 0, v2, s[0:1]
	v_bitop3_b16 v4, v2, v4, s2 bitop3:0xec
	v_and_b32_e32 v4, 0xffff, v4
	v_cmp_gt_i32_e64 s[0:1], s8, v3
	v_min_u16_sdwa v8, v16, s3 dst_sel:BYTE_1 dst_unused:UNUSED_PAD src0_sel:BYTE_0 src1_sel:DWORD
	s_nop 0
	v_cndmask_b32_e64 v2, v2, v4, s[0:1]
	v_lshrrev_b32_e32 v3, 16, v2
	v_min_u16_sdwa v4, v11, s3 dst_sel:DWORD dst_unused:UNUSED_PAD src0_sel:BYTE_0 src1_sel:DWORD
	v_bitop3_b16 v3, v4, v3, s7 bitop3:0xf8
	v_or_b32_e32 v4, 0x600, v0
	v_lshlrev_b32_e32 v3, 16, v3
	v_and_or_b32 v3, v2, s6, v3
	v_cmp_gt_i32_e64 s[0:1], s8, v4
	v_or_b32_e32 v4, 0x700, v0
	s_nop 0
	v_cndmask_b32_e64 v2, v2, v3, s[0:1]
	v_lshrrev_b32_e32 v3, 16, v2
	v_bitop3_b16 v3, v3, v7, s2 bitop3:0xec
	v_lshlrev_b32_e32 v3, 16, v3
	v_and_or_b32 v3, v2, s6, v3
	v_cmp_gt_i32_e64 s[0:1], s8, v4
	v_min_u16_sdwa v7, v14, s3 dst_sel:BYTE_1 dst_unused:UNUSED_PAD src0_sel:BYTE_0 src1_sel:DWORD
	s_nop 0
	v_cndmask_b32_e64 v4, v2, v3, s[0:1]
	v_or_b32_e32 v2, 0x800, v0
	v_min_u16_sdwa v3, v13, s3 dst_sel:DWORD dst_unused:UNUSED_PAD src0_sel:BYTE_0 src1_sel:DWORD
	v_cmp_gt_i32_e64 s[0:1], s8, v2
	s_nop 1
	v_cndmask_b32_e64 v2, 0, v3, s[0:1]
	v_or_b32_e32 v3, 0x900, v0
	v_bitop3_b16 v7, v2, v7, s2 bitop3:0xec
	v_and_b32_e32 v7, 0xffff, v7
	v_cmp_gt_i32_e64 s[0:1], s8, v3
	v_or_b32_e32 v3, 0xa00, v0
	s_nop 0
	v_cndmask_b32_e64 v2, v2, v7, s[0:1]
	v_min_u16_sdwa v7, v15, s3 dst_sel:WORD_1 dst_unused:UNUSED_PAD src0_sel:BYTE_0 src1_sel:DWORD
	v_cmp_gt_i32_e64 s[0:1], s8, v3
	v_or_b32_e32 v7, v2, v7
	s_nop 0
	v_cndmask_b32_e64 v2, v2, v7, s[0:1]
	v_lshrrev_b32_e32 v3, 16, v2
	v_bitop3_b16 v3, v3, v8, s2 bitop3:0xec
	v_or_b32_e32 v7, 0xb00, v0
	v_lshlrev_b32_e32 v3, 16, v3
	v_and_or_b32 v3, v2, s6, v3
	v_cmp_gt_i32_e64 s[0:1], s8, v7
	v_min_u16_sdwa v7, v17, s3 dst_sel:DWORD dst_unused:UNUSED_PAD src0_sel:BYTE_0 src1_sel:DWORD
	v_min_u16_sdwa v8, v18, s3 dst_sel:BYTE_1 dst_unused:UNUSED_PAD src0_sel:BYTE_0 src1_sel:DWORD
	v_cndmask_b32_e64 v3, v2, v3, s[0:1]
	v_or_b32_e32 v2, 0xc00, v0
	v_cmp_gt_i32_e64 s[0:1], s8, v2
	s_nop 1
	v_cndmask_b32_e64 v2, 0, v7, s[0:1]
	v_or_b32_e32 v7, 0xd00, v0
	v_bitop3_b16 v8, v2, v8, s2 bitop3:0xec
	v_and_b32_e32 v8, 0xffff, v8
	v_cmp_gt_i32_e64 s[0:1], s8, v7
	s_nop 1
	v_cndmask_b32_e64 v2, v2, v8, s[0:1]
	v_lshrrev_b32_e32 v7, 16, v2
	v_min_u16_sdwa v8, v19, s3 dst_sel:DWORD dst_unused:UNUSED_PAD src0_sel:BYTE_0 src1_sel:DWORD
	v_bitop3_b16 v7, v8, v7, s7 bitop3:0xf8
	v_or_b32_e32 v8, 0xe00, v0
	v_lshlrev_b32_e32 v7, 16, v7
	v_and_or_b32 v7, v2, s6, v7
	v_cmp_gt_i32_e64 s[0:1], s8, v8
	s_nop 1
	v_cndmask_b32_e64 v2, v2, v7, s[0:1]
	v_or_b32_e32 v7, 0xf00, v0
	s_mov_b32 s0, 0x60504
	v_perm_b32 v8, v2, v20, s0
	v_cmp_gt_i32_e64 s[0:1], s8, v7
	s_nop 1
	v_cndmask_b32_e64 v2, v2, v8, s[0:1]
	s_and_saveexec_b64 s[0:1], vcc
	s_cbranch_execnz .LBB419_53
; %bb.36:
	s_or_b64 exec, exec, s[0:1]
	v_cmp_gt_i32_e32 vcc, s8, v0
	s_and_saveexec_b64 s[0:1], vcc
	s_cbranch_execnz .LBB419_54
.LBB419_37:
	s_or_b64 exec, exec, s[0:1]
	v_cmp_gt_i32_e32 vcc, s8, v0
	s_and_saveexec_b64 s[0:1], vcc
	s_cbranch_execnz .LBB419_55
.LBB419_38:
	s_or_b64 exec, exec, s[0:1]
	v_cmp_gt_i32_e32 vcc, s8, v0
	s_and_saveexec_b64 s[0:1], vcc
	s_cbranch_execnz .LBB419_56
.LBB419_39:
	s_or_b64 exec, exec, s[0:1]
	v_cmp_gt_i32_e32 vcc, s8, v0
	s_and_saveexec_b64 s[0:1], vcc
	s_cbranch_execnz .LBB419_57
.LBB419_40:
	s_or_b64 exec, exec, s[0:1]
	v_cmp_gt_i32_e32 vcc, s8, v0
	s_and_saveexec_b64 s[0:1], vcc
	s_cbranch_execnz .LBB419_58
.LBB419_41:
	s_or_b64 exec, exec, s[0:1]
	v_cmp_gt_i32_e32 vcc, s8, v0
	s_and_saveexec_b64 s[0:1], vcc
	s_cbranch_execnz .LBB419_59
.LBB419_42:
	s_or_b64 exec, exec, s[0:1]
	v_cmp_gt_i32_e32 vcc, s8, v0
	s_and_saveexec_b64 s[0:1], vcc
	s_cbranch_execnz .LBB419_60
.LBB419_43:
	s_or_b64 exec, exec, s[0:1]
	v_cmp_gt_i32_e32 vcc, s8, v0
	s_and_saveexec_b64 s[0:1], vcc
	s_cbranch_execnz .LBB419_61
.LBB419_44:
	s_or_b64 exec, exec, s[0:1]
	v_cmp_gt_i32_e32 vcc, s8, v0
	s_and_saveexec_b64 s[0:1], vcc
	s_cbranch_execnz .LBB419_62
.LBB419_45:
	s_or_b64 exec, exec, s[0:1]
	v_cmp_gt_i32_e32 vcc, s8, v0
	s_and_saveexec_b64 s[0:1], vcc
	s_cbranch_execnz .LBB419_63
.LBB419_46:
	s_or_b64 exec, exec, s[0:1]
	v_cmp_gt_i32_e32 vcc, s8, v0
	s_and_saveexec_b64 s[0:1], vcc
	s_cbranch_execnz .LBB419_64
.LBB419_47:
	s_or_b64 exec, exec, s[0:1]
	v_cmp_gt_i32_e32 vcc, s8, v0
	s_and_saveexec_b64 s[0:1], vcc
	s_cbranch_execnz .LBB419_65
.LBB419_48:
	s_or_b64 exec, exec, s[0:1]
	v_cmp_gt_i32_e32 vcc, s8, v0
	s_and_saveexec_b64 s[0:1], vcc
	s_cbranch_execnz .LBB419_66
.LBB419_49:
	s_or_b64 exec, exec, s[0:1]
	v_cmp_gt_i32_e32 vcc, s8, v0
	s_and_saveexec_b64 s[0:1], vcc
	s_cbranch_execnz .LBB419_67
.LBB419_50:
	s_or_b64 exec, exec, s[0:1]
	v_cmp_gt_i32_e32 vcc, s8, v0
	s_and_saveexec_b64 s[0:1], vcc
	s_cbranch_execz .LBB419_52
.LBB419_51:
	v_lshrrev_b32_e32 v1, 24, v2
	v_add_u32_e32 v0, s33, v0
	global_store_byte v0, v1, s[4:5]
.LBB419_52:
	s_endpgm
.LBB419_53:
	v_mov_b32_e32 v0, v1
	global_store_byte v6, v5, s[4:5]
	s_or_b64 exec, exec, s[0:1]
	v_cmp_gt_i32_e32 vcc, s8, v0
	s_and_saveexec_b64 s[0:1], vcc
	s_cbranch_execz .LBB419_37
.LBB419_54:
	v_lshrrev_b32_e32 v1, 8, v5
	v_add_u32_e32 v6, s33, v0
	v_add_u32_e32 v0, 0x100, v0
	global_store_byte v6, v1, s[4:5]
	s_or_b64 exec, exec, s[0:1]
	v_cmp_gt_i32_e32 vcc, s8, v0
	s_and_saveexec_b64 s[0:1], vcc
	s_cbranch_execz .LBB419_38
.LBB419_55:
	v_add_u32_e32 v1, s33, v0
	v_add_u32_e32 v0, 0x100, v0
	global_store_byte_d16_hi v1, v5, s[4:5]
	s_or_b64 exec, exec, s[0:1]
	v_cmp_gt_i32_e32 vcc, s8, v0
	s_and_saveexec_b64 s[0:1], vcc
	s_cbranch_execz .LBB419_39
.LBB419_56:
	v_lshrrev_b32_e32 v1, 24, v5
	v_add_u32_e32 v5, s33, v0
	v_add_u32_e32 v0, 0x100, v0
	global_store_byte v5, v1, s[4:5]
	s_or_b64 exec, exec, s[0:1]
	v_cmp_gt_i32_e32 vcc, s8, v0
	s_and_saveexec_b64 s[0:1], vcc
	s_cbranch_execz .LBB419_40
.LBB419_57:
	v_add_u32_e32 v1, s33, v0
	v_add_u32_e32 v0, 0x100, v0
	global_store_byte v1, v4, s[4:5]
	s_or_b64 exec, exec, s[0:1]
	v_cmp_gt_i32_e32 vcc, s8, v0
	s_and_saveexec_b64 s[0:1], vcc
	s_cbranch_execz .LBB419_41
.LBB419_58:
	v_lshrrev_b32_e32 v1, 8, v4
	v_add_u32_e32 v5, s33, v0
	v_add_u32_e32 v0, 0x100, v0
	global_store_byte v5, v1, s[4:5]
	s_or_b64 exec, exec, s[0:1]
	v_cmp_gt_i32_e32 vcc, s8, v0
	s_and_saveexec_b64 s[0:1], vcc
	s_cbranch_execz .LBB419_42
.LBB419_59:
	v_add_u32_e32 v1, s33, v0
	v_add_u32_e32 v0, 0x100, v0
	global_store_byte_d16_hi v1, v4, s[4:5]
	s_or_b64 exec, exec, s[0:1]
	v_cmp_gt_i32_e32 vcc, s8, v0
	s_and_saveexec_b64 s[0:1], vcc
	s_cbranch_execz .LBB419_43
.LBB419_60:
	v_lshrrev_b32_e32 v1, 24, v4
	v_add_u32_e32 v4, s33, v0
	v_add_u32_e32 v0, 0x100, v0
	global_store_byte v4, v1, s[4:5]
	s_or_b64 exec, exec, s[0:1]
	v_cmp_gt_i32_e32 vcc, s8, v0
	s_and_saveexec_b64 s[0:1], vcc
	s_cbranch_execz .LBB419_44
.LBB419_61:
	v_add_u32_e32 v1, s33, v0
	v_add_u32_e32 v0, 0x100, v0
	global_store_byte v1, v3, s[4:5]
	s_or_b64 exec, exec, s[0:1]
	v_cmp_gt_i32_e32 vcc, s8, v0
	s_and_saveexec_b64 s[0:1], vcc
	s_cbranch_execz .LBB419_45
.LBB419_62:
	v_lshrrev_b32_e32 v1, 8, v3
	v_add_u32_e32 v4, s33, v0
	v_add_u32_e32 v0, 0x100, v0
	global_store_byte v4, v1, s[4:5]
	s_or_b64 exec, exec, s[0:1]
	v_cmp_gt_i32_e32 vcc, s8, v0
	s_and_saveexec_b64 s[0:1], vcc
	s_cbranch_execz .LBB419_46
.LBB419_63:
	v_add_u32_e32 v1, s33, v0
	v_add_u32_e32 v0, 0x100, v0
	global_store_byte_d16_hi v1, v3, s[4:5]
	s_or_b64 exec, exec, s[0:1]
	v_cmp_gt_i32_e32 vcc, s8, v0
	s_and_saveexec_b64 s[0:1], vcc
	s_cbranch_execz .LBB419_47
.LBB419_64:
	v_lshrrev_b32_e32 v1, 24, v3
	v_add_u32_e32 v3, s33, v0
	v_add_u32_e32 v0, 0x100, v0
	global_store_byte v3, v1, s[4:5]
	s_or_b64 exec, exec, s[0:1]
	v_cmp_gt_i32_e32 vcc, s8, v0
	s_and_saveexec_b64 s[0:1], vcc
	s_cbranch_execz .LBB419_48
.LBB419_65:
	v_add_u32_e32 v1, s33, v0
	v_add_u32_e32 v0, 0x100, v0
	global_store_byte v1, v2, s[4:5]
	s_or_b64 exec, exec, s[0:1]
	v_cmp_gt_i32_e32 vcc, s8, v0
	s_and_saveexec_b64 s[0:1], vcc
	s_cbranch_execz .LBB419_49
.LBB419_66:
	v_lshrrev_b32_e32 v1, 8, v2
	v_add_u32_e32 v3, s33, v0
	v_add_u32_e32 v0, 0x100, v0
	global_store_byte v3, v1, s[4:5]
	s_or_b64 exec, exec, s[0:1]
	v_cmp_gt_i32_e32 vcc, s8, v0
	s_and_saveexec_b64 s[0:1], vcc
	s_cbranch_execz .LBB419_50
.LBB419_67:
	v_add_u32_e32 v1, s33, v0
	v_add_u32_e32 v0, 0x100, v0
	global_store_byte_d16_hi v1, v2, s[4:5]
	s_or_b64 exec, exec, s[0:1]
	v_cmp_gt_i32_e32 vcc, s8, v0
	s_and_saveexec_b64 s[0:1], vcc
	s_cbranch_execnz .LBB419_51
	s_branch .LBB419_52
	.section	.rodata,"a",@progbits
	.p2align	6, 0x0
	.amdhsa_kernel _ZN2at6native29vectorized_elementwise_kernelILi8EZZZNS0_21clamp_max_kernel_cudaERNS_18TensorIteratorBaseERKN3c106ScalarEENKUlvE_clEvENKUlvE_clEvEUlhE_St5arrayIPcLm2EEEEviT0_T1_
		.amdhsa_group_segment_fixed_size 0
		.amdhsa_private_segment_fixed_size 0
		.amdhsa_kernarg_size 24
		.amdhsa_user_sgpr_count 2
		.amdhsa_user_sgpr_dispatch_ptr 0
		.amdhsa_user_sgpr_queue_ptr 0
		.amdhsa_user_sgpr_kernarg_segment_ptr 1
		.amdhsa_user_sgpr_dispatch_id 0
		.amdhsa_user_sgpr_kernarg_preload_length 0
		.amdhsa_user_sgpr_kernarg_preload_offset 0
		.amdhsa_user_sgpr_private_segment_size 0
		.amdhsa_uses_dynamic_stack 0
		.amdhsa_enable_private_segment 0
		.amdhsa_system_sgpr_workgroup_id_x 1
		.amdhsa_system_sgpr_workgroup_id_y 0
		.amdhsa_system_sgpr_workgroup_id_z 0
		.amdhsa_system_sgpr_workgroup_info 0
		.amdhsa_system_vgpr_workitem_id 0
		.amdhsa_next_free_vgpr 21
		.amdhsa_next_free_sgpr 40
		.amdhsa_accum_offset 24
		.amdhsa_reserve_vcc 1
		.amdhsa_float_round_mode_32 0
		.amdhsa_float_round_mode_16_64 0
		.amdhsa_float_denorm_mode_32 3
		.amdhsa_float_denorm_mode_16_64 3
		.amdhsa_dx10_clamp 1
		.amdhsa_ieee_mode 1
		.amdhsa_fp16_overflow 0
		.amdhsa_tg_split 0
		.amdhsa_exception_fp_ieee_invalid_op 0
		.amdhsa_exception_fp_denorm_src 0
		.amdhsa_exception_fp_ieee_div_zero 0
		.amdhsa_exception_fp_ieee_overflow 0
		.amdhsa_exception_fp_ieee_underflow 0
		.amdhsa_exception_fp_ieee_inexact 0
		.amdhsa_exception_int_div_zero 0
	.end_amdhsa_kernel
	.section	.text._ZN2at6native29vectorized_elementwise_kernelILi8EZZZNS0_21clamp_max_kernel_cudaERNS_18TensorIteratorBaseERKN3c106ScalarEENKUlvE_clEvENKUlvE_clEvEUlhE_St5arrayIPcLm2EEEEviT0_T1_,"axG",@progbits,_ZN2at6native29vectorized_elementwise_kernelILi8EZZZNS0_21clamp_max_kernel_cudaERNS_18TensorIteratorBaseERKN3c106ScalarEENKUlvE_clEvENKUlvE_clEvEUlhE_St5arrayIPcLm2EEEEviT0_T1_,comdat
.Lfunc_end419:
	.size	_ZN2at6native29vectorized_elementwise_kernelILi8EZZZNS0_21clamp_max_kernel_cudaERNS_18TensorIteratorBaseERKN3c106ScalarEENKUlvE_clEvENKUlvE_clEvEUlhE_St5arrayIPcLm2EEEEviT0_T1_, .Lfunc_end419-_ZN2at6native29vectorized_elementwise_kernelILi8EZZZNS0_21clamp_max_kernel_cudaERNS_18TensorIteratorBaseERKN3c106ScalarEENKUlvE_clEvENKUlvE_clEvEUlhE_St5arrayIPcLm2EEEEviT0_T1_
                                        ; -- End function
	.set _ZN2at6native29vectorized_elementwise_kernelILi8EZZZNS0_21clamp_max_kernel_cudaERNS_18TensorIteratorBaseERKN3c106ScalarEENKUlvE_clEvENKUlvE_clEvEUlhE_St5arrayIPcLm2EEEEviT0_T1_.num_vgpr, 21
	.set _ZN2at6native29vectorized_elementwise_kernelILi8EZZZNS0_21clamp_max_kernel_cudaERNS_18TensorIteratorBaseERKN3c106ScalarEENKUlvE_clEvENKUlvE_clEvEUlhE_St5arrayIPcLm2EEEEviT0_T1_.num_agpr, 0
	.set _ZN2at6native29vectorized_elementwise_kernelILi8EZZZNS0_21clamp_max_kernel_cudaERNS_18TensorIteratorBaseERKN3c106ScalarEENKUlvE_clEvENKUlvE_clEvEUlhE_St5arrayIPcLm2EEEEviT0_T1_.numbered_sgpr, 40
	.set _ZN2at6native29vectorized_elementwise_kernelILi8EZZZNS0_21clamp_max_kernel_cudaERNS_18TensorIteratorBaseERKN3c106ScalarEENKUlvE_clEvENKUlvE_clEvEUlhE_St5arrayIPcLm2EEEEviT0_T1_.num_named_barrier, 0
	.set _ZN2at6native29vectorized_elementwise_kernelILi8EZZZNS0_21clamp_max_kernel_cudaERNS_18TensorIteratorBaseERKN3c106ScalarEENKUlvE_clEvENKUlvE_clEvEUlhE_St5arrayIPcLm2EEEEviT0_T1_.private_seg_size, 0
	.set _ZN2at6native29vectorized_elementwise_kernelILi8EZZZNS0_21clamp_max_kernel_cudaERNS_18TensorIteratorBaseERKN3c106ScalarEENKUlvE_clEvENKUlvE_clEvEUlhE_St5arrayIPcLm2EEEEviT0_T1_.uses_vcc, 1
	.set _ZN2at6native29vectorized_elementwise_kernelILi8EZZZNS0_21clamp_max_kernel_cudaERNS_18TensorIteratorBaseERKN3c106ScalarEENKUlvE_clEvENKUlvE_clEvEUlhE_St5arrayIPcLm2EEEEviT0_T1_.uses_flat_scratch, 0
	.set _ZN2at6native29vectorized_elementwise_kernelILi8EZZZNS0_21clamp_max_kernel_cudaERNS_18TensorIteratorBaseERKN3c106ScalarEENKUlvE_clEvENKUlvE_clEvEUlhE_St5arrayIPcLm2EEEEviT0_T1_.has_dyn_sized_stack, 0
	.set _ZN2at6native29vectorized_elementwise_kernelILi8EZZZNS0_21clamp_max_kernel_cudaERNS_18TensorIteratorBaseERKN3c106ScalarEENKUlvE_clEvENKUlvE_clEvEUlhE_St5arrayIPcLm2EEEEviT0_T1_.has_recursion, 0
	.set _ZN2at6native29vectorized_elementwise_kernelILi8EZZZNS0_21clamp_max_kernel_cudaERNS_18TensorIteratorBaseERKN3c106ScalarEENKUlvE_clEvENKUlvE_clEvEUlhE_St5arrayIPcLm2EEEEviT0_T1_.has_indirect_call, 0
	.section	.AMDGPU.csdata,"",@progbits
; Kernel info:
; codeLenInByte = 3116
; TotalNumSgprs: 46
; NumVgprs: 21
; NumAgprs: 0
; TotalNumVgprs: 21
; ScratchSize: 0
; MemoryBound: 0
; FloatMode: 240
; IeeeMode: 1
; LDSByteSize: 0 bytes/workgroup (compile time only)
; SGPRBlocks: 5
; VGPRBlocks: 2
; NumSGPRsForWavesPerEU: 46
; NumVGPRsForWavesPerEU: 21
; AccumOffset: 24
; Occupancy: 8
; WaveLimiterHint : 1
; COMPUTE_PGM_RSRC2:SCRATCH_EN: 0
; COMPUTE_PGM_RSRC2:USER_SGPR: 2
; COMPUTE_PGM_RSRC2:TRAP_HANDLER: 0
; COMPUTE_PGM_RSRC2:TGID_X_EN: 1
; COMPUTE_PGM_RSRC2:TGID_Y_EN: 0
; COMPUTE_PGM_RSRC2:TGID_Z_EN: 0
; COMPUTE_PGM_RSRC2:TIDIG_COMP_CNT: 0
; COMPUTE_PGM_RSRC3_GFX90A:ACCUM_OFFSET: 5
; COMPUTE_PGM_RSRC3_GFX90A:TG_SPLIT: 0
	.section	.text._ZN2at6native29vectorized_elementwise_kernelILi4EZZZNS0_21clamp_max_kernel_cudaERNS_18TensorIteratorBaseERKN3c106ScalarEENKUlvE_clEvENKUlvE_clEvEUlhE_St5arrayIPcLm2EEEEviT0_T1_,"axG",@progbits,_ZN2at6native29vectorized_elementwise_kernelILi4EZZZNS0_21clamp_max_kernel_cudaERNS_18TensorIteratorBaseERKN3c106ScalarEENKUlvE_clEvENKUlvE_clEvEUlhE_St5arrayIPcLm2EEEEviT0_T1_,comdat
	.globl	_ZN2at6native29vectorized_elementwise_kernelILi4EZZZNS0_21clamp_max_kernel_cudaERNS_18TensorIteratorBaseERKN3c106ScalarEENKUlvE_clEvENKUlvE_clEvEUlhE_St5arrayIPcLm2EEEEviT0_T1_ ; -- Begin function _ZN2at6native29vectorized_elementwise_kernelILi4EZZZNS0_21clamp_max_kernel_cudaERNS_18TensorIteratorBaseERKN3c106ScalarEENKUlvE_clEvENKUlvE_clEvEUlhE_St5arrayIPcLm2EEEEviT0_T1_
	.p2align	8
	.type	_ZN2at6native29vectorized_elementwise_kernelILi4EZZZNS0_21clamp_max_kernel_cudaERNS_18TensorIteratorBaseERKN3c106ScalarEENKUlvE_clEvENKUlvE_clEvEUlhE_St5arrayIPcLm2EEEEviT0_T1_,@function
_ZN2at6native29vectorized_elementwise_kernelILi4EZZZNS0_21clamp_max_kernel_cudaERNS_18TensorIteratorBaseERKN3c106ScalarEENKUlvE_clEvENKUlvE_clEvEUlhE_St5arrayIPcLm2EEEEviT0_T1_: ; @_ZN2at6native29vectorized_elementwise_kernelILi4EZZZNS0_21clamp_max_kernel_cudaERNS_18TensorIteratorBaseERKN3c106ScalarEENKUlvE_clEvENKUlvE_clEvEUlhE_St5arrayIPcLm2EEEEviT0_T1_
; %bb.0:
	s_load_dwordx2 s[8:9], s[0:1], 0x0
	s_load_dwordx4 s[4:7], s[0:1], 0x8
	s_lshl_b32 s33, s2, 12
	s_mov_b64 s[0:1], -1
	s_waitcnt lgkmcnt(0)
	s_sub_i32 s8, s8, s33
	s_cmpk_gt_i32 s8, 0xfff
	s_cbranch_scc0 .LBB420_2
; %bb.1:
	s_ashr_i32 s2, s33, 31
	s_add_u32 s0, s6, s33
	s_addc_u32 s1, s7, s2
	v_lshlrev_b32_e32 v1, 2, v0
	global_load_dword v2, v1, s[0:1]
	global_load_dword v3, v1, s[0:1] offset:1024
	global_load_dword v4, v1, s[0:1] offset:2048
	;; [unrolled: 1-line block ×3, first 2 shown]
	s_movk_i32 s3, 0xff
	s_and_b32 s10, s9, 0xff
	s_add_u32 s0, s4, s33
	s_addc_u32 s1, s5, s2
	s_waitcnt vmcnt(3)
	v_lshrrev_b32_e32 v7, 8, v2
	v_and_b32_sdwa v8, v2, s3 dst_sel:DWORD dst_unused:UNUSED_PAD src0_sel:WORD_1 src1_sel:DWORD
	v_min_u16_sdwa v6, v2, s10 dst_sel:DWORD dst_unused:UNUSED_PAD src0_sel:BYTE_0 src1_sel:DWORD
	v_min_u16_sdwa v2, v2, s10 dst_sel:BYTE_1 dst_unused:UNUSED_PAD src0_sel:BYTE_3 src1_sel:DWORD
	s_waitcnt vmcnt(2)
	v_lshrrev_b32_e32 v10, 8, v3
	v_and_b32_sdwa v11, v3, s3 dst_sel:DWORD dst_unused:UNUSED_PAD src0_sel:WORD_1 src1_sel:DWORD
	s_waitcnt vmcnt(1)
	v_lshrrev_b32_e32 v13, 8, v4
	v_and_b32_sdwa v14, v4, s3 dst_sel:DWORD dst_unused:UNUSED_PAD src0_sel:WORD_1 src1_sel:DWORD
	;; [unrolled: 3-line block ×3, first 2 shown]
	v_min_u16_sdwa v7, v7, s10 dst_sel:BYTE_1 dst_unused:UNUSED_PAD src0_sel:BYTE_0 src1_sel:DWORD
	v_min_u16_e32 v8, s10, v8
	v_min_u16_sdwa v9, v3, s10 dst_sel:DWORD dst_unused:UNUSED_PAD src0_sel:BYTE_0 src1_sel:DWORD
	v_min_u16_sdwa v3, v3, s10 dst_sel:BYTE_1 dst_unused:UNUSED_PAD src0_sel:BYTE_3 src1_sel:DWORD
	v_min_u16_sdwa v12, v4, s10 dst_sel:DWORD dst_unused:UNUSED_PAD src0_sel:BYTE_0 src1_sel:DWORD
	v_min_u16_sdwa v4, v4, s10 dst_sel:BYTE_1 dst_unused:UNUSED_PAD src0_sel:BYTE_3 src1_sel:DWORD
	;; [unrolled: 2-line block ×3, first 2 shown]
	v_min_u16_sdwa v10, v10, s10 dst_sel:BYTE_1 dst_unused:UNUSED_PAD src0_sel:BYTE_0 src1_sel:DWORD
	v_min_u16_e32 v11, s10, v11
	v_min_u16_sdwa v13, v13, s10 dst_sel:BYTE_1 dst_unused:UNUSED_PAD src0_sel:BYTE_0 src1_sel:DWORD
	v_min_u16_e32 v14, s10, v14
	;; [unrolled: 2-line block ×3, first 2 shown]
	v_or_b32_e32 v6, v6, v7
	v_or_b32_sdwa v2, v8, v2 dst_sel:WORD_1 dst_unused:UNUSED_PAD src0_sel:DWORD src1_sel:DWORD
	v_or_b32_e32 v15, v15, v16
	v_or_b32_sdwa v5, v17, v5 dst_sel:WORD_1 dst_unused:UNUSED_PAD src0_sel:DWORD src1_sel:DWORD
	;; [unrolled: 2-line block ×4, first 2 shown]
	v_or_b32_sdwa v2, v6, v2 dst_sel:DWORD dst_unused:UNUSED_PAD src0_sel:WORD_0 src1_sel:DWORD
	v_or_b32_sdwa v5, v15, v5 dst_sel:DWORD dst_unused:UNUSED_PAD src0_sel:WORD_0 src1_sel:DWORD
	;; [unrolled: 1-line block ×4, first 2 shown]
	global_store_dword v1, v2, s[0:1]
	global_store_dword v1, v3, s[0:1] offset:1024
	global_store_dword v1, v4, s[0:1] offset:2048
	;; [unrolled: 1-line block ×3, first 2 shown]
	s_mov_b64 s[0:1], 0
.LBB420_2:
	s_andn2_b64 vcc, exec, s[0:1]
	s_cbranch_vccnz .LBB420_52
; %bb.3:
	v_cmp_gt_i32_e32 vcc, s8, v0
	v_or_b32_e32 v1, 0x100, v0
	v_mov_b32_e32 v20, 0
	v_or_b32_e32 v6, s33, v0
	v_mov_b32_e32 v19, 0
	v_mov_b32_e32 v18, 0
	;; [unrolled: 1-line block ×15, first 2 shown]
	s_and_saveexec_b64 s[2:3], vcc
	s_cbranch_execz .LBB420_35
; %bb.4:
	global_load_ubyte v7, v6, s[6:7]
	v_cmp_gt_u32_e64 s[0:1], s8, v1
	v_mov_b32_e32 v8, 0
	v_mov_b32_e32 v3, 0
	;; [unrolled: 1-line block ×15, first 2 shown]
	s_and_saveexec_b64 s[10:11], s[0:1]
	s_cbranch_execz .LBB420_34
; %bb.5:
	v_add_u32_e32 v2, s33, v0
	global_load_ubyte v8, v2, s[6:7] offset:256
	v_or_b32_e32 v4, 0x200, v0
	v_mov_b32_e32 v3, 0
	v_cmp_gt_u32_e64 s[0:1], s8, v4
	v_mov_b32_e32 v4, 0
	v_mov_b32_e32 v10, 0
	;; [unrolled: 1-line block ×13, first 2 shown]
	s_and_saveexec_b64 s[12:13], s[0:1]
	s_cbranch_execz .LBB420_33
; %bb.6:
	v_lshl_add_u64 v[4:5], s[6:7], 0, v[2:3]
	global_load_ubyte v2, v[4:5], off offset:512
	v_or_b32_e32 v9, 0x300, v0
	v_cmp_gt_u32_e64 s[0:1], s8, v9
	v_mov_b32_e32 v10, 0
	v_mov_b32_e32 v9, 0
	;; [unrolled: 1-line block ×12, first 2 shown]
	s_and_saveexec_b64 s[6:7], s[0:1]
	s_cbranch_execz .LBB420_32
; %bb.7:
	global_load_ubyte v3, v[4:5], off offset:768
	v_or_b32_e32 v9, 0x400, v0
	v_cmp_gt_u32_e64 s[0:1], s8, v9
	v_mov_b32_e32 v10, 0
	v_mov_b32_e32 v9, 0
	v_mov_b32_e32 v11, 0
	v_mov_b32_e32 v12, 0
	v_mov_b32_e32 v13, 0
	v_mov_b32_e32 v14, 0
	v_mov_b32_e32 v15, 0
	v_mov_b32_e32 v16, 0
	v_mov_b32_e32 v17, 0
	v_mov_b32_e32 v18, 0
	v_mov_b32_e32 v19, 0
	v_mov_b32_e32 v20, 0
	s_and_saveexec_b64 s[14:15], s[0:1]
	s_cbranch_execz .LBB420_31
; %bb.8:
	global_load_ubyte v10, v[4:5], off offset:1024
	v_or_b32_e32 v9, 0x500, v0
	v_cmp_gt_u32_e64 s[0:1], s8, v9
	v_mov_b32_e32 v9, 0
	v_mov_b32_e32 v11, 0
	;; [unrolled: 1-line block ×11, first 2 shown]
	s_and_saveexec_b64 s[16:17], s[0:1]
	s_cbranch_execz .LBB420_30
; %bb.9:
	global_load_ubyte v9, v[4:5], off offset:1280
	v_or_b32_e32 v11, 0x600, v0
	v_cmp_gt_u32_e64 s[0:1], s8, v11
	v_mov_b32_e32 v11, 0
	v_mov_b32_e32 v12, 0
	;; [unrolled: 1-line block ×10, first 2 shown]
	s_and_saveexec_b64 s[18:19], s[0:1]
	s_cbranch_execz .LBB420_29
; %bb.10:
	global_load_ubyte v11, v[4:5], off offset:1536
	v_or_b32_e32 v12, 0x700, v0
	v_cmp_gt_u32_e64 s[0:1], s8, v12
	v_mov_b32_e32 v12, 0
	v_mov_b32_e32 v13, 0
	;; [unrolled: 1-line block ×9, first 2 shown]
	s_and_saveexec_b64 s[20:21], s[0:1]
	s_cbranch_execz .LBB420_28
; %bb.11:
	global_load_ubyte v12, v[4:5], off offset:1792
	v_or_b32_e32 v13, 0x800, v0
	v_cmp_gt_u32_e64 s[0:1], s8, v13
	v_mov_b32_e32 v13, 0
	v_mov_b32_e32 v14, 0
	;; [unrolled: 1-line block ×8, first 2 shown]
	s_and_saveexec_b64 s[22:23], s[0:1]
	s_cbranch_execz .LBB420_27
; %bb.12:
	global_load_ubyte v13, v[4:5], off offset:2048
	v_or_b32_e32 v14, 0x900, v0
	v_cmp_gt_u32_e64 s[0:1], s8, v14
	v_mov_b32_e32 v14, 0
	v_mov_b32_e32 v15, 0
	;; [unrolled: 1-line block ×7, first 2 shown]
	s_and_saveexec_b64 s[24:25], s[0:1]
	s_cbranch_execz .LBB420_26
; %bb.13:
	global_load_ubyte v14, v[4:5], off offset:2304
	v_or_b32_e32 v15, 0xa00, v0
	v_cmp_gt_u32_e64 s[0:1], s8, v15
	v_mov_b32_e32 v15, 0
	v_mov_b32_e32 v16, 0
	;; [unrolled: 1-line block ×6, first 2 shown]
	s_and_saveexec_b64 s[26:27], s[0:1]
	s_cbranch_execz .LBB420_25
; %bb.14:
	global_load_ubyte v15, v[4:5], off offset:2560
	v_or_b32_e32 v16, 0xb00, v0
	v_cmp_gt_u32_e64 s[0:1], s8, v16
	v_mov_b32_e32 v16, 0
	v_mov_b32_e32 v17, 0
	v_mov_b32_e32 v18, 0
	v_mov_b32_e32 v19, 0
	v_mov_b32_e32 v20, 0
	s_and_saveexec_b64 s[28:29], s[0:1]
	s_cbranch_execz .LBB420_24
; %bb.15:
	global_load_ubyte v16, v[4:5], off offset:2816
	v_or_b32_e32 v17, 0xc00, v0
	v_cmp_gt_u32_e64 s[0:1], s8, v17
	v_mov_b32_e32 v17, 0
	v_mov_b32_e32 v18, 0
	;; [unrolled: 1-line block ×4, first 2 shown]
	s_and_saveexec_b64 s[30:31], s[0:1]
	s_cbranch_execz .LBB420_23
; %bb.16:
	global_load_ubyte v17, v[4:5], off offset:3072
	v_or_b32_e32 v18, 0xd00, v0
	v_cmp_gt_u32_e64 s[0:1], s8, v18
	v_mov_b32_e32 v18, 0
	v_mov_b32_e32 v19, 0
	;; [unrolled: 1-line block ×3, first 2 shown]
	s_and_saveexec_b64 s[34:35], s[0:1]
	s_cbranch_execz .LBB420_22
; %bb.17:
	global_load_ubyte v18, v[4:5], off offset:3328
	v_or_b32_e32 v19, 0xe00, v0
	v_cmp_gt_u32_e64 s[0:1], s8, v19
	v_mov_b32_e32 v19, 0
	v_mov_b32_e32 v20, 0
	s_and_saveexec_b64 s[36:37], s[0:1]
	s_cbranch_execz .LBB420_21
; %bb.18:
	global_load_ubyte v19, v[4:5], off offset:3584
	v_or_b32_e32 v20, 0xf00, v0
	v_cmp_gt_u32_e64 s[0:1], s8, v20
	v_mov_b32_e32 v20, 0
	s_and_saveexec_b64 s[38:39], s[0:1]
	s_cbranch_execz .LBB420_20
; %bb.19:
	global_load_ubyte v4, v[4:5], off offset:3840
	s_and_b32 s0, s9, 0xff
	s_waitcnt vmcnt(0)
	v_min_u16_e32 v20, s0, v4
.LBB420_20:
	s_or_b64 exec, exec, s[38:39]
.LBB420_21:
	s_or_b64 exec, exec, s[36:37]
.LBB420_22:
	s_or_b64 exec, exec, s[34:35]
.LBB420_23:
	s_or_b64 exec, exec, s[30:31]
.LBB420_24:
	s_or_b64 exec, exec, s[28:29]
.LBB420_25:
	s_or_b64 exec, exec, s[26:27]
.LBB420_26:
	s_or_b64 exec, exec, s[24:25]
.LBB420_27:
	s_or_b64 exec, exec, s[22:23]
.LBB420_28:
	s_or_b64 exec, exec, s[20:21]
.LBB420_29:
	s_or_b64 exec, exec, s[18:19]
.LBB420_30:
	s_or_b64 exec, exec, s[16:17]
.LBB420_31:
	s_or_b64 exec, exec, s[14:15]
.LBB420_32:
	s_or_b64 exec, exec, s[6:7]
	s_waitcnt vmcnt(0)
	v_mov_b32_e32 v4, v3
	v_mov_b32_e32 v3, v2
.LBB420_33:
	s_or_b64 exec, exec, s[12:13]
.LBB420_34:
	s_or_b64 exec, exec, s[10:11]
.LBB420_35:
	s_or_b64 exec, exec, s[2:3]
	s_and_b32 s3, s9, 0xff
	s_waitcnt vmcnt(0)
	v_min_u16_sdwa v2, v7, s3 dst_sel:DWORD dst_unused:UNUSED_PAD src0_sel:BYTE_0 src1_sel:DWORD
	s_movk_i32 s2, 0xff
	v_cndmask_b32_e32 v2, 0, v2, vcc
	v_min_u16_sdwa v5, v8, s3 dst_sel:BYTE_1 dst_unused:UNUSED_PAD src0_sel:BYTE_0 src1_sel:DWORD
	v_cmp_gt_i32_e64 s[0:1], s8, v1
	v_bitop3_b16 v5, v2, v5, s2 bitop3:0xec
	v_and_b32_e32 v5, 0xffff, v5
	v_cndmask_b32_e64 v2, v2, v5, s[0:1]
	v_or_b32_e32 v5, 0x200, v0
	v_min_u16_sdwa v3, v3, s3 dst_sel:WORD_1 dst_unused:UNUSED_PAD src0_sel:BYTE_0 src1_sel:DWORD
	v_cmp_gt_i32_e64 s[0:1], s8, v5
	v_or_b32_e32 v3, v2, v3
	v_min_u16_sdwa v4, v4, s3 dst_sel:BYTE_1 dst_unused:UNUSED_PAD src0_sel:BYTE_0 src1_sel:DWORD
	v_cndmask_b32_e64 v2, v2, v3, s[0:1]
	v_lshrrev_b32_e32 v3, 16, v2
	v_bitop3_b16 v3, v3, v4, s2 bitop3:0xec
	s_mov_b32 s6, 0xffff
	v_or_b32_e32 v5, 0x300, v0
	v_lshlrev_b32_e32 v3, 16, v3
	v_and_or_b32 v3, v2, s6, v3
	v_cmp_gt_i32_e64 s[0:1], s8, v5
	s_movk_i32 s7, 0xff00
	v_min_u16_sdwa v4, v9, s3 dst_sel:BYTE_1 dst_unused:UNUSED_PAD src0_sel:BYTE_0 src1_sel:DWORD
	v_cndmask_b32_e64 v5, v2, v3, s[0:1]
	v_min_u16_sdwa v2, v10, s3 dst_sel:DWORD dst_unused:UNUSED_PAD src0_sel:BYTE_0 src1_sel:DWORD
	v_bitop3_b16 v2, v2, 0, s7 bitop3:0xf8
	v_or_b32_e32 v3, 0x400, v0
	v_and_b32_e32 v2, 0xffff, v2
	v_cmp_gt_i32_e64 s[0:1], s8, v3
	v_or_b32_e32 v3, 0x500, v0
	v_min_u16_sdwa v7, v12, s3 dst_sel:BYTE_1 dst_unused:UNUSED_PAD src0_sel:BYTE_0 src1_sel:DWORD
	v_cndmask_b32_e64 v2, 0, v2, s[0:1]
	v_bitop3_b16 v4, v2, v4, s2 bitop3:0xec
	v_and_b32_e32 v4, 0xffff, v4
	v_cmp_gt_i32_e64 s[0:1], s8, v3
	v_min_u16_sdwa v8, v16, s3 dst_sel:BYTE_1 dst_unused:UNUSED_PAD src0_sel:BYTE_0 src1_sel:DWORD
	s_nop 0
	v_cndmask_b32_e64 v2, v2, v4, s[0:1]
	v_lshrrev_b32_e32 v3, 16, v2
	v_min_u16_sdwa v4, v11, s3 dst_sel:DWORD dst_unused:UNUSED_PAD src0_sel:BYTE_0 src1_sel:DWORD
	v_bitop3_b16 v3, v4, v3, s7 bitop3:0xf8
	v_or_b32_e32 v4, 0x600, v0
	v_lshlrev_b32_e32 v3, 16, v3
	v_and_or_b32 v3, v2, s6, v3
	v_cmp_gt_i32_e64 s[0:1], s8, v4
	v_or_b32_e32 v4, 0x700, v0
	s_nop 0
	v_cndmask_b32_e64 v2, v2, v3, s[0:1]
	v_lshrrev_b32_e32 v3, 16, v2
	v_bitop3_b16 v3, v3, v7, s2 bitop3:0xec
	v_lshlrev_b32_e32 v3, 16, v3
	v_and_or_b32 v3, v2, s6, v3
	v_cmp_gt_i32_e64 s[0:1], s8, v4
	v_min_u16_sdwa v7, v14, s3 dst_sel:BYTE_1 dst_unused:UNUSED_PAD src0_sel:BYTE_0 src1_sel:DWORD
	s_nop 0
	v_cndmask_b32_e64 v4, v2, v3, s[0:1]
	v_or_b32_e32 v2, 0x800, v0
	v_min_u16_sdwa v3, v13, s3 dst_sel:DWORD dst_unused:UNUSED_PAD src0_sel:BYTE_0 src1_sel:DWORD
	v_cmp_gt_i32_e64 s[0:1], s8, v2
	s_nop 1
	v_cndmask_b32_e64 v2, 0, v3, s[0:1]
	v_or_b32_e32 v3, 0x900, v0
	v_bitop3_b16 v7, v2, v7, s2 bitop3:0xec
	v_and_b32_e32 v7, 0xffff, v7
	v_cmp_gt_i32_e64 s[0:1], s8, v3
	v_or_b32_e32 v3, 0xa00, v0
	s_nop 0
	v_cndmask_b32_e64 v2, v2, v7, s[0:1]
	v_min_u16_sdwa v7, v15, s3 dst_sel:WORD_1 dst_unused:UNUSED_PAD src0_sel:BYTE_0 src1_sel:DWORD
	v_cmp_gt_i32_e64 s[0:1], s8, v3
	v_or_b32_e32 v7, v2, v7
	s_nop 0
	v_cndmask_b32_e64 v2, v2, v7, s[0:1]
	v_lshrrev_b32_e32 v3, 16, v2
	v_bitop3_b16 v3, v3, v8, s2 bitop3:0xec
	v_or_b32_e32 v7, 0xb00, v0
	v_lshlrev_b32_e32 v3, 16, v3
	v_and_or_b32 v3, v2, s6, v3
	v_cmp_gt_i32_e64 s[0:1], s8, v7
	v_min_u16_sdwa v7, v17, s3 dst_sel:DWORD dst_unused:UNUSED_PAD src0_sel:BYTE_0 src1_sel:DWORD
	v_min_u16_sdwa v8, v18, s3 dst_sel:BYTE_1 dst_unused:UNUSED_PAD src0_sel:BYTE_0 src1_sel:DWORD
	v_cndmask_b32_e64 v3, v2, v3, s[0:1]
	v_or_b32_e32 v2, 0xc00, v0
	v_cmp_gt_i32_e64 s[0:1], s8, v2
	s_nop 1
	v_cndmask_b32_e64 v2, 0, v7, s[0:1]
	v_or_b32_e32 v7, 0xd00, v0
	v_bitop3_b16 v8, v2, v8, s2 bitop3:0xec
	v_and_b32_e32 v8, 0xffff, v8
	v_cmp_gt_i32_e64 s[0:1], s8, v7
	s_nop 1
	v_cndmask_b32_e64 v2, v2, v8, s[0:1]
	v_lshrrev_b32_e32 v7, 16, v2
	v_min_u16_sdwa v8, v19, s3 dst_sel:DWORD dst_unused:UNUSED_PAD src0_sel:BYTE_0 src1_sel:DWORD
	v_bitop3_b16 v7, v8, v7, s7 bitop3:0xf8
	v_or_b32_e32 v8, 0xe00, v0
	v_lshlrev_b32_e32 v7, 16, v7
	v_and_or_b32 v7, v2, s6, v7
	v_cmp_gt_i32_e64 s[0:1], s8, v8
	s_nop 1
	v_cndmask_b32_e64 v2, v2, v7, s[0:1]
	v_or_b32_e32 v7, 0xf00, v0
	s_mov_b32 s0, 0x60504
	v_perm_b32 v8, v2, v20, s0
	v_cmp_gt_i32_e64 s[0:1], s8, v7
	s_nop 1
	v_cndmask_b32_e64 v2, v2, v8, s[0:1]
	s_and_saveexec_b64 s[0:1], vcc
	s_cbranch_execnz .LBB420_53
; %bb.36:
	s_or_b64 exec, exec, s[0:1]
	v_cmp_gt_i32_e32 vcc, s8, v0
	s_and_saveexec_b64 s[0:1], vcc
	s_cbranch_execnz .LBB420_54
.LBB420_37:
	s_or_b64 exec, exec, s[0:1]
	v_cmp_gt_i32_e32 vcc, s8, v0
	s_and_saveexec_b64 s[0:1], vcc
	s_cbranch_execnz .LBB420_55
.LBB420_38:
	s_or_b64 exec, exec, s[0:1]
	v_cmp_gt_i32_e32 vcc, s8, v0
	s_and_saveexec_b64 s[0:1], vcc
	s_cbranch_execnz .LBB420_56
.LBB420_39:
	s_or_b64 exec, exec, s[0:1]
	v_cmp_gt_i32_e32 vcc, s8, v0
	s_and_saveexec_b64 s[0:1], vcc
	s_cbranch_execnz .LBB420_57
.LBB420_40:
	s_or_b64 exec, exec, s[0:1]
	v_cmp_gt_i32_e32 vcc, s8, v0
	s_and_saveexec_b64 s[0:1], vcc
	s_cbranch_execnz .LBB420_58
.LBB420_41:
	s_or_b64 exec, exec, s[0:1]
	v_cmp_gt_i32_e32 vcc, s8, v0
	s_and_saveexec_b64 s[0:1], vcc
	s_cbranch_execnz .LBB420_59
.LBB420_42:
	s_or_b64 exec, exec, s[0:1]
	v_cmp_gt_i32_e32 vcc, s8, v0
	s_and_saveexec_b64 s[0:1], vcc
	s_cbranch_execnz .LBB420_60
.LBB420_43:
	s_or_b64 exec, exec, s[0:1]
	v_cmp_gt_i32_e32 vcc, s8, v0
	s_and_saveexec_b64 s[0:1], vcc
	s_cbranch_execnz .LBB420_61
.LBB420_44:
	s_or_b64 exec, exec, s[0:1]
	v_cmp_gt_i32_e32 vcc, s8, v0
	s_and_saveexec_b64 s[0:1], vcc
	s_cbranch_execnz .LBB420_62
.LBB420_45:
	s_or_b64 exec, exec, s[0:1]
	v_cmp_gt_i32_e32 vcc, s8, v0
	s_and_saveexec_b64 s[0:1], vcc
	s_cbranch_execnz .LBB420_63
.LBB420_46:
	s_or_b64 exec, exec, s[0:1]
	v_cmp_gt_i32_e32 vcc, s8, v0
	s_and_saveexec_b64 s[0:1], vcc
	s_cbranch_execnz .LBB420_64
.LBB420_47:
	s_or_b64 exec, exec, s[0:1]
	v_cmp_gt_i32_e32 vcc, s8, v0
	s_and_saveexec_b64 s[0:1], vcc
	s_cbranch_execnz .LBB420_65
.LBB420_48:
	s_or_b64 exec, exec, s[0:1]
	v_cmp_gt_i32_e32 vcc, s8, v0
	s_and_saveexec_b64 s[0:1], vcc
	s_cbranch_execnz .LBB420_66
.LBB420_49:
	s_or_b64 exec, exec, s[0:1]
	v_cmp_gt_i32_e32 vcc, s8, v0
	s_and_saveexec_b64 s[0:1], vcc
	s_cbranch_execnz .LBB420_67
.LBB420_50:
	s_or_b64 exec, exec, s[0:1]
	v_cmp_gt_i32_e32 vcc, s8, v0
	s_and_saveexec_b64 s[0:1], vcc
	s_cbranch_execz .LBB420_52
.LBB420_51:
	v_lshrrev_b32_e32 v1, 24, v2
	v_add_u32_e32 v0, s33, v0
	global_store_byte v0, v1, s[4:5]
.LBB420_52:
	s_endpgm
.LBB420_53:
	v_mov_b32_e32 v0, v1
	global_store_byte v6, v5, s[4:5]
	s_or_b64 exec, exec, s[0:1]
	v_cmp_gt_i32_e32 vcc, s8, v0
	s_and_saveexec_b64 s[0:1], vcc
	s_cbranch_execz .LBB420_37
.LBB420_54:
	v_lshrrev_b32_e32 v1, 8, v5
	v_add_u32_e32 v6, s33, v0
	v_add_u32_e32 v0, 0x100, v0
	global_store_byte v6, v1, s[4:5]
	s_or_b64 exec, exec, s[0:1]
	v_cmp_gt_i32_e32 vcc, s8, v0
	s_and_saveexec_b64 s[0:1], vcc
	s_cbranch_execz .LBB420_38
.LBB420_55:
	v_add_u32_e32 v1, s33, v0
	v_add_u32_e32 v0, 0x100, v0
	global_store_byte_d16_hi v1, v5, s[4:5]
	s_or_b64 exec, exec, s[0:1]
	v_cmp_gt_i32_e32 vcc, s8, v0
	s_and_saveexec_b64 s[0:1], vcc
	s_cbranch_execz .LBB420_39
.LBB420_56:
	v_lshrrev_b32_e32 v1, 24, v5
	v_add_u32_e32 v5, s33, v0
	v_add_u32_e32 v0, 0x100, v0
	global_store_byte v5, v1, s[4:5]
	s_or_b64 exec, exec, s[0:1]
	v_cmp_gt_i32_e32 vcc, s8, v0
	s_and_saveexec_b64 s[0:1], vcc
	s_cbranch_execz .LBB420_40
.LBB420_57:
	v_add_u32_e32 v1, s33, v0
	v_add_u32_e32 v0, 0x100, v0
	global_store_byte v1, v4, s[4:5]
	s_or_b64 exec, exec, s[0:1]
	v_cmp_gt_i32_e32 vcc, s8, v0
	s_and_saveexec_b64 s[0:1], vcc
	s_cbranch_execz .LBB420_41
.LBB420_58:
	v_lshrrev_b32_e32 v1, 8, v4
	v_add_u32_e32 v5, s33, v0
	v_add_u32_e32 v0, 0x100, v0
	global_store_byte v5, v1, s[4:5]
	s_or_b64 exec, exec, s[0:1]
	v_cmp_gt_i32_e32 vcc, s8, v0
	s_and_saveexec_b64 s[0:1], vcc
	s_cbranch_execz .LBB420_42
.LBB420_59:
	v_add_u32_e32 v1, s33, v0
	v_add_u32_e32 v0, 0x100, v0
	global_store_byte_d16_hi v1, v4, s[4:5]
	s_or_b64 exec, exec, s[0:1]
	v_cmp_gt_i32_e32 vcc, s8, v0
	s_and_saveexec_b64 s[0:1], vcc
	s_cbranch_execz .LBB420_43
.LBB420_60:
	v_lshrrev_b32_e32 v1, 24, v4
	v_add_u32_e32 v4, s33, v0
	v_add_u32_e32 v0, 0x100, v0
	global_store_byte v4, v1, s[4:5]
	s_or_b64 exec, exec, s[0:1]
	v_cmp_gt_i32_e32 vcc, s8, v0
	s_and_saveexec_b64 s[0:1], vcc
	s_cbranch_execz .LBB420_44
.LBB420_61:
	v_add_u32_e32 v1, s33, v0
	v_add_u32_e32 v0, 0x100, v0
	global_store_byte v1, v3, s[4:5]
	s_or_b64 exec, exec, s[0:1]
	v_cmp_gt_i32_e32 vcc, s8, v0
	s_and_saveexec_b64 s[0:1], vcc
	s_cbranch_execz .LBB420_45
.LBB420_62:
	v_lshrrev_b32_e32 v1, 8, v3
	v_add_u32_e32 v4, s33, v0
	v_add_u32_e32 v0, 0x100, v0
	global_store_byte v4, v1, s[4:5]
	s_or_b64 exec, exec, s[0:1]
	v_cmp_gt_i32_e32 vcc, s8, v0
	s_and_saveexec_b64 s[0:1], vcc
	s_cbranch_execz .LBB420_46
.LBB420_63:
	v_add_u32_e32 v1, s33, v0
	v_add_u32_e32 v0, 0x100, v0
	global_store_byte_d16_hi v1, v3, s[4:5]
	s_or_b64 exec, exec, s[0:1]
	v_cmp_gt_i32_e32 vcc, s8, v0
	s_and_saveexec_b64 s[0:1], vcc
	s_cbranch_execz .LBB420_47
.LBB420_64:
	v_lshrrev_b32_e32 v1, 24, v3
	v_add_u32_e32 v3, s33, v0
	v_add_u32_e32 v0, 0x100, v0
	global_store_byte v3, v1, s[4:5]
	s_or_b64 exec, exec, s[0:1]
	v_cmp_gt_i32_e32 vcc, s8, v0
	s_and_saveexec_b64 s[0:1], vcc
	s_cbranch_execz .LBB420_48
.LBB420_65:
	v_add_u32_e32 v1, s33, v0
	v_add_u32_e32 v0, 0x100, v0
	global_store_byte v1, v2, s[4:5]
	s_or_b64 exec, exec, s[0:1]
	v_cmp_gt_i32_e32 vcc, s8, v0
	s_and_saveexec_b64 s[0:1], vcc
	s_cbranch_execz .LBB420_49
.LBB420_66:
	v_lshrrev_b32_e32 v1, 8, v2
	v_add_u32_e32 v3, s33, v0
	v_add_u32_e32 v0, 0x100, v0
	global_store_byte v3, v1, s[4:5]
	s_or_b64 exec, exec, s[0:1]
	v_cmp_gt_i32_e32 vcc, s8, v0
	s_and_saveexec_b64 s[0:1], vcc
	s_cbranch_execz .LBB420_50
.LBB420_67:
	v_add_u32_e32 v1, s33, v0
	v_add_u32_e32 v0, 0x100, v0
	global_store_byte_d16_hi v1, v2, s[4:5]
	s_or_b64 exec, exec, s[0:1]
	v_cmp_gt_i32_e32 vcc, s8, v0
	s_and_saveexec_b64 s[0:1], vcc
	s_cbranch_execnz .LBB420_51
	s_branch .LBB420_52
	.section	.rodata,"a",@progbits
	.p2align	6, 0x0
	.amdhsa_kernel _ZN2at6native29vectorized_elementwise_kernelILi4EZZZNS0_21clamp_max_kernel_cudaERNS_18TensorIteratorBaseERKN3c106ScalarEENKUlvE_clEvENKUlvE_clEvEUlhE_St5arrayIPcLm2EEEEviT0_T1_
		.amdhsa_group_segment_fixed_size 0
		.amdhsa_private_segment_fixed_size 0
		.amdhsa_kernarg_size 24
		.amdhsa_user_sgpr_count 2
		.amdhsa_user_sgpr_dispatch_ptr 0
		.amdhsa_user_sgpr_queue_ptr 0
		.amdhsa_user_sgpr_kernarg_segment_ptr 1
		.amdhsa_user_sgpr_dispatch_id 0
		.amdhsa_user_sgpr_kernarg_preload_length 0
		.amdhsa_user_sgpr_kernarg_preload_offset 0
		.amdhsa_user_sgpr_private_segment_size 0
		.amdhsa_uses_dynamic_stack 0
		.amdhsa_enable_private_segment 0
		.amdhsa_system_sgpr_workgroup_id_x 1
		.amdhsa_system_sgpr_workgroup_id_y 0
		.amdhsa_system_sgpr_workgroup_id_z 0
		.amdhsa_system_sgpr_workgroup_info 0
		.amdhsa_system_vgpr_workitem_id 0
		.amdhsa_next_free_vgpr 21
		.amdhsa_next_free_sgpr 40
		.amdhsa_accum_offset 24
		.amdhsa_reserve_vcc 1
		.amdhsa_float_round_mode_32 0
		.amdhsa_float_round_mode_16_64 0
		.amdhsa_float_denorm_mode_32 3
		.amdhsa_float_denorm_mode_16_64 3
		.amdhsa_dx10_clamp 1
		.amdhsa_ieee_mode 1
		.amdhsa_fp16_overflow 0
		.amdhsa_tg_split 0
		.amdhsa_exception_fp_ieee_invalid_op 0
		.amdhsa_exception_fp_denorm_src 0
		.amdhsa_exception_fp_ieee_div_zero 0
		.amdhsa_exception_fp_ieee_overflow 0
		.amdhsa_exception_fp_ieee_underflow 0
		.amdhsa_exception_fp_ieee_inexact 0
		.amdhsa_exception_int_div_zero 0
	.end_amdhsa_kernel
	.section	.text._ZN2at6native29vectorized_elementwise_kernelILi4EZZZNS0_21clamp_max_kernel_cudaERNS_18TensorIteratorBaseERKN3c106ScalarEENKUlvE_clEvENKUlvE_clEvEUlhE_St5arrayIPcLm2EEEEviT0_T1_,"axG",@progbits,_ZN2at6native29vectorized_elementwise_kernelILi4EZZZNS0_21clamp_max_kernel_cudaERNS_18TensorIteratorBaseERKN3c106ScalarEENKUlvE_clEvENKUlvE_clEvEUlhE_St5arrayIPcLm2EEEEviT0_T1_,comdat
.Lfunc_end420:
	.size	_ZN2at6native29vectorized_elementwise_kernelILi4EZZZNS0_21clamp_max_kernel_cudaERNS_18TensorIteratorBaseERKN3c106ScalarEENKUlvE_clEvENKUlvE_clEvEUlhE_St5arrayIPcLm2EEEEviT0_T1_, .Lfunc_end420-_ZN2at6native29vectorized_elementwise_kernelILi4EZZZNS0_21clamp_max_kernel_cudaERNS_18TensorIteratorBaseERKN3c106ScalarEENKUlvE_clEvENKUlvE_clEvEUlhE_St5arrayIPcLm2EEEEviT0_T1_
                                        ; -- End function
	.set _ZN2at6native29vectorized_elementwise_kernelILi4EZZZNS0_21clamp_max_kernel_cudaERNS_18TensorIteratorBaseERKN3c106ScalarEENKUlvE_clEvENKUlvE_clEvEUlhE_St5arrayIPcLm2EEEEviT0_T1_.num_vgpr, 21
	.set _ZN2at6native29vectorized_elementwise_kernelILi4EZZZNS0_21clamp_max_kernel_cudaERNS_18TensorIteratorBaseERKN3c106ScalarEENKUlvE_clEvENKUlvE_clEvEUlhE_St5arrayIPcLm2EEEEviT0_T1_.num_agpr, 0
	.set _ZN2at6native29vectorized_elementwise_kernelILi4EZZZNS0_21clamp_max_kernel_cudaERNS_18TensorIteratorBaseERKN3c106ScalarEENKUlvE_clEvENKUlvE_clEvEUlhE_St5arrayIPcLm2EEEEviT0_T1_.numbered_sgpr, 40
	.set _ZN2at6native29vectorized_elementwise_kernelILi4EZZZNS0_21clamp_max_kernel_cudaERNS_18TensorIteratorBaseERKN3c106ScalarEENKUlvE_clEvENKUlvE_clEvEUlhE_St5arrayIPcLm2EEEEviT0_T1_.num_named_barrier, 0
	.set _ZN2at6native29vectorized_elementwise_kernelILi4EZZZNS0_21clamp_max_kernel_cudaERNS_18TensorIteratorBaseERKN3c106ScalarEENKUlvE_clEvENKUlvE_clEvEUlhE_St5arrayIPcLm2EEEEviT0_T1_.private_seg_size, 0
	.set _ZN2at6native29vectorized_elementwise_kernelILi4EZZZNS0_21clamp_max_kernel_cudaERNS_18TensorIteratorBaseERKN3c106ScalarEENKUlvE_clEvENKUlvE_clEvEUlhE_St5arrayIPcLm2EEEEviT0_T1_.uses_vcc, 1
	.set _ZN2at6native29vectorized_elementwise_kernelILi4EZZZNS0_21clamp_max_kernel_cudaERNS_18TensorIteratorBaseERKN3c106ScalarEENKUlvE_clEvENKUlvE_clEvEUlhE_St5arrayIPcLm2EEEEviT0_T1_.uses_flat_scratch, 0
	.set _ZN2at6native29vectorized_elementwise_kernelILi4EZZZNS0_21clamp_max_kernel_cudaERNS_18TensorIteratorBaseERKN3c106ScalarEENKUlvE_clEvENKUlvE_clEvEUlhE_St5arrayIPcLm2EEEEviT0_T1_.has_dyn_sized_stack, 0
	.set _ZN2at6native29vectorized_elementwise_kernelILi4EZZZNS0_21clamp_max_kernel_cudaERNS_18TensorIteratorBaseERKN3c106ScalarEENKUlvE_clEvENKUlvE_clEvEUlhE_St5arrayIPcLm2EEEEviT0_T1_.has_recursion, 0
	.set _ZN2at6native29vectorized_elementwise_kernelILi4EZZZNS0_21clamp_max_kernel_cudaERNS_18TensorIteratorBaseERKN3c106ScalarEENKUlvE_clEvENKUlvE_clEvEUlhE_St5arrayIPcLm2EEEEviT0_T1_.has_indirect_call, 0
	.section	.AMDGPU.csdata,"",@progbits
; Kernel info:
; codeLenInByte = 3156
; TotalNumSgprs: 46
; NumVgprs: 21
; NumAgprs: 0
; TotalNumVgprs: 21
; ScratchSize: 0
; MemoryBound: 0
; FloatMode: 240
; IeeeMode: 1
; LDSByteSize: 0 bytes/workgroup (compile time only)
; SGPRBlocks: 5
; VGPRBlocks: 2
; NumSGPRsForWavesPerEU: 46
; NumVGPRsForWavesPerEU: 21
; AccumOffset: 24
; Occupancy: 8
; WaveLimiterHint : 1
; COMPUTE_PGM_RSRC2:SCRATCH_EN: 0
; COMPUTE_PGM_RSRC2:USER_SGPR: 2
; COMPUTE_PGM_RSRC2:TRAP_HANDLER: 0
; COMPUTE_PGM_RSRC2:TGID_X_EN: 1
; COMPUTE_PGM_RSRC2:TGID_Y_EN: 0
; COMPUTE_PGM_RSRC2:TGID_Z_EN: 0
; COMPUTE_PGM_RSRC2:TIDIG_COMP_CNT: 0
; COMPUTE_PGM_RSRC3_GFX90A:ACCUM_OFFSET: 5
; COMPUTE_PGM_RSRC3_GFX90A:TG_SPLIT: 0
	.section	.text._ZN2at6native29vectorized_elementwise_kernelILi2EZZZNS0_21clamp_max_kernel_cudaERNS_18TensorIteratorBaseERKN3c106ScalarEENKUlvE_clEvENKUlvE_clEvEUlhE_St5arrayIPcLm2EEEEviT0_T1_,"axG",@progbits,_ZN2at6native29vectorized_elementwise_kernelILi2EZZZNS0_21clamp_max_kernel_cudaERNS_18TensorIteratorBaseERKN3c106ScalarEENKUlvE_clEvENKUlvE_clEvEUlhE_St5arrayIPcLm2EEEEviT0_T1_,comdat
	.globl	_ZN2at6native29vectorized_elementwise_kernelILi2EZZZNS0_21clamp_max_kernel_cudaERNS_18TensorIteratorBaseERKN3c106ScalarEENKUlvE_clEvENKUlvE_clEvEUlhE_St5arrayIPcLm2EEEEviT0_T1_ ; -- Begin function _ZN2at6native29vectorized_elementwise_kernelILi2EZZZNS0_21clamp_max_kernel_cudaERNS_18TensorIteratorBaseERKN3c106ScalarEENKUlvE_clEvENKUlvE_clEvEUlhE_St5arrayIPcLm2EEEEviT0_T1_
	.p2align	8
	.type	_ZN2at6native29vectorized_elementwise_kernelILi2EZZZNS0_21clamp_max_kernel_cudaERNS_18TensorIteratorBaseERKN3c106ScalarEENKUlvE_clEvENKUlvE_clEvEUlhE_St5arrayIPcLm2EEEEviT0_T1_,@function
_ZN2at6native29vectorized_elementwise_kernelILi2EZZZNS0_21clamp_max_kernel_cudaERNS_18TensorIteratorBaseERKN3c106ScalarEENKUlvE_clEvENKUlvE_clEvEUlhE_St5arrayIPcLm2EEEEviT0_T1_: ; @_ZN2at6native29vectorized_elementwise_kernelILi2EZZZNS0_21clamp_max_kernel_cudaERNS_18TensorIteratorBaseERKN3c106ScalarEENKUlvE_clEvENKUlvE_clEvEUlhE_St5arrayIPcLm2EEEEviT0_T1_
; %bb.0:
	s_load_dwordx2 s[8:9], s[0:1], 0x0
	s_load_dwordx4 s[4:7], s[0:1], 0x8
	s_lshl_b32 s33, s2, 12
	s_mov_b64 s[0:1], -1
	s_waitcnt lgkmcnt(0)
	s_sub_i32 s8, s8, s33
	s_cmpk_gt_i32 s8, 0xfff
	s_cbranch_scc0 .LBB421_2
; %bb.1:
	s_ashr_i32 s2, s33, 31
	s_add_u32 s0, s6, s33
	s_addc_u32 s1, s7, s2
	v_lshlrev_b32_e32 v1, 1, v0
	global_load_ushort v2, v1, s[0:1]
	global_load_ushort v3, v1, s[0:1] offset:512
	global_load_ushort v4, v1, s[0:1] offset:1024
	;; [unrolled: 1-line block ×7, first 2 shown]
	s_and_b32 s3, s9, 0xff
	s_add_u32 s0, s4, s33
	s_addc_u32 s1, s5, s2
	s_waitcnt vmcnt(7)
	v_min_u16_sdwa v10, v2, s3 dst_sel:DWORD dst_unused:UNUSED_PAD src0_sel:BYTE_0 src1_sel:DWORD
	v_min_u16_sdwa v2, v2, s3 dst_sel:BYTE_1 dst_unused:UNUSED_PAD src0_sel:BYTE_1 src1_sel:DWORD
	s_waitcnt vmcnt(6)
	v_min_u16_sdwa v11, v3, s3 dst_sel:DWORD dst_unused:UNUSED_PAD src0_sel:BYTE_0 src1_sel:DWORD
	v_min_u16_sdwa v3, v3, s3 dst_sel:BYTE_1 dst_unused:UNUSED_PAD src0_sel:BYTE_1 src1_sel:DWORD
	;; [unrolled: 3-line block ×8, first 2 shown]
	v_or_b32_e32 v2, v10, v2
	v_or_b32_e32 v9, v17, v9
	;; [unrolled: 1-line block ×8, first 2 shown]
	global_store_short v1, v2, s[0:1]
	global_store_short v1, v3, s[0:1] offset:512
	global_store_short v1, v4, s[0:1] offset:1024
	;; [unrolled: 1-line block ×7, first 2 shown]
	s_mov_b64 s[0:1], 0
.LBB421_2:
	s_andn2_b64 vcc, exec, s[0:1]
	s_cbranch_vccnz .LBB421_52
; %bb.3:
	v_cmp_gt_i32_e32 vcc, s8, v0
	v_or_b32_e32 v1, 0x100, v0
	v_mov_b32_e32 v20, 0
	v_or_b32_e32 v6, s33, v0
	v_mov_b32_e32 v19, 0
	v_mov_b32_e32 v18, 0
	v_mov_b32_e32 v17, 0
	v_mov_b32_e32 v16, 0
	v_mov_b32_e32 v15, 0
	v_mov_b32_e32 v14, 0
	v_mov_b32_e32 v13, 0
	v_mov_b32_e32 v12, 0
	v_mov_b32_e32 v11, 0
	v_mov_b32_e32 v9, 0
	v_mov_b32_e32 v10, 0
	v_mov_b32_e32 v4, 0
	v_mov_b32_e32 v3, 0
	v_mov_b32_e32 v8, 0
	v_mov_b32_e32 v7, 0
	s_and_saveexec_b64 s[2:3], vcc
	s_cbranch_execz .LBB421_35
; %bb.4:
	global_load_ubyte v7, v6, s[6:7]
	v_cmp_gt_u32_e64 s[0:1], s8, v1
	v_mov_b32_e32 v8, 0
	v_mov_b32_e32 v3, 0
	;; [unrolled: 1-line block ×15, first 2 shown]
	s_and_saveexec_b64 s[10:11], s[0:1]
	s_cbranch_execz .LBB421_34
; %bb.5:
	v_add_u32_e32 v2, s33, v0
	global_load_ubyte v8, v2, s[6:7] offset:256
	v_or_b32_e32 v4, 0x200, v0
	v_mov_b32_e32 v3, 0
	v_cmp_gt_u32_e64 s[0:1], s8, v4
	v_mov_b32_e32 v4, 0
	v_mov_b32_e32 v10, 0
	;; [unrolled: 1-line block ×13, first 2 shown]
	s_and_saveexec_b64 s[12:13], s[0:1]
	s_cbranch_execz .LBB421_33
; %bb.6:
	v_lshl_add_u64 v[4:5], s[6:7], 0, v[2:3]
	global_load_ubyte v2, v[4:5], off offset:512
	v_or_b32_e32 v9, 0x300, v0
	v_cmp_gt_u32_e64 s[0:1], s8, v9
	v_mov_b32_e32 v10, 0
	v_mov_b32_e32 v9, 0
	;; [unrolled: 1-line block ×12, first 2 shown]
	s_and_saveexec_b64 s[6:7], s[0:1]
	s_cbranch_execz .LBB421_32
; %bb.7:
	global_load_ubyte v3, v[4:5], off offset:768
	v_or_b32_e32 v9, 0x400, v0
	v_cmp_gt_u32_e64 s[0:1], s8, v9
	v_mov_b32_e32 v10, 0
	v_mov_b32_e32 v9, 0
	;; [unrolled: 1-line block ×12, first 2 shown]
	s_and_saveexec_b64 s[14:15], s[0:1]
	s_cbranch_execz .LBB421_31
; %bb.8:
	global_load_ubyte v10, v[4:5], off offset:1024
	v_or_b32_e32 v9, 0x500, v0
	v_cmp_gt_u32_e64 s[0:1], s8, v9
	v_mov_b32_e32 v9, 0
	v_mov_b32_e32 v11, 0
	;; [unrolled: 1-line block ×11, first 2 shown]
	s_and_saveexec_b64 s[16:17], s[0:1]
	s_cbranch_execz .LBB421_30
; %bb.9:
	global_load_ubyte v9, v[4:5], off offset:1280
	v_or_b32_e32 v11, 0x600, v0
	v_cmp_gt_u32_e64 s[0:1], s8, v11
	v_mov_b32_e32 v11, 0
	v_mov_b32_e32 v12, 0
	v_mov_b32_e32 v13, 0
	v_mov_b32_e32 v14, 0
	v_mov_b32_e32 v15, 0
	v_mov_b32_e32 v16, 0
	v_mov_b32_e32 v17, 0
	v_mov_b32_e32 v18, 0
	v_mov_b32_e32 v19, 0
	v_mov_b32_e32 v20, 0
	s_and_saveexec_b64 s[18:19], s[0:1]
	s_cbranch_execz .LBB421_29
; %bb.10:
	global_load_ubyte v11, v[4:5], off offset:1536
	v_or_b32_e32 v12, 0x700, v0
	v_cmp_gt_u32_e64 s[0:1], s8, v12
	v_mov_b32_e32 v12, 0
	v_mov_b32_e32 v13, 0
	;; [unrolled: 1-line block ×9, first 2 shown]
	s_and_saveexec_b64 s[20:21], s[0:1]
	s_cbranch_execz .LBB421_28
; %bb.11:
	global_load_ubyte v12, v[4:5], off offset:1792
	v_or_b32_e32 v13, 0x800, v0
	v_cmp_gt_u32_e64 s[0:1], s8, v13
	v_mov_b32_e32 v13, 0
	v_mov_b32_e32 v14, 0
	;; [unrolled: 1-line block ×8, first 2 shown]
	s_and_saveexec_b64 s[22:23], s[0:1]
	s_cbranch_execz .LBB421_27
; %bb.12:
	global_load_ubyte v13, v[4:5], off offset:2048
	v_or_b32_e32 v14, 0x900, v0
	v_cmp_gt_u32_e64 s[0:1], s8, v14
	v_mov_b32_e32 v14, 0
	v_mov_b32_e32 v15, 0
	;; [unrolled: 1-line block ×7, first 2 shown]
	s_and_saveexec_b64 s[24:25], s[0:1]
	s_cbranch_execz .LBB421_26
; %bb.13:
	global_load_ubyte v14, v[4:5], off offset:2304
	v_or_b32_e32 v15, 0xa00, v0
	v_cmp_gt_u32_e64 s[0:1], s8, v15
	v_mov_b32_e32 v15, 0
	v_mov_b32_e32 v16, 0
	;; [unrolled: 1-line block ×6, first 2 shown]
	s_and_saveexec_b64 s[26:27], s[0:1]
	s_cbranch_execz .LBB421_25
; %bb.14:
	global_load_ubyte v15, v[4:5], off offset:2560
	v_or_b32_e32 v16, 0xb00, v0
	v_cmp_gt_u32_e64 s[0:1], s8, v16
	v_mov_b32_e32 v16, 0
	v_mov_b32_e32 v17, 0
	;; [unrolled: 1-line block ×5, first 2 shown]
	s_and_saveexec_b64 s[28:29], s[0:1]
	s_cbranch_execz .LBB421_24
; %bb.15:
	global_load_ubyte v16, v[4:5], off offset:2816
	v_or_b32_e32 v17, 0xc00, v0
	v_cmp_gt_u32_e64 s[0:1], s8, v17
	v_mov_b32_e32 v17, 0
	v_mov_b32_e32 v18, 0
	;; [unrolled: 1-line block ×4, first 2 shown]
	s_and_saveexec_b64 s[30:31], s[0:1]
	s_cbranch_execz .LBB421_23
; %bb.16:
	global_load_ubyte v17, v[4:5], off offset:3072
	v_or_b32_e32 v18, 0xd00, v0
	v_cmp_gt_u32_e64 s[0:1], s8, v18
	v_mov_b32_e32 v18, 0
	v_mov_b32_e32 v19, 0
	;; [unrolled: 1-line block ×3, first 2 shown]
	s_and_saveexec_b64 s[34:35], s[0:1]
	s_cbranch_execz .LBB421_22
; %bb.17:
	global_load_ubyte v18, v[4:5], off offset:3328
	v_or_b32_e32 v19, 0xe00, v0
	v_cmp_gt_u32_e64 s[0:1], s8, v19
	v_mov_b32_e32 v19, 0
	v_mov_b32_e32 v20, 0
	s_and_saveexec_b64 s[36:37], s[0:1]
	s_cbranch_execz .LBB421_21
; %bb.18:
	global_load_ubyte v19, v[4:5], off offset:3584
	v_or_b32_e32 v20, 0xf00, v0
	v_cmp_gt_u32_e64 s[0:1], s8, v20
	v_mov_b32_e32 v20, 0
	s_and_saveexec_b64 s[38:39], s[0:1]
	s_cbranch_execz .LBB421_20
; %bb.19:
	global_load_ubyte v4, v[4:5], off offset:3840
	s_and_b32 s0, s9, 0xff
	s_waitcnt vmcnt(0)
	v_min_u16_e32 v20, s0, v4
.LBB421_20:
	s_or_b64 exec, exec, s[38:39]
.LBB421_21:
	s_or_b64 exec, exec, s[36:37]
.LBB421_22:
	s_or_b64 exec, exec, s[34:35]
.LBB421_23:
	s_or_b64 exec, exec, s[30:31]
.LBB421_24:
	s_or_b64 exec, exec, s[28:29]
.LBB421_25:
	s_or_b64 exec, exec, s[26:27]
.LBB421_26:
	s_or_b64 exec, exec, s[24:25]
.LBB421_27:
	s_or_b64 exec, exec, s[22:23]
.LBB421_28:
	s_or_b64 exec, exec, s[20:21]
.LBB421_29:
	s_or_b64 exec, exec, s[18:19]
.LBB421_30:
	s_or_b64 exec, exec, s[16:17]
.LBB421_31:
	s_or_b64 exec, exec, s[14:15]
.LBB421_32:
	s_or_b64 exec, exec, s[6:7]
	s_waitcnt vmcnt(0)
	v_mov_b32_e32 v4, v3
	v_mov_b32_e32 v3, v2
.LBB421_33:
	s_or_b64 exec, exec, s[12:13]
.LBB421_34:
	s_or_b64 exec, exec, s[10:11]
.LBB421_35:
	s_or_b64 exec, exec, s[2:3]
	s_and_b32 s3, s9, 0xff
	s_waitcnt vmcnt(0)
	v_min_u16_sdwa v2, v7, s3 dst_sel:DWORD dst_unused:UNUSED_PAD src0_sel:BYTE_0 src1_sel:DWORD
	s_movk_i32 s2, 0xff
	v_cndmask_b32_e32 v2, 0, v2, vcc
	v_min_u16_sdwa v5, v8, s3 dst_sel:BYTE_1 dst_unused:UNUSED_PAD src0_sel:BYTE_0 src1_sel:DWORD
	v_cmp_gt_i32_e64 s[0:1], s8, v1
	v_bitop3_b16 v5, v2, v5, s2 bitop3:0xec
	v_and_b32_e32 v5, 0xffff, v5
	v_cndmask_b32_e64 v2, v2, v5, s[0:1]
	v_or_b32_e32 v5, 0x200, v0
	v_min_u16_sdwa v3, v3, s3 dst_sel:WORD_1 dst_unused:UNUSED_PAD src0_sel:BYTE_0 src1_sel:DWORD
	v_cmp_gt_i32_e64 s[0:1], s8, v5
	v_or_b32_e32 v3, v2, v3
	v_min_u16_sdwa v4, v4, s3 dst_sel:BYTE_1 dst_unused:UNUSED_PAD src0_sel:BYTE_0 src1_sel:DWORD
	v_cndmask_b32_e64 v2, v2, v3, s[0:1]
	v_lshrrev_b32_e32 v3, 16, v2
	v_bitop3_b16 v3, v3, v4, s2 bitop3:0xec
	s_mov_b32 s6, 0xffff
	v_or_b32_e32 v5, 0x300, v0
	v_lshlrev_b32_e32 v3, 16, v3
	v_and_or_b32 v3, v2, s6, v3
	v_cmp_gt_i32_e64 s[0:1], s8, v5
	s_movk_i32 s7, 0xff00
	v_min_u16_sdwa v4, v9, s3 dst_sel:BYTE_1 dst_unused:UNUSED_PAD src0_sel:BYTE_0 src1_sel:DWORD
	v_cndmask_b32_e64 v5, v2, v3, s[0:1]
	v_min_u16_sdwa v2, v10, s3 dst_sel:DWORD dst_unused:UNUSED_PAD src0_sel:BYTE_0 src1_sel:DWORD
	v_bitop3_b16 v2, v2, 0, s7 bitop3:0xf8
	v_or_b32_e32 v3, 0x400, v0
	v_and_b32_e32 v2, 0xffff, v2
	v_cmp_gt_i32_e64 s[0:1], s8, v3
	v_or_b32_e32 v3, 0x500, v0
	v_min_u16_sdwa v7, v12, s3 dst_sel:BYTE_1 dst_unused:UNUSED_PAD src0_sel:BYTE_0 src1_sel:DWORD
	v_cndmask_b32_e64 v2, 0, v2, s[0:1]
	v_bitop3_b16 v4, v2, v4, s2 bitop3:0xec
	v_and_b32_e32 v4, 0xffff, v4
	v_cmp_gt_i32_e64 s[0:1], s8, v3
	v_min_u16_sdwa v8, v16, s3 dst_sel:BYTE_1 dst_unused:UNUSED_PAD src0_sel:BYTE_0 src1_sel:DWORD
	s_nop 0
	v_cndmask_b32_e64 v2, v2, v4, s[0:1]
	v_lshrrev_b32_e32 v3, 16, v2
	v_min_u16_sdwa v4, v11, s3 dst_sel:DWORD dst_unused:UNUSED_PAD src0_sel:BYTE_0 src1_sel:DWORD
	v_bitop3_b16 v3, v4, v3, s7 bitop3:0xf8
	v_or_b32_e32 v4, 0x600, v0
	v_lshlrev_b32_e32 v3, 16, v3
	v_and_or_b32 v3, v2, s6, v3
	v_cmp_gt_i32_e64 s[0:1], s8, v4
	v_or_b32_e32 v4, 0x700, v0
	s_nop 0
	v_cndmask_b32_e64 v2, v2, v3, s[0:1]
	v_lshrrev_b32_e32 v3, 16, v2
	v_bitop3_b16 v3, v3, v7, s2 bitop3:0xec
	v_lshlrev_b32_e32 v3, 16, v3
	v_and_or_b32 v3, v2, s6, v3
	v_cmp_gt_i32_e64 s[0:1], s8, v4
	v_min_u16_sdwa v7, v14, s3 dst_sel:BYTE_1 dst_unused:UNUSED_PAD src0_sel:BYTE_0 src1_sel:DWORD
	s_nop 0
	v_cndmask_b32_e64 v4, v2, v3, s[0:1]
	v_or_b32_e32 v2, 0x800, v0
	v_min_u16_sdwa v3, v13, s3 dst_sel:DWORD dst_unused:UNUSED_PAD src0_sel:BYTE_0 src1_sel:DWORD
	v_cmp_gt_i32_e64 s[0:1], s8, v2
	s_nop 1
	v_cndmask_b32_e64 v2, 0, v3, s[0:1]
	v_or_b32_e32 v3, 0x900, v0
	v_bitop3_b16 v7, v2, v7, s2 bitop3:0xec
	v_and_b32_e32 v7, 0xffff, v7
	v_cmp_gt_i32_e64 s[0:1], s8, v3
	v_or_b32_e32 v3, 0xa00, v0
	s_nop 0
	v_cndmask_b32_e64 v2, v2, v7, s[0:1]
	v_min_u16_sdwa v7, v15, s3 dst_sel:WORD_1 dst_unused:UNUSED_PAD src0_sel:BYTE_0 src1_sel:DWORD
	v_cmp_gt_i32_e64 s[0:1], s8, v3
	v_or_b32_e32 v7, v2, v7
	s_nop 0
	v_cndmask_b32_e64 v2, v2, v7, s[0:1]
	v_lshrrev_b32_e32 v3, 16, v2
	v_bitop3_b16 v3, v3, v8, s2 bitop3:0xec
	v_or_b32_e32 v7, 0xb00, v0
	v_lshlrev_b32_e32 v3, 16, v3
	v_and_or_b32 v3, v2, s6, v3
	v_cmp_gt_i32_e64 s[0:1], s8, v7
	v_min_u16_sdwa v7, v17, s3 dst_sel:DWORD dst_unused:UNUSED_PAD src0_sel:BYTE_0 src1_sel:DWORD
	v_min_u16_sdwa v8, v18, s3 dst_sel:BYTE_1 dst_unused:UNUSED_PAD src0_sel:BYTE_0 src1_sel:DWORD
	v_cndmask_b32_e64 v3, v2, v3, s[0:1]
	v_or_b32_e32 v2, 0xc00, v0
	v_cmp_gt_i32_e64 s[0:1], s8, v2
	s_nop 1
	v_cndmask_b32_e64 v2, 0, v7, s[0:1]
	v_or_b32_e32 v7, 0xd00, v0
	v_bitop3_b16 v8, v2, v8, s2 bitop3:0xec
	v_and_b32_e32 v8, 0xffff, v8
	v_cmp_gt_i32_e64 s[0:1], s8, v7
	s_nop 1
	v_cndmask_b32_e64 v2, v2, v8, s[0:1]
	v_lshrrev_b32_e32 v7, 16, v2
	v_min_u16_sdwa v8, v19, s3 dst_sel:DWORD dst_unused:UNUSED_PAD src0_sel:BYTE_0 src1_sel:DWORD
	v_bitop3_b16 v7, v8, v7, s7 bitop3:0xf8
	v_or_b32_e32 v8, 0xe00, v0
	v_lshlrev_b32_e32 v7, 16, v7
	v_and_or_b32 v7, v2, s6, v7
	v_cmp_gt_i32_e64 s[0:1], s8, v8
	s_nop 1
	v_cndmask_b32_e64 v2, v2, v7, s[0:1]
	v_or_b32_e32 v7, 0xf00, v0
	s_mov_b32 s0, 0x60504
	v_perm_b32 v8, v2, v20, s0
	v_cmp_gt_i32_e64 s[0:1], s8, v7
	s_nop 1
	v_cndmask_b32_e64 v2, v2, v8, s[0:1]
	s_and_saveexec_b64 s[0:1], vcc
	s_cbranch_execnz .LBB421_53
; %bb.36:
	s_or_b64 exec, exec, s[0:1]
	v_cmp_gt_i32_e32 vcc, s8, v0
	s_and_saveexec_b64 s[0:1], vcc
	s_cbranch_execnz .LBB421_54
.LBB421_37:
	s_or_b64 exec, exec, s[0:1]
	v_cmp_gt_i32_e32 vcc, s8, v0
	s_and_saveexec_b64 s[0:1], vcc
	s_cbranch_execnz .LBB421_55
.LBB421_38:
	s_or_b64 exec, exec, s[0:1]
	v_cmp_gt_i32_e32 vcc, s8, v0
	s_and_saveexec_b64 s[0:1], vcc
	s_cbranch_execnz .LBB421_56
.LBB421_39:
	s_or_b64 exec, exec, s[0:1]
	v_cmp_gt_i32_e32 vcc, s8, v0
	s_and_saveexec_b64 s[0:1], vcc
	s_cbranch_execnz .LBB421_57
.LBB421_40:
	s_or_b64 exec, exec, s[0:1]
	v_cmp_gt_i32_e32 vcc, s8, v0
	s_and_saveexec_b64 s[0:1], vcc
	s_cbranch_execnz .LBB421_58
.LBB421_41:
	s_or_b64 exec, exec, s[0:1]
	v_cmp_gt_i32_e32 vcc, s8, v0
	s_and_saveexec_b64 s[0:1], vcc
	s_cbranch_execnz .LBB421_59
.LBB421_42:
	s_or_b64 exec, exec, s[0:1]
	v_cmp_gt_i32_e32 vcc, s8, v0
	s_and_saveexec_b64 s[0:1], vcc
	s_cbranch_execnz .LBB421_60
.LBB421_43:
	s_or_b64 exec, exec, s[0:1]
	v_cmp_gt_i32_e32 vcc, s8, v0
	s_and_saveexec_b64 s[0:1], vcc
	s_cbranch_execnz .LBB421_61
.LBB421_44:
	s_or_b64 exec, exec, s[0:1]
	v_cmp_gt_i32_e32 vcc, s8, v0
	s_and_saveexec_b64 s[0:1], vcc
	s_cbranch_execnz .LBB421_62
.LBB421_45:
	s_or_b64 exec, exec, s[0:1]
	v_cmp_gt_i32_e32 vcc, s8, v0
	s_and_saveexec_b64 s[0:1], vcc
	s_cbranch_execnz .LBB421_63
.LBB421_46:
	s_or_b64 exec, exec, s[0:1]
	v_cmp_gt_i32_e32 vcc, s8, v0
	s_and_saveexec_b64 s[0:1], vcc
	s_cbranch_execnz .LBB421_64
.LBB421_47:
	s_or_b64 exec, exec, s[0:1]
	v_cmp_gt_i32_e32 vcc, s8, v0
	s_and_saveexec_b64 s[0:1], vcc
	s_cbranch_execnz .LBB421_65
.LBB421_48:
	s_or_b64 exec, exec, s[0:1]
	v_cmp_gt_i32_e32 vcc, s8, v0
	s_and_saveexec_b64 s[0:1], vcc
	s_cbranch_execnz .LBB421_66
.LBB421_49:
	s_or_b64 exec, exec, s[0:1]
	v_cmp_gt_i32_e32 vcc, s8, v0
	s_and_saveexec_b64 s[0:1], vcc
	s_cbranch_execnz .LBB421_67
.LBB421_50:
	s_or_b64 exec, exec, s[0:1]
	v_cmp_gt_i32_e32 vcc, s8, v0
	s_and_saveexec_b64 s[0:1], vcc
	s_cbranch_execz .LBB421_52
.LBB421_51:
	v_lshrrev_b32_e32 v1, 24, v2
	v_add_u32_e32 v0, s33, v0
	global_store_byte v0, v1, s[4:5]
.LBB421_52:
	s_endpgm
.LBB421_53:
	v_mov_b32_e32 v0, v1
	global_store_byte v6, v5, s[4:5]
	s_or_b64 exec, exec, s[0:1]
	v_cmp_gt_i32_e32 vcc, s8, v0
	s_and_saveexec_b64 s[0:1], vcc
	s_cbranch_execz .LBB421_37
.LBB421_54:
	v_lshrrev_b32_e32 v1, 8, v5
	v_add_u32_e32 v6, s33, v0
	v_add_u32_e32 v0, 0x100, v0
	global_store_byte v6, v1, s[4:5]
	s_or_b64 exec, exec, s[0:1]
	v_cmp_gt_i32_e32 vcc, s8, v0
	s_and_saveexec_b64 s[0:1], vcc
	s_cbranch_execz .LBB421_38
.LBB421_55:
	v_add_u32_e32 v1, s33, v0
	v_add_u32_e32 v0, 0x100, v0
	global_store_byte_d16_hi v1, v5, s[4:5]
	s_or_b64 exec, exec, s[0:1]
	v_cmp_gt_i32_e32 vcc, s8, v0
	s_and_saveexec_b64 s[0:1], vcc
	s_cbranch_execz .LBB421_39
.LBB421_56:
	v_lshrrev_b32_e32 v1, 24, v5
	v_add_u32_e32 v5, s33, v0
	v_add_u32_e32 v0, 0x100, v0
	global_store_byte v5, v1, s[4:5]
	s_or_b64 exec, exec, s[0:1]
	v_cmp_gt_i32_e32 vcc, s8, v0
	s_and_saveexec_b64 s[0:1], vcc
	s_cbranch_execz .LBB421_40
.LBB421_57:
	v_add_u32_e32 v1, s33, v0
	v_add_u32_e32 v0, 0x100, v0
	global_store_byte v1, v4, s[4:5]
	s_or_b64 exec, exec, s[0:1]
	v_cmp_gt_i32_e32 vcc, s8, v0
	s_and_saveexec_b64 s[0:1], vcc
	s_cbranch_execz .LBB421_41
.LBB421_58:
	v_lshrrev_b32_e32 v1, 8, v4
	v_add_u32_e32 v5, s33, v0
	v_add_u32_e32 v0, 0x100, v0
	global_store_byte v5, v1, s[4:5]
	s_or_b64 exec, exec, s[0:1]
	v_cmp_gt_i32_e32 vcc, s8, v0
	s_and_saveexec_b64 s[0:1], vcc
	s_cbranch_execz .LBB421_42
.LBB421_59:
	v_add_u32_e32 v1, s33, v0
	v_add_u32_e32 v0, 0x100, v0
	global_store_byte_d16_hi v1, v4, s[4:5]
	s_or_b64 exec, exec, s[0:1]
	v_cmp_gt_i32_e32 vcc, s8, v0
	s_and_saveexec_b64 s[0:1], vcc
	s_cbranch_execz .LBB421_43
.LBB421_60:
	v_lshrrev_b32_e32 v1, 24, v4
	v_add_u32_e32 v4, s33, v0
	v_add_u32_e32 v0, 0x100, v0
	global_store_byte v4, v1, s[4:5]
	s_or_b64 exec, exec, s[0:1]
	v_cmp_gt_i32_e32 vcc, s8, v0
	s_and_saveexec_b64 s[0:1], vcc
	s_cbranch_execz .LBB421_44
.LBB421_61:
	v_add_u32_e32 v1, s33, v0
	v_add_u32_e32 v0, 0x100, v0
	global_store_byte v1, v3, s[4:5]
	s_or_b64 exec, exec, s[0:1]
	v_cmp_gt_i32_e32 vcc, s8, v0
	s_and_saveexec_b64 s[0:1], vcc
	s_cbranch_execz .LBB421_45
.LBB421_62:
	v_lshrrev_b32_e32 v1, 8, v3
	v_add_u32_e32 v4, s33, v0
	v_add_u32_e32 v0, 0x100, v0
	global_store_byte v4, v1, s[4:5]
	s_or_b64 exec, exec, s[0:1]
	v_cmp_gt_i32_e32 vcc, s8, v0
	s_and_saveexec_b64 s[0:1], vcc
	s_cbranch_execz .LBB421_46
.LBB421_63:
	v_add_u32_e32 v1, s33, v0
	v_add_u32_e32 v0, 0x100, v0
	global_store_byte_d16_hi v1, v3, s[4:5]
	s_or_b64 exec, exec, s[0:1]
	v_cmp_gt_i32_e32 vcc, s8, v0
	s_and_saveexec_b64 s[0:1], vcc
	s_cbranch_execz .LBB421_47
.LBB421_64:
	v_lshrrev_b32_e32 v1, 24, v3
	v_add_u32_e32 v3, s33, v0
	v_add_u32_e32 v0, 0x100, v0
	global_store_byte v3, v1, s[4:5]
	s_or_b64 exec, exec, s[0:1]
	v_cmp_gt_i32_e32 vcc, s8, v0
	s_and_saveexec_b64 s[0:1], vcc
	s_cbranch_execz .LBB421_48
.LBB421_65:
	v_add_u32_e32 v1, s33, v0
	v_add_u32_e32 v0, 0x100, v0
	global_store_byte v1, v2, s[4:5]
	s_or_b64 exec, exec, s[0:1]
	v_cmp_gt_i32_e32 vcc, s8, v0
	s_and_saveexec_b64 s[0:1], vcc
	s_cbranch_execz .LBB421_49
.LBB421_66:
	v_lshrrev_b32_e32 v1, 8, v2
	v_add_u32_e32 v3, s33, v0
	v_add_u32_e32 v0, 0x100, v0
	global_store_byte v3, v1, s[4:5]
	s_or_b64 exec, exec, s[0:1]
	v_cmp_gt_i32_e32 vcc, s8, v0
	s_and_saveexec_b64 s[0:1], vcc
	s_cbranch_execz .LBB421_50
.LBB421_67:
	v_add_u32_e32 v1, s33, v0
	v_add_u32_e32 v0, 0x100, v0
	global_store_byte_d16_hi v1, v2, s[4:5]
	s_or_b64 exec, exec, s[0:1]
	v_cmp_gt_i32_e32 vcc, s8, v0
	s_and_saveexec_b64 s[0:1], vcc
	s_cbranch_execnz .LBB421_51
	s_branch .LBB421_52
	.section	.rodata,"a",@progbits
	.p2align	6, 0x0
	.amdhsa_kernel _ZN2at6native29vectorized_elementwise_kernelILi2EZZZNS0_21clamp_max_kernel_cudaERNS_18TensorIteratorBaseERKN3c106ScalarEENKUlvE_clEvENKUlvE_clEvEUlhE_St5arrayIPcLm2EEEEviT0_T1_
		.amdhsa_group_segment_fixed_size 0
		.amdhsa_private_segment_fixed_size 0
		.amdhsa_kernarg_size 24
		.amdhsa_user_sgpr_count 2
		.amdhsa_user_sgpr_dispatch_ptr 0
		.amdhsa_user_sgpr_queue_ptr 0
		.amdhsa_user_sgpr_kernarg_segment_ptr 1
		.amdhsa_user_sgpr_dispatch_id 0
		.amdhsa_user_sgpr_kernarg_preload_length 0
		.amdhsa_user_sgpr_kernarg_preload_offset 0
		.amdhsa_user_sgpr_private_segment_size 0
		.amdhsa_uses_dynamic_stack 0
		.amdhsa_enable_private_segment 0
		.amdhsa_system_sgpr_workgroup_id_x 1
		.amdhsa_system_sgpr_workgroup_id_y 0
		.amdhsa_system_sgpr_workgroup_id_z 0
		.amdhsa_system_sgpr_workgroup_info 0
		.amdhsa_system_vgpr_workitem_id 0
		.amdhsa_next_free_vgpr 21
		.amdhsa_next_free_sgpr 40
		.amdhsa_accum_offset 24
		.amdhsa_reserve_vcc 1
		.amdhsa_float_round_mode_32 0
		.amdhsa_float_round_mode_16_64 0
		.amdhsa_float_denorm_mode_32 3
		.amdhsa_float_denorm_mode_16_64 3
		.amdhsa_dx10_clamp 1
		.amdhsa_ieee_mode 1
		.amdhsa_fp16_overflow 0
		.amdhsa_tg_split 0
		.amdhsa_exception_fp_ieee_invalid_op 0
		.amdhsa_exception_fp_denorm_src 0
		.amdhsa_exception_fp_ieee_div_zero 0
		.amdhsa_exception_fp_ieee_overflow 0
		.amdhsa_exception_fp_ieee_underflow 0
		.amdhsa_exception_fp_ieee_inexact 0
		.amdhsa_exception_int_div_zero 0
	.end_amdhsa_kernel
	.section	.text._ZN2at6native29vectorized_elementwise_kernelILi2EZZZNS0_21clamp_max_kernel_cudaERNS_18TensorIteratorBaseERKN3c106ScalarEENKUlvE_clEvENKUlvE_clEvEUlhE_St5arrayIPcLm2EEEEviT0_T1_,"axG",@progbits,_ZN2at6native29vectorized_elementwise_kernelILi2EZZZNS0_21clamp_max_kernel_cudaERNS_18TensorIteratorBaseERKN3c106ScalarEENKUlvE_clEvENKUlvE_clEvEUlhE_St5arrayIPcLm2EEEEviT0_T1_,comdat
.Lfunc_end421:
	.size	_ZN2at6native29vectorized_elementwise_kernelILi2EZZZNS0_21clamp_max_kernel_cudaERNS_18TensorIteratorBaseERKN3c106ScalarEENKUlvE_clEvENKUlvE_clEvEUlhE_St5arrayIPcLm2EEEEviT0_T1_, .Lfunc_end421-_ZN2at6native29vectorized_elementwise_kernelILi2EZZZNS0_21clamp_max_kernel_cudaERNS_18TensorIteratorBaseERKN3c106ScalarEENKUlvE_clEvENKUlvE_clEvEUlhE_St5arrayIPcLm2EEEEviT0_T1_
                                        ; -- End function
	.set _ZN2at6native29vectorized_elementwise_kernelILi2EZZZNS0_21clamp_max_kernel_cudaERNS_18TensorIteratorBaseERKN3c106ScalarEENKUlvE_clEvENKUlvE_clEvEUlhE_St5arrayIPcLm2EEEEviT0_T1_.num_vgpr, 21
	.set _ZN2at6native29vectorized_elementwise_kernelILi2EZZZNS0_21clamp_max_kernel_cudaERNS_18TensorIteratorBaseERKN3c106ScalarEENKUlvE_clEvENKUlvE_clEvEUlhE_St5arrayIPcLm2EEEEviT0_T1_.num_agpr, 0
	.set _ZN2at6native29vectorized_elementwise_kernelILi2EZZZNS0_21clamp_max_kernel_cudaERNS_18TensorIteratorBaseERKN3c106ScalarEENKUlvE_clEvENKUlvE_clEvEUlhE_St5arrayIPcLm2EEEEviT0_T1_.numbered_sgpr, 40
	.set _ZN2at6native29vectorized_elementwise_kernelILi2EZZZNS0_21clamp_max_kernel_cudaERNS_18TensorIteratorBaseERKN3c106ScalarEENKUlvE_clEvENKUlvE_clEvEUlhE_St5arrayIPcLm2EEEEviT0_T1_.num_named_barrier, 0
	.set _ZN2at6native29vectorized_elementwise_kernelILi2EZZZNS0_21clamp_max_kernel_cudaERNS_18TensorIteratorBaseERKN3c106ScalarEENKUlvE_clEvENKUlvE_clEvEUlhE_St5arrayIPcLm2EEEEviT0_T1_.private_seg_size, 0
	.set _ZN2at6native29vectorized_elementwise_kernelILi2EZZZNS0_21clamp_max_kernel_cudaERNS_18TensorIteratorBaseERKN3c106ScalarEENKUlvE_clEvENKUlvE_clEvEUlhE_St5arrayIPcLm2EEEEviT0_T1_.uses_vcc, 1
	.set _ZN2at6native29vectorized_elementwise_kernelILi2EZZZNS0_21clamp_max_kernel_cudaERNS_18TensorIteratorBaseERKN3c106ScalarEENKUlvE_clEvENKUlvE_clEvEUlhE_St5arrayIPcLm2EEEEviT0_T1_.uses_flat_scratch, 0
	.set _ZN2at6native29vectorized_elementwise_kernelILi2EZZZNS0_21clamp_max_kernel_cudaERNS_18TensorIteratorBaseERKN3c106ScalarEENKUlvE_clEvENKUlvE_clEvEUlhE_St5arrayIPcLm2EEEEviT0_T1_.has_dyn_sized_stack, 0
	.set _ZN2at6native29vectorized_elementwise_kernelILi2EZZZNS0_21clamp_max_kernel_cudaERNS_18TensorIteratorBaseERKN3c106ScalarEENKUlvE_clEvENKUlvE_clEvEUlhE_St5arrayIPcLm2EEEEviT0_T1_.has_recursion, 0
	.set _ZN2at6native29vectorized_elementwise_kernelILi2EZZZNS0_21clamp_max_kernel_cudaERNS_18TensorIteratorBaseERKN3c106ScalarEENKUlvE_clEvENKUlvE_clEvEUlhE_St5arrayIPcLm2EEEEviT0_T1_.has_indirect_call, 0
	.section	.AMDGPU.csdata,"",@progbits
; Kernel info:
; codeLenInByte = 3152
; TotalNumSgprs: 46
; NumVgprs: 21
; NumAgprs: 0
; TotalNumVgprs: 21
; ScratchSize: 0
; MemoryBound: 0
; FloatMode: 240
; IeeeMode: 1
; LDSByteSize: 0 bytes/workgroup (compile time only)
; SGPRBlocks: 5
; VGPRBlocks: 2
; NumSGPRsForWavesPerEU: 46
; NumVGPRsForWavesPerEU: 21
; AccumOffset: 24
; Occupancy: 8
; WaveLimiterHint : 1
; COMPUTE_PGM_RSRC2:SCRATCH_EN: 0
; COMPUTE_PGM_RSRC2:USER_SGPR: 2
; COMPUTE_PGM_RSRC2:TRAP_HANDLER: 0
; COMPUTE_PGM_RSRC2:TGID_X_EN: 1
; COMPUTE_PGM_RSRC2:TGID_Y_EN: 0
; COMPUTE_PGM_RSRC2:TGID_Z_EN: 0
; COMPUTE_PGM_RSRC2:TIDIG_COMP_CNT: 0
; COMPUTE_PGM_RSRC3_GFX90A:ACCUM_OFFSET: 5
; COMPUTE_PGM_RSRC3_GFX90A:TG_SPLIT: 0
	.section	.text._ZN2at6native27unrolled_elementwise_kernelIZZZNS0_21clamp_max_kernel_cudaERNS_18TensorIteratorBaseERKN3c106ScalarEENKUlvE_clEvENKUlvE_clEvEUlhE_St5arrayIPcLm2EELi4E23TrivialOffsetCalculatorILi1EjESF_NS0_6memory15LoadWithoutCastENSG_16StoreWithoutCastEEEviT_T0_T2_T3_T4_T5_,"axG",@progbits,_ZN2at6native27unrolled_elementwise_kernelIZZZNS0_21clamp_max_kernel_cudaERNS_18TensorIteratorBaseERKN3c106ScalarEENKUlvE_clEvENKUlvE_clEvEUlhE_St5arrayIPcLm2EELi4E23TrivialOffsetCalculatorILi1EjESF_NS0_6memory15LoadWithoutCastENSG_16StoreWithoutCastEEEviT_T0_T2_T3_T4_T5_,comdat
	.globl	_ZN2at6native27unrolled_elementwise_kernelIZZZNS0_21clamp_max_kernel_cudaERNS_18TensorIteratorBaseERKN3c106ScalarEENKUlvE_clEvENKUlvE_clEvEUlhE_St5arrayIPcLm2EELi4E23TrivialOffsetCalculatorILi1EjESF_NS0_6memory15LoadWithoutCastENSG_16StoreWithoutCastEEEviT_T0_T2_T3_T4_T5_ ; -- Begin function _ZN2at6native27unrolled_elementwise_kernelIZZZNS0_21clamp_max_kernel_cudaERNS_18TensorIteratorBaseERKN3c106ScalarEENKUlvE_clEvENKUlvE_clEvEUlhE_St5arrayIPcLm2EELi4E23TrivialOffsetCalculatorILi1EjESF_NS0_6memory15LoadWithoutCastENSG_16StoreWithoutCastEEEviT_T0_T2_T3_T4_T5_
	.p2align	8
	.type	_ZN2at6native27unrolled_elementwise_kernelIZZZNS0_21clamp_max_kernel_cudaERNS_18TensorIteratorBaseERKN3c106ScalarEENKUlvE_clEvENKUlvE_clEvEUlhE_St5arrayIPcLm2EELi4E23TrivialOffsetCalculatorILi1EjESF_NS0_6memory15LoadWithoutCastENSG_16StoreWithoutCastEEEviT_T0_T2_T3_T4_T5_,@function
_ZN2at6native27unrolled_elementwise_kernelIZZZNS0_21clamp_max_kernel_cudaERNS_18TensorIteratorBaseERKN3c106ScalarEENKUlvE_clEvENKUlvE_clEvEUlhE_St5arrayIPcLm2EELi4E23TrivialOffsetCalculatorILi1EjESF_NS0_6memory15LoadWithoutCastENSG_16StoreWithoutCastEEEviT_T0_T2_T3_T4_T5_: ; @_ZN2at6native27unrolled_elementwise_kernelIZZZNS0_21clamp_max_kernel_cudaERNS_18TensorIteratorBaseERKN3c106ScalarEENKUlvE_clEvENKUlvE_clEvEUlhE_St5arrayIPcLm2EELi4E23TrivialOffsetCalculatorILi1EjESF_NS0_6memory15LoadWithoutCastENSG_16StoreWithoutCastEEEviT_T0_T2_T3_T4_T5_
; %bb.0:
	s_load_dwordx2 s[8:9], s[0:1], 0x0
	s_load_dwordx4 s[4:7], s[0:1], 0x8
	s_lshl_b32 s16, s2, 10
	v_or_b32_e32 v1, 0x100, v0
	v_mov_b32_e32 v5, 0
	s_waitcnt lgkmcnt(0)
	s_sub_i32 s8, s8, s16
	v_cmp_gt_i32_e32 vcc, s8, v0
	v_or_b32_e32 v2, s16, v0
	v_mov_b32_e32 v4, 0
	v_mov_b32_e32 v6, 0
	;; [unrolled: 1-line block ×3, first 2 shown]
	s_and_saveexec_b64 s[2:3], vcc
	s_cbranch_execz .LBB422_8
; %bb.1:
	global_load_ubyte v3, v2, s[6:7]
	v_cmp_gt_u32_e64 s[0:1], s8, v1
	v_mov_b32_e32 v6, 0
	v_mov_b32_e32 v4, 0
	;; [unrolled: 1-line block ×3, first 2 shown]
	s_and_saveexec_b64 s[10:11], s[0:1]
	s_cbranch_execz .LBB422_7
; %bb.2:
	v_add_u32_e32 v4, s16, v1
	global_load_ubyte v6, v4, s[6:7]
	v_or_b32_e32 v7, 0x200, v0
	v_cmp_gt_u32_e64 s[0:1], s8, v7
	v_mov_b32_e32 v4, 0
	v_mov_b32_e32 v5, 0
	s_and_saveexec_b64 s[12:13], s[0:1]
	s_cbranch_execz .LBB422_6
; %bb.3:
	v_add_u32_e32 v4, s16, v7
	global_load_ubyte v4, v4, s[6:7]
	v_or_b32_e32 v7, 0x300, v0
	v_cmp_gt_u32_e64 s[0:1], s8, v7
	v_mov_b32_e32 v5, 0
	s_and_saveexec_b64 s[14:15], s[0:1]
	s_cbranch_execz .LBB422_5
; %bb.4:
	v_add_u32_e32 v5, s16, v7
	global_load_ubyte v5, v5, s[6:7]
	s_and_b32 s0, s9, 0xff
	s_waitcnt vmcnt(0)
	v_min_u16_e32 v5, s0, v5
.LBB422_5:
	s_or_b64 exec, exec, s[14:15]
.LBB422_6:
	s_or_b64 exec, exec, s[12:13]
.LBB422_7:
	s_or_b64 exec, exec, s[10:11]
.LBB422_8:
	s_or_b64 exec, exec, s[2:3]
	s_and_b32 s2, s9, 0xff
	s_waitcnt vmcnt(0)
	v_min_u16_sdwa v3, v3, s2 dst_sel:DWORD dst_unused:UNUSED_PAD src0_sel:BYTE_0 src1_sel:DWORD
	v_cndmask_b32_e32 v3, 0, v3, vcc
	v_min_u16_sdwa v6, v6, s2 dst_sel:BYTE_1 dst_unused:UNUSED_PAD src0_sel:BYTE_0 src1_sel:DWORD
	v_cmp_gt_i32_e64 s[0:1], s8, v1
	v_or_b32_e32 v6, v3, v6
	v_and_b32_e32 v6, 0xffff, v6
	v_cndmask_b32_e64 v3, v3, v6, s[0:1]
	v_or_b32_e32 v6, 0x200, v0
	v_min_u16_sdwa v4, v4, s2 dst_sel:WORD_1 dst_unused:UNUSED_PAD src0_sel:BYTE_0 src1_sel:DWORD
	v_cmp_gt_i32_e64 s[0:1], s8, v6
	v_or_b32_e32 v4, v3, v4
	s_mov_b32 s3, 0xffff
	v_cndmask_b32_e64 v3, v3, v4, s[0:1]
	s_mov_b32 s0, 0xc0c0006
	v_perm_b32 v5, v3, v5, s0
	v_or_b32_e32 v4, 0x300, v0
	v_lshlrev_b32_e32 v5, 16, v5
	v_and_or_b32 v5, v3, s3, v5
	v_cmp_gt_i32_e64 s[0:1], s8, v4
	s_nop 1
	v_cndmask_b32_e64 v3, v3, v5, s[0:1]
	s_and_saveexec_b64 s[0:1], vcc
	s_cbranch_execnz .LBB422_13
; %bb.9:
	s_or_b64 exec, exec, s[0:1]
	v_cmp_gt_i32_e32 vcc, s8, v0
	s_and_saveexec_b64 s[0:1], vcc
	s_cbranch_execnz .LBB422_14
.LBB422_10:
	s_or_b64 exec, exec, s[0:1]
	v_cmp_gt_i32_e32 vcc, s8, v0
	s_and_saveexec_b64 s[0:1], vcc
	s_cbranch_execnz .LBB422_15
.LBB422_11:
	s_or_b64 exec, exec, s[0:1]
	v_cmp_gt_i32_e32 vcc, s8, v0
	s_and_saveexec_b64 s[0:1], vcc
	s_cbranch_execnz .LBB422_16
.LBB422_12:
	s_endpgm
.LBB422_13:
	v_mov_b32_e32 v0, v1
	global_store_byte v2, v3, s[4:5]
	s_or_b64 exec, exec, s[0:1]
	v_cmp_gt_i32_e32 vcc, s8, v0
	s_and_saveexec_b64 s[0:1], vcc
	s_cbranch_execz .LBB422_10
.LBB422_14:
	v_add_u32_e32 v1, 0x100, v0
	v_add_u32_e32 v0, s16, v0
	v_lshrrev_b32_e32 v2, 8, v3
	global_store_byte v0, v2, s[4:5]
	v_mov_b32_e32 v0, v1
	s_or_b64 exec, exec, s[0:1]
	v_cmp_gt_i32_e32 vcc, s8, v0
	s_and_saveexec_b64 s[0:1], vcc
	s_cbranch_execz .LBB422_11
.LBB422_15:
	v_add_u32_e32 v1, 0x100, v0
	v_add_u32_e32 v0, s16, v0
	global_store_byte_d16_hi v0, v3, s[4:5]
	v_mov_b32_e32 v0, v1
	s_or_b64 exec, exec, s[0:1]
	v_cmp_gt_i32_e32 vcc, s8, v0
	s_and_saveexec_b64 s[0:1], vcc
	s_cbranch_execz .LBB422_12
.LBB422_16:
	v_add_u32_e32 v0, s16, v0
	v_lshrrev_b32_e32 v1, 24, v3
	global_store_byte v0, v1, s[4:5]
	s_endpgm
	.section	.rodata,"a",@progbits
	.p2align	6, 0x0
	.amdhsa_kernel _ZN2at6native27unrolled_elementwise_kernelIZZZNS0_21clamp_max_kernel_cudaERNS_18TensorIteratorBaseERKN3c106ScalarEENKUlvE_clEvENKUlvE_clEvEUlhE_St5arrayIPcLm2EELi4E23TrivialOffsetCalculatorILi1EjESF_NS0_6memory15LoadWithoutCastENSG_16StoreWithoutCastEEEviT_T0_T2_T3_T4_T5_
		.amdhsa_group_segment_fixed_size 0
		.amdhsa_private_segment_fixed_size 0
		.amdhsa_kernarg_size 28
		.amdhsa_user_sgpr_count 2
		.amdhsa_user_sgpr_dispatch_ptr 0
		.amdhsa_user_sgpr_queue_ptr 0
		.amdhsa_user_sgpr_kernarg_segment_ptr 1
		.amdhsa_user_sgpr_dispatch_id 0
		.amdhsa_user_sgpr_kernarg_preload_length 0
		.amdhsa_user_sgpr_kernarg_preload_offset 0
		.amdhsa_user_sgpr_private_segment_size 0
		.amdhsa_uses_dynamic_stack 0
		.amdhsa_enable_private_segment 0
		.amdhsa_system_sgpr_workgroup_id_x 1
		.amdhsa_system_sgpr_workgroup_id_y 0
		.amdhsa_system_sgpr_workgroup_id_z 0
		.amdhsa_system_sgpr_workgroup_info 0
		.amdhsa_system_vgpr_workitem_id 0
		.amdhsa_next_free_vgpr 8
		.amdhsa_next_free_sgpr 17
		.amdhsa_accum_offset 8
		.amdhsa_reserve_vcc 1
		.amdhsa_float_round_mode_32 0
		.amdhsa_float_round_mode_16_64 0
		.amdhsa_float_denorm_mode_32 3
		.amdhsa_float_denorm_mode_16_64 3
		.amdhsa_dx10_clamp 1
		.amdhsa_ieee_mode 1
		.amdhsa_fp16_overflow 0
		.amdhsa_tg_split 0
		.amdhsa_exception_fp_ieee_invalid_op 0
		.amdhsa_exception_fp_denorm_src 0
		.amdhsa_exception_fp_ieee_div_zero 0
		.amdhsa_exception_fp_ieee_overflow 0
		.amdhsa_exception_fp_ieee_underflow 0
		.amdhsa_exception_fp_ieee_inexact 0
		.amdhsa_exception_int_div_zero 0
	.end_amdhsa_kernel
	.section	.text._ZN2at6native27unrolled_elementwise_kernelIZZZNS0_21clamp_max_kernel_cudaERNS_18TensorIteratorBaseERKN3c106ScalarEENKUlvE_clEvENKUlvE_clEvEUlhE_St5arrayIPcLm2EELi4E23TrivialOffsetCalculatorILi1EjESF_NS0_6memory15LoadWithoutCastENSG_16StoreWithoutCastEEEviT_T0_T2_T3_T4_T5_,"axG",@progbits,_ZN2at6native27unrolled_elementwise_kernelIZZZNS0_21clamp_max_kernel_cudaERNS_18TensorIteratorBaseERKN3c106ScalarEENKUlvE_clEvENKUlvE_clEvEUlhE_St5arrayIPcLm2EELi4E23TrivialOffsetCalculatorILi1EjESF_NS0_6memory15LoadWithoutCastENSG_16StoreWithoutCastEEEviT_T0_T2_T3_T4_T5_,comdat
.Lfunc_end422:
	.size	_ZN2at6native27unrolled_elementwise_kernelIZZZNS0_21clamp_max_kernel_cudaERNS_18TensorIteratorBaseERKN3c106ScalarEENKUlvE_clEvENKUlvE_clEvEUlhE_St5arrayIPcLm2EELi4E23TrivialOffsetCalculatorILi1EjESF_NS0_6memory15LoadWithoutCastENSG_16StoreWithoutCastEEEviT_T0_T2_T3_T4_T5_, .Lfunc_end422-_ZN2at6native27unrolled_elementwise_kernelIZZZNS0_21clamp_max_kernel_cudaERNS_18TensorIteratorBaseERKN3c106ScalarEENKUlvE_clEvENKUlvE_clEvEUlhE_St5arrayIPcLm2EELi4E23TrivialOffsetCalculatorILi1EjESF_NS0_6memory15LoadWithoutCastENSG_16StoreWithoutCastEEEviT_T0_T2_T3_T4_T5_
                                        ; -- End function
	.set _ZN2at6native27unrolled_elementwise_kernelIZZZNS0_21clamp_max_kernel_cudaERNS_18TensorIteratorBaseERKN3c106ScalarEENKUlvE_clEvENKUlvE_clEvEUlhE_St5arrayIPcLm2EELi4E23TrivialOffsetCalculatorILi1EjESF_NS0_6memory15LoadWithoutCastENSG_16StoreWithoutCastEEEviT_T0_T2_T3_T4_T5_.num_vgpr, 8
	.set _ZN2at6native27unrolled_elementwise_kernelIZZZNS0_21clamp_max_kernel_cudaERNS_18TensorIteratorBaseERKN3c106ScalarEENKUlvE_clEvENKUlvE_clEvEUlhE_St5arrayIPcLm2EELi4E23TrivialOffsetCalculatorILi1EjESF_NS0_6memory15LoadWithoutCastENSG_16StoreWithoutCastEEEviT_T0_T2_T3_T4_T5_.num_agpr, 0
	.set _ZN2at6native27unrolled_elementwise_kernelIZZZNS0_21clamp_max_kernel_cudaERNS_18TensorIteratorBaseERKN3c106ScalarEENKUlvE_clEvENKUlvE_clEvEUlhE_St5arrayIPcLm2EELi4E23TrivialOffsetCalculatorILi1EjESF_NS0_6memory15LoadWithoutCastENSG_16StoreWithoutCastEEEviT_T0_T2_T3_T4_T5_.numbered_sgpr, 17
	.set _ZN2at6native27unrolled_elementwise_kernelIZZZNS0_21clamp_max_kernel_cudaERNS_18TensorIteratorBaseERKN3c106ScalarEENKUlvE_clEvENKUlvE_clEvEUlhE_St5arrayIPcLm2EELi4E23TrivialOffsetCalculatorILi1EjESF_NS0_6memory15LoadWithoutCastENSG_16StoreWithoutCastEEEviT_T0_T2_T3_T4_T5_.num_named_barrier, 0
	.set _ZN2at6native27unrolled_elementwise_kernelIZZZNS0_21clamp_max_kernel_cudaERNS_18TensorIteratorBaseERKN3c106ScalarEENKUlvE_clEvENKUlvE_clEvEUlhE_St5arrayIPcLm2EELi4E23TrivialOffsetCalculatorILi1EjESF_NS0_6memory15LoadWithoutCastENSG_16StoreWithoutCastEEEviT_T0_T2_T3_T4_T5_.private_seg_size, 0
	.set _ZN2at6native27unrolled_elementwise_kernelIZZZNS0_21clamp_max_kernel_cudaERNS_18TensorIteratorBaseERKN3c106ScalarEENKUlvE_clEvENKUlvE_clEvEUlhE_St5arrayIPcLm2EELi4E23TrivialOffsetCalculatorILi1EjESF_NS0_6memory15LoadWithoutCastENSG_16StoreWithoutCastEEEviT_T0_T2_T3_T4_T5_.uses_vcc, 1
	.set _ZN2at6native27unrolled_elementwise_kernelIZZZNS0_21clamp_max_kernel_cudaERNS_18TensorIteratorBaseERKN3c106ScalarEENKUlvE_clEvENKUlvE_clEvEUlhE_St5arrayIPcLm2EELi4E23TrivialOffsetCalculatorILi1EjESF_NS0_6memory15LoadWithoutCastENSG_16StoreWithoutCastEEEviT_T0_T2_T3_T4_T5_.uses_flat_scratch, 0
	.set _ZN2at6native27unrolled_elementwise_kernelIZZZNS0_21clamp_max_kernel_cudaERNS_18TensorIteratorBaseERKN3c106ScalarEENKUlvE_clEvENKUlvE_clEvEUlhE_St5arrayIPcLm2EELi4E23TrivialOffsetCalculatorILi1EjESF_NS0_6memory15LoadWithoutCastENSG_16StoreWithoutCastEEEviT_T0_T2_T3_T4_T5_.has_dyn_sized_stack, 0
	.set _ZN2at6native27unrolled_elementwise_kernelIZZZNS0_21clamp_max_kernel_cudaERNS_18TensorIteratorBaseERKN3c106ScalarEENKUlvE_clEvENKUlvE_clEvEUlhE_St5arrayIPcLm2EELi4E23TrivialOffsetCalculatorILi1EjESF_NS0_6memory15LoadWithoutCastENSG_16StoreWithoutCastEEEviT_T0_T2_T3_T4_T5_.has_recursion, 0
	.set _ZN2at6native27unrolled_elementwise_kernelIZZZNS0_21clamp_max_kernel_cudaERNS_18TensorIteratorBaseERKN3c106ScalarEENKUlvE_clEvENKUlvE_clEvEUlhE_St5arrayIPcLm2EELi4E23TrivialOffsetCalculatorILi1EjESF_NS0_6memory15LoadWithoutCastENSG_16StoreWithoutCastEEEviT_T0_T2_T3_T4_T5_.has_indirect_call, 0
	.section	.AMDGPU.csdata,"",@progbits
; Kernel info:
; codeLenInByte = 584
; TotalNumSgprs: 23
; NumVgprs: 8
; NumAgprs: 0
; TotalNumVgprs: 8
; ScratchSize: 0
; MemoryBound: 0
; FloatMode: 240
; IeeeMode: 1
; LDSByteSize: 0 bytes/workgroup (compile time only)
; SGPRBlocks: 2
; VGPRBlocks: 0
; NumSGPRsForWavesPerEU: 23
; NumVGPRsForWavesPerEU: 8
; AccumOffset: 8
; Occupancy: 8
; WaveLimiterHint : 0
; COMPUTE_PGM_RSRC2:SCRATCH_EN: 0
; COMPUTE_PGM_RSRC2:USER_SGPR: 2
; COMPUTE_PGM_RSRC2:TRAP_HANDLER: 0
; COMPUTE_PGM_RSRC2:TGID_X_EN: 1
; COMPUTE_PGM_RSRC2:TGID_Y_EN: 0
; COMPUTE_PGM_RSRC2:TGID_Z_EN: 0
; COMPUTE_PGM_RSRC2:TIDIG_COMP_CNT: 0
; COMPUTE_PGM_RSRC3_GFX90A:ACCUM_OFFSET: 1
; COMPUTE_PGM_RSRC3_GFX90A:TG_SPLIT: 0
	.section	.text._ZN2at6native32elementwise_kernel_manual_unrollILi128ELi8EZNS0_22gpu_kernel_impl_nocastIZZZNS0_21clamp_max_kernel_cudaERNS_18TensorIteratorBaseERKN3c106ScalarEENKUlvE_clEvENKUlvE_clEvEUlhE_EEvS4_RKT_EUlibE_EEviT1_,"axG",@progbits,_ZN2at6native32elementwise_kernel_manual_unrollILi128ELi8EZNS0_22gpu_kernel_impl_nocastIZZZNS0_21clamp_max_kernel_cudaERNS_18TensorIteratorBaseERKN3c106ScalarEENKUlvE_clEvENKUlvE_clEvEUlhE_EEvS4_RKT_EUlibE_EEviT1_,comdat
	.globl	_ZN2at6native32elementwise_kernel_manual_unrollILi128ELi8EZNS0_22gpu_kernel_impl_nocastIZZZNS0_21clamp_max_kernel_cudaERNS_18TensorIteratorBaseERKN3c106ScalarEENKUlvE_clEvENKUlvE_clEvEUlhE_EEvS4_RKT_EUlibE_EEviT1_ ; -- Begin function _ZN2at6native32elementwise_kernel_manual_unrollILi128ELi8EZNS0_22gpu_kernel_impl_nocastIZZZNS0_21clamp_max_kernel_cudaERNS_18TensorIteratorBaseERKN3c106ScalarEENKUlvE_clEvENKUlvE_clEvEUlhE_EEvS4_RKT_EUlibE_EEviT1_
	.p2align	8
	.type	_ZN2at6native32elementwise_kernel_manual_unrollILi128ELi8EZNS0_22gpu_kernel_impl_nocastIZZZNS0_21clamp_max_kernel_cudaERNS_18TensorIteratorBaseERKN3c106ScalarEENKUlvE_clEvENKUlvE_clEvEUlhE_EEvS4_RKT_EUlibE_EEviT1_,@function
_ZN2at6native32elementwise_kernel_manual_unrollILi128ELi8EZNS0_22gpu_kernel_impl_nocastIZZZNS0_21clamp_max_kernel_cudaERNS_18TensorIteratorBaseERKN3c106ScalarEENKUlvE_clEvENKUlvE_clEvEUlhE_EEvS4_RKT_EUlibE_EEviT1_: ; @_ZN2at6native32elementwise_kernel_manual_unrollILi128ELi8EZNS0_22gpu_kernel_impl_nocastIZZZNS0_21clamp_max_kernel_cudaERNS_18TensorIteratorBaseERKN3c106ScalarEENKUlvE_clEvENKUlvE_clEvEUlhE_EEvS4_RKT_EUlibE_EEviT1_
; %bb.0:
	s_load_dword s56, s[0:1], 0x0
	s_load_dword s33, s[0:1], 0x8
	s_add_u32 s34, s0, 8
	s_addc_u32 s35, s1, 0
	v_lshl_or_b32 v24, s2, 10, v0
	v_or_b32_e32 v32, 0x380, v24
	s_waitcnt lgkmcnt(0)
	s_add_i32 s54, s33, -1
	s_cmp_gt_u32 s54, 1
	v_cmp_le_i32_e32 vcc, s56, v32
	s_cselect_b64 s[36:37], -1, 0
	s_and_saveexec_b64 s[0:1], vcc
	s_xor_b64 s[38:39], exec, s[0:1]
	s_cbranch_execz .LBB423_8
; %bb.1:
	s_load_dwordx4 s[24:27], s[34:35], 0x4
	s_load_dwordx2 s[40:41], s[34:35], 0x14
	s_load_dwordx4 s[20:23], s[34:35], 0xc4
	s_load_dwordx4 s[16:19], s[34:35], 0x148
	s_load_dword s55, s[34:35], 0x158
	s_cmp_lg_u32 s33, 0
	s_cselect_b64 s[46:47], -1, 0
	s_add_u32 s44, s34, 0xc4
	s_addc_u32 s45, s35, 0
	s_min_u32 s57, s54, 15
	s_cmp_gt_u32 s33, 1
	s_cselect_b64 s[42:43], -1, 0
	v_cmp_gt_i32_e32 vcc, s56, v24
	s_and_saveexec_b64 s[48:49], vcc
	s_cbranch_execz .LBB423_15
; %bb.2:
	s_andn2_b64 vcc, exec, s[36:37]
	s_cbranch_vccnz .LBB423_23
; %bb.3:
	s_andn2_b64 vcc, exec, s[46:47]
	s_cbranch_vccnz .LBB423_131
; %bb.4:
	s_add_i32 s59, s57, 1
	s_cmp_eq_u32 s54, 2
	s_cbranch_scc1 .LBB423_133
; %bb.5:
	s_and_b32 s58, s59, 28
	s_mov_b32 s60, 0
	v_mov_b32_e32 v0, 0
	v_mov_b32_e32 v2, 0
	s_mov_b64 s[50:51], s[34:35]
	s_mov_b64 s[52:53], s[44:45]
	v_mov_b32_e32 v4, v24
.LBB423_6:                              ; =>This Inner Loop Header: Depth=1
	s_load_dwordx8 s[8:15], s[50:51], 0x4
	s_load_dwordx4 s[28:31], s[50:51], 0x24
	s_load_dwordx8 s[0:7], s[52:53], 0x0
	s_add_u32 s50, s50, 48
	s_addc_u32 s51, s51, 0
	s_waitcnt lgkmcnt(0)
	v_mul_hi_u32 v1, s9, v4
	v_add_u32_e32 v1, v4, v1
	v_lshrrev_b32_e32 v1, s10, v1
	v_mul_lo_u32 v3, v1, s8
	v_mul_hi_u32 v5, s12, v1
	v_sub_u32_e32 v3, v4, v3
	v_add_u32_e32 v4, v1, v5
	v_lshrrev_b32_e32 v4, s13, v4
	v_mul_lo_u32 v6, v4, s11
	v_mul_hi_u32 v7, s15, v4
	v_sub_u32_e32 v1, v1, v6
	v_add_u32_e32 v6, v4, v7
	v_mul_lo_u32 v5, v3, s1
	v_mul_lo_u32 v3, v3, s0
	;; [unrolled: 1-line block ×4, first 2 shown]
	v_lshrrev_b32_e32 v6, s28, v6
	v_add3_u32 v0, v3, v0, v1
	v_mul_hi_u32 v3, s30, v6
	v_add3_u32 v1, v5, v2, v7
	v_mul_lo_u32 v2, v6, s14
	v_add_u32_e32 v3, v6, v3
	v_sub_u32_e32 v2, v4, v2
	v_lshrrev_b32_e32 v4, s31, v3
	s_add_i32 s60, s60, 4
	v_mul_lo_u32 v3, v4, s29
	s_add_u32 s52, s52, 32
	v_sub_u32_e32 v3, v6, v3
	s_addc_u32 s53, s53, 0
	v_mul_lo_u32 v5, v2, s4
	v_mul_lo_u32 v2, v2, s5
	;; [unrolled: 1-line block ×4, first 2 shown]
	s_cmp_lg_u32 s58, s60
	v_add3_u32 v2, v2, v1, v3
	v_add3_u32 v0, v5, v0, v6
	s_cbranch_scc1 .LBB423_6
; %bb.7:
	v_mov_b32_e32 v1, v2
	s_branch .LBB423_134
.LBB423_8:
	s_andn2_saveexec_b64 s[0:1], s[38:39]
	s_cbranch_execz .LBB423_228
.LBB423_9:
	v_cndmask_b32_e64 v0, 0, 1, s[36:37]
	v_cmp_ne_u32_e64 s[0:1], 1, v0
	s_andn2_b64 vcc, exec, s[36:37]
	s_cbranch_vccnz .LBB423_22
; %bb.10:
	s_cmp_lg_u32 s33, 0
	s_waitcnt lgkmcnt(0)
	s_mov_b32 s26, 0
	s_cbranch_scc0 .LBB423_25
; %bb.11:
	s_min_u32 s27, s54, 15
	s_add_i32 s27, s27, 1
	s_cmp_eq_u32 s54, 2
	s_cbranch_scc1 .LBB423_26
; %bb.12:
	s_and_b32 s26, s27, 28
	s_add_u32 s2, s34, 0xc4
	s_addc_u32 s3, s35, 0
	s_mov_b32 s28, 0
	v_mov_b32_e32 v0, 0
	v_mov_b32_e32 v2, 0
	s_mov_b64 s[24:25], s[34:35]
	v_mov_b32_e32 v4, v24
.LBB423_13:                             ; =>This Inner Loop Header: Depth=1
	s_load_dwordx8 s[12:19], s[24:25], 0x4
	s_load_dwordx4 s[20:23], s[24:25], 0x24
	s_load_dwordx8 s[4:11], s[2:3], 0x0
	s_add_u32 s24, s24, 48
	s_addc_u32 s25, s25, 0
	s_waitcnt lgkmcnt(0)
	v_mul_hi_u32 v1, s13, v4
	v_add_u32_e32 v1, v4, v1
	v_lshrrev_b32_e32 v1, s14, v1
	v_mul_lo_u32 v3, v1, s12
	v_mul_hi_u32 v5, s16, v1
	v_sub_u32_e32 v3, v4, v3
	v_add_u32_e32 v4, v1, v5
	v_lshrrev_b32_e32 v4, s17, v4
	v_mul_lo_u32 v6, v4, s15
	v_mul_hi_u32 v7, s19, v4
	v_sub_u32_e32 v1, v1, v6
	v_add_u32_e32 v6, v4, v7
	v_mul_lo_u32 v5, v3, s5
	v_mul_lo_u32 v3, v3, s4
	;; [unrolled: 1-line block ×4, first 2 shown]
	v_lshrrev_b32_e32 v6, s20, v6
	v_add3_u32 v0, v3, v0, v1
	v_mul_hi_u32 v3, s22, v6
	v_add3_u32 v1, v5, v2, v7
	v_mul_lo_u32 v2, v6, s18
	v_add_u32_e32 v3, v6, v3
	v_sub_u32_e32 v2, v4, v2
	v_lshrrev_b32_e32 v4, s23, v3
	s_add_i32 s28, s28, 4
	v_mul_lo_u32 v3, v4, s21
	s_add_u32 s2, s2, 32
	v_sub_u32_e32 v3, v6, v3
	s_addc_u32 s3, s3, 0
	v_mul_lo_u32 v5, v2, s8
	v_mul_lo_u32 v2, v2, s9
	;; [unrolled: 1-line block ×4, first 2 shown]
	s_cmp_lg_u32 s26, s28
	v_add3_u32 v2, v2, v1, v3
	v_add3_u32 v0, v5, v0, v6
	s_cbranch_scc1 .LBB423_13
; %bb.14:
	v_mov_b32_e32 v1, v2
	s_and_b32 s6, s27, 3
	s_cmp_eq_u32 s6, 0
	s_cbranch_scc0 .LBB423_27
	s_branch .LBB423_29
.LBB423_15:
	s_or_b64 exec, exec, s[48:49]
	v_cmp_gt_i32_e32 vcc, s56, v24
	s_and_saveexec_b64 s[48:49], vcc
	s_cbranch_execz .LBB423_141
.LBB423_16:
	s_andn2_b64 vcc, exec, s[36:37]
	s_cbranch_vccnz .LBB423_24
; %bb.17:
	s_andn2_b64 vcc, exec, s[46:47]
	s_cbranch_vccnz .LBB423_132
; %bb.18:
	s_add_i32 s59, s57, 1
	s_cmp_eq_u32 s54, 2
	s_cbranch_scc1 .LBB423_150
; %bb.19:
	s_and_b32 s58, s59, 28
	s_mov_b32 s60, 0
	v_mov_b32_e32 v0, 0
	v_mov_b32_e32 v2, 0
	s_mov_b64 s[50:51], s[34:35]
	s_mov_b64 s[52:53], s[44:45]
	v_mov_b32_e32 v4, v24
.LBB423_20:                             ; =>This Inner Loop Header: Depth=1
	s_load_dwordx8 s[8:15], s[50:51], 0x4
	s_load_dwordx4 s[28:31], s[50:51], 0x24
	s_load_dwordx8 s[0:7], s[52:53], 0x0
	s_add_u32 s50, s50, 48
	s_addc_u32 s51, s51, 0
	s_waitcnt lgkmcnt(0)
	v_mul_hi_u32 v1, s9, v4
	v_add_u32_e32 v1, v4, v1
	v_lshrrev_b32_e32 v1, s10, v1
	v_mul_lo_u32 v3, v1, s8
	v_mul_hi_u32 v5, s12, v1
	v_sub_u32_e32 v3, v4, v3
	v_add_u32_e32 v4, v1, v5
	v_lshrrev_b32_e32 v4, s13, v4
	v_mul_lo_u32 v6, v4, s11
	v_mul_hi_u32 v7, s15, v4
	v_sub_u32_e32 v1, v1, v6
	v_add_u32_e32 v6, v4, v7
	v_mul_lo_u32 v5, v3, s1
	v_mul_lo_u32 v3, v3, s0
	;; [unrolled: 1-line block ×4, first 2 shown]
	v_lshrrev_b32_e32 v6, s28, v6
	v_add3_u32 v0, v3, v0, v1
	v_mul_hi_u32 v3, s30, v6
	v_add3_u32 v1, v5, v2, v7
	v_mul_lo_u32 v2, v6, s14
	v_add_u32_e32 v3, v6, v3
	v_sub_u32_e32 v2, v4, v2
	v_lshrrev_b32_e32 v4, s31, v3
	s_add_i32 s60, s60, 4
	v_mul_lo_u32 v3, v4, s29
	s_add_u32 s52, s52, 32
	v_sub_u32_e32 v3, v6, v3
	s_addc_u32 s53, s53, 0
	v_mul_lo_u32 v5, v2, s4
	v_mul_lo_u32 v2, v2, s5
	;; [unrolled: 1-line block ×4, first 2 shown]
	s_cmp_eq_u32 s58, s60
	v_add3_u32 v2, v2, v1, v3
	v_add3_u32 v0, v5, v0, v6
	s_cbranch_scc0 .LBB423_20
; %bb.21:
	v_mov_b32_e32 v1, v2
	s_branch .LBB423_151
.LBB423_22:
                                        ; implicit-def: $vgpr2
                                        ; implicit-def: $vgpr0
	s_branch .LBB423_30
.LBB423_23:
                                        ; implicit-def: $vgpr2
                                        ; implicit-def: $vgpr0
	s_branch .LBB423_138
.LBB423_24:
                                        ; implicit-def: $vgpr2
                                        ; implicit-def: $vgpr0
	s_branch .LBB423_155
.LBB423_25:
	v_mov_b32_e32 v2, 0
	v_mov_b32_e32 v0, 0
	s_branch .LBB423_29
.LBB423_26:
	v_mov_b32_e32 v0, 0
                                        ; implicit-def: $vgpr2
	v_mov_b32_e32 v1, v0
	v_mov_b32_e32 v4, v24
	s_and_b32 s6, s27, 3
	s_cmp_eq_u32 s6, 0
	s_cbranch_scc1 .LBB423_29
.LBB423_27:
	s_lshl_b32 s2, s26, 3
	s_add_u32 s2, s34, s2
	s_addc_u32 s3, s35, 0
	s_add_u32 s2, s2, 0xc4
	s_addc_u32 s3, s3, 0
	s_mul_i32 s4, s26, 12
	s_add_u32 s4, s34, s4
	s_addc_u32 s5, s35, 0
.LBB423_28:                             ; =>This Inner Loop Header: Depth=1
	s_load_dwordx2 s[8:9], s[4:5], 0x4
	s_load_dword s7, s[4:5], 0xc
	s_load_dwordx2 s[10:11], s[2:3], 0x0
	v_mov_b32_e32 v2, v1
	s_add_u32 s4, s4, 12
	s_waitcnt lgkmcnt(0)
	v_mul_hi_u32 v1, s9, v4
	v_add_u32_e32 v1, v4, v1
	v_lshrrev_b32_e32 v1, s7, v1
	s_addc_u32 s5, s5, 0
	v_mul_lo_u32 v3, v1, s8
	s_add_u32 s2, s2, 8
	v_sub_u32_e32 v5, v4, v3
	s_addc_u32 s3, s3, 0
	s_add_i32 s6, s6, -1
	v_mov_b32_e32 v4, v1
	v_mad_u64_u32 v[2:3], s[8:9], v5, s11, v[2:3]
	v_mad_u64_u32 v[0:1], s[8:9], v5, s10, v[0:1]
	s_cmp_lg_u32 s6, 0
	v_mov_b32_e32 v1, v2
	s_cbranch_scc1 .LBB423_28
.LBB423_29:
	s_cbranch_execnz .LBB423_32
.LBB423_30:
	s_load_dwordx4 s[4:7], s[34:35], 0x4
	s_load_dwordx2 s[2:3], s[34:35], 0xc4
	s_cmp_lt_u32 s33, 2
	s_waitcnt lgkmcnt(0)
	v_mul_hi_u32 v0, s5, v24
	v_add_u32_e32 v0, v24, v0
	v_lshrrev_b32_e32 v1, s6, v0
	v_mul_lo_u32 v0, v1, s4
	v_sub_u32_e32 v0, v24, v0
	v_mul_lo_u32 v2, v0, s3
	v_mul_lo_u32 v0, v0, s2
	s_cbranch_scc1 .LBB423_32
; %bb.31:
	s_load_dwordx4 s[4:7], s[34:35], 0x10
	s_load_dwordx2 s[2:3], s[34:35], 0xcc
	s_waitcnt lgkmcnt(0)
	v_mul_hi_u32 v3, s5, v1
	v_add_u32_e32 v3, v1, v3
	v_lshrrev_b32_e32 v3, s6, v3
	v_mul_lo_u32 v3, v3, s4
	v_sub_u32_e32 v3, v1, v3
	v_mad_u64_u32 v[0:1], s[4:5], v3, s2, v[0:1]
	v_mad_u64_u32 v[2:3], s[2:3], v3, s3, v[2:3]
.LBB423_32:
	s_and_b64 vcc, exec, s[0:1]
	v_add_u32_e32 v3, 0x80, v24
	s_cbranch_vccnz .LBB423_38
; %bb.33:
	s_cmp_lg_u32 s33, 0
	s_waitcnt lgkmcnt(0)
	s_mov_b32 s26, 0
	s_cbranch_scc0 .LBB423_39
; %bb.34:
	s_min_u32 s27, s54, 15
	s_add_i32 s27, s27, 1
	s_cmp_eq_u32 s54, 2
	s_cbranch_scc1 .LBB423_40
; %bb.35:
	s_and_b32 s26, s27, 28
	s_add_u32 s2, s34, 0xc4
	s_addc_u32 s3, s35, 0
	s_mov_b32 s28, 0
	v_mov_b32_e32 v4, 0
	v_mov_b32_e32 v6, 0
	s_mov_b64 s[24:25], s[34:35]
	v_mov_b32_e32 v8, v3
.LBB423_36:                             ; =>This Inner Loop Header: Depth=1
	s_load_dwordx8 s[12:19], s[24:25], 0x4
	s_load_dwordx4 s[20:23], s[24:25], 0x24
	s_load_dwordx8 s[4:11], s[2:3], 0x0
	s_add_u32 s24, s24, 48
	s_addc_u32 s25, s25, 0
	s_waitcnt lgkmcnt(0)
	v_mul_hi_u32 v1, s13, v8
	v_add_u32_e32 v1, v8, v1
	v_lshrrev_b32_e32 v1, s14, v1
	v_mul_hi_u32 v7, s16, v1
	v_add_u32_e32 v7, v1, v7
	v_lshrrev_b32_e32 v7, s17, v7
	v_mul_lo_u32 v5, v1, s12
	v_mul_lo_u32 v9, v7, s15
	v_mul_hi_u32 v10, s19, v7
	v_sub_u32_e32 v5, v8, v5
	v_sub_u32_e32 v1, v1, v9
	v_add_u32_e32 v9, v7, v10
	v_mul_lo_u32 v8, v5, s5
	v_mul_lo_u32 v5, v5, s4
	;; [unrolled: 1-line block ×4, first 2 shown]
	v_lshrrev_b32_e32 v9, s20, v9
	v_add3_u32 v1, v5, v4, v1
	v_add3_u32 v4, v8, v6, v10
	v_mul_hi_u32 v6, s22, v9
	v_add_u32_e32 v6, v9, v6
	v_lshrrev_b32_e32 v8, s23, v6
	s_add_i32 s28, s28, 4
	v_mul_lo_u32 v5, v9, s18
	v_mul_lo_u32 v6, v8, s21
	s_add_u32 s2, s2, 32
	v_sub_u32_e32 v5, v7, v5
	v_sub_u32_e32 v6, v9, v6
	s_addc_u32 s3, s3, 0
	v_mul_lo_u32 v7, v5, s8
	v_mul_lo_u32 v5, v5, s9
	;; [unrolled: 1-line block ×4, first 2 shown]
	s_cmp_lg_u32 s26, s28
	v_add3_u32 v6, v5, v4, v6
	v_add3_u32 v4, v7, v1, v9
	s_cbranch_scc1 .LBB423_36
; %bb.37:
	v_mov_b32_e32 v1, v6
	s_and_b32 s6, s27, 3
	s_cmp_eq_u32 s6, 0
	s_cbranch_scc0 .LBB423_41
	s_branch .LBB423_43
.LBB423_38:
                                        ; implicit-def: $vgpr6
                                        ; implicit-def: $vgpr4
	s_branch .LBB423_44
.LBB423_39:
	v_mov_b32_e32 v6, 0
	v_mov_b32_e32 v4, 0
	s_branch .LBB423_43
.LBB423_40:
	v_mov_b32_e32 v4, 0
                                        ; implicit-def: $vgpr6
	v_mov_b32_e32 v1, v4
	v_mov_b32_e32 v8, v3
	s_and_b32 s6, s27, 3
	s_cmp_eq_u32 s6, 0
	s_cbranch_scc1 .LBB423_43
.LBB423_41:
	s_lshl_b32 s2, s26, 3
	s_add_u32 s2, s34, s2
	s_addc_u32 s3, s35, 0
	s_add_u32 s2, s2, 0xc4
	s_addc_u32 s3, s3, 0
	s_mul_i32 s4, s26, 12
	s_add_u32 s4, s34, s4
	s_addc_u32 s5, s35, 0
.LBB423_42:                             ; =>This Inner Loop Header: Depth=1
	s_load_dwordx2 s[8:9], s[4:5], 0x4
	s_load_dword s7, s[4:5], 0xc
	s_load_dwordx2 s[10:11], s[2:3], 0x0
	v_mov_b32_e32 v6, v1
	s_add_u32 s4, s4, 12
	s_waitcnt lgkmcnt(0)
	v_mul_hi_u32 v1, s9, v8
	v_add_u32_e32 v1, v8, v1
	v_lshrrev_b32_e32 v1, s7, v1
	s_addc_u32 s5, s5, 0
	v_mul_lo_u32 v5, v1, s8
	s_add_u32 s2, s2, 8
	v_sub_u32_e32 v5, v8, v5
	s_addc_u32 s3, s3, 0
	s_add_i32 s6, s6, -1
	v_mad_u64_u32 v[6:7], s[8:9], v5, s11, v[6:7]
	s_cmp_lg_u32 s6, 0
	v_mov_b32_e32 v8, v1
	v_mad_u64_u32 v[4:5], s[8:9], v5, s10, v[4:5]
	v_mov_b32_e32 v1, v6
	s_cbranch_scc1 .LBB423_42
.LBB423_43:
	s_cbranch_execnz .LBB423_46
.LBB423_44:
	s_load_dwordx4 s[4:7], s[34:35], 0x4
	s_load_dwordx2 s[2:3], s[34:35], 0xc4
	s_cmp_lt_u32 s33, 2
	s_waitcnt lgkmcnt(0)
	v_mul_hi_u32 v1, s5, v3
	v_add_u32_e32 v1, v3, v1
	v_lshrrev_b32_e32 v1, s6, v1
	v_mul_lo_u32 v4, v1, s4
	v_sub_u32_e32 v3, v3, v4
	v_mul_lo_u32 v6, v3, s3
	v_mul_lo_u32 v4, v3, s2
	s_cbranch_scc1 .LBB423_46
; %bb.45:
	s_load_dwordx4 s[4:7], s[34:35], 0x10
	s_load_dwordx2 s[2:3], s[34:35], 0xcc
	s_waitcnt lgkmcnt(0)
	v_mul_hi_u32 v3, s5, v1
	v_add_u32_e32 v3, v1, v3
	v_lshrrev_b32_e32 v3, s6, v3
	v_mul_lo_u32 v3, v3, s4
	v_sub_u32_e32 v1, v1, v3
	v_mad_u64_u32 v[4:5], s[4:5], v1, s2, v[4:5]
	v_mad_u64_u32 v[6:7], s[2:3], v1, s3, v[6:7]
.LBB423_46:
	s_and_b64 vcc, exec, s[0:1]
	v_add_u32_e32 v3, 0x100, v24
	s_cbranch_vccnz .LBB423_52
; %bb.47:
	s_cmp_lg_u32 s33, 0
	s_waitcnt lgkmcnt(0)
	s_mov_b32 s26, 0
	s_cbranch_scc0 .LBB423_53
; %bb.48:
	s_min_u32 s27, s54, 15
	s_add_i32 s27, s27, 1
	s_cmp_eq_u32 s54, 2
	s_cbranch_scc1 .LBB423_54
; %bb.49:
	s_and_b32 s26, s27, 28
	s_add_u32 s2, s34, 0xc4
	s_addc_u32 s3, s35, 0
	s_mov_b32 s28, 0
	v_mov_b32_e32 v8, 0
	v_mov_b32_e32 v10, 0
	s_mov_b64 s[24:25], s[34:35]
	v_mov_b32_e32 v5, v3
.LBB423_50:                             ; =>This Inner Loop Header: Depth=1
	s_load_dwordx8 s[12:19], s[24:25], 0x4
	s_load_dwordx4 s[20:23], s[24:25], 0x24
	s_load_dwordx8 s[4:11], s[2:3], 0x0
	s_add_u32 s24, s24, 48
	s_addc_u32 s25, s25, 0
	s_waitcnt lgkmcnt(0)
	v_mul_hi_u32 v1, s13, v5
	v_add_u32_e32 v1, v5, v1
	v_lshrrev_b32_e32 v1, s14, v1
	v_mul_lo_u32 v7, v1, s12
	v_mul_hi_u32 v9, s16, v1
	v_sub_u32_e32 v5, v5, v7
	v_add_u32_e32 v7, v1, v9
	v_lshrrev_b32_e32 v7, s17, v7
	v_mul_lo_u32 v11, v7, s15
	v_mul_hi_u32 v12, s19, v7
	v_sub_u32_e32 v1, v1, v11
	v_add_u32_e32 v11, v7, v12
	v_mul_lo_u32 v9, v5, s5
	v_mul_lo_u32 v5, v5, s4
	;; [unrolled: 1-line block ×4, first 2 shown]
	v_lshrrev_b32_e32 v11, s20, v11
	v_add3_u32 v1, v5, v8, v1
	v_add3_u32 v8, v9, v10, v12
	v_mul_lo_u32 v5, v11, s18
	v_mul_hi_u32 v9, s22, v11
	v_sub_u32_e32 v5, v7, v5
	v_add_u32_e32 v7, v11, v9
	v_mul_lo_u32 v9, v5, s8
	v_mul_lo_u32 v10, v5, s9
	v_lshrrev_b32_e32 v5, s23, v7
	s_add_i32 s28, s28, 4
	v_mul_lo_u32 v7, v5, s21
	s_add_u32 s2, s2, 32
	v_sub_u32_e32 v7, v11, v7
	s_addc_u32 s3, s3, 0
	v_mul_lo_u32 v11, v7, s10
	v_mul_lo_u32 v7, v7, s11
	s_cmp_lg_u32 s26, s28
	v_add3_u32 v10, v10, v8, v7
	v_add3_u32 v8, v9, v1, v11
	s_cbranch_scc1 .LBB423_50
; %bb.51:
	v_mov_b32_e32 v1, v10
	s_and_b32 s6, s27, 3
	s_cmp_eq_u32 s6, 0
	s_cbranch_scc0 .LBB423_55
	s_branch .LBB423_57
.LBB423_52:
                                        ; implicit-def: $vgpr10
                                        ; implicit-def: $vgpr8
	s_branch .LBB423_58
.LBB423_53:
	v_mov_b32_e32 v10, 0
	v_mov_b32_e32 v8, 0
	s_branch .LBB423_57
.LBB423_54:
	v_mov_b32_e32 v8, 0
                                        ; implicit-def: $vgpr10
	v_mov_b32_e32 v1, v8
	v_mov_b32_e32 v5, v3
	s_and_b32 s6, s27, 3
	s_cmp_eq_u32 s6, 0
	s_cbranch_scc1 .LBB423_57
.LBB423_55:
	s_lshl_b32 s2, s26, 3
	s_add_u32 s2, s34, s2
	s_addc_u32 s3, s35, 0
	s_add_u32 s2, s2, 0xc4
	s_addc_u32 s3, s3, 0
	s_mul_i32 s4, s26, 12
	s_add_u32 s4, s34, s4
	s_addc_u32 s5, s35, 0
.LBB423_56:                             ; =>This Inner Loop Header: Depth=1
	s_load_dwordx2 s[8:9], s[4:5], 0x4
	s_load_dword s7, s[4:5], 0xc
	s_load_dwordx2 s[10:11], s[2:3], 0x0
	v_mov_b32_e32 v10, v1
	s_add_u32 s4, s4, 12
	s_waitcnt lgkmcnt(0)
	v_mul_hi_u32 v1, s9, v5
	v_add_u32_e32 v1, v5, v1
	v_lshrrev_b32_e32 v1, s7, v1
	s_addc_u32 s5, s5, 0
	v_mul_lo_u32 v7, v1, s8
	s_add_u32 s2, s2, 8
	v_sub_u32_e32 v7, v5, v7
	s_addc_u32 s3, s3, 0
	s_add_i32 s6, s6, -1
	v_mad_u64_u32 v[10:11], s[8:9], v7, s11, v[10:11]
	s_cmp_lg_u32 s6, 0
	v_mov_b32_e32 v5, v1
	v_mad_u64_u32 v[8:9], s[8:9], v7, s10, v[8:9]
	v_mov_b32_e32 v1, v10
	s_cbranch_scc1 .LBB423_56
.LBB423_57:
	s_cbranch_execnz .LBB423_60
.LBB423_58:
	s_load_dwordx4 s[4:7], s[34:35], 0x4
	s_load_dwordx2 s[2:3], s[34:35], 0xc4
	s_cmp_lt_u32 s33, 2
	s_waitcnt lgkmcnt(0)
	v_mul_hi_u32 v1, s5, v3
	v_add_u32_e32 v1, v3, v1
	v_lshrrev_b32_e32 v1, s6, v1
	v_mul_lo_u32 v5, v1, s4
	v_sub_u32_e32 v3, v3, v5
	v_mul_lo_u32 v10, v3, s3
	v_mul_lo_u32 v8, v3, s2
	s_cbranch_scc1 .LBB423_60
; %bb.59:
	s_load_dwordx4 s[4:7], s[34:35], 0x10
	s_load_dwordx2 s[2:3], s[34:35], 0xcc
	s_waitcnt lgkmcnt(0)
	v_mul_hi_u32 v3, s5, v1
	v_add_u32_e32 v3, v1, v3
	v_lshrrev_b32_e32 v3, s6, v3
	v_mul_lo_u32 v3, v3, s4
	v_sub_u32_e32 v1, v1, v3
	v_mad_u64_u32 v[8:9], s[4:5], v1, s2, v[8:9]
	v_mad_u64_u32 v[10:11], s[2:3], v1, s3, v[10:11]
.LBB423_60:
	s_and_b64 vcc, exec, s[0:1]
	v_add_u32_e32 v3, 0x180, v24
	s_cbranch_vccnz .LBB423_66
; %bb.61:
	s_cmp_lg_u32 s33, 0
	s_waitcnt lgkmcnt(0)
	s_mov_b32 s26, 0
	s_cbranch_scc0 .LBB423_67
; %bb.62:
	s_min_u32 s27, s54, 15
	s_add_i32 s27, s27, 1
	s_cmp_eq_u32 s54, 2
	s_cbranch_scc1 .LBB423_68
; %bb.63:
	s_and_b32 s26, s27, 28
	s_add_u32 s2, s34, 0xc4
	s_addc_u32 s3, s35, 0
	s_mov_b32 s28, 0
	v_mov_b32_e32 v12, 0
	v_mov_b32_e32 v14, 0
	s_mov_b64 s[24:25], s[34:35]
	v_mov_b32_e32 v5, v3
.LBB423_64:                             ; =>This Inner Loop Header: Depth=1
	s_load_dwordx8 s[12:19], s[24:25], 0x4
	s_load_dwordx4 s[20:23], s[24:25], 0x24
	s_load_dwordx8 s[4:11], s[2:3], 0x0
	s_add_u32 s24, s24, 48
	s_addc_u32 s25, s25, 0
	s_waitcnt lgkmcnt(0)
	v_mul_hi_u32 v1, s13, v5
	v_add_u32_e32 v1, v5, v1
	v_lshrrev_b32_e32 v1, s14, v1
	v_mul_lo_u32 v7, v1, s12
	v_mul_hi_u32 v9, s16, v1
	v_sub_u32_e32 v5, v5, v7
	v_add_u32_e32 v7, v1, v9
	v_lshrrev_b32_e32 v7, s17, v7
	v_mul_lo_u32 v11, v7, s15
	v_mul_hi_u32 v13, s19, v7
	v_sub_u32_e32 v1, v1, v11
	v_add_u32_e32 v11, v7, v13
	v_mul_lo_u32 v9, v5, s5
	v_mul_lo_u32 v5, v5, s4
	v_mul_lo_u32 v13, v1, s7
	v_mul_lo_u32 v1, v1, s6
	v_lshrrev_b32_e32 v11, s20, v11
	v_add3_u32 v1, v5, v12, v1
	v_mul_lo_u32 v5, v11, s18
	v_mul_hi_u32 v12, s22, v11
	v_sub_u32_e32 v5, v7, v5
	v_add_u32_e32 v7, v11, v12
	v_add3_u32 v9, v9, v14, v13
	v_mul_lo_u32 v12, v5, s8
	v_mul_lo_u32 v13, v5, s9
	v_lshrrev_b32_e32 v5, s23, v7
	s_add_i32 s28, s28, 4
	v_mul_lo_u32 v7, v5, s21
	s_add_u32 s2, s2, 32
	v_sub_u32_e32 v7, v11, v7
	s_addc_u32 s3, s3, 0
	v_mul_lo_u32 v11, v7, s10
	v_mul_lo_u32 v7, v7, s11
	s_cmp_lg_u32 s26, s28
	v_add3_u32 v14, v13, v9, v7
	v_add3_u32 v12, v12, v1, v11
	s_cbranch_scc1 .LBB423_64
; %bb.65:
	v_mov_b32_e32 v1, v14
	s_and_b32 s6, s27, 3
	s_cmp_eq_u32 s6, 0
	s_cbranch_scc0 .LBB423_69
	s_branch .LBB423_71
.LBB423_66:
                                        ; implicit-def: $vgpr14
                                        ; implicit-def: $vgpr12
	s_branch .LBB423_72
.LBB423_67:
	v_mov_b32_e32 v14, 0
	v_mov_b32_e32 v12, 0
	s_branch .LBB423_71
.LBB423_68:
	v_mov_b32_e32 v12, 0
                                        ; implicit-def: $vgpr14
	v_mov_b32_e32 v1, v12
	v_mov_b32_e32 v5, v3
	s_and_b32 s6, s27, 3
	s_cmp_eq_u32 s6, 0
	s_cbranch_scc1 .LBB423_71
.LBB423_69:
	s_lshl_b32 s2, s26, 3
	s_add_u32 s2, s34, s2
	s_addc_u32 s3, s35, 0
	s_add_u32 s2, s2, 0xc4
	s_addc_u32 s3, s3, 0
	s_mul_i32 s4, s26, 12
	s_add_u32 s4, s34, s4
	s_addc_u32 s5, s35, 0
.LBB423_70:                             ; =>This Inner Loop Header: Depth=1
	s_load_dwordx2 s[8:9], s[4:5], 0x4
	s_load_dword s7, s[4:5], 0xc
	s_load_dwordx2 s[10:11], s[2:3], 0x0
	v_mov_b32_e32 v14, v1
	s_add_u32 s4, s4, 12
	s_waitcnt lgkmcnt(0)
	v_mul_hi_u32 v1, s9, v5
	v_add_u32_e32 v1, v5, v1
	v_lshrrev_b32_e32 v1, s7, v1
	s_addc_u32 s5, s5, 0
	v_mul_lo_u32 v7, v1, s8
	s_add_u32 s2, s2, 8
	v_sub_u32_e32 v7, v5, v7
	s_addc_u32 s3, s3, 0
	s_add_i32 s6, s6, -1
	v_mad_u64_u32 v[14:15], s[8:9], v7, s11, v[14:15]
	s_cmp_lg_u32 s6, 0
	v_mov_b32_e32 v5, v1
	v_mad_u64_u32 v[12:13], s[8:9], v7, s10, v[12:13]
	v_mov_b32_e32 v1, v14
	s_cbranch_scc1 .LBB423_70
.LBB423_71:
	s_cbranch_execnz .LBB423_74
.LBB423_72:
	s_load_dwordx4 s[4:7], s[34:35], 0x4
	s_load_dwordx2 s[2:3], s[34:35], 0xc4
	s_cmp_lt_u32 s33, 2
	s_waitcnt lgkmcnt(0)
	v_mul_hi_u32 v1, s5, v3
	v_add_u32_e32 v1, v3, v1
	v_lshrrev_b32_e32 v1, s6, v1
	v_mul_lo_u32 v5, v1, s4
	v_sub_u32_e32 v3, v3, v5
	v_mul_lo_u32 v14, v3, s3
	v_mul_lo_u32 v12, v3, s2
	s_cbranch_scc1 .LBB423_74
; %bb.73:
	s_load_dwordx4 s[4:7], s[34:35], 0x10
	s_load_dwordx2 s[2:3], s[34:35], 0xcc
	s_waitcnt lgkmcnt(0)
	v_mul_hi_u32 v3, s5, v1
	v_add_u32_e32 v3, v1, v3
	v_lshrrev_b32_e32 v3, s6, v3
	v_mul_lo_u32 v3, v3, s4
	v_sub_u32_e32 v1, v1, v3
	v_mad_u64_u32 v[12:13], s[4:5], v1, s2, v[12:13]
	v_mad_u64_u32 v[14:15], s[2:3], v1, s3, v[14:15]
.LBB423_74:
	s_and_b64 vcc, exec, s[0:1]
	v_add_u32_e32 v3, 0x200, v24
	s_cbranch_vccnz .LBB423_80
; %bb.75:
	s_cmp_lg_u32 s33, 0
	s_waitcnt lgkmcnt(0)
	s_mov_b32 s26, 0
	s_cbranch_scc0 .LBB423_81
; %bb.76:
	s_min_u32 s27, s54, 15
	s_add_i32 s27, s27, 1
	s_cmp_eq_u32 s54, 2
	s_cbranch_scc1 .LBB423_82
; %bb.77:
	s_and_b32 s26, s27, 28
	s_add_u32 s2, s34, 0xc4
	s_addc_u32 s3, s35, 0
	s_mov_b32 s28, 0
	v_mov_b32_e32 v16, 0
	v_mov_b32_e32 v18, 0
	s_mov_b64 s[24:25], s[34:35]
	v_mov_b32_e32 v5, v3
.LBB423_78:                             ; =>This Inner Loop Header: Depth=1
	s_load_dwordx8 s[12:19], s[24:25], 0x4
	s_load_dwordx4 s[20:23], s[24:25], 0x24
	s_load_dwordx8 s[4:11], s[2:3], 0x0
	s_add_u32 s24, s24, 48
	s_addc_u32 s25, s25, 0
	s_waitcnt lgkmcnt(0)
	v_mul_hi_u32 v1, s13, v5
	v_add_u32_e32 v1, v5, v1
	v_lshrrev_b32_e32 v1, s14, v1
	v_mul_lo_u32 v7, v1, s12
	v_mul_hi_u32 v9, s16, v1
	v_sub_u32_e32 v5, v5, v7
	v_add_u32_e32 v7, v1, v9
	v_lshrrev_b32_e32 v7, s17, v7
	v_mul_lo_u32 v11, v7, s15
	v_mul_hi_u32 v13, s19, v7
	v_sub_u32_e32 v1, v1, v11
	v_add_u32_e32 v11, v7, v13
	v_mul_lo_u32 v9, v5, s5
	v_mul_lo_u32 v5, v5, s4
	;; [unrolled: 1-line block ×4, first 2 shown]
	v_lshrrev_b32_e32 v11, s20, v11
	v_add3_u32 v1, v5, v16, v1
	v_add3_u32 v9, v9, v18, v13
	v_mul_lo_u32 v5, v11, s18
	v_mul_hi_u32 v13, s22, v11
	v_sub_u32_e32 v5, v7, v5
	v_add_u32_e32 v7, v11, v13
	v_mul_lo_u32 v13, v5, s8
	v_mul_lo_u32 v15, v5, s9
	v_lshrrev_b32_e32 v5, s23, v7
	s_add_i32 s28, s28, 4
	v_mul_lo_u32 v7, v5, s21
	s_add_u32 s2, s2, 32
	v_sub_u32_e32 v7, v11, v7
	s_addc_u32 s3, s3, 0
	v_mul_lo_u32 v11, v7, s10
	v_mul_lo_u32 v7, v7, s11
	s_cmp_lg_u32 s26, s28
	v_add3_u32 v18, v15, v9, v7
	v_add3_u32 v16, v13, v1, v11
	s_cbranch_scc1 .LBB423_78
; %bb.79:
	v_mov_b32_e32 v1, v18
	s_and_b32 s6, s27, 3
	s_cmp_eq_u32 s6, 0
	s_cbranch_scc0 .LBB423_83
	s_branch .LBB423_85
.LBB423_80:
                                        ; implicit-def: $vgpr18
                                        ; implicit-def: $vgpr16
	s_branch .LBB423_86
.LBB423_81:
	v_mov_b32_e32 v18, 0
	v_mov_b32_e32 v16, 0
	s_branch .LBB423_85
.LBB423_82:
	v_mov_b32_e32 v16, 0
                                        ; implicit-def: $vgpr18
	v_mov_b32_e32 v1, v16
	v_mov_b32_e32 v5, v3
	s_and_b32 s6, s27, 3
	s_cmp_eq_u32 s6, 0
	s_cbranch_scc1 .LBB423_85
.LBB423_83:
	s_lshl_b32 s2, s26, 3
	s_add_u32 s2, s34, s2
	s_addc_u32 s3, s35, 0
	s_add_u32 s2, s2, 0xc4
	s_addc_u32 s3, s3, 0
	s_mul_i32 s4, s26, 12
	s_add_u32 s4, s34, s4
	s_addc_u32 s5, s35, 0
.LBB423_84:                             ; =>This Inner Loop Header: Depth=1
	s_load_dwordx2 s[8:9], s[4:5], 0x4
	s_load_dword s7, s[4:5], 0xc
	s_load_dwordx2 s[10:11], s[2:3], 0x0
	v_mov_b32_e32 v18, v1
	s_add_u32 s4, s4, 12
	s_waitcnt lgkmcnt(0)
	v_mul_hi_u32 v1, s9, v5
	v_add_u32_e32 v1, v5, v1
	v_lshrrev_b32_e32 v1, s7, v1
	s_addc_u32 s5, s5, 0
	v_mul_lo_u32 v7, v1, s8
	s_add_u32 s2, s2, 8
	v_sub_u32_e32 v7, v5, v7
	s_addc_u32 s3, s3, 0
	s_add_i32 s6, s6, -1
	v_mad_u64_u32 v[18:19], s[8:9], v7, s11, v[18:19]
	s_cmp_lg_u32 s6, 0
	v_mov_b32_e32 v5, v1
	v_mad_u64_u32 v[16:17], s[8:9], v7, s10, v[16:17]
	v_mov_b32_e32 v1, v18
	s_cbranch_scc1 .LBB423_84
.LBB423_85:
	s_cbranch_execnz .LBB423_88
.LBB423_86:
	s_load_dwordx4 s[4:7], s[34:35], 0x4
	s_load_dwordx2 s[2:3], s[34:35], 0xc4
	s_cmp_lt_u32 s33, 2
	s_waitcnt lgkmcnt(0)
	v_mul_hi_u32 v1, s5, v3
	v_add_u32_e32 v1, v3, v1
	v_lshrrev_b32_e32 v1, s6, v1
	v_mul_lo_u32 v5, v1, s4
	v_sub_u32_e32 v3, v3, v5
	v_mul_lo_u32 v18, v3, s3
	v_mul_lo_u32 v16, v3, s2
	s_cbranch_scc1 .LBB423_88
; %bb.87:
	s_load_dwordx4 s[4:7], s[34:35], 0x10
	s_load_dwordx2 s[2:3], s[34:35], 0xcc
	s_waitcnt lgkmcnt(0)
	v_mul_hi_u32 v3, s5, v1
	v_add_u32_e32 v3, v1, v3
	v_lshrrev_b32_e32 v3, s6, v3
	v_mul_lo_u32 v3, v3, s4
	v_sub_u32_e32 v1, v1, v3
	v_mad_u64_u32 v[16:17], s[4:5], v1, s2, v[16:17]
	v_mad_u64_u32 v[18:19], s[2:3], v1, s3, v[18:19]
.LBB423_88:
	s_and_b64 vcc, exec, s[0:1]
	v_add_u32_e32 v3, 0x280, v24
	s_cbranch_vccnz .LBB423_94
; %bb.89:
	s_cmp_lg_u32 s33, 0
	s_waitcnt lgkmcnt(0)
	s_mov_b32 s26, 0
	s_cbranch_scc0 .LBB423_95
; %bb.90:
	s_min_u32 s27, s54, 15
	s_add_i32 s27, s27, 1
	s_cmp_eq_u32 s54, 2
	s_cbranch_scc1 .LBB423_96
; %bb.91:
	s_and_b32 s26, s27, 28
	s_add_u32 s2, s34, 0xc4
	s_addc_u32 s3, s35, 0
	s_mov_b32 s28, 0
	v_mov_b32_e32 v20, 0
	v_mov_b32_e32 v22, 0
	s_mov_b64 s[24:25], s[34:35]
	v_mov_b32_e32 v5, v3
.LBB423_92:                             ; =>This Inner Loop Header: Depth=1
	s_load_dwordx8 s[12:19], s[24:25], 0x4
	s_load_dwordx4 s[20:23], s[24:25], 0x24
	s_load_dwordx8 s[4:11], s[2:3], 0x0
	s_add_u32 s24, s24, 48
	s_addc_u32 s25, s25, 0
	s_waitcnt lgkmcnt(0)
	v_mul_hi_u32 v1, s13, v5
	v_add_u32_e32 v1, v5, v1
	v_lshrrev_b32_e32 v1, s14, v1
	v_mul_lo_u32 v7, v1, s12
	v_mul_hi_u32 v9, s16, v1
	v_sub_u32_e32 v5, v5, v7
	v_add_u32_e32 v7, v1, v9
	v_lshrrev_b32_e32 v7, s17, v7
	v_mul_lo_u32 v11, v7, s15
	v_mul_hi_u32 v13, s19, v7
	v_sub_u32_e32 v1, v1, v11
	v_add_u32_e32 v11, v7, v13
	v_mul_lo_u32 v9, v5, s5
	v_mul_lo_u32 v5, v5, s4
	;; [unrolled: 1-line block ×4, first 2 shown]
	v_lshrrev_b32_e32 v11, s20, v11
	v_add3_u32 v1, v5, v20, v1
	v_add3_u32 v9, v9, v22, v13
	v_mul_lo_u32 v5, v11, s18
	v_mul_hi_u32 v13, s22, v11
	v_sub_u32_e32 v5, v7, v5
	v_add_u32_e32 v7, v11, v13
	v_mul_lo_u32 v13, v5, s8
	v_mul_lo_u32 v15, v5, s9
	v_lshrrev_b32_e32 v5, s23, v7
	s_add_i32 s28, s28, 4
	v_mul_lo_u32 v7, v5, s21
	s_add_u32 s2, s2, 32
	v_sub_u32_e32 v7, v11, v7
	s_addc_u32 s3, s3, 0
	v_mul_lo_u32 v11, v7, s10
	v_mul_lo_u32 v7, v7, s11
	s_cmp_lg_u32 s26, s28
	v_add3_u32 v22, v15, v9, v7
	v_add3_u32 v20, v13, v1, v11
	s_cbranch_scc1 .LBB423_92
; %bb.93:
	v_mov_b32_e32 v1, v22
	s_and_b32 s6, s27, 3
	s_cmp_eq_u32 s6, 0
	s_cbranch_scc0 .LBB423_97
	s_branch .LBB423_99
.LBB423_94:
                                        ; implicit-def: $vgpr22
                                        ; implicit-def: $vgpr20
	s_branch .LBB423_100
.LBB423_95:
	v_mov_b32_e32 v22, 0
	v_mov_b32_e32 v20, 0
	s_branch .LBB423_99
.LBB423_96:
	v_mov_b32_e32 v20, 0
                                        ; implicit-def: $vgpr22
	v_mov_b32_e32 v1, v20
	v_mov_b32_e32 v5, v3
	s_and_b32 s6, s27, 3
	s_cmp_eq_u32 s6, 0
	s_cbranch_scc1 .LBB423_99
.LBB423_97:
	s_lshl_b32 s2, s26, 3
	s_add_u32 s2, s34, s2
	s_addc_u32 s3, s35, 0
	s_add_u32 s2, s2, 0xc4
	s_addc_u32 s3, s3, 0
	s_mul_i32 s4, s26, 12
	s_add_u32 s4, s34, s4
	s_addc_u32 s5, s35, 0
.LBB423_98:                             ; =>This Inner Loop Header: Depth=1
	s_load_dwordx2 s[8:9], s[4:5], 0x4
	s_load_dword s7, s[4:5], 0xc
	s_load_dwordx2 s[10:11], s[2:3], 0x0
	v_mov_b32_e32 v22, v1
	s_add_u32 s4, s4, 12
	s_waitcnt lgkmcnt(0)
	v_mul_hi_u32 v1, s9, v5
	v_add_u32_e32 v1, v5, v1
	v_lshrrev_b32_e32 v1, s7, v1
	s_addc_u32 s5, s5, 0
	v_mul_lo_u32 v7, v1, s8
	s_add_u32 s2, s2, 8
	v_sub_u32_e32 v7, v5, v7
	s_addc_u32 s3, s3, 0
	s_add_i32 s6, s6, -1
	v_mad_u64_u32 v[22:23], s[8:9], v7, s11, v[22:23]
	s_cmp_lg_u32 s6, 0
	v_mov_b32_e32 v5, v1
	v_mad_u64_u32 v[20:21], s[8:9], v7, s10, v[20:21]
	v_mov_b32_e32 v1, v22
	s_cbranch_scc1 .LBB423_98
.LBB423_99:
	s_cbranch_execnz .LBB423_102
.LBB423_100:
	s_load_dwordx4 s[4:7], s[34:35], 0x4
	s_load_dwordx2 s[2:3], s[34:35], 0xc4
	s_cmp_lt_u32 s33, 2
	s_waitcnt lgkmcnt(0)
	v_mul_hi_u32 v1, s5, v3
	v_add_u32_e32 v1, v3, v1
	v_lshrrev_b32_e32 v1, s6, v1
	v_mul_lo_u32 v5, v1, s4
	v_sub_u32_e32 v3, v3, v5
	v_mul_lo_u32 v22, v3, s3
	v_mul_lo_u32 v20, v3, s2
	s_cbranch_scc1 .LBB423_102
; %bb.101:
	s_load_dwordx4 s[4:7], s[34:35], 0x10
	s_load_dwordx2 s[2:3], s[34:35], 0xcc
	s_waitcnt lgkmcnt(0)
	v_mul_hi_u32 v3, s5, v1
	v_add_u32_e32 v3, v1, v3
	v_lshrrev_b32_e32 v3, s6, v3
	v_mul_lo_u32 v3, v3, s4
	v_sub_u32_e32 v1, v1, v3
	v_mad_u64_u32 v[20:21], s[4:5], v1, s2, v[20:21]
	v_mad_u64_u32 v[22:23], s[2:3], v1, s3, v[22:23]
.LBB423_102:
	s_and_b64 vcc, exec, s[0:1]
	v_add_u32_e32 v3, 0x300, v24
	s_cbranch_vccnz .LBB423_108
; %bb.103:
	s_cmp_lg_u32 s33, 0
	s_waitcnt lgkmcnt(0)
	s_mov_b32 s26, 0
	s_cbranch_scc0 .LBB423_109
; %bb.104:
	s_min_u32 s27, s54, 15
	s_add_i32 s27, s27, 1
	s_cmp_eq_u32 s54, 2
	s_cbranch_scc1 .LBB423_110
; %bb.105:
	s_and_b32 s26, s27, 28
	s_add_u32 s2, s34, 0xc4
	s_addc_u32 s3, s35, 0
	s_mov_b32 s28, 0
	v_mov_b32_e32 v24, 0
	v_mov_b32_e32 v26, 0
	s_mov_b64 s[24:25], s[34:35]
	v_mov_b32_e32 v5, v3
.LBB423_106:                            ; =>This Inner Loop Header: Depth=1
	s_load_dwordx8 s[12:19], s[24:25], 0x4
	s_load_dwordx4 s[20:23], s[24:25], 0x24
	s_load_dwordx8 s[4:11], s[2:3], 0x0
	s_add_u32 s24, s24, 48
	s_addc_u32 s25, s25, 0
	s_waitcnt lgkmcnt(0)
	v_mul_hi_u32 v1, s13, v5
	v_add_u32_e32 v1, v5, v1
	v_lshrrev_b32_e32 v1, s14, v1
	v_mul_lo_u32 v7, v1, s12
	v_mul_hi_u32 v9, s16, v1
	v_sub_u32_e32 v5, v5, v7
	v_add_u32_e32 v7, v1, v9
	v_lshrrev_b32_e32 v7, s17, v7
	v_mul_lo_u32 v11, v7, s15
	v_mul_hi_u32 v13, s19, v7
	v_sub_u32_e32 v1, v1, v11
	v_add_u32_e32 v11, v7, v13
	v_mul_lo_u32 v9, v5, s5
	v_mul_lo_u32 v5, v5, s4
	;; [unrolled: 1-line block ×4, first 2 shown]
	v_lshrrev_b32_e32 v11, s20, v11
	v_add3_u32 v1, v5, v24, v1
	v_add3_u32 v9, v9, v26, v13
	v_mul_lo_u32 v5, v11, s18
	v_mul_hi_u32 v13, s22, v11
	v_sub_u32_e32 v5, v7, v5
	v_add_u32_e32 v7, v11, v13
	v_mul_lo_u32 v13, v5, s8
	v_mul_lo_u32 v15, v5, s9
	v_lshrrev_b32_e32 v5, s23, v7
	s_add_i32 s28, s28, 4
	v_mul_lo_u32 v7, v5, s21
	s_add_u32 s2, s2, 32
	v_sub_u32_e32 v7, v11, v7
	s_addc_u32 s3, s3, 0
	v_mul_lo_u32 v11, v7, s10
	v_mul_lo_u32 v7, v7, s11
	s_cmp_lg_u32 s26, s28
	v_add3_u32 v26, v15, v9, v7
	v_add3_u32 v24, v13, v1, v11
	s_cbranch_scc1 .LBB423_106
; %bb.107:
	v_mov_b32_e32 v1, v26
	s_and_b32 s6, s27, 3
	s_cmp_eq_u32 s6, 0
	s_cbranch_scc0 .LBB423_111
	s_branch .LBB423_113
.LBB423_108:
                                        ; implicit-def: $vgpr26
                                        ; implicit-def: $vgpr24
	s_branch .LBB423_114
.LBB423_109:
	v_mov_b32_e32 v26, 0
	v_mov_b32_e32 v24, 0
	s_branch .LBB423_113
.LBB423_110:
	v_mov_b32_e32 v24, 0
                                        ; implicit-def: $vgpr26
	v_mov_b32_e32 v1, v24
	v_mov_b32_e32 v5, v3
	s_and_b32 s6, s27, 3
	s_cmp_eq_u32 s6, 0
	s_cbranch_scc1 .LBB423_113
.LBB423_111:
	s_lshl_b32 s2, s26, 3
	s_add_u32 s2, s34, s2
	s_addc_u32 s3, s35, 0
	s_add_u32 s2, s2, 0xc4
	s_addc_u32 s3, s3, 0
	s_mul_i32 s4, s26, 12
	s_add_u32 s4, s34, s4
	s_addc_u32 s5, s35, 0
.LBB423_112:                            ; =>This Inner Loop Header: Depth=1
	s_load_dwordx2 s[8:9], s[4:5], 0x4
	s_load_dword s7, s[4:5], 0xc
	s_load_dwordx2 s[10:11], s[2:3], 0x0
	v_mov_b32_e32 v26, v1
	s_add_u32 s4, s4, 12
	s_waitcnt lgkmcnt(0)
	v_mul_hi_u32 v1, s9, v5
	v_add_u32_e32 v1, v5, v1
	v_lshrrev_b32_e32 v1, s7, v1
	s_addc_u32 s5, s5, 0
	v_mul_lo_u32 v7, v1, s8
	s_add_u32 s2, s2, 8
	v_sub_u32_e32 v7, v5, v7
	s_addc_u32 s3, s3, 0
	s_add_i32 s6, s6, -1
	v_mad_u64_u32 v[26:27], s[8:9], v7, s11, v[26:27]
	s_cmp_lg_u32 s6, 0
	v_mov_b32_e32 v5, v1
	v_mad_u64_u32 v[24:25], s[8:9], v7, s10, v[24:25]
	v_mov_b32_e32 v1, v26
	s_cbranch_scc1 .LBB423_112
.LBB423_113:
	s_cbranch_execnz .LBB423_116
.LBB423_114:
	s_load_dwordx4 s[4:7], s[34:35], 0x4
	s_load_dwordx2 s[2:3], s[34:35], 0xc4
	s_cmp_lt_u32 s33, 2
	s_waitcnt lgkmcnt(0)
	v_mul_hi_u32 v1, s5, v3
	v_add_u32_e32 v1, v3, v1
	v_lshrrev_b32_e32 v1, s6, v1
	v_mul_lo_u32 v5, v1, s4
	v_sub_u32_e32 v3, v3, v5
	v_mul_lo_u32 v26, v3, s3
	v_mul_lo_u32 v24, v3, s2
	s_cbranch_scc1 .LBB423_116
; %bb.115:
	s_load_dwordx4 s[4:7], s[34:35], 0x10
	s_load_dwordx2 s[2:3], s[34:35], 0xcc
	s_waitcnt lgkmcnt(0)
	v_mul_hi_u32 v3, s5, v1
	v_add_u32_e32 v3, v1, v3
	v_lshrrev_b32_e32 v3, s6, v3
	v_mul_lo_u32 v3, v3, s4
	v_sub_u32_e32 v1, v1, v3
	v_mad_u64_u32 v[24:25], s[4:5], v1, s2, v[24:25]
	v_mad_u64_u32 v[26:27], s[2:3], v1, s3, v[26:27]
.LBB423_116:
	s_and_b64 vcc, exec, s[0:1]
	s_cbranch_vccnz .LBB423_122
; %bb.117:
	s_cmp_lg_u32 s33, 0
	s_waitcnt lgkmcnt(0)
	s_mov_b32 s24, 0
	s_cbranch_scc0 .LBB423_123
; %bb.118:
	s_min_u32 s25, s54, 15
	s_add_i32 s25, s25, 1
	s_cmp_eq_u32 s54, 2
	s_cbranch_scc1 .LBB423_124
; %bb.119:
	s_and_b32 s24, s25, 28
	s_add_u32 s20, s34, 0xc4
	s_addc_u32 s21, s35, 0
	s_mov_b32 s26, 0
	v_mov_b32_e32 v28, 0
	v_mov_b32_e32 v30, 0
	s_mov_b64 s[22:23], s[34:35]
	v_mov_b32_e32 v3, v32
.LBB423_120:                            ; =>This Inner Loop Header: Depth=1
	s_load_dwordx8 s[8:15], s[22:23], 0x4
	s_load_dwordx4 s[16:19], s[22:23], 0x24
	s_load_dwordx8 s[0:7], s[20:21], 0x0
	s_add_u32 s22, s22, 48
	s_addc_u32 s23, s23, 0
	s_waitcnt lgkmcnt(0)
	v_mul_hi_u32 v1, s9, v3
	v_add_u32_e32 v1, v3, v1
	v_lshrrev_b32_e32 v1, s10, v1
	v_mul_lo_u32 v5, v1, s8
	v_mul_hi_u32 v7, s12, v1
	v_sub_u32_e32 v3, v3, v5
	v_add_u32_e32 v5, v1, v7
	v_lshrrev_b32_e32 v5, s13, v5
	v_mul_lo_u32 v9, v5, s11
	v_mul_hi_u32 v11, s15, v5
	v_sub_u32_e32 v1, v1, v9
	v_add_u32_e32 v9, v5, v11
	v_mul_lo_u32 v7, v3, s1
	v_mul_lo_u32 v3, v3, s0
	;; [unrolled: 1-line block ×4, first 2 shown]
	v_lshrrev_b32_e32 v9, s16, v9
	v_add3_u32 v1, v3, v28, v1
	v_add3_u32 v7, v7, v30, v11
	v_mul_lo_u32 v3, v9, s14
	v_mul_hi_u32 v11, s18, v9
	v_sub_u32_e32 v3, v5, v3
	v_add_u32_e32 v5, v9, v11
	v_mul_lo_u32 v11, v3, s4
	v_mul_lo_u32 v13, v3, s5
	v_lshrrev_b32_e32 v3, s19, v5
	s_add_i32 s26, s26, 4
	v_mul_lo_u32 v5, v3, s17
	s_add_u32 s20, s20, 32
	v_sub_u32_e32 v5, v9, v5
	s_addc_u32 s21, s21, 0
	v_mul_lo_u32 v9, v5, s6
	v_mul_lo_u32 v5, v5, s7
	s_cmp_lg_u32 s24, s26
	v_add3_u32 v30, v13, v7, v5
	v_add3_u32 v28, v11, v1, v9
	s_cbranch_scc1 .LBB423_120
; %bb.121:
	v_mov_b32_e32 v1, v30
	s_and_b32 s4, s25, 3
	s_cmp_eq_u32 s4, 0
	s_cbranch_scc0 .LBB423_125
	s_branch .LBB423_127
.LBB423_122:
                                        ; implicit-def: $vgpr30
                                        ; implicit-def: $vgpr28
	s_branch .LBB423_128
.LBB423_123:
	v_mov_b32_e32 v30, 0
	v_mov_b32_e32 v28, 0
	s_branch .LBB423_127
.LBB423_124:
	v_mov_b32_e32 v28, 0
                                        ; implicit-def: $vgpr30
	v_mov_b32_e32 v1, v28
	v_mov_b32_e32 v3, v32
	s_and_b32 s4, s25, 3
	s_cmp_eq_u32 s4, 0
	s_cbranch_scc1 .LBB423_127
.LBB423_125:
	s_lshl_b32 s0, s24, 3
	s_add_u32 s0, s34, s0
	s_addc_u32 s1, s35, 0
	s_add_u32 s0, s0, 0xc4
	s_addc_u32 s1, s1, 0
	s_mul_i32 s2, s24, 12
	s_add_u32 s2, s34, s2
	s_addc_u32 s3, s35, 0
.LBB423_126:                            ; =>This Inner Loop Header: Depth=1
	s_load_dwordx2 s[6:7], s[2:3], 0x4
	s_load_dword s5, s[2:3], 0xc
	s_load_dwordx2 s[8:9], s[0:1], 0x0
	v_mov_b32_e32 v30, v1
	s_add_u32 s2, s2, 12
	s_waitcnt lgkmcnt(0)
	v_mul_hi_u32 v1, s7, v3
	v_add_u32_e32 v1, v3, v1
	v_lshrrev_b32_e32 v1, s5, v1
	s_addc_u32 s3, s3, 0
	v_mul_lo_u32 v5, v1, s6
	s_add_u32 s0, s0, 8
	v_sub_u32_e32 v5, v3, v5
	s_addc_u32 s1, s1, 0
	s_add_i32 s4, s4, -1
	v_mad_u64_u32 v[30:31], s[6:7], v5, s9, v[30:31]
	s_cmp_lg_u32 s4, 0
	v_mov_b32_e32 v3, v1
	v_mad_u64_u32 v[28:29], s[6:7], v5, s8, v[28:29]
	v_mov_b32_e32 v1, v30
	s_cbranch_scc1 .LBB423_126
.LBB423_127:
	s_cbranch_execnz .LBB423_130
.LBB423_128:
	s_load_dwordx4 s[0:3], s[34:35], 0x4
	s_load_dwordx2 s[4:5], s[34:35], 0xc4
	s_cmp_lt_u32 s33, 2
	s_waitcnt lgkmcnt(0)
	v_mul_hi_u32 v1, s1, v32
	v_add_u32_e32 v1, v32, v1
	v_lshrrev_b32_e32 v1, s2, v1
	v_mul_lo_u32 v3, v1, s0
	v_sub_u32_e32 v3, v32, v3
	v_mul_lo_u32 v30, v3, s5
	v_mul_lo_u32 v28, v3, s4
	s_cbranch_scc1 .LBB423_130
; %bb.129:
	s_load_dwordx4 s[0:3], s[34:35], 0x10
	s_load_dwordx2 s[4:5], s[34:35], 0xcc
	s_waitcnt lgkmcnt(0)
	v_mul_hi_u32 v3, s1, v1
	v_add_u32_e32 v3, v1, v3
	v_lshrrev_b32_e32 v3, s2, v3
	v_mul_lo_u32 v3, v3, s0
	v_sub_u32_e32 v1, v1, v3
	v_mad_u64_u32 v[28:29], s[0:1], v1, s4, v[28:29]
	v_mad_u64_u32 v[30:31], s[0:1], v1, s5, v[30:31]
.LBB423_130:
	s_load_dwordx4 s[0:3], s[34:35], 0x148
	s_load_dword s4, s[34:35], 0x158
	s_waitcnt lgkmcnt(0)
	global_load_ubyte v1, v2, s[2:3]
	global_load_ubyte v3, v6, s[2:3]
	;; [unrolled: 1-line block ×8, first 2 shown]
	s_and_b32 s2, s4, 0xff
	s_waitcnt vmcnt(7)
	v_min_u16_e32 v1, s2, v1
	s_waitcnt vmcnt(6)
	v_min_u16_e32 v2, s2, v3
	;; [unrolled: 2-line block ×8, first 2 shown]
	global_store_byte v0, v1, s[0:1]
	global_store_byte v4, v2, s[0:1]
	;; [unrolled: 1-line block ×8, first 2 shown]
	s_endpgm
.LBB423_131:
	v_mov_b32_e32 v2, 0
	v_mov_b32_e32 v0, 0
	s_branch .LBB423_137
.LBB423_132:
	v_mov_b32_e32 v2, 0
	v_mov_b32_e32 v0, 0
	s_branch .LBB423_154
.LBB423_133:
	v_mov_b32_e32 v0, 0
	s_mov_b32 s58, 0
	v_mov_b32_e32 v1, v0
                                        ; implicit-def: $vgpr2
	v_mov_b32_e32 v4, v24
.LBB423_134:
	s_and_b32 s4, s59, 3
	s_cmp_eq_u32 s4, 0
	s_cbranch_scc1 .LBB423_137
; %bb.135:
	s_lshl_b32 s0, s58, 3
	s_add_u32 s0, s34, s0
	s_addc_u32 s1, s35, 0
	s_add_u32 s0, s0, 0xc4
	s_addc_u32 s1, s1, 0
	s_mul_i32 s2, s58, 12
	s_add_u32 s2, s34, s2
	s_addc_u32 s3, s35, 0
.LBB423_136:                            ; =>This Inner Loop Header: Depth=1
	s_load_dwordx2 s[6:7], s[2:3], 0x4
	s_load_dword s5, s[2:3], 0xc
	s_load_dwordx2 s[8:9], s[0:1], 0x0
	v_mov_b32_e32 v2, v1
	s_add_u32 s2, s2, 12
	s_waitcnt lgkmcnt(0)
	v_mul_hi_u32 v1, s7, v4
	v_add_u32_e32 v1, v4, v1
	v_lshrrev_b32_e32 v1, s5, v1
	s_addc_u32 s3, s3, 0
	v_mul_lo_u32 v3, v1, s6
	s_add_u32 s0, s0, 8
	v_sub_u32_e32 v5, v4, v3
	s_addc_u32 s1, s1, 0
	s_add_i32 s4, s4, -1
	v_mov_b32_e32 v4, v1
	v_mad_u64_u32 v[2:3], s[6:7], v5, s9, v[2:3]
	v_mad_u64_u32 v[0:1], s[6:7], v5, s8, v[0:1]
	s_cmp_lg_u32 s4, 0
	v_mov_b32_e32 v1, v2
	s_cbranch_scc1 .LBB423_136
.LBB423_137:
	s_cbranch_execnz .LBB423_140
.LBB423_138:
	s_waitcnt lgkmcnt(0)
	v_mul_hi_u32 v0, s25, v24
	v_add_u32_e32 v0, v24, v0
	v_lshrrev_b32_e32 v1, s26, v0
	v_mul_lo_u32 v0, v1, s24
	v_sub_u32_e32 v0, v24, v0
	v_mul_lo_u32 v2, v0, s21
	s_andn2_b64 vcc, exec, s[42:43]
	v_mul_lo_u32 v0, v0, s20
	s_cbranch_vccnz .LBB423_140
; %bb.139:
	v_mul_hi_u32 v3, s40, v1
	v_add_u32_e32 v3, v1, v3
	v_lshrrev_b32_e32 v3, s41, v3
	v_mul_lo_u32 v3, v3, s27
	v_sub_u32_e32 v3, v1, v3
	v_mad_u64_u32 v[0:1], s[0:1], v3, s22, v[0:1]
	v_mad_u64_u32 v[2:3], s[0:1], v3, s23, v[2:3]
.LBB423_140:
	s_waitcnt lgkmcnt(0)
	global_load_ubyte v1, v2, s[18:19]
	s_and_b32 s0, s55, 0xff
	v_add_u32_e32 v24, 0x80, v24
	s_waitcnt vmcnt(0)
	v_min_u16_e32 v1, s0, v1
	global_store_byte v0, v1, s[16:17]
	s_or_b64 exec, exec, s[48:49]
	v_cmp_gt_i32_e32 vcc, s56, v24
	s_and_saveexec_b64 s[48:49], vcc
	s_cbranch_execnz .LBB423_16
.LBB423_141:
	s_or_b64 exec, exec, s[48:49]
	v_cmp_gt_i32_e32 vcc, s56, v24
	s_and_saveexec_b64 s[48:49], vcc
	s_cbranch_execz .LBB423_158
.LBB423_142:
	s_andn2_b64 vcc, exec, s[36:37]
	s_cbranch_vccnz .LBB423_148
; %bb.143:
	s_andn2_b64 vcc, exec, s[46:47]
	s_cbranch_vccnz .LBB423_149
; %bb.144:
	s_add_i32 s59, s57, 1
	s_cmp_eq_u32 s54, 2
	s_cbranch_scc1 .LBB423_167
; %bb.145:
	s_and_b32 s58, s59, 28
	s_mov_b32 s60, 0
	v_mov_b32_e32 v0, 0
	v_mov_b32_e32 v2, 0
	s_mov_b64 s[50:51], s[34:35]
	s_mov_b64 s[52:53], s[44:45]
	v_mov_b32_e32 v4, v24
.LBB423_146:                            ; =>This Inner Loop Header: Depth=1
	s_load_dwordx8 s[8:15], s[50:51], 0x4
	s_load_dwordx4 s[28:31], s[50:51], 0x24
	s_load_dwordx8 s[0:7], s[52:53], 0x0
	s_add_u32 s50, s50, 48
	s_addc_u32 s51, s51, 0
	s_waitcnt lgkmcnt(0)
	v_mul_hi_u32 v1, s9, v4
	v_add_u32_e32 v1, v4, v1
	v_lshrrev_b32_e32 v1, s10, v1
	v_mul_lo_u32 v3, v1, s8
	v_mul_hi_u32 v5, s12, v1
	v_sub_u32_e32 v3, v4, v3
	v_add_u32_e32 v4, v1, v5
	v_lshrrev_b32_e32 v4, s13, v4
	v_mul_lo_u32 v6, v4, s11
	v_mul_hi_u32 v7, s15, v4
	v_sub_u32_e32 v1, v1, v6
	v_add_u32_e32 v6, v4, v7
	v_mul_lo_u32 v5, v3, s1
	v_mul_lo_u32 v3, v3, s0
	;; [unrolled: 1-line block ×4, first 2 shown]
	v_lshrrev_b32_e32 v6, s28, v6
	v_add3_u32 v0, v3, v0, v1
	v_mul_hi_u32 v3, s30, v6
	v_add3_u32 v1, v5, v2, v7
	v_mul_lo_u32 v2, v6, s14
	v_add_u32_e32 v3, v6, v3
	v_sub_u32_e32 v2, v4, v2
	v_lshrrev_b32_e32 v4, s31, v3
	s_add_i32 s60, s60, 4
	v_mul_lo_u32 v3, v4, s29
	s_add_u32 s52, s52, 32
	v_sub_u32_e32 v3, v6, v3
	s_addc_u32 s53, s53, 0
	v_mul_lo_u32 v5, v2, s4
	v_mul_lo_u32 v2, v2, s5
	;; [unrolled: 1-line block ×4, first 2 shown]
	s_cmp_eq_u32 s58, s60
	v_add3_u32 v2, v2, v1, v3
	v_add3_u32 v0, v5, v0, v6
	s_cbranch_scc0 .LBB423_146
; %bb.147:
	v_mov_b32_e32 v1, v2
	s_branch .LBB423_168
.LBB423_148:
                                        ; implicit-def: $vgpr2
                                        ; implicit-def: $vgpr0
	s_branch .LBB423_172
.LBB423_149:
	v_mov_b32_e32 v2, 0
	v_mov_b32_e32 v0, 0
	s_branch .LBB423_171
.LBB423_150:
	v_mov_b32_e32 v0, 0
	s_mov_b32 s58, 0
	v_mov_b32_e32 v1, v0
                                        ; implicit-def: $vgpr2
	v_mov_b32_e32 v4, v24
.LBB423_151:
	s_and_b32 s4, s59, 3
	s_cmp_eq_u32 s4, 0
	s_cbranch_scc1 .LBB423_154
; %bb.152:
	s_lshl_b32 s0, s58, 3
	s_add_u32 s0, s34, s0
	s_addc_u32 s1, s35, 0
	s_add_u32 s0, s0, 0xc4
	s_addc_u32 s1, s1, 0
	s_mul_i32 s2, s58, 12
	s_add_u32 s2, s34, s2
	s_addc_u32 s3, s35, 0
.LBB423_153:                            ; =>This Inner Loop Header: Depth=1
	s_load_dwordx2 s[6:7], s[2:3], 0x4
	s_load_dword s5, s[2:3], 0xc
	s_load_dwordx2 s[8:9], s[0:1], 0x0
	v_mov_b32_e32 v2, v1
	s_add_u32 s2, s2, 12
	s_waitcnt lgkmcnt(0)
	v_mul_hi_u32 v1, s7, v4
	v_add_u32_e32 v1, v4, v1
	v_lshrrev_b32_e32 v1, s5, v1
	s_addc_u32 s3, s3, 0
	v_mul_lo_u32 v3, v1, s6
	s_add_u32 s0, s0, 8
	v_sub_u32_e32 v5, v4, v3
	s_addc_u32 s1, s1, 0
	s_add_i32 s4, s4, -1
	v_mov_b32_e32 v4, v1
	v_mad_u64_u32 v[2:3], s[6:7], v5, s9, v[2:3]
	v_mad_u64_u32 v[0:1], s[6:7], v5, s8, v[0:1]
	s_cmp_lg_u32 s4, 0
	v_mov_b32_e32 v1, v2
	s_cbranch_scc1 .LBB423_153
.LBB423_154:
	s_cbranch_execnz .LBB423_157
.LBB423_155:
	s_waitcnt lgkmcnt(0)
	v_mul_hi_u32 v0, s25, v24
	v_add_u32_e32 v0, v24, v0
	v_lshrrev_b32_e32 v1, s26, v0
	v_mul_lo_u32 v0, v1, s24
	v_sub_u32_e32 v0, v24, v0
	v_mul_lo_u32 v2, v0, s21
	s_andn2_b64 vcc, exec, s[42:43]
	v_mul_lo_u32 v0, v0, s20
	s_cbranch_vccnz .LBB423_157
; %bb.156:
	v_mul_hi_u32 v3, s40, v1
	v_add_u32_e32 v3, v1, v3
	v_lshrrev_b32_e32 v3, s41, v3
	v_mul_lo_u32 v3, v3, s27
	v_sub_u32_e32 v3, v1, v3
	v_mad_u64_u32 v[0:1], s[0:1], v3, s22, v[0:1]
	v_mad_u64_u32 v[2:3], s[0:1], v3, s23, v[2:3]
.LBB423_157:
	s_waitcnt lgkmcnt(0)
	global_load_ubyte v1, v2, s[18:19]
	s_and_b32 s0, s55, 0xff
	v_add_u32_e32 v24, 0x80, v24
	s_waitcnt vmcnt(0)
	v_min_u16_e32 v1, s0, v1
	global_store_byte v0, v1, s[16:17]
	s_or_b64 exec, exec, s[48:49]
	v_cmp_gt_i32_e32 vcc, s56, v24
	s_and_saveexec_b64 s[48:49], vcc
	s_cbranch_execnz .LBB423_142
.LBB423_158:
	s_or_b64 exec, exec, s[48:49]
	v_cmp_gt_i32_e32 vcc, s56, v24
	s_and_saveexec_b64 s[48:49], vcc
	s_cbranch_execz .LBB423_175
.LBB423_159:
	s_andn2_b64 vcc, exec, s[36:37]
	s_cbranch_vccnz .LBB423_165
; %bb.160:
	s_andn2_b64 vcc, exec, s[46:47]
	s_cbranch_vccnz .LBB423_166
; %bb.161:
	s_add_i32 s59, s57, 1
	s_cmp_eq_u32 s54, 2
	s_cbranch_scc1 .LBB423_184
; %bb.162:
	s_and_b32 s58, s59, 28
	s_mov_b32 s60, 0
	v_mov_b32_e32 v0, 0
	v_mov_b32_e32 v2, 0
	s_mov_b64 s[50:51], s[34:35]
	s_mov_b64 s[52:53], s[44:45]
	v_mov_b32_e32 v4, v24
.LBB423_163:                            ; =>This Inner Loop Header: Depth=1
	s_load_dwordx8 s[8:15], s[50:51], 0x4
	s_load_dwordx4 s[28:31], s[50:51], 0x24
	s_load_dwordx8 s[0:7], s[52:53], 0x0
	s_add_u32 s50, s50, 48
	s_addc_u32 s51, s51, 0
	s_waitcnt lgkmcnt(0)
	v_mul_hi_u32 v1, s9, v4
	v_add_u32_e32 v1, v4, v1
	v_lshrrev_b32_e32 v1, s10, v1
	v_mul_lo_u32 v3, v1, s8
	v_mul_hi_u32 v5, s12, v1
	v_sub_u32_e32 v3, v4, v3
	v_add_u32_e32 v4, v1, v5
	v_lshrrev_b32_e32 v4, s13, v4
	v_mul_lo_u32 v6, v4, s11
	v_mul_hi_u32 v7, s15, v4
	v_sub_u32_e32 v1, v1, v6
	v_add_u32_e32 v6, v4, v7
	v_mul_lo_u32 v5, v3, s1
	v_mul_lo_u32 v3, v3, s0
	;; [unrolled: 1-line block ×4, first 2 shown]
	v_lshrrev_b32_e32 v6, s28, v6
	v_add3_u32 v0, v3, v0, v1
	v_mul_hi_u32 v3, s30, v6
	v_add3_u32 v1, v5, v2, v7
	v_mul_lo_u32 v2, v6, s14
	v_add_u32_e32 v3, v6, v3
	v_sub_u32_e32 v2, v4, v2
	v_lshrrev_b32_e32 v4, s31, v3
	s_add_i32 s60, s60, 4
	v_mul_lo_u32 v3, v4, s29
	s_add_u32 s52, s52, 32
	v_sub_u32_e32 v3, v6, v3
	s_addc_u32 s53, s53, 0
	v_mul_lo_u32 v5, v2, s4
	v_mul_lo_u32 v2, v2, s5
	;; [unrolled: 1-line block ×4, first 2 shown]
	s_cmp_eq_u32 s58, s60
	v_add3_u32 v2, v2, v1, v3
	v_add3_u32 v0, v5, v0, v6
	s_cbranch_scc0 .LBB423_163
; %bb.164:
	v_mov_b32_e32 v1, v2
	s_branch .LBB423_185
.LBB423_165:
                                        ; implicit-def: $vgpr2
                                        ; implicit-def: $vgpr0
	s_branch .LBB423_189
.LBB423_166:
	v_mov_b32_e32 v2, 0
	v_mov_b32_e32 v0, 0
	s_branch .LBB423_188
.LBB423_167:
	v_mov_b32_e32 v0, 0
	s_mov_b32 s58, 0
	v_mov_b32_e32 v1, v0
                                        ; implicit-def: $vgpr2
	v_mov_b32_e32 v4, v24
.LBB423_168:
	s_and_b32 s4, s59, 3
	s_cmp_eq_u32 s4, 0
	s_cbranch_scc1 .LBB423_171
; %bb.169:
	s_lshl_b32 s0, s58, 3
	s_add_u32 s0, s34, s0
	s_addc_u32 s1, s35, 0
	s_add_u32 s0, s0, 0xc4
	s_addc_u32 s1, s1, 0
	s_mul_i32 s2, s58, 12
	s_add_u32 s2, s34, s2
	s_addc_u32 s3, s35, 0
.LBB423_170:                            ; =>This Inner Loop Header: Depth=1
	s_load_dwordx2 s[6:7], s[2:3], 0x4
	s_load_dword s5, s[2:3], 0xc
	s_load_dwordx2 s[8:9], s[0:1], 0x0
	v_mov_b32_e32 v2, v1
	s_add_u32 s2, s2, 12
	s_waitcnt lgkmcnt(0)
	v_mul_hi_u32 v1, s7, v4
	v_add_u32_e32 v1, v4, v1
	v_lshrrev_b32_e32 v1, s5, v1
	s_addc_u32 s3, s3, 0
	v_mul_lo_u32 v3, v1, s6
	s_add_u32 s0, s0, 8
	v_sub_u32_e32 v5, v4, v3
	s_addc_u32 s1, s1, 0
	s_add_i32 s4, s4, -1
	v_mov_b32_e32 v4, v1
	v_mad_u64_u32 v[2:3], s[6:7], v5, s9, v[2:3]
	v_mad_u64_u32 v[0:1], s[6:7], v5, s8, v[0:1]
	s_cmp_lg_u32 s4, 0
	v_mov_b32_e32 v1, v2
	s_cbranch_scc1 .LBB423_170
.LBB423_171:
	s_cbranch_execnz .LBB423_174
.LBB423_172:
	s_waitcnt lgkmcnt(0)
	v_mul_hi_u32 v0, s25, v24
	v_add_u32_e32 v0, v24, v0
	v_lshrrev_b32_e32 v1, s26, v0
	v_mul_lo_u32 v0, v1, s24
	v_sub_u32_e32 v0, v24, v0
	v_mul_lo_u32 v2, v0, s21
	s_andn2_b64 vcc, exec, s[42:43]
	v_mul_lo_u32 v0, v0, s20
	s_cbranch_vccnz .LBB423_174
; %bb.173:
	v_mul_hi_u32 v3, s40, v1
	v_add_u32_e32 v3, v1, v3
	v_lshrrev_b32_e32 v3, s41, v3
	v_mul_lo_u32 v3, v3, s27
	v_sub_u32_e32 v3, v1, v3
	v_mad_u64_u32 v[0:1], s[0:1], v3, s22, v[0:1]
	v_mad_u64_u32 v[2:3], s[0:1], v3, s23, v[2:3]
.LBB423_174:
	s_waitcnt lgkmcnt(0)
	global_load_ubyte v1, v2, s[18:19]
	s_and_b32 s0, s55, 0xff
	v_add_u32_e32 v24, 0x80, v24
	s_waitcnt vmcnt(0)
	v_min_u16_e32 v1, s0, v1
	global_store_byte v0, v1, s[16:17]
	s_or_b64 exec, exec, s[48:49]
	v_cmp_gt_i32_e32 vcc, s56, v24
	s_and_saveexec_b64 s[48:49], vcc
	s_cbranch_execnz .LBB423_159
.LBB423_175:
	s_or_b64 exec, exec, s[48:49]
	v_cmp_gt_i32_e32 vcc, s56, v24
	s_and_saveexec_b64 s[48:49], vcc
	s_cbranch_execz .LBB423_192
.LBB423_176:
	s_andn2_b64 vcc, exec, s[36:37]
	s_cbranch_vccnz .LBB423_182
; %bb.177:
	s_andn2_b64 vcc, exec, s[46:47]
	s_cbranch_vccnz .LBB423_183
; %bb.178:
	s_add_i32 s59, s57, 1
	s_cmp_eq_u32 s54, 2
	s_cbranch_scc1 .LBB423_201
; %bb.179:
	s_and_b32 s58, s59, 28
	s_mov_b32 s60, 0
	v_mov_b32_e32 v0, 0
	v_mov_b32_e32 v2, 0
	s_mov_b64 s[50:51], s[34:35]
	s_mov_b64 s[52:53], s[44:45]
	v_mov_b32_e32 v4, v24
.LBB423_180:                            ; =>This Inner Loop Header: Depth=1
	s_load_dwordx8 s[8:15], s[50:51], 0x4
	s_load_dwordx4 s[28:31], s[50:51], 0x24
	s_load_dwordx8 s[0:7], s[52:53], 0x0
	s_add_u32 s50, s50, 48
	s_addc_u32 s51, s51, 0
	s_waitcnt lgkmcnt(0)
	v_mul_hi_u32 v1, s9, v4
	v_add_u32_e32 v1, v4, v1
	v_lshrrev_b32_e32 v1, s10, v1
	v_mul_lo_u32 v3, v1, s8
	v_mul_hi_u32 v5, s12, v1
	v_sub_u32_e32 v3, v4, v3
	v_add_u32_e32 v4, v1, v5
	v_lshrrev_b32_e32 v4, s13, v4
	v_mul_lo_u32 v6, v4, s11
	v_mul_hi_u32 v7, s15, v4
	v_sub_u32_e32 v1, v1, v6
	v_add_u32_e32 v6, v4, v7
	v_mul_lo_u32 v5, v3, s1
	v_mul_lo_u32 v3, v3, s0
	;; [unrolled: 1-line block ×4, first 2 shown]
	v_lshrrev_b32_e32 v6, s28, v6
	v_add3_u32 v0, v3, v0, v1
	v_mul_hi_u32 v3, s30, v6
	v_add3_u32 v1, v5, v2, v7
	v_mul_lo_u32 v2, v6, s14
	v_add_u32_e32 v3, v6, v3
	v_sub_u32_e32 v2, v4, v2
	v_lshrrev_b32_e32 v4, s31, v3
	s_add_i32 s60, s60, 4
	v_mul_lo_u32 v3, v4, s29
	s_add_u32 s52, s52, 32
	v_sub_u32_e32 v3, v6, v3
	s_addc_u32 s53, s53, 0
	v_mul_lo_u32 v5, v2, s4
	v_mul_lo_u32 v2, v2, s5
	;; [unrolled: 1-line block ×4, first 2 shown]
	s_cmp_eq_u32 s58, s60
	v_add3_u32 v2, v2, v1, v3
	v_add3_u32 v0, v5, v0, v6
	s_cbranch_scc0 .LBB423_180
; %bb.181:
	v_mov_b32_e32 v1, v2
	s_branch .LBB423_202
.LBB423_182:
                                        ; implicit-def: $vgpr2
                                        ; implicit-def: $vgpr0
	s_branch .LBB423_206
.LBB423_183:
	v_mov_b32_e32 v2, 0
	v_mov_b32_e32 v0, 0
	s_branch .LBB423_205
.LBB423_184:
	v_mov_b32_e32 v0, 0
	s_mov_b32 s58, 0
	v_mov_b32_e32 v1, v0
                                        ; implicit-def: $vgpr2
	v_mov_b32_e32 v4, v24
.LBB423_185:
	s_and_b32 s4, s59, 3
	s_cmp_eq_u32 s4, 0
	s_cbranch_scc1 .LBB423_188
; %bb.186:
	s_lshl_b32 s0, s58, 3
	s_add_u32 s0, s34, s0
	s_addc_u32 s1, s35, 0
	s_add_u32 s0, s0, 0xc4
	s_addc_u32 s1, s1, 0
	s_mul_i32 s2, s58, 12
	s_add_u32 s2, s34, s2
	s_addc_u32 s3, s35, 0
.LBB423_187:                            ; =>This Inner Loop Header: Depth=1
	s_load_dwordx2 s[6:7], s[2:3], 0x4
	s_load_dword s5, s[2:3], 0xc
	s_load_dwordx2 s[8:9], s[0:1], 0x0
	v_mov_b32_e32 v2, v1
	s_add_u32 s2, s2, 12
	s_waitcnt lgkmcnt(0)
	v_mul_hi_u32 v1, s7, v4
	v_add_u32_e32 v1, v4, v1
	v_lshrrev_b32_e32 v1, s5, v1
	s_addc_u32 s3, s3, 0
	v_mul_lo_u32 v3, v1, s6
	s_add_u32 s0, s0, 8
	v_sub_u32_e32 v5, v4, v3
	s_addc_u32 s1, s1, 0
	s_add_i32 s4, s4, -1
	v_mov_b32_e32 v4, v1
	v_mad_u64_u32 v[2:3], s[6:7], v5, s9, v[2:3]
	v_mad_u64_u32 v[0:1], s[6:7], v5, s8, v[0:1]
	s_cmp_lg_u32 s4, 0
	v_mov_b32_e32 v1, v2
	s_cbranch_scc1 .LBB423_187
.LBB423_188:
	s_cbranch_execnz .LBB423_191
.LBB423_189:
	s_waitcnt lgkmcnt(0)
	v_mul_hi_u32 v0, s25, v24
	v_add_u32_e32 v0, v24, v0
	v_lshrrev_b32_e32 v1, s26, v0
	v_mul_lo_u32 v0, v1, s24
	v_sub_u32_e32 v0, v24, v0
	v_mul_lo_u32 v2, v0, s21
	s_andn2_b64 vcc, exec, s[42:43]
	v_mul_lo_u32 v0, v0, s20
	s_cbranch_vccnz .LBB423_191
; %bb.190:
	v_mul_hi_u32 v3, s40, v1
	v_add_u32_e32 v3, v1, v3
	v_lshrrev_b32_e32 v3, s41, v3
	v_mul_lo_u32 v3, v3, s27
	v_sub_u32_e32 v3, v1, v3
	v_mad_u64_u32 v[0:1], s[0:1], v3, s22, v[0:1]
	v_mad_u64_u32 v[2:3], s[0:1], v3, s23, v[2:3]
.LBB423_191:
	s_waitcnt lgkmcnt(0)
	global_load_ubyte v1, v2, s[18:19]
	s_and_b32 s0, s55, 0xff
	v_add_u32_e32 v24, 0x80, v24
	s_waitcnt vmcnt(0)
	v_min_u16_e32 v1, s0, v1
	global_store_byte v0, v1, s[16:17]
	s_or_b64 exec, exec, s[48:49]
	v_cmp_gt_i32_e32 vcc, s56, v24
	s_and_saveexec_b64 s[48:49], vcc
	s_cbranch_execnz .LBB423_176
.LBB423_192:
	s_or_b64 exec, exec, s[48:49]
	v_cmp_gt_i32_e32 vcc, s56, v24
	s_and_saveexec_b64 s[48:49], vcc
	s_cbranch_execz .LBB423_209
.LBB423_193:
	s_andn2_b64 vcc, exec, s[36:37]
	s_cbranch_vccnz .LBB423_199
; %bb.194:
	s_andn2_b64 vcc, exec, s[46:47]
	s_cbranch_vccnz .LBB423_200
; %bb.195:
	s_add_i32 s59, s57, 1
	s_cmp_eq_u32 s54, 2
	s_cbranch_scc1 .LBB423_218
; %bb.196:
	s_and_b32 s58, s59, 28
	s_mov_b32 s60, 0
	v_mov_b32_e32 v0, 0
	v_mov_b32_e32 v2, 0
	s_mov_b64 s[50:51], s[34:35]
	s_mov_b64 s[52:53], s[44:45]
	v_mov_b32_e32 v4, v24
.LBB423_197:                            ; =>This Inner Loop Header: Depth=1
	s_load_dwordx8 s[8:15], s[50:51], 0x4
	s_load_dwordx4 s[28:31], s[50:51], 0x24
	s_load_dwordx8 s[0:7], s[52:53], 0x0
	s_add_u32 s50, s50, 48
	s_addc_u32 s51, s51, 0
	s_waitcnt lgkmcnt(0)
	v_mul_hi_u32 v1, s9, v4
	v_add_u32_e32 v1, v4, v1
	v_lshrrev_b32_e32 v1, s10, v1
	v_mul_lo_u32 v3, v1, s8
	v_mul_hi_u32 v5, s12, v1
	v_sub_u32_e32 v3, v4, v3
	v_add_u32_e32 v4, v1, v5
	v_lshrrev_b32_e32 v4, s13, v4
	v_mul_lo_u32 v6, v4, s11
	v_mul_hi_u32 v7, s15, v4
	v_sub_u32_e32 v1, v1, v6
	v_add_u32_e32 v6, v4, v7
	v_mul_lo_u32 v5, v3, s1
	v_mul_lo_u32 v3, v3, s0
	v_mul_lo_u32 v7, v1, s3
	v_mul_lo_u32 v1, v1, s2
	v_lshrrev_b32_e32 v6, s28, v6
	v_add3_u32 v0, v3, v0, v1
	v_mul_hi_u32 v3, s30, v6
	v_add3_u32 v1, v5, v2, v7
	v_mul_lo_u32 v2, v6, s14
	v_add_u32_e32 v3, v6, v3
	v_sub_u32_e32 v2, v4, v2
	v_lshrrev_b32_e32 v4, s31, v3
	s_add_i32 s60, s60, 4
	v_mul_lo_u32 v3, v4, s29
	s_add_u32 s52, s52, 32
	v_sub_u32_e32 v3, v6, v3
	s_addc_u32 s53, s53, 0
	v_mul_lo_u32 v5, v2, s4
	v_mul_lo_u32 v2, v2, s5
	;; [unrolled: 1-line block ×4, first 2 shown]
	s_cmp_eq_u32 s58, s60
	v_add3_u32 v2, v2, v1, v3
	v_add3_u32 v0, v5, v0, v6
	s_cbranch_scc0 .LBB423_197
; %bb.198:
	v_mov_b32_e32 v1, v2
	s_branch .LBB423_219
.LBB423_199:
                                        ; implicit-def: $vgpr2
                                        ; implicit-def: $vgpr0
	s_branch .LBB423_223
.LBB423_200:
	v_mov_b32_e32 v2, 0
	v_mov_b32_e32 v0, 0
	s_branch .LBB423_222
.LBB423_201:
	v_mov_b32_e32 v0, 0
	s_mov_b32 s58, 0
	v_mov_b32_e32 v1, v0
                                        ; implicit-def: $vgpr2
	v_mov_b32_e32 v4, v24
.LBB423_202:
	s_and_b32 s4, s59, 3
	s_cmp_eq_u32 s4, 0
	s_cbranch_scc1 .LBB423_205
; %bb.203:
	s_lshl_b32 s0, s58, 3
	s_add_u32 s0, s34, s0
	s_addc_u32 s1, s35, 0
	s_add_u32 s0, s0, 0xc4
	s_addc_u32 s1, s1, 0
	s_mul_i32 s2, s58, 12
	s_add_u32 s2, s34, s2
	s_addc_u32 s3, s35, 0
.LBB423_204:                            ; =>This Inner Loop Header: Depth=1
	s_load_dwordx2 s[6:7], s[2:3], 0x4
	s_load_dword s5, s[2:3], 0xc
	s_load_dwordx2 s[8:9], s[0:1], 0x0
	v_mov_b32_e32 v2, v1
	s_add_u32 s2, s2, 12
	s_waitcnt lgkmcnt(0)
	v_mul_hi_u32 v1, s7, v4
	v_add_u32_e32 v1, v4, v1
	v_lshrrev_b32_e32 v1, s5, v1
	s_addc_u32 s3, s3, 0
	v_mul_lo_u32 v3, v1, s6
	s_add_u32 s0, s0, 8
	v_sub_u32_e32 v5, v4, v3
	s_addc_u32 s1, s1, 0
	s_add_i32 s4, s4, -1
	v_mov_b32_e32 v4, v1
	v_mad_u64_u32 v[2:3], s[6:7], v5, s9, v[2:3]
	v_mad_u64_u32 v[0:1], s[6:7], v5, s8, v[0:1]
	s_cmp_lg_u32 s4, 0
	v_mov_b32_e32 v1, v2
	s_cbranch_scc1 .LBB423_204
.LBB423_205:
	s_cbranch_execnz .LBB423_208
.LBB423_206:
	s_waitcnt lgkmcnt(0)
	v_mul_hi_u32 v0, s25, v24
	v_add_u32_e32 v0, v24, v0
	v_lshrrev_b32_e32 v1, s26, v0
	v_mul_lo_u32 v0, v1, s24
	v_sub_u32_e32 v0, v24, v0
	v_mul_lo_u32 v2, v0, s21
	s_andn2_b64 vcc, exec, s[42:43]
	v_mul_lo_u32 v0, v0, s20
	s_cbranch_vccnz .LBB423_208
; %bb.207:
	v_mul_hi_u32 v3, s40, v1
	v_add_u32_e32 v3, v1, v3
	v_lshrrev_b32_e32 v3, s41, v3
	v_mul_lo_u32 v3, v3, s27
	v_sub_u32_e32 v3, v1, v3
	v_mad_u64_u32 v[0:1], s[0:1], v3, s22, v[0:1]
	v_mad_u64_u32 v[2:3], s[0:1], v3, s23, v[2:3]
.LBB423_208:
	s_waitcnt lgkmcnt(0)
	global_load_ubyte v1, v2, s[18:19]
	s_and_b32 s0, s55, 0xff
	v_add_u32_e32 v24, 0x80, v24
	s_waitcnt vmcnt(0)
	v_min_u16_e32 v1, s0, v1
	global_store_byte v0, v1, s[16:17]
	s_or_b64 exec, exec, s[48:49]
	v_cmp_gt_i32_e32 vcc, s56, v24
	s_and_saveexec_b64 s[48:49], vcc
	s_cbranch_execnz .LBB423_193
.LBB423_209:
	s_or_b64 exec, exec, s[48:49]
	v_cmp_gt_i32_e32 vcc, s56, v24
	s_and_saveexec_b64 s[48:49], vcc
	s_cbranch_execz .LBB423_226
.LBB423_210:
	s_andn2_b64 vcc, exec, s[36:37]
	s_cbranch_vccnz .LBB423_216
; %bb.211:
	s_andn2_b64 vcc, exec, s[46:47]
	s_cbranch_vccnz .LBB423_217
; %bb.212:
	s_add_i32 s59, s57, 1
	s_cmp_eq_u32 s54, 2
	s_cbranch_scc1 .LBB423_229
; %bb.213:
	s_and_b32 s58, s59, 28
	s_mov_b32 s60, 0
	v_mov_b32_e32 v0, 0
	v_mov_b32_e32 v2, 0
	s_mov_b64 s[50:51], s[34:35]
	s_mov_b64 s[52:53], s[44:45]
	v_mov_b32_e32 v4, v24
.LBB423_214:                            ; =>This Inner Loop Header: Depth=1
	s_load_dwordx8 s[8:15], s[50:51], 0x4
	s_load_dwordx4 s[28:31], s[50:51], 0x24
	s_load_dwordx8 s[0:7], s[52:53], 0x0
	s_add_u32 s50, s50, 48
	s_addc_u32 s51, s51, 0
	s_waitcnt lgkmcnt(0)
	v_mul_hi_u32 v1, s9, v4
	v_add_u32_e32 v1, v4, v1
	v_lshrrev_b32_e32 v1, s10, v1
	v_mul_lo_u32 v3, v1, s8
	v_mul_hi_u32 v5, s12, v1
	v_sub_u32_e32 v3, v4, v3
	v_add_u32_e32 v4, v1, v5
	v_lshrrev_b32_e32 v4, s13, v4
	v_mul_lo_u32 v6, v4, s11
	v_mul_hi_u32 v7, s15, v4
	v_sub_u32_e32 v1, v1, v6
	v_add_u32_e32 v6, v4, v7
	v_mul_lo_u32 v5, v3, s1
	v_mul_lo_u32 v3, v3, s0
	;; [unrolled: 1-line block ×4, first 2 shown]
	v_lshrrev_b32_e32 v6, s28, v6
	v_add3_u32 v0, v3, v0, v1
	v_mul_hi_u32 v3, s30, v6
	v_add3_u32 v1, v5, v2, v7
	v_mul_lo_u32 v2, v6, s14
	v_add_u32_e32 v3, v6, v3
	v_sub_u32_e32 v2, v4, v2
	v_lshrrev_b32_e32 v4, s31, v3
	s_add_i32 s60, s60, 4
	v_mul_lo_u32 v3, v4, s29
	s_add_u32 s52, s52, 32
	v_sub_u32_e32 v3, v6, v3
	s_addc_u32 s53, s53, 0
	v_mul_lo_u32 v5, v2, s4
	v_mul_lo_u32 v2, v2, s5
	;; [unrolled: 1-line block ×4, first 2 shown]
	s_cmp_eq_u32 s58, s60
	v_add3_u32 v2, v2, v1, v3
	v_add3_u32 v0, v5, v0, v6
	s_cbranch_scc0 .LBB423_214
; %bb.215:
	v_mov_b32_e32 v1, v2
	s_branch .LBB423_230
.LBB423_216:
                                        ; implicit-def: $vgpr2
                                        ; implicit-def: $vgpr0
	s_branch .LBB423_234
.LBB423_217:
	v_mov_b32_e32 v2, 0
	v_mov_b32_e32 v0, 0
	s_branch .LBB423_233
.LBB423_218:
	v_mov_b32_e32 v0, 0
	s_mov_b32 s58, 0
	v_mov_b32_e32 v1, v0
                                        ; implicit-def: $vgpr2
	v_mov_b32_e32 v4, v24
.LBB423_219:
	s_and_b32 s4, s59, 3
	s_cmp_eq_u32 s4, 0
	s_cbranch_scc1 .LBB423_222
; %bb.220:
	s_lshl_b32 s0, s58, 3
	s_add_u32 s0, s34, s0
	s_addc_u32 s1, s35, 0
	s_add_u32 s0, s0, 0xc4
	s_addc_u32 s1, s1, 0
	s_mul_i32 s2, s58, 12
	s_add_u32 s2, s34, s2
	s_addc_u32 s3, s35, 0
.LBB423_221:                            ; =>This Inner Loop Header: Depth=1
	s_load_dwordx2 s[6:7], s[2:3], 0x4
	s_load_dword s5, s[2:3], 0xc
	s_load_dwordx2 s[8:9], s[0:1], 0x0
	v_mov_b32_e32 v2, v1
	s_add_u32 s2, s2, 12
	s_waitcnt lgkmcnt(0)
	v_mul_hi_u32 v1, s7, v4
	v_add_u32_e32 v1, v4, v1
	v_lshrrev_b32_e32 v1, s5, v1
	s_addc_u32 s3, s3, 0
	v_mul_lo_u32 v3, v1, s6
	s_add_u32 s0, s0, 8
	v_sub_u32_e32 v5, v4, v3
	s_addc_u32 s1, s1, 0
	s_add_i32 s4, s4, -1
	v_mov_b32_e32 v4, v1
	v_mad_u64_u32 v[2:3], s[6:7], v5, s9, v[2:3]
	v_mad_u64_u32 v[0:1], s[6:7], v5, s8, v[0:1]
	s_cmp_lg_u32 s4, 0
	v_mov_b32_e32 v1, v2
	s_cbranch_scc1 .LBB423_221
.LBB423_222:
	s_cbranch_execnz .LBB423_225
.LBB423_223:
	s_waitcnt lgkmcnt(0)
	v_mul_hi_u32 v0, s25, v24
	v_add_u32_e32 v0, v24, v0
	v_lshrrev_b32_e32 v1, s26, v0
	v_mul_lo_u32 v0, v1, s24
	v_sub_u32_e32 v0, v24, v0
	v_mul_lo_u32 v2, v0, s21
	s_andn2_b64 vcc, exec, s[42:43]
	v_mul_lo_u32 v0, v0, s20
	s_cbranch_vccnz .LBB423_225
; %bb.224:
	v_mul_hi_u32 v3, s40, v1
	v_add_u32_e32 v3, v1, v3
	v_lshrrev_b32_e32 v3, s41, v3
	v_mul_lo_u32 v3, v3, s27
	v_sub_u32_e32 v3, v1, v3
	v_mad_u64_u32 v[0:1], s[0:1], v3, s22, v[0:1]
	v_mad_u64_u32 v[2:3], s[0:1], v3, s23, v[2:3]
.LBB423_225:
	s_waitcnt lgkmcnt(0)
	global_load_ubyte v1, v2, s[18:19]
	s_and_b32 s0, s55, 0xff
	v_add_u32_e32 v24, 0x80, v24
	s_waitcnt vmcnt(0)
	v_min_u16_e32 v1, s0, v1
	global_store_byte v0, v1, s[16:17]
	s_or_b64 exec, exec, s[48:49]
	v_cmp_gt_i32_e32 vcc, s56, v24
	s_and_saveexec_b64 s[48:49], vcc
	s_cbranch_execnz .LBB423_210
.LBB423_226:
	s_or_b64 exec, exec, s[48:49]
	v_cmp_gt_i32_e32 vcc, s56, v24
	s_and_saveexec_b64 s[48:49], vcc
	s_cbranch_execnz .LBB423_237
.LBB423_227:
	s_or_b64 exec, exec, s[48:49]
                                        ; implicit-def: $vgpr32
                                        ; implicit-def: $vgpr24
	s_andn2_saveexec_b64 s[0:1], s[38:39]
	s_cbranch_execnz .LBB423_9
.LBB423_228:
	s_endpgm
.LBB423_229:
	v_mov_b32_e32 v0, 0
	s_mov_b32 s58, 0
	v_mov_b32_e32 v1, v0
                                        ; implicit-def: $vgpr2
	v_mov_b32_e32 v4, v24
.LBB423_230:
	s_and_b32 s4, s59, 3
	s_cmp_eq_u32 s4, 0
	s_cbranch_scc1 .LBB423_233
; %bb.231:
	s_lshl_b32 s0, s58, 3
	s_add_u32 s0, s34, s0
	s_addc_u32 s1, s35, 0
	s_add_u32 s0, s0, 0xc4
	s_addc_u32 s1, s1, 0
	s_mul_i32 s2, s58, 12
	s_add_u32 s2, s34, s2
	s_addc_u32 s3, s35, 0
.LBB423_232:                            ; =>This Inner Loop Header: Depth=1
	s_load_dwordx2 s[6:7], s[2:3], 0x4
	s_load_dword s5, s[2:3], 0xc
	s_load_dwordx2 s[8:9], s[0:1], 0x0
	v_mov_b32_e32 v2, v1
	s_add_u32 s2, s2, 12
	s_waitcnt lgkmcnt(0)
	v_mul_hi_u32 v1, s7, v4
	v_add_u32_e32 v1, v4, v1
	v_lshrrev_b32_e32 v1, s5, v1
	s_addc_u32 s3, s3, 0
	v_mul_lo_u32 v3, v1, s6
	s_add_u32 s0, s0, 8
	v_sub_u32_e32 v5, v4, v3
	s_addc_u32 s1, s1, 0
	s_add_i32 s4, s4, -1
	v_mov_b32_e32 v4, v1
	v_mad_u64_u32 v[2:3], s[6:7], v5, s9, v[2:3]
	v_mad_u64_u32 v[0:1], s[6:7], v5, s8, v[0:1]
	s_cmp_lg_u32 s4, 0
	v_mov_b32_e32 v1, v2
	s_cbranch_scc1 .LBB423_232
.LBB423_233:
	s_cbranch_execnz .LBB423_236
.LBB423_234:
	s_waitcnt lgkmcnt(0)
	v_mul_hi_u32 v0, s25, v24
	v_add_u32_e32 v0, v24, v0
	v_lshrrev_b32_e32 v1, s26, v0
	v_mul_lo_u32 v0, v1, s24
	v_sub_u32_e32 v0, v24, v0
	v_mul_lo_u32 v2, v0, s21
	s_andn2_b64 vcc, exec, s[42:43]
	v_mul_lo_u32 v0, v0, s20
	s_cbranch_vccnz .LBB423_236
; %bb.235:
	v_mul_hi_u32 v3, s40, v1
	v_add_u32_e32 v3, v1, v3
	v_lshrrev_b32_e32 v3, s41, v3
	v_mul_lo_u32 v3, v3, s27
	v_sub_u32_e32 v3, v1, v3
	v_mad_u64_u32 v[0:1], s[0:1], v3, s22, v[0:1]
	v_mad_u64_u32 v[2:3], s[0:1], v3, s23, v[2:3]
.LBB423_236:
	s_waitcnt lgkmcnt(0)
	global_load_ubyte v1, v2, s[18:19]
	s_and_b32 s0, s55, 0xff
	v_add_u32_e32 v24, 0x80, v24
	s_waitcnt vmcnt(0)
	v_min_u16_e32 v1, s0, v1
	global_store_byte v0, v1, s[16:17]
	s_or_b64 exec, exec, s[48:49]
	v_cmp_gt_i32_e32 vcc, s56, v24
	s_and_saveexec_b64 s[48:49], vcc
	s_cbranch_execz .LBB423_227
.LBB423_237:
	s_andn2_b64 vcc, exec, s[36:37]
	s_cbranch_vccnz .LBB423_243
; %bb.238:
	s_andn2_b64 vcc, exec, s[46:47]
	s_cbranch_vccnz .LBB423_244
; %bb.239:
	s_add_i32 s57, s57, 1
	s_cmp_eq_u32 s54, 2
	s_cbranch_scc1 .LBB423_245
; %bb.240:
	s_and_b32 s50, s57, 28
	s_mov_b32 s51, 0
	v_mov_b32_e32 v0, 0
	v_mov_b32_e32 v2, 0
	s_mov_b64 s[46:47], s[34:35]
	v_mov_b32_e32 v4, v24
.LBB423_241:                            ; =>This Inner Loop Header: Depth=1
	s_load_dwordx8 s[8:15], s[46:47], 0x4
	s_load_dwordx4 s[28:31], s[46:47], 0x24
	s_load_dwordx8 s[0:7], s[44:45], 0x0
	s_add_u32 s46, s46, 48
	s_addc_u32 s47, s47, 0
	s_waitcnt lgkmcnt(0)
	v_mul_hi_u32 v1, s9, v4
	v_add_u32_e32 v1, v4, v1
	v_lshrrev_b32_e32 v1, s10, v1
	v_mul_lo_u32 v3, v1, s8
	v_mul_hi_u32 v5, s12, v1
	v_sub_u32_e32 v3, v4, v3
	v_add_u32_e32 v4, v1, v5
	v_lshrrev_b32_e32 v4, s13, v4
	v_mul_lo_u32 v6, v4, s11
	v_mul_hi_u32 v7, s15, v4
	v_sub_u32_e32 v1, v1, v6
	v_add_u32_e32 v6, v4, v7
	v_mul_lo_u32 v5, v3, s1
	v_mul_lo_u32 v3, v3, s0
	;; [unrolled: 1-line block ×4, first 2 shown]
	v_lshrrev_b32_e32 v6, s28, v6
	v_add3_u32 v0, v3, v0, v1
	v_mul_hi_u32 v3, s30, v6
	v_add3_u32 v1, v5, v2, v7
	v_mul_lo_u32 v2, v6, s14
	v_add_u32_e32 v3, v6, v3
	v_sub_u32_e32 v2, v4, v2
	v_lshrrev_b32_e32 v4, s31, v3
	s_add_i32 s51, s51, 4
	v_mul_lo_u32 v3, v4, s29
	s_add_u32 s44, s44, 32
	v_sub_u32_e32 v3, v6, v3
	s_addc_u32 s45, s45, 0
	v_mul_lo_u32 v5, v2, s4
	v_mul_lo_u32 v2, v2, s5
	;; [unrolled: 1-line block ×4, first 2 shown]
	s_cmp_eq_u32 s50, s51
	v_add3_u32 v2, v2, v1, v3
	v_add3_u32 v0, v5, v0, v6
	s_cbranch_scc0 .LBB423_241
; %bb.242:
	v_mov_b32_e32 v1, v2
	s_branch .LBB423_246
.LBB423_243:
                                        ; implicit-def: $vgpr2
                                        ; implicit-def: $vgpr0
	s_branch .LBB423_250
.LBB423_244:
	v_mov_b32_e32 v2, 0
	v_mov_b32_e32 v0, 0
	s_branch .LBB423_249
.LBB423_245:
	v_mov_b32_e32 v0, 0
	s_mov_b32 s50, 0
	v_mov_b32_e32 v1, v0
                                        ; implicit-def: $vgpr2
	v_mov_b32_e32 v4, v24
.LBB423_246:
	s_and_b32 s4, s57, 3
	s_cmp_eq_u32 s4, 0
	s_cbranch_scc1 .LBB423_249
; %bb.247:
	s_lshl_b32 s0, s50, 3
	s_add_u32 s0, s34, s0
	s_addc_u32 s1, s35, 0
	s_add_u32 s0, s0, 0xc4
	s_addc_u32 s1, s1, 0
	s_mul_i32 s2, s50, 12
	s_add_u32 s2, s34, s2
	s_addc_u32 s3, s35, 0
.LBB423_248:                            ; =>This Inner Loop Header: Depth=1
	s_load_dwordx2 s[6:7], s[2:3], 0x4
	s_load_dword s5, s[2:3], 0xc
	s_load_dwordx2 s[8:9], s[0:1], 0x0
	v_mov_b32_e32 v2, v1
	s_add_u32 s2, s2, 12
	s_waitcnt lgkmcnt(0)
	v_mul_hi_u32 v1, s7, v4
	v_add_u32_e32 v1, v4, v1
	v_lshrrev_b32_e32 v1, s5, v1
	s_addc_u32 s3, s3, 0
	v_mul_lo_u32 v3, v1, s6
	s_add_u32 s0, s0, 8
	v_sub_u32_e32 v5, v4, v3
	s_addc_u32 s1, s1, 0
	s_add_i32 s4, s4, -1
	v_mov_b32_e32 v4, v1
	v_mad_u64_u32 v[2:3], s[6:7], v5, s9, v[2:3]
	v_mad_u64_u32 v[0:1], s[6:7], v5, s8, v[0:1]
	s_cmp_lg_u32 s4, 0
	v_mov_b32_e32 v1, v2
	s_cbranch_scc1 .LBB423_248
.LBB423_249:
	s_cbranch_execnz .LBB423_252
.LBB423_250:
	s_waitcnt lgkmcnt(0)
	v_mul_hi_u32 v0, s25, v24
	v_add_u32_e32 v0, v24, v0
	v_lshrrev_b32_e32 v1, s26, v0
	v_mul_lo_u32 v0, v1, s24
	v_sub_u32_e32 v0, v24, v0
	v_mul_lo_u32 v2, v0, s21
	s_andn2_b64 vcc, exec, s[42:43]
	v_mul_lo_u32 v0, v0, s20
	s_cbranch_vccnz .LBB423_252
; %bb.251:
	v_mul_hi_u32 v3, s40, v1
	v_add_u32_e32 v3, v1, v3
	v_lshrrev_b32_e32 v3, s41, v3
	v_mul_lo_u32 v3, v3, s27
	v_sub_u32_e32 v3, v1, v3
	v_mad_u64_u32 v[0:1], s[0:1], v3, s22, v[0:1]
	v_mad_u64_u32 v[2:3], s[0:1], v3, s23, v[2:3]
.LBB423_252:
	s_waitcnt lgkmcnt(0)
	global_load_ubyte v1, v2, s[18:19]
	s_and_b32 s0, s55, 0xff
	s_waitcnt vmcnt(0)
	v_min_u16_e32 v1, s0, v1
	global_store_byte v0, v1, s[16:17]
	s_or_b64 exec, exec, s[48:49]
                                        ; implicit-def: $vgpr32
                                        ; implicit-def: $vgpr24
	s_andn2_saveexec_b64 s[0:1], s[38:39]
	s_cbranch_execz .LBB423_228
	s_branch .LBB423_9
	.section	.rodata,"a",@progbits
	.p2align	6, 0x0
	.amdhsa_kernel _ZN2at6native32elementwise_kernel_manual_unrollILi128ELi8EZNS0_22gpu_kernel_impl_nocastIZZZNS0_21clamp_max_kernel_cudaERNS_18TensorIteratorBaseERKN3c106ScalarEENKUlvE_clEvENKUlvE_clEvEUlhE_EEvS4_RKT_EUlibE_EEviT1_
		.amdhsa_group_segment_fixed_size 0
		.amdhsa_private_segment_fixed_size 0
		.amdhsa_kernarg_size 360
		.amdhsa_user_sgpr_count 2
		.amdhsa_user_sgpr_dispatch_ptr 0
		.amdhsa_user_sgpr_queue_ptr 0
		.amdhsa_user_sgpr_kernarg_segment_ptr 1
		.amdhsa_user_sgpr_dispatch_id 0
		.amdhsa_user_sgpr_kernarg_preload_length 0
		.amdhsa_user_sgpr_kernarg_preload_offset 0
		.amdhsa_user_sgpr_private_segment_size 0
		.amdhsa_uses_dynamic_stack 0
		.amdhsa_enable_private_segment 0
		.amdhsa_system_sgpr_workgroup_id_x 1
		.amdhsa_system_sgpr_workgroup_id_y 0
		.amdhsa_system_sgpr_workgroup_id_z 0
		.amdhsa_system_sgpr_workgroup_info 0
		.amdhsa_system_vgpr_workitem_id 0
		.amdhsa_next_free_vgpr 33
		.amdhsa_next_free_sgpr 61
		.amdhsa_accum_offset 36
		.amdhsa_reserve_vcc 1
		.amdhsa_float_round_mode_32 0
		.amdhsa_float_round_mode_16_64 0
		.amdhsa_float_denorm_mode_32 3
		.amdhsa_float_denorm_mode_16_64 3
		.amdhsa_dx10_clamp 1
		.amdhsa_ieee_mode 1
		.amdhsa_fp16_overflow 0
		.amdhsa_tg_split 0
		.amdhsa_exception_fp_ieee_invalid_op 0
		.amdhsa_exception_fp_denorm_src 0
		.amdhsa_exception_fp_ieee_div_zero 0
		.amdhsa_exception_fp_ieee_overflow 0
		.amdhsa_exception_fp_ieee_underflow 0
		.amdhsa_exception_fp_ieee_inexact 0
		.amdhsa_exception_int_div_zero 0
	.end_amdhsa_kernel
	.section	.text._ZN2at6native32elementwise_kernel_manual_unrollILi128ELi8EZNS0_22gpu_kernel_impl_nocastIZZZNS0_21clamp_max_kernel_cudaERNS_18TensorIteratorBaseERKN3c106ScalarEENKUlvE_clEvENKUlvE_clEvEUlhE_EEvS4_RKT_EUlibE_EEviT1_,"axG",@progbits,_ZN2at6native32elementwise_kernel_manual_unrollILi128ELi8EZNS0_22gpu_kernel_impl_nocastIZZZNS0_21clamp_max_kernel_cudaERNS_18TensorIteratorBaseERKN3c106ScalarEENKUlvE_clEvENKUlvE_clEvEUlhE_EEvS4_RKT_EUlibE_EEviT1_,comdat
.Lfunc_end423:
	.size	_ZN2at6native32elementwise_kernel_manual_unrollILi128ELi8EZNS0_22gpu_kernel_impl_nocastIZZZNS0_21clamp_max_kernel_cudaERNS_18TensorIteratorBaseERKN3c106ScalarEENKUlvE_clEvENKUlvE_clEvEUlhE_EEvS4_RKT_EUlibE_EEviT1_, .Lfunc_end423-_ZN2at6native32elementwise_kernel_manual_unrollILi128ELi8EZNS0_22gpu_kernel_impl_nocastIZZZNS0_21clamp_max_kernel_cudaERNS_18TensorIteratorBaseERKN3c106ScalarEENKUlvE_clEvENKUlvE_clEvEUlhE_EEvS4_RKT_EUlibE_EEviT1_
                                        ; -- End function
	.set _ZN2at6native32elementwise_kernel_manual_unrollILi128ELi8EZNS0_22gpu_kernel_impl_nocastIZZZNS0_21clamp_max_kernel_cudaERNS_18TensorIteratorBaseERKN3c106ScalarEENKUlvE_clEvENKUlvE_clEvEUlhE_EEvS4_RKT_EUlibE_EEviT1_.num_vgpr, 33
	.set _ZN2at6native32elementwise_kernel_manual_unrollILi128ELi8EZNS0_22gpu_kernel_impl_nocastIZZZNS0_21clamp_max_kernel_cudaERNS_18TensorIteratorBaseERKN3c106ScalarEENKUlvE_clEvENKUlvE_clEvEUlhE_EEvS4_RKT_EUlibE_EEviT1_.num_agpr, 0
	.set _ZN2at6native32elementwise_kernel_manual_unrollILi128ELi8EZNS0_22gpu_kernel_impl_nocastIZZZNS0_21clamp_max_kernel_cudaERNS_18TensorIteratorBaseERKN3c106ScalarEENKUlvE_clEvENKUlvE_clEvEUlhE_EEvS4_RKT_EUlibE_EEviT1_.numbered_sgpr, 61
	.set _ZN2at6native32elementwise_kernel_manual_unrollILi128ELi8EZNS0_22gpu_kernel_impl_nocastIZZZNS0_21clamp_max_kernel_cudaERNS_18TensorIteratorBaseERKN3c106ScalarEENKUlvE_clEvENKUlvE_clEvEUlhE_EEvS4_RKT_EUlibE_EEviT1_.num_named_barrier, 0
	.set _ZN2at6native32elementwise_kernel_manual_unrollILi128ELi8EZNS0_22gpu_kernel_impl_nocastIZZZNS0_21clamp_max_kernel_cudaERNS_18TensorIteratorBaseERKN3c106ScalarEENKUlvE_clEvENKUlvE_clEvEUlhE_EEvS4_RKT_EUlibE_EEviT1_.private_seg_size, 0
	.set _ZN2at6native32elementwise_kernel_manual_unrollILi128ELi8EZNS0_22gpu_kernel_impl_nocastIZZZNS0_21clamp_max_kernel_cudaERNS_18TensorIteratorBaseERKN3c106ScalarEENKUlvE_clEvENKUlvE_clEvEUlhE_EEvS4_RKT_EUlibE_EEviT1_.uses_vcc, 1
	.set _ZN2at6native32elementwise_kernel_manual_unrollILi128ELi8EZNS0_22gpu_kernel_impl_nocastIZZZNS0_21clamp_max_kernel_cudaERNS_18TensorIteratorBaseERKN3c106ScalarEENKUlvE_clEvENKUlvE_clEvEUlhE_EEvS4_RKT_EUlibE_EEviT1_.uses_flat_scratch, 0
	.set _ZN2at6native32elementwise_kernel_manual_unrollILi128ELi8EZNS0_22gpu_kernel_impl_nocastIZZZNS0_21clamp_max_kernel_cudaERNS_18TensorIteratorBaseERKN3c106ScalarEENKUlvE_clEvENKUlvE_clEvEUlhE_EEvS4_RKT_EUlibE_EEviT1_.has_dyn_sized_stack, 0
	.set _ZN2at6native32elementwise_kernel_manual_unrollILi128ELi8EZNS0_22gpu_kernel_impl_nocastIZZZNS0_21clamp_max_kernel_cudaERNS_18TensorIteratorBaseERKN3c106ScalarEENKUlvE_clEvENKUlvE_clEvEUlhE_EEvS4_RKT_EUlibE_EEviT1_.has_recursion, 0
	.set _ZN2at6native32elementwise_kernel_manual_unrollILi128ELi8EZNS0_22gpu_kernel_impl_nocastIZZZNS0_21clamp_max_kernel_cudaERNS_18TensorIteratorBaseERKN3c106ScalarEENKUlvE_clEvENKUlvE_clEvEUlhE_EEvS4_RKT_EUlibE_EEviT1_.has_indirect_call, 0
	.section	.AMDGPU.csdata,"",@progbits
; Kernel info:
; codeLenInByte = 11544
; TotalNumSgprs: 67
; NumVgprs: 33
; NumAgprs: 0
; TotalNumVgprs: 33
; ScratchSize: 0
; MemoryBound: 0
; FloatMode: 240
; IeeeMode: 1
; LDSByteSize: 0 bytes/workgroup (compile time only)
; SGPRBlocks: 8
; VGPRBlocks: 4
; NumSGPRsForWavesPerEU: 67
; NumVGPRsForWavesPerEU: 33
; AccumOffset: 36
; Occupancy: 8
; WaveLimiterHint : 1
; COMPUTE_PGM_RSRC2:SCRATCH_EN: 0
; COMPUTE_PGM_RSRC2:USER_SGPR: 2
; COMPUTE_PGM_RSRC2:TRAP_HANDLER: 0
; COMPUTE_PGM_RSRC2:TGID_X_EN: 1
; COMPUTE_PGM_RSRC2:TGID_Y_EN: 0
; COMPUTE_PGM_RSRC2:TGID_Z_EN: 0
; COMPUTE_PGM_RSRC2:TIDIG_COMP_CNT: 0
; COMPUTE_PGM_RSRC3_GFX90A:ACCUM_OFFSET: 8
; COMPUTE_PGM_RSRC3_GFX90A:TG_SPLIT: 0
	.section	.text._ZN2at6native32elementwise_kernel_manual_unrollILi128ELi4EZNS0_15gpu_kernel_implIZZZNS0_21clamp_max_kernel_cudaERNS_18TensorIteratorBaseERKN3c106ScalarEENKUlvE_clEvENKUlvE_clEvEUlhE_EEvS4_RKT_EUlibE_EEviT1_,"axG",@progbits,_ZN2at6native32elementwise_kernel_manual_unrollILi128ELi4EZNS0_15gpu_kernel_implIZZZNS0_21clamp_max_kernel_cudaERNS_18TensorIteratorBaseERKN3c106ScalarEENKUlvE_clEvENKUlvE_clEvEUlhE_EEvS4_RKT_EUlibE_EEviT1_,comdat
	.globl	_ZN2at6native32elementwise_kernel_manual_unrollILi128ELi4EZNS0_15gpu_kernel_implIZZZNS0_21clamp_max_kernel_cudaERNS_18TensorIteratorBaseERKN3c106ScalarEENKUlvE_clEvENKUlvE_clEvEUlhE_EEvS4_RKT_EUlibE_EEviT1_ ; -- Begin function _ZN2at6native32elementwise_kernel_manual_unrollILi128ELi4EZNS0_15gpu_kernel_implIZZZNS0_21clamp_max_kernel_cudaERNS_18TensorIteratorBaseERKN3c106ScalarEENKUlvE_clEvENKUlvE_clEvEUlhE_EEvS4_RKT_EUlibE_EEviT1_
	.p2align	8
	.type	_ZN2at6native32elementwise_kernel_manual_unrollILi128ELi4EZNS0_15gpu_kernel_implIZZZNS0_21clamp_max_kernel_cudaERNS_18TensorIteratorBaseERKN3c106ScalarEENKUlvE_clEvENKUlvE_clEvEUlhE_EEvS4_RKT_EUlibE_EEviT1_,@function
_ZN2at6native32elementwise_kernel_manual_unrollILi128ELi4EZNS0_15gpu_kernel_implIZZZNS0_21clamp_max_kernel_cudaERNS_18TensorIteratorBaseERKN3c106ScalarEENKUlvE_clEvENKUlvE_clEvEUlhE_EEvS4_RKT_EUlibE_EEviT1_: ; @_ZN2at6native32elementwise_kernel_manual_unrollILi128ELi4EZNS0_15gpu_kernel_implIZZZNS0_21clamp_max_kernel_cudaERNS_18TensorIteratorBaseERKN3c106ScalarEENKUlvE_clEvENKUlvE_clEvEUlhE_EEvS4_RKT_EUlibE_EEviT1_
; %bb.0:
	s_load_dword s33, s[0:1], 0x20
	s_load_dwordx2 s[8:9], s[0:1], 0x18
	s_load_dword s38, s[0:1], 0x0
	s_load_dwordx4 s[4:7], s[0:1], 0x8
	v_lshl_or_b32 v10, s2, 9, v0
	v_or_b32_e32 v0, 0x180, v10
	s_waitcnt lgkmcnt(0)
	s_lshr_b32 s42, s33, 8
	s_lshr_b32 s43, s33, 16
	v_cmp_le_i32_e32 vcc, s38, v0
	s_mov_b64 s[2:3], 0
	s_mov_b64 s[12:13], 0
	s_and_saveexec_b64 s[0:1], vcc
	s_xor_b64 s[10:11], exec, s[0:1]
	s_cbranch_execz .LBB424_1011
; %bb.1:
	v_cmp_gt_i32_e32 vcc, s38, v10
	s_mov_b64 s[18:19], -1
	s_mov_b64 s[20:21], 0
	s_mov_b64 s[14:15], 0
	s_and_saveexec_b64 s[16:17], vcc
	s_cbranch_execz .LBB424_248
; %bb.2:
	v_mul_lo_u32 v0, v10, s9
	v_ashrrev_i32_e32 v1, 31, v0
	s_and_b32 s18, s43, 0xff
	s_cmp_lt_i32 s18, 11
	v_lshl_add_u64 v[0:1], s[6:7], 0, v[0:1]
	s_cbranch_scc1 .LBB424_9
; %bb.3:
	s_and_b32 s19, 0xffff, s18
	s_cmp_gt_i32 s19, 25
	s_cbranch_scc0 .LBB424_18
; %bb.4:
	s_cmp_gt_i32 s19, 28
	s_cbranch_scc0 .LBB424_22
; %bb.5:
	;; [unrolled: 3-line block ×4, first 2 shown]
	s_cmp_eq_u32 s19, 46
	s_cbranch_scc0 .LBB424_28
; %bb.8:
	global_load_dword v2, v[0:1], off
	s_mov_b32 s0, 0x2f800000
	s_mov_b32 s1, 0xcf800000
	s_waitcnt vmcnt(0)
	v_lshlrev_b32_e32 v2, 16, v2
	v_trunc_f32_e32 v2, v2
	v_mul_f32_e64 v3, |v2|, s0
	v_floor_f32_e32 v3, v3
	v_fma_f32 v3, v3, s1, |v2|
	v_cvt_u32_f32_e32 v3, v3
	v_ashrrev_i32_e32 v2, 31, v2
	s_mov_b64 s[0:1], -1
	v_xor_b32_e32 v3, v3, v2
	v_sub_u32_e32 v2, v3, v2
	s_branch .LBB424_30
.LBB424_9:
                                        ; implicit-def: $vgpr2
	s_mov_b64 s[0:1], 0
	s_cbranch_execnz .LBB424_199
.LBB424_10:
	s_andn2_b64 vcc, exec, s[0:1]
	s_cbranch_vccnz .LBB424_246
.LBB424_11:
	s_and_b32 s0, s33, 0xff
	s_waitcnt vmcnt(0)
	v_min_u16_sdwa v0, v2, s0 dst_sel:DWORD dst_unused:UNUSED_PAD src0_sel:BYTE_0 src1_sel:DWORD
	v_mul_lo_u32 v2, v10, s8
	v_ashrrev_i32_e32 v3, 31, v2
	s_and_b32 s24, s42, 0xff
	s_cmp_lt_i32 s24, 11
	v_lshl_add_u64 v[2:3], s[4:5], 0, v[2:3]
	s_cbranch_scc1 .LBB424_19
; %bb.12:
	s_and_b32 s25, 0xffff, s24
	s_cmp_gt_i32 s25, 25
	s_cbranch_scc0 .LBB424_23
; %bb.13:
	s_cmp_gt_i32 s25, 28
	s_cbranch_scc0 .LBB424_25
; %bb.14:
	;; [unrolled: 3-line block ×4, first 2 shown]
	s_mov_b64 s[18:19], 0
	s_mov_b64 s[0:1], -1
	s_cmp_eq_u32 s25, 46
	s_mov_b64 s[12:13], 0
	s_cbranch_scc0 .LBB424_34
; %bb.17:
	v_cvt_f32_ubyte0_e32 v1, v0
	v_bfe_u32 v4, v1, 16, 1
	s_movk_i32 s0, 0x7fff
	v_add3_u32 v1, v1, v4, s0
	v_lshrrev_b32_e32 v1, 16, v1
	global_store_dword v[2:3], v1, off
	s_mov_b64 s[12:13], -1
	s_mov_b64 s[0:1], 0
	s_branch .LBB424_34
.LBB424_18:
	s_mov_b64 s[0:1], 0
                                        ; implicit-def: $vgpr2
	s_cbranch_execnz .LBB424_166
	s_branch .LBB424_198
.LBB424_19:
	s_mov_b64 s[0:1], 0
	s_mov_b64 s[12:13], 0
	s_cbranch_execnz .LBB424_103
.LBB424_20:
	s_andn2_b64 vcc, exec, s[12:13]
	s_cbranch_vccnz .LBB424_141
.LBB424_21:
	v_add_u32_e32 v10, 0x80, v10
	s_mov_b64 s[18:19], -1
	s_branch .LBB424_247
.LBB424_22:
	s_mov_b64 s[12:13], -1
	s_mov_b64 s[0:1], 0
                                        ; implicit-def: $vgpr2
	s_branch .LBB424_149
.LBB424_23:
	s_mov_b64 s[18:19], -1
	s_mov_b64 s[0:1], 0
	s_mov_b64 s[12:13], 0
	s_branch .LBB424_61
.LBB424_24:
	s_mov_b64 s[12:13], -1
	s_mov_b64 s[0:1], 0
                                        ; implicit-def: $vgpr2
	s_branch .LBB424_144
.LBB424_25:
	s_mov_b64 s[18:19], -1
	s_mov_b64 s[0:1], 0
	s_mov_b64 s[12:13], 0
	s_branch .LBB424_44
.LBB424_26:
	s_mov_b64 s[12:13], -1
	s_branch .LBB424_29
.LBB424_27:
	s_mov_b64 s[18:19], -1
	s_mov_b64 s[0:1], 0
	s_mov_b64 s[12:13], 0
	s_branch .LBB424_40
.LBB424_28:
	s_mov_b64 s[14:15], -1
.LBB424_29:
	s_mov_b64 s[0:1], 0
                                        ; implicit-def: $vgpr2
.LBB424_30:
	s_and_b64 vcc, exec, s[12:13]
	s_cbranch_vccz .LBB424_143
; %bb.31:
	s_cmp_eq_u32 s19, 44
	s_cbranch_scc0 .LBB424_142
; %bb.32:
	global_load_ubyte v2, v[0:1], off
	s_mov_b32 s0, 0x2f800000
	s_mov_b32 s1, 0xcf800000
	s_mov_b64 s[14:15], 0
	s_waitcnt vmcnt(0)
	v_lshlrev_b32_e32 v3, 23, v2
	v_trunc_f32_e32 v3, v3
	v_mul_f32_e64 v4, |v3|, s0
	v_floor_f32_e32 v4, v4
	v_fma_f32 v4, v4, s1, |v3|
	v_cvt_u32_f32_e32 v4, v4
	v_ashrrev_i32_e32 v3, 31, v3
	v_cmp_ne_u32_e32 vcc, 0, v2
	s_mov_b64 s[0:1], -1
	v_xor_b32_e32 v4, v4, v3
	v_sub_u32_e32 v3, v4, v3
	v_cndmask_b32_e32 v2, 0, v3, vcc
	s_branch .LBB424_143
.LBB424_33:
	s_mov_b64 s[18:19], -1
	s_mov_b64 s[0:1], 0
	s_mov_b64 s[12:13], 0
.LBB424_34:
	s_and_b64 vcc, exec, s[18:19]
	s_cbranch_vccz .LBB424_39
; %bb.35:
	s_cmp_eq_u32 s25, 44
	s_mov_b64 s[0:1], -1
	s_cbranch_scc0 .LBB424_39
; %bb.36:
	v_cvt_f32_ubyte0_e32 v4, v0
	v_lshrrev_b32_e32 v1, 23, v4
	s_movk_i32 s0, 0xff
	v_cmp_ne_u32_e32 vcc, s0, v1
	v_mov_b32_e32 v5, 0xff
	s_and_saveexec_b64 s[12:13], vcc
; %bb.37:
	s_mov_b32 s0, 0x3fffff
	v_and_b32_e32 v5, 0x400000, v4
	v_and_or_b32 v4, v4, s0, v1
	v_cmp_ne_u32_e32 vcc, 0, v5
	v_cmp_ne_u32_e64 s[0:1], 0, v4
	s_and_b64 s[0:1], vcc, s[0:1]
	s_nop 0
	v_cndmask_b32_e64 v4, 0, 1, s[0:1]
	v_add_u32_e32 v5, v1, v4
; %bb.38:
	s_or_b64 exec, exec, s[12:13]
	s_mov_b64 s[12:13], -1
	s_mov_b64 s[0:1], 0
	global_store_byte v[2:3], v5, off
.LBB424_39:
	s_mov_b64 s[18:19], 0
.LBB424_40:
	s_and_b64 vcc, exec, s[18:19]
	s_cbranch_vccz .LBB424_43
; %bb.41:
	s_cmp_eq_u32 s25, 29
	s_mov_b64 s[0:1], -1
	s_cbranch_scc0 .LBB424_43
; %bb.42:
	s_mov_b32 s0, 0
	v_mov_b32_e32 v1, s0
	global_store_dwordx2 v[2:3], v[0:1], off
	s_mov_b64 s[12:13], -1
	s_mov_b64 s[0:1], 0
.LBB424_43:
	s_mov_b64 s[18:19], 0
.LBB424_44:
	s_and_b64 vcc, exec, s[18:19]
	s_cbranch_vccz .LBB424_60
; %bb.45:
	s_cmp_lt_i32 s25, 27
	s_mov_b64 s[12:13], -1
	s_cbranch_scc1 .LBB424_51
; %bb.46:
	s_cmp_gt_i32 s25, 27
	s_cbranch_scc0 .LBB424_48
; %bb.47:
	s_mov_b64 s[12:13], 0
	global_store_dword v[2:3], v0, off
.LBB424_48:
	s_andn2_b64 vcc, exec, s[12:13]
	s_cbranch_vccnz .LBB424_50
; %bb.49:
	global_store_short v[2:3], v0, off
.LBB424_50:
	s_mov_b64 s[12:13], 0
.LBB424_51:
	s_andn2_b64 vcc, exec, s[12:13]
	s_cbranch_vccnz .LBB424_59
; %bb.52:
	v_cvt_f32_ubyte0_e32 v4, v0
	s_mov_b32 s12, 0x43800000
	v_cmp_gt_u32_e32 vcc, s12, v4
	v_mov_b32_e32 v5, 0x80
	s_and_saveexec_b64 s[12:13], vcc
	s_cbranch_execz .LBB424_58
; %bb.53:
	s_mov_b32 s18, 0x3bffffff
	v_cmp_lt_u32_e32 vcc, s18, v4
	s_mov_b64 s[18:19], 0
                                        ; implicit-def: $vgpr1
	s_and_saveexec_b64 s[22:23], vcc
	s_xor_b64 s[22:23], exec, s[22:23]
	s_cbranch_execz .LBB424_275
; %bb.54:
	v_bfe_u32 v1, v4, 20, 1
	s_mov_b32 s26, 0x487ffff
	v_add3_u32 v1, v4, v1, s26
	s_mov_b64 s[18:19], exec
	v_lshrrev_b32_e32 v1, 20, v1
                                        ; implicit-def: $vgpr4
	s_andn2_saveexec_b64 s[22:23], s[22:23]
	s_cbranch_execnz .LBB424_276
.LBB424_55:
	s_or_b64 exec, exec, s[22:23]
	v_mov_b32_e32 v5, 0
	s_and_saveexec_b64 s[22:23], s[18:19]
.LBB424_56:
	v_mov_b32_e32 v5, v1
.LBB424_57:
	s_or_b64 exec, exec, s[22:23]
.LBB424_58:
	s_or_b64 exec, exec, s[12:13]
	global_store_byte v[2:3], v5, off
.LBB424_59:
	s_mov_b64 s[12:13], -1
.LBB424_60:
	s_mov_b64 s[18:19], 0
.LBB424_61:
	s_and_b64 vcc, exec, s[18:19]
	s_cbranch_vccz .LBB424_102
; %bb.62:
	s_cmp_gt_i32 s25, 22
	s_mov_b64 s[18:19], -1
	s_cbranch_scc0 .LBB424_94
; %bb.63:
	s_cmp_lt_i32 s25, 24
	s_mov_b64 s[12:13], -1
	s_cbranch_scc1 .LBB424_83
; %bb.64:
	s_cmp_gt_i32 s25, 24
	s_cbranch_scc0 .LBB424_72
; %bb.65:
	v_cvt_f32_ubyte0_e32 v4, v0
	s_mov_b32 s12, 0x47800000
	v_cmp_gt_u32_e32 vcc, s12, v4
	v_mov_b32_e32 v5, 0x80
	s_and_saveexec_b64 s[12:13], vcc
	s_cbranch_execz .LBB424_71
; %bb.66:
	s_mov_b32 s18, 0x37ffffff
	v_cmp_lt_u32_e32 vcc, s18, v4
	s_mov_b64 s[18:19], 0
                                        ; implicit-def: $vgpr1
	s_and_saveexec_b64 s[22:23], vcc
	s_xor_b64 s[22:23], exec, s[22:23]
	s_cbranch_execz .LBB424_279
; %bb.67:
	v_bfe_u32 v1, v4, 21, 1
	s_mov_b32 s26, 0x88fffff
	v_add3_u32 v1, v4, v1, s26
	s_mov_b64 s[18:19], exec
	v_lshrrev_b32_e32 v1, 21, v1
                                        ; implicit-def: $vgpr4
	s_andn2_saveexec_b64 s[22:23], s[22:23]
	s_cbranch_execnz .LBB424_280
.LBB424_68:
	s_or_b64 exec, exec, s[22:23]
	v_mov_b32_e32 v5, 0
	s_and_saveexec_b64 s[22:23], s[18:19]
.LBB424_69:
	v_mov_b32_e32 v5, v1
.LBB424_70:
	s_or_b64 exec, exec, s[22:23]
.LBB424_71:
	s_or_b64 exec, exec, s[12:13]
	s_mov_b64 s[12:13], 0
	global_store_byte v[2:3], v5, off
.LBB424_72:
	s_and_b64 vcc, exec, s[12:13]
	s_cbranch_vccz .LBB424_82
; %bb.73:
	v_cvt_f32_ubyte0_e32 v1, v0
	s_mov_b32 s12, 0x43f00000
	v_cmp_gt_u32_e32 vcc, s12, v1
                                        ; implicit-def: $vgpr4
	s_and_saveexec_b64 s[12:13], vcc
	s_xor_b64 s[12:13], exec, s[12:13]
	s_cbranch_execz .LBB424_79
; %bb.74:
	s_mov_b32 s18, 0x3c7fffff
	v_cmp_lt_u32_e32 vcc, s18, v1
                                        ; implicit-def: $vgpr4
	s_and_saveexec_b64 s[18:19], vcc
	s_xor_b64 s[18:19], exec, s[18:19]
; %bb.75:
	v_bfe_u32 v4, v1, 20, 1
	s_mov_b32 s22, 0x407ffff
	v_add3_u32 v1, v1, v4, s22
	v_lshrrev_b32_e32 v4, 20, v1
	v_and_b32_e32 v1, 0xff00000, v1
	s_mov_b32 s22, 0x7f00000
	v_mov_b32_e32 v5, 0x7e
	v_cmp_ne_u32_e32 vcc, s22, v1
                                        ; implicit-def: $vgpr1
	s_nop 1
	v_cndmask_b32_e32 v4, v5, v4, vcc
; %bb.76:
	s_andn2_saveexec_b64 s[18:19], s[18:19]
; %bb.77:
	v_add_f32_e32 v4, 0x46800000, v1
; %bb.78:
	s_or_b64 exec, exec, s[18:19]
                                        ; implicit-def: $vgpr1
.LBB424_79:
	s_andn2_saveexec_b64 s[12:13], s[12:13]
; %bb.80:
	s_mov_b32 s18, 0x7f800000
	v_mov_b32_e32 v4, 0x7e
	v_mov_b32_e32 v5, 0x7f
	v_cmp_lt_u32_e32 vcc, s18, v1
	s_nop 1
	v_cndmask_b32_e32 v4, v4, v5, vcc
; %bb.81:
	s_or_b64 exec, exec, s[12:13]
	global_store_byte v[2:3], v4, off
.LBB424_82:
	s_mov_b64 s[12:13], 0
.LBB424_83:
	s_andn2_b64 vcc, exec, s[12:13]
	s_cbranch_vccnz .LBB424_93
; %bb.84:
	v_cvt_f32_ubyte0_e32 v1, v0
	s_mov_b32 s12, 0x47800000
	v_cmp_gt_u32_e32 vcc, s12, v1
                                        ; implicit-def: $vgpr4
	s_and_saveexec_b64 s[12:13], vcc
	s_xor_b64 s[12:13], exec, s[12:13]
	s_cbranch_execz .LBB424_90
; %bb.85:
	s_mov_b32 s18, 0x387fffff
	v_cmp_lt_u32_e32 vcc, s18, v1
                                        ; implicit-def: $vgpr4
	s_and_saveexec_b64 s[18:19], vcc
	s_xor_b64 s[18:19], exec, s[18:19]
; %bb.86:
	v_bfe_u32 v4, v1, 21, 1
	s_mov_b32 s22, 0x80fffff
	v_add3_u32 v1, v1, v4, s22
	v_lshrrev_b32_e32 v4, 21, v1
                                        ; implicit-def: $vgpr1
; %bb.87:
	s_andn2_saveexec_b64 s[18:19], s[18:19]
; %bb.88:
	v_add_f32_e32 v4, 0x43000000, v1
; %bb.89:
	s_or_b64 exec, exec, s[18:19]
                                        ; implicit-def: $vgpr1
.LBB424_90:
	s_andn2_saveexec_b64 s[12:13], s[12:13]
; %bb.91:
	s_mov_b32 s18, 0x7f800000
	v_mov_b32_e32 v4, 0x7c
	v_mov_b32_e32 v5, 0x7f
	v_cmp_lt_u32_e32 vcc, s18, v1
	s_nop 1
	v_cndmask_b32_e32 v4, v4, v5, vcc
; %bb.92:
	s_or_b64 exec, exec, s[12:13]
	global_store_byte v[2:3], v4, off
.LBB424_93:
	s_mov_b64 s[18:19], 0
	s_mov_b64 s[12:13], -1
.LBB424_94:
	s_andn2_b64 vcc, exec, s[18:19]
	s_cbranch_vccnz .LBB424_102
; %bb.95:
	s_cmp_gt_i32 s25, 14
	s_mov_b64 s[18:19], -1
	s_cbranch_scc0 .LBB424_99
; %bb.96:
	s_cmp_eq_u32 s25, 15
	s_mov_b64 s[0:1], -1
	s_cbranch_scc0 .LBB424_98
; %bb.97:
	v_cvt_f32_ubyte0_e32 v1, v0
	v_bfe_u32 v4, v1, 16, 1
	s_movk_i32 s0, 0x7fff
	v_add3_u32 v1, v1, v4, s0
	global_store_short_d16_hi v[2:3], v1, off
	s_mov_b64 s[12:13], -1
	s_mov_b64 s[0:1], 0
.LBB424_98:
	s_mov_b64 s[18:19], 0
.LBB424_99:
	s_and_b64 vcc, exec, s[18:19]
	s_cbranch_vccz .LBB424_102
; %bb.100:
	s_cmp_eq_u32 s25, 11
	s_mov_b64 s[0:1], -1
	s_cbranch_scc0 .LBB424_102
; %bb.101:
	v_cmp_ne_u16_e32 vcc, 0, v0
	s_mov_b64 s[12:13], -1
	s_mov_b64 s[0:1], 0
	v_cndmask_b32_e64 v1, 0, 1, vcc
	global_store_byte v[2:3], v1, off
.LBB424_102:
	s_branch .LBB424_20
.LBB424_103:
	s_and_b32 s18, 0xffff, s24
	s_cmp_lt_i32 s18, 5
	s_mov_b64 s[12:13], -1
	s_cbranch_scc1 .LBB424_124
; %bb.104:
	s_cmp_lt_i32 s18, 8
	s_cbranch_scc1 .LBB424_114
; %bb.105:
	s_cmp_lt_i32 s18, 9
	s_cbranch_scc1 .LBB424_111
; %bb.106:
	s_cmp_gt_i32 s18, 9
	s_cbranch_scc0 .LBB424_108
; %bb.107:
	v_mov_b32_e32 v6, 0
	v_cvt_f64_u32_e32 v[4:5], v0
	v_mov_b32_e32 v7, v6
	global_store_dwordx4 v[2:3], v[4:7], off
	s_mov_b64 s[12:13], 0
.LBB424_108:
	s_andn2_b64 vcc, exec, s[12:13]
	s_cbranch_vccnz .LBB424_110
; %bb.109:
	v_cvt_f32_ubyte0_e32 v4, v0
	v_mov_b32_e32 v5, 0
	global_store_dwordx2 v[2:3], v[4:5], off
.LBB424_110:
	s_mov_b64 s[12:13], 0
.LBB424_111:
	s_andn2_b64 vcc, exec, s[12:13]
	s_cbranch_vccnz .LBB424_113
; %bb.112:
	v_cvt_f16_u16_e32 v1, v0
	global_store_dword v[2:3], v1, off
.LBB424_113:
	s_mov_b64 s[12:13], 0
.LBB424_114:
	s_andn2_b64 vcc, exec, s[12:13]
	s_cbranch_vccnz .LBB424_123
; %bb.115:
	s_cmp_lt_i32 s18, 6
	s_mov_b64 s[12:13], -1
	s_cbranch_scc1 .LBB424_121
; %bb.116:
	s_cmp_gt_i32 s18, 6
	s_cbranch_scc0 .LBB424_118
; %bb.117:
	v_cvt_f64_u32_e32 v[4:5], v0
	global_store_dwordx2 v[2:3], v[4:5], off
	s_mov_b64 s[12:13], 0
.LBB424_118:
	s_andn2_b64 vcc, exec, s[12:13]
	s_cbranch_vccnz .LBB424_120
; %bb.119:
	v_cvt_f32_ubyte0_e32 v1, v0
	global_store_dword v[2:3], v1, off
.LBB424_120:
	s_mov_b64 s[12:13], 0
.LBB424_121:
	s_andn2_b64 vcc, exec, s[12:13]
	s_cbranch_vccnz .LBB424_123
; %bb.122:
	v_cvt_f16_u16_e32 v1, v0
	global_store_short v[2:3], v1, off
.LBB424_123:
	s_mov_b64 s[12:13], 0
.LBB424_124:
	s_andn2_b64 vcc, exec, s[12:13]
	s_cbranch_vccnz .LBB424_140
; %bb.125:
	s_cmp_lt_i32 s18, 2
	s_mov_b64 s[12:13], -1
	s_cbranch_scc1 .LBB424_135
; %bb.126:
	s_cmp_lt_i32 s18, 3
	s_cbranch_scc1 .LBB424_132
; %bb.127:
	s_cmp_gt_i32 s18, 3
	s_cbranch_scc0 .LBB424_129
; %bb.128:
	s_mov_b32 s12, 0
	v_mov_b32_e32 v1, s12
	global_store_dwordx2 v[2:3], v[0:1], off
	s_mov_b64 s[12:13], 0
.LBB424_129:
	s_andn2_b64 vcc, exec, s[12:13]
	s_cbranch_vccnz .LBB424_131
; %bb.130:
	global_store_dword v[2:3], v0, off
.LBB424_131:
	s_mov_b64 s[12:13], 0
.LBB424_132:
	s_andn2_b64 vcc, exec, s[12:13]
	s_cbranch_vccnz .LBB424_134
; %bb.133:
	global_store_short v[2:3], v0, off
.LBB424_134:
	s_mov_b64 s[12:13], 0
.LBB424_135:
	s_andn2_b64 vcc, exec, s[12:13]
	s_cbranch_vccnz .LBB424_140
; %bb.136:
	s_cmp_gt_i32 s18, 0
	s_mov_b64 s[12:13], -1
	s_cbranch_scc0 .LBB424_138
; %bb.137:
	global_store_byte v[2:3], v0, off
	s_mov_b64 s[12:13], 0
.LBB424_138:
	s_andn2_b64 vcc, exec, s[12:13]
	s_cbranch_vccnz .LBB424_140
; %bb.139:
	global_store_byte v[2:3], v0, off
.LBB424_140:
	s_branch .LBB424_21
.LBB424_141:
	s_mov_b64 s[18:19], 0
                                        ; implicit-def: $vgpr10
	s_branch .LBB424_247
.LBB424_142:
	s_mov_b64 s[14:15], -1
                                        ; implicit-def: $vgpr2
.LBB424_143:
	s_mov_b64 s[12:13], 0
.LBB424_144:
	s_and_b64 vcc, exec, s[12:13]
	s_cbranch_vccz .LBB424_148
; %bb.145:
	s_cmp_eq_u32 s19, 29
	s_cbranch_scc0 .LBB424_147
; %bb.146:
	global_load_dwordx2 v[2:3], v[0:1], off
	s_mov_b64 s[0:1], -1
	s_mov_b64 s[14:15], 0
	s_branch .LBB424_148
.LBB424_147:
	s_mov_b64 s[14:15], -1
                                        ; implicit-def: $vgpr2
.LBB424_148:
	s_mov_b64 s[12:13], 0
.LBB424_149:
	s_and_b64 vcc, exec, s[12:13]
	s_cbranch_vccz .LBB424_165
; %bb.150:
	s_cmp_lt_i32 s19, 27
	s_cbranch_scc1 .LBB424_153
; %bb.151:
	s_cmp_gt_i32 s19, 27
	s_cbranch_scc0 .LBB424_154
; %bb.152:
	global_load_dword v2, v[0:1], off
	s_mov_b64 s[0:1], 0
	s_branch .LBB424_155
.LBB424_153:
	s_mov_b64 s[0:1], -1
                                        ; implicit-def: $vgpr2
	s_branch .LBB424_158
.LBB424_154:
	s_mov_b64 s[0:1], -1
                                        ; implicit-def: $vgpr2
.LBB424_155:
	s_andn2_b64 vcc, exec, s[0:1]
	s_cbranch_vccnz .LBB424_157
; %bb.156:
	global_load_ushort v2, v[0:1], off
.LBB424_157:
	s_mov_b64 s[0:1], 0
.LBB424_158:
	s_andn2_b64 vcc, exec, s[0:1]
	s_cbranch_vccnz .LBB424_164
; %bb.159:
	global_load_ubyte v3, v[0:1], off
	s_movk_i32 s0, 0x7f
	s_mov_b64 s[12:13], 0
	s_waitcnt vmcnt(0)
	v_cmp_lt_i16_e32 vcc, s0, v3
	s_and_saveexec_b64 s[0:1], vcc
	s_xor_b64 s[0:1], exec, s[0:1]
	s_cbranch_execz .LBB424_175
; %bb.160:
	s_movk_i32 s12, 0x80
	v_cmp_ne_u16_e32 vcc, s12, v3
	s_and_b64 s[12:13], vcc, exec
	s_andn2_saveexec_b64 s[0:1], s[0:1]
	s_cbranch_execnz .LBB424_176
.LBB424_161:
	s_or_b64 exec, exec, s[0:1]
	v_mov_b32_e32 v2, 0
	s_and_saveexec_b64 s[0:1], s[12:13]
	s_cbranch_execz .LBB424_163
.LBB424_162:
	v_lshlrev_b32_e32 v2, 24, v3
	v_and_b32_e32 v3, 0xffff, v3
	v_and_b32_e32 v4, 7, v3
	v_ffbh_u32_e32 v6, v4
	v_min_u32_e32 v6, 32, v6
	v_subrev_u32_e32 v7, 28, v6
	v_bfe_u32 v5, v3, 3, 4
	v_lshlrev_b32_e32 v3, v7, v3
	v_sub_u32_e32 v6, 29, v6
	v_and_b32_e32 v3, 7, v3
	v_cmp_eq_u32_e32 vcc, 0, v5
	v_and_b32_e32 v2, 0x80000000, v2
	s_mov_b32 s12, 0x2f800000
	v_cndmask_b32_e32 v5, v5, v6, vcc
	v_cndmask_b32_e32 v3, v4, v3, vcc
	v_mov_b32_e32 v4, 0x3b800000
	v_lshlrev_b32_e32 v3, 20, v3
	v_lshl_add_u32 v4, v5, 23, v4
	v_or3_b32 v2, v2, v4, v3
	v_trunc_f32_e32 v2, v2
	v_mul_f32_e64 v3, |v2|, s12
	v_floor_f32_e32 v3, v3
	s_mov_b32 s12, 0xcf800000
	v_fma_f32 v3, v3, s12, |v2|
	v_cvt_u32_f32_e32 v3, v3
	v_ashrrev_i32_e32 v2, 31, v2
	v_xor_b32_e32 v3, v3, v2
	v_sub_u32_e32 v2, v3, v2
.LBB424_163:
	s_or_b64 exec, exec, s[0:1]
.LBB424_164:
	s_mov_b64 s[0:1], -1
.LBB424_165:
	s_branch .LBB424_198
.LBB424_166:
	s_cmp_gt_i32 s19, 22
	s_cbranch_scc0 .LBB424_174
; %bb.167:
	s_cmp_lt_i32 s19, 24
	s_cbranch_scc1 .LBB424_177
; %bb.168:
	s_cmp_gt_i32 s19, 24
	s_cbranch_scc0 .LBB424_178
; %bb.169:
	global_load_ubyte v3, v[0:1], off
	s_movk_i32 s0, 0x7f
	s_mov_b64 s[12:13], 0
	s_waitcnt vmcnt(0)
	v_cmp_lt_i16_e32 vcc, s0, v3
	s_and_saveexec_b64 s[0:1], vcc
	s_xor_b64 s[0:1], exec, s[0:1]
	s_cbranch_execz .LBB424_190
; %bb.170:
	s_movk_i32 s12, 0x80
	v_cmp_ne_u16_e32 vcc, s12, v3
	s_and_b64 s[12:13], vcc, exec
	s_andn2_saveexec_b64 s[0:1], s[0:1]
	s_cbranch_execnz .LBB424_191
.LBB424_171:
	s_or_b64 exec, exec, s[0:1]
	v_mov_b32_e32 v2, 0
	s_and_saveexec_b64 s[0:1], s[12:13]
	s_cbranch_execz .LBB424_173
.LBB424_172:
	v_lshlrev_b32_e32 v2, 24, v3
	v_and_b32_e32 v3, 0xffff, v3
	v_and_b32_e32 v4, 3, v3
	v_ffbh_u32_e32 v6, v4
	v_min_u32_e32 v6, 32, v6
	v_subrev_u32_e32 v7, 29, v6
	v_bfe_u32 v5, v3, 2, 5
	v_lshlrev_b32_e32 v3, v7, v3
	v_sub_u32_e32 v6, 30, v6
	v_and_b32_e32 v3, 3, v3
	v_cmp_eq_u32_e32 vcc, 0, v5
	v_and_b32_e32 v2, 0x80000000, v2
	s_mov_b32 s12, 0x2f800000
	v_cndmask_b32_e32 v5, v5, v6, vcc
	v_cndmask_b32_e32 v3, v4, v3, vcc
	v_mov_b32_e32 v4, 0x37800000
	v_lshlrev_b32_e32 v3, 21, v3
	v_lshl_add_u32 v4, v5, 23, v4
	v_or3_b32 v2, v2, v4, v3
	v_trunc_f32_e32 v2, v2
	v_mul_f32_e64 v3, |v2|, s12
	v_floor_f32_e32 v3, v3
	s_mov_b32 s12, 0xcf800000
	v_fma_f32 v3, v3, s12, |v2|
	v_cvt_u32_f32_e32 v3, v3
	v_ashrrev_i32_e32 v2, 31, v2
	v_xor_b32_e32 v3, v3, v2
	v_sub_u32_e32 v2, v3, v2
.LBB424_173:
	s_or_b64 exec, exec, s[0:1]
	s_mov_b64 s[0:1], 0
	s_branch .LBB424_179
.LBB424_174:
	s_mov_b64 s[12:13], -1
                                        ; implicit-def: $vgpr2
	s_branch .LBB424_185
.LBB424_175:
	s_andn2_saveexec_b64 s[0:1], s[0:1]
	s_cbranch_execz .LBB424_161
.LBB424_176:
	v_cmp_ne_u16_e32 vcc, 0, v3
	s_andn2_b64 s[12:13], s[12:13], exec
	s_and_b64 s[22:23], vcc, exec
	s_or_b64 s[12:13], s[12:13], s[22:23]
	s_or_b64 exec, exec, s[0:1]
	v_mov_b32_e32 v2, 0
	s_and_saveexec_b64 s[0:1], s[12:13]
	s_cbranch_execnz .LBB424_162
	s_branch .LBB424_163
.LBB424_177:
	s_mov_b64 s[0:1], -1
                                        ; implicit-def: $vgpr2
	s_branch .LBB424_182
.LBB424_178:
	s_mov_b64 s[0:1], -1
                                        ; implicit-def: $vgpr2
.LBB424_179:
	s_and_b64 vcc, exec, s[0:1]
	s_cbranch_vccz .LBB424_181
; %bb.180:
	global_load_ubyte v2, v[0:1], off
	s_mov_b32 s0, 0x7f800000
	s_brev_b32 s1, 1
	s_mov_b32 s12, 0x2f800000
	s_waitcnt vmcnt(0)
	v_lshlrev_b32_e32 v2, 24, v2
	v_and_b32_e32 v3, 0x7f000000, v2
	v_ffbh_u32_e32 v4, v3
	v_min_u32_e32 v4, 32, v4
	v_sub_u32_e64 v4, v4, 4 clamp
	v_lshlrev_b32_e32 v6, v4, v3
	v_lshlrev_b32_e32 v4, 23, v4
	v_lshrrev_b32_e32 v6, 4, v6
	v_add_u32_e32 v5, 0x1000000, v3
	v_sub_u32_e32 v4, v6, v4
	v_ashrrev_i32_e32 v5, 8, v5
	v_add_u32_e32 v4, 0x3c000000, v4
	v_and_or_b32 v4, v5, s0, v4
	v_cmp_ne_u32_e32 vcc, 0, v3
	s_mov_b32 s0, 0xcf800000
	s_nop 0
	v_cndmask_b32_e32 v3, 0, v4, vcc
	v_and_or_b32 v2, v2, s1, v3
	v_trunc_f32_e32 v2, v2
	v_mul_f32_e64 v3, |v2|, s12
	v_floor_f32_e32 v3, v3
	v_fma_f32 v3, v3, s0, |v2|
	v_cvt_u32_f32_e32 v3, v3
	v_ashrrev_i32_e32 v2, 31, v2
	v_xor_b32_e32 v3, v3, v2
	v_sub_u32_e32 v2, v3, v2
.LBB424_181:
	s_mov_b64 s[0:1], 0
.LBB424_182:
	s_andn2_b64 vcc, exec, s[0:1]
	s_cbranch_vccnz .LBB424_184
; %bb.183:
	global_load_ubyte v2, v[0:1], off
	s_movk_i32 s0, 0x7f00
	s_brev_b32 s1, 16
	s_brev_b32 s12, 1
	s_mov_b32 s13, 0x2f800000
	s_waitcnt vmcnt(0)
	v_lshlrev_b16_e32 v3, 8, v2
	v_lshlrev_b32_e32 v2, 25, v2
	v_lshrrev_b32_e32 v4, 4, v2
	v_and_or_b32 v5, v3, s0, 0.5
	v_or_b32_e32 v4, 0x70000000, v4
	v_add_f32_e32 v5, -0.5, v5
	v_mul_f32_e32 v4, 0x7800000, v4
	v_cmp_gt_u32_e32 vcc, s1, v2
	v_bfe_i32 v3, v3, 0, 16
	s_mov_b32 s0, 0xcf800000
	v_cndmask_b32_e32 v2, v4, v5, vcc
	v_and_or_b32 v2, v3, s12, v2
	v_trunc_f32_e32 v2, v2
	v_mul_f32_e64 v3, |v2|, s13
	v_floor_f32_e32 v3, v3
	v_fma_f32 v3, v3, s0, |v2|
	v_cvt_u32_f32_e32 v3, v3
	v_ashrrev_i32_e32 v2, 31, v2
	v_xor_b32_e32 v3, v3, v2
	v_sub_u32_e32 v2, v3, v2
.LBB424_184:
	s_mov_b64 s[12:13], 0
	s_mov_b64 s[0:1], -1
.LBB424_185:
	s_andn2_b64 vcc, exec, s[12:13]
	s_cbranch_vccnz .LBB424_198
; %bb.186:
	s_cmp_gt_i32 s19, 14
	s_cbranch_scc0 .LBB424_189
; %bb.187:
	s_cmp_eq_u32 s19, 15
	s_cbranch_scc0 .LBB424_192
; %bb.188:
	global_load_ushort v2, v[0:1], off
	s_mov_b32 s0, 0x2f800000
	s_mov_b32 s1, 0xcf800000
	s_mov_b64 s[14:15], 0
	s_waitcnt vmcnt(0)
	v_lshlrev_b32_e32 v2, 16, v2
	v_trunc_f32_e32 v2, v2
	v_mul_f32_e64 v3, |v2|, s0
	v_floor_f32_e32 v3, v3
	v_fma_f32 v3, v3, s1, |v2|
	v_cvt_u32_f32_e32 v3, v3
	v_ashrrev_i32_e32 v2, 31, v2
	s_mov_b64 s[0:1], -1
	v_xor_b32_e32 v3, v3, v2
	v_sub_u32_e32 v2, v3, v2
	s_branch .LBB424_193
.LBB424_189:
	s_mov_b64 s[12:13], -1
                                        ; implicit-def: $vgpr2
	s_branch .LBB424_194
.LBB424_190:
	s_andn2_saveexec_b64 s[0:1], s[0:1]
	s_cbranch_execz .LBB424_171
.LBB424_191:
	v_cmp_ne_u16_e32 vcc, 0, v3
	s_andn2_b64 s[12:13], s[12:13], exec
	s_and_b64 s[22:23], vcc, exec
	s_or_b64 s[12:13], s[12:13], s[22:23]
	s_or_b64 exec, exec, s[0:1]
	v_mov_b32_e32 v2, 0
	s_and_saveexec_b64 s[0:1], s[12:13]
	s_cbranch_execnz .LBB424_172
	s_branch .LBB424_173
.LBB424_192:
	s_mov_b64 s[14:15], -1
                                        ; implicit-def: $vgpr2
.LBB424_193:
	s_mov_b64 s[12:13], 0
.LBB424_194:
	s_and_b64 vcc, exec, s[12:13]
	s_cbranch_vccz .LBB424_198
; %bb.195:
	s_cmp_eq_u32 s19, 11
	s_cbranch_scc0 .LBB424_197
; %bb.196:
	global_load_ubyte v2, v[0:1], off
	s_mov_b64 s[0:1], -1
	s_mov_b64 s[14:15], 0
	s_waitcnt vmcnt(0)
	v_cmp_ne_u16_e32 vcc, 0, v2
	s_nop 1
	v_cndmask_b32_e64 v2, 0, 1, vcc
	s_branch .LBB424_198
.LBB424_197:
	s_mov_b64 s[14:15], -1
                                        ; implicit-def: $vgpr2
.LBB424_198:
	s_branch .LBB424_10
.LBB424_199:
	s_and_b32 s12, 0xffff, s18
	s_cmp_lt_i32 s12, 5
	s_cbranch_scc1 .LBB424_204
; %bb.200:
	s_cmp_lt_i32 s12, 8
	s_cbranch_scc1 .LBB424_205
; %bb.201:
	;; [unrolled: 3-line block ×3, first 2 shown]
	s_cmp_gt_i32 s12, 9
	s_cbranch_scc0 .LBB424_207
; %bb.203:
	global_load_dwordx2 v[2:3], v[0:1], off
	s_movk_i32 s0, 0xffe0
	s_waitcnt vmcnt(0)
	v_trunc_f64_e32 v[2:3], v[2:3]
	v_ldexp_f64 v[4:5], v[2:3], s0
	v_floor_f64_e32 v[4:5], v[4:5]
	v_fmac_f64_e32 v[2:3], 0xc1f00000, v[4:5]
	v_cvt_u32_f64_e32 v2, v[2:3]
	s_mov_b64 s[0:1], 0
	s_branch .LBB424_208
.LBB424_204:
                                        ; implicit-def: $vgpr2
	s_branch .LBB424_226
.LBB424_205:
	s_mov_b64 s[0:1], -1
                                        ; implicit-def: $vgpr2
	s_branch .LBB424_214
.LBB424_206:
	s_mov_b64 s[0:1], -1
                                        ; implicit-def: $vgpr2
	s_branch .LBB424_211
.LBB424_207:
	s_mov_b64 s[0:1], -1
                                        ; implicit-def: $vgpr2
.LBB424_208:
	s_andn2_b64 vcc, exec, s[0:1]
	s_cbranch_vccnz .LBB424_210
; %bb.209:
	global_load_dword v2, v[0:1], off
	s_mov_b32 s0, 0x2f800000
	s_waitcnt vmcnt(0)
	v_trunc_f32_e32 v2, v2
	v_mul_f32_e64 v3, |v2|, s0
	v_floor_f32_e32 v3, v3
	s_mov_b32 s0, 0xcf800000
	v_fma_f32 v3, v3, s0, |v2|
	v_cvt_u32_f32_e32 v3, v3
	v_ashrrev_i32_e32 v2, 31, v2
	v_xor_b32_e32 v3, v3, v2
	v_sub_u32_e32 v2, v3, v2
.LBB424_210:
	s_mov_b64 s[0:1], 0
.LBB424_211:
	s_andn2_b64 vcc, exec, s[0:1]
	s_cbranch_vccnz .LBB424_213
; %bb.212:
	global_load_dword v2, v[0:1], off
	s_waitcnt vmcnt(0)
	v_cvt_f32_f16_e32 v2, v2
	v_cvt_i32_f32_e32 v2, v2
.LBB424_213:
	s_mov_b64 s[0:1], 0
.LBB424_214:
	s_andn2_b64 vcc, exec, s[0:1]
	s_cbranch_vccnz .LBB424_225
; %bb.215:
	s_cmp_lt_i32 s12, 6
	s_cbranch_scc1 .LBB424_218
; %bb.216:
	s_cmp_gt_i32 s12, 6
	s_cbranch_scc0 .LBB424_219
; %bb.217:
	global_load_dwordx2 v[2:3], v[0:1], off
	s_movk_i32 s0, 0xffe0
	s_waitcnt vmcnt(0)
	v_trunc_f64_e32 v[2:3], v[2:3]
	v_ldexp_f64 v[4:5], v[2:3], s0
	v_floor_f64_e32 v[4:5], v[4:5]
	v_fmac_f64_e32 v[2:3], 0xc1f00000, v[4:5]
	v_cvt_u32_f64_e32 v2, v[2:3]
	s_mov_b64 s[0:1], 0
	s_branch .LBB424_220
.LBB424_218:
	s_mov_b64 s[0:1], -1
                                        ; implicit-def: $vgpr2
	s_branch .LBB424_223
.LBB424_219:
	s_mov_b64 s[0:1], -1
                                        ; implicit-def: $vgpr2
.LBB424_220:
	s_andn2_b64 vcc, exec, s[0:1]
	s_cbranch_vccnz .LBB424_222
; %bb.221:
	global_load_dword v2, v[0:1], off
	s_mov_b32 s0, 0x2f800000
	s_waitcnt vmcnt(0)
	v_trunc_f32_e32 v2, v2
	v_mul_f32_e64 v3, |v2|, s0
	v_floor_f32_e32 v3, v3
	s_mov_b32 s0, 0xcf800000
	v_fma_f32 v3, v3, s0, |v2|
	v_cvt_u32_f32_e32 v3, v3
	v_ashrrev_i32_e32 v2, 31, v2
	v_xor_b32_e32 v3, v3, v2
	v_sub_u32_e32 v2, v3, v2
.LBB424_222:
	s_mov_b64 s[0:1], 0
.LBB424_223:
	s_andn2_b64 vcc, exec, s[0:1]
	s_cbranch_vccnz .LBB424_225
; %bb.224:
	global_load_ushort v2, v[0:1], off
	s_waitcnt vmcnt(0)
	v_cvt_f32_f16_e32 v2, v2
	v_cvt_i32_f32_e32 v2, v2
.LBB424_225:
	s_cbranch_execnz .LBB424_245
.LBB424_226:
	s_cmp_lt_i32 s12, 2
	s_cbranch_scc1 .LBB424_230
; %bb.227:
	s_cmp_lt_i32 s12, 3
	s_cbranch_scc1 .LBB424_231
; %bb.228:
	s_cmp_gt_i32 s12, 3
	s_cbranch_scc0 .LBB424_232
; %bb.229:
	global_load_dwordx2 v[2:3], v[0:1], off
	s_mov_b64 s[0:1], 0
	s_branch .LBB424_233
.LBB424_230:
	s_mov_b64 s[0:1], -1
                                        ; implicit-def: $vgpr2
	s_branch .LBB424_239
.LBB424_231:
	s_mov_b64 s[0:1], -1
                                        ; implicit-def: $vgpr2
	s_branch .LBB424_236
.LBB424_232:
	s_mov_b64 s[0:1], -1
                                        ; implicit-def: $vgpr2
.LBB424_233:
	s_andn2_b64 vcc, exec, s[0:1]
	s_cbranch_vccnz .LBB424_235
; %bb.234:
	global_load_dword v2, v[0:1], off
.LBB424_235:
	s_mov_b64 s[0:1], 0
.LBB424_236:
	s_andn2_b64 vcc, exec, s[0:1]
	s_cbranch_vccnz .LBB424_238
; %bb.237:
	global_load_ushort v2, v[0:1], off
.LBB424_238:
	s_mov_b64 s[0:1], 0
.LBB424_239:
	s_andn2_b64 vcc, exec, s[0:1]
	s_cbranch_vccnz .LBB424_245
; %bb.240:
	s_cmp_gt_i32 s12, 0
	s_cbranch_scc0 .LBB424_242
; %bb.241:
	global_load_ubyte v2, v[0:1], off
	s_mov_b64 s[0:1], 0
	s_branch .LBB424_243
.LBB424_242:
	s_mov_b64 s[0:1], -1
                                        ; implicit-def: $vgpr2
.LBB424_243:
	s_andn2_b64 vcc, exec, s[0:1]
	s_cbranch_vccnz .LBB424_245
; %bb.244:
	global_load_ubyte v2, v[0:1], off
.LBB424_245:
	s_branch .LBB424_11
.LBB424_246:
	s_mov_b64 s[0:1], 0
                                        ; implicit-def: $vgpr10
	s_mov_b64 s[18:19], 0
.LBB424_247:
	s_and_b64 s[12:13], s[0:1], exec
	s_and_b64 s[14:15], s[14:15], exec
	s_orn2_b64 s[18:19], s[18:19], exec
.LBB424_248:
	s_or_b64 exec, exec, s[16:17]
	s_mov_b64 s[22:23], 0
	s_mov_b64 s[0:1], 0
                                        ; implicit-def: $sgpr44
                                        ; implicit-def: $vgpr0_vgpr1
                                        ; implicit-def: $vgpr4
	s_and_saveexec_b64 s[16:17], s[18:19]
	s_cbranch_execz .LBB424_257
; %bb.249:
	v_cmp_gt_i32_e32 vcc, s38, v10
	s_mov_b64 s[0:1], -1
	s_mov_b64 s[18:19], s[14:15]
	s_mov_b64 s[20:21], s[12:13]
	s_and_saveexec_b64 s[22:23], vcc
	s_cbranch_execz .LBB424_505
; %bb.250:
	v_mul_lo_u32 v0, v10, s9
	v_ashrrev_i32_e32 v1, 31, v0
	s_and_b32 s24, s43, 0xff
	s_cmp_lt_i32 s24, 11
	v_lshl_add_u64 v[0:1], s[6:7], 0, v[0:1]
	s_cbranch_scc1 .LBB424_260
; %bb.251:
	s_and_b32 s25, 0xffff, s24
	s_cmp_gt_i32 s25, 25
	s_cbranch_scc0 .LBB424_269
; %bb.252:
	s_cmp_gt_i32 s25, 28
	s_cbranch_scc0 .LBB424_271
; %bb.253:
	;; [unrolled: 3-line block ×4, first 2 shown]
	s_cmp_eq_u32 s25, 46
	s_mov_b64 s[20:21], 0
	s_cbranch_scc0 .LBB424_281
; %bb.256:
	global_load_dword v2, v[0:1], off
	s_mov_b32 s0, 0x2f800000
	s_mov_b32 s1, 0xcf800000
	s_mov_b64 s[18:19], 0
	s_waitcnt vmcnt(0)
	v_lshlrev_b32_e32 v2, 16, v2
	v_trunc_f32_e32 v2, v2
	v_mul_f32_e64 v3, |v2|, s0
	v_floor_f32_e32 v3, v3
	v_fma_f32 v3, v3, s1, |v2|
	v_cvt_u32_f32_e32 v3, v3
	v_ashrrev_i32_e32 v2, 31, v2
	s_mov_b64 s[0:1], -1
	v_xor_b32_e32 v3, v3, v2
	v_sub_u32_e32 v2, v3, v2
	s_branch .LBB424_282
.LBB424_257:
	s_or_b64 exec, exec, s[16:17]
	s_mov_b64 s[16:17], 0
	s_and_saveexec_b64 s[18:19], s[14:15]
	s_cbranch_execnz .LBB424_843
.LBB424_258:
	s_or_b64 exec, exec, s[18:19]
	s_and_saveexec_b64 s[14:15], s[20:21]
	s_xor_b64 s[14:15], exec, s[14:15]
	s_cbranch_execz .LBB424_844
.LBB424_259:
	global_load_ubyte v2, v[0:1], off
	s_or_b64 s[0:1], s[0:1], exec
	s_waitcnt vmcnt(0)
	v_cmp_ne_u16_e32 vcc, 0, v2
	s_nop 1
	v_cndmask_b32_e64 v4, 0, 1, vcc
	s_or_b64 exec, exec, s[14:15]
	s_and_saveexec_b64 s[14:15], s[22:23]
	s_cbranch_execz .LBB424_890
	s_branch .LBB424_845
.LBB424_260:
	s_mov_b64 s[0:1], 0
                                        ; implicit-def: $vgpr2
	s_mov_b64 s[18:19], s[14:15]
	s_cbranch_execnz .LBB424_455
.LBB424_261:
	s_andn2_b64 vcc, exec, s[0:1]
	s_cbranch_vccnz .LBB424_503
.LBB424_262:
	s_and_b32 s0, s33, 0xff
	s_waitcnt vmcnt(0)
	v_min_u16_sdwa v0, v2, s0 dst_sel:DWORD dst_unused:UNUSED_PAD src0_sel:BYTE_0 src1_sel:DWORD
	v_mul_lo_u32 v2, v10, s8
	v_ashrrev_i32_e32 v3, 31, v2
	s_and_b32 s28, s42, 0xff
	s_cmp_lt_i32 s28, 11
	v_lshl_add_u64 v[2:3], s[4:5], 0, v[2:3]
	s_cbranch_scc1 .LBB424_270
; %bb.263:
	s_and_b32 s29, 0xffff, s28
	s_cmp_gt_i32 s29, 25
	s_cbranch_scc0 .LBB424_272
; %bb.264:
	s_cmp_gt_i32 s29, 28
	s_cbranch_scc0 .LBB424_274
; %bb.265:
	;; [unrolled: 3-line block ×4, first 2 shown]
	s_mov_b64 s[24:25], 0
	s_mov_b64 s[0:1], -1
	s_cmp_eq_u32 s29, 46
	s_mov_b64 s[20:21], 0
	s_cbranch_scc0 .LBB424_286
; %bb.268:
	v_cvt_f32_ubyte0_e32 v1, v0
	v_bfe_u32 v4, v1, 16, 1
	s_movk_i32 s0, 0x7fff
	v_add3_u32 v1, v1, v4, s0
	v_lshrrev_b32_e32 v1, 16, v1
	global_store_dword v[2:3], v1, off
	s_mov_b64 s[20:21], -1
	s_mov_b64 s[0:1], 0
	s_branch .LBB424_286
.LBB424_269:
	s_mov_b64 s[20:21], -1
	s_mov_b64 s[0:1], 0
	s_mov_b64 s[18:19], s[14:15]
                                        ; implicit-def: $vgpr2
	s_branch .LBB424_421
.LBB424_270:
	s_mov_b64 s[24:25], -1
	s_mov_b64 s[20:21], 0
	s_mov_b64 s[0:1], s[12:13]
	s_branch .LBB424_355
.LBB424_271:
	s_mov_b64 s[20:21], -1
	s_mov_b64 s[0:1], 0
	s_mov_b64 s[18:19], s[14:15]
                                        ; implicit-def: $vgpr2
	s_branch .LBB424_404
.LBB424_272:
	s_mov_b64 s[24:25], -1
	s_mov_b64 s[20:21], 0
	s_mov_b64 s[0:1], s[12:13]
	s_branch .LBB424_313
.LBB424_273:
	s_mov_b64 s[20:21], -1
	s_mov_b64 s[0:1], 0
	s_mov_b64 s[18:19], s[14:15]
                                        ; implicit-def: $vgpr2
	s_branch .LBB424_399
.LBB424_274:
	s_mov_b64 s[24:25], -1
	s_mov_b64 s[20:21], 0
	s_mov_b64 s[0:1], s[12:13]
	s_branch .LBB424_296
.LBB424_275:
	s_andn2_saveexec_b64 s[22:23], s[22:23]
	s_cbranch_execz .LBB424_55
.LBB424_276:
	v_add_f32_e32 v1, 0x46000000, v4
	v_and_b32_e32 v1, 0xff, v1
	v_cmp_ne_u32_e32 vcc, 0, v1
	s_andn2_b64 s[18:19], s[18:19], exec
	s_and_b64 s[26:27], vcc, exec
	s_or_b64 s[18:19], s[18:19], s[26:27]
	s_or_b64 exec, exec, s[22:23]
	v_mov_b32_e32 v5, 0
	s_and_saveexec_b64 s[22:23], s[18:19]
	s_cbranch_execnz .LBB424_56
	s_branch .LBB424_57
.LBB424_277:
	s_mov_b64 s[20:21], -1
	s_mov_b64 s[0:1], 0
	s_mov_b64 s[18:19], s[14:15]
                                        ; implicit-def: $vgpr2
	s_branch .LBB424_282
.LBB424_278:
	s_mov_b64 s[24:25], -1
	s_mov_b64 s[20:21], 0
	s_mov_b64 s[0:1], s[12:13]
	s_branch .LBB424_292
.LBB424_279:
	s_andn2_saveexec_b64 s[22:23], s[22:23]
	s_cbranch_execz .LBB424_68
.LBB424_280:
	v_add_f32_e32 v1, 0x42800000, v4
	v_and_b32_e32 v1, 0xff, v1
	v_cmp_ne_u32_e32 vcc, 0, v1
	s_andn2_b64 s[18:19], s[18:19], exec
	s_and_b64 s[26:27], vcc, exec
	s_or_b64 s[18:19], s[18:19], s[26:27]
	s_or_b64 exec, exec, s[22:23]
	v_mov_b32_e32 v5, 0
	s_and_saveexec_b64 s[22:23], s[18:19]
	s_cbranch_execnz .LBB424_69
	s_branch .LBB424_70
.LBB424_281:
	s_mov_b64 s[18:19], -1
                                        ; implicit-def: $vgpr2
	s_mov_b64 s[0:1], 0
.LBB424_282:
	s_and_b64 vcc, exec, s[20:21]
	s_cbranch_vccz .LBB424_398
; %bb.283:
	s_cmp_eq_u32 s25, 44
	s_cbranch_scc0 .LBB424_397
; %bb.284:
	global_load_ubyte v2, v[0:1], off
	s_mov_b32 s0, 0x2f800000
	s_mov_b32 s1, 0xcf800000
	s_mov_b64 s[18:19], 0
	s_waitcnt vmcnt(0)
	v_lshlrev_b32_e32 v3, 23, v2
	v_trunc_f32_e32 v3, v3
	v_mul_f32_e64 v4, |v3|, s0
	v_floor_f32_e32 v4, v4
	v_fma_f32 v4, v4, s1, |v3|
	v_cvt_u32_f32_e32 v4, v4
	v_ashrrev_i32_e32 v3, 31, v3
	v_cmp_ne_u32_e32 vcc, 0, v2
	s_mov_b64 s[0:1], -1
	v_xor_b32_e32 v4, v4, v3
	v_sub_u32_e32 v3, v4, v3
	v_cndmask_b32_e32 v2, 0, v3, vcc
	s_branch .LBB424_398
.LBB424_285:
	s_mov_b64 s[24:25], -1
	s_mov_b64 s[20:21], 0
	s_mov_b64 s[0:1], s[12:13]
.LBB424_286:
	s_and_b64 vcc, exec, s[24:25]
	s_cbranch_vccz .LBB424_291
; %bb.287:
	s_cmp_eq_u32 s29, 44
	s_mov_b64 s[0:1], -1
	s_cbranch_scc0 .LBB424_291
; %bb.288:
	v_cvt_f32_ubyte0_e32 v4, v0
	v_lshrrev_b32_e32 v1, 23, v4
	s_movk_i32 s0, 0xff
	v_cmp_ne_u32_e32 vcc, s0, v1
	v_mov_b32_e32 v5, 0xff
	s_and_saveexec_b64 s[20:21], vcc
; %bb.289:
	s_mov_b32 s0, 0x3fffff
	v_and_b32_e32 v5, 0x400000, v4
	v_and_or_b32 v4, v4, s0, v1
	v_cmp_ne_u32_e32 vcc, 0, v5
	v_cmp_ne_u32_e64 s[0:1], 0, v4
	s_and_b64 s[0:1], vcc, s[0:1]
	s_nop 0
	v_cndmask_b32_e64 v4, 0, 1, s[0:1]
	v_add_u32_e32 v5, v1, v4
; %bb.290:
	s_or_b64 exec, exec, s[20:21]
	s_mov_b64 s[20:21], -1
	s_mov_b64 s[0:1], 0
	global_store_byte v[2:3], v5, off
.LBB424_291:
	s_mov_b64 s[24:25], 0
.LBB424_292:
	s_and_b64 vcc, exec, s[24:25]
	s_cbranch_vccz .LBB424_295
; %bb.293:
	s_cmp_eq_u32 s29, 29
	s_mov_b64 s[0:1], -1
	s_cbranch_scc0 .LBB424_295
; %bb.294:
	s_mov_b32 s0, 0
	v_mov_b32_e32 v1, s0
	global_store_dwordx2 v[2:3], v[0:1], off
	s_mov_b64 s[20:21], -1
	s_mov_b64 s[0:1], 0
.LBB424_295:
	s_mov_b64 s[24:25], 0
.LBB424_296:
	s_and_b64 vcc, exec, s[24:25]
	s_cbranch_vccz .LBB424_312
; %bb.297:
	s_cmp_lt_i32 s29, 27
	s_mov_b64 s[20:21], -1
	s_cbranch_scc1 .LBB424_303
; %bb.298:
	s_cmp_gt_i32 s29, 27
	s_cbranch_scc0 .LBB424_300
; %bb.299:
	s_mov_b64 s[20:21], 0
	global_store_dword v[2:3], v0, off
.LBB424_300:
	s_andn2_b64 vcc, exec, s[20:21]
	s_cbranch_vccnz .LBB424_302
; %bb.301:
	global_store_short v[2:3], v0, off
.LBB424_302:
	s_mov_b64 s[20:21], 0
.LBB424_303:
	s_andn2_b64 vcc, exec, s[20:21]
	s_cbranch_vccnz .LBB424_311
; %bb.304:
	v_cvt_f32_ubyte0_e32 v4, v0
	s_mov_b32 s20, 0x43800000
	v_cmp_gt_u32_e32 vcc, s20, v4
	v_mov_b32_e32 v5, 0x80
	s_and_saveexec_b64 s[20:21], vcc
	s_cbranch_execz .LBB424_310
; %bb.305:
	s_mov_b32 s24, 0x3bffffff
	v_cmp_lt_u32_e32 vcc, s24, v4
	s_mov_b64 s[24:25], 0
                                        ; implicit-def: $vgpr1
	s_and_saveexec_b64 s[26:27], vcc
	s_xor_b64 s[26:27], exec, s[26:27]
	s_cbranch_execz .LBB424_518
; %bb.306:
	v_bfe_u32 v1, v4, 20, 1
	s_mov_b32 s30, 0x487ffff
	v_add3_u32 v1, v4, v1, s30
	s_mov_b64 s[24:25], exec
	v_lshrrev_b32_e32 v1, 20, v1
                                        ; implicit-def: $vgpr4
	s_andn2_saveexec_b64 s[26:27], s[26:27]
	s_cbranch_execnz .LBB424_519
.LBB424_307:
	s_or_b64 exec, exec, s[26:27]
	v_mov_b32_e32 v5, 0
	s_and_saveexec_b64 s[26:27], s[24:25]
.LBB424_308:
	v_mov_b32_e32 v5, v1
.LBB424_309:
	s_or_b64 exec, exec, s[26:27]
.LBB424_310:
	s_or_b64 exec, exec, s[20:21]
	global_store_byte v[2:3], v5, off
.LBB424_311:
	s_mov_b64 s[20:21], -1
.LBB424_312:
	s_mov_b64 s[24:25], 0
.LBB424_313:
	s_and_b64 vcc, exec, s[24:25]
	s_cbranch_vccz .LBB424_354
; %bb.314:
	s_cmp_gt_i32 s29, 22
	s_mov_b64 s[24:25], -1
	s_cbranch_scc0 .LBB424_346
; %bb.315:
	s_cmp_lt_i32 s29, 24
	s_mov_b64 s[20:21], -1
	s_cbranch_scc1 .LBB424_335
; %bb.316:
	s_cmp_gt_i32 s29, 24
	s_cbranch_scc0 .LBB424_324
; %bb.317:
	v_cvt_f32_ubyte0_e32 v4, v0
	s_mov_b32 s20, 0x47800000
	v_cmp_gt_u32_e32 vcc, s20, v4
	v_mov_b32_e32 v5, 0x80
	s_and_saveexec_b64 s[20:21], vcc
	s_cbranch_execz .LBB424_323
; %bb.318:
	s_mov_b32 s24, 0x37ffffff
	v_cmp_lt_u32_e32 vcc, s24, v4
	s_mov_b64 s[24:25], 0
                                        ; implicit-def: $vgpr1
	s_and_saveexec_b64 s[26:27], vcc
	s_xor_b64 s[26:27], exec, s[26:27]
	s_cbranch_execz .LBB424_521
; %bb.319:
	v_bfe_u32 v1, v4, 21, 1
	s_mov_b32 s30, 0x88fffff
	v_add3_u32 v1, v4, v1, s30
	s_mov_b64 s[24:25], exec
	v_lshrrev_b32_e32 v1, 21, v1
                                        ; implicit-def: $vgpr4
	s_andn2_saveexec_b64 s[26:27], s[26:27]
	s_cbranch_execnz .LBB424_522
.LBB424_320:
	s_or_b64 exec, exec, s[26:27]
	v_mov_b32_e32 v5, 0
	s_and_saveexec_b64 s[26:27], s[24:25]
.LBB424_321:
	v_mov_b32_e32 v5, v1
.LBB424_322:
	s_or_b64 exec, exec, s[26:27]
.LBB424_323:
	s_or_b64 exec, exec, s[20:21]
	s_mov_b64 s[20:21], 0
	global_store_byte v[2:3], v5, off
.LBB424_324:
	s_and_b64 vcc, exec, s[20:21]
	s_cbranch_vccz .LBB424_334
; %bb.325:
	v_cvt_f32_ubyte0_e32 v1, v0
	s_mov_b32 s20, 0x43f00000
	v_cmp_gt_u32_e32 vcc, s20, v1
                                        ; implicit-def: $vgpr4
	s_and_saveexec_b64 s[20:21], vcc
	s_xor_b64 s[20:21], exec, s[20:21]
	s_cbranch_execz .LBB424_331
; %bb.326:
	s_mov_b32 s24, 0x3c7fffff
	v_cmp_lt_u32_e32 vcc, s24, v1
                                        ; implicit-def: $vgpr4
	s_and_saveexec_b64 s[24:25], vcc
	s_xor_b64 s[24:25], exec, s[24:25]
; %bb.327:
	v_bfe_u32 v4, v1, 20, 1
	s_mov_b32 s26, 0x407ffff
	v_add3_u32 v1, v1, v4, s26
	v_lshrrev_b32_e32 v4, 20, v1
	v_and_b32_e32 v1, 0xff00000, v1
	s_mov_b32 s26, 0x7f00000
	v_mov_b32_e32 v5, 0x7e
	v_cmp_ne_u32_e32 vcc, s26, v1
                                        ; implicit-def: $vgpr1
	s_nop 1
	v_cndmask_b32_e32 v4, v5, v4, vcc
; %bb.328:
	s_andn2_saveexec_b64 s[24:25], s[24:25]
; %bb.329:
	v_add_f32_e32 v4, 0x46800000, v1
; %bb.330:
	s_or_b64 exec, exec, s[24:25]
                                        ; implicit-def: $vgpr1
.LBB424_331:
	s_andn2_saveexec_b64 s[20:21], s[20:21]
; %bb.332:
	s_mov_b32 s24, 0x7f800000
	v_mov_b32_e32 v4, 0x7e
	v_mov_b32_e32 v5, 0x7f
	v_cmp_lt_u32_e32 vcc, s24, v1
	s_nop 1
	v_cndmask_b32_e32 v4, v4, v5, vcc
; %bb.333:
	s_or_b64 exec, exec, s[20:21]
	global_store_byte v[2:3], v4, off
.LBB424_334:
	s_mov_b64 s[20:21], 0
.LBB424_335:
	s_andn2_b64 vcc, exec, s[20:21]
	s_cbranch_vccnz .LBB424_345
; %bb.336:
	v_cvt_f32_ubyte0_e32 v1, v0
	s_mov_b32 s20, 0x47800000
	v_cmp_gt_u32_e32 vcc, s20, v1
                                        ; implicit-def: $vgpr4
	s_and_saveexec_b64 s[20:21], vcc
	s_xor_b64 s[20:21], exec, s[20:21]
	s_cbranch_execz .LBB424_342
; %bb.337:
	s_mov_b32 s24, 0x387fffff
	v_cmp_lt_u32_e32 vcc, s24, v1
                                        ; implicit-def: $vgpr4
	s_and_saveexec_b64 s[24:25], vcc
	s_xor_b64 s[24:25], exec, s[24:25]
; %bb.338:
	v_bfe_u32 v4, v1, 21, 1
	s_mov_b32 s26, 0x80fffff
	v_add3_u32 v1, v1, v4, s26
	v_lshrrev_b32_e32 v4, 21, v1
                                        ; implicit-def: $vgpr1
; %bb.339:
	s_andn2_saveexec_b64 s[24:25], s[24:25]
; %bb.340:
	v_add_f32_e32 v4, 0x43000000, v1
; %bb.341:
	s_or_b64 exec, exec, s[24:25]
                                        ; implicit-def: $vgpr1
.LBB424_342:
	s_andn2_saveexec_b64 s[20:21], s[20:21]
; %bb.343:
	s_mov_b32 s24, 0x7f800000
	v_mov_b32_e32 v4, 0x7c
	v_mov_b32_e32 v5, 0x7f
	v_cmp_lt_u32_e32 vcc, s24, v1
	s_nop 1
	v_cndmask_b32_e32 v4, v4, v5, vcc
; %bb.344:
	s_or_b64 exec, exec, s[20:21]
	global_store_byte v[2:3], v4, off
.LBB424_345:
	s_mov_b64 s[24:25], 0
	s_mov_b64 s[20:21], -1
.LBB424_346:
	s_andn2_b64 vcc, exec, s[24:25]
	s_cbranch_vccnz .LBB424_354
; %bb.347:
	s_cmp_gt_i32 s29, 14
	s_mov_b64 s[24:25], -1
	s_cbranch_scc0 .LBB424_351
; %bb.348:
	s_cmp_eq_u32 s29, 15
	s_mov_b64 s[0:1], -1
	s_cbranch_scc0 .LBB424_350
; %bb.349:
	v_cvt_f32_ubyte0_e32 v1, v0
	v_bfe_u32 v4, v1, 16, 1
	s_movk_i32 s0, 0x7fff
	v_add3_u32 v1, v1, v4, s0
	global_store_short_d16_hi v[2:3], v1, off
	s_mov_b64 s[20:21], -1
	s_mov_b64 s[0:1], 0
.LBB424_350:
	s_mov_b64 s[24:25], 0
.LBB424_351:
	s_and_b64 vcc, exec, s[24:25]
	s_cbranch_vccz .LBB424_354
; %bb.352:
	s_cmp_eq_u32 s29, 11
	s_mov_b64 s[0:1], -1
	s_cbranch_scc0 .LBB424_354
; %bb.353:
	v_cmp_ne_u16_e32 vcc, 0, v0
	s_mov_b64 s[20:21], -1
	s_mov_b64 s[0:1], 0
	v_cndmask_b32_e64 v1, 0, 1, vcc
	global_store_byte v[2:3], v1, off
.LBB424_354:
	s_mov_b64 s[24:25], 0
.LBB424_355:
	s_and_b64 vcc, exec, s[24:25]
	s_cbranch_vccz .LBB424_394
; %bb.356:
	s_and_b32 s24, 0xffff, s28
	s_cmp_lt_i32 s24, 5
	s_mov_b64 s[20:21], -1
	s_cbranch_scc1 .LBB424_377
; %bb.357:
	s_cmp_lt_i32 s24, 8
	s_cbranch_scc1 .LBB424_367
; %bb.358:
	s_cmp_lt_i32 s24, 9
	s_cbranch_scc1 .LBB424_364
; %bb.359:
	s_cmp_gt_i32 s24, 9
	s_cbranch_scc0 .LBB424_361
; %bb.360:
	v_mov_b32_e32 v6, 0
	v_cvt_f64_u32_e32 v[4:5], v0
	v_mov_b32_e32 v7, v6
	s_mov_b64 s[20:21], 0
	global_store_dwordx4 v[2:3], v[4:7], off
.LBB424_361:
	s_andn2_b64 vcc, exec, s[20:21]
	s_cbranch_vccnz .LBB424_363
; %bb.362:
	v_cvt_f32_ubyte0_e32 v4, v0
	v_mov_b32_e32 v5, 0
	global_store_dwordx2 v[2:3], v[4:5], off
.LBB424_363:
	s_mov_b64 s[20:21], 0
.LBB424_364:
	s_andn2_b64 vcc, exec, s[20:21]
	s_cbranch_vccnz .LBB424_366
; %bb.365:
	v_cvt_f16_u16_e32 v1, v0
	global_store_dword v[2:3], v1, off
.LBB424_366:
	s_mov_b64 s[20:21], 0
.LBB424_367:
	s_andn2_b64 vcc, exec, s[20:21]
	s_cbranch_vccnz .LBB424_376
; %bb.368:
	s_cmp_lt_i32 s24, 6
	s_mov_b64 s[20:21], -1
	s_cbranch_scc1 .LBB424_374
; %bb.369:
	s_cmp_gt_i32 s24, 6
	s_cbranch_scc0 .LBB424_371
; %bb.370:
	v_cvt_f64_u32_e32 v[4:5], v0
	s_mov_b64 s[20:21], 0
	global_store_dwordx2 v[2:3], v[4:5], off
.LBB424_371:
	s_andn2_b64 vcc, exec, s[20:21]
	s_cbranch_vccnz .LBB424_373
; %bb.372:
	v_cvt_f32_ubyte0_e32 v1, v0
	global_store_dword v[2:3], v1, off
.LBB424_373:
	s_mov_b64 s[20:21], 0
.LBB424_374:
	s_andn2_b64 vcc, exec, s[20:21]
	s_cbranch_vccnz .LBB424_376
; %bb.375:
	v_cvt_f16_u16_e32 v1, v0
	global_store_short v[2:3], v1, off
.LBB424_376:
	s_mov_b64 s[20:21], 0
.LBB424_377:
	s_andn2_b64 vcc, exec, s[20:21]
	s_cbranch_vccnz .LBB424_393
; %bb.378:
	s_cmp_lt_i32 s24, 2
	s_mov_b64 s[20:21], -1
	s_cbranch_scc1 .LBB424_388
; %bb.379:
	s_cmp_lt_i32 s24, 3
	s_cbranch_scc1 .LBB424_385
; %bb.380:
	s_cmp_gt_i32 s24, 3
	s_cbranch_scc0 .LBB424_382
; %bb.381:
	s_mov_b32 s20, 0
	v_mov_b32_e32 v1, s20
	s_mov_b64 s[20:21], 0
	global_store_dwordx2 v[2:3], v[0:1], off
.LBB424_382:
	s_andn2_b64 vcc, exec, s[20:21]
	s_cbranch_vccnz .LBB424_384
; %bb.383:
	global_store_dword v[2:3], v0, off
.LBB424_384:
	s_mov_b64 s[20:21], 0
.LBB424_385:
	s_andn2_b64 vcc, exec, s[20:21]
	s_cbranch_vccnz .LBB424_387
; %bb.386:
	global_store_short v[2:3], v0, off
.LBB424_387:
	s_mov_b64 s[20:21], 0
.LBB424_388:
	s_andn2_b64 vcc, exec, s[20:21]
	s_cbranch_vccnz .LBB424_393
; %bb.389:
	s_cmp_gt_i32 s24, 0
	s_mov_b64 s[20:21], -1
	s_cbranch_scc0 .LBB424_391
; %bb.390:
	s_mov_b64 s[20:21], 0
	global_store_byte v[2:3], v0, off
.LBB424_391:
	s_andn2_b64 vcc, exec, s[20:21]
	s_cbranch_vccnz .LBB424_393
; %bb.392:
	global_store_byte v[2:3], v0, off
.LBB424_393:
	s_mov_b64 s[20:21], -1
.LBB424_394:
	s_andn2_b64 vcc, exec, s[20:21]
	s_cbranch_vccnz .LBB424_396
; %bb.395:
	v_add_u32_e32 v10, 0x80, v10
	s_mov_b64 s[24:25], -1
	s_branch .LBB424_504
.LBB424_396:
	s_mov_b64 s[24:25], 0
                                        ; implicit-def: $vgpr10
	s_branch .LBB424_504
.LBB424_397:
	s_mov_b64 s[18:19], -1
                                        ; implicit-def: $vgpr2
.LBB424_398:
	s_mov_b64 s[20:21], 0
.LBB424_399:
	s_and_b64 vcc, exec, s[20:21]
	s_cbranch_vccz .LBB424_403
; %bb.400:
	s_cmp_eq_u32 s25, 29
	s_cbranch_scc0 .LBB424_402
; %bb.401:
	global_load_dwordx2 v[2:3], v[0:1], off
	s_mov_b64 s[0:1], -1
	s_mov_b64 s[18:19], 0
	s_branch .LBB424_403
.LBB424_402:
	s_mov_b64 s[18:19], -1
                                        ; implicit-def: $vgpr2
.LBB424_403:
	s_mov_b64 s[20:21], 0
.LBB424_404:
	s_and_b64 vcc, exec, s[20:21]
	s_cbranch_vccz .LBB424_420
; %bb.405:
	s_cmp_lt_i32 s25, 27
	s_cbranch_scc1 .LBB424_408
; %bb.406:
	s_cmp_gt_i32 s25, 27
	s_cbranch_scc0 .LBB424_409
; %bb.407:
	global_load_dword v2, v[0:1], off
	s_mov_b64 s[0:1], 0
	s_branch .LBB424_410
.LBB424_408:
	s_mov_b64 s[0:1], -1
                                        ; implicit-def: $vgpr2
	s_branch .LBB424_413
.LBB424_409:
	s_mov_b64 s[0:1], -1
                                        ; implicit-def: $vgpr2
.LBB424_410:
	s_andn2_b64 vcc, exec, s[0:1]
	s_cbranch_vccnz .LBB424_412
; %bb.411:
	global_load_ushort v2, v[0:1], off
.LBB424_412:
	s_mov_b64 s[0:1], 0
.LBB424_413:
	s_andn2_b64 vcc, exec, s[0:1]
	s_cbranch_vccnz .LBB424_419
; %bb.414:
	global_load_ubyte v3, v[0:1], off
	s_movk_i32 s0, 0x7f
	s_mov_b64 s[20:21], 0
	s_waitcnt vmcnt(0)
	v_cmp_lt_i16_e32 vcc, s0, v3
	s_and_saveexec_b64 s[0:1], vcc
	s_xor_b64 s[0:1], exec, s[0:1]
	s_cbranch_execz .LBB424_431
; %bb.415:
	s_movk_i32 s20, 0x80
	v_cmp_ne_u16_e32 vcc, s20, v3
	s_and_b64 s[20:21], vcc, exec
	s_andn2_saveexec_b64 s[0:1], s[0:1]
	s_cbranch_execnz .LBB424_432
.LBB424_416:
	s_or_b64 exec, exec, s[0:1]
	v_mov_b32_e32 v2, 0
	s_and_saveexec_b64 s[0:1], s[20:21]
	s_cbranch_execz .LBB424_418
.LBB424_417:
	v_lshlrev_b32_e32 v2, 24, v3
	v_and_b32_e32 v3, 0xffff, v3
	v_and_b32_e32 v4, 7, v3
	v_ffbh_u32_e32 v6, v4
	v_min_u32_e32 v6, 32, v6
	v_subrev_u32_e32 v7, 28, v6
	v_bfe_u32 v5, v3, 3, 4
	v_lshlrev_b32_e32 v3, v7, v3
	v_sub_u32_e32 v6, 29, v6
	v_and_b32_e32 v3, 7, v3
	v_cmp_eq_u32_e32 vcc, 0, v5
	v_and_b32_e32 v2, 0x80000000, v2
	s_mov_b32 s20, 0x2f800000
	v_cndmask_b32_e32 v5, v5, v6, vcc
	v_cndmask_b32_e32 v3, v4, v3, vcc
	v_mov_b32_e32 v4, 0x3b800000
	v_lshlrev_b32_e32 v3, 20, v3
	v_lshl_add_u32 v4, v5, 23, v4
	v_or3_b32 v2, v2, v4, v3
	v_trunc_f32_e32 v2, v2
	v_mul_f32_e64 v3, |v2|, s20
	v_floor_f32_e32 v3, v3
	s_mov_b32 s20, 0xcf800000
	v_fma_f32 v3, v3, s20, |v2|
	v_cvt_u32_f32_e32 v3, v3
	v_ashrrev_i32_e32 v2, 31, v2
	v_xor_b32_e32 v3, v3, v2
	v_sub_u32_e32 v2, v3, v2
.LBB424_418:
	s_or_b64 exec, exec, s[0:1]
.LBB424_419:
	s_mov_b64 s[0:1], -1
.LBB424_420:
	s_mov_b64 s[20:21], 0
.LBB424_421:
	s_and_b64 vcc, exec, s[20:21]
	s_cbranch_vccz .LBB424_454
; %bb.422:
	s_cmp_gt_i32 s25, 22
	s_cbranch_scc0 .LBB424_430
; %bb.423:
	s_cmp_lt_i32 s25, 24
	s_cbranch_scc1 .LBB424_433
; %bb.424:
	s_cmp_gt_i32 s25, 24
	s_cbranch_scc0 .LBB424_434
; %bb.425:
	global_load_ubyte v3, v[0:1], off
	s_movk_i32 s0, 0x7f
	s_mov_b64 s[20:21], 0
	s_waitcnt vmcnt(0)
	v_cmp_lt_i16_e32 vcc, s0, v3
	s_and_saveexec_b64 s[0:1], vcc
	s_xor_b64 s[0:1], exec, s[0:1]
	s_cbranch_execz .LBB424_446
; %bb.426:
	s_movk_i32 s20, 0x80
	v_cmp_ne_u16_e32 vcc, s20, v3
	s_and_b64 s[20:21], vcc, exec
	s_andn2_saveexec_b64 s[0:1], s[0:1]
	s_cbranch_execnz .LBB424_447
.LBB424_427:
	s_or_b64 exec, exec, s[0:1]
	v_mov_b32_e32 v2, 0
	s_and_saveexec_b64 s[0:1], s[20:21]
	s_cbranch_execz .LBB424_429
.LBB424_428:
	v_lshlrev_b32_e32 v2, 24, v3
	v_and_b32_e32 v3, 0xffff, v3
	v_and_b32_e32 v4, 3, v3
	v_ffbh_u32_e32 v6, v4
	v_min_u32_e32 v6, 32, v6
	v_subrev_u32_e32 v7, 29, v6
	v_bfe_u32 v5, v3, 2, 5
	v_lshlrev_b32_e32 v3, v7, v3
	v_sub_u32_e32 v6, 30, v6
	v_and_b32_e32 v3, 3, v3
	v_cmp_eq_u32_e32 vcc, 0, v5
	v_and_b32_e32 v2, 0x80000000, v2
	s_mov_b32 s20, 0x2f800000
	v_cndmask_b32_e32 v5, v5, v6, vcc
	v_cndmask_b32_e32 v3, v4, v3, vcc
	v_mov_b32_e32 v4, 0x37800000
	v_lshlrev_b32_e32 v3, 21, v3
	v_lshl_add_u32 v4, v5, 23, v4
	v_or3_b32 v2, v2, v4, v3
	v_trunc_f32_e32 v2, v2
	v_mul_f32_e64 v3, |v2|, s20
	v_floor_f32_e32 v3, v3
	s_mov_b32 s20, 0xcf800000
	v_fma_f32 v3, v3, s20, |v2|
	v_cvt_u32_f32_e32 v3, v3
	v_ashrrev_i32_e32 v2, 31, v2
	v_xor_b32_e32 v3, v3, v2
	v_sub_u32_e32 v2, v3, v2
.LBB424_429:
	s_or_b64 exec, exec, s[0:1]
	s_mov_b64 s[0:1], 0
	s_branch .LBB424_435
.LBB424_430:
	s_mov_b64 s[20:21], -1
                                        ; implicit-def: $vgpr2
	s_branch .LBB424_441
.LBB424_431:
	s_andn2_saveexec_b64 s[0:1], s[0:1]
	s_cbranch_execz .LBB424_416
.LBB424_432:
	v_cmp_ne_u16_e32 vcc, 0, v3
	s_andn2_b64 s[20:21], s[20:21], exec
	s_and_b64 s[26:27], vcc, exec
	s_or_b64 s[20:21], s[20:21], s[26:27]
	s_or_b64 exec, exec, s[0:1]
	v_mov_b32_e32 v2, 0
	s_and_saveexec_b64 s[0:1], s[20:21]
	s_cbranch_execnz .LBB424_417
	s_branch .LBB424_418
.LBB424_433:
	s_mov_b64 s[0:1], -1
                                        ; implicit-def: $vgpr2
	s_branch .LBB424_438
.LBB424_434:
	s_mov_b64 s[0:1], -1
                                        ; implicit-def: $vgpr2
.LBB424_435:
	s_and_b64 vcc, exec, s[0:1]
	s_cbranch_vccz .LBB424_437
; %bb.436:
	global_load_ubyte v2, v[0:1], off
	s_mov_b32 s0, 0x7f800000
	s_brev_b32 s1, 1
	s_mov_b32 s20, 0x2f800000
	s_waitcnt vmcnt(0)
	v_lshlrev_b32_e32 v2, 24, v2
	v_and_b32_e32 v3, 0x7f000000, v2
	v_ffbh_u32_e32 v4, v3
	v_min_u32_e32 v4, 32, v4
	v_sub_u32_e64 v4, v4, 4 clamp
	v_lshlrev_b32_e32 v6, v4, v3
	v_lshlrev_b32_e32 v4, 23, v4
	v_lshrrev_b32_e32 v6, 4, v6
	v_add_u32_e32 v5, 0x1000000, v3
	v_sub_u32_e32 v4, v6, v4
	v_ashrrev_i32_e32 v5, 8, v5
	v_add_u32_e32 v4, 0x3c000000, v4
	v_and_or_b32 v4, v5, s0, v4
	v_cmp_ne_u32_e32 vcc, 0, v3
	s_mov_b32 s0, 0xcf800000
	s_nop 0
	v_cndmask_b32_e32 v3, 0, v4, vcc
	v_and_or_b32 v2, v2, s1, v3
	v_trunc_f32_e32 v2, v2
	v_mul_f32_e64 v3, |v2|, s20
	v_floor_f32_e32 v3, v3
	v_fma_f32 v3, v3, s0, |v2|
	v_cvt_u32_f32_e32 v3, v3
	v_ashrrev_i32_e32 v2, 31, v2
	v_xor_b32_e32 v3, v3, v2
	v_sub_u32_e32 v2, v3, v2
.LBB424_437:
	s_mov_b64 s[0:1], 0
.LBB424_438:
	s_andn2_b64 vcc, exec, s[0:1]
	s_cbranch_vccnz .LBB424_440
; %bb.439:
	global_load_ubyte v2, v[0:1], off
	s_movk_i32 s0, 0x7f00
	s_brev_b32 s1, 16
	s_brev_b32 s20, 1
	s_mov_b32 s21, 0x2f800000
	s_waitcnt vmcnt(0)
	v_lshlrev_b16_e32 v3, 8, v2
	v_lshlrev_b32_e32 v2, 25, v2
	v_lshrrev_b32_e32 v4, 4, v2
	v_and_or_b32 v5, v3, s0, 0.5
	v_or_b32_e32 v4, 0x70000000, v4
	v_add_f32_e32 v5, -0.5, v5
	v_mul_f32_e32 v4, 0x7800000, v4
	v_cmp_gt_u32_e32 vcc, s1, v2
	v_bfe_i32 v3, v3, 0, 16
	s_mov_b32 s0, 0xcf800000
	v_cndmask_b32_e32 v2, v4, v5, vcc
	v_and_or_b32 v2, v3, s20, v2
	v_trunc_f32_e32 v2, v2
	v_mul_f32_e64 v3, |v2|, s21
	v_floor_f32_e32 v3, v3
	v_fma_f32 v3, v3, s0, |v2|
	v_cvt_u32_f32_e32 v3, v3
	v_ashrrev_i32_e32 v2, 31, v2
	v_xor_b32_e32 v3, v3, v2
	v_sub_u32_e32 v2, v3, v2
.LBB424_440:
	s_mov_b64 s[20:21], 0
	s_mov_b64 s[0:1], -1
.LBB424_441:
	s_andn2_b64 vcc, exec, s[20:21]
	s_cbranch_vccnz .LBB424_454
; %bb.442:
	s_cmp_gt_i32 s25, 14
	s_cbranch_scc0 .LBB424_445
; %bb.443:
	s_cmp_eq_u32 s25, 15
	s_cbranch_scc0 .LBB424_448
; %bb.444:
	global_load_ushort v2, v[0:1], off
	s_mov_b32 s0, 0x2f800000
	s_mov_b32 s1, 0xcf800000
	s_mov_b64 s[18:19], 0
	s_waitcnt vmcnt(0)
	v_lshlrev_b32_e32 v2, 16, v2
	v_trunc_f32_e32 v2, v2
	v_mul_f32_e64 v3, |v2|, s0
	v_floor_f32_e32 v3, v3
	v_fma_f32 v3, v3, s1, |v2|
	v_cvt_u32_f32_e32 v3, v3
	v_ashrrev_i32_e32 v2, 31, v2
	s_mov_b64 s[0:1], -1
	v_xor_b32_e32 v3, v3, v2
	v_sub_u32_e32 v2, v3, v2
	s_branch .LBB424_449
.LBB424_445:
	s_mov_b64 s[20:21], -1
                                        ; implicit-def: $vgpr2
	s_branch .LBB424_450
.LBB424_446:
	s_andn2_saveexec_b64 s[0:1], s[0:1]
	s_cbranch_execz .LBB424_427
.LBB424_447:
	v_cmp_ne_u16_e32 vcc, 0, v3
	s_andn2_b64 s[20:21], s[20:21], exec
	s_and_b64 s[26:27], vcc, exec
	s_or_b64 s[20:21], s[20:21], s[26:27]
	s_or_b64 exec, exec, s[0:1]
	v_mov_b32_e32 v2, 0
	s_and_saveexec_b64 s[0:1], s[20:21]
	s_cbranch_execnz .LBB424_428
	s_branch .LBB424_429
.LBB424_448:
	s_mov_b64 s[18:19], -1
                                        ; implicit-def: $vgpr2
.LBB424_449:
	s_mov_b64 s[20:21], 0
.LBB424_450:
	s_and_b64 vcc, exec, s[20:21]
	s_cbranch_vccz .LBB424_454
; %bb.451:
	s_cmp_eq_u32 s25, 11
	s_cbranch_scc0 .LBB424_453
; %bb.452:
	global_load_ubyte v2, v[0:1], off
	s_mov_b64 s[0:1], -1
	s_mov_b64 s[18:19], 0
	s_waitcnt vmcnt(0)
	v_cmp_ne_u16_e32 vcc, 0, v2
	s_nop 1
	v_cndmask_b32_e64 v2, 0, 1, vcc
	s_branch .LBB424_454
.LBB424_453:
	s_mov_b64 s[18:19], -1
                                        ; implicit-def: $vgpr2
.LBB424_454:
	s_branch .LBB424_261
.LBB424_455:
	s_and_b32 s20, 0xffff, s24
	s_cmp_lt_i32 s20, 5
	s_cbranch_scc1 .LBB424_460
; %bb.456:
	s_cmp_lt_i32 s20, 8
	s_cbranch_scc1 .LBB424_461
; %bb.457:
	;; [unrolled: 3-line block ×3, first 2 shown]
	s_cmp_gt_i32 s20, 9
	s_cbranch_scc0 .LBB424_463
; %bb.459:
	global_load_dwordx2 v[2:3], v[0:1], off
	s_movk_i32 s0, 0xffe0
	s_waitcnt vmcnt(0)
	v_trunc_f64_e32 v[2:3], v[2:3]
	v_ldexp_f64 v[4:5], v[2:3], s0
	v_floor_f64_e32 v[4:5], v[4:5]
	v_fmac_f64_e32 v[2:3], 0xc1f00000, v[4:5]
	v_cvt_u32_f64_e32 v2, v[2:3]
	s_mov_b64 s[0:1], 0
	s_branch .LBB424_464
.LBB424_460:
	s_mov_b64 s[0:1], -1
                                        ; implicit-def: $vgpr2
	s_branch .LBB424_482
.LBB424_461:
	s_mov_b64 s[0:1], -1
                                        ; implicit-def: $vgpr2
	s_branch .LBB424_470
.LBB424_462:
	s_mov_b64 s[0:1], -1
                                        ; implicit-def: $vgpr2
	s_branch .LBB424_467
.LBB424_463:
	s_mov_b64 s[0:1], -1
                                        ; implicit-def: $vgpr2
.LBB424_464:
	s_andn2_b64 vcc, exec, s[0:1]
	s_cbranch_vccnz .LBB424_466
; %bb.465:
	global_load_dword v2, v[0:1], off
	s_mov_b32 s0, 0x2f800000
	s_waitcnt vmcnt(0)
	v_trunc_f32_e32 v2, v2
	v_mul_f32_e64 v3, |v2|, s0
	v_floor_f32_e32 v3, v3
	s_mov_b32 s0, 0xcf800000
	v_fma_f32 v3, v3, s0, |v2|
	v_cvt_u32_f32_e32 v3, v3
	v_ashrrev_i32_e32 v2, 31, v2
	v_xor_b32_e32 v3, v3, v2
	v_sub_u32_e32 v2, v3, v2
.LBB424_466:
	s_mov_b64 s[0:1], 0
.LBB424_467:
	s_andn2_b64 vcc, exec, s[0:1]
	s_cbranch_vccnz .LBB424_469
; %bb.468:
	global_load_dword v2, v[0:1], off
	s_waitcnt vmcnt(0)
	v_cvt_f32_f16_e32 v2, v2
	v_cvt_i32_f32_e32 v2, v2
.LBB424_469:
	s_mov_b64 s[0:1], 0
.LBB424_470:
	s_andn2_b64 vcc, exec, s[0:1]
	s_cbranch_vccnz .LBB424_481
; %bb.471:
	s_cmp_lt_i32 s20, 6
	s_cbranch_scc1 .LBB424_474
; %bb.472:
	s_cmp_gt_i32 s20, 6
	s_cbranch_scc0 .LBB424_475
; %bb.473:
	global_load_dwordx2 v[2:3], v[0:1], off
	s_movk_i32 s0, 0xffe0
	s_waitcnt vmcnt(0)
	v_trunc_f64_e32 v[2:3], v[2:3]
	v_ldexp_f64 v[4:5], v[2:3], s0
	v_floor_f64_e32 v[4:5], v[4:5]
	v_fmac_f64_e32 v[2:3], 0xc1f00000, v[4:5]
	v_cvt_u32_f64_e32 v2, v[2:3]
	s_mov_b64 s[0:1], 0
	s_branch .LBB424_476
.LBB424_474:
	s_mov_b64 s[0:1], -1
                                        ; implicit-def: $vgpr2
	s_branch .LBB424_479
.LBB424_475:
	s_mov_b64 s[0:1], -1
                                        ; implicit-def: $vgpr2
.LBB424_476:
	s_andn2_b64 vcc, exec, s[0:1]
	s_cbranch_vccnz .LBB424_478
; %bb.477:
	global_load_dword v2, v[0:1], off
	s_mov_b32 s0, 0x2f800000
	s_waitcnt vmcnt(0)
	v_trunc_f32_e32 v2, v2
	v_mul_f32_e64 v3, |v2|, s0
	v_floor_f32_e32 v3, v3
	s_mov_b32 s0, 0xcf800000
	v_fma_f32 v3, v3, s0, |v2|
	v_cvt_u32_f32_e32 v3, v3
	v_ashrrev_i32_e32 v2, 31, v2
	v_xor_b32_e32 v3, v3, v2
	v_sub_u32_e32 v2, v3, v2
.LBB424_478:
	s_mov_b64 s[0:1], 0
.LBB424_479:
	s_andn2_b64 vcc, exec, s[0:1]
	s_cbranch_vccnz .LBB424_481
; %bb.480:
	global_load_ushort v2, v[0:1], off
	s_waitcnt vmcnt(0)
	v_cvt_f32_f16_e32 v2, v2
	v_cvt_i32_f32_e32 v2, v2
.LBB424_481:
	s_mov_b64 s[0:1], 0
.LBB424_482:
	s_andn2_b64 vcc, exec, s[0:1]
	s_cbranch_vccnz .LBB424_502
; %bb.483:
	s_cmp_lt_i32 s20, 2
	s_cbranch_scc1 .LBB424_487
; %bb.484:
	s_cmp_lt_i32 s20, 3
	s_cbranch_scc1 .LBB424_488
; %bb.485:
	s_cmp_gt_i32 s20, 3
	s_cbranch_scc0 .LBB424_489
; %bb.486:
	global_load_dwordx2 v[2:3], v[0:1], off
	s_mov_b64 s[0:1], 0
	s_branch .LBB424_490
.LBB424_487:
	s_mov_b64 s[0:1], -1
                                        ; implicit-def: $vgpr2
	s_branch .LBB424_496
.LBB424_488:
	s_mov_b64 s[0:1], -1
                                        ; implicit-def: $vgpr2
	s_branch .LBB424_493
.LBB424_489:
	s_mov_b64 s[0:1], -1
                                        ; implicit-def: $vgpr2
.LBB424_490:
	s_andn2_b64 vcc, exec, s[0:1]
	s_cbranch_vccnz .LBB424_492
; %bb.491:
	global_load_dword v2, v[0:1], off
.LBB424_492:
	s_mov_b64 s[0:1], 0
.LBB424_493:
	s_andn2_b64 vcc, exec, s[0:1]
	s_cbranch_vccnz .LBB424_495
; %bb.494:
	global_load_ushort v2, v[0:1], off
.LBB424_495:
	s_mov_b64 s[0:1], 0
.LBB424_496:
	s_andn2_b64 vcc, exec, s[0:1]
	s_cbranch_vccnz .LBB424_502
; %bb.497:
	s_cmp_gt_i32 s20, 0
	s_cbranch_scc0 .LBB424_499
; %bb.498:
	global_load_ubyte v2, v[0:1], off
	s_mov_b64 s[0:1], 0
	s_branch .LBB424_500
.LBB424_499:
	s_mov_b64 s[0:1], -1
                                        ; implicit-def: $vgpr2
.LBB424_500:
	s_andn2_b64 vcc, exec, s[0:1]
	s_cbranch_vccnz .LBB424_502
; %bb.501:
	global_load_ubyte v2, v[0:1], off
.LBB424_502:
	s_branch .LBB424_262
.LBB424_503:
	s_mov_b64 s[24:25], 0
                                        ; implicit-def: $vgpr10
	s_mov_b64 s[0:1], s[12:13]
.LBB424_504:
	s_andn2_b64 s[20:21], s[12:13], exec
	s_and_b64 s[0:1], s[0:1], exec
	s_or_b64 s[20:21], s[20:21], s[0:1]
	s_andn2_b64 s[0:1], s[14:15], exec
	s_and_b64 s[18:19], s[18:19], exec
	s_or_b64 s[18:19], s[0:1], s[18:19]
	s_orn2_b64 s[0:1], s[24:25], exec
.LBB424_505:
	s_or_b64 exec, exec, s[22:23]
	s_mov_b64 s[24:25], 0
	s_mov_b64 s[26:27], 0
	;; [unrolled: 1-line block ×3, first 2 shown]
                                        ; implicit-def: $sgpr44
                                        ; implicit-def: $vgpr0_vgpr1
                                        ; implicit-def: $vgpr4
	s_and_saveexec_b64 s[22:23], s[0:1]
	s_cbranch_execz .LBB424_842
; %bb.506:
	v_cmp_gt_i32_e32 vcc, s38, v10
	s_mov_b64 s[34:35], -1
	s_mov_b64 s[0:1], s[18:19]
	s_mov_b64 s[28:29], s[20:21]
	s_and_saveexec_b64 s[24:25], vcc
	s_cbranch_execz .LBB424_760
; %bb.507:
	v_mul_lo_u32 v0, v10, s9
	v_ashrrev_i32_e32 v1, 31, v0
	s_and_b32 s30, s43, 0xff
	s_cmp_lt_i32 s30, 11
	v_lshl_add_u64 v[0:1], s[6:7], 0, v[0:1]
	s_cbranch_scc1 .LBB424_514
; %bb.508:
	s_and_b32 s31, 0xffff, s30
	s_cmp_gt_i32 s31, 25
	s_cbranch_scc0 .LBB424_515
; %bb.509:
	s_cmp_gt_i32 s31, 28
	s_cbranch_scc0 .LBB424_516
; %bb.510:
	;; [unrolled: 3-line block ×4, first 2 shown]
	s_cmp_eq_u32 s31, 46
	s_mov_b64 s[28:29], 0
	s_cbranch_scc0 .LBB424_523
; %bb.513:
	global_load_dword v2, v[0:1], off
	s_mov_b32 s0, 0x2f800000
	s_mov_b32 s1, 0xcf800000
	s_waitcnt vmcnt(0)
	v_lshlrev_b32_e32 v2, 16, v2
	v_trunc_f32_e32 v2, v2
	v_mul_f32_e64 v3, |v2|, s0
	v_floor_f32_e32 v3, v3
	v_fma_f32 v3, v3, s1, |v2|
	v_cvt_u32_f32_e32 v3, v3
	v_ashrrev_i32_e32 v2, 31, v2
	s_mov_b64 s[0:1], -1
	v_xor_b32_e32 v3, v3, v2
	v_sub_u32_e32 v2, v3, v2
	s_branch .LBB424_524
.LBB424_514:
	s_mov_b64 s[28:29], -1
	s_mov_b64 s[0:1], 0
                                        ; implicit-def: $vgpr2
	s_mov_b64 s[26:27], s[18:19]
	s_branch .LBB424_585
.LBB424_515:
	s_mov_b64 s[28:29], -1
	s_mov_b64 s[0:1], 0
	s_mov_b64 s[26:27], s[18:19]
                                        ; implicit-def: $vgpr2
	s_branch .LBB424_551
.LBB424_516:
	s_mov_b64 s[28:29], -1
	s_mov_b64 s[0:1], 0
	s_mov_b64 s[26:27], s[18:19]
                                        ; implicit-def: $vgpr2
	s_branch .LBB424_534
.LBB424_517:
	s_mov_b64 s[28:29], -1
	s_mov_b64 s[0:1], 0
	s_mov_b64 s[26:27], s[18:19]
                                        ; implicit-def: $vgpr2
	s_branch .LBB424_529
.LBB424_518:
	s_andn2_saveexec_b64 s[26:27], s[26:27]
	s_cbranch_execz .LBB424_307
.LBB424_519:
	v_add_f32_e32 v1, 0x46000000, v4
	v_and_b32_e32 v1, 0xff, v1
	v_cmp_ne_u32_e32 vcc, 0, v1
	s_andn2_b64 s[24:25], s[24:25], exec
	s_and_b64 s[30:31], vcc, exec
	s_or_b64 s[24:25], s[24:25], s[30:31]
	s_or_b64 exec, exec, s[26:27]
	v_mov_b32_e32 v5, 0
	s_and_saveexec_b64 s[26:27], s[24:25]
	s_cbranch_execnz .LBB424_308
	s_branch .LBB424_309
.LBB424_520:
	s_mov_b64 s[28:29], -1
	s_mov_b64 s[0:1], 0
	s_mov_b64 s[26:27], s[18:19]
                                        ; implicit-def: $vgpr2
	s_branch .LBB424_524
.LBB424_521:
	s_andn2_saveexec_b64 s[26:27], s[26:27]
	s_cbranch_execz .LBB424_320
.LBB424_522:
	v_add_f32_e32 v1, 0x42800000, v4
	v_and_b32_e32 v1, 0xff, v1
	v_cmp_ne_u32_e32 vcc, 0, v1
	s_andn2_b64 s[24:25], s[24:25], exec
	s_and_b64 s[30:31], vcc, exec
	s_or_b64 s[24:25], s[24:25], s[30:31]
	s_or_b64 exec, exec, s[26:27]
	v_mov_b32_e32 v5, 0
	s_and_saveexec_b64 s[26:27], s[24:25]
	s_cbranch_execnz .LBB424_321
	s_branch .LBB424_322
.LBB424_523:
	s_mov_b64 s[26:27], -1
                                        ; implicit-def: $vgpr2
	s_mov_b64 s[0:1], 0
.LBB424_524:
	s_and_b64 vcc, exec, s[28:29]
	s_cbranch_vccz .LBB424_528
; %bb.525:
	s_cmp_eq_u32 s31, 44
	s_cbranch_scc0 .LBB424_527
; %bb.526:
	global_load_ubyte v2, v[0:1], off
	s_mov_b32 s0, 0x2f800000
	s_mov_b32 s1, 0xcf800000
	s_mov_b64 s[26:27], 0
	s_waitcnt vmcnt(0)
	v_lshlrev_b32_e32 v3, 23, v2
	v_trunc_f32_e32 v3, v3
	v_mul_f32_e64 v4, |v3|, s0
	v_floor_f32_e32 v4, v4
	v_fma_f32 v4, v4, s1, |v3|
	v_cvt_u32_f32_e32 v4, v4
	v_ashrrev_i32_e32 v3, 31, v3
	v_cmp_ne_u32_e32 vcc, 0, v2
	s_mov_b64 s[0:1], -1
	v_xor_b32_e32 v4, v4, v3
	v_sub_u32_e32 v3, v4, v3
	v_cndmask_b32_e32 v2, 0, v3, vcc
	s_branch .LBB424_528
.LBB424_527:
	s_mov_b64 s[26:27], -1
                                        ; implicit-def: $vgpr2
.LBB424_528:
	s_mov_b64 s[28:29], 0
.LBB424_529:
	s_and_b64 vcc, exec, s[28:29]
	s_cbranch_vccz .LBB424_533
; %bb.530:
	s_cmp_eq_u32 s31, 29
	s_cbranch_scc0 .LBB424_532
; %bb.531:
	global_load_dwordx2 v[2:3], v[0:1], off
	s_mov_b64 s[0:1], -1
	s_mov_b64 s[26:27], 0
	s_branch .LBB424_533
.LBB424_532:
	s_mov_b64 s[26:27], -1
                                        ; implicit-def: $vgpr2
.LBB424_533:
	s_mov_b64 s[28:29], 0
.LBB424_534:
	s_and_b64 vcc, exec, s[28:29]
	s_cbranch_vccz .LBB424_550
; %bb.535:
	s_cmp_lt_i32 s31, 27
	s_cbranch_scc1 .LBB424_538
; %bb.536:
	s_cmp_gt_i32 s31, 27
	s_cbranch_scc0 .LBB424_539
; %bb.537:
	global_load_dword v2, v[0:1], off
	s_mov_b64 s[0:1], 0
	s_branch .LBB424_540
.LBB424_538:
	s_mov_b64 s[0:1], -1
                                        ; implicit-def: $vgpr2
	s_branch .LBB424_543
.LBB424_539:
	s_mov_b64 s[0:1], -1
                                        ; implicit-def: $vgpr2
.LBB424_540:
	s_andn2_b64 vcc, exec, s[0:1]
	s_cbranch_vccnz .LBB424_542
; %bb.541:
	global_load_ushort v2, v[0:1], off
.LBB424_542:
	s_mov_b64 s[0:1], 0
.LBB424_543:
	s_andn2_b64 vcc, exec, s[0:1]
	s_cbranch_vccnz .LBB424_549
; %bb.544:
	global_load_ubyte v3, v[0:1], off
	s_movk_i32 s0, 0x7f
	s_mov_b64 s[28:29], 0
	s_waitcnt vmcnt(0)
	v_cmp_lt_i16_e32 vcc, s0, v3
	s_and_saveexec_b64 s[0:1], vcc
	s_xor_b64 s[0:1], exec, s[0:1]
	s_cbranch_execz .LBB424_561
; %bb.545:
	s_movk_i32 s28, 0x80
	v_cmp_ne_u16_e32 vcc, s28, v3
	s_and_b64 s[28:29], vcc, exec
	s_andn2_saveexec_b64 s[0:1], s[0:1]
	s_cbranch_execnz .LBB424_562
.LBB424_546:
	s_or_b64 exec, exec, s[0:1]
	v_mov_b32_e32 v2, 0
	s_and_saveexec_b64 s[0:1], s[28:29]
	s_cbranch_execz .LBB424_548
.LBB424_547:
	v_lshlrev_b32_e32 v2, 24, v3
	v_and_b32_e32 v3, 0xffff, v3
	v_and_b32_e32 v4, 7, v3
	v_ffbh_u32_e32 v6, v4
	v_min_u32_e32 v6, 32, v6
	v_subrev_u32_e32 v7, 28, v6
	v_bfe_u32 v5, v3, 3, 4
	v_lshlrev_b32_e32 v3, v7, v3
	v_sub_u32_e32 v6, 29, v6
	v_and_b32_e32 v3, 7, v3
	v_cmp_eq_u32_e32 vcc, 0, v5
	v_and_b32_e32 v2, 0x80000000, v2
	s_mov_b32 s28, 0x2f800000
	v_cndmask_b32_e32 v5, v5, v6, vcc
	v_cndmask_b32_e32 v3, v4, v3, vcc
	v_mov_b32_e32 v4, 0x3b800000
	v_lshlrev_b32_e32 v3, 20, v3
	v_lshl_add_u32 v4, v5, 23, v4
	v_or3_b32 v2, v2, v4, v3
	v_trunc_f32_e32 v2, v2
	v_mul_f32_e64 v3, |v2|, s28
	v_floor_f32_e32 v3, v3
	s_mov_b32 s28, 0xcf800000
	v_fma_f32 v3, v3, s28, |v2|
	v_cvt_u32_f32_e32 v3, v3
	v_ashrrev_i32_e32 v2, 31, v2
	v_xor_b32_e32 v3, v3, v2
	v_sub_u32_e32 v2, v3, v2
.LBB424_548:
	s_or_b64 exec, exec, s[0:1]
.LBB424_549:
	s_mov_b64 s[0:1], -1
.LBB424_550:
	s_mov_b64 s[28:29], 0
.LBB424_551:
	s_and_b64 vcc, exec, s[28:29]
	s_cbranch_vccz .LBB424_584
; %bb.552:
	s_cmp_gt_i32 s31, 22
	s_cbranch_scc0 .LBB424_560
; %bb.553:
	s_cmp_lt_i32 s31, 24
	s_cbranch_scc1 .LBB424_563
; %bb.554:
	s_cmp_gt_i32 s31, 24
	s_cbranch_scc0 .LBB424_564
; %bb.555:
	global_load_ubyte v3, v[0:1], off
	s_movk_i32 s0, 0x7f
	s_mov_b64 s[28:29], 0
	s_waitcnt vmcnt(0)
	v_cmp_lt_i16_e32 vcc, s0, v3
	s_and_saveexec_b64 s[0:1], vcc
	s_xor_b64 s[0:1], exec, s[0:1]
	s_cbranch_execz .LBB424_576
; %bb.556:
	s_movk_i32 s28, 0x80
	v_cmp_ne_u16_e32 vcc, s28, v3
	s_and_b64 s[28:29], vcc, exec
	s_andn2_saveexec_b64 s[0:1], s[0:1]
	s_cbranch_execnz .LBB424_577
.LBB424_557:
	s_or_b64 exec, exec, s[0:1]
	v_mov_b32_e32 v2, 0
	s_and_saveexec_b64 s[0:1], s[28:29]
	s_cbranch_execz .LBB424_559
.LBB424_558:
	v_lshlrev_b32_e32 v2, 24, v3
	v_and_b32_e32 v3, 0xffff, v3
	v_and_b32_e32 v4, 3, v3
	v_ffbh_u32_e32 v6, v4
	v_min_u32_e32 v6, 32, v6
	v_subrev_u32_e32 v7, 29, v6
	v_bfe_u32 v5, v3, 2, 5
	v_lshlrev_b32_e32 v3, v7, v3
	v_sub_u32_e32 v6, 30, v6
	v_and_b32_e32 v3, 3, v3
	v_cmp_eq_u32_e32 vcc, 0, v5
	v_and_b32_e32 v2, 0x80000000, v2
	s_mov_b32 s28, 0x2f800000
	v_cndmask_b32_e32 v5, v5, v6, vcc
	v_cndmask_b32_e32 v3, v4, v3, vcc
	v_mov_b32_e32 v4, 0x37800000
	v_lshlrev_b32_e32 v3, 21, v3
	v_lshl_add_u32 v4, v5, 23, v4
	v_or3_b32 v2, v2, v4, v3
	v_trunc_f32_e32 v2, v2
	v_mul_f32_e64 v3, |v2|, s28
	v_floor_f32_e32 v3, v3
	s_mov_b32 s28, 0xcf800000
	v_fma_f32 v3, v3, s28, |v2|
	v_cvt_u32_f32_e32 v3, v3
	v_ashrrev_i32_e32 v2, 31, v2
	v_xor_b32_e32 v3, v3, v2
	v_sub_u32_e32 v2, v3, v2
.LBB424_559:
	s_or_b64 exec, exec, s[0:1]
	s_mov_b64 s[0:1], 0
	s_branch .LBB424_565
.LBB424_560:
	s_mov_b64 s[28:29], -1
                                        ; implicit-def: $vgpr2
	s_branch .LBB424_571
.LBB424_561:
	s_andn2_saveexec_b64 s[0:1], s[0:1]
	s_cbranch_execz .LBB424_546
.LBB424_562:
	v_cmp_ne_u16_e32 vcc, 0, v3
	s_andn2_b64 s[28:29], s[28:29], exec
	s_and_b64 s[34:35], vcc, exec
	s_or_b64 s[28:29], s[28:29], s[34:35]
	s_or_b64 exec, exec, s[0:1]
	v_mov_b32_e32 v2, 0
	s_and_saveexec_b64 s[0:1], s[28:29]
	s_cbranch_execnz .LBB424_547
	s_branch .LBB424_548
.LBB424_563:
	s_mov_b64 s[0:1], -1
                                        ; implicit-def: $vgpr2
	s_branch .LBB424_568
.LBB424_564:
	s_mov_b64 s[0:1], -1
                                        ; implicit-def: $vgpr2
.LBB424_565:
	s_and_b64 vcc, exec, s[0:1]
	s_cbranch_vccz .LBB424_567
; %bb.566:
	global_load_ubyte v2, v[0:1], off
	s_mov_b32 s0, 0x7f800000
	s_brev_b32 s1, 1
	s_mov_b32 s28, 0x2f800000
	s_waitcnt vmcnt(0)
	v_lshlrev_b32_e32 v2, 24, v2
	v_and_b32_e32 v3, 0x7f000000, v2
	v_ffbh_u32_e32 v4, v3
	v_min_u32_e32 v4, 32, v4
	v_sub_u32_e64 v4, v4, 4 clamp
	v_lshlrev_b32_e32 v6, v4, v3
	v_lshlrev_b32_e32 v4, 23, v4
	v_lshrrev_b32_e32 v6, 4, v6
	v_add_u32_e32 v5, 0x1000000, v3
	v_sub_u32_e32 v4, v6, v4
	v_ashrrev_i32_e32 v5, 8, v5
	v_add_u32_e32 v4, 0x3c000000, v4
	v_and_or_b32 v4, v5, s0, v4
	v_cmp_ne_u32_e32 vcc, 0, v3
	s_mov_b32 s0, 0xcf800000
	s_nop 0
	v_cndmask_b32_e32 v3, 0, v4, vcc
	v_and_or_b32 v2, v2, s1, v3
	v_trunc_f32_e32 v2, v2
	v_mul_f32_e64 v3, |v2|, s28
	v_floor_f32_e32 v3, v3
	v_fma_f32 v3, v3, s0, |v2|
	v_cvt_u32_f32_e32 v3, v3
	v_ashrrev_i32_e32 v2, 31, v2
	v_xor_b32_e32 v3, v3, v2
	v_sub_u32_e32 v2, v3, v2
.LBB424_567:
	s_mov_b64 s[0:1], 0
.LBB424_568:
	s_andn2_b64 vcc, exec, s[0:1]
	s_cbranch_vccnz .LBB424_570
; %bb.569:
	global_load_ubyte v2, v[0:1], off
	s_movk_i32 s0, 0x7f00
	s_brev_b32 s1, 16
	s_brev_b32 s28, 1
	s_mov_b32 s29, 0x2f800000
	s_waitcnt vmcnt(0)
	v_lshlrev_b16_e32 v3, 8, v2
	v_lshlrev_b32_e32 v2, 25, v2
	v_lshrrev_b32_e32 v4, 4, v2
	v_and_or_b32 v5, v3, s0, 0.5
	v_or_b32_e32 v4, 0x70000000, v4
	v_add_f32_e32 v5, -0.5, v5
	v_mul_f32_e32 v4, 0x7800000, v4
	v_cmp_gt_u32_e32 vcc, s1, v2
	v_bfe_i32 v3, v3, 0, 16
	s_mov_b32 s0, 0xcf800000
	v_cndmask_b32_e32 v2, v4, v5, vcc
	v_and_or_b32 v2, v3, s28, v2
	v_trunc_f32_e32 v2, v2
	v_mul_f32_e64 v3, |v2|, s29
	v_floor_f32_e32 v3, v3
	v_fma_f32 v3, v3, s0, |v2|
	v_cvt_u32_f32_e32 v3, v3
	v_ashrrev_i32_e32 v2, 31, v2
	v_xor_b32_e32 v3, v3, v2
	v_sub_u32_e32 v2, v3, v2
.LBB424_570:
	s_mov_b64 s[28:29], 0
	s_mov_b64 s[0:1], -1
.LBB424_571:
	s_andn2_b64 vcc, exec, s[28:29]
	s_cbranch_vccnz .LBB424_584
; %bb.572:
	s_cmp_gt_i32 s31, 14
	s_cbranch_scc0 .LBB424_575
; %bb.573:
	s_cmp_eq_u32 s31, 15
	s_cbranch_scc0 .LBB424_578
; %bb.574:
	global_load_ushort v2, v[0:1], off
	s_mov_b32 s0, 0x2f800000
	s_mov_b32 s1, 0xcf800000
	s_mov_b64 s[26:27], 0
	s_waitcnt vmcnt(0)
	v_lshlrev_b32_e32 v2, 16, v2
	v_trunc_f32_e32 v2, v2
	v_mul_f32_e64 v3, |v2|, s0
	v_floor_f32_e32 v3, v3
	v_fma_f32 v3, v3, s1, |v2|
	v_cvt_u32_f32_e32 v3, v3
	v_ashrrev_i32_e32 v2, 31, v2
	s_mov_b64 s[0:1], -1
	v_xor_b32_e32 v3, v3, v2
	v_sub_u32_e32 v2, v3, v2
	s_branch .LBB424_579
.LBB424_575:
	s_mov_b64 s[28:29], -1
                                        ; implicit-def: $vgpr2
	s_branch .LBB424_580
.LBB424_576:
	s_andn2_saveexec_b64 s[0:1], s[0:1]
	s_cbranch_execz .LBB424_557
.LBB424_577:
	v_cmp_ne_u16_e32 vcc, 0, v3
	s_andn2_b64 s[28:29], s[28:29], exec
	s_and_b64 s[34:35], vcc, exec
	s_or_b64 s[28:29], s[28:29], s[34:35]
	s_or_b64 exec, exec, s[0:1]
	v_mov_b32_e32 v2, 0
	s_and_saveexec_b64 s[0:1], s[28:29]
	s_cbranch_execnz .LBB424_558
	s_branch .LBB424_559
.LBB424_578:
	s_mov_b64 s[26:27], -1
                                        ; implicit-def: $vgpr2
.LBB424_579:
	s_mov_b64 s[28:29], 0
.LBB424_580:
	s_and_b64 vcc, exec, s[28:29]
	s_cbranch_vccz .LBB424_584
; %bb.581:
	s_cmp_eq_u32 s31, 11
	s_cbranch_scc0 .LBB424_583
; %bb.582:
	global_load_ubyte v2, v[0:1], off
	s_mov_b64 s[0:1], -1
	s_mov_b64 s[26:27], 0
	s_waitcnt vmcnt(0)
	v_cmp_ne_u16_e32 vcc, 0, v2
	s_nop 1
	v_cndmask_b32_e64 v2, 0, 1, vcc
	s_branch .LBB424_584
.LBB424_583:
	s_mov_b64 s[26:27], -1
                                        ; implicit-def: $vgpr2
.LBB424_584:
	s_mov_b64 s[28:29], 0
.LBB424_585:
	s_and_b64 vcc, exec, s[28:29]
	s_cbranch_vccz .LBB424_634
; %bb.586:
	s_and_b32 s28, 0xffff, s30
	s_cmp_lt_i32 s28, 5
	s_cbranch_scc1 .LBB424_591
; %bb.587:
	s_cmp_lt_i32 s28, 8
	s_cbranch_scc1 .LBB424_592
; %bb.588:
	;; [unrolled: 3-line block ×3, first 2 shown]
	s_cmp_gt_i32 s28, 9
	s_cbranch_scc0 .LBB424_594
; %bb.590:
	global_load_dwordx2 v[2:3], v[0:1], off
	s_movk_i32 s0, 0xffe0
	s_waitcnt vmcnt(0)
	v_trunc_f64_e32 v[2:3], v[2:3]
	v_ldexp_f64 v[4:5], v[2:3], s0
	v_floor_f64_e32 v[4:5], v[4:5]
	v_fmac_f64_e32 v[2:3], 0xc1f00000, v[4:5]
	v_cvt_u32_f64_e32 v2, v[2:3]
	s_mov_b64 s[0:1], 0
	s_branch .LBB424_595
.LBB424_591:
	s_mov_b64 s[0:1], -1
                                        ; implicit-def: $vgpr2
	s_branch .LBB424_613
.LBB424_592:
	s_mov_b64 s[0:1], -1
                                        ; implicit-def: $vgpr2
	s_branch .LBB424_601
.LBB424_593:
	s_mov_b64 s[0:1], -1
                                        ; implicit-def: $vgpr2
	s_branch .LBB424_598
.LBB424_594:
	s_mov_b64 s[0:1], -1
                                        ; implicit-def: $vgpr2
.LBB424_595:
	s_andn2_b64 vcc, exec, s[0:1]
	s_cbranch_vccnz .LBB424_597
; %bb.596:
	global_load_dword v2, v[0:1], off
	s_mov_b32 s0, 0x2f800000
	s_waitcnt vmcnt(0)
	v_trunc_f32_e32 v2, v2
	v_mul_f32_e64 v3, |v2|, s0
	v_floor_f32_e32 v3, v3
	s_mov_b32 s0, 0xcf800000
	v_fma_f32 v3, v3, s0, |v2|
	v_cvt_u32_f32_e32 v3, v3
	v_ashrrev_i32_e32 v2, 31, v2
	v_xor_b32_e32 v3, v3, v2
	v_sub_u32_e32 v2, v3, v2
.LBB424_597:
	s_mov_b64 s[0:1], 0
.LBB424_598:
	s_andn2_b64 vcc, exec, s[0:1]
	s_cbranch_vccnz .LBB424_600
; %bb.599:
	global_load_dword v2, v[0:1], off
	s_waitcnt vmcnt(0)
	v_cvt_f32_f16_e32 v2, v2
	v_cvt_i32_f32_e32 v2, v2
.LBB424_600:
	s_mov_b64 s[0:1], 0
.LBB424_601:
	s_andn2_b64 vcc, exec, s[0:1]
	s_cbranch_vccnz .LBB424_612
; %bb.602:
	s_cmp_lt_i32 s28, 6
	s_cbranch_scc1 .LBB424_605
; %bb.603:
	s_cmp_gt_i32 s28, 6
	s_cbranch_scc0 .LBB424_606
; %bb.604:
	global_load_dwordx2 v[2:3], v[0:1], off
	s_movk_i32 s0, 0xffe0
	s_waitcnt vmcnt(0)
	v_trunc_f64_e32 v[2:3], v[2:3]
	v_ldexp_f64 v[4:5], v[2:3], s0
	v_floor_f64_e32 v[4:5], v[4:5]
	v_fmac_f64_e32 v[2:3], 0xc1f00000, v[4:5]
	v_cvt_u32_f64_e32 v2, v[2:3]
	s_mov_b64 s[0:1], 0
	s_branch .LBB424_607
.LBB424_605:
	s_mov_b64 s[0:1], -1
                                        ; implicit-def: $vgpr2
	s_branch .LBB424_610
.LBB424_606:
	s_mov_b64 s[0:1], -1
                                        ; implicit-def: $vgpr2
.LBB424_607:
	s_andn2_b64 vcc, exec, s[0:1]
	s_cbranch_vccnz .LBB424_609
; %bb.608:
	global_load_dword v2, v[0:1], off
	s_mov_b32 s0, 0x2f800000
	s_waitcnt vmcnt(0)
	v_trunc_f32_e32 v2, v2
	v_mul_f32_e64 v3, |v2|, s0
	v_floor_f32_e32 v3, v3
	s_mov_b32 s0, 0xcf800000
	v_fma_f32 v3, v3, s0, |v2|
	v_cvt_u32_f32_e32 v3, v3
	v_ashrrev_i32_e32 v2, 31, v2
	v_xor_b32_e32 v3, v3, v2
	v_sub_u32_e32 v2, v3, v2
.LBB424_609:
	s_mov_b64 s[0:1], 0
.LBB424_610:
	s_andn2_b64 vcc, exec, s[0:1]
	s_cbranch_vccnz .LBB424_612
; %bb.611:
	global_load_ushort v2, v[0:1], off
	s_waitcnt vmcnt(0)
	v_cvt_f32_f16_e32 v2, v2
	v_cvt_i32_f32_e32 v2, v2
.LBB424_612:
	s_mov_b64 s[0:1], 0
.LBB424_613:
	s_andn2_b64 vcc, exec, s[0:1]
	s_cbranch_vccnz .LBB424_633
; %bb.614:
	s_cmp_lt_i32 s28, 2
	s_cbranch_scc1 .LBB424_618
; %bb.615:
	s_cmp_lt_i32 s28, 3
	s_cbranch_scc1 .LBB424_619
; %bb.616:
	s_cmp_gt_i32 s28, 3
	s_cbranch_scc0 .LBB424_620
; %bb.617:
	global_load_dwordx2 v[2:3], v[0:1], off
	s_mov_b64 s[0:1], 0
	s_branch .LBB424_621
.LBB424_618:
	s_mov_b64 s[0:1], -1
                                        ; implicit-def: $vgpr2
	s_branch .LBB424_627
.LBB424_619:
	s_mov_b64 s[0:1], -1
                                        ; implicit-def: $vgpr2
	s_branch .LBB424_624
.LBB424_620:
	s_mov_b64 s[0:1], -1
                                        ; implicit-def: $vgpr2
.LBB424_621:
	s_andn2_b64 vcc, exec, s[0:1]
	s_cbranch_vccnz .LBB424_623
; %bb.622:
	global_load_dword v2, v[0:1], off
.LBB424_623:
	s_mov_b64 s[0:1], 0
.LBB424_624:
	s_andn2_b64 vcc, exec, s[0:1]
	s_cbranch_vccnz .LBB424_626
; %bb.625:
	global_load_ushort v2, v[0:1], off
.LBB424_626:
	s_mov_b64 s[0:1], 0
.LBB424_627:
	s_andn2_b64 vcc, exec, s[0:1]
	s_cbranch_vccnz .LBB424_633
; %bb.628:
	s_cmp_gt_i32 s28, 0
	s_cbranch_scc0 .LBB424_630
; %bb.629:
	global_load_ubyte v2, v[0:1], off
	s_mov_b64 s[0:1], 0
	s_branch .LBB424_631
.LBB424_630:
	s_mov_b64 s[0:1], -1
                                        ; implicit-def: $vgpr2
.LBB424_631:
	s_andn2_b64 vcc, exec, s[0:1]
	s_cbranch_vccnz .LBB424_633
; %bb.632:
	global_load_ubyte v2, v[0:1], off
.LBB424_633:
	s_mov_b64 s[0:1], -1
.LBB424_634:
	s_andn2_b64 vcc, exec, s[0:1]
	s_cbranch_vccnz .LBB424_642
; %bb.635:
	s_and_b32 s0, s33, 0xff
	s_waitcnt vmcnt(0)
	v_min_u16_sdwa v0, v2, s0 dst_sel:DWORD dst_unused:UNUSED_PAD src0_sel:BYTE_0 src1_sel:DWORD
	v_mul_lo_u32 v2, v10, s8
	v_ashrrev_i32_e32 v3, 31, v2
	s_and_b32 s36, s42, 0xff
	s_cmp_lt_i32 s36, 11
	v_lshl_add_u64 v[2:3], s[4:5], 0, v[2:3]
	s_cbranch_scc1 .LBB424_643
; %bb.636:
	s_and_b32 s37, 0xffff, s36
	s_cmp_gt_i32 s37, 25
	s_cbranch_scc0 .LBB424_644
; %bb.637:
	s_cmp_gt_i32 s37, 28
	s_cbranch_scc0 .LBB424_645
; %bb.638:
	;; [unrolled: 3-line block ×4, first 2 shown]
	s_mov_b64 s[30:31], 0
	s_mov_b64 s[0:1], -1
	s_cmp_eq_u32 s37, 46
	s_mov_b64 s[28:29], 0
	s_cbranch_scc0 .LBB424_648
; %bb.641:
	v_cvt_f32_ubyte0_e32 v1, v0
	v_bfe_u32 v4, v1, 16, 1
	s_movk_i32 s0, 0x7fff
	v_add3_u32 v1, v1, v4, s0
	v_lshrrev_b32_e32 v1, 16, v1
	global_store_dword v[2:3], v1, off
	s_mov_b64 s[28:29], -1
	s_mov_b64 s[0:1], 0
	s_branch .LBB424_648
.LBB424_642:
	s_mov_b64 s[30:31], 0
                                        ; implicit-def: $vgpr10
	s_mov_b64 s[0:1], s[20:21]
	s_branch .LBB424_759
.LBB424_643:
	s_mov_b64 s[30:31], -1
	s_mov_b64 s[28:29], 0
	s_mov_b64 s[0:1], s[20:21]
	s_branch .LBB424_717
.LBB424_644:
	s_mov_b64 s[30:31], -1
	s_mov_b64 s[28:29], 0
	s_mov_b64 s[0:1], s[20:21]
	s_branch .LBB424_675
.LBB424_645:
	s_mov_b64 s[30:31], -1
	s_mov_b64 s[28:29], 0
	s_mov_b64 s[0:1], s[20:21]
	s_branch .LBB424_658
.LBB424_646:
	s_mov_b64 s[30:31], -1
	s_mov_b64 s[28:29], 0
	s_mov_b64 s[0:1], s[20:21]
	s_branch .LBB424_654
.LBB424_647:
	s_mov_b64 s[30:31], -1
	s_mov_b64 s[28:29], 0
	s_mov_b64 s[0:1], s[20:21]
.LBB424_648:
	s_and_b64 vcc, exec, s[30:31]
	s_cbranch_vccz .LBB424_653
; %bb.649:
	s_cmp_eq_u32 s37, 44
	s_mov_b64 s[0:1], -1
	s_cbranch_scc0 .LBB424_653
; %bb.650:
	v_cvt_f32_ubyte0_e32 v4, v0
	v_lshrrev_b32_e32 v1, 23, v4
	s_movk_i32 s0, 0xff
	v_cmp_ne_u32_e32 vcc, s0, v1
	v_mov_b32_e32 v5, 0xff
	s_and_saveexec_b64 s[28:29], vcc
; %bb.651:
	s_mov_b32 s0, 0x3fffff
	v_and_b32_e32 v5, 0x400000, v4
	v_and_or_b32 v4, v4, s0, v1
	v_cmp_ne_u32_e32 vcc, 0, v5
	v_cmp_ne_u32_e64 s[0:1], 0, v4
	s_and_b64 s[0:1], vcc, s[0:1]
	s_nop 0
	v_cndmask_b32_e64 v4, 0, 1, s[0:1]
	v_add_u32_e32 v5, v1, v4
; %bb.652:
	s_or_b64 exec, exec, s[28:29]
	s_mov_b64 s[28:29], -1
	s_mov_b64 s[0:1], 0
	global_store_byte v[2:3], v5, off
.LBB424_653:
	s_mov_b64 s[30:31], 0
.LBB424_654:
	s_and_b64 vcc, exec, s[30:31]
	s_cbranch_vccz .LBB424_657
; %bb.655:
	s_cmp_eq_u32 s37, 29
	s_mov_b64 s[0:1], -1
	s_cbranch_scc0 .LBB424_657
; %bb.656:
	s_mov_b32 s0, 0
	v_mov_b32_e32 v1, s0
	global_store_dwordx2 v[2:3], v[0:1], off
	s_mov_b64 s[28:29], -1
	s_mov_b64 s[0:1], 0
.LBB424_657:
	s_mov_b64 s[30:31], 0
.LBB424_658:
	s_and_b64 vcc, exec, s[30:31]
	s_cbranch_vccz .LBB424_674
; %bb.659:
	s_cmp_lt_i32 s37, 27
	s_mov_b64 s[28:29], -1
	s_cbranch_scc1 .LBB424_665
; %bb.660:
	s_cmp_gt_i32 s37, 27
	s_cbranch_scc0 .LBB424_662
; %bb.661:
	s_mov_b64 s[28:29], 0
	global_store_dword v[2:3], v0, off
.LBB424_662:
	s_andn2_b64 vcc, exec, s[28:29]
	s_cbranch_vccnz .LBB424_664
; %bb.663:
	global_store_short v[2:3], v0, off
.LBB424_664:
	s_mov_b64 s[28:29], 0
.LBB424_665:
	s_andn2_b64 vcc, exec, s[28:29]
	s_cbranch_vccnz .LBB424_673
; %bb.666:
	v_cvt_f32_ubyte0_e32 v4, v0
	s_mov_b32 s28, 0x43800000
	v_cmp_gt_u32_e32 vcc, s28, v4
	v_mov_b32_e32 v5, 0x80
	s_and_saveexec_b64 s[28:29], vcc
	s_cbranch_execz .LBB424_672
; %bb.667:
	s_mov_b32 s30, 0x3bffffff
	v_cmp_lt_u32_e32 vcc, s30, v4
	s_mov_b64 s[30:31], 0
                                        ; implicit-def: $vgpr1
	s_and_saveexec_b64 s[34:35], vcc
	s_xor_b64 s[34:35], exec, s[34:35]
	s_cbranch_execz .LBB424_773
; %bb.668:
	v_bfe_u32 v1, v4, 20, 1
	s_mov_b32 s39, 0x487ffff
	v_add3_u32 v1, v4, v1, s39
	s_mov_b64 s[30:31], exec
	v_lshrrev_b32_e32 v1, 20, v1
                                        ; implicit-def: $vgpr4
	s_andn2_saveexec_b64 s[34:35], s[34:35]
	s_cbranch_execnz .LBB424_774
.LBB424_669:
	s_or_b64 exec, exec, s[34:35]
	v_mov_b32_e32 v5, 0
	s_and_saveexec_b64 s[34:35], s[30:31]
.LBB424_670:
	v_mov_b32_e32 v5, v1
.LBB424_671:
	s_or_b64 exec, exec, s[34:35]
.LBB424_672:
	s_or_b64 exec, exec, s[28:29]
	global_store_byte v[2:3], v5, off
.LBB424_673:
	s_mov_b64 s[28:29], -1
.LBB424_674:
	s_mov_b64 s[30:31], 0
.LBB424_675:
	s_and_b64 vcc, exec, s[30:31]
	s_cbranch_vccz .LBB424_716
; %bb.676:
	s_cmp_gt_i32 s37, 22
	s_mov_b64 s[30:31], -1
	s_cbranch_scc0 .LBB424_708
; %bb.677:
	s_cmp_lt_i32 s37, 24
	s_mov_b64 s[28:29], -1
	s_cbranch_scc1 .LBB424_697
; %bb.678:
	s_cmp_gt_i32 s37, 24
	s_cbranch_scc0 .LBB424_686
; %bb.679:
	v_cvt_f32_ubyte0_e32 v4, v0
	s_mov_b32 s28, 0x47800000
	v_cmp_gt_u32_e32 vcc, s28, v4
	v_mov_b32_e32 v5, 0x80
	s_and_saveexec_b64 s[28:29], vcc
	s_cbranch_execz .LBB424_685
; %bb.680:
	s_mov_b32 s30, 0x37ffffff
	v_cmp_lt_u32_e32 vcc, s30, v4
	s_mov_b64 s[30:31], 0
                                        ; implicit-def: $vgpr1
	s_and_saveexec_b64 s[34:35], vcc
	s_xor_b64 s[34:35], exec, s[34:35]
	s_cbranch_execz .LBB424_776
; %bb.681:
	v_bfe_u32 v1, v4, 21, 1
	s_mov_b32 s39, 0x88fffff
	v_add3_u32 v1, v4, v1, s39
	s_mov_b64 s[30:31], exec
	v_lshrrev_b32_e32 v1, 21, v1
                                        ; implicit-def: $vgpr4
	s_andn2_saveexec_b64 s[34:35], s[34:35]
	s_cbranch_execnz .LBB424_777
.LBB424_682:
	s_or_b64 exec, exec, s[34:35]
	v_mov_b32_e32 v5, 0
	s_and_saveexec_b64 s[34:35], s[30:31]
.LBB424_683:
	v_mov_b32_e32 v5, v1
.LBB424_684:
	s_or_b64 exec, exec, s[34:35]
.LBB424_685:
	s_or_b64 exec, exec, s[28:29]
	s_mov_b64 s[28:29], 0
	global_store_byte v[2:3], v5, off
.LBB424_686:
	s_and_b64 vcc, exec, s[28:29]
	s_cbranch_vccz .LBB424_696
; %bb.687:
	v_cvt_f32_ubyte0_e32 v1, v0
	s_mov_b32 s28, 0x43f00000
	v_cmp_gt_u32_e32 vcc, s28, v1
                                        ; implicit-def: $vgpr4
	s_and_saveexec_b64 s[28:29], vcc
	s_xor_b64 s[28:29], exec, s[28:29]
	s_cbranch_execz .LBB424_693
; %bb.688:
	s_mov_b32 s30, 0x3c7fffff
	v_cmp_lt_u32_e32 vcc, s30, v1
                                        ; implicit-def: $vgpr4
	s_and_saveexec_b64 s[30:31], vcc
	s_xor_b64 s[30:31], exec, s[30:31]
; %bb.689:
	v_bfe_u32 v4, v1, 20, 1
	s_mov_b32 s34, 0x407ffff
	v_add3_u32 v1, v1, v4, s34
	v_lshrrev_b32_e32 v4, 20, v1
	v_and_b32_e32 v1, 0xff00000, v1
	s_mov_b32 s34, 0x7f00000
	v_mov_b32_e32 v5, 0x7e
	v_cmp_ne_u32_e32 vcc, s34, v1
                                        ; implicit-def: $vgpr1
	s_nop 1
	v_cndmask_b32_e32 v4, v5, v4, vcc
; %bb.690:
	s_andn2_saveexec_b64 s[30:31], s[30:31]
; %bb.691:
	v_add_f32_e32 v4, 0x46800000, v1
; %bb.692:
	s_or_b64 exec, exec, s[30:31]
                                        ; implicit-def: $vgpr1
.LBB424_693:
	s_andn2_saveexec_b64 s[28:29], s[28:29]
; %bb.694:
	s_mov_b32 s30, 0x7f800000
	v_mov_b32_e32 v4, 0x7e
	v_mov_b32_e32 v5, 0x7f
	v_cmp_lt_u32_e32 vcc, s30, v1
	s_nop 1
	v_cndmask_b32_e32 v4, v4, v5, vcc
; %bb.695:
	s_or_b64 exec, exec, s[28:29]
	global_store_byte v[2:3], v4, off
.LBB424_696:
	s_mov_b64 s[28:29], 0
.LBB424_697:
	s_andn2_b64 vcc, exec, s[28:29]
	s_cbranch_vccnz .LBB424_707
; %bb.698:
	v_cvt_f32_ubyte0_e32 v1, v0
	s_mov_b32 s28, 0x47800000
	v_cmp_gt_u32_e32 vcc, s28, v1
                                        ; implicit-def: $vgpr4
	s_and_saveexec_b64 s[28:29], vcc
	s_xor_b64 s[28:29], exec, s[28:29]
	s_cbranch_execz .LBB424_704
; %bb.699:
	s_mov_b32 s30, 0x387fffff
	v_cmp_lt_u32_e32 vcc, s30, v1
                                        ; implicit-def: $vgpr4
	s_and_saveexec_b64 s[30:31], vcc
	s_xor_b64 s[30:31], exec, s[30:31]
; %bb.700:
	v_bfe_u32 v4, v1, 21, 1
	s_mov_b32 s34, 0x80fffff
	v_add3_u32 v1, v1, v4, s34
	v_lshrrev_b32_e32 v4, 21, v1
                                        ; implicit-def: $vgpr1
; %bb.701:
	s_andn2_saveexec_b64 s[30:31], s[30:31]
; %bb.702:
	v_add_f32_e32 v4, 0x43000000, v1
; %bb.703:
	s_or_b64 exec, exec, s[30:31]
                                        ; implicit-def: $vgpr1
.LBB424_704:
	s_andn2_saveexec_b64 s[28:29], s[28:29]
; %bb.705:
	s_mov_b32 s30, 0x7f800000
	v_mov_b32_e32 v4, 0x7c
	v_mov_b32_e32 v5, 0x7f
	v_cmp_lt_u32_e32 vcc, s30, v1
	s_nop 1
	v_cndmask_b32_e32 v4, v4, v5, vcc
; %bb.706:
	s_or_b64 exec, exec, s[28:29]
	global_store_byte v[2:3], v4, off
.LBB424_707:
	s_mov_b64 s[30:31], 0
	s_mov_b64 s[28:29], -1
.LBB424_708:
	s_andn2_b64 vcc, exec, s[30:31]
	s_cbranch_vccnz .LBB424_716
; %bb.709:
	s_cmp_gt_i32 s37, 14
	s_mov_b64 s[30:31], -1
	s_cbranch_scc0 .LBB424_713
; %bb.710:
	s_cmp_eq_u32 s37, 15
	s_mov_b64 s[0:1], -1
	s_cbranch_scc0 .LBB424_712
; %bb.711:
	v_cvt_f32_ubyte0_e32 v1, v0
	v_bfe_u32 v4, v1, 16, 1
	s_movk_i32 s0, 0x7fff
	v_add3_u32 v1, v1, v4, s0
	global_store_short_d16_hi v[2:3], v1, off
	s_mov_b64 s[28:29], -1
	s_mov_b64 s[0:1], 0
.LBB424_712:
	s_mov_b64 s[30:31], 0
.LBB424_713:
	s_and_b64 vcc, exec, s[30:31]
	s_cbranch_vccz .LBB424_716
; %bb.714:
	s_cmp_eq_u32 s37, 11
	s_mov_b64 s[0:1], -1
	s_cbranch_scc0 .LBB424_716
; %bb.715:
	v_cmp_ne_u16_e32 vcc, 0, v0
	s_mov_b64 s[28:29], -1
	s_mov_b64 s[0:1], 0
	v_cndmask_b32_e64 v1, 0, 1, vcc
	global_store_byte v[2:3], v1, off
.LBB424_716:
	s_mov_b64 s[30:31], 0
.LBB424_717:
	s_and_b64 vcc, exec, s[30:31]
	s_cbranch_vccz .LBB424_756
; %bb.718:
	s_and_b32 s30, 0xffff, s36
	s_cmp_lt_i32 s30, 5
	s_mov_b64 s[28:29], -1
	s_cbranch_scc1 .LBB424_739
; %bb.719:
	s_cmp_lt_i32 s30, 8
	s_cbranch_scc1 .LBB424_729
; %bb.720:
	s_cmp_lt_i32 s30, 9
	s_cbranch_scc1 .LBB424_726
; %bb.721:
	s_cmp_gt_i32 s30, 9
	s_cbranch_scc0 .LBB424_723
; %bb.722:
	v_mov_b32_e32 v6, 0
	v_cvt_f64_u32_e32 v[4:5], v0
	v_mov_b32_e32 v7, v6
	s_mov_b64 s[28:29], 0
	global_store_dwordx4 v[2:3], v[4:7], off
.LBB424_723:
	s_andn2_b64 vcc, exec, s[28:29]
	s_cbranch_vccnz .LBB424_725
; %bb.724:
	v_cvt_f32_ubyte0_e32 v4, v0
	v_mov_b32_e32 v5, 0
	global_store_dwordx2 v[2:3], v[4:5], off
.LBB424_725:
	s_mov_b64 s[28:29], 0
.LBB424_726:
	s_andn2_b64 vcc, exec, s[28:29]
	s_cbranch_vccnz .LBB424_728
; %bb.727:
	v_cvt_f16_u16_e32 v1, v0
	global_store_dword v[2:3], v1, off
.LBB424_728:
	s_mov_b64 s[28:29], 0
.LBB424_729:
	s_andn2_b64 vcc, exec, s[28:29]
	s_cbranch_vccnz .LBB424_738
; %bb.730:
	s_cmp_lt_i32 s30, 6
	s_mov_b64 s[28:29], -1
	s_cbranch_scc1 .LBB424_736
; %bb.731:
	s_cmp_gt_i32 s30, 6
	s_cbranch_scc0 .LBB424_733
; %bb.732:
	v_cvt_f64_u32_e32 v[4:5], v0
	s_mov_b64 s[28:29], 0
	global_store_dwordx2 v[2:3], v[4:5], off
.LBB424_733:
	s_andn2_b64 vcc, exec, s[28:29]
	s_cbranch_vccnz .LBB424_735
; %bb.734:
	v_cvt_f32_ubyte0_e32 v1, v0
	global_store_dword v[2:3], v1, off
.LBB424_735:
	s_mov_b64 s[28:29], 0
.LBB424_736:
	s_andn2_b64 vcc, exec, s[28:29]
	s_cbranch_vccnz .LBB424_738
; %bb.737:
	v_cvt_f16_u16_e32 v1, v0
	global_store_short v[2:3], v1, off
.LBB424_738:
	s_mov_b64 s[28:29], 0
.LBB424_739:
	s_andn2_b64 vcc, exec, s[28:29]
	s_cbranch_vccnz .LBB424_755
; %bb.740:
	s_cmp_lt_i32 s30, 2
	s_mov_b64 s[28:29], -1
	s_cbranch_scc1 .LBB424_750
; %bb.741:
	s_cmp_lt_i32 s30, 3
	s_cbranch_scc1 .LBB424_747
; %bb.742:
	s_cmp_gt_i32 s30, 3
	s_cbranch_scc0 .LBB424_744
; %bb.743:
	s_mov_b32 s28, 0
	v_mov_b32_e32 v1, s28
	s_mov_b64 s[28:29], 0
	global_store_dwordx2 v[2:3], v[0:1], off
.LBB424_744:
	s_andn2_b64 vcc, exec, s[28:29]
	s_cbranch_vccnz .LBB424_746
; %bb.745:
	global_store_dword v[2:3], v0, off
.LBB424_746:
	s_mov_b64 s[28:29], 0
.LBB424_747:
	s_andn2_b64 vcc, exec, s[28:29]
	s_cbranch_vccnz .LBB424_749
; %bb.748:
	global_store_short v[2:3], v0, off
.LBB424_749:
	s_mov_b64 s[28:29], 0
.LBB424_750:
	s_andn2_b64 vcc, exec, s[28:29]
	s_cbranch_vccnz .LBB424_755
; %bb.751:
	s_cmp_gt_i32 s30, 0
	s_mov_b64 s[28:29], -1
	s_cbranch_scc0 .LBB424_753
; %bb.752:
	s_mov_b64 s[28:29], 0
	global_store_byte v[2:3], v0, off
.LBB424_753:
	s_andn2_b64 vcc, exec, s[28:29]
	s_cbranch_vccnz .LBB424_755
; %bb.754:
	global_store_byte v[2:3], v0, off
.LBB424_755:
	s_mov_b64 s[28:29], -1
.LBB424_756:
	s_andn2_b64 vcc, exec, s[28:29]
	s_cbranch_vccnz .LBB424_758
; %bb.757:
	v_add_u32_e32 v10, 0x80, v10
	s_mov_b64 s[30:31], -1
	s_branch .LBB424_759
.LBB424_758:
	s_mov_b64 s[30:31], 0
                                        ; implicit-def: $vgpr10
.LBB424_759:
	s_andn2_b64 s[28:29], s[20:21], exec
	s_and_b64 s[0:1], s[0:1], exec
	s_or_b64 s[28:29], s[28:29], s[0:1]
	s_andn2_b64 s[0:1], s[18:19], exec
	s_and_b64 s[26:27], s[26:27], exec
	s_or_b64 s[0:1], s[0:1], s[26:27]
	s_orn2_b64 s[34:35], s[30:31], exec
.LBB424_760:
	s_or_b64 exec, exec, s[24:25]
	s_mov_b64 s[30:31], 0
	s_mov_b64 s[26:27], 0
	;; [unrolled: 1-line block ×3, first 2 shown]
                                        ; implicit-def: $sgpr44
                                        ; implicit-def: $vgpr0_vgpr1
                                        ; implicit-def: $vgpr4
	s_and_saveexec_b64 s[24:25], s[34:35]
	s_cbranch_execz .LBB424_841
; %bb.761:
	v_cmp_gt_i32_e32 vcc, s38, v10
	s_mov_b64 s[34:35], 0
	s_mov_b64 s[38:39], s[0:1]
	;; [unrolled: 1-line block ×3, first 2 shown]
                                        ; implicit-def: $sgpr44
                                        ; implicit-def: $vgpr0_vgpr1
                                        ; implicit-def: $vgpr4
	s_and_saveexec_b64 s[26:27], vcc
	s_cbranch_execz .LBB424_840
; %bb.762:
	v_mul_lo_u32 v0, v10, s9
	v_ashrrev_i32_e32 v1, 31, v0
	s_and_b32 s44, s43, 0xff
	s_cmp_lt_i32 s44, 11
	v_lshl_add_u64 v[0:1], s[6:7], 0, v[0:1]
	s_cbranch_scc1 .LBB424_769
; %bb.763:
	s_and_b32 s40, 0xffff, s44
	s_cmp_gt_i32 s40, 25
	s_cbranch_scc0 .LBB424_770
; %bb.764:
	s_cmp_gt_i32 s40, 28
	s_cbranch_scc0 .LBB424_771
; %bb.765:
	;; [unrolled: 3-line block ×4, first 2 shown]
	s_cmp_eq_u32 s40, 46
	s_mov_b64 s[38:39], 0
	s_cbranch_scc0 .LBB424_778
; %bb.768:
	global_load_dword v2, v[0:1], off
	s_mov_b32 s30, 0x2f800000
	s_mov_b32 s31, 0xcf800000
	s_mov_b64 s[36:37], -1
	s_waitcnt vmcnt(0)
	v_lshlrev_b32_e32 v2, 16, v2
	v_trunc_f32_e32 v2, v2
	v_mul_f32_e64 v3, |v2|, s30
	v_floor_f32_e32 v3, v3
	v_fma_f32 v3, v3, s31, |v2|
	v_cvt_u32_f32_e32 v3, v3
	v_ashrrev_i32_e32 v2, 31, v2
	s_mov_b64 s[30:31], 0
	v_xor_b32_e32 v3, v3, v2
	v_sub_u32_e32 v4, v3, v2
	s_branch .LBB424_780
.LBB424_769:
	s_mov_b64 s[38:39], -1
                                        ; implicit-def: $vgpr4
	s_mov_b64 s[30:31], s[0:1]
	s_branch .LBB424_839
.LBB424_770:
	s_mov_b64 s[38:39], -1
	s_mov_b64 s[30:31], s[0:1]
                                        ; implicit-def: $vgpr4
	s_branch .LBB424_807
.LBB424_771:
	s_mov_b64 s[38:39], -1
	s_mov_b64 s[30:31], s[0:1]
                                        ; implicit-def: $vgpr4
	s_branch .LBB424_790
.LBB424_772:
	s_mov_b64 s[38:39], -1
	s_mov_b64 s[30:31], s[0:1]
                                        ; implicit-def: $vgpr4
	s_branch .LBB424_785
.LBB424_773:
	s_andn2_saveexec_b64 s[34:35], s[34:35]
	s_cbranch_execz .LBB424_669
.LBB424_774:
	v_add_f32_e32 v1, 0x46000000, v4
	v_and_b32_e32 v1, 0xff, v1
	v_cmp_ne_u32_e32 vcc, 0, v1
	s_andn2_b64 s[30:31], s[30:31], exec
	s_and_b64 s[40:41], vcc, exec
	s_or_b64 s[30:31], s[30:31], s[40:41]
	s_or_b64 exec, exec, s[34:35]
	v_mov_b32_e32 v5, 0
	s_and_saveexec_b64 s[34:35], s[30:31]
	s_cbranch_execnz .LBB424_670
	s_branch .LBB424_671
.LBB424_775:
	s_mov_b64 s[38:39], -1
	s_mov_b64 s[30:31], s[0:1]
	s_branch .LBB424_779
.LBB424_776:
	s_andn2_saveexec_b64 s[34:35], s[34:35]
	s_cbranch_execz .LBB424_682
.LBB424_777:
	v_add_f32_e32 v1, 0x42800000, v4
	v_and_b32_e32 v1, 0xff, v1
	v_cmp_ne_u32_e32 vcc, 0, v1
	s_andn2_b64 s[30:31], s[30:31], exec
	s_and_b64 s[40:41], vcc, exec
	s_or_b64 s[30:31], s[30:31], s[40:41]
	s_or_b64 exec, exec, s[34:35]
	v_mov_b32_e32 v5, 0
	s_and_saveexec_b64 s[34:35], s[30:31]
	s_cbranch_execnz .LBB424_683
	s_branch .LBB424_684
.LBB424_778:
	s_mov_b64 s[30:31], -1
.LBB424_779:
                                        ; implicit-def: $vgpr4
.LBB424_780:
	s_and_b64 vcc, exec, s[38:39]
	s_cbranch_vccz .LBB424_784
; %bb.781:
	s_cmp_eq_u32 s40, 44
	s_cbranch_scc0 .LBB424_783
; %bb.782:
	global_load_ubyte v2, v[0:1], off
	s_mov_b32 s30, 0x2f800000
	s_mov_b32 s31, 0xcf800000
	s_mov_b64 s[36:37], -1
	s_waitcnt vmcnt(0)
	v_lshlrev_b32_e32 v3, 23, v2
	v_trunc_f32_e32 v3, v3
	v_mul_f32_e64 v4, |v3|, s30
	v_floor_f32_e32 v4, v4
	v_fma_f32 v4, v4, s31, |v3|
	v_cvt_u32_f32_e32 v4, v4
	v_ashrrev_i32_e32 v3, 31, v3
	v_cmp_ne_u32_e32 vcc, 0, v2
	s_mov_b64 s[30:31], 0
	v_xor_b32_e32 v4, v4, v3
	v_sub_u32_e32 v3, v4, v3
	v_cndmask_b32_e32 v4, 0, v3, vcc
	s_branch .LBB424_784
.LBB424_783:
	s_mov_b64 s[30:31], -1
                                        ; implicit-def: $vgpr4
.LBB424_784:
	s_mov_b64 s[38:39], 0
.LBB424_785:
	s_and_b64 vcc, exec, s[38:39]
	s_cbranch_vccz .LBB424_789
; %bb.786:
	s_cmp_eq_u32 s40, 29
	s_cbranch_scc0 .LBB424_788
; %bb.787:
	global_load_dwordx2 v[4:5], v[0:1], off
	s_mov_b64 s[30:31], 0
	s_mov_b64 s[36:37], -1
	s_branch .LBB424_789
.LBB424_788:
	s_mov_b64 s[30:31], -1
                                        ; implicit-def: $vgpr4
.LBB424_789:
	s_mov_b64 s[38:39], 0
.LBB424_790:
	s_and_b64 vcc, exec, s[38:39]
	s_cbranch_vccz .LBB424_806
; %bb.791:
	s_cmp_lt_i32 s40, 27
	s_cbranch_scc1 .LBB424_794
; %bb.792:
	s_cmp_gt_i32 s40, 27
	s_cbranch_scc0 .LBB424_795
; %bb.793:
	global_load_dword v4, v[0:1], off
	s_mov_b64 s[36:37], 0
	s_branch .LBB424_796
.LBB424_794:
	s_mov_b64 s[36:37], -1
                                        ; implicit-def: $vgpr4
	s_branch .LBB424_799
.LBB424_795:
	s_mov_b64 s[36:37], -1
                                        ; implicit-def: $vgpr4
.LBB424_796:
	s_andn2_b64 vcc, exec, s[36:37]
	s_cbranch_vccnz .LBB424_798
; %bb.797:
	global_load_ushort v4, v[0:1], off
.LBB424_798:
	s_mov_b64 s[36:37], 0
.LBB424_799:
	s_andn2_b64 vcc, exec, s[36:37]
	s_cbranch_vccnz .LBB424_805
; %bb.800:
	global_load_ubyte v2, v[0:1], off
	s_movk_i32 s36, 0x7f
	s_mov_b64 s[38:39], 0
	s_waitcnt vmcnt(0)
	v_cmp_lt_i16_e32 vcc, s36, v2
	s_and_saveexec_b64 s[36:37], vcc
	s_xor_b64 s[36:37], exec, s[36:37]
	s_cbranch_execz .LBB424_817
; %bb.801:
	s_movk_i32 s38, 0x80
	v_cmp_ne_u16_e32 vcc, s38, v2
	s_and_b64 s[38:39], vcc, exec
	s_andn2_saveexec_b64 s[36:37], s[36:37]
	s_cbranch_execnz .LBB424_818
.LBB424_802:
	s_or_b64 exec, exec, s[36:37]
	v_mov_b32_e32 v4, 0
	s_and_saveexec_b64 s[36:37], s[38:39]
	s_cbranch_execz .LBB424_804
.LBB424_803:
	v_lshlrev_b32_e32 v3, 24, v2
	v_and_b32_e32 v2, 0xffff, v2
	v_and_b32_e32 v4, 7, v2
	v_ffbh_u32_e32 v6, v4
	v_min_u32_e32 v6, 32, v6
	v_subrev_u32_e32 v7, 28, v6
	v_bfe_u32 v5, v2, 3, 4
	v_lshlrev_b32_e32 v2, v7, v2
	v_sub_u32_e32 v6, 29, v6
	v_and_b32_e32 v2, 7, v2
	v_cmp_eq_u32_e32 vcc, 0, v5
	v_and_b32_e32 v3, 0x80000000, v3
	s_mov_b32 s38, 0x2f800000
	v_cndmask_b32_e32 v5, v5, v6, vcc
	v_cndmask_b32_e32 v2, v4, v2, vcc
	v_mov_b32_e32 v4, 0x3b800000
	v_lshlrev_b32_e32 v2, 20, v2
	v_lshl_add_u32 v4, v5, 23, v4
	v_or3_b32 v2, v3, v4, v2
	v_trunc_f32_e32 v2, v2
	v_mul_f32_e64 v3, |v2|, s38
	v_floor_f32_e32 v3, v3
	s_mov_b32 s38, 0xcf800000
	v_fma_f32 v3, v3, s38, |v2|
	v_cvt_u32_f32_e32 v3, v3
	v_ashrrev_i32_e32 v2, 31, v2
	v_xor_b32_e32 v3, v3, v2
	v_sub_u32_e32 v4, v3, v2
.LBB424_804:
	s_or_b64 exec, exec, s[36:37]
.LBB424_805:
	s_mov_b64 s[36:37], -1
.LBB424_806:
	s_mov_b64 s[38:39], 0
.LBB424_807:
	s_and_b64 vcc, exec, s[38:39]
	s_cbranch_vccz .LBB424_838
; %bb.808:
	s_cmp_gt_i32 s40, 22
	s_cbranch_scc0 .LBB424_816
; %bb.809:
	s_cmp_lt_i32 s40, 24
	s_cbranch_scc1 .LBB424_819
; %bb.810:
	s_cmp_gt_i32 s40, 24
	s_cbranch_scc0 .LBB424_820
; %bb.811:
	global_load_ubyte v2, v[0:1], off
	s_movk_i32 s34, 0x7f
	s_mov_b64 s[36:37], 0
	s_waitcnt vmcnt(0)
	v_cmp_lt_i16_e32 vcc, s34, v2
	s_and_saveexec_b64 s[34:35], vcc
	s_xor_b64 s[34:35], exec, s[34:35]
	s_cbranch_execz .LBB424_832
; %bb.812:
	s_movk_i32 s36, 0x80
	v_cmp_ne_u16_e32 vcc, s36, v2
	s_and_b64 s[36:37], vcc, exec
	s_andn2_saveexec_b64 s[34:35], s[34:35]
	s_cbranch_execnz .LBB424_833
.LBB424_813:
	s_or_b64 exec, exec, s[34:35]
	v_mov_b32_e32 v4, 0
	s_and_saveexec_b64 s[34:35], s[36:37]
	s_cbranch_execz .LBB424_815
.LBB424_814:
	v_lshlrev_b32_e32 v3, 24, v2
	v_and_b32_e32 v2, 0xffff, v2
	v_and_b32_e32 v4, 3, v2
	v_ffbh_u32_e32 v6, v4
	v_min_u32_e32 v6, 32, v6
	v_subrev_u32_e32 v7, 29, v6
	v_bfe_u32 v5, v2, 2, 5
	v_lshlrev_b32_e32 v2, v7, v2
	v_sub_u32_e32 v6, 30, v6
	v_and_b32_e32 v2, 3, v2
	v_cmp_eq_u32_e32 vcc, 0, v5
	v_and_b32_e32 v3, 0x80000000, v3
	s_mov_b32 s36, 0x2f800000
	v_cndmask_b32_e32 v5, v5, v6, vcc
	v_cndmask_b32_e32 v2, v4, v2, vcc
	v_mov_b32_e32 v4, 0x37800000
	v_lshlrev_b32_e32 v2, 21, v2
	v_lshl_add_u32 v4, v5, 23, v4
	v_or3_b32 v2, v3, v4, v2
	v_trunc_f32_e32 v2, v2
	v_mul_f32_e64 v3, |v2|, s36
	v_floor_f32_e32 v3, v3
	s_mov_b32 s36, 0xcf800000
	v_fma_f32 v3, v3, s36, |v2|
	v_cvt_u32_f32_e32 v3, v3
	v_ashrrev_i32_e32 v2, 31, v2
	v_xor_b32_e32 v3, v3, v2
	v_sub_u32_e32 v4, v3, v2
.LBB424_815:
	s_or_b64 exec, exec, s[34:35]
	s_mov_b64 s[34:35], 0
	s_branch .LBB424_821
.LBB424_816:
	s_mov_b64 s[34:35], -1
                                        ; implicit-def: $vgpr4
	s_branch .LBB424_827
.LBB424_817:
	s_andn2_saveexec_b64 s[36:37], s[36:37]
	s_cbranch_execz .LBB424_802
.LBB424_818:
	v_cmp_ne_u16_e32 vcc, 0, v2
	s_andn2_b64 s[38:39], s[38:39], exec
	s_and_b64 s[46:47], vcc, exec
	s_or_b64 s[38:39], s[38:39], s[46:47]
	s_or_b64 exec, exec, s[36:37]
	v_mov_b32_e32 v4, 0
	s_and_saveexec_b64 s[36:37], s[38:39]
	s_cbranch_execnz .LBB424_803
	s_branch .LBB424_804
.LBB424_819:
	s_mov_b64 s[34:35], -1
                                        ; implicit-def: $vgpr4
	s_branch .LBB424_824
.LBB424_820:
	s_mov_b64 s[34:35], -1
                                        ; implicit-def: $vgpr4
.LBB424_821:
	s_and_b64 vcc, exec, s[34:35]
	s_cbranch_vccz .LBB424_823
; %bb.822:
	global_load_ubyte v2, v[0:1], off
	s_mov_b32 s34, 0x7f800000
	s_brev_b32 s35, 1
	s_mov_b32 s36, 0x2f800000
	s_waitcnt vmcnt(0)
	v_lshlrev_b32_e32 v2, 24, v2
	v_and_b32_e32 v3, 0x7f000000, v2
	v_ffbh_u32_e32 v4, v3
	v_min_u32_e32 v4, 32, v4
	v_sub_u32_e64 v4, v4, 4 clamp
	v_lshlrev_b32_e32 v6, v4, v3
	v_lshlrev_b32_e32 v4, 23, v4
	v_lshrrev_b32_e32 v6, 4, v6
	v_add_u32_e32 v5, 0x1000000, v3
	v_sub_u32_e32 v4, v6, v4
	v_ashrrev_i32_e32 v5, 8, v5
	v_add_u32_e32 v4, 0x3c000000, v4
	v_and_or_b32 v4, v5, s34, v4
	v_cmp_ne_u32_e32 vcc, 0, v3
	s_mov_b32 s34, 0xcf800000
	s_nop 0
	v_cndmask_b32_e32 v3, 0, v4, vcc
	v_and_or_b32 v2, v2, s35, v3
	v_trunc_f32_e32 v2, v2
	v_mul_f32_e64 v3, |v2|, s36
	v_floor_f32_e32 v3, v3
	v_fma_f32 v3, v3, s34, |v2|
	v_cvt_u32_f32_e32 v3, v3
	v_ashrrev_i32_e32 v2, 31, v2
	v_xor_b32_e32 v3, v3, v2
	v_sub_u32_e32 v4, v3, v2
.LBB424_823:
	s_mov_b64 s[34:35], 0
.LBB424_824:
	s_andn2_b64 vcc, exec, s[34:35]
	s_cbranch_vccnz .LBB424_826
; %bb.825:
	global_load_ubyte v2, v[0:1], off
	s_movk_i32 s34, 0x7f00
	s_brev_b32 s35, 16
	s_brev_b32 s36, 1
	s_mov_b32 s37, 0x2f800000
	s_waitcnt vmcnt(0)
	v_lshlrev_b16_e32 v3, 8, v2
	v_lshlrev_b32_e32 v2, 25, v2
	v_lshrrev_b32_e32 v4, 4, v2
	v_and_or_b32 v5, v3, s34, 0.5
	v_or_b32_e32 v4, 0x70000000, v4
	v_add_f32_e32 v5, -0.5, v5
	v_mul_f32_e32 v4, 0x7800000, v4
	v_cmp_gt_u32_e32 vcc, s35, v2
	v_bfe_i32 v3, v3, 0, 16
	s_mov_b32 s34, 0xcf800000
	v_cndmask_b32_e32 v2, v4, v5, vcc
	v_and_or_b32 v2, v3, s36, v2
	v_trunc_f32_e32 v2, v2
	v_mul_f32_e64 v3, |v2|, s37
	v_floor_f32_e32 v3, v3
	v_fma_f32 v3, v3, s34, |v2|
	v_cvt_u32_f32_e32 v3, v3
	v_ashrrev_i32_e32 v2, 31, v2
	v_xor_b32_e32 v3, v3, v2
	v_sub_u32_e32 v4, v3, v2
.LBB424_826:
	s_mov_b64 s[34:35], 0
	s_mov_b64 s[36:37], -1
.LBB424_827:
	s_andn2_b64 vcc, exec, s[34:35]
	s_mov_b64 s[34:35], 0
	s_cbranch_vccnz .LBB424_838
; %bb.828:
	s_cmp_gt_i32 s40, 14
	s_cbranch_scc0 .LBB424_831
; %bb.829:
	s_cmp_eq_u32 s40, 15
	s_cbranch_scc0 .LBB424_834
; %bb.830:
	global_load_ushort v2, v[0:1], off
	s_mov_b32 s30, 0x2f800000
	s_mov_b32 s31, 0xcf800000
	s_mov_b64 s[36:37], -1
	s_waitcnt vmcnt(0)
	v_lshlrev_b32_e32 v2, 16, v2
	v_trunc_f32_e32 v2, v2
	v_mul_f32_e64 v3, |v2|, s30
	v_floor_f32_e32 v3, v3
	v_fma_f32 v3, v3, s31, |v2|
	v_cvt_u32_f32_e32 v3, v3
	v_ashrrev_i32_e32 v2, 31, v2
	s_mov_b64 s[30:31], 0
	v_xor_b32_e32 v3, v3, v2
	v_sub_u32_e32 v4, v3, v2
	s_branch .LBB424_835
.LBB424_831:
	s_mov_b64 s[38:39], -1
                                        ; implicit-def: $vgpr4
	s_branch .LBB424_836
.LBB424_832:
	s_andn2_saveexec_b64 s[34:35], s[34:35]
	s_cbranch_execz .LBB424_813
.LBB424_833:
	v_cmp_ne_u16_e32 vcc, 0, v2
	s_andn2_b64 s[36:37], s[36:37], exec
	s_and_b64 s[38:39], vcc, exec
	s_or_b64 s[36:37], s[36:37], s[38:39]
	s_or_b64 exec, exec, s[34:35]
	v_mov_b32_e32 v4, 0
	s_and_saveexec_b64 s[34:35], s[36:37]
	s_cbranch_execnz .LBB424_814
	s_branch .LBB424_815
.LBB424_834:
	s_mov_b64 s[30:31], -1
                                        ; implicit-def: $vgpr4
.LBB424_835:
	s_mov_b64 s[38:39], 0
.LBB424_836:
	s_and_b64 vcc, exec, s[38:39]
	s_cbranch_vccz .LBB424_838
; %bb.837:
	s_cmp_lg_u32 s40, 11
	s_cselect_b64 s[38:39], -1, 0
	s_andn2_b64 s[30:31], s[30:31], exec
	s_and_b64 s[38:39], s[38:39], exec
	s_mov_b64 s[34:35], -1
	s_or_b64 s[30:31], s[30:31], s[38:39]
.LBB424_838:
	s_mov_b64 s[38:39], 0
.LBB424_839:
	s_and_b64 s[40:41], s[38:39], exec
	s_andn2_b64 s[38:39], s[0:1], exec
	s_and_b64 s[30:31], s[30:31], exec
	s_and_b64 s[36:37], s[36:37], exec
	s_and_b64 s[34:35], s[34:35], exec
	s_or_b64 s[38:39], s[38:39], s[30:31]
.LBB424_840:
	s_or_b64 exec, exec, s[26:27]
	s_and_b64 s[30:31], s[34:35], exec
	s_andn2_b64 s[0:1], s[0:1], exec
	s_and_b64 s[34:35], s[38:39], exec
	s_and_b64 s[36:37], s[36:37], exec
	;; [unrolled: 1-line block ×3, first 2 shown]
	s_or_b64 s[0:1], s[0:1], s[34:35]
.LBB424_841:
	s_or_b64 exec, exec, s[24:25]
	s_andn2_b64 s[20:21], s[20:21], exec
	s_and_b64 s[24:25], s[28:29], exec
	s_andn2_b64 s[18:19], s[18:19], exec
	s_and_b64 s[0:1], s[0:1], exec
	s_or_b64 s[20:21], s[20:21], s[24:25]
	s_and_b64 s[28:29], s[36:37], exec
	s_and_b64 s[26:27], s[26:27], exec
	;; [unrolled: 1-line block ×3, first 2 shown]
	s_or_b64 s[18:19], s[18:19], s[0:1]
.LBB424_842:
	s_or_b64 exec, exec, s[22:23]
	s_andn2_b64 s[0:1], s[12:13], exec
	s_and_b64 s[12:13], s[20:21], exec
	s_andn2_b64 s[14:15], s[14:15], exec
	s_and_b64 s[18:19], s[18:19], exec
	s_or_b64 s[12:13], s[0:1], s[12:13]
	s_and_b64 s[0:1], s[28:29], exec
	s_and_b64 s[22:23], s[26:27], exec
	;; [unrolled: 1-line block ×3, first 2 shown]
	s_or_b64 s[14:15], s[14:15], s[18:19]
	s_or_b64 exec, exec, s[16:17]
	s_mov_b64 s[16:17], 0
	s_and_saveexec_b64 s[18:19], s[14:15]
	s_cbranch_execz .LBB424_258
.LBB424_843:
	s_mov_b64 s[16:17], exec
	s_andn2_b64 s[20:21], s[20:21], exec
	s_trap 2
	s_or_b64 exec, exec, s[18:19]
	s_and_saveexec_b64 s[14:15], s[20:21]
	s_xor_b64 s[14:15], exec, s[14:15]
	s_cbranch_execnz .LBB424_259
.LBB424_844:
	s_or_b64 exec, exec, s[14:15]
	s_and_saveexec_b64 s[14:15], s[22:23]
	s_cbranch_execz .LBB424_890
.LBB424_845:
	s_sext_i32_i16 s18, s44
	s_cmp_lt_i32 s18, 5
	s_cbranch_scc1 .LBB424_850
; %bb.846:
	s_cmp_lt_i32 s18, 8
	s_cbranch_scc1 .LBB424_851
; %bb.847:
	;; [unrolled: 3-line block ×3, first 2 shown]
	s_cmp_gt_i32 s18, 9
	s_cbranch_scc0 .LBB424_853
; %bb.849:
	global_load_dwordx2 v[2:3], v[0:1], off
	s_movk_i32 s18, 0xffe0
	s_waitcnt vmcnt(0)
	v_trunc_f64_e32 v[2:3], v[2:3]
	v_ldexp_f64 v[4:5], v[2:3], s18
	v_floor_f64_e32 v[4:5], v[4:5]
	v_fmac_f64_e32 v[2:3], 0xc1f00000, v[4:5]
	v_cvt_u32_f64_e32 v4, v[2:3]
	s_mov_b64 s[18:19], 0
	s_branch .LBB424_854
.LBB424_850:
                                        ; implicit-def: $vgpr4
	s_branch .LBB424_871
.LBB424_851:
                                        ; implicit-def: $vgpr4
	s_branch .LBB424_860
.LBB424_852:
	s_mov_b64 s[18:19], -1
                                        ; implicit-def: $vgpr4
	s_branch .LBB424_857
.LBB424_853:
	s_mov_b64 s[18:19], -1
                                        ; implicit-def: $vgpr4
.LBB424_854:
	s_andn2_b64 vcc, exec, s[18:19]
	s_cbranch_vccnz .LBB424_856
; %bb.855:
	global_load_dword v2, v[0:1], off
	s_mov_b32 s18, 0x2f800000
	s_waitcnt vmcnt(0)
	v_trunc_f32_e32 v2, v2
	v_mul_f32_e64 v3, |v2|, s18
	v_floor_f32_e32 v3, v3
	s_mov_b32 s18, 0xcf800000
	v_fma_f32 v3, v3, s18, |v2|
	v_cvt_u32_f32_e32 v3, v3
	v_ashrrev_i32_e32 v2, 31, v2
	v_xor_b32_e32 v3, v3, v2
	v_sub_u32_e32 v4, v3, v2
.LBB424_856:
	s_mov_b64 s[18:19], 0
.LBB424_857:
	s_andn2_b64 vcc, exec, s[18:19]
	s_cbranch_vccnz .LBB424_859
; %bb.858:
	global_load_dword v2, v[0:1], off
	s_waitcnt vmcnt(0)
	v_cvt_f32_f16_e32 v2, v2
	v_cvt_i32_f32_e32 v4, v2
.LBB424_859:
	s_cbranch_execnz .LBB424_870
.LBB424_860:
	s_sext_i32_i16 s18, s44
	s_cmp_lt_i32 s18, 6
	s_cbranch_scc1 .LBB424_863
; %bb.861:
	s_cmp_gt_i32 s18, 6
	s_cbranch_scc0 .LBB424_864
; %bb.862:
	global_load_dwordx2 v[2:3], v[0:1], off
	s_movk_i32 s18, 0xffe0
	s_waitcnt vmcnt(0)
	v_trunc_f64_e32 v[2:3], v[2:3]
	v_ldexp_f64 v[4:5], v[2:3], s18
	v_floor_f64_e32 v[4:5], v[4:5]
	v_fmac_f64_e32 v[2:3], 0xc1f00000, v[4:5]
	v_cvt_u32_f64_e32 v4, v[2:3]
	s_mov_b64 s[18:19], 0
	s_branch .LBB424_865
.LBB424_863:
	s_mov_b64 s[18:19], -1
                                        ; implicit-def: $vgpr4
	s_branch .LBB424_868
.LBB424_864:
	s_mov_b64 s[18:19], -1
                                        ; implicit-def: $vgpr4
.LBB424_865:
	s_andn2_b64 vcc, exec, s[18:19]
	s_cbranch_vccnz .LBB424_867
; %bb.866:
	global_load_dword v2, v[0:1], off
	s_mov_b32 s18, 0x2f800000
	s_waitcnt vmcnt(0)
	v_trunc_f32_e32 v2, v2
	v_mul_f32_e64 v3, |v2|, s18
	v_floor_f32_e32 v3, v3
	s_mov_b32 s18, 0xcf800000
	v_fma_f32 v3, v3, s18, |v2|
	v_cvt_u32_f32_e32 v3, v3
	v_ashrrev_i32_e32 v2, 31, v2
	v_xor_b32_e32 v3, v3, v2
	v_sub_u32_e32 v4, v3, v2
.LBB424_867:
	s_mov_b64 s[18:19], 0
.LBB424_868:
	s_andn2_b64 vcc, exec, s[18:19]
	s_cbranch_vccnz .LBB424_870
; %bb.869:
	global_load_ushort v2, v[0:1], off
	s_waitcnt vmcnt(0)
	v_cvt_f32_f16_e32 v2, v2
	v_cvt_i32_f32_e32 v4, v2
.LBB424_870:
	s_cbranch_execnz .LBB424_889
.LBB424_871:
	s_sext_i32_i16 s18, s44
	s_cmp_lt_i32 s18, 2
	s_cbranch_scc1 .LBB424_875
; %bb.872:
	s_cmp_lt_i32 s18, 3
	s_cbranch_scc1 .LBB424_876
; %bb.873:
	s_cmp_gt_i32 s18, 3
	s_cbranch_scc0 .LBB424_877
; %bb.874:
	global_load_dwordx2 v[4:5], v[0:1], off
	s_mov_b64 s[18:19], 0
	s_branch .LBB424_878
.LBB424_875:
                                        ; implicit-def: $vgpr4
	s_branch .LBB424_884
.LBB424_876:
	s_mov_b64 s[18:19], -1
                                        ; implicit-def: $vgpr4
	s_branch .LBB424_881
.LBB424_877:
	s_mov_b64 s[18:19], -1
                                        ; implicit-def: $vgpr4
.LBB424_878:
	s_andn2_b64 vcc, exec, s[18:19]
	s_cbranch_vccnz .LBB424_880
; %bb.879:
	global_load_dword v4, v[0:1], off
.LBB424_880:
	s_mov_b64 s[18:19], 0
.LBB424_881:
	s_andn2_b64 vcc, exec, s[18:19]
	s_cbranch_vccnz .LBB424_883
; %bb.882:
	global_load_ushort v4, v[0:1], off
.LBB424_883:
	s_cbranch_execnz .LBB424_889
.LBB424_884:
	s_sext_i32_i16 s18, s44
	s_cmp_gt_i32 s18, 0
	s_cbranch_scc0 .LBB424_886
; %bb.885:
	global_load_ubyte v4, v[0:1], off
	s_mov_b64 s[18:19], 0
	s_branch .LBB424_887
.LBB424_886:
	s_mov_b64 s[18:19], -1
                                        ; implicit-def: $vgpr4
.LBB424_887:
	s_andn2_b64 vcc, exec, s[18:19]
	s_cbranch_vccnz .LBB424_889
; %bb.888:
	global_load_ubyte v4, v[0:1], off
.LBB424_889:
	s_or_b64 s[0:1], s[0:1], exec
.LBB424_890:
	s_or_b64 exec, exec, s[14:15]
	s_mov_b64 s[20:21], 0
	s_mov_b64 s[18:19], 0
                                        ; implicit-def: $sgpr26
                                        ; implicit-def: $vgpr2_vgpr3
                                        ; implicit-def: $vgpr0
	s_and_saveexec_b64 s[14:15], s[0:1]
	s_cbranch_execz .LBB424_965
; %bb.891:
	s_waitcnt vmcnt(0)
	v_mul_lo_u32 v2, v10, s8
	s_and_b32 s0, s33, 0xff
	v_ashrrev_i32_e32 v3, 31, v2
	s_and_b32 s26, s42, 0xff
	v_min_u16_sdwa v0, v4, s0 dst_sel:DWORD dst_unused:UNUSED_PAD src0_sel:BYTE_0 src1_sel:DWORD
	s_cmp_lt_i32 s26, 11
	v_lshl_add_u64 v[2:3], s[4:5], 0, v[2:3]
	s_cbranch_scc1 .LBB424_968
; %bb.892:
	s_and_b32 s27, 0xffff, s26
	s_mov_b64 s[20:21], -1
	s_cmp_gt_i32 s27, 25
	s_mov_b64 s[0:1], s[12:13]
	s_cbranch_scc0 .LBB424_925
; %bb.893:
	s_mov_b64 s[18:19], -1
	s_cmp_gt_i32 s27, 28
	s_mov_b64 s[0:1], s[12:13]
	s_cbranch_scc0 .LBB424_909
; %bb.894:
	s_cmp_gt_i32 s27, 43
	s_mov_b64 s[0:1], s[12:13]
	s_cbranch_scc0 .LBB424_905
; %bb.895:
	;; [unrolled: 4-line block ×3, first 2 shown]
	s_cmp_eq_u32 s27, 46
	s_mov_b64 s[0:1], -1
	s_cbranch_scc0 .LBB424_898
; %bb.897:
	v_cvt_f32_ubyte0_e32 v1, v0
	v_bfe_u32 v4, v1, 16, 1
	s_movk_i32 s0, 0x7fff
	v_add3_u32 v1, v1, v4, s0
	v_lshrrev_b32_e32 v1, 16, v1
	global_store_dword v[2:3], v1, off
	s_mov_b64 s[0:1], 0
.LBB424_898:
	s_mov_b64 s[18:19], 0
.LBB424_899:
	s_and_b64 vcc, exec, s[18:19]
	s_cbranch_vccz .LBB424_904
; %bb.900:
	s_cmp_eq_u32 s27, 44
	s_mov_b64 s[0:1], -1
	s_cbranch_scc0 .LBB424_904
; %bb.901:
	v_cvt_f32_ubyte0_e32 v4, v0
	v_lshrrev_b32_e32 v1, 23, v4
	s_movk_i32 s0, 0xff
	v_cmp_ne_u32_e32 vcc, s0, v1
	v_mov_b32_e32 v5, 0xff
	s_and_saveexec_b64 s[18:19], vcc
; %bb.902:
	s_mov_b32 s0, 0x3fffff
	v_and_b32_e32 v5, 0x400000, v4
	v_and_or_b32 v4, v4, s0, v1
	v_cmp_ne_u32_e32 vcc, 0, v5
	v_cmp_ne_u32_e64 s[0:1], 0, v4
	s_and_b64 s[0:1], vcc, s[0:1]
	s_nop 0
	v_cndmask_b32_e64 v4, 0, 1, s[0:1]
	v_add_u32_e32 v5, v1, v4
; %bb.903:
	s_or_b64 exec, exec, s[18:19]
	s_mov_b64 s[0:1], 0
	global_store_byte v[2:3], v5, off
.LBB424_904:
	s_mov_b64 s[18:19], 0
.LBB424_905:
	s_and_b64 vcc, exec, s[18:19]
	s_cbranch_vccz .LBB424_908
; %bb.906:
	s_cmp_eq_u32 s27, 29
	s_mov_b64 s[0:1], -1
	s_cbranch_scc0 .LBB424_908
; %bb.907:
	s_mov_b32 s0, 0
	v_mov_b32_e32 v1, s0
	global_store_dwordx2 v[2:3], v[0:1], off
	s_mov_b64 s[0:1], 0
.LBB424_908:
	s_mov_b64 s[18:19], 0
.LBB424_909:
	s_and_b64 vcc, exec, s[18:19]
	s_cbranch_vccz .LBB424_924
; %bb.910:
	s_cmp_lt_i32 s27, 27
	s_mov_b64 s[18:19], -1
	s_cbranch_scc1 .LBB424_916
; %bb.911:
	s_cmp_gt_i32 s27, 27
	s_cbranch_scc0 .LBB424_913
; %bb.912:
	s_mov_b64 s[18:19], 0
	global_store_dword v[2:3], v0, off
.LBB424_913:
	s_andn2_b64 vcc, exec, s[18:19]
	s_cbranch_vccnz .LBB424_915
; %bb.914:
	global_store_short v[2:3], v0, off
.LBB424_915:
	s_mov_b64 s[18:19], 0
.LBB424_916:
	s_andn2_b64 vcc, exec, s[18:19]
	s_cbranch_vccnz .LBB424_924
; %bb.917:
	v_cvt_f32_ubyte0_e32 v4, v0
	s_mov_b32 s18, 0x43800000
	v_cmp_gt_u32_e32 vcc, s18, v4
	v_mov_b32_e32 v5, 0x80
	s_and_saveexec_b64 s[18:19], vcc
	s_cbranch_execz .LBB424_923
; %bb.918:
	s_mov_b32 s20, 0x3bffffff
	v_cmp_lt_u32_e32 vcc, s20, v4
	s_mov_b64 s[20:21], 0
                                        ; implicit-def: $vgpr1
	s_and_saveexec_b64 s[22:23], vcc
	s_xor_b64 s[22:23], exec, s[22:23]
	s_cbranch_execz .LBB424_1025
; %bb.919:
	v_bfe_u32 v1, v4, 20, 1
	s_mov_b32 s24, 0x487ffff
	v_add3_u32 v1, v4, v1, s24
	s_mov_b64 s[20:21], exec
	v_lshrrev_b32_e32 v1, 20, v1
                                        ; implicit-def: $vgpr4
	s_andn2_saveexec_b64 s[22:23], s[22:23]
	s_cbranch_execnz .LBB424_1026
.LBB424_920:
	s_or_b64 exec, exec, s[22:23]
	v_mov_b32_e32 v5, 0
	s_and_saveexec_b64 s[22:23], s[20:21]
.LBB424_921:
	v_mov_b32_e32 v5, v1
.LBB424_922:
	s_or_b64 exec, exec, s[22:23]
.LBB424_923:
	s_or_b64 exec, exec, s[18:19]
	global_store_byte v[2:3], v5, off
.LBB424_924:
	s_mov_b64 s[20:21], 0
.LBB424_925:
	s_mov_b64 s[18:19], 0
	s_and_b64 vcc, exec, s[20:21]
	s_cbranch_vccz .LBB424_969
; %bb.926:
	s_cmp_gt_i32 s27, 22
	s_mov_b64 s[20:21], -1
	s_cbranch_scc0 .LBB424_958
; %bb.927:
	s_cmp_lt_i32 s27, 24
	s_cbranch_scc1 .LBB424_947
; %bb.928:
	s_cmp_gt_i32 s27, 24
	s_cbranch_scc0 .LBB424_936
; %bb.929:
	v_cvt_f32_ubyte0_e32 v4, v0
	s_mov_b32 s20, 0x47800000
	v_cmp_gt_u32_e32 vcc, s20, v4
	v_mov_b32_e32 v5, 0x80
	s_and_saveexec_b64 s[20:21], vcc
	s_cbranch_execz .LBB424_935
; %bb.930:
	s_mov_b32 s22, 0x37ffffff
	v_cmp_lt_u32_e32 vcc, s22, v4
	s_mov_b64 s[22:23], 0
                                        ; implicit-def: $vgpr1
	s_and_saveexec_b64 s[24:25], vcc
	s_xor_b64 s[24:25], exec, s[24:25]
	s_cbranch_execz .LBB424_1145
; %bb.931:
	v_bfe_u32 v1, v4, 21, 1
	s_mov_b32 s28, 0x88fffff
	v_add3_u32 v1, v4, v1, s28
	s_mov_b64 s[22:23], exec
	v_lshrrev_b32_e32 v1, 21, v1
                                        ; implicit-def: $vgpr4
	s_andn2_saveexec_b64 s[24:25], s[24:25]
	s_cbranch_execnz .LBB424_1146
.LBB424_932:
	s_or_b64 exec, exec, s[24:25]
	v_mov_b32_e32 v5, 0
	s_and_saveexec_b64 s[24:25], s[22:23]
.LBB424_933:
	v_mov_b32_e32 v5, v1
.LBB424_934:
	s_or_b64 exec, exec, s[24:25]
.LBB424_935:
	s_or_b64 exec, exec, s[20:21]
	s_mov_b64 s[20:21], 0
	global_store_byte v[2:3], v5, off
.LBB424_936:
	s_and_b64 vcc, exec, s[20:21]
	s_cbranch_vccz .LBB424_946
; %bb.937:
	v_cvt_f32_ubyte0_e32 v1, v0
	s_mov_b32 s20, 0x43f00000
	v_cmp_gt_u32_e32 vcc, s20, v1
                                        ; implicit-def: $vgpr4
	s_and_saveexec_b64 s[20:21], vcc
	s_xor_b64 s[20:21], exec, s[20:21]
	s_cbranch_execz .LBB424_943
; %bb.938:
	s_mov_b32 s22, 0x3c7fffff
	v_cmp_lt_u32_e32 vcc, s22, v1
                                        ; implicit-def: $vgpr4
	s_and_saveexec_b64 s[22:23], vcc
	s_xor_b64 s[22:23], exec, s[22:23]
; %bb.939:
	v_bfe_u32 v4, v1, 20, 1
	s_mov_b32 s24, 0x407ffff
	v_add3_u32 v1, v1, v4, s24
	v_lshrrev_b32_e32 v4, 20, v1
	v_and_b32_e32 v1, 0xff00000, v1
	s_mov_b32 s24, 0x7f00000
	v_mov_b32_e32 v5, 0x7e
	v_cmp_ne_u32_e32 vcc, s24, v1
                                        ; implicit-def: $vgpr1
	s_nop 1
	v_cndmask_b32_e32 v4, v5, v4, vcc
; %bb.940:
	s_andn2_saveexec_b64 s[22:23], s[22:23]
; %bb.941:
	v_add_f32_e32 v4, 0x46800000, v1
; %bb.942:
	s_or_b64 exec, exec, s[22:23]
                                        ; implicit-def: $vgpr1
.LBB424_943:
	s_andn2_saveexec_b64 s[20:21], s[20:21]
; %bb.944:
	s_mov_b32 s22, 0x7f800000
	v_mov_b32_e32 v4, 0x7e
	v_mov_b32_e32 v5, 0x7f
	v_cmp_lt_u32_e32 vcc, s22, v1
	s_nop 1
	v_cndmask_b32_e32 v4, v4, v5, vcc
; %bb.945:
	s_or_b64 exec, exec, s[20:21]
	global_store_byte v[2:3], v4, off
.LBB424_946:
	s_mov_b64 s[20:21], 0
.LBB424_947:
	s_andn2_b64 vcc, exec, s[20:21]
	s_cbranch_vccnz .LBB424_957
; %bb.948:
	v_cvt_f32_ubyte0_e32 v1, v0
	s_mov_b32 s20, 0x47800000
	v_cmp_gt_u32_e32 vcc, s20, v1
                                        ; implicit-def: $vgpr4
	s_and_saveexec_b64 s[20:21], vcc
	s_xor_b64 s[20:21], exec, s[20:21]
	s_cbranch_execz .LBB424_954
; %bb.949:
	s_mov_b32 s22, 0x387fffff
	v_cmp_lt_u32_e32 vcc, s22, v1
                                        ; implicit-def: $vgpr4
	s_and_saveexec_b64 s[22:23], vcc
	s_xor_b64 s[22:23], exec, s[22:23]
; %bb.950:
	v_bfe_u32 v4, v1, 21, 1
	s_mov_b32 s24, 0x80fffff
	v_add3_u32 v1, v1, v4, s24
	v_lshrrev_b32_e32 v4, 21, v1
                                        ; implicit-def: $vgpr1
; %bb.951:
	s_andn2_saveexec_b64 s[22:23], s[22:23]
; %bb.952:
	v_add_f32_e32 v4, 0x43000000, v1
; %bb.953:
	s_or_b64 exec, exec, s[22:23]
                                        ; implicit-def: $vgpr1
.LBB424_954:
	s_andn2_saveexec_b64 s[20:21], s[20:21]
; %bb.955:
	s_mov_b32 s22, 0x7f800000
	v_mov_b32_e32 v4, 0x7c
	v_mov_b32_e32 v5, 0x7f
	v_cmp_lt_u32_e32 vcc, s22, v1
	s_nop 1
	v_cndmask_b32_e32 v4, v4, v5, vcc
; %bb.956:
	s_or_b64 exec, exec, s[20:21]
	global_store_byte v[2:3], v4, off
.LBB424_957:
	s_mov_b64 s[20:21], 0
.LBB424_958:
	s_andn2_b64 vcc, exec, s[20:21]
	s_mov_b64 s[20:21], 0
	s_cbranch_vccnz .LBB424_970
; %bb.959:
	s_cmp_gt_i32 s27, 14
	s_mov_b64 s[22:23], -1
	s_cbranch_scc0 .LBB424_963
; %bb.960:
	s_cmp_eq_u32 s27, 15
	s_mov_b64 s[0:1], -1
	s_cbranch_scc0 .LBB424_962
; %bb.961:
	v_cvt_f32_ubyte0_e32 v1, v0
	v_bfe_u32 v4, v1, 16, 1
	s_movk_i32 s0, 0x7fff
	v_add3_u32 v1, v1, v4, s0
	global_store_short_d16_hi v[2:3], v1, off
	s_mov_b64 s[0:1], 0
.LBB424_962:
	s_mov_b64 s[22:23], 0
.LBB424_963:
	s_and_b64 vcc, exec, s[22:23]
	s_cbranch_vccz .LBB424_970
; %bb.964:
	s_cmp_lg_u32 s27, 11
	s_cselect_b64 s[22:23], -1, 0
	s_andn2_b64 s[0:1], s[0:1], exec
	s_and_b64 s[22:23], s[22:23], exec
	s_mov_b64 s[20:21], -1
	s_or_b64 s[0:1], s[0:1], s[22:23]
	s_branch .LBB424_970
.LBB424_965:
	s_or_b64 exec, exec, s[14:15]
	s_and_saveexec_b64 s[0:1], s[12:13]
	s_cbranch_execnz .LBB424_971
.LBB424_966:
	s_or_b64 exec, exec, s[0:1]
	s_and_saveexec_b64 s[0:1], s[20:21]
	s_xor_b64 s[0:1], exec, s[0:1]
	s_cbranch_execz .LBB424_972
.LBB424_967:
	v_mov_b32_e32 v1, 0
	v_cmp_ne_u16_sdwa s[12:13], v0, v1 src0_sel:BYTE_0 src1_sel:DWORD
	s_nop 1
	v_cndmask_b32_e64 v1, 0, 1, s[12:13]
	s_waitcnt vmcnt(0)
	global_store_byte v[2:3], v1, off
	s_or_b64 exec, exec, s[0:1]
	s_and_saveexec_b64 s[0:1], s[18:19]
	s_xor_b64 s[0:1], exec, s[0:1]
	s_cbranch_execz .LBB424_1010
	s_branch .LBB424_973
.LBB424_968:
	s_mov_b64 s[18:19], -1
	s_mov_b64 s[0:1], s[12:13]
	s_branch .LBB424_970
.LBB424_969:
	s_mov_b64 s[20:21], 0
.LBB424_970:
	s_andn2_b64 s[12:13], s[12:13], exec
	s_and_b64 s[0:1], s[0:1], exec
	s_and_b64 s[18:19], s[18:19], exec
	;; [unrolled: 1-line block ×3, first 2 shown]
	s_or_b64 s[12:13], s[12:13], s[0:1]
	s_or_b64 exec, exec, s[14:15]
	s_and_saveexec_b64 s[0:1], s[12:13]
	s_cbranch_execz .LBB424_966
.LBB424_971:
	s_or_b64 s[16:17], s[16:17], exec
	s_andn2_b64 s[20:21], s[20:21], exec
	s_trap 2
	s_or_b64 exec, exec, s[0:1]
	s_and_saveexec_b64 s[0:1], s[20:21]
	s_xor_b64 s[0:1], exec, s[0:1]
	s_cbranch_execnz .LBB424_967
.LBB424_972:
	s_or_b64 exec, exec, s[0:1]
	s_and_saveexec_b64 s[0:1], s[18:19]
	s_xor_b64 s[0:1], exec, s[0:1]
	s_cbranch_execz .LBB424_1010
.LBB424_973:
	s_sext_i32_i16 s14, s26
	s_cmp_lt_i32 s14, 5
	s_mov_b64 s[12:13], -1
	s_cbranch_scc1 .LBB424_994
; %bb.974:
	s_cmp_lt_i32 s14, 8
	s_cbranch_scc1 .LBB424_984
; %bb.975:
	s_cmp_lt_i32 s14, 9
	s_cbranch_scc1 .LBB424_981
; %bb.976:
	s_cmp_gt_i32 s14, 9
	s_cbranch_scc0 .LBB424_978
; %bb.977:
	s_mov_b32 s12, 0xffff
	v_and_b32_sdwa v1, s12, v0 dst_sel:DWORD dst_unused:UNUSED_PAD src0_sel:DWORD src1_sel:BYTE_0
	v_mov_b32_e32 v6, 0
	s_waitcnt vmcnt(0)
	v_cvt_f64_u32_e32 v[4:5], v1
	v_mov_b32_e32 v7, v6
	s_mov_b64 s[12:13], 0
	global_store_dwordx4 v[2:3], v[4:7], off
.LBB424_978:
	s_andn2_b64 vcc, exec, s[12:13]
	s_cbranch_vccnz .LBB424_980
; %bb.979:
	s_waitcnt vmcnt(0)
	v_cvt_f32_ubyte0_e32 v4, v0
	v_mov_b32_e32 v5, 0
	global_store_dwordx2 v[2:3], v[4:5], off
.LBB424_980:
	s_mov_b64 s[12:13], 0
.LBB424_981:
	s_andn2_b64 vcc, exec, s[12:13]
	s_cbranch_vccnz .LBB424_983
; %bb.982:
	v_cvt_f16_u16_sdwa v1, v0 dst_sel:DWORD dst_unused:UNUSED_PAD src0_sel:BYTE_0
	s_waitcnt vmcnt(0)
	global_store_dword v[2:3], v1, off
.LBB424_983:
	s_mov_b64 s[12:13], 0
.LBB424_984:
	s_andn2_b64 vcc, exec, s[12:13]
	s_cbranch_vccnz .LBB424_993
; %bb.985:
	s_sext_i32_i16 s14, s26
	s_cmp_lt_i32 s14, 6
	s_mov_b64 s[12:13], -1
	s_cbranch_scc1 .LBB424_991
; %bb.986:
	s_cmp_gt_i32 s14, 6
	s_cbranch_scc0 .LBB424_988
; %bb.987:
	s_mov_b32 s12, 0xffff
	v_and_b32_sdwa v1, s12, v0 dst_sel:DWORD dst_unused:UNUSED_PAD src0_sel:DWORD src1_sel:BYTE_0
	s_waitcnt vmcnt(0)
	v_cvt_f64_u32_e32 v[4:5], v1
	s_mov_b64 s[12:13], 0
	global_store_dwordx2 v[2:3], v[4:5], off
.LBB424_988:
	s_andn2_b64 vcc, exec, s[12:13]
	s_cbranch_vccnz .LBB424_990
; %bb.989:
	v_cvt_f32_ubyte0_e32 v1, v0
	s_waitcnt vmcnt(0)
	global_store_dword v[2:3], v1, off
.LBB424_990:
	s_mov_b64 s[12:13], 0
.LBB424_991:
	s_andn2_b64 vcc, exec, s[12:13]
	s_cbranch_vccnz .LBB424_993
; %bb.992:
	v_cvt_f16_u16_sdwa v1, v0 dst_sel:DWORD dst_unused:UNUSED_PAD src0_sel:BYTE_0
	s_waitcnt vmcnt(0)
	global_store_short v[2:3], v1, off
.LBB424_993:
	s_mov_b64 s[12:13], 0
.LBB424_994:
	s_andn2_b64 vcc, exec, s[12:13]
	s_cbranch_vccnz .LBB424_1010
; %bb.995:
	s_sext_i32_i16 s14, s26
	s_cmp_lt_i32 s14, 2
	s_mov_b64 s[12:13], -1
	s_cbranch_scc1 .LBB424_1005
; %bb.996:
	s_cmp_lt_i32 s14, 3
	s_cbranch_scc1 .LBB424_1002
; %bb.997:
	s_cmp_gt_i32 s14, 3
	s_cbranch_scc0 .LBB424_999
; %bb.998:
	s_waitcnt vmcnt(0)
	v_and_b32_e32 v4, 0xff, v0
	v_mov_b32_e32 v5, 0
	s_mov_b64 s[12:13], 0
	global_store_dwordx2 v[2:3], v[4:5], off
.LBB424_999:
	s_andn2_b64 vcc, exec, s[12:13]
	s_cbranch_vccnz .LBB424_1001
; %bb.1000:
	v_and_b32_e32 v1, 0xff, v0
	s_waitcnt vmcnt(0)
	global_store_dword v[2:3], v1, off
.LBB424_1001:
	s_mov_b64 s[12:13], 0
.LBB424_1002:
	s_andn2_b64 vcc, exec, s[12:13]
	s_cbranch_vccnz .LBB424_1004
; %bb.1003:
	v_and_b32_e32 v1, 0xff, v0
	s_waitcnt vmcnt(0)
	global_store_short v[2:3], v1, off
.LBB424_1004:
	s_mov_b64 s[12:13], 0
.LBB424_1005:
	s_andn2_b64 vcc, exec, s[12:13]
	s_cbranch_vccnz .LBB424_1010
; %bb.1006:
	s_sext_i32_i16 s12, s26
	s_cmp_gt_i32 s12, 0
	s_mov_b64 s[12:13], -1
	s_cbranch_scc0 .LBB424_1008
; %bb.1007:
	s_mov_b64 s[12:13], 0
	s_waitcnt vmcnt(0)
	global_store_byte v[2:3], v0, off
.LBB424_1008:
	s_andn2_b64 vcc, exec, s[12:13]
	s_cbranch_vccnz .LBB424_1010
; %bb.1009:
	s_waitcnt vmcnt(0)
	global_store_byte v[2:3], v0, off
.LBB424_1010:
	s_or_b64 exec, exec, s[0:1]
	s_and_b64 s[12:13], s[16:17], exec
                                        ; implicit-def: $vgpr10
.LBB424_1011:
	s_or_saveexec_b64 s[10:11], s[10:11]
	s_mov_b64 s[0:1], 0
                                        ; implicit-def: $sgpr20
                                        ; implicit-def: $vgpr0_vgpr1
                                        ; implicit-def: $vgpr2
	s_xor_b64 exec, exec, s[10:11]
	s_cbranch_execz .LBB424_1942
; %bb.1012:
	s_waitcnt vmcnt(0)
	v_mul_lo_u32 v2, s9, v10
	v_ashrrev_i32_e32 v3, 31, v2
	s_and_b32 s20, s43, 0xff
	s_cmp_lt_i32 s20, 11
	v_lshl_add_u64 v[4:5], s[6:7], 0, v[2:3]
	s_cbranch_scc1 .LBB424_1019
; %bb.1013:
	s_and_b32 s18, 0xffff, s20
	s_cmp_gt_i32 s18, 25
	s_cbranch_scc0 .LBB424_1021
; %bb.1014:
	s_cmp_gt_i32 s18, 28
	s_cbranch_scc0 .LBB424_1022
; %bb.1015:
	;; [unrolled: 3-line block ×4, first 2 shown]
	s_cmp_eq_u32 s18, 46
	s_mov_b64 s[14:15], 0
	s_cbranch_scc0 .LBB424_1027
; %bb.1018:
	global_load_dword v0, v[4:5], off
	s_mov_b32 s0, 0x2f800000
	s_mov_b32 s1, 0xcf800000
	s_mov_b64 s[16:17], -1
	s_waitcnt vmcnt(0)
	v_lshlrev_b32_e32 v0, 16, v0
	v_trunc_f32_e32 v0, v0
	v_mul_f32_e64 v1, |v0|, s0
	v_floor_f32_e32 v1, v1
	v_fma_f32 v1, v1, s1, |v0|
	v_cvt_u32_f32_e32 v1, v1
	v_ashrrev_i32_e32 v0, 31, v0
	s_mov_b64 s[0:1], 0
	v_xor_b32_e32 v1, v1, v0
	v_sub_u32_e32 v0, v1, v0
	s_branch .LBB424_1028
.LBB424_1019:
	s_mov_b64 s[16:17], 0
                                        ; implicit-def: $vgpr0
	s_mov_b64 s[14:15], s[12:13]
	s_cbranch_execnz .LBB424_1086
.LBB424_1020:
	s_andn2_b64 vcc, exec, s[16:17]
	s_cbranch_vccz .LBB424_1131
	s_branch .LBB424_1940
.LBB424_1021:
	s_mov_b64 s[16:17], 0
                                        ; implicit-def: $vgpr0
	s_cbranch_execnz .LBB424_1053
	s_branch .LBB424_1082
.LBB424_1022:
	s_mov_b64 s[16:17], 0
                                        ; implicit-def: $vgpr0
	s_cbranch_execz .LBB424_1052
	s_branch .LBB424_1037
.LBB424_1023:
	s_mov_b64 s[16:17], 0
                                        ; implicit-def: $vgpr0
	s_cbranch_execnz .LBB424_1033
	s_branch .LBB424_1036
.LBB424_1024:
	s_mov_b64 s[14:15], -1
	s_mov_b64 s[16:17], 0
                                        ; implicit-def: $vgpr0
	s_branch .LBB424_1028
.LBB424_1025:
	s_andn2_saveexec_b64 s[22:23], s[22:23]
	s_cbranch_execz .LBB424_920
.LBB424_1026:
	v_add_f32_e32 v1, 0x46000000, v4
	v_and_b32_e32 v1, 0xff, v1
	v_cmp_ne_u32_e32 vcc, 0, v1
	s_andn2_b64 s[20:21], s[20:21], exec
	s_and_b64 s[24:25], vcc, exec
	s_or_b64 s[20:21], s[20:21], s[24:25]
	s_or_b64 exec, exec, s[22:23]
	v_mov_b32_e32 v5, 0
	s_and_saveexec_b64 s[22:23], s[20:21]
	s_cbranch_execnz .LBB424_921
	s_branch .LBB424_922
.LBB424_1027:
	s_mov_b64 s[0:1], -1
                                        ; implicit-def: $vgpr0
	s_mov_b64 s[16:17], 0
.LBB424_1028:
	s_and_b64 vcc, exec, s[14:15]
	s_cbranch_vccz .LBB424_1031
; %bb.1029:
	s_cmp_eq_u32 s18, 44
	s_cbranch_scc0 .LBB424_1032
; %bb.1030:
	global_load_ubyte v0, v[4:5], off
	s_mov_b32 s0, 0x2f800000
	s_mov_b32 s1, 0xcf800000
	s_mov_b64 s[16:17], -1
	s_waitcnt vmcnt(0)
	v_lshlrev_b32_e32 v1, 23, v0
	v_trunc_f32_e32 v1, v1
	v_mul_f32_e64 v3, |v1|, s0
	v_floor_f32_e32 v3, v3
	v_fma_f32 v3, v3, s1, |v1|
	v_cvt_u32_f32_e32 v3, v3
	v_ashrrev_i32_e32 v1, 31, v1
	v_cmp_ne_u32_e32 vcc, 0, v0
	s_mov_b64 s[0:1], 0
	v_xor_b32_e32 v3, v3, v1
	v_sub_u32_e32 v1, v3, v1
	v_cndmask_b32_e32 v0, 0, v1, vcc
.LBB424_1031:
	s_branch .LBB424_1036
.LBB424_1032:
	s_mov_b64 s[0:1], -1
                                        ; implicit-def: $vgpr0
	s_branch .LBB424_1036
.LBB424_1033:
	s_cmp_eq_u32 s18, 29
	s_cbranch_scc0 .LBB424_1035
; %bb.1034:
	global_load_dwordx2 v[0:1], v[4:5], off
	s_mov_b64 s[0:1], 0
	s_mov_b64 s[16:17], -1
	s_branch .LBB424_1036
.LBB424_1035:
	s_mov_b64 s[0:1], -1
                                        ; implicit-def: $vgpr0
.LBB424_1036:
	s_branch .LBB424_1052
.LBB424_1037:
	s_cmp_lt_i32 s18, 27
	s_cbranch_scc1 .LBB424_1040
; %bb.1038:
	s_cmp_gt_i32 s18, 27
	s_cbranch_scc0 .LBB424_1041
; %bb.1039:
	global_load_dword v0, v[4:5], off
	s_mov_b64 s[14:15], 0
	s_branch .LBB424_1042
.LBB424_1040:
	s_mov_b64 s[14:15], -1
                                        ; implicit-def: $vgpr0
	s_branch .LBB424_1045
.LBB424_1041:
	s_mov_b64 s[14:15], -1
                                        ; implicit-def: $vgpr0
.LBB424_1042:
	s_andn2_b64 vcc, exec, s[14:15]
	s_cbranch_vccnz .LBB424_1044
; %bb.1043:
	global_load_ushort v0, v[4:5], off
.LBB424_1044:
	s_mov_b64 s[14:15], 0
.LBB424_1045:
	s_andn2_b64 vcc, exec, s[14:15]
	s_cbranch_vccnz .LBB424_1051
; %bb.1046:
	global_load_ubyte v1, v[4:5], off
	s_movk_i32 s14, 0x7f
	s_mov_b64 s[16:17], 0
	s_waitcnt vmcnt(0)
	v_cmp_lt_i16_e32 vcc, s14, v1
	s_and_saveexec_b64 s[14:15], vcc
	s_xor_b64 s[14:15], exec, s[14:15]
	s_cbranch_execz .LBB424_1062
; %bb.1047:
	s_movk_i32 s16, 0x80
	v_cmp_ne_u16_e32 vcc, s16, v1
	s_and_b64 s[16:17], vcc, exec
	s_andn2_saveexec_b64 s[14:15], s[14:15]
	s_cbranch_execnz .LBB424_1063
.LBB424_1048:
	s_or_b64 exec, exec, s[14:15]
	v_mov_b32_e32 v0, 0
	s_and_saveexec_b64 s[14:15], s[16:17]
	s_cbranch_execz .LBB424_1050
.LBB424_1049:
	v_lshlrev_b32_e32 v0, 24, v1
	v_and_b32_e32 v1, 0xffff, v1
	v_and_b32_e32 v3, 7, v1
	v_ffbh_u32_e32 v7, v3
	v_min_u32_e32 v7, 32, v7
	v_subrev_u32_e32 v8, 28, v7
	v_bfe_u32 v6, v1, 3, 4
	v_lshlrev_b32_e32 v1, v8, v1
	v_sub_u32_e32 v7, 29, v7
	v_and_b32_e32 v1, 7, v1
	v_cmp_eq_u32_e32 vcc, 0, v6
	v_and_b32_e32 v0, 0x80000000, v0
	s_mov_b32 s16, 0x2f800000
	v_cndmask_b32_e32 v6, v6, v7, vcc
	v_cndmask_b32_e32 v1, v3, v1, vcc
	v_mov_b32_e32 v3, 0x3b800000
	v_lshlrev_b32_e32 v1, 20, v1
	v_lshl_add_u32 v3, v6, 23, v3
	v_or3_b32 v0, v0, v3, v1
	v_trunc_f32_e32 v0, v0
	v_mul_f32_e64 v1, |v0|, s16
	v_floor_f32_e32 v1, v1
	s_mov_b32 s16, 0xcf800000
	v_fma_f32 v1, v1, s16, |v0|
	v_cvt_u32_f32_e32 v1, v1
	v_ashrrev_i32_e32 v0, 31, v0
	v_xor_b32_e32 v1, v1, v0
	v_sub_u32_e32 v0, v1, v0
.LBB424_1050:
	s_or_b64 exec, exec, s[14:15]
.LBB424_1051:
	s_mov_b64 s[16:17], -1
.LBB424_1052:
	s_branch .LBB424_1082
.LBB424_1053:
	s_cmp_gt_i32 s18, 22
	s_cbranch_scc0 .LBB424_1061
; %bb.1054:
	s_cmp_lt_i32 s18, 24
	s_cbranch_scc1 .LBB424_1064
; %bb.1055:
	s_cmp_gt_i32 s18, 24
	s_cbranch_scc0 .LBB424_1065
; %bb.1056:
	global_load_ubyte v1, v[4:5], off
	s_movk_i32 s2, 0x7f
	s_mov_b64 s[14:15], 0
	s_waitcnt vmcnt(0)
	v_cmp_lt_i16_e32 vcc, s2, v1
	s_and_saveexec_b64 s[2:3], vcc
	s_xor_b64 s[2:3], exec, s[2:3]
	s_cbranch_execz .LBB424_1076
; %bb.1057:
	s_movk_i32 s14, 0x80
	v_cmp_ne_u16_e32 vcc, s14, v1
	s_and_b64 s[14:15], vcc, exec
	s_andn2_saveexec_b64 s[2:3], s[2:3]
	s_cbranch_execnz .LBB424_1077
.LBB424_1058:
	s_or_b64 exec, exec, s[2:3]
	v_mov_b32_e32 v0, 0
	s_and_saveexec_b64 s[2:3], s[14:15]
	s_cbranch_execz .LBB424_1060
.LBB424_1059:
	v_lshlrev_b32_e32 v0, 24, v1
	v_and_b32_e32 v1, 0xffff, v1
	v_and_b32_e32 v3, 3, v1
	v_ffbh_u32_e32 v7, v3
	v_min_u32_e32 v7, 32, v7
	v_subrev_u32_e32 v8, 29, v7
	v_bfe_u32 v6, v1, 2, 5
	v_lshlrev_b32_e32 v1, v8, v1
	v_sub_u32_e32 v7, 30, v7
	v_and_b32_e32 v1, 3, v1
	v_cmp_eq_u32_e32 vcc, 0, v6
	v_and_b32_e32 v0, 0x80000000, v0
	s_mov_b32 s14, 0x2f800000
	v_cndmask_b32_e32 v6, v6, v7, vcc
	v_cndmask_b32_e32 v1, v3, v1, vcc
	v_mov_b32_e32 v3, 0x37800000
	v_lshlrev_b32_e32 v1, 21, v1
	v_lshl_add_u32 v3, v6, 23, v3
	v_or3_b32 v0, v0, v3, v1
	v_trunc_f32_e32 v0, v0
	v_mul_f32_e64 v1, |v0|, s14
	v_floor_f32_e32 v1, v1
	s_mov_b32 s14, 0xcf800000
	v_fma_f32 v1, v1, s14, |v0|
	v_cvt_u32_f32_e32 v1, v1
	v_ashrrev_i32_e32 v0, 31, v0
	v_xor_b32_e32 v1, v1, v0
	v_sub_u32_e32 v0, v1, v0
.LBB424_1060:
	s_or_b64 exec, exec, s[2:3]
	s_mov_b64 s[2:3], 0
	s_branch .LBB424_1066
.LBB424_1061:
                                        ; implicit-def: $vgpr0
	s_mov_b64 s[2:3], 0
	s_branch .LBB424_1072
.LBB424_1062:
	s_andn2_saveexec_b64 s[14:15], s[14:15]
	s_cbranch_execz .LBB424_1048
.LBB424_1063:
	v_cmp_ne_u16_e32 vcc, 0, v1
	s_andn2_b64 s[16:17], s[16:17], exec
	s_and_b64 s[22:23], vcc, exec
	s_or_b64 s[16:17], s[16:17], s[22:23]
	s_or_b64 exec, exec, s[14:15]
	v_mov_b32_e32 v0, 0
	s_and_saveexec_b64 s[14:15], s[16:17]
	s_cbranch_execnz .LBB424_1049
	s_branch .LBB424_1050
.LBB424_1064:
	s_mov_b64 s[2:3], -1
                                        ; implicit-def: $vgpr0
	s_branch .LBB424_1069
.LBB424_1065:
	s_mov_b64 s[2:3], -1
                                        ; implicit-def: $vgpr0
.LBB424_1066:
	s_and_b64 vcc, exec, s[2:3]
	s_cbranch_vccz .LBB424_1068
; %bb.1067:
	global_load_ubyte v0, v[4:5], off
	s_mov_b32 s2, 0x7f800000
	s_brev_b32 s3, 1
	s_mov_b32 s14, 0x2f800000
	s_waitcnt vmcnt(0)
	v_lshlrev_b32_e32 v0, 24, v0
	v_and_b32_e32 v1, 0x7f000000, v0
	v_ffbh_u32_e32 v3, v1
	v_min_u32_e32 v3, 32, v3
	v_sub_u32_e64 v3, v3, 4 clamp
	v_lshlrev_b32_e32 v7, v3, v1
	v_lshlrev_b32_e32 v3, 23, v3
	v_lshrrev_b32_e32 v7, 4, v7
	v_add_u32_e32 v6, 0x1000000, v1
	v_sub_u32_e32 v3, v7, v3
	v_ashrrev_i32_e32 v6, 8, v6
	v_add_u32_e32 v3, 0x3c000000, v3
	v_and_or_b32 v3, v6, s2, v3
	v_cmp_ne_u32_e32 vcc, 0, v1
	s_mov_b32 s2, 0xcf800000
	s_nop 0
	v_cndmask_b32_e32 v1, 0, v3, vcc
	v_and_or_b32 v0, v0, s3, v1
	v_trunc_f32_e32 v0, v0
	v_mul_f32_e64 v1, |v0|, s14
	v_floor_f32_e32 v1, v1
	v_fma_f32 v1, v1, s2, |v0|
	v_cvt_u32_f32_e32 v1, v1
	v_ashrrev_i32_e32 v0, 31, v0
	v_xor_b32_e32 v1, v1, v0
	v_sub_u32_e32 v0, v1, v0
.LBB424_1068:
	s_mov_b64 s[2:3], 0
.LBB424_1069:
	s_andn2_b64 vcc, exec, s[2:3]
	s_cbranch_vccnz .LBB424_1071
; %bb.1070:
	global_load_ubyte v0, v[4:5], off
	s_movk_i32 s2, 0x7f00
	s_brev_b32 s3, 16
	s_brev_b32 s14, 1
	s_mov_b32 s15, 0x2f800000
	s_waitcnt vmcnt(0)
	v_lshlrev_b16_e32 v1, 8, v0
	v_lshlrev_b32_e32 v0, 25, v0
	v_lshrrev_b32_e32 v3, 4, v0
	v_and_or_b32 v6, v1, s2, 0.5
	v_or_b32_e32 v3, 0x70000000, v3
	v_add_f32_e32 v6, -0.5, v6
	v_mul_f32_e32 v3, 0x7800000, v3
	v_cmp_gt_u32_e32 vcc, s3, v0
	v_bfe_i32 v1, v1, 0, 16
	s_mov_b32 s2, 0xcf800000
	v_cndmask_b32_e32 v0, v3, v6, vcc
	v_and_or_b32 v0, v1, s14, v0
	v_trunc_f32_e32 v0, v0
	v_mul_f32_e64 v1, |v0|, s15
	v_floor_f32_e32 v1, v1
	v_fma_f32 v1, v1, s2, |v0|
	v_cvt_u32_f32_e32 v1, v1
	v_ashrrev_i32_e32 v0, 31, v0
	v_xor_b32_e32 v1, v1, v0
	v_sub_u32_e32 v0, v1, v0
.LBB424_1071:
	s_mov_b64 s[16:17], -1
	s_mov_b64 s[2:3], 0
	s_cbranch_execnz .LBB424_1082
.LBB424_1072:
	s_cmp_gt_i32 s18, 14
	s_cbranch_scc0 .LBB424_1075
; %bb.1073:
	s_cmp_eq_u32 s18, 15
	s_cbranch_scc0 .LBB424_1078
; %bb.1074:
	global_load_ushort v0, v[4:5], off
	s_mov_b32 s0, 0x2f800000
	s_mov_b32 s1, 0xcf800000
	s_mov_b64 s[16:17], -1
	s_waitcnt vmcnt(0)
	v_lshlrev_b32_e32 v0, 16, v0
	v_trunc_f32_e32 v0, v0
	v_mul_f32_e64 v1, |v0|, s0
	v_floor_f32_e32 v1, v1
	v_fma_f32 v1, v1, s1, |v0|
	v_cvt_u32_f32_e32 v1, v1
	v_ashrrev_i32_e32 v0, 31, v0
	s_mov_b64 s[0:1], 0
	v_xor_b32_e32 v1, v1, v0
	v_sub_u32_e32 v0, v1, v0
	s_branch .LBB424_1079
.LBB424_1075:
	s_mov_b64 s[14:15], -1
                                        ; implicit-def: $vgpr0
	s_branch .LBB424_1080
.LBB424_1076:
	s_andn2_saveexec_b64 s[2:3], s[2:3]
	s_cbranch_execz .LBB424_1058
.LBB424_1077:
	v_cmp_ne_u16_e32 vcc, 0, v1
	s_andn2_b64 s[14:15], s[14:15], exec
	s_and_b64 s[16:17], vcc, exec
	s_or_b64 s[14:15], s[14:15], s[16:17]
	s_or_b64 exec, exec, s[2:3]
	v_mov_b32_e32 v0, 0
	s_and_saveexec_b64 s[2:3], s[14:15]
	s_cbranch_execnz .LBB424_1059
	s_branch .LBB424_1060
.LBB424_1078:
	s_mov_b64 s[0:1], -1
                                        ; implicit-def: $vgpr0
.LBB424_1079:
	s_mov_b64 s[14:15], 0
.LBB424_1080:
	s_and_b64 vcc, exec, s[14:15]
	s_cbranch_vccz .LBB424_1082
; %bb.1081:
	s_cmp_lg_u32 s18, 11
	s_mov_b64 s[2:3], -1
	s_cselect_b64 s[0:1], -1, 0
.LBB424_1082:
	s_and_b64 vcc, exec, s[0:1]
	s_mov_b64 s[14:15], s[12:13]
	s_cbranch_vccnz .LBB424_1143
; %bb.1083:
	s_andn2_b64 vcc, exec, s[2:3]
	s_cbranch_vccnz .LBB424_1085
.LBB424_1084:
	global_load_ubyte v0, v[4:5], off
	s_mov_b64 s[16:17], -1
	s_waitcnt vmcnt(0)
	v_cmp_ne_u16_e32 vcc, 0, v0
	s_nop 1
	v_cndmask_b32_e64 v0, 0, 1, vcc
.LBB424_1085:
	s_branch .LBB424_1020
.LBB424_1086:
	s_and_b32 s2, 0xffff, s20
	s_cmp_lt_i32 s2, 5
	s_cbranch_scc1 .LBB424_1091
; %bb.1087:
	s_cmp_lt_i32 s2, 8
	s_cbranch_scc1 .LBB424_1092
; %bb.1088:
	;; [unrolled: 3-line block ×3, first 2 shown]
	s_cmp_gt_i32 s2, 9
	s_cbranch_scc0 .LBB424_1094
; %bb.1090:
	global_load_dwordx2 v[0:1], v[4:5], off
	s_movk_i32 s0, 0xffe0
	s_waitcnt vmcnt(0)
	v_trunc_f64_e32 v[0:1], v[0:1]
	v_ldexp_f64 v[6:7], v[0:1], s0
	v_floor_f64_e32 v[6:7], v[6:7]
	v_fmac_f64_e32 v[0:1], 0xc1f00000, v[6:7]
	v_cvt_u32_f64_e32 v0, v[0:1]
	s_mov_b64 s[0:1], 0
	s_branch .LBB424_1095
.LBB424_1091:
                                        ; implicit-def: $vgpr0
	s_branch .LBB424_1112
.LBB424_1092:
                                        ; implicit-def: $vgpr0
	s_branch .LBB424_1101
.LBB424_1093:
	s_mov_b64 s[0:1], -1
                                        ; implicit-def: $vgpr0
	s_branch .LBB424_1098
.LBB424_1094:
	s_mov_b64 s[0:1], -1
                                        ; implicit-def: $vgpr0
.LBB424_1095:
	s_andn2_b64 vcc, exec, s[0:1]
	s_cbranch_vccnz .LBB424_1097
; %bb.1096:
	global_load_dword v0, v[4:5], off
	s_mov_b32 s0, 0x2f800000
	s_waitcnt vmcnt(0)
	v_trunc_f32_e32 v0, v0
	v_mul_f32_e64 v1, |v0|, s0
	v_floor_f32_e32 v1, v1
	s_mov_b32 s0, 0xcf800000
	v_fma_f32 v1, v1, s0, |v0|
	v_cvt_u32_f32_e32 v1, v1
	v_ashrrev_i32_e32 v0, 31, v0
	v_xor_b32_e32 v1, v1, v0
	v_sub_u32_e32 v0, v1, v0
.LBB424_1097:
	s_mov_b64 s[0:1], 0
.LBB424_1098:
	s_andn2_b64 vcc, exec, s[0:1]
	s_cbranch_vccnz .LBB424_1100
; %bb.1099:
	global_load_dword v0, v[4:5], off
	s_waitcnt vmcnt(0)
	v_cvt_f32_f16_e32 v0, v0
	v_cvt_i32_f32_e32 v0, v0
.LBB424_1100:
	s_cbranch_execnz .LBB424_1111
.LBB424_1101:
	s_cmp_lt_i32 s2, 6
	s_cbranch_scc1 .LBB424_1104
; %bb.1102:
	s_cmp_gt_i32 s2, 6
	s_cbranch_scc0 .LBB424_1105
; %bb.1103:
	global_load_dwordx2 v[0:1], v[4:5], off
	s_movk_i32 s0, 0xffe0
	s_waitcnt vmcnt(0)
	v_trunc_f64_e32 v[0:1], v[0:1]
	v_ldexp_f64 v[6:7], v[0:1], s0
	v_floor_f64_e32 v[6:7], v[6:7]
	v_fmac_f64_e32 v[0:1], 0xc1f00000, v[6:7]
	v_cvt_u32_f64_e32 v0, v[0:1]
	s_mov_b64 s[0:1], 0
	s_branch .LBB424_1106
.LBB424_1104:
	s_mov_b64 s[0:1], -1
                                        ; implicit-def: $vgpr0
	s_branch .LBB424_1109
.LBB424_1105:
	s_mov_b64 s[0:1], -1
                                        ; implicit-def: $vgpr0
.LBB424_1106:
	s_andn2_b64 vcc, exec, s[0:1]
	s_cbranch_vccnz .LBB424_1108
; %bb.1107:
	global_load_dword v0, v[4:5], off
	s_mov_b32 s0, 0x2f800000
	s_waitcnt vmcnt(0)
	v_trunc_f32_e32 v0, v0
	v_mul_f32_e64 v1, |v0|, s0
	v_floor_f32_e32 v1, v1
	s_mov_b32 s0, 0xcf800000
	v_fma_f32 v1, v1, s0, |v0|
	v_cvt_u32_f32_e32 v1, v1
	v_ashrrev_i32_e32 v0, 31, v0
	v_xor_b32_e32 v1, v1, v0
	v_sub_u32_e32 v0, v1, v0
.LBB424_1108:
	s_mov_b64 s[0:1], 0
.LBB424_1109:
	s_andn2_b64 vcc, exec, s[0:1]
	s_cbranch_vccnz .LBB424_1111
; %bb.1110:
	global_load_ushort v0, v[4:5], off
	s_waitcnt vmcnt(0)
	v_cvt_f32_f16_e32 v0, v0
	v_cvt_i32_f32_e32 v0, v0
.LBB424_1111:
	s_cbranch_execnz .LBB424_1130
.LBB424_1112:
	s_cmp_lt_i32 s2, 2
	s_cbranch_scc1 .LBB424_1116
; %bb.1113:
	s_cmp_lt_i32 s2, 3
	s_cbranch_scc1 .LBB424_1117
; %bb.1114:
	s_cmp_gt_i32 s2, 3
	s_cbranch_scc0 .LBB424_1118
; %bb.1115:
	global_load_dwordx2 v[0:1], v[4:5], off
	s_mov_b64 s[0:1], 0
	s_branch .LBB424_1119
.LBB424_1116:
                                        ; implicit-def: $vgpr0
	s_branch .LBB424_1125
.LBB424_1117:
	s_mov_b64 s[0:1], -1
                                        ; implicit-def: $vgpr0
	s_branch .LBB424_1122
.LBB424_1118:
	s_mov_b64 s[0:1], -1
                                        ; implicit-def: $vgpr0
.LBB424_1119:
	s_andn2_b64 vcc, exec, s[0:1]
	s_cbranch_vccnz .LBB424_1121
; %bb.1120:
	global_load_dword v0, v[4:5], off
.LBB424_1121:
	s_mov_b64 s[0:1], 0
.LBB424_1122:
	s_andn2_b64 vcc, exec, s[0:1]
	s_cbranch_vccnz .LBB424_1124
; %bb.1123:
	global_load_ushort v0, v[4:5], off
.LBB424_1124:
	s_cbranch_execnz .LBB424_1130
.LBB424_1125:
	s_cmp_gt_i32 s2, 0
	s_cbranch_scc0 .LBB424_1127
; %bb.1126:
	global_load_ubyte v0, v[4:5], off
	s_mov_b64 s[0:1], 0
	s_branch .LBB424_1128
.LBB424_1127:
	s_mov_b64 s[0:1], -1
                                        ; implicit-def: $vgpr0
.LBB424_1128:
	s_andn2_b64 vcc, exec, s[0:1]
	s_cbranch_vccnz .LBB424_1130
; %bb.1129:
	global_load_ubyte v0, v[4:5], off
.LBB424_1130:
.LBB424_1131:
	s_lshl_b32 s9, s9, 7
	v_add_u32_e32 v4, s9, v2
	v_ashrrev_i32_e32 v5, 31, v4
	s_cmp_lt_i32 s20, 11
	v_lshl_add_u64 v[6:7], s[6:7], 0, v[4:5]
	s_cbranch_scc1 .LBB424_1138
; %bb.1132:
	s_and_b32 s21, 0xffff, s20
	s_cmp_gt_i32 s21, 25
	s_mov_b64 s[2:3], 0
	s_cbranch_scc0 .LBB424_1140
; %bb.1133:
	s_cmp_gt_i32 s21, 28
	s_cbranch_scc0 .LBB424_1141
; %bb.1134:
	s_cmp_gt_i32 s21, 43
	;; [unrolled: 3-line block ×3, first 2 shown]
	s_cbranch_scc0 .LBB424_1144
; %bb.1136:
	s_cmp_eq_u32 s21, 46
	s_mov_b64 s[18:19], 0
	s_cbranch_scc0 .LBB424_1147
; %bb.1137:
	global_load_dword v1, v[6:7], off
	s_mov_b32 s0, 0x2f800000
	s_mov_b32 s1, 0xcf800000
	s_mov_b64 s[16:17], -1
	s_waitcnt vmcnt(0)
	v_lshlrev_b32_e32 v1, 16, v1
	v_trunc_f32_e32 v1, v1
	v_mul_f32_e64 v2, |v1|, s0
	v_floor_f32_e32 v2, v2
	v_fma_f32 v2, v2, s1, |v1|
	v_cvt_u32_f32_e32 v2, v2
	v_ashrrev_i32_e32 v1, 31, v1
	s_mov_b64 s[0:1], 0
	v_xor_b32_e32 v2, v2, v1
	v_sub_u32_e32 v2, v2, v1
	s_branch .LBB424_1148
.LBB424_1138:
	s_mov_b64 s[16:17], 0
                                        ; implicit-def: $vgpr2
	s_cbranch_execnz .LBB424_1209
.LBB424_1139:
	s_andn2_b64 vcc, exec, s[16:17]
	s_cbranch_vccnz .LBB424_1940
	s_branch .LBB424_1256
.LBB424_1140:
	s_mov_b64 s[16:17], 0
	s_mov_b64 s[0:1], 0
                                        ; implicit-def: $vgpr2
	s_cbranch_execnz .LBB424_1175
	s_branch .LBB424_1205
.LBB424_1141:
	s_mov_b64 s[18:19], -1
	s_mov_b64 s[16:17], 0
	s_mov_b64 s[0:1], 0
                                        ; implicit-def: $vgpr2
	s_branch .LBB424_1158
.LBB424_1142:
	s_mov_b64 s[18:19], -1
	s_mov_b64 s[16:17], 0
	s_mov_b64 s[0:1], 0
                                        ; implicit-def: $vgpr2
	s_branch .LBB424_1153
.LBB424_1143:
	s_or_b64 s[14:15], s[12:13], exec
	s_trap 2
	s_cbranch_execz .LBB424_1084
	s_branch .LBB424_1085
.LBB424_1144:
	s_mov_b64 s[18:19], -1
	s_mov_b64 s[16:17], 0
	s_mov_b64 s[0:1], 0
                                        ; implicit-def: $vgpr2
	s_branch .LBB424_1148
.LBB424_1145:
	s_andn2_saveexec_b64 s[24:25], s[24:25]
	s_cbranch_execz .LBB424_932
.LBB424_1146:
	v_add_f32_e32 v1, 0x42800000, v4
	v_and_b32_e32 v1, 0xff, v1
	v_cmp_ne_u32_e32 vcc, 0, v1
	s_andn2_b64 s[22:23], s[22:23], exec
	s_and_b64 s[28:29], vcc, exec
	s_or_b64 s[22:23], s[22:23], s[28:29]
	s_or_b64 exec, exec, s[24:25]
	v_mov_b32_e32 v5, 0
	s_and_saveexec_b64 s[24:25], s[22:23]
	s_cbranch_execnz .LBB424_933
	s_branch .LBB424_934
.LBB424_1147:
	s_mov_b64 s[0:1], -1
                                        ; implicit-def: $vgpr2
	s_mov_b64 s[16:17], 0
.LBB424_1148:
	s_and_b64 vcc, exec, s[18:19]
	s_cbranch_vccz .LBB424_1152
; %bb.1149:
	s_cmp_eq_u32 s21, 44
	s_cbranch_scc0 .LBB424_1151
; %bb.1150:
	global_load_ubyte v1, v[6:7], off
	s_mov_b32 s0, 0x2f800000
	s_mov_b32 s1, 0xcf800000
	s_mov_b64 s[16:17], -1
	s_waitcnt vmcnt(0)
	v_lshlrev_b32_e32 v2, 23, v1
	v_trunc_f32_e32 v2, v2
	v_mul_f32_e64 v3, |v2|, s0
	v_floor_f32_e32 v3, v3
	v_fma_f32 v3, v3, s1, |v2|
	v_cvt_u32_f32_e32 v3, v3
	v_ashrrev_i32_e32 v2, 31, v2
	v_cmp_ne_u32_e32 vcc, 0, v1
	s_mov_b64 s[0:1], 0
	v_xor_b32_e32 v3, v3, v2
	v_sub_u32_e32 v2, v3, v2
	v_cndmask_b32_e32 v2, 0, v2, vcc
	s_branch .LBB424_1152
.LBB424_1151:
	s_mov_b64 s[0:1], -1
                                        ; implicit-def: $vgpr2
.LBB424_1152:
	s_mov_b64 s[18:19], 0
.LBB424_1153:
	s_and_b64 vcc, exec, s[18:19]
	s_cbranch_vccz .LBB424_1157
; %bb.1154:
	s_cmp_eq_u32 s21, 29
	s_cbranch_scc0 .LBB424_1156
; %bb.1155:
	global_load_dwordx2 v[2:3], v[6:7], off
	s_mov_b64 s[0:1], 0
	s_mov_b64 s[16:17], -1
	s_branch .LBB424_1157
.LBB424_1156:
	s_mov_b64 s[0:1], -1
                                        ; implicit-def: $vgpr2
.LBB424_1157:
	s_mov_b64 s[18:19], 0
.LBB424_1158:
	s_and_b64 vcc, exec, s[18:19]
	s_cbranch_vccz .LBB424_1174
; %bb.1159:
	s_cmp_lt_i32 s21, 27
	s_cbranch_scc1 .LBB424_1162
; %bb.1160:
	s_cmp_gt_i32 s21, 27
	s_cbranch_scc0 .LBB424_1163
; %bb.1161:
	global_load_dword v2, v[6:7], off
	s_mov_b64 s[16:17], 0
	s_branch .LBB424_1164
.LBB424_1162:
	s_mov_b64 s[16:17], -1
                                        ; implicit-def: $vgpr2
	s_branch .LBB424_1167
.LBB424_1163:
	s_mov_b64 s[16:17], -1
                                        ; implicit-def: $vgpr2
.LBB424_1164:
	s_andn2_b64 vcc, exec, s[16:17]
	s_cbranch_vccnz .LBB424_1166
; %bb.1165:
	global_load_ushort v2, v[6:7], off
.LBB424_1166:
	s_mov_b64 s[16:17], 0
.LBB424_1167:
	s_andn2_b64 vcc, exec, s[16:17]
	s_cbranch_vccnz .LBB424_1173
; %bb.1168:
	global_load_ubyte v1, v[6:7], off
	s_movk_i32 s16, 0x7f
	s_mov_b64 s[18:19], 0
	s_waitcnt vmcnt(0)
	v_cmp_lt_i16_e32 vcc, s16, v1
	s_and_saveexec_b64 s[16:17], vcc
	s_xor_b64 s[16:17], exec, s[16:17]
	s_cbranch_execz .LBB424_1184
; %bb.1169:
	s_movk_i32 s18, 0x80
	v_cmp_ne_u16_e32 vcc, s18, v1
	s_and_b64 s[18:19], vcc, exec
	s_andn2_saveexec_b64 s[16:17], s[16:17]
	s_cbranch_execnz .LBB424_1185
.LBB424_1170:
	s_or_b64 exec, exec, s[16:17]
	v_mov_b32_e32 v2, 0
	s_and_saveexec_b64 s[16:17], s[18:19]
	s_cbranch_execz .LBB424_1172
.LBB424_1171:
	v_lshlrev_b32_e32 v2, 24, v1
	v_and_b32_e32 v1, 0xffff, v1
	v_and_b32_e32 v3, 7, v1
	v_ffbh_u32_e32 v8, v3
	v_min_u32_e32 v8, 32, v8
	v_subrev_u32_e32 v9, 28, v8
	v_bfe_u32 v5, v1, 3, 4
	v_lshlrev_b32_e32 v1, v9, v1
	v_sub_u32_e32 v8, 29, v8
	v_and_b32_e32 v1, 7, v1
	v_cmp_eq_u32_e32 vcc, 0, v5
	v_and_b32_e32 v2, 0x80000000, v2
	s_mov_b32 s18, 0x2f800000
	v_cndmask_b32_e32 v5, v5, v8, vcc
	v_cndmask_b32_e32 v1, v3, v1, vcc
	v_mov_b32_e32 v3, 0x3b800000
	v_lshlrev_b32_e32 v1, 20, v1
	v_lshl_add_u32 v3, v5, 23, v3
	v_or3_b32 v1, v2, v3, v1
	v_trunc_f32_e32 v1, v1
	v_mul_f32_e64 v2, |v1|, s18
	v_floor_f32_e32 v2, v2
	s_mov_b32 s18, 0xcf800000
	v_fma_f32 v2, v2, s18, |v1|
	v_cvt_u32_f32_e32 v2, v2
	v_ashrrev_i32_e32 v1, 31, v1
	v_xor_b32_e32 v2, v2, v1
	v_sub_u32_e32 v2, v2, v1
.LBB424_1172:
	s_or_b64 exec, exec, s[16:17]
.LBB424_1173:
	s_mov_b64 s[16:17], -1
.LBB424_1174:
	s_branch .LBB424_1205
.LBB424_1175:
	s_cmp_gt_i32 s21, 22
	s_cbranch_scc0 .LBB424_1183
; %bb.1176:
	s_cmp_lt_i32 s21, 24
	s_cbranch_scc1 .LBB424_1186
; %bb.1177:
	s_cmp_gt_i32 s21, 24
	s_cbranch_scc0 .LBB424_1187
; %bb.1178:
	global_load_ubyte v1, v[6:7], off
	s_movk_i32 s2, 0x7f
	s_mov_b64 s[16:17], 0
	s_waitcnt vmcnt(0)
	v_cmp_lt_i16_e32 vcc, s2, v1
	s_and_saveexec_b64 s[2:3], vcc
	s_xor_b64 s[2:3], exec, s[2:3]
	s_cbranch_execz .LBB424_1199
; %bb.1179:
	s_movk_i32 s16, 0x80
	v_cmp_ne_u16_e32 vcc, s16, v1
	s_and_b64 s[16:17], vcc, exec
	s_andn2_saveexec_b64 s[2:3], s[2:3]
	s_cbranch_execnz .LBB424_1200
.LBB424_1180:
	s_or_b64 exec, exec, s[2:3]
	v_mov_b32_e32 v2, 0
	s_and_saveexec_b64 s[2:3], s[16:17]
	s_cbranch_execz .LBB424_1182
.LBB424_1181:
	v_lshlrev_b32_e32 v2, 24, v1
	v_and_b32_e32 v1, 0xffff, v1
	v_and_b32_e32 v3, 3, v1
	v_ffbh_u32_e32 v8, v3
	v_min_u32_e32 v8, 32, v8
	v_subrev_u32_e32 v9, 29, v8
	v_bfe_u32 v5, v1, 2, 5
	v_lshlrev_b32_e32 v1, v9, v1
	v_sub_u32_e32 v8, 30, v8
	v_and_b32_e32 v1, 3, v1
	v_cmp_eq_u32_e32 vcc, 0, v5
	v_and_b32_e32 v2, 0x80000000, v2
	s_mov_b32 s16, 0x2f800000
	v_cndmask_b32_e32 v5, v5, v8, vcc
	v_cndmask_b32_e32 v1, v3, v1, vcc
	v_mov_b32_e32 v3, 0x37800000
	v_lshlrev_b32_e32 v1, 21, v1
	v_lshl_add_u32 v3, v5, 23, v3
	v_or3_b32 v1, v2, v3, v1
	v_trunc_f32_e32 v1, v1
	v_mul_f32_e64 v2, |v1|, s16
	v_floor_f32_e32 v2, v2
	s_mov_b32 s16, 0xcf800000
	v_fma_f32 v2, v2, s16, |v1|
	v_cvt_u32_f32_e32 v2, v2
	v_ashrrev_i32_e32 v1, 31, v1
	v_xor_b32_e32 v2, v2, v1
	v_sub_u32_e32 v2, v2, v1
.LBB424_1182:
	s_or_b64 exec, exec, s[2:3]
	s_mov_b64 s[2:3], 0
	s_branch .LBB424_1188
.LBB424_1183:
	s_mov_b64 s[2:3], -1
                                        ; implicit-def: $vgpr2
	s_branch .LBB424_1194
.LBB424_1184:
	s_andn2_saveexec_b64 s[16:17], s[16:17]
	s_cbranch_execz .LBB424_1170
.LBB424_1185:
	v_cmp_ne_u16_e32 vcc, 0, v1
	s_andn2_b64 s[18:19], s[18:19], exec
	s_and_b64 s[22:23], vcc, exec
	s_or_b64 s[18:19], s[18:19], s[22:23]
	s_or_b64 exec, exec, s[16:17]
	v_mov_b32_e32 v2, 0
	s_and_saveexec_b64 s[16:17], s[18:19]
	s_cbranch_execnz .LBB424_1171
	s_branch .LBB424_1172
.LBB424_1186:
	s_mov_b64 s[2:3], -1
                                        ; implicit-def: $vgpr2
	s_branch .LBB424_1191
.LBB424_1187:
	s_mov_b64 s[2:3], -1
                                        ; implicit-def: $vgpr2
.LBB424_1188:
	s_and_b64 vcc, exec, s[2:3]
	s_cbranch_vccz .LBB424_1190
; %bb.1189:
	global_load_ubyte v1, v[6:7], off
	s_mov_b32 s2, 0x7f800000
	s_brev_b32 s3, 1
	s_mov_b32 s16, 0x2f800000
	s_waitcnt vmcnt(0)
	v_lshlrev_b32_e32 v1, 24, v1
	v_and_b32_e32 v2, 0x7f000000, v1
	v_ffbh_u32_e32 v3, v2
	v_min_u32_e32 v3, 32, v3
	v_sub_u32_e64 v3, v3, 4 clamp
	v_lshlrev_b32_e32 v8, v3, v2
	v_lshlrev_b32_e32 v3, 23, v3
	v_lshrrev_b32_e32 v8, 4, v8
	v_add_u32_e32 v5, 0x1000000, v2
	v_sub_u32_e32 v3, v8, v3
	v_ashrrev_i32_e32 v5, 8, v5
	v_add_u32_e32 v3, 0x3c000000, v3
	v_and_or_b32 v3, v5, s2, v3
	v_cmp_ne_u32_e32 vcc, 0, v2
	s_mov_b32 s2, 0xcf800000
	s_nop 0
	v_cndmask_b32_e32 v2, 0, v3, vcc
	v_and_or_b32 v1, v1, s3, v2
	v_trunc_f32_e32 v1, v1
	v_mul_f32_e64 v2, |v1|, s16
	v_floor_f32_e32 v2, v2
	v_fma_f32 v2, v2, s2, |v1|
	v_cvt_u32_f32_e32 v2, v2
	v_ashrrev_i32_e32 v1, 31, v1
	v_xor_b32_e32 v2, v2, v1
	v_sub_u32_e32 v2, v2, v1
.LBB424_1190:
	s_mov_b64 s[2:3], 0
.LBB424_1191:
	s_andn2_b64 vcc, exec, s[2:3]
	s_cbranch_vccnz .LBB424_1193
; %bb.1192:
	global_load_ubyte v1, v[6:7], off
	s_movk_i32 s2, 0x7f00
	s_brev_b32 s3, 16
	s_brev_b32 s16, 1
	s_mov_b32 s17, 0x2f800000
	s_waitcnt vmcnt(0)
	v_lshlrev_b16_e32 v2, 8, v1
	v_lshlrev_b32_e32 v1, 25, v1
	v_lshrrev_b32_e32 v3, 4, v1
	v_and_or_b32 v5, v2, s2, 0.5
	v_or_b32_e32 v3, 0x70000000, v3
	v_add_f32_e32 v5, -0.5, v5
	v_mul_f32_e32 v3, 0x7800000, v3
	v_cmp_gt_u32_e32 vcc, s3, v1
	v_bfe_i32 v2, v2, 0, 16
	s_mov_b32 s2, 0xcf800000
	v_cndmask_b32_e32 v1, v3, v5, vcc
	v_and_or_b32 v1, v2, s16, v1
	v_trunc_f32_e32 v1, v1
	v_mul_f32_e64 v2, |v1|, s17
	v_floor_f32_e32 v2, v2
	v_fma_f32 v2, v2, s2, |v1|
	v_cvt_u32_f32_e32 v2, v2
	v_ashrrev_i32_e32 v1, 31, v1
	v_xor_b32_e32 v2, v2, v1
	v_sub_u32_e32 v2, v2, v1
.LBB424_1193:
	s_mov_b64 s[2:3], 0
	s_mov_b64 s[16:17], -1
.LBB424_1194:
	s_andn2_b64 vcc, exec, s[2:3]
	s_mov_b64 s[2:3], 0
	s_cbranch_vccnz .LBB424_1205
; %bb.1195:
	s_cmp_gt_i32 s21, 14
	s_cbranch_scc0 .LBB424_1198
; %bb.1196:
	s_cmp_eq_u32 s21, 15
	s_cbranch_scc0 .LBB424_1201
; %bb.1197:
	global_load_ushort v1, v[6:7], off
	s_mov_b32 s0, 0x2f800000
	s_mov_b32 s1, 0xcf800000
	s_mov_b64 s[16:17], -1
	s_waitcnt vmcnt(0)
	v_lshlrev_b32_e32 v1, 16, v1
	v_trunc_f32_e32 v1, v1
	v_mul_f32_e64 v2, |v1|, s0
	v_floor_f32_e32 v2, v2
	v_fma_f32 v2, v2, s1, |v1|
	v_cvt_u32_f32_e32 v2, v2
	v_ashrrev_i32_e32 v1, 31, v1
	s_mov_b64 s[0:1], 0
	v_xor_b32_e32 v2, v2, v1
	v_sub_u32_e32 v2, v2, v1
	s_branch .LBB424_1202
.LBB424_1198:
	s_mov_b64 s[18:19], -1
                                        ; implicit-def: $vgpr2
	s_branch .LBB424_1203
.LBB424_1199:
	s_andn2_saveexec_b64 s[2:3], s[2:3]
	s_cbranch_execz .LBB424_1180
.LBB424_1200:
	v_cmp_ne_u16_e32 vcc, 0, v1
	s_andn2_b64 s[16:17], s[16:17], exec
	s_and_b64 s[18:19], vcc, exec
	s_or_b64 s[16:17], s[16:17], s[18:19]
	s_or_b64 exec, exec, s[2:3]
	v_mov_b32_e32 v2, 0
	s_and_saveexec_b64 s[2:3], s[16:17]
	s_cbranch_execnz .LBB424_1181
	s_branch .LBB424_1182
.LBB424_1201:
	s_mov_b64 s[0:1], -1
                                        ; implicit-def: $vgpr2
.LBB424_1202:
	s_mov_b64 s[18:19], 0
.LBB424_1203:
	s_and_b64 vcc, exec, s[18:19]
	s_cbranch_vccz .LBB424_1205
; %bb.1204:
	s_cmp_lg_u32 s21, 11
	s_mov_b64 s[2:3], -1
	s_cselect_b64 s[0:1], -1, 0
.LBB424_1205:
	s_and_b64 vcc, exec, s[0:1]
	s_cbranch_vccnz .LBB424_1268
; %bb.1206:
	s_andn2_b64 vcc, exec, s[2:3]
	s_cbranch_vccnz .LBB424_1208
.LBB424_1207:
	global_load_ubyte v1, v[6:7], off
	s_mov_b64 s[16:17], -1
	s_waitcnt vmcnt(0)
	v_cmp_ne_u16_e32 vcc, 0, v1
	s_nop 1
	v_cndmask_b32_e64 v2, 0, 1, vcc
.LBB424_1208:
	s_branch .LBB424_1139
.LBB424_1209:
	s_and_b32 s2, 0xffff, s20
	s_cmp_lt_i32 s2, 5
	s_cbranch_scc1 .LBB424_1214
; %bb.1210:
	s_cmp_lt_i32 s2, 8
	s_cbranch_scc1 .LBB424_1215
; %bb.1211:
	;; [unrolled: 3-line block ×3, first 2 shown]
	s_cmp_gt_i32 s2, 9
	s_cbranch_scc0 .LBB424_1217
; %bb.1213:
	global_load_dwordx2 v[2:3], v[6:7], off
	s_movk_i32 s0, 0xffe0
	s_waitcnt vmcnt(0)
	v_trunc_f64_e32 v[2:3], v[2:3]
	v_ldexp_f64 v[8:9], v[2:3], s0
	v_floor_f64_e32 v[8:9], v[8:9]
	v_fmac_f64_e32 v[2:3], 0xc1f00000, v[8:9]
	v_cvt_u32_f64_e32 v2, v[2:3]
	s_mov_b64 s[0:1], 0
	s_branch .LBB424_1218
.LBB424_1214:
                                        ; implicit-def: $vgpr2
	s_branch .LBB424_1236
.LBB424_1215:
	s_mov_b64 s[0:1], -1
                                        ; implicit-def: $vgpr2
	s_branch .LBB424_1224
.LBB424_1216:
	s_mov_b64 s[0:1], -1
                                        ; implicit-def: $vgpr2
	s_branch .LBB424_1221
.LBB424_1217:
	s_mov_b64 s[0:1], -1
                                        ; implicit-def: $vgpr2
.LBB424_1218:
	s_andn2_b64 vcc, exec, s[0:1]
	s_cbranch_vccnz .LBB424_1220
; %bb.1219:
	global_load_dword v1, v[6:7], off
	s_mov_b32 s0, 0x2f800000
	s_waitcnt vmcnt(0)
	v_trunc_f32_e32 v1, v1
	v_mul_f32_e64 v2, |v1|, s0
	v_floor_f32_e32 v2, v2
	s_mov_b32 s0, 0xcf800000
	v_fma_f32 v2, v2, s0, |v1|
	v_cvt_u32_f32_e32 v2, v2
	v_ashrrev_i32_e32 v1, 31, v1
	v_xor_b32_e32 v2, v2, v1
	v_sub_u32_e32 v2, v2, v1
.LBB424_1220:
	s_mov_b64 s[0:1], 0
.LBB424_1221:
	s_andn2_b64 vcc, exec, s[0:1]
	s_cbranch_vccnz .LBB424_1223
; %bb.1222:
	global_load_dword v1, v[6:7], off
	s_waitcnt vmcnt(0)
	v_cvt_f32_f16_e32 v1, v1
	v_cvt_i32_f32_e32 v2, v1
.LBB424_1223:
	s_mov_b64 s[0:1], 0
.LBB424_1224:
	s_andn2_b64 vcc, exec, s[0:1]
	s_cbranch_vccnz .LBB424_1235
; %bb.1225:
	s_cmp_lt_i32 s2, 6
	s_cbranch_scc1 .LBB424_1228
; %bb.1226:
	s_cmp_gt_i32 s2, 6
	s_cbranch_scc0 .LBB424_1229
; %bb.1227:
	global_load_dwordx2 v[2:3], v[6:7], off
	s_movk_i32 s0, 0xffe0
	s_waitcnt vmcnt(0)
	v_trunc_f64_e32 v[2:3], v[2:3]
	v_ldexp_f64 v[8:9], v[2:3], s0
	v_floor_f64_e32 v[8:9], v[8:9]
	v_fmac_f64_e32 v[2:3], 0xc1f00000, v[8:9]
	v_cvt_u32_f64_e32 v2, v[2:3]
	s_mov_b64 s[0:1], 0
	s_branch .LBB424_1230
.LBB424_1228:
	s_mov_b64 s[0:1], -1
                                        ; implicit-def: $vgpr2
	s_branch .LBB424_1233
.LBB424_1229:
	s_mov_b64 s[0:1], -1
                                        ; implicit-def: $vgpr2
.LBB424_1230:
	s_andn2_b64 vcc, exec, s[0:1]
	s_cbranch_vccnz .LBB424_1232
; %bb.1231:
	global_load_dword v1, v[6:7], off
	s_mov_b32 s0, 0x2f800000
	s_waitcnt vmcnt(0)
	v_trunc_f32_e32 v1, v1
	v_mul_f32_e64 v2, |v1|, s0
	v_floor_f32_e32 v2, v2
	s_mov_b32 s0, 0xcf800000
	v_fma_f32 v2, v2, s0, |v1|
	v_cvt_u32_f32_e32 v2, v2
	v_ashrrev_i32_e32 v1, 31, v1
	v_xor_b32_e32 v2, v2, v1
	v_sub_u32_e32 v2, v2, v1
.LBB424_1232:
	s_mov_b64 s[0:1], 0
.LBB424_1233:
	s_andn2_b64 vcc, exec, s[0:1]
	s_cbranch_vccnz .LBB424_1235
; %bb.1234:
	global_load_ushort v1, v[6:7], off
	s_waitcnt vmcnt(0)
	v_cvt_f32_f16_e32 v1, v1
	v_cvt_i32_f32_e32 v2, v1
.LBB424_1235:
	s_cbranch_execnz .LBB424_1255
.LBB424_1236:
	s_cmp_lt_i32 s2, 2
	s_cbranch_scc1 .LBB424_1240
; %bb.1237:
	s_cmp_lt_i32 s2, 3
	s_cbranch_scc1 .LBB424_1241
; %bb.1238:
	s_cmp_gt_i32 s2, 3
	s_cbranch_scc0 .LBB424_1242
; %bb.1239:
	global_load_dwordx2 v[2:3], v[6:7], off
	s_mov_b64 s[0:1], 0
	s_branch .LBB424_1243
.LBB424_1240:
	s_mov_b64 s[0:1], -1
                                        ; implicit-def: $vgpr2
	s_branch .LBB424_1249
.LBB424_1241:
	s_mov_b64 s[0:1], -1
                                        ; implicit-def: $vgpr2
	s_branch .LBB424_1246
.LBB424_1242:
	s_mov_b64 s[0:1], -1
                                        ; implicit-def: $vgpr2
.LBB424_1243:
	s_andn2_b64 vcc, exec, s[0:1]
	s_cbranch_vccnz .LBB424_1245
; %bb.1244:
	global_load_dword v2, v[6:7], off
.LBB424_1245:
	s_mov_b64 s[0:1], 0
.LBB424_1246:
	s_andn2_b64 vcc, exec, s[0:1]
	s_cbranch_vccnz .LBB424_1248
; %bb.1247:
	global_load_ushort v2, v[6:7], off
.LBB424_1248:
	s_mov_b64 s[0:1], 0
.LBB424_1249:
	s_andn2_b64 vcc, exec, s[0:1]
	s_cbranch_vccnz .LBB424_1255
; %bb.1250:
	s_cmp_gt_i32 s2, 0
	s_cbranch_scc0 .LBB424_1252
; %bb.1251:
	global_load_ubyte v2, v[6:7], off
	s_mov_b64 s[0:1], 0
	s_branch .LBB424_1253
.LBB424_1252:
	s_mov_b64 s[0:1], -1
                                        ; implicit-def: $vgpr2
.LBB424_1253:
	s_andn2_b64 vcc, exec, s[0:1]
	s_cbranch_vccnz .LBB424_1255
; %bb.1254:
	global_load_ubyte v2, v[6:7], off
.LBB424_1255:
.LBB424_1256:
	v_add_u32_e32 v6, s9, v4
	v_ashrrev_i32_e32 v7, 31, v6
	s_cmp_lt_i32 s20, 11
	v_lshl_add_u64 v[8:9], s[6:7], 0, v[6:7]
	s_cbranch_scc1 .LBB424_1263
; %bb.1257:
	s_and_b32 s21, 0xffff, s20
	s_cmp_gt_i32 s21, 25
	s_mov_b64 s[2:3], 0
	s_cbranch_scc0 .LBB424_1265
; %bb.1258:
	s_cmp_gt_i32 s21, 28
	s_cbranch_scc0 .LBB424_1266
; %bb.1259:
	s_cmp_gt_i32 s21, 43
	;; [unrolled: 3-line block ×3, first 2 shown]
	s_cbranch_scc0 .LBB424_1269
; %bb.1261:
	s_cmp_eq_u32 s21, 46
	s_mov_b64 s[18:19], 0
	s_cbranch_scc0 .LBB424_1270
; %bb.1262:
	global_load_dword v1, v[8:9], off
	s_mov_b32 s0, 0x2f800000
	s_mov_b32 s1, 0xcf800000
	s_mov_b64 s[16:17], -1
	s_waitcnt vmcnt(0)
	v_lshlrev_b32_e32 v1, 16, v1
	v_trunc_f32_e32 v1, v1
	v_mul_f32_e64 v3, |v1|, s0
	v_floor_f32_e32 v3, v3
	v_fma_f32 v3, v3, s1, |v1|
	v_cvt_u32_f32_e32 v3, v3
	v_ashrrev_i32_e32 v1, 31, v1
	s_mov_b64 s[0:1], 0
	v_xor_b32_e32 v3, v3, v1
	v_sub_u32_e32 v4, v3, v1
	s_branch .LBB424_1271
.LBB424_1263:
	s_mov_b64 s[16:17], 0
                                        ; implicit-def: $vgpr4
	s_cbranch_execnz .LBB424_1333
.LBB424_1264:
	s_andn2_b64 vcc, exec, s[16:17]
	s_cbranch_vccnz .LBB424_1940
	s_branch .LBB424_1381
.LBB424_1265:
	s_mov_b64 s[18:19], -1
	s_mov_b64 s[16:17], 0
	s_mov_b64 s[0:1], 0
                                        ; implicit-def: $vgpr4
	s_branch .LBB424_1298
.LBB424_1266:
	s_mov_b64 s[18:19], -1
	s_mov_b64 s[16:17], 0
	s_mov_b64 s[0:1], 0
                                        ; implicit-def: $vgpr4
	s_branch .LBB424_1281
.LBB424_1267:
	s_mov_b64 s[18:19], -1
	s_mov_b64 s[16:17], 0
	s_mov_b64 s[0:1], 0
                                        ; implicit-def: $vgpr4
	s_branch .LBB424_1276
.LBB424_1268:
	s_trap 2
	s_or_b64 s[14:15], s[14:15], exec
	s_cbranch_execz .LBB424_1207
	s_branch .LBB424_1208
.LBB424_1269:
	s_mov_b64 s[18:19], -1
	s_mov_b64 s[16:17], 0
	s_mov_b64 s[0:1], 0
                                        ; implicit-def: $vgpr4
	s_branch .LBB424_1271
.LBB424_1270:
	s_mov_b64 s[0:1], -1
                                        ; implicit-def: $vgpr4
	s_mov_b64 s[16:17], 0
.LBB424_1271:
	s_and_b64 vcc, exec, s[18:19]
	s_cbranch_vccz .LBB424_1275
; %bb.1272:
	s_cmp_eq_u32 s21, 44
	s_cbranch_scc0 .LBB424_1274
; %bb.1273:
	global_load_ubyte v1, v[8:9], off
	s_mov_b32 s0, 0x2f800000
	s_mov_b32 s1, 0xcf800000
	s_mov_b64 s[16:17], -1
	s_waitcnt vmcnt(0)
	v_lshlrev_b32_e32 v3, 23, v1
	v_trunc_f32_e32 v3, v3
	v_mul_f32_e64 v4, |v3|, s0
	v_floor_f32_e32 v4, v4
	v_fma_f32 v4, v4, s1, |v3|
	v_cvt_u32_f32_e32 v4, v4
	v_ashrrev_i32_e32 v3, 31, v3
	v_cmp_ne_u32_e32 vcc, 0, v1
	s_mov_b64 s[0:1], 0
	v_xor_b32_e32 v4, v4, v3
	v_sub_u32_e32 v3, v4, v3
	v_cndmask_b32_e32 v4, 0, v3, vcc
	s_branch .LBB424_1275
.LBB424_1274:
	s_mov_b64 s[0:1], -1
                                        ; implicit-def: $vgpr4
.LBB424_1275:
	s_mov_b64 s[18:19], 0
.LBB424_1276:
	s_and_b64 vcc, exec, s[18:19]
	s_cbranch_vccz .LBB424_1280
; %bb.1277:
	s_cmp_eq_u32 s21, 29
	s_cbranch_scc0 .LBB424_1279
; %bb.1278:
	global_load_dwordx2 v[4:5], v[8:9], off
	s_mov_b64 s[0:1], 0
	s_mov_b64 s[16:17], -1
	s_branch .LBB424_1280
.LBB424_1279:
	s_mov_b64 s[0:1], -1
                                        ; implicit-def: $vgpr4
.LBB424_1280:
	s_mov_b64 s[18:19], 0
.LBB424_1281:
	s_and_b64 vcc, exec, s[18:19]
	s_cbranch_vccz .LBB424_1297
; %bb.1282:
	s_cmp_lt_i32 s21, 27
	s_cbranch_scc1 .LBB424_1285
; %bb.1283:
	s_cmp_gt_i32 s21, 27
	s_cbranch_scc0 .LBB424_1286
; %bb.1284:
	global_load_dword v4, v[8:9], off
	s_mov_b64 s[16:17], 0
	s_branch .LBB424_1287
.LBB424_1285:
	s_mov_b64 s[16:17], -1
                                        ; implicit-def: $vgpr4
	s_branch .LBB424_1290
.LBB424_1286:
	s_mov_b64 s[16:17], -1
                                        ; implicit-def: $vgpr4
.LBB424_1287:
	s_andn2_b64 vcc, exec, s[16:17]
	s_cbranch_vccnz .LBB424_1289
; %bb.1288:
	global_load_ushort v4, v[8:9], off
.LBB424_1289:
	s_mov_b64 s[16:17], 0
.LBB424_1290:
	s_andn2_b64 vcc, exec, s[16:17]
	s_cbranch_vccnz .LBB424_1296
; %bb.1291:
	global_load_ubyte v1, v[8:9], off
	s_movk_i32 s16, 0x7f
	s_mov_b64 s[18:19], 0
	s_waitcnt vmcnt(0)
	v_cmp_lt_i16_e32 vcc, s16, v1
	s_and_saveexec_b64 s[16:17], vcc
	s_xor_b64 s[16:17], exec, s[16:17]
	s_cbranch_execz .LBB424_1308
; %bb.1292:
	s_movk_i32 s18, 0x80
	v_cmp_ne_u16_e32 vcc, s18, v1
	s_and_b64 s[18:19], vcc, exec
	s_andn2_saveexec_b64 s[16:17], s[16:17]
	s_cbranch_execnz .LBB424_1309
.LBB424_1293:
	s_or_b64 exec, exec, s[16:17]
	v_mov_b32_e32 v4, 0
	s_and_saveexec_b64 s[16:17], s[18:19]
	s_cbranch_execz .LBB424_1295
.LBB424_1294:
	v_lshlrev_b32_e32 v3, 24, v1
	v_and_b32_e32 v1, 0xffff, v1
	v_and_b32_e32 v4, 7, v1
	v_ffbh_u32_e32 v7, v4
	v_min_u32_e32 v7, 32, v7
	v_subrev_u32_e32 v11, 28, v7
	v_bfe_u32 v5, v1, 3, 4
	v_lshlrev_b32_e32 v1, v11, v1
	v_sub_u32_e32 v7, 29, v7
	v_and_b32_e32 v1, 7, v1
	v_cmp_eq_u32_e32 vcc, 0, v5
	v_and_b32_e32 v3, 0x80000000, v3
	s_mov_b32 s18, 0x2f800000
	v_cndmask_b32_e32 v5, v5, v7, vcc
	v_cndmask_b32_e32 v1, v4, v1, vcc
	v_mov_b32_e32 v4, 0x3b800000
	v_lshlrev_b32_e32 v1, 20, v1
	v_lshl_add_u32 v4, v5, 23, v4
	v_or3_b32 v1, v3, v4, v1
	v_trunc_f32_e32 v1, v1
	v_mul_f32_e64 v3, |v1|, s18
	v_floor_f32_e32 v3, v3
	s_mov_b32 s18, 0xcf800000
	v_fma_f32 v3, v3, s18, |v1|
	v_cvt_u32_f32_e32 v3, v3
	v_ashrrev_i32_e32 v1, 31, v1
	v_xor_b32_e32 v3, v3, v1
	v_sub_u32_e32 v4, v3, v1
.LBB424_1295:
	s_or_b64 exec, exec, s[16:17]
.LBB424_1296:
	s_mov_b64 s[16:17], -1
.LBB424_1297:
	s_mov_b64 s[18:19], 0
.LBB424_1298:
	s_and_b64 vcc, exec, s[18:19]
	s_cbranch_vccz .LBB424_1329
; %bb.1299:
	s_cmp_gt_i32 s21, 22
	s_cbranch_scc0 .LBB424_1307
; %bb.1300:
	s_cmp_lt_i32 s21, 24
	s_cbranch_scc1 .LBB424_1310
; %bb.1301:
	s_cmp_gt_i32 s21, 24
	s_cbranch_scc0 .LBB424_1311
; %bb.1302:
	global_load_ubyte v1, v[8:9], off
	s_movk_i32 s2, 0x7f
	s_mov_b64 s[16:17], 0
	s_waitcnt vmcnt(0)
	v_cmp_lt_i16_e32 vcc, s2, v1
	s_and_saveexec_b64 s[2:3], vcc
	s_xor_b64 s[2:3], exec, s[2:3]
	s_cbranch_execz .LBB424_1323
; %bb.1303:
	s_movk_i32 s16, 0x80
	v_cmp_ne_u16_e32 vcc, s16, v1
	s_and_b64 s[16:17], vcc, exec
	s_andn2_saveexec_b64 s[2:3], s[2:3]
	s_cbranch_execnz .LBB424_1324
.LBB424_1304:
	s_or_b64 exec, exec, s[2:3]
	v_mov_b32_e32 v4, 0
	s_and_saveexec_b64 s[2:3], s[16:17]
	s_cbranch_execz .LBB424_1306
.LBB424_1305:
	v_lshlrev_b32_e32 v3, 24, v1
	v_and_b32_e32 v1, 0xffff, v1
	v_and_b32_e32 v4, 3, v1
	v_ffbh_u32_e32 v7, v4
	v_min_u32_e32 v7, 32, v7
	v_subrev_u32_e32 v11, 29, v7
	v_bfe_u32 v5, v1, 2, 5
	v_lshlrev_b32_e32 v1, v11, v1
	v_sub_u32_e32 v7, 30, v7
	v_and_b32_e32 v1, 3, v1
	v_cmp_eq_u32_e32 vcc, 0, v5
	v_and_b32_e32 v3, 0x80000000, v3
	s_mov_b32 s16, 0x2f800000
	v_cndmask_b32_e32 v5, v5, v7, vcc
	v_cndmask_b32_e32 v1, v4, v1, vcc
	v_mov_b32_e32 v4, 0x37800000
	v_lshlrev_b32_e32 v1, 21, v1
	v_lshl_add_u32 v4, v5, 23, v4
	v_or3_b32 v1, v3, v4, v1
	v_trunc_f32_e32 v1, v1
	v_mul_f32_e64 v3, |v1|, s16
	v_floor_f32_e32 v3, v3
	s_mov_b32 s16, 0xcf800000
	v_fma_f32 v3, v3, s16, |v1|
	v_cvt_u32_f32_e32 v3, v3
	v_ashrrev_i32_e32 v1, 31, v1
	v_xor_b32_e32 v3, v3, v1
	v_sub_u32_e32 v4, v3, v1
.LBB424_1306:
	s_or_b64 exec, exec, s[2:3]
	s_mov_b64 s[2:3], 0
	s_branch .LBB424_1312
.LBB424_1307:
	s_mov_b64 s[2:3], -1
                                        ; implicit-def: $vgpr4
	s_branch .LBB424_1318
.LBB424_1308:
	s_andn2_saveexec_b64 s[16:17], s[16:17]
	s_cbranch_execz .LBB424_1293
.LBB424_1309:
	v_cmp_ne_u16_e32 vcc, 0, v1
	s_andn2_b64 s[18:19], s[18:19], exec
	s_and_b64 s[22:23], vcc, exec
	s_or_b64 s[18:19], s[18:19], s[22:23]
	s_or_b64 exec, exec, s[16:17]
	v_mov_b32_e32 v4, 0
	s_and_saveexec_b64 s[16:17], s[18:19]
	s_cbranch_execnz .LBB424_1294
	s_branch .LBB424_1295
.LBB424_1310:
	s_mov_b64 s[2:3], -1
                                        ; implicit-def: $vgpr4
	s_branch .LBB424_1315
.LBB424_1311:
	s_mov_b64 s[2:3], -1
                                        ; implicit-def: $vgpr4
.LBB424_1312:
	s_and_b64 vcc, exec, s[2:3]
	s_cbranch_vccz .LBB424_1314
; %bb.1313:
	global_load_ubyte v1, v[8:9], off
	s_mov_b32 s2, 0x7f800000
	s_brev_b32 s3, 1
	s_mov_b32 s16, 0x2f800000
	s_waitcnt vmcnt(0)
	v_lshlrev_b32_e32 v1, 24, v1
	v_and_b32_e32 v3, 0x7f000000, v1
	v_ffbh_u32_e32 v4, v3
	v_min_u32_e32 v4, 32, v4
	v_sub_u32_e64 v4, v4, 4 clamp
	v_lshlrev_b32_e32 v7, v4, v3
	v_lshlrev_b32_e32 v4, 23, v4
	v_lshrrev_b32_e32 v7, 4, v7
	v_add_u32_e32 v5, 0x1000000, v3
	v_sub_u32_e32 v4, v7, v4
	v_ashrrev_i32_e32 v5, 8, v5
	v_add_u32_e32 v4, 0x3c000000, v4
	v_and_or_b32 v4, v5, s2, v4
	v_cmp_ne_u32_e32 vcc, 0, v3
	s_mov_b32 s2, 0xcf800000
	s_nop 0
	v_cndmask_b32_e32 v3, 0, v4, vcc
	v_and_or_b32 v1, v1, s3, v3
	v_trunc_f32_e32 v1, v1
	v_mul_f32_e64 v3, |v1|, s16
	v_floor_f32_e32 v3, v3
	v_fma_f32 v3, v3, s2, |v1|
	v_cvt_u32_f32_e32 v3, v3
	v_ashrrev_i32_e32 v1, 31, v1
	v_xor_b32_e32 v3, v3, v1
	v_sub_u32_e32 v4, v3, v1
.LBB424_1314:
	s_mov_b64 s[2:3], 0
.LBB424_1315:
	s_andn2_b64 vcc, exec, s[2:3]
	s_cbranch_vccnz .LBB424_1317
; %bb.1316:
	global_load_ubyte v1, v[8:9], off
	s_movk_i32 s2, 0x7f00
	s_brev_b32 s3, 16
	s_brev_b32 s16, 1
	s_mov_b32 s17, 0x2f800000
	s_waitcnt vmcnt(0)
	v_lshlrev_b16_e32 v3, 8, v1
	v_lshlrev_b32_e32 v1, 25, v1
	v_lshrrev_b32_e32 v4, 4, v1
	v_and_or_b32 v5, v3, s2, 0.5
	v_or_b32_e32 v4, 0x70000000, v4
	v_add_f32_e32 v5, -0.5, v5
	v_mul_f32_e32 v4, 0x7800000, v4
	v_cmp_gt_u32_e32 vcc, s3, v1
	v_bfe_i32 v3, v3, 0, 16
	s_mov_b32 s2, 0xcf800000
	v_cndmask_b32_e32 v1, v4, v5, vcc
	v_and_or_b32 v1, v3, s16, v1
	v_trunc_f32_e32 v1, v1
	v_mul_f32_e64 v3, |v1|, s17
	v_floor_f32_e32 v3, v3
	v_fma_f32 v3, v3, s2, |v1|
	v_cvt_u32_f32_e32 v3, v3
	v_ashrrev_i32_e32 v1, 31, v1
	v_xor_b32_e32 v3, v3, v1
	v_sub_u32_e32 v4, v3, v1
.LBB424_1317:
	s_mov_b64 s[2:3], 0
	s_mov_b64 s[16:17], -1
.LBB424_1318:
	s_andn2_b64 vcc, exec, s[2:3]
	s_mov_b64 s[2:3], 0
	s_cbranch_vccnz .LBB424_1329
; %bb.1319:
	s_cmp_gt_i32 s21, 14
	s_cbranch_scc0 .LBB424_1322
; %bb.1320:
	s_cmp_eq_u32 s21, 15
	s_cbranch_scc0 .LBB424_1325
; %bb.1321:
	global_load_ushort v1, v[8:9], off
	s_mov_b32 s0, 0x2f800000
	s_mov_b32 s1, 0xcf800000
	s_mov_b64 s[16:17], -1
	s_waitcnt vmcnt(0)
	v_lshlrev_b32_e32 v1, 16, v1
	v_trunc_f32_e32 v1, v1
	v_mul_f32_e64 v3, |v1|, s0
	v_floor_f32_e32 v3, v3
	v_fma_f32 v3, v3, s1, |v1|
	v_cvt_u32_f32_e32 v3, v3
	v_ashrrev_i32_e32 v1, 31, v1
	s_mov_b64 s[0:1], 0
	v_xor_b32_e32 v3, v3, v1
	v_sub_u32_e32 v4, v3, v1
	s_branch .LBB424_1326
.LBB424_1322:
	s_mov_b64 s[18:19], -1
                                        ; implicit-def: $vgpr4
	s_branch .LBB424_1327
.LBB424_1323:
	s_andn2_saveexec_b64 s[2:3], s[2:3]
	s_cbranch_execz .LBB424_1304
.LBB424_1324:
	v_cmp_ne_u16_e32 vcc, 0, v1
	s_andn2_b64 s[16:17], s[16:17], exec
	s_and_b64 s[18:19], vcc, exec
	s_or_b64 s[16:17], s[16:17], s[18:19]
	s_or_b64 exec, exec, s[2:3]
	v_mov_b32_e32 v4, 0
	s_and_saveexec_b64 s[2:3], s[16:17]
	s_cbranch_execnz .LBB424_1305
	s_branch .LBB424_1306
.LBB424_1325:
	s_mov_b64 s[0:1], -1
                                        ; implicit-def: $vgpr4
.LBB424_1326:
	s_mov_b64 s[18:19], 0
.LBB424_1327:
	s_and_b64 vcc, exec, s[18:19]
	s_cbranch_vccz .LBB424_1329
; %bb.1328:
	s_cmp_lg_u32 s21, 11
	s_mov_b64 s[2:3], -1
	s_cselect_b64 s[0:1], -1, 0
.LBB424_1329:
	s_and_b64 vcc, exec, s[0:1]
	s_cbranch_vccnz .LBB424_1392
; %bb.1330:
	s_andn2_b64 vcc, exec, s[2:3]
	s_cbranch_vccnz .LBB424_1332
.LBB424_1331:
	global_load_ubyte v1, v[8:9], off
	s_mov_b64 s[16:17], -1
	s_waitcnt vmcnt(0)
	v_cmp_ne_u16_e32 vcc, 0, v1
	s_nop 1
	v_cndmask_b32_e64 v4, 0, 1, vcc
.LBB424_1332:
	s_branch .LBB424_1264
.LBB424_1333:
	s_and_b32 s2, 0xffff, s20
	s_cmp_lt_i32 s2, 5
	s_cbranch_scc1 .LBB424_1338
; %bb.1334:
	s_cmp_lt_i32 s2, 8
	s_cbranch_scc1 .LBB424_1339
; %bb.1335:
	;; [unrolled: 3-line block ×3, first 2 shown]
	s_cmp_gt_i32 s2, 9
	s_cbranch_scc0 .LBB424_1341
; %bb.1337:
	global_load_dwordx2 v[4:5], v[8:9], off
	s_movk_i32 s0, 0xffe0
	s_waitcnt vmcnt(0)
	v_trunc_f64_e32 v[4:5], v[4:5]
	v_ldexp_f64 v[12:13], v[4:5], s0
	v_floor_f64_e32 v[12:13], v[12:13]
	v_fmac_f64_e32 v[4:5], 0xc1f00000, v[12:13]
	v_cvt_u32_f64_e32 v4, v[4:5]
	s_mov_b64 s[0:1], 0
	s_branch .LBB424_1342
.LBB424_1338:
	s_mov_b64 s[0:1], -1
                                        ; implicit-def: $vgpr4
	s_branch .LBB424_1360
.LBB424_1339:
	s_mov_b64 s[0:1], -1
                                        ; implicit-def: $vgpr4
	s_branch .LBB424_1348
.LBB424_1340:
	s_mov_b64 s[0:1], -1
                                        ; implicit-def: $vgpr4
	s_branch .LBB424_1345
.LBB424_1341:
	s_mov_b64 s[0:1], -1
                                        ; implicit-def: $vgpr4
.LBB424_1342:
	s_andn2_b64 vcc, exec, s[0:1]
	s_cbranch_vccnz .LBB424_1344
; %bb.1343:
	global_load_dword v1, v[8:9], off
	s_mov_b32 s0, 0x2f800000
	s_waitcnt vmcnt(0)
	v_trunc_f32_e32 v1, v1
	v_mul_f32_e64 v3, |v1|, s0
	v_floor_f32_e32 v3, v3
	s_mov_b32 s0, 0xcf800000
	v_fma_f32 v3, v3, s0, |v1|
	v_cvt_u32_f32_e32 v3, v3
	v_ashrrev_i32_e32 v1, 31, v1
	v_xor_b32_e32 v3, v3, v1
	v_sub_u32_e32 v4, v3, v1
.LBB424_1344:
	s_mov_b64 s[0:1], 0
.LBB424_1345:
	s_andn2_b64 vcc, exec, s[0:1]
	s_cbranch_vccnz .LBB424_1347
; %bb.1346:
	global_load_dword v1, v[8:9], off
	s_waitcnt vmcnt(0)
	v_cvt_f32_f16_e32 v1, v1
	v_cvt_i32_f32_e32 v4, v1
.LBB424_1347:
	s_mov_b64 s[0:1], 0
.LBB424_1348:
	s_andn2_b64 vcc, exec, s[0:1]
	s_cbranch_vccnz .LBB424_1359
; %bb.1349:
	s_cmp_lt_i32 s2, 6
	s_cbranch_scc1 .LBB424_1352
; %bb.1350:
	s_cmp_gt_i32 s2, 6
	s_cbranch_scc0 .LBB424_1353
; %bb.1351:
	global_load_dwordx2 v[4:5], v[8:9], off
	s_movk_i32 s0, 0xffe0
	s_waitcnt vmcnt(0)
	v_trunc_f64_e32 v[4:5], v[4:5]
	v_ldexp_f64 v[12:13], v[4:5], s0
	v_floor_f64_e32 v[12:13], v[12:13]
	v_fmac_f64_e32 v[4:5], 0xc1f00000, v[12:13]
	v_cvt_u32_f64_e32 v4, v[4:5]
	s_mov_b64 s[0:1], 0
	s_branch .LBB424_1354
.LBB424_1352:
	s_mov_b64 s[0:1], -1
                                        ; implicit-def: $vgpr4
	s_branch .LBB424_1357
.LBB424_1353:
	s_mov_b64 s[0:1], -1
                                        ; implicit-def: $vgpr4
.LBB424_1354:
	s_andn2_b64 vcc, exec, s[0:1]
	s_cbranch_vccnz .LBB424_1356
; %bb.1355:
	global_load_dword v1, v[8:9], off
	s_mov_b32 s0, 0x2f800000
	s_waitcnt vmcnt(0)
	v_trunc_f32_e32 v1, v1
	v_mul_f32_e64 v3, |v1|, s0
	v_floor_f32_e32 v3, v3
	s_mov_b32 s0, 0xcf800000
	v_fma_f32 v3, v3, s0, |v1|
	v_cvt_u32_f32_e32 v3, v3
	v_ashrrev_i32_e32 v1, 31, v1
	v_xor_b32_e32 v3, v3, v1
	v_sub_u32_e32 v4, v3, v1
.LBB424_1356:
	s_mov_b64 s[0:1], 0
.LBB424_1357:
	s_andn2_b64 vcc, exec, s[0:1]
	s_cbranch_vccnz .LBB424_1359
; %bb.1358:
	global_load_ushort v1, v[8:9], off
	s_waitcnt vmcnt(0)
	v_cvt_f32_f16_e32 v1, v1
	v_cvt_i32_f32_e32 v4, v1
.LBB424_1359:
	s_mov_b64 s[0:1], 0
.LBB424_1360:
	s_andn2_b64 vcc, exec, s[0:1]
	s_cbranch_vccnz .LBB424_1380
; %bb.1361:
	s_cmp_lt_i32 s2, 2
	s_cbranch_scc1 .LBB424_1365
; %bb.1362:
	s_cmp_lt_i32 s2, 3
	s_cbranch_scc1 .LBB424_1366
; %bb.1363:
	s_cmp_gt_i32 s2, 3
	s_cbranch_scc0 .LBB424_1367
; %bb.1364:
	global_load_dwordx2 v[4:5], v[8:9], off
	s_mov_b64 s[0:1], 0
	s_branch .LBB424_1368
.LBB424_1365:
	s_mov_b64 s[0:1], -1
                                        ; implicit-def: $vgpr4
	s_branch .LBB424_1374
.LBB424_1366:
	s_mov_b64 s[0:1], -1
                                        ; implicit-def: $vgpr4
	s_branch .LBB424_1371
.LBB424_1367:
	s_mov_b64 s[0:1], -1
                                        ; implicit-def: $vgpr4
.LBB424_1368:
	s_andn2_b64 vcc, exec, s[0:1]
	s_cbranch_vccnz .LBB424_1370
; %bb.1369:
	global_load_dword v4, v[8:9], off
.LBB424_1370:
	s_mov_b64 s[0:1], 0
.LBB424_1371:
	s_andn2_b64 vcc, exec, s[0:1]
	s_cbranch_vccnz .LBB424_1373
; %bb.1372:
	global_load_ushort v4, v[8:9], off
.LBB424_1373:
	s_mov_b64 s[0:1], 0
.LBB424_1374:
	s_andn2_b64 vcc, exec, s[0:1]
	s_cbranch_vccnz .LBB424_1380
; %bb.1375:
	s_cmp_gt_i32 s2, 0
	s_cbranch_scc0 .LBB424_1377
; %bb.1376:
	global_load_ubyte v4, v[8:9], off
	s_mov_b64 s[0:1], 0
	s_branch .LBB424_1378
.LBB424_1377:
	s_mov_b64 s[0:1], -1
                                        ; implicit-def: $vgpr4
.LBB424_1378:
	s_andn2_b64 vcc, exec, s[0:1]
	s_cbranch_vccnz .LBB424_1380
; %bb.1379:
	global_load_ubyte v4, v[8:9], off
.LBB424_1380:
.LBB424_1381:
	v_add_u32_e32 v6, s9, v6
	v_ashrrev_i32_e32 v7, 31, v6
	s_cmp_lt_i32 s20, 11
	v_lshl_add_u64 v[8:9], s[6:7], 0, v[6:7]
	s_cbranch_scc1 .LBB424_1388
; %bb.1382:
	s_and_b32 s9, 0xffff, s20
	s_cmp_gt_i32 s9, 25
	s_mov_b64 s[2:3], 0
	s_cbranch_scc0 .LBB424_1389
; %bb.1383:
	s_cmp_gt_i32 s9, 28
	s_cbranch_scc0 .LBB424_1390
; %bb.1384:
	s_cmp_gt_i32 s9, 43
	;; [unrolled: 3-line block ×3, first 2 shown]
	s_cbranch_scc0 .LBB424_1393
; %bb.1386:
	s_cmp_eq_u32 s9, 46
	s_mov_b64 s[16:17], 0
	s_cbranch_scc0 .LBB424_1394
; %bb.1387:
	global_load_dword v1, v[8:9], off
	s_mov_b32 s0, 0x2f800000
	s_mov_b32 s1, 0xcf800000
	s_mov_b64 s[6:7], -1
	s_waitcnt vmcnt(0)
	v_lshlrev_b32_e32 v1, 16, v1
	v_trunc_f32_e32 v1, v1
	v_mul_f32_e64 v3, |v1|, s0
	v_floor_f32_e32 v3, v3
	v_fma_f32 v3, v3, s1, |v1|
	v_cvt_u32_f32_e32 v3, v3
	v_ashrrev_i32_e32 v1, 31, v1
	s_mov_b64 s[0:1], 0
	v_xor_b32_e32 v3, v3, v1
	v_sub_u32_e32 v6, v3, v1
	s_branch .LBB424_1395
.LBB424_1388:
	s_mov_b64 s[0:1], -1
	s_mov_b64 s[6:7], 0
                                        ; implicit-def: $vgpr6
	s_branch .LBB424_1457
.LBB424_1389:
	s_mov_b64 s[16:17], -1
	s_mov_b64 s[6:7], 0
	s_mov_b64 s[0:1], 0
                                        ; implicit-def: $vgpr6
	s_branch .LBB424_1422
.LBB424_1390:
	s_mov_b64 s[16:17], -1
	s_mov_b64 s[6:7], 0
	s_mov_b64 s[0:1], 0
                                        ; implicit-def: $vgpr6
	s_branch .LBB424_1405
.LBB424_1391:
	s_mov_b64 s[16:17], -1
	s_mov_b64 s[6:7], 0
	s_mov_b64 s[0:1], 0
                                        ; implicit-def: $vgpr6
	s_branch .LBB424_1400
.LBB424_1392:
	s_trap 2
	s_or_b64 s[14:15], s[14:15], exec
	s_cbranch_execz .LBB424_1331
	s_branch .LBB424_1332
.LBB424_1393:
	s_mov_b64 s[16:17], -1
	s_mov_b64 s[6:7], 0
	s_mov_b64 s[0:1], 0
                                        ; implicit-def: $vgpr6
	s_branch .LBB424_1395
.LBB424_1394:
	s_mov_b64 s[0:1], -1
                                        ; implicit-def: $vgpr6
	s_mov_b64 s[6:7], 0
.LBB424_1395:
	s_and_b64 vcc, exec, s[16:17]
	s_cbranch_vccz .LBB424_1399
; %bb.1396:
	s_cmp_eq_u32 s9, 44
	s_cbranch_scc0 .LBB424_1398
; %bb.1397:
	global_load_ubyte v1, v[8:9], off
	s_mov_b32 s0, 0x2f800000
	s_mov_b32 s1, 0xcf800000
	s_mov_b64 s[6:7], -1
	s_waitcnt vmcnt(0)
	v_lshlrev_b32_e32 v3, 23, v1
	v_trunc_f32_e32 v3, v3
	v_mul_f32_e64 v5, |v3|, s0
	v_floor_f32_e32 v5, v5
	v_fma_f32 v5, v5, s1, |v3|
	v_cvt_u32_f32_e32 v5, v5
	v_ashrrev_i32_e32 v3, 31, v3
	v_cmp_ne_u32_e32 vcc, 0, v1
	s_mov_b64 s[0:1], 0
	v_xor_b32_e32 v5, v5, v3
	v_sub_u32_e32 v3, v5, v3
	v_cndmask_b32_e32 v6, 0, v3, vcc
	s_branch .LBB424_1399
.LBB424_1398:
	s_mov_b64 s[0:1], -1
                                        ; implicit-def: $vgpr6
.LBB424_1399:
	s_mov_b64 s[16:17], 0
.LBB424_1400:
	s_and_b64 vcc, exec, s[16:17]
	s_cbranch_vccz .LBB424_1404
; %bb.1401:
	s_cmp_eq_u32 s9, 29
	s_cbranch_scc0 .LBB424_1403
; %bb.1402:
	global_load_dwordx2 v[6:7], v[8:9], off
	s_mov_b64 s[0:1], 0
	s_mov_b64 s[6:7], -1
	s_branch .LBB424_1404
.LBB424_1403:
	s_mov_b64 s[0:1], -1
                                        ; implicit-def: $vgpr6
.LBB424_1404:
	s_mov_b64 s[16:17], 0
.LBB424_1405:
	s_and_b64 vcc, exec, s[16:17]
	s_cbranch_vccz .LBB424_1421
; %bb.1406:
	s_cmp_lt_i32 s9, 27
	s_cbranch_scc1 .LBB424_1409
; %bb.1407:
	s_cmp_gt_i32 s9, 27
	s_cbranch_scc0 .LBB424_1410
; %bb.1408:
	global_load_dword v6, v[8:9], off
	s_mov_b64 s[6:7], 0
	s_branch .LBB424_1411
.LBB424_1409:
	s_mov_b64 s[6:7], -1
                                        ; implicit-def: $vgpr6
	s_branch .LBB424_1414
.LBB424_1410:
	s_mov_b64 s[6:7], -1
                                        ; implicit-def: $vgpr6
.LBB424_1411:
	s_andn2_b64 vcc, exec, s[6:7]
	s_cbranch_vccnz .LBB424_1413
; %bb.1412:
	global_load_ushort v6, v[8:9], off
.LBB424_1413:
	s_mov_b64 s[6:7], 0
.LBB424_1414:
	s_andn2_b64 vcc, exec, s[6:7]
	s_cbranch_vccnz .LBB424_1420
; %bb.1415:
	global_load_ubyte v1, v[8:9], off
	s_movk_i32 s6, 0x7f
	s_mov_b64 s[16:17], 0
	s_waitcnt vmcnt(0)
	v_cmp_lt_i16_e32 vcc, s6, v1
	s_and_saveexec_b64 s[6:7], vcc
	s_xor_b64 s[6:7], exec, s[6:7]
	s_cbranch_execz .LBB424_1432
; %bb.1416:
	s_movk_i32 s16, 0x80
	v_cmp_ne_u16_e32 vcc, s16, v1
	s_and_b64 s[16:17], vcc, exec
	s_andn2_saveexec_b64 s[6:7], s[6:7]
	s_cbranch_execnz .LBB424_1433
.LBB424_1417:
	s_or_b64 exec, exec, s[6:7]
	v_mov_b32_e32 v6, 0
	s_and_saveexec_b64 s[6:7], s[16:17]
	s_cbranch_execz .LBB424_1419
.LBB424_1418:
	v_lshlrev_b32_e32 v3, 24, v1
	v_and_b32_e32 v1, 0xffff, v1
	v_and_b32_e32 v5, 7, v1
	v_ffbh_u32_e32 v7, v5
	v_min_u32_e32 v7, 32, v7
	v_subrev_u32_e32 v11, 28, v7
	v_bfe_u32 v6, v1, 3, 4
	v_lshlrev_b32_e32 v1, v11, v1
	v_sub_u32_e32 v7, 29, v7
	v_and_b32_e32 v1, 7, v1
	v_cmp_eq_u32_e32 vcc, 0, v6
	v_and_b32_e32 v3, 0x80000000, v3
	s_mov_b32 s16, 0x2f800000
	v_cndmask_b32_e32 v6, v6, v7, vcc
	v_cndmask_b32_e32 v1, v5, v1, vcc
	v_mov_b32_e32 v5, 0x3b800000
	v_lshlrev_b32_e32 v1, 20, v1
	v_lshl_add_u32 v5, v6, 23, v5
	v_or3_b32 v1, v3, v5, v1
	v_trunc_f32_e32 v1, v1
	v_mul_f32_e64 v3, |v1|, s16
	v_floor_f32_e32 v3, v3
	s_mov_b32 s16, 0xcf800000
	v_fma_f32 v3, v3, s16, |v1|
	v_cvt_u32_f32_e32 v3, v3
	v_ashrrev_i32_e32 v1, 31, v1
	v_xor_b32_e32 v3, v3, v1
	v_sub_u32_e32 v6, v3, v1
.LBB424_1419:
	s_or_b64 exec, exec, s[6:7]
.LBB424_1420:
	s_mov_b64 s[6:7], -1
.LBB424_1421:
	s_mov_b64 s[16:17], 0
.LBB424_1422:
	s_and_b64 vcc, exec, s[16:17]
	s_cbranch_vccz .LBB424_1453
; %bb.1423:
	s_cmp_gt_i32 s9, 22
	s_cbranch_scc0 .LBB424_1431
; %bb.1424:
	s_cmp_lt_i32 s9, 24
	s_cbranch_scc1 .LBB424_1434
; %bb.1425:
	s_cmp_gt_i32 s9, 24
	s_cbranch_scc0 .LBB424_1435
; %bb.1426:
	global_load_ubyte v1, v[8:9], off
	s_movk_i32 s2, 0x7f
	s_mov_b64 s[6:7], 0
	s_waitcnt vmcnt(0)
	v_cmp_lt_i16_e32 vcc, s2, v1
	s_and_saveexec_b64 s[2:3], vcc
	s_xor_b64 s[2:3], exec, s[2:3]
	s_cbranch_execz .LBB424_1447
; %bb.1427:
	s_movk_i32 s6, 0x80
	v_cmp_ne_u16_e32 vcc, s6, v1
	s_and_b64 s[6:7], vcc, exec
	s_andn2_saveexec_b64 s[2:3], s[2:3]
	s_cbranch_execnz .LBB424_1448
.LBB424_1428:
	s_or_b64 exec, exec, s[2:3]
	v_mov_b32_e32 v6, 0
	s_and_saveexec_b64 s[2:3], s[6:7]
	s_cbranch_execz .LBB424_1430
.LBB424_1429:
	v_lshlrev_b32_e32 v3, 24, v1
	v_and_b32_e32 v1, 0xffff, v1
	v_and_b32_e32 v5, 3, v1
	v_ffbh_u32_e32 v7, v5
	v_min_u32_e32 v7, 32, v7
	v_subrev_u32_e32 v11, 29, v7
	v_bfe_u32 v6, v1, 2, 5
	v_lshlrev_b32_e32 v1, v11, v1
	v_sub_u32_e32 v7, 30, v7
	v_and_b32_e32 v1, 3, v1
	v_cmp_eq_u32_e32 vcc, 0, v6
	v_and_b32_e32 v3, 0x80000000, v3
	s_mov_b32 s6, 0x2f800000
	v_cndmask_b32_e32 v6, v6, v7, vcc
	v_cndmask_b32_e32 v1, v5, v1, vcc
	v_mov_b32_e32 v5, 0x37800000
	v_lshlrev_b32_e32 v1, 21, v1
	v_lshl_add_u32 v5, v6, 23, v5
	v_or3_b32 v1, v3, v5, v1
	v_trunc_f32_e32 v1, v1
	v_mul_f32_e64 v3, |v1|, s6
	v_floor_f32_e32 v3, v3
	s_mov_b32 s6, 0xcf800000
	v_fma_f32 v3, v3, s6, |v1|
	v_cvt_u32_f32_e32 v3, v3
	v_ashrrev_i32_e32 v1, 31, v1
	v_xor_b32_e32 v3, v3, v1
	v_sub_u32_e32 v6, v3, v1
.LBB424_1430:
	s_or_b64 exec, exec, s[2:3]
	s_mov_b64 s[2:3], 0
	s_branch .LBB424_1436
.LBB424_1431:
	s_mov_b64 s[2:3], -1
                                        ; implicit-def: $vgpr6
	s_branch .LBB424_1442
.LBB424_1432:
	s_andn2_saveexec_b64 s[6:7], s[6:7]
	s_cbranch_execz .LBB424_1417
.LBB424_1433:
	v_cmp_ne_u16_e32 vcc, 0, v1
	s_andn2_b64 s[16:17], s[16:17], exec
	s_and_b64 s[18:19], vcc, exec
	s_or_b64 s[16:17], s[16:17], s[18:19]
	s_or_b64 exec, exec, s[6:7]
	v_mov_b32_e32 v6, 0
	s_and_saveexec_b64 s[6:7], s[16:17]
	s_cbranch_execnz .LBB424_1418
	s_branch .LBB424_1419
.LBB424_1434:
	s_mov_b64 s[2:3], -1
                                        ; implicit-def: $vgpr6
	s_branch .LBB424_1439
.LBB424_1435:
	s_mov_b64 s[2:3], -1
                                        ; implicit-def: $vgpr6
.LBB424_1436:
	s_and_b64 vcc, exec, s[2:3]
	s_cbranch_vccz .LBB424_1438
; %bb.1437:
	global_load_ubyte v1, v[8:9], off
	s_mov_b32 s2, 0x7f800000
	s_brev_b32 s3, 1
	s_mov_b32 s6, 0x2f800000
	s_waitcnt vmcnt(0)
	v_lshlrev_b32_e32 v1, 24, v1
	v_and_b32_e32 v3, 0x7f000000, v1
	v_ffbh_u32_e32 v5, v3
	v_min_u32_e32 v5, 32, v5
	v_sub_u32_e64 v5, v5, 4 clamp
	v_lshlrev_b32_e32 v7, v5, v3
	v_lshlrev_b32_e32 v5, 23, v5
	v_lshrrev_b32_e32 v7, 4, v7
	v_add_u32_e32 v6, 0x1000000, v3
	v_sub_u32_e32 v5, v7, v5
	v_ashrrev_i32_e32 v6, 8, v6
	v_add_u32_e32 v5, 0x3c000000, v5
	v_and_or_b32 v5, v6, s2, v5
	v_cmp_ne_u32_e32 vcc, 0, v3
	s_mov_b32 s2, 0xcf800000
	s_nop 0
	v_cndmask_b32_e32 v3, 0, v5, vcc
	v_and_or_b32 v1, v1, s3, v3
	v_trunc_f32_e32 v1, v1
	v_mul_f32_e64 v3, |v1|, s6
	v_floor_f32_e32 v3, v3
	v_fma_f32 v3, v3, s2, |v1|
	v_cvt_u32_f32_e32 v3, v3
	v_ashrrev_i32_e32 v1, 31, v1
	v_xor_b32_e32 v3, v3, v1
	v_sub_u32_e32 v6, v3, v1
.LBB424_1438:
	s_mov_b64 s[2:3], 0
.LBB424_1439:
	s_andn2_b64 vcc, exec, s[2:3]
	s_cbranch_vccnz .LBB424_1441
; %bb.1440:
	global_load_ubyte v1, v[8:9], off
	s_movk_i32 s2, 0x7f00
	s_brev_b32 s3, 16
	s_brev_b32 s6, 1
	s_mov_b32 s7, 0x2f800000
	s_waitcnt vmcnt(0)
	v_lshlrev_b16_e32 v3, 8, v1
	v_lshlrev_b32_e32 v1, 25, v1
	v_lshrrev_b32_e32 v5, 4, v1
	v_and_or_b32 v6, v3, s2, 0.5
	v_or_b32_e32 v5, 0x70000000, v5
	v_add_f32_e32 v6, -0.5, v6
	v_mul_f32_e32 v5, 0x7800000, v5
	v_cmp_gt_u32_e32 vcc, s3, v1
	v_bfe_i32 v3, v3, 0, 16
	s_mov_b32 s2, 0xcf800000
	v_cndmask_b32_e32 v1, v5, v6, vcc
	v_and_or_b32 v1, v3, s6, v1
	v_trunc_f32_e32 v1, v1
	v_mul_f32_e64 v3, |v1|, s7
	v_floor_f32_e32 v3, v3
	v_fma_f32 v3, v3, s2, |v1|
	v_cvt_u32_f32_e32 v3, v3
	v_ashrrev_i32_e32 v1, 31, v1
	v_xor_b32_e32 v3, v3, v1
	v_sub_u32_e32 v6, v3, v1
.LBB424_1441:
	s_mov_b64 s[2:3], 0
	s_mov_b64 s[6:7], -1
.LBB424_1442:
	s_andn2_b64 vcc, exec, s[2:3]
	s_mov_b64 s[2:3], 0
	s_cbranch_vccnz .LBB424_1453
; %bb.1443:
	s_cmp_gt_i32 s9, 14
	s_cbranch_scc0 .LBB424_1446
; %bb.1444:
	s_cmp_eq_u32 s9, 15
	s_cbranch_scc0 .LBB424_1449
; %bb.1445:
	global_load_ushort v1, v[8:9], off
	s_mov_b32 s0, 0x2f800000
	s_mov_b32 s1, 0xcf800000
	s_mov_b64 s[6:7], -1
	s_waitcnt vmcnt(0)
	v_lshlrev_b32_e32 v1, 16, v1
	v_trunc_f32_e32 v1, v1
	v_mul_f32_e64 v3, |v1|, s0
	v_floor_f32_e32 v3, v3
	v_fma_f32 v3, v3, s1, |v1|
	v_cvt_u32_f32_e32 v3, v3
	v_ashrrev_i32_e32 v1, 31, v1
	s_mov_b64 s[0:1], 0
	v_xor_b32_e32 v3, v3, v1
	v_sub_u32_e32 v6, v3, v1
	s_branch .LBB424_1450
.LBB424_1446:
	s_mov_b64 s[16:17], -1
                                        ; implicit-def: $vgpr6
	s_branch .LBB424_1451
.LBB424_1447:
	s_andn2_saveexec_b64 s[2:3], s[2:3]
	s_cbranch_execz .LBB424_1428
.LBB424_1448:
	v_cmp_ne_u16_e32 vcc, 0, v1
	s_andn2_b64 s[6:7], s[6:7], exec
	s_and_b64 s[16:17], vcc, exec
	s_or_b64 s[6:7], s[6:7], s[16:17]
	s_or_b64 exec, exec, s[2:3]
	v_mov_b32_e32 v6, 0
	s_and_saveexec_b64 s[2:3], s[6:7]
	s_cbranch_execnz .LBB424_1429
	s_branch .LBB424_1430
.LBB424_1449:
	s_mov_b64 s[0:1], -1
                                        ; implicit-def: $vgpr6
.LBB424_1450:
	s_mov_b64 s[16:17], 0
.LBB424_1451:
	s_and_b64 vcc, exec, s[16:17]
	s_cbranch_vccz .LBB424_1453
; %bb.1452:
	s_cmp_lg_u32 s9, 11
	s_mov_b64 s[2:3], -1
	s_cselect_b64 s[0:1], -1, 0
.LBB424_1453:
	s_and_b64 vcc, exec, s[0:1]
	s_cbranch_vccnz .LBB424_1986
; %bb.1454:
	s_andn2_b64 vcc, exec, s[2:3]
	s_cbranch_vccnz .LBB424_1456
.LBB424_1455:
	global_load_ubyte v1, v[8:9], off
	s_mov_b64 s[6:7], -1
	s_waitcnt vmcnt(0)
	v_cmp_ne_u16_e32 vcc, 0, v1
	s_nop 1
	v_cndmask_b32_e64 v6, 0, 1, vcc
.LBB424_1456:
	s_mov_b64 s[0:1], 0
.LBB424_1457:
	s_and_b64 vcc, exec, s[0:1]
	s_cbranch_vccz .LBB424_1506
; %bb.1458:
	s_and_b32 s2, 0xffff, s20
	s_cmp_lt_i32 s2, 5
	s_cbranch_scc1 .LBB424_1463
; %bb.1459:
	s_cmp_lt_i32 s2, 8
	s_cbranch_scc1 .LBB424_1464
; %bb.1460:
	;; [unrolled: 3-line block ×3, first 2 shown]
	s_cmp_gt_i32 s2, 9
	s_cbranch_scc0 .LBB424_1466
; %bb.1462:
	global_load_dwordx2 v[6:7], v[8:9], off
	s_movk_i32 s0, 0xffe0
	s_waitcnt vmcnt(0)
	v_trunc_f64_e32 v[6:7], v[6:7]
	v_ldexp_f64 v[12:13], v[6:7], s0
	v_floor_f64_e32 v[12:13], v[12:13]
	v_fmac_f64_e32 v[6:7], 0xc1f00000, v[12:13]
	v_cvt_u32_f64_e32 v6, v[6:7]
	s_mov_b64 s[0:1], 0
	s_branch .LBB424_1467
.LBB424_1463:
	s_mov_b64 s[0:1], -1
                                        ; implicit-def: $vgpr6
	s_branch .LBB424_1485
.LBB424_1464:
	s_mov_b64 s[0:1], -1
                                        ; implicit-def: $vgpr6
	s_branch .LBB424_1473
.LBB424_1465:
	s_mov_b64 s[0:1], -1
                                        ; implicit-def: $vgpr6
	s_branch .LBB424_1470
.LBB424_1466:
	s_mov_b64 s[0:1], -1
                                        ; implicit-def: $vgpr6
.LBB424_1467:
	s_andn2_b64 vcc, exec, s[0:1]
	s_cbranch_vccnz .LBB424_1469
; %bb.1468:
	global_load_dword v1, v[8:9], off
	s_mov_b32 s0, 0x2f800000
	s_waitcnt vmcnt(0)
	v_trunc_f32_e32 v1, v1
	v_mul_f32_e64 v3, |v1|, s0
	v_floor_f32_e32 v3, v3
	s_mov_b32 s0, 0xcf800000
	v_fma_f32 v3, v3, s0, |v1|
	v_cvt_u32_f32_e32 v3, v3
	v_ashrrev_i32_e32 v1, 31, v1
	v_xor_b32_e32 v3, v3, v1
	v_sub_u32_e32 v6, v3, v1
.LBB424_1469:
	s_mov_b64 s[0:1], 0
.LBB424_1470:
	s_andn2_b64 vcc, exec, s[0:1]
	s_cbranch_vccnz .LBB424_1472
; %bb.1471:
	global_load_dword v1, v[8:9], off
	s_waitcnt vmcnt(0)
	v_cvt_f32_f16_e32 v1, v1
	v_cvt_i32_f32_e32 v6, v1
.LBB424_1472:
	s_mov_b64 s[0:1], 0
.LBB424_1473:
	s_andn2_b64 vcc, exec, s[0:1]
	s_cbranch_vccnz .LBB424_1484
; %bb.1474:
	s_cmp_lt_i32 s2, 6
	s_cbranch_scc1 .LBB424_1477
; %bb.1475:
	s_cmp_gt_i32 s2, 6
	s_cbranch_scc0 .LBB424_1478
; %bb.1476:
	global_load_dwordx2 v[6:7], v[8:9], off
	s_movk_i32 s0, 0xffe0
	s_waitcnt vmcnt(0)
	v_trunc_f64_e32 v[6:7], v[6:7]
	v_ldexp_f64 v[12:13], v[6:7], s0
	v_floor_f64_e32 v[12:13], v[12:13]
	v_fmac_f64_e32 v[6:7], 0xc1f00000, v[12:13]
	v_cvt_u32_f64_e32 v6, v[6:7]
	s_mov_b64 s[0:1], 0
	s_branch .LBB424_1479
.LBB424_1477:
	s_mov_b64 s[0:1], -1
                                        ; implicit-def: $vgpr6
	s_branch .LBB424_1482
.LBB424_1478:
	s_mov_b64 s[0:1], -1
                                        ; implicit-def: $vgpr6
.LBB424_1479:
	s_andn2_b64 vcc, exec, s[0:1]
	s_cbranch_vccnz .LBB424_1481
; %bb.1480:
	global_load_dword v1, v[8:9], off
	s_mov_b32 s0, 0x2f800000
	s_waitcnt vmcnt(0)
	v_trunc_f32_e32 v1, v1
	v_mul_f32_e64 v3, |v1|, s0
	v_floor_f32_e32 v3, v3
	s_mov_b32 s0, 0xcf800000
	v_fma_f32 v3, v3, s0, |v1|
	v_cvt_u32_f32_e32 v3, v3
	v_ashrrev_i32_e32 v1, 31, v1
	v_xor_b32_e32 v3, v3, v1
	v_sub_u32_e32 v6, v3, v1
.LBB424_1481:
	s_mov_b64 s[0:1], 0
.LBB424_1482:
	s_andn2_b64 vcc, exec, s[0:1]
	s_cbranch_vccnz .LBB424_1484
; %bb.1483:
	global_load_ushort v1, v[8:9], off
	s_waitcnt vmcnt(0)
	v_cvt_f32_f16_e32 v1, v1
	v_cvt_i32_f32_e32 v6, v1
.LBB424_1484:
	s_mov_b64 s[0:1], 0
.LBB424_1485:
	s_andn2_b64 vcc, exec, s[0:1]
	s_cbranch_vccnz .LBB424_1505
; %bb.1486:
	s_cmp_lt_i32 s2, 2
	s_cbranch_scc1 .LBB424_1490
; %bb.1487:
	s_cmp_lt_i32 s2, 3
	s_cbranch_scc1 .LBB424_1491
; %bb.1488:
	s_cmp_gt_i32 s2, 3
	s_cbranch_scc0 .LBB424_1492
; %bb.1489:
	global_load_dwordx2 v[6:7], v[8:9], off
	s_mov_b64 s[0:1], 0
	s_branch .LBB424_1493
.LBB424_1490:
	s_mov_b64 s[0:1], -1
                                        ; implicit-def: $vgpr6
	s_branch .LBB424_1499
.LBB424_1491:
	s_mov_b64 s[0:1], -1
                                        ; implicit-def: $vgpr6
	s_branch .LBB424_1496
.LBB424_1492:
	s_mov_b64 s[0:1], -1
                                        ; implicit-def: $vgpr6
.LBB424_1493:
	s_andn2_b64 vcc, exec, s[0:1]
	s_cbranch_vccnz .LBB424_1495
; %bb.1494:
	global_load_dword v6, v[8:9], off
.LBB424_1495:
	s_mov_b64 s[0:1], 0
.LBB424_1496:
	s_andn2_b64 vcc, exec, s[0:1]
	s_cbranch_vccnz .LBB424_1498
; %bb.1497:
	global_load_ushort v6, v[8:9], off
.LBB424_1498:
	s_mov_b64 s[0:1], 0
.LBB424_1499:
	s_andn2_b64 vcc, exec, s[0:1]
	s_cbranch_vccnz .LBB424_1505
; %bb.1500:
	s_cmp_gt_i32 s2, 0
	s_cbranch_scc0 .LBB424_1502
; %bb.1501:
	global_load_ubyte v6, v[8:9], off
	s_mov_b64 s[0:1], 0
	s_branch .LBB424_1503
.LBB424_1502:
	s_mov_b64 s[0:1], -1
                                        ; implicit-def: $vgpr6
.LBB424_1503:
	s_andn2_b64 vcc, exec, s[0:1]
	s_cbranch_vccnz .LBB424_1505
; %bb.1504:
	global_load_ubyte v6, v[8:9], off
.LBB424_1505:
	s_mov_b64 s[6:7], -1
.LBB424_1506:
	s_andn2_b64 vcc, exec, s[6:7]
	s_cbranch_vccnz .LBB424_1940
; %bb.1507:
	s_and_b32 s21, s33, 0xff
	s_waitcnt vmcnt(0)
	v_min_u16_sdwa v8, v0, s21 dst_sel:DWORD dst_unused:UNUSED_PAD src0_sel:BYTE_0 src1_sel:DWORD
	v_mul_lo_u32 v0, s8, v10
	v_ashrrev_i32_e32 v1, 31, v0
	s_and_b32 s20, s42, 0xff
	s_cmp_lt_i32 s20, 11
	v_lshl_add_u64 v[10:11], s[4:5], 0, v[0:1]
	s_cbranch_scc1 .LBB424_1585
; %bb.1508:
	s_and_b32 s9, 0xffff, s20
	s_mov_b64 s[16:17], -1
	s_mov_b64 s[2:3], 0
	s_cmp_gt_i32 s9, 25
	s_mov_b64 s[6:7], 0
	s_mov_b64 s[0:1], 0
	s_cbranch_scc0 .LBB424_1541
; %bb.1509:
	s_cmp_gt_i32 s9, 28
	s_cbranch_scc0 .LBB424_1524
; %bb.1510:
	s_cmp_gt_i32 s9, 43
	s_cbranch_scc0 .LBB424_1520
; %bb.1511:
	s_cmp_gt_i32 s9, 45
	s_cbranch_scc0 .LBB424_1514
; %bb.1512:
	s_mov_b64 s[0:1], -1
	s_mov_b64 s[16:17], 0
	s_cmp_eq_u32 s9, 46
	s_cbranch_scc0 .LBB424_1514
; %bb.1513:
	v_cvt_f32_ubyte0_e32 v1, v8
	v_bfe_u32 v3, v1, 16, 1
	s_movk_i32 s0, 0x7fff
	v_add3_u32 v1, v1, v3, s0
	v_lshrrev_b32_e32 v1, 16, v1
	global_store_dword v[10:11], v1, off
	s_mov_b64 s[0:1], 0
	s_mov_b64 s[6:7], -1
.LBB424_1514:
	s_and_b64 vcc, exec, s[16:17]
	s_cbranch_vccz .LBB424_1519
; %bb.1515:
	s_cmp_eq_u32 s9, 44
	s_mov_b64 s[0:1], -1
	s_cbranch_scc0 .LBB424_1519
; %bb.1516:
	v_cvt_f32_ubyte0_e32 v3, v8
	v_lshrrev_b32_e32 v1, 23, v3
	s_movk_i32 s0, 0xff
	v_cmp_ne_u32_e32 vcc, s0, v1
	v_mov_b32_e32 v5, 0xff
	s_and_saveexec_b64 s[6:7], vcc
; %bb.1517:
	s_mov_b32 s0, 0x3fffff
	v_and_b32_e32 v5, 0x400000, v3
	v_and_or_b32 v3, v3, s0, v1
	v_cmp_ne_u32_e32 vcc, 0, v5
	v_cmp_ne_u32_e64 s[0:1], 0, v3
	s_and_b64 s[0:1], vcc, s[0:1]
	s_nop 0
	v_cndmask_b32_e64 v3, 0, 1, s[0:1]
	v_add_u32_e32 v5, v1, v3
; %bb.1518:
	s_or_b64 exec, exec, s[6:7]
	s_mov_b64 s[0:1], 0
	s_mov_b64 s[6:7], -1
	global_store_byte v[10:11], v5, off
.LBB424_1519:
	s_mov_b64 s[16:17], 0
.LBB424_1520:
	s_and_b64 vcc, exec, s[16:17]
	s_cbranch_vccz .LBB424_1523
; %bb.1521:
	s_cmp_eq_u32 s9, 29
	s_mov_b64 s[0:1], -1
	s_cbranch_scc0 .LBB424_1523
; %bb.1522:
	s_mov_b32 s0, 0
	v_mov_b32_e32 v9, s0
	global_store_dwordx2 v[10:11], v[8:9], off
	s_mov_b64 s[0:1], 0
	s_mov_b64 s[6:7], -1
.LBB424_1523:
	s_mov_b64 s[16:17], 0
.LBB424_1524:
	s_and_b64 vcc, exec, s[16:17]
	s_cbranch_vccz .LBB424_1540
; %bb.1525:
	s_cmp_lt_i32 s9, 27
	s_mov_b64 s[6:7], -1
	s_cbranch_scc1 .LBB424_1531
; %bb.1526:
	s_cmp_gt_i32 s9, 27
	s_cbranch_scc0 .LBB424_1528
; %bb.1527:
	s_mov_b64 s[6:7], 0
	global_store_dword v[10:11], v8, off
.LBB424_1528:
	s_andn2_b64 vcc, exec, s[6:7]
	s_cbranch_vccnz .LBB424_1530
; %bb.1529:
	global_store_short v[10:11], v8, off
.LBB424_1530:
	s_mov_b64 s[6:7], 0
.LBB424_1531:
	s_andn2_b64 vcc, exec, s[6:7]
	s_cbranch_vccnz .LBB424_1539
; %bb.1532:
	v_cvt_f32_ubyte0_e32 v3, v8
	s_mov_b32 s6, 0x43800000
	v_cmp_gt_u32_e32 vcc, s6, v3
	v_mov_b32_e32 v5, 0x80
	s_and_saveexec_b64 s[6:7], vcc
	s_cbranch_execz .LBB424_1538
; %bb.1533:
	s_mov_b32 s16, 0x3bffffff
	v_cmp_lt_u32_e32 vcc, s16, v3
	s_mov_b64 s[16:17], 0
                                        ; implicit-def: $vgpr1
	s_and_saveexec_b64 s[18:19], vcc
	s_xor_b64 s[18:19], exec, s[18:19]
	s_cbranch_execz .LBB424_1987
; %bb.1534:
	v_bfe_u32 v1, v3, 20, 1
	s_mov_b32 s22, 0x487ffff
	v_add3_u32 v1, v3, v1, s22
	s_mov_b64 s[16:17], exec
	v_lshrrev_b32_e32 v1, 20, v1
                                        ; implicit-def: $vgpr3
	s_andn2_saveexec_b64 s[18:19], s[18:19]
	s_cbranch_execnz .LBB424_1988
.LBB424_1535:
	s_or_b64 exec, exec, s[18:19]
	v_mov_b32_e32 v5, 0
	s_and_saveexec_b64 s[18:19], s[16:17]
.LBB424_1536:
	v_mov_b32_e32 v5, v1
.LBB424_1537:
	s_or_b64 exec, exec, s[18:19]
.LBB424_1538:
	s_or_b64 exec, exec, s[6:7]
	global_store_byte v[10:11], v5, off
.LBB424_1539:
	s_mov_b64 s[6:7], -1
.LBB424_1540:
	s_mov_b64 s[16:17], 0
.LBB424_1541:
	s_and_b64 vcc, exec, s[16:17]
	s_cbranch_vccz .LBB424_1581
; %bb.1542:
	s_cmp_gt_i32 s9, 22
	s_mov_b64 s[2:3], -1
	s_cbranch_scc0 .LBB424_1574
; %bb.1543:
	s_cmp_lt_i32 s9, 24
	s_cbranch_scc1 .LBB424_1563
; %bb.1544:
	s_cmp_gt_i32 s9, 24
	s_cbranch_scc0 .LBB424_1552
; %bb.1545:
	v_cvt_f32_ubyte0_e32 v3, v8
	s_mov_b32 s2, 0x47800000
	v_cmp_gt_u32_e32 vcc, s2, v3
	v_mov_b32_e32 v5, 0x80
	s_and_saveexec_b64 s[2:3], vcc
	s_cbranch_execz .LBB424_1551
; %bb.1546:
	s_mov_b32 s6, 0x37ffffff
	v_cmp_lt_u32_e32 vcc, s6, v3
	s_mov_b64 s[6:7], 0
                                        ; implicit-def: $vgpr1
	s_and_saveexec_b64 s[16:17], vcc
	s_xor_b64 s[16:17], exec, s[16:17]
	s_cbranch_execz .LBB424_1990
; %bb.1547:
	v_bfe_u32 v1, v3, 21, 1
	s_mov_b32 s18, 0x88fffff
	v_add3_u32 v1, v3, v1, s18
	s_mov_b64 s[6:7], exec
	v_lshrrev_b32_e32 v1, 21, v1
                                        ; implicit-def: $vgpr3
	s_andn2_saveexec_b64 s[16:17], s[16:17]
	s_cbranch_execnz .LBB424_1991
.LBB424_1548:
	s_or_b64 exec, exec, s[16:17]
	v_mov_b32_e32 v5, 0
	s_and_saveexec_b64 s[16:17], s[6:7]
.LBB424_1549:
	v_mov_b32_e32 v5, v1
.LBB424_1550:
	s_or_b64 exec, exec, s[16:17]
.LBB424_1551:
	s_or_b64 exec, exec, s[2:3]
	s_mov_b64 s[2:3], 0
	global_store_byte v[10:11], v5, off
.LBB424_1552:
	s_and_b64 vcc, exec, s[2:3]
	s_cbranch_vccz .LBB424_1562
; %bb.1553:
	v_cvt_f32_ubyte0_e32 v1, v8
	s_mov_b32 s2, 0x43f00000
	v_cmp_gt_u32_e32 vcc, s2, v1
                                        ; implicit-def: $vgpr3
	s_and_saveexec_b64 s[2:3], vcc
	s_xor_b64 s[2:3], exec, s[2:3]
	s_cbranch_execz .LBB424_1559
; %bb.1554:
	s_mov_b32 s6, 0x3c7fffff
	v_cmp_lt_u32_e32 vcc, s6, v1
                                        ; implicit-def: $vgpr3
	s_and_saveexec_b64 s[6:7], vcc
	s_xor_b64 s[6:7], exec, s[6:7]
; %bb.1555:
	v_bfe_u32 v3, v1, 20, 1
	s_mov_b32 s16, 0x407ffff
	v_add3_u32 v1, v1, v3, s16
	v_lshrrev_b32_e32 v3, 20, v1
	v_and_b32_e32 v1, 0xff00000, v1
	s_mov_b32 s16, 0x7f00000
	v_mov_b32_e32 v5, 0x7e
	v_cmp_ne_u32_e32 vcc, s16, v1
                                        ; implicit-def: $vgpr1
	s_nop 1
	v_cndmask_b32_e32 v3, v5, v3, vcc
; %bb.1556:
	s_andn2_saveexec_b64 s[6:7], s[6:7]
; %bb.1557:
	v_add_f32_e32 v3, 0x46800000, v1
; %bb.1558:
	s_or_b64 exec, exec, s[6:7]
                                        ; implicit-def: $vgpr1
.LBB424_1559:
	s_andn2_saveexec_b64 s[2:3], s[2:3]
; %bb.1560:
	s_mov_b32 s6, 0x7f800000
	v_mov_b32_e32 v3, 0x7e
	v_mov_b32_e32 v5, 0x7f
	v_cmp_lt_u32_e32 vcc, s6, v1
	s_nop 1
	v_cndmask_b32_e32 v3, v3, v5, vcc
; %bb.1561:
	s_or_b64 exec, exec, s[2:3]
	global_store_byte v[10:11], v3, off
.LBB424_1562:
	s_mov_b64 s[2:3], 0
.LBB424_1563:
	s_andn2_b64 vcc, exec, s[2:3]
	s_cbranch_vccnz .LBB424_1573
; %bb.1564:
	v_cvt_f32_ubyte0_e32 v1, v8
	s_mov_b32 s2, 0x47800000
	v_cmp_gt_u32_e32 vcc, s2, v1
                                        ; implicit-def: $vgpr3
	s_and_saveexec_b64 s[2:3], vcc
	s_xor_b64 s[2:3], exec, s[2:3]
	s_cbranch_execz .LBB424_1570
; %bb.1565:
	s_mov_b32 s6, 0x387fffff
	v_cmp_lt_u32_e32 vcc, s6, v1
                                        ; implicit-def: $vgpr3
	s_and_saveexec_b64 s[6:7], vcc
	s_xor_b64 s[6:7], exec, s[6:7]
; %bb.1566:
	v_bfe_u32 v3, v1, 21, 1
	s_mov_b32 s16, 0x80fffff
	v_add3_u32 v1, v1, v3, s16
	v_lshrrev_b32_e32 v3, 21, v1
                                        ; implicit-def: $vgpr1
; %bb.1567:
	s_andn2_saveexec_b64 s[6:7], s[6:7]
; %bb.1568:
	v_add_f32_e32 v3, 0x43000000, v1
; %bb.1569:
	s_or_b64 exec, exec, s[6:7]
                                        ; implicit-def: $vgpr1
.LBB424_1570:
	s_andn2_saveexec_b64 s[2:3], s[2:3]
; %bb.1571:
	s_mov_b32 s6, 0x7f800000
	v_mov_b32_e32 v3, 0x7c
	v_mov_b32_e32 v5, 0x7f
	v_cmp_lt_u32_e32 vcc, s6, v1
	s_nop 1
	v_cndmask_b32_e32 v3, v3, v5, vcc
; %bb.1572:
	s_or_b64 exec, exec, s[2:3]
	global_store_byte v[10:11], v3, off
.LBB424_1573:
	s_mov_b64 s[2:3], 0
	s_mov_b64 s[6:7], -1
.LBB424_1574:
	s_andn2_b64 vcc, exec, s[2:3]
	s_mov_b64 s[2:3], 0
	s_cbranch_vccnz .LBB424_1581
; %bb.1575:
	s_cmp_gt_i32 s9, 14
	s_mov_b64 s[16:17], -1
	s_cbranch_scc0 .LBB424_1579
; %bb.1576:
	s_cmp_eq_u32 s9, 15
	s_mov_b64 s[0:1], -1
	s_cbranch_scc0 .LBB424_1578
; %bb.1577:
	v_cvt_f32_ubyte0_e32 v1, v8
	v_bfe_u32 v3, v1, 16, 1
	s_movk_i32 s0, 0x7fff
	v_add3_u32 v1, v1, v3, s0
	global_store_short_d16_hi v[10:11], v1, off
	s_mov_b64 s[0:1], 0
	s_mov_b64 s[6:7], -1
.LBB424_1578:
	s_mov_b64 s[16:17], 0
.LBB424_1579:
	s_and_b64 vcc, exec, s[16:17]
	s_cbranch_vccz .LBB424_1581
; %bb.1580:
	s_cmp_lg_u32 s9, 11
	s_mov_b64 s[2:3], -1
	s_cselect_b64 s[0:1], -1, 0
.LBB424_1581:
	s_and_b64 vcc, exec, s[0:1]
	s_cbranch_vccnz .LBB424_1989
; %bb.1582:
	s_andn2_b64 vcc, exec, s[2:3]
	s_cbranch_vccnz .LBB424_1584
.LBB424_1583:
	v_cmp_ne_u16_e32 vcc, 0, v8
	s_mov_b64 s[6:7], -1
	s_nop 0
	v_cndmask_b32_e64 v1, 0, 1, vcc
	global_store_byte v[10:11], v1, off
.LBB424_1584:
	s_mov_b64 s[0:1], 0
	s_branch .LBB424_1586
.LBB424_1585:
	s_mov_b64 s[0:1], -1
	s_mov_b64 s[6:7], 0
.LBB424_1586:
	s_and_b64 vcc, exec, s[0:1]
	s_cbranch_vccz .LBB424_1625
; %bb.1587:
	s_and_b32 s2, 0xffff, s20
	s_cmp_lt_i32 s2, 5
	s_mov_b64 s[0:1], -1
	s_cbranch_scc1 .LBB424_1608
; %bb.1588:
	s_cmp_lt_i32 s2, 8
	s_cbranch_scc1 .LBB424_1598
; %bb.1589:
	s_cmp_lt_i32 s2, 9
	s_cbranch_scc1 .LBB424_1595
; %bb.1590:
	s_cmp_gt_i32 s2, 9
	s_cbranch_scc0 .LBB424_1592
; %bb.1591:
	v_mov_b32_e32 v14, 0
	v_cvt_f64_u32_e32 v[12:13], v8
	v_mov_b32_e32 v15, v14
	global_store_dwordx4 v[10:11], v[12:15], off
	s_mov_b64 s[0:1], 0
.LBB424_1592:
	s_andn2_b64 vcc, exec, s[0:1]
	s_cbranch_vccnz .LBB424_1594
; %bb.1593:
	v_cvt_f32_ubyte0_e32 v12, v8
	v_mov_b32_e32 v13, 0
	global_store_dwordx2 v[10:11], v[12:13], off
.LBB424_1594:
	s_mov_b64 s[0:1], 0
.LBB424_1595:
	s_andn2_b64 vcc, exec, s[0:1]
	s_cbranch_vccnz .LBB424_1597
; %bb.1596:
	v_cvt_f16_u16_e32 v1, v8
	global_store_dword v[10:11], v1, off
.LBB424_1597:
	s_mov_b64 s[0:1], 0
.LBB424_1598:
	s_andn2_b64 vcc, exec, s[0:1]
	s_cbranch_vccnz .LBB424_1607
; %bb.1599:
	s_cmp_lt_i32 s2, 6
	s_mov_b64 s[0:1], -1
	s_cbranch_scc1 .LBB424_1605
; %bb.1600:
	s_cmp_gt_i32 s2, 6
	s_cbranch_scc0 .LBB424_1602
; %bb.1601:
	v_cvt_f64_u32_e32 v[12:13], v8
	global_store_dwordx2 v[10:11], v[12:13], off
	s_mov_b64 s[0:1], 0
.LBB424_1602:
	s_andn2_b64 vcc, exec, s[0:1]
	s_cbranch_vccnz .LBB424_1604
; %bb.1603:
	v_cvt_f32_ubyte0_e32 v1, v8
	global_store_dword v[10:11], v1, off
.LBB424_1604:
	s_mov_b64 s[0:1], 0
.LBB424_1605:
	s_andn2_b64 vcc, exec, s[0:1]
	s_cbranch_vccnz .LBB424_1607
; %bb.1606:
	v_cvt_f16_u16_e32 v1, v8
	global_store_short v[10:11], v1, off
.LBB424_1607:
	s_mov_b64 s[0:1], 0
.LBB424_1608:
	s_andn2_b64 vcc, exec, s[0:1]
	s_cbranch_vccnz .LBB424_1624
; %bb.1609:
	s_cmp_lt_i32 s2, 2
	s_mov_b64 s[0:1], -1
	s_cbranch_scc1 .LBB424_1619
; %bb.1610:
	s_cmp_lt_i32 s2, 3
	s_cbranch_scc1 .LBB424_1616
; %bb.1611:
	s_cmp_gt_i32 s2, 3
	s_cbranch_scc0 .LBB424_1613
; %bb.1612:
	s_mov_b32 s0, 0
	v_mov_b32_e32 v9, s0
	global_store_dwordx2 v[10:11], v[8:9], off
	s_mov_b64 s[0:1], 0
.LBB424_1613:
	s_andn2_b64 vcc, exec, s[0:1]
	s_cbranch_vccnz .LBB424_1615
; %bb.1614:
	global_store_dword v[10:11], v8, off
.LBB424_1615:
	s_mov_b64 s[0:1], 0
.LBB424_1616:
	s_andn2_b64 vcc, exec, s[0:1]
	s_cbranch_vccnz .LBB424_1618
; %bb.1617:
	global_store_short v[10:11], v8, off
.LBB424_1618:
	s_mov_b64 s[0:1], 0
.LBB424_1619:
	s_andn2_b64 vcc, exec, s[0:1]
	s_cbranch_vccnz .LBB424_1624
; %bb.1620:
	s_cmp_gt_i32 s2, 0
	s_mov_b64 s[0:1], -1
	s_cbranch_scc0 .LBB424_1622
; %bb.1621:
	global_store_byte v[10:11], v8, off
	s_mov_b64 s[0:1], 0
.LBB424_1622:
	s_andn2_b64 vcc, exec, s[0:1]
	s_cbranch_vccnz .LBB424_1624
; %bb.1623:
	global_store_byte v[10:11], v8, off
.LBB424_1624:
	s_mov_b64 s[6:7], -1
.LBB424_1625:
	s_andn2_b64 vcc, exec, s[6:7]
	s_cbranch_vccnz .LBB424_1940
; %bb.1626:
	s_lshl_b32 s18, s8, 7
	v_add_u32_e32 v0, s18, v0
	v_ashrrev_i32_e32 v1, 31, v0
	v_min_u16_sdwa v2, v2, s21 dst_sel:DWORD dst_unused:UNUSED_PAD src0_sel:BYTE_0 src1_sel:DWORD
	s_cmp_lt_i32 s20, 11
	v_lshl_add_u64 v[8:9], s[4:5], 0, v[0:1]
	s_cbranch_scc1 .LBB424_1704
; %bb.1627:
	s_and_b32 s19, 0xffff, s20
	s_mov_b64 s[8:9], -1
	s_mov_b64 s[2:3], 0
	s_cmp_gt_i32 s19, 25
	s_mov_b64 s[6:7], 0
	s_mov_b64 s[0:1], 0
	s_cbranch_scc0 .LBB424_1660
; %bb.1628:
	s_cmp_gt_i32 s19, 28
	s_cbranch_scc0 .LBB424_1643
; %bb.1629:
	s_cmp_gt_i32 s19, 43
	;; [unrolled: 3-line block ×3, first 2 shown]
	s_cbranch_scc0 .LBB424_1633
; %bb.1631:
	s_mov_b64 s[0:1], -1
	s_mov_b64 s[8:9], 0
	s_cmp_eq_u32 s19, 46
	s_cbranch_scc0 .LBB424_1633
; %bb.1632:
	v_cvt_f32_ubyte0_e32 v1, v2
	v_bfe_u32 v3, v1, 16, 1
	s_movk_i32 s0, 0x7fff
	v_add3_u32 v1, v1, v3, s0
	v_lshrrev_b32_e32 v1, 16, v1
	global_store_dword v[8:9], v1, off
	s_mov_b64 s[0:1], 0
	s_mov_b64 s[6:7], -1
.LBB424_1633:
	s_and_b64 vcc, exec, s[8:9]
	s_cbranch_vccz .LBB424_1638
; %bb.1634:
	s_cmp_eq_u32 s19, 44
	s_mov_b64 s[0:1], -1
	s_cbranch_scc0 .LBB424_1638
; %bb.1635:
	v_cvt_f32_ubyte0_e32 v3, v2
	v_lshrrev_b32_e32 v1, 23, v3
	s_movk_i32 s0, 0xff
	v_cmp_ne_u32_e32 vcc, s0, v1
	v_mov_b32_e32 v5, 0xff
	s_and_saveexec_b64 s[6:7], vcc
; %bb.1636:
	s_mov_b32 s0, 0x3fffff
	v_and_b32_e32 v5, 0x400000, v3
	v_and_or_b32 v3, v3, s0, v1
	v_cmp_ne_u32_e32 vcc, 0, v5
	v_cmp_ne_u32_e64 s[0:1], 0, v3
	s_and_b64 s[0:1], vcc, s[0:1]
	s_nop 0
	v_cndmask_b32_e64 v3, 0, 1, s[0:1]
	v_add_u32_e32 v5, v1, v3
; %bb.1637:
	s_or_b64 exec, exec, s[6:7]
	s_mov_b64 s[0:1], 0
	s_mov_b64 s[6:7], -1
	global_store_byte v[8:9], v5, off
.LBB424_1638:
	s_mov_b64 s[8:9], 0
.LBB424_1639:
	s_and_b64 vcc, exec, s[8:9]
	s_cbranch_vccz .LBB424_1642
; %bb.1640:
	s_cmp_eq_u32 s19, 29
	s_mov_b64 s[0:1], -1
	s_cbranch_scc0 .LBB424_1642
; %bb.1641:
	s_mov_b32 s0, 0
	v_mov_b32_e32 v3, s0
	global_store_dwordx2 v[8:9], v[2:3], off
	s_mov_b64 s[0:1], 0
	s_mov_b64 s[6:7], -1
.LBB424_1642:
	s_mov_b64 s[8:9], 0
.LBB424_1643:
	s_and_b64 vcc, exec, s[8:9]
	s_cbranch_vccz .LBB424_1659
; %bb.1644:
	s_cmp_lt_i32 s19, 27
	s_mov_b64 s[6:7], -1
	s_cbranch_scc1 .LBB424_1650
; %bb.1645:
	s_cmp_gt_i32 s19, 27
	s_cbranch_scc0 .LBB424_1647
; %bb.1646:
	s_mov_b64 s[6:7], 0
	global_store_dword v[8:9], v2, off
.LBB424_1647:
	s_andn2_b64 vcc, exec, s[6:7]
	s_cbranch_vccnz .LBB424_1649
; %bb.1648:
	global_store_short v[8:9], v2, off
.LBB424_1649:
	s_mov_b64 s[6:7], 0
.LBB424_1650:
	s_andn2_b64 vcc, exec, s[6:7]
	s_cbranch_vccnz .LBB424_1658
; %bb.1651:
	v_cvt_f32_ubyte0_e32 v3, v2
	s_mov_b32 s6, 0x43800000
	v_cmp_gt_u32_e32 vcc, s6, v3
	v_mov_b32_e32 v5, 0x80
	s_and_saveexec_b64 s[6:7], vcc
	s_cbranch_execz .LBB424_1657
; %bb.1652:
	s_mov_b32 s8, 0x3bffffff
	v_cmp_lt_u32_e32 vcc, s8, v3
	s_mov_b64 s[8:9], 0
                                        ; implicit-def: $vgpr1
	s_and_saveexec_b64 s[16:17], vcc
	s_xor_b64 s[16:17], exec, s[16:17]
	s_cbranch_execz .LBB424_1992
; %bb.1653:
	v_bfe_u32 v1, v3, 20, 1
	s_mov_b32 s22, 0x487ffff
	v_add3_u32 v1, v3, v1, s22
	s_mov_b64 s[8:9], exec
	v_lshrrev_b32_e32 v1, 20, v1
                                        ; implicit-def: $vgpr3
	s_andn2_saveexec_b64 s[16:17], s[16:17]
	s_cbranch_execnz .LBB424_1993
.LBB424_1654:
	s_or_b64 exec, exec, s[16:17]
	v_mov_b32_e32 v5, 0
	s_and_saveexec_b64 s[16:17], s[8:9]
.LBB424_1655:
	v_mov_b32_e32 v5, v1
.LBB424_1656:
	s_or_b64 exec, exec, s[16:17]
.LBB424_1657:
	s_or_b64 exec, exec, s[6:7]
	global_store_byte v[8:9], v5, off
.LBB424_1658:
	s_mov_b64 s[6:7], -1
.LBB424_1659:
	s_mov_b64 s[8:9], 0
.LBB424_1660:
	s_and_b64 vcc, exec, s[8:9]
	s_cbranch_vccz .LBB424_1700
; %bb.1661:
	s_cmp_gt_i32 s19, 22
	s_mov_b64 s[2:3], -1
	s_cbranch_scc0 .LBB424_1693
; %bb.1662:
	s_cmp_lt_i32 s19, 24
	s_cbranch_scc1 .LBB424_1682
; %bb.1663:
	s_cmp_gt_i32 s19, 24
	s_cbranch_scc0 .LBB424_1671
; %bb.1664:
	v_cvt_f32_ubyte0_e32 v3, v2
	s_mov_b32 s2, 0x47800000
	v_cmp_gt_u32_e32 vcc, s2, v3
	v_mov_b32_e32 v5, 0x80
	s_and_saveexec_b64 s[2:3], vcc
	s_cbranch_execz .LBB424_1670
; %bb.1665:
	s_mov_b32 s6, 0x37ffffff
	v_cmp_lt_u32_e32 vcc, s6, v3
	s_mov_b64 s[6:7], 0
                                        ; implicit-def: $vgpr1
	s_and_saveexec_b64 s[8:9], vcc
	s_xor_b64 s[8:9], exec, s[8:9]
	s_cbranch_execz .LBB424_1995
; %bb.1666:
	v_bfe_u32 v1, v3, 21, 1
	s_mov_b32 s16, 0x88fffff
	v_add3_u32 v1, v3, v1, s16
	s_mov_b64 s[6:7], exec
	v_lshrrev_b32_e32 v1, 21, v1
                                        ; implicit-def: $vgpr3
	s_andn2_saveexec_b64 s[8:9], s[8:9]
	s_cbranch_execnz .LBB424_1996
.LBB424_1667:
	s_or_b64 exec, exec, s[8:9]
	v_mov_b32_e32 v5, 0
	s_and_saveexec_b64 s[8:9], s[6:7]
.LBB424_1668:
	v_mov_b32_e32 v5, v1
.LBB424_1669:
	s_or_b64 exec, exec, s[8:9]
.LBB424_1670:
	s_or_b64 exec, exec, s[2:3]
	s_mov_b64 s[2:3], 0
	global_store_byte v[8:9], v5, off
.LBB424_1671:
	s_and_b64 vcc, exec, s[2:3]
	s_cbranch_vccz .LBB424_1681
; %bb.1672:
	v_cvt_f32_ubyte0_e32 v1, v2
	s_mov_b32 s2, 0x43f00000
	v_cmp_gt_u32_e32 vcc, s2, v1
                                        ; implicit-def: $vgpr3
	s_and_saveexec_b64 s[2:3], vcc
	s_xor_b64 s[2:3], exec, s[2:3]
	s_cbranch_execz .LBB424_1678
; %bb.1673:
	s_mov_b32 s6, 0x3c7fffff
	v_cmp_lt_u32_e32 vcc, s6, v1
                                        ; implicit-def: $vgpr3
	s_and_saveexec_b64 s[6:7], vcc
	s_xor_b64 s[6:7], exec, s[6:7]
; %bb.1674:
	v_bfe_u32 v3, v1, 20, 1
	s_mov_b32 s8, 0x407ffff
	v_add3_u32 v1, v1, v3, s8
	v_lshrrev_b32_e32 v3, 20, v1
	v_and_b32_e32 v1, 0xff00000, v1
	s_mov_b32 s8, 0x7f00000
	v_mov_b32_e32 v5, 0x7e
	v_cmp_ne_u32_e32 vcc, s8, v1
                                        ; implicit-def: $vgpr1
	s_nop 1
	v_cndmask_b32_e32 v3, v5, v3, vcc
; %bb.1675:
	s_andn2_saveexec_b64 s[6:7], s[6:7]
; %bb.1676:
	v_add_f32_e32 v3, 0x46800000, v1
; %bb.1677:
	s_or_b64 exec, exec, s[6:7]
                                        ; implicit-def: $vgpr1
.LBB424_1678:
	s_andn2_saveexec_b64 s[2:3], s[2:3]
; %bb.1679:
	s_mov_b32 s6, 0x7f800000
	v_mov_b32_e32 v3, 0x7e
	v_mov_b32_e32 v5, 0x7f
	v_cmp_lt_u32_e32 vcc, s6, v1
	s_nop 1
	v_cndmask_b32_e32 v3, v3, v5, vcc
; %bb.1680:
	s_or_b64 exec, exec, s[2:3]
	global_store_byte v[8:9], v3, off
.LBB424_1681:
	s_mov_b64 s[2:3], 0
.LBB424_1682:
	s_andn2_b64 vcc, exec, s[2:3]
	s_cbranch_vccnz .LBB424_1692
; %bb.1683:
	v_cvt_f32_ubyte0_e32 v1, v2
	s_mov_b32 s2, 0x47800000
	v_cmp_gt_u32_e32 vcc, s2, v1
                                        ; implicit-def: $vgpr3
	s_and_saveexec_b64 s[2:3], vcc
	s_xor_b64 s[2:3], exec, s[2:3]
	s_cbranch_execz .LBB424_1689
; %bb.1684:
	s_mov_b32 s6, 0x387fffff
	v_cmp_lt_u32_e32 vcc, s6, v1
                                        ; implicit-def: $vgpr3
	s_and_saveexec_b64 s[6:7], vcc
	s_xor_b64 s[6:7], exec, s[6:7]
; %bb.1685:
	v_bfe_u32 v3, v1, 21, 1
	s_mov_b32 s8, 0x80fffff
	v_add3_u32 v1, v1, v3, s8
	v_lshrrev_b32_e32 v3, 21, v1
                                        ; implicit-def: $vgpr1
; %bb.1686:
	s_andn2_saveexec_b64 s[6:7], s[6:7]
; %bb.1687:
	v_add_f32_e32 v3, 0x43000000, v1
; %bb.1688:
	s_or_b64 exec, exec, s[6:7]
                                        ; implicit-def: $vgpr1
.LBB424_1689:
	s_andn2_saveexec_b64 s[2:3], s[2:3]
; %bb.1690:
	s_mov_b32 s6, 0x7f800000
	v_mov_b32_e32 v3, 0x7c
	v_mov_b32_e32 v5, 0x7f
	v_cmp_lt_u32_e32 vcc, s6, v1
	s_nop 1
	v_cndmask_b32_e32 v3, v3, v5, vcc
; %bb.1691:
	s_or_b64 exec, exec, s[2:3]
	global_store_byte v[8:9], v3, off
.LBB424_1692:
	s_mov_b64 s[2:3], 0
	s_mov_b64 s[6:7], -1
.LBB424_1693:
	s_andn2_b64 vcc, exec, s[2:3]
	s_mov_b64 s[2:3], 0
	s_cbranch_vccnz .LBB424_1700
; %bb.1694:
	s_cmp_gt_i32 s19, 14
	s_mov_b64 s[8:9], -1
	s_cbranch_scc0 .LBB424_1698
; %bb.1695:
	s_cmp_eq_u32 s19, 15
	s_mov_b64 s[0:1], -1
	s_cbranch_scc0 .LBB424_1697
; %bb.1696:
	v_cvt_f32_ubyte0_e32 v1, v2
	v_bfe_u32 v3, v1, 16, 1
	s_movk_i32 s0, 0x7fff
	v_add3_u32 v1, v1, v3, s0
	global_store_short_d16_hi v[8:9], v1, off
	s_mov_b64 s[0:1], 0
	s_mov_b64 s[6:7], -1
.LBB424_1697:
	s_mov_b64 s[8:9], 0
.LBB424_1698:
	s_and_b64 vcc, exec, s[8:9]
	s_cbranch_vccz .LBB424_1700
; %bb.1699:
	s_cmp_lg_u32 s19, 11
	s_mov_b64 s[2:3], -1
	s_cselect_b64 s[0:1], -1, 0
.LBB424_1700:
	s_and_b64 vcc, exec, s[0:1]
	s_cbranch_vccnz .LBB424_1994
; %bb.1701:
	s_andn2_b64 vcc, exec, s[2:3]
	s_cbranch_vccnz .LBB424_1703
.LBB424_1702:
	v_cmp_ne_u16_e32 vcc, 0, v2
	s_mov_b64 s[6:7], -1
	s_nop 0
	v_cndmask_b32_e64 v1, 0, 1, vcc
	global_store_byte v[8:9], v1, off
.LBB424_1703:
	s_mov_b64 s[0:1], 0
	s_branch .LBB424_1705
.LBB424_1704:
	s_mov_b64 s[0:1], -1
	s_mov_b64 s[6:7], 0
.LBB424_1705:
	s_and_b64 vcc, exec, s[0:1]
	s_cbranch_vccz .LBB424_1744
; %bb.1706:
	s_and_b32 s2, 0xffff, s20
	s_cmp_lt_i32 s2, 5
	s_mov_b64 s[0:1], -1
	s_cbranch_scc1 .LBB424_1727
; %bb.1707:
	s_cmp_lt_i32 s2, 8
	s_cbranch_scc1 .LBB424_1717
; %bb.1708:
	s_cmp_lt_i32 s2, 9
	s_cbranch_scc1 .LBB424_1714
; %bb.1709:
	s_cmp_gt_i32 s2, 9
	s_cbranch_scc0 .LBB424_1711
; %bb.1710:
	v_mov_b32_e32 v12, 0
	v_cvt_f64_u32_e32 v[10:11], v2
	v_mov_b32_e32 v13, v12
	global_store_dwordx4 v[8:9], v[10:13], off
	s_mov_b64 s[0:1], 0
.LBB424_1711:
	s_andn2_b64 vcc, exec, s[0:1]
	s_cbranch_vccnz .LBB424_1713
; %bb.1712:
	v_cvt_f32_ubyte0_e32 v10, v2
	v_mov_b32_e32 v11, 0
	global_store_dwordx2 v[8:9], v[10:11], off
.LBB424_1713:
	s_mov_b64 s[0:1], 0
.LBB424_1714:
	s_andn2_b64 vcc, exec, s[0:1]
	s_cbranch_vccnz .LBB424_1716
; %bb.1715:
	v_cvt_f16_u16_e32 v1, v2
	global_store_dword v[8:9], v1, off
.LBB424_1716:
	s_mov_b64 s[0:1], 0
.LBB424_1717:
	s_andn2_b64 vcc, exec, s[0:1]
	s_cbranch_vccnz .LBB424_1726
; %bb.1718:
	s_cmp_lt_i32 s2, 6
	s_mov_b64 s[0:1], -1
	s_cbranch_scc1 .LBB424_1724
; %bb.1719:
	s_cmp_gt_i32 s2, 6
	s_cbranch_scc0 .LBB424_1721
; %bb.1720:
	v_cvt_f64_u32_e32 v[10:11], v2
	global_store_dwordx2 v[8:9], v[10:11], off
	s_mov_b64 s[0:1], 0
.LBB424_1721:
	s_andn2_b64 vcc, exec, s[0:1]
	s_cbranch_vccnz .LBB424_1723
; %bb.1722:
	v_cvt_f32_ubyte0_e32 v1, v2
	global_store_dword v[8:9], v1, off
.LBB424_1723:
	s_mov_b64 s[0:1], 0
.LBB424_1724:
	s_andn2_b64 vcc, exec, s[0:1]
	s_cbranch_vccnz .LBB424_1726
; %bb.1725:
	v_cvt_f16_u16_e32 v1, v2
	global_store_short v[8:9], v1, off
.LBB424_1726:
	s_mov_b64 s[0:1], 0
.LBB424_1727:
	s_andn2_b64 vcc, exec, s[0:1]
	s_cbranch_vccnz .LBB424_1743
; %bb.1728:
	s_cmp_lt_i32 s2, 2
	s_mov_b64 s[0:1], -1
	s_cbranch_scc1 .LBB424_1738
; %bb.1729:
	s_cmp_lt_i32 s2, 3
	s_cbranch_scc1 .LBB424_1735
; %bb.1730:
	s_cmp_gt_i32 s2, 3
	s_cbranch_scc0 .LBB424_1732
; %bb.1731:
	s_mov_b32 s0, 0
	v_mov_b32_e32 v3, s0
	global_store_dwordx2 v[8:9], v[2:3], off
	s_mov_b64 s[0:1], 0
.LBB424_1732:
	s_andn2_b64 vcc, exec, s[0:1]
	s_cbranch_vccnz .LBB424_1734
; %bb.1733:
	global_store_dword v[8:9], v2, off
.LBB424_1734:
	s_mov_b64 s[0:1], 0
.LBB424_1735:
	s_andn2_b64 vcc, exec, s[0:1]
	s_cbranch_vccnz .LBB424_1737
; %bb.1736:
	global_store_short v[8:9], v2, off
.LBB424_1737:
	s_mov_b64 s[0:1], 0
.LBB424_1738:
	s_andn2_b64 vcc, exec, s[0:1]
	s_cbranch_vccnz .LBB424_1743
; %bb.1739:
	s_cmp_gt_i32 s2, 0
	s_mov_b64 s[0:1], -1
	s_cbranch_scc0 .LBB424_1741
; %bb.1740:
	global_store_byte v[8:9], v2, off
	s_mov_b64 s[0:1], 0
.LBB424_1741:
	s_andn2_b64 vcc, exec, s[0:1]
	s_cbranch_vccnz .LBB424_1743
; %bb.1742:
	global_store_byte v[8:9], v2, off
.LBB424_1743:
	s_mov_b64 s[6:7], -1
.LBB424_1744:
	s_andn2_b64 vcc, exec, s[6:7]
	s_cbranch_vccnz .LBB424_1940
; %bb.1745:
	v_add_u32_e32 v0, s18, v0
	v_ashrrev_i32_e32 v1, 31, v0
	v_min_u16_sdwa v2, v4, s21 dst_sel:DWORD dst_unused:UNUSED_PAD src0_sel:BYTE_0 src1_sel:DWORD
	s_cmp_lt_i32 s20, 11
	v_lshl_add_u64 v[4:5], s[4:5], 0, v[0:1]
	s_cbranch_scc1 .LBB424_1823
; %bb.1746:
	s_and_b32 s19, 0xffff, s20
	s_mov_b64 s[8:9], -1
	s_mov_b64 s[2:3], 0
	s_cmp_gt_i32 s19, 25
	s_mov_b64 s[6:7], 0
	s_mov_b64 s[0:1], 0
	s_cbranch_scc0 .LBB424_1779
; %bb.1747:
	s_cmp_gt_i32 s19, 28
	s_cbranch_scc0 .LBB424_1762
; %bb.1748:
	s_cmp_gt_i32 s19, 43
	;; [unrolled: 3-line block ×3, first 2 shown]
	s_cbranch_scc0 .LBB424_1752
; %bb.1750:
	s_mov_b64 s[0:1], -1
	s_mov_b64 s[8:9], 0
	s_cmp_eq_u32 s19, 46
	s_cbranch_scc0 .LBB424_1752
; %bb.1751:
	v_cvt_f32_ubyte0_e32 v1, v2
	v_bfe_u32 v3, v1, 16, 1
	s_movk_i32 s0, 0x7fff
	v_add3_u32 v1, v1, v3, s0
	v_lshrrev_b32_e32 v1, 16, v1
	global_store_dword v[4:5], v1, off
	s_mov_b64 s[0:1], 0
	s_mov_b64 s[6:7], -1
.LBB424_1752:
	s_and_b64 vcc, exec, s[8:9]
	s_cbranch_vccz .LBB424_1757
; %bb.1753:
	s_cmp_eq_u32 s19, 44
	s_mov_b64 s[0:1], -1
	s_cbranch_scc0 .LBB424_1757
; %bb.1754:
	v_cvt_f32_ubyte0_e32 v3, v2
	v_lshrrev_b32_e32 v1, 23, v3
	s_movk_i32 s0, 0xff
	v_cmp_ne_u32_e32 vcc, s0, v1
	v_mov_b32_e32 v7, 0xff
	s_and_saveexec_b64 s[6:7], vcc
; %bb.1755:
	s_mov_b32 s0, 0x3fffff
	v_and_b32_e32 v7, 0x400000, v3
	v_and_or_b32 v3, v3, s0, v1
	v_cmp_ne_u32_e32 vcc, 0, v7
	v_cmp_ne_u32_e64 s[0:1], 0, v3
	s_and_b64 s[0:1], vcc, s[0:1]
	s_nop 0
	v_cndmask_b32_e64 v3, 0, 1, s[0:1]
	v_add_u32_e32 v7, v1, v3
; %bb.1756:
	s_or_b64 exec, exec, s[6:7]
	s_mov_b64 s[0:1], 0
	s_mov_b64 s[6:7], -1
	global_store_byte v[4:5], v7, off
.LBB424_1757:
	s_mov_b64 s[8:9], 0
.LBB424_1758:
	s_and_b64 vcc, exec, s[8:9]
	s_cbranch_vccz .LBB424_1761
; %bb.1759:
	s_cmp_eq_u32 s19, 29
	s_mov_b64 s[0:1], -1
	s_cbranch_scc0 .LBB424_1761
; %bb.1760:
	s_mov_b32 s0, 0
	v_mov_b32_e32 v3, s0
	global_store_dwordx2 v[4:5], v[2:3], off
	s_mov_b64 s[0:1], 0
	s_mov_b64 s[6:7], -1
.LBB424_1761:
	s_mov_b64 s[8:9], 0
.LBB424_1762:
	s_and_b64 vcc, exec, s[8:9]
	s_cbranch_vccz .LBB424_1778
; %bb.1763:
	s_cmp_lt_i32 s19, 27
	s_mov_b64 s[6:7], -1
	s_cbranch_scc1 .LBB424_1769
; %bb.1764:
	s_cmp_gt_i32 s19, 27
	s_cbranch_scc0 .LBB424_1766
; %bb.1765:
	s_mov_b64 s[6:7], 0
	global_store_dword v[4:5], v2, off
.LBB424_1766:
	s_andn2_b64 vcc, exec, s[6:7]
	s_cbranch_vccnz .LBB424_1768
; %bb.1767:
	global_store_short v[4:5], v2, off
.LBB424_1768:
	s_mov_b64 s[6:7], 0
.LBB424_1769:
	s_andn2_b64 vcc, exec, s[6:7]
	s_cbranch_vccnz .LBB424_1777
; %bb.1770:
	v_cvt_f32_ubyte0_e32 v3, v2
	s_mov_b32 s6, 0x43800000
	v_cmp_gt_u32_e32 vcc, s6, v3
	v_mov_b32_e32 v7, 0x80
	s_and_saveexec_b64 s[6:7], vcc
	s_cbranch_execz .LBB424_1776
; %bb.1771:
	s_mov_b32 s8, 0x3bffffff
	v_cmp_lt_u32_e32 vcc, s8, v3
	s_mov_b64 s[8:9], 0
                                        ; implicit-def: $vgpr1
	s_and_saveexec_b64 s[16:17], vcc
	s_xor_b64 s[16:17], exec, s[16:17]
	s_cbranch_execz .LBB424_1997
; %bb.1772:
	v_bfe_u32 v1, v3, 20, 1
	s_mov_b32 s22, 0x487ffff
	v_add3_u32 v1, v3, v1, s22
	s_mov_b64 s[8:9], exec
	v_lshrrev_b32_e32 v1, 20, v1
                                        ; implicit-def: $vgpr3
	s_andn2_saveexec_b64 s[16:17], s[16:17]
	s_cbranch_execnz .LBB424_1998
.LBB424_1773:
	s_or_b64 exec, exec, s[16:17]
	v_mov_b32_e32 v7, 0
	s_and_saveexec_b64 s[16:17], s[8:9]
.LBB424_1774:
	v_mov_b32_e32 v7, v1
.LBB424_1775:
	s_or_b64 exec, exec, s[16:17]
.LBB424_1776:
	s_or_b64 exec, exec, s[6:7]
	global_store_byte v[4:5], v7, off
.LBB424_1777:
	s_mov_b64 s[6:7], -1
.LBB424_1778:
	s_mov_b64 s[8:9], 0
.LBB424_1779:
	s_and_b64 vcc, exec, s[8:9]
	s_cbranch_vccz .LBB424_1819
; %bb.1780:
	s_cmp_gt_i32 s19, 22
	s_mov_b64 s[2:3], -1
	s_cbranch_scc0 .LBB424_1812
; %bb.1781:
	s_cmp_lt_i32 s19, 24
	s_cbranch_scc1 .LBB424_1801
; %bb.1782:
	s_cmp_gt_i32 s19, 24
	s_cbranch_scc0 .LBB424_1790
; %bb.1783:
	v_cvt_f32_ubyte0_e32 v3, v2
	s_mov_b32 s2, 0x47800000
	v_cmp_gt_u32_e32 vcc, s2, v3
	v_mov_b32_e32 v7, 0x80
	s_and_saveexec_b64 s[2:3], vcc
	s_cbranch_execz .LBB424_1789
; %bb.1784:
	s_mov_b32 s6, 0x37ffffff
	v_cmp_lt_u32_e32 vcc, s6, v3
	s_mov_b64 s[6:7], 0
                                        ; implicit-def: $vgpr1
	s_and_saveexec_b64 s[8:9], vcc
	s_xor_b64 s[8:9], exec, s[8:9]
	s_cbranch_execz .LBB424_2000
; %bb.1785:
	v_bfe_u32 v1, v3, 21, 1
	s_mov_b32 s16, 0x88fffff
	v_add3_u32 v1, v3, v1, s16
	s_mov_b64 s[6:7], exec
	v_lshrrev_b32_e32 v1, 21, v1
                                        ; implicit-def: $vgpr3
	s_andn2_saveexec_b64 s[8:9], s[8:9]
	s_cbranch_execnz .LBB424_2001
.LBB424_1786:
	s_or_b64 exec, exec, s[8:9]
	v_mov_b32_e32 v7, 0
	s_and_saveexec_b64 s[8:9], s[6:7]
.LBB424_1787:
	v_mov_b32_e32 v7, v1
.LBB424_1788:
	s_or_b64 exec, exec, s[8:9]
.LBB424_1789:
	s_or_b64 exec, exec, s[2:3]
	s_mov_b64 s[2:3], 0
	global_store_byte v[4:5], v7, off
.LBB424_1790:
	s_and_b64 vcc, exec, s[2:3]
	s_cbranch_vccz .LBB424_1800
; %bb.1791:
	v_cvt_f32_ubyte0_e32 v1, v2
	s_mov_b32 s2, 0x43f00000
	v_cmp_gt_u32_e32 vcc, s2, v1
                                        ; implicit-def: $vgpr3
	s_and_saveexec_b64 s[2:3], vcc
	s_xor_b64 s[2:3], exec, s[2:3]
	s_cbranch_execz .LBB424_1797
; %bb.1792:
	s_mov_b32 s6, 0x3c7fffff
	v_cmp_lt_u32_e32 vcc, s6, v1
                                        ; implicit-def: $vgpr3
	s_and_saveexec_b64 s[6:7], vcc
	s_xor_b64 s[6:7], exec, s[6:7]
; %bb.1793:
	v_bfe_u32 v3, v1, 20, 1
	s_mov_b32 s8, 0x407ffff
	v_add3_u32 v1, v1, v3, s8
	v_lshrrev_b32_e32 v3, 20, v1
	v_and_b32_e32 v1, 0xff00000, v1
	s_mov_b32 s8, 0x7f00000
	v_mov_b32_e32 v7, 0x7e
	v_cmp_ne_u32_e32 vcc, s8, v1
                                        ; implicit-def: $vgpr1
	s_nop 1
	v_cndmask_b32_e32 v3, v7, v3, vcc
; %bb.1794:
	s_andn2_saveexec_b64 s[6:7], s[6:7]
; %bb.1795:
	v_add_f32_e32 v3, 0x46800000, v1
; %bb.1796:
	s_or_b64 exec, exec, s[6:7]
                                        ; implicit-def: $vgpr1
.LBB424_1797:
	s_andn2_saveexec_b64 s[2:3], s[2:3]
; %bb.1798:
	s_mov_b32 s6, 0x7f800000
	v_mov_b32_e32 v3, 0x7e
	v_mov_b32_e32 v7, 0x7f
	v_cmp_lt_u32_e32 vcc, s6, v1
	s_nop 1
	v_cndmask_b32_e32 v3, v3, v7, vcc
; %bb.1799:
	s_or_b64 exec, exec, s[2:3]
	global_store_byte v[4:5], v3, off
.LBB424_1800:
	s_mov_b64 s[2:3], 0
.LBB424_1801:
	s_andn2_b64 vcc, exec, s[2:3]
	s_cbranch_vccnz .LBB424_1811
; %bb.1802:
	v_cvt_f32_ubyte0_e32 v1, v2
	s_mov_b32 s2, 0x47800000
	v_cmp_gt_u32_e32 vcc, s2, v1
                                        ; implicit-def: $vgpr3
	s_and_saveexec_b64 s[2:3], vcc
	s_xor_b64 s[2:3], exec, s[2:3]
	s_cbranch_execz .LBB424_1808
; %bb.1803:
	s_mov_b32 s6, 0x387fffff
	v_cmp_lt_u32_e32 vcc, s6, v1
                                        ; implicit-def: $vgpr3
	s_and_saveexec_b64 s[6:7], vcc
	s_xor_b64 s[6:7], exec, s[6:7]
; %bb.1804:
	v_bfe_u32 v3, v1, 21, 1
	s_mov_b32 s8, 0x80fffff
	v_add3_u32 v1, v1, v3, s8
	v_lshrrev_b32_e32 v3, 21, v1
                                        ; implicit-def: $vgpr1
; %bb.1805:
	s_andn2_saveexec_b64 s[6:7], s[6:7]
; %bb.1806:
	v_add_f32_e32 v3, 0x43000000, v1
; %bb.1807:
	s_or_b64 exec, exec, s[6:7]
                                        ; implicit-def: $vgpr1
.LBB424_1808:
	s_andn2_saveexec_b64 s[2:3], s[2:3]
; %bb.1809:
	s_mov_b32 s6, 0x7f800000
	v_mov_b32_e32 v3, 0x7c
	v_mov_b32_e32 v7, 0x7f
	v_cmp_lt_u32_e32 vcc, s6, v1
	s_nop 1
	v_cndmask_b32_e32 v3, v3, v7, vcc
; %bb.1810:
	s_or_b64 exec, exec, s[2:3]
	global_store_byte v[4:5], v3, off
.LBB424_1811:
	s_mov_b64 s[2:3], 0
	s_mov_b64 s[6:7], -1
.LBB424_1812:
	s_andn2_b64 vcc, exec, s[2:3]
	s_mov_b64 s[2:3], 0
	s_cbranch_vccnz .LBB424_1819
; %bb.1813:
	s_cmp_gt_i32 s19, 14
	s_mov_b64 s[8:9], -1
	s_cbranch_scc0 .LBB424_1817
; %bb.1814:
	s_cmp_eq_u32 s19, 15
	s_mov_b64 s[0:1], -1
	s_cbranch_scc0 .LBB424_1816
; %bb.1815:
	v_cvt_f32_ubyte0_e32 v1, v2
	v_bfe_u32 v3, v1, 16, 1
	s_movk_i32 s0, 0x7fff
	v_add3_u32 v1, v1, v3, s0
	global_store_short_d16_hi v[4:5], v1, off
	s_mov_b64 s[0:1], 0
	s_mov_b64 s[6:7], -1
.LBB424_1816:
	s_mov_b64 s[8:9], 0
.LBB424_1817:
	s_and_b64 vcc, exec, s[8:9]
	s_cbranch_vccz .LBB424_1819
; %bb.1818:
	s_cmp_lg_u32 s19, 11
	s_mov_b64 s[2:3], -1
	s_cselect_b64 s[0:1], -1, 0
.LBB424_1819:
	s_and_b64 vcc, exec, s[0:1]
	s_cbranch_vccnz .LBB424_1999
; %bb.1820:
	s_andn2_b64 vcc, exec, s[2:3]
	s_cbranch_vccnz .LBB424_1822
.LBB424_1821:
	v_cmp_ne_u16_e32 vcc, 0, v2
	s_mov_b64 s[6:7], -1
	s_nop 0
	v_cndmask_b32_e64 v1, 0, 1, vcc
	global_store_byte v[4:5], v1, off
.LBB424_1822:
	s_mov_b64 s[0:1], 0
	s_branch .LBB424_1824
.LBB424_1823:
	s_mov_b64 s[0:1], -1
	s_mov_b64 s[6:7], 0
.LBB424_1824:
	s_and_b64 vcc, exec, s[0:1]
	s_cbranch_vccz .LBB424_1863
; %bb.1825:
	s_and_b32 s2, 0xffff, s20
	s_cmp_lt_i32 s2, 5
	s_mov_b64 s[0:1], -1
	s_cbranch_scc1 .LBB424_1846
; %bb.1826:
	s_cmp_lt_i32 s2, 8
	s_cbranch_scc1 .LBB424_1836
; %bb.1827:
	s_cmp_lt_i32 s2, 9
	s_cbranch_scc1 .LBB424_1833
; %bb.1828:
	s_cmp_gt_i32 s2, 9
	s_cbranch_scc0 .LBB424_1830
; %bb.1829:
	v_mov_b32_e32 v10, 0
	v_cvt_f64_u32_e32 v[8:9], v2
	v_mov_b32_e32 v11, v10
	global_store_dwordx4 v[4:5], v[8:11], off
	s_mov_b64 s[0:1], 0
.LBB424_1830:
	s_andn2_b64 vcc, exec, s[0:1]
	s_cbranch_vccnz .LBB424_1832
; %bb.1831:
	v_cvt_f32_ubyte0_e32 v8, v2
	v_mov_b32_e32 v9, 0
	global_store_dwordx2 v[4:5], v[8:9], off
.LBB424_1832:
	s_mov_b64 s[0:1], 0
.LBB424_1833:
	s_andn2_b64 vcc, exec, s[0:1]
	s_cbranch_vccnz .LBB424_1835
; %bb.1834:
	v_cvt_f16_u16_e32 v1, v2
	global_store_dword v[4:5], v1, off
.LBB424_1835:
	s_mov_b64 s[0:1], 0
.LBB424_1836:
	s_andn2_b64 vcc, exec, s[0:1]
	s_cbranch_vccnz .LBB424_1845
; %bb.1837:
	s_cmp_lt_i32 s2, 6
	s_mov_b64 s[0:1], -1
	s_cbranch_scc1 .LBB424_1843
; %bb.1838:
	s_cmp_gt_i32 s2, 6
	s_cbranch_scc0 .LBB424_1840
; %bb.1839:
	v_cvt_f64_u32_e32 v[8:9], v2
	global_store_dwordx2 v[4:5], v[8:9], off
	s_mov_b64 s[0:1], 0
.LBB424_1840:
	s_andn2_b64 vcc, exec, s[0:1]
	s_cbranch_vccnz .LBB424_1842
; %bb.1841:
	v_cvt_f32_ubyte0_e32 v1, v2
	global_store_dword v[4:5], v1, off
.LBB424_1842:
	s_mov_b64 s[0:1], 0
.LBB424_1843:
	s_andn2_b64 vcc, exec, s[0:1]
	s_cbranch_vccnz .LBB424_1845
; %bb.1844:
	v_cvt_f16_u16_e32 v1, v2
	global_store_short v[4:5], v1, off
.LBB424_1845:
	s_mov_b64 s[0:1], 0
.LBB424_1846:
	s_andn2_b64 vcc, exec, s[0:1]
	s_cbranch_vccnz .LBB424_1862
; %bb.1847:
	s_cmp_lt_i32 s2, 2
	s_mov_b64 s[0:1], -1
	s_cbranch_scc1 .LBB424_1857
; %bb.1848:
	s_cmp_lt_i32 s2, 3
	s_cbranch_scc1 .LBB424_1854
; %bb.1849:
	s_cmp_gt_i32 s2, 3
	s_cbranch_scc0 .LBB424_1851
; %bb.1850:
	s_mov_b32 s0, 0
	v_mov_b32_e32 v3, s0
	global_store_dwordx2 v[4:5], v[2:3], off
	s_mov_b64 s[0:1], 0
.LBB424_1851:
	s_andn2_b64 vcc, exec, s[0:1]
	s_cbranch_vccnz .LBB424_1853
; %bb.1852:
	global_store_dword v[4:5], v2, off
.LBB424_1853:
	s_mov_b64 s[0:1], 0
.LBB424_1854:
	s_andn2_b64 vcc, exec, s[0:1]
	s_cbranch_vccnz .LBB424_1856
; %bb.1855:
	global_store_short v[4:5], v2, off
.LBB424_1856:
	s_mov_b64 s[0:1], 0
.LBB424_1857:
	s_andn2_b64 vcc, exec, s[0:1]
	s_cbranch_vccnz .LBB424_1862
; %bb.1858:
	s_cmp_gt_i32 s2, 0
	s_mov_b64 s[0:1], -1
	s_cbranch_scc0 .LBB424_1860
; %bb.1859:
	global_store_byte v[4:5], v2, off
	s_mov_b64 s[0:1], 0
.LBB424_1860:
	s_andn2_b64 vcc, exec, s[0:1]
	s_cbranch_vccnz .LBB424_1862
; %bb.1861:
	global_store_byte v[4:5], v2, off
.LBB424_1862:
	s_mov_b64 s[6:7], -1
.LBB424_1863:
	s_andn2_b64 vcc, exec, s[6:7]
	s_cbranch_vccnz .LBB424_1940
; %bb.1864:
	v_add_u32_e32 v0, s18, v0
	v_ashrrev_i32_e32 v1, 31, v0
	v_min_u16_sdwa v2, v6, s21 dst_sel:DWORD dst_unused:UNUSED_PAD src0_sel:BYTE_0 src1_sel:DWORD
	s_cmp_lt_i32 s20, 11
	v_lshl_add_u64 v[0:1], s[4:5], 0, v[0:1]
	s_cbranch_scc1 .LBB424_1985
; %bb.1865:
	s_and_b32 s16, 0xffff, s20
	s_mov_b64 s[4:5], -1
	s_mov_b64 s[2:3], 0
	s_cmp_gt_i32 s16, 25
	s_mov_b64 s[0:1], 0
	s_cbranch_scc0 .LBB424_1898
; %bb.1866:
	s_cmp_gt_i32 s16, 28
	s_cbranch_scc0 .LBB424_1882
; %bb.1867:
	s_cmp_gt_i32 s16, 43
	;; [unrolled: 3-line block ×3, first 2 shown]
	s_cbranch_scc0 .LBB424_1872
; %bb.1869:
	s_cmp_eq_u32 s16, 46
	s_mov_b64 s[0:1], -1
	s_cbranch_scc0 .LBB424_1871
; %bb.1870:
	v_cvt_f32_ubyte0_e32 v3, v2
	v_bfe_u32 v4, v3, 16, 1
	s_movk_i32 s0, 0x7fff
	v_add3_u32 v3, v3, v4, s0
	v_lshrrev_b32_e32 v3, 16, v3
	global_store_dword v[0:1], v3, off
	s_mov_b64 s[0:1], 0
.LBB424_1871:
	s_mov_b64 s[4:5], 0
.LBB424_1872:
	s_and_b64 vcc, exec, s[4:5]
	s_cbranch_vccz .LBB424_1877
; %bb.1873:
	s_cmp_eq_u32 s16, 44
	s_mov_b64 s[0:1], -1
	s_cbranch_scc0 .LBB424_1877
; %bb.1874:
	v_cvt_f32_ubyte0_e32 v4, v2
	v_lshrrev_b32_e32 v3, 23, v4
	s_movk_i32 s0, 0xff
	v_cmp_ne_u32_e32 vcc, s0, v3
	v_mov_b32_e32 v5, 0xff
	s_and_saveexec_b64 s[4:5], vcc
; %bb.1875:
	s_mov_b32 s0, 0x3fffff
	v_and_b32_e32 v5, 0x400000, v4
	v_and_or_b32 v4, v4, s0, v3
	v_cmp_ne_u32_e32 vcc, 0, v5
	v_cmp_ne_u32_e64 s[0:1], 0, v4
	s_and_b64 s[0:1], vcc, s[0:1]
	s_nop 0
	v_cndmask_b32_e64 v4, 0, 1, s[0:1]
	v_add_u32_e32 v5, v3, v4
; %bb.1876:
	s_or_b64 exec, exec, s[4:5]
	s_mov_b64 s[0:1], 0
	global_store_byte v[0:1], v5, off
.LBB424_1877:
	s_mov_b64 s[4:5], 0
.LBB424_1878:
	s_and_b64 vcc, exec, s[4:5]
	s_cbranch_vccz .LBB424_1881
; %bb.1879:
	s_cmp_eq_u32 s16, 29
	s_mov_b64 s[0:1], -1
	s_cbranch_scc0 .LBB424_1881
; %bb.1880:
	s_mov_b32 s0, 0
	v_mov_b32_e32 v3, s0
	global_store_dwordx2 v[0:1], v[2:3], off
	s_mov_b64 s[0:1], 0
.LBB424_1881:
	s_mov_b64 s[4:5], 0
.LBB424_1882:
	s_and_b64 vcc, exec, s[4:5]
	s_cbranch_vccz .LBB424_1897
; %bb.1883:
	s_cmp_lt_i32 s16, 27
	s_mov_b64 s[4:5], -1
	s_cbranch_scc1 .LBB424_1889
; %bb.1884:
	s_cmp_gt_i32 s16, 27
	s_cbranch_scc0 .LBB424_1886
; %bb.1885:
	global_store_dword v[0:1], v2, off
	s_mov_b64 s[4:5], 0
.LBB424_1886:
	s_andn2_b64 vcc, exec, s[4:5]
	s_cbranch_vccnz .LBB424_1888
; %bb.1887:
	global_store_short v[0:1], v2, off
.LBB424_1888:
	s_mov_b64 s[4:5], 0
.LBB424_1889:
	s_andn2_b64 vcc, exec, s[4:5]
	s_cbranch_vccnz .LBB424_1897
; %bb.1890:
	v_cvt_f32_ubyte0_e32 v4, v2
	s_mov_b32 s4, 0x43800000
	v_cmp_gt_u32_e32 vcc, s4, v4
	v_mov_b32_e32 v5, 0x80
	s_and_saveexec_b64 s[4:5], vcc
	s_cbranch_execz .LBB424_1896
; %bb.1891:
	s_mov_b32 s6, 0x3bffffff
	v_cmp_lt_u32_e32 vcc, s6, v4
	s_mov_b64 s[6:7], 0
                                        ; implicit-def: $vgpr3
	s_and_saveexec_b64 s[8:9], vcc
	s_xor_b64 s[8:9], exec, s[8:9]
	s_cbranch_execz .LBB424_2002
; %bb.1892:
	v_bfe_u32 v3, v4, 20, 1
	s_mov_b32 s17, 0x487ffff
	v_add3_u32 v3, v4, v3, s17
	s_mov_b64 s[6:7], exec
	v_lshrrev_b32_e32 v3, 20, v3
                                        ; implicit-def: $vgpr4
	s_andn2_saveexec_b64 s[8:9], s[8:9]
	s_cbranch_execnz .LBB424_2003
.LBB424_1893:
	s_or_b64 exec, exec, s[8:9]
	v_mov_b32_e32 v5, 0
	s_and_saveexec_b64 s[8:9], s[6:7]
.LBB424_1894:
	v_mov_b32_e32 v5, v3
.LBB424_1895:
	s_or_b64 exec, exec, s[8:9]
.LBB424_1896:
	s_or_b64 exec, exec, s[4:5]
	global_store_byte v[0:1], v5, off
.LBB424_1897:
	s_mov_b64 s[4:5], 0
.LBB424_1898:
	s_and_b64 vcc, exec, s[4:5]
	s_cbranch_vccz .LBB424_1938
; %bb.1899:
	s_cmp_gt_i32 s16, 22
	s_mov_b64 s[2:3], -1
	s_cbranch_scc0 .LBB424_1931
; %bb.1900:
	s_cmp_lt_i32 s16, 24
	s_cbranch_scc1 .LBB424_1920
; %bb.1901:
	s_cmp_gt_i32 s16, 24
	s_cbranch_scc0 .LBB424_1909
; %bb.1902:
	v_cvt_f32_ubyte0_e32 v4, v2
	s_mov_b32 s2, 0x47800000
	v_cmp_gt_u32_e32 vcc, s2, v4
	v_mov_b32_e32 v5, 0x80
	s_and_saveexec_b64 s[2:3], vcc
	s_cbranch_execz .LBB424_1908
; %bb.1903:
	s_mov_b32 s4, 0x37ffffff
	v_cmp_lt_u32_e32 vcc, s4, v4
	s_mov_b64 s[4:5], 0
                                        ; implicit-def: $vgpr3
	s_and_saveexec_b64 s[6:7], vcc
	s_xor_b64 s[6:7], exec, s[6:7]
	s_cbranch_execz .LBB424_2005
; %bb.1904:
	v_bfe_u32 v3, v4, 21, 1
	s_mov_b32 s8, 0x88fffff
	v_add3_u32 v3, v4, v3, s8
	s_mov_b64 s[4:5], exec
	v_lshrrev_b32_e32 v3, 21, v3
                                        ; implicit-def: $vgpr4
	s_andn2_saveexec_b64 s[6:7], s[6:7]
	s_cbranch_execnz .LBB424_2006
.LBB424_1905:
	s_or_b64 exec, exec, s[6:7]
	v_mov_b32_e32 v5, 0
	s_and_saveexec_b64 s[6:7], s[4:5]
.LBB424_1906:
	v_mov_b32_e32 v5, v3
.LBB424_1907:
	s_or_b64 exec, exec, s[6:7]
.LBB424_1908:
	s_or_b64 exec, exec, s[2:3]
	s_mov_b64 s[2:3], 0
	global_store_byte v[0:1], v5, off
.LBB424_1909:
	s_and_b64 vcc, exec, s[2:3]
	s_cbranch_vccz .LBB424_1919
; %bb.1910:
	v_cvt_f32_ubyte0_e32 v3, v2
	s_mov_b32 s2, 0x43f00000
	v_cmp_gt_u32_e32 vcc, s2, v3
                                        ; implicit-def: $vgpr4
	s_and_saveexec_b64 s[2:3], vcc
	s_xor_b64 s[2:3], exec, s[2:3]
	s_cbranch_execz .LBB424_1916
; %bb.1911:
	s_mov_b32 s4, 0x3c7fffff
	v_cmp_lt_u32_e32 vcc, s4, v3
                                        ; implicit-def: $vgpr4
	s_and_saveexec_b64 s[4:5], vcc
	s_xor_b64 s[4:5], exec, s[4:5]
; %bb.1912:
	v_bfe_u32 v4, v3, 20, 1
	s_mov_b32 s6, 0x407ffff
	v_add3_u32 v3, v3, v4, s6
	v_lshrrev_b32_e32 v4, 20, v3
	v_and_b32_e32 v3, 0xff00000, v3
	s_mov_b32 s6, 0x7f00000
	v_mov_b32_e32 v5, 0x7e
	v_cmp_ne_u32_e32 vcc, s6, v3
                                        ; implicit-def: $vgpr3
	s_nop 1
	v_cndmask_b32_e32 v4, v5, v4, vcc
; %bb.1913:
	s_andn2_saveexec_b64 s[4:5], s[4:5]
; %bb.1914:
	v_add_f32_e32 v4, 0x46800000, v3
; %bb.1915:
	s_or_b64 exec, exec, s[4:5]
                                        ; implicit-def: $vgpr3
.LBB424_1916:
	s_andn2_saveexec_b64 s[2:3], s[2:3]
; %bb.1917:
	s_mov_b32 s4, 0x7f800000
	v_mov_b32_e32 v4, 0x7e
	v_mov_b32_e32 v5, 0x7f
	v_cmp_lt_u32_e32 vcc, s4, v3
	s_nop 1
	v_cndmask_b32_e32 v4, v4, v5, vcc
; %bb.1918:
	s_or_b64 exec, exec, s[2:3]
	global_store_byte v[0:1], v4, off
.LBB424_1919:
	s_mov_b64 s[2:3], 0
.LBB424_1920:
	s_andn2_b64 vcc, exec, s[2:3]
	s_cbranch_vccnz .LBB424_1930
; %bb.1921:
	v_cvt_f32_ubyte0_e32 v3, v2
	s_mov_b32 s2, 0x47800000
	v_cmp_gt_u32_e32 vcc, s2, v3
                                        ; implicit-def: $vgpr4
	s_and_saveexec_b64 s[2:3], vcc
	s_xor_b64 s[2:3], exec, s[2:3]
	s_cbranch_execz .LBB424_1927
; %bb.1922:
	s_mov_b32 s4, 0x387fffff
	v_cmp_lt_u32_e32 vcc, s4, v3
                                        ; implicit-def: $vgpr4
	s_and_saveexec_b64 s[4:5], vcc
	s_xor_b64 s[4:5], exec, s[4:5]
; %bb.1923:
	v_bfe_u32 v4, v3, 21, 1
	s_mov_b32 s6, 0x80fffff
	v_add3_u32 v3, v3, v4, s6
	v_lshrrev_b32_e32 v4, 21, v3
                                        ; implicit-def: $vgpr3
; %bb.1924:
	s_andn2_saveexec_b64 s[4:5], s[4:5]
; %bb.1925:
	v_add_f32_e32 v4, 0x43000000, v3
; %bb.1926:
	s_or_b64 exec, exec, s[4:5]
                                        ; implicit-def: $vgpr3
.LBB424_1927:
	s_andn2_saveexec_b64 s[2:3], s[2:3]
; %bb.1928:
	s_mov_b32 s4, 0x7f800000
	v_mov_b32_e32 v4, 0x7c
	v_mov_b32_e32 v5, 0x7f
	v_cmp_lt_u32_e32 vcc, s4, v3
	s_nop 1
	v_cndmask_b32_e32 v4, v4, v5, vcc
; %bb.1929:
	s_or_b64 exec, exec, s[2:3]
	global_store_byte v[0:1], v4, off
.LBB424_1930:
	s_mov_b64 s[2:3], 0
.LBB424_1931:
	s_andn2_b64 vcc, exec, s[2:3]
	s_mov_b64 s[2:3], 0
	s_cbranch_vccnz .LBB424_1938
; %bb.1932:
	s_cmp_gt_i32 s16, 14
	s_mov_b64 s[4:5], -1
	s_cbranch_scc0 .LBB424_1936
; %bb.1933:
	s_cmp_eq_u32 s16, 15
	s_mov_b64 s[0:1], -1
	s_cbranch_scc0 .LBB424_1935
; %bb.1934:
	v_cvt_f32_ubyte0_e32 v3, v2
	v_bfe_u32 v4, v3, 16, 1
	s_movk_i32 s0, 0x7fff
	v_add3_u32 v3, v3, v4, s0
	global_store_short_d16_hi v[0:1], v3, off
	s_mov_b64 s[0:1], 0
.LBB424_1935:
	s_mov_b64 s[4:5], 0
.LBB424_1936:
	s_and_b64 vcc, exec, s[4:5]
	s_cbranch_vccz .LBB424_1938
; %bb.1937:
	s_cmp_lg_u32 s16, 11
	s_mov_b64 s[2:3], -1
	s_cselect_b64 s[0:1], -1, 0
.LBB424_1938:
	s_and_b64 vcc, exec, s[0:1]
	s_cbranch_vccnz .LBB424_2004
.LBB424_1939:
	s_mov_b64 s[0:1], 0
	s_branch .LBB424_1941
.LBB424_1940:
	s_mov_b64 s[0:1], 0
	s_mov_b64 s[2:3], 0
                                        ; implicit-def: $sgpr20
                                        ; implicit-def: $vgpr0_vgpr1
                                        ; implicit-def: $vgpr2
.LBB424_1941:
	s_andn2_b64 s[4:5], s[12:13], exec
	s_and_b64 s[6:7], s[14:15], exec
	s_and_b64 s[0:1], s[0:1], exec
	s_and_b64 s[2:3], s[2:3], exec
	s_or_b64 s[12:13], s[4:5], s[6:7]
.LBB424_1942:
	s_or_b64 exec, exec, s[10:11]
	s_and_saveexec_b64 s[4:5], s[12:13]
	s_cbranch_execz .LBB424_1945
; %bb.1943:
	; divergent unreachable
	s_or_b64 exec, exec, s[4:5]
	s_and_saveexec_b64 s[4:5], s[2:3]
	s_xor_b64 s[2:3], exec, s[4:5]
	s_cbranch_execnz .LBB424_1946
.LBB424_1944:
	s_or_b64 exec, exec, s[2:3]
	s_and_saveexec_b64 s[2:3], s[0:1]
	s_cbranch_execnz .LBB424_1947
	s_branch .LBB424_1984
.LBB424_1945:
	s_or_b64 exec, exec, s[4:5]
	s_and_saveexec_b64 s[4:5], s[2:3]
	s_xor_b64 s[2:3], exec, s[4:5]
	s_cbranch_execz .LBB424_1944
.LBB424_1946:
	s_waitcnt vmcnt(0)
	v_mov_b32_e32 v3, 0
	v_cmp_ne_u16_sdwa s[4:5], v2, v3 src0_sel:BYTE_0 src1_sel:DWORD
	s_nop 1
	v_cndmask_b32_e64 v3, 0, 1, s[4:5]
	global_store_byte v[0:1], v3, off
	s_or_b64 exec, exec, s[2:3]
	s_and_saveexec_b64 s[2:3], s[0:1]
	s_cbranch_execz .LBB424_1984
.LBB424_1947:
	s_sext_i32_i16 s2, s20
	s_cmp_lt_i32 s2, 5
	s_mov_b64 s[0:1], -1
	s_cbranch_scc1 .LBB424_1968
; %bb.1948:
	s_cmp_lt_i32 s2, 8
	s_cbranch_scc1 .LBB424_1958
; %bb.1949:
	s_cmp_lt_i32 s2, 9
	s_cbranch_scc1 .LBB424_1955
; %bb.1950:
	s_cmp_gt_i32 s2, 9
	s_cbranch_scc0 .LBB424_1952
; %bb.1951:
	s_mov_b32 s0, 0xffff
	s_waitcnt vmcnt(0)
	v_and_b32_sdwa v3, s0, v2 dst_sel:DWORD dst_unused:UNUSED_PAD src0_sel:DWORD src1_sel:BYTE_0
	v_mov_b32_e32 v6, 0
	v_cvt_f64_u32_e32 v[4:5], v3
	v_mov_b32_e32 v7, v6
	global_store_dwordx4 v[0:1], v[4:7], off
	s_mov_b64 s[0:1], 0
.LBB424_1952:
	s_andn2_b64 vcc, exec, s[0:1]
	s_cbranch_vccnz .LBB424_1954
; %bb.1953:
	s_waitcnt vmcnt(0)
	v_cvt_f32_ubyte0_e32 v4, v2
	v_mov_b32_e32 v5, 0
	global_store_dwordx2 v[0:1], v[4:5], off
.LBB424_1954:
	s_mov_b64 s[0:1], 0
.LBB424_1955:
	s_andn2_b64 vcc, exec, s[0:1]
	s_cbranch_vccnz .LBB424_1957
; %bb.1956:
	s_waitcnt vmcnt(0)
	v_cvt_f16_u16_sdwa v3, v2 dst_sel:DWORD dst_unused:UNUSED_PAD src0_sel:BYTE_0
	global_store_dword v[0:1], v3, off
.LBB424_1957:
	s_mov_b64 s[0:1], 0
.LBB424_1958:
	s_andn2_b64 vcc, exec, s[0:1]
	s_cbranch_vccnz .LBB424_1967
; %bb.1959:
	s_sext_i32_i16 s2, s20
	s_cmp_lt_i32 s2, 6
	s_mov_b64 s[0:1], -1
	s_cbranch_scc1 .LBB424_1965
; %bb.1960:
	s_cmp_gt_i32 s2, 6
	s_cbranch_scc0 .LBB424_1962
; %bb.1961:
	s_mov_b32 s0, 0xffff
	s_waitcnt vmcnt(0)
	v_and_b32_sdwa v3, s0, v2 dst_sel:DWORD dst_unused:UNUSED_PAD src0_sel:DWORD src1_sel:BYTE_0
	v_cvt_f64_u32_e32 v[4:5], v3
	global_store_dwordx2 v[0:1], v[4:5], off
	s_mov_b64 s[0:1], 0
.LBB424_1962:
	s_andn2_b64 vcc, exec, s[0:1]
	s_cbranch_vccnz .LBB424_1964
; %bb.1963:
	s_waitcnt vmcnt(0)
	v_cvt_f32_ubyte0_e32 v3, v2
	global_store_dword v[0:1], v3, off
.LBB424_1964:
	s_mov_b64 s[0:1], 0
.LBB424_1965:
	s_andn2_b64 vcc, exec, s[0:1]
	s_cbranch_vccnz .LBB424_1967
; %bb.1966:
	s_waitcnt vmcnt(0)
	v_cvt_f16_u16_sdwa v3, v2 dst_sel:DWORD dst_unused:UNUSED_PAD src0_sel:BYTE_0
	global_store_short v[0:1], v3, off
.LBB424_1967:
	s_mov_b64 s[0:1], 0
.LBB424_1968:
	s_andn2_b64 vcc, exec, s[0:1]
	s_cbranch_vccnz .LBB424_1984
; %bb.1969:
	s_sext_i32_i16 s2, s20
	s_cmp_lt_i32 s2, 2
	s_mov_b64 s[0:1], -1
	s_cbranch_scc1 .LBB424_1979
; %bb.1970:
	s_cmp_lt_i32 s2, 3
	s_cbranch_scc1 .LBB424_1976
; %bb.1971:
	s_cmp_gt_i32 s2, 3
	s_cbranch_scc0 .LBB424_1973
; %bb.1972:
	s_waitcnt vmcnt(0)
	v_and_b32_e32 v4, 0xff, v2
	v_mov_b32_e32 v5, 0
	global_store_dwordx2 v[0:1], v[4:5], off
	s_mov_b64 s[0:1], 0
.LBB424_1973:
	s_andn2_b64 vcc, exec, s[0:1]
	s_cbranch_vccnz .LBB424_1975
; %bb.1974:
	s_waitcnt vmcnt(0)
	v_and_b32_e32 v3, 0xff, v2
	global_store_dword v[0:1], v3, off
.LBB424_1975:
	s_mov_b64 s[0:1], 0
.LBB424_1976:
	s_andn2_b64 vcc, exec, s[0:1]
	s_cbranch_vccnz .LBB424_1978
; %bb.1977:
	s_waitcnt vmcnt(0)
	v_and_b32_e32 v3, 0xff, v2
	global_store_short v[0:1], v3, off
.LBB424_1978:
	s_mov_b64 s[0:1], 0
.LBB424_1979:
	s_andn2_b64 vcc, exec, s[0:1]
	s_cbranch_vccnz .LBB424_1984
; %bb.1980:
	s_sext_i32_i16 s0, s20
	s_cmp_gt_i32 s0, 0
	s_mov_b64 s[0:1], -1
	s_cbranch_scc0 .LBB424_1982
; %bb.1981:
	s_waitcnt vmcnt(0)
	global_store_byte v[0:1], v2, off
	s_mov_b64 s[0:1], 0
.LBB424_1982:
	s_andn2_b64 vcc, exec, s[0:1]
	s_cbranch_vccnz .LBB424_1984
; %bb.1983:
	s_waitcnt vmcnt(0)
	global_store_byte v[0:1], v2, off
	s_endpgm
.LBB424_1984:
	s_endpgm
.LBB424_1985:
	s_mov_b64 s[2:3], 0
	s_mov_b64 s[0:1], -1
	s_branch .LBB424_1941
.LBB424_1986:
	s_trap 2
	s_or_b64 s[14:15], s[14:15], exec
	s_cbranch_execz .LBB424_1455
	s_branch .LBB424_1456
.LBB424_1987:
	s_andn2_saveexec_b64 s[18:19], s[18:19]
	s_cbranch_execz .LBB424_1535
.LBB424_1988:
	v_add_f32_e32 v1, 0x46000000, v3
	v_and_b32_e32 v1, 0xff, v1
	v_cmp_ne_u32_e32 vcc, 0, v1
	s_andn2_b64 s[16:17], s[16:17], exec
	s_and_b64 s[22:23], vcc, exec
	s_or_b64 s[16:17], s[16:17], s[22:23]
	s_or_b64 exec, exec, s[18:19]
	v_mov_b32_e32 v5, 0
	s_and_saveexec_b64 s[18:19], s[16:17]
	s_cbranch_execnz .LBB424_1536
	s_branch .LBB424_1537
.LBB424_1989:
	s_trap 2
	s_or_b64 s[14:15], s[14:15], exec
	s_cbranch_execz .LBB424_1583
	s_branch .LBB424_1584
.LBB424_1990:
	s_andn2_saveexec_b64 s[16:17], s[16:17]
	s_cbranch_execz .LBB424_1548
.LBB424_1991:
	v_add_f32_e32 v1, 0x42800000, v3
	v_and_b32_e32 v1, 0xff, v1
	v_cmp_ne_u32_e32 vcc, 0, v1
	s_andn2_b64 s[6:7], s[6:7], exec
	s_and_b64 s[18:19], vcc, exec
	s_or_b64 s[6:7], s[6:7], s[18:19]
	s_or_b64 exec, exec, s[16:17]
	v_mov_b32_e32 v5, 0
	s_and_saveexec_b64 s[16:17], s[6:7]
	s_cbranch_execnz .LBB424_1549
	s_branch .LBB424_1550
.LBB424_1992:
	s_andn2_saveexec_b64 s[16:17], s[16:17]
	s_cbranch_execz .LBB424_1654
.LBB424_1993:
	v_add_f32_e32 v1, 0x46000000, v3
	v_and_b32_e32 v1, 0xff, v1
	v_cmp_ne_u32_e32 vcc, 0, v1
	s_andn2_b64 s[8:9], s[8:9], exec
	s_and_b64 s[22:23], vcc, exec
	s_or_b64 s[8:9], s[8:9], s[22:23]
	s_or_b64 exec, exec, s[16:17]
	v_mov_b32_e32 v5, 0
	s_and_saveexec_b64 s[16:17], s[8:9]
	s_cbranch_execnz .LBB424_1655
	s_branch .LBB424_1656
.LBB424_1994:
	s_trap 2
	s_or_b64 s[14:15], s[14:15], exec
	s_cbranch_execz .LBB424_1702
	s_branch .LBB424_1703
.LBB424_1995:
	s_andn2_saveexec_b64 s[8:9], s[8:9]
	s_cbranch_execz .LBB424_1667
.LBB424_1996:
	v_add_f32_e32 v1, 0x42800000, v3
	v_and_b32_e32 v1, 0xff, v1
	v_cmp_ne_u32_e32 vcc, 0, v1
	s_andn2_b64 s[6:7], s[6:7], exec
	s_and_b64 s[16:17], vcc, exec
	s_or_b64 s[6:7], s[6:7], s[16:17]
	s_or_b64 exec, exec, s[8:9]
	v_mov_b32_e32 v5, 0
	s_and_saveexec_b64 s[8:9], s[6:7]
	s_cbranch_execnz .LBB424_1668
	s_branch .LBB424_1669
.LBB424_1997:
	s_andn2_saveexec_b64 s[16:17], s[16:17]
	s_cbranch_execz .LBB424_1773
.LBB424_1998:
	v_add_f32_e32 v1, 0x46000000, v3
	v_and_b32_e32 v1, 0xff, v1
	v_cmp_ne_u32_e32 vcc, 0, v1
	s_andn2_b64 s[8:9], s[8:9], exec
	s_and_b64 s[22:23], vcc, exec
	s_or_b64 s[8:9], s[8:9], s[22:23]
	s_or_b64 exec, exec, s[16:17]
	v_mov_b32_e32 v7, 0
	s_and_saveexec_b64 s[16:17], s[8:9]
	s_cbranch_execnz .LBB424_1774
	s_branch .LBB424_1775
.LBB424_1999:
	s_trap 2
	s_or_b64 s[14:15], s[14:15], exec
	s_cbranch_execz .LBB424_1821
	s_branch .LBB424_1822
.LBB424_2000:
	s_andn2_saveexec_b64 s[8:9], s[8:9]
	s_cbranch_execz .LBB424_1786
.LBB424_2001:
	v_add_f32_e32 v1, 0x42800000, v3
	v_and_b32_e32 v1, 0xff, v1
	v_cmp_ne_u32_e32 vcc, 0, v1
	s_andn2_b64 s[6:7], s[6:7], exec
	s_and_b64 s[16:17], vcc, exec
	s_or_b64 s[6:7], s[6:7], s[16:17]
	s_or_b64 exec, exec, s[8:9]
	v_mov_b32_e32 v7, 0
	s_and_saveexec_b64 s[8:9], s[6:7]
	s_cbranch_execnz .LBB424_1787
	s_branch .LBB424_1788
.LBB424_2002:
	s_andn2_saveexec_b64 s[8:9], s[8:9]
	s_cbranch_execz .LBB424_1893
.LBB424_2003:
	v_add_f32_e32 v3, 0x46000000, v4
	v_and_b32_e32 v3, 0xff, v3
	v_cmp_ne_u32_e32 vcc, 0, v3
	s_andn2_b64 s[6:7], s[6:7], exec
	s_and_b64 s[18:19], vcc, exec
	s_or_b64 s[6:7], s[6:7], s[18:19]
	s_or_b64 exec, exec, s[8:9]
	v_mov_b32_e32 v5, 0
	s_and_saveexec_b64 s[8:9], s[6:7]
	s_cbranch_execnz .LBB424_1894
	s_branch .LBB424_1895
.LBB424_2004:
	s_mov_b64 s[2:3], 0
	s_or_b64 s[14:15], s[14:15], exec
	s_trap 2
	s_branch .LBB424_1939
.LBB424_2005:
	s_andn2_saveexec_b64 s[6:7], s[6:7]
	s_cbranch_execz .LBB424_1905
.LBB424_2006:
	v_add_f32_e32 v3, 0x42800000, v4
	v_and_b32_e32 v3, 0xff, v3
	v_cmp_ne_u32_e32 vcc, 0, v3
	s_andn2_b64 s[4:5], s[4:5], exec
	s_and_b64 s[8:9], vcc, exec
	s_or_b64 s[4:5], s[4:5], s[8:9]
	s_or_b64 exec, exec, s[6:7]
	v_mov_b32_e32 v5, 0
	s_and_saveexec_b64 s[6:7], s[4:5]
	s_cbranch_execnz .LBB424_1906
	s_branch .LBB424_1907
	.section	.rodata,"a",@progbits
	.p2align	6, 0x0
	.amdhsa_kernel _ZN2at6native32elementwise_kernel_manual_unrollILi128ELi4EZNS0_15gpu_kernel_implIZZZNS0_21clamp_max_kernel_cudaERNS_18TensorIteratorBaseERKN3c106ScalarEENKUlvE_clEvENKUlvE_clEvEUlhE_EEvS4_RKT_EUlibE_EEviT1_
		.amdhsa_group_segment_fixed_size 0
		.amdhsa_private_segment_fixed_size 0
		.amdhsa_kernarg_size 40
		.amdhsa_user_sgpr_count 2
		.amdhsa_user_sgpr_dispatch_ptr 0
		.amdhsa_user_sgpr_queue_ptr 0
		.amdhsa_user_sgpr_kernarg_segment_ptr 1
		.amdhsa_user_sgpr_dispatch_id 0
		.amdhsa_user_sgpr_kernarg_preload_length 0
		.amdhsa_user_sgpr_kernarg_preload_offset 0
		.amdhsa_user_sgpr_private_segment_size 0
		.amdhsa_uses_dynamic_stack 0
		.amdhsa_enable_private_segment 0
		.amdhsa_system_sgpr_workgroup_id_x 1
		.amdhsa_system_sgpr_workgroup_id_y 0
		.amdhsa_system_sgpr_workgroup_id_z 0
		.amdhsa_system_sgpr_workgroup_info 0
		.amdhsa_system_vgpr_workitem_id 0
		.amdhsa_next_free_vgpr 16
		.amdhsa_next_free_sgpr 48
		.amdhsa_accum_offset 16
		.amdhsa_reserve_vcc 1
		.amdhsa_float_round_mode_32 0
		.amdhsa_float_round_mode_16_64 0
		.amdhsa_float_denorm_mode_32 3
		.amdhsa_float_denorm_mode_16_64 3
		.amdhsa_dx10_clamp 1
		.amdhsa_ieee_mode 1
		.amdhsa_fp16_overflow 0
		.amdhsa_tg_split 0
		.amdhsa_exception_fp_ieee_invalid_op 0
		.amdhsa_exception_fp_denorm_src 0
		.amdhsa_exception_fp_ieee_div_zero 0
		.amdhsa_exception_fp_ieee_overflow 0
		.amdhsa_exception_fp_ieee_underflow 0
		.amdhsa_exception_fp_ieee_inexact 0
		.amdhsa_exception_int_div_zero 0
	.end_amdhsa_kernel
	.section	.text._ZN2at6native32elementwise_kernel_manual_unrollILi128ELi4EZNS0_15gpu_kernel_implIZZZNS0_21clamp_max_kernel_cudaERNS_18TensorIteratorBaseERKN3c106ScalarEENKUlvE_clEvENKUlvE_clEvEUlhE_EEvS4_RKT_EUlibE_EEviT1_,"axG",@progbits,_ZN2at6native32elementwise_kernel_manual_unrollILi128ELi4EZNS0_15gpu_kernel_implIZZZNS0_21clamp_max_kernel_cudaERNS_18TensorIteratorBaseERKN3c106ScalarEENKUlvE_clEvENKUlvE_clEvEUlhE_EEvS4_RKT_EUlibE_EEviT1_,comdat
.Lfunc_end424:
	.size	_ZN2at6native32elementwise_kernel_manual_unrollILi128ELi4EZNS0_15gpu_kernel_implIZZZNS0_21clamp_max_kernel_cudaERNS_18TensorIteratorBaseERKN3c106ScalarEENKUlvE_clEvENKUlvE_clEvEUlhE_EEvS4_RKT_EUlibE_EEviT1_, .Lfunc_end424-_ZN2at6native32elementwise_kernel_manual_unrollILi128ELi4EZNS0_15gpu_kernel_implIZZZNS0_21clamp_max_kernel_cudaERNS_18TensorIteratorBaseERKN3c106ScalarEENKUlvE_clEvENKUlvE_clEvEUlhE_EEvS4_RKT_EUlibE_EEviT1_
                                        ; -- End function
	.set _ZN2at6native32elementwise_kernel_manual_unrollILi128ELi4EZNS0_15gpu_kernel_implIZZZNS0_21clamp_max_kernel_cudaERNS_18TensorIteratorBaseERKN3c106ScalarEENKUlvE_clEvENKUlvE_clEvEUlhE_EEvS4_RKT_EUlibE_EEviT1_.num_vgpr, 16
	.set _ZN2at6native32elementwise_kernel_manual_unrollILi128ELi4EZNS0_15gpu_kernel_implIZZZNS0_21clamp_max_kernel_cudaERNS_18TensorIteratorBaseERKN3c106ScalarEENKUlvE_clEvENKUlvE_clEvEUlhE_EEvS4_RKT_EUlibE_EEviT1_.num_agpr, 0
	.set _ZN2at6native32elementwise_kernel_manual_unrollILi128ELi4EZNS0_15gpu_kernel_implIZZZNS0_21clamp_max_kernel_cudaERNS_18TensorIteratorBaseERKN3c106ScalarEENKUlvE_clEvENKUlvE_clEvEUlhE_EEvS4_RKT_EUlibE_EEviT1_.numbered_sgpr, 48
	.set _ZN2at6native32elementwise_kernel_manual_unrollILi128ELi4EZNS0_15gpu_kernel_implIZZZNS0_21clamp_max_kernel_cudaERNS_18TensorIteratorBaseERKN3c106ScalarEENKUlvE_clEvENKUlvE_clEvEUlhE_EEvS4_RKT_EUlibE_EEviT1_.num_named_barrier, 0
	.set _ZN2at6native32elementwise_kernel_manual_unrollILi128ELi4EZNS0_15gpu_kernel_implIZZZNS0_21clamp_max_kernel_cudaERNS_18TensorIteratorBaseERKN3c106ScalarEENKUlvE_clEvENKUlvE_clEvEUlhE_EEvS4_RKT_EUlibE_EEviT1_.private_seg_size, 0
	.set _ZN2at6native32elementwise_kernel_manual_unrollILi128ELi4EZNS0_15gpu_kernel_implIZZZNS0_21clamp_max_kernel_cudaERNS_18TensorIteratorBaseERKN3c106ScalarEENKUlvE_clEvENKUlvE_clEvEUlhE_EEvS4_RKT_EUlibE_EEviT1_.uses_vcc, 1
	.set _ZN2at6native32elementwise_kernel_manual_unrollILi128ELi4EZNS0_15gpu_kernel_implIZZZNS0_21clamp_max_kernel_cudaERNS_18TensorIteratorBaseERKN3c106ScalarEENKUlvE_clEvENKUlvE_clEvEUlhE_EEvS4_RKT_EUlibE_EEviT1_.uses_flat_scratch, 0
	.set _ZN2at6native32elementwise_kernel_manual_unrollILi128ELi4EZNS0_15gpu_kernel_implIZZZNS0_21clamp_max_kernel_cudaERNS_18TensorIteratorBaseERKN3c106ScalarEENKUlvE_clEvENKUlvE_clEvEUlhE_EEvS4_RKT_EUlibE_EEviT1_.has_dyn_sized_stack, 0
	.set _ZN2at6native32elementwise_kernel_manual_unrollILi128ELi4EZNS0_15gpu_kernel_implIZZZNS0_21clamp_max_kernel_cudaERNS_18TensorIteratorBaseERKN3c106ScalarEENKUlvE_clEvENKUlvE_clEvEUlhE_EEvS4_RKT_EUlibE_EEviT1_.has_recursion, 0
	.set _ZN2at6native32elementwise_kernel_manual_unrollILi128ELi4EZNS0_15gpu_kernel_implIZZZNS0_21clamp_max_kernel_cudaERNS_18TensorIteratorBaseERKN3c106ScalarEENKUlvE_clEvENKUlvE_clEvEUlhE_EEvS4_RKT_EUlibE_EEviT1_.has_indirect_call, 0
	.section	.AMDGPU.csdata,"",@progbits
; Kernel info:
; codeLenInByte = 32928
; TotalNumSgprs: 54
; NumVgprs: 16
; NumAgprs: 0
; TotalNumVgprs: 16
; ScratchSize: 0
; MemoryBound: 1
; FloatMode: 240
; IeeeMode: 1
; LDSByteSize: 0 bytes/workgroup (compile time only)
; SGPRBlocks: 6
; VGPRBlocks: 1
; NumSGPRsForWavesPerEU: 54
; NumVGPRsForWavesPerEU: 16
; AccumOffset: 16
; Occupancy: 8
; WaveLimiterHint : 0
; COMPUTE_PGM_RSRC2:SCRATCH_EN: 0
; COMPUTE_PGM_RSRC2:USER_SGPR: 2
; COMPUTE_PGM_RSRC2:TRAP_HANDLER: 0
; COMPUTE_PGM_RSRC2:TGID_X_EN: 1
; COMPUTE_PGM_RSRC2:TGID_Y_EN: 0
; COMPUTE_PGM_RSRC2:TGID_Z_EN: 0
; COMPUTE_PGM_RSRC2:TIDIG_COMP_CNT: 0
; COMPUTE_PGM_RSRC3_GFX90A:ACCUM_OFFSET: 3
; COMPUTE_PGM_RSRC3_GFX90A:TG_SPLIT: 0
	.section	.text._ZN2at6native32elementwise_kernel_manual_unrollILi128ELi4EZNS0_15gpu_kernel_implIZZZNS0_21clamp_max_kernel_cudaERNS_18TensorIteratorBaseERKN3c106ScalarEENKUlvE_clEvENKUlvE_clEvEUlhE_EEvS4_RKT_EUlibE0_EEviT1_,"axG",@progbits,_ZN2at6native32elementwise_kernel_manual_unrollILi128ELi4EZNS0_15gpu_kernel_implIZZZNS0_21clamp_max_kernel_cudaERNS_18TensorIteratorBaseERKN3c106ScalarEENKUlvE_clEvENKUlvE_clEvEUlhE_EEvS4_RKT_EUlibE0_EEviT1_,comdat
	.globl	_ZN2at6native32elementwise_kernel_manual_unrollILi128ELi4EZNS0_15gpu_kernel_implIZZZNS0_21clamp_max_kernel_cudaERNS_18TensorIteratorBaseERKN3c106ScalarEENKUlvE_clEvENKUlvE_clEvEUlhE_EEvS4_RKT_EUlibE0_EEviT1_ ; -- Begin function _ZN2at6native32elementwise_kernel_manual_unrollILi128ELi4EZNS0_15gpu_kernel_implIZZZNS0_21clamp_max_kernel_cudaERNS_18TensorIteratorBaseERKN3c106ScalarEENKUlvE_clEvENKUlvE_clEvEUlhE_EEvS4_RKT_EUlibE0_EEviT1_
	.p2align	8
	.type	_ZN2at6native32elementwise_kernel_manual_unrollILi128ELi4EZNS0_15gpu_kernel_implIZZZNS0_21clamp_max_kernel_cudaERNS_18TensorIteratorBaseERKN3c106ScalarEENKUlvE_clEvENKUlvE_clEvEUlhE_EEvS4_RKT_EUlibE0_EEviT1_,@function
_ZN2at6native32elementwise_kernel_manual_unrollILi128ELi4EZNS0_15gpu_kernel_implIZZZNS0_21clamp_max_kernel_cudaERNS_18TensorIteratorBaseERKN3c106ScalarEENKUlvE_clEvENKUlvE_clEvEUlhE_EEvS4_RKT_EUlibE0_EEviT1_: ; @_ZN2at6native32elementwise_kernel_manual_unrollILi128ELi4EZNS0_15gpu_kernel_implIZZZNS0_21clamp_max_kernel_cudaERNS_18TensorIteratorBaseERKN3c106ScalarEENKUlvE_clEvENKUlvE_clEvEUlhE_EEvS4_RKT_EUlibE0_EEviT1_
; %bb.0:
	s_load_dword s70, s[0:1], 0x0
	s_load_dword s33, s[0:1], 0x8
	s_add_u32 s34, s0, 8
	s_addc_u32 s35, s1, 0
	v_lshl_or_b32 v12, s2, 9, v0
	v_or_b32_e32 v16, 0x180, v12
	s_waitcnt lgkmcnt(0)
	s_add_i32 s72, s33, -1
	s_cmp_gt_u32 s72, 1
	v_cmp_le_i32_e32 vcc, s70, v16
	s_cselect_b64 s[42:43], -1, 0
	s_mov_b64 s[40:41], 0
	s_mov_b64 s[24:25], 0
	s_and_saveexec_b64 s[2:3], vcc
	s_xor_b64 s[44:45], exec, s[2:3]
	s_cbranch_execz .LBB425_1074
; %bb.1:
	s_load_dwordx4 s[24:27], s[34:35], 0x4
	s_load_dwordx2 s[46:47], s[34:35], 0x14
	s_load_dword s74, s[34:35], 0x158
	s_cmp_lg_u32 s33, 0
	s_load_dwordx4 s[28:31], s[34:35], 0xc4
	s_load_dwordx4 s[20:23], s[34:35], 0x148
	s_cselect_b64 s[52:53], -1, 0
	s_add_u32 s50, s34, 0xc4
	s_addc_u32 s51, s35, 0
	s_min_u32 s76, s72, 15
	s_cmp_gt_u32 s33, 1
	s_cselect_b64 s[48:49], -1, 0
	s_waitcnt lgkmcnt(0)
	s_lshr_b32 s73, s74, 8
	s_lshr_b32 s75, s74, 16
	v_cmp_gt_i32_e32 vcc, s70, v12
	s_mov_b64 s[4:5], -1
	s_mov_b64 s[62:63], 0
	s_mov_b64 s[56:57], 0
	;; [unrolled: 1-line block ×3, first 2 shown]
	s_and_saveexec_b64 s[58:59], vcc
	s_cbranch_execz .LBB425_263
; %bb.2:
	s_andn2_b64 vcc, exec, s[42:43]
	s_cbranch_vccnz .LBB425_8
; %bb.3:
	s_andn2_b64 vcc, exec, s[52:53]
	s_cbranch_vccnz .LBB425_9
; %bb.4:
	s_add_i32 s57, s76, 1
	s_cmp_eq_u32 s72, 2
	s_cbranch_scc1 .LBB425_10
; %bb.5:
	s_and_b32 s56, s57, 28
	s_mov_b32 s60, 0
	v_mov_b32_e32 v0, 0
	v_mov_b32_e32 v2, 0
	s_mov_b64 s[2:3], s[34:35]
	s_mov_b64 s[54:55], s[50:51]
	v_mov_b32_e32 v4, v12
.LBB425_6:                              ; =>This Inner Loop Header: Depth=1
	s_load_dwordx8 s[12:19], s[2:3], 0x4
	s_load_dwordx4 s[36:39], s[2:3], 0x24
	s_load_dwordx8 s[4:11], s[54:55], 0x0
	s_add_u32 s2, s2, 48
	s_addc_u32 s3, s3, 0
	s_waitcnt lgkmcnt(0)
	v_mul_hi_u32 v1, s13, v4
	v_add_u32_e32 v1, v4, v1
	v_lshrrev_b32_e32 v1, s14, v1
	v_mul_lo_u32 v3, v1, s12
	v_mul_hi_u32 v5, s16, v1
	v_sub_u32_e32 v3, v4, v3
	v_add_u32_e32 v4, v1, v5
	v_lshrrev_b32_e32 v4, s17, v4
	v_mul_lo_u32 v6, v4, s15
	v_mul_hi_u32 v7, s19, v4
	v_sub_u32_e32 v1, v1, v6
	v_add_u32_e32 v6, v4, v7
	v_mul_lo_u32 v5, v3, s5
	v_mul_lo_u32 v3, v3, s4
	;; [unrolled: 1-line block ×4, first 2 shown]
	v_lshrrev_b32_e32 v6, s36, v6
	v_add3_u32 v0, v3, v0, v1
	v_mul_hi_u32 v3, s38, v6
	v_add3_u32 v1, v5, v2, v7
	v_mul_lo_u32 v2, v6, s18
	v_add_u32_e32 v3, v6, v3
	v_sub_u32_e32 v2, v4, v2
	v_lshrrev_b32_e32 v4, s39, v3
	s_add_i32 s60, s60, 4
	v_mul_lo_u32 v3, v4, s37
	s_add_u32 s54, s54, 32
	v_sub_u32_e32 v3, v6, v3
	s_addc_u32 s55, s55, 0
	v_mul_lo_u32 v5, v2, s8
	v_mul_lo_u32 v2, v2, s9
	;; [unrolled: 1-line block ×4, first 2 shown]
	s_cmp_lg_u32 s56, s60
	v_add3_u32 v2, v2, v1, v3
	v_add3_u32 v0, v5, v0, v6
	s_cbranch_scc1 .LBB425_6
; %bb.7:
	v_mov_b32_e32 v1, v2
	s_branch .LBB425_11
.LBB425_8:
                                        ; implicit-def: $vgpr2
                                        ; implicit-def: $vgpr0
	s_branch .LBB425_15
.LBB425_9:
	v_mov_b32_e32 v2, 0
	v_mov_b32_e32 v0, 0
	s_branch .LBB425_14
.LBB425_10:
	v_mov_b32_e32 v0, 0
	s_mov_b32 s56, 0
	v_mov_b32_e32 v1, v0
                                        ; implicit-def: $vgpr2
	v_mov_b32_e32 v4, v12
.LBB425_11:
	s_and_b32 s6, s57, 3
	s_cmp_eq_u32 s6, 0
	s_cbranch_scc1 .LBB425_14
; %bb.12:
	s_lshl_b32 s2, s56, 3
	s_add_u32 s2, s34, s2
	s_addc_u32 s3, s35, 0
	s_add_u32 s2, s2, 0xc4
	s_addc_u32 s3, s3, 0
	s_mul_i32 s4, s56, 12
	s_add_u32 s4, s34, s4
	s_addc_u32 s5, s35, 0
.LBB425_13:                             ; =>This Inner Loop Header: Depth=1
	s_load_dwordx2 s[8:9], s[4:5], 0x4
	s_load_dword s7, s[4:5], 0xc
	s_load_dwordx2 s[10:11], s[2:3], 0x0
	v_mov_b32_e32 v2, v1
	s_add_u32 s4, s4, 12
	s_waitcnt lgkmcnt(0)
	v_mul_hi_u32 v1, s9, v4
	v_add_u32_e32 v1, v4, v1
	v_lshrrev_b32_e32 v1, s7, v1
	s_addc_u32 s5, s5, 0
	v_mul_lo_u32 v3, v1, s8
	s_add_u32 s2, s2, 8
	v_sub_u32_e32 v5, v4, v3
	s_addc_u32 s3, s3, 0
	s_add_i32 s6, s6, -1
	v_mov_b32_e32 v4, v1
	v_mad_u64_u32 v[2:3], s[8:9], v5, s11, v[2:3]
	v_mad_u64_u32 v[0:1], s[8:9], v5, s10, v[0:1]
	s_cmp_lg_u32 s6, 0
	v_mov_b32_e32 v1, v2
	s_cbranch_scc1 .LBB425_13
.LBB425_14:
	s_cbranch_execnz .LBB425_17
.LBB425_15:
	v_mul_hi_u32 v0, s25, v12
	v_add_u32_e32 v0, v12, v0
	v_lshrrev_b32_e32 v1, s26, v0
	v_mul_lo_u32 v0, v1, s24
	v_sub_u32_e32 v0, v12, v0
	v_mul_lo_u32 v2, v0, s29
	s_andn2_b64 vcc, exec, s[48:49]
	v_mul_lo_u32 v0, v0, s28
	s_cbranch_vccnz .LBB425_17
; %bb.16:
	v_mul_hi_u32 v3, s46, v1
	v_add_u32_e32 v3, v1, v3
	v_lshrrev_b32_e32 v3, s47, v3
	v_mul_lo_u32 v3, v3, s27
	v_sub_u32_e32 v3, v1, v3
	v_mad_u64_u32 v[0:1], s[2:3], v3, s30, v[0:1]
	v_mad_u64_u32 v[2:3], s[2:3], v3, s31, v[2:3]
.LBB425_17:
	v_mov_b32_e32 v3, 0
	s_and_b32 s8, s75, 0xff
	s_cmp_lt_i32 s8, 11
	v_lshl_add_u64 v[2:3], s[22:23], 0, v[2:3]
	s_cbranch_scc1 .LBB425_24
; %bb.18:
	s_and_b32 s9, 0xffff, s8
	s_cmp_gt_i32 s9, 25
	s_cbranch_scc0 .LBB425_33
; %bb.19:
	s_cmp_gt_i32 s9, 28
	s_cbranch_scc0 .LBB425_36
; %bb.20:
	;; [unrolled: 3-line block ×4, first 2 shown]
	s_cmp_eq_u32 s9, 46
	s_mov_b64 s[6:7], 0
	s_cbranch_scc0 .LBB425_42
; %bb.23:
	global_load_dword v1, v[2:3], off
	s_mov_b32 s2, 0x2f800000
	s_mov_b32 s3, 0xcf800000
	s_mov_b64 s[4:5], 0
	s_waitcnt vmcnt(0)
	v_lshlrev_b32_e32 v1, 16, v1
	v_trunc_f32_e32 v1, v1
	v_mul_f32_e64 v4, |v1|, s2
	v_floor_f32_e32 v4, v4
	v_fma_f32 v4, v4, s3, |v1|
	v_cvt_u32_f32_e32 v4, v4
	v_ashrrev_i32_e32 v1, 31, v1
	s_mov_b64 s[2:3], -1
	v_xor_b32_e32 v4, v4, v1
	v_sub_u32_e32 v4, v4, v1
	s_branch .LBB425_44
.LBB425_24:
	s_mov_b64 s[4:5], 0
                                        ; implicit-def: $vgpr4
	s_mov_b64 s[2:3], 0
	s_cbranch_execnz .LBB425_213
.LBB425_25:
	s_andn2_b64 vcc, exec, s[2:3]
	s_cbranch_vccnz .LBB425_260
.LBB425_26:
	s_and_b32 s2, s74, 0xff
	v_mov_b32_e32 v1, 0
	s_and_b32 s12, s73, 0xff
	s_waitcnt vmcnt(0)
	v_min_u16_sdwa v2, v4, s2 dst_sel:DWORD dst_unused:UNUSED_PAD src0_sel:BYTE_0 src1_sel:DWORD
	s_cmp_lt_i32 s12, 11
	v_lshl_add_u64 v[0:1], s[20:21], 0, v[0:1]
	s_cbranch_scc1 .LBB425_34
; %bb.27:
	s_and_b32 s13, 0xffff, s12
	s_cmp_gt_i32 s13, 25
	s_cbranch_scc0 .LBB425_37
; %bb.28:
	s_cmp_gt_i32 s13, 28
	s_cbranch_scc0 .LBB425_39
; %bb.29:
	;; [unrolled: 3-line block ×4, first 2 shown]
	s_mov_b64 s[8:9], 0
	s_mov_b64 s[2:3], -1
	s_cmp_eq_u32 s13, 46
	s_mov_b64 s[6:7], 0
	s_cbranch_scc0 .LBB425_48
; %bb.32:
	v_cvt_f32_ubyte0_e32 v3, v2
	v_bfe_u32 v4, v3, 16, 1
	s_movk_i32 s2, 0x7fff
	v_add3_u32 v3, v3, v4, s2
	v_lshrrev_b32_e32 v3, 16, v3
	global_store_dword v[0:1], v3, off
	s_mov_b64 s[6:7], -1
	s_mov_b64 s[2:3], 0
	s_branch .LBB425_48
.LBB425_33:
	s_mov_b64 s[4:5], 0
	s_mov_b64 s[2:3], 0
                                        ; implicit-def: $vgpr4
	s_cbranch_execnz .LBB425_180
	s_branch .LBB425_212
.LBB425_34:
	s_mov_b64 s[2:3], 0
	s_mov_b64 s[6:7], 0
	s_cbranch_execnz .LBB425_117
.LBB425_35:
	s_andn2_b64 vcc, exec, s[6:7]
	s_cbranch_vccnz .LBB425_261
	s_branch .LBB425_155
.LBB425_36:
	s_mov_b64 s[6:7], -1
	s_mov_b64 s[4:5], 0
	s_mov_b64 s[2:3], 0
                                        ; implicit-def: $vgpr4
	s_branch .LBB425_163
.LBB425_37:
	s_mov_b64 s[8:9], -1
	s_mov_b64 s[2:3], 0
	s_mov_b64 s[6:7], 0
	s_branch .LBB425_75
.LBB425_38:
	s_mov_b64 s[6:7], -1
	s_mov_b64 s[4:5], 0
	s_mov_b64 s[2:3], 0
                                        ; implicit-def: $vgpr4
	s_branch .LBB425_158
.LBB425_39:
	s_mov_b64 s[8:9], -1
	s_mov_b64 s[2:3], 0
	s_mov_b64 s[6:7], 0
	s_branch .LBB425_58
.LBB425_40:
	s_mov_b64 s[6:7], -1
	s_mov_b64 s[4:5], 0
	s_branch .LBB425_43
.LBB425_41:
	s_mov_b64 s[8:9], -1
	s_mov_b64 s[2:3], 0
	s_mov_b64 s[6:7], 0
	s_branch .LBB425_54
.LBB425_42:
	s_mov_b64 s[4:5], -1
.LBB425_43:
	s_mov_b64 s[2:3], 0
                                        ; implicit-def: $vgpr4
.LBB425_44:
	s_and_b64 vcc, exec, s[6:7]
	s_cbranch_vccz .LBB425_157
; %bb.45:
	s_cmp_eq_u32 s9, 44
	s_cbranch_scc0 .LBB425_156
; %bb.46:
	global_load_ubyte v1, v[2:3], off
	s_mov_b32 s2, 0x2f800000
	s_mov_b32 s3, 0xcf800000
	s_mov_b64 s[4:5], 0
	s_waitcnt vmcnt(0)
	v_lshlrev_b32_e32 v4, 23, v1
	v_trunc_f32_e32 v4, v4
	v_mul_f32_e64 v5, |v4|, s2
	v_floor_f32_e32 v5, v5
	v_fma_f32 v5, v5, s3, |v4|
	v_cvt_u32_f32_e32 v5, v5
	v_ashrrev_i32_e32 v4, 31, v4
	v_cmp_ne_u32_e32 vcc, 0, v1
	s_mov_b64 s[2:3], -1
	v_xor_b32_e32 v5, v5, v4
	v_sub_u32_e32 v4, v5, v4
	v_cndmask_b32_e32 v4, 0, v4, vcc
	s_branch .LBB425_157
.LBB425_47:
	s_mov_b64 s[8:9], -1
	s_mov_b64 s[2:3], 0
	s_mov_b64 s[6:7], 0
.LBB425_48:
	s_and_b64 vcc, exec, s[8:9]
	s_cbranch_vccz .LBB425_53
; %bb.49:
	s_cmp_eq_u32 s13, 44
	s_mov_b64 s[2:3], -1
	s_cbranch_scc0 .LBB425_53
; %bb.50:
	v_cvt_f32_ubyte0_e32 v4, v2
	v_lshrrev_b32_e32 v3, 23, v4
	s_movk_i32 s2, 0xff
	v_cmp_ne_u32_e32 vcc, s2, v3
	v_mov_b32_e32 v5, 0xff
	s_and_saveexec_b64 s[6:7], vcc
; %bb.51:
	s_mov_b32 s2, 0x3fffff
	v_and_b32_e32 v5, 0x400000, v4
	v_and_or_b32 v4, v4, s2, v3
	v_cmp_ne_u32_e32 vcc, 0, v5
	v_cmp_ne_u32_e64 s[2:3], 0, v4
	s_and_b64 s[2:3], vcc, s[2:3]
	s_nop 0
	v_cndmask_b32_e64 v4, 0, 1, s[2:3]
	v_add_u32_e32 v5, v3, v4
; %bb.52:
	s_or_b64 exec, exec, s[6:7]
	s_mov_b64 s[6:7], -1
	s_mov_b64 s[2:3], 0
	global_store_byte v[0:1], v5, off
.LBB425_53:
	s_mov_b64 s[8:9], 0
.LBB425_54:
	s_and_b64 vcc, exec, s[8:9]
	s_cbranch_vccz .LBB425_57
; %bb.55:
	s_cmp_eq_u32 s13, 29
	s_mov_b64 s[2:3], -1
	s_cbranch_scc0 .LBB425_57
; %bb.56:
	s_mov_b32 s2, 0
	v_mov_b32_e32 v3, s2
	global_store_dwordx2 v[0:1], v[2:3], off
	s_mov_b64 s[6:7], -1
	s_mov_b64 s[2:3], 0
.LBB425_57:
	s_mov_b64 s[8:9], 0
.LBB425_58:
	s_and_b64 vcc, exec, s[8:9]
	s_cbranch_vccz .LBB425_74
; %bb.59:
	s_cmp_lt_i32 s13, 27
	s_mov_b64 s[6:7], -1
	s_cbranch_scc1 .LBB425_65
; %bb.60:
	s_cmp_gt_i32 s13, 27
	s_cbranch_scc0 .LBB425_62
; %bb.61:
	s_mov_b64 s[6:7], 0
	global_store_dword v[0:1], v2, off
.LBB425_62:
	s_andn2_b64 vcc, exec, s[6:7]
	s_cbranch_vccnz .LBB425_64
; %bb.63:
	global_store_short v[0:1], v2, off
.LBB425_64:
	s_mov_b64 s[6:7], 0
.LBB425_65:
	s_andn2_b64 vcc, exec, s[6:7]
	s_cbranch_vccnz .LBB425_73
; %bb.66:
	v_cvt_f32_ubyte0_e32 v4, v2
	s_mov_b32 s6, 0x43800000
	v_cmp_gt_u32_e32 vcc, s6, v4
	v_mov_b32_e32 v5, 0x80
	s_and_saveexec_b64 s[6:7], vcc
	s_cbranch_execz .LBB425_72
; %bb.67:
	s_mov_b32 s8, 0x3bffffff
	v_cmp_lt_u32_e32 vcc, s8, v4
	s_mov_b64 s[8:9], 0
                                        ; implicit-def: $vgpr3
	s_and_saveexec_b64 s[10:11], vcc
	s_xor_b64 s[10:11], exec, s[10:11]
	s_cbranch_execz .LBB425_305
; %bb.68:
	v_bfe_u32 v3, v4, 20, 1
	s_mov_b32 s14, 0x487ffff
	v_add3_u32 v3, v4, v3, s14
	s_mov_b64 s[8:9], exec
	v_lshrrev_b32_e32 v3, 20, v3
                                        ; implicit-def: $vgpr4
	s_andn2_saveexec_b64 s[10:11], s[10:11]
	s_cbranch_execnz .LBB425_306
.LBB425_69:
	s_or_b64 exec, exec, s[10:11]
	v_mov_b32_e32 v5, 0
	s_and_saveexec_b64 s[10:11], s[8:9]
.LBB425_70:
	v_mov_b32_e32 v5, v3
.LBB425_71:
	s_or_b64 exec, exec, s[10:11]
.LBB425_72:
	s_or_b64 exec, exec, s[6:7]
	global_store_byte v[0:1], v5, off
.LBB425_73:
	s_mov_b64 s[6:7], -1
.LBB425_74:
	s_mov_b64 s[8:9], 0
.LBB425_75:
	s_and_b64 vcc, exec, s[8:9]
	s_cbranch_vccz .LBB425_116
; %bb.76:
	s_cmp_gt_i32 s13, 22
	s_mov_b64 s[8:9], -1
	s_cbranch_scc0 .LBB425_108
; %bb.77:
	s_cmp_lt_i32 s13, 24
	s_mov_b64 s[6:7], -1
	s_cbranch_scc1 .LBB425_97
; %bb.78:
	s_cmp_gt_i32 s13, 24
	s_cbranch_scc0 .LBB425_86
; %bb.79:
	v_cvt_f32_ubyte0_e32 v4, v2
	s_mov_b32 s6, 0x47800000
	v_cmp_gt_u32_e32 vcc, s6, v4
	v_mov_b32_e32 v5, 0x80
	s_and_saveexec_b64 s[6:7], vcc
	s_cbranch_execz .LBB425_85
; %bb.80:
	s_mov_b32 s8, 0x37ffffff
	v_cmp_lt_u32_e32 vcc, s8, v4
	s_mov_b64 s[8:9], 0
                                        ; implicit-def: $vgpr3
	s_and_saveexec_b64 s[10:11], vcc
	s_xor_b64 s[10:11], exec, s[10:11]
	s_cbranch_execz .LBB425_309
; %bb.81:
	v_bfe_u32 v3, v4, 21, 1
	s_mov_b32 s14, 0x88fffff
	v_add3_u32 v3, v4, v3, s14
	s_mov_b64 s[8:9], exec
	v_lshrrev_b32_e32 v3, 21, v3
                                        ; implicit-def: $vgpr4
	s_andn2_saveexec_b64 s[10:11], s[10:11]
	s_cbranch_execnz .LBB425_310
.LBB425_82:
	s_or_b64 exec, exec, s[10:11]
	v_mov_b32_e32 v5, 0
	s_and_saveexec_b64 s[10:11], s[8:9]
.LBB425_83:
	v_mov_b32_e32 v5, v3
.LBB425_84:
	s_or_b64 exec, exec, s[10:11]
.LBB425_85:
	s_or_b64 exec, exec, s[6:7]
	s_mov_b64 s[6:7], 0
	global_store_byte v[0:1], v5, off
.LBB425_86:
	s_and_b64 vcc, exec, s[6:7]
	s_cbranch_vccz .LBB425_96
; %bb.87:
	v_cvt_f32_ubyte0_e32 v3, v2
	s_mov_b32 s6, 0x43f00000
	v_cmp_gt_u32_e32 vcc, s6, v3
                                        ; implicit-def: $vgpr4
	s_and_saveexec_b64 s[6:7], vcc
	s_xor_b64 s[6:7], exec, s[6:7]
	s_cbranch_execz .LBB425_93
; %bb.88:
	s_mov_b32 s8, 0x3c7fffff
	v_cmp_lt_u32_e32 vcc, s8, v3
                                        ; implicit-def: $vgpr4
	s_and_saveexec_b64 s[8:9], vcc
	s_xor_b64 s[8:9], exec, s[8:9]
; %bb.89:
	v_bfe_u32 v4, v3, 20, 1
	s_mov_b32 s10, 0x407ffff
	v_add3_u32 v3, v3, v4, s10
	v_lshrrev_b32_e32 v4, 20, v3
	v_and_b32_e32 v3, 0xff00000, v3
	s_mov_b32 s10, 0x7f00000
	v_mov_b32_e32 v5, 0x7e
	v_cmp_ne_u32_e32 vcc, s10, v3
                                        ; implicit-def: $vgpr3
	s_nop 1
	v_cndmask_b32_e32 v4, v5, v4, vcc
; %bb.90:
	s_andn2_saveexec_b64 s[8:9], s[8:9]
; %bb.91:
	v_add_f32_e32 v4, 0x46800000, v3
; %bb.92:
	s_or_b64 exec, exec, s[8:9]
                                        ; implicit-def: $vgpr3
.LBB425_93:
	s_andn2_saveexec_b64 s[6:7], s[6:7]
; %bb.94:
	s_mov_b32 s8, 0x7f800000
	v_mov_b32_e32 v4, 0x7e
	v_mov_b32_e32 v5, 0x7f
	v_cmp_lt_u32_e32 vcc, s8, v3
	s_nop 1
	v_cndmask_b32_e32 v4, v4, v5, vcc
; %bb.95:
	s_or_b64 exec, exec, s[6:7]
	global_store_byte v[0:1], v4, off
.LBB425_96:
	s_mov_b64 s[6:7], 0
.LBB425_97:
	s_andn2_b64 vcc, exec, s[6:7]
	s_cbranch_vccnz .LBB425_107
; %bb.98:
	v_cvt_f32_ubyte0_e32 v3, v2
	s_mov_b32 s6, 0x47800000
	v_cmp_gt_u32_e32 vcc, s6, v3
                                        ; implicit-def: $vgpr4
	s_and_saveexec_b64 s[6:7], vcc
	s_xor_b64 s[6:7], exec, s[6:7]
	s_cbranch_execz .LBB425_104
; %bb.99:
	s_mov_b32 s8, 0x387fffff
	v_cmp_lt_u32_e32 vcc, s8, v3
                                        ; implicit-def: $vgpr4
	s_and_saveexec_b64 s[8:9], vcc
	s_xor_b64 s[8:9], exec, s[8:9]
; %bb.100:
	v_bfe_u32 v4, v3, 21, 1
	s_mov_b32 s10, 0x80fffff
	v_add3_u32 v3, v3, v4, s10
	v_lshrrev_b32_e32 v4, 21, v3
                                        ; implicit-def: $vgpr3
; %bb.101:
	s_andn2_saveexec_b64 s[8:9], s[8:9]
; %bb.102:
	v_add_f32_e32 v4, 0x43000000, v3
; %bb.103:
	s_or_b64 exec, exec, s[8:9]
                                        ; implicit-def: $vgpr3
.LBB425_104:
	s_andn2_saveexec_b64 s[6:7], s[6:7]
; %bb.105:
	s_mov_b32 s8, 0x7f800000
	v_mov_b32_e32 v4, 0x7c
	v_mov_b32_e32 v5, 0x7f
	v_cmp_lt_u32_e32 vcc, s8, v3
	s_nop 1
	v_cndmask_b32_e32 v4, v4, v5, vcc
; %bb.106:
	s_or_b64 exec, exec, s[6:7]
	global_store_byte v[0:1], v4, off
.LBB425_107:
	s_mov_b64 s[8:9], 0
	s_mov_b64 s[6:7], -1
.LBB425_108:
	s_andn2_b64 vcc, exec, s[8:9]
	s_cbranch_vccnz .LBB425_116
; %bb.109:
	s_cmp_gt_i32 s13, 14
	s_mov_b64 s[8:9], -1
	s_cbranch_scc0 .LBB425_113
; %bb.110:
	s_cmp_eq_u32 s13, 15
	s_mov_b64 s[2:3], -1
	s_cbranch_scc0 .LBB425_112
; %bb.111:
	v_cvt_f32_ubyte0_e32 v3, v2
	v_bfe_u32 v4, v3, 16, 1
	s_movk_i32 s2, 0x7fff
	v_add3_u32 v3, v3, v4, s2
	global_store_short_d16_hi v[0:1], v3, off
	s_mov_b64 s[6:7], -1
	s_mov_b64 s[2:3], 0
.LBB425_112:
	s_mov_b64 s[8:9], 0
.LBB425_113:
	s_and_b64 vcc, exec, s[8:9]
	s_cbranch_vccz .LBB425_116
; %bb.114:
	s_cmp_eq_u32 s13, 11
	s_mov_b64 s[2:3], -1
	s_cbranch_scc0 .LBB425_116
; %bb.115:
	v_cmp_ne_u16_e32 vcc, 0, v2
	s_mov_b64 s[6:7], -1
	s_mov_b64 s[2:3], 0
	v_cndmask_b32_e64 v3, 0, 1, vcc
	global_store_byte v[0:1], v3, off
.LBB425_116:
	s_branch .LBB425_35
.LBB425_117:
	s_and_b32 s8, 0xffff, s12
	s_cmp_lt_i32 s8, 5
	s_mov_b64 s[6:7], -1
	s_cbranch_scc1 .LBB425_138
; %bb.118:
	s_cmp_lt_i32 s8, 8
	s_cbranch_scc1 .LBB425_128
; %bb.119:
	s_cmp_lt_i32 s8, 9
	s_cbranch_scc1 .LBB425_125
; %bb.120:
	s_cmp_gt_i32 s8, 9
	s_cbranch_scc0 .LBB425_122
; %bb.121:
	v_mov_b32_e32 v6, 0
	v_cvt_f64_u32_e32 v[4:5], v2
	v_mov_b32_e32 v7, v6
	global_store_dwordx4 v[0:1], v[4:7], off
	s_mov_b64 s[6:7], 0
.LBB425_122:
	s_andn2_b64 vcc, exec, s[6:7]
	s_cbranch_vccnz .LBB425_124
; %bb.123:
	v_cvt_f32_ubyte0_e32 v4, v2
	v_mov_b32_e32 v5, 0
	global_store_dwordx2 v[0:1], v[4:5], off
.LBB425_124:
	s_mov_b64 s[6:7], 0
.LBB425_125:
	s_andn2_b64 vcc, exec, s[6:7]
	s_cbranch_vccnz .LBB425_127
; %bb.126:
	v_cvt_f16_u16_e32 v3, v2
	global_store_dword v[0:1], v3, off
.LBB425_127:
	s_mov_b64 s[6:7], 0
.LBB425_128:
	s_andn2_b64 vcc, exec, s[6:7]
	s_cbranch_vccnz .LBB425_137
; %bb.129:
	s_cmp_lt_i32 s8, 6
	s_mov_b64 s[6:7], -1
	s_cbranch_scc1 .LBB425_135
; %bb.130:
	s_cmp_gt_i32 s8, 6
	s_cbranch_scc0 .LBB425_132
; %bb.131:
	v_cvt_f64_u32_e32 v[4:5], v2
	global_store_dwordx2 v[0:1], v[4:5], off
	s_mov_b64 s[6:7], 0
.LBB425_132:
	s_andn2_b64 vcc, exec, s[6:7]
	s_cbranch_vccnz .LBB425_134
; %bb.133:
	v_cvt_f32_ubyte0_e32 v3, v2
	global_store_dword v[0:1], v3, off
.LBB425_134:
	s_mov_b64 s[6:7], 0
.LBB425_135:
	s_andn2_b64 vcc, exec, s[6:7]
	s_cbranch_vccnz .LBB425_137
; %bb.136:
	v_cvt_f16_u16_e32 v3, v2
	global_store_short v[0:1], v3, off
.LBB425_137:
	s_mov_b64 s[6:7], 0
.LBB425_138:
	s_andn2_b64 vcc, exec, s[6:7]
	s_cbranch_vccnz .LBB425_154
; %bb.139:
	s_cmp_lt_i32 s8, 2
	s_mov_b64 s[6:7], -1
	s_cbranch_scc1 .LBB425_149
; %bb.140:
	s_cmp_lt_i32 s8, 3
	s_cbranch_scc1 .LBB425_146
; %bb.141:
	s_cmp_gt_i32 s8, 3
	s_cbranch_scc0 .LBB425_143
; %bb.142:
	s_mov_b32 s6, 0
	v_mov_b32_e32 v3, s6
	global_store_dwordx2 v[0:1], v[2:3], off
	s_mov_b64 s[6:7], 0
.LBB425_143:
	s_andn2_b64 vcc, exec, s[6:7]
	s_cbranch_vccnz .LBB425_145
; %bb.144:
	global_store_dword v[0:1], v2, off
.LBB425_145:
	s_mov_b64 s[6:7], 0
.LBB425_146:
	s_andn2_b64 vcc, exec, s[6:7]
	s_cbranch_vccnz .LBB425_148
; %bb.147:
	global_store_short v[0:1], v2, off
.LBB425_148:
	s_mov_b64 s[6:7], 0
.LBB425_149:
	s_andn2_b64 vcc, exec, s[6:7]
	s_cbranch_vccnz .LBB425_154
; %bb.150:
	s_cmp_gt_i32 s8, 0
	s_mov_b64 s[6:7], -1
	s_cbranch_scc0 .LBB425_152
; %bb.151:
	global_store_byte v[0:1], v2, off
	s_mov_b64 s[6:7], 0
.LBB425_152:
	s_andn2_b64 vcc, exec, s[6:7]
	s_cbranch_vccnz .LBB425_154
; %bb.153:
	global_store_byte v[0:1], v2, off
.LBB425_154:
.LBB425_155:
	v_add_u32_e32 v12, 0x80, v12
	s_mov_b64 s[6:7], -1
	s_branch .LBB425_262
.LBB425_156:
	s_mov_b64 s[4:5], -1
                                        ; implicit-def: $vgpr4
.LBB425_157:
	s_mov_b64 s[6:7], 0
.LBB425_158:
	s_and_b64 vcc, exec, s[6:7]
	s_cbranch_vccz .LBB425_162
; %bb.159:
	s_cmp_eq_u32 s9, 29
	s_cbranch_scc0 .LBB425_161
; %bb.160:
	global_load_dwordx2 v[4:5], v[2:3], off
	s_mov_b64 s[2:3], -1
	s_mov_b64 s[4:5], 0
	s_branch .LBB425_162
.LBB425_161:
	s_mov_b64 s[4:5], -1
                                        ; implicit-def: $vgpr4
.LBB425_162:
	s_mov_b64 s[6:7], 0
.LBB425_163:
	s_and_b64 vcc, exec, s[6:7]
	s_cbranch_vccz .LBB425_179
; %bb.164:
	s_cmp_lt_i32 s9, 27
	s_cbranch_scc1 .LBB425_167
; %bb.165:
	s_cmp_gt_i32 s9, 27
	s_cbranch_scc0 .LBB425_168
; %bb.166:
	global_load_dword v4, v[2:3], off
	s_mov_b64 s[2:3], 0
	s_branch .LBB425_169
.LBB425_167:
	s_mov_b64 s[2:3], -1
                                        ; implicit-def: $vgpr4
	s_branch .LBB425_172
.LBB425_168:
	s_mov_b64 s[2:3], -1
                                        ; implicit-def: $vgpr4
.LBB425_169:
	s_andn2_b64 vcc, exec, s[2:3]
	s_cbranch_vccnz .LBB425_171
; %bb.170:
	global_load_ushort v4, v[2:3], off
.LBB425_171:
	s_mov_b64 s[2:3], 0
.LBB425_172:
	s_andn2_b64 vcc, exec, s[2:3]
	s_cbranch_vccnz .LBB425_178
; %bb.173:
	global_load_ubyte v1, v[2:3], off
	s_movk_i32 s2, 0x7f
	s_mov_b64 s[6:7], 0
	s_waitcnt vmcnt(0)
	v_cmp_lt_i16_e32 vcc, s2, v1
	s_and_saveexec_b64 s[2:3], vcc
	s_xor_b64 s[2:3], exec, s[2:3]
	s_cbranch_execz .LBB425_189
; %bb.174:
	s_movk_i32 s6, 0x80
	v_cmp_ne_u16_e32 vcc, s6, v1
	s_and_b64 s[6:7], vcc, exec
	s_andn2_saveexec_b64 s[2:3], s[2:3]
	s_cbranch_execnz .LBB425_190
.LBB425_175:
	s_or_b64 exec, exec, s[2:3]
	v_mov_b32_e32 v4, 0
	s_and_saveexec_b64 s[2:3], s[6:7]
	s_cbranch_execz .LBB425_177
.LBB425_176:
	v_lshlrev_b32_e32 v4, 24, v1
	v_and_b32_e32 v1, 0xffff, v1
	v_and_b32_e32 v5, 7, v1
	v_ffbh_u32_e32 v7, v5
	v_min_u32_e32 v7, 32, v7
	v_subrev_u32_e32 v8, 28, v7
	v_bfe_u32 v6, v1, 3, 4
	v_lshlrev_b32_e32 v1, v8, v1
	v_sub_u32_e32 v7, 29, v7
	v_and_b32_e32 v1, 7, v1
	v_cmp_eq_u32_e32 vcc, 0, v6
	v_and_b32_e32 v4, 0x80000000, v4
	s_mov_b32 s6, 0x2f800000
	v_cndmask_b32_e32 v6, v6, v7, vcc
	v_cndmask_b32_e32 v1, v5, v1, vcc
	v_mov_b32_e32 v5, 0x3b800000
	v_lshlrev_b32_e32 v1, 20, v1
	v_lshl_add_u32 v5, v6, 23, v5
	v_or3_b32 v1, v4, v5, v1
	v_trunc_f32_e32 v1, v1
	v_mul_f32_e64 v4, |v1|, s6
	v_floor_f32_e32 v4, v4
	s_mov_b32 s6, 0xcf800000
	v_fma_f32 v4, v4, s6, |v1|
	v_cvt_u32_f32_e32 v4, v4
	v_ashrrev_i32_e32 v1, 31, v1
	v_xor_b32_e32 v4, v4, v1
	v_sub_u32_e32 v4, v4, v1
.LBB425_177:
	s_or_b64 exec, exec, s[2:3]
.LBB425_178:
	s_mov_b64 s[2:3], -1
.LBB425_179:
	s_branch .LBB425_212
.LBB425_180:
	s_cmp_gt_i32 s9, 22
	s_cbranch_scc0 .LBB425_188
; %bb.181:
	s_cmp_lt_i32 s9, 24
	s_cbranch_scc1 .LBB425_191
; %bb.182:
	s_cmp_gt_i32 s9, 24
	s_cbranch_scc0 .LBB425_192
; %bb.183:
	global_load_ubyte v1, v[2:3], off
	s_movk_i32 s2, 0x7f
	s_mov_b64 s[6:7], 0
	s_waitcnt vmcnt(0)
	v_cmp_lt_i16_e32 vcc, s2, v1
	s_and_saveexec_b64 s[2:3], vcc
	s_xor_b64 s[2:3], exec, s[2:3]
	s_cbranch_execz .LBB425_204
; %bb.184:
	s_movk_i32 s6, 0x80
	v_cmp_ne_u16_e32 vcc, s6, v1
	s_and_b64 s[6:7], vcc, exec
	s_andn2_saveexec_b64 s[2:3], s[2:3]
	s_cbranch_execnz .LBB425_205
.LBB425_185:
	s_or_b64 exec, exec, s[2:3]
	v_mov_b32_e32 v4, 0
	s_and_saveexec_b64 s[2:3], s[6:7]
	s_cbranch_execz .LBB425_187
.LBB425_186:
	v_lshlrev_b32_e32 v4, 24, v1
	v_and_b32_e32 v1, 0xffff, v1
	v_and_b32_e32 v5, 3, v1
	v_ffbh_u32_e32 v7, v5
	v_min_u32_e32 v7, 32, v7
	v_subrev_u32_e32 v8, 29, v7
	v_bfe_u32 v6, v1, 2, 5
	v_lshlrev_b32_e32 v1, v8, v1
	v_sub_u32_e32 v7, 30, v7
	v_and_b32_e32 v1, 3, v1
	v_cmp_eq_u32_e32 vcc, 0, v6
	v_and_b32_e32 v4, 0x80000000, v4
	s_mov_b32 s6, 0x2f800000
	v_cndmask_b32_e32 v6, v6, v7, vcc
	v_cndmask_b32_e32 v1, v5, v1, vcc
	v_mov_b32_e32 v5, 0x37800000
	v_lshlrev_b32_e32 v1, 21, v1
	v_lshl_add_u32 v5, v6, 23, v5
	v_or3_b32 v1, v4, v5, v1
	v_trunc_f32_e32 v1, v1
	v_mul_f32_e64 v4, |v1|, s6
	v_floor_f32_e32 v4, v4
	s_mov_b32 s6, 0xcf800000
	v_fma_f32 v4, v4, s6, |v1|
	v_cvt_u32_f32_e32 v4, v4
	v_ashrrev_i32_e32 v1, 31, v1
	v_xor_b32_e32 v4, v4, v1
	v_sub_u32_e32 v4, v4, v1
.LBB425_187:
	s_or_b64 exec, exec, s[2:3]
	s_mov_b64 s[2:3], 0
	s_branch .LBB425_193
.LBB425_188:
	s_mov_b64 s[6:7], -1
                                        ; implicit-def: $vgpr4
	s_branch .LBB425_199
.LBB425_189:
	s_andn2_saveexec_b64 s[2:3], s[2:3]
	s_cbranch_execz .LBB425_175
.LBB425_190:
	v_cmp_ne_u16_e32 vcc, 0, v1
	s_andn2_b64 s[6:7], s[6:7], exec
	s_and_b64 s[10:11], vcc, exec
	s_or_b64 s[6:7], s[6:7], s[10:11]
	s_or_b64 exec, exec, s[2:3]
	v_mov_b32_e32 v4, 0
	s_and_saveexec_b64 s[2:3], s[6:7]
	s_cbranch_execnz .LBB425_176
	s_branch .LBB425_177
.LBB425_191:
	s_mov_b64 s[2:3], -1
                                        ; implicit-def: $vgpr4
	s_branch .LBB425_196
.LBB425_192:
	s_mov_b64 s[2:3], -1
                                        ; implicit-def: $vgpr4
.LBB425_193:
	s_and_b64 vcc, exec, s[2:3]
	s_cbranch_vccz .LBB425_195
; %bb.194:
	global_load_ubyte v1, v[2:3], off
	s_mov_b32 s2, 0x7f800000
	s_brev_b32 s3, 1
	s_mov_b32 s6, 0x2f800000
	s_waitcnt vmcnt(0)
	v_lshlrev_b32_e32 v1, 24, v1
	v_and_b32_e32 v4, 0x7f000000, v1
	v_ffbh_u32_e32 v5, v4
	v_min_u32_e32 v5, 32, v5
	v_sub_u32_e64 v5, v5, 4 clamp
	v_lshlrev_b32_e32 v7, v5, v4
	v_lshlrev_b32_e32 v5, 23, v5
	v_lshrrev_b32_e32 v7, 4, v7
	v_add_u32_e32 v6, 0x1000000, v4
	v_sub_u32_e32 v5, v7, v5
	v_ashrrev_i32_e32 v6, 8, v6
	v_add_u32_e32 v5, 0x3c000000, v5
	v_and_or_b32 v5, v6, s2, v5
	v_cmp_ne_u32_e32 vcc, 0, v4
	s_mov_b32 s2, 0xcf800000
	s_nop 0
	v_cndmask_b32_e32 v4, 0, v5, vcc
	v_and_or_b32 v1, v1, s3, v4
	v_trunc_f32_e32 v1, v1
	v_mul_f32_e64 v4, |v1|, s6
	v_floor_f32_e32 v4, v4
	v_fma_f32 v4, v4, s2, |v1|
	v_cvt_u32_f32_e32 v4, v4
	v_ashrrev_i32_e32 v1, 31, v1
	v_xor_b32_e32 v4, v4, v1
	v_sub_u32_e32 v4, v4, v1
.LBB425_195:
	s_mov_b64 s[2:3], 0
.LBB425_196:
	s_andn2_b64 vcc, exec, s[2:3]
	s_cbranch_vccnz .LBB425_198
; %bb.197:
	global_load_ubyte v1, v[2:3], off
	s_movk_i32 s2, 0x7f00
	s_brev_b32 s3, 16
	s_brev_b32 s6, 1
	s_mov_b32 s7, 0x2f800000
	s_waitcnt vmcnt(0)
	v_lshlrev_b16_e32 v4, 8, v1
	v_lshlrev_b32_e32 v1, 25, v1
	v_lshrrev_b32_e32 v5, 4, v1
	v_and_or_b32 v6, v4, s2, 0.5
	v_or_b32_e32 v5, 0x70000000, v5
	v_add_f32_e32 v6, -0.5, v6
	v_mul_f32_e32 v5, 0x7800000, v5
	v_cmp_gt_u32_e32 vcc, s3, v1
	v_bfe_i32 v4, v4, 0, 16
	s_mov_b32 s2, 0xcf800000
	v_cndmask_b32_e32 v1, v5, v6, vcc
	v_and_or_b32 v1, v4, s6, v1
	v_trunc_f32_e32 v1, v1
	v_mul_f32_e64 v4, |v1|, s7
	v_floor_f32_e32 v4, v4
	v_fma_f32 v4, v4, s2, |v1|
	v_cvt_u32_f32_e32 v4, v4
	v_ashrrev_i32_e32 v1, 31, v1
	v_xor_b32_e32 v4, v4, v1
	v_sub_u32_e32 v4, v4, v1
.LBB425_198:
	s_mov_b64 s[6:7], 0
	s_mov_b64 s[2:3], -1
.LBB425_199:
	s_andn2_b64 vcc, exec, s[6:7]
	s_cbranch_vccnz .LBB425_212
; %bb.200:
	s_cmp_gt_i32 s9, 14
	s_cbranch_scc0 .LBB425_203
; %bb.201:
	s_cmp_eq_u32 s9, 15
	s_cbranch_scc0 .LBB425_206
; %bb.202:
	global_load_ushort v1, v[2:3], off
	s_mov_b32 s2, 0x2f800000
	s_mov_b32 s3, 0xcf800000
	s_mov_b64 s[4:5], 0
	s_waitcnt vmcnt(0)
	v_lshlrev_b32_e32 v1, 16, v1
	v_trunc_f32_e32 v1, v1
	v_mul_f32_e64 v4, |v1|, s2
	v_floor_f32_e32 v4, v4
	v_fma_f32 v4, v4, s3, |v1|
	v_cvt_u32_f32_e32 v4, v4
	v_ashrrev_i32_e32 v1, 31, v1
	s_mov_b64 s[2:3], -1
	v_xor_b32_e32 v4, v4, v1
	v_sub_u32_e32 v4, v4, v1
	s_branch .LBB425_207
.LBB425_203:
	s_mov_b64 s[6:7], -1
                                        ; implicit-def: $vgpr4
	s_branch .LBB425_208
.LBB425_204:
	s_andn2_saveexec_b64 s[2:3], s[2:3]
	s_cbranch_execz .LBB425_185
.LBB425_205:
	v_cmp_ne_u16_e32 vcc, 0, v1
	s_andn2_b64 s[6:7], s[6:7], exec
	s_and_b64 s[10:11], vcc, exec
	s_or_b64 s[6:7], s[6:7], s[10:11]
	s_or_b64 exec, exec, s[2:3]
	v_mov_b32_e32 v4, 0
	s_and_saveexec_b64 s[2:3], s[6:7]
	s_cbranch_execnz .LBB425_186
	s_branch .LBB425_187
.LBB425_206:
	s_mov_b64 s[4:5], -1
                                        ; implicit-def: $vgpr4
.LBB425_207:
	s_mov_b64 s[6:7], 0
.LBB425_208:
	s_and_b64 vcc, exec, s[6:7]
	s_cbranch_vccz .LBB425_212
; %bb.209:
	s_cmp_eq_u32 s9, 11
	s_cbranch_scc0 .LBB425_211
; %bb.210:
	global_load_ubyte v1, v[2:3], off
	s_mov_b64 s[2:3], -1
	s_mov_b64 s[4:5], 0
	s_waitcnt vmcnt(0)
	v_cmp_ne_u16_e32 vcc, 0, v1
	s_nop 1
	v_cndmask_b32_e64 v4, 0, 1, vcc
	s_branch .LBB425_212
.LBB425_211:
	s_mov_b64 s[4:5], -1
                                        ; implicit-def: $vgpr4
.LBB425_212:
	s_branch .LBB425_25
.LBB425_213:
	s_and_b32 s6, 0xffff, s8
	s_cmp_lt_i32 s6, 5
	s_cbranch_scc1 .LBB425_218
; %bb.214:
	s_cmp_lt_i32 s6, 8
	s_cbranch_scc1 .LBB425_219
; %bb.215:
	;; [unrolled: 3-line block ×3, first 2 shown]
	s_cmp_gt_i32 s6, 9
	s_cbranch_scc0 .LBB425_221
; %bb.217:
	global_load_dwordx2 v[4:5], v[2:3], off
	s_movk_i32 s2, 0xffe0
	s_waitcnt vmcnt(0)
	v_trunc_f64_e32 v[4:5], v[4:5]
	v_ldexp_f64 v[6:7], v[4:5], s2
	v_floor_f64_e32 v[6:7], v[6:7]
	v_fmac_f64_e32 v[4:5], 0xc1f00000, v[6:7]
	v_cvt_u32_f64_e32 v4, v[4:5]
	s_mov_b64 s[2:3], 0
	s_branch .LBB425_222
.LBB425_218:
                                        ; implicit-def: $vgpr4
	s_branch .LBB425_240
.LBB425_219:
	s_mov_b64 s[2:3], -1
                                        ; implicit-def: $vgpr4
	s_branch .LBB425_228
.LBB425_220:
	s_mov_b64 s[2:3], -1
                                        ; implicit-def: $vgpr4
	s_branch .LBB425_225
.LBB425_221:
	s_mov_b64 s[2:3], -1
                                        ; implicit-def: $vgpr4
.LBB425_222:
	s_andn2_b64 vcc, exec, s[2:3]
	s_cbranch_vccnz .LBB425_224
; %bb.223:
	global_load_dword v1, v[2:3], off
	s_mov_b32 s2, 0x2f800000
	s_waitcnt vmcnt(0)
	v_trunc_f32_e32 v1, v1
	v_mul_f32_e64 v4, |v1|, s2
	v_floor_f32_e32 v4, v4
	s_mov_b32 s2, 0xcf800000
	v_fma_f32 v4, v4, s2, |v1|
	v_cvt_u32_f32_e32 v4, v4
	v_ashrrev_i32_e32 v1, 31, v1
	v_xor_b32_e32 v4, v4, v1
	v_sub_u32_e32 v4, v4, v1
.LBB425_224:
	s_mov_b64 s[2:3], 0
.LBB425_225:
	s_andn2_b64 vcc, exec, s[2:3]
	s_cbranch_vccnz .LBB425_227
; %bb.226:
	global_load_dword v1, v[2:3], off
	s_waitcnt vmcnt(0)
	v_cvt_f32_f16_e32 v1, v1
	v_cvt_i32_f32_e32 v4, v1
.LBB425_227:
	s_mov_b64 s[2:3], 0
.LBB425_228:
	s_andn2_b64 vcc, exec, s[2:3]
	s_cbranch_vccnz .LBB425_239
; %bb.229:
	s_cmp_lt_i32 s6, 6
	s_cbranch_scc1 .LBB425_232
; %bb.230:
	s_cmp_gt_i32 s6, 6
	s_cbranch_scc0 .LBB425_233
; %bb.231:
	global_load_dwordx2 v[4:5], v[2:3], off
	s_movk_i32 s2, 0xffe0
	s_waitcnt vmcnt(0)
	v_trunc_f64_e32 v[4:5], v[4:5]
	v_ldexp_f64 v[6:7], v[4:5], s2
	v_floor_f64_e32 v[6:7], v[6:7]
	v_fmac_f64_e32 v[4:5], 0xc1f00000, v[6:7]
	v_cvt_u32_f64_e32 v4, v[4:5]
	s_mov_b64 s[2:3], 0
	s_branch .LBB425_234
.LBB425_232:
	s_mov_b64 s[2:3], -1
                                        ; implicit-def: $vgpr4
	s_branch .LBB425_237
.LBB425_233:
	s_mov_b64 s[2:3], -1
                                        ; implicit-def: $vgpr4
.LBB425_234:
	s_andn2_b64 vcc, exec, s[2:3]
	s_cbranch_vccnz .LBB425_236
; %bb.235:
	global_load_dword v1, v[2:3], off
	s_mov_b32 s2, 0x2f800000
	s_waitcnt vmcnt(0)
	v_trunc_f32_e32 v1, v1
	v_mul_f32_e64 v4, |v1|, s2
	v_floor_f32_e32 v4, v4
	s_mov_b32 s2, 0xcf800000
	v_fma_f32 v4, v4, s2, |v1|
	v_cvt_u32_f32_e32 v4, v4
	v_ashrrev_i32_e32 v1, 31, v1
	v_xor_b32_e32 v4, v4, v1
	v_sub_u32_e32 v4, v4, v1
.LBB425_236:
	s_mov_b64 s[2:3], 0
.LBB425_237:
	s_andn2_b64 vcc, exec, s[2:3]
	s_cbranch_vccnz .LBB425_239
; %bb.238:
	global_load_ushort v1, v[2:3], off
	s_waitcnt vmcnt(0)
	v_cvt_f32_f16_e32 v1, v1
	v_cvt_i32_f32_e32 v4, v1
.LBB425_239:
	s_cbranch_execnz .LBB425_259
.LBB425_240:
	s_cmp_lt_i32 s6, 2
	s_cbranch_scc1 .LBB425_244
; %bb.241:
	s_cmp_lt_i32 s6, 3
	s_cbranch_scc1 .LBB425_245
; %bb.242:
	s_cmp_gt_i32 s6, 3
	s_cbranch_scc0 .LBB425_246
; %bb.243:
	global_load_dwordx2 v[4:5], v[2:3], off
	s_mov_b64 s[2:3], 0
	s_branch .LBB425_247
.LBB425_244:
	s_mov_b64 s[2:3], -1
                                        ; implicit-def: $vgpr4
	s_branch .LBB425_253
.LBB425_245:
	s_mov_b64 s[2:3], -1
                                        ; implicit-def: $vgpr4
	s_branch .LBB425_250
.LBB425_246:
	s_mov_b64 s[2:3], -1
                                        ; implicit-def: $vgpr4
.LBB425_247:
	s_andn2_b64 vcc, exec, s[2:3]
	s_cbranch_vccnz .LBB425_249
; %bb.248:
	global_load_dword v4, v[2:3], off
.LBB425_249:
	s_mov_b64 s[2:3], 0
.LBB425_250:
	s_andn2_b64 vcc, exec, s[2:3]
	s_cbranch_vccnz .LBB425_252
; %bb.251:
	global_load_ushort v4, v[2:3], off
.LBB425_252:
	s_mov_b64 s[2:3], 0
.LBB425_253:
	s_andn2_b64 vcc, exec, s[2:3]
	s_cbranch_vccnz .LBB425_259
; %bb.254:
	s_cmp_gt_i32 s6, 0
	s_cbranch_scc0 .LBB425_256
; %bb.255:
	global_load_ubyte v4, v[2:3], off
	s_mov_b64 s[2:3], 0
	s_branch .LBB425_257
.LBB425_256:
	s_mov_b64 s[2:3], -1
                                        ; implicit-def: $vgpr4
.LBB425_257:
	s_andn2_b64 vcc, exec, s[2:3]
	s_cbranch_vccnz .LBB425_259
; %bb.258:
	global_load_ubyte v4, v[2:3], off
.LBB425_259:
	s_branch .LBB425_26
.LBB425_260:
	s_mov_b64 s[2:3], 0
.LBB425_261:
	s_mov_b64 s[6:7], 0
                                        ; implicit-def: $vgpr12
.LBB425_262:
	s_and_b64 s[54:55], s[2:3], exec
	s_and_b64 s[56:57], s[4:5], exec
	s_orn2_b64 s[4:5], s[6:7], exec
.LBB425_263:
	s_or_b64 exec, exec, s[58:59]
	s_mov_b64 s[8:9], 0
	s_mov_b64 s[2:3], 0
                                        ; implicit-def: $sgpr14
                                        ; implicit-def: $vgpr2_vgpr3
                                        ; implicit-def: $vgpr0
                                        ; implicit-def: $vgpr6
	s_and_saveexec_b64 s[58:59], s[4:5]
	s_cbranch_execz .LBB425_271
; %bb.264:
	v_cmp_gt_i32_e32 vcc, s70, v12
	s_mov_b64 s[2:3], -1
	s_mov_b64 s[60:61], s[56:57]
	s_mov_b64 s[62:63], s[54:55]
	s_and_saveexec_b64 s[64:65], vcc
	s_cbranch_execz .LBB425_536
; %bb.265:
	s_andn2_b64 vcc, exec, s[42:43]
	s_cbranch_vccnz .LBB425_274
; %bb.266:
	s_andn2_b64 vcc, exec, s[52:53]
	s_cbranch_vccnz .LBB425_275
; %bb.267:
	s_add_i32 s63, s76, 1
	s_cmp_eq_u32 s72, 2
	s_cbranch_scc1 .LBB425_276
; %bb.268:
	s_and_b32 s62, s63, 28
	s_mov_b32 s66, 0
	v_mov_b32_e32 v0, 0
	v_mov_b32_e32 v2, 0
	s_mov_b64 s[2:3], s[34:35]
	s_mov_b64 s[60:61], s[50:51]
	s_waitcnt vmcnt(0)
	v_mov_b32_e32 v4, v12
.LBB425_269:                            ; =>This Inner Loop Header: Depth=1
	s_load_dwordx8 s[12:19], s[2:3], 0x4
	s_load_dwordx4 s[36:39], s[2:3], 0x24
	s_load_dwordx8 s[4:11], s[60:61], 0x0
	s_add_u32 s2, s2, 48
	s_addc_u32 s3, s3, 0
	s_waitcnt lgkmcnt(0)
	v_mul_hi_u32 v1, s13, v4
	v_add_u32_e32 v1, v4, v1
	v_lshrrev_b32_e32 v1, s14, v1
	v_mul_lo_u32 v3, v1, s12
	v_mul_hi_u32 v5, s16, v1
	v_sub_u32_e32 v3, v4, v3
	v_add_u32_e32 v4, v1, v5
	v_lshrrev_b32_e32 v4, s17, v4
	v_mul_lo_u32 v6, v4, s15
	v_mul_hi_u32 v7, s19, v4
	v_sub_u32_e32 v1, v1, v6
	v_add_u32_e32 v6, v4, v7
	v_mul_lo_u32 v5, v3, s5
	v_mul_lo_u32 v3, v3, s4
	v_mul_lo_u32 v7, v1, s7
	v_mul_lo_u32 v1, v1, s6
	v_lshrrev_b32_e32 v6, s36, v6
	v_add3_u32 v0, v3, v0, v1
	v_mul_hi_u32 v3, s38, v6
	v_add3_u32 v1, v5, v2, v7
	v_mul_lo_u32 v2, v6, s18
	v_add_u32_e32 v3, v6, v3
	v_sub_u32_e32 v2, v4, v2
	v_lshrrev_b32_e32 v4, s39, v3
	s_add_i32 s66, s66, 4
	v_mul_lo_u32 v3, v4, s37
	s_add_u32 s60, s60, 32
	v_sub_u32_e32 v3, v6, v3
	s_addc_u32 s61, s61, 0
	v_mul_lo_u32 v5, v2, s8
	v_mul_lo_u32 v2, v2, s9
	;; [unrolled: 1-line block ×4, first 2 shown]
	s_cmp_eq_u32 s62, s66
	v_add3_u32 v2, v2, v1, v3
	v_add3_u32 v0, v5, v0, v6
	s_cbranch_scc0 .LBB425_269
; %bb.270:
	v_mov_b32_e32 v1, v2
	s_branch .LBB425_277
.LBB425_271:
	s_or_b64 exec, exec, s[58:59]
	s_mov_b64 s[4:5], 0
	s_and_saveexec_b64 s[6:7], s[56:57]
	s_cbranch_execnz .LBB425_906
.LBB425_272:
	s_or_b64 exec, exec, s[6:7]
	s_and_saveexec_b64 s[6:7], s[62:63]
	s_xor_b64 s[6:7], exec, s[6:7]
	s_cbranch_execz .LBB425_907
.LBB425_273:
	global_load_ubyte v1, v[2:3], off
	s_or_b64 s[2:3], s[2:3], exec
	s_waitcnt vmcnt(0)
	v_cmp_ne_u16_e32 vcc, 0, v1
	s_nop 1
	v_cndmask_b32_e64 v6, 0, 1, vcc
	s_or_b64 exec, exec, s[6:7]
	s_and_saveexec_b64 s[6:7], s[8:9]
	s_cbranch_execz .LBB425_953
	s_branch .LBB425_908
.LBB425_274:
                                        ; implicit-def: $vgpr2
                                        ; implicit-def: $vgpr0
	s_andn2_b64 vcc, exec, s[2:3]
	s_cbranch_vccz .LBB425_281
	s_branch .LBB425_283
.LBB425_275:
	v_mov_b32_e32 v2, 0
	v_mov_b32_e32 v0, 0
	s_branch .LBB425_280
.LBB425_276:
	v_mov_b32_e32 v0, 0
	s_mov_b32 s62, 0
	v_mov_b32_e32 v1, v0
                                        ; implicit-def: $vgpr2
	s_waitcnt vmcnt(0)
	v_mov_b32_e32 v4, v12
.LBB425_277:
	s_and_b32 s6, s63, 3
	s_cmp_eq_u32 s6, 0
	s_cbranch_scc1 .LBB425_280
; %bb.278:
	s_lshl_b32 s2, s62, 3
	s_add_u32 s2, s34, s2
	s_addc_u32 s3, s35, 0
	s_add_u32 s2, s2, 0xc4
	s_addc_u32 s3, s3, 0
	s_mul_i32 s4, s62, 12
	s_add_u32 s4, s34, s4
	s_addc_u32 s5, s35, 0
.LBB425_279:                            ; =>This Inner Loop Header: Depth=1
	s_load_dwordx2 s[8:9], s[4:5], 0x4
	s_load_dword s7, s[4:5], 0xc
	s_load_dwordx2 s[10:11], s[2:3], 0x0
	v_mov_b32_e32 v2, v1
	s_add_u32 s4, s4, 12
	s_waitcnt lgkmcnt(0)
	v_mul_hi_u32 v1, s9, v4
	v_add_u32_e32 v1, v4, v1
	v_lshrrev_b32_e32 v1, s7, v1
	s_addc_u32 s5, s5, 0
	v_mul_lo_u32 v3, v1, s8
	s_add_u32 s2, s2, 8
	v_sub_u32_e32 v5, v4, v3
	s_addc_u32 s3, s3, 0
	s_add_i32 s6, s6, -1
	v_mov_b32_e32 v4, v1
	v_mad_u64_u32 v[2:3], s[8:9], v5, s11, v[2:3]
	v_mad_u64_u32 v[0:1], s[8:9], v5, s10, v[0:1]
	s_cmp_lg_u32 s6, 0
	v_mov_b32_e32 v1, v2
	s_cbranch_scc1 .LBB425_279
.LBB425_280:
	s_cbranch_execnz .LBB425_283
.LBB425_281:
	v_mul_hi_u32 v0, s25, v12
	v_add_u32_e32 v0, v12, v0
	v_lshrrev_b32_e32 v1, s26, v0
	v_mul_lo_u32 v0, v1, s24
	v_sub_u32_e32 v0, v12, v0
	v_mul_lo_u32 v2, v0, s29
	s_andn2_b64 vcc, exec, s[48:49]
	v_mul_lo_u32 v0, v0, s28
	s_cbranch_vccnz .LBB425_283
; %bb.282:
	v_mul_hi_u32 v3, s46, v1
	v_add_u32_e32 v3, v1, v3
	v_lshrrev_b32_e32 v3, s47, v3
	v_mul_lo_u32 v3, v3, s27
	v_sub_u32_e32 v3, v1, v3
	v_mad_u64_u32 v[0:1], s[2:3], v3, s30, v[0:1]
	v_mad_u64_u32 v[2:3], s[2:3], v3, s31, v[2:3]
.LBB425_283:
	v_mov_b32_e32 v3, 0
	s_and_b32 s8, s75, 0xff
	s_cmp_lt_i32 s8, 11
	v_lshl_add_u64 v[2:3], s[22:23], 0, v[2:3]
	s_cbranch_scc1 .LBB425_290
; %bb.284:
	s_and_b32 s9, 0xffff, s8
	s_cmp_gt_i32 s9, 25
	s_cbranch_scc0 .LBB425_299
; %bb.285:
	s_cmp_gt_i32 s9, 28
	s_cbranch_scc0 .LBB425_301
; %bb.286:
	;; [unrolled: 3-line block ×4, first 2 shown]
	s_cmp_eq_u32 s9, 46
	s_mov_b64 s[6:7], 0
	s_cbranch_scc0 .LBB425_311
; %bb.289:
	global_load_dword v1, v[2:3], off
	s_mov_b32 s2, 0x2f800000
	s_mov_b32 s3, 0xcf800000
	s_mov_b64 s[4:5], 0
	s_waitcnt vmcnt(0)
	v_lshlrev_b32_e32 v1, 16, v1
	v_trunc_f32_e32 v1, v1
	v_mul_f32_e64 v4, |v1|, s2
	v_floor_f32_e32 v4, v4
	v_fma_f32 v4, v4, s3, |v1|
	v_cvt_u32_f32_e32 v4, v4
	v_ashrrev_i32_e32 v1, 31, v1
	s_mov_b64 s[2:3], -1
	v_xor_b32_e32 v4, v4, v1
	v_sub_u32_e32 v4, v4, v1
	s_branch .LBB425_312
.LBB425_290:
	s_mov_b64 s[2:3], 0
                                        ; implicit-def: $vgpr4
	s_mov_b64 s[4:5], s[56:57]
	s_cbranch_execnz .LBB425_485
.LBB425_291:
	s_andn2_b64 vcc, exec, s[2:3]
	s_cbranch_vccnz .LBB425_533
.LBB425_292:
	s_and_b32 s2, s74, 0xff
	v_mov_b32_e32 v1, 0
	s_and_b32 s12, s73, 0xff
	s_waitcnt vmcnt(0)
	v_min_u16_sdwa v2, v4, s2 dst_sel:DWORD dst_unused:UNUSED_PAD src0_sel:BYTE_0 src1_sel:DWORD
	s_cmp_lt_i32 s12, 11
	v_lshl_add_u64 v[0:1], s[20:21], 0, v[0:1]
	s_cbranch_scc1 .LBB425_300
; %bb.293:
	s_and_b32 s13, 0xffff, s12
	s_cmp_gt_i32 s13, 25
	s_cbranch_scc0 .LBB425_302
; %bb.294:
	s_cmp_gt_i32 s13, 28
	s_cbranch_scc0 .LBB425_304
; %bb.295:
	s_cmp_gt_i32 s13, 43
	s_cbranch_scc0 .LBB425_308
; %bb.296:
	s_cmp_gt_i32 s13, 45
	s_cbranch_scc0 .LBB425_315
; %bb.297:
	s_mov_b64 s[8:9], 0
	s_mov_b64 s[2:3], -1
	s_cmp_eq_u32 s13, 46
	s_mov_b64 s[6:7], 0
	s_cbranch_scc0 .LBB425_316
; %bb.298:
	v_cvt_f32_ubyte0_e32 v3, v2
	v_bfe_u32 v4, v3, 16, 1
	s_movk_i32 s2, 0x7fff
	v_add3_u32 v3, v3, v4, s2
	v_lshrrev_b32_e32 v3, 16, v3
	global_store_dword v[0:1], v3, off
	s_mov_b64 s[6:7], -1
	s_mov_b64 s[2:3], 0
	s_branch .LBB425_316
.LBB425_299:
	s_mov_b64 s[6:7], -1
	s_mov_b64 s[2:3], 0
	s_mov_b64 s[4:5], s[56:57]
                                        ; implicit-def: $vgpr4
	s_branch .LBB425_451
.LBB425_300:
	s_mov_b64 s[8:9], -1
	s_mov_b64 s[6:7], 0
	s_mov_b64 s[2:3], s[54:55]
	s_branch .LBB425_385
.LBB425_301:
	s_mov_b64 s[6:7], -1
	s_mov_b64 s[2:3], 0
	s_mov_b64 s[4:5], s[56:57]
                                        ; implicit-def: $vgpr4
	s_branch .LBB425_434
.LBB425_302:
	s_mov_b64 s[8:9], -1
	s_mov_b64 s[6:7], 0
	s_mov_b64 s[2:3], s[54:55]
	s_branch .LBB425_343
.LBB425_303:
	s_mov_b64 s[6:7], -1
	s_mov_b64 s[2:3], 0
	s_mov_b64 s[4:5], s[56:57]
                                        ; implicit-def: $vgpr4
	s_branch .LBB425_429
.LBB425_304:
	s_mov_b64 s[8:9], -1
	s_mov_b64 s[6:7], 0
	s_mov_b64 s[2:3], s[54:55]
	s_branch .LBB425_326
.LBB425_305:
	s_andn2_saveexec_b64 s[10:11], s[10:11]
	s_cbranch_execz .LBB425_69
.LBB425_306:
	v_add_f32_e32 v3, 0x46000000, v4
	v_and_b32_e32 v3, 0xff, v3
	v_cmp_ne_u32_e32 vcc, 0, v3
	s_andn2_b64 s[8:9], s[8:9], exec
	s_and_b64 s[14:15], vcc, exec
	s_or_b64 s[8:9], s[8:9], s[14:15]
	s_or_b64 exec, exec, s[10:11]
	v_mov_b32_e32 v5, 0
	s_and_saveexec_b64 s[10:11], s[8:9]
	s_cbranch_execnz .LBB425_70
	s_branch .LBB425_71
.LBB425_307:
	s_mov_b64 s[6:7], -1
	s_mov_b64 s[2:3], 0
	s_mov_b64 s[4:5], s[56:57]
                                        ; implicit-def: $vgpr4
	s_branch .LBB425_312
.LBB425_308:
	s_mov_b64 s[8:9], -1
	s_mov_b64 s[6:7], 0
	s_mov_b64 s[2:3], s[54:55]
	s_branch .LBB425_322
.LBB425_309:
	s_andn2_saveexec_b64 s[10:11], s[10:11]
	s_cbranch_execz .LBB425_82
.LBB425_310:
	v_add_f32_e32 v3, 0x42800000, v4
	v_and_b32_e32 v3, 0xff, v3
	v_cmp_ne_u32_e32 vcc, 0, v3
	s_andn2_b64 s[8:9], s[8:9], exec
	s_and_b64 s[14:15], vcc, exec
	s_or_b64 s[8:9], s[8:9], s[14:15]
	s_or_b64 exec, exec, s[10:11]
	v_mov_b32_e32 v5, 0
	s_and_saveexec_b64 s[10:11], s[8:9]
	s_cbranch_execnz .LBB425_83
	s_branch .LBB425_84
.LBB425_311:
	s_mov_b64 s[4:5], -1
                                        ; implicit-def: $vgpr4
	s_mov_b64 s[2:3], 0
.LBB425_312:
	s_and_b64 vcc, exec, s[6:7]
	s_cbranch_vccz .LBB425_428
; %bb.313:
	s_cmp_eq_u32 s9, 44
	s_cbranch_scc0 .LBB425_427
; %bb.314:
	global_load_ubyte v1, v[2:3], off
	s_mov_b32 s2, 0x2f800000
	s_mov_b32 s3, 0xcf800000
	s_mov_b64 s[4:5], 0
	s_waitcnt vmcnt(0)
	v_lshlrev_b32_e32 v4, 23, v1
	v_trunc_f32_e32 v4, v4
	v_mul_f32_e64 v5, |v4|, s2
	v_floor_f32_e32 v5, v5
	v_fma_f32 v5, v5, s3, |v4|
	v_cvt_u32_f32_e32 v5, v5
	v_ashrrev_i32_e32 v4, 31, v4
	v_cmp_ne_u32_e32 vcc, 0, v1
	s_mov_b64 s[2:3], -1
	v_xor_b32_e32 v5, v5, v4
	v_sub_u32_e32 v4, v5, v4
	v_cndmask_b32_e32 v4, 0, v4, vcc
	s_branch .LBB425_428
.LBB425_315:
	s_mov_b64 s[8:9], -1
	s_mov_b64 s[6:7], 0
	s_mov_b64 s[2:3], s[54:55]
.LBB425_316:
	s_and_b64 vcc, exec, s[8:9]
	s_cbranch_vccz .LBB425_321
; %bb.317:
	s_cmp_eq_u32 s13, 44
	s_mov_b64 s[2:3], -1
	s_cbranch_scc0 .LBB425_321
; %bb.318:
	v_cvt_f32_ubyte0_e32 v4, v2
	v_lshrrev_b32_e32 v3, 23, v4
	s_movk_i32 s2, 0xff
	v_cmp_ne_u32_e32 vcc, s2, v3
	v_mov_b32_e32 v5, 0xff
	s_and_saveexec_b64 s[6:7], vcc
; %bb.319:
	s_mov_b32 s2, 0x3fffff
	v_and_b32_e32 v5, 0x400000, v4
	v_and_or_b32 v4, v4, s2, v3
	v_cmp_ne_u32_e32 vcc, 0, v5
	v_cmp_ne_u32_e64 s[2:3], 0, v4
	s_and_b64 s[2:3], vcc, s[2:3]
	s_nop 0
	v_cndmask_b32_e64 v4, 0, 1, s[2:3]
	v_add_u32_e32 v5, v3, v4
; %bb.320:
	s_or_b64 exec, exec, s[6:7]
	s_mov_b64 s[6:7], -1
	s_mov_b64 s[2:3], 0
	global_store_byte v[0:1], v5, off
.LBB425_321:
	s_mov_b64 s[8:9], 0
.LBB425_322:
	s_and_b64 vcc, exec, s[8:9]
	s_cbranch_vccz .LBB425_325
; %bb.323:
	s_cmp_eq_u32 s13, 29
	s_mov_b64 s[2:3], -1
	s_cbranch_scc0 .LBB425_325
; %bb.324:
	s_mov_b32 s2, 0
	v_mov_b32_e32 v3, s2
	global_store_dwordx2 v[0:1], v[2:3], off
	s_mov_b64 s[6:7], -1
	s_mov_b64 s[2:3], 0
.LBB425_325:
	s_mov_b64 s[8:9], 0
.LBB425_326:
	s_and_b64 vcc, exec, s[8:9]
	s_cbranch_vccz .LBB425_342
; %bb.327:
	s_cmp_lt_i32 s13, 27
	s_mov_b64 s[6:7], -1
	s_cbranch_scc1 .LBB425_333
; %bb.328:
	s_cmp_gt_i32 s13, 27
	s_cbranch_scc0 .LBB425_330
; %bb.329:
	s_mov_b64 s[6:7], 0
	global_store_dword v[0:1], v2, off
.LBB425_330:
	s_andn2_b64 vcc, exec, s[6:7]
	s_cbranch_vccnz .LBB425_332
; %bb.331:
	global_store_short v[0:1], v2, off
.LBB425_332:
	s_mov_b64 s[6:7], 0
.LBB425_333:
	s_andn2_b64 vcc, exec, s[6:7]
	s_cbranch_vccnz .LBB425_341
; %bb.334:
	v_cvt_f32_ubyte0_e32 v4, v2
	s_mov_b32 s6, 0x43800000
	v_cmp_gt_u32_e32 vcc, s6, v4
	v_mov_b32_e32 v5, 0x80
	s_and_saveexec_b64 s[6:7], vcc
	s_cbranch_execz .LBB425_340
; %bb.335:
	s_mov_b32 s8, 0x3bffffff
	v_cmp_lt_u32_e32 vcc, s8, v4
	s_mov_b64 s[8:9], 0
                                        ; implicit-def: $vgpr3
	s_and_saveexec_b64 s[10:11], vcc
	s_xor_b64 s[10:11], exec, s[10:11]
	s_cbranch_execz .LBB425_565
; %bb.336:
	v_bfe_u32 v3, v4, 20, 1
	s_mov_b32 s14, 0x487ffff
	v_add3_u32 v3, v4, v3, s14
	s_mov_b64 s[8:9], exec
	v_lshrrev_b32_e32 v3, 20, v3
                                        ; implicit-def: $vgpr4
	s_andn2_saveexec_b64 s[10:11], s[10:11]
	s_cbranch_execnz .LBB425_566
.LBB425_337:
	s_or_b64 exec, exec, s[10:11]
	v_mov_b32_e32 v5, 0
	s_and_saveexec_b64 s[10:11], s[8:9]
.LBB425_338:
	v_mov_b32_e32 v5, v3
.LBB425_339:
	s_or_b64 exec, exec, s[10:11]
.LBB425_340:
	s_or_b64 exec, exec, s[6:7]
	global_store_byte v[0:1], v5, off
.LBB425_341:
	s_mov_b64 s[6:7], -1
.LBB425_342:
	s_mov_b64 s[8:9], 0
.LBB425_343:
	s_and_b64 vcc, exec, s[8:9]
	s_cbranch_vccz .LBB425_384
; %bb.344:
	s_cmp_gt_i32 s13, 22
	s_mov_b64 s[8:9], -1
	s_cbranch_scc0 .LBB425_376
; %bb.345:
	s_cmp_lt_i32 s13, 24
	s_mov_b64 s[6:7], -1
	s_cbranch_scc1 .LBB425_365
; %bb.346:
	s_cmp_gt_i32 s13, 24
	s_cbranch_scc0 .LBB425_354
; %bb.347:
	v_cvt_f32_ubyte0_e32 v4, v2
	s_mov_b32 s6, 0x47800000
	v_cmp_gt_u32_e32 vcc, s6, v4
	v_mov_b32_e32 v5, 0x80
	s_and_saveexec_b64 s[6:7], vcc
	s_cbranch_execz .LBB425_353
; %bb.348:
	s_mov_b32 s8, 0x37ffffff
	v_cmp_lt_u32_e32 vcc, s8, v4
	s_mov_b64 s[8:9], 0
                                        ; implicit-def: $vgpr3
	s_and_saveexec_b64 s[10:11], vcc
	s_xor_b64 s[10:11], exec, s[10:11]
	s_cbranch_execz .LBB425_568
; %bb.349:
	v_bfe_u32 v3, v4, 21, 1
	s_mov_b32 s14, 0x88fffff
	v_add3_u32 v3, v4, v3, s14
	s_mov_b64 s[8:9], exec
	v_lshrrev_b32_e32 v3, 21, v3
                                        ; implicit-def: $vgpr4
	s_andn2_saveexec_b64 s[10:11], s[10:11]
	s_cbranch_execnz .LBB425_569
.LBB425_350:
	s_or_b64 exec, exec, s[10:11]
	v_mov_b32_e32 v5, 0
	s_and_saveexec_b64 s[10:11], s[8:9]
.LBB425_351:
	v_mov_b32_e32 v5, v3
.LBB425_352:
	s_or_b64 exec, exec, s[10:11]
.LBB425_353:
	s_or_b64 exec, exec, s[6:7]
	s_mov_b64 s[6:7], 0
	global_store_byte v[0:1], v5, off
.LBB425_354:
	s_and_b64 vcc, exec, s[6:7]
	s_cbranch_vccz .LBB425_364
; %bb.355:
	v_cvt_f32_ubyte0_e32 v3, v2
	s_mov_b32 s6, 0x43f00000
	v_cmp_gt_u32_e32 vcc, s6, v3
                                        ; implicit-def: $vgpr4
	s_and_saveexec_b64 s[6:7], vcc
	s_xor_b64 s[6:7], exec, s[6:7]
	s_cbranch_execz .LBB425_361
; %bb.356:
	s_mov_b32 s8, 0x3c7fffff
	v_cmp_lt_u32_e32 vcc, s8, v3
                                        ; implicit-def: $vgpr4
	s_and_saveexec_b64 s[8:9], vcc
	s_xor_b64 s[8:9], exec, s[8:9]
; %bb.357:
	v_bfe_u32 v4, v3, 20, 1
	s_mov_b32 s10, 0x407ffff
	v_add3_u32 v3, v3, v4, s10
	v_lshrrev_b32_e32 v4, 20, v3
	v_and_b32_e32 v3, 0xff00000, v3
	s_mov_b32 s10, 0x7f00000
	v_mov_b32_e32 v5, 0x7e
	v_cmp_ne_u32_e32 vcc, s10, v3
                                        ; implicit-def: $vgpr3
	s_nop 1
	v_cndmask_b32_e32 v4, v5, v4, vcc
; %bb.358:
	s_andn2_saveexec_b64 s[8:9], s[8:9]
; %bb.359:
	v_add_f32_e32 v4, 0x46800000, v3
; %bb.360:
	s_or_b64 exec, exec, s[8:9]
                                        ; implicit-def: $vgpr3
.LBB425_361:
	s_andn2_saveexec_b64 s[6:7], s[6:7]
; %bb.362:
	s_mov_b32 s8, 0x7f800000
	v_mov_b32_e32 v4, 0x7e
	v_mov_b32_e32 v5, 0x7f
	v_cmp_lt_u32_e32 vcc, s8, v3
	s_nop 1
	v_cndmask_b32_e32 v4, v4, v5, vcc
; %bb.363:
	s_or_b64 exec, exec, s[6:7]
	global_store_byte v[0:1], v4, off
.LBB425_364:
	s_mov_b64 s[6:7], 0
.LBB425_365:
	s_andn2_b64 vcc, exec, s[6:7]
	s_cbranch_vccnz .LBB425_375
; %bb.366:
	v_cvt_f32_ubyte0_e32 v3, v2
	s_mov_b32 s6, 0x47800000
	v_cmp_gt_u32_e32 vcc, s6, v3
                                        ; implicit-def: $vgpr4
	s_and_saveexec_b64 s[6:7], vcc
	s_xor_b64 s[6:7], exec, s[6:7]
	s_cbranch_execz .LBB425_372
; %bb.367:
	s_mov_b32 s8, 0x387fffff
	v_cmp_lt_u32_e32 vcc, s8, v3
                                        ; implicit-def: $vgpr4
	s_and_saveexec_b64 s[8:9], vcc
	s_xor_b64 s[8:9], exec, s[8:9]
; %bb.368:
	v_bfe_u32 v4, v3, 21, 1
	s_mov_b32 s10, 0x80fffff
	v_add3_u32 v3, v3, v4, s10
	v_lshrrev_b32_e32 v4, 21, v3
                                        ; implicit-def: $vgpr3
; %bb.369:
	s_andn2_saveexec_b64 s[8:9], s[8:9]
; %bb.370:
	v_add_f32_e32 v4, 0x43000000, v3
; %bb.371:
	s_or_b64 exec, exec, s[8:9]
                                        ; implicit-def: $vgpr3
.LBB425_372:
	s_andn2_saveexec_b64 s[6:7], s[6:7]
; %bb.373:
	s_mov_b32 s8, 0x7f800000
	v_mov_b32_e32 v4, 0x7c
	v_mov_b32_e32 v5, 0x7f
	v_cmp_lt_u32_e32 vcc, s8, v3
	s_nop 1
	v_cndmask_b32_e32 v4, v4, v5, vcc
; %bb.374:
	s_or_b64 exec, exec, s[6:7]
	global_store_byte v[0:1], v4, off
.LBB425_375:
	s_mov_b64 s[8:9], 0
	s_mov_b64 s[6:7], -1
.LBB425_376:
	s_andn2_b64 vcc, exec, s[8:9]
	s_cbranch_vccnz .LBB425_384
; %bb.377:
	s_cmp_gt_i32 s13, 14
	s_mov_b64 s[8:9], -1
	s_cbranch_scc0 .LBB425_381
; %bb.378:
	s_cmp_eq_u32 s13, 15
	s_mov_b64 s[2:3], -1
	s_cbranch_scc0 .LBB425_380
; %bb.379:
	v_cvt_f32_ubyte0_e32 v3, v2
	v_bfe_u32 v4, v3, 16, 1
	s_movk_i32 s2, 0x7fff
	v_add3_u32 v3, v3, v4, s2
	global_store_short_d16_hi v[0:1], v3, off
	s_mov_b64 s[6:7], -1
	s_mov_b64 s[2:3], 0
.LBB425_380:
	s_mov_b64 s[8:9], 0
.LBB425_381:
	s_and_b64 vcc, exec, s[8:9]
	s_cbranch_vccz .LBB425_384
; %bb.382:
	s_cmp_eq_u32 s13, 11
	s_mov_b64 s[2:3], -1
	s_cbranch_scc0 .LBB425_384
; %bb.383:
	v_cmp_ne_u16_e32 vcc, 0, v2
	s_mov_b64 s[6:7], -1
	s_mov_b64 s[2:3], 0
	v_cndmask_b32_e64 v3, 0, 1, vcc
	global_store_byte v[0:1], v3, off
.LBB425_384:
	s_mov_b64 s[8:9], 0
.LBB425_385:
	s_and_b64 vcc, exec, s[8:9]
	s_cbranch_vccz .LBB425_424
; %bb.386:
	s_and_b32 s8, 0xffff, s12
	s_cmp_lt_i32 s8, 5
	s_mov_b64 s[6:7], -1
	s_cbranch_scc1 .LBB425_407
; %bb.387:
	s_cmp_lt_i32 s8, 8
	s_cbranch_scc1 .LBB425_397
; %bb.388:
	s_cmp_lt_i32 s8, 9
	s_cbranch_scc1 .LBB425_394
; %bb.389:
	s_cmp_gt_i32 s8, 9
	s_cbranch_scc0 .LBB425_391
; %bb.390:
	v_mov_b32_e32 v6, 0
	v_cvt_f64_u32_e32 v[4:5], v2
	v_mov_b32_e32 v7, v6
	s_mov_b64 s[6:7], 0
	global_store_dwordx4 v[0:1], v[4:7], off
.LBB425_391:
	s_andn2_b64 vcc, exec, s[6:7]
	s_cbranch_vccnz .LBB425_393
; %bb.392:
	v_cvt_f32_ubyte0_e32 v4, v2
	v_mov_b32_e32 v5, 0
	global_store_dwordx2 v[0:1], v[4:5], off
.LBB425_393:
	s_mov_b64 s[6:7], 0
.LBB425_394:
	s_andn2_b64 vcc, exec, s[6:7]
	s_cbranch_vccnz .LBB425_396
; %bb.395:
	v_cvt_f16_u16_e32 v3, v2
	global_store_dword v[0:1], v3, off
.LBB425_396:
	s_mov_b64 s[6:7], 0
.LBB425_397:
	s_andn2_b64 vcc, exec, s[6:7]
	s_cbranch_vccnz .LBB425_406
; %bb.398:
	s_cmp_lt_i32 s8, 6
	s_mov_b64 s[6:7], -1
	s_cbranch_scc1 .LBB425_404
; %bb.399:
	s_cmp_gt_i32 s8, 6
	s_cbranch_scc0 .LBB425_401
; %bb.400:
	v_cvt_f64_u32_e32 v[4:5], v2
	s_mov_b64 s[6:7], 0
	global_store_dwordx2 v[0:1], v[4:5], off
.LBB425_401:
	s_andn2_b64 vcc, exec, s[6:7]
	s_cbranch_vccnz .LBB425_403
; %bb.402:
	v_cvt_f32_ubyte0_e32 v3, v2
	global_store_dword v[0:1], v3, off
.LBB425_403:
	s_mov_b64 s[6:7], 0
.LBB425_404:
	s_andn2_b64 vcc, exec, s[6:7]
	s_cbranch_vccnz .LBB425_406
; %bb.405:
	v_cvt_f16_u16_e32 v3, v2
	global_store_short v[0:1], v3, off
.LBB425_406:
	s_mov_b64 s[6:7], 0
.LBB425_407:
	s_andn2_b64 vcc, exec, s[6:7]
	s_cbranch_vccnz .LBB425_423
; %bb.408:
	s_cmp_lt_i32 s8, 2
	s_mov_b64 s[6:7], -1
	s_cbranch_scc1 .LBB425_418
; %bb.409:
	s_cmp_lt_i32 s8, 3
	s_cbranch_scc1 .LBB425_415
; %bb.410:
	s_cmp_gt_i32 s8, 3
	s_cbranch_scc0 .LBB425_412
; %bb.411:
	s_mov_b32 s6, 0
	v_mov_b32_e32 v3, s6
	s_mov_b64 s[6:7], 0
	global_store_dwordx2 v[0:1], v[2:3], off
.LBB425_412:
	s_andn2_b64 vcc, exec, s[6:7]
	s_cbranch_vccnz .LBB425_414
; %bb.413:
	global_store_dword v[0:1], v2, off
.LBB425_414:
	s_mov_b64 s[6:7], 0
.LBB425_415:
	s_andn2_b64 vcc, exec, s[6:7]
	s_cbranch_vccnz .LBB425_417
; %bb.416:
	global_store_short v[0:1], v2, off
.LBB425_417:
	s_mov_b64 s[6:7], 0
.LBB425_418:
	s_andn2_b64 vcc, exec, s[6:7]
	s_cbranch_vccnz .LBB425_423
; %bb.419:
	s_cmp_gt_i32 s8, 0
	s_mov_b64 s[6:7], -1
	s_cbranch_scc0 .LBB425_421
; %bb.420:
	s_mov_b64 s[6:7], 0
	global_store_byte v[0:1], v2, off
.LBB425_421:
	s_andn2_b64 vcc, exec, s[6:7]
	s_cbranch_vccnz .LBB425_423
; %bb.422:
	global_store_byte v[0:1], v2, off
.LBB425_423:
	s_mov_b64 s[6:7], -1
.LBB425_424:
	s_andn2_b64 vcc, exec, s[6:7]
	s_cbranch_vccnz .LBB425_426
; %bb.425:
	v_add_u32_e32 v12, 0x80, v12
	s_mov_b64 s[6:7], -1
	s_branch .LBB425_535
.LBB425_426:
	s_mov_b64 s[6:7], 0
	s_branch .LBB425_534
.LBB425_427:
	s_mov_b64 s[4:5], -1
                                        ; implicit-def: $vgpr4
.LBB425_428:
	s_mov_b64 s[6:7], 0
.LBB425_429:
	s_and_b64 vcc, exec, s[6:7]
	s_cbranch_vccz .LBB425_433
; %bb.430:
	s_cmp_eq_u32 s9, 29
	s_cbranch_scc0 .LBB425_432
; %bb.431:
	global_load_dwordx2 v[4:5], v[2:3], off
	s_mov_b64 s[2:3], -1
	s_mov_b64 s[4:5], 0
	s_branch .LBB425_433
.LBB425_432:
	s_mov_b64 s[4:5], -1
                                        ; implicit-def: $vgpr4
.LBB425_433:
	s_mov_b64 s[6:7], 0
.LBB425_434:
	s_and_b64 vcc, exec, s[6:7]
	s_cbranch_vccz .LBB425_450
; %bb.435:
	s_cmp_lt_i32 s9, 27
	s_cbranch_scc1 .LBB425_438
; %bb.436:
	s_cmp_gt_i32 s9, 27
	s_cbranch_scc0 .LBB425_439
; %bb.437:
	global_load_dword v4, v[2:3], off
	s_mov_b64 s[2:3], 0
	s_branch .LBB425_440
.LBB425_438:
	s_mov_b64 s[2:3], -1
                                        ; implicit-def: $vgpr4
	s_branch .LBB425_443
.LBB425_439:
	s_mov_b64 s[2:3], -1
                                        ; implicit-def: $vgpr4
.LBB425_440:
	s_andn2_b64 vcc, exec, s[2:3]
	s_cbranch_vccnz .LBB425_442
; %bb.441:
	global_load_ushort v4, v[2:3], off
.LBB425_442:
	s_mov_b64 s[2:3], 0
.LBB425_443:
	s_andn2_b64 vcc, exec, s[2:3]
	s_cbranch_vccnz .LBB425_449
; %bb.444:
	global_load_ubyte v1, v[2:3], off
	s_movk_i32 s2, 0x7f
	s_mov_b64 s[6:7], 0
	s_waitcnt vmcnt(0)
	v_cmp_lt_i16_e32 vcc, s2, v1
	s_and_saveexec_b64 s[2:3], vcc
	s_xor_b64 s[2:3], exec, s[2:3]
	s_cbranch_execz .LBB425_461
; %bb.445:
	s_movk_i32 s6, 0x80
	v_cmp_ne_u16_e32 vcc, s6, v1
	s_and_b64 s[6:7], vcc, exec
	s_andn2_saveexec_b64 s[2:3], s[2:3]
	s_cbranch_execnz .LBB425_462
.LBB425_446:
	s_or_b64 exec, exec, s[2:3]
	v_mov_b32_e32 v4, 0
	s_and_saveexec_b64 s[2:3], s[6:7]
	s_cbranch_execz .LBB425_448
.LBB425_447:
	v_lshlrev_b32_e32 v4, 24, v1
	v_and_b32_e32 v1, 0xffff, v1
	v_and_b32_e32 v5, 7, v1
	v_ffbh_u32_e32 v7, v5
	v_min_u32_e32 v7, 32, v7
	v_subrev_u32_e32 v8, 28, v7
	v_bfe_u32 v6, v1, 3, 4
	v_lshlrev_b32_e32 v1, v8, v1
	v_sub_u32_e32 v7, 29, v7
	v_and_b32_e32 v1, 7, v1
	v_cmp_eq_u32_e32 vcc, 0, v6
	v_and_b32_e32 v4, 0x80000000, v4
	s_mov_b32 s6, 0x2f800000
	v_cndmask_b32_e32 v6, v6, v7, vcc
	v_cndmask_b32_e32 v1, v5, v1, vcc
	v_mov_b32_e32 v5, 0x3b800000
	v_lshlrev_b32_e32 v1, 20, v1
	v_lshl_add_u32 v5, v6, 23, v5
	v_or3_b32 v1, v4, v5, v1
	v_trunc_f32_e32 v1, v1
	v_mul_f32_e64 v4, |v1|, s6
	v_floor_f32_e32 v4, v4
	s_mov_b32 s6, 0xcf800000
	v_fma_f32 v4, v4, s6, |v1|
	v_cvt_u32_f32_e32 v4, v4
	v_ashrrev_i32_e32 v1, 31, v1
	v_xor_b32_e32 v4, v4, v1
	v_sub_u32_e32 v4, v4, v1
.LBB425_448:
	s_or_b64 exec, exec, s[2:3]
.LBB425_449:
	s_mov_b64 s[2:3], -1
.LBB425_450:
	s_mov_b64 s[6:7], 0
.LBB425_451:
	s_and_b64 vcc, exec, s[6:7]
	s_cbranch_vccz .LBB425_484
; %bb.452:
	s_cmp_gt_i32 s9, 22
	s_cbranch_scc0 .LBB425_460
; %bb.453:
	s_cmp_lt_i32 s9, 24
	s_cbranch_scc1 .LBB425_463
; %bb.454:
	s_cmp_gt_i32 s9, 24
	s_cbranch_scc0 .LBB425_464
; %bb.455:
	global_load_ubyte v1, v[2:3], off
	s_movk_i32 s2, 0x7f
	s_mov_b64 s[6:7], 0
	s_waitcnt vmcnt(0)
	v_cmp_lt_i16_e32 vcc, s2, v1
	s_and_saveexec_b64 s[2:3], vcc
	s_xor_b64 s[2:3], exec, s[2:3]
	s_cbranch_execz .LBB425_476
; %bb.456:
	s_movk_i32 s6, 0x80
	v_cmp_ne_u16_e32 vcc, s6, v1
	s_and_b64 s[6:7], vcc, exec
	s_andn2_saveexec_b64 s[2:3], s[2:3]
	s_cbranch_execnz .LBB425_477
.LBB425_457:
	s_or_b64 exec, exec, s[2:3]
	v_mov_b32_e32 v4, 0
	s_and_saveexec_b64 s[2:3], s[6:7]
	s_cbranch_execz .LBB425_459
.LBB425_458:
	v_lshlrev_b32_e32 v4, 24, v1
	v_and_b32_e32 v1, 0xffff, v1
	v_and_b32_e32 v5, 3, v1
	v_ffbh_u32_e32 v7, v5
	v_min_u32_e32 v7, 32, v7
	v_subrev_u32_e32 v8, 29, v7
	v_bfe_u32 v6, v1, 2, 5
	v_lshlrev_b32_e32 v1, v8, v1
	v_sub_u32_e32 v7, 30, v7
	v_and_b32_e32 v1, 3, v1
	v_cmp_eq_u32_e32 vcc, 0, v6
	v_and_b32_e32 v4, 0x80000000, v4
	s_mov_b32 s6, 0x2f800000
	v_cndmask_b32_e32 v6, v6, v7, vcc
	v_cndmask_b32_e32 v1, v5, v1, vcc
	v_mov_b32_e32 v5, 0x37800000
	v_lshlrev_b32_e32 v1, 21, v1
	v_lshl_add_u32 v5, v6, 23, v5
	v_or3_b32 v1, v4, v5, v1
	v_trunc_f32_e32 v1, v1
	v_mul_f32_e64 v4, |v1|, s6
	v_floor_f32_e32 v4, v4
	s_mov_b32 s6, 0xcf800000
	v_fma_f32 v4, v4, s6, |v1|
	v_cvt_u32_f32_e32 v4, v4
	v_ashrrev_i32_e32 v1, 31, v1
	v_xor_b32_e32 v4, v4, v1
	v_sub_u32_e32 v4, v4, v1
.LBB425_459:
	s_or_b64 exec, exec, s[2:3]
	s_mov_b64 s[2:3], 0
	s_branch .LBB425_465
.LBB425_460:
	s_mov_b64 s[6:7], -1
                                        ; implicit-def: $vgpr4
	s_branch .LBB425_471
.LBB425_461:
	s_andn2_saveexec_b64 s[2:3], s[2:3]
	s_cbranch_execz .LBB425_446
.LBB425_462:
	v_cmp_ne_u16_e32 vcc, 0, v1
	s_andn2_b64 s[6:7], s[6:7], exec
	s_and_b64 s[10:11], vcc, exec
	s_or_b64 s[6:7], s[6:7], s[10:11]
	s_or_b64 exec, exec, s[2:3]
	v_mov_b32_e32 v4, 0
	s_and_saveexec_b64 s[2:3], s[6:7]
	s_cbranch_execnz .LBB425_447
	s_branch .LBB425_448
.LBB425_463:
	s_mov_b64 s[2:3], -1
                                        ; implicit-def: $vgpr4
	s_branch .LBB425_468
.LBB425_464:
	s_mov_b64 s[2:3], -1
                                        ; implicit-def: $vgpr4
.LBB425_465:
	s_and_b64 vcc, exec, s[2:3]
	s_cbranch_vccz .LBB425_467
; %bb.466:
	global_load_ubyte v1, v[2:3], off
	s_mov_b32 s2, 0x7f800000
	s_brev_b32 s3, 1
	s_mov_b32 s6, 0x2f800000
	s_waitcnt vmcnt(0)
	v_lshlrev_b32_e32 v1, 24, v1
	v_and_b32_e32 v4, 0x7f000000, v1
	v_ffbh_u32_e32 v5, v4
	v_min_u32_e32 v5, 32, v5
	v_sub_u32_e64 v5, v5, 4 clamp
	v_lshlrev_b32_e32 v7, v5, v4
	v_lshlrev_b32_e32 v5, 23, v5
	v_lshrrev_b32_e32 v7, 4, v7
	v_add_u32_e32 v6, 0x1000000, v4
	v_sub_u32_e32 v5, v7, v5
	v_ashrrev_i32_e32 v6, 8, v6
	v_add_u32_e32 v5, 0x3c000000, v5
	v_and_or_b32 v5, v6, s2, v5
	v_cmp_ne_u32_e32 vcc, 0, v4
	s_mov_b32 s2, 0xcf800000
	s_nop 0
	v_cndmask_b32_e32 v4, 0, v5, vcc
	v_and_or_b32 v1, v1, s3, v4
	v_trunc_f32_e32 v1, v1
	v_mul_f32_e64 v4, |v1|, s6
	v_floor_f32_e32 v4, v4
	v_fma_f32 v4, v4, s2, |v1|
	v_cvt_u32_f32_e32 v4, v4
	v_ashrrev_i32_e32 v1, 31, v1
	v_xor_b32_e32 v4, v4, v1
	v_sub_u32_e32 v4, v4, v1
.LBB425_467:
	s_mov_b64 s[2:3], 0
.LBB425_468:
	s_andn2_b64 vcc, exec, s[2:3]
	s_cbranch_vccnz .LBB425_470
; %bb.469:
	global_load_ubyte v1, v[2:3], off
	s_movk_i32 s2, 0x7f00
	s_brev_b32 s3, 16
	s_brev_b32 s6, 1
	s_mov_b32 s7, 0x2f800000
	s_waitcnt vmcnt(0)
	v_lshlrev_b16_e32 v4, 8, v1
	v_lshlrev_b32_e32 v1, 25, v1
	v_lshrrev_b32_e32 v5, 4, v1
	v_and_or_b32 v6, v4, s2, 0.5
	v_or_b32_e32 v5, 0x70000000, v5
	v_add_f32_e32 v6, -0.5, v6
	v_mul_f32_e32 v5, 0x7800000, v5
	v_cmp_gt_u32_e32 vcc, s3, v1
	v_bfe_i32 v4, v4, 0, 16
	s_mov_b32 s2, 0xcf800000
	v_cndmask_b32_e32 v1, v5, v6, vcc
	v_and_or_b32 v1, v4, s6, v1
	v_trunc_f32_e32 v1, v1
	v_mul_f32_e64 v4, |v1|, s7
	v_floor_f32_e32 v4, v4
	v_fma_f32 v4, v4, s2, |v1|
	v_cvt_u32_f32_e32 v4, v4
	v_ashrrev_i32_e32 v1, 31, v1
	v_xor_b32_e32 v4, v4, v1
	v_sub_u32_e32 v4, v4, v1
.LBB425_470:
	s_mov_b64 s[6:7], 0
	s_mov_b64 s[2:3], -1
.LBB425_471:
	s_andn2_b64 vcc, exec, s[6:7]
	s_cbranch_vccnz .LBB425_484
; %bb.472:
	s_cmp_gt_i32 s9, 14
	s_cbranch_scc0 .LBB425_475
; %bb.473:
	s_cmp_eq_u32 s9, 15
	s_cbranch_scc0 .LBB425_478
; %bb.474:
	global_load_ushort v1, v[2:3], off
	s_mov_b32 s2, 0x2f800000
	s_mov_b32 s3, 0xcf800000
	s_mov_b64 s[4:5], 0
	s_waitcnt vmcnt(0)
	v_lshlrev_b32_e32 v1, 16, v1
	v_trunc_f32_e32 v1, v1
	v_mul_f32_e64 v4, |v1|, s2
	v_floor_f32_e32 v4, v4
	v_fma_f32 v4, v4, s3, |v1|
	v_cvt_u32_f32_e32 v4, v4
	v_ashrrev_i32_e32 v1, 31, v1
	s_mov_b64 s[2:3], -1
	v_xor_b32_e32 v4, v4, v1
	v_sub_u32_e32 v4, v4, v1
	s_branch .LBB425_479
.LBB425_475:
	s_mov_b64 s[6:7], -1
                                        ; implicit-def: $vgpr4
	s_branch .LBB425_480
.LBB425_476:
	s_andn2_saveexec_b64 s[2:3], s[2:3]
	s_cbranch_execz .LBB425_457
.LBB425_477:
	v_cmp_ne_u16_e32 vcc, 0, v1
	s_andn2_b64 s[6:7], s[6:7], exec
	s_and_b64 s[10:11], vcc, exec
	s_or_b64 s[6:7], s[6:7], s[10:11]
	s_or_b64 exec, exec, s[2:3]
	v_mov_b32_e32 v4, 0
	s_and_saveexec_b64 s[2:3], s[6:7]
	s_cbranch_execnz .LBB425_458
	s_branch .LBB425_459
.LBB425_478:
	s_mov_b64 s[4:5], -1
                                        ; implicit-def: $vgpr4
.LBB425_479:
	s_mov_b64 s[6:7], 0
.LBB425_480:
	s_and_b64 vcc, exec, s[6:7]
	s_cbranch_vccz .LBB425_484
; %bb.481:
	s_cmp_eq_u32 s9, 11
	s_cbranch_scc0 .LBB425_483
; %bb.482:
	global_load_ubyte v1, v[2:3], off
	s_mov_b64 s[2:3], -1
	s_mov_b64 s[4:5], 0
	s_waitcnt vmcnt(0)
	v_cmp_ne_u16_e32 vcc, 0, v1
	s_nop 1
	v_cndmask_b32_e64 v4, 0, 1, vcc
	s_branch .LBB425_484
.LBB425_483:
	s_mov_b64 s[4:5], -1
                                        ; implicit-def: $vgpr4
.LBB425_484:
	s_branch .LBB425_291
.LBB425_485:
	s_and_b32 s6, 0xffff, s8
	s_cmp_lt_i32 s6, 5
	s_cbranch_scc1 .LBB425_490
; %bb.486:
	s_cmp_lt_i32 s6, 8
	s_cbranch_scc1 .LBB425_491
; %bb.487:
	;; [unrolled: 3-line block ×3, first 2 shown]
	s_cmp_gt_i32 s6, 9
	s_cbranch_scc0 .LBB425_493
; %bb.489:
	global_load_dwordx2 v[4:5], v[2:3], off
	s_movk_i32 s2, 0xffe0
	s_waitcnt vmcnt(0)
	v_trunc_f64_e32 v[4:5], v[4:5]
	v_ldexp_f64 v[6:7], v[4:5], s2
	v_floor_f64_e32 v[6:7], v[6:7]
	v_fmac_f64_e32 v[4:5], 0xc1f00000, v[6:7]
	v_cvt_u32_f64_e32 v4, v[4:5]
	s_mov_b64 s[2:3], 0
	s_branch .LBB425_494
.LBB425_490:
	s_mov_b64 s[2:3], -1
                                        ; implicit-def: $vgpr4
	s_branch .LBB425_512
.LBB425_491:
	s_mov_b64 s[2:3], -1
                                        ; implicit-def: $vgpr4
	s_branch .LBB425_500
.LBB425_492:
	s_mov_b64 s[2:3], -1
                                        ; implicit-def: $vgpr4
	s_branch .LBB425_497
.LBB425_493:
	s_mov_b64 s[2:3], -1
                                        ; implicit-def: $vgpr4
.LBB425_494:
	s_andn2_b64 vcc, exec, s[2:3]
	s_cbranch_vccnz .LBB425_496
; %bb.495:
	global_load_dword v1, v[2:3], off
	s_mov_b32 s2, 0x2f800000
	s_waitcnt vmcnt(0)
	v_trunc_f32_e32 v1, v1
	v_mul_f32_e64 v4, |v1|, s2
	v_floor_f32_e32 v4, v4
	s_mov_b32 s2, 0xcf800000
	v_fma_f32 v4, v4, s2, |v1|
	v_cvt_u32_f32_e32 v4, v4
	v_ashrrev_i32_e32 v1, 31, v1
	v_xor_b32_e32 v4, v4, v1
	v_sub_u32_e32 v4, v4, v1
.LBB425_496:
	s_mov_b64 s[2:3], 0
.LBB425_497:
	s_andn2_b64 vcc, exec, s[2:3]
	s_cbranch_vccnz .LBB425_499
; %bb.498:
	global_load_dword v1, v[2:3], off
	s_waitcnt vmcnt(0)
	v_cvt_f32_f16_e32 v1, v1
	v_cvt_i32_f32_e32 v4, v1
.LBB425_499:
	s_mov_b64 s[2:3], 0
.LBB425_500:
	s_andn2_b64 vcc, exec, s[2:3]
	s_cbranch_vccnz .LBB425_511
; %bb.501:
	s_cmp_lt_i32 s6, 6
	s_cbranch_scc1 .LBB425_504
; %bb.502:
	s_cmp_gt_i32 s6, 6
	s_cbranch_scc0 .LBB425_505
; %bb.503:
	global_load_dwordx2 v[4:5], v[2:3], off
	s_movk_i32 s2, 0xffe0
	s_waitcnt vmcnt(0)
	v_trunc_f64_e32 v[4:5], v[4:5]
	v_ldexp_f64 v[6:7], v[4:5], s2
	v_floor_f64_e32 v[6:7], v[6:7]
	v_fmac_f64_e32 v[4:5], 0xc1f00000, v[6:7]
	v_cvt_u32_f64_e32 v4, v[4:5]
	s_mov_b64 s[2:3], 0
	s_branch .LBB425_506
.LBB425_504:
	s_mov_b64 s[2:3], -1
                                        ; implicit-def: $vgpr4
	s_branch .LBB425_509
.LBB425_505:
	s_mov_b64 s[2:3], -1
                                        ; implicit-def: $vgpr4
.LBB425_506:
	s_andn2_b64 vcc, exec, s[2:3]
	s_cbranch_vccnz .LBB425_508
; %bb.507:
	global_load_dword v1, v[2:3], off
	s_mov_b32 s2, 0x2f800000
	s_waitcnt vmcnt(0)
	v_trunc_f32_e32 v1, v1
	v_mul_f32_e64 v4, |v1|, s2
	v_floor_f32_e32 v4, v4
	s_mov_b32 s2, 0xcf800000
	v_fma_f32 v4, v4, s2, |v1|
	v_cvt_u32_f32_e32 v4, v4
	v_ashrrev_i32_e32 v1, 31, v1
	v_xor_b32_e32 v4, v4, v1
	v_sub_u32_e32 v4, v4, v1
.LBB425_508:
	s_mov_b64 s[2:3], 0
.LBB425_509:
	s_andn2_b64 vcc, exec, s[2:3]
	s_cbranch_vccnz .LBB425_511
; %bb.510:
	global_load_ushort v1, v[2:3], off
	s_waitcnt vmcnt(0)
	v_cvt_f32_f16_e32 v1, v1
	v_cvt_i32_f32_e32 v4, v1
.LBB425_511:
	s_mov_b64 s[2:3], 0
.LBB425_512:
	s_andn2_b64 vcc, exec, s[2:3]
	s_cbranch_vccnz .LBB425_532
; %bb.513:
	s_cmp_lt_i32 s6, 2
	s_cbranch_scc1 .LBB425_517
; %bb.514:
	s_cmp_lt_i32 s6, 3
	s_cbranch_scc1 .LBB425_518
; %bb.515:
	s_cmp_gt_i32 s6, 3
	s_cbranch_scc0 .LBB425_519
; %bb.516:
	global_load_dwordx2 v[4:5], v[2:3], off
	s_mov_b64 s[2:3], 0
	s_branch .LBB425_520
.LBB425_517:
	s_mov_b64 s[2:3], -1
                                        ; implicit-def: $vgpr4
	s_branch .LBB425_526
.LBB425_518:
	s_mov_b64 s[2:3], -1
                                        ; implicit-def: $vgpr4
	s_branch .LBB425_523
.LBB425_519:
	s_mov_b64 s[2:3], -1
                                        ; implicit-def: $vgpr4
.LBB425_520:
	s_andn2_b64 vcc, exec, s[2:3]
	s_cbranch_vccnz .LBB425_522
; %bb.521:
	global_load_dword v4, v[2:3], off
.LBB425_522:
	s_mov_b64 s[2:3], 0
.LBB425_523:
	s_andn2_b64 vcc, exec, s[2:3]
	s_cbranch_vccnz .LBB425_525
; %bb.524:
	global_load_ushort v4, v[2:3], off
.LBB425_525:
	s_mov_b64 s[2:3], 0
.LBB425_526:
	s_andn2_b64 vcc, exec, s[2:3]
	s_cbranch_vccnz .LBB425_532
; %bb.527:
	s_cmp_gt_i32 s6, 0
	s_cbranch_scc0 .LBB425_529
; %bb.528:
	global_load_ubyte v4, v[2:3], off
	s_mov_b64 s[2:3], 0
	s_branch .LBB425_530
.LBB425_529:
	s_mov_b64 s[2:3], -1
                                        ; implicit-def: $vgpr4
.LBB425_530:
	s_andn2_b64 vcc, exec, s[2:3]
	s_cbranch_vccnz .LBB425_532
; %bb.531:
	global_load_ubyte v4, v[2:3], off
.LBB425_532:
	s_branch .LBB425_292
.LBB425_533:
	s_mov_b64 s[6:7], 0
	s_mov_b64 s[2:3], s[54:55]
.LBB425_534:
                                        ; implicit-def: $vgpr12
.LBB425_535:
	s_andn2_b64 s[8:9], s[54:55], exec
	s_and_b64 s[2:3], s[2:3], exec
	s_or_b64 s[62:63], s[8:9], s[2:3]
	s_andn2_b64 s[2:3], s[56:57], exec
	s_and_b64 s[4:5], s[4:5], exec
	s_or_b64 s[60:61], s[2:3], s[4:5]
	s_orn2_b64 s[2:3], s[6:7], exec
.LBB425_536:
	s_or_b64 exec, exec, s[64:65]
	s_mov_b64 s[4:5], 0
	s_mov_b64 s[6:7], 0
	;; [unrolled: 1-line block ×3, first 2 shown]
                                        ; implicit-def: $sgpr14
                                        ; implicit-def: $vgpr2_vgpr3
                                        ; implicit-def: $vgpr0
                                        ; implicit-def: $vgpr6
	s_and_saveexec_b64 s[64:65], s[2:3]
	s_cbranch_execz .LBB425_905
; %bb.537:
	v_cmp_gt_i32_e32 vcc, s70, v12
	s_mov_b64 s[6:7], -1
	s_mov_b64 s[2:3], s[60:61]
	s_mov_b64 s[68:69], s[62:63]
	s_and_saveexec_b64 s[66:67], vcc
	s_cbranch_execz .LBB425_808
; %bb.538:
	s_andn2_b64 vcc, exec, s[42:43]
	s_cbranch_vccnz .LBB425_544
; %bb.539:
	s_andn2_b64 vcc, exec, s[52:53]
	s_cbranch_vccnz .LBB425_545
; %bb.540:
	s_add_i32 s77, s76, 1
	s_cmp_eq_u32 s72, 2
	s_cbranch_scc1 .LBB425_546
; %bb.541:
	s_and_b32 s71, s77, 28
	s_mov_b32 s78, 0
	v_mov_b32_e32 v0, 0
	v_mov_b32_e32 v2, 0
	s_mov_b64 s[2:3], s[34:35]
	s_mov_b64 s[68:69], s[50:51]
	s_waitcnt vmcnt(0)
	v_mov_b32_e32 v4, v12
.LBB425_542:                            ; =>This Inner Loop Header: Depth=1
	s_load_dwordx8 s[12:19], s[2:3], 0x4
	s_load_dwordx4 s[36:39], s[2:3], 0x24
	s_load_dwordx8 s[4:11], s[68:69], 0x0
	s_add_u32 s2, s2, 48
	s_addc_u32 s3, s3, 0
	s_waitcnt lgkmcnt(0)
	v_mul_hi_u32 v1, s13, v4
	v_add_u32_e32 v1, v4, v1
	v_lshrrev_b32_e32 v1, s14, v1
	v_mul_lo_u32 v3, v1, s12
	v_mul_hi_u32 v5, s16, v1
	v_sub_u32_e32 v3, v4, v3
	v_add_u32_e32 v4, v1, v5
	v_lshrrev_b32_e32 v4, s17, v4
	v_mul_lo_u32 v6, v4, s15
	v_mul_hi_u32 v7, s19, v4
	v_sub_u32_e32 v1, v1, v6
	v_add_u32_e32 v6, v4, v7
	v_mul_lo_u32 v5, v3, s5
	v_mul_lo_u32 v3, v3, s4
	;; [unrolled: 1-line block ×4, first 2 shown]
	v_lshrrev_b32_e32 v6, s36, v6
	v_add3_u32 v0, v3, v0, v1
	v_mul_hi_u32 v3, s38, v6
	v_add3_u32 v1, v5, v2, v7
	v_mul_lo_u32 v2, v6, s18
	v_add_u32_e32 v3, v6, v3
	v_sub_u32_e32 v2, v4, v2
	v_lshrrev_b32_e32 v4, s39, v3
	s_add_i32 s78, s78, 4
	v_mul_lo_u32 v3, v4, s37
	s_add_u32 s68, s68, 32
	v_sub_u32_e32 v3, v6, v3
	s_addc_u32 s69, s69, 0
	v_mul_lo_u32 v5, v2, s8
	v_mul_lo_u32 v2, v2, s9
	;; [unrolled: 1-line block ×4, first 2 shown]
	s_cmp_eq_u32 s71, s78
	v_add3_u32 v2, v2, v1, v3
	v_add3_u32 v0, v5, v0, v6
	s_cbranch_scc0 .LBB425_542
; %bb.543:
	v_mov_b32_e32 v1, v2
	s_branch .LBB425_547
.LBB425_544:
	s_mov_b64 s[2:3], -1
                                        ; implicit-def: $vgpr2
                                        ; implicit-def: $vgpr0
	s_branch .LBB425_551
.LBB425_545:
	v_mov_b32_e32 v2, 0
	v_mov_b32_e32 v0, 0
	s_branch .LBB425_550
.LBB425_546:
	v_mov_b32_e32 v0, 0
	s_mov_b32 s71, 0
	v_mov_b32_e32 v1, v0
                                        ; implicit-def: $vgpr2
	s_waitcnt vmcnt(0)
	v_mov_b32_e32 v4, v12
.LBB425_547:
	s_and_b32 s6, s77, 3
	s_cmp_eq_u32 s6, 0
	s_cbranch_scc1 .LBB425_550
; %bb.548:
	s_lshl_b32 s2, s71, 3
	s_add_u32 s2, s34, s2
	s_addc_u32 s3, s35, 0
	s_add_u32 s2, s2, 0xc4
	s_addc_u32 s3, s3, 0
	s_mul_i32 s4, s71, 12
	s_add_u32 s4, s34, s4
	s_addc_u32 s5, s35, 0
.LBB425_549:                            ; =>This Inner Loop Header: Depth=1
	s_load_dwordx2 s[8:9], s[4:5], 0x4
	s_load_dword s7, s[4:5], 0xc
	s_load_dwordx2 s[10:11], s[2:3], 0x0
	v_mov_b32_e32 v2, v1
	s_add_u32 s4, s4, 12
	s_waitcnt lgkmcnt(0)
	v_mul_hi_u32 v1, s9, v4
	v_add_u32_e32 v1, v4, v1
	v_lshrrev_b32_e32 v1, s7, v1
	s_addc_u32 s5, s5, 0
	v_mul_lo_u32 v3, v1, s8
	s_add_u32 s2, s2, 8
	v_sub_u32_e32 v5, v4, v3
	s_addc_u32 s3, s3, 0
	s_add_i32 s6, s6, -1
	v_mov_b32_e32 v4, v1
	v_mad_u64_u32 v[2:3], s[8:9], v5, s11, v[2:3]
	v_mad_u64_u32 v[0:1], s[8:9], v5, s10, v[0:1]
	s_cmp_lg_u32 s6, 0
	v_mov_b32_e32 v1, v2
	s_cbranch_scc1 .LBB425_549
.LBB425_550:
	s_mov_b64 s[2:3], 0
.LBB425_551:
	s_andn2_b64 vcc, exec, s[2:3]
	s_cbranch_vccnz .LBB425_554
; %bb.552:
	v_mul_hi_u32 v0, s25, v12
	v_add_u32_e32 v0, v12, v0
	v_lshrrev_b32_e32 v1, s26, v0
	v_mul_lo_u32 v0, v1, s24
	v_sub_u32_e32 v0, v12, v0
	v_mul_lo_u32 v2, v0, s29
	s_andn2_b64 vcc, exec, s[48:49]
	v_mul_lo_u32 v0, v0, s28
	s_cbranch_vccnz .LBB425_554
; %bb.553:
	v_mul_hi_u32 v3, s46, v1
	v_add_u32_e32 v3, v1, v3
	v_lshrrev_b32_e32 v3, s47, v3
	v_mul_lo_u32 v3, v3, s27
	v_sub_u32_e32 v3, v1, v3
	v_mad_u64_u32 v[0:1], s[2:3], v3, s30, v[0:1]
	v_mad_u64_u32 v[2:3], s[2:3], v3, s31, v[2:3]
.LBB425_554:
	v_mov_b32_e32 v3, 0
	s_and_b32 s8, s75, 0xff
	s_cmp_lt_i32 s8, 11
	v_lshl_add_u64 v[2:3], s[22:23], 0, v[2:3]
	s_cbranch_scc1 .LBB425_561
; %bb.555:
	s_and_b32 s9, 0xffff, s8
	s_cmp_gt_i32 s9, 25
	s_cbranch_scc0 .LBB425_562
; %bb.556:
	s_cmp_gt_i32 s9, 28
	s_cbranch_scc0 .LBB425_563
; %bb.557:
	;; [unrolled: 3-line block ×4, first 2 shown]
	s_cmp_eq_u32 s9, 46
	s_mov_b64 s[6:7], 0
	s_cbranch_scc0 .LBB425_570
; %bb.560:
	global_load_dword v1, v[2:3], off
	s_mov_b32 s2, 0x2f800000
	s_mov_b32 s3, 0xcf800000
	s_mov_b64 s[4:5], 0
	s_waitcnt vmcnt(0)
	v_lshlrev_b32_e32 v1, 16, v1
	v_trunc_f32_e32 v1, v1
	v_mul_f32_e64 v4, |v1|, s2
	v_floor_f32_e32 v4, v4
	v_fma_f32 v4, v4, s3, |v1|
	v_cvt_u32_f32_e32 v4, v4
	v_ashrrev_i32_e32 v1, 31, v1
	s_mov_b64 s[2:3], -1
	v_xor_b32_e32 v4, v4, v1
	v_sub_u32_e32 v4, v4, v1
	s_branch .LBB425_571
.LBB425_561:
	s_mov_b64 s[6:7], -1
	s_mov_b64 s[2:3], 0
                                        ; implicit-def: $vgpr4
	s_mov_b64 s[4:5], s[60:61]
	s_branch .LBB425_632
.LBB425_562:
	s_mov_b64 s[6:7], -1
	s_mov_b64 s[2:3], 0
	s_mov_b64 s[4:5], s[60:61]
                                        ; implicit-def: $vgpr4
	s_branch .LBB425_598
.LBB425_563:
	s_mov_b64 s[6:7], -1
	s_mov_b64 s[2:3], 0
	s_mov_b64 s[4:5], s[60:61]
                                        ; implicit-def: $vgpr4
	s_branch .LBB425_581
.LBB425_564:
	s_mov_b64 s[6:7], -1
	s_mov_b64 s[2:3], 0
	s_mov_b64 s[4:5], s[60:61]
                                        ; implicit-def: $vgpr4
	s_branch .LBB425_576
.LBB425_565:
	s_andn2_saveexec_b64 s[10:11], s[10:11]
	s_cbranch_execz .LBB425_337
.LBB425_566:
	v_add_f32_e32 v3, 0x46000000, v4
	v_and_b32_e32 v3, 0xff, v3
	v_cmp_ne_u32_e32 vcc, 0, v3
	s_andn2_b64 s[8:9], s[8:9], exec
	s_and_b64 s[14:15], vcc, exec
	s_or_b64 s[8:9], s[8:9], s[14:15]
	s_or_b64 exec, exec, s[10:11]
	v_mov_b32_e32 v5, 0
	s_and_saveexec_b64 s[10:11], s[8:9]
	s_cbranch_execnz .LBB425_338
	s_branch .LBB425_339
.LBB425_567:
	s_mov_b64 s[6:7], -1
	s_mov_b64 s[2:3], 0
	s_mov_b64 s[4:5], s[60:61]
                                        ; implicit-def: $vgpr4
	s_branch .LBB425_571
.LBB425_568:
	s_andn2_saveexec_b64 s[10:11], s[10:11]
	s_cbranch_execz .LBB425_350
.LBB425_569:
	v_add_f32_e32 v3, 0x42800000, v4
	v_and_b32_e32 v3, 0xff, v3
	v_cmp_ne_u32_e32 vcc, 0, v3
	s_andn2_b64 s[8:9], s[8:9], exec
	s_and_b64 s[14:15], vcc, exec
	s_or_b64 s[8:9], s[8:9], s[14:15]
	s_or_b64 exec, exec, s[10:11]
	v_mov_b32_e32 v5, 0
	s_and_saveexec_b64 s[10:11], s[8:9]
	s_cbranch_execnz .LBB425_351
	s_branch .LBB425_352
.LBB425_570:
	s_mov_b64 s[4:5], -1
                                        ; implicit-def: $vgpr4
	s_mov_b64 s[2:3], 0
.LBB425_571:
	s_and_b64 vcc, exec, s[6:7]
	s_cbranch_vccz .LBB425_575
; %bb.572:
	s_cmp_eq_u32 s9, 44
	s_cbranch_scc0 .LBB425_574
; %bb.573:
	global_load_ubyte v1, v[2:3], off
	s_mov_b32 s2, 0x2f800000
	s_mov_b32 s3, 0xcf800000
	s_mov_b64 s[4:5], 0
	s_waitcnt vmcnt(0)
	v_lshlrev_b32_e32 v4, 23, v1
	v_trunc_f32_e32 v4, v4
	v_mul_f32_e64 v5, |v4|, s2
	v_floor_f32_e32 v5, v5
	v_fma_f32 v5, v5, s3, |v4|
	v_cvt_u32_f32_e32 v5, v5
	v_ashrrev_i32_e32 v4, 31, v4
	v_cmp_ne_u32_e32 vcc, 0, v1
	s_mov_b64 s[2:3], -1
	v_xor_b32_e32 v5, v5, v4
	v_sub_u32_e32 v4, v5, v4
	v_cndmask_b32_e32 v4, 0, v4, vcc
	s_branch .LBB425_575
.LBB425_574:
	s_mov_b64 s[4:5], -1
                                        ; implicit-def: $vgpr4
.LBB425_575:
	s_mov_b64 s[6:7], 0
.LBB425_576:
	s_and_b64 vcc, exec, s[6:7]
	s_cbranch_vccz .LBB425_580
; %bb.577:
	s_cmp_eq_u32 s9, 29
	s_cbranch_scc0 .LBB425_579
; %bb.578:
	global_load_dwordx2 v[4:5], v[2:3], off
	s_mov_b64 s[2:3], -1
	s_mov_b64 s[4:5], 0
	s_branch .LBB425_580
.LBB425_579:
	s_mov_b64 s[4:5], -1
                                        ; implicit-def: $vgpr4
.LBB425_580:
	s_mov_b64 s[6:7], 0
.LBB425_581:
	s_and_b64 vcc, exec, s[6:7]
	s_cbranch_vccz .LBB425_597
; %bb.582:
	s_cmp_lt_i32 s9, 27
	s_cbranch_scc1 .LBB425_585
; %bb.583:
	s_cmp_gt_i32 s9, 27
	s_cbranch_scc0 .LBB425_586
; %bb.584:
	global_load_dword v4, v[2:3], off
	s_mov_b64 s[2:3], 0
	s_branch .LBB425_587
.LBB425_585:
	s_mov_b64 s[2:3], -1
                                        ; implicit-def: $vgpr4
	s_branch .LBB425_590
.LBB425_586:
	s_mov_b64 s[2:3], -1
                                        ; implicit-def: $vgpr4
.LBB425_587:
	s_andn2_b64 vcc, exec, s[2:3]
	s_cbranch_vccnz .LBB425_589
; %bb.588:
	global_load_ushort v4, v[2:3], off
.LBB425_589:
	s_mov_b64 s[2:3], 0
.LBB425_590:
	s_andn2_b64 vcc, exec, s[2:3]
	s_cbranch_vccnz .LBB425_596
; %bb.591:
	global_load_ubyte v1, v[2:3], off
	s_movk_i32 s2, 0x7f
	s_mov_b64 s[6:7], 0
	s_waitcnt vmcnt(0)
	v_cmp_lt_i16_e32 vcc, s2, v1
	s_and_saveexec_b64 s[2:3], vcc
	s_xor_b64 s[2:3], exec, s[2:3]
	s_cbranch_execz .LBB425_608
; %bb.592:
	s_movk_i32 s6, 0x80
	v_cmp_ne_u16_e32 vcc, s6, v1
	s_and_b64 s[6:7], vcc, exec
	s_andn2_saveexec_b64 s[2:3], s[2:3]
	s_cbranch_execnz .LBB425_609
.LBB425_593:
	s_or_b64 exec, exec, s[2:3]
	v_mov_b32_e32 v4, 0
	s_and_saveexec_b64 s[2:3], s[6:7]
	s_cbranch_execz .LBB425_595
.LBB425_594:
	v_lshlrev_b32_e32 v4, 24, v1
	v_and_b32_e32 v1, 0xffff, v1
	v_and_b32_e32 v5, 7, v1
	v_ffbh_u32_e32 v7, v5
	v_min_u32_e32 v7, 32, v7
	v_subrev_u32_e32 v8, 28, v7
	v_bfe_u32 v6, v1, 3, 4
	v_lshlrev_b32_e32 v1, v8, v1
	v_sub_u32_e32 v7, 29, v7
	v_and_b32_e32 v1, 7, v1
	v_cmp_eq_u32_e32 vcc, 0, v6
	v_and_b32_e32 v4, 0x80000000, v4
	s_mov_b32 s6, 0x2f800000
	v_cndmask_b32_e32 v6, v6, v7, vcc
	v_cndmask_b32_e32 v1, v5, v1, vcc
	v_mov_b32_e32 v5, 0x3b800000
	v_lshlrev_b32_e32 v1, 20, v1
	v_lshl_add_u32 v5, v6, 23, v5
	v_or3_b32 v1, v4, v5, v1
	v_trunc_f32_e32 v1, v1
	v_mul_f32_e64 v4, |v1|, s6
	v_floor_f32_e32 v4, v4
	s_mov_b32 s6, 0xcf800000
	v_fma_f32 v4, v4, s6, |v1|
	v_cvt_u32_f32_e32 v4, v4
	v_ashrrev_i32_e32 v1, 31, v1
	v_xor_b32_e32 v4, v4, v1
	v_sub_u32_e32 v4, v4, v1
.LBB425_595:
	s_or_b64 exec, exec, s[2:3]
.LBB425_596:
	s_mov_b64 s[2:3], -1
.LBB425_597:
	s_mov_b64 s[6:7], 0
.LBB425_598:
	s_and_b64 vcc, exec, s[6:7]
	s_cbranch_vccz .LBB425_631
; %bb.599:
	s_cmp_gt_i32 s9, 22
	s_cbranch_scc0 .LBB425_607
; %bb.600:
	s_cmp_lt_i32 s9, 24
	s_cbranch_scc1 .LBB425_610
; %bb.601:
	s_cmp_gt_i32 s9, 24
	s_cbranch_scc0 .LBB425_611
; %bb.602:
	global_load_ubyte v1, v[2:3], off
	s_movk_i32 s2, 0x7f
	s_mov_b64 s[6:7], 0
	s_waitcnt vmcnt(0)
	v_cmp_lt_i16_e32 vcc, s2, v1
	s_and_saveexec_b64 s[2:3], vcc
	s_xor_b64 s[2:3], exec, s[2:3]
	s_cbranch_execz .LBB425_623
; %bb.603:
	s_movk_i32 s6, 0x80
	v_cmp_ne_u16_e32 vcc, s6, v1
	s_and_b64 s[6:7], vcc, exec
	s_andn2_saveexec_b64 s[2:3], s[2:3]
	s_cbranch_execnz .LBB425_624
.LBB425_604:
	s_or_b64 exec, exec, s[2:3]
	v_mov_b32_e32 v4, 0
	s_and_saveexec_b64 s[2:3], s[6:7]
	s_cbranch_execz .LBB425_606
.LBB425_605:
	v_lshlrev_b32_e32 v4, 24, v1
	v_and_b32_e32 v1, 0xffff, v1
	v_and_b32_e32 v5, 3, v1
	v_ffbh_u32_e32 v7, v5
	v_min_u32_e32 v7, 32, v7
	v_subrev_u32_e32 v8, 29, v7
	v_bfe_u32 v6, v1, 2, 5
	v_lshlrev_b32_e32 v1, v8, v1
	v_sub_u32_e32 v7, 30, v7
	v_and_b32_e32 v1, 3, v1
	v_cmp_eq_u32_e32 vcc, 0, v6
	v_and_b32_e32 v4, 0x80000000, v4
	s_mov_b32 s6, 0x2f800000
	v_cndmask_b32_e32 v6, v6, v7, vcc
	v_cndmask_b32_e32 v1, v5, v1, vcc
	v_mov_b32_e32 v5, 0x37800000
	v_lshlrev_b32_e32 v1, 21, v1
	v_lshl_add_u32 v5, v6, 23, v5
	v_or3_b32 v1, v4, v5, v1
	v_trunc_f32_e32 v1, v1
	v_mul_f32_e64 v4, |v1|, s6
	v_floor_f32_e32 v4, v4
	s_mov_b32 s6, 0xcf800000
	v_fma_f32 v4, v4, s6, |v1|
	v_cvt_u32_f32_e32 v4, v4
	v_ashrrev_i32_e32 v1, 31, v1
	v_xor_b32_e32 v4, v4, v1
	v_sub_u32_e32 v4, v4, v1
.LBB425_606:
	s_or_b64 exec, exec, s[2:3]
	s_mov_b64 s[2:3], 0
	s_branch .LBB425_612
.LBB425_607:
	s_mov_b64 s[6:7], -1
                                        ; implicit-def: $vgpr4
	s_branch .LBB425_618
.LBB425_608:
	s_andn2_saveexec_b64 s[2:3], s[2:3]
	s_cbranch_execz .LBB425_593
.LBB425_609:
	v_cmp_ne_u16_e32 vcc, 0, v1
	s_andn2_b64 s[6:7], s[6:7], exec
	s_and_b64 s[10:11], vcc, exec
	s_or_b64 s[6:7], s[6:7], s[10:11]
	s_or_b64 exec, exec, s[2:3]
	v_mov_b32_e32 v4, 0
	s_and_saveexec_b64 s[2:3], s[6:7]
	s_cbranch_execnz .LBB425_594
	s_branch .LBB425_595
.LBB425_610:
	s_mov_b64 s[2:3], -1
                                        ; implicit-def: $vgpr4
	s_branch .LBB425_615
.LBB425_611:
	s_mov_b64 s[2:3], -1
                                        ; implicit-def: $vgpr4
.LBB425_612:
	s_and_b64 vcc, exec, s[2:3]
	s_cbranch_vccz .LBB425_614
; %bb.613:
	global_load_ubyte v1, v[2:3], off
	s_mov_b32 s2, 0x7f800000
	s_brev_b32 s3, 1
	s_mov_b32 s6, 0x2f800000
	s_waitcnt vmcnt(0)
	v_lshlrev_b32_e32 v1, 24, v1
	v_and_b32_e32 v4, 0x7f000000, v1
	v_ffbh_u32_e32 v5, v4
	v_min_u32_e32 v5, 32, v5
	v_sub_u32_e64 v5, v5, 4 clamp
	v_lshlrev_b32_e32 v7, v5, v4
	v_lshlrev_b32_e32 v5, 23, v5
	v_lshrrev_b32_e32 v7, 4, v7
	v_add_u32_e32 v6, 0x1000000, v4
	v_sub_u32_e32 v5, v7, v5
	v_ashrrev_i32_e32 v6, 8, v6
	v_add_u32_e32 v5, 0x3c000000, v5
	v_and_or_b32 v5, v6, s2, v5
	v_cmp_ne_u32_e32 vcc, 0, v4
	s_mov_b32 s2, 0xcf800000
	s_nop 0
	v_cndmask_b32_e32 v4, 0, v5, vcc
	v_and_or_b32 v1, v1, s3, v4
	v_trunc_f32_e32 v1, v1
	v_mul_f32_e64 v4, |v1|, s6
	v_floor_f32_e32 v4, v4
	v_fma_f32 v4, v4, s2, |v1|
	v_cvt_u32_f32_e32 v4, v4
	v_ashrrev_i32_e32 v1, 31, v1
	v_xor_b32_e32 v4, v4, v1
	v_sub_u32_e32 v4, v4, v1
.LBB425_614:
	s_mov_b64 s[2:3], 0
.LBB425_615:
	s_andn2_b64 vcc, exec, s[2:3]
	s_cbranch_vccnz .LBB425_617
; %bb.616:
	global_load_ubyte v1, v[2:3], off
	s_movk_i32 s2, 0x7f00
	s_brev_b32 s3, 16
	s_brev_b32 s6, 1
	s_mov_b32 s7, 0x2f800000
	s_waitcnt vmcnt(0)
	v_lshlrev_b16_e32 v4, 8, v1
	v_lshlrev_b32_e32 v1, 25, v1
	v_lshrrev_b32_e32 v5, 4, v1
	v_and_or_b32 v6, v4, s2, 0.5
	v_or_b32_e32 v5, 0x70000000, v5
	v_add_f32_e32 v6, -0.5, v6
	v_mul_f32_e32 v5, 0x7800000, v5
	v_cmp_gt_u32_e32 vcc, s3, v1
	v_bfe_i32 v4, v4, 0, 16
	s_mov_b32 s2, 0xcf800000
	v_cndmask_b32_e32 v1, v5, v6, vcc
	v_and_or_b32 v1, v4, s6, v1
	v_trunc_f32_e32 v1, v1
	v_mul_f32_e64 v4, |v1|, s7
	v_floor_f32_e32 v4, v4
	v_fma_f32 v4, v4, s2, |v1|
	v_cvt_u32_f32_e32 v4, v4
	v_ashrrev_i32_e32 v1, 31, v1
	v_xor_b32_e32 v4, v4, v1
	v_sub_u32_e32 v4, v4, v1
.LBB425_617:
	s_mov_b64 s[6:7], 0
	s_mov_b64 s[2:3], -1
.LBB425_618:
	s_andn2_b64 vcc, exec, s[6:7]
	s_cbranch_vccnz .LBB425_631
; %bb.619:
	s_cmp_gt_i32 s9, 14
	s_cbranch_scc0 .LBB425_622
; %bb.620:
	s_cmp_eq_u32 s9, 15
	s_cbranch_scc0 .LBB425_625
; %bb.621:
	global_load_ushort v1, v[2:3], off
	s_mov_b32 s2, 0x2f800000
	s_mov_b32 s3, 0xcf800000
	s_mov_b64 s[4:5], 0
	s_waitcnt vmcnt(0)
	v_lshlrev_b32_e32 v1, 16, v1
	v_trunc_f32_e32 v1, v1
	v_mul_f32_e64 v4, |v1|, s2
	v_floor_f32_e32 v4, v4
	v_fma_f32 v4, v4, s3, |v1|
	v_cvt_u32_f32_e32 v4, v4
	v_ashrrev_i32_e32 v1, 31, v1
	s_mov_b64 s[2:3], -1
	v_xor_b32_e32 v4, v4, v1
	v_sub_u32_e32 v4, v4, v1
	s_branch .LBB425_626
.LBB425_622:
	s_mov_b64 s[6:7], -1
                                        ; implicit-def: $vgpr4
	s_branch .LBB425_627
.LBB425_623:
	s_andn2_saveexec_b64 s[2:3], s[2:3]
	s_cbranch_execz .LBB425_604
.LBB425_624:
	v_cmp_ne_u16_e32 vcc, 0, v1
	s_andn2_b64 s[6:7], s[6:7], exec
	s_and_b64 s[10:11], vcc, exec
	s_or_b64 s[6:7], s[6:7], s[10:11]
	s_or_b64 exec, exec, s[2:3]
	v_mov_b32_e32 v4, 0
	s_and_saveexec_b64 s[2:3], s[6:7]
	s_cbranch_execnz .LBB425_605
	s_branch .LBB425_606
.LBB425_625:
	s_mov_b64 s[4:5], -1
                                        ; implicit-def: $vgpr4
.LBB425_626:
	s_mov_b64 s[6:7], 0
.LBB425_627:
	s_and_b64 vcc, exec, s[6:7]
	s_cbranch_vccz .LBB425_631
; %bb.628:
	s_cmp_eq_u32 s9, 11
	s_cbranch_scc0 .LBB425_630
; %bb.629:
	global_load_ubyte v1, v[2:3], off
	s_mov_b64 s[2:3], -1
	s_mov_b64 s[4:5], 0
	s_waitcnt vmcnt(0)
	v_cmp_ne_u16_e32 vcc, 0, v1
	s_nop 1
	v_cndmask_b32_e64 v4, 0, 1, vcc
	s_branch .LBB425_631
.LBB425_630:
	s_mov_b64 s[4:5], -1
                                        ; implicit-def: $vgpr4
.LBB425_631:
	s_mov_b64 s[6:7], 0
.LBB425_632:
	s_and_b64 vcc, exec, s[6:7]
	s_cbranch_vccz .LBB425_681
; %bb.633:
	s_and_b32 s6, 0xffff, s8
	s_cmp_lt_i32 s6, 5
	s_cbranch_scc1 .LBB425_638
; %bb.634:
	s_cmp_lt_i32 s6, 8
	s_cbranch_scc1 .LBB425_639
; %bb.635:
	;; [unrolled: 3-line block ×3, first 2 shown]
	s_cmp_gt_i32 s6, 9
	s_cbranch_scc0 .LBB425_641
; %bb.637:
	global_load_dwordx2 v[4:5], v[2:3], off
	s_movk_i32 s2, 0xffe0
	s_waitcnt vmcnt(0)
	v_trunc_f64_e32 v[4:5], v[4:5]
	v_ldexp_f64 v[6:7], v[4:5], s2
	v_floor_f64_e32 v[6:7], v[6:7]
	v_fmac_f64_e32 v[4:5], 0xc1f00000, v[6:7]
	v_cvt_u32_f64_e32 v4, v[4:5]
	s_mov_b64 s[2:3], 0
	s_branch .LBB425_642
.LBB425_638:
	s_mov_b64 s[2:3], -1
                                        ; implicit-def: $vgpr4
	s_branch .LBB425_660
.LBB425_639:
	s_mov_b64 s[2:3], -1
                                        ; implicit-def: $vgpr4
	s_branch .LBB425_648
.LBB425_640:
	s_mov_b64 s[2:3], -1
                                        ; implicit-def: $vgpr4
	s_branch .LBB425_645
.LBB425_641:
	s_mov_b64 s[2:3], -1
                                        ; implicit-def: $vgpr4
.LBB425_642:
	s_andn2_b64 vcc, exec, s[2:3]
	s_cbranch_vccnz .LBB425_644
; %bb.643:
	global_load_dword v1, v[2:3], off
	s_mov_b32 s2, 0x2f800000
	s_waitcnt vmcnt(0)
	v_trunc_f32_e32 v1, v1
	v_mul_f32_e64 v4, |v1|, s2
	v_floor_f32_e32 v4, v4
	s_mov_b32 s2, 0xcf800000
	v_fma_f32 v4, v4, s2, |v1|
	v_cvt_u32_f32_e32 v4, v4
	v_ashrrev_i32_e32 v1, 31, v1
	v_xor_b32_e32 v4, v4, v1
	v_sub_u32_e32 v4, v4, v1
.LBB425_644:
	s_mov_b64 s[2:3], 0
.LBB425_645:
	s_andn2_b64 vcc, exec, s[2:3]
	s_cbranch_vccnz .LBB425_647
; %bb.646:
	global_load_dword v1, v[2:3], off
	s_waitcnt vmcnt(0)
	v_cvt_f32_f16_e32 v1, v1
	v_cvt_i32_f32_e32 v4, v1
.LBB425_647:
	s_mov_b64 s[2:3], 0
.LBB425_648:
	s_andn2_b64 vcc, exec, s[2:3]
	s_cbranch_vccnz .LBB425_659
; %bb.649:
	s_cmp_lt_i32 s6, 6
	s_cbranch_scc1 .LBB425_652
; %bb.650:
	s_cmp_gt_i32 s6, 6
	s_cbranch_scc0 .LBB425_653
; %bb.651:
	global_load_dwordx2 v[4:5], v[2:3], off
	s_movk_i32 s2, 0xffe0
	s_waitcnt vmcnt(0)
	v_trunc_f64_e32 v[4:5], v[4:5]
	v_ldexp_f64 v[6:7], v[4:5], s2
	v_floor_f64_e32 v[6:7], v[6:7]
	v_fmac_f64_e32 v[4:5], 0xc1f00000, v[6:7]
	v_cvt_u32_f64_e32 v4, v[4:5]
	s_mov_b64 s[2:3], 0
	s_branch .LBB425_654
.LBB425_652:
	s_mov_b64 s[2:3], -1
                                        ; implicit-def: $vgpr4
	s_branch .LBB425_657
.LBB425_653:
	s_mov_b64 s[2:3], -1
                                        ; implicit-def: $vgpr4
.LBB425_654:
	s_andn2_b64 vcc, exec, s[2:3]
	s_cbranch_vccnz .LBB425_656
; %bb.655:
	global_load_dword v1, v[2:3], off
	s_mov_b32 s2, 0x2f800000
	s_waitcnt vmcnt(0)
	v_trunc_f32_e32 v1, v1
	v_mul_f32_e64 v4, |v1|, s2
	v_floor_f32_e32 v4, v4
	s_mov_b32 s2, 0xcf800000
	v_fma_f32 v4, v4, s2, |v1|
	v_cvt_u32_f32_e32 v4, v4
	v_ashrrev_i32_e32 v1, 31, v1
	v_xor_b32_e32 v4, v4, v1
	v_sub_u32_e32 v4, v4, v1
.LBB425_656:
	s_mov_b64 s[2:3], 0
.LBB425_657:
	s_andn2_b64 vcc, exec, s[2:3]
	s_cbranch_vccnz .LBB425_659
; %bb.658:
	global_load_ushort v1, v[2:3], off
	s_waitcnt vmcnt(0)
	v_cvt_f32_f16_e32 v1, v1
	v_cvt_i32_f32_e32 v4, v1
.LBB425_659:
	s_mov_b64 s[2:3], 0
.LBB425_660:
	s_andn2_b64 vcc, exec, s[2:3]
	s_cbranch_vccnz .LBB425_680
; %bb.661:
	s_cmp_lt_i32 s6, 2
	s_cbranch_scc1 .LBB425_665
; %bb.662:
	s_cmp_lt_i32 s6, 3
	s_cbranch_scc1 .LBB425_666
; %bb.663:
	s_cmp_gt_i32 s6, 3
	s_cbranch_scc0 .LBB425_667
; %bb.664:
	global_load_dwordx2 v[4:5], v[2:3], off
	s_mov_b64 s[2:3], 0
	s_branch .LBB425_668
.LBB425_665:
	s_mov_b64 s[2:3], -1
                                        ; implicit-def: $vgpr4
	s_branch .LBB425_674
.LBB425_666:
	s_mov_b64 s[2:3], -1
                                        ; implicit-def: $vgpr4
	s_branch .LBB425_671
.LBB425_667:
	s_mov_b64 s[2:3], -1
                                        ; implicit-def: $vgpr4
.LBB425_668:
	s_andn2_b64 vcc, exec, s[2:3]
	s_cbranch_vccnz .LBB425_670
; %bb.669:
	global_load_dword v4, v[2:3], off
.LBB425_670:
	s_mov_b64 s[2:3], 0
.LBB425_671:
	s_andn2_b64 vcc, exec, s[2:3]
	s_cbranch_vccnz .LBB425_673
; %bb.672:
	global_load_ushort v4, v[2:3], off
.LBB425_673:
	s_mov_b64 s[2:3], 0
.LBB425_674:
	s_andn2_b64 vcc, exec, s[2:3]
	s_cbranch_vccnz .LBB425_680
; %bb.675:
	s_cmp_gt_i32 s6, 0
	s_cbranch_scc0 .LBB425_677
; %bb.676:
	global_load_ubyte v4, v[2:3], off
	s_mov_b64 s[2:3], 0
	s_branch .LBB425_678
.LBB425_677:
	s_mov_b64 s[2:3], -1
                                        ; implicit-def: $vgpr4
.LBB425_678:
	s_andn2_b64 vcc, exec, s[2:3]
	s_cbranch_vccnz .LBB425_680
; %bb.679:
	global_load_ubyte v4, v[2:3], off
.LBB425_680:
	s_mov_b64 s[2:3], -1
.LBB425_681:
	s_andn2_b64 vcc, exec, s[2:3]
	s_cbranch_vccnz .LBB425_689
; %bb.682:
	s_and_b32 s2, s74, 0xff
	v_mov_b32_e32 v1, 0
	s_and_b32 s12, s73, 0xff
	s_waitcnt vmcnt(0)
	v_min_u16_sdwa v2, v4, s2 dst_sel:DWORD dst_unused:UNUSED_PAD src0_sel:BYTE_0 src1_sel:DWORD
	s_cmp_lt_i32 s12, 11
	v_lshl_add_u64 v[0:1], s[20:21], 0, v[0:1]
	s_cbranch_scc1 .LBB425_690
; %bb.683:
	s_and_b32 s13, 0xffff, s12
	s_cmp_gt_i32 s13, 25
	s_cbranch_scc0 .LBB425_691
; %bb.684:
	s_cmp_gt_i32 s13, 28
	s_cbranch_scc0 .LBB425_692
; %bb.685:
	;; [unrolled: 3-line block ×4, first 2 shown]
	s_mov_b64 s[8:9], 0
	s_mov_b64 s[2:3], -1
	s_cmp_eq_u32 s13, 46
	s_mov_b64 s[6:7], 0
	s_cbranch_scc0 .LBB425_695
; %bb.688:
	v_cvt_f32_ubyte0_e32 v3, v2
	v_bfe_u32 v4, v3, 16, 1
	s_movk_i32 s2, 0x7fff
	v_add3_u32 v3, v3, v4, s2
	v_lshrrev_b32_e32 v3, 16, v3
	global_store_dword v[0:1], v3, off
	s_mov_b64 s[6:7], -1
	s_mov_b64 s[2:3], 0
	s_branch .LBB425_695
.LBB425_689:
	s_mov_b64 s[6:7], 0
	s_mov_b64 s[2:3], s[62:63]
	s_branch .LBB425_806
.LBB425_690:
	s_mov_b64 s[8:9], -1
	s_mov_b64 s[6:7], 0
	s_mov_b64 s[2:3], s[62:63]
	s_branch .LBB425_764
.LBB425_691:
	s_mov_b64 s[8:9], -1
	s_mov_b64 s[6:7], 0
	s_mov_b64 s[2:3], s[62:63]
	s_branch .LBB425_722
.LBB425_692:
	s_mov_b64 s[8:9], -1
	s_mov_b64 s[6:7], 0
	s_mov_b64 s[2:3], s[62:63]
	s_branch .LBB425_705
.LBB425_693:
	s_mov_b64 s[8:9], -1
	s_mov_b64 s[6:7], 0
	s_mov_b64 s[2:3], s[62:63]
	s_branch .LBB425_701
.LBB425_694:
	s_mov_b64 s[8:9], -1
	s_mov_b64 s[6:7], 0
	s_mov_b64 s[2:3], s[62:63]
.LBB425_695:
	s_and_b64 vcc, exec, s[8:9]
	s_cbranch_vccz .LBB425_700
; %bb.696:
	s_cmp_eq_u32 s13, 44
	s_mov_b64 s[2:3], -1
	s_cbranch_scc0 .LBB425_700
; %bb.697:
	v_cvt_f32_ubyte0_e32 v4, v2
	v_lshrrev_b32_e32 v3, 23, v4
	s_movk_i32 s2, 0xff
	v_cmp_ne_u32_e32 vcc, s2, v3
	v_mov_b32_e32 v5, 0xff
	s_and_saveexec_b64 s[6:7], vcc
; %bb.698:
	s_mov_b32 s2, 0x3fffff
	v_and_b32_e32 v5, 0x400000, v4
	v_and_or_b32 v4, v4, s2, v3
	v_cmp_ne_u32_e32 vcc, 0, v5
	v_cmp_ne_u32_e64 s[2:3], 0, v4
	s_and_b64 s[2:3], vcc, s[2:3]
	s_nop 0
	v_cndmask_b32_e64 v4, 0, 1, s[2:3]
	v_add_u32_e32 v5, v3, v4
; %bb.699:
	s_or_b64 exec, exec, s[6:7]
	s_mov_b64 s[6:7], -1
	s_mov_b64 s[2:3], 0
	global_store_byte v[0:1], v5, off
.LBB425_700:
	s_mov_b64 s[8:9], 0
.LBB425_701:
	s_and_b64 vcc, exec, s[8:9]
	s_cbranch_vccz .LBB425_704
; %bb.702:
	s_cmp_eq_u32 s13, 29
	s_mov_b64 s[2:3], -1
	s_cbranch_scc0 .LBB425_704
; %bb.703:
	s_mov_b32 s2, 0
	v_mov_b32_e32 v3, s2
	global_store_dwordx2 v[0:1], v[2:3], off
	s_mov_b64 s[6:7], -1
	s_mov_b64 s[2:3], 0
.LBB425_704:
	s_mov_b64 s[8:9], 0
.LBB425_705:
	s_and_b64 vcc, exec, s[8:9]
	s_cbranch_vccz .LBB425_721
; %bb.706:
	s_cmp_lt_i32 s13, 27
	s_mov_b64 s[6:7], -1
	s_cbranch_scc1 .LBB425_712
; %bb.707:
	s_cmp_gt_i32 s13, 27
	s_cbranch_scc0 .LBB425_709
; %bb.708:
	s_mov_b64 s[6:7], 0
	global_store_dword v[0:1], v2, off
.LBB425_709:
	s_andn2_b64 vcc, exec, s[6:7]
	s_cbranch_vccnz .LBB425_711
; %bb.710:
	global_store_short v[0:1], v2, off
.LBB425_711:
	s_mov_b64 s[6:7], 0
.LBB425_712:
	s_andn2_b64 vcc, exec, s[6:7]
	s_cbranch_vccnz .LBB425_720
; %bb.713:
	v_cvt_f32_ubyte0_e32 v4, v2
	s_mov_b32 s6, 0x43800000
	v_cmp_gt_u32_e32 vcc, s6, v4
	v_mov_b32_e32 v5, 0x80
	s_and_saveexec_b64 s[6:7], vcc
	s_cbranch_execz .LBB425_719
; %bb.714:
	s_mov_b32 s8, 0x3bffffff
	v_cmp_lt_u32_e32 vcc, s8, v4
	s_mov_b64 s[8:9], 0
                                        ; implicit-def: $vgpr3
	s_and_saveexec_b64 s[10:11], vcc
	s_xor_b64 s[10:11], exec, s[10:11]
	s_cbranch_execz .LBB425_837
; %bb.715:
	v_bfe_u32 v3, v4, 20, 1
	s_mov_b32 s14, 0x487ffff
	v_add3_u32 v3, v4, v3, s14
	s_mov_b64 s[8:9], exec
	v_lshrrev_b32_e32 v3, 20, v3
                                        ; implicit-def: $vgpr4
	s_andn2_saveexec_b64 s[10:11], s[10:11]
	s_cbranch_execnz .LBB425_838
.LBB425_716:
	s_or_b64 exec, exec, s[10:11]
	v_mov_b32_e32 v5, 0
	s_and_saveexec_b64 s[10:11], s[8:9]
.LBB425_717:
	v_mov_b32_e32 v5, v3
.LBB425_718:
	s_or_b64 exec, exec, s[10:11]
.LBB425_719:
	s_or_b64 exec, exec, s[6:7]
	global_store_byte v[0:1], v5, off
.LBB425_720:
	s_mov_b64 s[6:7], -1
.LBB425_721:
	s_mov_b64 s[8:9], 0
.LBB425_722:
	s_and_b64 vcc, exec, s[8:9]
	s_cbranch_vccz .LBB425_763
; %bb.723:
	s_cmp_gt_i32 s13, 22
	s_mov_b64 s[8:9], -1
	s_cbranch_scc0 .LBB425_755
; %bb.724:
	s_cmp_lt_i32 s13, 24
	s_mov_b64 s[6:7], -1
	s_cbranch_scc1 .LBB425_744
; %bb.725:
	s_cmp_gt_i32 s13, 24
	s_cbranch_scc0 .LBB425_733
; %bb.726:
	v_cvt_f32_ubyte0_e32 v4, v2
	s_mov_b32 s6, 0x47800000
	v_cmp_gt_u32_e32 vcc, s6, v4
	v_mov_b32_e32 v5, 0x80
	s_and_saveexec_b64 s[6:7], vcc
	s_cbranch_execz .LBB425_732
; %bb.727:
	s_mov_b32 s8, 0x37ffffff
	v_cmp_lt_u32_e32 vcc, s8, v4
	s_mov_b64 s[8:9], 0
                                        ; implicit-def: $vgpr3
	s_and_saveexec_b64 s[10:11], vcc
	s_xor_b64 s[10:11], exec, s[10:11]
	s_cbranch_execz .LBB425_840
; %bb.728:
	v_bfe_u32 v3, v4, 21, 1
	s_mov_b32 s14, 0x88fffff
	v_add3_u32 v3, v4, v3, s14
	s_mov_b64 s[8:9], exec
	v_lshrrev_b32_e32 v3, 21, v3
                                        ; implicit-def: $vgpr4
	s_andn2_saveexec_b64 s[10:11], s[10:11]
	s_cbranch_execnz .LBB425_841
.LBB425_729:
	s_or_b64 exec, exec, s[10:11]
	v_mov_b32_e32 v5, 0
	s_and_saveexec_b64 s[10:11], s[8:9]
.LBB425_730:
	v_mov_b32_e32 v5, v3
.LBB425_731:
	s_or_b64 exec, exec, s[10:11]
.LBB425_732:
	s_or_b64 exec, exec, s[6:7]
	s_mov_b64 s[6:7], 0
	global_store_byte v[0:1], v5, off
.LBB425_733:
	s_and_b64 vcc, exec, s[6:7]
	s_cbranch_vccz .LBB425_743
; %bb.734:
	v_cvt_f32_ubyte0_e32 v3, v2
	s_mov_b32 s6, 0x43f00000
	v_cmp_gt_u32_e32 vcc, s6, v3
                                        ; implicit-def: $vgpr4
	s_and_saveexec_b64 s[6:7], vcc
	s_xor_b64 s[6:7], exec, s[6:7]
	s_cbranch_execz .LBB425_740
; %bb.735:
	s_mov_b32 s8, 0x3c7fffff
	v_cmp_lt_u32_e32 vcc, s8, v3
                                        ; implicit-def: $vgpr4
	s_and_saveexec_b64 s[8:9], vcc
	s_xor_b64 s[8:9], exec, s[8:9]
; %bb.736:
	v_bfe_u32 v4, v3, 20, 1
	s_mov_b32 s10, 0x407ffff
	v_add3_u32 v3, v3, v4, s10
	v_lshrrev_b32_e32 v4, 20, v3
	v_and_b32_e32 v3, 0xff00000, v3
	s_mov_b32 s10, 0x7f00000
	v_mov_b32_e32 v5, 0x7e
	v_cmp_ne_u32_e32 vcc, s10, v3
                                        ; implicit-def: $vgpr3
	s_nop 1
	v_cndmask_b32_e32 v4, v5, v4, vcc
; %bb.737:
	s_andn2_saveexec_b64 s[8:9], s[8:9]
; %bb.738:
	v_add_f32_e32 v4, 0x46800000, v3
; %bb.739:
	s_or_b64 exec, exec, s[8:9]
                                        ; implicit-def: $vgpr3
.LBB425_740:
	s_andn2_saveexec_b64 s[6:7], s[6:7]
; %bb.741:
	s_mov_b32 s8, 0x7f800000
	v_mov_b32_e32 v4, 0x7e
	v_mov_b32_e32 v5, 0x7f
	v_cmp_lt_u32_e32 vcc, s8, v3
	s_nop 1
	v_cndmask_b32_e32 v4, v4, v5, vcc
; %bb.742:
	s_or_b64 exec, exec, s[6:7]
	global_store_byte v[0:1], v4, off
.LBB425_743:
	s_mov_b64 s[6:7], 0
.LBB425_744:
	s_andn2_b64 vcc, exec, s[6:7]
	s_cbranch_vccnz .LBB425_754
; %bb.745:
	v_cvt_f32_ubyte0_e32 v3, v2
	s_mov_b32 s6, 0x47800000
	v_cmp_gt_u32_e32 vcc, s6, v3
                                        ; implicit-def: $vgpr4
	s_and_saveexec_b64 s[6:7], vcc
	s_xor_b64 s[6:7], exec, s[6:7]
	s_cbranch_execz .LBB425_751
; %bb.746:
	s_mov_b32 s8, 0x387fffff
	v_cmp_lt_u32_e32 vcc, s8, v3
                                        ; implicit-def: $vgpr4
	s_and_saveexec_b64 s[8:9], vcc
	s_xor_b64 s[8:9], exec, s[8:9]
; %bb.747:
	v_bfe_u32 v4, v3, 21, 1
	s_mov_b32 s10, 0x80fffff
	v_add3_u32 v3, v3, v4, s10
	v_lshrrev_b32_e32 v4, 21, v3
                                        ; implicit-def: $vgpr3
; %bb.748:
	s_andn2_saveexec_b64 s[8:9], s[8:9]
; %bb.749:
	v_add_f32_e32 v4, 0x43000000, v3
; %bb.750:
	s_or_b64 exec, exec, s[8:9]
                                        ; implicit-def: $vgpr3
.LBB425_751:
	s_andn2_saveexec_b64 s[6:7], s[6:7]
; %bb.752:
	s_mov_b32 s8, 0x7f800000
	v_mov_b32_e32 v4, 0x7c
	v_mov_b32_e32 v5, 0x7f
	v_cmp_lt_u32_e32 vcc, s8, v3
	s_nop 1
	v_cndmask_b32_e32 v4, v4, v5, vcc
; %bb.753:
	s_or_b64 exec, exec, s[6:7]
	global_store_byte v[0:1], v4, off
.LBB425_754:
	s_mov_b64 s[8:9], 0
	s_mov_b64 s[6:7], -1
.LBB425_755:
	s_andn2_b64 vcc, exec, s[8:9]
	s_cbranch_vccnz .LBB425_763
; %bb.756:
	s_cmp_gt_i32 s13, 14
	s_mov_b64 s[8:9], -1
	s_cbranch_scc0 .LBB425_760
; %bb.757:
	s_cmp_eq_u32 s13, 15
	s_mov_b64 s[2:3], -1
	s_cbranch_scc0 .LBB425_759
; %bb.758:
	v_cvt_f32_ubyte0_e32 v3, v2
	v_bfe_u32 v4, v3, 16, 1
	s_movk_i32 s2, 0x7fff
	v_add3_u32 v3, v3, v4, s2
	global_store_short_d16_hi v[0:1], v3, off
	s_mov_b64 s[6:7], -1
	s_mov_b64 s[2:3], 0
.LBB425_759:
	s_mov_b64 s[8:9], 0
.LBB425_760:
	s_and_b64 vcc, exec, s[8:9]
	s_cbranch_vccz .LBB425_763
; %bb.761:
	s_cmp_eq_u32 s13, 11
	s_mov_b64 s[2:3], -1
	s_cbranch_scc0 .LBB425_763
; %bb.762:
	v_cmp_ne_u16_e32 vcc, 0, v2
	s_mov_b64 s[6:7], -1
	s_mov_b64 s[2:3], 0
	v_cndmask_b32_e64 v3, 0, 1, vcc
	global_store_byte v[0:1], v3, off
.LBB425_763:
	s_mov_b64 s[8:9], 0
.LBB425_764:
	s_and_b64 vcc, exec, s[8:9]
	s_cbranch_vccz .LBB425_803
; %bb.765:
	s_and_b32 s8, 0xffff, s12
	s_cmp_lt_i32 s8, 5
	s_mov_b64 s[6:7], -1
	s_cbranch_scc1 .LBB425_786
; %bb.766:
	s_cmp_lt_i32 s8, 8
	s_cbranch_scc1 .LBB425_776
; %bb.767:
	s_cmp_lt_i32 s8, 9
	s_cbranch_scc1 .LBB425_773
; %bb.768:
	s_cmp_gt_i32 s8, 9
	s_cbranch_scc0 .LBB425_770
; %bb.769:
	v_mov_b32_e32 v6, 0
	v_cvt_f64_u32_e32 v[4:5], v2
	v_mov_b32_e32 v7, v6
	s_mov_b64 s[6:7], 0
	global_store_dwordx4 v[0:1], v[4:7], off
.LBB425_770:
	s_andn2_b64 vcc, exec, s[6:7]
	s_cbranch_vccnz .LBB425_772
; %bb.771:
	v_cvt_f32_ubyte0_e32 v4, v2
	v_mov_b32_e32 v5, 0
	global_store_dwordx2 v[0:1], v[4:5], off
.LBB425_772:
	s_mov_b64 s[6:7], 0
.LBB425_773:
	s_andn2_b64 vcc, exec, s[6:7]
	s_cbranch_vccnz .LBB425_775
; %bb.774:
	v_cvt_f16_u16_e32 v3, v2
	global_store_dword v[0:1], v3, off
.LBB425_775:
	s_mov_b64 s[6:7], 0
.LBB425_776:
	s_andn2_b64 vcc, exec, s[6:7]
	s_cbranch_vccnz .LBB425_785
; %bb.777:
	s_cmp_lt_i32 s8, 6
	s_mov_b64 s[6:7], -1
	s_cbranch_scc1 .LBB425_783
; %bb.778:
	s_cmp_gt_i32 s8, 6
	s_cbranch_scc0 .LBB425_780
; %bb.779:
	v_cvt_f64_u32_e32 v[4:5], v2
	s_mov_b64 s[6:7], 0
	global_store_dwordx2 v[0:1], v[4:5], off
.LBB425_780:
	s_andn2_b64 vcc, exec, s[6:7]
	s_cbranch_vccnz .LBB425_782
; %bb.781:
	v_cvt_f32_ubyte0_e32 v3, v2
	global_store_dword v[0:1], v3, off
.LBB425_782:
	s_mov_b64 s[6:7], 0
.LBB425_783:
	s_andn2_b64 vcc, exec, s[6:7]
	s_cbranch_vccnz .LBB425_785
; %bb.784:
	v_cvt_f16_u16_e32 v3, v2
	global_store_short v[0:1], v3, off
.LBB425_785:
	s_mov_b64 s[6:7], 0
.LBB425_786:
	s_andn2_b64 vcc, exec, s[6:7]
	s_cbranch_vccnz .LBB425_802
; %bb.787:
	s_cmp_lt_i32 s8, 2
	s_mov_b64 s[6:7], -1
	s_cbranch_scc1 .LBB425_797
; %bb.788:
	s_cmp_lt_i32 s8, 3
	s_cbranch_scc1 .LBB425_794
; %bb.789:
	s_cmp_gt_i32 s8, 3
	s_cbranch_scc0 .LBB425_791
; %bb.790:
	s_mov_b32 s6, 0
	v_mov_b32_e32 v3, s6
	s_mov_b64 s[6:7], 0
	global_store_dwordx2 v[0:1], v[2:3], off
.LBB425_791:
	s_andn2_b64 vcc, exec, s[6:7]
	s_cbranch_vccnz .LBB425_793
; %bb.792:
	global_store_dword v[0:1], v2, off
.LBB425_793:
	s_mov_b64 s[6:7], 0
.LBB425_794:
	s_andn2_b64 vcc, exec, s[6:7]
	s_cbranch_vccnz .LBB425_796
; %bb.795:
	global_store_short v[0:1], v2, off
.LBB425_796:
	s_mov_b64 s[6:7], 0
.LBB425_797:
	s_andn2_b64 vcc, exec, s[6:7]
	s_cbranch_vccnz .LBB425_802
; %bb.798:
	s_cmp_gt_i32 s8, 0
	s_mov_b64 s[6:7], -1
	s_cbranch_scc0 .LBB425_800
; %bb.799:
	s_mov_b64 s[6:7], 0
	global_store_byte v[0:1], v2, off
.LBB425_800:
	s_andn2_b64 vcc, exec, s[6:7]
	s_cbranch_vccnz .LBB425_802
; %bb.801:
	global_store_byte v[0:1], v2, off
.LBB425_802:
	s_mov_b64 s[6:7], -1
.LBB425_803:
	s_andn2_b64 vcc, exec, s[6:7]
	s_cbranch_vccnz .LBB425_805
; %bb.804:
	v_add_u32_e32 v12, 0x80, v12
	s_mov_b64 s[6:7], -1
	s_branch .LBB425_807
.LBB425_805:
	s_mov_b64 s[6:7], 0
.LBB425_806:
                                        ; implicit-def: $vgpr12
.LBB425_807:
	s_andn2_b64 s[8:9], s[62:63], exec
	s_and_b64 s[2:3], s[2:3], exec
	s_or_b64 s[68:69], s[8:9], s[2:3]
	s_andn2_b64 s[2:3], s[60:61], exec
	s_and_b64 s[4:5], s[4:5], exec
	s_or_b64 s[2:3], s[2:3], s[4:5]
	s_orn2_b64 s[6:7], s[6:7], exec
.LBB425_808:
	s_or_b64 exec, exec, s[66:67]
	s_mov_b64 s[4:5], 0
	s_mov_b64 s[10:11], 0
	s_mov_b64 s[8:9], 0
                                        ; implicit-def: $sgpr14
                                        ; implicit-def: $vgpr2_vgpr3
                                        ; implicit-def: $vgpr0
                                        ; implicit-def: $vgpr6
	s_and_saveexec_b64 s[66:67], s[6:7]
	s_cbranch_execz .LBB425_904
; %bb.809:
	v_cmp_gt_i32_e32 vcc, s70, v12
	s_mov_b64 s[6:7], 0
	s_mov_b64 s[12:13], s[2:3]
                                        ; implicit-def: $sgpr14
                                        ; implicit-def: $vgpr2_vgpr3
                                        ; implicit-def: $vgpr0
                                        ; implicit-def: $vgpr6
	s_and_saveexec_b64 s[70:71], vcc
	s_cbranch_execz .LBB425_903
; %bb.810:
	s_andn2_b64 vcc, exec, s[42:43]
	s_cbranch_vccnz .LBB425_816
; %bb.811:
	s_andn2_b64 vcc, exec, s[52:53]
	s_cbranch_vccnz .LBB425_817
; %bb.812:
	s_add_i32 s77, s76, 1
	s_cmp_eq_u32 s72, 2
	s_cbranch_scc1 .LBB425_818
; %bb.813:
	s_and_b32 s76, s77, 28
	s_mov_b32 s78, 0
	v_mov_b32_e32 v0, 0
	v_mov_b32_e32 v2, 0
	s_mov_b64 s[52:53], s[34:35]
	s_waitcnt vmcnt(0)
	v_mov_b32_e32 v4, v12
.LBB425_814:                            ; =>This Inner Loop Header: Depth=1
	s_load_dwordx8 s[12:19], s[52:53], 0x4
	s_load_dwordx4 s[36:39], s[52:53], 0x24
	s_load_dwordx8 s[4:11], s[50:51], 0x0
	s_add_u32 s52, s52, 48
	s_addc_u32 s53, s53, 0
	s_waitcnt lgkmcnt(0)
	v_mul_hi_u32 v1, s13, v4
	v_add_u32_e32 v1, v4, v1
	v_lshrrev_b32_e32 v1, s14, v1
	v_mul_lo_u32 v3, v1, s12
	v_mul_hi_u32 v5, s16, v1
	v_sub_u32_e32 v3, v4, v3
	v_add_u32_e32 v4, v1, v5
	v_lshrrev_b32_e32 v4, s17, v4
	v_mul_lo_u32 v6, v4, s15
	v_mul_hi_u32 v7, s19, v4
	v_sub_u32_e32 v1, v1, v6
	v_add_u32_e32 v6, v4, v7
	v_mul_lo_u32 v5, v3, s5
	v_mul_lo_u32 v3, v3, s4
	;; [unrolled: 1-line block ×4, first 2 shown]
	v_lshrrev_b32_e32 v6, s36, v6
	v_add3_u32 v0, v3, v0, v1
	v_mul_hi_u32 v3, s38, v6
	v_add3_u32 v1, v5, v2, v7
	v_mul_lo_u32 v2, v6, s18
	v_add_u32_e32 v3, v6, v3
	v_sub_u32_e32 v2, v4, v2
	v_lshrrev_b32_e32 v4, s39, v3
	s_add_i32 s78, s78, 4
	v_mul_lo_u32 v3, v4, s37
	s_add_u32 s50, s50, 32
	v_sub_u32_e32 v3, v6, v3
	s_addc_u32 s51, s51, 0
	v_mul_lo_u32 v5, v2, s8
	v_mul_lo_u32 v2, v2, s9
	;; [unrolled: 1-line block ×4, first 2 shown]
	s_cmp_eq_u32 s76, s78
	v_add3_u32 v2, v2, v1, v3
	v_add3_u32 v0, v5, v0, v6
	s_cbranch_scc0 .LBB425_814
; %bb.815:
	v_mov_b32_e32 v1, v2
	s_branch .LBB425_819
.LBB425_816:
	s_mov_b64 s[4:5], -1
                                        ; implicit-def: $vgpr2
                                        ; implicit-def: $vgpr0
	s_branch .LBB425_823
.LBB425_817:
	v_mov_b32_e32 v2, 0
	v_mov_b32_e32 v0, 0
	s_branch .LBB425_822
.LBB425_818:
	v_mov_b32_e32 v0, 0
	s_mov_b32 s76, 0
	v_mov_b32_e32 v1, v0
                                        ; implicit-def: $vgpr2
	s_waitcnt vmcnt(0)
	v_mov_b32_e32 v4, v12
.LBB425_819:
	s_and_b32 s8, s77, 3
	s_cmp_eq_u32 s8, 0
	s_cbranch_scc1 .LBB425_822
; %bb.820:
	s_lshl_b32 s4, s76, 3
	s_add_u32 s4, s34, s4
	s_addc_u32 s5, s35, 0
	s_add_u32 s4, s4, 0xc4
	s_addc_u32 s5, s5, 0
	s_mul_i32 s6, s76, 12
	s_add_u32 s6, s34, s6
	s_addc_u32 s7, s35, 0
.LBB425_821:                            ; =>This Inner Loop Header: Depth=1
	s_load_dwordx2 s[10:11], s[6:7], 0x4
	s_load_dword s9, s[6:7], 0xc
	s_load_dwordx2 s[12:13], s[4:5], 0x0
	v_mov_b32_e32 v2, v1
	s_add_u32 s6, s6, 12
	s_waitcnt lgkmcnt(0)
	v_mul_hi_u32 v1, s11, v4
	v_add_u32_e32 v1, v4, v1
	v_lshrrev_b32_e32 v1, s9, v1
	s_addc_u32 s7, s7, 0
	v_mul_lo_u32 v3, v1, s10
	s_add_u32 s4, s4, 8
	v_sub_u32_e32 v5, v4, v3
	s_addc_u32 s5, s5, 0
	s_add_i32 s8, s8, -1
	v_mov_b32_e32 v4, v1
	v_mad_u64_u32 v[2:3], s[10:11], v5, s13, v[2:3]
	v_mad_u64_u32 v[0:1], s[10:11], v5, s12, v[0:1]
	s_cmp_lg_u32 s8, 0
	v_mov_b32_e32 v1, v2
	s_cbranch_scc1 .LBB425_821
.LBB425_822:
	s_mov_b64 s[4:5], 0
.LBB425_823:
	s_andn2_b64 vcc, exec, s[4:5]
	s_cbranch_vccnz .LBB425_826
; %bb.824:
	v_mul_hi_u32 v0, s25, v12
	v_add_u32_e32 v0, v12, v0
	v_lshrrev_b32_e32 v1, s26, v0
	v_mul_lo_u32 v0, v1, s24
	v_sub_u32_e32 v0, v12, v0
	v_mul_lo_u32 v2, v0, s29
	s_andn2_b64 vcc, exec, s[48:49]
	v_mul_lo_u32 v0, v0, s28
	s_cbranch_vccnz .LBB425_826
; %bb.825:
	v_mul_hi_u32 v3, s46, v1
	v_add_u32_e32 v3, v1, v3
	v_lshrrev_b32_e32 v3, s47, v3
	v_mul_lo_u32 v3, v3, s27
	v_sub_u32_e32 v3, v1, v3
	v_mad_u64_u32 v[0:1], s[4:5], v3, s30, v[0:1]
	v_mad_u64_u32 v[2:3], s[4:5], v3, s31, v[2:3]
.LBB425_826:
	v_mov_b32_e32 v3, 0
	s_and_b32 s14, s75, 0xff
	s_cmp_lt_i32 s14, 11
	v_lshl_add_u64 v[2:3], s[22:23], 0, v[2:3]
	s_cbranch_scc1 .LBB425_833
; %bb.827:
	s_and_b32 s12, 0xffff, s14
	s_cmp_gt_i32 s12, 25
	s_mov_b64 s[6:7], 0
	s_cbranch_scc0 .LBB425_834
; %bb.828:
	s_cmp_gt_i32 s12, 28
	s_cbranch_scc0 .LBB425_835
; %bb.829:
	s_cmp_gt_i32 s12, 43
	;; [unrolled: 3-line block ×3, first 2 shown]
	s_cbranch_scc0 .LBB425_839
; %bb.831:
	s_cmp_eq_u32 s12, 46
	s_mov_b64 s[10:11], 0
	s_cbranch_scc0 .LBB425_842
; %bb.832:
	global_load_dword v1, v[2:3], off
	s_mov_b32 s4, 0x2f800000
	s_mov_b32 s5, 0xcf800000
	s_mov_b64 s[8:9], -1
	s_waitcnt vmcnt(0)
	v_lshlrev_b32_e32 v1, 16, v1
	v_trunc_f32_e32 v1, v1
	v_mul_f32_e64 v4, |v1|, s4
	v_floor_f32_e32 v4, v4
	v_fma_f32 v4, v4, s5, |v1|
	v_cvt_u32_f32_e32 v4, v4
	v_ashrrev_i32_e32 v1, 31, v1
	s_mov_b64 s[4:5], 0
	v_xor_b32_e32 v4, v4, v1
	v_sub_u32_e32 v6, v4, v1
	s_branch .LBB425_843
.LBB425_833:
	s_mov_b64 s[10:11], -1
	s_mov_b64 s[8:9], 0
	s_mov_b64 s[6:7], 0
	;; [unrolled: 1-line block ×3, first 2 shown]
                                        ; implicit-def: $vgpr6
	s_branch .LBB425_902
.LBB425_834:
	s_mov_b64 s[10:11], -1
	s_mov_b64 s[8:9], 0
	s_mov_b64 s[4:5], s[2:3]
                                        ; implicit-def: $vgpr6
	s_branch .LBB425_870
.LBB425_835:
	s_mov_b64 s[10:11], -1
	s_mov_b64 s[8:9], 0
	s_mov_b64 s[4:5], s[2:3]
                                        ; implicit-def: $vgpr6
	s_branch .LBB425_853
.LBB425_836:
	s_mov_b64 s[10:11], -1
	s_mov_b64 s[8:9], 0
	s_mov_b64 s[4:5], s[2:3]
                                        ; implicit-def: $vgpr6
	s_branch .LBB425_848
.LBB425_837:
	s_andn2_saveexec_b64 s[10:11], s[10:11]
	s_cbranch_execz .LBB425_716
.LBB425_838:
	v_add_f32_e32 v3, 0x46000000, v4
	v_and_b32_e32 v3, 0xff, v3
	v_cmp_ne_u32_e32 vcc, 0, v3
	s_andn2_b64 s[8:9], s[8:9], exec
	s_and_b64 s[14:15], vcc, exec
	s_or_b64 s[8:9], s[8:9], s[14:15]
	s_or_b64 exec, exec, s[10:11]
	v_mov_b32_e32 v5, 0
	s_and_saveexec_b64 s[10:11], s[8:9]
	s_cbranch_execnz .LBB425_717
	s_branch .LBB425_718
.LBB425_839:
	s_mov_b64 s[10:11], -1
	s_mov_b64 s[8:9], 0
	s_mov_b64 s[4:5], s[2:3]
                                        ; implicit-def: $vgpr6
	s_branch .LBB425_843
.LBB425_840:
	s_andn2_saveexec_b64 s[10:11], s[10:11]
	s_cbranch_execz .LBB425_729
.LBB425_841:
	v_add_f32_e32 v3, 0x42800000, v4
	v_and_b32_e32 v3, 0xff, v3
	v_cmp_ne_u32_e32 vcc, 0, v3
	s_andn2_b64 s[8:9], s[8:9], exec
	s_and_b64 s[14:15], vcc, exec
	s_or_b64 s[8:9], s[8:9], s[14:15]
	s_or_b64 exec, exec, s[10:11]
	v_mov_b32_e32 v5, 0
	s_and_saveexec_b64 s[10:11], s[8:9]
	s_cbranch_execnz .LBB425_730
	s_branch .LBB425_731
.LBB425_842:
	s_mov_b64 s[4:5], -1
                                        ; implicit-def: $vgpr6
	s_mov_b64 s[8:9], 0
.LBB425_843:
	s_and_b64 vcc, exec, s[10:11]
	s_cbranch_vccz .LBB425_847
; %bb.844:
	s_cmp_eq_u32 s12, 44
	s_cbranch_scc0 .LBB425_846
; %bb.845:
	global_load_ubyte v1, v[2:3], off
	s_mov_b32 s4, 0x2f800000
	s_mov_b32 s5, 0xcf800000
	s_mov_b64 s[8:9], -1
	s_waitcnt vmcnt(0)
	v_lshlrev_b32_e32 v4, 23, v1
	v_trunc_f32_e32 v4, v4
	v_mul_f32_e64 v5, |v4|, s4
	v_floor_f32_e32 v5, v5
	v_fma_f32 v5, v5, s5, |v4|
	v_cvt_u32_f32_e32 v5, v5
	v_ashrrev_i32_e32 v4, 31, v4
	v_cmp_ne_u32_e32 vcc, 0, v1
	s_mov_b64 s[4:5], 0
	v_xor_b32_e32 v5, v5, v4
	v_sub_u32_e32 v4, v5, v4
	v_cndmask_b32_e32 v6, 0, v4, vcc
	s_branch .LBB425_847
.LBB425_846:
	s_mov_b64 s[4:5], -1
                                        ; implicit-def: $vgpr6
.LBB425_847:
	s_mov_b64 s[10:11], 0
.LBB425_848:
	s_and_b64 vcc, exec, s[10:11]
	s_cbranch_vccz .LBB425_852
; %bb.849:
	s_cmp_eq_u32 s12, 29
	s_cbranch_scc0 .LBB425_851
; %bb.850:
	global_load_dwordx2 v[6:7], v[2:3], off
	s_mov_b64 s[4:5], 0
	s_mov_b64 s[8:9], -1
	s_branch .LBB425_852
.LBB425_851:
	s_mov_b64 s[4:5], -1
                                        ; implicit-def: $vgpr6
.LBB425_852:
	s_mov_b64 s[10:11], 0
.LBB425_853:
	s_and_b64 vcc, exec, s[10:11]
	s_cbranch_vccz .LBB425_869
; %bb.854:
	s_cmp_lt_i32 s12, 27
	s_cbranch_scc1 .LBB425_857
; %bb.855:
	s_cmp_gt_i32 s12, 27
	s_cbranch_scc0 .LBB425_858
; %bb.856:
	global_load_dword v6, v[2:3], off
	s_mov_b64 s[8:9], 0
	s_branch .LBB425_859
.LBB425_857:
	s_mov_b64 s[8:9], -1
                                        ; implicit-def: $vgpr6
	s_branch .LBB425_862
.LBB425_858:
	s_mov_b64 s[8:9], -1
                                        ; implicit-def: $vgpr6
.LBB425_859:
	s_andn2_b64 vcc, exec, s[8:9]
	s_cbranch_vccnz .LBB425_861
; %bb.860:
	global_load_ushort v6, v[2:3], off
.LBB425_861:
	s_mov_b64 s[8:9], 0
.LBB425_862:
	s_andn2_b64 vcc, exec, s[8:9]
	s_cbranch_vccnz .LBB425_868
; %bb.863:
	global_load_ubyte v1, v[2:3], off
	s_movk_i32 s8, 0x7f
	s_mov_b64 s[10:11], 0
	s_waitcnt vmcnt(0)
	v_cmp_lt_i16_e32 vcc, s8, v1
	s_and_saveexec_b64 s[8:9], vcc
	s_xor_b64 s[8:9], exec, s[8:9]
	s_cbranch_execz .LBB425_880
; %bb.864:
	s_movk_i32 s10, 0x80
	v_cmp_ne_u16_e32 vcc, s10, v1
	s_and_b64 s[10:11], vcc, exec
	s_andn2_saveexec_b64 s[8:9], s[8:9]
	s_cbranch_execnz .LBB425_881
.LBB425_865:
	s_or_b64 exec, exec, s[8:9]
	v_mov_b32_e32 v6, 0
	s_and_saveexec_b64 s[8:9], s[10:11]
	s_cbranch_execz .LBB425_867
.LBB425_866:
	v_lshlrev_b32_e32 v4, 24, v1
	v_and_b32_e32 v1, 0xffff, v1
	v_and_b32_e32 v5, 7, v1
	v_ffbh_u32_e32 v7, v5
	v_min_u32_e32 v7, 32, v7
	v_subrev_u32_e32 v8, 28, v7
	v_bfe_u32 v6, v1, 3, 4
	v_lshlrev_b32_e32 v1, v8, v1
	v_sub_u32_e32 v7, 29, v7
	v_and_b32_e32 v1, 7, v1
	v_cmp_eq_u32_e32 vcc, 0, v6
	v_and_b32_e32 v4, 0x80000000, v4
	s_mov_b32 s10, 0x2f800000
	v_cndmask_b32_e32 v6, v6, v7, vcc
	v_cndmask_b32_e32 v1, v5, v1, vcc
	v_mov_b32_e32 v5, 0x3b800000
	v_lshlrev_b32_e32 v1, 20, v1
	v_lshl_add_u32 v5, v6, 23, v5
	v_or3_b32 v1, v4, v5, v1
	v_trunc_f32_e32 v1, v1
	v_mul_f32_e64 v4, |v1|, s10
	v_floor_f32_e32 v4, v4
	s_mov_b32 s10, 0xcf800000
	v_fma_f32 v4, v4, s10, |v1|
	v_cvt_u32_f32_e32 v4, v4
	v_ashrrev_i32_e32 v1, 31, v1
	v_xor_b32_e32 v4, v4, v1
	v_sub_u32_e32 v6, v4, v1
.LBB425_867:
	s_or_b64 exec, exec, s[8:9]
.LBB425_868:
	s_mov_b64 s[8:9], -1
.LBB425_869:
	s_mov_b64 s[10:11], 0
.LBB425_870:
	s_and_b64 vcc, exec, s[10:11]
	s_cbranch_vccz .LBB425_901
; %bb.871:
	s_cmp_gt_i32 s12, 22
	s_cbranch_scc0 .LBB425_879
; %bb.872:
	s_cmp_lt_i32 s12, 24
	s_cbranch_scc1 .LBB425_882
; %bb.873:
	s_cmp_gt_i32 s12, 24
	s_cbranch_scc0 .LBB425_883
; %bb.874:
	global_load_ubyte v1, v[2:3], off
	s_movk_i32 s6, 0x7f
	s_mov_b64 s[8:9], 0
	s_waitcnt vmcnt(0)
	v_cmp_lt_i16_e32 vcc, s6, v1
	s_and_saveexec_b64 s[6:7], vcc
	s_xor_b64 s[6:7], exec, s[6:7]
	s_cbranch_execz .LBB425_895
; %bb.875:
	s_movk_i32 s8, 0x80
	v_cmp_ne_u16_e32 vcc, s8, v1
	s_and_b64 s[8:9], vcc, exec
	s_andn2_saveexec_b64 s[6:7], s[6:7]
	s_cbranch_execnz .LBB425_896
.LBB425_876:
	s_or_b64 exec, exec, s[6:7]
	v_mov_b32_e32 v6, 0
	s_and_saveexec_b64 s[6:7], s[8:9]
	s_cbranch_execz .LBB425_878
.LBB425_877:
	v_lshlrev_b32_e32 v4, 24, v1
	v_and_b32_e32 v1, 0xffff, v1
	v_and_b32_e32 v5, 3, v1
	v_ffbh_u32_e32 v7, v5
	v_min_u32_e32 v7, 32, v7
	v_subrev_u32_e32 v8, 29, v7
	v_bfe_u32 v6, v1, 2, 5
	v_lshlrev_b32_e32 v1, v8, v1
	v_sub_u32_e32 v7, 30, v7
	v_and_b32_e32 v1, 3, v1
	v_cmp_eq_u32_e32 vcc, 0, v6
	v_and_b32_e32 v4, 0x80000000, v4
	s_mov_b32 s8, 0x2f800000
	v_cndmask_b32_e32 v6, v6, v7, vcc
	v_cndmask_b32_e32 v1, v5, v1, vcc
	v_mov_b32_e32 v5, 0x37800000
	v_lshlrev_b32_e32 v1, 21, v1
	v_lshl_add_u32 v5, v6, 23, v5
	v_or3_b32 v1, v4, v5, v1
	v_trunc_f32_e32 v1, v1
	v_mul_f32_e64 v4, |v1|, s8
	v_floor_f32_e32 v4, v4
	s_mov_b32 s8, 0xcf800000
	v_fma_f32 v4, v4, s8, |v1|
	v_cvt_u32_f32_e32 v4, v4
	v_ashrrev_i32_e32 v1, 31, v1
	v_xor_b32_e32 v4, v4, v1
	v_sub_u32_e32 v6, v4, v1
.LBB425_878:
	s_or_b64 exec, exec, s[6:7]
	s_mov_b64 s[6:7], 0
	s_branch .LBB425_884
.LBB425_879:
	s_mov_b64 s[6:7], -1
                                        ; implicit-def: $vgpr6
	s_branch .LBB425_890
.LBB425_880:
	s_andn2_saveexec_b64 s[8:9], s[8:9]
	s_cbranch_execz .LBB425_865
.LBB425_881:
	v_cmp_ne_u16_e32 vcc, 0, v1
	s_andn2_b64 s[10:11], s[10:11], exec
	s_and_b64 s[16:17], vcc, exec
	s_or_b64 s[10:11], s[10:11], s[16:17]
	s_or_b64 exec, exec, s[8:9]
	v_mov_b32_e32 v6, 0
	s_and_saveexec_b64 s[8:9], s[10:11]
	s_cbranch_execnz .LBB425_866
	s_branch .LBB425_867
.LBB425_882:
	s_mov_b64 s[6:7], -1
                                        ; implicit-def: $vgpr6
	s_branch .LBB425_887
.LBB425_883:
	s_mov_b64 s[6:7], -1
                                        ; implicit-def: $vgpr6
.LBB425_884:
	s_and_b64 vcc, exec, s[6:7]
	s_cbranch_vccz .LBB425_886
; %bb.885:
	global_load_ubyte v1, v[2:3], off
	s_mov_b32 s6, 0x7f800000
	s_brev_b32 s7, 1
	s_mov_b32 s8, 0x2f800000
	s_waitcnt vmcnt(0)
	v_lshlrev_b32_e32 v1, 24, v1
	v_and_b32_e32 v4, 0x7f000000, v1
	v_ffbh_u32_e32 v5, v4
	v_min_u32_e32 v5, 32, v5
	v_sub_u32_e64 v5, v5, 4 clamp
	v_lshlrev_b32_e32 v7, v5, v4
	v_lshlrev_b32_e32 v5, 23, v5
	v_lshrrev_b32_e32 v7, 4, v7
	v_add_u32_e32 v6, 0x1000000, v4
	v_sub_u32_e32 v5, v7, v5
	v_ashrrev_i32_e32 v6, 8, v6
	v_add_u32_e32 v5, 0x3c000000, v5
	v_and_or_b32 v5, v6, s6, v5
	v_cmp_ne_u32_e32 vcc, 0, v4
	s_mov_b32 s6, 0xcf800000
	s_nop 0
	v_cndmask_b32_e32 v4, 0, v5, vcc
	v_and_or_b32 v1, v1, s7, v4
	v_trunc_f32_e32 v1, v1
	v_mul_f32_e64 v4, |v1|, s8
	v_floor_f32_e32 v4, v4
	v_fma_f32 v4, v4, s6, |v1|
	v_cvt_u32_f32_e32 v4, v4
	v_ashrrev_i32_e32 v1, 31, v1
	v_xor_b32_e32 v4, v4, v1
	v_sub_u32_e32 v6, v4, v1
.LBB425_886:
	s_mov_b64 s[6:7], 0
.LBB425_887:
	s_andn2_b64 vcc, exec, s[6:7]
	s_cbranch_vccnz .LBB425_889
; %bb.888:
	global_load_ubyte v1, v[2:3], off
	s_movk_i32 s6, 0x7f00
	s_brev_b32 s7, 16
	s_brev_b32 s8, 1
	s_mov_b32 s9, 0x2f800000
	s_waitcnt vmcnt(0)
	v_lshlrev_b16_e32 v4, 8, v1
	v_lshlrev_b32_e32 v1, 25, v1
	v_lshrrev_b32_e32 v5, 4, v1
	v_and_or_b32 v6, v4, s6, 0.5
	v_or_b32_e32 v5, 0x70000000, v5
	v_add_f32_e32 v6, -0.5, v6
	v_mul_f32_e32 v5, 0x7800000, v5
	v_cmp_gt_u32_e32 vcc, s7, v1
	v_bfe_i32 v4, v4, 0, 16
	s_mov_b32 s6, 0xcf800000
	v_cndmask_b32_e32 v1, v5, v6, vcc
	v_and_or_b32 v1, v4, s8, v1
	v_trunc_f32_e32 v1, v1
	v_mul_f32_e64 v4, |v1|, s9
	v_floor_f32_e32 v4, v4
	v_fma_f32 v4, v4, s6, |v1|
	v_cvt_u32_f32_e32 v4, v4
	v_ashrrev_i32_e32 v1, 31, v1
	v_xor_b32_e32 v4, v4, v1
	v_sub_u32_e32 v6, v4, v1
.LBB425_889:
	s_mov_b64 s[6:7], 0
	s_mov_b64 s[8:9], -1
.LBB425_890:
	s_andn2_b64 vcc, exec, s[6:7]
	s_mov_b64 s[6:7], 0
	s_cbranch_vccnz .LBB425_901
; %bb.891:
	s_cmp_gt_i32 s12, 14
	s_cbranch_scc0 .LBB425_894
; %bb.892:
	s_cmp_eq_u32 s12, 15
	s_cbranch_scc0 .LBB425_897
; %bb.893:
	global_load_ushort v1, v[2:3], off
	s_mov_b32 s4, 0x2f800000
	s_mov_b32 s5, 0xcf800000
	s_mov_b64 s[8:9], -1
	s_waitcnt vmcnt(0)
	v_lshlrev_b32_e32 v1, 16, v1
	v_trunc_f32_e32 v1, v1
	v_mul_f32_e64 v4, |v1|, s4
	v_floor_f32_e32 v4, v4
	v_fma_f32 v4, v4, s5, |v1|
	v_cvt_u32_f32_e32 v4, v4
	v_ashrrev_i32_e32 v1, 31, v1
	s_mov_b64 s[4:5], 0
	v_xor_b32_e32 v4, v4, v1
	v_sub_u32_e32 v6, v4, v1
	s_branch .LBB425_898
.LBB425_894:
	s_mov_b64 s[10:11], -1
                                        ; implicit-def: $vgpr6
	s_branch .LBB425_899
.LBB425_895:
	s_andn2_saveexec_b64 s[6:7], s[6:7]
	s_cbranch_execz .LBB425_876
.LBB425_896:
	v_cmp_ne_u16_e32 vcc, 0, v1
	s_andn2_b64 s[8:9], s[8:9], exec
	s_and_b64 s[10:11], vcc, exec
	s_or_b64 s[8:9], s[8:9], s[10:11]
	s_or_b64 exec, exec, s[6:7]
	v_mov_b32_e32 v6, 0
	s_and_saveexec_b64 s[6:7], s[8:9]
	s_cbranch_execnz .LBB425_877
	s_branch .LBB425_878
.LBB425_897:
	s_mov_b64 s[4:5], -1
                                        ; implicit-def: $vgpr6
.LBB425_898:
	s_mov_b64 s[10:11], 0
.LBB425_899:
	s_and_b64 vcc, exec, s[10:11]
	s_cbranch_vccz .LBB425_901
; %bb.900:
	s_cmp_lg_u32 s12, 11
	s_cselect_b64 s[10:11], -1, 0
	s_andn2_b64 s[4:5], s[4:5], exec
	s_and_b64 s[10:11], s[10:11], exec
	s_mov_b64 s[6:7], -1
	s_or_b64 s[4:5], s[4:5], s[10:11]
.LBB425_901:
	s_mov_b64 s[10:11], 0
.LBB425_902:
	s_andn2_b64 s[12:13], s[2:3], exec
	s_and_b64 s[4:5], s[4:5], exec
	s_and_b64 s[8:9], s[8:9], exec
	;; [unrolled: 1-line block ×4, first 2 shown]
	s_or_b64 s[12:13], s[12:13], s[4:5]
.LBB425_903:
	s_or_b64 exec, exec, s[70:71]
	s_and_b64 s[4:5], s[6:7], exec
	s_andn2_b64 s[2:3], s[2:3], exec
	s_and_b64 s[6:7], s[12:13], exec
	s_and_b64 s[8:9], s[8:9], exec
	;; [unrolled: 1-line block ×3, first 2 shown]
	s_or_b64 s[2:3], s[2:3], s[6:7]
.LBB425_904:
	s_or_b64 exec, exec, s[66:67]
	s_andn2_b64 s[6:7], s[62:63], exec
	s_and_b64 s[12:13], s[68:69], exec
	s_or_b64 s[62:63], s[6:7], s[12:13]
	s_and_b64 s[6:7], s[10:11], exec
	s_andn2_b64 s[10:11], s[60:61], exec
	s_and_b64 s[2:3], s[2:3], exec
	s_and_b64 s[8:9], s[8:9], exec
	;; [unrolled: 1-line block ×3, first 2 shown]
	s_or_b64 s[60:61], s[10:11], s[2:3]
.LBB425_905:
	s_or_b64 exec, exec, s[64:65]
	s_andn2_b64 s[2:3], s[54:55], exec
	s_and_b64 s[10:11], s[62:63], exec
	s_or_b64 s[54:55], s[2:3], s[10:11]
	s_and_b64 s[2:3], s[8:9], exec
	s_and_b64 s[8:9], s[6:7], exec
	;; [unrolled: 1-line block ×3, first 2 shown]
	s_andn2_b64 s[4:5], s[56:57], exec
	s_and_b64 s[6:7], s[60:61], exec
	s_or_b64 s[56:57], s[4:5], s[6:7]
	s_or_b64 exec, exec, s[58:59]
	s_mov_b64 s[4:5], 0
	s_and_saveexec_b64 s[6:7], s[56:57]
	s_cbranch_execz .LBB425_272
.LBB425_906:
	s_mov_b64 s[4:5], exec
	s_andn2_b64 s[62:63], s[62:63], exec
	s_trap 2
	s_or_b64 exec, exec, s[6:7]
	s_and_saveexec_b64 s[6:7], s[62:63]
	s_xor_b64 s[6:7], exec, s[6:7]
	s_cbranch_execnz .LBB425_273
.LBB425_907:
	s_or_b64 exec, exec, s[6:7]
	s_and_saveexec_b64 s[6:7], s[8:9]
	s_cbranch_execz .LBB425_953
.LBB425_908:
	s_sext_i32_i16 s8, s14
	s_cmp_lt_i32 s8, 5
	s_cbranch_scc1 .LBB425_913
; %bb.909:
	s_cmp_lt_i32 s8, 8
	s_cbranch_scc1 .LBB425_914
; %bb.910:
	;; [unrolled: 3-line block ×3, first 2 shown]
	s_cmp_gt_i32 s8, 9
	s_cbranch_scc0 .LBB425_916
; %bb.912:
	global_load_dwordx2 v[4:5], v[2:3], off
	s_movk_i32 s8, 0xffe0
	s_waitcnt vmcnt(0)
	v_trunc_f64_e32 v[4:5], v[4:5]
	v_ldexp_f64 v[6:7], v[4:5], s8
	v_floor_f64_e32 v[6:7], v[6:7]
	v_fmac_f64_e32 v[4:5], 0xc1f00000, v[6:7]
	v_cvt_u32_f64_e32 v6, v[4:5]
	s_mov_b64 s[8:9], 0
	s_branch .LBB425_917
.LBB425_913:
                                        ; implicit-def: $vgpr6
	s_branch .LBB425_934
.LBB425_914:
                                        ; implicit-def: $vgpr6
	s_branch .LBB425_923
.LBB425_915:
	s_mov_b64 s[8:9], -1
                                        ; implicit-def: $vgpr6
	s_branch .LBB425_920
.LBB425_916:
	s_mov_b64 s[8:9], -1
                                        ; implicit-def: $vgpr6
.LBB425_917:
	s_andn2_b64 vcc, exec, s[8:9]
	s_cbranch_vccnz .LBB425_919
; %bb.918:
	global_load_dword v1, v[2:3], off
	s_mov_b32 s8, 0x2f800000
	s_waitcnt vmcnt(0)
	v_trunc_f32_e32 v1, v1
	v_mul_f32_e64 v4, |v1|, s8
	v_floor_f32_e32 v4, v4
	s_mov_b32 s8, 0xcf800000
	v_fma_f32 v4, v4, s8, |v1|
	v_cvt_u32_f32_e32 v4, v4
	v_ashrrev_i32_e32 v1, 31, v1
	v_xor_b32_e32 v4, v4, v1
	v_sub_u32_e32 v6, v4, v1
.LBB425_919:
	s_mov_b64 s[8:9], 0
.LBB425_920:
	s_andn2_b64 vcc, exec, s[8:9]
	s_cbranch_vccnz .LBB425_922
; %bb.921:
	global_load_dword v1, v[2:3], off
	s_waitcnt vmcnt(0)
	v_cvt_f32_f16_e32 v1, v1
	v_cvt_i32_f32_e32 v6, v1
.LBB425_922:
	s_cbranch_execnz .LBB425_933
.LBB425_923:
	s_sext_i32_i16 s8, s14
	s_cmp_lt_i32 s8, 6
	s_cbranch_scc1 .LBB425_926
; %bb.924:
	s_cmp_gt_i32 s8, 6
	s_cbranch_scc0 .LBB425_927
; %bb.925:
	global_load_dwordx2 v[4:5], v[2:3], off
	s_movk_i32 s8, 0xffe0
	s_waitcnt vmcnt(0)
	v_trunc_f64_e32 v[4:5], v[4:5]
	v_ldexp_f64 v[6:7], v[4:5], s8
	v_floor_f64_e32 v[6:7], v[6:7]
	v_fmac_f64_e32 v[4:5], 0xc1f00000, v[6:7]
	v_cvt_u32_f64_e32 v6, v[4:5]
	s_mov_b64 s[8:9], 0
	s_branch .LBB425_928
.LBB425_926:
	s_mov_b64 s[8:9], -1
                                        ; implicit-def: $vgpr6
	s_branch .LBB425_931
.LBB425_927:
	s_mov_b64 s[8:9], -1
                                        ; implicit-def: $vgpr6
.LBB425_928:
	s_andn2_b64 vcc, exec, s[8:9]
	s_cbranch_vccnz .LBB425_930
; %bb.929:
	global_load_dword v1, v[2:3], off
	s_mov_b32 s8, 0x2f800000
	s_waitcnt vmcnt(0)
	v_trunc_f32_e32 v1, v1
	v_mul_f32_e64 v4, |v1|, s8
	v_floor_f32_e32 v4, v4
	s_mov_b32 s8, 0xcf800000
	v_fma_f32 v4, v4, s8, |v1|
	v_cvt_u32_f32_e32 v4, v4
	v_ashrrev_i32_e32 v1, 31, v1
	v_xor_b32_e32 v4, v4, v1
	v_sub_u32_e32 v6, v4, v1
.LBB425_930:
	s_mov_b64 s[8:9], 0
.LBB425_931:
	s_andn2_b64 vcc, exec, s[8:9]
	s_cbranch_vccnz .LBB425_933
; %bb.932:
	global_load_ushort v1, v[2:3], off
	s_waitcnt vmcnt(0)
	v_cvt_f32_f16_e32 v1, v1
	v_cvt_i32_f32_e32 v6, v1
.LBB425_933:
	s_cbranch_execnz .LBB425_952
.LBB425_934:
	s_sext_i32_i16 s8, s14
	s_cmp_lt_i32 s8, 2
	s_cbranch_scc1 .LBB425_938
; %bb.935:
	s_cmp_lt_i32 s8, 3
	s_cbranch_scc1 .LBB425_939
; %bb.936:
	s_cmp_gt_i32 s8, 3
	s_cbranch_scc0 .LBB425_940
; %bb.937:
	global_load_dwordx2 v[6:7], v[2:3], off
	s_mov_b64 s[8:9], 0
	s_branch .LBB425_941
.LBB425_938:
                                        ; implicit-def: $vgpr6
	s_branch .LBB425_947
.LBB425_939:
	s_mov_b64 s[8:9], -1
                                        ; implicit-def: $vgpr6
	s_branch .LBB425_944
.LBB425_940:
	s_mov_b64 s[8:9], -1
                                        ; implicit-def: $vgpr6
.LBB425_941:
	s_andn2_b64 vcc, exec, s[8:9]
	s_cbranch_vccnz .LBB425_943
; %bb.942:
	global_load_dword v6, v[2:3], off
.LBB425_943:
	s_mov_b64 s[8:9], 0
.LBB425_944:
	s_andn2_b64 vcc, exec, s[8:9]
	s_cbranch_vccnz .LBB425_946
; %bb.945:
	global_load_ushort v6, v[2:3], off
.LBB425_946:
	s_cbranch_execnz .LBB425_952
.LBB425_947:
	s_sext_i32_i16 s8, s14
	s_cmp_gt_i32 s8, 0
	s_cbranch_scc0 .LBB425_949
; %bb.948:
	global_load_ubyte v6, v[2:3], off
	s_mov_b64 s[8:9], 0
	s_branch .LBB425_950
.LBB425_949:
	s_mov_b64 s[8:9], -1
                                        ; implicit-def: $vgpr6
.LBB425_950:
	s_andn2_b64 vcc, exec, s[8:9]
	s_cbranch_vccnz .LBB425_952
; %bb.951:
	global_load_ubyte v6, v[2:3], off
.LBB425_952:
	s_or_b64 s[2:3], s[2:3], exec
.LBB425_953:
	s_or_b64 exec, exec, s[6:7]
	s_mov_b64 s[10:11], 0
	s_mov_b64 s[8:9], 0
                                        ; implicit-def: $sgpr16
                                        ; implicit-def: $vgpr4_vgpr5
                                        ; implicit-def: $vgpr2
	s_and_saveexec_b64 s[6:7], s[2:3]
	s_cbranch_execz .LBB425_1028
; %bb.954:
	s_and_b32 s2, s74, 0xff
	v_mov_b32_e32 v1, 0
	s_and_b32 s16, s73, 0xff
	s_waitcnt vmcnt(0)
	v_min_u16_sdwa v2, v6, s2 dst_sel:DWORD dst_unused:UNUSED_PAD src0_sel:BYTE_0 src1_sel:DWORD
	s_cmp_lt_i32 s16, 11
	v_lshl_add_u64 v[4:5], s[20:21], 0, v[0:1]
	s_cbranch_scc1 .LBB425_1031
; %bb.955:
	s_and_b32 s17, 0xffff, s16
	s_mov_b64 s[10:11], -1
	s_cmp_gt_i32 s17, 25
	s_mov_b64 s[2:3], s[54:55]
	s_cbranch_scc0 .LBB425_988
; %bb.956:
	s_mov_b64 s[8:9], -1
	s_cmp_gt_i32 s17, 28
	s_mov_b64 s[2:3], s[54:55]
	s_cbranch_scc0 .LBB425_972
; %bb.957:
	s_cmp_gt_i32 s17, 43
	s_mov_b64 s[2:3], s[54:55]
	s_cbranch_scc0 .LBB425_968
; %bb.958:
	;; [unrolled: 4-line block ×3, first 2 shown]
	s_cmp_eq_u32 s17, 46
	s_mov_b64 s[2:3], -1
	s_cbranch_scc0 .LBB425_961
; %bb.960:
	v_cvt_f32_ubyte0_e32 v0, v2
	v_bfe_u32 v1, v0, 16, 1
	s_movk_i32 s2, 0x7fff
	v_add3_u32 v0, v0, v1, s2
	v_lshrrev_b32_e32 v0, 16, v0
	global_store_dword v[4:5], v0, off
	s_mov_b64 s[2:3], 0
.LBB425_961:
	s_mov_b64 s[8:9], 0
.LBB425_962:
	s_and_b64 vcc, exec, s[8:9]
	s_cbranch_vccz .LBB425_967
; %bb.963:
	s_cmp_eq_u32 s17, 44
	s_mov_b64 s[2:3], -1
	s_cbranch_scc0 .LBB425_967
; %bb.964:
	v_cvt_f32_ubyte0_e32 v1, v2
	v_lshrrev_b32_e32 v0, 23, v1
	s_movk_i32 s2, 0xff
	v_cmp_ne_u32_e32 vcc, s2, v0
	v_mov_b32_e32 v3, 0xff
	s_and_saveexec_b64 s[8:9], vcc
; %bb.965:
	s_mov_b32 s2, 0x3fffff
	v_and_b32_e32 v3, 0x400000, v1
	v_and_or_b32 v1, v1, s2, v0
	v_cmp_ne_u32_e32 vcc, 0, v3
	v_cmp_ne_u32_e64 s[2:3], 0, v1
	s_and_b64 s[2:3], vcc, s[2:3]
	s_nop 0
	v_cndmask_b32_e64 v1, 0, 1, s[2:3]
	v_add_u32_e32 v3, v0, v1
; %bb.966:
	s_or_b64 exec, exec, s[8:9]
	s_mov_b64 s[2:3], 0
	global_store_byte v[4:5], v3, off
.LBB425_967:
	s_mov_b64 s[8:9], 0
.LBB425_968:
	s_and_b64 vcc, exec, s[8:9]
	s_cbranch_vccz .LBB425_971
; %bb.969:
	s_cmp_eq_u32 s17, 29
	s_mov_b64 s[2:3], -1
	s_cbranch_scc0 .LBB425_971
; %bb.970:
	s_mov_b32 s2, 0
	v_mov_b32_e32 v3, s2
	global_store_dwordx2 v[4:5], v[2:3], off
	s_mov_b64 s[2:3], 0
.LBB425_971:
	s_mov_b64 s[8:9], 0
.LBB425_972:
	s_and_b64 vcc, exec, s[8:9]
	s_cbranch_vccz .LBB425_987
; %bb.973:
	s_cmp_lt_i32 s17, 27
	s_mov_b64 s[8:9], -1
	s_cbranch_scc1 .LBB425_979
; %bb.974:
	s_cmp_gt_i32 s17, 27
	s_cbranch_scc0 .LBB425_976
; %bb.975:
	s_mov_b64 s[8:9], 0
	global_store_dword v[4:5], v2, off
.LBB425_976:
	s_andn2_b64 vcc, exec, s[8:9]
	s_cbranch_vccnz .LBB425_978
; %bb.977:
	global_store_short v[4:5], v2, off
.LBB425_978:
	s_mov_b64 s[8:9], 0
.LBB425_979:
	s_andn2_b64 vcc, exec, s[8:9]
	s_cbranch_vccnz .LBB425_987
; %bb.980:
	v_cvt_f32_ubyte0_e32 v1, v2
	s_mov_b32 s8, 0x43800000
	v_cmp_gt_u32_e32 vcc, s8, v1
	v_mov_b32_e32 v3, 0x80
	s_and_saveexec_b64 s[8:9], vcc
	s_cbranch_execz .LBB425_986
; %bb.981:
	s_mov_b32 s10, 0x3bffffff
	v_cmp_lt_u32_e32 vcc, s10, v1
	s_mov_b64 s[10:11], 0
                                        ; implicit-def: $vgpr0
	s_and_saveexec_b64 s[12:13], vcc
	s_xor_b64 s[12:13], exec, s[12:13]
	s_cbranch_execz .LBB425_1144
; %bb.982:
	v_bfe_u32 v0, v1, 20, 1
	s_mov_b32 s14, 0x487ffff
	v_add3_u32 v0, v1, v0, s14
	s_mov_b64 s[10:11], exec
	v_lshrrev_b32_e32 v0, 20, v0
                                        ; implicit-def: $vgpr1
	s_andn2_saveexec_b64 s[12:13], s[12:13]
	s_cbranch_execnz .LBB425_1145
.LBB425_983:
	s_or_b64 exec, exec, s[12:13]
	v_mov_b32_e32 v3, 0
	s_and_saveexec_b64 s[12:13], s[10:11]
.LBB425_984:
	v_mov_b32_e32 v3, v0
.LBB425_985:
	s_or_b64 exec, exec, s[12:13]
.LBB425_986:
	s_or_b64 exec, exec, s[8:9]
	global_store_byte v[4:5], v3, off
.LBB425_987:
	s_mov_b64 s[10:11], 0
.LBB425_988:
	s_mov_b64 s[8:9], 0
	s_and_b64 vcc, exec, s[10:11]
	s_cbranch_vccz .LBB425_1032
; %bb.989:
	s_cmp_gt_i32 s17, 22
	s_mov_b64 s[10:11], -1
	s_cbranch_scc0 .LBB425_1021
; %bb.990:
	s_cmp_lt_i32 s17, 24
	s_cbranch_scc1 .LBB425_1010
; %bb.991:
	s_cmp_gt_i32 s17, 24
	s_cbranch_scc0 .LBB425_999
; %bb.992:
	v_cvt_f32_ubyte0_e32 v1, v2
	s_mov_b32 s10, 0x47800000
	v_cmp_gt_u32_e32 vcc, s10, v1
	v_mov_b32_e32 v3, 0x80
	s_and_saveexec_b64 s[10:11], vcc
	s_cbranch_execz .LBB425_998
; %bb.993:
	s_mov_b32 s12, 0x37ffffff
	v_cmp_lt_u32_e32 vcc, s12, v1
	s_mov_b64 s[12:13], 0
                                        ; implicit-def: $vgpr0
	s_and_saveexec_b64 s[14:15], vcc
	s_xor_b64 s[14:15], exec, s[14:15]
	s_cbranch_execz .LBB425_1264
; %bb.994:
	v_bfe_u32 v0, v1, 21, 1
	s_mov_b32 s18, 0x88fffff
	v_add3_u32 v0, v1, v0, s18
	s_mov_b64 s[12:13], exec
	v_lshrrev_b32_e32 v0, 21, v0
                                        ; implicit-def: $vgpr1
	s_andn2_saveexec_b64 s[14:15], s[14:15]
	s_cbranch_execnz .LBB425_1265
.LBB425_995:
	s_or_b64 exec, exec, s[14:15]
	v_mov_b32_e32 v3, 0
	s_and_saveexec_b64 s[14:15], s[12:13]
.LBB425_996:
	v_mov_b32_e32 v3, v0
.LBB425_997:
	s_or_b64 exec, exec, s[14:15]
.LBB425_998:
	s_or_b64 exec, exec, s[10:11]
	s_mov_b64 s[10:11], 0
	global_store_byte v[4:5], v3, off
.LBB425_999:
	s_and_b64 vcc, exec, s[10:11]
	s_cbranch_vccz .LBB425_1009
; %bb.1000:
	v_cvt_f32_ubyte0_e32 v0, v2
	s_mov_b32 s10, 0x43f00000
	v_cmp_gt_u32_e32 vcc, s10, v0
                                        ; implicit-def: $vgpr1
	s_and_saveexec_b64 s[10:11], vcc
	s_xor_b64 s[10:11], exec, s[10:11]
	s_cbranch_execz .LBB425_1006
; %bb.1001:
	s_mov_b32 s12, 0x3c7fffff
	v_cmp_lt_u32_e32 vcc, s12, v0
                                        ; implicit-def: $vgpr1
	s_and_saveexec_b64 s[12:13], vcc
	s_xor_b64 s[12:13], exec, s[12:13]
; %bb.1002:
	v_bfe_u32 v1, v0, 20, 1
	s_mov_b32 s14, 0x407ffff
	v_add3_u32 v0, v0, v1, s14
	v_lshrrev_b32_e32 v1, 20, v0
	v_and_b32_e32 v0, 0xff00000, v0
	s_mov_b32 s14, 0x7f00000
	v_mov_b32_e32 v3, 0x7e
	v_cmp_ne_u32_e32 vcc, s14, v0
                                        ; implicit-def: $vgpr0
	s_nop 1
	v_cndmask_b32_e32 v1, v3, v1, vcc
; %bb.1003:
	s_andn2_saveexec_b64 s[12:13], s[12:13]
; %bb.1004:
	v_add_f32_e32 v1, 0x46800000, v0
; %bb.1005:
	s_or_b64 exec, exec, s[12:13]
                                        ; implicit-def: $vgpr0
.LBB425_1006:
	s_andn2_saveexec_b64 s[10:11], s[10:11]
; %bb.1007:
	s_mov_b32 s12, 0x7f800000
	v_mov_b32_e32 v1, 0x7e
	v_mov_b32_e32 v3, 0x7f
	v_cmp_lt_u32_e32 vcc, s12, v0
	s_nop 1
	v_cndmask_b32_e32 v1, v1, v3, vcc
; %bb.1008:
	s_or_b64 exec, exec, s[10:11]
	global_store_byte v[4:5], v1, off
.LBB425_1009:
	s_mov_b64 s[10:11], 0
.LBB425_1010:
	s_andn2_b64 vcc, exec, s[10:11]
	s_cbranch_vccnz .LBB425_1020
; %bb.1011:
	v_cvt_f32_ubyte0_e32 v0, v2
	s_mov_b32 s10, 0x47800000
	v_cmp_gt_u32_e32 vcc, s10, v0
                                        ; implicit-def: $vgpr1
	s_and_saveexec_b64 s[10:11], vcc
	s_xor_b64 s[10:11], exec, s[10:11]
	s_cbranch_execz .LBB425_1017
; %bb.1012:
	s_mov_b32 s12, 0x387fffff
	v_cmp_lt_u32_e32 vcc, s12, v0
                                        ; implicit-def: $vgpr1
	s_and_saveexec_b64 s[12:13], vcc
	s_xor_b64 s[12:13], exec, s[12:13]
; %bb.1013:
	v_bfe_u32 v1, v0, 21, 1
	s_mov_b32 s14, 0x80fffff
	v_add3_u32 v0, v0, v1, s14
	v_lshrrev_b32_e32 v1, 21, v0
                                        ; implicit-def: $vgpr0
; %bb.1014:
	s_andn2_saveexec_b64 s[12:13], s[12:13]
; %bb.1015:
	v_add_f32_e32 v1, 0x43000000, v0
; %bb.1016:
	s_or_b64 exec, exec, s[12:13]
                                        ; implicit-def: $vgpr0
.LBB425_1017:
	s_andn2_saveexec_b64 s[10:11], s[10:11]
; %bb.1018:
	s_mov_b32 s12, 0x7f800000
	v_mov_b32_e32 v1, 0x7c
	v_mov_b32_e32 v3, 0x7f
	v_cmp_lt_u32_e32 vcc, s12, v0
	s_nop 1
	v_cndmask_b32_e32 v1, v1, v3, vcc
; %bb.1019:
	s_or_b64 exec, exec, s[10:11]
	global_store_byte v[4:5], v1, off
.LBB425_1020:
	s_mov_b64 s[10:11], 0
.LBB425_1021:
	s_andn2_b64 vcc, exec, s[10:11]
	s_mov_b64 s[10:11], 0
	s_cbranch_vccnz .LBB425_1033
; %bb.1022:
	s_cmp_gt_i32 s17, 14
	s_mov_b64 s[12:13], -1
	s_cbranch_scc0 .LBB425_1026
; %bb.1023:
	s_cmp_eq_u32 s17, 15
	s_mov_b64 s[2:3], -1
	s_cbranch_scc0 .LBB425_1025
; %bb.1024:
	v_cvt_f32_ubyte0_e32 v0, v2
	v_bfe_u32 v1, v0, 16, 1
	s_movk_i32 s2, 0x7fff
	v_add3_u32 v0, v0, v1, s2
	global_store_short_d16_hi v[4:5], v0, off
	s_mov_b64 s[2:3], 0
.LBB425_1025:
	s_mov_b64 s[12:13], 0
.LBB425_1026:
	s_and_b64 vcc, exec, s[12:13]
	s_cbranch_vccz .LBB425_1033
; %bb.1027:
	s_cmp_lg_u32 s17, 11
	s_cselect_b64 s[12:13], -1, 0
	s_andn2_b64 s[2:3], s[2:3], exec
	s_and_b64 s[12:13], s[12:13], exec
	s_mov_b64 s[10:11], -1
	s_or_b64 s[2:3], s[2:3], s[12:13]
	s_branch .LBB425_1033
.LBB425_1028:
	s_or_b64 exec, exec, s[6:7]
	s_and_saveexec_b64 s[2:3], s[54:55]
	s_cbranch_execnz .LBB425_1034
.LBB425_1029:
	s_or_b64 exec, exec, s[2:3]
	s_and_saveexec_b64 s[2:3], s[10:11]
	s_xor_b64 s[2:3], exec, s[2:3]
	s_cbranch_execz .LBB425_1035
.LBB425_1030:
	v_mov_b32_e32 v0, 0
	v_cmp_ne_u16_sdwa s[6:7], v2, v0 src0_sel:BYTE_0 src1_sel:DWORD
	s_nop 1
	v_cndmask_b32_e64 v0, 0, 1, s[6:7]
	s_waitcnt vmcnt(0)
	global_store_byte v[4:5], v0, off
	s_or_b64 exec, exec, s[2:3]
	s_and_saveexec_b64 s[2:3], s[8:9]
	s_xor_b64 s[2:3], exec, s[2:3]
	s_cbranch_execz .LBB425_1073
	s_branch .LBB425_1036
.LBB425_1031:
	s_mov_b64 s[8:9], -1
	s_mov_b64 s[2:3], s[54:55]
	s_branch .LBB425_1033
.LBB425_1032:
	s_mov_b64 s[10:11], 0
.LBB425_1033:
	s_andn2_b64 s[12:13], s[54:55], exec
	s_and_b64 s[2:3], s[2:3], exec
	s_and_b64 s[8:9], s[8:9], exec
	;; [unrolled: 1-line block ×3, first 2 shown]
	s_or_b64 s[54:55], s[12:13], s[2:3]
	s_or_b64 exec, exec, s[6:7]
	s_and_saveexec_b64 s[2:3], s[54:55]
	s_cbranch_execz .LBB425_1029
.LBB425_1034:
	s_or_b64 s[4:5], s[4:5], exec
	s_andn2_b64 s[10:11], s[10:11], exec
	s_trap 2
	s_or_b64 exec, exec, s[2:3]
	s_and_saveexec_b64 s[2:3], s[10:11]
	s_xor_b64 s[2:3], exec, s[2:3]
	s_cbranch_execnz .LBB425_1030
.LBB425_1035:
	s_or_b64 exec, exec, s[2:3]
	s_and_saveexec_b64 s[2:3], s[8:9]
	s_xor_b64 s[2:3], exec, s[2:3]
	s_cbranch_execz .LBB425_1073
.LBB425_1036:
	s_sext_i32_i16 s8, s16
	s_cmp_lt_i32 s8, 5
	s_mov_b64 s[6:7], -1
	s_cbranch_scc1 .LBB425_1057
; %bb.1037:
	s_cmp_lt_i32 s8, 8
	s_cbranch_scc1 .LBB425_1047
; %bb.1038:
	s_cmp_lt_i32 s8, 9
	s_cbranch_scc1 .LBB425_1044
; %bb.1039:
	s_cmp_gt_i32 s8, 9
	s_cbranch_scc0 .LBB425_1041
; %bb.1040:
	s_mov_b32 s6, 0xffff
	v_and_b32_sdwa v0, s6, v2 dst_sel:DWORD dst_unused:UNUSED_PAD src0_sel:DWORD src1_sel:BYTE_0
	v_mov_b32_e32 v8, 0
	s_waitcnt vmcnt(0)
	v_cvt_f64_u32_e32 v[6:7], v0
	v_mov_b32_e32 v9, v8
	s_mov_b64 s[6:7], 0
	global_store_dwordx4 v[4:5], v[6:9], off
.LBB425_1041:
	s_andn2_b64 vcc, exec, s[6:7]
	s_cbranch_vccnz .LBB425_1043
; %bb.1042:
	v_cvt_f32_ubyte0_e32 v0, v2
	v_mov_b32_e32 v1, 0
	s_waitcnt vmcnt(0)
	global_store_dwordx2 v[4:5], v[0:1], off
.LBB425_1043:
	s_mov_b64 s[6:7], 0
.LBB425_1044:
	s_andn2_b64 vcc, exec, s[6:7]
	s_cbranch_vccnz .LBB425_1046
; %bb.1045:
	v_cvt_f16_u16_sdwa v0, v2 dst_sel:DWORD dst_unused:UNUSED_PAD src0_sel:BYTE_0
	s_waitcnt vmcnt(0)
	global_store_dword v[4:5], v0, off
.LBB425_1046:
	s_mov_b64 s[6:7], 0
.LBB425_1047:
	s_andn2_b64 vcc, exec, s[6:7]
	s_cbranch_vccnz .LBB425_1056
; %bb.1048:
	s_sext_i32_i16 s8, s16
	s_cmp_lt_i32 s8, 6
	s_mov_b64 s[6:7], -1
	s_cbranch_scc1 .LBB425_1054
; %bb.1049:
	s_cmp_gt_i32 s8, 6
	s_cbranch_scc0 .LBB425_1051
; %bb.1050:
	s_mov_b32 s6, 0xffff
	v_and_b32_sdwa v0, s6, v2 dst_sel:DWORD dst_unused:UNUSED_PAD src0_sel:DWORD src1_sel:BYTE_0
	v_cvt_f64_u32_e32 v[0:1], v0
	s_mov_b64 s[6:7], 0
	s_waitcnt vmcnt(0)
	global_store_dwordx2 v[4:5], v[0:1], off
.LBB425_1051:
	s_andn2_b64 vcc, exec, s[6:7]
	s_cbranch_vccnz .LBB425_1053
; %bb.1052:
	v_cvt_f32_ubyte0_e32 v0, v2
	s_waitcnt vmcnt(0)
	global_store_dword v[4:5], v0, off
.LBB425_1053:
	s_mov_b64 s[6:7], 0
.LBB425_1054:
	s_andn2_b64 vcc, exec, s[6:7]
	s_cbranch_vccnz .LBB425_1056
; %bb.1055:
	v_cvt_f16_u16_sdwa v0, v2 dst_sel:DWORD dst_unused:UNUSED_PAD src0_sel:BYTE_0
	s_waitcnt vmcnt(0)
	global_store_short v[4:5], v0, off
.LBB425_1056:
	s_mov_b64 s[6:7], 0
.LBB425_1057:
	s_andn2_b64 vcc, exec, s[6:7]
	s_cbranch_vccnz .LBB425_1073
; %bb.1058:
	s_sext_i32_i16 s8, s16
	s_cmp_lt_i32 s8, 2
	s_mov_b64 s[6:7], -1
	s_cbranch_scc1 .LBB425_1068
; %bb.1059:
	s_cmp_lt_i32 s8, 3
	s_cbranch_scc1 .LBB425_1065
; %bb.1060:
	s_cmp_gt_i32 s8, 3
	s_cbranch_scc0 .LBB425_1062
; %bb.1061:
	v_and_b32_e32 v0, 0xff, v2
	v_mov_b32_e32 v1, 0
	s_mov_b64 s[6:7], 0
	s_waitcnt vmcnt(0)
	global_store_dwordx2 v[4:5], v[0:1], off
.LBB425_1062:
	s_andn2_b64 vcc, exec, s[6:7]
	s_cbranch_vccnz .LBB425_1064
; %bb.1063:
	v_and_b32_e32 v0, 0xff, v2
	s_waitcnt vmcnt(0)
	global_store_dword v[4:5], v0, off
.LBB425_1064:
	s_mov_b64 s[6:7], 0
.LBB425_1065:
	s_andn2_b64 vcc, exec, s[6:7]
	s_cbranch_vccnz .LBB425_1067
; %bb.1066:
	v_and_b32_e32 v0, 0xff, v2
	s_waitcnt vmcnt(0)
	global_store_short v[4:5], v0, off
.LBB425_1067:
	s_mov_b64 s[6:7], 0
.LBB425_1068:
	s_andn2_b64 vcc, exec, s[6:7]
	s_cbranch_vccnz .LBB425_1073
; %bb.1069:
	s_sext_i32_i16 s6, s16
	s_cmp_gt_i32 s6, 0
	s_mov_b64 s[6:7], -1
	s_cbranch_scc0 .LBB425_1071
; %bb.1070:
	s_mov_b64 s[6:7], 0
	s_waitcnt vmcnt(0)
	global_store_byte v[4:5], v2, off
.LBB425_1071:
	s_andn2_b64 vcc, exec, s[6:7]
	s_cbranch_vccnz .LBB425_1073
; %bb.1072:
	s_waitcnt vmcnt(0)
	global_store_byte v[4:5], v2, off
.LBB425_1073:
	s_or_b64 exec, exec, s[2:3]
	s_and_b64 s[24:25], s[4:5], exec
                                        ; implicit-def: $vgpr16
                                        ; implicit-def: $vgpr12
.LBB425_1074:
	s_or_saveexec_b64 s[26:27], s[44:45]
	s_mov_b64 s[6:7], 0
                                        ; implicit-def: $vgpr0_vgpr1
                                        ; implicit-def: $sgpr14
                                        ; implicit-def: $vgpr2
	s_xor_b64 exec, exec, s[26:27]
	s_cbranch_execz .LBB425_2061
; %bb.1075:
	v_cndmask_b32_e64 v0, 0, 1, s[42:43]
	v_cmp_ne_u32_e64 s[2:3], 1, v0
	s_andn2_b64 vcc, exec, s[42:43]
	s_cbranch_vccnz .LBB425_1081
; %bb.1076:
	s_cmp_lg_u32 s33, 0
	s_mov_b32 s36, 0
	s_cbranch_scc0 .LBB425_1082
; %bb.1077:
	s_min_u32 s37, s72, 15
	s_add_i32 s37, s37, 1
	s_cmp_eq_u32 s72, 2
	s_cbranch_scc1 .LBB425_1083
; %bb.1078:
	s_and_b32 s36, s37, 28
	s_add_u32 s28, s34, 0xc4
	s_addc_u32 s29, s35, 0
	s_mov_b32 s38, 0
	s_waitcnt vmcnt(0)
	v_mov_b32_e32 v6, 0
	v_mov_b32_e32 v8, 0
	s_mov_b64 s[30:31], s[34:35]
	v_mov_b32_e32 v0, v12
.LBB425_1079:                           ; =>This Inner Loop Header: Depth=1
	s_load_dwordx8 s[12:19], s[30:31], 0x4
	s_load_dwordx4 s[20:23], s[30:31], 0x24
	s_load_dwordx8 s[4:11], s[28:29], 0x0
	s_add_u32 s30, s30, 48
	s_addc_u32 s31, s31, 0
	s_waitcnt lgkmcnt(0)
	v_mul_hi_u32 v1, s13, v0
	v_add_u32_e32 v1, v0, v1
	v_lshrrev_b32_e32 v1, s14, v1
	v_mul_lo_u32 v2, v1, s12
	v_mul_hi_u32 v3, s16, v1
	v_sub_u32_e32 v0, v0, v2
	v_add_u32_e32 v2, v1, v3
	v_lshrrev_b32_e32 v2, s17, v2
	v_mul_lo_u32 v4, v2, s15
	v_mul_hi_u32 v5, s19, v2
	v_sub_u32_e32 v1, v1, v4
	v_add_u32_e32 v4, v2, v5
	v_mul_lo_u32 v3, v0, s5
	v_mul_lo_u32 v0, v0, s4
	;; [unrolled: 1-line block ×4, first 2 shown]
	v_lshrrev_b32_e32 v4, s20, v4
	v_add3_u32 v1, v0, v6, v1
	v_add3_u32 v3, v3, v8, v5
	v_mul_lo_u32 v0, v4, s18
	v_mul_hi_u32 v5, s22, v4
	v_sub_u32_e32 v0, v2, v0
	v_add_u32_e32 v2, v4, v5
	v_mul_lo_u32 v5, v0, s8
	v_mul_lo_u32 v6, v0, s9
	v_lshrrev_b32_e32 v0, s23, v2
	s_add_i32 s38, s38, 4
	v_mul_lo_u32 v2, v0, s21
	s_add_u32 s28, s28, 32
	v_sub_u32_e32 v2, v4, v2
	s_addc_u32 s29, s29, 0
	v_mul_lo_u32 v4, v2, s10
	v_mul_lo_u32 v2, v2, s11
	s_cmp_lg_u32 s36, s38
	v_add3_u32 v8, v6, v3, v2
	v_add3_u32 v6, v5, v1, v4
	s_cbranch_scc1 .LBB425_1079
; %bb.1080:
	v_mov_b32_e32 v1, v8
	s_and_b32 s8, s37, 3
	s_cmp_eq_u32 s8, 0
	s_cbranch_scc0 .LBB425_1084
	s_branch .LBB425_1086
.LBB425_1081:
                                        ; implicit-def: $vgpr8
                                        ; implicit-def: $vgpr6
	s_branch .LBB425_1087
.LBB425_1082:
	v_mov_b32_e32 v8, 0
	s_waitcnt vmcnt(0)
	v_mov_b32_e32 v6, 0
	s_branch .LBB425_1086
.LBB425_1083:
	s_waitcnt vmcnt(0)
	v_mov_b32_e32 v6, 0
                                        ; implicit-def: $vgpr8
	v_mov_b32_e32 v1, v6
	v_mov_b32_e32 v0, v12
	s_and_b32 s8, s37, 3
	s_cmp_eq_u32 s8, 0
	s_cbranch_scc1 .LBB425_1086
.LBB425_1084:
	s_lshl_b32 s4, s36, 3
	s_add_u32 s4, s34, s4
	s_addc_u32 s5, s35, 0
	s_add_u32 s4, s4, 0xc4
	s_addc_u32 s5, s5, 0
	s_mul_i32 s6, s36, 12
	s_add_u32 s6, s34, s6
	s_addc_u32 s7, s35, 0
.LBB425_1085:                           ; =>This Inner Loop Header: Depth=1
	s_load_dwordx2 s[10:11], s[6:7], 0x4
	s_load_dword s9, s[6:7], 0xc
	s_load_dwordx2 s[12:13], s[4:5], 0x0
	v_mov_b32_e32 v2, v1
	s_add_u32 s6, s6, 12
	s_waitcnt lgkmcnt(0)
	v_mul_hi_u32 v1, s11, v0
	v_add_u32_e32 v1, v0, v1
	v_lshrrev_b32_e32 v1, s9, v1
	s_addc_u32 s7, s7, 0
	v_mul_lo_u32 v3, v1, s10
	s_add_u32 s4, s4, 8
	v_sub_u32_e32 v3, v0, v3
	s_addc_u32 s5, s5, 0
	s_add_i32 s8, s8, -1
	v_mad_u64_u32 v[8:9], s[10:11], v3, s13, v[2:3]
	s_cmp_lg_u32 s8, 0
	v_mov_b32_e32 v0, v1
	v_mad_u64_u32 v[6:7], s[10:11], v3, s12, v[6:7]
	v_mov_b32_e32 v1, v8
	s_cbranch_scc1 .LBB425_1085
.LBB425_1086:
	s_cbranch_execnz .LBB425_1089
.LBB425_1087:
	s_load_dwordx4 s[4:7], s[34:35], 0x4
	s_load_dwordx2 s[8:9], s[34:35], 0xc4
	s_cmp_lt_u32 s33, 2
	s_waitcnt lgkmcnt(0)
	v_mul_hi_u32 v0, s5, v12
	v_add_u32_e32 v0, v12, v0
	v_lshrrev_b32_e32 v0, s6, v0
	v_mul_lo_u32 v1, v0, s4
	v_sub_u32_e32 v1, v12, v1
	v_mul_lo_u32 v8, v1, s9
	s_waitcnt vmcnt(0)
	v_mul_lo_u32 v6, v1, s8
	s_cbranch_scc1 .LBB425_1089
; %bb.1088:
	s_load_dwordx4 s[4:7], s[34:35], 0x10
	s_load_dwordx2 s[8:9], s[34:35], 0xcc
	s_waitcnt lgkmcnt(0)
	v_mul_hi_u32 v1, s5, v0
	v_add_u32_e32 v1, v0, v1
	v_lshrrev_b32_e32 v1, s6, v1
	v_mul_lo_u32 v1, v1, s4
	v_sub_u32_e32 v0, v0, v1
	v_mad_u64_u32 v[6:7], s[4:5], v0, s8, v[6:7]
	v_mad_u64_u32 v[8:9], s[4:5], v0, s9, v[8:9]
.LBB425_1089:
	s_and_b64 vcc, exec, s[2:3]
	v_add_u32_e32 v0, 0x80, v12
	s_cbranch_vccnz .LBB425_1095
; %bb.1090:
	s_cmp_lg_u32 s33, 0
	s_mov_b32 s36, 0
	s_cbranch_scc0 .LBB425_1096
; %bb.1091:
	s_min_u32 s37, s72, 15
	s_add_i32 s37, s37, 1
	s_cmp_eq_u32 s72, 2
	s_cbranch_scc1 .LBB425_1097
; %bb.1092:
	s_and_b32 s36, s37, 28
	s_add_u32 s28, s34, 0xc4
	s_addc_u32 s29, s35, 0
	s_mov_b32 s38, 0
	s_waitcnt vmcnt(0)
	v_mov_b32_e32 v4, 0
	v_mov_b32_e32 v10, 0
	s_mov_b64 s[30:31], s[34:35]
	v_mov_b32_e32 v2, v0
.LBB425_1093:                           ; =>This Inner Loop Header: Depth=1
	s_load_dwordx8 s[12:19], s[30:31], 0x4
	s_load_dwordx4 s[20:23], s[30:31], 0x24
	s_load_dwordx8 s[4:11], s[28:29], 0x0
	s_add_u32 s30, s30, 48
	s_addc_u32 s31, s31, 0
	s_waitcnt lgkmcnt(0)
	v_mul_hi_u32 v1, s13, v2
	v_add_u32_e32 v1, v2, v1
	v_lshrrev_b32_e32 v1, s14, v1
	v_mul_lo_u32 v3, v1, s12
	v_mul_hi_u32 v5, s16, v1
	v_sub_u32_e32 v2, v2, v3
	v_add_u32_e32 v3, v1, v5
	v_lshrrev_b32_e32 v3, s17, v3
	v_mul_lo_u32 v7, v3, s15
	v_mul_hi_u32 v9, s19, v3
	v_sub_u32_e32 v1, v1, v7
	v_add_u32_e32 v7, v3, v9
	v_mul_lo_u32 v5, v2, s5
	v_mul_lo_u32 v2, v2, s4
	;; [unrolled: 1-line block ×4, first 2 shown]
	v_lshrrev_b32_e32 v7, s20, v7
	v_add3_u32 v1, v2, v4, v1
	v_add3_u32 v4, v5, v10, v9
	v_mul_lo_u32 v2, v7, s18
	v_mul_hi_u32 v5, s22, v7
	v_sub_u32_e32 v2, v3, v2
	v_add_u32_e32 v3, v7, v5
	v_mul_lo_u32 v5, v2, s8
	v_mul_lo_u32 v9, v2, s9
	v_lshrrev_b32_e32 v2, s23, v3
	s_add_i32 s38, s38, 4
	v_mul_lo_u32 v3, v2, s21
	s_add_u32 s28, s28, 32
	v_sub_u32_e32 v3, v7, v3
	s_addc_u32 s29, s29, 0
	v_mul_lo_u32 v7, v3, s10
	v_mul_lo_u32 v3, v3, s11
	s_cmp_lg_u32 s36, s38
	v_add3_u32 v10, v9, v4, v3
	v_add3_u32 v4, v5, v1, v7
	s_cbranch_scc1 .LBB425_1093
; %bb.1094:
	v_mov_b32_e32 v1, v10
	s_and_b32 s8, s37, 3
	s_cmp_eq_u32 s8, 0
	s_cbranch_scc0 .LBB425_1098
	s_branch .LBB425_1100
.LBB425_1095:
                                        ; implicit-def: $vgpr10
                                        ; implicit-def: $vgpr4
	s_branch .LBB425_1101
.LBB425_1096:
	v_mov_b32_e32 v10, 0
	s_waitcnt vmcnt(0)
	v_mov_b32_e32 v4, 0
	s_branch .LBB425_1100
.LBB425_1097:
	s_waitcnt vmcnt(0)
	v_mov_b32_e32 v4, 0
                                        ; implicit-def: $vgpr10
	v_mov_b32_e32 v1, v4
	v_mov_b32_e32 v2, v0
	s_and_b32 s8, s37, 3
	s_cmp_eq_u32 s8, 0
	s_cbranch_scc1 .LBB425_1100
.LBB425_1098:
	s_lshl_b32 s4, s36, 3
	s_add_u32 s4, s34, s4
	s_addc_u32 s5, s35, 0
	s_add_u32 s4, s4, 0xc4
	s_addc_u32 s5, s5, 0
	s_mul_i32 s6, s36, 12
	s_add_u32 s6, s34, s6
	s_addc_u32 s7, s35, 0
.LBB425_1099:                           ; =>This Inner Loop Header: Depth=1
	s_load_dwordx2 s[10:11], s[6:7], 0x4
	s_load_dword s9, s[6:7], 0xc
	s_load_dwordx2 s[12:13], s[4:5], 0x0
	v_mov_b32_e32 v10, v1
	s_add_u32 s6, s6, 12
	s_waitcnt lgkmcnt(0)
	v_mul_hi_u32 v1, s11, v2
	v_add_u32_e32 v1, v2, v1
	v_lshrrev_b32_e32 v1, s9, v1
	s_addc_u32 s7, s7, 0
	v_mul_lo_u32 v3, v1, s10
	s_add_u32 s4, s4, 8
	v_sub_u32_e32 v3, v2, v3
	s_addc_u32 s5, s5, 0
	s_add_i32 s8, s8, -1
	v_mad_u64_u32 v[10:11], s[10:11], v3, s13, v[10:11]
	s_cmp_lg_u32 s8, 0
	v_mov_b32_e32 v2, v1
	v_mad_u64_u32 v[4:5], s[10:11], v3, s12, v[4:5]
	v_mov_b32_e32 v1, v10
	s_cbranch_scc1 .LBB425_1099
.LBB425_1100:
	s_cbranch_execnz .LBB425_1103
.LBB425_1101:
	s_load_dwordx4 s[4:7], s[34:35], 0x4
	s_load_dwordx2 s[8:9], s[34:35], 0xc4
	s_cmp_lt_u32 s33, 2
	s_waitcnt lgkmcnt(0)
	v_mul_hi_u32 v1, s5, v0
	v_add_u32_e32 v1, v0, v1
	v_lshrrev_b32_e32 v1, s6, v1
	v_mul_lo_u32 v2, v1, s4
	v_sub_u32_e32 v0, v0, v2
	v_mul_lo_u32 v10, v0, s9
	s_waitcnt vmcnt(0)
	v_mul_lo_u32 v4, v0, s8
	s_cbranch_scc1 .LBB425_1103
; %bb.1102:
	s_load_dwordx4 s[4:7], s[34:35], 0x10
	s_load_dwordx2 s[8:9], s[34:35], 0xcc
	s_waitcnt lgkmcnt(0)
	v_mul_hi_u32 v0, s5, v1
	v_add_u32_e32 v0, v1, v0
	v_lshrrev_b32_e32 v0, s6, v0
	v_mul_lo_u32 v0, v0, s4
	v_sub_u32_e32 v0, v1, v0
	v_mad_u64_u32 v[4:5], s[4:5], v0, s8, v[4:5]
	v_mad_u64_u32 v[10:11], s[4:5], v0, s9, v[10:11]
.LBB425_1103:
	s_and_b64 vcc, exec, s[2:3]
	v_add_u32_e32 v0, 0x100, v12
	s_cbranch_vccnz .LBB425_1109
; %bb.1104:
	s_cmp_lg_u32 s33, 0
	s_mov_b32 s36, 0
	s_cbranch_scc0 .LBB425_1110
; %bb.1105:
	s_min_u32 s37, s72, 15
	s_add_i32 s37, s37, 1
	s_cmp_eq_u32 s72, 2
	s_cbranch_scc1 .LBB425_1111
; %bb.1106:
	s_and_b32 s36, s37, 28
	s_add_u32 s28, s34, 0xc4
	s_addc_u32 s29, s35, 0
	s_mov_b32 s38, 0
	v_mov_b32_e32 v2, 0
	v_mov_b32_e32 v12, 0
	s_mov_b64 s[30:31], s[34:35]
	s_waitcnt vmcnt(0)
	v_mov_b32_e32 v5, v0
.LBB425_1107:                           ; =>This Inner Loop Header: Depth=1
	s_load_dwordx8 s[12:19], s[30:31], 0x4
	s_load_dwordx4 s[20:23], s[30:31], 0x24
	s_load_dwordx8 s[4:11], s[28:29], 0x0
	s_add_u32 s30, s30, 48
	s_addc_u32 s31, s31, 0
	s_waitcnt lgkmcnt(0)
	v_mul_hi_u32 v1, s13, v5
	v_add_u32_e32 v1, v5, v1
	v_lshrrev_b32_e32 v1, s14, v1
	v_mul_lo_u32 v3, v1, s12
	v_mul_hi_u32 v7, s16, v1
	v_sub_u32_e32 v3, v5, v3
	v_add_u32_e32 v5, v1, v7
	v_lshrrev_b32_e32 v5, s17, v5
	v_mul_lo_u32 v9, v5, s15
	v_mul_hi_u32 v11, s19, v5
	v_sub_u32_e32 v1, v1, v9
	v_add_u32_e32 v9, v5, v11
	v_mul_lo_u32 v7, v3, s5
	v_mul_lo_u32 v3, v3, s4
	;; [unrolled: 1-line block ×4, first 2 shown]
	v_lshrrev_b32_e32 v9, s20, v9
	v_add3_u32 v1, v3, v2, v1
	v_add3_u32 v2, v7, v12, v11
	v_mul_lo_u32 v3, v9, s18
	v_mul_hi_u32 v7, s22, v9
	v_sub_u32_e32 v3, v5, v3
	v_add_u32_e32 v5, v9, v7
	v_lshrrev_b32_e32 v5, s23, v5
	s_add_i32 s38, s38, 4
	v_mul_lo_u32 v11, v5, s21
	s_add_u32 s28, s28, 32
	v_sub_u32_e32 v9, v9, v11
	s_addc_u32 s29, s29, 0
	v_mul_lo_u32 v7, v3, s8
	v_mul_lo_u32 v3, v3, s9
	;; [unrolled: 1-line block ×4, first 2 shown]
	s_cmp_lg_u32 s36, s38
	v_add3_u32 v12, v3, v2, v9
	v_add3_u32 v2, v7, v1, v11
	s_cbranch_scc1 .LBB425_1107
; %bb.1108:
	v_mov_b32_e32 v1, v12
	s_and_b32 s8, s37, 3
	s_cmp_eq_u32 s8, 0
	s_cbranch_scc0 .LBB425_1112
	s_branch .LBB425_1114
.LBB425_1109:
                                        ; implicit-def: $vgpr12
                                        ; implicit-def: $vgpr2
	s_branch .LBB425_1115
.LBB425_1110:
	v_mov_b32_e32 v12, 0
	v_mov_b32_e32 v2, 0
	s_branch .LBB425_1114
.LBB425_1111:
	v_mov_b32_e32 v2, 0
                                        ; implicit-def: $vgpr12
	v_mov_b32_e32 v1, v2
	s_waitcnt vmcnt(0)
	v_mov_b32_e32 v5, v0
	s_and_b32 s8, s37, 3
	s_cmp_eq_u32 s8, 0
	s_cbranch_scc1 .LBB425_1114
.LBB425_1112:
	s_lshl_b32 s4, s36, 3
	s_add_u32 s4, s34, s4
	s_addc_u32 s5, s35, 0
	s_add_u32 s4, s4, 0xc4
	s_addc_u32 s5, s5, 0
	s_mul_i32 s6, s36, 12
	s_add_u32 s6, s34, s6
	s_addc_u32 s7, s35, 0
.LBB425_1113:                           ; =>This Inner Loop Header: Depth=1
	s_load_dwordx2 s[10:11], s[6:7], 0x4
	s_load_dword s9, s[6:7], 0xc
	s_load_dwordx2 s[12:13], s[4:5], 0x0
	v_mov_b32_e32 v12, v1
	s_add_u32 s6, s6, 12
	s_waitcnt lgkmcnt(0)
	v_mul_hi_u32 v1, s11, v5
	v_add_u32_e32 v1, v5, v1
	v_lshrrev_b32_e32 v1, s9, v1
	s_addc_u32 s7, s7, 0
	v_mul_lo_u32 v3, v1, s10
	s_add_u32 s4, s4, 8
	v_sub_u32_e32 v3, v5, v3
	s_addc_u32 s5, s5, 0
	s_add_i32 s8, s8, -1
	v_mad_u64_u32 v[12:13], s[10:11], v3, s13, v[12:13]
	s_cmp_lg_u32 s8, 0
	v_mov_b32_e32 v5, v1
	v_mad_u64_u32 v[2:3], s[10:11], v3, s12, v[2:3]
	v_mov_b32_e32 v1, v12
	s_cbranch_scc1 .LBB425_1113
.LBB425_1114:
	s_cbranch_execnz .LBB425_1117
.LBB425_1115:
	s_load_dwordx4 s[4:7], s[34:35], 0x4
	s_load_dwordx2 s[8:9], s[34:35], 0xc4
	s_cmp_lt_u32 s33, 2
	s_waitcnt lgkmcnt(0)
	v_mul_hi_u32 v1, s5, v0
	v_add_u32_e32 v1, v0, v1
	v_lshrrev_b32_e32 v1, s6, v1
	v_mul_lo_u32 v2, v1, s4
	v_sub_u32_e32 v0, v0, v2
	v_mul_lo_u32 v12, v0, s9
	v_mul_lo_u32 v2, v0, s8
	s_cbranch_scc1 .LBB425_1117
; %bb.1116:
	s_load_dwordx4 s[4:7], s[34:35], 0x10
	s_load_dwordx2 s[8:9], s[34:35], 0xcc
	s_waitcnt lgkmcnt(0)
	v_mul_hi_u32 v0, s5, v1
	v_add_u32_e32 v0, v1, v0
	v_lshrrev_b32_e32 v0, s6, v0
	v_mul_lo_u32 v0, v0, s4
	v_sub_u32_e32 v0, v1, v0
	v_mad_u64_u32 v[2:3], s[4:5], v0, s8, v[2:3]
	v_mad_u64_u32 v[12:13], s[4:5], v0, s9, v[12:13]
.LBB425_1117:
	s_and_b64 vcc, exec, s[2:3]
	s_cbranch_vccnz .LBB425_1123
; %bb.1118:
	s_cmp_lg_u32 s33, 0
	s_mov_b32 s30, 0
	s_cbranch_scc0 .LBB425_1124
; %bb.1119:
	s_min_u32 s31, s72, 15
	s_add_i32 s31, s31, 1
	s_cmp_eq_u32 s72, 2
	s_cbranch_scc1 .LBB425_1125
; %bb.1120:
	s_and_b32 s30, s31, 28
	s_add_u32 s2, s34, 0xc4
	s_addc_u32 s3, s35, 0
	s_mov_b32 s36, 0
	v_mov_b32_e32 v0, 0
	v_mov_b32_e32 v14, 0
	s_mov_b64 s[28:29], s[34:35]
	v_mov_b32_e32 v3, v16
.LBB425_1121:                           ; =>This Inner Loop Header: Depth=1
	s_load_dwordx8 s[12:19], s[28:29], 0x4
	s_load_dwordx4 s[20:23], s[28:29], 0x24
	s_load_dwordx8 s[4:11], s[2:3], 0x0
	s_add_u32 s28, s28, 48
	s_addc_u32 s29, s29, 0
	s_waitcnt lgkmcnt(0)
	v_mul_hi_u32 v1, s13, v3
	v_add_u32_e32 v1, v3, v1
	v_lshrrev_b32_e32 v1, s14, v1
	s_waitcnt vmcnt(0)
	v_mul_lo_u32 v5, v1, s12
	v_mul_hi_u32 v7, s16, v1
	v_sub_u32_e32 v3, v3, v5
	v_add_u32_e32 v5, v1, v7
	v_lshrrev_b32_e32 v5, s17, v5
	v_mul_lo_u32 v9, v5, s15
	v_mul_hi_u32 v11, s19, v5
	v_sub_u32_e32 v1, v1, v9
	v_add_u32_e32 v9, v5, v11
	v_mul_lo_u32 v7, v3, s5
	v_mul_lo_u32 v3, v3, s4
	;; [unrolled: 1-line block ×4, first 2 shown]
	v_lshrrev_b32_e32 v9, s20, v9
	v_add3_u32 v0, v3, v0, v1
	v_add3_u32 v1, v7, v14, v11
	v_mul_lo_u32 v3, v9, s18
	v_mul_hi_u32 v7, s22, v9
	v_sub_u32_e32 v3, v5, v3
	v_add_u32_e32 v5, v9, v7
	v_mul_lo_u32 v7, v3, s8
	v_mul_lo_u32 v11, v3, s9
	v_lshrrev_b32_e32 v3, s23, v5
	s_add_i32 s36, s36, 4
	v_mul_lo_u32 v5, v3, s21
	s_add_u32 s2, s2, 32
	v_sub_u32_e32 v5, v9, v5
	s_addc_u32 s3, s3, 0
	v_mul_lo_u32 v9, v5, s10
	v_mul_lo_u32 v5, v5, s11
	s_cmp_lg_u32 s30, s36
	v_add3_u32 v14, v11, v1, v5
	v_add3_u32 v0, v7, v0, v9
	s_cbranch_scc1 .LBB425_1121
; %bb.1122:
	v_mov_b32_e32 v1, v14
	s_and_b32 s6, s31, 3
	s_cmp_eq_u32 s6, 0
	s_cbranch_scc0 .LBB425_1126
	s_branch .LBB425_1128
.LBB425_1123:
                                        ; implicit-def: $vgpr14
                                        ; implicit-def: $vgpr0
	s_branch .LBB425_1129
.LBB425_1124:
	v_mov_b32_e32 v14, 0
	v_mov_b32_e32 v0, 0
	s_branch .LBB425_1128
.LBB425_1125:
	v_mov_b32_e32 v0, 0
                                        ; implicit-def: $vgpr14
	v_mov_b32_e32 v1, v0
	v_mov_b32_e32 v3, v16
	s_and_b32 s6, s31, 3
	s_cmp_eq_u32 s6, 0
	s_cbranch_scc1 .LBB425_1128
.LBB425_1126:
	s_lshl_b32 s2, s30, 3
	s_add_u32 s2, s34, s2
	s_addc_u32 s3, s35, 0
	s_add_u32 s2, s2, 0xc4
	s_addc_u32 s3, s3, 0
	s_mul_i32 s4, s30, 12
	s_add_u32 s4, s34, s4
	s_addc_u32 s5, s35, 0
.LBB425_1127:                           ; =>This Inner Loop Header: Depth=1
	s_load_dwordx2 s[8:9], s[4:5], 0x4
	s_load_dword s7, s[4:5], 0xc
	s_load_dwordx2 s[10:11], s[2:3], 0x0
	v_mov_b32_e32 v14, v1
	s_add_u32 s4, s4, 12
	s_waitcnt lgkmcnt(0)
	v_mul_hi_u32 v1, s9, v3
	v_add_u32_e32 v1, v3, v1
	v_lshrrev_b32_e32 v1, s7, v1
	s_addc_u32 s5, s5, 0
	s_waitcnt vmcnt(0)
	v_mul_lo_u32 v5, v1, s8
	s_add_u32 s2, s2, 8
	v_sub_u32_e32 v5, v3, v5
	s_addc_u32 s3, s3, 0
	s_add_i32 s6, s6, -1
	v_mov_b32_e32 v3, v1
	v_mad_u64_u32 v[14:15], s[8:9], v5, s11, v[14:15]
	v_mad_u64_u32 v[0:1], s[8:9], v5, s10, v[0:1]
	s_cmp_lg_u32 s6, 0
	v_mov_b32_e32 v1, v14
	s_cbranch_scc1 .LBB425_1127
.LBB425_1128:
	s_cbranch_execnz .LBB425_1131
.LBB425_1129:
	s_load_dwordx4 s[4:7], s[34:35], 0x4
	s_load_dwordx2 s[2:3], s[34:35], 0xc4
	s_cmp_lt_u32 s33, 2
	s_waitcnt lgkmcnt(0)
	v_mul_hi_u32 v0, s5, v16
	v_add_u32_e32 v0, v16, v0
	v_lshrrev_b32_e32 v1, s6, v0
	v_mul_lo_u32 v0, v1, s4
	v_sub_u32_e32 v0, v16, v0
	v_mul_lo_u32 v14, v0, s3
	v_mul_lo_u32 v0, v0, s2
	s_cbranch_scc1 .LBB425_1131
; %bb.1130:
	s_load_dwordx4 s[4:7], s[34:35], 0x10
	s_load_dwordx2 s[2:3], s[34:35], 0xcc
	s_waitcnt lgkmcnt(0)
	v_mul_hi_u32 v3, s5, v1
	v_add_u32_e32 v3, v1, v3
	v_lshrrev_b32_e32 v3, s6, v3
	v_mul_lo_u32 v3, v3, s4
	v_sub_u32_e32 v3, v1, v3
	v_mad_u64_u32 v[0:1], s[4:5], v3, s2, v[0:1]
	v_mad_u64_u32 v[14:15], s[2:3], v3, s3, v[14:15]
.LBB425_1131:
	s_load_dword s14, s[0:1], 0x160
	s_load_dwordx4 s[4:7], s[34:35], 0x148
	v_mov_b32_e32 v9, 0
	s_waitcnt lgkmcnt(0)
	s_bfe_u32 s12, s14, 0x80010
	s_cmp_lt_i32 s12, 11
	v_lshl_add_u64 v[16:17], s[6:7], 0, v[8:9]
	s_cbranch_scc1 .LBB425_1138
; %bb.1132:
	s_and_b32 s13, 0xffff, s12
	s_cmp_gt_i32 s13, 25
	s_mov_b64 s[8:9], 0
	s_cbranch_scc0 .LBB425_1140
; %bb.1133:
	s_cmp_gt_i32 s13, 28
	s_cbranch_scc0 .LBB425_1141
; %bb.1134:
	s_cmp_gt_i32 s13, 43
	;; [unrolled: 3-line block ×3, first 2 shown]
	s_cbranch_scc0 .LBB425_1143
; %bb.1136:
	s_cmp_eq_u32 s13, 46
	s_mov_b64 s[2:3], 0
	s_cbranch_scc0 .LBB425_1146
; %bb.1137:
	global_load_dword v1, v[16:17], off
	s_mov_b32 s0, 0x2f800000
	s_mov_b32 s1, 0xcf800000
	s_mov_b64 s[10:11], -1
	s_waitcnt vmcnt(0)
	v_lshlrev_b32_e32 v1, 16, v1
	v_trunc_f32_e32 v1, v1
	v_mul_f32_e64 v3, |v1|, s0
	v_floor_f32_e32 v3, v3
	v_fma_f32 v3, v3, s1, |v1|
	v_cvt_u32_f32_e32 v3, v3
	v_ashrrev_i32_e32 v1, 31, v1
	s_mov_b64 s[0:1], 0
	v_xor_b32_e32 v3, v3, v1
	v_sub_u32_e32 v8, v3, v1
	s_branch .LBB425_1147
.LBB425_1138:
	s_mov_b64 s[10:11], 0
                                        ; implicit-def: $vgpr8
	s_mov_b64 s[2:3], s[24:25]
	s_cbranch_execnz .LBB425_1205
.LBB425_1139:
	s_andn2_b64 vcc, exec, s[10:11]
	s_cbranch_vccz .LBB425_1250
	s_branch .LBB425_2059
.LBB425_1140:
	s_mov_b64 s[10:11], 0
	s_mov_b64 s[0:1], 0
                                        ; implicit-def: $vgpr8
	s_cbranch_execnz .LBB425_1172
	s_branch .LBB425_1201
.LBB425_1141:
	s_mov_b64 s[10:11], 0
	s_mov_b64 s[0:1], 0
                                        ; implicit-def: $vgpr8
	s_cbranch_execz .LBB425_1171
	s_branch .LBB425_1156
.LBB425_1142:
	s_mov_b64 s[10:11], 0
	s_mov_b64 s[0:1], 0
                                        ; implicit-def: $vgpr8
	s_cbranch_execnz .LBB425_1152
	s_branch .LBB425_1155
.LBB425_1143:
	s_mov_b64 s[2:3], -1
	s_mov_b64 s[10:11], 0
	s_mov_b64 s[0:1], 0
                                        ; implicit-def: $vgpr8
	s_branch .LBB425_1147
.LBB425_1144:
	s_andn2_saveexec_b64 s[12:13], s[12:13]
	s_cbranch_execz .LBB425_983
.LBB425_1145:
	v_add_f32_e32 v0, 0x46000000, v1
	v_and_b32_e32 v0, 0xff, v0
	v_cmp_ne_u32_e32 vcc, 0, v0
	s_andn2_b64 s[10:11], s[10:11], exec
	s_and_b64 s[14:15], vcc, exec
	s_or_b64 s[10:11], s[10:11], s[14:15]
	s_or_b64 exec, exec, s[12:13]
	v_mov_b32_e32 v3, 0
	s_and_saveexec_b64 s[12:13], s[10:11]
	s_cbranch_execnz .LBB425_984
	s_branch .LBB425_985
.LBB425_1146:
	s_mov_b64 s[0:1], -1
                                        ; implicit-def: $vgpr8
	s_mov_b64 s[10:11], 0
.LBB425_1147:
	s_and_b64 vcc, exec, s[2:3]
	s_cbranch_vccz .LBB425_1150
; %bb.1148:
	s_cmp_eq_u32 s13, 44
	s_cbranch_scc0 .LBB425_1151
; %bb.1149:
	global_load_ubyte v1, v[16:17], off
	s_mov_b32 s0, 0x2f800000
	s_mov_b32 s1, 0xcf800000
	s_mov_b64 s[10:11], -1
	s_waitcnt vmcnt(0)
	v_lshlrev_b32_e32 v3, 23, v1
	v_trunc_f32_e32 v3, v3
	v_mul_f32_e64 v5, |v3|, s0
	v_floor_f32_e32 v5, v5
	v_fma_f32 v5, v5, s1, |v3|
	v_cvt_u32_f32_e32 v5, v5
	v_ashrrev_i32_e32 v3, 31, v3
	v_cmp_ne_u32_e32 vcc, 0, v1
	s_mov_b64 s[0:1], 0
	v_xor_b32_e32 v5, v5, v3
	v_sub_u32_e32 v3, v5, v3
	v_cndmask_b32_e32 v8, 0, v3, vcc
.LBB425_1150:
	s_branch .LBB425_1155
.LBB425_1151:
	s_mov_b64 s[0:1], -1
                                        ; implicit-def: $vgpr8
	s_branch .LBB425_1155
.LBB425_1152:
	s_cmp_eq_u32 s13, 29
	s_cbranch_scc0 .LBB425_1154
; %bb.1153:
	global_load_dwordx2 v[8:9], v[16:17], off
	s_mov_b64 s[0:1], 0
	s_mov_b64 s[10:11], -1
	s_branch .LBB425_1155
.LBB425_1154:
	s_mov_b64 s[0:1], -1
                                        ; implicit-def: $vgpr8
.LBB425_1155:
	s_branch .LBB425_1171
.LBB425_1156:
	s_cmp_lt_i32 s13, 27
	s_cbranch_scc1 .LBB425_1159
; %bb.1157:
	s_cmp_gt_i32 s13, 27
	s_cbranch_scc0 .LBB425_1160
; %bb.1158:
	global_load_dword v8, v[16:17], off
	s_mov_b64 s[2:3], 0
	s_branch .LBB425_1161
.LBB425_1159:
	s_mov_b64 s[2:3], -1
                                        ; implicit-def: $vgpr8
	s_branch .LBB425_1164
.LBB425_1160:
	s_mov_b64 s[2:3], -1
                                        ; implicit-def: $vgpr8
.LBB425_1161:
	s_andn2_b64 vcc, exec, s[2:3]
	s_cbranch_vccnz .LBB425_1163
; %bb.1162:
	global_load_ushort v8, v[16:17], off
.LBB425_1163:
	s_mov_b64 s[2:3], 0
.LBB425_1164:
	s_andn2_b64 vcc, exec, s[2:3]
	s_cbranch_vccnz .LBB425_1170
; %bb.1165:
	global_load_ubyte v1, v[16:17], off
	s_movk_i32 s2, 0x7f
	s_mov_b64 s[10:11], 0
	s_waitcnt vmcnt(0)
	v_cmp_lt_i16_e32 vcc, s2, v1
	s_and_saveexec_b64 s[2:3], vcc
	s_xor_b64 s[2:3], exec, s[2:3]
	s_cbranch_execz .LBB425_1181
; %bb.1166:
	s_movk_i32 s10, 0x80
	v_cmp_ne_u16_e32 vcc, s10, v1
	s_and_b64 s[10:11], vcc, exec
	s_andn2_saveexec_b64 s[2:3], s[2:3]
	s_cbranch_execnz .LBB425_1182
.LBB425_1167:
	s_or_b64 exec, exec, s[2:3]
	v_mov_b32_e32 v8, 0
	s_and_saveexec_b64 s[2:3], s[10:11]
	s_cbranch_execz .LBB425_1169
.LBB425_1168:
	v_lshlrev_b32_e32 v3, 24, v1
	v_and_b32_e32 v1, 0xffff, v1
	v_and_b32_e32 v5, 7, v1
	v_ffbh_u32_e32 v8, v5
	v_min_u32_e32 v8, 32, v8
	v_subrev_u32_e32 v9, 28, v8
	v_bfe_u32 v7, v1, 3, 4
	v_lshlrev_b32_e32 v1, v9, v1
	v_sub_u32_e32 v8, 29, v8
	v_and_b32_e32 v1, 7, v1
	v_cmp_eq_u32_e32 vcc, 0, v7
	v_and_b32_e32 v3, 0x80000000, v3
	s_mov_b32 s10, 0x2f800000
	v_cndmask_b32_e32 v7, v7, v8, vcc
	v_cndmask_b32_e32 v1, v5, v1, vcc
	v_mov_b32_e32 v5, 0x3b800000
	v_lshlrev_b32_e32 v1, 20, v1
	v_lshl_add_u32 v5, v7, 23, v5
	v_or3_b32 v1, v3, v5, v1
	v_trunc_f32_e32 v1, v1
	v_mul_f32_e64 v3, |v1|, s10
	v_floor_f32_e32 v3, v3
	s_mov_b32 s10, 0xcf800000
	v_fma_f32 v3, v3, s10, |v1|
	v_cvt_u32_f32_e32 v3, v3
	v_ashrrev_i32_e32 v1, 31, v1
	v_xor_b32_e32 v3, v3, v1
	v_sub_u32_e32 v8, v3, v1
.LBB425_1169:
	s_or_b64 exec, exec, s[2:3]
.LBB425_1170:
	s_mov_b64 s[10:11], -1
.LBB425_1171:
	s_branch .LBB425_1201
.LBB425_1172:
	s_cmp_gt_i32 s13, 22
	s_cbranch_scc0 .LBB425_1180
; %bb.1173:
	s_cmp_lt_i32 s13, 24
	s_cbranch_scc1 .LBB425_1183
; %bb.1174:
	s_cmp_gt_i32 s13, 24
	s_cbranch_scc0 .LBB425_1184
; %bb.1175:
	global_load_ubyte v1, v[16:17], off
	s_movk_i32 s2, 0x7f
	s_waitcnt vmcnt(0)
	v_cmp_lt_i16_e32 vcc, s2, v1
	s_and_saveexec_b64 s[2:3], vcc
	s_xor_b64 s[2:3], exec, s[2:3]
	s_cbranch_execz .LBB425_1195
; %bb.1176:
	s_movk_i32 s8, 0x80
	v_cmp_ne_u16_e32 vcc, s8, v1
	s_and_b64 s[8:9], vcc, exec
	s_andn2_saveexec_b64 s[2:3], s[2:3]
	s_cbranch_execnz .LBB425_1196
.LBB425_1177:
	s_or_b64 exec, exec, s[2:3]
	v_mov_b32_e32 v8, 0
	s_and_saveexec_b64 s[2:3], s[8:9]
	s_cbranch_execz .LBB425_1179
.LBB425_1178:
	v_lshlrev_b32_e32 v3, 24, v1
	v_and_b32_e32 v1, 0xffff, v1
	v_and_b32_e32 v5, 3, v1
	v_ffbh_u32_e32 v8, v5
	v_min_u32_e32 v8, 32, v8
	v_subrev_u32_e32 v9, 29, v8
	v_bfe_u32 v7, v1, 2, 5
	v_lshlrev_b32_e32 v1, v9, v1
	v_sub_u32_e32 v8, 30, v8
	v_and_b32_e32 v1, 3, v1
	v_cmp_eq_u32_e32 vcc, 0, v7
	v_and_b32_e32 v3, 0x80000000, v3
	s_mov_b32 s8, 0x2f800000
	v_cndmask_b32_e32 v7, v7, v8, vcc
	v_cndmask_b32_e32 v1, v5, v1, vcc
	v_mov_b32_e32 v5, 0x37800000
	v_lshlrev_b32_e32 v1, 21, v1
	v_lshl_add_u32 v5, v7, 23, v5
	v_or3_b32 v1, v3, v5, v1
	v_trunc_f32_e32 v1, v1
	v_mul_f32_e64 v3, |v1|, s8
	v_floor_f32_e32 v3, v3
	s_mov_b32 s8, 0xcf800000
	v_fma_f32 v3, v3, s8, |v1|
	v_cvt_u32_f32_e32 v3, v3
	v_ashrrev_i32_e32 v1, 31, v1
	v_xor_b32_e32 v3, v3, v1
	v_sub_u32_e32 v8, v3, v1
.LBB425_1179:
	s_or_b64 exec, exec, s[2:3]
	s_mov_b64 s[2:3], 0
	s_branch .LBB425_1185
.LBB425_1180:
                                        ; implicit-def: $vgpr8
	s_mov_b64 s[8:9], 0
	s_branch .LBB425_1191
.LBB425_1181:
	s_andn2_saveexec_b64 s[2:3], s[2:3]
	s_cbranch_execz .LBB425_1167
.LBB425_1182:
	v_cmp_ne_u16_e32 vcc, 0, v1
	s_andn2_b64 s[10:11], s[10:11], exec
	s_and_b64 s[16:17], vcc, exec
	s_or_b64 s[10:11], s[10:11], s[16:17]
	s_or_b64 exec, exec, s[2:3]
	v_mov_b32_e32 v8, 0
	s_and_saveexec_b64 s[2:3], s[10:11]
	s_cbranch_execnz .LBB425_1168
	s_branch .LBB425_1169
.LBB425_1183:
	s_mov_b64 s[2:3], -1
                                        ; implicit-def: $vgpr8
	s_branch .LBB425_1188
.LBB425_1184:
	s_mov_b64 s[2:3], -1
                                        ; implicit-def: $vgpr8
.LBB425_1185:
	s_and_b64 vcc, exec, s[2:3]
	s_cbranch_vccz .LBB425_1187
; %bb.1186:
	global_load_ubyte v1, v[16:17], off
	s_mov_b32 s2, 0x7f800000
	s_brev_b32 s3, 1
	s_mov_b32 s8, 0x2f800000
	s_waitcnt vmcnt(0)
	v_lshlrev_b32_e32 v1, 24, v1
	v_and_b32_e32 v3, 0x7f000000, v1
	v_ffbh_u32_e32 v5, v3
	v_min_u32_e32 v5, 32, v5
	v_sub_u32_e64 v5, v5, 4 clamp
	v_lshlrev_b32_e32 v8, v5, v3
	v_lshlrev_b32_e32 v5, 23, v5
	v_lshrrev_b32_e32 v8, 4, v8
	v_add_u32_e32 v7, 0x1000000, v3
	v_sub_u32_e32 v5, v8, v5
	v_ashrrev_i32_e32 v7, 8, v7
	v_add_u32_e32 v5, 0x3c000000, v5
	v_and_or_b32 v5, v7, s2, v5
	v_cmp_ne_u32_e32 vcc, 0, v3
	s_mov_b32 s2, 0xcf800000
	s_nop 0
	v_cndmask_b32_e32 v3, 0, v5, vcc
	v_and_or_b32 v1, v1, s3, v3
	v_trunc_f32_e32 v1, v1
	v_mul_f32_e64 v3, |v1|, s8
	v_floor_f32_e32 v3, v3
	v_fma_f32 v3, v3, s2, |v1|
	v_cvt_u32_f32_e32 v3, v3
	v_ashrrev_i32_e32 v1, 31, v1
	v_xor_b32_e32 v3, v3, v1
	v_sub_u32_e32 v8, v3, v1
.LBB425_1187:
	s_mov_b64 s[2:3], 0
.LBB425_1188:
	s_andn2_b64 vcc, exec, s[2:3]
	s_cbranch_vccnz .LBB425_1190
; %bb.1189:
	global_load_ubyte v1, v[16:17], off
	s_movk_i32 s2, 0x7f00
	s_brev_b32 s3, 16
	s_brev_b32 s8, 1
	s_mov_b32 s9, 0x2f800000
	s_waitcnt vmcnt(0)
	v_lshlrev_b16_e32 v3, 8, v1
	v_lshlrev_b32_e32 v1, 25, v1
	v_lshrrev_b32_e32 v5, 4, v1
	v_and_or_b32 v7, v3, s2, 0.5
	v_or_b32_e32 v5, 0x70000000, v5
	v_add_f32_e32 v7, -0.5, v7
	v_mul_f32_e32 v5, 0x7800000, v5
	v_cmp_gt_u32_e32 vcc, s3, v1
	v_bfe_i32 v3, v3, 0, 16
	s_mov_b32 s2, 0xcf800000
	v_cndmask_b32_e32 v1, v5, v7, vcc
	v_and_or_b32 v1, v3, s8, v1
	v_trunc_f32_e32 v1, v1
	v_mul_f32_e64 v3, |v1|, s9
	v_floor_f32_e32 v3, v3
	v_fma_f32 v3, v3, s2, |v1|
	v_cvt_u32_f32_e32 v3, v3
	v_ashrrev_i32_e32 v1, 31, v1
	v_xor_b32_e32 v3, v3, v1
	v_sub_u32_e32 v8, v3, v1
.LBB425_1190:
	s_mov_b64 s[10:11], -1
	s_mov_b64 s[8:9], 0
	s_cbranch_execnz .LBB425_1201
.LBB425_1191:
	s_cmp_gt_i32 s13, 14
	s_cbranch_scc0 .LBB425_1194
; %bb.1192:
	s_cmp_eq_u32 s13, 15
	s_cbranch_scc0 .LBB425_1197
; %bb.1193:
	global_load_ushort v1, v[16:17], off
	s_mov_b32 s0, 0x2f800000
	s_mov_b32 s1, 0xcf800000
	s_mov_b64 s[10:11], -1
	s_waitcnt vmcnt(0)
	v_lshlrev_b32_e32 v1, 16, v1
	v_trunc_f32_e32 v1, v1
	v_mul_f32_e64 v3, |v1|, s0
	v_floor_f32_e32 v3, v3
	v_fma_f32 v3, v3, s1, |v1|
	v_cvt_u32_f32_e32 v3, v3
	v_ashrrev_i32_e32 v1, 31, v1
	s_mov_b64 s[0:1], 0
	v_xor_b32_e32 v3, v3, v1
	v_sub_u32_e32 v8, v3, v1
	s_branch .LBB425_1198
.LBB425_1194:
	s_mov_b64 s[2:3], -1
                                        ; implicit-def: $vgpr8
	s_branch .LBB425_1199
.LBB425_1195:
	s_andn2_saveexec_b64 s[2:3], s[2:3]
	s_cbranch_execz .LBB425_1177
.LBB425_1196:
	v_cmp_ne_u16_e32 vcc, 0, v1
	s_andn2_b64 s[8:9], s[8:9], exec
	s_and_b64 s[10:11], vcc, exec
	s_or_b64 s[8:9], s[8:9], s[10:11]
	s_or_b64 exec, exec, s[2:3]
	v_mov_b32_e32 v8, 0
	s_and_saveexec_b64 s[2:3], s[8:9]
	s_cbranch_execnz .LBB425_1178
	s_branch .LBB425_1179
.LBB425_1197:
	s_mov_b64 s[0:1], -1
                                        ; implicit-def: $vgpr8
.LBB425_1198:
	s_mov_b64 s[2:3], 0
.LBB425_1199:
	s_and_b64 vcc, exec, s[2:3]
	s_cbranch_vccz .LBB425_1201
; %bb.1200:
	s_cmp_lg_u32 s13, 11
	s_mov_b64 s[8:9], -1
	s_cselect_b64 s[0:1], -1, 0
.LBB425_1201:
	s_and_b64 vcc, exec, s[0:1]
	s_mov_b64 s[2:3], s[24:25]
	s_cbranch_vccnz .LBB425_1262
; %bb.1202:
	s_andn2_b64 vcc, exec, s[8:9]
	s_cbranch_vccnz .LBB425_1204
.LBB425_1203:
	global_load_ubyte v1, v[16:17], off
	s_mov_b64 s[10:11], -1
	s_waitcnt vmcnt(0)
	v_cmp_ne_u16_e32 vcc, 0, v1
	s_nop 1
	v_cndmask_b32_e64 v8, 0, 1, vcc
.LBB425_1204:
	s_branch .LBB425_1139
.LBB425_1205:
	s_and_b32 s8, 0xffff, s12
	s_cmp_lt_i32 s8, 5
	s_cbranch_scc1 .LBB425_1210
; %bb.1206:
	s_cmp_lt_i32 s8, 8
	s_cbranch_scc1 .LBB425_1211
; %bb.1207:
	;; [unrolled: 3-line block ×3, first 2 shown]
	s_cmp_gt_i32 s8, 9
	s_cbranch_scc0 .LBB425_1213
; %bb.1209:
	global_load_dwordx2 v[8:9], v[16:17], off
	s_movk_i32 s0, 0xffe0
	s_waitcnt vmcnt(0)
	v_trunc_f64_e32 v[8:9], v[8:9]
	v_ldexp_f64 v[18:19], v[8:9], s0
	v_floor_f64_e32 v[18:19], v[18:19]
	v_fmac_f64_e32 v[8:9], 0xc1f00000, v[18:19]
	v_cvt_u32_f64_e32 v8, v[8:9]
	s_mov_b64 s[0:1], 0
	s_branch .LBB425_1214
.LBB425_1210:
                                        ; implicit-def: $vgpr8
	s_branch .LBB425_1231
.LBB425_1211:
                                        ; implicit-def: $vgpr8
	s_branch .LBB425_1220
.LBB425_1212:
	s_mov_b64 s[0:1], -1
                                        ; implicit-def: $vgpr8
	s_branch .LBB425_1217
.LBB425_1213:
	s_mov_b64 s[0:1], -1
                                        ; implicit-def: $vgpr8
.LBB425_1214:
	s_andn2_b64 vcc, exec, s[0:1]
	s_cbranch_vccnz .LBB425_1216
; %bb.1215:
	global_load_dword v1, v[16:17], off
	s_mov_b32 s0, 0x2f800000
	s_waitcnt vmcnt(0)
	v_trunc_f32_e32 v1, v1
	v_mul_f32_e64 v3, |v1|, s0
	v_floor_f32_e32 v3, v3
	s_mov_b32 s0, 0xcf800000
	v_fma_f32 v3, v3, s0, |v1|
	v_cvt_u32_f32_e32 v3, v3
	v_ashrrev_i32_e32 v1, 31, v1
	v_xor_b32_e32 v3, v3, v1
	v_sub_u32_e32 v8, v3, v1
.LBB425_1216:
	s_mov_b64 s[0:1], 0
.LBB425_1217:
	s_andn2_b64 vcc, exec, s[0:1]
	s_cbranch_vccnz .LBB425_1219
; %bb.1218:
	global_load_dword v1, v[16:17], off
	s_waitcnt vmcnt(0)
	v_cvt_f32_f16_e32 v1, v1
	v_cvt_i32_f32_e32 v8, v1
.LBB425_1219:
	s_cbranch_execnz .LBB425_1230
.LBB425_1220:
	s_cmp_lt_i32 s8, 6
	s_cbranch_scc1 .LBB425_1223
; %bb.1221:
	s_cmp_gt_i32 s8, 6
	s_cbranch_scc0 .LBB425_1224
; %bb.1222:
	global_load_dwordx2 v[8:9], v[16:17], off
	s_movk_i32 s0, 0xffe0
	s_waitcnt vmcnt(0)
	v_trunc_f64_e32 v[8:9], v[8:9]
	v_ldexp_f64 v[18:19], v[8:9], s0
	v_floor_f64_e32 v[18:19], v[18:19]
	v_fmac_f64_e32 v[8:9], 0xc1f00000, v[18:19]
	v_cvt_u32_f64_e32 v8, v[8:9]
	s_mov_b64 s[0:1], 0
	s_branch .LBB425_1225
.LBB425_1223:
	s_mov_b64 s[0:1], -1
                                        ; implicit-def: $vgpr8
	s_branch .LBB425_1228
.LBB425_1224:
	s_mov_b64 s[0:1], -1
                                        ; implicit-def: $vgpr8
.LBB425_1225:
	s_andn2_b64 vcc, exec, s[0:1]
	s_cbranch_vccnz .LBB425_1227
; %bb.1226:
	global_load_dword v1, v[16:17], off
	s_mov_b32 s0, 0x2f800000
	s_waitcnt vmcnt(0)
	v_trunc_f32_e32 v1, v1
	v_mul_f32_e64 v3, |v1|, s0
	v_floor_f32_e32 v3, v3
	s_mov_b32 s0, 0xcf800000
	v_fma_f32 v3, v3, s0, |v1|
	v_cvt_u32_f32_e32 v3, v3
	v_ashrrev_i32_e32 v1, 31, v1
	v_xor_b32_e32 v3, v3, v1
	v_sub_u32_e32 v8, v3, v1
.LBB425_1227:
	s_mov_b64 s[0:1], 0
.LBB425_1228:
	s_andn2_b64 vcc, exec, s[0:1]
	s_cbranch_vccnz .LBB425_1230
; %bb.1229:
	global_load_ushort v1, v[16:17], off
	s_waitcnt vmcnt(0)
	v_cvt_f32_f16_e32 v1, v1
	v_cvt_i32_f32_e32 v8, v1
.LBB425_1230:
	s_cbranch_execnz .LBB425_1249
.LBB425_1231:
	s_cmp_lt_i32 s8, 2
	s_cbranch_scc1 .LBB425_1235
; %bb.1232:
	s_cmp_lt_i32 s8, 3
	s_cbranch_scc1 .LBB425_1236
; %bb.1233:
	s_cmp_gt_i32 s8, 3
	s_cbranch_scc0 .LBB425_1237
; %bb.1234:
	global_load_dwordx2 v[8:9], v[16:17], off
	s_mov_b64 s[0:1], 0
	s_branch .LBB425_1238
.LBB425_1235:
                                        ; implicit-def: $vgpr8
	s_branch .LBB425_1244
.LBB425_1236:
	s_mov_b64 s[0:1], -1
                                        ; implicit-def: $vgpr8
	s_branch .LBB425_1241
.LBB425_1237:
	s_mov_b64 s[0:1], -1
                                        ; implicit-def: $vgpr8
.LBB425_1238:
	s_andn2_b64 vcc, exec, s[0:1]
	s_cbranch_vccnz .LBB425_1240
; %bb.1239:
	global_load_dword v8, v[16:17], off
.LBB425_1240:
	s_mov_b64 s[0:1], 0
.LBB425_1241:
	s_andn2_b64 vcc, exec, s[0:1]
	s_cbranch_vccnz .LBB425_1243
; %bb.1242:
	global_load_ushort v8, v[16:17], off
.LBB425_1243:
	s_cbranch_execnz .LBB425_1249
.LBB425_1244:
	s_cmp_gt_i32 s8, 0
	s_cbranch_scc0 .LBB425_1246
; %bb.1245:
	global_load_ubyte v8, v[16:17], off
	s_mov_b64 s[0:1], 0
	s_branch .LBB425_1247
.LBB425_1246:
	s_mov_b64 s[0:1], -1
                                        ; implicit-def: $vgpr8
.LBB425_1247:
	s_andn2_b64 vcc, exec, s[0:1]
	s_cbranch_vccnz .LBB425_1249
; %bb.1248:
	global_load_ubyte v8, v[16:17], off
.LBB425_1249:
.LBB425_1250:
	s_lshr_b32 s0, s14, 16
	v_mov_b32_e32 v11, 0
	s_and_b32 s15, s0, 0xff
	s_cmp_lt_i32 s15, 11
	v_lshl_add_u64 v[16:17], s[6:7], 0, v[10:11]
	s_cbranch_scc1 .LBB425_1257
; %bb.1251:
	s_and_b32 s16, 0xffff, s15
	s_cmp_gt_i32 s16, 25
	s_mov_b64 s[8:9], 0
	s_cbranch_scc0 .LBB425_1259
; %bb.1252:
	s_cmp_gt_i32 s16, 28
	s_cbranch_scc0 .LBB425_1260
; %bb.1253:
	s_cmp_gt_i32 s16, 43
	;; [unrolled: 3-line block ×3, first 2 shown]
	s_cbranch_scc0 .LBB425_1263
; %bb.1255:
	s_cmp_eq_u32 s16, 46
	s_mov_b64 s[12:13], 0
	s_cbranch_scc0 .LBB425_1266
; %bb.1256:
	global_load_dword v1, v[16:17], off
	s_mov_b32 s0, 0x2f800000
	s_mov_b32 s1, 0xcf800000
	s_mov_b64 s[10:11], -1
	s_waitcnt vmcnt(0)
	v_lshlrev_b32_e32 v1, 16, v1
	v_trunc_f32_e32 v1, v1
	v_mul_f32_e64 v3, |v1|, s0
	v_floor_f32_e32 v3, v3
	v_fma_f32 v3, v3, s1, |v1|
	v_cvt_u32_f32_e32 v3, v3
	v_ashrrev_i32_e32 v1, 31, v1
	s_mov_b64 s[0:1], 0
	v_xor_b32_e32 v3, v3, v1
	v_sub_u32_e32 v10, v3, v1
	s_branch .LBB425_1267
.LBB425_1257:
	s_mov_b64 s[10:11], 0
                                        ; implicit-def: $vgpr10
	s_cbranch_execnz .LBB425_1328
.LBB425_1258:
	s_andn2_b64 vcc, exec, s[10:11]
	s_cbranch_vccnz .LBB425_2059
	s_branch .LBB425_1375
.LBB425_1259:
	s_mov_b64 s[10:11], 0
	s_mov_b64 s[0:1], 0
                                        ; implicit-def: $vgpr10
	s_cbranch_execnz .LBB425_1294
	s_branch .LBB425_1324
.LBB425_1260:
	s_mov_b64 s[12:13], -1
	s_mov_b64 s[10:11], 0
	s_mov_b64 s[0:1], 0
                                        ; implicit-def: $vgpr10
	s_branch .LBB425_1277
.LBB425_1261:
	s_mov_b64 s[12:13], -1
	s_mov_b64 s[10:11], 0
	s_mov_b64 s[0:1], 0
                                        ; implicit-def: $vgpr10
	s_branch .LBB425_1272
.LBB425_1262:
	s_or_b64 s[2:3], s[24:25], exec
	s_trap 2
	s_cbranch_execz .LBB425_1203
	s_branch .LBB425_1204
.LBB425_1263:
	s_mov_b64 s[12:13], -1
	s_mov_b64 s[10:11], 0
	s_mov_b64 s[0:1], 0
                                        ; implicit-def: $vgpr10
	s_branch .LBB425_1267
.LBB425_1264:
	s_andn2_saveexec_b64 s[14:15], s[14:15]
	s_cbranch_execz .LBB425_995
.LBB425_1265:
	v_add_f32_e32 v0, 0x42800000, v1
	v_and_b32_e32 v0, 0xff, v0
	v_cmp_ne_u32_e32 vcc, 0, v0
	s_andn2_b64 s[12:13], s[12:13], exec
	s_and_b64 s[18:19], vcc, exec
	s_or_b64 s[12:13], s[12:13], s[18:19]
	s_or_b64 exec, exec, s[14:15]
	v_mov_b32_e32 v3, 0
	s_and_saveexec_b64 s[14:15], s[12:13]
	s_cbranch_execnz .LBB425_996
	s_branch .LBB425_997
.LBB425_1266:
	s_mov_b64 s[0:1], -1
                                        ; implicit-def: $vgpr10
	s_mov_b64 s[10:11], 0
.LBB425_1267:
	s_and_b64 vcc, exec, s[12:13]
	s_cbranch_vccz .LBB425_1271
; %bb.1268:
	s_cmp_eq_u32 s16, 44
	s_cbranch_scc0 .LBB425_1270
; %bb.1269:
	global_load_ubyte v1, v[16:17], off
	s_mov_b32 s0, 0x2f800000
	s_mov_b32 s1, 0xcf800000
	s_mov_b64 s[10:11], -1
	s_waitcnt vmcnt(0)
	v_lshlrev_b32_e32 v3, 23, v1
	v_trunc_f32_e32 v3, v3
	v_mul_f32_e64 v5, |v3|, s0
	v_floor_f32_e32 v5, v5
	v_fma_f32 v5, v5, s1, |v3|
	v_cvt_u32_f32_e32 v5, v5
	v_ashrrev_i32_e32 v3, 31, v3
	v_cmp_ne_u32_e32 vcc, 0, v1
	s_mov_b64 s[0:1], 0
	v_xor_b32_e32 v5, v5, v3
	v_sub_u32_e32 v3, v5, v3
	v_cndmask_b32_e32 v10, 0, v3, vcc
	s_branch .LBB425_1271
.LBB425_1270:
	s_mov_b64 s[0:1], -1
                                        ; implicit-def: $vgpr10
.LBB425_1271:
	s_mov_b64 s[12:13], 0
.LBB425_1272:
	s_and_b64 vcc, exec, s[12:13]
	s_cbranch_vccz .LBB425_1276
; %bb.1273:
	s_cmp_eq_u32 s16, 29
	s_cbranch_scc0 .LBB425_1275
; %bb.1274:
	global_load_dwordx2 v[10:11], v[16:17], off
	s_mov_b64 s[0:1], 0
	s_mov_b64 s[10:11], -1
	s_branch .LBB425_1276
.LBB425_1275:
	s_mov_b64 s[0:1], -1
                                        ; implicit-def: $vgpr10
.LBB425_1276:
	s_mov_b64 s[12:13], 0
.LBB425_1277:
	s_and_b64 vcc, exec, s[12:13]
	s_cbranch_vccz .LBB425_1293
; %bb.1278:
	s_cmp_lt_i32 s16, 27
	s_cbranch_scc1 .LBB425_1281
; %bb.1279:
	s_cmp_gt_i32 s16, 27
	s_cbranch_scc0 .LBB425_1282
; %bb.1280:
	global_load_dword v10, v[16:17], off
	s_mov_b64 s[10:11], 0
	s_branch .LBB425_1283
.LBB425_1281:
	s_mov_b64 s[10:11], -1
                                        ; implicit-def: $vgpr10
	s_branch .LBB425_1286
.LBB425_1282:
	s_mov_b64 s[10:11], -1
                                        ; implicit-def: $vgpr10
.LBB425_1283:
	s_andn2_b64 vcc, exec, s[10:11]
	s_cbranch_vccnz .LBB425_1285
; %bb.1284:
	global_load_ushort v10, v[16:17], off
.LBB425_1285:
	s_mov_b64 s[10:11], 0
.LBB425_1286:
	s_andn2_b64 vcc, exec, s[10:11]
	s_cbranch_vccnz .LBB425_1292
; %bb.1287:
	global_load_ubyte v1, v[16:17], off
	s_movk_i32 s10, 0x7f
	s_mov_b64 s[12:13], 0
	s_waitcnt vmcnt(0)
	v_cmp_lt_i16_e32 vcc, s10, v1
	s_and_saveexec_b64 s[10:11], vcc
	s_xor_b64 s[10:11], exec, s[10:11]
	s_cbranch_execz .LBB425_1303
; %bb.1288:
	s_movk_i32 s12, 0x80
	v_cmp_ne_u16_e32 vcc, s12, v1
	s_and_b64 s[12:13], vcc, exec
	s_andn2_saveexec_b64 s[10:11], s[10:11]
	s_cbranch_execnz .LBB425_1304
.LBB425_1289:
	s_or_b64 exec, exec, s[10:11]
	v_mov_b32_e32 v10, 0
	s_and_saveexec_b64 s[10:11], s[12:13]
	s_cbranch_execz .LBB425_1291
.LBB425_1290:
	v_lshlrev_b32_e32 v3, 24, v1
	v_and_b32_e32 v1, 0xffff, v1
	v_and_b32_e32 v5, 7, v1
	v_ffbh_u32_e32 v9, v5
	v_min_u32_e32 v9, 32, v9
	v_subrev_u32_e32 v10, 28, v9
	v_bfe_u32 v7, v1, 3, 4
	v_lshlrev_b32_e32 v1, v10, v1
	v_sub_u32_e32 v9, 29, v9
	v_and_b32_e32 v1, 7, v1
	v_cmp_eq_u32_e32 vcc, 0, v7
	v_and_b32_e32 v3, 0x80000000, v3
	s_mov_b32 s12, 0x2f800000
	v_cndmask_b32_e32 v7, v7, v9, vcc
	v_cndmask_b32_e32 v1, v5, v1, vcc
	v_mov_b32_e32 v5, 0x3b800000
	v_lshlrev_b32_e32 v1, 20, v1
	v_lshl_add_u32 v5, v7, 23, v5
	v_or3_b32 v1, v3, v5, v1
	v_trunc_f32_e32 v1, v1
	v_mul_f32_e64 v3, |v1|, s12
	v_floor_f32_e32 v3, v3
	s_mov_b32 s12, 0xcf800000
	v_fma_f32 v3, v3, s12, |v1|
	v_cvt_u32_f32_e32 v3, v3
	v_ashrrev_i32_e32 v1, 31, v1
	v_xor_b32_e32 v3, v3, v1
	v_sub_u32_e32 v10, v3, v1
.LBB425_1291:
	s_or_b64 exec, exec, s[10:11]
.LBB425_1292:
	s_mov_b64 s[10:11], -1
.LBB425_1293:
	s_branch .LBB425_1324
.LBB425_1294:
	s_cmp_gt_i32 s16, 22
	s_cbranch_scc0 .LBB425_1302
; %bb.1295:
	s_cmp_lt_i32 s16, 24
	s_cbranch_scc1 .LBB425_1305
; %bb.1296:
	s_cmp_gt_i32 s16, 24
	s_cbranch_scc0 .LBB425_1306
; %bb.1297:
	global_load_ubyte v1, v[16:17], off
	s_movk_i32 s8, 0x7f
	s_mov_b64 s[10:11], 0
	s_waitcnt vmcnt(0)
	v_cmp_lt_i16_e32 vcc, s8, v1
	s_and_saveexec_b64 s[8:9], vcc
	s_xor_b64 s[8:9], exec, s[8:9]
	s_cbranch_execz .LBB425_1318
; %bb.1298:
	s_movk_i32 s10, 0x80
	v_cmp_ne_u16_e32 vcc, s10, v1
	s_and_b64 s[10:11], vcc, exec
	s_andn2_saveexec_b64 s[8:9], s[8:9]
	s_cbranch_execnz .LBB425_1319
.LBB425_1299:
	s_or_b64 exec, exec, s[8:9]
	v_mov_b32_e32 v10, 0
	s_and_saveexec_b64 s[8:9], s[10:11]
	s_cbranch_execz .LBB425_1301
.LBB425_1300:
	v_lshlrev_b32_e32 v3, 24, v1
	v_and_b32_e32 v1, 0xffff, v1
	v_and_b32_e32 v5, 3, v1
	v_ffbh_u32_e32 v9, v5
	v_min_u32_e32 v9, 32, v9
	v_subrev_u32_e32 v10, 29, v9
	v_bfe_u32 v7, v1, 2, 5
	v_lshlrev_b32_e32 v1, v10, v1
	v_sub_u32_e32 v9, 30, v9
	v_and_b32_e32 v1, 3, v1
	v_cmp_eq_u32_e32 vcc, 0, v7
	v_and_b32_e32 v3, 0x80000000, v3
	s_mov_b32 s10, 0x2f800000
	v_cndmask_b32_e32 v7, v7, v9, vcc
	v_cndmask_b32_e32 v1, v5, v1, vcc
	v_mov_b32_e32 v5, 0x37800000
	v_lshlrev_b32_e32 v1, 21, v1
	v_lshl_add_u32 v5, v7, 23, v5
	v_or3_b32 v1, v3, v5, v1
	v_trunc_f32_e32 v1, v1
	v_mul_f32_e64 v3, |v1|, s10
	v_floor_f32_e32 v3, v3
	s_mov_b32 s10, 0xcf800000
	v_fma_f32 v3, v3, s10, |v1|
	v_cvt_u32_f32_e32 v3, v3
	v_ashrrev_i32_e32 v1, 31, v1
	v_xor_b32_e32 v3, v3, v1
	v_sub_u32_e32 v10, v3, v1
.LBB425_1301:
	s_or_b64 exec, exec, s[8:9]
	s_mov_b64 s[8:9], 0
	s_branch .LBB425_1307
.LBB425_1302:
	s_mov_b64 s[8:9], -1
                                        ; implicit-def: $vgpr10
	s_branch .LBB425_1313
.LBB425_1303:
	s_andn2_saveexec_b64 s[10:11], s[10:11]
	s_cbranch_execz .LBB425_1289
.LBB425_1304:
	v_cmp_ne_u16_e32 vcc, 0, v1
	s_andn2_b64 s[12:13], s[12:13], exec
	s_and_b64 s[18:19], vcc, exec
	s_or_b64 s[12:13], s[12:13], s[18:19]
	s_or_b64 exec, exec, s[10:11]
	v_mov_b32_e32 v10, 0
	s_and_saveexec_b64 s[10:11], s[12:13]
	s_cbranch_execnz .LBB425_1290
	s_branch .LBB425_1291
.LBB425_1305:
	s_mov_b64 s[8:9], -1
                                        ; implicit-def: $vgpr10
	s_branch .LBB425_1310
.LBB425_1306:
	s_mov_b64 s[8:9], -1
                                        ; implicit-def: $vgpr10
.LBB425_1307:
	s_and_b64 vcc, exec, s[8:9]
	s_cbranch_vccz .LBB425_1309
; %bb.1308:
	global_load_ubyte v1, v[16:17], off
	s_mov_b32 s8, 0x7f800000
	s_brev_b32 s9, 1
	s_mov_b32 s10, 0x2f800000
	s_waitcnt vmcnt(0)
	v_lshlrev_b32_e32 v1, 24, v1
	v_and_b32_e32 v3, 0x7f000000, v1
	v_ffbh_u32_e32 v5, v3
	v_min_u32_e32 v5, 32, v5
	v_sub_u32_e64 v5, v5, 4 clamp
	v_lshlrev_b32_e32 v9, v5, v3
	v_lshlrev_b32_e32 v5, 23, v5
	v_lshrrev_b32_e32 v9, 4, v9
	v_add_u32_e32 v7, 0x1000000, v3
	v_sub_u32_e32 v5, v9, v5
	v_ashrrev_i32_e32 v7, 8, v7
	v_add_u32_e32 v5, 0x3c000000, v5
	v_and_or_b32 v5, v7, s8, v5
	v_cmp_ne_u32_e32 vcc, 0, v3
	s_mov_b32 s8, 0xcf800000
	s_nop 0
	v_cndmask_b32_e32 v3, 0, v5, vcc
	v_and_or_b32 v1, v1, s9, v3
	v_trunc_f32_e32 v1, v1
	v_mul_f32_e64 v3, |v1|, s10
	v_floor_f32_e32 v3, v3
	v_fma_f32 v3, v3, s8, |v1|
	v_cvt_u32_f32_e32 v3, v3
	v_ashrrev_i32_e32 v1, 31, v1
	v_xor_b32_e32 v3, v3, v1
	v_sub_u32_e32 v10, v3, v1
.LBB425_1309:
	s_mov_b64 s[8:9], 0
.LBB425_1310:
	s_andn2_b64 vcc, exec, s[8:9]
	s_cbranch_vccnz .LBB425_1312
; %bb.1311:
	global_load_ubyte v1, v[16:17], off
	s_movk_i32 s8, 0x7f00
	s_brev_b32 s9, 16
	s_brev_b32 s10, 1
	s_mov_b32 s11, 0x2f800000
	s_waitcnt vmcnt(0)
	v_lshlrev_b16_e32 v3, 8, v1
	v_lshlrev_b32_e32 v1, 25, v1
	v_lshrrev_b32_e32 v5, 4, v1
	v_and_or_b32 v7, v3, s8, 0.5
	v_or_b32_e32 v5, 0x70000000, v5
	v_add_f32_e32 v7, -0.5, v7
	v_mul_f32_e32 v5, 0x7800000, v5
	v_cmp_gt_u32_e32 vcc, s9, v1
	v_bfe_i32 v3, v3, 0, 16
	s_mov_b32 s8, 0xcf800000
	v_cndmask_b32_e32 v1, v5, v7, vcc
	v_and_or_b32 v1, v3, s10, v1
	v_trunc_f32_e32 v1, v1
	v_mul_f32_e64 v3, |v1|, s11
	v_floor_f32_e32 v3, v3
	v_fma_f32 v3, v3, s8, |v1|
	v_cvt_u32_f32_e32 v3, v3
	v_ashrrev_i32_e32 v1, 31, v1
	v_xor_b32_e32 v3, v3, v1
	v_sub_u32_e32 v10, v3, v1
.LBB425_1312:
	s_mov_b64 s[8:9], 0
	s_mov_b64 s[10:11], -1
.LBB425_1313:
	s_andn2_b64 vcc, exec, s[8:9]
	s_mov_b64 s[8:9], 0
	s_cbranch_vccnz .LBB425_1324
; %bb.1314:
	s_cmp_gt_i32 s16, 14
	s_cbranch_scc0 .LBB425_1317
; %bb.1315:
	s_cmp_eq_u32 s16, 15
	s_cbranch_scc0 .LBB425_1320
; %bb.1316:
	global_load_ushort v1, v[16:17], off
	s_mov_b32 s0, 0x2f800000
	s_mov_b32 s1, 0xcf800000
	s_mov_b64 s[10:11], -1
	s_waitcnt vmcnt(0)
	v_lshlrev_b32_e32 v1, 16, v1
	v_trunc_f32_e32 v1, v1
	v_mul_f32_e64 v3, |v1|, s0
	v_floor_f32_e32 v3, v3
	v_fma_f32 v3, v3, s1, |v1|
	v_cvt_u32_f32_e32 v3, v3
	v_ashrrev_i32_e32 v1, 31, v1
	s_mov_b64 s[0:1], 0
	v_xor_b32_e32 v3, v3, v1
	v_sub_u32_e32 v10, v3, v1
	s_branch .LBB425_1321
.LBB425_1317:
	s_mov_b64 s[12:13], -1
                                        ; implicit-def: $vgpr10
	s_branch .LBB425_1322
.LBB425_1318:
	s_andn2_saveexec_b64 s[8:9], s[8:9]
	s_cbranch_execz .LBB425_1299
.LBB425_1319:
	v_cmp_ne_u16_e32 vcc, 0, v1
	s_andn2_b64 s[10:11], s[10:11], exec
	s_and_b64 s[12:13], vcc, exec
	s_or_b64 s[10:11], s[10:11], s[12:13]
	s_or_b64 exec, exec, s[8:9]
	v_mov_b32_e32 v10, 0
	s_and_saveexec_b64 s[8:9], s[10:11]
	s_cbranch_execnz .LBB425_1300
	s_branch .LBB425_1301
.LBB425_1320:
	s_mov_b64 s[0:1], -1
                                        ; implicit-def: $vgpr10
.LBB425_1321:
	s_mov_b64 s[12:13], 0
.LBB425_1322:
	s_and_b64 vcc, exec, s[12:13]
	s_cbranch_vccz .LBB425_1324
; %bb.1323:
	s_cmp_lg_u32 s16, 11
	s_mov_b64 s[8:9], -1
	s_cselect_b64 s[0:1], -1, 0
.LBB425_1324:
	s_and_b64 vcc, exec, s[0:1]
	s_cbranch_vccnz .LBB425_1387
; %bb.1325:
	s_andn2_b64 vcc, exec, s[8:9]
	s_cbranch_vccnz .LBB425_1327
.LBB425_1326:
	global_load_ubyte v1, v[16:17], off
	s_mov_b64 s[10:11], -1
	s_waitcnt vmcnt(0)
	v_cmp_ne_u16_e32 vcc, 0, v1
	s_nop 1
	v_cndmask_b32_e64 v10, 0, 1, vcc
.LBB425_1327:
	s_branch .LBB425_1258
.LBB425_1328:
	s_and_b32 s8, 0xffff, s15
	s_cmp_lt_i32 s8, 5
	s_cbranch_scc1 .LBB425_1333
; %bb.1329:
	s_cmp_lt_i32 s8, 8
	s_cbranch_scc1 .LBB425_1334
; %bb.1330:
	;; [unrolled: 3-line block ×3, first 2 shown]
	s_cmp_gt_i32 s8, 9
	s_cbranch_scc0 .LBB425_1336
; %bb.1332:
	global_load_dwordx2 v[10:11], v[16:17], off
	s_movk_i32 s0, 0xffe0
	s_waitcnt vmcnt(0)
	v_trunc_f64_e32 v[10:11], v[10:11]
	v_ldexp_f64 v[18:19], v[10:11], s0
	v_floor_f64_e32 v[18:19], v[18:19]
	v_fmac_f64_e32 v[10:11], 0xc1f00000, v[18:19]
	v_cvt_u32_f64_e32 v10, v[10:11]
	s_mov_b64 s[0:1], 0
	s_branch .LBB425_1337
.LBB425_1333:
                                        ; implicit-def: $vgpr10
	s_branch .LBB425_1355
.LBB425_1334:
	s_mov_b64 s[0:1], -1
                                        ; implicit-def: $vgpr10
	s_branch .LBB425_1343
.LBB425_1335:
	s_mov_b64 s[0:1], -1
                                        ; implicit-def: $vgpr10
	s_branch .LBB425_1340
.LBB425_1336:
	s_mov_b64 s[0:1], -1
                                        ; implicit-def: $vgpr10
.LBB425_1337:
	s_andn2_b64 vcc, exec, s[0:1]
	s_cbranch_vccnz .LBB425_1339
; %bb.1338:
	global_load_dword v1, v[16:17], off
	s_mov_b32 s0, 0x2f800000
	s_waitcnt vmcnt(0)
	v_trunc_f32_e32 v1, v1
	v_mul_f32_e64 v3, |v1|, s0
	v_floor_f32_e32 v3, v3
	s_mov_b32 s0, 0xcf800000
	v_fma_f32 v3, v3, s0, |v1|
	v_cvt_u32_f32_e32 v3, v3
	v_ashrrev_i32_e32 v1, 31, v1
	v_xor_b32_e32 v3, v3, v1
	v_sub_u32_e32 v10, v3, v1
.LBB425_1339:
	s_mov_b64 s[0:1], 0
.LBB425_1340:
	s_andn2_b64 vcc, exec, s[0:1]
	s_cbranch_vccnz .LBB425_1342
; %bb.1341:
	global_load_dword v1, v[16:17], off
	s_waitcnt vmcnt(0)
	v_cvt_f32_f16_e32 v1, v1
	v_cvt_i32_f32_e32 v10, v1
.LBB425_1342:
	s_mov_b64 s[0:1], 0
.LBB425_1343:
	s_andn2_b64 vcc, exec, s[0:1]
	s_cbranch_vccnz .LBB425_1354
; %bb.1344:
	s_cmp_lt_i32 s8, 6
	s_cbranch_scc1 .LBB425_1347
; %bb.1345:
	s_cmp_gt_i32 s8, 6
	s_cbranch_scc0 .LBB425_1348
; %bb.1346:
	global_load_dwordx2 v[10:11], v[16:17], off
	s_movk_i32 s0, 0xffe0
	s_waitcnt vmcnt(0)
	v_trunc_f64_e32 v[10:11], v[10:11]
	v_ldexp_f64 v[18:19], v[10:11], s0
	v_floor_f64_e32 v[18:19], v[18:19]
	v_fmac_f64_e32 v[10:11], 0xc1f00000, v[18:19]
	v_cvt_u32_f64_e32 v10, v[10:11]
	s_mov_b64 s[0:1], 0
	s_branch .LBB425_1349
.LBB425_1347:
	s_mov_b64 s[0:1], -1
                                        ; implicit-def: $vgpr10
	s_branch .LBB425_1352
.LBB425_1348:
	s_mov_b64 s[0:1], -1
                                        ; implicit-def: $vgpr10
.LBB425_1349:
	s_andn2_b64 vcc, exec, s[0:1]
	s_cbranch_vccnz .LBB425_1351
; %bb.1350:
	global_load_dword v1, v[16:17], off
	s_mov_b32 s0, 0x2f800000
	s_waitcnt vmcnt(0)
	v_trunc_f32_e32 v1, v1
	v_mul_f32_e64 v3, |v1|, s0
	v_floor_f32_e32 v3, v3
	s_mov_b32 s0, 0xcf800000
	v_fma_f32 v3, v3, s0, |v1|
	v_cvt_u32_f32_e32 v3, v3
	v_ashrrev_i32_e32 v1, 31, v1
	v_xor_b32_e32 v3, v3, v1
	v_sub_u32_e32 v10, v3, v1
.LBB425_1351:
	s_mov_b64 s[0:1], 0
.LBB425_1352:
	s_andn2_b64 vcc, exec, s[0:1]
	s_cbranch_vccnz .LBB425_1354
; %bb.1353:
	global_load_ushort v1, v[16:17], off
	s_waitcnt vmcnt(0)
	v_cvt_f32_f16_e32 v1, v1
	v_cvt_i32_f32_e32 v10, v1
.LBB425_1354:
	s_cbranch_execnz .LBB425_1374
.LBB425_1355:
	s_cmp_lt_i32 s8, 2
	s_cbranch_scc1 .LBB425_1359
; %bb.1356:
	s_cmp_lt_i32 s8, 3
	s_cbranch_scc1 .LBB425_1360
; %bb.1357:
	s_cmp_gt_i32 s8, 3
	s_cbranch_scc0 .LBB425_1361
; %bb.1358:
	global_load_dwordx2 v[10:11], v[16:17], off
	s_mov_b64 s[0:1], 0
	s_branch .LBB425_1362
.LBB425_1359:
	s_mov_b64 s[0:1], -1
                                        ; implicit-def: $vgpr10
	s_branch .LBB425_1368
.LBB425_1360:
	s_mov_b64 s[0:1], -1
                                        ; implicit-def: $vgpr10
	s_branch .LBB425_1365
.LBB425_1361:
	s_mov_b64 s[0:1], -1
                                        ; implicit-def: $vgpr10
.LBB425_1362:
	s_andn2_b64 vcc, exec, s[0:1]
	s_cbranch_vccnz .LBB425_1364
; %bb.1363:
	global_load_dword v10, v[16:17], off
.LBB425_1364:
	s_mov_b64 s[0:1], 0
.LBB425_1365:
	s_andn2_b64 vcc, exec, s[0:1]
	s_cbranch_vccnz .LBB425_1367
; %bb.1366:
	global_load_ushort v10, v[16:17], off
.LBB425_1367:
	s_mov_b64 s[0:1], 0
.LBB425_1368:
	s_andn2_b64 vcc, exec, s[0:1]
	s_cbranch_vccnz .LBB425_1374
; %bb.1369:
	s_cmp_gt_i32 s8, 0
	s_cbranch_scc0 .LBB425_1371
; %bb.1370:
	global_load_ubyte v10, v[16:17], off
	s_mov_b64 s[0:1], 0
	s_branch .LBB425_1372
.LBB425_1371:
	s_mov_b64 s[0:1], -1
                                        ; implicit-def: $vgpr10
.LBB425_1372:
	s_andn2_b64 vcc, exec, s[0:1]
	s_cbranch_vccnz .LBB425_1374
; %bb.1373:
	global_load_ubyte v10, v[16:17], off
.LBB425_1374:
.LBB425_1375:
	v_mov_b32_e32 v13, 0
	s_cmp_lt_i32 s15, 11
	v_lshl_add_u64 v[16:17], s[6:7], 0, v[12:13]
	s_cbranch_scc1 .LBB425_1382
; %bb.1376:
	s_and_b32 s16, 0xffff, s15
	s_cmp_gt_i32 s16, 25
	s_mov_b64 s[8:9], 0
	s_cbranch_scc0 .LBB425_1384
; %bb.1377:
	s_cmp_gt_i32 s16, 28
	s_cbranch_scc0 .LBB425_1385
; %bb.1378:
	s_cmp_gt_i32 s16, 43
	s_cbranch_scc0 .LBB425_1386
; %bb.1379:
	s_cmp_gt_i32 s16, 45
	s_cbranch_scc0 .LBB425_1388
; %bb.1380:
	s_cmp_eq_u32 s16, 46
	s_mov_b64 s[12:13], 0
	s_cbranch_scc0 .LBB425_1389
; %bb.1381:
	global_load_dword v1, v[16:17], off
	s_mov_b32 s0, 0x2f800000
	s_mov_b32 s1, 0xcf800000
	s_mov_b64 s[10:11], -1
	s_waitcnt vmcnt(0)
	v_lshlrev_b32_e32 v1, 16, v1
	v_trunc_f32_e32 v1, v1
	v_mul_f32_e64 v3, |v1|, s0
	v_floor_f32_e32 v3, v3
	v_fma_f32 v3, v3, s1, |v1|
	v_cvt_u32_f32_e32 v3, v3
	v_ashrrev_i32_e32 v1, 31, v1
	s_mov_b64 s[0:1], 0
	v_xor_b32_e32 v3, v3, v1
	v_sub_u32_e32 v12, v3, v1
	s_branch .LBB425_1390
.LBB425_1382:
	s_mov_b64 s[10:11], 0
                                        ; implicit-def: $vgpr12
	s_cbranch_execnz .LBB425_1452
.LBB425_1383:
	s_andn2_b64 vcc, exec, s[10:11]
	s_cbranch_vccnz .LBB425_2059
	s_branch .LBB425_1500
.LBB425_1384:
	s_mov_b64 s[12:13], -1
	s_mov_b64 s[10:11], 0
	s_mov_b64 s[0:1], 0
                                        ; implicit-def: $vgpr12
	s_branch .LBB425_1417
.LBB425_1385:
	s_mov_b64 s[12:13], -1
	s_mov_b64 s[10:11], 0
	s_mov_b64 s[0:1], 0
                                        ; implicit-def: $vgpr12
	s_branch .LBB425_1400
.LBB425_1386:
	s_mov_b64 s[12:13], -1
	s_mov_b64 s[10:11], 0
	s_mov_b64 s[0:1], 0
                                        ; implicit-def: $vgpr12
	s_branch .LBB425_1395
.LBB425_1387:
	s_trap 2
	s_or_b64 s[2:3], s[2:3], exec
	s_cbranch_execz .LBB425_1326
	s_branch .LBB425_1327
.LBB425_1388:
	s_mov_b64 s[12:13], -1
	s_mov_b64 s[10:11], 0
	s_mov_b64 s[0:1], 0
                                        ; implicit-def: $vgpr12
	s_branch .LBB425_1390
.LBB425_1389:
	s_mov_b64 s[0:1], -1
                                        ; implicit-def: $vgpr12
	s_mov_b64 s[10:11], 0
.LBB425_1390:
	s_and_b64 vcc, exec, s[12:13]
	s_cbranch_vccz .LBB425_1394
; %bb.1391:
	s_cmp_eq_u32 s16, 44
	s_cbranch_scc0 .LBB425_1393
; %bb.1392:
	global_load_ubyte v1, v[16:17], off
	s_mov_b32 s0, 0x2f800000
	s_mov_b32 s1, 0xcf800000
	s_mov_b64 s[10:11], -1
	s_waitcnt vmcnt(0)
	v_lshlrev_b32_e32 v3, 23, v1
	v_trunc_f32_e32 v3, v3
	v_mul_f32_e64 v5, |v3|, s0
	v_floor_f32_e32 v5, v5
	v_fma_f32 v5, v5, s1, |v3|
	v_cvt_u32_f32_e32 v5, v5
	v_ashrrev_i32_e32 v3, 31, v3
	v_cmp_ne_u32_e32 vcc, 0, v1
	s_mov_b64 s[0:1], 0
	v_xor_b32_e32 v5, v5, v3
	v_sub_u32_e32 v3, v5, v3
	v_cndmask_b32_e32 v12, 0, v3, vcc
	s_branch .LBB425_1394
.LBB425_1393:
	s_mov_b64 s[0:1], -1
                                        ; implicit-def: $vgpr12
.LBB425_1394:
	s_mov_b64 s[12:13], 0
.LBB425_1395:
	s_and_b64 vcc, exec, s[12:13]
	s_cbranch_vccz .LBB425_1399
; %bb.1396:
	s_cmp_eq_u32 s16, 29
	s_cbranch_scc0 .LBB425_1398
; %bb.1397:
	global_load_dwordx2 v[12:13], v[16:17], off
	s_mov_b64 s[0:1], 0
	s_mov_b64 s[10:11], -1
	s_branch .LBB425_1399
.LBB425_1398:
	s_mov_b64 s[0:1], -1
                                        ; implicit-def: $vgpr12
.LBB425_1399:
	s_mov_b64 s[12:13], 0
.LBB425_1400:
	s_and_b64 vcc, exec, s[12:13]
	s_cbranch_vccz .LBB425_1416
; %bb.1401:
	s_cmp_lt_i32 s16, 27
	s_cbranch_scc1 .LBB425_1404
; %bb.1402:
	s_cmp_gt_i32 s16, 27
	s_cbranch_scc0 .LBB425_1405
; %bb.1403:
	global_load_dword v12, v[16:17], off
	s_mov_b64 s[10:11], 0
	s_branch .LBB425_1406
.LBB425_1404:
	s_mov_b64 s[10:11], -1
                                        ; implicit-def: $vgpr12
	s_branch .LBB425_1409
.LBB425_1405:
	s_mov_b64 s[10:11], -1
                                        ; implicit-def: $vgpr12
.LBB425_1406:
	s_andn2_b64 vcc, exec, s[10:11]
	s_cbranch_vccnz .LBB425_1408
; %bb.1407:
	global_load_ushort v12, v[16:17], off
.LBB425_1408:
	s_mov_b64 s[10:11], 0
.LBB425_1409:
	s_andn2_b64 vcc, exec, s[10:11]
	s_cbranch_vccnz .LBB425_1415
; %bb.1410:
	global_load_ubyte v1, v[16:17], off
	s_movk_i32 s10, 0x7f
	s_mov_b64 s[12:13], 0
	s_waitcnt vmcnt(0)
	v_cmp_lt_i16_e32 vcc, s10, v1
	s_and_saveexec_b64 s[10:11], vcc
	s_xor_b64 s[10:11], exec, s[10:11]
	s_cbranch_execz .LBB425_1427
; %bb.1411:
	s_movk_i32 s12, 0x80
	v_cmp_ne_u16_e32 vcc, s12, v1
	s_and_b64 s[12:13], vcc, exec
	s_andn2_saveexec_b64 s[10:11], s[10:11]
	s_cbranch_execnz .LBB425_1428
.LBB425_1412:
	s_or_b64 exec, exec, s[10:11]
	v_mov_b32_e32 v12, 0
	s_and_saveexec_b64 s[10:11], s[12:13]
	s_cbranch_execz .LBB425_1414
.LBB425_1413:
	v_lshlrev_b32_e32 v3, 24, v1
	v_and_b32_e32 v1, 0xffff, v1
	v_and_b32_e32 v5, 7, v1
	v_ffbh_u32_e32 v9, v5
	v_min_u32_e32 v9, 32, v9
	v_subrev_u32_e32 v11, 28, v9
	v_bfe_u32 v7, v1, 3, 4
	v_lshlrev_b32_e32 v1, v11, v1
	v_sub_u32_e32 v9, 29, v9
	v_and_b32_e32 v1, 7, v1
	v_cmp_eq_u32_e32 vcc, 0, v7
	v_and_b32_e32 v3, 0x80000000, v3
	s_mov_b32 s12, 0x2f800000
	v_cndmask_b32_e32 v7, v7, v9, vcc
	v_cndmask_b32_e32 v1, v5, v1, vcc
	v_mov_b32_e32 v5, 0x3b800000
	v_lshlrev_b32_e32 v1, 20, v1
	v_lshl_add_u32 v5, v7, 23, v5
	v_or3_b32 v1, v3, v5, v1
	v_trunc_f32_e32 v1, v1
	v_mul_f32_e64 v3, |v1|, s12
	v_floor_f32_e32 v3, v3
	s_mov_b32 s12, 0xcf800000
	v_fma_f32 v3, v3, s12, |v1|
	v_cvt_u32_f32_e32 v3, v3
	v_ashrrev_i32_e32 v1, 31, v1
	v_xor_b32_e32 v3, v3, v1
	v_sub_u32_e32 v12, v3, v1
.LBB425_1414:
	s_or_b64 exec, exec, s[10:11]
.LBB425_1415:
	s_mov_b64 s[10:11], -1
.LBB425_1416:
	s_mov_b64 s[12:13], 0
.LBB425_1417:
	s_and_b64 vcc, exec, s[12:13]
	s_cbranch_vccz .LBB425_1448
; %bb.1418:
	s_cmp_gt_i32 s16, 22
	s_cbranch_scc0 .LBB425_1426
; %bb.1419:
	s_cmp_lt_i32 s16, 24
	s_cbranch_scc1 .LBB425_1429
; %bb.1420:
	s_cmp_gt_i32 s16, 24
	s_cbranch_scc0 .LBB425_1430
; %bb.1421:
	global_load_ubyte v1, v[16:17], off
	s_movk_i32 s8, 0x7f
	s_mov_b64 s[10:11], 0
	s_waitcnt vmcnt(0)
	v_cmp_lt_i16_e32 vcc, s8, v1
	s_and_saveexec_b64 s[8:9], vcc
	s_xor_b64 s[8:9], exec, s[8:9]
	s_cbranch_execz .LBB425_1442
; %bb.1422:
	s_movk_i32 s10, 0x80
	v_cmp_ne_u16_e32 vcc, s10, v1
	s_and_b64 s[10:11], vcc, exec
	s_andn2_saveexec_b64 s[8:9], s[8:9]
	s_cbranch_execnz .LBB425_1443
.LBB425_1423:
	s_or_b64 exec, exec, s[8:9]
	v_mov_b32_e32 v12, 0
	s_and_saveexec_b64 s[8:9], s[10:11]
	s_cbranch_execz .LBB425_1425
.LBB425_1424:
	v_lshlrev_b32_e32 v3, 24, v1
	v_and_b32_e32 v1, 0xffff, v1
	v_and_b32_e32 v5, 3, v1
	v_ffbh_u32_e32 v9, v5
	v_min_u32_e32 v9, 32, v9
	v_subrev_u32_e32 v11, 29, v9
	v_bfe_u32 v7, v1, 2, 5
	v_lshlrev_b32_e32 v1, v11, v1
	v_sub_u32_e32 v9, 30, v9
	v_and_b32_e32 v1, 3, v1
	v_cmp_eq_u32_e32 vcc, 0, v7
	v_and_b32_e32 v3, 0x80000000, v3
	s_mov_b32 s10, 0x2f800000
	v_cndmask_b32_e32 v7, v7, v9, vcc
	v_cndmask_b32_e32 v1, v5, v1, vcc
	v_mov_b32_e32 v5, 0x37800000
	v_lshlrev_b32_e32 v1, 21, v1
	v_lshl_add_u32 v5, v7, 23, v5
	v_or3_b32 v1, v3, v5, v1
	v_trunc_f32_e32 v1, v1
	v_mul_f32_e64 v3, |v1|, s10
	v_floor_f32_e32 v3, v3
	s_mov_b32 s10, 0xcf800000
	v_fma_f32 v3, v3, s10, |v1|
	v_cvt_u32_f32_e32 v3, v3
	v_ashrrev_i32_e32 v1, 31, v1
	v_xor_b32_e32 v3, v3, v1
	v_sub_u32_e32 v12, v3, v1
.LBB425_1425:
	s_or_b64 exec, exec, s[8:9]
	s_mov_b64 s[8:9], 0
	s_branch .LBB425_1431
.LBB425_1426:
	s_mov_b64 s[8:9], -1
                                        ; implicit-def: $vgpr12
	s_branch .LBB425_1437
.LBB425_1427:
	s_andn2_saveexec_b64 s[10:11], s[10:11]
	s_cbranch_execz .LBB425_1412
.LBB425_1428:
	v_cmp_ne_u16_e32 vcc, 0, v1
	s_andn2_b64 s[12:13], s[12:13], exec
	s_and_b64 s[18:19], vcc, exec
	s_or_b64 s[12:13], s[12:13], s[18:19]
	s_or_b64 exec, exec, s[10:11]
	v_mov_b32_e32 v12, 0
	s_and_saveexec_b64 s[10:11], s[12:13]
	s_cbranch_execnz .LBB425_1413
	s_branch .LBB425_1414
.LBB425_1429:
	s_mov_b64 s[8:9], -1
                                        ; implicit-def: $vgpr12
	s_branch .LBB425_1434
.LBB425_1430:
	s_mov_b64 s[8:9], -1
                                        ; implicit-def: $vgpr12
.LBB425_1431:
	s_and_b64 vcc, exec, s[8:9]
	s_cbranch_vccz .LBB425_1433
; %bb.1432:
	global_load_ubyte v1, v[16:17], off
	s_mov_b32 s8, 0x7f800000
	s_brev_b32 s9, 1
	s_mov_b32 s10, 0x2f800000
	s_waitcnt vmcnt(0)
	v_lshlrev_b32_e32 v1, 24, v1
	v_and_b32_e32 v3, 0x7f000000, v1
	v_ffbh_u32_e32 v5, v3
	v_min_u32_e32 v5, 32, v5
	v_sub_u32_e64 v5, v5, 4 clamp
	v_lshlrev_b32_e32 v9, v5, v3
	v_lshlrev_b32_e32 v5, 23, v5
	v_lshrrev_b32_e32 v9, 4, v9
	v_add_u32_e32 v7, 0x1000000, v3
	v_sub_u32_e32 v5, v9, v5
	v_ashrrev_i32_e32 v7, 8, v7
	v_add_u32_e32 v5, 0x3c000000, v5
	v_and_or_b32 v5, v7, s8, v5
	v_cmp_ne_u32_e32 vcc, 0, v3
	s_mov_b32 s8, 0xcf800000
	s_nop 0
	v_cndmask_b32_e32 v3, 0, v5, vcc
	v_and_or_b32 v1, v1, s9, v3
	v_trunc_f32_e32 v1, v1
	v_mul_f32_e64 v3, |v1|, s10
	v_floor_f32_e32 v3, v3
	v_fma_f32 v3, v3, s8, |v1|
	v_cvt_u32_f32_e32 v3, v3
	v_ashrrev_i32_e32 v1, 31, v1
	v_xor_b32_e32 v3, v3, v1
	v_sub_u32_e32 v12, v3, v1
.LBB425_1433:
	s_mov_b64 s[8:9], 0
.LBB425_1434:
	s_andn2_b64 vcc, exec, s[8:9]
	s_cbranch_vccnz .LBB425_1436
; %bb.1435:
	global_load_ubyte v1, v[16:17], off
	s_movk_i32 s8, 0x7f00
	s_brev_b32 s9, 16
	s_brev_b32 s10, 1
	s_mov_b32 s11, 0x2f800000
	s_waitcnt vmcnt(0)
	v_lshlrev_b16_e32 v3, 8, v1
	v_lshlrev_b32_e32 v1, 25, v1
	v_lshrrev_b32_e32 v5, 4, v1
	v_and_or_b32 v7, v3, s8, 0.5
	v_or_b32_e32 v5, 0x70000000, v5
	v_add_f32_e32 v7, -0.5, v7
	v_mul_f32_e32 v5, 0x7800000, v5
	v_cmp_gt_u32_e32 vcc, s9, v1
	v_bfe_i32 v3, v3, 0, 16
	s_mov_b32 s8, 0xcf800000
	v_cndmask_b32_e32 v1, v5, v7, vcc
	v_and_or_b32 v1, v3, s10, v1
	v_trunc_f32_e32 v1, v1
	v_mul_f32_e64 v3, |v1|, s11
	v_floor_f32_e32 v3, v3
	v_fma_f32 v3, v3, s8, |v1|
	v_cvt_u32_f32_e32 v3, v3
	v_ashrrev_i32_e32 v1, 31, v1
	v_xor_b32_e32 v3, v3, v1
	v_sub_u32_e32 v12, v3, v1
.LBB425_1436:
	s_mov_b64 s[8:9], 0
	s_mov_b64 s[10:11], -1
.LBB425_1437:
	s_andn2_b64 vcc, exec, s[8:9]
	s_mov_b64 s[8:9], 0
	s_cbranch_vccnz .LBB425_1448
; %bb.1438:
	s_cmp_gt_i32 s16, 14
	s_cbranch_scc0 .LBB425_1441
; %bb.1439:
	s_cmp_eq_u32 s16, 15
	s_cbranch_scc0 .LBB425_1444
; %bb.1440:
	global_load_ushort v1, v[16:17], off
	s_mov_b32 s0, 0x2f800000
	s_mov_b32 s1, 0xcf800000
	s_mov_b64 s[10:11], -1
	s_waitcnt vmcnt(0)
	v_lshlrev_b32_e32 v1, 16, v1
	v_trunc_f32_e32 v1, v1
	v_mul_f32_e64 v3, |v1|, s0
	v_floor_f32_e32 v3, v3
	v_fma_f32 v3, v3, s1, |v1|
	v_cvt_u32_f32_e32 v3, v3
	v_ashrrev_i32_e32 v1, 31, v1
	s_mov_b64 s[0:1], 0
	v_xor_b32_e32 v3, v3, v1
	v_sub_u32_e32 v12, v3, v1
	s_branch .LBB425_1445
.LBB425_1441:
	s_mov_b64 s[12:13], -1
                                        ; implicit-def: $vgpr12
	s_branch .LBB425_1446
.LBB425_1442:
	s_andn2_saveexec_b64 s[8:9], s[8:9]
	s_cbranch_execz .LBB425_1423
.LBB425_1443:
	v_cmp_ne_u16_e32 vcc, 0, v1
	s_andn2_b64 s[10:11], s[10:11], exec
	s_and_b64 s[12:13], vcc, exec
	s_or_b64 s[10:11], s[10:11], s[12:13]
	s_or_b64 exec, exec, s[8:9]
	v_mov_b32_e32 v12, 0
	s_and_saveexec_b64 s[8:9], s[10:11]
	s_cbranch_execnz .LBB425_1424
	s_branch .LBB425_1425
.LBB425_1444:
	s_mov_b64 s[0:1], -1
                                        ; implicit-def: $vgpr12
.LBB425_1445:
	s_mov_b64 s[12:13], 0
.LBB425_1446:
	s_and_b64 vcc, exec, s[12:13]
	s_cbranch_vccz .LBB425_1448
; %bb.1447:
	s_cmp_lg_u32 s16, 11
	s_mov_b64 s[8:9], -1
	s_cselect_b64 s[0:1], -1, 0
.LBB425_1448:
	s_and_b64 vcc, exec, s[0:1]
	s_cbranch_vccnz .LBB425_1511
; %bb.1449:
	s_andn2_b64 vcc, exec, s[8:9]
	s_cbranch_vccnz .LBB425_1451
.LBB425_1450:
	global_load_ubyte v1, v[16:17], off
	s_mov_b64 s[10:11], -1
	s_waitcnt vmcnt(0)
	v_cmp_ne_u16_e32 vcc, 0, v1
	s_nop 1
	v_cndmask_b32_e64 v12, 0, 1, vcc
.LBB425_1451:
	s_branch .LBB425_1383
.LBB425_1452:
	s_and_b32 s8, 0xffff, s15
	s_cmp_lt_i32 s8, 5
	s_cbranch_scc1 .LBB425_1457
; %bb.1453:
	s_cmp_lt_i32 s8, 8
	s_cbranch_scc1 .LBB425_1458
; %bb.1454:
	;; [unrolled: 3-line block ×3, first 2 shown]
	s_cmp_gt_i32 s8, 9
	s_cbranch_scc0 .LBB425_1460
; %bb.1456:
	global_load_dwordx2 v[12:13], v[16:17], off
	s_movk_i32 s0, 0xffe0
	s_waitcnt vmcnt(0)
	v_trunc_f64_e32 v[12:13], v[12:13]
	v_ldexp_f64 v[18:19], v[12:13], s0
	v_floor_f64_e32 v[18:19], v[18:19]
	v_fmac_f64_e32 v[12:13], 0xc1f00000, v[18:19]
	v_cvt_u32_f64_e32 v12, v[12:13]
	s_mov_b64 s[0:1], 0
	s_branch .LBB425_1461
.LBB425_1457:
	s_mov_b64 s[0:1], -1
                                        ; implicit-def: $vgpr12
	s_branch .LBB425_1479
.LBB425_1458:
	s_mov_b64 s[0:1], -1
                                        ; implicit-def: $vgpr12
	s_branch .LBB425_1467
.LBB425_1459:
	s_mov_b64 s[0:1], -1
                                        ; implicit-def: $vgpr12
	s_branch .LBB425_1464
.LBB425_1460:
	s_mov_b64 s[0:1], -1
                                        ; implicit-def: $vgpr12
.LBB425_1461:
	s_andn2_b64 vcc, exec, s[0:1]
	s_cbranch_vccnz .LBB425_1463
; %bb.1462:
	global_load_dword v1, v[16:17], off
	s_mov_b32 s0, 0x2f800000
	s_waitcnt vmcnt(0)
	v_trunc_f32_e32 v1, v1
	v_mul_f32_e64 v3, |v1|, s0
	v_floor_f32_e32 v3, v3
	s_mov_b32 s0, 0xcf800000
	v_fma_f32 v3, v3, s0, |v1|
	v_cvt_u32_f32_e32 v3, v3
	v_ashrrev_i32_e32 v1, 31, v1
	v_xor_b32_e32 v3, v3, v1
	v_sub_u32_e32 v12, v3, v1
.LBB425_1463:
	s_mov_b64 s[0:1], 0
.LBB425_1464:
	s_andn2_b64 vcc, exec, s[0:1]
	s_cbranch_vccnz .LBB425_1466
; %bb.1465:
	global_load_dword v1, v[16:17], off
	s_waitcnt vmcnt(0)
	v_cvt_f32_f16_e32 v1, v1
	v_cvt_i32_f32_e32 v12, v1
.LBB425_1466:
	s_mov_b64 s[0:1], 0
.LBB425_1467:
	s_andn2_b64 vcc, exec, s[0:1]
	s_cbranch_vccnz .LBB425_1478
; %bb.1468:
	s_cmp_lt_i32 s8, 6
	s_cbranch_scc1 .LBB425_1471
; %bb.1469:
	s_cmp_gt_i32 s8, 6
	s_cbranch_scc0 .LBB425_1472
; %bb.1470:
	global_load_dwordx2 v[12:13], v[16:17], off
	s_movk_i32 s0, 0xffe0
	s_waitcnt vmcnt(0)
	v_trunc_f64_e32 v[12:13], v[12:13]
	v_ldexp_f64 v[18:19], v[12:13], s0
	v_floor_f64_e32 v[18:19], v[18:19]
	v_fmac_f64_e32 v[12:13], 0xc1f00000, v[18:19]
	v_cvt_u32_f64_e32 v12, v[12:13]
	s_mov_b64 s[0:1], 0
	s_branch .LBB425_1473
.LBB425_1471:
	s_mov_b64 s[0:1], -1
                                        ; implicit-def: $vgpr12
	s_branch .LBB425_1476
.LBB425_1472:
	s_mov_b64 s[0:1], -1
                                        ; implicit-def: $vgpr12
.LBB425_1473:
	s_andn2_b64 vcc, exec, s[0:1]
	s_cbranch_vccnz .LBB425_1475
; %bb.1474:
	global_load_dword v1, v[16:17], off
	s_mov_b32 s0, 0x2f800000
	s_waitcnt vmcnt(0)
	v_trunc_f32_e32 v1, v1
	v_mul_f32_e64 v3, |v1|, s0
	v_floor_f32_e32 v3, v3
	s_mov_b32 s0, 0xcf800000
	v_fma_f32 v3, v3, s0, |v1|
	v_cvt_u32_f32_e32 v3, v3
	v_ashrrev_i32_e32 v1, 31, v1
	v_xor_b32_e32 v3, v3, v1
	v_sub_u32_e32 v12, v3, v1
.LBB425_1475:
	s_mov_b64 s[0:1], 0
.LBB425_1476:
	s_andn2_b64 vcc, exec, s[0:1]
	s_cbranch_vccnz .LBB425_1478
; %bb.1477:
	global_load_ushort v1, v[16:17], off
	s_waitcnt vmcnt(0)
	v_cvt_f32_f16_e32 v1, v1
	v_cvt_i32_f32_e32 v12, v1
.LBB425_1478:
	s_mov_b64 s[0:1], 0
.LBB425_1479:
	s_andn2_b64 vcc, exec, s[0:1]
	s_cbranch_vccnz .LBB425_1499
; %bb.1480:
	s_cmp_lt_i32 s8, 2
	s_cbranch_scc1 .LBB425_1484
; %bb.1481:
	s_cmp_lt_i32 s8, 3
	s_cbranch_scc1 .LBB425_1485
; %bb.1482:
	s_cmp_gt_i32 s8, 3
	s_cbranch_scc0 .LBB425_1486
; %bb.1483:
	global_load_dwordx2 v[12:13], v[16:17], off
	s_mov_b64 s[0:1], 0
	s_branch .LBB425_1487
.LBB425_1484:
	s_mov_b64 s[0:1], -1
                                        ; implicit-def: $vgpr12
	s_branch .LBB425_1493
.LBB425_1485:
	s_mov_b64 s[0:1], -1
                                        ; implicit-def: $vgpr12
	s_branch .LBB425_1490
.LBB425_1486:
	s_mov_b64 s[0:1], -1
                                        ; implicit-def: $vgpr12
.LBB425_1487:
	s_andn2_b64 vcc, exec, s[0:1]
	s_cbranch_vccnz .LBB425_1489
; %bb.1488:
	global_load_dword v12, v[16:17], off
.LBB425_1489:
	s_mov_b64 s[0:1], 0
.LBB425_1490:
	s_andn2_b64 vcc, exec, s[0:1]
	s_cbranch_vccnz .LBB425_1492
; %bb.1491:
	global_load_ushort v12, v[16:17], off
.LBB425_1492:
	s_mov_b64 s[0:1], 0
.LBB425_1493:
	s_andn2_b64 vcc, exec, s[0:1]
	s_cbranch_vccnz .LBB425_1499
; %bb.1494:
	s_cmp_gt_i32 s8, 0
	s_cbranch_scc0 .LBB425_1496
; %bb.1495:
	global_load_ubyte v12, v[16:17], off
	s_mov_b64 s[0:1], 0
	s_branch .LBB425_1497
.LBB425_1496:
	s_mov_b64 s[0:1], -1
                                        ; implicit-def: $vgpr12
.LBB425_1497:
	s_andn2_b64 vcc, exec, s[0:1]
	s_cbranch_vccnz .LBB425_1499
; %bb.1498:
	global_load_ubyte v12, v[16:17], off
.LBB425_1499:
.LBB425_1500:
	v_mov_b32_e32 v15, 0
	s_cmp_lt_i32 s15, 11
	v_lshl_add_u64 v[16:17], s[6:7], 0, v[14:15]
	s_cbranch_scc1 .LBB425_1507
; %bb.1501:
	s_and_b32 s12, 0xffff, s15
	s_cmp_gt_i32 s12, 25
	s_mov_b64 s[6:7], 0
	s_cbranch_scc0 .LBB425_1508
; %bb.1502:
	s_cmp_gt_i32 s12, 28
	s_cbranch_scc0 .LBB425_1509
; %bb.1503:
	s_cmp_gt_i32 s12, 43
	;; [unrolled: 3-line block ×3, first 2 shown]
	s_cbranch_scc0 .LBB425_1512
; %bb.1505:
	s_cmp_eq_u32 s12, 46
	s_mov_b64 s[10:11], 0
	s_cbranch_scc0 .LBB425_1513
; %bb.1506:
	global_load_dword v1, v[16:17], off
	s_mov_b32 s0, 0x2f800000
	s_mov_b32 s1, 0xcf800000
	s_mov_b64 s[8:9], -1
	s_waitcnt vmcnt(0)
	v_lshlrev_b32_e32 v1, 16, v1
	v_trunc_f32_e32 v1, v1
	v_mul_f32_e64 v3, |v1|, s0
	v_floor_f32_e32 v3, v3
	v_fma_f32 v3, v3, s1, |v1|
	v_cvt_u32_f32_e32 v3, v3
	v_ashrrev_i32_e32 v1, 31, v1
	s_mov_b64 s[0:1], 0
	v_xor_b32_e32 v3, v3, v1
	v_sub_u32_e32 v14, v3, v1
	s_branch .LBB425_1514
.LBB425_1507:
	s_mov_b64 s[0:1], -1
	s_mov_b64 s[8:9], 0
                                        ; implicit-def: $vgpr14
	s_branch .LBB425_1576
.LBB425_1508:
	s_mov_b64 s[10:11], -1
	s_mov_b64 s[8:9], 0
	s_mov_b64 s[0:1], 0
                                        ; implicit-def: $vgpr14
	s_branch .LBB425_1541
.LBB425_1509:
	s_mov_b64 s[10:11], -1
	s_mov_b64 s[8:9], 0
	s_mov_b64 s[0:1], 0
                                        ; implicit-def: $vgpr14
	s_branch .LBB425_1524
.LBB425_1510:
	s_mov_b64 s[10:11], -1
	s_mov_b64 s[8:9], 0
	s_mov_b64 s[0:1], 0
                                        ; implicit-def: $vgpr14
	s_branch .LBB425_1519
.LBB425_1511:
	s_trap 2
	s_or_b64 s[2:3], s[2:3], exec
	s_cbranch_execz .LBB425_1450
	s_branch .LBB425_1451
.LBB425_1512:
	s_mov_b64 s[10:11], -1
	s_mov_b64 s[8:9], 0
	s_mov_b64 s[0:1], 0
                                        ; implicit-def: $vgpr14
	s_branch .LBB425_1514
.LBB425_1513:
	s_mov_b64 s[0:1], -1
                                        ; implicit-def: $vgpr14
	s_mov_b64 s[8:9], 0
.LBB425_1514:
	s_and_b64 vcc, exec, s[10:11]
	s_cbranch_vccz .LBB425_1518
; %bb.1515:
	s_cmp_eq_u32 s12, 44
	s_cbranch_scc0 .LBB425_1517
; %bb.1516:
	global_load_ubyte v1, v[16:17], off
	s_mov_b32 s0, 0x2f800000
	s_mov_b32 s1, 0xcf800000
	s_mov_b64 s[8:9], -1
	s_waitcnt vmcnt(0)
	v_lshlrev_b32_e32 v3, 23, v1
	v_trunc_f32_e32 v3, v3
	v_mul_f32_e64 v5, |v3|, s0
	v_floor_f32_e32 v5, v5
	v_fma_f32 v5, v5, s1, |v3|
	v_cvt_u32_f32_e32 v5, v5
	v_ashrrev_i32_e32 v3, 31, v3
	v_cmp_ne_u32_e32 vcc, 0, v1
	s_mov_b64 s[0:1], 0
	v_xor_b32_e32 v5, v5, v3
	v_sub_u32_e32 v3, v5, v3
	v_cndmask_b32_e32 v14, 0, v3, vcc
	s_branch .LBB425_1518
.LBB425_1517:
	s_mov_b64 s[0:1], -1
                                        ; implicit-def: $vgpr14
.LBB425_1518:
	s_mov_b64 s[10:11], 0
.LBB425_1519:
	s_and_b64 vcc, exec, s[10:11]
	s_cbranch_vccz .LBB425_1523
; %bb.1520:
	s_cmp_eq_u32 s12, 29
	s_cbranch_scc0 .LBB425_1522
; %bb.1521:
	global_load_dwordx2 v[14:15], v[16:17], off
	s_mov_b64 s[0:1], 0
	s_mov_b64 s[8:9], -1
	s_branch .LBB425_1523
.LBB425_1522:
	s_mov_b64 s[0:1], -1
                                        ; implicit-def: $vgpr14
.LBB425_1523:
	s_mov_b64 s[10:11], 0
.LBB425_1524:
	s_and_b64 vcc, exec, s[10:11]
	s_cbranch_vccz .LBB425_1540
; %bb.1525:
	s_cmp_lt_i32 s12, 27
	s_cbranch_scc1 .LBB425_1528
; %bb.1526:
	s_cmp_gt_i32 s12, 27
	s_cbranch_scc0 .LBB425_1529
; %bb.1527:
	global_load_dword v14, v[16:17], off
	s_mov_b64 s[8:9], 0
	s_branch .LBB425_1530
.LBB425_1528:
	s_mov_b64 s[8:9], -1
                                        ; implicit-def: $vgpr14
	s_branch .LBB425_1533
.LBB425_1529:
	s_mov_b64 s[8:9], -1
                                        ; implicit-def: $vgpr14
.LBB425_1530:
	s_andn2_b64 vcc, exec, s[8:9]
	s_cbranch_vccnz .LBB425_1532
; %bb.1531:
	global_load_ushort v14, v[16:17], off
.LBB425_1532:
	s_mov_b64 s[8:9], 0
.LBB425_1533:
	s_andn2_b64 vcc, exec, s[8:9]
	s_cbranch_vccnz .LBB425_1539
; %bb.1534:
	global_load_ubyte v1, v[16:17], off
	s_movk_i32 s8, 0x7f
	s_mov_b64 s[10:11], 0
	s_waitcnt vmcnt(0)
	v_cmp_lt_i16_e32 vcc, s8, v1
	s_and_saveexec_b64 s[8:9], vcc
	s_xor_b64 s[8:9], exec, s[8:9]
	s_cbranch_execz .LBB425_1551
; %bb.1535:
	s_movk_i32 s10, 0x80
	v_cmp_ne_u16_e32 vcc, s10, v1
	s_and_b64 s[10:11], vcc, exec
	s_andn2_saveexec_b64 s[8:9], s[8:9]
	s_cbranch_execnz .LBB425_1552
.LBB425_1536:
	s_or_b64 exec, exec, s[8:9]
	v_mov_b32_e32 v14, 0
	s_and_saveexec_b64 s[8:9], s[10:11]
	s_cbranch_execz .LBB425_1538
.LBB425_1537:
	v_lshlrev_b32_e32 v3, 24, v1
	v_and_b32_e32 v1, 0xffff, v1
	v_and_b32_e32 v5, 7, v1
	v_ffbh_u32_e32 v9, v5
	v_min_u32_e32 v9, 32, v9
	v_subrev_u32_e32 v11, 28, v9
	v_bfe_u32 v7, v1, 3, 4
	v_lshlrev_b32_e32 v1, v11, v1
	v_sub_u32_e32 v9, 29, v9
	v_and_b32_e32 v1, 7, v1
	v_cmp_eq_u32_e32 vcc, 0, v7
	v_and_b32_e32 v3, 0x80000000, v3
	s_mov_b32 s10, 0x2f800000
	v_cndmask_b32_e32 v7, v7, v9, vcc
	v_cndmask_b32_e32 v1, v5, v1, vcc
	v_mov_b32_e32 v5, 0x3b800000
	v_lshlrev_b32_e32 v1, 20, v1
	v_lshl_add_u32 v5, v7, 23, v5
	v_or3_b32 v1, v3, v5, v1
	v_trunc_f32_e32 v1, v1
	v_mul_f32_e64 v3, |v1|, s10
	v_floor_f32_e32 v3, v3
	s_mov_b32 s10, 0xcf800000
	v_fma_f32 v3, v3, s10, |v1|
	v_cvt_u32_f32_e32 v3, v3
	v_ashrrev_i32_e32 v1, 31, v1
	v_xor_b32_e32 v3, v3, v1
	v_sub_u32_e32 v14, v3, v1
.LBB425_1538:
	s_or_b64 exec, exec, s[8:9]
.LBB425_1539:
	s_mov_b64 s[8:9], -1
.LBB425_1540:
	s_mov_b64 s[10:11], 0
.LBB425_1541:
	s_and_b64 vcc, exec, s[10:11]
	s_cbranch_vccz .LBB425_1572
; %bb.1542:
	s_cmp_gt_i32 s12, 22
	s_cbranch_scc0 .LBB425_1550
; %bb.1543:
	s_cmp_lt_i32 s12, 24
	s_cbranch_scc1 .LBB425_1553
; %bb.1544:
	s_cmp_gt_i32 s12, 24
	s_cbranch_scc0 .LBB425_1554
; %bb.1545:
	global_load_ubyte v1, v[16:17], off
	s_movk_i32 s6, 0x7f
	s_mov_b64 s[8:9], 0
	s_waitcnt vmcnt(0)
	v_cmp_lt_i16_e32 vcc, s6, v1
	s_and_saveexec_b64 s[6:7], vcc
	s_xor_b64 s[6:7], exec, s[6:7]
	s_cbranch_execz .LBB425_1566
; %bb.1546:
	s_movk_i32 s8, 0x80
	v_cmp_ne_u16_e32 vcc, s8, v1
	s_and_b64 s[8:9], vcc, exec
	s_andn2_saveexec_b64 s[6:7], s[6:7]
	s_cbranch_execnz .LBB425_1567
.LBB425_1547:
	s_or_b64 exec, exec, s[6:7]
	v_mov_b32_e32 v14, 0
	s_and_saveexec_b64 s[6:7], s[8:9]
	s_cbranch_execz .LBB425_1549
.LBB425_1548:
	v_lshlrev_b32_e32 v3, 24, v1
	v_and_b32_e32 v1, 0xffff, v1
	v_and_b32_e32 v5, 3, v1
	v_ffbh_u32_e32 v9, v5
	v_min_u32_e32 v9, 32, v9
	v_subrev_u32_e32 v11, 29, v9
	v_bfe_u32 v7, v1, 2, 5
	v_lshlrev_b32_e32 v1, v11, v1
	v_sub_u32_e32 v9, 30, v9
	v_and_b32_e32 v1, 3, v1
	v_cmp_eq_u32_e32 vcc, 0, v7
	v_and_b32_e32 v3, 0x80000000, v3
	s_mov_b32 s8, 0x2f800000
	v_cndmask_b32_e32 v7, v7, v9, vcc
	v_cndmask_b32_e32 v1, v5, v1, vcc
	v_mov_b32_e32 v5, 0x37800000
	v_lshlrev_b32_e32 v1, 21, v1
	v_lshl_add_u32 v5, v7, 23, v5
	v_or3_b32 v1, v3, v5, v1
	v_trunc_f32_e32 v1, v1
	v_mul_f32_e64 v3, |v1|, s8
	v_floor_f32_e32 v3, v3
	s_mov_b32 s8, 0xcf800000
	v_fma_f32 v3, v3, s8, |v1|
	v_cvt_u32_f32_e32 v3, v3
	v_ashrrev_i32_e32 v1, 31, v1
	v_xor_b32_e32 v3, v3, v1
	v_sub_u32_e32 v14, v3, v1
.LBB425_1549:
	s_or_b64 exec, exec, s[6:7]
	s_mov_b64 s[6:7], 0
	s_branch .LBB425_1555
.LBB425_1550:
	s_mov_b64 s[6:7], -1
                                        ; implicit-def: $vgpr14
	s_branch .LBB425_1561
.LBB425_1551:
	s_andn2_saveexec_b64 s[8:9], s[8:9]
	s_cbranch_execz .LBB425_1536
.LBB425_1552:
	v_cmp_ne_u16_e32 vcc, 0, v1
	s_andn2_b64 s[10:11], s[10:11], exec
	s_and_b64 s[16:17], vcc, exec
	s_or_b64 s[10:11], s[10:11], s[16:17]
	s_or_b64 exec, exec, s[8:9]
	v_mov_b32_e32 v14, 0
	s_and_saveexec_b64 s[8:9], s[10:11]
	s_cbranch_execnz .LBB425_1537
	s_branch .LBB425_1538
.LBB425_1553:
	s_mov_b64 s[6:7], -1
                                        ; implicit-def: $vgpr14
	s_branch .LBB425_1558
.LBB425_1554:
	s_mov_b64 s[6:7], -1
                                        ; implicit-def: $vgpr14
.LBB425_1555:
	s_and_b64 vcc, exec, s[6:7]
	s_cbranch_vccz .LBB425_1557
; %bb.1556:
	global_load_ubyte v1, v[16:17], off
	s_mov_b32 s6, 0x7f800000
	s_brev_b32 s7, 1
	s_mov_b32 s8, 0x2f800000
	s_waitcnt vmcnt(0)
	v_lshlrev_b32_e32 v1, 24, v1
	v_and_b32_e32 v3, 0x7f000000, v1
	v_ffbh_u32_e32 v5, v3
	v_min_u32_e32 v5, 32, v5
	v_sub_u32_e64 v5, v5, 4 clamp
	v_lshlrev_b32_e32 v9, v5, v3
	v_lshlrev_b32_e32 v5, 23, v5
	v_lshrrev_b32_e32 v9, 4, v9
	v_add_u32_e32 v7, 0x1000000, v3
	v_sub_u32_e32 v5, v9, v5
	v_ashrrev_i32_e32 v7, 8, v7
	v_add_u32_e32 v5, 0x3c000000, v5
	v_and_or_b32 v5, v7, s6, v5
	v_cmp_ne_u32_e32 vcc, 0, v3
	s_mov_b32 s6, 0xcf800000
	s_nop 0
	v_cndmask_b32_e32 v3, 0, v5, vcc
	v_and_or_b32 v1, v1, s7, v3
	v_trunc_f32_e32 v1, v1
	v_mul_f32_e64 v3, |v1|, s8
	v_floor_f32_e32 v3, v3
	v_fma_f32 v3, v3, s6, |v1|
	v_cvt_u32_f32_e32 v3, v3
	v_ashrrev_i32_e32 v1, 31, v1
	v_xor_b32_e32 v3, v3, v1
	v_sub_u32_e32 v14, v3, v1
.LBB425_1557:
	s_mov_b64 s[6:7], 0
.LBB425_1558:
	s_andn2_b64 vcc, exec, s[6:7]
	s_cbranch_vccnz .LBB425_1560
; %bb.1559:
	global_load_ubyte v1, v[16:17], off
	s_movk_i32 s6, 0x7f00
	s_brev_b32 s7, 16
	s_brev_b32 s8, 1
	s_mov_b32 s9, 0x2f800000
	s_waitcnt vmcnt(0)
	v_lshlrev_b16_e32 v3, 8, v1
	v_lshlrev_b32_e32 v1, 25, v1
	v_lshrrev_b32_e32 v5, 4, v1
	v_and_or_b32 v7, v3, s6, 0.5
	v_or_b32_e32 v5, 0x70000000, v5
	v_add_f32_e32 v7, -0.5, v7
	v_mul_f32_e32 v5, 0x7800000, v5
	v_cmp_gt_u32_e32 vcc, s7, v1
	v_bfe_i32 v3, v3, 0, 16
	s_mov_b32 s6, 0xcf800000
	v_cndmask_b32_e32 v1, v5, v7, vcc
	v_and_or_b32 v1, v3, s8, v1
	v_trunc_f32_e32 v1, v1
	v_mul_f32_e64 v3, |v1|, s9
	v_floor_f32_e32 v3, v3
	v_fma_f32 v3, v3, s6, |v1|
	v_cvt_u32_f32_e32 v3, v3
	v_ashrrev_i32_e32 v1, 31, v1
	v_xor_b32_e32 v3, v3, v1
	v_sub_u32_e32 v14, v3, v1
.LBB425_1560:
	s_mov_b64 s[6:7], 0
	s_mov_b64 s[8:9], -1
.LBB425_1561:
	s_andn2_b64 vcc, exec, s[6:7]
	s_mov_b64 s[6:7], 0
	s_cbranch_vccnz .LBB425_1572
; %bb.1562:
	s_cmp_gt_i32 s12, 14
	s_cbranch_scc0 .LBB425_1565
; %bb.1563:
	s_cmp_eq_u32 s12, 15
	s_cbranch_scc0 .LBB425_1568
; %bb.1564:
	global_load_ushort v1, v[16:17], off
	s_mov_b32 s0, 0x2f800000
	s_mov_b32 s1, 0xcf800000
	s_mov_b64 s[8:9], -1
	s_waitcnt vmcnt(0)
	v_lshlrev_b32_e32 v1, 16, v1
	v_trunc_f32_e32 v1, v1
	v_mul_f32_e64 v3, |v1|, s0
	v_floor_f32_e32 v3, v3
	v_fma_f32 v3, v3, s1, |v1|
	v_cvt_u32_f32_e32 v3, v3
	v_ashrrev_i32_e32 v1, 31, v1
	s_mov_b64 s[0:1], 0
	v_xor_b32_e32 v3, v3, v1
	v_sub_u32_e32 v14, v3, v1
	s_branch .LBB425_1569
.LBB425_1565:
	s_mov_b64 s[10:11], -1
                                        ; implicit-def: $vgpr14
	s_branch .LBB425_1570
.LBB425_1566:
	s_andn2_saveexec_b64 s[6:7], s[6:7]
	s_cbranch_execz .LBB425_1547
.LBB425_1567:
	v_cmp_ne_u16_e32 vcc, 0, v1
	s_andn2_b64 s[8:9], s[8:9], exec
	s_and_b64 s[10:11], vcc, exec
	s_or_b64 s[8:9], s[8:9], s[10:11]
	s_or_b64 exec, exec, s[6:7]
	v_mov_b32_e32 v14, 0
	s_and_saveexec_b64 s[6:7], s[8:9]
	s_cbranch_execnz .LBB425_1548
	s_branch .LBB425_1549
.LBB425_1568:
	s_mov_b64 s[0:1], -1
                                        ; implicit-def: $vgpr14
.LBB425_1569:
	s_mov_b64 s[10:11], 0
.LBB425_1570:
	s_and_b64 vcc, exec, s[10:11]
	s_cbranch_vccz .LBB425_1572
; %bb.1571:
	s_cmp_lg_u32 s12, 11
	s_mov_b64 s[6:7], -1
	s_cselect_b64 s[0:1], -1, 0
.LBB425_1572:
	s_and_b64 vcc, exec, s[0:1]
	s_cbranch_vccnz .LBB425_2105
; %bb.1573:
	s_andn2_b64 vcc, exec, s[6:7]
	s_cbranch_vccnz .LBB425_1575
.LBB425_1574:
	global_load_ubyte v1, v[16:17], off
	s_mov_b64 s[8:9], -1
	s_waitcnt vmcnt(0)
	v_cmp_ne_u16_e32 vcc, 0, v1
	s_nop 1
	v_cndmask_b32_e64 v14, 0, 1, vcc
.LBB425_1575:
	s_mov_b64 s[0:1], 0
.LBB425_1576:
	s_and_b64 vcc, exec, s[0:1]
	s_cbranch_vccz .LBB425_1625
; %bb.1577:
	s_and_b32 s6, 0xffff, s15
	s_cmp_lt_i32 s6, 5
	s_cbranch_scc1 .LBB425_1582
; %bb.1578:
	s_cmp_lt_i32 s6, 8
	s_cbranch_scc1 .LBB425_1583
; %bb.1579:
	s_cmp_lt_i32 s6, 9
	s_cbranch_scc1 .LBB425_1584
; %bb.1580:
	s_cmp_gt_i32 s6, 9
	s_cbranch_scc0 .LBB425_1585
; %bb.1581:
	global_load_dwordx2 v[14:15], v[16:17], off
	s_movk_i32 s0, 0xffe0
	s_waitcnt vmcnt(0)
	v_trunc_f64_e32 v[14:15], v[14:15]
	v_ldexp_f64 v[18:19], v[14:15], s0
	v_floor_f64_e32 v[18:19], v[18:19]
	v_fmac_f64_e32 v[14:15], 0xc1f00000, v[18:19]
	v_cvt_u32_f64_e32 v14, v[14:15]
	s_mov_b64 s[0:1], 0
	s_branch .LBB425_1586
.LBB425_1582:
	s_mov_b64 s[0:1], -1
                                        ; implicit-def: $vgpr14
	s_branch .LBB425_1604
.LBB425_1583:
	s_mov_b64 s[0:1], -1
                                        ; implicit-def: $vgpr14
	s_branch .LBB425_1592
.LBB425_1584:
	s_mov_b64 s[0:1], -1
                                        ; implicit-def: $vgpr14
	s_branch .LBB425_1589
.LBB425_1585:
	s_mov_b64 s[0:1], -1
                                        ; implicit-def: $vgpr14
.LBB425_1586:
	s_andn2_b64 vcc, exec, s[0:1]
	s_cbranch_vccnz .LBB425_1588
; %bb.1587:
	global_load_dword v1, v[16:17], off
	s_mov_b32 s0, 0x2f800000
	s_waitcnt vmcnt(0)
	v_trunc_f32_e32 v1, v1
	v_mul_f32_e64 v3, |v1|, s0
	v_floor_f32_e32 v3, v3
	s_mov_b32 s0, 0xcf800000
	v_fma_f32 v3, v3, s0, |v1|
	v_cvt_u32_f32_e32 v3, v3
	v_ashrrev_i32_e32 v1, 31, v1
	v_xor_b32_e32 v3, v3, v1
	v_sub_u32_e32 v14, v3, v1
.LBB425_1588:
	s_mov_b64 s[0:1], 0
.LBB425_1589:
	s_andn2_b64 vcc, exec, s[0:1]
	s_cbranch_vccnz .LBB425_1591
; %bb.1590:
	global_load_dword v1, v[16:17], off
	s_waitcnt vmcnt(0)
	v_cvt_f32_f16_e32 v1, v1
	v_cvt_i32_f32_e32 v14, v1
.LBB425_1591:
	s_mov_b64 s[0:1], 0
.LBB425_1592:
	s_andn2_b64 vcc, exec, s[0:1]
	s_cbranch_vccnz .LBB425_1603
; %bb.1593:
	s_cmp_lt_i32 s6, 6
	s_cbranch_scc1 .LBB425_1596
; %bb.1594:
	s_cmp_gt_i32 s6, 6
	s_cbranch_scc0 .LBB425_1597
; %bb.1595:
	global_load_dwordx2 v[14:15], v[16:17], off
	s_movk_i32 s0, 0xffe0
	s_waitcnt vmcnt(0)
	v_trunc_f64_e32 v[14:15], v[14:15]
	v_ldexp_f64 v[18:19], v[14:15], s0
	v_floor_f64_e32 v[18:19], v[18:19]
	v_fmac_f64_e32 v[14:15], 0xc1f00000, v[18:19]
	v_cvt_u32_f64_e32 v14, v[14:15]
	s_mov_b64 s[0:1], 0
	s_branch .LBB425_1598
.LBB425_1596:
	s_mov_b64 s[0:1], -1
                                        ; implicit-def: $vgpr14
	s_branch .LBB425_1601
.LBB425_1597:
	s_mov_b64 s[0:1], -1
                                        ; implicit-def: $vgpr14
.LBB425_1598:
	s_andn2_b64 vcc, exec, s[0:1]
	s_cbranch_vccnz .LBB425_1600
; %bb.1599:
	global_load_dword v1, v[16:17], off
	s_mov_b32 s0, 0x2f800000
	s_waitcnt vmcnt(0)
	v_trunc_f32_e32 v1, v1
	v_mul_f32_e64 v3, |v1|, s0
	v_floor_f32_e32 v3, v3
	s_mov_b32 s0, 0xcf800000
	v_fma_f32 v3, v3, s0, |v1|
	v_cvt_u32_f32_e32 v3, v3
	v_ashrrev_i32_e32 v1, 31, v1
	v_xor_b32_e32 v3, v3, v1
	v_sub_u32_e32 v14, v3, v1
.LBB425_1600:
	s_mov_b64 s[0:1], 0
.LBB425_1601:
	s_andn2_b64 vcc, exec, s[0:1]
	s_cbranch_vccnz .LBB425_1603
; %bb.1602:
	global_load_ushort v1, v[16:17], off
	s_waitcnt vmcnt(0)
	v_cvt_f32_f16_e32 v1, v1
	v_cvt_i32_f32_e32 v14, v1
.LBB425_1603:
	s_mov_b64 s[0:1], 0
.LBB425_1604:
	s_andn2_b64 vcc, exec, s[0:1]
	s_cbranch_vccnz .LBB425_1624
; %bb.1605:
	s_cmp_lt_i32 s6, 2
	s_cbranch_scc1 .LBB425_1609
; %bb.1606:
	s_cmp_lt_i32 s6, 3
	s_cbranch_scc1 .LBB425_1610
; %bb.1607:
	s_cmp_gt_i32 s6, 3
	s_cbranch_scc0 .LBB425_1611
; %bb.1608:
	global_load_dwordx2 v[14:15], v[16:17], off
	s_mov_b64 s[0:1], 0
	s_branch .LBB425_1612
.LBB425_1609:
	s_mov_b64 s[0:1], -1
                                        ; implicit-def: $vgpr14
	s_branch .LBB425_1618
.LBB425_1610:
	s_mov_b64 s[0:1], -1
                                        ; implicit-def: $vgpr14
	s_branch .LBB425_1615
.LBB425_1611:
	s_mov_b64 s[0:1], -1
                                        ; implicit-def: $vgpr14
.LBB425_1612:
	s_andn2_b64 vcc, exec, s[0:1]
	s_cbranch_vccnz .LBB425_1614
; %bb.1613:
	global_load_dword v14, v[16:17], off
.LBB425_1614:
	s_mov_b64 s[0:1], 0
.LBB425_1615:
	s_andn2_b64 vcc, exec, s[0:1]
	s_cbranch_vccnz .LBB425_1617
; %bb.1616:
	global_load_ushort v14, v[16:17], off
.LBB425_1617:
	s_mov_b64 s[0:1], 0
.LBB425_1618:
	s_andn2_b64 vcc, exec, s[0:1]
	s_cbranch_vccnz .LBB425_1624
; %bb.1619:
	s_cmp_gt_i32 s6, 0
	s_cbranch_scc0 .LBB425_1621
; %bb.1620:
	global_load_ubyte v14, v[16:17], off
	s_mov_b64 s[0:1], 0
	s_branch .LBB425_1622
.LBB425_1621:
	s_mov_b64 s[0:1], -1
                                        ; implicit-def: $vgpr14
.LBB425_1622:
	s_andn2_b64 vcc, exec, s[0:1]
	s_cbranch_vccnz .LBB425_1624
; %bb.1623:
	global_load_ubyte v14, v[16:17], off
.LBB425_1624:
	s_mov_b64 s[8:9], -1
.LBB425_1625:
	s_andn2_b64 vcc, exec, s[8:9]
	s_cbranch_vccnz .LBB425_2059
; %bb.1626:
	s_load_dword s0, s[34:35], 0x158
	s_bfe_u32 s16, s14, 0x80008
	s_waitcnt vmcnt(0)
	v_mov_b32_e32 v7, 0
	v_lshl_add_u64 v[6:7], s[4:5], 0, v[6:7]
	s_waitcnt lgkmcnt(0)
	s_and_b32 s15, s0, 0xff
	v_min_u16_sdwa v8, v8, s15 dst_sel:DWORD dst_unused:UNUSED_PAD src0_sel:BYTE_0 src1_sel:DWORD
	s_cmp_lt_i32 s16, 11
	s_cbranch_scc1 .LBB425_1704
; %bb.1627:
	s_and_b32 s17, 0xffff, s16
	s_mov_b64 s[10:11], -1
	s_mov_b64 s[6:7], 0
	s_cmp_gt_i32 s17, 25
	s_mov_b64 s[8:9], 0
	s_mov_b64 s[0:1], 0
	s_cbranch_scc0 .LBB425_1660
; %bb.1628:
	s_cmp_gt_i32 s17, 28
	s_cbranch_scc0 .LBB425_1643
; %bb.1629:
	s_cmp_gt_i32 s17, 43
	;; [unrolled: 3-line block ×3, first 2 shown]
	s_cbranch_scc0 .LBB425_1633
; %bb.1631:
	s_mov_b64 s[0:1], -1
	s_mov_b64 s[10:11], 0
	s_cmp_eq_u32 s17, 46
	s_cbranch_scc0 .LBB425_1633
; %bb.1632:
	v_cvt_f32_ubyte0_e32 v1, v8
	v_bfe_u32 v3, v1, 16, 1
	s_movk_i32 s0, 0x7fff
	v_add3_u32 v1, v1, v3, s0
	v_lshrrev_b32_e32 v1, 16, v1
	global_store_dword v[6:7], v1, off
	s_mov_b64 s[0:1], 0
	s_mov_b64 s[8:9], -1
.LBB425_1633:
	s_and_b64 vcc, exec, s[10:11]
	s_cbranch_vccz .LBB425_1638
; %bb.1634:
	s_cmp_eq_u32 s17, 44
	s_mov_b64 s[0:1], -1
	s_cbranch_scc0 .LBB425_1638
; %bb.1635:
	v_cvt_f32_ubyte0_e32 v3, v8
	v_lshrrev_b32_e32 v1, 23, v3
	s_movk_i32 s0, 0xff
	v_cmp_ne_u32_e32 vcc, s0, v1
	v_mov_b32_e32 v5, 0xff
	s_and_saveexec_b64 s[8:9], vcc
; %bb.1636:
	s_mov_b32 s0, 0x3fffff
	v_and_b32_e32 v5, 0x400000, v3
	v_and_or_b32 v3, v3, s0, v1
	v_cmp_ne_u32_e32 vcc, 0, v5
	v_cmp_ne_u32_e64 s[0:1], 0, v3
	s_and_b64 s[0:1], vcc, s[0:1]
	s_nop 0
	v_cndmask_b32_e64 v3, 0, 1, s[0:1]
	v_add_u32_e32 v5, v1, v3
; %bb.1637:
	s_or_b64 exec, exec, s[8:9]
	s_mov_b64 s[0:1], 0
	s_mov_b64 s[8:9], -1
	global_store_byte v[6:7], v5, off
.LBB425_1638:
	s_mov_b64 s[10:11], 0
.LBB425_1639:
	s_and_b64 vcc, exec, s[10:11]
	s_cbranch_vccz .LBB425_1642
; %bb.1640:
	s_cmp_eq_u32 s17, 29
	s_mov_b64 s[0:1], -1
	s_cbranch_scc0 .LBB425_1642
; %bb.1641:
	s_mov_b32 s0, 0
	v_mov_b32_e32 v9, s0
	global_store_dwordx2 v[6:7], v[8:9], off
	s_mov_b64 s[0:1], 0
	s_mov_b64 s[8:9], -1
.LBB425_1642:
	s_mov_b64 s[10:11], 0
.LBB425_1643:
	s_and_b64 vcc, exec, s[10:11]
	s_cbranch_vccz .LBB425_1659
; %bb.1644:
	s_cmp_lt_i32 s17, 27
	s_mov_b64 s[8:9], -1
	s_cbranch_scc1 .LBB425_1650
; %bb.1645:
	s_cmp_gt_i32 s17, 27
	s_cbranch_scc0 .LBB425_1647
; %bb.1646:
	s_mov_b64 s[8:9], 0
	global_store_dword v[6:7], v8, off
.LBB425_1647:
	s_andn2_b64 vcc, exec, s[8:9]
	s_cbranch_vccnz .LBB425_1649
; %bb.1648:
	global_store_short v[6:7], v8, off
.LBB425_1649:
	s_mov_b64 s[8:9], 0
.LBB425_1650:
	s_andn2_b64 vcc, exec, s[8:9]
	s_cbranch_vccnz .LBB425_1658
; %bb.1651:
	v_cvt_f32_ubyte0_e32 v3, v8
	s_mov_b32 s8, 0x43800000
	v_cmp_gt_u32_e32 vcc, s8, v3
	v_mov_b32_e32 v5, 0x80
	s_and_saveexec_b64 s[8:9], vcc
	s_cbranch_execz .LBB425_1657
; %bb.1652:
	s_mov_b32 s10, 0x3bffffff
	v_cmp_lt_u32_e32 vcc, s10, v3
	s_mov_b64 s[10:11], 0
                                        ; implicit-def: $vgpr1
	s_and_saveexec_b64 s[12:13], vcc
	s_xor_b64 s[12:13], exec, s[12:13]
	s_cbranch_execz .LBB425_2106
; %bb.1653:
	v_bfe_u32 v1, v3, 20, 1
	s_mov_b32 s18, 0x487ffff
	v_add3_u32 v1, v3, v1, s18
	s_mov_b64 s[10:11], exec
	v_lshrrev_b32_e32 v1, 20, v1
                                        ; implicit-def: $vgpr3
	s_andn2_saveexec_b64 s[12:13], s[12:13]
	s_cbranch_execnz .LBB425_2107
.LBB425_1654:
	s_or_b64 exec, exec, s[12:13]
	v_mov_b32_e32 v5, 0
	s_and_saveexec_b64 s[12:13], s[10:11]
.LBB425_1655:
	v_mov_b32_e32 v5, v1
.LBB425_1656:
	s_or_b64 exec, exec, s[12:13]
.LBB425_1657:
	s_or_b64 exec, exec, s[8:9]
	global_store_byte v[6:7], v5, off
.LBB425_1658:
	s_mov_b64 s[8:9], -1
.LBB425_1659:
	s_mov_b64 s[10:11], 0
.LBB425_1660:
	s_and_b64 vcc, exec, s[10:11]
	s_cbranch_vccz .LBB425_1700
; %bb.1661:
	s_cmp_gt_i32 s17, 22
	s_mov_b64 s[6:7], -1
	s_cbranch_scc0 .LBB425_1693
; %bb.1662:
	s_cmp_lt_i32 s17, 24
	s_cbranch_scc1 .LBB425_1682
; %bb.1663:
	s_cmp_gt_i32 s17, 24
	s_cbranch_scc0 .LBB425_1671
; %bb.1664:
	v_cvt_f32_ubyte0_e32 v3, v8
	s_mov_b32 s6, 0x47800000
	v_cmp_gt_u32_e32 vcc, s6, v3
	v_mov_b32_e32 v5, 0x80
	s_and_saveexec_b64 s[6:7], vcc
	s_cbranch_execz .LBB425_1670
; %bb.1665:
	s_mov_b32 s8, 0x37ffffff
	v_cmp_lt_u32_e32 vcc, s8, v3
	s_mov_b64 s[8:9], 0
                                        ; implicit-def: $vgpr1
	s_and_saveexec_b64 s[10:11], vcc
	s_xor_b64 s[10:11], exec, s[10:11]
	s_cbranch_execz .LBB425_2109
; %bb.1666:
	v_bfe_u32 v1, v3, 21, 1
	s_mov_b32 s12, 0x88fffff
	v_add3_u32 v1, v3, v1, s12
	s_mov_b64 s[8:9], exec
	v_lshrrev_b32_e32 v1, 21, v1
                                        ; implicit-def: $vgpr3
	s_andn2_saveexec_b64 s[10:11], s[10:11]
	s_cbranch_execnz .LBB425_2110
.LBB425_1667:
	s_or_b64 exec, exec, s[10:11]
	v_mov_b32_e32 v5, 0
	s_and_saveexec_b64 s[10:11], s[8:9]
.LBB425_1668:
	v_mov_b32_e32 v5, v1
.LBB425_1669:
	s_or_b64 exec, exec, s[10:11]
.LBB425_1670:
	s_or_b64 exec, exec, s[6:7]
	s_mov_b64 s[6:7], 0
	global_store_byte v[6:7], v5, off
.LBB425_1671:
	s_and_b64 vcc, exec, s[6:7]
	s_cbranch_vccz .LBB425_1681
; %bb.1672:
	v_cvt_f32_ubyte0_e32 v1, v8
	s_mov_b32 s6, 0x43f00000
	v_cmp_gt_u32_e32 vcc, s6, v1
                                        ; implicit-def: $vgpr3
	s_and_saveexec_b64 s[6:7], vcc
	s_xor_b64 s[6:7], exec, s[6:7]
	s_cbranch_execz .LBB425_1678
; %bb.1673:
	s_mov_b32 s8, 0x3c7fffff
	v_cmp_lt_u32_e32 vcc, s8, v1
                                        ; implicit-def: $vgpr3
	s_and_saveexec_b64 s[8:9], vcc
	s_xor_b64 s[8:9], exec, s[8:9]
; %bb.1674:
	v_bfe_u32 v3, v1, 20, 1
	s_mov_b32 s10, 0x407ffff
	v_add3_u32 v1, v1, v3, s10
	v_lshrrev_b32_e32 v3, 20, v1
	v_and_b32_e32 v1, 0xff00000, v1
	s_mov_b32 s10, 0x7f00000
	v_mov_b32_e32 v5, 0x7e
	v_cmp_ne_u32_e32 vcc, s10, v1
                                        ; implicit-def: $vgpr1
	s_nop 1
	v_cndmask_b32_e32 v3, v5, v3, vcc
; %bb.1675:
	s_andn2_saveexec_b64 s[8:9], s[8:9]
; %bb.1676:
	v_add_f32_e32 v3, 0x46800000, v1
; %bb.1677:
	s_or_b64 exec, exec, s[8:9]
                                        ; implicit-def: $vgpr1
.LBB425_1678:
	s_andn2_saveexec_b64 s[6:7], s[6:7]
; %bb.1679:
	s_mov_b32 s8, 0x7f800000
	v_mov_b32_e32 v3, 0x7e
	v_mov_b32_e32 v5, 0x7f
	v_cmp_lt_u32_e32 vcc, s8, v1
	s_nop 1
	v_cndmask_b32_e32 v3, v3, v5, vcc
; %bb.1680:
	s_or_b64 exec, exec, s[6:7]
	global_store_byte v[6:7], v3, off
.LBB425_1681:
	s_mov_b64 s[6:7], 0
.LBB425_1682:
	s_andn2_b64 vcc, exec, s[6:7]
	s_cbranch_vccnz .LBB425_1692
; %bb.1683:
	v_cvt_f32_ubyte0_e32 v1, v8
	s_mov_b32 s6, 0x47800000
	v_cmp_gt_u32_e32 vcc, s6, v1
                                        ; implicit-def: $vgpr3
	s_and_saveexec_b64 s[6:7], vcc
	s_xor_b64 s[6:7], exec, s[6:7]
	s_cbranch_execz .LBB425_1689
; %bb.1684:
	s_mov_b32 s8, 0x387fffff
	v_cmp_lt_u32_e32 vcc, s8, v1
                                        ; implicit-def: $vgpr3
	s_and_saveexec_b64 s[8:9], vcc
	s_xor_b64 s[8:9], exec, s[8:9]
; %bb.1685:
	v_bfe_u32 v3, v1, 21, 1
	s_mov_b32 s10, 0x80fffff
	v_add3_u32 v1, v1, v3, s10
	v_lshrrev_b32_e32 v3, 21, v1
                                        ; implicit-def: $vgpr1
; %bb.1686:
	s_andn2_saveexec_b64 s[8:9], s[8:9]
; %bb.1687:
	v_add_f32_e32 v3, 0x43000000, v1
; %bb.1688:
	s_or_b64 exec, exec, s[8:9]
                                        ; implicit-def: $vgpr1
.LBB425_1689:
	s_andn2_saveexec_b64 s[6:7], s[6:7]
; %bb.1690:
	s_mov_b32 s8, 0x7f800000
	v_mov_b32_e32 v3, 0x7c
	v_mov_b32_e32 v5, 0x7f
	v_cmp_lt_u32_e32 vcc, s8, v1
	s_nop 1
	v_cndmask_b32_e32 v3, v3, v5, vcc
; %bb.1691:
	s_or_b64 exec, exec, s[6:7]
	global_store_byte v[6:7], v3, off
.LBB425_1692:
	s_mov_b64 s[6:7], 0
	s_mov_b64 s[8:9], -1
.LBB425_1693:
	s_andn2_b64 vcc, exec, s[6:7]
	s_mov_b64 s[6:7], 0
	s_cbranch_vccnz .LBB425_1700
; %bb.1694:
	s_cmp_gt_i32 s17, 14
	s_mov_b64 s[10:11], -1
	s_cbranch_scc0 .LBB425_1698
; %bb.1695:
	s_cmp_eq_u32 s17, 15
	s_mov_b64 s[0:1], -1
	s_cbranch_scc0 .LBB425_1697
; %bb.1696:
	v_cvt_f32_ubyte0_e32 v1, v8
	v_bfe_u32 v3, v1, 16, 1
	s_movk_i32 s0, 0x7fff
	v_add3_u32 v1, v1, v3, s0
	global_store_short_d16_hi v[6:7], v1, off
	s_mov_b64 s[0:1], 0
	s_mov_b64 s[8:9], -1
.LBB425_1697:
	s_mov_b64 s[10:11], 0
.LBB425_1698:
	s_and_b64 vcc, exec, s[10:11]
	s_cbranch_vccz .LBB425_1700
; %bb.1699:
	s_cmp_lg_u32 s17, 11
	s_mov_b64 s[6:7], -1
	s_cselect_b64 s[0:1], -1, 0
.LBB425_1700:
	s_and_b64 vcc, exec, s[0:1]
	s_cbranch_vccnz .LBB425_2108
; %bb.1701:
	s_andn2_b64 vcc, exec, s[6:7]
	s_cbranch_vccnz .LBB425_1703
.LBB425_1702:
	v_cmp_ne_u16_e32 vcc, 0, v8
	s_mov_b64 s[8:9], -1
	s_nop 0
	v_cndmask_b32_e64 v1, 0, 1, vcc
	global_store_byte v[6:7], v1, off
.LBB425_1703:
	s_mov_b64 s[0:1], 0
	s_branch .LBB425_1705
.LBB425_1704:
	s_mov_b64 s[0:1], -1
	s_mov_b64 s[8:9], 0
.LBB425_1705:
	s_and_b64 vcc, exec, s[0:1]
	s_cbranch_vccz .LBB425_1744
; %bb.1706:
	s_and_b32 s6, 0xffff, s16
	s_cmp_lt_i32 s6, 5
	s_mov_b64 s[0:1], -1
	s_cbranch_scc1 .LBB425_1727
; %bb.1707:
	s_cmp_lt_i32 s6, 8
	s_cbranch_scc1 .LBB425_1717
; %bb.1708:
	s_cmp_lt_i32 s6, 9
	s_cbranch_scc1 .LBB425_1714
; %bb.1709:
	s_cmp_gt_i32 s6, 9
	s_cbranch_scc0 .LBB425_1711
; %bb.1710:
	v_mov_b32_e32 v18, 0
	v_cvt_f64_u32_e32 v[16:17], v8
	v_mov_b32_e32 v19, v18
	global_store_dwordx4 v[6:7], v[16:19], off
	s_mov_b64 s[0:1], 0
.LBB425_1711:
	s_andn2_b64 vcc, exec, s[0:1]
	s_cbranch_vccnz .LBB425_1713
; %bb.1712:
	v_cvt_f32_ubyte0_e32 v16, v8
	v_mov_b32_e32 v17, 0
	global_store_dwordx2 v[6:7], v[16:17], off
.LBB425_1713:
	s_mov_b64 s[0:1], 0
.LBB425_1714:
	s_andn2_b64 vcc, exec, s[0:1]
	s_cbranch_vccnz .LBB425_1716
; %bb.1715:
	v_cvt_f16_u16_e32 v1, v8
	global_store_dword v[6:7], v1, off
.LBB425_1716:
	s_mov_b64 s[0:1], 0
.LBB425_1717:
	s_andn2_b64 vcc, exec, s[0:1]
	s_cbranch_vccnz .LBB425_1726
; %bb.1718:
	s_cmp_lt_i32 s6, 6
	s_mov_b64 s[0:1], -1
	s_cbranch_scc1 .LBB425_1724
; %bb.1719:
	s_cmp_gt_i32 s6, 6
	s_cbranch_scc0 .LBB425_1721
; %bb.1720:
	v_cvt_f64_u32_e32 v[16:17], v8
	global_store_dwordx2 v[6:7], v[16:17], off
	s_mov_b64 s[0:1], 0
.LBB425_1721:
	s_andn2_b64 vcc, exec, s[0:1]
	s_cbranch_vccnz .LBB425_1723
; %bb.1722:
	v_cvt_f32_ubyte0_e32 v1, v8
	global_store_dword v[6:7], v1, off
.LBB425_1723:
	s_mov_b64 s[0:1], 0
.LBB425_1724:
	s_andn2_b64 vcc, exec, s[0:1]
	s_cbranch_vccnz .LBB425_1726
; %bb.1725:
	v_cvt_f16_u16_e32 v1, v8
	global_store_short v[6:7], v1, off
.LBB425_1726:
	s_mov_b64 s[0:1], 0
.LBB425_1727:
	s_andn2_b64 vcc, exec, s[0:1]
	s_cbranch_vccnz .LBB425_1743
; %bb.1728:
	s_cmp_lt_i32 s6, 2
	s_mov_b64 s[0:1], -1
	s_cbranch_scc1 .LBB425_1738
; %bb.1729:
	s_cmp_lt_i32 s6, 3
	s_cbranch_scc1 .LBB425_1735
; %bb.1730:
	s_cmp_gt_i32 s6, 3
	s_cbranch_scc0 .LBB425_1732
; %bb.1731:
	s_mov_b32 s0, 0
	v_mov_b32_e32 v9, s0
	global_store_dwordx2 v[6:7], v[8:9], off
	s_mov_b64 s[0:1], 0
.LBB425_1732:
	s_andn2_b64 vcc, exec, s[0:1]
	s_cbranch_vccnz .LBB425_1734
; %bb.1733:
	global_store_dword v[6:7], v8, off
.LBB425_1734:
	s_mov_b64 s[0:1], 0
.LBB425_1735:
	s_andn2_b64 vcc, exec, s[0:1]
	s_cbranch_vccnz .LBB425_1737
; %bb.1736:
	global_store_short v[6:7], v8, off
.LBB425_1737:
	s_mov_b64 s[0:1], 0
.LBB425_1738:
	s_andn2_b64 vcc, exec, s[0:1]
	s_cbranch_vccnz .LBB425_1743
; %bb.1739:
	s_cmp_gt_i32 s6, 0
	s_mov_b64 s[0:1], -1
	s_cbranch_scc0 .LBB425_1741
; %bb.1740:
	global_store_byte v[6:7], v8, off
	s_mov_b64 s[0:1], 0
.LBB425_1741:
	s_andn2_b64 vcc, exec, s[0:1]
	s_cbranch_vccnz .LBB425_1743
; %bb.1742:
	global_store_byte v[6:7], v8, off
.LBB425_1743:
	s_mov_b64 s[8:9], -1
.LBB425_1744:
	s_andn2_b64 vcc, exec, s[8:9]
	s_cbranch_vccnz .LBB425_2059
; %bb.1745:
	s_lshr_b32 s0, s14, 8
	s_and_b32 s14, s0, 0xff
	v_mov_b32_e32 v5, 0
	v_min_u16_sdwa v6, v10, s15 dst_sel:DWORD dst_unused:UNUSED_PAD src0_sel:BYTE_0 src1_sel:DWORD
	s_cmp_lt_i32 s14, 11
	v_lshl_add_u64 v[4:5], s[4:5], 0, v[4:5]
	s_cbranch_scc1 .LBB425_1823
; %bb.1746:
	s_and_b32 s16, 0xffff, s14
	s_mov_b64 s[10:11], -1
	s_mov_b64 s[6:7], 0
	s_cmp_gt_i32 s16, 25
	s_mov_b64 s[8:9], 0
	s_mov_b64 s[0:1], 0
	s_cbranch_scc0 .LBB425_1779
; %bb.1747:
	s_cmp_gt_i32 s16, 28
	s_cbranch_scc0 .LBB425_1762
; %bb.1748:
	s_cmp_gt_i32 s16, 43
	;; [unrolled: 3-line block ×3, first 2 shown]
	s_cbranch_scc0 .LBB425_1752
; %bb.1750:
	s_mov_b64 s[0:1], -1
	s_mov_b64 s[10:11], 0
	s_cmp_eq_u32 s16, 46
	s_cbranch_scc0 .LBB425_1752
; %bb.1751:
	v_cvt_f32_ubyte0_e32 v1, v6
	v_bfe_u32 v3, v1, 16, 1
	s_movk_i32 s0, 0x7fff
	v_add3_u32 v1, v1, v3, s0
	v_lshrrev_b32_e32 v1, 16, v1
	global_store_dword v[4:5], v1, off
	s_mov_b64 s[0:1], 0
	s_mov_b64 s[8:9], -1
.LBB425_1752:
	s_and_b64 vcc, exec, s[10:11]
	s_cbranch_vccz .LBB425_1757
; %bb.1753:
	s_cmp_eq_u32 s16, 44
	s_mov_b64 s[0:1], -1
	s_cbranch_scc0 .LBB425_1757
; %bb.1754:
	v_cvt_f32_ubyte0_e32 v3, v6
	v_lshrrev_b32_e32 v1, 23, v3
	s_movk_i32 s0, 0xff
	v_cmp_ne_u32_e32 vcc, s0, v1
	v_mov_b32_e32 v7, 0xff
	s_and_saveexec_b64 s[8:9], vcc
; %bb.1755:
	s_mov_b32 s0, 0x3fffff
	v_and_b32_e32 v7, 0x400000, v3
	v_and_or_b32 v3, v3, s0, v1
	v_cmp_ne_u32_e32 vcc, 0, v7
	v_cmp_ne_u32_e64 s[0:1], 0, v3
	s_and_b64 s[0:1], vcc, s[0:1]
	s_nop 0
	v_cndmask_b32_e64 v3, 0, 1, s[0:1]
	v_add_u32_e32 v7, v1, v3
; %bb.1756:
	s_or_b64 exec, exec, s[8:9]
	s_mov_b64 s[0:1], 0
	s_mov_b64 s[8:9], -1
	global_store_byte v[4:5], v7, off
.LBB425_1757:
	s_mov_b64 s[10:11], 0
.LBB425_1758:
	s_and_b64 vcc, exec, s[10:11]
	s_cbranch_vccz .LBB425_1761
; %bb.1759:
	s_cmp_eq_u32 s16, 29
	s_mov_b64 s[0:1], -1
	s_cbranch_scc0 .LBB425_1761
; %bb.1760:
	s_mov_b32 s0, 0
	v_mov_b32_e32 v7, s0
	global_store_dwordx2 v[4:5], v[6:7], off
	s_mov_b64 s[0:1], 0
	s_mov_b64 s[8:9], -1
.LBB425_1761:
	s_mov_b64 s[10:11], 0
.LBB425_1762:
	s_and_b64 vcc, exec, s[10:11]
	s_cbranch_vccz .LBB425_1778
; %bb.1763:
	s_cmp_lt_i32 s16, 27
	s_mov_b64 s[8:9], -1
	s_cbranch_scc1 .LBB425_1769
; %bb.1764:
	s_cmp_gt_i32 s16, 27
	s_cbranch_scc0 .LBB425_1766
; %bb.1765:
	s_mov_b64 s[8:9], 0
	global_store_dword v[4:5], v6, off
.LBB425_1766:
	s_andn2_b64 vcc, exec, s[8:9]
	s_cbranch_vccnz .LBB425_1768
; %bb.1767:
	global_store_short v[4:5], v6, off
.LBB425_1768:
	s_mov_b64 s[8:9], 0
.LBB425_1769:
	s_andn2_b64 vcc, exec, s[8:9]
	s_cbranch_vccnz .LBB425_1777
; %bb.1770:
	v_cvt_f32_ubyte0_e32 v3, v6
	s_mov_b32 s8, 0x43800000
	v_cmp_gt_u32_e32 vcc, s8, v3
	v_mov_b32_e32 v7, 0x80
	s_and_saveexec_b64 s[8:9], vcc
	s_cbranch_execz .LBB425_1776
; %bb.1771:
	s_mov_b32 s10, 0x3bffffff
	v_cmp_lt_u32_e32 vcc, s10, v3
	s_mov_b64 s[10:11], 0
                                        ; implicit-def: $vgpr1
	s_and_saveexec_b64 s[12:13], vcc
	s_xor_b64 s[12:13], exec, s[12:13]
	s_cbranch_execz .LBB425_2111
; %bb.1772:
	v_bfe_u32 v1, v3, 20, 1
	s_mov_b32 s17, 0x487ffff
	v_add3_u32 v1, v3, v1, s17
	s_mov_b64 s[10:11], exec
	v_lshrrev_b32_e32 v1, 20, v1
                                        ; implicit-def: $vgpr3
	s_andn2_saveexec_b64 s[12:13], s[12:13]
	s_cbranch_execnz .LBB425_2112
.LBB425_1773:
	s_or_b64 exec, exec, s[12:13]
	v_mov_b32_e32 v7, 0
	s_and_saveexec_b64 s[12:13], s[10:11]
.LBB425_1774:
	v_mov_b32_e32 v7, v1
.LBB425_1775:
	s_or_b64 exec, exec, s[12:13]
.LBB425_1776:
	s_or_b64 exec, exec, s[8:9]
	global_store_byte v[4:5], v7, off
.LBB425_1777:
	s_mov_b64 s[8:9], -1
.LBB425_1778:
	s_mov_b64 s[10:11], 0
.LBB425_1779:
	s_and_b64 vcc, exec, s[10:11]
	s_cbranch_vccz .LBB425_1819
; %bb.1780:
	s_cmp_gt_i32 s16, 22
	s_mov_b64 s[6:7], -1
	s_cbranch_scc0 .LBB425_1812
; %bb.1781:
	s_cmp_lt_i32 s16, 24
	s_cbranch_scc1 .LBB425_1801
; %bb.1782:
	s_cmp_gt_i32 s16, 24
	s_cbranch_scc0 .LBB425_1790
; %bb.1783:
	v_cvt_f32_ubyte0_e32 v3, v6
	s_mov_b32 s6, 0x47800000
	v_cmp_gt_u32_e32 vcc, s6, v3
	v_mov_b32_e32 v7, 0x80
	s_and_saveexec_b64 s[6:7], vcc
	s_cbranch_execz .LBB425_1789
; %bb.1784:
	s_mov_b32 s8, 0x37ffffff
	v_cmp_lt_u32_e32 vcc, s8, v3
	s_mov_b64 s[8:9], 0
                                        ; implicit-def: $vgpr1
	s_and_saveexec_b64 s[10:11], vcc
	s_xor_b64 s[10:11], exec, s[10:11]
	s_cbranch_execz .LBB425_2114
; %bb.1785:
	v_bfe_u32 v1, v3, 21, 1
	s_mov_b32 s12, 0x88fffff
	v_add3_u32 v1, v3, v1, s12
	s_mov_b64 s[8:9], exec
	v_lshrrev_b32_e32 v1, 21, v1
                                        ; implicit-def: $vgpr3
	s_andn2_saveexec_b64 s[10:11], s[10:11]
	s_cbranch_execnz .LBB425_2115
.LBB425_1786:
	s_or_b64 exec, exec, s[10:11]
	v_mov_b32_e32 v7, 0
	s_and_saveexec_b64 s[10:11], s[8:9]
.LBB425_1787:
	v_mov_b32_e32 v7, v1
.LBB425_1788:
	s_or_b64 exec, exec, s[10:11]
.LBB425_1789:
	s_or_b64 exec, exec, s[6:7]
	s_mov_b64 s[6:7], 0
	global_store_byte v[4:5], v7, off
.LBB425_1790:
	s_and_b64 vcc, exec, s[6:7]
	s_cbranch_vccz .LBB425_1800
; %bb.1791:
	v_cvt_f32_ubyte0_e32 v1, v6
	s_mov_b32 s6, 0x43f00000
	v_cmp_gt_u32_e32 vcc, s6, v1
                                        ; implicit-def: $vgpr3
	s_and_saveexec_b64 s[6:7], vcc
	s_xor_b64 s[6:7], exec, s[6:7]
	s_cbranch_execz .LBB425_1797
; %bb.1792:
	s_mov_b32 s8, 0x3c7fffff
	v_cmp_lt_u32_e32 vcc, s8, v1
                                        ; implicit-def: $vgpr3
	s_and_saveexec_b64 s[8:9], vcc
	s_xor_b64 s[8:9], exec, s[8:9]
; %bb.1793:
	v_bfe_u32 v3, v1, 20, 1
	s_mov_b32 s10, 0x407ffff
	v_add3_u32 v1, v1, v3, s10
	v_lshrrev_b32_e32 v3, 20, v1
	v_and_b32_e32 v1, 0xff00000, v1
	s_mov_b32 s10, 0x7f00000
	v_mov_b32_e32 v7, 0x7e
	v_cmp_ne_u32_e32 vcc, s10, v1
                                        ; implicit-def: $vgpr1
	s_nop 1
	v_cndmask_b32_e32 v3, v7, v3, vcc
; %bb.1794:
	s_andn2_saveexec_b64 s[8:9], s[8:9]
; %bb.1795:
	v_add_f32_e32 v3, 0x46800000, v1
; %bb.1796:
	s_or_b64 exec, exec, s[8:9]
                                        ; implicit-def: $vgpr1
.LBB425_1797:
	s_andn2_saveexec_b64 s[6:7], s[6:7]
; %bb.1798:
	s_mov_b32 s8, 0x7f800000
	v_mov_b32_e32 v3, 0x7e
	v_mov_b32_e32 v7, 0x7f
	v_cmp_lt_u32_e32 vcc, s8, v1
	s_nop 1
	v_cndmask_b32_e32 v3, v3, v7, vcc
; %bb.1799:
	s_or_b64 exec, exec, s[6:7]
	global_store_byte v[4:5], v3, off
.LBB425_1800:
	s_mov_b64 s[6:7], 0
.LBB425_1801:
	s_andn2_b64 vcc, exec, s[6:7]
	s_cbranch_vccnz .LBB425_1811
; %bb.1802:
	v_cvt_f32_ubyte0_e32 v1, v6
	s_mov_b32 s6, 0x47800000
	v_cmp_gt_u32_e32 vcc, s6, v1
                                        ; implicit-def: $vgpr3
	s_and_saveexec_b64 s[6:7], vcc
	s_xor_b64 s[6:7], exec, s[6:7]
	s_cbranch_execz .LBB425_1808
; %bb.1803:
	s_mov_b32 s8, 0x387fffff
	v_cmp_lt_u32_e32 vcc, s8, v1
                                        ; implicit-def: $vgpr3
	s_and_saveexec_b64 s[8:9], vcc
	s_xor_b64 s[8:9], exec, s[8:9]
; %bb.1804:
	v_bfe_u32 v3, v1, 21, 1
	s_mov_b32 s10, 0x80fffff
	v_add3_u32 v1, v1, v3, s10
	v_lshrrev_b32_e32 v3, 21, v1
                                        ; implicit-def: $vgpr1
; %bb.1805:
	s_andn2_saveexec_b64 s[8:9], s[8:9]
; %bb.1806:
	v_add_f32_e32 v3, 0x43000000, v1
; %bb.1807:
	s_or_b64 exec, exec, s[8:9]
                                        ; implicit-def: $vgpr1
.LBB425_1808:
	s_andn2_saveexec_b64 s[6:7], s[6:7]
; %bb.1809:
	s_mov_b32 s8, 0x7f800000
	v_mov_b32_e32 v3, 0x7c
	v_mov_b32_e32 v7, 0x7f
	v_cmp_lt_u32_e32 vcc, s8, v1
	s_nop 1
	v_cndmask_b32_e32 v3, v3, v7, vcc
; %bb.1810:
	s_or_b64 exec, exec, s[6:7]
	global_store_byte v[4:5], v3, off
.LBB425_1811:
	s_mov_b64 s[6:7], 0
	s_mov_b64 s[8:9], -1
.LBB425_1812:
	s_andn2_b64 vcc, exec, s[6:7]
	s_mov_b64 s[6:7], 0
	s_cbranch_vccnz .LBB425_1819
; %bb.1813:
	s_cmp_gt_i32 s16, 14
	s_mov_b64 s[10:11], -1
	s_cbranch_scc0 .LBB425_1817
; %bb.1814:
	s_cmp_eq_u32 s16, 15
	s_mov_b64 s[0:1], -1
	s_cbranch_scc0 .LBB425_1816
; %bb.1815:
	v_cvt_f32_ubyte0_e32 v1, v6
	v_bfe_u32 v3, v1, 16, 1
	s_movk_i32 s0, 0x7fff
	v_add3_u32 v1, v1, v3, s0
	global_store_short_d16_hi v[4:5], v1, off
	s_mov_b64 s[0:1], 0
	s_mov_b64 s[8:9], -1
.LBB425_1816:
	s_mov_b64 s[10:11], 0
.LBB425_1817:
	s_and_b64 vcc, exec, s[10:11]
	s_cbranch_vccz .LBB425_1819
; %bb.1818:
	s_cmp_lg_u32 s16, 11
	s_mov_b64 s[6:7], -1
	s_cselect_b64 s[0:1], -1, 0
.LBB425_1819:
	s_and_b64 vcc, exec, s[0:1]
	s_cbranch_vccnz .LBB425_2113
; %bb.1820:
	s_andn2_b64 vcc, exec, s[6:7]
	s_cbranch_vccnz .LBB425_1822
.LBB425_1821:
	v_cmp_ne_u16_e32 vcc, 0, v6
	s_mov_b64 s[8:9], -1
	s_nop 0
	v_cndmask_b32_e64 v1, 0, 1, vcc
	global_store_byte v[4:5], v1, off
.LBB425_1822:
	s_mov_b64 s[0:1], 0
	s_branch .LBB425_1824
.LBB425_1823:
	s_mov_b64 s[0:1], -1
	s_mov_b64 s[8:9], 0
.LBB425_1824:
	s_and_b64 vcc, exec, s[0:1]
	s_cbranch_vccz .LBB425_1863
; %bb.1825:
	s_and_b32 s6, 0xffff, s14
	s_cmp_lt_i32 s6, 5
	s_mov_b64 s[0:1], -1
	s_cbranch_scc1 .LBB425_1846
; %bb.1826:
	s_cmp_lt_i32 s6, 8
	s_cbranch_scc1 .LBB425_1836
; %bb.1827:
	s_cmp_lt_i32 s6, 9
	s_cbranch_scc1 .LBB425_1833
; %bb.1828:
	s_cmp_gt_i32 s6, 9
	s_cbranch_scc0 .LBB425_1830
; %bb.1829:
	v_mov_b32_e32 v10, 0
	v_cvt_f64_u32_e32 v[8:9], v6
	v_mov_b32_e32 v11, v10
	global_store_dwordx4 v[4:5], v[8:11], off
	s_mov_b64 s[0:1], 0
.LBB425_1830:
	s_andn2_b64 vcc, exec, s[0:1]
	s_cbranch_vccnz .LBB425_1832
; %bb.1831:
	v_cvt_f32_ubyte0_e32 v8, v6
	v_mov_b32_e32 v9, 0
	global_store_dwordx2 v[4:5], v[8:9], off
.LBB425_1832:
	s_mov_b64 s[0:1], 0
.LBB425_1833:
	s_andn2_b64 vcc, exec, s[0:1]
	s_cbranch_vccnz .LBB425_1835
; %bb.1834:
	v_cvt_f16_u16_e32 v1, v6
	global_store_dword v[4:5], v1, off
.LBB425_1835:
	s_mov_b64 s[0:1], 0
.LBB425_1836:
	s_andn2_b64 vcc, exec, s[0:1]
	s_cbranch_vccnz .LBB425_1845
; %bb.1837:
	s_cmp_lt_i32 s6, 6
	s_mov_b64 s[0:1], -1
	s_cbranch_scc1 .LBB425_1843
; %bb.1838:
	s_cmp_gt_i32 s6, 6
	s_cbranch_scc0 .LBB425_1840
; %bb.1839:
	v_cvt_f64_u32_e32 v[8:9], v6
	global_store_dwordx2 v[4:5], v[8:9], off
	s_mov_b64 s[0:1], 0
.LBB425_1840:
	s_andn2_b64 vcc, exec, s[0:1]
	s_cbranch_vccnz .LBB425_1842
; %bb.1841:
	v_cvt_f32_ubyte0_e32 v1, v6
	global_store_dword v[4:5], v1, off
.LBB425_1842:
	s_mov_b64 s[0:1], 0
.LBB425_1843:
	s_andn2_b64 vcc, exec, s[0:1]
	s_cbranch_vccnz .LBB425_1845
; %bb.1844:
	v_cvt_f16_u16_e32 v1, v6
	global_store_short v[4:5], v1, off
.LBB425_1845:
	s_mov_b64 s[0:1], 0
.LBB425_1846:
	s_andn2_b64 vcc, exec, s[0:1]
	s_cbranch_vccnz .LBB425_1862
; %bb.1847:
	s_cmp_lt_i32 s6, 2
	s_mov_b64 s[0:1], -1
	s_cbranch_scc1 .LBB425_1857
; %bb.1848:
	s_cmp_lt_i32 s6, 3
	s_cbranch_scc1 .LBB425_1854
; %bb.1849:
	s_cmp_gt_i32 s6, 3
	s_cbranch_scc0 .LBB425_1851
; %bb.1850:
	s_mov_b32 s0, 0
	v_mov_b32_e32 v7, s0
	global_store_dwordx2 v[4:5], v[6:7], off
	s_mov_b64 s[0:1], 0
.LBB425_1851:
	s_andn2_b64 vcc, exec, s[0:1]
	s_cbranch_vccnz .LBB425_1853
; %bb.1852:
	global_store_dword v[4:5], v6, off
.LBB425_1853:
	s_mov_b64 s[0:1], 0
.LBB425_1854:
	s_andn2_b64 vcc, exec, s[0:1]
	s_cbranch_vccnz .LBB425_1856
; %bb.1855:
	global_store_short v[4:5], v6, off
.LBB425_1856:
	s_mov_b64 s[0:1], 0
.LBB425_1857:
	s_andn2_b64 vcc, exec, s[0:1]
	s_cbranch_vccnz .LBB425_1862
; %bb.1858:
	s_cmp_gt_i32 s6, 0
	s_mov_b64 s[0:1], -1
	s_cbranch_scc0 .LBB425_1860
; %bb.1859:
	global_store_byte v[4:5], v6, off
	s_mov_b64 s[0:1], 0
.LBB425_1860:
	s_andn2_b64 vcc, exec, s[0:1]
	s_cbranch_vccnz .LBB425_1862
; %bb.1861:
	global_store_byte v[4:5], v6, off
.LBB425_1862:
	s_mov_b64 s[8:9], -1
.LBB425_1863:
	s_andn2_b64 vcc, exec, s[8:9]
	s_cbranch_vccnz .LBB425_2059
; %bb.1864:
	v_mov_b32_e32 v3, 0
	v_min_u16_sdwa v4, v12, s15 dst_sel:DWORD dst_unused:UNUSED_PAD src0_sel:BYTE_0 src1_sel:DWORD
	s_cmp_lt_i32 s14, 11
	v_lshl_add_u64 v[2:3], s[4:5], 0, v[2:3]
	s_cbranch_scc1 .LBB425_1942
; %bb.1865:
	s_and_b32 s16, 0xffff, s14
	s_mov_b64 s[10:11], -1
	s_mov_b64 s[6:7], 0
	s_cmp_gt_i32 s16, 25
	s_mov_b64 s[8:9], 0
	s_mov_b64 s[0:1], 0
	s_cbranch_scc0 .LBB425_1898
; %bb.1866:
	s_cmp_gt_i32 s16, 28
	s_cbranch_scc0 .LBB425_1881
; %bb.1867:
	s_cmp_gt_i32 s16, 43
	;; [unrolled: 3-line block ×3, first 2 shown]
	s_cbranch_scc0 .LBB425_1871
; %bb.1869:
	s_mov_b64 s[0:1], -1
	s_mov_b64 s[10:11], 0
	s_cmp_eq_u32 s16, 46
	s_cbranch_scc0 .LBB425_1871
; %bb.1870:
	v_cvt_f32_ubyte0_e32 v1, v4
	v_bfe_u32 v5, v1, 16, 1
	s_movk_i32 s0, 0x7fff
	v_add3_u32 v1, v1, v5, s0
	v_lshrrev_b32_e32 v1, 16, v1
	global_store_dword v[2:3], v1, off
	s_mov_b64 s[0:1], 0
	s_mov_b64 s[8:9], -1
.LBB425_1871:
	s_and_b64 vcc, exec, s[10:11]
	s_cbranch_vccz .LBB425_1876
; %bb.1872:
	s_cmp_eq_u32 s16, 44
	s_mov_b64 s[0:1], -1
	s_cbranch_scc0 .LBB425_1876
; %bb.1873:
	v_cvt_f32_ubyte0_e32 v5, v4
	v_lshrrev_b32_e32 v1, 23, v5
	s_movk_i32 s0, 0xff
	v_cmp_ne_u32_e32 vcc, s0, v1
	v_mov_b32_e32 v6, 0xff
	s_and_saveexec_b64 s[8:9], vcc
; %bb.1874:
	s_mov_b32 s0, 0x3fffff
	v_and_b32_e32 v6, 0x400000, v5
	v_and_or_b32 v5, v5, s0, v1
	v_cmp_ne_u32_e32 vcc, 0, v6
	v_cmp_ne_u32_e64 s[0:1], 0, v5
	s_and_b64 s[0:1], vcc, s[0:1]
	s_nop 0
	v_cndmask_b32_e64 v5, 0, 1, s[0:1]
	v_add_u32_e32 v6, v1, v5
; %bb.1875:
	s_or_b64 exec, exec, s[8:9]
	s_mov_b64 s[0:1], 0
	s_mov_b64 s[8:9], -1
	global_store_byte v[2:3], v6, off
.LBB425_1876:
	s_mov_b64 s[10:11], 0
.LBB425_1877:
	s_and_b64 vcc, exec, s[10:11]
	s_cbranch_vccz .LBB425_1880
; %bb.1878:
	s_cmp_eq_u32 s16, 29
	s_mov_b64 s[0:1], -1
	s_cbranch_scc0 .LBB425_1880
; %bb.1879:
	s_mov_b32 s0, 0
	v_mov_b32_e32 v5, s0
	global_store_dwordx2 v[2:3], v[4:5], off
	s_mov_b64 s[0:1], 0
	s_mov_b64 s[8:9], -1
.LBB425_1880:
	s_mov_b64 s[10:11], 0
.LBB425_1881:
	s_and_b64 vcc, exec, s[10:11]
	s_cbranch_vccz .LBB425_1897
; %bb.1882:
	s_cmp_lt_i32 s16, 27
	s_mov_b64 s[8:9], -1
	s_cbranch_scc1 .LBB425_1888
; %bb.1883:
	s_cmp_gt_i32 s16, 27
	s_cbranch_scc0 .LBB425_1885
; %bb.1884:
	s_mov_b64 s[8:9], 0
	global_store_dword v[2:3], v4, off
.LBB425_1885:
	s_andn2_b64 vcc, exec, s[8:9]
	s_cbranch_vccnz .LBB425_1887
; %bb.1886:
	global_store_short v[2:3], v4, off
.LBB425_1887:
	s_mov_b64 s[8:9], 0
.LBB425_1888:
	s_andn2_b64 vcc, exec, s[8:9]
	s_cbranch_vccnz .LBB425_1896
; %bb.1889:
	v_cvt_f32_ubyte0_e32 v5, v4
	s_mov_b32 s8, 0x43800000
	v_cmp_gt_u32_e32 vcc, s8, v5
	v_mov_b32_e32 v6, 0x80
	s_and_saveexec_b64 s[8:9], vcc
	s_cbranch_execz .LBB425_1895
; %bb.1890:
	s_mov_b32 s10, 0x3bffffff
	v_cmp_lt_u32_e32 vcc, s10, v5
	s_mov_b64 s[10:11], 0
                                        ; implicit-def: $vgpr1
	s_and_saveexec_b64 s[12:13], vcc
	s_xor_b64 s[12:13], exec, s[12:13]
	s_cbranch_execz .LBB425_2116
; %bb.1891:
	v_bfe_u32 v1, v5, 20, 1
	s_mov_b32 s17, 0x487ffff
	v_add3_u32 v1, v5, v1, s17
	s_mov_b64 s[10:11], exec
	v_lshrrev_b32_e32 v1, 20, v1
                                        ; implicit-def: $vgpr5
	s_andn2_saveexec_b64 s[12:13], s[12:13]
	s_cbranch_execnz .LBB425_2117
.LBB425_1892:
	s_or_b64 exec, exec, s[12:13]
	v_mov_b32_e32 v6, 0
	s_and_saveexec_b64 s[12:13], s[10:11]
.LBB425_1893:
	v_mov_b32_e32 v6, v1
.LBB425_1894:
	s_or_b64 exec, exec, s[12:13]
.LBB425_1895:
	s_or_b64 exec, exec, s[8:9]
	global_store_byte v[2:3], v6, off
.LBB425_1896:
	s_mov_b64 s[8:9], -1
.LBB425_1897:
	s_mov_b64 s[10:11], 0
.LBB425_1898:
	s_and_b64 vcc, exec, s[10:11]
	s_cbranch_vccz .LBB425_1938
; %bb.1899:
	s_cmp_gt_i32 s16, 22
	s_mov_b64 s[6:7], -1
	s_cbranch_scc0 .LBB425_1931
; %bb.1900:
	s_cmp_lt_i32 s16, 24
	s_cbranch_scc1 .LBB425_1920
; %bb.1901:
	s_cmp_gt_i32 s16, 24
	s_cbranch_scc0 .LBB425_1909
; %bb.1902:
	v_cvt_f32_ubyte0_e32 v5, v4
	s_mov_b32 s6, 0x47800000
	v_cmp_gt_u32_e32 vcc, s6, v5
	v_mov_b32_e32 v6, 0x80
	s_and_saveexec_b64 s[6:7], vcc
	s_cbranch_execz .LBB425_1908
; %bb.1903:
	s_mov_b32 s8, 0x37ffffff
	v_cmp_lt_u32_e32 vcc, s8, v5
	s_mov_b64 s[8:9], 0
                                        ; implicit-def: $vgpr1
	s_and_saveexec_b64 s[10:11], vcc
	s_xor_b64 s[10:11], exec, s[10:11]
	s_cbranch_execz .LBB425_2119
; %bb.1904:
	v_bfe_u32 v1, v5, 21, 1
	s_mov_b32 s12, 0x88fffff
	v_add3_u32 v1, v5, v1, s12
	s_mov_b64 s[8:9], exec
	v_lshrrev_b32_e32 v1, 21, v1
                                        ; implicit-def: $vgpr5
	s_andn2_saveexec_b64 s[10:11], s[10:11]
	s_cbranch_execnz .LBB425_2120
.LBB425_1905:
	s_or_b64 exec, exec, s[10:11]
	v_mov_b32_e32 v6, 0
	s_and_saveexec_b64 s[10:11], s[8:9]
.LBB425_1906:
	v_mov_b32_e32 v6, v1
.LBB425_1907:
	s_or_b64 exec, exec, s[10:11]
.LBB425_1908:
	s_or_b64 exec, exec, s[6:7]
	s_mov_b64 s[6:7], 0
	global_store_byte v[2:3], v6, off
.LBB425_1909:
	s_and_b64 vcc, exec, s[6:7]
	s_cbranch_vccz .LBB425_1919
; %bb.1910:
	v_cvt_f32_ubyte0_e32 v1, v4
	s_mov_b32 s6, 0x43f00000
	v_cmp_gt_u32_e32 vcc, s6, v1
                                        ; implicit-def: $vgpr5
	s_and_saveexec_b64 s[6:7], vcc
	s_xor_b64 s[6:7], exec, s[6:7]
	s_cbranch_execz .LBB425_1916
; %bb.1911:
	s_mov_b32 s8, 0x3c7fffff
	v_cmp_lt_u32_e32 vcc, s8, v1
                                        ; implicit-def: $vgpr5
	s_and_saveexec_b64 s[8:9], vcc
	s_xor_b64 s[8:9], exec, s[8:9]
; %bb.1912:
	v_bfe_u32 v5, v1, 20, 1
	s_mov_b32 s10, 0x407ffff
	v_add3_u32 v1, v1, v5, s10
	v_lshrrev_b32_e32 v5, 20, v1
	v_and_b32_e32 v1, 0xff00000, v1
	s_mov_b32 s10, 0x7f00000
	v_mov_b32_e32 v6, 0x7e
	v_cmp_ne_u32_e32 vcc, s10, v1
                                        ; implicit-def: $vgpr1
	s_nop 1
	v_cndmask_b32_e32 v5, v6, v5, vcc
; %bb.1913:
	s_andn2_saveexec_b64 s[8:9], s[8:9]
; %bb.1914:
	v_add_f32_e32 v5, 0x46800000, v1
; %bb.1915:
	s_or_b64 exec, exec, s[8:9]
                                        ; implicit-def: $vgpr1
.LBB425_1916:
	s_andn2_saveexec_b64 s[6:7], s[6:7]
; %bb.1917:
	s_mov_b32 s8, 0x7f800000
	v_mov_b32_e32 v5, 0x7e
	v_mov_b32_e32 v6, 0x7f
	v_cmp_lt_u32_e32 vcc, s8, v1
	s_nop 1
	v_cndmask_b32_e32 v5, v5, v6, vcc
; %bb.1918:
	s_or_b64 exec, exec, s[6:7]
	global_store_byte v[2:3], v5, off
.LBB425_1919:
	s_mov_b64 s[6:7], 0
.LBB425_1920:
	s_andn2_b64 vcc, exec, s[6:7]
	s_cbranch_vccnz .LBB425_1930
; %bb.1921:
	v_cvt_f32_ubyte0_e32 v1, v4
	s_mov_b32 s6, 0x47800000
	v_cmp_gt_u32_e32 vcc, s6, v1
                                        ; implicit-def: $vgpr5
	s_and_saveexec_b64 s[6:7], vcc
	s_xor_b64 s[6:7], exec, s[6:7]
	s_cbranch_execz .LBB425_1927
; %bb.1922:
	s_mov_b32 s8, 0x387fffff
	v_cmp_lt_u32_e32 vcc, s8, v1
                                        ; implicit-def: $vgpr5
	s_and_saveexec_b64 s[8:9], vcc
	s_xor_b64 s[8:9], exec, s[8:9]
; %bb.1923:
	v_bfe_u32 v5, v1, 21, 1
	s_mov_b32 s10, 0x80fffff
	v_add3_u32 v1, v1, v5, s10
	v_lshrrev_b32_e32 v5, 21, v1
                                        ; implicit-def: $vgpr1
; %bb.1924:
	s_andn2_saveexec_b64 s[8:9], s[8:9]
; %bb.1925:
	v_add_f32_e32 v5, 0x43000000, v1
; %bb.1926:
	s_or_b64 exec, exec, s[8:9]
                                        ; implicit-def: $vgpr1
.LBB425_1927:
	s_andn2_saveexec_b64 s[6:7], s[6:7]
; %bb.1928:
	s_mov_b32 s8, 0x7f800000
	v_mov_b32_e32 v5, 0x7c
	v_mov_b32_e32 v6, 0x7f
	v_cmp_lt_u32_e32 vcc, s8, v1
	s_nop 1
	v_cndmask_b32_e32 v5, v5, v6, vcc
; %bb.1929:
	s_or_b64 exec, exec, s[6:7]
	global_store_byte v[2:3], v5, off
.LBB425_1930:
	s_mov_b64 s[6:7], 0
	s_mov_b64 s[8:9], -1
.LBB425_1931:
	s_andn2_b64 vcc, exec, s[6:7]
	s_mov_b64 s[6:7], 0
	s_cbranch_vccnz .LBB425_1938
; %bb.1932:
	s_cmp_gt_i32 s16, 14
	s_mov_b64 s[10:11], -1
	s_cbranch_scc0 .LBB425_1936
; %bb.1933:
	s_cmp_eq_u32 s16, 15
	s_mov_b64 s[0:1], -1
	s_cbranch_scc0 .LBB425_1935
; %bb.1934:
	v_cvt_f32_ubyte0_e32 v1, v4
	v_bfe_u32 v5, v1, 16, 1
	s_movk_i32 s0, 0x7fff
	v_add3_u32 v1, v1, v5, s0
	global_store_short_d16_hi v[2:3], v1, off
	s_mov_b64 s[0:1], 0
	s_mov_b64 s[8:9], -1
.LBB425_1935:
	s_mov_b64 s[10:11], 0
.LBB425_1936:
	s_and_b64 vcc, exec, s[10:11]
	s_cbranch_vccz .LBB425_1938
; %bb.1937:
	s_cmp_lg_u32 s16, 11
	s_mov_b64 s[6:7], -1
	s_cselect_b64 s[0:1], -1, 0
.LBB425_1938:
	s_and_b64 vcc, exec, s[0:1]
	s_cbranch_vccnz .LBB425_2118
; %bb.1939:
	s_andn2_b64 vcc, exec, s[6:7]
	s_cbranch_vccnz .LBB425_1941
.LBB425_1940:
	v_cmp_ne_u16_e32 vcc, 0, v4
	s_mov_b64 s[8:9], -1
	s_nop 0
	v_cndmask_b32_e64 v1, 0, 1, vcc
	global_store_byte v[2:3], v1, off
.LBB425_1941:
	s_mov_b64 s[0:1], 0
	s_branch .LBB425_1943
.LBB425_1942:
	s_mov_b64 s[0:1], -1
	s_mov_b64 s[8:9], 0
.LBB425_1943:
	s_and_b64 vcc, exec, s[0:1]
	s_cbranch_vccz .LBB425_1982
; %bb.1944:
	s_and_b32 s6, 0xffff, s14
	s_cmp_lt_i32 s6, 5
	s_mov_b64 s[0:1], -1
	s_cbranch_scc1 .LBB425_1965
; %bb.1945:
	s_cmp_lt_i32 s6, 8
	s_cbranch_scc1 .LBB425_1955
; %bb.1946:
	s_cmp_lt_i32 s6, 9
	s_cbranch_scc1 .LBB425_1952
; %bb.1947:
	s_cmp_gt_i32 s6, 9
	s_cbranch_scc0 .LBB425_1949
; %bb.1948:
	v_mov_b32_e32 v8, 0
	v_cvt_f64_u32_e32 v[6:7], v4
	v_mov_b32_e32 v9, v8
	global_store_dwordx4 v[2:3], v[6:9], off
	s_mov_b64 s[0:1], 0
.LBB425_1949:
	s_andn2_b64 vcc, exec, s[0:1]
	s_cbranch_vccnz .LBB425_1951
; %bb.1950:
	v_cvt_f32_ubyte0_e32 v6, v4
	v_mov_b32_e32 v7, 0
	global_store_dwordx2 v[2:3], v[6:7], off
.LBB425_1951:
	s_mov_b64 s[0:1], 0
.LBB425_1952:
	s_andn2_b64 vcc, exec, s[0:1]
	s_cbranch_vccnz .LBB425_1954
; %bb.1953:
	v_cvt_f16_u16_e32 v1, v4
	global_store_dword v[2:3], v1, off
.LBB425_1954:
	s_mov_b64 s[0:1], 0
.LBB425_1955:
	s_andn2_b64 vcc, exec, s[0:1]
	s_cbranch_vccnz .LBB425_1964
; %bb.1956:
	s_cmp_lt_i32 s6, 6
	s_mov_b64 s[0:1], -1
	s_cbranch_scc1 .LBB425_1962
; %bb.1957:
	s_cmp_gt_i32 s6, 6
	s_cbranch_scc0 .LBB425_1959
; %bb.1958:
	v_cvt_f64_u32_e32 v[6:7], v4
	global_store_dwordx2 v[2:3], v[6:7], off
	s_mov_b64 s[0:1], 0
.LBB425_1959:
	s_andn2_b64 vcc, exec, s[0:1]
	s_cbranch_vccnz .LBB425_1961
; %bb.1960:
	v_cvt_f32_ubyte0_e32 v1, v4
	global_store_dword v[2:3], v1, off
.LBB425_1961:
	s_mov_b64 s[0:1], 0
.LBB425_1962:
	s_andn2_b64 vcc, exec, s[0:1]
	s_cbranch_vccnz .LBB425_1964
; %bb.1963:
	v_cvt_f16_u16_e32 v1, v4
	global_store_short v[2:3], v1, off
.LBB425_1964:
	s_mov_b64 s[0:1], 0
.LBB425_1965:
	s_andn2_b64 vcc, exec, s[0:1]
	s_cbranch_vccnz .LBB425_1981
; %bb.1966:
	s_cmp_lt_i32 s6, 2
	s_mov_b64 s[0:1], -1
	s_cbranch_scc1 .LBB425_1976
; %bb.1967:
	s_cmp_lt_i32 s6, 3
	s_cbranch_scc1 .LBB425_1973
; %bb.1968:
	s_cmp_gt_i32 s6, 3
	s_cbranch_scc0 .LBB425_1970
; %bb.1969:
	s_mov_b32 s0, 0
	v_mov_b32_e32 v5, s0
	global_store_dwordx2 v[2:3], v[4:5], off
	s_mov_b64 s[0:1], 0
.LBB425_1970:
	s_andn2_b64 vcc, exec, s[0:1]
	s_cbranch_vccnz .LBB425_1972
; %bb.1971:
	global_store_dword v[2:3], v4, off
.LBB425_1972:
	s_mov_b64 s[0:1], 0
.LBB425_1973:
	s_andn2_b64 vcc, exec, s[0:1]
	s_cbranch_vccnz .LBB425_1975
; %bb.1974:
	global_store_short v[2:3], v4, off
.LBB425_1975:
	s_mov_b64 s[0:1], 0
.LBB425_1976:
	s_andn2_b64 vcc, exec, s[0:1]
	s_cbranch_vccnz .LBB425_1981
; %bb.1977:
	s_cmp_gt_i32 s6, 0
	s_mov_b64 s[0:1], -1
	s_cbranch_scc0 .LBB425_1979
; %bb.1978:
	global_store_byte v[2:3], v4, off
	s_mov_b64 s[0:1], 0
.LBB425_1979:
	s_andn2_b64 vcc, exec, s[0:1]
	s_cbranch_vccnz .LBB425_1981
; %bb.1980:
	global_store_byte v[2:3], v4, off
.LBB425_1981:
	s_mov_b64 s[8:9], -1
.LBB425_1982:
	s_andn2_b64 vcc, exec, s[8:9]
	s_cbranch_vccnz .LBB425_2059
; %bb.1983:
	v_mov_b32_e32 v1, 0
	v_min_u16_sdwa v2, v14, s15 dst_sel:DWORD dst_unused:UNUSED_PAD src0_sel:BYTE_0 src1_sel:DWORD
	s_cmp_lt_i32 s14, 11
	v_lshl_add_u64 v[0:1], s[4:5], 0, v[0:1]
	s_cbranch_scc1 .LBB425_2104
; %bb.1984:
	s_and_b32 s12, 0xffff, s14
	s_mov_b64 s[6:7], -1
	s_mov_b64 s[4:5], 0
	s_cmp_gt_i32 s12, 25
	s_mov_b64 s[0:1], 0
	s_cbranch_scc0 .LBB425_2017
; %bb.1985:
	s_cmp_gt_i32 s12, 28
	s_cbranch_scc0 .LBB425_2001
; %bb.1986:
	s_cmp_gt_i32 s12, 43
	;; [unrolled: 3-line block ×3, first 2 shown]
	s_cbranch_scc0 .LBB425_1991
; %bb.1988:
	s_cmp_eq_u32 s12, 46
	s_mov_b64 s[0:1], -1
	s_cbranch_scc0 .LBB425_1990
; %bb.1989:
	v_cvt_f32_ubyte0_e32 v3, v2
	v_bfe_u32 v4, v3, 16, 1
	s_movk_i32 s0, 0x7fff
	v_add3_u32 v3, v3, v4, s0
	v_lshrrev_b32_e32 v3, 16, v3
	global_store_dword v[0:1], v3, off
	s_mov_b64 s[0:1], 0
.LBB425_1990:
	s_mov_b64 s[6:7], 0
.LBB425_1991:
	s_and_b64 vcc, exec, s[6:7]
	s_cbranch_vccz .LBB425_1996
; %bb.1992:
	s_cmp_eq_u32 s12, 44
	s_mov_b64 s[0:1], -1
	s_cbranch_scc0 .LBB425_1996
; %bb.1993:
	v_cvt_f32_ubyte0_e32 v4, v2
	v_lshrrev_b32_e32 v3, 23, v4
	s_movk_i32 s0, 0xff
	v_cmp_ne_u32_e32 vcc, s0, v3
	v_mov_b32_e32 v5, 0xff
	s_and_saveexec_b64 s[6:7], vcc
; %bb.1994:
	s_mov_b32 s0, 0x3fffff
	v_and_b32_e32 v5, 0x400000, v4
	v_and_or_b32 v4, v4, s0, v3
	v_cmp_ne_u32_e32 vcc, 0, v5
	v_cmp_ne_u32_e64 s[0:1], 0, v4
	s_and_b64 s[0:1], vcc, s[0:1]
	s_nop 0
	v_cndmask_b32_e64 v4, 0, 1, s[0:1]
	v_add_u32_e32 v5, v3, v4
; %bb.1995:
	s_or_b64 exec, exec, s[6:7]
	s_mov_b64 s[0:1], 0
	global_store_byte v[0:1], v5, off
.LBB425_1996:
	s_mov_b64 s[6:7], 0
.LBB425_1997:
	s_and_b64 vcc, exec, s[6:7]
	s_cbranch_vccz .LBB425_2000
; %bb.1998:
	s_cmp_eq_u32 s12, 29
	s_mov_b64 s[0:1], -1
	s_cbranch_scc0 .LBB425_2000
; %bb.1999:
	s_mov_b32 s0, 0
	v_mov_b32_e32 v3, s0
	global_store_dwordx2 v[0:1], v[2:3], off
	s_mov_b64 s[0:1], 0
.LBB425_2000:
	s_mov_b64 s[6:7], 0
.LBB425_2001:
	s_and_b64 vcc, exec, s[6:7]
	s_cbranch_vccz .LBB425_2016
; %bb.2002:
	s_cmp_lt_i32 s12, 27
	s_mov_b64 s[6:7], -1
	s_cbranch_scc1 .LBB425_2008
; %bb.2003:
	s_cmp_gt_i32 s12, 27
	s_cbranch_scc0 .LBB425_2005
; %bb.2004:
	global_store_dword v[0:1], v2, off
	s_mov_b64 s[6:7], 0
.LBB425_2005:
	s_andn2_b64 vcc, exec, s[6:7]
	s_cbranch_vccnz .LBB425_2007
; %bb.2006:
	global_store_short v[0:1], v2, off
.LBB425_2007:
	s_mov_b64 s[6:7], 0
.LBB425_2008:
	s_andn2_b64 vcc, exec, s[6:7]
	s_cbranch_vccnz .LBB425_2016
; %bb.2009:
	v_cvt_f32_ubyte0_e32 v4, v2
	s_mov_b32 s6, 0x43800000
	v_cmp_gt_u32_e32 vcc, s6, v4
	v_mov_b32_e32 v5, 0x80
	s_and_saveexec_b64 s[6:7], vcc
	s_cbranch_execz .LBB425_2015
; %bb.2010:
	s_mov_b32 s8, 0x3bffffff
	v_cmp_lt_u32_e32 vcc, s8, v4
	s_mov_b64 s[8:9], 0
                                        ; implicit-def: $vgpr3
	s_and_saveexec_b64 s[10:11], vcc
	s_xor_b64 s[10:11], exec, s[10:11]
	s_cbranch_execz .LBB425_2121
; %bb.2011:
	v_bfe_u32 v3, v4, 20, 1
	s_mov_b32 s13, 0x487ffff
	v_add3_u32 v3, v4, v3, s13
	s_mov_b64 s[8:9], exec
	v_lshrrev_b32_e32 v3, 20, v3
                                        ; implicit-def: $vgpr4
	s_andn2_saveexec_b64 s[10:11], s[10:11]
	s_cbranch_execnz .LBB425_2122
.LBB425_2012:
	s_or_b64 exec, exec, s[10:11]
	v_mov_b32_e32 v5, 0
	s_and_saveexec_b64 s[10:11], s[8:9]
.LBB425_2013:
	v_mov_b32_e32 v5, v3
.LBB425_2014:
	s_or_b64 exec, exec, s[10:11]
.LBB425_2015:
	s_or_b64 exec, exec, s[6:7]
	global_store_byte v[0:1], v5, off
.LBB425_2016:
	s_mov_b64 s[6:7], 0
.LBB425_2017:
	s_and_b64 vcc, exec, s[6:7]
	s_cbranch_vccz .LBB425_2057
; %bb.2018:
	s_cmp_gt_i32 s12, 22
	s_mov_b64 s[4:5], -1
	s_cbranch_scc0 .LBB425_2050
; %bb.2019:
	s_cmp_lt_i32 s12, 24
	s_cbranch_scc1 .LBB425_2039
; %bb.2020:
	s_cmp_gt_i32 s12, 24
	s_cbranch_scc0 .LBB425_2028
; %bb.2021:
	v_cvt_f32_ubyte0_e32 v4, v2
	s_mov_b32 s4, 0x47800000
	v_cmp_gt_u32_e32 vcc, s4, v4
	v_mov_b32_e32 v5, 0x80
	s_and_saveexec_b64 s[4:5], vcc
	s_cbranch_execz .LBB425_2027
; %bb.2022:
	s_mov_b32 s6, 0x37ffffff
	v_cmp_lt_u32_e32 vcc, s6, v4
	s_mov_b64 s[6:7], 0
                                        ; implicit-def: $vgpr3
	s_and_saveexec_b64 s[8:9], vcc
	s_xor_b64 s[8:9], exec, s[8:9]
	s_cbranch_execz .LBB425_2124
; %bb.2023:
	v_bfe_u32 v3, v4, 21, 1
	s_mov_b32 s10, 0x88fffff
	v_add3_u32 v3, v4, v3, s10
	s_mov_b64 s[6:7], exec
	v_lshrrev_b32_e32 v3, 21, v3
                                        ; implicit-def: $vgpr4
	s_andn2_saveexec_b64 s[8:9], s[8:9]
	s_cbranch_execnz .LBB425_2125
.LBB425_2024:
	s_or_b64 exec, exec, s[8:9]
	v_mov_b32_e32 v5, 0
	s_and_saveexec_b64 s[8:9], s[6:7]
.LBB425_2025:
	v_mov_b32_e32 v5, v3
.LBB425_2026:
	s_or_b64 exec, exec, s[8:9]
.LBB425_2027:
	s_or_b64 exec, exec, s[4:5]
	s_mov_b64 s[4:5], 0
	global_store_byte v[0:1], v5, off
.LBB425_2028:
	s_and_b64 vcc, exec, s[4:5]
	s_cbranch_vccz .LBB425_2038
; %bb.2029:
	v_cvt_f32_ubyte0_e32 v3, v2
	s_mov_b32 s4, 0x43f00000
	v_cmp_gt_u32_e32 vcc, s4, v3
                                        ; implicit-def: $vgpr4
	s_and_saveexec_b64 s[4:5], vcc
	s_xor_b64 s[4:5], exec, s[4:5]
	s_cbranch_execz .LBB425_2035
; %bb.2030:
	s_mov_b32 s6, 0x3c7fffff
	v_cmp_lt_u32_e32 vcc, s6, v3
                                        ; implicit-def: $vgpr4
	s_and_saveexec_b64 s[6:7], vcc
	s_xor_b64 s[6:7], exec, s[6:7]
; %bb.2031:
	v_bfe_u32 v4, v3, 20, 1
	s_mov_b32 s8, 0x407ffff
	v_add3_u32 v3, v3, v4, s8
	v_lshrrev_b32_e32 v4, 20, v3
	v_and_b32_e32 v3, 0xff00000, v3
	s_mov_b32 s8, 0x7f00000
	v_mov_b32_e32 v5, 0x7e
	v_cmp_ne_u32_e32 vcc, s8, v3
                                        ; implicit-def: $vgpr3
	s_nop 1
	v_cndmask_b32_e32 v4, v5, v4, vcc
; %bb.2032:
	s_andn2_saveexec_b64 s[6:7], s[6:7]
; %bb.2033:
	v_add_f32_e32 v4, 0x46800000, v3
; %bb.2034:
	s_or_b64 exec, exec, s[6:7]
                                        ; implicit-def: $vgpr3
.LBB425_2035:
	s_andn2_saveexec_b64 s[4:5], s[4:5]
; %bb.2036:
	s_mov_b32 s6, 0x7f800000
	v_mov_b32_e32 v4, 0x7e
	v_mov_b32_e32 v5, 0x7f
	v_cmp_lt_u32_e32 vcc, s6, v3
	s_nop 1
	v_cndmask_b32_e32 v4, v4, v5, vcc
; %bb.2037:
	s_or_b64 exec, exec, s[4:5]
	global_store_byte v[0:1], v4, off
.LBB425_2038:
	s_mov_b64 s[4:5], 0
.LBB425_2039:
	s_andn2_b64 vcc, exec, s[4:5]
	s_cbranch_vccnz .LBB425_2049
; %bb.2040:
	v_cvt_f32_ubyte0_e32 v3, v2
	s_mov_b32 s4, 0x47800000
	v_cmp_gt_u32_e32 vcc, s4, v3
                                        ; implicit-def: $vgpr4
	s_and_saveexec_b64 s[4:5], vcc
	s_xor_b64 s[4:5], exec, s[4:5]
	s_cbranch_execz .LBB425_2046
; %bb.2041:
	s_mov_b32 s6, 0x387fffff
	v_cmp_lt_u32_e32 vcc, s6, v3
                                        ; implicit-def: $vgpr4
	s_and_saveexec_b64 s[6:7], vcc
	s_xor_b64 s[6:7], exec, s[6:7]
; %bb.2042:
	v_bfe_u32 v4, v3, 21, 1
	s_mov_b32 s8, 0x80fffff
	v_add3_u32 v3, v3, v4, s8
	v_lshrrev_b32_e32 v4, 21, v3
                                        ; implicit-def: $vgpr3
; %bb.2043:
	s_andn2_saveexec_b64 s[6:7], s[6:7]
; %bb.2044:
	v_add_f32_e32 v4, 0x43000000, v3
; %bb.2045:
	s_or_b64 exec, exec, s[6:7]
                                        ; implicit-def: $vgpr3
.LBB425_2046:
	s_andn2_saveexec_b64 s[4:5], s[4:5]
; %bb.2047:
	s_mov_b32 s6, 0x7f800000
	v_mov_b32_e32 v4, 0x7c
	v_mov_b32_e32 v5, 0x7f
	v_cmp_lt_u32_e32 vcc, s6, v3
	s_nop 1
	v_cndmask_b32_e32 v4, v4, v5, vcc
; %bb.2048:
	s_or_b64 exec, exec, s[4:5]
	global_store_byte v[0:1], v4, off
.LBB425_2049:
	s_mov_b64 s[4:5], 0
.LBB425_2050:
	s_andn2_b64 vcc, exec, s[4:5]
	s_mov_b64 s[4:5], 0
	s_cbranch_vccnz .LBB425_2057
; %bb.2051:
	s_cmp_gt_i32 s12, 14
	s_mov_b64 s[6:7], -1
	s_cbranch_scc0 .LBB425_2055
; %bb.2052:
	s_cmp_eq_u32 s12, 15
	s_mov_b64 s[0:1], -1
	s_cbranch_scc0 .LBB425_2054
; %bb.2053:
	v_cvt_f32_ubyte0_e32 v3, v2
	v_bfe_u32 v4, v3, 16, 1
	s_movk_i32 s0, 0x7fff
	v_add3_u32 v3, v3, v4, s0
	global_store_short_d16_hi v[0:1], v3, off
	s_mov_b64 s[0:1], 0
.LBB425_2054:
	s_mov_b64 s[6:7], 0
.LBB425_2055:
	s_and_b64 vcc, exec, s[6:7]
	s_cbranch_vccz .LBB425_2057
; %bb.2056:
	s_cmp_lg_u32 s12, 11
	s_mov_b64 s[4:5], -1
	s_cselect_b64 s[0:1], -1, 0
.LBB425_2057:
	s_and_b64 vcc, exec, s[0:1]
	s_cbranch_vccnz .LBB425_2123
.LBB425_2058:
	s_mov_b64 s[0:1], 0
	s_branch .LBB425_2060
.LBB425_2059:
	s_mov_b64 s[0:1], 0
	s_mov_b64 s[4:5], 0
                                        ; implicit-def: $vgpr0_vgpr1
                                        ; implicit-def: $sgpr14
                                        ; implicit-def: $vgpr2
.LBB425_2060:
	s_and_b64 s[6:7], s[0:1], exec
	s_andn2_b64 s[0:1], s[24:25], exec
	s_and_b64 s[2:3], s[2:3], exec
	s_and_b64 s[40:41], s[4:5], exec
	s_or_b64 s[24:25], s[0:1], s[2:3]
.LBB425_2061:
	s_or_b64 exec, exec, s[26:27]
	s_and_saveexec_b64 s[0:1], s[24:25]
	s_cbranch_execz .LBB425_2064
; %bb.2062:
	; divergent unreachable
	s_or_b64 exec, exec, s[0:1]
	s_and_saveexec_b64 s[0:1], s[40:41]
	s_xor_b64 s[0:1], exec, s[0:1]
	s_cbranch_execnz .LBB425_2065
.LBB425_2063:
	s_or_b64 exec, exec, s[0:1]
	s_and_saveexec_b64 s[0:1], s[6:7]
	s_cbranch_execnz .LBB425_2066
	s_branch .LBB425_2103
.LBB425_2064:
	s_or_b64 exec, exec, s[0:1]
	s_and_saveexec_b64 s[0:1], s[40:41]
	s_xor_b64 s[0:1], exec, s[0:1]
	s_cbranch_execz .LBB425_2063
.LBB425_2065:
	v_mov_b32_e32 v3, 0
	v_cmp_ne_u16_sdwa s[2:3], v2, v3 src0_sel:BYTE_0 src1_sel:DWORD
	s_nop 1
	v_cndmask_b32_e64 v3, 0, 1, s[2:3]
	global_store_byte v[0:1], v3, off
	s_or_b64 exec, exec, s[0:1]
	s_and_saveexec_b64 s[0:1], s[6:7]
	s_cbranch_execz .LBB425_2103
.LBB425_2066:
	s_sext_i32_i16 s2, s14
	s_cmp_lt_i32 s2, 5
	s_mov_b64 s[0:1], -1
	s_cbranch_scc1 .LBB425_2087
; %bb.2067:
	s_cmp_lt_i32 s2, 8
	s_cbranch_scc1 .LBB425_2077
; %bb.2068:
	s_cmp_lt_i32 s2, 9
	s_cbranch_scc1 .LBB425_2074
; %bb.2069:
	s_cmp_gt_i32 s2, 9
	s_cbranch_scc0 .LBB425_2071
; %bb.2070:
	s_mov_b32 s0, 0xffff
	v_and_b32_sdwa v3, s0, v2 dst_sel:DWORD dst_unused:UNUSED_PAD src0_sel:DWORD src1_sel:BYTE_0
	s_waitcnt vmcnt(0)
	v_mov_b32_e32 v6, 0
	v_cvt_f64_u32_e32 v[4:5], v3
	v_mov_b32_e32 v7, v6
	global_store_dwordx4 v[0:1], v[4:7], off
	s_mov_b64 s[0:1], 0
.LBB425_2071:
	s_andn2_b64 vcc, exec, s[0:1]
	s_cbranch_vccnz .LBB425_2073
; %bb.2072:
	s_waitcnt vmcnt(0)
	v_cvt_f32_ubyte0_e32 v4, v2
	v_mov_b32_e32 v5, 0
	global_store_dwordx2 v[0:1], v[4:5], off
.LBB425_2073:
	s_mov_b64 s[0:1], 0
.LBB425_2074:
	s_andn2_b64 vcc, exec, s[0:1]
	s_cbranch_vccnz .LBB425_2076
; %bb.2075:
	v_cvt_f16_u16_sdwa v3, v2 dst_sel:DWORD dst_unused:UNUSED_PAD src0_sel:BYTE_0
	global_store_dword v[0:1], v3, off
.LBB425_2076:
	s_mov_b64 s[0:1], 0
.LBB425_2077:
	s_andn2_b64 vcc, exec, s[0:1]
	s_cbranch_vccnz .LBB425_2086
; %bb.2078:
	s_sext_i32_i16 s2, s14
	s_cmp_lt_i32 s2, 6
	s_mov_b64 s[0:1], -1
	s_cbranch_scc1 .LBB425_2084
; %bb.2079:
	s_cmp_gt_i32 s2, 6
	s_cbranch_scc0 .LBB425_2081
; %bb.2080:
	s_mov_b32 s0, 0xffff
	v_and_b32_sdwa v3, s0, v2 dst_sel:DWORD dst_unused:UNUSED_PAD src0_sel:DWORD src1_sel:BYTE_0
	s_waitcnt vmcnt(0)
	v_cvt_f64_u32_e32 v[4:5], v3
	global_store_dwordx2 v[0:1], v[4:5], off
	s_mov_b64 s[0:1], 0
.LBB425_2081:
	s_andn2_b64 vcc, exec, s[0:1]
	s_cbranch_vccnz .LBB425_2083
; %bb.2082:
	v_cvt_f32_ubyte0_e32 v3, v2
	global_store_dword v[0:1], v3, off
.LBB425_2083:
	s_mov_b64 s[0:1], 0
.LBB425_2084:
	s_andn2_b64 vcc, exec, s[0:1]
	s_cbranch_vccnz .LBB425_2086
; %bb.2085:
	v_cvt_f16_u16_sdwa v3, v2 dst_sel:DWORD dst_unused:UNUSED_PAD src0_sel:BYTE_0
	global_store_short v[0:1], v3, off
.LBB425_2086:
	s_mov_b64 s[0:1], 0
.LBB425_2087:
	s_andn2_b64 vcc, exec, s[0:1]
	s_cbranch_vccnz .LBB425_2103
; %bb.2088:
	s_sext_i32_i16 s2, s14
	s_cmp_lt_i32 s2, 2
	s_mov_b64 s[0:1], -1
	s_cbranch_scc1 .LBB425_2098
; %bb.2089:
	s_cmp_lt_i32 s2, 3
	s_cbranch_scc1 .LBB425_2095
; %bb.2090:
	s_cmp_gt_i32 s2, 3
	s_cbranch_scc0 .LBB425_2092
; %bb.2091:
	s_waitcnt vmcnt(0)
	v_and_b32_e32 v4, 0xff, v2
	v_mov_b32_e32 v5, 0
	global_store_dwordx2 v[0:1], v[4:5], off
	s_mov_b64 s[0:1], 0
.LBB425_2092:
	s_andn2_b64 vcc, exec, s[0:1]
	s_cbranch_vccnz .LBB425_2094
; %bb.2093:
	v_and_b32_e32 v3, 0xff, v2
	global_store_dword v[0:1], v3, off
.LBB425_2094:
	s_mov_b64 s[0:1], 0
.LBB425_2095:
	s_andn2_b64 vcc, exec, s[0:1]
	s_cbranch_vccnz .LBB425_2097
; %bb.2096:
	v_and_b32_e32 v3, 0xff, v2
	global_store_short v[0:1], v3, off
.LBB425_2097:
	s_mov_b64 s[0:1], 0
.LBB425_2098:
	s_andn2_b64 vcc, exec, s[0:1]
	s_cbranch_vccnz .LBB425_2103
; %bb.2099:
	s_sext_i32_i16 s0, s14
	s_cmp_gt_i32 s0, 0
	s_mov_b64 s[0:1], -1
	s_cbranch_scc0 .LBB425_2101
; %bb.2100:
	global_store_byte v[0:1], v2, off
	s_mov_b64 s[0:1], 0
.LBB425_2101:
	s_andn2_b64 vcc, exec, s[0:1]
	s_cbranch_vccnz .LBB425_2103
; %bb.2102:
	global_store_byte v[0:1], v2, off
	s_endpgm
.LBB425_2103:
	s_endpgm
.LBB425_2104:
	s_mov_b64 s[4:5], 0
	s_mov_b64 s[0:1], -1
	s_branch .LBB425_2060
.LBB425_2105:
	s_trap 2
	s_or_b64 s[2:3], s[2:3], exec
	s_cbranch_execz .LBB425_1574
	s_branch .LBB425_1575
.LBB425_2106:
	s_andn2_saveexec_b64 s[12:13], s[12:13]
	s_cbranch_execz .LBB425_1654
.LBB425_2107:
	v_add_f32_e32 v1, 0x46000000, v3
	v_and_b32_e32 v1, 0xff, v1
	v_cmp_ne_u32_e32 vcc, 0, v1
	s_andn2_b64 s[10:11], s[10:11], exec
	s_and_b64 s[18:19], vcc, exec
	s_or_b64 s[10:11], s[10:11], s[18:19]
	s_or_b64 exec, exec, s[12:13]
	v_mov_b32_e32 v5, 0
	s_and_saveexec_b64 s[12:13], s[10:11]
	s_cbranch_execnz .LBB425_1655
	s_branch .LBB425_1656
.LBB425_2108:
	s_trap 2
	s_or_b64 s[2:3], s[2:3], exec
	s_cbranch_execz .LBB425_1702
	s_branch .LBB425_1703
.LBB425_2109:
	s_andn2_saveexec_b64 s[10:11], s[10:11]
	s_cbranch_execz .LBB425_1667
.LBB425_2110:
	v_add_f32_e32 v1, 0x42800000, v3
	v_and_b32_e32 v1, 0xff, v1
	v_cmp_ne_u32_e32 vcc, 0, v1
	s_andn2_b64 s[8:9], s[8:9], exec
	s_and_b64 s[12:13], vcc, exec
	s_or_b64 s[8:9], s[8:9], s[12:13]
	s_or_b64 exec, exec, s[10:11]
	v_mov_b32_e32 v5, 0
	s_and_saveexec_b64 s[10:11], s[8:9]
	s_cbranch_execnz .LBB425_1668
	s_branch .LBB425_1669
.LBB425_2111:
	s_andn2_saveexec_b64 s[12:13], s[12:13]
	s_cbranch_execz .LBB425_1773
.LBB425_2112:
	v_add_f32_e32 v1, 0x46000000, v3
	v_and_b32_e32 v1, 0xff, v1
	v_cmp_ne_u32_e32 vcc, 0, v1
	s_andn2_b64 s[10:11], s[10:11], exec
	s_and_b64 s[18:19], vcc, exec
	s_or_b64 s[10:11], s[10:11], s[18:19]
	s_or_b64 exec, exec, s[12:13]
	v_mov_b32_e32 v7, 0
	s_and_saveexec_b64 s[12:13], s[10:11]
	s_cbranch_execnz .LBB425_1774
	s_branch .LBB425_1775
.LBB425_2113:
	s_trap 2
	s_or_b64 s[2:3], s[2:3], exec
	s_cbranch_execz .LBB425_1821
	s_branch .LBB425_1822
.LBB425_2114:
	s_andn2_saveexec_b64 s[10:11], s[10:11]
	s_cbranch_execz .LBB425_1786
.LBB425_2115:
	v_add_f32_e32 v1, 0x42800000, v3
	v_and_b32_e32 v1, 0xff, v1
	v_cmp_ne_u32_e32 vcc, 0, v1
	s_andn2_b64 s[8:9], s[8:9], exec
	s_and_b64 s[12:13], vcc, exec
	s_or_b64 s[8:9], s[8:9], s[12:13]
	s_or_b64 exec, exec, s[10:11]
	v_mov_b32_e32 v7, 0
	s_and_saveexec_b64 s[10:11], s[8:9]
	s_cbranch_execnz .LBB425_1787
	s_branch .LBB425_1788
.LBB425_2116:
	s_andn2_saveexec_b64 s[12:13], s[12:13]
	s_cbranch_execz .LBB425_1892
.LBB425_2117:
	v_add_f32_e32 v1, 0x46000000, v5
	v_and_b32_e32 v1, 0xff, v1
	v_cmp_ne_u32_e32 vcc, 0, v1
	s_andn2_b64 s[10:11], s[10:11], exec
	s_and_b64 s[18:19], vcc, exec
	s_or_b64 s[10:11], s[10:11], s[18:19]
	s_or_b64 exec, exec, s[12:13]
	v_mov_b32_e32 v6, 0
	s_and_saveexec_b64 s[12:13], s[10:11]
	s_cbranch_execnz .LBB425_1893
	s_branch .LBB425_1894
.LBB425_2118:
	s_trap 2
	s_or_b64 s[2:3], s[2:3], exec
	s_cbranch_execz .LBB425_1940
	s_branch .LBB425_1941
.LBB425_2119:
	s_andn2_saveexec_b64 s[10:11], s[10:11]
	s_cbranch_execz .LBB425_1905
.LBB425_2120:
	v_add_f32_e32 v1, 0x42800000, v5
	v_and_b32_e32 v1, 0xff, v1
	v_cmp_ne_u32_e32 vcc, 0, v1
	s_andn2_b64 s[8:9], s[8:9], exec
	s_and_b64 s[12:13], vcc, exec
	s_or_b64 s[8:9], s[8:9], s[12:13]
	s_or_b64 exec, exec, s[10:11]
	v_mov_b32_e32 v6, 0
	s_and_saveexec_b64 s[10:11], s[8:9]
	s_cbranch_execnz .LBB425_1906
	s_branch .LBB425_1907
.LBB425_2121:
	s_andn2_saveexec_b64 s[10:11], s[10:11]
	s_cbranch_execz .LBB425_2012
.LBB425_2122:
	v_add_f32_e32 v3, 0x46000000, v4
	v_and_b32_e32 v3, 0xff, v3
	v_cmp_ne_u32_e32 vcc, 0, v3
	s_andn2_b64 s[8:9], s[8:9], exec
	s_and_b64 s[16:17], vcc, exec
	s_or_b64 s[8:9], s[8:9], s[16:17]
	s_or_b64 exec, exec, s[10:11]
	v_mov_b32_e32 v5, 0
	s_and_saveexec_b64 s[10:11], s[8:9]
	s_cbranch_execnz .LBB425_2013
	s_branch .LBB425_2014
.LBB425_2123:
	s_mov_b64 s[4:5], 0
	s_or_b64 s[2:3], s[2:3], exec
	s_trap 2
	s_branch .LBB425_2058
.LBB425_2124:
	s_andn2_saveexec_b64 s[8:9], s[8:9]
	s_cbranch_execz .LBB425_2024
.LBB425_2125:
	v_add_f32_e32 v3, 0x42800000, v4
	v_and_b32_e32 v3, 0xff, v3
	v_cmp_ne_u32_e32 vcc, 0, v3
	s_andn2_b64 s[6:7], s[6:7], exec
	s_and_b64 s[10:11], vcc, exec
	s_or_b64 s[6:7], s[6:7], s[10:11]
	s_or_b64 exec, exec, s[8:9]
	v_mov_b32_e32 v5, 0
	s_and_saveexec_b64 s[8:9], s[6:7]
	s_cbranch_execnz .LBB425_2025
	s_branch .LBB425_2026
	.section	.rodata,"a",@progbits
	.p2align	6, 0x0
	.amdhsa_kernel _ZN2at6native32elementwise_kernel_manual_unrollILi128ELi4EZNS0_15gpu_kernel_implIZZZNS0_21clamp_max_kernel_cudaERNS_18TensorIteratorBaseERKN3c106ScalarEENKUlvE_clEvENKUlvE_clEvEUlhE_EEvS4_RKT_EUlibE0_EEviT1_
		.amdhsa_group_segment_fixed_size 0
		.amdhsa_private_segment_fixed_size 0
		.amdhsa_kernarg_size 360
		.amdhsa_user_sgpr_count 2
		.amdhsa_user_sgpr_dispatch_ptr 0
		.amdhsa_user_sgpr_queue_ptr 0
		.amdhsa_user_sgpr_kernarg_segment_ptr 1
		.amdhsa_user_sgpr_dispatch_id 0
		.amdhsa_user_sgpr_kernarg_preload_length 0
		.amdhsa_user_sgpr_kernarg_preload_offset 0
		.amdhsa_user_sgpr_private_segment_size 0
		.amdhsa_uses_dynamic_stack 0
		.amdhsa_enable_private_segment 0
		.amdhsa_system_sgpr_workgroup_id_x 1
		.amdhsa_system_sgpr_workgroup_id_y 0
		.amdhsa_system_sgpr_workgroup_id_z 0
		.amdhsa_system_sgpr_workgroup_info 0
		.amdhsa_system_vgpr_workitem_id 0
		.amdhsa_next_free_vgpr 20
		.amdhsa_next_free_sgpr 79
		.amdhsa_accum_offset 20
		.amdhsa_reserve_vcc 1
		.amdhsa_float_round_mode_32 0
		.amdhsa_float_round_mode_16_64 0
		.amdhsa_float_denorm_mode_32 3
		.amdhsa_float_denorm_mode_16_64 3
		.amdhsa_dx10_clamp 1
		.amdhsa_ieee_mode 1
		.amdhsa_fp16_overflow 0
		.amdhsa_tg_split 0
		.amdhsa_exception_fp_ieee_invalid_op 0
		.amdhsa_exception_fp_denorm_src 0
		.amdhsa_exception_fp_ieee_div_zero 0
		.amdhsa_exception_fp_ieee_overflow 0
		.amdhsa_exception_fp_ieee_underflow 0
		.amdhsa_exception_fp_ieee_inexact 0
		.amdhsa_exception_int_div_zero 0
	.end_amdhsa_kernel
	.section	.text._ZN2at6native32elementwise_kernel_manual_unrollILi128ELi4EZNS0_15gpu_kernel_implIZZZNS0_21clamp_max_kernel_cudaERNS_18TensorIteratorBaseERKN3c106ScalarEENKUlvE_clEvENKUlvE_clEvEUlhE_EEvS4_RKT_EUlibE0_EEviT1_,"axG",@progbits,_ZN2at6native32elementwise_kernel_manual_unrollILi128ELi4EZNS0_15gpu_kernel_implIZZZNS0_21clamp_max_kernel_cudaERNS_18TensorIteratorBaseERKN3c106ScalarEENKUlvE_clEvENKUlvE_clEvEUlhE_EEvS4_RKT_EUlibE0_EEviT1_,comdat
.Lfunc_end425:
	.size	_ZN2at6native32elementwise_kernel_manual_unrollILi128ELi4EZNS0_15gpu_kernel_implIZZZNS0_21clamp_max_kernel_cudaERNS_18TensorIteratorBaseERKN3c106ScalarEENKUlvE_clEvENKUlvE_clEvEUlhE_EEvS4_RKT_EUlibE0_EEviT1_, .Lfunc_end425-_ZN2at6native32elementwise_kernel_manual_unrollILi128ELi4EZNS0_15gpu_kernel_implIZZZNS0_21clamp_max_kernel_cudaERNS_18TensorIteratorBaseERKN3c106ScalarEENKUlvE_clEvENKUlvE_clEvEUlhE_EEvS4_RKT_EUlibE0_EEviT1_
                                        ; -- End function
	.set _ZN2at6native32elementwise_kernel_manual_unrollILi128ELi4EZNS0_15gpu_kernel_implIZZZNS0_21clamp_max_kernel_cudaERNS_18TensorIteratorBaseERKN3c106ScalarEENKUlvE_clEvENKUlvE_clEvEUlhE_EEvS4_RKT_EUlibE0_EEviT1_.num_vgpr, 20
	.set _ZN2at6native32elementwise_kernel_manual_unrollILi128ELi4EZNS0_15gpu_kernel_implIZZZNS0_21clamp_max_kernel_cudaERNS_18TensorIteratorBaseERKN3c106ScalarEENKUlvE_clEvENKUlvE_clEvEUlhE_EEvS4_RKT_EUlibE0_EEviT1_.num_agpr, 0
	.set _ZN2at6native32elementwise_kernel_manual_unrollILi128ELi4EZNS0_15gpu_kernel_implIZZZNS0_21clamp_max_kernel_cudaERNS_18TensorIteratorBaseERKN3c106ScalarEENKUlvE_clEvENKUlvE_clEvEUlhE_EEvS4_RKT_EUlibE0_EEviT1_.numbered_sgpr, 79
	.set _ZN2at6native32elementwise_kernel_manual_unrollILi128ELi4EZNS0_15gpu_kernel_implIZZZNS0_21clamp_max_kernel_cudaERNS_18TensorIteratorBaseERKN3c106ScalarEENKUlvE_clEvENKUlvE_clEvEUlhE_EEvS4_RKT_EUlibE0_EEviT1_.num_named_barrier, 0
	.set _ZN2at6native32elementwise_kernel_manual_unrollILi128ELi4EZNS0_15gpu_kernel_implIZZZNS0_21clamp_max_kernel_cudaERNS_18TensorIteratorBaseERKN3c106ScalarEENKUlvE_clEvENKUlvE_clEvEUlhE_EEvS4_RKT_EUlibE0_EEviT1_.private_seg_size, 0
	.set _ZN2at6native32elementwise_kernel_manual_unrollILi128ELi4EZNS0_15gpu_kernel_implIZZZNS0_21clamp_max_kernel_cudaERNS_18TensorIteratorBaseERKN3c106ScalarEENKUlvE_clEvENKUlvE_clEvEUlhE_EEvS4_RKT_EUlibE0_EEviT1_.uses_vcc, 1
	.set _ZN2at6native32elementwise_kernel_manual_unrollILi128ELi4EZNS0_15gpu_kernel_implIZZZNS0_21clamp_max_kernel_cudaERNS_18TensorIteratorBaseERKN3c106ScalarEENKUlvE_clEvENKUlvE_clEvEUlhE_EEvS4_RKT_EUlibE0_EEviT1_.uses_flat_scratch, 0
	.set _ZN2at6native32elementwise_kernel_manual_unrollILi128ELi4EZNS0_15gpu_kernel_implIZZZNS0_21clamp_max_kernel_cudaERNS_18TensorIteratorBaseERKN3c106ScalarEENKUlvE_clEvENKUlvE_clEvEUlhE_EEvS4_RKT_EUlibE0_EEviT1_.has_dyn_sized_stack, 0
	.set _ZN2at6native32elementwise_kernel_manual_unrollILi128ELi4EZNS0_15gpu_kernel_implIZZZNS0_21clamp_max_kernel_cudaERNS_18TensorIteratorBaseERKN3c106ScalarEENKUlvE_clEvENKUlvE_clEvEUlhE_EEvS4_RKT_EUlibE0_EEviT1_.has_recursion, 0
	.set _ZN2at6native32elementwise_kernel_manual_unrollILi128ELi4EZNS0_15gpu_kernel_implIZZZNS0_21clamp_max_kernel_cudaERNS_18TensorIteratorBaseERKN3c106ScalarEENKUlvE_clEvENKUlvE_clEvEUlhE_EEvS4_RKT_EUlibE0_EEviT1_.has_indirect_call, 0
	.section	.AMDGPU.csdata,"",@progbits
; Kernel info:
; codeLenInByte = 38336
; TotalNumSgprs: 85
; NumVgprs: 20
; NumAgprs: 0
; TotalNumVgprs: 20
; ScratchSize: 0
; MemoryBound: 1
; FloatMode: 240
; IeeeMode: 1
; LDSByteSize: 0 bytes/workgroup (compile time only)
; SGPRBlocks: 10
; VGPRBlocks: 2
; NumSGPRsForWavesPerEU: 85
; NumVGPRsForWavesPerEU: 20
; AccumOffset: 20
; Occupancy: 8
; WaveLimiterHint : 1
; COMPUTE_PGM_RSRC2:SCRATCH_EN: 0
; COMPUTE_PGM_RSRC2:USER_SGPR: 2
; COMPUTE_PGM_RSRC2:TRAP_HANDLER: 0
; COMPUTE_PGM_RSRC2:TGID_X_EN: 1
; COMPUTE_PGM_RSRC2:TGID_Y_EN: 0
; COMPUTE_PGM_RSRC2:TGID_Z_EN: 0
; COMPUTE_PGM_RSRC2:TIDIG_COMP_CNT: 0
; COMPUTE_PGM_RSRC3_GFX90A:ACCUM_OFFSET: 4
; COMPUTE_PGM_RSRC3_GFX90A:TG_SPLIT: 0
	.section	.text._ZN2at6native29vectorized_elementwise_kernelILi16EZZZNS0_21clamp_max_kernel_cudaERNS_18TensorIteratorBaseERKN3c106ScalarEENKUlvE_clEvENKUlvE0_clEvEUlaE_St5arrayIPcLm2EEEEviT0_T1_,"axG",@progbits,_ZN2at6native29vectorized_elementwise_kernelILi16EZZZNS0_21clamp_max_kernel_cudaERNS_18TensorIteratorBaseERKN3c106ScalarEENKUlvE_clEvENKUlvE0_clEvEUlaE_St5arrayIPcLm2EEEEviT0_T1_,comdat
	.globl	_ZN2at6native29vectorized_elementwise_kernelILi16EZZZNS0_21clamp_max_kernel_cudaERNS_18TensorIteratorBaseERKN3c106ScalarEENKUlvE_clEvENKUlvE0_clEvEUlaE_St5arrayIPcLm2EEEEviT0_T1_ ; -- Begin function _ZN2at6native29vectorized_elementwise_kernelILi16EZZZNS0_21clamp_max_kernel_cudaERNS_18TensorIteratorBaseERKN3c106ScalarEENKUlvE_clEvENKUlvE0_clEvEUlaE_St5arrayIPcLm2EEEEviT0_T1_
	.p2align	8
	.type	_ZN2at6native29vectorized_elementwise_kernelILi16EZZZNS0_21clamp_max_kernel_cudaERNS_18TensorIteratorBaseERKN3c106ScalarEENKUlvE_clEvENKUlvE0_clEvEUlaE_St5arrayIPcLm2EEEEviT0_T1_,@function
_ZN2at6native29vectorized_elementwise_kernelILi16EZZZNS0_21clamp_max_kernel_cudaERNS_18TensorIteratorBaseERKN3c106ScalarEENKUlvE_clEvENKUlvE0_clEvEUlaE_St5arrayIPcLm2EEEEviT0_T1_: ; @_ZN2at6native29vectorized_elementwise_kernelILi16EZZZNS0_21clamp_max_kernel_cudaERNS_18TensorIteratorBaseERKN3c106ScalarEENKUlvE_clEvENKUlvE0_clEvEUlaE_St5arrayIPcLm2EEEEviT0_T1_
; %bb.0:
	s_load_dwordx2 s[8:9], s[0:1], 0x0
	s_load_dwordx4 s[4:7], s[0:1], 0x8
	s_lshl_b32 s33, s2, 12
	s_mov_b64 s[0:1], -1
	s_waitcnt lgkmcnt(0)
	s_sub_i32 s8, s8, s33
	s_cmpk_gt_i32 s8, 0xfff
	s_cbranch_scc0 .LBB426_2
; %bb.1:
	s_ashr_i32 s2, s33, 31
	s_add_u32 s0, s6, s33
	s_addc_u32 s1, s7, s2
	v_lshlrev_b32_e32 v1, 4, v0
	global_load_dwordx4 v[2:5], v1, s[0:1]
	s_add_u32 s0, s4, s33
	s_addc_u32 s1, s5, s2
	s_bfe_i32 s2, s9, 0x80000
	s_movk_i32 s3, 0xff
	s_waitcnt vmcnt(0)
	v_lshrrev_b32_e32 v6, 16, v2
	v_lshrrev_b32_e32 v7, 16, v3
	;; [unrolled: 1-line block ×4, first 2 shown]
	v_min_i16_sdwa v10, sext(v3), s2 dst_sel:DWORD dst_unused:UNUSED_PAD src0_sel:BYTE_0 src1_sel:DWORD
	v_min_i16_sdwa v11, sext(v3), s2 dst_sel:BYTE_1 dst_unused:UNUSED_PAD src0_sel:BYTE_1 src1_sel:DWORD
	v_min_i16_sdwa v12, sext(v2), s2 dst_sel:DWORD dst_unused:UNUSED_PAD src0_sel:BYTE_0 src1_sel:DWORD
	v_min_i16_sdwa v2, sext(v2), s2 dst_sel:BYTE_1 dst_unused:UNUSED_PAD src0_sel:BYTE_1 src1_sel:DWORD
	;; [unrolled: 2-line block ×3, first 2 shown]
	v_min_i16_sdwa v3, sext(v3), s2 dst_sel:BYTE_1 dst_unused:UNUSED_PAD src0_sel:BYTE_3 src1_sel:DWORD
	v_bitop3_b16 v10, v10, v11, s3 bitop3:0xec
	v_min_i16_sdwa v7, sext(v7), s2 dst_sel:DWORD dst_unused:UNUSED_PAD src0_sel:BYTE_0 src1_sel:DWORD
	v_bitop3_b16 v2, v12, v2, s3 bitop3:0xec
	v_min_i16_sdwa v11, sext(v6), s2 dst_sel:DWORD dst_unused:UNUSED_PAD src0_sel:BYTE_0 src1_sel:DWORD
	v_min_i16_sdwa v6, sext(v6), s2 dst_sel:BYTE_1 dst_unused:UNUSED_PAD src0_sel:BYTE_1 src1_sel:DWORD
	v_bitop3_b16 v5, v13, v5, s3 bitop3:0xec
	v_min_i16_sdwa v12, sext(v9), s2 dst_sel:DWORD dst_unused:UNUSED_PAD src0_sel:BYTE_0 src1_sel:DWORD
	v_min_i16_sdwa v9, sext(v9), s2 dst_sel:BYTE_1 dst_unused:UNUSED_PAD src0_sel:BYTE_1 src1_sel:DWORD
	v_min_i16_sdwa v13, sext(v8), s2 dst_sel:DWORD dst_unused:UNUSED_PAD src0_sel:BYTE_0 src1_sel:DWORD
	v_min_i16_sdwa v8, sext(v8), s2 dst_sel:BYTE_1 dst_unused:UNUSED_PAD src0_sel:BYTE_1 src1_sel:DWORD
	;; [unrolled: 2-line block ×3, first 2 shown]
	v_bitop3_b16 v3, v7, v3, s3 bitop3:0xec
	v_bitop3_b16 v6, v11, v6, s3 bitop3:0xec
	v_bitop3_b16 v7, v12, v9, s3 bitop3:0xec
	v_bitop3_b16 v8, v13, v8, s3 bitop3:0xec
	v_bitop3_b16 v4, v14, v4, s3 bitop3:0xec
	v_lshlrev_b32_e32 v3, 16, v3
	v_lshlrev_b32_e32 v6, 16, v6
	;; [unrolled: 1-line block ×4, first 2 shown]
	v_or_b32_sdwa v3, v10, v3 dst_sel:DWORD dst_unused:UNUSED_PAD src0_sel:WORD_0 src1_sel:DWORD
	v_or_b32_sdwa v2, v2, v6 dst_sel:DWORD dst_unused:UNUSED_PAD src0_sel:WORD_0 src1_sel:DWORD
	;; [unrolled: 1-line block ×4, first 2 shown]
	global_store_dwordx4 v1, v[2:5], s[0:1]
	s_mov_b64 s[0:1], 0
.LBB426_2:
	s_andn2_b64 vcc, exec, s[0:1]
	s_cbranch_vccnz .LBB426_52
; %bb.3:
	v_cmp_gt_i32_e32 vcc, s8, v0
	v_or_b32_e32 v1, 0x100, v0
	v_mov_b32_e32 v20, 0
	v_or_b32_e32 v6, s33, v0
	v_mov_b32_e32 v19, 0
	v_mov_b32_e32 v18, 0
	;; [unrolled: 1-line block ×15, first 2 shown]
	s_and_saveexec_b64 s[2:3], vcc
	s_cbranch_execz .LBB426_35
; %bb.4:
	global_load_ubyte v8, v6, s[6:7]
	v_cmp_gt_u32_e64 s[0:1], s8, v1
	v_mov_b32_e32 v7, 0
	v_mov_b32_e32 v3, 0
	;; [unrolled: 1-line block ×15, first 2 shown]
	s_and_saveexec_b64 s[10:11], s[0:1]
	s_cbranch_execz .LBB426_34
; %bb.5:
	v_add_u32_e32 v2, s33, v0
	global_load_ubyte v7, v2, s[6:7] offset:256
	v_or_b32_e32 v4, 0x200, v0
	v_mov_b32_e32 v3, 0
	v_cmp_gt_u32_e64 s[0:1], s8, v4
	v_mov_b32_e32 v4, 0
	v_mov_b32_e32 v9, 0
	;; [unrolled: 1-line block ×13, first 2 shown]
	s_and_saveexec_b64 s[12:13], s[0:1]
	s_cbranch_execz .LBB426_33
; %bb.6:
	v_lshl_add_u64 v[4:5], s[6:7], 0, v[2:3]
	global_load_ubyte v2, v[4:5], off offset:512
	v_or_b32_e32 v9, 0x300, v0
	v_cmp_gt_u32_e64 s[0:1], s8, v9
	v_mov_b32_e32 v9, 0
	v_mov_b32_e32 v10, 0
	;; [unrolled: 1-line block ×12, first 2 shown]
	s_and_saveexec_b64 s[6:7], s[0:1]
	s_cbranch_execz .LBB426_32
; %bb.7:
	global_load_ubyte v3, v[4:5], off offset:768
	v_or_b32_e32 v9, 0x400, v0
	v_cmp_gt_u32_e64 s[0:1], s8, v9
	v_mov_b32_e32 v9, 0
	v_mov_b32_e32 v10, 0
	;; [unrolled: 1-line block ×12, first 2 shown]
	s_and_saveexec_b64 s[14:15], s[0:1]
	s_cbranch_execz .LBB426_31
; %bb.8:
	global_load_ubyte v9, v[4:5], off offset:1024
	v_or_b32_e32 v10, 0x500, v0
	v_cmp_gt_u32_e64 s[0:1], s8, v10
	v_mov_b32_e32 v10, 0
	v_mov_b32_e32 v11, 0
	;; [unrolled: 1-line block ×11, first 2 shown]
	s_and_saveexec_b64 s[16:17], s[0:1]
	s_cbranch_execz .LBB426_30
; %bb.9:
	global_load_ubyte v10, v[4:5], off offset:1280
	v_or_b32_e32 v11, 0x600, v0
	v_cmp_gt_u32_e64 s[0:1], s8, v11
	v_mov_b32_e32 v11, 0
	v_mov_b32_e32 v12, 0
	;; [unrolled: 1-line block ×10, first 2 shown]
	s_and_saveexec_b64 s[18:19], s[0:1]
	s_cbranch_execz .LBB426_29
; %bb.10:
	global_load_ubyte v11, v[4:5], off offset:1536
	v_or_b32_e32 v12, 0x700, v0
	v_cmp_gt_u32_e64 s[0:1], s8, v12
	v_mov_b32_e32 v12, 0
	v_mov_b32_e32 v13, 0
	;; [unrolled: 1-line block ×9, first 2 shown]
	s_and_saveexec_b64 s[20:21], s[0:1]
	s_cbranch_execz .LBB426_28
; %bb.11:
	global_load_ubyte v12, v[4:5], off offset:1792
	v_or_b32_e32 v13, 0x800, v0
	v_cmp_gt_u32_e64 s[0:1], s8, v13
	v_mov_b32_e32 v13, 0
	v_mov_b32_e32 v14, 0
	;; [unrolled: 1-line block ×8, first 2 shown]
	s_and_saveexec_b64 s[22:23], s[0:1]
	s_cbranch_execz .LBB426_27
; %bb.12:
	global_load_ubyte v13, v[4:5], off offset:2048
	v_or_b32_e32 v14, 0x900, v0
	v_cmp_gt_u32_e64 s[0:1], s8, v14
	v_mov_b32_e32 v14, 0
	v_mov_b32_e32 v15, 0
	;; [unrolled: 1-line block ×7, first 2 shown]
	s_and_saveexec_b64 s[24:25], s[0:1]
	s_cbranch_execz .LBB426_26
; %bb.13:
	global_load_ubyte v14, v[4:5], off offset:2304
	v_or_b32_e32 v15, 0xa00, v0
	v_cmp_gt_u32_e64 s[0:1], s8, v15
	v_mov_b32_e32 v15, 0
	v_mov_b32_e32 v16, 0
	;; [unrolled: 1-line block ×6, first 2 shown]
	s_and_saveexec_b64 s[26:27], s[0:1]
	s_cbranch_execz .LBB426_25
; %bb.14:
	global_load_ubyte v15, v[4:5], off offset:2560
	v_or_b32_e32 v16, 0xb00, v0
	v_cmp_gt_u32_e64 s[0:1], s8, v16
	v_mov_b32_e32 v16, 0
	v_mov_b32_e32 v17, 0
	;; [unrolled: 1-line block ×5, first 2 shown]
	s_and_saveexec_b64 s[28:29], s[0:1]
	s_cbranch_execz .LBB426_24
; %bb.15:
	global_load_ubyte v16, v[4:5], off offset:2816
	v_or_b32_e32 v17, 0xc00, v0
	v_cmp_gt_u32_e64 s[0:1], s8, v17
	v_mov_b32_e32 v17, 0
	v_mov_b32_e32 v18, 0
	;; [unrolled: 1-line block ×4, first 2 shown]
	s_and_saveexec_b64 s[30:31], s[0:1]
	s_cbranch_execz .LBB426_23
; %bb.16:
	global_load_ubyte v17, v[4:5], off offset:3072
	v_or_b32_e32 v18, 0xd00, v0
	v_cmp_gt_u32_e64 s[0:1], s8, v18
	v_mov_b32_e32 v18, 0
	v_mov_b32_e32 v19, 0
	v_mov_b32_e32 v20, 0
	s_and_saveexec_b64 s[34:35], s[0:1]
	s_cbranch_execz .LBB426_22
; %bb.17:
	global_load_ubyte v18, v[4:5], off offset:3328
	v_or_b32_e32 v19, 0xe00, v0
	v_cmp_gt_u32_e64 s[0:1], s8, v19
	v_mov_b32_e32 v19, 0
	v_mov_b32_e32 v20, 0
	s_and_saveexec_b64 s[36:37], s[0:1]
	s_cbranch_execz .LBB426_21
; %bb.18:
	global_load_ubyte v19, v[4:5], off offset:3584
	v_or_b32_e32 v20, 0xf00, v0
	v_cmp_gt_u32_e64 s[0:1], s8, v20
	v_mov_b32_e32 v20, 0
	s_and_saveexec_b64 s[38:39], s[0:1]
	s_cbranch_execz .LBB426_20
; %bb.19:
	global_load_ubyte v20, v[4:5], off offset:3840
.LBB426_20:
	s_or_b64 exec, exec, s[38:39]
.LBB426_21:
	s_or_b64 exec, exec, s[36:37]
.LBB426_22:
	s_or_b64 exec, exec, s[34:35]
.LBB426_23:
	s_or_b64 exec, exec, s[30:31]
.LBB426_24:
	s_or_b64 exec, exec, s[28:29]
.LBB426_25:
	s_or_b64 exec, exec, s[26:27]
.LBB426_26:
	s_or_b64 exec, exec, s[24:25]
.LBB426_27:
	s_or_b64 exec, exec, s[22:23]
.LBB426_28:
	s_or_b64 exec, exec, s[20:21]
.LBB426_29:
	s_or_b64 exec, exec, s[18:19]
.LBB426_30:
	s_or_b64 exec, exec, s[16:17]
.LBB426_31:
	s_or_b64 exec, exec, s[14:15]
.LBB426_32:
	s_or_b64 exec, exec, s[6:7]
	s_waitcnt vmcnt(0)
	v_mov_b32_e32 v4, v3
	v_mov_b32_e32 v3, v2
.LBB426_33:
	s_or_b64 exec, exec, s[12:13]
.LBB426_34:
	s_or_b64 exec, exec, s[10:11]
.LBB426_35:
	s_or_b64 exec, exec, s[2:3]
	s_bfe_i32 s2, s9, 0x80000
	s_waitcnt vmcnt(0)
	v_min_i16_sdwa v2, sext(v8), s2 dst_sel:DWORD dst_unused:UNUSED_PAD src0_sel:BYTE_0 src1_sel:DWORD
	s_mov_b32 s6, 0xffff
	v_and_b32_sdwa v2, s6, v2 dst_sel:DWORD dst_unused:UNUSED_PAD src0_sel:DWORD src1_sel:BYTE_0
	v_cndmask_b32_e32 v2, 0, v2, vcc
	v_min_i16_sdwa v5, sext(v7), s2 dst_sel:BYTE_1 dst_unused:UNUSED_PAD src0_sel:BYTE_0 src1_sel:DWORD
	v_cmp_gt_i32_e64 s[0:1], s8, v1
	v_or_b32_e32 v5, v2, v5
	v_and_b32_e32 v5, 0xffff, v5
	v_cndmask_b32_e64 v2, v2, v5, s[0:1]
	v_min_i16_sdwa v3, sext(v3), s2 dst_sel:DWORD dst_unused:UNUSED_PAD src0_sel:BYTE_0 src1_sel:DWORD
	s_mov_b32 s7, 0xc0c0304
	v_or_b32_e32 v5, 0x200, v0
	v_perm_b32 v3, v3, v2, s7
	v_lshl_or_b32 v3, v3, 16, v2
	v_cmp_gt_i32_e64 s[0:1], s8, v5
	s_movk_i32 s3, 0xff
	v_min_i16_sdwa v4, sext(v4), s2 dst_sel:BYTE_1 dst_unused:UNUSED_PAD src0_sel:BYTE_0 src1_sel:DWORD
	v_cndmask_b32_e64 v2, v2, v3, s[0:1]
	v_lshrrev_b32_e32 v3, 16, v2
	v_bitop3_b16 v3, v3, v4, s3 bitop3:0xec
	v_or_b32_e32 v5, 0x300, v0
	v_lshlrev_b32_e32 v3, 16, v3
	v_and_or_b32 v3, v2, s6, v3
	v_cmp_gt_i32_e64 s[0:1], s8, v5
	s_mov_b32 s9, 0x3020104
	s_mov_b32 s10, 0xffff0000
	v_cndmask_b32_e64 v5, v2, v3, s[0:1]
	v_min_i16_sdwa v2, sext(v9), s2 dst_sel:DWORD dst_unused:UNUSED_PAD src0_sel:BYTE_0 src1_sel:DWORD
	v_or_b32_e32 v3, 0x400, v0
	v_perm_b32 v2, v2, 0, s9
	v_cmp_gt_i32_e64 s[0:1], s8, v3
	v_min_i16_sdwa v3, sext(v10), s2 dst_sel:BYTE_1 dst_unused:UNUSED_PAD src0_sel:BYTE_0 src1_sel:DWORD
	v_or_b32_e32 v4, 0x500, v0
	v_cndmask_b32_e64 v2, 0, v2, s[0:1]
	v_bitop3_b16 v3, v2, v3, s3 bitop3:0xec
	v_and_b32_e32 v3, 0xffff, v3
	v_and_or_b32 v3, v2, s10, v3
	v_cmp_gt_i32_e64 s[0:1], s8, v4
	v_min_i16_sdwa v4, sext(v11), s2 dst_sel:DWORD dst_unused:UNUSED_PAD src0_sel:BYTE_0 src1_sel:DWORD
	s_mov_b32 s11, 0x7000504
	v_cndmask_b32_e64 v2, v2, v3, s[0:1]
	v_or_b32_e32 v3, 0x600, v0
	v_perm_b32 v4, v2, v4, s11
	v_cmp_gt_i32_e64 s[0:1], s8, v3
	v_min_i16_sdwa v7, sext(v12), s2 dst_sel:BYTE_1 dst_unused:UNUSED_PAD src0_sel:BYTE_0 src1_sel:DWORD
	v_min_i16_sdwa v8, sext(v16), s2 dst_sel:BYTE_1 dst_unused:UNUSED_PAD src0_sel:BYTE_0 src1_sel:DWORD
	v_cndmask_b32_e64 v2, v2, v4, s[0:1]
	v_lshrrev_b32_e32 v3, 16, v2
	v_bitop3_b16 v3, v3, v7, s3 bitop3:0xec
	v_or_b32_e32 v4, 0x700, v0
	v_lshlrev_b32_e32 v3, 16, v3
	v_and_or_b32 v3, v2, s6, v3
	v_cmp_gt_i32_e64 s[0:1], s8, v4
	v_min_i16_sdwa v7, sext(v14), s2 dst_sel:BYTE_1 dst_unused:UNUSED_PAD src0_sel:BYTE_0 src1_sel:DWORD
	v_min_i16_sdwa v9, sext(v20), s2 dst_sel:BYTE_1 dst_unused:UNUSED_PAD src0_sel:BYTE_0 src1_sel:DWORD
	v_cndmask_b32_e64 v4, v2, v3, s[0:1]
	v_or_b32_e32 v2, 0x800, v0
	v_min_i16_sdwa v3, sext(v13), s2 dst_sel:DWORD dst_unused:UNUSED_PAD src0_sel:BYTE_0 src1_sel:DWORD
	v_and_b32_sdwa v3, s6, v3 dst_sel:DWORD dst_unused:UNUSED_PAD src0_sel:DWORD src1_sel:BYTE_0
	v_cmp_gt_i32_e64 s[0:1], s8, v2
	s_nop 1
	v_cndmask_b32_e64 v2, 0, v3, s[0:1]
	v_or_b32_e32 v3, 0x900, v0
	v_or_b32_e32 v7, v2, v7
	v_and_b32_e32 v7, 0xffff, v7
	v_cmp_gt_i32_e64 s[0:1], s8, v3
	v_or_b32_e32 v3, 0xa00, v0
	s_nop 0
	v_cndmask_b32_e64 v2, v2, v7, s[0:1]
	v_min_i16_sdwa v7, sext(v15), s2 dst_sel:DWORD dst_unused:UNUSED_PAD src0_sel:BYTE_0 src1_sel:DWORD
	v_perm_b32 v7, v7, v2, s7
	v_lshl_or_b32 v7, v7, 16, v2
	v_cmp_gt_i32_e64 s[0:1], s8, v3
	s_nop 1
	v_cndmask_b32_e64 v2, v2, v7, s[0:1]
	v_lshrrev_b32_e32 v3, 16, v2
	v_bitop3_b16 v3, v3, v8, s3 bitop3:0xec
	v_or_b32_e32 v7, 0xb00, v0
	v_lshlrev_b32_e32 v3, 16, v3
	v_and_or_b32 v3, v2, s6, v3
	v_cmp_gt_i32_e64 s[0:1], s8, v7
	v_or_b32_e32 v7, 0xc00, v0
	v_or_b32_e32 v8, 0xd00, v0
	v_cndmask_b32_e64 v3, v2, v3, s[0:1]
	v_min_i16_sdwa v2, sext(v17), s2 dst_sel:DWORD dst_unused:UNUSED_PAD src0_sel:BYTE_0 src1_sel:DWORD
	v_perm_b32 v2, v2, 0, s9
	v_cmp_gt_i32_e64 s[0:1], s8, v7
	v_min_i16_sdwa v7, sext(v18), s2 dst_sel:BYTE_1 dst_unused:UNUSED_PAD src0_sel:BYTE_0 src1_sel:DWORD
	s_nop 0
	v_cndmask_b32_e64 v2, 0, v2, s[0:1]
	v_bitop3_b16 v7, v2, v7, s3 bitop3:0xec
	v_and_b32_e32 v7, 0xffff, v7
	v_and_or_b32 v7, v2, s10, v7
	v_cmp_gt_i32_e64 s[0:1], s8, v8
	v_min_i16_sdwa v8, sext(v19), s2 dst_sel:DWORD dst_unused:UNUSED_PAD src0_sel:BYTE_0 src1_sel:DWORD
	s_nop 0
	v_cndmask_b32_e64 v2, v2, v7, s[0:1]
	v_or_b32_e32 v7, 0xe00, v0
	v_perm_b32 v8, v2, v8, s11
	v_cmp_gt_i32_e64 s[0:1], s8, v7
	s_nop 1
	v_cndmask_b32_e64 v2, v2, v8, s[0:1]
	v_lshrrev_b32_e32 v7, 16, v2
	v_bitop3_b16 v7, v7, v9, s3 bitop3:0xec
	v_or_b32_e32 v8, 0xf00, v0
	v_lshlrev_b32_e32 v7, 16, v7
	v_and_or_b32 v7, v2, s6, v7
	v_cmp_gt_i32_e64 s[0:1], s8, v8
	s_nop 1
	v_cndmask_b32_e64 v2, v2, v7, s[0:1]
	s_and_saveexec_b64 s[0:1], vcc
	s_cbranch_execnz .LBB426_53
; %bb.36:
	s_or_b64 exec, exec, s[0:1]
	v_cmp_gt_i32_e32 vcc, s8, v0
	s_and_saveexec_b64 s[0:1], vcc
	s_cbranch_execnz .LBB426_54
.LBB426_37:
	s_or_b64 exec, exec, s[0:1]
	v_cmp_gt_i32_e32 vcc, s8, v0
	s_and_saveexec_b64 s[0:1], vcc
	s_cbranch_execnz .LBB426_55
.LBB426_38:
	s_or_b64 exec, exec, s[0:1]
	v_cmp_gt_i32_e32 vcc, s8, v0
	s_and_saveexec_b64 s[0:1], vcc
	s_cbranch_execnz .LBB426_56
.LBB426_39:
	s_or_b64 exec, exec, s[0:1]
	v_cmp_gt_i32_e32 vcc, s8, v0
	s_and_saveexec_b64 s[0:1], vcc
	s_cbranch_execnz .LBB426_57
.LBB426_40:
	s_or_b64 exec, exec, s[0:1]
	v_cmp_gt_i32_e32 vcc, s8, v0
	s_and_saveexec_b64 s[0:1], vcc
	s_cbranch_execnz .LBB426_58
.LBB426_41:
	s_or_b64 exec, exec, s[0:1]
	v_cmp_gt_i32_e32 vcc, s8, v0
	s_and_saveexec_b64 s[0:1], vcc
	s_cbranch_execnz .LBB426_59
.LBB426_42:
	s_or_b64 exec, exec, s[0:1]
	v_cmp_gt_i32_e32 vcc, s8, v0
	s_and_saveexec_b64 s[0:1], vcc
	s_cbranch_execnz .LBB426_60
.LBB426_43:
	s_or_b64 exec, exec, s[0:1]
	v_cmp_gt_i32_e32 vcc, s8, v0
	s_and_saveexec_b64 s[0:1], vcc
	s_cbranch_execnz .LBB426_61
.LBB426_44:
	s_or_b64 exec, exec, s[0:1]
	v_cmp_gt_i32_e32 vcc, s8, v0
	s_and_saveexec_b64 s[0:1], vcc
	s_cbranch_execnz .LBB426_62
.LBB426_45:
	s_or_b64 exec, exec, s[0:1]
	v_cmp_gt_i32_e32 vcc, s8, v0
	s_and_saveexec_b64 s[0:1], vcc
	s_cbranch_execnz .LBB426_63
.LBB426_46:
	s_or_b64 exec, exec, s[0:1]
	v_cmp_gt_i32_e32 vcc, s8, v0
	s_and_saveexec_b64 s[0:1], vcc
	s_cbranch_execnz .LBB426_64
.LBB426_47:
	s_or_b64 exec, exec, s[0:1]
	v_cmp_gt_i32_e32 vcc, s8, v0
	s_and_saveexec_b64 s[0:1], vcc
	s_cbranch_execnz .LBB426_65
.LBB426_48:
	s_or_b64 exec, exec, s[0:1]
	v_cmp_gt_i32_e32 vcc, s8, v0
	s_and_saveexec_b64 s[0:1], vcc
	s_cbranch_execnz .LBB426_66
.LBB426_49:
	s_or_b64 exec, exec, s[0:1]
	v_cmp_gt_i32_e32 vcc, s8, v0
	s_and_saveexec_b64 s[0:1], vcc
	s_cbranch_execnz .LBB426_67
.LBB426_50:
	s_or_b64 exec, exec, s[0:1]
	v_cmp_gt_i32_e32 vcc, s8, v0
	s_and_saveexec_b64 s[0:1], vcc
	s_cbranch_execz .LBB426_52
.LBB426_51:
	v_lshrrev_b32_e32 v1, 24, v2
	v_add_u32_e32 v0, s33, v0
	global_store_byte v0, v1, s[4:5]
.LBB426_52:
	s_endpgm
.LBB426_53:
	v_mov_b32_e32 v0, v1
	global_store_byte v6, v5, s[4:5]
	s_or_b64 exec, exec, s[0:1]
	v_cmp_gt_i32_e32 vcc, s8, v0
	s_and_saveexec_b64 s[0:1], vcc
	s_cbranch_execz .LBB426_37
.LBB426_54:
	v_lshrrev_b32_e32 v1, 8, v5
	v_add_u32_e32 v6, s33, v0
	v_add_u32_e32 v0, 0x100, v0
	global_store_byte v6, v1, s[4:5]
	s_or_b64 exec, exec, s[0:1]
	v_cmp_gt_i32_e32 vcc, s8, v0
	s_and_saveexec_b64 s[0:1], vcc
	s_cbranch_execz .LBB426_38
.LBB426_55:
	v_add_u32_e32 v1, s33, v0
	v_add_u32_e32 v0, 0x100, v0
	global_store_byte_d16_hi v1, v5, s[4:5]
	s_or_b64 exec, exec, s[0:1]
	v_cmp_gt_i32_e32 vcc, s8, v0
	s_and_saveexec_b64 s[0:1], vcc
	s_cbranch_execz .LBB426_39
.LBB426_56:
	v_lshrrev_b32_e32 v1, 24, v5
	v_add_u32_e32 v5, s33, v0
	v_add_u32_e32 v0, 0x100, v0
	global_store_byte v5, v1, s[4:5]
	s_or_b64 exec, exec, s[0:1]
	v_cmp_gt_i32_e32 vcc, s8, v0
	s_and_saveexec_b64 s[0:1], vcc
	s_cbranch_execz .LBB426_40
.LBB426_57:
	v_add_u32_e32 v1, s33, v0
	v_add_u32_e32 v0, 0x100, v0
	global_store_byte v1, v4, s[4:5]
	s_or_b64 exec, exec, s[0:1]
	v_cmp_gt_i32_e32 vcc, s8, v0
	s_and_saveexec_b64 s[0:1], vcc
	s_cbranch_execz .LBB426_41
.LBB426_58:
	v_lshrrev_b32_e32 v1, 8, v4
	v_add_u32_e32 v5, s33, v0
	v_add_u32_e32 v0, 0x100, v0
	global_store_byte v5, v1, s[4:5]
	s_or_b64 exec, exec, s[0:1]
	v_cmp_gt_i32_e32 vcc, s8, v0
	s_and_saveexec_b64 s[0:1], vcc
	s_cbranch_execz .LBB426_42
.LBB426_59:
	v_add_u32_e32 v1, s33, v0
	v_add_u32_e32 v0, 0x100, v0
	global_store_byte_d16_hi v1, v4, s[4:5]
	s_or_b64 exec, exec, s[0:1]
	v_cmp_gt_i32_e32 vcc, s8, v0
	s_and_saveexec_b64 s[0:1], vcc
	s_cbranch_execz .LBB426_43
.LBB426_60:
	v_lshrrev_b32_e32 v1, 24, v4
	v_add_u32_e32 v4, s33, v0
	v_add_u32_e32 v0, 0x100, v0
	global_store_byte v4, v1, s[4:5]
	s_or_b64 exec, exec, s[0:1]
	v_cmp_gt_i32_e32 vcc, s8, v0
	s_and_saveexec_b64 s[0:1], vcc
	s_cbranch_execz .LBB426_44
.LBB426_61:
	v_add_u32_e32 v1, s33, v0
	v_add_u32_e32 v0, 0x100, v0
	global_store_byte v1, v3, s[4:5]
	s_or_b64 exec, exec, s[0:1]
	v_cmp_gt_i32_e32 vcc, s8, v0
	s_and_saveexec_b64 s[0:1], vcc
	s_cbranch_execz .LBB426_45
.LBB426_62:
	v_lshrrev_b32_e32 v1, 8, v3
	v_add_u32_e32 v4, s33, v0
	v_add_u32_e32 v0, 0x100, v0
	global_store_byte v4, v1, s[4:5]
	s_or_b64 exec, exec, s[0:1]
	v_cmp_gt_i32_e32 vcc, s8, v0
	s_and_saveexec_b64 s[0:1], vcc
	s_cbranch_execz .LBB426_46
.LBB426_63:
	v_add_u32_e32 v1, s33, v0
	v_add_u32_e32 v0, 0x100, v0
	global_store_byte_d16_hi v1, v3, s[4:5]
	s_or_b64 exec, exec, s[0:1]
	v_cmp_gt_i32_e32 vcc, s8, v0
	s_and_saveexec_b64 s[0:1], vcc
	s_cbranch_execz .LBB426_47
.LBB426_64:
	v_lshrrev_b32_e32 v1, 24, v3
	v_add_u32_e32 v3, s33, v0
	v_add_u32_e32 v0, 0x100, v0
	global_store_byte v3, v1, s[4:5]
	s_or_b64 exec, exec, s[0:1]
	v_cmp_gt_i32_e32 vcc, s8, v0
	s_and_saveexec_b64 s[0:1], vcc
	s_cbranch_execz .LBB426_48
.LBB426_65:
	v_add_u32_e32 v1, s33, v0
	v_add_u32_e32 v0, 0x100, v0
	global_store_byte v1, v2, s[4:5]
	s_or_b64 exec, exec, s[0:1]
	v_cmp_gt_i32_e32 vcc, s8, v0
	s_and_saveexec_b64 s[0:1], vcc
	s_cbranch_execz .LBB426_49
.LBB426_66:
	v_lshrrev_b32_e32 v1, 8, v2
	v_add_u32_e32 v3, s33, v0
	v_add_u32_e32 v0, 0x100, v0
	global_store_byte v3, v1, s[4:5]
	s_or_b64 exec, exec, s[0:1]
	v_cmp_gt_i32_e32 vcc, s8, v0
	s_and_saveexec_b64 s[0:1], vcc
	s_cbranch_execz .LBB426_50
.LBB426_67:
	v_add_u32_e32 v1, s33, v0
	v_add_u32_e32 v0, 0x100, v0
	global_store_byte_d16_hi v1, v2, s[4:5]
	s_or_b64 exec, exec, s[0:1]
	v_cmp_gt_i32_e32 vcc, s8, v0
	s_and_saveexec_b64 s[0:1], vcc
	s_cbranch_execnz .LBB426_51
	s_branch .LBB426_52
	.section	.rodata,"a",@progbits
	.p2align	6, 0x0
	.amdhsa_kernel _ZN2at6native29vectorized_elementwise_kernelILi16EZZZNS0_21clamp_max_kernel_cudaERNS_18TensorIteratorBaseERKN3c106ScalarEENKUlvE_clEvENKUlvE0_clEvEUlaE_St5arrayIPcLm2EEEEviT0_T1_
		.amdhsa_group_segment_fixed_size 0
		.amdhsa_private_segment_fixed_size 0
		.amdhsa_kernarg_size 24
		.amdhsa_user_sgpr_count 2
		.amdhsa_user_sgpr_dispatch_ptr 0
		.amdhsa_user_sgpr_queue_ptr 0
		.amdhsa_user_sgpr_kernarg_segment_ptr 1
		.amdhsa_user_sgpr_dispatch_id 0
		.amdhsa_user_sgpr_kernarg_preload_length 0
		.amdhsa_user_sgpr_kernarg_preload_offset 0
		.amdhsa_user_sgpr_private_segment_size 0
		.amdhsa_uses_dynamic_stack 0
		.amdhsa_enable_private_segment 0
		.amdhsa_system_sgpr_workgroup_id_x 1
		.amdhsa_system_sgpr_workgroup_id_y 0
		.amdhsa_system_sgpr_workgroup_id_z 0
		.amdhsa_system_sgpr_workgroup_info 0
		.amdhsa_system_vgpr_workitem_id 0
		.amdhsa_next_free_vgpr 21
		.amdhsa_next_free_sgpr 40
		.amdhsa_accum_offset 24
		.amdhsa_reserve_vcc 1
		.amdhsa_float_round_mode_32 0
		.amdhsa_float_round_mode_16_64 0
		.amdhsa_float_denorm_mode_32 3
		.amdhsa_float_denorm_mode_16_64 3
		.amdhsa_dx10_clamp 1
		.amdhsa_ieee_mode 1
		.amdhsa_fp16_overflow 0
		.amdhsa_tg_split 0
		.amdhsa_exception_fp_ieee_invalid_op 0
		.amdhsa_exception_fp_denorm_src 0
		.amdhsa_exception_fp_ieee_div_zero 0
		.amdhsa_exception_fp_ieee_overflow 0
		.amdhsa_exception_fp_ieee_underflow 0
		.amdhsa_exception_fp_ieee_inexact 0
		.amdhsa_exception_int_div_zero 0
	.end_amdhsa_kernel
	.section	.text._ZN2at6native29vectorized_elementwise_kernelILi16EZZZNS0_21clamp_max_kernel_cudaERNS_18TensorIteratorBaseERKN3c106ScalarEENKUlvE_clEvENKUlvE0_clEvEUlaE_St5arrayIPcLm2EEEEviT0_T1_,"axG",@progbits,_ZN2at6native29vectorized_elementwise_kernelILi16EZZZNS0_21clamp_max_kernel_cudaERNS_18TensorIteratorBaseERKN3c106ScalarEENKUlvE_clEvENKUlvE0_clEvEUlaE_St5arrayIPcLm2EEEEviT0_T1_,comdat
.Lfunc_end426:
	.size	_ZN2at6native29vectorized_elementwise_kernelILi16EZZZNS0_21clamp_max_kernel_cudaERNS_18TensorIteratorBaseERKN3c106ScalarEENKUlvE_clEvENKUlvE0_clEvEUlaE_St5arrayIPcLm2EEEEviT0_T1_, .Lfunc_end426-_ZN2at6native29vectorized_elementwise_kernelILi16EZZZNS0_21clamp_max_kernel_cudaERNS_18TensorIteratorBaseERKN3c106ScalarEENKUlvE_clEvENKUlvE0_clEvEUlaE_St5arrayIPcLm2EEEEviT0_T1_
                                        ; -- End function
	.set _ZN2at6native29vectorized_elementwise_kernelILi16EZZZNS0_21clamp_max_kernel_cudaERNS_18TensorIteratorBaseERKN3c106ScalarEENKUlvE_clEvENKUlvE0_clEvEUlaE_St5arrayIPcLm2EEEEviT0_T1_.num_vgpr, 21
	.set _ZN2at6native29vectorized_elementwise_kernelILi16EZZZNS0_21clamp_max_kernel_cudaERNS_18TensorIteratorBaseERKN3c106ScalarEENKUlvE_clEvENKUlvE0_clEvEUlaE_St5arrayIPcLm2EEEEviT0_T1_.num_agpr, 0
	.set _ZN2at6native29vectorized_elementwise_kernelILi16EZZZNS0_21clamp_max_kernel_cudaERNS_18TensorIteratorBaseERKN3c106ScalarEENKUlvE_clEvENKUlvE0_clEvEUlaE_St5arrayIPcLm2EEEEviT0_T1_.numbered_sgpr, 40
	.set _ZN2at6native29vectorized_elementwise_kernelILi16EZZZNS0_21clamp_max_kernel_cudaERNS_18TensorIteratorBaseERKN3c106ScalarEENKUlvE_clEvENKUlvE0_clEvEUlaE_St5arrayIPcLm2EEEEviT0_T1_.num_named_barrier, 0
	.set _ZN2at6native29vectorized_elementwise_kernelILi16EZZZNS0_21clamp_max_kernel_cudaERNS_18TensorIteratorBaseERKN3c106ScalarEENKUlvE_clEvENKUlvE0_clEvEUlaE_St5arrayIPcLm2EEEEviT0_T1_.private_seg_size, 0
	.set _ZN2at6native29vectorized_elementwise_kernelILi16EZZZNS0_21clamp_max_kernel_cudaERNS_18TensorIteratorBaseERKN3c106ScalarEENKUlvE_clEvENKUlvE0_clEvEUlaE_St5arrayIPcLm2EEEEviT0_T1_.uses_vcc, 1
	.set _ZN2at6native29vectorized_elementwise_kernelILi16EZZZNS0_21clamp_max_kernel_cudaERNS_18TensorIteratorBaseERKN3c106ScalarEENKUlvE_clEvENKUlvE0_clEvEUlaE_St5arrayIPcLm2EEEEviT0_T1_.uses_flat_scratch, 0
	.set _ZN2at6native29vectorized_elementwise_kernelILi16EZZZNS0_21clamp_max_kernel_cudaERNS_18TensorIteratorBaseERKN3c106ScalarEENKUlvE_clEvENKUlvE0_clEvEUlaE_St5arrayIPcLm2EEEEviT0_T1_.has_dyn_sized_stack, 0
	.set _ZN2at6native29vectorized_elementwise_kernelILi16EZZZNS0_21clamp_max_kernel_cudaERNS_18TensorIteratorBaseERKN3c106ScalarEENKUlvE_clEvENKUlvE0_clEvEUlaE_St5arrayIPcLm2EEEEviT0_T1_.has_recursion, 0
	.set _ZN2at6native29vectorized_elementwise_kernelILi16EZZZNS0_21clamp_max_kernel_cudaERNS_18TensorIteratorBaseERKN3c106ScalarEENKUlvE_clEvENKUlvE0_clEvEUlaE_St5arrayIPcLm2EEEEviT0_T1_.has_indirect_call, 0
	.section	.AMDGPU.csdata,"",@progbits
; Kernel info:
; codeLenInByte = 3144
; TotalNumSgprs: 46
; NumVgprs: 21
; NumAgprs: 0
; TotalNumVgprs: 21
; ScratchSize: 0
; MemoryBound: 0
; FloatMode: 240
; IeeeMode: 1
; LDSByteSize: 0 bytes/workgroup (compile time only)
; SGPRBlocks: 5
; VGPRBlocks: 2
; NumSGPRsForWavesPerEU: 46
; NumVGPRsForWavesPerEU: 21
; AccumOffset: 24
; Occupancy: 8
; WaveLimiterHint : 0
; COMPUTE_PGM_RSRC2:SCRATCH_EN: 0
; COMPUTE_PGM_RSRC2:USER_SGPR: 2
; COMPUTE_PGM_RSRC2:TRAP_HANDLER: 0
; COMPUTE_PGM_RSRC2:TGID_X_EN: 1
; COMPUTE_PGM_RSRC2:TGID_Y_EN: 0
; COMPUTE_PGM_RSRC2:TGID_Z_EN: 0
; COMPUTE_PGM_RSRC2:TIDIG_COMP_CNT: 0
; COMPUTE_PGM_RSRC3_GFX90A:ACCUM_OFFSET: 5
; COMPUTE_PGM_RSRC3_GFX90A:TG_SPLIT: 0
	.section	.text._ZN2at6native29vectorized_elementwise_kernelILi8EZZZNS0_21clamp_max_kernel_cudaERNS_18TensorIteratorBaseERKN3c106ScalarEENKUlvE_clEvENKUlvE0_clEvEUlaE_St5arrayIPcLm2EEEEviT0_T1_,"axG",@progbits,_ZN2at6native29vectorized_elementwise_kernelILi8EZZZNS0_21clamp_max_kernel_cudaERNS_18TensorIteratorBaseERKN3c106ScalarEENKUlvE_clEvENKUlvE0_clEvEUlaE_St5arrayIPcLm2EEEEviT0_T1_,comdat
	.globl	_ZN2at6native29vectorized_elementwise_kernelILi8EZZZNS0_21clamp_max_kernel_cudaERNS_18TensorIteratorBaseERKN3c106ScalarEENKUlvE_clEvENKUlvE0_clEvEUlaE_St5arrayIPcLm2EEEEviT0_T1_ ; -- Begin function _ZN2at6native29vectorized_elementwise_kernelILi8EZZZNS0_21clamp_max_kernel_cudaERNS_18TensorIteratorBaseERKN3c106ScalarEENKUlvE_clEvENKUlvE0_clEvEUlaE_St5arrayIPcLm2EEEEviT0_T1_
	.p2align	8
	.type	_ZN2at6native29vectorized_elementwise_kernelILi8EZZZNS0_21clamp_max_kernel_cudaERNS_18TensorIteratorBaseERKN3c106ScalarEENKUlvE_clEvENKUlvE0_clEvEUlaE_St5arrayIPcLm2EEEEviT0_T1_,@function
_ZN2at6native29vectorized_elementwise_kernelILi8EZZZNS0_21clamp_max_kernel_cudaERNS_18TensorIteratorBaseERKN3c106ScalarEENKUlvE_clEvENKUlvE0_clEvEUlaE_St5arrayIPcLm2EEEEviT0_T1_: ; @_ZN2at6native29vectorized_elementwise_kernelILi8EZZZNS0_21clamp_max_kernel_cudaERNS_18TensorIteratorBaseERKN3c106ScalarEENKUlvE_clEvENKUlvE0_clEvEUlaE_St5arrayIPcLm2EEEEviT0_T1_
; %bb.0:
	s_load_dwordx2 s[8:9], s[0:1], 0x0
	s_load_dwordx4 s[4:7], s[0:1], 0x8
	s_lshl_b32 s33, s2, 12
	s_mov_b64 s[0:1], -1
	s_waitcnt lgkmcnt(0)
	s_sub_i32 s8, s8, s33
	s_cmpk_gt_i32 s8, 0xfff
	s_cbranch_scc0 .LBB427_2
; %bb.1:
	s_ashr_i32 s2, s33, 31
	s_add_u32 s0, s6, s33
	s_addc_u32 s1, s7, s2
	v_lshlrev_b32_e32 v1, 3, v0
	global_load_dwordx2 v[2:3], v1, s[0:1]
	global_load_dwordx2 v[4:5], v1, s[0:1] offset:2048
	s_bfe_i32 s10, s9, 0x80000
	s_movk_i32 s3, 0xff
	s_add_u32 s0, s4, s33
	s_addc_u32 s1, s5, s2
	s_waitcnt vmcnt(1)
	v_lshrrev_b32_e32 v7, 16, v2
	v_lshrrev_b32_e32 v8, 24, v2
	v_min_i16_sdwa v9, sext(v3), s10 dst_sel:DWORD dst_unused:UNUSED_PAD src0_sel:BYTE_0 src1_sel:DWORD
	v_lshrrev_b32_e32 v10, 8, v3
	v_lshrrev_b32_e32 v11, 16, v3
	;; [unrolled: 1-line block ×3, first 2 shown]
	v_min_i16_sdwa v6, sext(v2), s10 dst_sel:DWORD dst_unused:UNUSED_PAD src0_sel:BYTE_0 src1_sel:DWORD
	v_lshrrev_b32_e32 v2, 8, v2
	s_waitcnt vmcnt(0)
	v_min_i16_sdwa v12, sext(v4), s10 dst_sel:DWORD dst_unused:UNUSED_PAD src0_sel:BYTE_0 src1_sel:DWORD
	v_lshrrev_b32_e32 v13, 8, v4
	v_lshrrev_b32_e32 v14, 16, v4
	;; [unrolled: 1-line block ×3, first 2 shown]
	v_min_i16_sdwa v15, sext(v5), s10 dst_sel:DWORD dst_unused:UNUSED_PAD src0_sel:BYTE_0 src1_sel:DWORD
	v_lshrrev_b32_e32 v16, 8, v5
	v_lshrrev_b32_e32 v17, 16, v5
	;; [unrolled: 1-line block ×3, first 2 shown]
	v_min_i16_sdwa v7, sext(v7), s10 dst_sel:DWORD dst_unused:UNUSED_PAD src0_sel:BYTE_0 src1_sel:DWORD
	v_min_i16_sdwa v8, sext(v8), s10 dst_sel:BYTE_1 dst_unused:UNUSED_PAD src0_sel:BYTE_0 src1_sel:DWORD
	v_min_i16_sdwa v11, sext(v11), s10 dst_sel:DWORD dst_unused:UNUSED_PAD src0_sel:BYTE_0 src1_sel:DWORD
	v_min_i16_sdwa v3, sext(v3), s10 dst_sel:BYTE_1 dst_unused:UNUSED_PAD src0_sel:BYTE_0 src1_sel:DWORD
	v_min_i16_sdwa v2, sext(v2), s10 dst_sel:BYTE_1 dst_unused:UNUSED_PAD src0_sel:BYTE_0 src1_sel:DWORD
	;; [unrolled: 1-line block ×3, first 2 shown]
	v_min_i16_sdwa v14, sext(v14), s10 dst_sel:DWORD dst_unused:UNUSED_PAD src0_sel:BYTE_0 src1_sel:DWORD
	v_min_i16_sdwa v4, sext(v4), s10 dst_sel:BYTE_1 dst_unused:UNUSED_PAD src0_sel:BYTE_0 src1_sel:DWORD
	v_min_i16_sdwa v17, sext(v17), s10 dst_sel:DWORD dst_unused:UNUSED_PAD src0_sel:BYTE_0 src1_sel:DWORD
	v_min_i16_sdwa v5, sext(v5), s10 dst_sel:BYTE_1 dst_unused:UNUSED_PAD src0_sel:BYTE_0 src1_sel:DWORD
	v_bitop3_b16 v7, v7, v8, s3 bitop3:0xec
	v_bitop3_b16 v3, v11, v3, s3 bitop3:0xec
	v_min_i16_sdwa v13, sext(v13), s10 dst_sel:BYTE_1 dst_unused:UNUSED_PAD src0_sel:BYTE_0 src1_sel:DWORD
	v_min_i16_sdwa v16, sext(v16), s10 dst_sel:BYTE_1 dst_unused:UNUSED_PAD src0_sel:BYTE_0 src1_sel:DWORD
	v_bitop3_b16 v2, v6, v2, s3 bitop3:0xec
	v_bitop3_b16 v6, v9, v10, s3 bitop3:0xec
	v_bitop3_b16 v4, v14, v4, s3 bitop3:0xec
	v_bitop3_b16 v5, v17, v5, s3 bitop3:0xec
	v_lshlrev_b32_e32 v7, 16, v7
	v_lshlrev_b32_e32 v3, 16, v3
	v_bitop3_b16 v8, v12, v13, s3 bitop3:0xec
	v_bitop3_b16 v9, v15, v16, s3 bitop3:0xec
	v_lshlrev_b32_e32 v4, 16, v4
	v_lshlrev_b32_e32 v5, 16, v5
	v_or_b32_sdwa v2, v2, v7 dst_sel:DWORD dst_unused:UNUSED_PAD src0_sel:WORD_0 src1_sel:DWORD
	v_or_b32_sdwa v3, v6, v3 dst_sel:DWORD dst_unused:UNUSED_PAD src0_sel:WORD_0 src1_sel:DWORD
	;; [unrolled: 1-line block ×4, first 2 shown]
	global_store_dwordx2 v1, v[2:3], s[0:1]
	global_store_dwordx2 v1, v[4:5], s[0:1] offset:2048
	s_mov_b64 s[0:1], 0
.LBB427_2:
	s_andn2_b64 vcc, exec, s[0:1]
	s_cbranch_vccnz .LBB427_52
; %bb.3:
	v_cmp_gt_i32_e32 vcc, s8, v0
	v_or_b32_e32 v1, 0x100, v0
	v_mov_b32_e32 v20, 0
	v_or_b32_e32 v6, s33, v0
	v_mov_b32_e32 v19, 0
	v_mov_b32_e32 v18, 0
	;; [unrolled: 1-line block ×15, first 2 shown]
	s_and_saveexec_b64 s[2:3], vcc
	s_cbranch_execz .LBB427_35
; %bb.4:
	global_load_ubyte v8, v6, s[6:7]
	v_cmp_gt_u32_e64 s[0:1], s8, v1
	v_mov_b32_e32 v7, 0
	v_mov_b32_e32 v3, 0
	;; [unrolled: 1-line block ×15, first 2 shown]
	s_and_saveexec_b64 s[10:11], s[0:1]
	s_cbranch_execz .LBB427_34
; %bb.5:
	v_add_u32_e32 v2, s33, v0
	global_load_ubyte v7, v2, s[6:7] offset:256
	v_or_b32_e32 v4, 0x200, v0
	v_mov_b32_e32 v3, 0
	v_cmp_gt_u32_e64 s[0:1], s8, v4
	v_mov_b32_e32 v4, 0
	v_mov_b32_e32 v9, 0
	;; [unrolled: 1-line block ×13, first 2 shown]
	s_and_saveexec_b64 s[12:13], s[0:1]
	s_cbranch_execz .LBB427_33
; %bb.6:
	v_lshl_add_u64 v[4:5], s[6:7], 0, v[2:3]
	global_load_ubyte v2, v[4:5], off offset:512
	v_or_b32_e32 v9, 0x300, v0
	v_cmp_gt_u32_e64 s[0:1], s8, v9
	v_mov_b32_e32 v9, 0
	v_mov_b32_e32 v10, 0
	;; [unrolled: 1-line block ×12, first 2 shown]
	s_and_saveexec_b64 s[6:7], s[0:1]
	s_cbranch_execz .LBB427_32
; %bb.7:
	global_load_ubyte v3, v[4:5], off offset:768
	v_or_b32_e32 v9, 0x400, v0
	v_cmp_gt_u32_e64 s[0:1], s8, v9
	v_mov_b32_e32 v9, 0
	v_mov_b32_e32 v10, 0
	;; [unrolled: 1-line block ×12, first 2 shown]
	s_and_saveexec_b64 s[14:15], s[0:1]
	s_cbranch_execz .LBB427_31
; %bb.8:
	global_load_ubyte v9, v[4:5], off offset:1024
	v_or_b32_e32 v10, 0x500, v0
	v_cmp_gt_u32_e64 s[0:1], s8, v10
	v_mov_b32_e32 v10, 0
	v_mov_b32_e32 v11, 0
	;; [unrolled: 1-line block ×11, first 2 shown]
	s_and_saveexec_b64 s[16:17], s[0:1]
	s_cbranch_execz .LBB427_30
; %bb.9:
	global_load_ubyte v10, v[4:5], off offset:1280
	v_or_b32_e32 v11, 0x600, v0
	v_cmp_gt_u32_e64 s[0:1], s8, v11
	v_mov_b32_e32 v11, 0
	v_mov_b32_e32 v12, 0
	;; [unrolled: 1-line block ×10, first 2 shown]
	s_and_saveexec_b64 s[18:19], s[0:1]
	s_cbranch_execz .LBB427_29
; %bb.10:
	global_load_ubyte v11, v[4:5], off offset:1536
	v_or_b32_e32 v12, 0x700, v0
	v_cmp_gt_u32_e64 s[0:1], s8, v12
	v_mov_b32_e32 v12, 0
	v_mov_b32_e32 v13, 0
	;; [unrolled: 1-line block ×9, first 2 shown]
	s_and_saveexec_b64 s[20:21], s[0:1]
	s_cbranch_execz .LBB427_28
; %bb.11:
	global_load_ubyte v12, v[4:5], off offset:1792
	v_or_b32_e32 v13, 0x800, v0
	v_cmp_gt_u32_e64 s[0:1], s8, v13
	v_mov_b32_e32 v13, 0
	v_mov_b32_e32 v14, 0
	;; [unrolled: 1-line block ×8, first 2 shown]
	s_and_saveexec_b64 s[22:23], s[0:1]
	s_cbranch_execz .LBB427_27
; %bb.12:
	global_load_ubyte v13, v[4:5], off offset:2048
	v_or_b32_e32 v14, 0x900, v0
	v_cmp_gt_u32_e64 s[0:1], s8, v14
	v_mov_b32_e32 v14, 0
	v_mov_b32_e32 v15, 0
	;; [unrolled: 1-line block ×7, first 2 shown]
	s_and_saveexec_b64 s[24:25], s[0:1]
	s_cbranch_execz .LBB427_26
; %bb.13:
	global_load_ubyte v14, v[4:5], off offset:2304
	v_or_b32_e32 v15, 0xa00, v0
	v_cmp_gt_u32_e64 s[0:1], s8, v15
	v_mov_b32_e32 v15, 0
	v_mov_b32_e32 v16, 0
	v_mov_b32_e32 v17, 0
	v_mov_b32_e32 v18, 0
	v_mov_b32_e32 v19, 0
	v_mov_b32_e32 v20, 0
	s_and_saveexec_b64 s[26:27], s[0:1]
	s_cbranch_execz .LBB427_25
; %bb.14:
	global_load_ubyte v15, v[4:5], off offset:2560
	v_or_b32_e32 v16, 0xb00, v0
	v_cmp_gt_u32_e64 s[0:1], s8, v16
	v_mov_b32_e32 v16, 0
	v_mov_b32_e32 v17, 0
	;; [unrolled: 1-line block ×5, first 2 shown]
	s_and_saveexec_b64 s[28:29], s[0:1]
	s_cbranch_execz .LBB427_24
; %bb.15:
	global_load_ubyte v16, v[4:5], off offset:2816
	v_or_b32_e32 v17, 0xc00, v0
	v_cmp_gt_u32_e64 s[0:1], s8, v17
	v_mov_b32_e32 v17, 0
	v_mov_b32_e32 v18, 0
	;; [unrolled: 1-line block ×4, first 2 shown]
	s_and_saveexec_b64 s[30:31], s[0:1]
	s_cbranch_execz .LBB427_23
; %bb.16:
	global_load_ubyte v17, v[4:5], off offset:3072
	v_or_b32_e32 v18, 0xd00, v0
	v_cmp_gt_u32_e64 s[0:1], s8, v18
	v_mov_b32_e32 v18, 0
	v_mov_b32_e32 v19, 0
	;; [unrolled: 1-line block ×3, first 2 shown]
	s_and_saveexec_b64 s[34:35], s[0:1]
	s_cbranch_execz .LBB427_22
; %bb.17:
	global_load_ubyte v18, v[4:5], off offset:3328
	v_or_b32_e32 v19, 0xe00, v0
	v_cmp_gt_u32_e64 s[0:1], s8, v19
	v_mov_b32_e32 v19, 0
	v_mov_b32_e32 v20, 0
	s_and_saveexec_b64 s[36:37], s[0:1]
	s_cbranch_execz .LBB427_21
; %bb.18:
	global_load_ubyte v19, v[4:5], off offset:3584
	v_or_b32_e32 v20, 0xf00, v0
	v_cmp_gt_u32_e64 s[0:1], s8, v20
	v_mov_b32_e32 v20, 0
	s_and_saveexec_b64 s[38:39], s[0:1]
	s_cbranch_execz .LBB427_20
; %bb.19:
	global_load_ubyte v20, v[4:5], off offset:3840
.LBB427_20:
	s_or_b64 exec, exec, s[38:39]
.LBB427_21:
	s_or_b64 exec, exec, s[36:37]
.LBB427_22:
	s_or_b64 exec, exec, s[34:35]
.LBB427_23:
	s_or_b64 exec, exec, s[30:31]
.LBB427_24:
	s_or_b64 exec, exec, s[28:29]
.LBB427_25:
	s_or_b64 exec, exec, s[26:27]
.LBB427_26:
	s_or_b64 exec, exec, s[24:25]
.LBB427_27:
	s_or_b64 exec, exec, s[22:23]
.LBB427_28:
	s_or_b64 exec, exec, s[20:21]
.LBB427_29:
	s_or_b64 exec, exec, s[18:19]
.LBB427_30:
	s_or_b64 exec, exec, s[16:17]
.LBB427_31:
	s_or_b64 exec, exec, s[14:15]
.LBB427_32:
	s_or_b64 exec, exec, s[6:7]
	s_waitcnt vmcnt(0)
	v_mov_b32_e32 v4, v3
	v_mov_b32_e32 v3, v2
.LBB427_33:
	s_or_b64 exec, exec, s[12:13]
.LBB427_34:
	s_or_b64 exec, exec, s[10:11]
.LBB427_35:
	s_or_b64 exec, exec, s[2:3]
	s_bfe_i32 s2, s9, 0x80000
	s_waitcnt vmcnt(0)
	v_min_i16_sdwa v2, sext(v8), s2 dst_sel:DWORD dst_unused:UNUSED_PAD src0_sel:BYTE_0 src1_sel:DWORD
	s_mov_b32 s6, 0xffff
	v_and_b32_sdwa v2, s6, v2 dst_sel:DWORD dst_unused:UNUSED_PAD src0_sel:DWORD src1_sel:BYTE_0
	v_cndmask_b32_e32 v2, 0, v2, vcc
	v_min_i16_sdwa v5, sext(v7), s2 dst_sel:BYTE_1 dst_unused:UNUSED_PAD src0_sel:BYTE_0 src1_sel:DWORD
	v_cmp_gt_i32_e64 s[0:1], s8, v1
	v_or_b32_e32 v5, v2, v5
	v_and_b32_e32 v5, 0xffff, v5
	v_cndmask_b32_e64 v2, v2, v5, s[0:1]
	v_min_i16_sdwa v3, sext(v3), s2 dst_sel:DWORD dst_unused:UNUSED_PAD src0_sel:BYTE_0 src1_sel:DWORD
	s_mov_b32 s7, 0xc0c0304
	v_or_b32_e32 v5, 0x200, v0
	v_perm_b32 v3, v3, v2, s7
	v_lshl_or_b32 v3, v3, 16, v2
	v_cmp_gt_i32_e64 s[0:1], s8, v5
	s_movk_i32 s3, 0xff
	v_min_i16_sdwa v4, sext(v4), s2 dst_sel:BYTE_1 dst_unused:UNUSED_PAD src0_sel:BYTE_0 src1_sel:DWORD
	v_cndmask_b32_e64 v2, v2, v3, s[0:1]
	v_lshrrev_b32_e32 v3, 16, v2
	v_bitop3_b16 v3, v3, v4, s3 bitop3:0xec
	v_or_b32_e32 v5, 0x300, v0
	v_lshlrev_b32_e32 v3, 16, v3
	v_and_or_b32 v3, v2, s6, v3
	v_cmp_gt_i32_e64 s[0:1], s8, v5
	s_mov_b32 s9, 0x3020104
	s_mov_b32 s10, 0xffff0000
	v_cndmask_b32_e64 v5, v2, v3, s[0:1]
	v_min_i16_sdwa v2, sext(v9), s2 dst_sel:DWORD dst_unused:UNUSED_PAD src0_sel:BYTE_0 src1_sel:DWORD
	v_or_b32_e32 v3, 0x400, v0
	v_perm_b32 v2, v2, 0, s9
	v_cmp_gt_i32_e64 s[0:1], s8, v3
	v_min_i16_sdwa v3, sext(v10), s2 dst_sel:BYTE_1 dst_unused:UNUSED_PAD src0_sel:BYTE_0 src1_sel:DWORD
	v_or_b32_e32 v4, 0x500, v0
	v_cndmask_b32_e64 v2, 0, v2, s[0:1]
	v_bitop3_b16 v3, v2, v3, s3 bitop3:0xec
	v_and_b32_e32 v3, 0xffff, v3
	v_and_or_b32 v3, v2, s10, v3
	v_cmp_gt_i32_e64 s[0:1], s8, v4
	v_min_i16_sdwa v4, sext(v11), s2 dst_sel:DWORD dst_unused:UNUSED_PAD src0_sel:BYTE_0 src1_sel:DWORD
	s_mov_b32 s11, 0x7000504
	v_cndmask_b32_e64 v2, v2, v3, s[0:1]
	v_or_b32_e32 v3, 0x600, v0
	v_perm_b32 v4, v2, v4, s11
	v_cmp_gt_i32_e64 s[0:1], s8, v3
	v_min_i16_sdwa v7, sext(v12), s2 dst_sel:BYTE_1 dst_unused:UNUSED_PAD src0_sel:BYTE_0 src1_sel:DWORD
	v_min_i16_sdwa v8, sext(v16), s2 dst_sel:BYTE_1 dst_unused:UNUSED_PAD src0_sel:BYTE_0 src1_sel:DWORD
	v_cndmask_b32_e64 v2, v2, v4, s[0:1]
	v_lshrrev_b32_e32 v3, 16, v2
	v_bitop3_b16 v3, v3, v7, s3 bitop3:0xec
	v_or_b32_e32 v4, 0x700, v0
	v_lshlrev_b32_e32 v3, 16, v3
	v_and_or_b32 v3, v2, s6, v3
	v_cmp_gt_i32_e64 s[0:1], s8, v4
	v_min_i16_sdwa v7, sext(v14), s2 dst_sel:BYTE_1 dst_unused:UNUSED_PAD src0_sel:BYTE_0 src1_sel:DWORD
	v_min_i16_sdwa v9, sext(v20), s2 dst_sel:BYTE_1 dst_unused:UNUSED_PAD src0_sel:BYTE_0 src1_sel:DWORD
	v_cndmask_b32_e64 v4, v2, v3, s[0:1]
	v_or_b32_e32 v2, 0x800, v0
	v_min_i16_sdwa v3, sext(v13), s2 dst_sel:DWORD dst_unused:UNUSED_PAD src0_sel:BYTE_0 src1_sel:DWORD
	v_and_b32_sdwa v3, s6, v3 dst_sel:DWORD dst_unused:UNUSED_PAD src0_sel:DWORD src1_sel:BYTE_0
	v_cmp_gt_i32_e64 s[0:1], s8, v2
	s_nop 1
	v_cndmask_b32_e64 v2, 0, v3, s[0:1]
	v_or_b32_e32 v3, 0x900, v0
	v_or_b32_e32 v7, v2, v7
	v_and_b32_e32 v7, 0xffff, v7
	v_cmp_gt_i32_e64 s[0:1], s8, v3
	v_or_b32_e32 v3, 0xa00, v0
	s_nop 0
	v_cndmask_b32_e64 v2, v2, v7, s[0:1]
	v_min_i16_sdwa v7, sext(v15), s2 dst_sel:DWORD dst_unused:UNUSED_PAD src0_sel:BYTE_0 src1_sel:DWORD
	v_perm_b32 v7, v7, v2, s7
	v_lshl_or_b32 v7, v7, 16, v2
	v_cmp_gt_i32_e64 s[0:1], s8, v3
	s_nop 1
	v_cndmask_b32_e64 v2, v2, v7, s[0:1]
	v_lshrrev_b32_e32 v3, 16, v2
	v_bitop3_b16 v3, v3, v8, s3 bitop3:0xec
	v_or_b32_e32 v7, 0xb00, v0
	v_lshlrev_b32_e32 v3, 16, v3
	v_and_or_b32 v3, v2, s6, v3
	v_cmp_gt_i32_e64 s[0:1], s8, v7
	v_or_b32_e32 v7, 0xc00, v0
	v_or_b32_e32 v8, 0xd00, v0
	v_cndmask_b32_e64 v3, v2, v3, s[0:1]
	v_min_i16_sdwa v2, sext(v17), s2 dst_sel:DWORD dst_unused:UNUSED_PAD src0_sel:BYTE_0 src1_sel:DWORD
	v_perm_b32 v2, v2, 0, s9
	v_cmp_gt_i32_e64 s[0:1], s8, v7
	v_min_i16_sdwa v7, sext(v18), s2 dst_sel:BYTE_1 dst_unused:UNUSED_PAD src0_sel:BYTE_0 src1_sel:DWORD
	s_nop 0
	v_cndmask_b32_e64 v2, 0, v2, s[0:1]
	v_bitop3_b16 v7, v2, v7, s3 bitop3:0xec
	v_and_b32_e32 v7, 0xffff, v7
	v_and_or_b32 v7, v2, s10, v7
	v_cmp_gt_i32_e64 s[0:1], s8, v8
	v_min_i16_sdwa v8, sext(v19), s2 dst_sel:DWORD dst_unused:UNUSED_PAD src0_sel:BYTE_0 src1_sel:DWORD
	s_nop 0
	v_cndmask_b32_e64 v2, v2, v7, s[0:1]
	v_or_b32_e32 v7, 0xe00, v0
	v_perm_b32 v8, v2, v8, s11
	v_cmp_gt_i32_e64 s[0:1], s8, v7
	s_nop 1
	v_cndmask_b32_e64 v2, v2, v8, s[0:1]
	v_lshrrev_b32_e32 v7, 16, v2
	v_bitop3_b16 v7, v7, v9, s3 bitop3:0xec
	v_or_b32_e32 v8, 0xf00, v0
	v_lshlrev_b32_e32 v7, 16, v7
	v_and_or_b32 v7, v2, s6, v7
	v_cmp_gt_i32_e64 s[0:1], s8, v8
	s_nop 1
	v_cndmask_b32_e64 v2, v2, v7, s[0:1]
	s_and_saveexec_b64 s[0:1], vcc
	s_cbranch_execnz .LBB427_53
; %bb.36:
	s_or_b64 exec, exec, s[0:1]
	v_cmp_gt_i32_e32 vcc, s8, v0
	s_and_saveexec_b64 s[0:1], vcc
	s_cbranch_execnz .LBB427_54
.LBB427_37:
	s_or_b64 exec, exec, s[0:1]
	v_cmp_gt_i32_e32 vcc, s8, v0
	s_and_saveexec_b64 s[0:1], vcc
	s_cbranch_execnz .LBB427_55
.LBB427_38:
	s_or_b64 exec, exec, s[0:1]
	v_cmp_gt_i32_e32 vcc, s8, v0
	s_and_saveexec_b64 s[0:1], vcc
	s_cbranch_execnz .LBB427_56
.LBB427_39:
	s_or_b64 exec, exec, s[0:1]
	v_cmp_gt_i32_e32 vcc, s8, v0
	s_and_saveexec_b64 s[0:1], vcc
	s_cbranch_execnz .LBB427_57
.LBB427_40:
	s_or_b64 exec, exec, s[0:1]
	v_cmp_gt_i32_e32 vcc, s8, v0
	s_and_saveexec_b64 s[0:1], vcc
	s_cbranch_execnz .LBB427_58
.LBB427_41:
	s_or_b64 exec, exec, s[0:1]
	v_cmp_gt_i32_e32 vcc, s8, v0
	s_and_saveexec_b64 s[0:1], vcc
	s_cbranch_execnz .LBB427_59
.LBB427_42:
	s_or_b64 exec, exec, s[0:1]
	v_cmp_gt_i32_e32 vcc, s8, v0
	s_and_saveexec_b64 s[0:1], vcc
	s_cbranch_execnz .LBB427_60
.LBB427_43:
	s_or_b64 exec, exec, s[0:1]
	v_cmp_gt_i32_e32 vcc, s8, v0
	s_and_saveexec_b64 s[0:1], vcc
	s_cbranch_execnz .LBB427_61
.LBB427_44:
	s_or_b64 exec, exec, s[0:1]
	v_cmp_gt_i32_e32 vcc, s8, v0
	s_and_saveexec_b64 s[0:1], vcc
	s_cbranch_execnz .LBB427_62
.LBB427_45:
	s_or_b64 exec, exec, s[0:1]
	v_cmp_gt_i32_e32 vcc, s8, v0
	s_and_saveexec_b64 s[0:1], vcc
	s_cbranch_execnz .LBB427_63
.LBB427_46:
	s_or_b64 exec, exec, s[0:1]
	v_cmp_gt_i32_e32 vcc, s8, v0
	s_and_saveexec_b64 s[0:1], vcc
	s_cbranch_execnz .LBB427_64
.LBB427_47:
	s_or_b64 exec, exec, s[0:1]
	v_cmp_gt_i32_e32 vcc, s8, v0
	s_and_saveexec_b64 s[0:1], vcc
	s_cbranch_execnz .LBB427_65
.LBB427_48:
	s_or_b64 exec, exec, s[0:1]
	v_cmp_gt_i32_e32 vcc, s8, v0
	s_and_saveexec_b64 s[0:1], vcc
	s_cbranch_execnz .LBB427_66
.LBB427_49:
	s_or_b64 exec, exec, s[0:1]
	v_cmp_gt_i32_e32 vcc, s8, v0
	s_and_saveexec_b64 s[0:1], vcc
	s_cbranch_execnz .LBB427_67
.LBB427_50:
	s_or_b64 exec, exec, s[0:1]
	v_cmp_gt_i32_e32 vcc, s8, v0
	s_and_saveexec_b64 s[0:1], vcc
	s_cbranch_execz .LBB427_52
.LBB427_51:
	v_lshrrev_b32_e32 v1, 24, v2
	v_add_u32_e32 v0, s33, v0
	global_store_byte v0, v1, s[4:5]
.LBB427_52:
	s_endpgm
.LBB427_53:
	v_mov_b32_e32 v0, v1
	global_store_byte v6, v5, s[4:5]
	s_or_b64 exec, exec, s[0:1]
	v_cmp_gt_i32_e32 vcc, s8, v0
	s_and_saveexec_b64 s[0:1], vcc
	s_cbranch_execz .LBB427_37
.LBB427_54:
	v_lshrrev_b32_e32 v1, 8, v5
	v_add_u32_e32 v6, s33, v0
	v_add_u32_e32 v0, 0x100, v0
	global_store_byte v6, v1, s[4:5]
	s_or_b64 exec, exec, s[0:1]
	v_cmp_gt_i32_e32 vcc, s8, v0
	s_and_saveexec_b64 s[0:1], vcc
	s_cbranch_execz .LBB427_38
.LBB427_55:
	v_add_u32_e32 v1, s33, v0
	v_add_u32_e32 v0, 0x100, v0
	global_store_byte_d16_hi v1, v5, s[4:5]
	s_or_b64 exec, exec, s[0:1]
	v_cmp_gt_i32_e32 vcc, s8, v0
	s_and_saveexec_b64 s[0:1], vcc
	s_cbranch_execz .LBB427_39
.LBB427_56:
	v_lshrrev_b32_e32 v1, 24, v5
	v_add_u32_e32 v5, s33, v0
	v_add_u32_e32 v0, 0x100, v0
	global_store_byte v5, v1, s[4:5]
	s_or_b64 exec, exec, s[0:1]
	v_cmp_gt_i32_e32 vcc, s8, v0
	s_and_saveexec_b64 s[0:1], vcc
	s_cbranch_execz .LBB427_40
.LBB427_57:
	v_add_u32_e32 v1, s33, v0
	v_add_u32_e32 v0, 0x100, v0
	global_store_byte v1, v4, s[4:5]
	s_or_b64 exec, exec, s[0:1]
	v_cmp_gt_i32_e32 vcc, s8, v0
	s_and_saveexec_b64 s[0:1], vcc
	s_cbranch_execz .LBB427_41
.LBB427_58:
	v_lshrrev_b32_e32 v1, 8, v4
	v_add_u32_e32 v5, s33, v0
	v_add_u32_e32 v0, 0x100, v0
	global_store_byte v5, v1, s[4:5]
	s_or_b64 exec, exec, s[0:1]
	v_cmp_gt_i32_e32 vcc, s8, v0
	s_and_saveexec_b64 s[0:1], vcc
	s_cbranch_execz .LBB427_42
.LBB427_59:
	v_add_u32_e32 v1, s33, v0
	v_add_u32_e32 v0, 0x100, v0
	global_store_byte_d16_hi v1, v4, s[4:5]
	s_or_b64 exec, exec, s[0:1]
	v_cmp_gt_i32_e32 vcc, s8, v0
	s_and_saveexec_b64 s[0:1], vcc
	s_cbranch_execz .LBB427_43
.LBB427_60:
	v_lshrrev_b32_e32 v1, 24, v4
	v_add_u32_e32 v4, s33, v0
	v_add_u32_e32 v0, 0x100, v0
	global_store_byte v4, v1, s[4:5]
	s_or_b64 exec, exec, s[0:1]
	v_cmp_gt_i32_e32 vcc, s8, v0
	s_and_saveexec_b64 s[0:1], vcc
	s_cbranch_execz .LBB427_44
.LBB427_61:
	v_add_u32_e32 v1, s33, v0
	v_add_u32_e32 v0, 0x100, v0
	global_store_byte v1, v3, s[4:5]
	s_or_b64 exec, exec, s[0:1]
	v_cmp_gt_i32_e32 vcc, s8, v0
	s_and_saveexec_b64 s[0:1], vcc
	s_cbranch_execz .LBB427_45
.LBB427_62:
	v_lshrrev_b32_e32 v1, 8, v3
	v_add_u32_e32 v4, s33, v0
	v_add_u32_e32 v0, 0x100, v0
	global_store_byte v4, v1, s[4:5]
	s_or_b64 exec, exec, s[0:1]
	v_cmp_gt_i32_e32 vcc, s8, v0
	s_and_saveexec_b64 s[0:1], vcc
	s_cbranch_execz .LBB427_46
.LBB427_63:
	v_add_u32_e32 v1, s33, v0
	v_add_u32_e32 v0, 0x100, v0
	global_store_byte_d16_hi v1, v3, s[4:5]
	s_or_b64 exec, exec, s[0:1]
	v_cmp_gt_i32_e32 vcc, s8, v0
	s_and_saveexec_b64 s[0:1], vcc
	s_cbranch_execz .LBB427_47
.LBB427_64:
	v_lshrrev_b32_e32 v1, 24, v3
	v_add_u32_e32 v3, s33, v0
	v_add_u32_e32 v0, 0x100, v0
	global_store_byte v3, v1, s[4:5]
	s_or_b64 exec, exec, s[0:1]
	v_cmp_gt_i32_e32 vcc, s8, v0
	s_and_saveexec_b64 s[0:1], vcc
	s_cbranch_execz .LBB427_48
.LBB427_65:
	v_add_u32_e32 v1, s33, v0
	v_add_u32_e32 v0, 0x100, v0
	global_store_byte v1, v2, s[4:5]
	s_or_b64 exec, exec, s[0:1]
	v_cmp_gt_i32_e32 vcc, s8, v0
	s_and_saveexec_b64 s[0:1], vcc
	s_cbranch_execz .LBB427_49
.LBB427_66:
	v_lshrrev_b32_e32 v1, 8, v2
	v_add_u32_e32 v3, s33, v0
	v_add_u32_e32 v0, 0x100, v0
	global_store_byte v3, v1, s[4:5]
	s_or_b64 exec, exec, s[0:1]
	v_cmp_gt_i32_e32 vcc, s8, v0
	s_and_saveexec_b64 s[0:1], vcc
	s_cbranch_execz .LBB427_50
.LBB427_67:
	v_add_u32_e32 v1, s33, v0
	v_add_u32_e32 v0, 0x100, v0
	global_store_byte_d16_hi v1, v2, s[4:5]
	s_or_b64 exec, exec, s[0:1]
	v_cmp_gt_i32_e32 vcc, s8, v0
	s_and_saveexec_b64 s[0:1], vcc
	s_cbranch_execnz .LBB427_51
	s_branch .LBB427_52
	.section	.rodata,"a",@progbits
	.p2align	6, 0x0
	.amdhsa_kernel _ZN2at6native29vectorized_elementwise_kernelILi8EZZZNS0_21clamp_max_kernel_cudaERNS_18TensorIteratorBaseERKN3c106ScalarEENKUlvE_clEvENKUlvE0_clEvEUlaE_St5arrayIPcLm2EEEEviT0_T1_
		.amdhsa_group_segment_fixed_size 0
		.amdhsa_private_segment_fixed_size 0
		.amdhsa_kernarg_size 24
		.amdhsa_user_sgpr_count 2
		.amdhsa_user_sgpr_dispatch_ptr 0
		.amdhsa_user_sgpr_queue_ptr 0
		.amdhsa_user_sgpr_kernarg_segment_ptr 1
		.amdhsa_user_sgpr_dispatch_id 0
		.amdhsa_user_sgpr_kernarg_preload_length 0
		.amdhsa_user_sgpr_kernarg_preload_offset 0
		.amdhsa_user_sgpr_private_segment_size 0
		.amdhsa_uses_dynamic_stack 0
		.amdhsa_enable_private_segment 0
		.amdhsa_system_sgpr_workgroup_id_x 1
		.amdhsa_system_sgpr_workgroup_id_y 0
		.amdhsa_system_sgpr_workgroup_id_z 0
		.amdhsa_system_sgpr_workgroup_info 0
		.amdhsa_system_vgpr_workitem_id 0
		.amdhsa_next_free_vgpr 21
		.amdhsa_next_free_sgpr 40
		.amdhsa_accum_offset 24
		.amdhsa_reserve_vcc 1
		.amdhsa_float_round_mode_32 0
		.amdhsa_float_round_mode_16_64 0
		.amdhsa_float_denorm_mode_32 3
		.amdhsa_float_denorm_mode_16_64 3
		.amdhsa_dx10_clamp 1
		.amdhsa_ieee_mode 1
		.amdhsa_fp16_overflow 0
		.amdhsa_tg_split 0
		.amdhsa_exception_fp_ieee_invalid_op 0
		.amdhsa_exception_fp_denorm_src 0
		.amdhsa_exception_fp_ieee_div_zero 0
		.amdhsa_exception_fp_ieee_overflow 0
		.amdhsa_exception_fp_ieee_underflow 0
		.amdhsa_exception_fp_ieee_inexact 0
		.amdhsa_exception_int_div_zero 0
	.end_amdhsa_kernel
	.section	.text._ZN2at6native29vectorized_elementwise_kernelILi8EZZZNS0_21clamp_max_kernel_cudaERNS_18TensorIteratorBaseERKN3c106ScalarEENKUlvE_clEvENKUlvE0_clEvEUlaE_St5arrayIPcLm2EEEEviT0_T1_,"axG",@progbits,_ZN2at6native29vectorized_elementwise_kernelILi8EZZZNS0_21clamp_max_kernel_cudaERNS_18TensorIteratorBaseERKN3c106ScalarEENKUlvE_clEvENKUlvE0_clEvEUlaE_St5arrayIPcLm2EEEEviT0_T1_,comdat
.Lfunc_end427:
	.size	_ZN2at6native29vectorized_elementwise_kernelILi8EZZZNS0_21clamp_max_kernel_cudaERNS_18TensorIteratorBaseERKN3c106ScalarEENKUlvE_clEvENKUlvE0_clEvEUlaE_St5arrayIPcLm2EEEEviT0_T1_, .Lfunc_end427-_ZN2at6native29vectorized_elementwise_kernelILi8EZZZNS0_21clamp_max_kernel_cudaERNS_18TensorIteratorBaseERKN3c106ScalarEENKUlvE_clEvENKUlvE0_clEvEUlaE_St5arrayIPcLm2EEEEviT0_T1_
                                        ; -- End function
	.set _ZN2at6native29vectorized_elementwise_kernelILi8EZZZNS0_21clamp_max_kernel_cudaERNS_18TensorIteratorBaseERKN3c106ScalarEENKUlvE_clEvENKUlvE0_clEvEUlaE_St5arrayIPcLm2EEEEviT0_T1_.num_vgpr, 21
	.set _ZN2at6native29vectorized_elementwise_kernelILi8EZZZNS0_21clamp_max_kernel_cudaERNS_18TensorIteratorBaseERKN3c106ScalarEENKUlvE_clEvENKUlvE0_clEvEUlaE_St5arrayIPcLm2EEEEviT0_T1_.num_agpr, 0
	.set _ZN2at6native29vectorized_elementwise_kernelILi8EZZZNS0_21clamp_max_kernel_cudaERNS_18TensorIteratorBaseERKN3c106ScalarEENKUlvE_clEvENKUlvE0_clEvEUlaE_St5arrayIPcLm2EEEEviT0_T1_.numbered_sgpr, 40
	.set _ZN2at6native29vectorized_elementwise_kernelILi8EZZZNS0_21clamp_max_kernel_cudaERNS_18TensorIteratorBaseERKN3c106ScalarEENKUlvE_clEvENKUlvE0_clEvEUlaE_St5arrayIPcLm2EEEEviT0_T1_.num_named_barrier, 0
	.set _ZN2at6native29vectorized_elementwise_kernelILi8EZZZNS0_21clamp_max_kernel_cudaERNS_18TensorIteratorBaseERKN3c106ScalarEENKUlvE_clEvENKUlvE0_clEvEUlaE_St5arrayIPcLm2EEEEviT0_T1_.private_seg_size, 0
	.set _ZN2at6native29vectorized_elementwise_kernelILi8EZZZNS0_21clamp_max_kernel_cudaERNS_18TensorIteratorBaseERKN3c106ScalarEENKUlvE_clEvENKUlvE0_clEvEUlaE_St5arrayIPcLm2EEEEviT0_T1_.uses_vcc, 1
	.set _ZN2at6native29vectorized_elementwise_kernelILi8EZZZNS0_21clamp_max_kernel_cudaERNS_18TensorIteratorBaseERKN3c106ScalarEENKUlvE_clEvENKUlvE0_clEvEUlaE_St5arrayIPcLm2EEEEviT0_T1_.uses_flat_scratch, 0
	.set _ZN2at6native29vectorized_elementwise_kernelILi8EZZZNS0_21clamp_max_kernel_cudaERNS_18TensorIteratorBaseERKN3c106ScalarEENKUlvE_clEvENKUlvE0_clEvEUlaE_St5arrayIPcLm2EEEEviT0_T1_.has_dyn_sized_stack, 0
	.set _ZN2at6native29vectorized_elementwise_kernelILi8EZZZNS0_21clamp_max_kernel_cudaERNS_18TensorIteratorBaseERKN3c106ScalarEENKUlvE_clEvENKUlvE0_clEvEUlaE_St5arrayIPcLm2EEEEviT0_T1_.has_recursion, 0
	.set _ZN2at6native29vectorized_elementwise_kernelILi8EZZZNS0_21clamp_max_kernel_cudaERNS_18TensorIteratorBaseERKN3c106ScalarEENKUlvE_clEvENKUlvE0_clEvEUlaE_St5arrayIPcLm2EEEEviT0_T1_.has_indirect_call, 0
	.section	.AMDGPU.csdata,"",@progbits
; Kernel info:
; codeLenInByte = 3196
; TotalNumSgprs: 46
; NumVgprs: 21
; NumAgprs: 0
; TotalNumVgprs: 21
; ScratchSize: 0
; MemoryBound: 0
; FloatMode: 240
; IeeeMode: 1
; LDSByteSize: 0 bytes/workgroup (compile time only)
; SGPRBlocks: 5
; VGPRBlocks: 2
; NumSGPRsForWavesPerEU: 46
; NumVGPRsForWavesPerEU: 21
; AccumOffset: 24
; Occupancy: 8
; WaveLimiterHint : 1
; COMPUTE_PGM_RSRC2:SCRATCH_EN: 0
; COMPUTE_PGM_RSRC2:USER_SGPR: 2
; COMPUTE_PGM_RSRC2:TRAP_HANDLER: 0
; COMPUTE_PGM_RSRC2:TGID_X_EN: 1
; COMPUTE_PGM_RSRC2:TGID_Y_EN: 0
; COMPUTE_PGM_RSRC2:TGID_Z_EN: 0
; COMPUTE_PGM_RSRC2:TIDIG_COMP_CNT: 0
; COMPUTE_PGM_RSRC3_GFX90A:ACCUM_OFFSET: 5
; COMPUTE_PGM_RSRC3_GFX90A:TG_SPLIT: 0
	.section	.text._ZN2at6native29vectorized_elementwise_kernelILi4EZZZNS0_21clamp_max_kernel_cudaERNS_18TensorIteratorBaseERKN3c106ScalarEENKUlvE_clEvENKUlvE0_clEvEUlaE_St5arrayIPcLm2EEEEviT0_T1_,"axG",@progbits,_ZN2at6native29vectorized_elementwise_kernelILi4EZZZNS0_21clamp_max_kernel_cudaERNS_18TensorIteratorBaseERKN3c106ScalarEENKUlvE_clEvENKUlvE0_clEvEUlaE_St5arrayIPcLm2EEEEviT0_T1_,comdat
	.globl	_ZN2at6native29vectorized_elementwise_kernelILi4EZZZNS0_21clamp_max_kernel_cudaERNS_18TensorIteratorBaseERKN3c106ScalarEENKUlvE_clEvENKUlvE0_clEvEUlaE_St5arrayIPcLm2EEEEviT0_T1_ ; -- Begin function _ZN2at6native29vectorized_elementwise_kernelILi4EZZZNS0_21clamp_max_kernel_cudaERNS_18TensorIteratorBaseERKN3c106ScalarEENKUlvE_clEvENKUlvE0_clEvEUlaE_St5arrayIPcLm2EEEEviT0_T1_
	.p2align	8
	.type	_ZN2at6native29vectorized_elementwise_kernelILi4EZZZNS0_21clamp_max_kernel_cudaERNS_18TensorIteratorBaseERKN3c106ScalarEENKUlvE_clEvENKUlvE0_clEvEUlaE_St5arrayIPcLm2EEEEviT0_T1_,@function
_ZN2at6native29vectorized_elementwise_kernelILi4EZZZNS0_21clamp_max_kernel_cudaERNS_18TensorIteratorBaseERKN3c106ScalarEENKUlvE_clEvENKUlvE0_clEvEUlaE_St5arrayIPcLm2EEEEviT0_T1_: ; @_ZN2at6native29vectorized_elementwise_kernelILi4EZZZNS0_21clamp_max_kernel_cudaERNS_18TensorIteratorBaseERKN3c106ScalarEENKUlvE_clEvENKUlvE0_clEvEUlaE_St5arrayIPcLm2EEEEviT0_T1_
; %bb.0:
	s_load_dwordx2 s[8:9], s[0:1], 0x0
	s_load_dwordx4 s[4:7], s[0:1], 0x8
	s_lshl_b32 s33, s2, 12
	s_mov_b64 s[0:1], -1
	s_waitcnt lgkmcnt(0)
	s_sub_i32 s8, s8, s33
	s_cmpk_gt_i32 s8, 0xfff
	s_cbranch_scc0 .LBB428_2
; %bb.1:
	s_ashr_i32 s2, s33, 31
	s_add_u32 s0, s6, s33
	s_addc_u32 s1, s7, s2
	v_lshlrev_b32_e32 v1, 2, v0
	global_load_dword v2, v1, s[0:1]
	global_load_dword v3, v1, s[0:1] offset:1024
	global_load_dword v4, v1, s[0:1] offset:2048
	;; [unrolled: 1-line block ×3, first 2 shown]
	s_bfe_i32 s10, s9, 0x80000
	s_movk_i32 s3, 0xff
	s_add_u32 s0, s4, s33
	s_addc_u32 s1, s5, s2
	s_waitcnt vmcnt(3)
	v_min_i16_sdwa v6, sext(v2), s10 dst_sel:DWORD dst_unused:UNUSED_PAD src0_sel:BYTE_0 src1_sel:DWORD
	v_lshrrev_b32_e32 v7, 8, v2
	v_lshrrev_b32_e32 v8, 16, v2
	v_lshrrev_b32_e32 v2, 24, v2
	s_waitcnt vmcnt(2)
	v_min_i16_sdwa v9, sext(v3), s10 dst_sel:DWORD dst_unused:UNUSED_PAD src0_sel:BYTE_0 src1_sel:DWORD
	v_lshrrev_b32_e32 v10, 8, v3
	v_lshrrev_b32_e32 v11, 16, v3
	v_lshrrev_b32_e32 v3, 24, v3
	;; [unrolled: 5-line block ×4, first 2 shown]
	v_min_i16_sdwa v8, sext(v8), s10 dst_sel:DWORD dst_unused:UNUSED_PAD src0_sel:BYTE_0 src1_sel:DWORD
	v_min_i16_sdwa v2, sext(v2), s10 dst_sel:BYTE_1 dst_unused:UNUSED_PAD src0_sel:BYTE_0 src1_sel:DWORD
	v_min_i16_sdwa v7, sext(v7), s10 dst_sel:BYTE_1 dst_unused:UNUSED_PAD src0_sel:BYTE_0 src1_sel:DWORD
	v_min_i16_sdwa v11, sext(v11), s10 dst_sel:DWORD dst_unused:UNUSED_PAD src0_sel:BYTE_0 src1_sel:DWORD
	v_min_i16_sdwa v3, sext(v3), s10 dst_sel:BYTE_1 dst_unused:UNUSED_PAD src0_sel:BYTE_0 src1_sel:DWORD
	v_min_i16_sdwa v14, sext(v14), s10 dst_sel:DWORD dst_unused:UNUSED_PAD src0_sel:BYTE_0 src1_sel:DWORD
	;; [unrolled: 2-line block ×3, first 2 shown]
	v_min_i16_sdwa v5, sext(v5), s10 dst_sel:BYTE_1 dst_unused:UNUSED_PAD src0_sel:BYTE_0 src1_sel:DWORD
	v_bitop3_b16 v2, v8, v2, s3 bitop3:0xec
	v_min_i16_sdwa v10, sext(v10), s10 dst_sel:BYTE_1 dst_unused:UNUSED_PAD src0_sel:BYTE_0 src1_sel:DWORD
	v_min_i16_sdwa v13, sext(v13), s10 dst_sel:BYTE_1 dst_unused:UNUSED_PAD src0_sel:BYTE_0 src1_sel:DWORD
	v_min_i16_sdwa v16, sext(v16), s10 dst_sel:BYTE_1 dst_unused:UNUSED_PAD src0_sel:BYTE_0 src1_sel:DWORD
	v_bitop3_b16 v5, v17, v5, s3 bitop3:0xec
	v_bitop3_b16 v4, v14, v4, s3 bitop3:0xec
	;; [unrolled: 1-line block ×4, first 2 shown]
	v_lshlrev_b32_e32 v2, 16, v2
	v_bitop3_b16 v15, v15, v16, s3 bitop3:0xec
	v_bitop3_b16 v12, v12, v13, s3 bitop3:0xec
	;; [unrolled: 1-line block ×3, first 2 shown]
	v_lshlrev_b32_e32 v5, 16, v5
	v_lshlrev_b32_e32 v4, 16, v4
	v_lshlrev_b32_e32 v3, 16, v3
	v_or_b32_sdwa v2, v6, v2 dst_sel:DWORD dst_unused:UNUSED_PAD src0_sel:WORD_0 src1_sel:DWORD
	v_or_b32_sdwa v5, v15, v5 dst_sel:DWORD dst_unused:UNUSED_PAD src0_sel:WORD_0 src1_sel:DWORD
	;; [unrolled: 1-line block ×4, first 2 shown]
	global_store_dword v1, v2, s[0:1]
	global_store_dword v1, v3, s[0:1] offset:1024
	global_store_dword v1, v4, s[0:1] offset:2048
	;; [unrolled: 1-line block ×3, first 2 shown]
	s_mov_b64 s[0:1], 0
.LBB428_2:
	s_andn2_b64 vcc, exec, s[0:1]
	s_cbranch_vccnz .LBB428_52
; %bb.3:
	v_cmp_gt_i32_e32 vcc, s8, v0
	v_or_b32_e32 v1, 0x100, v0
	v_mov_b32_e32 v20, 0
	v_or_b32_e32 v6, s33, v0
	v_mov_b32_e32 v19, 0
	v_mov_b32_e32 v18, 0
	;; [unrolled: 1-line block ×15, first 2 shown]
	s_and_saveexec_b64 s[2:3], vcc
	s_cbranch_execz .LBB428_35
; %bb.4:
	global_load_ubyte v8, v6, s[6:7]
	v_cmp_gt_u32_e64 s[0:1], s8, v1
	v_mov_b32_e32 v7, 0
	v_mov_b32_e32 v3, 0
	;; [unrolled: 1-line block ×15, first 2 shown]
	s_and_saveexec_b64 s[10:11], s[0:1]
	s_cbranch_execz .LBB428_34
; %bb.5:
	v_add_u32_e32 v2, s33, v0
	global_load_ubyte v7, v2, s[6:7] offset:256
	v_or_b32_e32 v4, 0x200, v0
	v_mov_b32_e32 v3, 0
	v_cmp_gt_u32_e64 s[0:1], s8, v4
	v_mov_b32_e32 v4, 0
	v_mov_b32_e32 v9, 0
	;; [unrolled: 1-line block ×13, first 2 shown]
	s_and_saveexec_b64 s[12:13], s[0:1]
	s_cbranch_execz .LBB428_33
; %bb.6:
	v_lshl_add_u64 v[4:5], s[6:7], 0, v[2:3]
	global_load_ubyte v2, v[4:5], off offset:512
	v_or_b32_e32 v9, 0x300, v0
	v_cmp_gt_u32_e64 s[0:1], s8, v9
	v_mov_b32_e32 v9, 0
	v_mov_b32_e32 v10, 0
	;; [unrolled: 1-line block ×12, first 2 shown]
	s_and_saveexec_b64 s[6:7], s[0:1]
	s_cbranch_execz .LBB428_32
; %bb.7:
	global_load_ubyte v3, v[4:5], off offset:768
	v_or_b32_e32 v9, 0x400, v0
	v_cmp_gt_u32_e64 s[0:1], s8, v9
	v_mov_b32_e32 v9, 0
	v_mov_b32_e32 v10, 0
	;; [unrolled: 1-line block ×12, first 2 shown]
	s_and_saveexec_b64 s[14:15], s[0:1]
	s_cbranch_execz .LBB428_31
; %bb.8:
	global_load_ubyte v9, v[4:5], off offset:1024
	v_or_b32_e32 v10, 0x500, v0
	v_cmp_gt_u32_e64 s[0:1], s8, v10
	v_mov_b32_e32 v10, 0
	v_mov_b32_e32 v11, 0
	;; [unrolled: 1-line block ×11, first 2 shown]
	s_and_saveexec_b64 s[16:17], s[0:1]
	s_cbranch_execz .LBB428_30
; %bb.9:
	global_load_ubyte v10, v[4:5], off offset:1280
	v_or_b32_e32 v11, 0x600, v0
	v_cmp_gt_u32_e64 s[0:1], s8, v11
	v_mov_b32_e32 v11, 0
	v_mov_b32_e32 v12, 0
	;; [unrolled: 1-line block ×10, first 2 shown]
	s_and_saveexec_b64 s[18:19], s[0:1]
	s_cbranch_execz .LBB428_29
; %bb.10:
	global_load_ubyte v11, v[4:5], off offset:1536
	v_or_b32_e32 v12, 0x700, v0
	v_cmp_gt_u32_e64 s[0:1], s8, v12
	v_mov_b32_e32 v12, 0
	v_mov_b32_e32 v13, 0
	;; [unrolled: 1-line block ×9, first 2 shown]
	s_and_saveexec_b64 s[20:21], s[0:1]
	s_cbranch_execz .LBB428_28
; %bb.11:
	global_load_ubyte v12, v[4:5], off offset:1792
	v_or_b32_e32 v13, 0x800, v0
	v_cmp_gt_u32_e64 s[0:1], s8, v13
	v_mov_b32_e32 v13, 0
	v_mov_b32_e32 v14, 0
	;; [unrolled: 1-line block ×8, first 2 shown]
	s_and_saveexec_b64 s[22:23], s[0:1]
	s_cbranch_execz .LBB428_27
; %bb.12:
	global_load_ubyte v13, v[4:5], off offset:2048
	v_or_b32_e32 v14, 0x900, v0
	v_cmp_gt_u32_e64 s[0:1], s8, v14
	v_mov_b32_e32 v14, 0
	v_mov_b32_e32 v15, 0
	;; [unrolled: 1-line block ×7, first 2 shown]
	s_and_saveexec_b64 s[24:25], s[0:1]
	s_cbranch_execz .LBB428_26
; %bb.13:
	global_load_ubyte v14, v[4:5], off offset:2304
	v_or_b32_e32 v15, 0xa00, v0
	v_cmp_gt_u32_e64 s[0:1], s8, v15
	v_mov_b32_e32 v15, 0
	v_mov_b32_e32 v16, 0
	;; [unrolled: 1-line block ×6, first 2 shown]
	s_and_saveexec_b64 s[26:27], s[0:1]
	s_cbranch_execz .LBB428_25
; %bb.14:
	global_load_ubyte v15, v[4:5], off offset:2560
	v_or_b32_e32 v16, 0xb00, v0
	v_cmp_gt_u32_e64 s[0:1], s8, v16
	v_mov_b32_e32 v16, 0
	v_mov_b32_e32 v17, 0
	;; [unrolled: 1-line block ×5, first 2 shown]
	s_and_saveexec_b64 s[28:29], s[0:1]
	s_cbranch_execz .LBB428_24
; %bb.15:
	global_load_ubyte v16, v[4:5], off offset:2816
	v_or_b32_e32 v17, 0xc00, v0
	v_cmp_gt_u32_e64 s[0:1], s8, v17
	v_mov_b32_e32 v17, 0
	v_mov_b32_e32 v18, 0
	;; [unrolled: 1-line block ×4, first 2 shown]
	s_and_saveexec_b64 s[30:31], s[0:1]
	s_cbranch_execz .LBB428_23
; %bb.16:
	global_load_ubyte v17, v[4:5], off offset:3072
	v_or_b32_e32 v18, 0xd00, v0
	v_cmp_gt_u32_e64 s[0:1], s8, v18
	v_mov_b32_e32 v18, 0
	v_mov_b32_e32 v19, 0
	;; [unrolled: 1-line block ×3, first 2 shown]
	s_and_saveexec_b64 s[34:35], s[0:1]
	s_cbranch_execz .LBB428_22
; %bb.17:
	global_load_ubyte v18, v[4:5], off offset:3328
	v_or_b32_e32 v19, 0xe00, v0
	v_cmp_gt_u32_e64 s[0:1], s8, v19
	v_mov_b32_e32 v19, 0
	v_mov_b32_e32 v20, 0
	s_and_saveexec_b64 s[36:37], s[0:1]
	s_cbranch_execz .LBB428_21
; %bb.18:
	global_load_ubyte v19, v[4:5], off offset:3584
	v_or_b32_e32 v20, 0xf00, v0
	v_cmp_gt_u32_e64 s[0:1], s8, v20
	v_mov_b32_e32 v20, 0
	s_and_saveexec_b64 s[38:39], s[0:1]
	s_cbranch_execz .LBB428_20
; %bb.19:
	global_load_ubyte v20, v[4:5], off offset:3840
.LBB428_20:
	s_or_b64 exec, exec, s[38:39]
.LBB428_21:
	s_or_b64 exec, exec, s[36:37]
.LBB428_22:
	s_or_b64 exec, exec, s[34:35]
.LBB428_23:
	s_or_b64 exec, exec, s[30:31]
.LBB428_24:
	s_or_b64 exec, exec, s[28:29]
.LBB428_25:
	s_or_b64 exec, exec, s[26:27]
.LBB428_26:
	s_or_b64 exec, exec, s[24:25]
.LBB428_27:
	s_or_b64 exec, exec, s[22:23]
.LBB428_28:
	s_or_b64 exec, exec, s[20:21]
.LBB428_29:
	s_or_b64 exec, exec, s[18:19]
.LBB428_30:
	s_or_b64 exec, exec, s[16:17]
.LBB428_31:
	s_or_b64 exec, exec, s[14:15]
.LBB428_32:
	s_or_b64 exec, exec, s[6:7]
	s_waitcnt vmcnt(0)
	v_mov_b32_e32 v4, v3
	v_mov_b32_e32 v3, v2
.LBB428_33:
	s_or_b64 exec, exec, s[12:13]
.LBB428_34:
	s_or_b64 exec, exec, s[10:11]
.LBB428_35:
	s_or_b64 exec, exec, s[2:3]
	s_bfe_i32 s2, s9, 0x80000
	s_waitcnt vmcnt(0)
	v_min_i16_sdwa v2, sext(v8), s2 dst_sel:DWORD dst_unused:UNUSED_PAD src0_sel:BYTE_0 src1_sel:DWORD
	s_mov_b32 s6, 0xffff
	v_and_b32_sdwa v2, s6, v2 dst_sel:DWORD dst_unused:UNUSED_PAD src0_sel:DWORD src1_sel:BYTE_0
	v_cndmask_b32_e32 v2, 0, v2, vcc
	v_min_i16_sdwa v5, sext(v7), s2 dst_sel:BYTE_1 dst_unused:UNUSED_PAD src0_sel:BYTE_0 src1_sel:DWORD
	v_cmp_gt_i32_e64 s[0:1], s8, v1
	v_or_b32_e32 v5, v2, v5
	v_and_b32_e32 v5, 0xffff, v5
	v_cndmask_b32_e64 v2, v2, v5, s[0:1]
	v_min_i16_sdwa v3, sext(v3), s2 dst_sel:DWORD dst_unused:UNUSED_PAD src0_sel:BYTE_0 src1_sel:DWORD
	s_mov_b32 s7, 0xc0c0304
	v_or_b32_e32 v5, 0x200, v0
	v_perm_b32 v3, v3, v2, s7
	v_lshl_or_b32 v3, v3, 16, v2
	v_cmp_gt_i32_e64 s[0:1], s8, v5
	s_movk_i32 s3, 0xff
	v_min_i16_sdwa v4, sext(v4), s2 dst_sel:BYTE_1 dst_unused:UNUSED_PAD src0_sel:BYTE_0 src1_sel:DWORD
	v_cndmask_b32_e64 v2, v2, v3, s[0:1]
	v_lshrrev_b32_e32 v3, 16, v2
	v_bitop3_b16 v3, v3, v4, s3 bitop3:0xec
	v_or_b32_e32 v5, 0x300, v0
	v_lshlrev_b32_e32 v3, 16, v3
	v_and_or_b32 v3, v2, s6, v3
	v_cmp_gt_i32_e64 s[0:1], s8, v5
	s_mov_b32 s9, 0x3020104
	s_mov_b32 s10, 0xffff0000
	v_cndmask_b32_e64 v5, v2, v3, s[0:1]
	v_min_i16_sdwa v2, sext(v9), s2 dst_sel:DWORD dst_unused:UNUSED_PAD src0_sel:BYTE_0 src1_sel:DWORD
	v_or_b32_e32 v3, 0x400, v0
	v_perm_b32 v2, v2, 0, s9
	v_cmp_gt_i32_e64 s[0:1], s8, v3
	v_min_i16_sdwa v3, sext(v10), s2 dst_sel:BYTE_1 dst_unused:UNUSED_PAD src0_sel:BYTE_0 src1_sel:DWORD
	v_or_b32_e32 v4, 0x500, v0
	v_cndmask_b32_e64 v2, 0, v2, s[0:1]
	v_bitop3_b16 v3, v2, v3, s3 bitop3:0xec
	v_and_b32_e32 v3, 0xffff, v3
	v_and_or_b32 v3, v2, s10, v3
	v_cmp_gt_i32_e64 s[0:1], s8, v4
	v_min_i16_sdwa v4, sext(v11), s2 dst_sel:DWORD dst_unused:UNUSED_PAD src0_sel:BYTE_0 src1_sel:DWORD
	s_mov_b32 s11, 0x7000504
	v_cndmask_b32_e64 v2, v2, v3, s[0:1]
	v_or_b32_e32 v3, 0x600, v0
	v_perm_b32 v4, v2, v4, s11
	v_cmp_gt_i32_e64 s[0:1], s8, v3
	v_min_i16_sdwa v7, sext(v12), s2 dst_sel:BYTE_1 dst_unused:UNUSED_PAD src0_sel:BYTE_0 src1_sel:DWORD
	v_min_i16_sdwa v8, sext(v16), s2 dst_sel:BYTE_1 dst_unused:UNUSED_PAD src0_sel:BYTE_0 src1_sel:DWORD
	v_cndmask_b32_e64 v2, v2, v4, s[0:1]
	v_lshrrev_b32_e32 v3, 16, v2
	v_bitop3_b16 v3, v3, v7, s3 bitop3:0xec
	v_or_b32_e32 v4, 0x700, v0
	v_lshlrev_b32_e32 v3, 16, v3
	v_and_or_b32 v3, v2, s6, v3
	v_cmp_gt_i32_e64 s[0:1], s8, v4
	v_min_i16_sdwa v7, sext(v14), s2 dst_sel:BYTE_1 dst_unused:UNUSED_PAD src0_sel:BYTE_0 src1_sel:DWORD
	v_min_i16_sdwa v9, sext(v20), s2 dst_sel:BYTE_1 dst_unused:UNUSED_PAD src0_sel:BYTE_0 src1_sel:DWORD
	v_cndmask_b32_e64 v4, v2, v3, s[0:1]
	v_or_b32_e32 v2, 0x800, v0
	v_min_i16_sdwa v3, sext(v13), s2 dst_sel:DWORD dst_unused:UNUSED_PAD src0_sel:BYTE_0 src1_sel:DWORD
	v_and_b32_sdwa v3, s6, v3 dst_sel:DWORD dst_unused:UNUSED_PAD src0_sel:DWORD src1_sel:BYTE_0
	v_cmp_gt_i32_e64 s[0:1], s8, v2
	s_nop 1
	v_cndmask_b32_e64 v2, 0, v3, s[0:1]
	v_or_b32_e32 v3, 0x900, v0
	v_or_b32_e32 v7, v2, v7
	v_and_b32_e32 v7, 0xffff, v7
	v_cmp_gt_i32_e64 s[0:1], s8, v3
	v_or_b32_e32 v3, 0xa00, v0
	s_nop 0
	v_cndmask_b32_e64 v2, v2, v7, s[0:1]
	v_min_i16_sdwa v7, sext(v15), s2 dst_sel:DWORD dst_unused:UNUSED_PAD src0_sel:BYTE_0 src1_sel:DWORD
	v_perm_b32 v7, v7, v2, s7
	v_lshl_or_b32 v7, v7, 16, v2
	v_cmp_gt_i32_e64 s[0:1], s8, v3
	s_nop 1
	v_cndmask_b32_e64 v2, v2, v7, s[0:1]
	v_lshrrev_b32_e32 v3, 16, v2
	v_bitop3_b16 v3, v3, v8, s3 bitop3:0xec
	v_or_b32_e32 v7, 0xb00, v0
	v_lshlrev_b32_e32 v3, 16, v3
	v_and_or_b32 v3, v2, s6, v3
	v_cmp_gt_i32_e64 s[0:1], s8, v7
	v_or_b32_e32 v7, 0xc00, v0
	v_or_b32_e32 v8, 0xd00, v0
	v_cndmask_b32_e64 v3, v2, v3, s[0:1]
	v_min_i16_sdwa v2, sext(v17), s2 dst_sel:DWORD dst_unused:UNUSED_PAD src0_sel:BYTE_0 src1_sel:DWORD
	v_perm_b32 v2, v2, 0, s9
	v_cmp_gt_i32_e64 s[0:1], s8, v7
	v_min_i16_sdwa v7, sext(v18), s2 dst_sel:BYTE_1 dst_unused:UNUSED_PAD src0_sel:BYTE_0 src1_sel:DWORD
	s_nop 0
	v_cndmask_b32_e64 v2, 0, v2, s[0:1]
	v_bitop3_b16 v7, v2, v7, s3 bitop3:0xec
	v_and_b32_e32 v7, 0xffff, v7
	v_and_or_b32 v7, v2, s10, v7
	v_cmp_gt_i32_e64 s[0:1], s8, v8
	v_min_i16_sdwa v8, sext(v19), s2 dst_sel:DWORD dst_unused:UNUSED_PAD src0_sel:BYTE_0 src1_sel:DWORD
	s_nop 0
	v_cndmask_b32_e64 v2, v2, v7, s[0:1]
	v_or_b32_e32 v7, 0xe00, v0
	v_perm_b32 v8, v2, v8, s11
	v_cmp_gt_i32_e64 s[0:1], s8, v7
	s_nop 1
	v_cndmask_b32_e64 v2, v2, v8, s[0:1]
	v_lshrrev_b32_e32 v7, 16, v2
	v_bitop3_b16 v7, v7, v9, s3 bitop3:0xec
	v_or_b32_e32 v8, 0xf00, v0
	v_lshlrev_b32_e32 v7, 16, v7
	v_and_or_b32 v7, v2, s6, v7
	v_cmp_gt_i32_e64 s[0:1], s8, v8
	s_nop 1
	v_cndmask_b32_e64 v2, v2, v7, s[0:1]
	s_and_saveexec_b64 s[0:1], vcc
	s_cbranch_execnz .LBB428_53
; %bb.36:
	s_or_b64 exec, exec, s[0:1]
	v_cmp_gt_i32_e32 vcc, s8, v0
	s_and_saveexec_b64 s[0:1], vcc
	s_cbranch_execnz .LBB428_54
.LBB428_37:
	s_or_b64 exec, exec, s[0:1]
	v_cmp_gt_i32_e32 vcc, s8, v0
	s_and_saveexec_b64 s[0:1], vcc
	s_cbranch_execnz .LBB428_55
.LBB428_38:
	s_or_b64 exec, exec, s[0:1]
	v_cmp_gt_i32_e32 vcc, s8, v0
	s_and_saveexec_b64 s[0:1], vcc
	s_cbranch_execnz .LBB428_56
.LBB428_39:
	s_or_b64 exec, exec, s[0:1]
	v_cmp_gt_i32_e32 vcc, s8, v0
	s_and_saveexec_b64 s[0:1], vcc
	s_cbranch_execnz .LBB428_57
.LBB428_40:
	s_or_b64 exec, exec, s[0:1]
	v_cmp_gt_i32_e32 vcc, s8, v0
	s_and_saveexec_b64 s[0:1], vcc
	s_cbranch_execnz .LBB428_58
.LBB428_41:
	s_or_b64 exec, exec, s[0:1]
	v_cmp_gt_i32_e32 vcc, s8, v0
	s_and_saveexec_b64 s[0:1], vcc
	s_cbranch_execnz .LBB428_59
.LBB428_42:
	s_or_b64 exec, exec, s[0:1]
	v_cmp_gt_i32_e32 vcc, s8, v0
	s_and_saveexec_b64 s[0:1], vcc
	s_cbranch_execnz .LBB428_60
.LBB428_43:
	s_or_b64 exec, exec, s[0:1]
	v_cmp_gt_i32_e32 vcc, s8, v0
	s_and_saveexec_b64 s[0:1], vcc
	s_cbranch_execnz .LBB428_61
.LBB428_44:
	s_or_b64 exec, exec, s[0:1]
	v_cmp_gt_i32_e32 vcc, s8, v0
	s_and_saveexec_b64 s[0:1], vcc
	s_cbranch_execnz .LBB428_62
.LBB428_45:
	s_or_b64 exec, exec, s[0:1]
	v_cmp_gt_i32_e32 vcc, s8, v0
	s_and_saveexec_b64 s[0:1], vcc
	s_cbranch_execnz .LBB428_63
.LBB428_46:
	s_or_b64 exec, exec, s[0:1]
	v_cmp_gt_i32_e32 vcc, s8, v0
	s_and_saveexec_b64 s[0:1], vcc
	s_cbranch_execnz .LBB428_64
.LBB428_47:
	s_or_b64 exec, exec, s[0:1]
	v_cmp_gt_i32_e32 vcc, s8, v0
	s_and_saveexec_b64 s[0:1], vcc
	s_cbranch_execnz .LBB428_65
.LBB428_48:
	s_or_b64 exec, exec, s[0:1]
	v_cmp_gt_i32_e32 vcc, s8, v0
	s_and_saveexec_b64 s[0:1], vcc
	s_cbranch_execnz .LBB428_66
.LBB428_49:
	s_or_b64 exec, exec, s[0:1]
	v_cmp_gt_i32_e32 vcc, s8, v0
	s_and_saveexec_b64 s[0:1], vcc
	s_cbranch_execnz .LBB428_67
.LBB428_50:
	s_or_b64 exec, exec, s[0:1]
	v_cmp_gt_i32_e32 vcc, s8, v0
	s_and_saveexec_b64 s[0:1], vcc
	s_cbranch_execz .LBB428_52
.LBB428_51:
	v_lshrrev_b32_e32 v1, 24, v2
	v_add_u32_e32 v0, s33, v0
	global_store_byte v0, v1, s[4:5]
.LBB428_52:
	s_endpgm
.LBB428_53:
	v_mov_b32_e32 v0, v1
	global_store_byte v6, v5, s[4:5]
	s_or_b64 exec, exec, s[0:1]
	v_cmp_gt_i32_e32 vcc, s8, v0
	s_and_saveexec_b64 s[0:1], vcc
	s_cbranch_execz .LBB428_37
.LBB428_54:
	v_lshrrev_b32_e32 v1, 8, v5
	v_add_u32_e32 v6, s33, v0
	v_add_u32_e32 v0, 0x100, v0
	global_store_byte v6, v1, s[4:5]
	s_or_b64 exec, exec, s[0:1]
	v_cmp_gt_i32_e32 vcc, s8, v0
	s_and_saveexec_b64 s[0:1], vcc
	s_cbranch_execz .LBB428_38
.LBB428_55:
	v_add_u32_e32 v1, s33, v0
	v_add_u32_e32 v0, 0x100, v0
	global_store_byte_d16_hi v1, v5, s[4:5]
	s_or_b64 exec, exec, s[0:1]
	v_cmp_gt_i32_e32 vcc, s8, v0
	s_and_saveexec_b64 s[0:1], vcc
	s_cbranch_execz .LBB428_39
.LBB428_56:
	v_lshrrev_b32_e32 v1, 24, v5
	v_add_u32_e32 v5, s33, v0
	v_add_u32_e32 v0, 0x100, v0
	global_store_byte v5, v1, s[4:5]
	s_or_b64 exec, exec, s[0:1]
	v_cmp_gt_i32_e32 vcc, s8, v0
	s_and_saveexec_b64 s[0:1], vcc
	s_cbranch_execz .LBB428_40
.LBB428_57:
	v_add_u32_e32 v1, s33, v0
	v_add_u32_e32 v0, 0x100, v0
	global_store_byte v1, v4, s[4:5]
	s_or_b64 exec, exec, s[0:1]
	v_cmp_gt_i32_e32 vcc, s8, v0
	s_and_saveexec_b64 s[0:1], vcc
	s_cbranch_execz .LBB428_41
.LBB428_58:
	v_lshrrev_b32_e32 v1, 8, v4
	v_add_u32_e32 v5, s33, v0
	v_add_u32_e32 v0, 0x100, v0
	global_store_byte v5, v1, s[4:5]
	s_or_b64 exec, exec, s[0:1]
	v_cmp_gt_i32_e32 vcc, s8, v0
	s_and_saveexec_b64 s[0:1], vcc
	s_cbranch_execz .LBB428_42
.LBB428_59:
	v_add_u32_e32 v1, s33, v0
	v_add_u32_e32 v0, 0x100, v0
	global_store_byte_d16_hi v1, v4, s[4:5]
	s_or_b64 exec, exec, s[0:1]
	v_cmp_gt_i32_e32 vcc, s8, v0
	s_and_saveexec_b64 s[0:1], vcc
	s_cbranch_execz .LBB428_43
.LBB428_60:
	v_lshrrev_b32_e32 v1, 24, v4
	v_add_u32_e32 v4, s33, v0
	v_add_u32_e32 v0, 0x100, v0
	global_store_byte v4, v1, s[4:5]
	s_or_b64 exec, exec, s[0:1]
	v_cmp_gt_i32_e32 vcc, s8, v0
	s_and_saveexec_b64 s[0:1], vcc
	s_cbranch_execz .LBB428_44
.LBB428_61:
	v_add_u32_e32 v1, s33, v0
	v_add_u32_e32 v0, 0x100, v0
	global_store_byte v1, v3, s[4:5]
	s_or_b64 exec, exec, s[0:1]
	v_cmp_gt_i32_e32 vcc, s8, v0
	s_and_saveexec_b64 s[0:1], vcc
	s_cbranch_execz .LBB428_45
.LBB428_62:
	v_lshrrev_b32_e32 v1, 8, v3
	v_add_u32_e32 v4, s33, v0
	v_add_u32_e32 v0, 0x100, v0
	global_store_byte v4, v1, s[4:5]
	s_or_b64 exec, exec, s[0:1]
	v_cmp_gt_i32_e32 vcc, s8, v0
	s_and_saveexec_b64 s[0:1], vcc
	s_cbranch_execz .LBB428_46
.LBB428_63:
	v_add_u32_e32 v1, s33, v0
	v_add_u32_e32 v0, 0x100, v0
	global_store_byte_d16_hi v1, v3, s[4:5]
	s_or_b64 exec, exec, s[0:1]
	v_cmp_gt_i32_e32 vcc, s8, v0
	s_and_saveexec_b64 s[0:1], vcc
	s_cbranch_execz .LBB428_47
.LBB428_64:
	v_lshrrev_b32_e32 v1, 24, v3
	v_add_u32_e32 v3, s33, v0
	v_add_u32_e32 v0, 0x100, v0
	global_store_byte v3, v1, s[4:5]
	s_or_b64 exec, exec, s[0:1]
	v_cmp_gt_i32_e32 vcc, s8, v0
	s_and_saveexec_b64 s[0:1], vcc
	s_cbranch_execz .LBB428_48
.LBB428_65:
	v_add_u32_e32 v1, s33, v0
	v_add_u32_e32 v0, 0x100, v0
	global_store_byte v1, v2, s[4:5]
	s_or_b64 exec, exec, s[0:1]
	v_cmp_gt_i32_e32 vcc, s8, v0
	s_and_saveexec_b64 s[0:1], vcc
	s_cbranch_execz .LBB428_49
.LBB428_66:
	v_lshrrev_b32_e32 v1, 8, v2
	v_add_u32_e32 v3, s33, v0
	v_add_u32_e32 v0, 0x100, v0
	global_store_byte v3, v1, s[4:5]
	s_or_b64 exec, exec, s[0:1]
	v_cmp_gt_i32_e32 vcc, s8, v0
	s_and_saveexec_b64 s[0:1], vcc
	s_cbranch_execz .LBB428_50
.LBB428_67:
	v_add_u32_e32 v1, s33, v0
	v_add_u32_e32 v0, 0x100, v0
	global_store_byte_d16_hi v1, v2, s[4:5]
	s_or_b64 exec, exec, s[0:1]
	v_cmp_gt_i32_e32 vcc, s8, v0
	s_and_saveexec_b64 s[0:1], vcc
	s_cbranch_execnz .LBB428_51
	s_branch .LBB428_52
	.section	.rodata,"a",@progbits
	.p2align	6, 0x0
	.amdhsa_kernel _ZN2at6native29vectorized_elementwise_kernelILi4EZZZNS0_21clamp_max_kernel_cudaERNS_18TensorIteratorBaseERKN3c106ScalarEENKUlvE_clEvENKUlvE0_clEvEUlaE_St5arrayIPcLm2EEEEviT0_T1_
		.amdhsa_group_segment_fixed_size 0
		.amdhsa_private_segment_fixed_size 0
		.amdhsa_kernarg_size 24
		.amdhsa_user_sgpr_count 2
		.amdhsa_user_sgpr_dispatch_ptr 0
		.amdhsa_user_sgpr_queue_ptr 0
		.amdhsa_user_sgpr_kernarg_segment_ptr 1
		.amdhsa_user_sgpr_dispatch_id 0
		.amdhsa_user_sgpr_kernarg_preload_length 0
		.amdhsa_user_sgpr_kernarg_preload_offset 0
		.amdhsa_user_sgpr_private_segment_size 0
		.amdhsa_uses_dynamic_stack 0
		.amdhsa_enable_private_segment 0
		.amdhsa_system_sgpr_workgroup_id_x 1
		.amdhsa_system_sgpr_workgroup_id_y 0
		.amdhsa_system_sgpr_workgroup_id_z 0
		.amdhsa_system_sgpr_workgroup_info 0
		.amdhsa_system_vgpr_workitem_id 0
		.amdhsa_next_free_vgpr 21
		.amdhsa_next_free_sgpr 40
		.amdhsa_accum_offset 24
		.amdhsa_reserve_vcc 1
		.amdhsa_float_round_mode_32 0
		.amdhsa_float_round_mode_16_64 0
		.amdhsa_float_denorm_mode_32 3
		.amdhsa_float_denorm_mode_16_64 3
		.amdhsa_dx10_clamp 1
		.amdhsa_ieee_mode 1
		.amdhsa_fp16_overflow 0
		.amdhsa_tg_split 0
		.amdhsa_exception_fp_ieee_invalid_op 0
		.amdhsa_exception_fp_denorm_src 0
		.amdhsa_exception_fp_ieee_div_zero 0
		.amdhsa_exception_fp_ieee_overflow 0
		.amdhsa_exception_fp_ieee_underflow 0
		.amdhsa_exception_fp_ieee_inexact 0
		.amdhsa_exception_int_div_zero 0
	.end_amdhsa_kernel
	.section	.text._ZN2at6native29vectorized_elementwise_kernelILi4EZZZNS0_21clamp_max_kernel_cudaERNS_18TensorIteratorBaseERKN3c106ScalarEENKUlvE_clEvENKUlvE0_clEvEUlaE_St5arrayIPcLm2EEEEviT0_T1_,"axG",@progbits,_ZN2at6native29vectorized_elementwise_kernelILi4EZZZNS0_21clamp_max_kernel_cudaERNS_18TensorIteratorBaseERKN3c106ScalarEENKUlvE_clEvENKUlvE0_clEvEUlaE_St5arrayIPcLm2EEEEviT0_T1_,comdat
.Lfunc_end428:
	.size	_ZN2at6native29vectorized_elementwise_kernelILi4EZZZNS0_21clamp_max_kernel_cudaERNS_18TensorIteratorBaseERKN3c106ScalarEENKUlvE_clEvENKUlvE0_clEvEUlaE_St5arrayIPcLm2EEEEviT0_T1_, .Lfunc_end428-_ZN2at6native29vectorized_elementwise_kernelILi4EZZZNS0_21clamp_max_kernel_cudaERNS_18TensorIteratorBaseERKN3c106ScalarEENKUlvE_clEvENKUlvE0_clEvEUlaE_St5arrayIPcLm2EEEEviT0_T1_
                                        ; -- End function
	.set _ZN2at6native29vectorized_elementwise_kernelILi4EZZZNS0_21clamp_max_kernel_cudaERNS_18TensorIteratorBaseERKN3c106ScalarEENKUlvE_clEvENKUlvE0_clEvEUlaE_St5arrayIPcLm2EEEEviT0_T1_.num_vgpr, 21
	.set _ZN2at6native29vectorized_elementwise_kernelILi4EZZZNS0_21clamp_max_kernel_cudaERNS_18TensorIteratorBaseERKN3c106ScalarEENKUlvE_clEvENKUlvE0_clEvEUlaE_St5arrayIPcLm2EEEEviT0_T1_.num_agpr, 0
	.set _ZN2at6native29vectorized_elementwise_kernelILi4EZZZNS0_21clamp_max_kernel_cudaERNS_18TensorIteratorBaseERKN3c106ScalarEENKUlvE_clEvENKUlvE0_clEvEUlaE_St5arrayIPcLm2EEEEviT0_T1_.numbered_sgpr, 40
	.set _ZN2at6native29vectorized_elementwise_kernelILi4EZZZNS0_21clamp_max_kernel_cudaERNS_18TensorIteratorBaseERKN3c106ScalarEENKUlvE_clEvENKUlvE0_clEvEUlaE_St5arrayIPcLm2EEEEviT0_T1_.num_named_barrier, 0
	.set _ZN2at6native29vectorized_elementwise_kernelILi4EZZZNS0_21clamp_max_kernel_cudaERNS_18TensorIteratorBaseERKN3c106ScalarEENKUlvE_clEvENKUlvE0_clEvEUlaE_St5arrayIPcLm2EEEEviT0_T1_.private_seg_size, 0
	.set _ZN2at6native29vectorized_elementwise_kernelILi4EZZZNS0_21clamp_max_kernel_cudaERNS_18TensorIteratorBaseERKN3c106ScalarEENKUlvE_clEvENKUlvE0_clEvEUlaE_St5arrayIPcLm2EEEEviT0_T1_.uses_vcc, 1
	.set _ZN2at6native29vectorized_elementwise_kernelILi4EZZZNS0_21clamp_max_kernel_cudaERNS_18TensorIteratorBaseERKN3c106ScalarEENKUlvE_clEvENKUlvE0_clEvEUlaE_St5arrayIPcLm2EEEEviT0_T1_.uses_flat_scratch, 0
	.set _ZN2at6native29vectorized_elementwise_kernelILi4EZZZNS0_21clamp_max_kernel_cudaERNS_18TensorIteratorBaseERKN3c106ScalarEENKUlvE_clEvENKUlvE0_clEvEUlaE_St5arrayIPcLm2EEEEviT0_T1_.has_dyn_sized_stack, 0
	.set _ZN2at6native29vectorized_elementwise_kernelILi4EZZZNS0_21clamp_max_kernel_cudaERNS_18TensorIteratorBaseERKN3c106ScalarEENKUlvE_clEvENKUlvE0_clEvEUlaE_St5arrayIPcLm2EEEEviT0_T1_.has_recursion, 0
	.set _ZN2at6native29vectorized_elementwise_kernelILi4EZZZNS0_21clamp_max_kernel_cudaERNS_18TensorIteratorBaseERKN3c106ScalarEENKUlvE_clEvENKUlvE0_clEvEUlaE_St5arrayIPcLm2EEEEviT0_T1_.has_indirect_call, 0
	.section	.AMDGPU.csdata,"",@progbits
; Kernel info:
; codeLenInByte = 3236
; TotalNumSgprs: 46
; NumVgprs: 21
; NumAgprs: 0
; TotalNumVgprs: 21
; ScratchSize: 0
; MemoryBound: 0
; FloatMode: 240
; IeeeMode: 1
; LDSByteSize: 0 bytes/workgroup (compile time only)
; SGPRBlocks: 5
; VGPRBlocks: 2
; NumSGPRsForWavesPerEU: 46
; NumVGPRsForWavesPerEU: 21
; AccumOffset: 24
; Occupancy: 8
; WaveLimiterHint : 1
; COMPUTE_PGM_RSRC2:SCRATCH_EN: 0
; COMPUTE_PGM_RSRC2:USER_SGPR: 2
; COMPUTE_PGM_RSRC2:TRAP_HANDLER: 0
; COMPUTE_PGM_RSRC2:TGID_X_EN: 1
; COMPUTE_PGM_RSRC2:TGID_Y_EN: 0
; COMPUTE_PGM_RSRC2:TGID_Z_EN: 0
; COMPUTE_PGM_RSRC2:TIDIG_COMP_CNT: 0
; COMPUTE_PGM_RSRC3_GFX90A:ACCUM_OFFSET: 5
; COMPUTE_PGM_RSRC3_GFX90A:TG_SPLIT: 0
	.section	.text._ZN2at6native29vectorized_elementwise_kernelILi2EZZZNS0_21clamp_max_kernel_cudaERNS_18TensorIteratorBaseERKN3c106ScalarEENKUlvE_clEvENKUlvE0_clEvEUlaE_St5arrayIPcLm2EEEEviT0_T1_,"axG",@progbits,_ZN2at6native29vectorized_elementwise_kernelILi2EZZZNS0_21clamp_max_kernel_cudaERNS_18TensorIteratorBaseERKN3c106ScalarEENKUlvE_clEvENKUlvE0_clEvEUlaE_St5arrayIPcLm2EEEEviT0_T1_,comdat
	.globl	_ZN2at6native29vectorized_elementwise_kernelILi2EZZZNS0_21clamp_max_kernel_cudaERNS_18TensorIteratorBaseERKN3c106ScalarEENKUlvE_clEvENKUlvE0_clEvEUlaE_St5arrayIPcLm2EEEEviT0_T1_ ; -- Begin function _ZN2at6native29vectorized_elementwise_kernelILi2EZZZNS0_21clamp_max_kernel_cudaERNS_18TensorIteratorBaseERKN3c106ScalarEENKUlvE_clEvENKUlvE0_clEvEUlaE_St5arrayIPcLm2EEEEviT0_T1_
	.p2align	8
	.type	_ZN2at6native29vectorized_elementwise_kernelILi2EZZZNS0_21clamp_max_kernel_cudaERNS_18TensorIteratorBaseERKN3c106ScalarEENKUlvE_clEvENKUlvE0_clEvEUlaE_St5arrayIPcLm2EEEEviT0_T1_,@function
_ZN2at6native29vectorized_elementwise_kernelILi2EZZZNS0_21clamp_max_kernel_cudaERNS_18TensorIteratorBaseERKN3c106ScalarEENKUlvE_clEvENKUlvE0_clEvEUlaE_St5arrayIPcLm2EEEEviT0_T1_: ; @_ZN2at6native29vectorized_elementwise_kernelILi2EZZZNS0_21clamp_max_kernel_cudaERNS_18TensorIteratorBaseERKN3c106ScalarEENKUlvE_clEvENKUlvE0_clEvEUlaE_St5arrayIPcLm2EEEEviT0_T1_
; %bb.0:
	s_load_dwordx2 s[8:9], s[0:1], 0x0
	s_load_dwordx4 s[4:7], s[0:1], 0x8
	s_lshl_b32 s33, s2, 12
	s_mov_b64 s[0:1], -1
	s_waitcnt lgkmcnt(0)
	s_sub_i32 s8, s8, s33
	s_cmpk_gt_i32 s8, 0xfff
	s_cbranch_scc0 .LBB429_2
; %bb.1:
	s_ashr_i32 s2, s33, 31
	s_add_u32 s0, s6, s33
	s_addc_u32 s1, s7, s2
	v_lshlrev_b32_e32 v1, 1, v0
	global_load_ushort v2, v1, s[0:1]
	global_load_ushort v3, v1, s[0:1] offset:512
	global_load_ushort v4, v1, s[0:1] offset:1024
	;; [unrolled: 1-line block ×7, first 2 shown]
	s_bfe_i32 s10, s9, 0x80000
	s_movk_i32 s3, 0xff
	s_add_u32 s0, s4, s33
	s_addc_u32 s1, s5, s2
	s_waitcnt vmcnt(7)
	v_min_i16_sdwa v10, sext(v2), s10 dst_sel:DWORD dst_unused:UNUSED_PAD src0_sel:BYTE_0 src1_sel:DWORD
	v_min_i16_sdwa v2, sext(v2), s10 dst_sel:BYTE_1 dst_unused:UNUSED_PAD src0_sel:BYTE_1 src1_sel:DWORD
	s_waitcnt vmcnt(6)
	v_min_i16_sdwa v11, sext(v3), s10 dst_sel:DWORD dst_unused:UNUSED_PAD src0_sel:BYTE_0 src1_sel:DWORD
	v_min_i16_sdwa v3, sext(v3), s10 dst_sel:BYTE_1 dst_unused:UNUSED_PAD src0_sel:BYTE_1 src1_sel:DWORD
	;; [unrolled: 3-line block ×8, first 2 shown]
	v_bitop3_b16 v2, v10, v2, s3 bitop3:0xec
	v_bitop3_b16 v9, v17, v9, s3 bitop3:0xec
	;; [unrolled: 1-line block ×8, first 2 shown]
	global_store_short v1, v2, s[0:1]
	global_store_short v1, v3, s[0:1] offset:512
	global_store_short v1, v4, s[0:1] offset:1024
	;; [unrolled: 1-line block ×7, first 2 shown]
	s_mov_b64 s[0:1], 0
.LBB429_2:
	s_andn2_b64 vcc, exec, s[0:1]
	s_cbranch_vccnz .LBB429_52
; %bb.3:
	v_cmp_gt_i32_e32 vcc, s8, v0
	v_or_b32_e32 v1, 0x100, v0
	v_mov_b32_e32 v20, 0
	v_or_b32_e32 v6, s33, v0
	v_mov_b32_e32 v19, 0
	v_mov_b32_e32 v18, 0
	;; [unrolled: 1-line block ×15, first 2 shown]
	s_and_saveexec_b64 s[2:3], vcc
	s_cbranch_execz .LBB429_35
; %bb.4:
	global_load_ubyte v8, v6, s[6:7]
	v_cmp_gt_u32_e64 s[0:1], s8, v1
	v_mov_b32_e32 v7, 0
	v_mov_b32_e32 v3, 0
	v_mov_b32_e32 v4, 0
	v_mov_b32_e32 v9, 0
	v_mov_b32_e32 v10, 0
	v_mov_b32_e32 v11, 0
	v_mov_b32_e32 v12, 0
	v_mov_b32_e32 v13, 0
	v_mov_b32_e32 v14, 0
	v_mov_b32_e32 v15, 0
	v_mov_b32_e32 v16, 0
	v_mov_b32_e32 v17, 0
	v_mov_b32_e32 v18, 0
	v_mov_b32_e32 v19, 0
	v_mov_b32_e32 v20, 0
	s_and_saveexec_b64 s[10:11], s[0:1]
	s_cbranch_execz .LBB429_34
; %bb.5:
	v_add_u32_e32 v2, s33, v0
	global_load_ubyte v7, v2, s[6:7] offset:256
	v_or_b32_e32 v4, 0x200, v0
	v_mov_b32_e32 v3, 0
	v_cmp_gt_u32_e64 s[0:1], s8, v4
	v_mov_b32_e32 v4, 0
	v_mov_b32_e32 v9, 0
	;; [unrolled: 1-line block ×13, first 2 shown]
	s_and_saveexec_b64 s[12:13], s[0:1]
	s_cbranch_execz .LBB429_33
; %bb.6:
	v_lshl_add_u64 v[4:5], s[6:7], 0, v[2:3]
	global_load_ubyte v2, v[4:5], off offset:512
	v_or_b32_e32 v9, 0x300, v0
	v_cmp_gt_u32_e64 s[0:1], s8, v9
	v_mov_b32_e32 v9, 0
	v_mov_b32_e32 v10, 0
	;; [unrolled: 1-line block ×12, first 2 shown]
	s_and_saveexec_b64 s[6:7], s[0:1]
	s_cbranch_execz .LBB429_32
; %bb.7:
	global_load_ubyte v3, v[4:5], off offset:768
	v_or_b32_e32 v9, 0x400, v0
	v_cmp_gt_u32_e64 s[0:1], s8, v9
	v_mov_b32_e32 v9, 0
	v_mov_b32_e32 v10, 0
	;; [unrolled: 1-line block ×12, first 2 shown]
	s_and_saveexec_b64 s[14:15], s[0:1]
	s_cbranch_execz .LBB429_31
; %bb.8:
	global_load_ubyte v9, v[4:5], off offset:1024
	v_or_b32_e32 v10, 0x500, v0
	v_cmp_gt_u32_e64 s[0:1], s8, v10
	v_mov_b32_e32 v10, 0
	v_mov_b32_e32 v11, 0
	;; [unrolled: 1-line block ×11, first 2 shown]
	s_and_saveexec_b64 s[16:17], s[0:1]
	s_cbranch_execz .LBB429_30
; %bb.9:
	global_load_ubyte v10, v[4:5], off offset:1280
	v_or_b32_e32 v11, 0x600, v0
	v_cmp_gt_u32_e64 s[0:1], s8, v11
	v_mov_b32_e32 v11, 0
	v_mov_b32_e32 v12, 0
	;; [unrolled: 1-line block ×10, first 2 shown]
	s_and_saveexec_b64 s[18:19], s[0:1]
	s_cbranch_execz .LBB429_29
; %bb.10:
	global_load_ubyte v11, v[4:5], off offset:1536
	v_or_b32_e32 v12, 0x700, v0
	v_cmp_gt_u32_e64 s[0:1], s8, v12
	v_mov_b32_e32 v12, 0
	v_mov_b32_e32 v13, 0
	;; [unrolled: 1-line block ×9, first 2 shown]
	s_and_saveexec_b64 s[20:21], s[0:1]
	s_cbranch_execz .LBB429_28
; %bb.11:
	global_load_ubyte v12, v[4:5], off offset:1792
	v_or_b32_e32 v13, 0x800, v0
	v_cmp_gt_u32_e64 s[0:1], s8, v13
	v_mov_b32_e32 v13, 0
	v_mov_b32_e32 v14, 0
	;; [unrolled: 1-line block ×8, first 2 shown]
	s_and_saveexec_b64 s[22:23], s[0:1]
	s_cbranch_execz .LBB429_27
; %bb.12:
	global_load_ubyte v13, v[4:5], off offset:2048
	v_or_b32_e32 v14, 0x900, v0
	v_cmp_gt_u32_e64 s[0:1], s8, v14
	v_mov_b32_e32 v14, 0
	v_mov_b32_e32 v15, 0
	;; [unrolled: 1-line block ×7, first 2 shown]
	s_and_saveexec_b64 s[24:25], s[0:1]
	s_cbranch_execz .LBB429_26
; %bb.13:
	global_load_ubyte v14, v[4:5], off offset:2304
	v_or_b32_e32 v15, 0xa00, v0
	v_cmp_gt_u32_e64 s[0:1], s8, v15
	v_mov_b32_e32 v15, 0
	v_mov_b32_e32 v16, 0
	;; [unrolled: 1-line block ×6, first 2 shown]
	s_and_saveexec_b64 s[26:27], s[0:1]
	s_cbranch_execz .LBB429_25
; %bb.14:
	global_load_ubyte v15, v[4:5], off offset:2560
	v_or_b32_e32 v16, 0xb00, v0
	v_cmp_gt_u32_e64 s[0:1], s8, v16
	v_mov_b32_e32 v16, 0
	v_mov_b32_e32 v17, 0
	v_mov_b32_e32 v18, 0
	v_mov_b32_e32 v19, 0
	v_mov_b32_e32 v20, 0
	s_and_saveexec_b64 s[28:29], s[0:1]
	s_cbranch_execz .LBB429_24
; %bb.15:
	global_load_ubyte v16, v[4:5], off offset:2816
	v_or_b32_e32 v17, 0xc00, v0
	v_cmp_gt_u32_e64 s[0:1], s8, v17
	v_mov_b32_e32 v17, 0
	v_mov_b32_e32 v18, 0
	;; [unrolled: 1-line block ×4, first 2 shown]
	s_and_saveexec_b64 s[30:31], s[0:1]
	s_cbranch_execz .LBB429_23
; %bb.16:
	global_load_ubyte v17, v[4:5], off offset:3072
	v_or_b32_e32 v18, 0xd00, v0
	v_cmp_gt_u32_e64 s[0:1], s8, v18
	v_mov_b32_e32 v18, 0
	v_mov_b32_e32 v19, 0
	;; [unrolled: 1-line block ×3, first 2 shown]
	s_and_saveexec_b64 s[34:35], s[0:1]
	s_cbranch_execz .LBB429_22
; %bb.17:
	global_load_ubyte v18, v[4:5], off offset:3328
	v_or_b32_e32 v19, 0xe00, v0
	v_cmp_gt_u32_e64 s[0:1], s8, v19
	v_mov_b32_e32 v19, 0
	v_mov_b32_e32 v20, 0
	s_and_saveexec_b64 s[36:37], s[0:1]
	s_cbranch_execz .LBB429_21
; %bb.18:
	global_load_ubyte v19, v[4:5], off offset:3584
	v_or_b32_e32 v20, 0xf00, v0
	v_cmp_gt_u32_e64 s[0:1], s8, v20
	v_mov_b32_e32 v20, 0
	s_and_saveexec_b64 s[38:39], s[0:1]
	s_cbranch_execz .LBB429_20
; %bb.19:
	global_load_ubyte v20, v[4:5], off offset:3840
.LBB429_20:
	s_or_b64 exec, exec, s[38:39]
.LBB429_21:
	s_or_b64 exec, exec, s[36:37]
.LBB429_22:
	s_or_b64 exec, exec, s[34:35]
.LBB429_23:
	s_or_b64 exec, exec, s[30:31]
.LBB429_24:
	s_or_b64 exec, exec, s[28:29]
.LBB429_25:
	s_or_b64 exec, exec, s[26:27]
.LBB429_26:
	s_or_b64 exec, exec, s[24:25]
.LBB429_27:
	s_or_b64 exec, exec, s[22:23]
.LBB429_28:
	s_or_b64 exec, exec, s[20:21]
.LBB429_29:
	s_or_b64 exec, exec, s[18:19]
.LBB429_30:
	s_or_b64 exec, exec, s[16:17]
.LBB429_31:
	s_or_b64 exec, exec, s[14:15]
.LBB429_32:
	s_or_b64 exec, exec, s[6:7]
	s_waitcnt vmcnt(0)
	v_mov_b32_e32 v4, v3
	v_mov_b32_e32 v3, v2
.LBB429_33:
	s_or_b64 exec, exec, s[12:13]
.LBB429_34:
	s_or_b64 exec, exec, s[10:11]
.LBB429_35:
	s_or_b64 exec, exec, s[2:3]
	s_bfe_i32 s2, s9, 0x80000
	s_waitcnt vmcnt(0)
	v_min_i16_sdwa v2, sext(v8), s2 dst_sel:DWORD dst_unused:UNUSED_PAD src0_sel:BYTE_0 src1_sel:DWORD
	s_mov_b32 s6, 0xffff
	v_and_b32_sdwa v2, s6, v2 dst_sel:DWORD dst_unused:UNUSED_PAD src0_sel:DWORD src1_sel:BYTE_0
	v_cndmask_b32_e32 v2, 0, v2, vcc
	v_min_i16_sdwa v5, sext(v7), s2 dst_sel:BYTE_1 dst_unused:UNUSED_PAD src0_sel:BYTE_0 src1_sel:DWORD
	v_cmp_gt_i32_e64 s[0:1], s8, v1
	v_or_b32_e32 v5, v2, v5
	v_and_b32_e32 v5, 0xffff, v5
	v_cndmask_b32_e64 v2, v2, v5, s[0:1]
	v_min_i16_sdwa v3, sext(v3), s2 dst_sel:DWORD dst_unused:UNUSED_PAD src0_sel:BYTE_0 src1_sel:DWORD
	s_mov_b32 s7, 0xc0c0304
	v_or_b32_e32 v5, 0x200, v0
	v_perm_b32 v3, v3, v2, s7
	v_lshl_or_b32 v3, v3, 16, v2
	v_cmp_gt_i32_e64 s[0:1], s8, v5
	s_movk_i32 s3, 0xff
	v_min_i16_sdwa v4, sext(v4), s2 dst_sel:BYTE_1 dst_unused:UNUSED_PAD src0_sel:BYTE_0 src1_sel:DWORD
	v_cndmask_b32_e64 v2, v2, v3, s[0:1]
	v_lshrrev_b32_e32 v3, 16, v2
	v_bitop3_b16 v3, v3, v4, s3 bitop3:0xec
	v_or_b32_e32 v5, 0x300, v0
	v_lshlrev_b32_e32 v3, 16, v3
	v_and_or_b32 v3, v2, s6, v3
	v_cmp_gt_i32_e64 s[0:1], s8, v5
	s_mov_b32 s9, 0x3020104
	s_mov_b32 s10, 0xffff0000
	v_cndmask_b32_e64 v5, v2, v3, s[0:1]
	v_min_i16_sdwa v2, sext(v9), s2 dst_sel:DWORD dst_unused:UNUSED_PAD src0_sel:BYTE_0 src1_sel:DWORD
	v_or_b32_e32 v3, 0x400, v0
	v_perm_b32 v2, v2, 0, s9
	v_cmp_gt_i32_e64 s[0:1], s8, v3
	v_min_i16_sdwa v3, sext(v10), s2 dst_sel:BYTE_1 dst_unused:UNUSED_PAD src0_sel:BYTE_0 src1_sel:DWORD
	v_or_b32_e32 v4, 0x500, v0
	v_cndmask_b32_e64 v2, 0, v2, s[0:1]
	v_bitop3_b16 v3, v2, v3, s3 bitop3:0xec
	v_and_b32_e32 v3, 0xffff, v3
	v_and_or_b32 v3, v2, s10, v3
	v_cmp_gt_i32_e64 s[0:1], s8, v4
	v_min_i16_sdwa v4, sext(v11), s2 dst_sel:DWORD dst_unused:UNUSED_PAD src0_sel:BYTE_0 src1_sel:DWORD
	s_mov_b32 s11, 0x7000504
	v_cndmask_b32_e64 v2, v2, v3, s[0:1]
	v_or_b32_e32 v3, 0x600, v0
	v_perm_b32 v4, v2, v4, s11
	v_cmp_gt_i32_e64 s[0:1], s8, v3
	v_min_i16_sdwa v7, sext(v12), s2 dst_sel:BYTE_1 dst_unused:UNUSED_PAD src0_sel:BYTE_0 src1_sel:DWORD
	v_min_i16_sdwa v8, sext(v16), s2 dst_sel:BYTE_1 dst_unused:UNUSED_PAD src0_sel:BYTE_0 src1_sel:DWORD
	v_cndmask_b32_e64 v2, v2, v4, s[0:1]
	v_lshrrev_b32_e32 v3, 16, v2
	v_bitop3_b16 v3, v3, v7, s3 bitop3:0xec
	v_or_b32_e32 v4, 0x700, v0
	v_lshlrev_b32_e32 v3, 16, v3
	v_and_or_b32 v3, v2, s6, v3
	v_cmp_gt_i32_e64 s[0:1], s8, v4
	v_min_i16_sdwa v7, sext(v14), s2 dst_sel:BYTE_1 dst_unused:UNUSED_PAD src0_sel:BYTE_0 src1_sel:DWORD
	v_min_i16_sdwa v9, sext(v20), s2 dst_sel:BYTE_1 dst_unused:UNUSED_PAD src0_sel:BYTE_0 src1_sel:DWORD
	v_cndmask_b32_e64 v4, v2, v3, s[0:1]
	v_or_b32_e32 v2, 0x800, v0
	v_min_i16_sdwa v3, sext(v13), s2 dst_sel:DWORD dst_unused:UNUSED_PAD src0_sel:BYTE_0 src1_sel:DWORD
	v_and_b32_sdwa v3, s6, v3 dst_sel:DWORD dst_unused:UNUSED_PAD src0_sel:DWORD src1_sel:BYTE_0
	v_cmp_gt_i32_e64 s[0:1], s8, v2
	s_nop 1
	v_cndmask_b32_e64 v2, 0, v3, s[0:1]
	v_or_b32_e32 v3, 0x900, v0
	v_or_b32_e32 v7, v2, v7
	v_and_b32_e32 v7, 0xffff, v7
	v_cmp_gt_i32_e64 s[0:1], s8, v3
	v_or_b32_e32 v3, 0xa00, v0
	s_nop 0
	v_cndmask_b32_e64 v2, v2, v7, s[0:1]
	v_min_i16_sdwa v7, sext(v15), s2 dst_sel:DWORD dst_unused:UNUSED_PAD src0_sel:BYTE_0 src1_sel:DWORD
	v_perm_b32 v7, v7, v2, s7
	v_lshl_or_b32 v7, v7, 16, v2
	v_cmp_gt_i32_e64 s[0:1], s8, v3
	s_nop 1
	v_cndmask_b32_e64 v2, v2, v7, s[0:1]
	v_lshrrev_b32_e32 v3, 16, v2
	v_bitop3_b16 v3, v3, v8, s3 bitop3:0xec
	v_or_b32_e32 v7, 0xb00, v0
	v_lshlrev_b32_e32 v3, 16, v3
	v_and_or_b32 v3, v2, s6, v3
	v_cmp_gt_i32_e64 s[0:1], s8, v7
	v_or_b32_e32 v7, 0xc00, v0
	v_or_b32_e32 v8, 0xd00, v0
	v_cndmask_b32_e64 v3, v2, v3, s[0:1]
	v_min_i16_sdwa v2, sext(v17), s2 dst_sel:DWORD dst_unused:UNUSED_PAD src0_sel:BYTE_0 src1_sel:DWORD
	v_perm_b32 v2, v2, 0, s9
	v_cmp_gt_i32_e64 s[0:1], s8, v7
	v_min_i16_sdwa v7, sext(v18), s2 dst_sel:BYTE_1 dst_unused:UNUSED_PAD src0_sel:BYTE_0 src1_sel:DWORD
	s_nop 0
	v_cndmask_b32_e64 v2, 0, v2, s[0:1]
	v_bitop3_b16 v7, v2, v7, s3 bitop3:0xec
	v_and_b32_e32 v7, 0xffff, v7
	v_and_or_b32 v7, v2, s10, v7
	v_cmp_gt_i32_e64 s[0:1], s8, v8
	v_min_i16_sdwa v8, sext(v19), s2 dst_sel:DWORD dst_unused:UNUSED_PAD src0_sel:BYTE_0 src1_sel:DWORD
	s_nop 0
	v_cndmask_b32_e64 v2, v2, v7, s[0:1]
	v_or_b32_e32 v7, 0xe00, v0
	v_perm_b32 v8, v2, v8, s11
	v_cmp_gt_i32_e64 s[0:1], s8, v7
	s_nop 1
	v_cndmask_b32_e64 v2, v2, v8, s[0:1]
	v_lshrrev_b32_e32 v7, 16, v2
	v_bitop3_b16 v7, v7, v9, s3 bitop3:0xec
	v_or_b32_e32 v8, 0xf00, v0
	v_lshlrev_b32_e32 v7, 16, v7
	v_and_or_b32 v7, v2, s6, v7
	v_cmp_gt_i32_e64 s[0:1], s8, v8
	s_nop 1
	v_cndmask_b32_e64 v2, v2, v7, s[0:1]
	s_and_saveexec_b64 s[0:1], vcc
	s_cbranch_execnz .LBB429_53
; %bb.36:
	s_or_b64 exec, exec, s[0:1]
	v_cmp_gt_i32_e32 vcc, s8, v0
	s_and_saveexec_b64 s[0:1], vcc
	s_cbranch_execnz .LBB429_54
.LBB429_37:
	s_or_b64 exec, exec, s[0:1]
	v_cmp_gt_i32_e32 vcc, s8, v0
	s_and_saveexec_b64 s[0:1], vcc
	s_cbranch_execnz .LBB429_55
.LBB429_38:
	s_or_b64 exec, exec, s[0:1]
	v_cmp_gt_i32_e32 vcc, s8, v0
	s_and_saveexec_b64 s[0:1], vcc
	s_cbranch_execnz .LBB429_56
.LBB429_39:
	s_or_b64 exec, exec, s[0:1]
	v_cmp_gt_i32_e32 vcc, s8, v0
	s_and_saveexec_b64 s[0:1], vcc
	s_cbranch_execnz .LBB429_57
.LBB429_40:
	s_or_b64 exec, exec, s[0:1]
	v_cmp_gt_i32_e32 vcc, s8, v0
	s_and_saveexec_b64 s[0:1], vcc
	s_cbranch_execnz .LBB429_58
.LBB429_41:
	s_or_b64 exec, exec, s[0:1]
	v_cmp_gt_i32_e32 vcc, s8, v0
	s_and_saveexec_b64 s[0:1], vcc
	s_cbranch_execnz .LBB429_59
.LBB429_42:
	s_or_b64 exec, exec, s[0:1]
	v_cmp_gt_i32_e32 vcc, s8, v0
	s_and_saveexec_b64 s[0:1], vcc
	s_cbranch_execnz .LBB429_60
.LBB429_43:
	s_or_b64 exec, exec, s[0:1]
	v_cmp_gt_i32_e32 vcc, s8, v0
	s_and_saveexec_b64 s[0:1], vcc
	s_cbranch_execnz .LBB429_61
.LBB429_44:
	s_or_b64 exec, exec, s[0:1]
	v_cmp_gt_i32_e32 vcc, s8, v0
	s_and_saveexec_b64 s[0:1], vcc
	s_cbranch_execnz .LBB429_62
.LBB429_45:
	s_or_b64 exec, exec, s[0:1]
	v_cmp_gt_i32_e32 vcc, s8, v0
	s_and_saveexec_b64 s[0:1], vcc
	s_cbranch_execnz .LBB429_63
.LBB429_46:
	s_or_b64 exec, exec, s[0:1]
	v_cmp_gt_i32_e32 vcc, s8, v0
	s_and_saveexec_b64 s[0:1], vcc
	s_cbranch_execnz .LBB429_64
.LBB429_47:
	s_or_b64 exec, exec, s[0:1]
	v_cmp_gt_i32_e32 vcc, s8, v0
	s_and_saveexec_b64 s[0:1], vcc
	s_cbranch_execnz .LBB429_65
.LBB429_48:
	s_or_b64 exec, exec, s[0:1]
	v_cmp_gt_i32_e32 vcc, s8, v0
	s_and_saveexec_b64 s[0:1], vcc
	s_cbranch_execnz .LBB429_66
.LBB429_49:
	s_or_b64 exec, exec, s[0:1]
	v_cmp_gt_i32_e32 vcc, s8, v0
	s_and_saveexec_b64 s[0:1], vcc
	s_cbranch_execnz .LBB429_67
.LBB429_50:
	s_or_b64 exec, exec, s[0:1]
	v_cmp_gt_i32_e32 vcc, s8, v0
	s_and_saveexec_b64 s[0:1], vcc
	s_cbranch_execz .LBB429_52
.LBB429_51:
	v_lshrrev_b32_e32 v1, 24, v2
	v_add_u32_e32 v0, s33, v0
	global_store_byte v0, v1, s[4:5]
.LBB429_52:
	s_endpgm
.LBB429_53:
	v_mov_b32_e32 v0, v1
	global_store_byte v6, v5, s[4:5]
	s_or_b64 exec, exec, s[0:1]
	v_cmp_gt_i32_e32 vcc, s8, v0
	s_and_saveexec_b64 s[0:1], vcc
	s_cbranch_execz .LBB429_37
.LBB429_54:
	v_lshrrev_b32_e32 v1, 8, v5
	v_add_u32_e32 v6, s33, v0
	v_add_u32_e32 v0, 0x100, v0
	global_store_byte v6, v1, s[4:5]
	s_or_b64 exec, exec, s[0:1]
	v_cmp_gt_i32_e32 vcc, s8, v0
	s_and_saveexec_b64 s[0:1], vcc
	s_cbranch_execz .LBB429_38
.LBB429_55:
	v_add_u32_e32 v1, s33, v0
	v_add_u32_e32 v0, 0x100, v0
	global_store_byte_d16_hi v1, v5, s[4:5]
	s_or_b64 exec, exec, s[0:1]
	v_cmp_gt_i32_e32 vcc, s8, v0
	s_and_saveexec_b64 s[0:1], vcc
	s_cbranch_execz .LBB429_39
.LBB429_56:
	v_lshrrev_b32_e32 v1, 24, v5
	v_add_u32_e32 v5, s33, v0
	v_add_u32_e32 v0, 0x100, v0
	global_store_byte v5, v1, s[4:5]
	s_or_b64 exec, exec, s[0:1]
	v_cmp_gt_i32_e32 vcc, s8, v0
	s_and_saveexec_b64 s[0:1], vcc
	s_cbranch_execz .LBB429_40
.LBB429_57:
	v_add_u32_e32 v1, s33, v0
	v_add_u32_e32 v0, 0x100, v0
	global_store_byte v1, v4, s[4:5]
	s_or_b64 exec, exec, s[0:1]
	v_cmp_gt_i32_e32 vcc, s8, v0
	s_and_saveexec_b64 s[0:1], vcc
	s_cbranch_execz .LBB429_41
.LBB429_58:
	v_lshrrev_b32_e32 v1, 8, v4
	v_add_u32_e32 v5, s33, v0
	v_add_u32_e32 v0, 0x100, v0
	global_store_byte v5, v1, s[4:5]
	s_or_b64 exec, exec, s[0:1]
	v_cmp_gt_i32_e32 vcc, s8, v0
	s_and_saveexec_b64 s[0:1], vcc
	s_cbranch_execz .LBB429_42
.LBB429_59:
	v_add_u32_e32 v1, s33, v0
	v_add_u32_e32 v0, 0x100, v0
	global_store_byte_d16_hi v1, v4, s[4:5]
	s_or_b64 exec, exec, s[0:1]
	v_cmp_gt_i32_e32 vcc, s8, v0
	s_and_saveexec_b64 s[0:1], vcc
	s_cbranch_execz .LBB429_43
.LBB429_60:
	v_lshrrev_b32_e32 v1, 24, v4
	v_add_u32_e32 v4, s33, v0
	v_add_u32_e32 v0, 0x100, v0
	global_store_byte v4, v1, s[4:5]
	s_or_b64 exec, exec, s[0:1]
	v_cmp_gt_i32_e32 vcc, s8, v0
	s_and_saveexec_b64 s[0:1], vcc
	s_cbranch_execz .LBB429_44
.LBB429_61:
	v_add_u32_e32 v1, s33, v0
	v_add_u32_e32 v0, 0x100, v0
	global_store_byte v1, v3, s[4:5]
	s_or_b64 exec, exec, s[0:1]
	v_cmp_gt_i32_e32 vcc, s8, v0
	s_and_saveexec_b64 s[0:1], vcc
	s_cbranch_execz .LBB429_45
.LBB429_62:
	v_lshrrev_b32_e32 v1, 8, v3
	v_add_u32_e32 v4, s33, v0
	v_add_u32_e32 v0, 0x100, v0
	global_store_byte v4, v1, s[4:5]
	s_or_b64 exec, exec, s[0:1]
	v_cmp_gt_i32_e32 vcc, s8, v0
	s_and_saveexec_b64 s[0:1], vcc
	s_cbranch_execz .LBB429_46
.LBB429_63:
	v_add_u32_e32 v1, s33, v0
	v_add_u32_e32 v0, 0x100, v0
	global_store_byte_d16_hi v1, v3, s[4:5]
	s_or_b64 exec, exec, s[0:1]
	v_cmp_gt_i32_e32 vcc, s8, v0
	s_and_saveexec_b64 s[0:1], vcc
	s_cbranch_execz .LBB429_47
.LBB429_64:
	v_lshrrev_b32_e32 v1, 24, v3
	v_add_u32_e32 v3, s33, v0
	v_add_u32_e32 v0, 0x100, v0
	global_store_byte v3, v1, s[4:5]
	s_or_b64 exec, exec, s[0:1]
	v_cmp_gt_i32_e32 vcc, s8, v0
	s_and_saveexec_b64 s[0:1], vcc
	s_cbranch_execz .LBB429_48
.LBB429_65:
	v_add_u32_e32 v1, s33, v0
	v_add_u32_e32 v0, 0x100, v0
	global_store_byte v1, v2, s[4:5]
	s_or_b64 exec, exec, s[0:1]
	v_cmp_gt_i32_e32 vcc, s8, v0
	s_and_saveexec_b64 s[0:1], vcc
	s_cbranch_execz .LBB429_49
.LBB429_66:
	v_lshrrev_b32_e32 v1, 8, v2
	v_add_u32_e32 v3, s33, v0
	v_add_u32_e32 v0, 0x100, v0
	global_store_byte v3, v1, s[4:5]
	s_or_b64 exec, exec, s[0:1]
	v_cmp_gt_i32_e32 vcc, s8, v0
	s_and_saveexec_b64 s[0:1], vcc
	s_cbranch_execz .LBB429_50
.LBB429_67:
	v_add_u32_e32 v1, s33, v0
	v_add_u32_e32 v0, 0x100, v0
	global_store_byte_d16_hi v1, v2, s[4:5]
	s_or_b64 exec, exec, s[0:1]
	v_cmp_gt_i32_e32 vcc, s8, v0
	s_and_saveexec_b64 s[0:1], vcc
	s_cbranch_execnz .LBB429_51
	s_branch .LBB429_52
	.section	.rodata,"a",@progbits
	.p2align	6, 0x0
	.amdhsa_kernel _ZN2at6native29vectorized_elementwise_kernelILi2EZZZNS0_21clamp_max_kernel_cudaERNS_18TensorIteratorBaseERKN3c106ScalarEENKUlvE_clEvENKUlvE0_clEvEUlaE_St5arrayIPcLm2EEEEviT0_T1_
		.amdhsa_group_segment_fixed_size 0
		.amdhsa_private_segment_fixed_size 0
		.amdhsa_kernarg_size 24
		.amdhsa_user_sgpr_count 2
		.amdhsa_user_sgpr_dispatch_ptr 0
		.amdhsa_user_sgpr_queue_ptr 0
		.amdhsa_user_sgpr_kernarg_segment_ptr 1
		.amdhsa_user_sgpr_dispatch_id 0
		.amdhsa_user_sgpr_kernarg_preload_length 0
		.amdhsa_user_sgpr_kernarg_preload_offset 0
		.amdhsa_user_sgpr_private_segment_size 0
		.amdhsa_uses_dynamic_stack 0
		.amdhsa_enable_private_segment 0
		.amdhsa_system_sgpr_workgroup_id_x 1
		.amdhsa_system_sgpr_workgroup_id_y 0
		.amdhsa_system_sgpr_workgroup_id_z 0
		.amdhsa_system_sgpr_workgroup_info 0
		.amdhsa_system_vgpr_workitem_id 0
		.amdhsa_next_free_vgpr 21
		.amdhsa_next_free_sgpr 40
		.amdhsa_accum_offset 24
		.amdhsa_reserve_vcc 1
		.amdhsa_float_round_mode_32 0
		.amdhsa_float_round_mode_16_64 0
		.amdhsa_float_denorm_mode_32 3
		.amdhsa_float_denorm_mode_16_64 3
		.amdhsa_dx10_clamp 1
		.amdhsa_ieee_mode 1
		.amdhsa_fp16_overflow 0
		.amdhsa_tg_split 0
		.amdhsa_exception_fp_ieee_invalid_op 0
		.amdhsa_exception_fp_denorm_src 0
		.amdhsa_exception_fp_ieee_div_zero 0
		.amdhsa_exception_fp_ieee_overflow 0
		.amdhsa_exception_fp_ieee_underflow 0
		.amdhsa_exception_fp_ieee_inexact 0
		.amdhsa_exception_int_div_zero 0
	.end_amdhsa_kernel
	.section	.text._ZN2at6native29vectorized_elementwise_kernelILi2EZZZNS0_21clamp_max_kernel_cudaERNS_18TensorIteratorBaseERKN3c106ScalarEENKUlvE_clEvENKUlvE0_clEvEUlaE_St5arrayIPcLm2EEEEviT0_T1_,"axG",@progbits,_ZN2at6native29vectorized_elementwise_kernelILi2EZZZNS0_21clamp_max_kernel_cudaERNS_18TensorIteratorBaseERKN3c106ScalarEENKUlvE_clEvENKUlvE0_clEvEUlaE_St5arrayIPcLm2EEEEviT0_T1_,comdat
.Lfunc_end429:
	.size	_ZN2at6native29vectorized_elementwise_kernelILi2EZZZNS0_21clamp_max_kernel_cudaERNS_18TensorIteratorBaseERKN3c106ScalarEENKUlvE_clEvENKUlvE0_clEvEUlaE_St5arrayIPcLm2EEEEviT0_T1_, .Lfunc_end429-_ZN2at6native29vectorized_elementwise_kernelILi2EZZZNS0_21clamp_max_kernel_cudaERNS_18TensorIteratorBaseERKN3c106ScalarEENKUlvE_clEvENKUlvE0_clEvEUlaE_St5arrayIPcLm2EEEEviT0_T1_
                                        ; -- End function
	.set _ZN2at6native29vectorized_elementwise_kernelILi2EZZZNS0_21clamp_max_kernel_cudaERNS_18TensorIteratorBaseERKN3c106ScalarEENKUlvE_clEvENKUlvE0_clEvEUlaE_St5arrayIPcLm2EEEEviT0_T1_.num_vgpr, 21
	.set _ZN2at6native29vectorized_elementwise_kernelILi2EZZZNS0_21clamp_max_kernel_cudaERNS_18TensorIteratorBaseERKN3c106ScalarEENKUlvE_clEvENKUlvE0_clEvEUlaE_St5arrayIPcLm2EEEEviT0_T1_.num_agpr, 0
	.set _ZN2at6native29vectorized_elementwise_kernelILi2EZZZNS0_21clamp_max_kernel_cudaERNS_18TensorIteratorBaseERKN3c106ScalarEENKUlvE_clEvENKUlvE0_clEvEUlaE_St5arrayIPcLm2EEEEviT0_T1_.numbered_sgpr, 40
	.set _ZN2at6native29vectorized_elementwise_kernelILi2EZZZNS0_21clamp_max_kernel_cudaERNS_18TensorIteratorBaseERKN3c106ScalarEENKUlvE_clEvENKUlvE0_clEvEUlaE_St5arrayIPcLm2EEEEviT0_T1_.num_named_barrier, 0
	.set _ZN2at6native29vectorized_elementwise_kernelILi2EZZZNS0_21clamp_max_kernel_cudaERNS_18TensorIteratorBaseERKN3c106ScalarEENKUlvE_clEvENKUlvE0_clEvEUlaE_St5arrayIPcLm2EEEEviT0_T1_.private_seg_size, 0
	.set _ZN2at6native29vectorized_elementwise_kernelILi2EZZZNS0_21clamp_max_kernel_cudaERNS_18TensorIteratorBaseERKN3c106ScalarEENKUlvE_clEvENKUlvE0_clEvEUlaE_St5arrayIPcLm2EEEEviT0_T1_.uses_vcc, 1
	.set _ZN2at6native29vectorized_elementwise_kernelILi2EZZZNS0_21clamp_max_kernel_cudaERNS_18TensorIteratorBaseERKN3c106ScalarEENKUlvE_clEvENKUlvE0_clEvEUlaE_St5arrayIPcLm2EEEEviT0_T1_.uses_flat_scratch, 0
	.set _ZN2at6native29vectorized_elementwise_kernelILi2EZZZNS0_21clamp_max_kernel_cudaERNS_18TensorIteratorBaseERKN3c106ScalarEENKUlvE_clEvENKUlvE0_clEvEUlaE_St5arrayIPcLm2EEEEviT0_T1_.has_dyn_sized_stack, 0
	.set _ZN2at6native29vectorized_elementwise_kernelILi2EZZZNS0_21clamp_max_kernel_cudaERNS_18TensorIteratorBaseERKN3c106ScalarEENKUlvE_clEvENKUlvE0_clEvEUlaE_St5arrayIPcLm2EEEEviT0_T1_.has_recursion, 0
	.set _ZN2at6native29vectorized_elementwise_kernelILi2EZZZNS0_21clamp_max_kernel_cudaERNS_18TensorIteratorBaseERKN3c106ScalarEENKUlvE_clEvENKUlvE0_clEvEUlaE_St5arrayIPcLm2EEEEviT0_T1_.has_indirect_call, 0
	.section	.AMDGPU.csdata,"",@progbits
; Kernel info:
; codeLenInByte = 3220
; TotalNumSgprs: 46
; NumVgprs: 21
; NumAgprs: 0
; TotalNumVgprs: 21
; ScratchSize: 0
; MemoryBound: 0
; FloatMode: 240
; IeeeMode: 1
; LDSByteSize: 0 bytes/workgroup (compile time only)
; SGPRBlocks: 5
; VGPRBlocks: 2
; NumSGPRsForWavesPerEU: 46
; NumVGPRsForWavesPerEU: 21
; AccumOffset: 24
; Occupancy: 8
; WaveLimiterHint : 1
; COMPUTE_PGM_RSRC2:SCRATCH_EN: 0
; COMPUTE_PGM_RSRC2:USER_SGPR: 2
; COMPUTE_PGM_RSRC2:TRAP_HANDLER: 0
; COMPUTE_PGM_RSRC2:TGID_X_EN: 1
; COMPUTE_PGM_RSRC2:TGID_Y_EN: 0
; COMPUTE_PGM_RSRC2:TGID_Z_EN: 0
; COMPUTE_PGM_RSRC2:TIDIG_COMP_CNT: 0
; COMPUTE_PGM_RSRC3_GFX90A:ACCUM_OFFSET: 5
; COMPUTE_PGM_RSRC3_GFX90A:TG_SPLIT: 0
	.section	.text._ZN2at6native27unrolled_elementwise_kernelIZZZNS0_21clamp_max_kernel_cudaERNS_18TensorIteratorBaseERKN3c106ScalarEENKUlvE_clEvENKUlvE0_clEvEUlaE_St5arrayIPcLm2EELi4E23TrivialOffsetCalculatorILi1EjESF_NS0_6memory15LoadWithoutCastENSG_16StoreWithoutCastEEEviT_T0_T2_T3_T4_T5_,"axG",@progbits,_ZN2at6native27unrolled_elementwise_kernelIZZZNS0_21clamp_max_kernel_cudaERNS_18TensorIteratorBaseERKN3c106ScalarEENKUlvE_clEvENKUlvE0_clEvEUlaE_St5arrayIPcLm2EELi4E23TrivialOffsetCalculatorILi1EjESF_NS0_6memory15LoadWithoutCastENSG_16StoreWithoutCastEEEviT_T0_T2_T3_T4_T5_,comdat
	.globl	_ZN2at6native27unrolled_elementwise_kernelIZZZNS0_21clamp_max_kernel_cudaERNS_18TensorIteratorBaseERKN3c106ScalarEENKUlvE_clEvENKUlvE0_clEvEUlaE_St5arrayIPcLm2EELi4E23TrivialOffsetCalculatorILi1EjESF_NS0_6memory15LoadWithoutCastENSG_16StoreWithoutCastEEEviT_T0_T2_T3_T4_T5_ ; -- Begin function _ZN2at6native27unrolled_elementwise_kernelIZZZNS0_21clamp_max_kernel_cudaERNS_18TensorIteratorBaseERKN3c106ScalarEENKUlvE_clEvENKUlvE0_clEvEUlaE_St5arrayIPcLm2EELi4E23TrivialOffsetCalculatorILi1EjESF_NS0_6memory15LoadWithoutCastENSG_16StoreWithoutCastEEEviT_T0_T2_T3_T4_T5_
	.p2align	8
	.type	_ZN2at6native27unrolled_elementwise_kernelIZZZNS0_21clamp_max_kernel_cudaERNS_18TensorIteratorBaseERKN3c106ScalarEENKUlvE_clEvENKUlvE0_clEvEUlaE_St5arrayIPcLm2EELi4E23TrivialOffsetCalculatorILi1EjESF_NS0_6memory15LoadWithoutCastENSG_16StoreWithoutCastEEEviT_T0_T2_T3_T4_T5_,@function
_ZN2at6native27unrolled_elementwise_kernelIZZZNS0_21clamp_max_kernel_cudaERNS_18TensorIteratorBaseERKN3c106ScalarEENKUlvE_clEvENKUlvE0_clEvEUlaE_St5arrayIPcLm2EELi4E23TrivialOffsetCalculatorILi1EjESF_NS0_6memory15LoadWithoutCastENSG_16StoreWithoutCastEEEviT_T0_T2_T3_T4_T5_: ; @_ZN2at6native27unrolled_elementwise_kernelIZZZNS0_21clamp_max_kernel_cudaERNS_18TensorIteratorBaseERKN3c106ScalarEENKUlvE_clEvENKUlvE0_clEvEUlaE_St5arrayIPcLm2EELi4E23TrivialOffsetCalculatorILi1EjESF_NS0_6memory15LoadWithoutCastENSG_16StoreWithoutCastEEEviT_T0_T2_T3_T4_T5_
; %bb.0:
	s_load_dwordx2 s[8:9], s[0:1], 0x0
	s_load_dwordx4 s[4:7], s[0:1], 0x8
	s_lshl_b32 s16, s2, 10
	v_or_b32_e32 v1, 0x100, v0
	v_mov_b32_e32 v3, 0
	s_waitcnt lgkmcnt(0)
	s_sub_i32 s8, s8, s16
	v_cmp_gt_i32_e32 vcc, s8, v0
	v_or_b32_e32 v2, s16, v0
	v_mov_b32_e32 v5, 0
	v_mov_b32_e32 v4, 0
	;; [unrolled: 1-line block ×3, first 2 shown]
	s_and_saveexec_b64 s[2:3], vcc
	s_cbranch_execz .LBB430_8
; %bb.1:
	global_load_ubyte v6, v2, s[6:7]
	v_cmp_gt_u32_e64 s[0:1], s8, v1
	v_mov_b32_e32 v4, 0
	v_mov_b32_e32 v5, 0
	;; [unrolled: 1-line block ×3, first 2 shown]
	s_and_saveexec_b64 s[10:11], s[0:1]
	s_cbranch_execz .LBB430_7
; %bb.2:
	v_add_u32_e32 v3, s16, v1
	global_load_ubyte v4, v3, s[6:7]
	v_or_b32_e32 v7, 0x200, v0
	v_cmp_gt_u32_e64 s[0:1], s8, v7
	v_mov_b32_e32 v5, 0
	v_mov_b32_e32 v3, 0
	s_and_saveexec_b64 s[12:13], s[0:1]
	s_cbranch_execz .LBB430_6
; %bb.3:
	v_add_u32_e32 v3, s16, v7
	global_load_ubyte v5, v3, s[6:7]
	v_or_b32_e32 v7, 0x300, v0
	v_cmp_gt_u32_e64 s[0:1], s8, v7
	v_mov_b32_e32 v3, 0
	s_and_saveexec_b64 s[14:15], s[0:1]
	s_cbranch_execz .LBB430_5
; %bb.4:
	v_add_u32_e32 v3, s16, v7
	global_load_ubyte v3, v3, s[6:7]
.LBB430_5:
	s_or_b64 exec, exec, s[14:15]
.LBB430_6:
	s_or_b64 exec, exec, s[12:13]
.LBB430_7:
	s_or_b64 exec, exec, s[10:11]
.LBB430_8:
	s_or_b64 exec, exec, s[2:3]
	s_bfe_i32 s2, s9, 0x80000
	s_waitcnt vmcnt(0)
	v_min_i16_sdwa v6, sext(v6), s2 dst_sel:DWORD dst_unused:UNUSED_PAD src0_sel:BYTE_0 src1_sel:DWORD
	s_mov_b32 s6, 0xffff
	v_and_b32_sdwa v6, s6, v6 dst_sel:DWORD dst_unused:UNUSED_PAD src0_sel:DWORD src1_sel:BYTE_0
	v_cndmask_b32_e32 v6, 0, v6, vcc
	v_min_i16_sdwa v4, sext(v4), s2 dst_sel:BYTE_1 dst_unused:UNUSED_PAD src0_sel:BYTE_0 src1_sel:DWORD
	v_cmp_gt_i32_e64 s[0:1], s8, v1
	v_or_b32_e32 v4, v6, v4
	v_and_b32_e32 v4, 0xffff, v4
	v_cndmask_b32_e64 v4, v6, v4, s[0:1]
	v_min_i16_sdwa v5, sext(v5), s2 dst_sel:DWORD dst_unused:UNUSED_PAD src0_sel:BYTE_0 src1_sel:DWORD
	s_mov_b32 s0, 0xc0c0304
	v_or_b32_e32 v6, 0x200, v0
	v_perm_b32 v5, v5, v4, s0
	v_lshl_or_b32 v5, v5, 16, v4
	v_cmp_gt_i32_e64 s[0:1], s8, v6
	s_movk_i32 s3, 0xff
	v_min_i16_sdwa v3, sext(v3), s2 dst_sel:BYTE_1 dst_unused:UNUSED_PAD src0_sel:BYTE_0 src1_sel:DWORD
	v_cndmask_b32_e64 v4, v4, v5, s[0:1]
	v_lshrrev_b32_e32 v5, 16, v4
	v_bitop3_b16 v3, v5, v3, s3 bitop3:0xec
	v_or_b32_e32 v6, 0x300, v0
	v_lshlrev_b32_e32 v3, 16, v3
	v_and_or_b32 v3, v4, s6, v3
	v_cmp_gt_i32_e64 s[0:1], s8, v6
	s_nop 1
	v_cndmask_b32_e64 v3, v4, v3, s[0:1]
	s_and_saveexec_b64 s[0:1], vcc
	s_cbranch_execnz .LBB430_13
; %bb.9:
	s_or_b64 exec, exec, s[0:1]
	v_cmp_gt_i32_e32 vcc, s8, v0
	s_and_saveexec_b64 s[0:1], vcc
	s_cbranch_execnz .LBB430_14
.LBB430_10:
	s_or_b64 exec, exec, s[0:1]
	v_cmp_gt_i32_e32 vcc, s8, v0
	s_and_saveexec_b64 s[0:1], vcc
	s_cbranch_execnz .LBB430_15
.LBB430_11:
	s_or_b64 exec, exec, s[0:1]
	v_cmp_gt_i32_e32 vcc, s8, v0
	s_and_saveexec_b64 s[0:1], vcc
	s_cbranch_execnz .LBB430_16
.LBB430_12:
	s_endpgm
.LBB430_13:
	v_mov_b32_e32 v0, v1
	global_store_byte v2, v3, s[4:5]
	s_or_b64 exec, exec, s[0:1]
	v_cmp_gt_i32_e32 vcc, s8, v0
	s_and_saveexec_b64 s[0:1], vcc
	s_cbranch_execz .LBB430_10
.LBB430_14:
	v_add_u32_e32 v1, 0x100, v0
	v_add_u32_e32 v0, s16, v0
	v_lshrrev_b32_e32 v2, 8, v3
	global_store_byte v0, v2, s[4:5]
	v_mov_b32_e32 v0, v1
	s_or_b64 exec, exec, s[0:1]
	v_cmp_gt_i32_e32 vcc, s8, v0
	s_and_saveexec_b64 s[0:1], vcc
	s_cbranch_execz .LBB430_11
.LBB430_15:
	v_add_u32_e32 v1, 0x100, v0
	v_add_u32_e32 v0, s16, v0
	global_store_byte_d16_hi v0, v3, s[4:5]
	v_mov_b32_e32 v0, v1
	s_or_b64 exec, exec, s[0:1]
	v_cmp_gt_i32_e32 vcc, s8, v0
	s_and_saveexec_b64 s[0:1], vcc
	s_cbranch_execz .LBB430_12
.LBB430_16:
	v_add_u32_e32 v0, s16, v0
	v_lshrrev_b32_e32 v1, 24, v3
	global_store_byte v0, v1, s[4:5]
	s_endpgm
	.section	.rodata,"a",@progbits
	.p2align	6, 0x0
	.amdhsa_kernel _ZN2at6native27unrolled_elementwise_kernelIZZZNS0_21clamp_max_kernel_cudaERNS_18TensorIteratorBaseERKN3c106ScalarEENKUlvE_clEvENKUlvE0_clEvEUlaE_St5arrayIPcLm2EELi4E23TrivialOffsetCalculatorILi1EjESF_NS0_6memory15LoadWithoutCastENSG_16StoreWithoutCastEEEviT_T0_T2_T3_T4_T5_
		.amdhsa_group_segment_fixed_size 0
		.amdhsa_private_segment_fixed_size 0
		.amdhsa_kernarg_size 28
		.amdhsa_user_sgpr_count 2
		.amdhsa_user_sgpr_dispatch_ptr 0
		.amdhsa_user_sgpr_queue_ptr 0
		.amdhsa_user_sgpr_kernarg_segment_ptr 1
		.amdhsa_user_sgpr_dispatch_id 0
		.amdhsa_user_sgpr_kernarg_preload_length 0
		.amdhsa_user_sgpr_kernarg_preload_offset 0
		.amdhsa_user_sgpr_private_segment_size 0
		.amdhsa_uses_dynamic_stack 0
		.amdhsa_enable_private_segment 0
		.amdhsa_system_sgpr_workgroup_id_x 1
		.amdhsa_system_sgpr_workgroup_id_y 0
		.amdhsa_system_sgpr_workgroup_id_z 0
		.amdhsa_system_sgpr_workgroup_info 0
		.amdhsa_system_vgpr_workitem_id 0
		.amdhsa_next_free_vgpr 8
		.amdhsa_next_free_sgpr 17
		.amdhsa_accum_offset 8
		.amdhsa_reserve_vcc 1
		.amdhsa_float_round_mode_32 0
		.amdhsa_float_round_mode_16_64 0
		.amdhsa_float_denorm_mode_32 3
		.amdhsa_float_denorm_mode_16_64 3
		.amdhsa_dx10_clamp 1
		.amdhsa_ieee_mode 1
		.amdhsa_fp16_overflow 0
		.amdhsa_tg_split 0
		.amdhsa_exception_fp_ieee_invalid_op 0
		.amdhsa_exception_fp_denorm_src 0
		.amdhsa_exception_fp_ieee_div_zero 0
		.amdhsa_exception_fp_ieee_overflow 0
		.amdhsa_exception_fp_ieee_underflow 0
		.amdhsa_exception_fp_ieee_inexact 0
		.amdhsa_exception_int_div_zero 0
	.end_amdhsa_kernel
	.section	.text._ZN2at6native27unrolled_elementwise_kernelIZZZNS0_21clamp_max_kernel_cudaERNS_18TensorIteratorBaseERKN3c106ScalarEENKUlvE_clEvENKUlvE0_clEvEUlaE_St5arrayIPcLm2EELi4E23TrivialOffsetCalculatorILi1EjESF_NS0_6memory15LoadWithoutCastENSG_16StoreWithoutCastEEEviT_T0_T2_T3_T4_T5_,"axG",@progbits,_ZN2at6native27unrolled_elementwise_kernelIZZZNS0_21clamp_max_kernel_cudaERNS_18TensorIteratorBaseERKN3c106ScalarEENKUlvE_clEvENKUlvE0_clEvEUlaE_St5arrayIPcLm2EELi4E23TrivialOffsetCalculatorILi1EjESF_NS0_6memory15LoadWithoutCastENSG_16StoreWithoutCastEEEviT_T0_T2_T3_T4_T5_,comdat
.Lfunc_end430:
	.size	_ZN2at6native27unrolled_elementwise_kernelIZZZNS0_21clamp_max_kernel_cudaERNS_18TensorIteratorBaseERKN3c106ScalarEENKUlvE_clEvENKUlvE0_clEvEUlaE_St5arrayIPcLm2EELi4E23TrivialOffsetCalculatorILi1EjESF_NS0_6memory15LoadWithoutCastENSG_16StoreWithoutCastEEEviT_T0_T2_T3_T4_T5_, .Lfunc_end430-_ZN2at6native27unrolled_elementwise_kernelIZZZNS0_21clamp_max_kernel_cudaERNS_18TensorIteratorBaseERKN3c106ScalarEENKUlvE_clEvENKUlvE0_clEvEUlaE_St5arrayIPcLm2EELi4E23TrivialOffsetCalculatorILi1EjESF_NS0_6memory15LoadWithoutCastENSG_16StoreWithoutCastEEEviT_T0_T2_T3_T4_T5_
                                        ; -- End function
	.set _ZN2at6native27unrolled_elementwise_kernelIZZZNS0_21clamp_max_kernel_cudaERNS_18TensorIteratorBaseERKN3c106ScalarEENKUlvE_clEvENKUlvE0_clEvEUlaE_St5arrayIPcLm2EELi4E23TrivialOffsetCalculatorILi1EjESF_NS0_6memory15LoadWithoutCastENSG_16StoreWithoutCastEEEviT_T0_T2_T3_T4_T5_.num_vgpr, 8
	.set _ZN2at6native27unrolled_elementwise_kernelIZZZNS0_21clamp_max_kernel_cudaERNS_18TensorIteratorBaseERKN3c106ScalarEENKUlvE_clEvENKUlvE0_clEvEUlaE_St5arrayIPcLm2EELi4E23TrivialOffsetCalculatorILi1EjESF_NS0_6memory15LoadWithoutCastENSG_16StoreWithoutCastEEEviT_T0_T2_T3_T4_T5_.num_agpr, 0
	.set _ZN2at6native27unrolled_elementwise_kernelIZZZNS0_21clamp_max_kernel_cudaERNS_18TensorIteratorBaseERKN3c106ScalarEENKUlvE_clEvENKUlvE0_clEvEUlaE_St5arrayIPcLm2EELi4E23TrivialOffsetCalculatorILi1EjESF_NS0_6memory15LoadWithoutCastENSG_16StoreWithoutCastEEEviT_T0_T2_T3_T4_T5_.numbered_sgpr, 17
	.set _ZN2at6native27unrolled_elementwise_kernelIZZZNS0_21clamp_max_kernel_cudaERNS_18TensorIteratorBaseERKN3c106ScalarEENKUlvE_clEvENKUlvE0_clEvEUlaE_St5arrayIPcLm2EELi4E23TrivialOffsetCalculatorILi1EjESF_NS0_6memory15LoadWithoutCastENSG_16StoreWithoutCastEEEviT_T0_T2_T3_T4_T5_.num_named_barrier, 0
	.set _ZN2at6native27unrolled_elementwise_kernelIZZZNS0_21clamp_max_kernel_cudaERNS_18TensorIteratorBaseERKN3c106ScalarEENKUlvE_clEvENKUlvE0_clEvEUlaE_St5arrayIPcLm2EELi4E23TrivialOffsetCalculatorILi1EjESF_NS0_6memory15LoadWithoutCastENSG_16StoreWithoutCastEEEviT_T0_T2_T3_T4_T5_.private_seg_size, 0
	.set _ZN2at6native27unrolled_elementwise_kernelIZZZNS0_21clamp_max_kernel_cudaERNS_18TensorIteratorBaseERKN3c106ScalarEENKUlvE_clEvENKUlvE0_clEvEUlaE_St5arrayIPcLm2EELi4E23TrivialOffsetCalculatorILi1EjESF_NS0_6memory15LoadWithoutCastENSG_16StoreWithoutCastEEEviT_T0_T2_T3_T4_T5_.uses_vcc, 1
	.set _ZN2at6native27unrolled_elementwise_kernelIZZZNS0_21clamp_max_kernel_cudaERNS_18TensorIteratorBaseERKN3c106ScalarEENKUlvE_clEvENKUlvE0_clEvEUlaE_St5arrayIPcLm2EELi4E23TrivialOffsetCalculatorILi1EjESF_NS0_6memory15LoadWithoutCastENSG_16StoreWithoutCastEEEviT_T0_T2_T3_T4_T5_.uses_flat_scratch, 0
	.set _ZN2at6native27unrolled_elementwise_kernelIZZZNS0_21clamp_max_kernel_cudaERNS_18TensorIteratorBaseERKN3c106ScalarEENKUlvE_clEvENKUlvE0_clEvEUlaE_St5arrayIPcLm2EELi4E23TrivialOffsetCalculatorILi1EjESF_NS0_6memory15LoadWithoutCastENSG_16StoreWithoutCastEEEviT_T0_T2_T3_T4_T5_.has_dyn_sized_stack, 0
	.set _ZN2at6native27unrolled_elementwise_kernelIZZZNS0_21clamp_max_kernel_cudaERNS_18TensorIteratorBaseERKN3c106ScalarEENKUlvE_clEvENKUlvE0_clEvEUlaE_St5arrayIPcLm2EELi4E23TrivialOffsetCalculatorILi1EjESF_NS0_6memory15LoadWithoutCastENSG_16StoreWithoutCastEEEviT_T0_T2_T3_T4_T5_.has_recursion, 0
	.set _ZN2at6native27unrolled_elementwise_kernelIZZZNS0_21clamp_max_kernel_cudaERNS_18TensorIteratorBaseERKN3c106ScalarEENKUlvE_clEvENKUlvE0_clEvEUlaE_St5arrayIPcLm2EELi4E23TrivialOffsetCalculatorILi1EjESF_NS0_6memory15LoadWithoutCastENSG_16StoreWithoutCastEEEviT_T0_T2_T3_T4_T5_.has_indirect_call, 0
	.section	.AMDGPU.csdata,"",@progbits
; Kernel info:
; codeLenInByte = 604
; TotalNumSgprs: 23
; NumVgprs: 8
; NumAgprs: 0
; TotalNumVgprs: 8
; ScratchSize: 0
; MemoryBound: 0
; FloatMode: 240
; IeeeMode: 1
; LDSByteSize: 0 bytes/workgroup (compile time only)
; SGPRBlocks: 2
; VGPRBlocks: 0
; NumSGPRsForWavesPerEU: 23
; NumVGPRsForWavesPerEU: 8
; AccumOffset: 8
; Occupancy: 8
; WaveLimiterHint : 0
; COMPUTE_PGM_RSRC2:SCRATCH_EN: 0
; COMPUTE_PGM_RSRC2:USER_SGPR: 2
; COMPUTE_PGM_RSRC2:TRAP_HANDLER: 0
; COMPUTE_PGM_RSRC2:TGID_X_EN: 1
; COMPUTE_PGM_RSRC2:TGID_Y_EN: 0
; COMPUTE_PGM_RSRC2:TGID_Z_EN: 0
; COMPUTE_PGM_RSRC2:TIDIG_COMP_CNT: 0
; COMPUTE_PGM_RSRC3_GFX90A:ACCUM_OFFSET: 1
; COMPUTE_PGM_RSRC3_GFX90A:TG_SPLIT: 0
	.section	.text._ZN2at6native32elementwise_kernel_manual_unrollILi128ELi8EZNS0_22gpu_kernel_impl_nocastIZZZNS0_21clamp_max_kernel_cudaERNS_18TensorIteratorBaseERKN3c106ScalarEENKUlvE_clEvENKUlvE0_clEvEUlaE_EEvS4_RKT_EUlibE_EEviT1_,"axG",@progbits,_ZN2at6native32elementwise_kernel_manual_unrollILi128ELi8EZNS0_22gpu_kernel_impl_nocastIZZZNS0_21clamp_max_kernel_cudaERNS_18TensorIteratorBaseERKN3c106ScalarEENKUlvE_clEvENKUlvE0_clEvEUlaE_EEvS4_RKT_EUlibE_EEviT1_,comdat
	.globl	_ZN2at6native32elementwise_kernel_manual_unrollILi128ELi8EZNS0_22gpu_kernel_impl_nocastIZZZNS0_21clamp_max_kernel_cudaERNS_18TensorIteratorBaseERKN3c106ScalarEENKUlvE_clEvENKUlvE0_clEvEUlaE_EEvS4_RKT_EUlibE_EEviT1_ ; -- Begin function _ZN2at6native32elementwise_kernel_manual_unrollILi128ELi8EZNS0_22gpu_kernel_impl_nocastIZZZNS0_21clamp_max_kernel_cudaERNS_18TensorIteratorBaseERKN3c106ScalarEENKUlvE_clEvENKUlvE0_clEvEUlaE_EEvS4_RKT_EUlibE_EEviT1_
	.p2align	8
	.type	_ZN2at6native32elementwise_kernel_manual_unrollILi128ELi8EZNS0_22gpu_kernel_impl_nocastIZZZNS0_21clamp_max_kernel_cudaERNS_18TensorIteratorBaseERKN3c106ScalarEENKUlvE_clEvENKUlvE0_clEvEUlaE_EEvS4_RKT_EUlibE_EEviT1_,@function
_ZN2at6native32elementwise_kernel_manual_unrollILi128ELi8EZNS0_22gpu_kernel_impl_nocastIZZZNS0_21clamp_max_kernel_cudaERNS_18TensorIteratorBaseERKN3c106ScalarEENKUlvE_clEvENKUlvE0_clEvEUlaE_EEvS4_RKT_EUlibE_EEviT1_: ; @_ZN2at6native32elementwise_kernel_manual_unrollILi128ELi8EZNS0_22gpu_kernel_impl_nocastIZZZNS0_21clamp_max_kernel_cudaERNS_18TensorIteratorBaseERKN3c106ScalarEENKUlvE_clEvENKUlvE0_clEvEUlaE_EEvS4_RKT_EUlibE_EEviT1_
; %bb.0:
	s_load_dword s56, s[0:1], 0x0
	s_load_dword s33, s[0:1], 0x8
	s_add_u32 s34, s0, 8
	s_addc_u32 s35, s1, 0
	v_lshl_or_b32 v24, s2, 10, v0
	v_or_b32_e32 v32, 0x380, v24
	s_waitcnt lgkmcnt(0)
	s_add_i32 s54, s33, -1
	s_cmp_gt_u32 s54, 1
	v_cmp_le_i32_e32 vcc, s56, v32
	s_cselect_b64 s[36:37], -1, 0
	s_and_saveexec_b64 s[0:1], vcc
	s_xor_b64 s[38:39], exec, s[0:1]
	s_cbranch_execz .LBB431_8
; %bb.1:
	s_load_dwordx4 s[24:27], s[34:35], 0x4
	s_load_dwordx2 s[40:41], s[34:35], 0x14
	s_load_dwordx4 s[20:23], s[34:35], 0xc4
	s_load_dwordx4 s[16:19], s[34:35], 0x148
	s_load_dword s55, s[34:35], 0x158
	s_cmp_lg_u32 s33, 0
	s_cselect_b64 s[46:47], -1, 0
	s_add_u32 s44, s34, 0xc4
	s_addc_u32 s45, s35, 0
	s_min_u32 s57, s54, 15
	s_cmp_gt_u32 s33, 1
	s_cselect_b64 s[42:43], -1, 0
	v_cmp_gt_i32_e32 vcc, s56, v24
	s_and_saveexec_b64 s[48:49], vcc
	s_cbranch_execz .LBB431_15
; %bb.2:
	s_andn2_b64 vcc, exec, s[36:37]
	s_cbranch_vccnz .LBB431_23
; %bb.3:
	s_andn2_b64 vcc, exec, s[46:47]
	s_cbranch_vccnz .LBB431_131
; %bb.4:
	s_add_i32 s59, s57, 1
	s_cmp_eq_u32 s54, 2
	s_cbranch_scc1 .LBB431_133
; %bb.5:
	s_and_b32 s58, s59, 28
	s_mov_b32 s60, 0
	v_mov_b32_e32 v0, 0
	v_mov_b32_e32 v2, 0
	s_mov_b64 s[50:51], s[34:35]
	s_mov_b64 s[52:53], s[44:45]
	v_mov_b32_e32 v4, v24
.LBB431_6:                              ; =>This Inner Loop Header: Depth=1
	s_load_dwordx8 s[8:15], s[50:51], 0x4
	s_load_dwordx4 s[28:31], s[50:51], 0x24
	s_load_dwordx8 s[0:7], s[52:53], 0x0
	s_add_u32 s50, s50, 48
	s_addc_u32 s51, s51, 0
	s_waitcnt lgkmcnt(0)
	v_mul_hi_u32 v1, s9, v4
	v_add_u32_e32 v1, v4, v1
	v_lshrrev_b32_e32 v1, s10, v1
	v_mul_lo_u32 v3, v1, s8
	v_mul_hi_u32 v5, s12, v1
	v_sub_u32_e32 v3, v4, v3
	v_add_u32_e32 v4, v1, v5
	v_lshrrev_b32_e32 v4, s13, v4
	v_mul_lo_u32 v6, v4, s11
	v_mul_hi_u32 v7, s15, v4
	v_sub_u32_e32 v1, v1, v6
	v_add_u32_e32 v6, v4, v7
	v_mul_lo_u32 v5, v3, s1
	v_mul_lo_u32 v3, v3, s0
	;; [unrolled: 1-line block ×4, first 2 shown]
	v_lshrrev_b32_e32 v6, s28, v6
	v_add3_u32 v0, v3, v0, v1
	v_mul_hi_u32 v3, s30, v6
	v_add3_u32 v1, v5, v2, v7
	v_mul_lo_u32 v2, v6, s14
	v_add_u32_e32 v3, v6, v3
	v_sub_u32_e32 v2, v4, v2
	v_lshrrev_b32_e32 v4, s31, v3
	s_add_i32 s60, s60, 4
	v_mul_lo_u32 v3, v4, s29
	s_add_u32 s52, s52, 32
	v_sub_u32_e32 v3, v6, v3
	s_addc_u32 s53, s53, 0
	v_mul_lo_u32 v5, v2, s4
	v_mul_lo_u32 v2, v2, s5
	;; [unrolled: 1-line block ×4, first 2 shown]
	s_cmp_lg_u32 s58, s60
	v_add3_u32 v2, v2, v1, v3
	v_add3_u32 v0, v5, v0, v6
	s_cbranch_scc1 .LBB431_6
; %bb.7:
	v_mov_b32_e32 v1, v2
	s_branch .LBB431_134
.LBB431_8:
	s_andn2_saveexec_b64 s[0:1], s[38:39]
	s_cbranch_execz .LBB431_228
.LBB431_9:
	v_cndmask_b32_e64 v0, 0, 1, s[36:37]
	v_cmp_ne_u32_e64 s[0:1], 1, v0
	s_andn2_b64 vcc, exec, s[36:37]
	s_cbranch_vccnz .LBB431_22
; %bb.10:
	s_cmp_lg_u32 s33, 0
	s_waitcnt lgkmcnt(0)
	s_mov_b32 s26, 0
	s_cbranch_scc0 .LBB431_25
; %bb.11:
	s_min_u32 s27, s54, 15
	s_add_i32 s27, s27, 1
	s_cmp_eq_u32 s54, 2
	s_cbranch_scc1 .LBB431_26
; %bb.12:
	s_and_b32 s26, s27, 28
	s_add_u32 s2, s34, 0xc4
	s_addc_u32 s3, s35, 0
	s_mov_b32 s28, 0
	v_mov_b32_e32 v0, 0
	v_mov_b32_e32 v2, 0
	s_mov_b64 s[24:25], s[34:35]
	v_mov_b32_e32 v4, v24
.LBB431_13:                             ; =>This Inner Loop Header: Depth=1
	s_load_dwordx8 s[12:19], s[24:25], 0x4
	s_load_dwordx4 s[20:23], s[24:25], 0x24
	s_load_dwordx8 s[4:11], s[2:3], 0x0
	s_add_u32 s24, s24, 48
	s_addc_u32 s25, s25, 0
	s_waitcnt lgkmcnt(0)
	v_mul_hi_u32 v1, s13, v4
	v_add_u32_e32 v1, v4, v1
	v_lshrrev_b32_e32 v1, s14, v1
	v_mul_lo_u32 v3, v1, s12
	v_mul_hi_u32 v5, s16, v1
	v_sub_u32_e32 v3, v4, v3
	v_add_u32_e32 v4, v1, v5
	v_lshrrev_b32_e32 v4, s17, v4
	v_mul_lo_u32 v6, v4, s15
	v_mul_hi_u32 v7, s19, v4
	v_sub_u32_e32 v1, v1, v6
	v_add_u32_e32 v6, v4, v7
	v_mul_lo_u32 v5, v3, s5
	v_mul_lo_u32 v3, v3, s4
	;; [unrolled: 1-line block ×4, first 2 shown]
	v_lshrrev_b32_e32 v6, s20, v6
	v_add3_u32 v0, v3, v0, v1
	v_mul_hi_u32 v3, s22, v6
	v_add3_u32 v1, v5, v2, v7
	v_mul_lo_u32 v2, v6, s18
	v_add_u32_e32 v3, v6, v3
	v_sub_u32_e32 v2, v4, v2
	v_lshrrev_b32_e32 v4, s23, v3
	s_add_i32 s28, s28, 4
	v_mul_lo_u32 v3, v4, s21
	s_add_u32 s2, s2, 32
	v_sub_u32_e32 v3, v6, v3
	s_addc_u32 s3, s3, 0
	v_mul_lo_u32 v5, v2, s8
	v_mul_lo_u32 v2, v2, s9
	;; [unrolled: 1-line block ×4, first 2 shown]
	s_cmp_lg_u32 s26, s28
	v_add3_u32 v2, v2, v1, v3
	v_add3_u32 v0, v5, v0, v6
	s_cbranch_scc1 .LBB431_13
; %bb.14:
	v_mov_b32_e32 v1, v2
	s_and_b32 s6, s27, 3
	s_cmp_eq_u32 s6, 0
	s_cbranch_scc0 .LBB431_27
	s_branch .LBB431_29
.LBB431_15:
	s_or_b64 exec, exec, s[48:49]
	v_cmp_gt_i32_e32 vcc, s56, v24
	s_and_saveexec_b64 s[48:49], vcc
	s_cbranch_execz .LBB431_141
.LBB431_16:
	s_andn2_b64 vcc, exec, s[36:37]
	s_cbranch_vccnz .LBB431_24
; %bb.17:
	s_andn2_b64 vcc, exec, s[46:47]
	s_cbranch_vccnz .LBB431_132
; %bb.18:
	s_add_i32 s59, s57, 1
	s_cmp_eq_u32 s54, 2
	s_cbranch_scc1 .LBB431_150
; %bb.19:
	s_and_b32 s58, s59, 28
	s_mov_b32 s60, 0
	v_mov_b32_e32 v0, 0
	v_mov_b32_e32 v2, 0
	s_mov_b64 s[50:51], s[34:35]
	s_mov_b64 s[52:53], s[44:45]
	v_mov_b32_e32 v4, v24
.LBB431_20:                             ; =>This Inner Loop Header: Depth=1
	s_load_dwordx8 s[8:15], s[50:51], 0x4
	s_load_dwordx4 s[28:31], s[50:51], 0x24
	s_load_dwordx8 s[0:7], s[52:53], 0x0
	s_add_u32 s50, s50, 48
	s_addc_u32 s51, s51, 0
	s_waitcnt lgkmcnt(0)
	v_mul_hi_u32 v1, s9, v4
	v_add_u32_e32 v1, v4, v1
	v_lshrrev_b32_e32 v1, s10, v1
	v_mul_lo_u32 v3, v1, s8
	v_mul_hi_u32 v5, s12, v1
	v_sub_u32_e32 v3, v4, v3
	v_add_u32_e32 v4, v1, v5
	v_lshrrev_b32_e32 v4, s13, v4
	v_mul_lo_u32 v6, v4, s11
	v_mul_hi_u32 v7, s15, v4
	v_sub_u32_e32 v1, v1, v6
	v_add_u32_e32 v6, v4, v7
	v_mul_lo_u32 v5, v3, s1
	v_mul_lo_u32 v3, v3, s0
	;; [unrolled: 1-line block ×4, first 2 shown]
	v_lshrrev_b32_e32 v6, s28, v6
	v_add3_u32 v0, v3, v0, v1
	v_mul_hi_u32 v3, s30, v6
	v_add3_u32 v1, v5, v2, v7
	v_mul_lo_u32 v2, v6, s14
	v_add_u32_e32 v3, v6, v3
	v_sub_u32_e32 v2, v4, v2
	v_lshrrev_b32_e32 v4, s31, v3
	s_add_i32 s60, s60, 4
	v_mul_lo_u32 v3, v4, s29
	s_add_u32 s52, s52, 32
	v_sub_u32_e32 v3, v6, v3
	s_addc_u32 s53, s53, 0
	v_mul_lo_u32 v5, v2, s4
	v_mul_lo_u32 v2, v2, s5
	;; [unrolled: 1-line block ×4, first 2 shown]
	s_cmp_eq_u32 s58, s60
	v_add3_u32 v2, v2, v1, v3
	v_add3_u32 v0, v5, v0, v6
	s_cbranch_scc0 .LBB431_20
; %bb.21:
	v_mov_b32_e32 v1, v2
	s_branch .LBB431_151
.LBB431_22:
                                        ; implicit-def: $vgpr2
                                        ; implicit-def: $vgpr0
	s_branch .LBB431_30
.LBB431_23:
                                        ; implicit-def: $vgpr2
                                        ; implicit-def: $vgpr0
	s_branch .LBB431_138
.LBB431_24:
                                        ; implicit-def: $vgpr2
                                        ; implicit-def: $vgpr0
	s_branch .LBB431_155
.LBB431_25:
	v_mov_b32_e32 v2, 0
	v_mov_b32_e32 v0, 0
	s_branch .LBB431_29
.LBB431_26:
	v_mov_b32_e32 v0, 0
                                        ; implicit-def: $vgpr2
	v_mov_b32_e32 v1, v0
	v_mov_b32_e32 v4, v24
	s_and_b32 s6, s27, 3
	s_cmp_eq_u32 s6, 0
	s_cbranch_scc1 .LBB431_29
.LBB431_27:
	s_lshl_b32 s2, s26, 3
	s_add_u32 s2, s34, s2
	s_addc_u32 s3, s35, 0
	s_add_u32 s2, s2, 0xc4
	s_addc_u32 s3, s3, 0
	s_mul_i32 s4, s26, 12
	s_add_u32 s4, s34, s4
	s_addc_u32 s5, s35, 0
.LBB431_28:                             ; =>This Inner Loop Header: Depth=1
	s_load_dwordx2 s[8:9], s[4:5], 0x4
	s_load_dword s7, s[4:5], 0xc
	s_load_dwordx2 s[10:11], s[2:3], 0x0
	v_mov_b32_e32 v2, v1
	s_add_u32 s4, s4, 12
	s_waitcnt lgkmcnt(0)
	v_mul_hi_u32 v1, s9, v4
	v_add_u32_e32 v1, v4, v1
	v_lshrrev_b32_e32 v1, s7, v1
	s_addc_u32 s5, s5, 0
	v_mul_lo_u32 v3, v1, s8
	s_add_u32 s2, s2, 8
	v_sub_u32_e32 v5, v4, v3
	s_addc_u32 s3, s3, 0
	s_add_i32 s6, s6, -1
	v_mov_b32_e32 v4, v1
	v_mad_u64_u32 v[2:3], s[8:9], v5, s11, v[2:3]
	v_mad_u64_u32 v[0:1], s[8:9], v5, s10, v[0:1]
	s_cmp_lg_u32 s6, 0
	v_mov_b32_e32 v1, v2
	s_cbranch_scc1 .LBB431_28
.LBB431_29:
	s_cbranch_execnz .LBB431_32
.LBB431_30:
	s_load_dwordx4 s[4:7], s[34:35], 0x4
	s_load_dwordx2 s[2:3], s[34:35], 0xc4
	s_cmp_lt_u32 s33, 2
	s_waitcnt lgkmcnt(0)
	v_mul_hi_u32 v0, s5, v24
	v_add_u32_e32 v0, v24, v0
	v_lshrrev_b32_e32 v1, s6, v0
	v_mul_lo_u32 v0, v1, s4
	v_sub_u32_e32 v0, v24, v0
	v_mul_lo_u32 v2, v0, s3
	v_mul_lo_u32 v0, v0, s2
	s_cbranch_scc1 .LBB431_32
; %bb.31:
	s_load_dwordx4 s[4:7], s[34:35], 0x10
	s_load_dwordx2 s[2:3], s[34:35], 0xcc
	s_waitcnt lgkmcnt(0)
	v_mul_hi_u32 v3, s5, v1
	v_add_u32_e32 v3, v1, v3
	v_lshrrev_b32_e32 v3, s6, v3
	v_mul_lo_u32 v3, v3, s4
	v_sub_u32_e32 v3, v1, v3
	v_mad_u64_u32 v[0:1], s[4:5], v3, s2, v[0:1]
	v_mad_u64_u32 v[2:3], s[2:3], v3, s3, v[2:3]
.LBB431_32:
	s_and_b64 vcc, exec, s[0:1]
	v_add_u32_e32 v3, 0x80, v24
	s_cbranch_vccnz .LBB431_38
; %bb.33:
	s_cmp_lg_u32 s33, 0
	s_waitcnt lgkmcnt(0)
	s_mov_b32 s26, 0
	s_cbranch_scc0 .LBB431_39
; %bb.34:
	s_min_u32 s27, s54, 15
	s_add_i32 s27, s27, 1
	s_cmp_eq_u32 s54, 2
	s_cbranch_scc1 .LBB431_40
; %bb.35:
	s_and_b32 s26, s27, 28
	s_add_u32 s2, s34, 0xc4
	s_addc_u32 s3, s35, 0
	s_mov_b32 s28, 0
	v_mov_b32_e32 v4, 0
	v_mov_b32_e32 v6, 0
	s_mov_b64 s[24:25], s[34:35]
	v_mov_b32_e32 v8, v3
.LBB431_36:                             ; =>This Inner Loop Header: Depth=1
	s_load_dwordx8 s[12:19], s[24:25], 0x4
	s_load_dwordx4 s[20:23], s[24:25], 0x24
	s_load_dwordx8 s[4:11], s[2:3], 0x0
	s_add_u32 s24, s24, 48
	s_addc_u32 s25, s25, 0
	s_waitcnt lgkmcnt(0)
	v_mul_hi_u32 v1, s13, v8
	v_add_u32_e32 v1, v8, v1
	v_lshrrev_b32_e32 v1, s14, v1
	v_mul_hi_u32 v7, s16, v1
	v_add_u32_e32 v7, v1, v7
	v_lshrrev_b32_e32 v7, s17, v7
	v_mul_lo_u32 v5, v1, s12
	v_mul_lo_u32 v9, v7, s15
	v_mul_hi_u32 v10, s19, v7
	v_sub_u32_e32 v5, v8, v5
	v_sub_u32_e32 v1, v1, v9
	v_add_u32_e32 v9, v7, v10
	v_mul_lo_u32 v8, v5, s5
	v_mul_lo_u32 v5, v5, s4
	;; [unrolled: 1-line block ×4, first 2 shown]
	v_lshrrev_b32_e32 v9, s20, v9
	v_add3_u32 v1, v5, v4, v1
	v_add3_u32 v4, v8, v6, v10
	v_mul_hi_u32 v6, s22, v9
	v_add_u32_e32 v6, v9, v6
	v_lshrrev_b32_e32 v8, s23, v6
	s_add_i32 s28, s28, 4
	v_mul_lo_u32 v5, v9, s18
	v_mul_lo_u32 v6, v8, s21
	s_add_u32 s2, s2, 32
	v_sub_u32_e32 v5, v7, v5
	v_sub_u32_e32 v6, v9, v6
	s_addc_u32 s3, s3, 0
	v_mul_lo_u32 v7, v5, s8
	v_mul_lo_u32 v5, v5, s9
	;; [unrolled: 1-line block ×4, first 2 shown]
	s_cmp_lg_u32 s26, s28
	v_add3_u32 v6, v5, v4, v6
	v_add3_u32 v4, v7, v1, v9
	s_cbranch_scc1 .LBB431_36
; %bb.37:
	v_mov_b32_e32 v1, v6
	s_and_b32 s6, s27, 3
	s_cmp_eq_u32 s6, 0
	s_cbranch_scc0 .LBB431_41
	s_branch .LBB431_43
.LBB431_38:
                                        ; implicit-def: $vgpr6
                                        ; implicit-def: $vgpr4
	s_branch .LBB431_44
.LBB431_39:
	v_mov_b32_e32 v6, 0
	v_mov_b32_e32 v4, 0
	s_branch .LBB431_43
.LBB431_40:
	v_mov_b32_e32 v4, 0
                                        ; implicit-def: $vgpr6
	v_mov_b32_e32 v1, v4
	v_mov_b32_e32 v8, v3
	s_and_b32 s6, s27, 3
	s_cmp_eq_u32 s6, 0
	s_cbranch_scc1 .LBB431_43
.LBB431_41:
	s_lshl_b32 s2, s26, 3
	s_add_u32 s2, s34, s2
	s_addc_u32 s3, s35, 0
	s_add_u32 s2, s2, 0xc4
	s_addc_u32 s3, s3, 0
	s_mul_i32 s4, s26, 12
	s_add_u32 s4, s34, s4
	s_addc_u32 s5, s35, 0
.LBB431_42:                             ; =>This Inner Loop Header: Depth=1
	s_load_dwordx2 s[8:9], s[4:5], 0x4
	s_load_dword s7, s[4:5], 0xc
	s_load_dwordx2 s[10:11], s[2:3], 0x0
	v_mov_b32_e32 v6, v1
	s_add_u32 s4, s4, 12
	s_waitcnt lgkmcnt(0)
	v_mul_hi_u32 v1, s9, v8
	v_add_u32_e32 v1, v8, v1
	v_lshrrev_b32_e32 v1, s7, v1
	s_addc_u32 s5, s5, 0
	v_mul_lo_u32 v5, v1, s8
	s_add_u32 s2, s2, 8
	v_sub_u32_e32 v5, v8, v5
	s_addc_u32 s3, s3, 0
	s_add_i32 s6, s6, -1
	v_mad_u64_u32 v[6:7], s[8:9], v5, s11, v[6:7]
	s_cmp_lg_u32 s6, 0
	v_mov_b32_e32 v8, v1
	v_mad_u64_u32 v[4:5], s[8:9], v5, s10, v[4:5]
	v_mov_b32_e32 v1, v6
	s_cbranch_scc1 .LBB431_42
.LBB431_43:
	s_cbranch_execnz .LBB431_46
.LBB431_44:
	s_load_dwordx4 s[4:7], s[34:35], 0x4
	s_load_dwordx2 s[2:3], s[34:35], 0xc4
	s_cmp_lt_u32 s33, 2
	s_waitcnt lgkmcnt(0)
	v_mul_hi_u32 v1, s5, v3
	v_add_u32_e32 v1, v3, v1
	v_lshrrev_b32_e32 v1, s6, v1
	v_mul_lo_u32 v4, v1, s4
	v_sub_u32_e32 v3, v3, v4
	v_mul_lo_u32 v6, v3, s3
	v_mul_lo_u32 v4, v3, s2
	s_cbranch_scc1 .LBB431_46
; %bb.45:
	s_load_dwordx4 s[4:7], s[34:35], 0x10
	s_load_dwordx2 s[2:3], s[34:35], 0xcc
	s_waitcnt lgkmcnt(0)
	v_mul_hi_u32 v3, s5, v1
	v_add_u32_e32 v3, v1, v3
	v_lshrrev_b32_e32 v3, s6, v3
	v_mul_lo_u32 v3, v3, s4
	v_sub_u32_e32 v1, v1, v3
	v_mad_u64_u32 v[4:5], s[4:5], v1, s2, v[4:5]
	v_mad_u64_u32 v[6:7], s[2:3], v1, s3, v[6:7]
.LBB431_46:
	s_and_b64 vcc, exec, s[0:1]
	v_add_u32_e32 v3, 0x100, v24
	s_cbranch_vccnz .LBB431_52
; %bb.47:
	s_cmp_lg_u32 s33, 0
	s_waitcnt lgkmcnt(0)
	s_mov_b32 s26, 0
	s_cbranch_scc0 .LBB431_53
; %bb.48:
	s_min_u32 s27, s54, 15
	s_add_i32 s27, s27, 1
	s_cmp_eq_u32 s54, 2
	s_cbranch_scc1 .LBB431_54
; %bb.49:
	s_and_b32 s26, s27, 28
	s_add_u32 s2, s34, 0xc4
	s_addc_u32 s3, s35, 0
	s_mov_b32 s28, 0
	v_mov_b32_e32 v8, 0
	v_mov_b32_e32 v10, 0
	s_mov_b64 s[24:25], s[34:35]
	v_mov_b32_e32 v5, v3
.LBB431_50:                             ; =>This Inner Loop Header: Depth=1
	s_load_dwordx8 s[12:19], s[24:25], 0x4
	s_load_dwordx4 s[20:23], s[24:25], 0x24
	s_load_dwordx8 s[4:11], s[2:3], 0x0
	s_add_u32 s24, s24, 48
	s_addc_u32 s25, s25, 0
	s_waitcnt lgkmcnt(0)
	v_mul_hi_u32 v1, s13, v5
	v_add_u32_e32 v1, v5, v1
	v_lshrrev_b32_e32 v1, s14, v1
	v_mul_lo_u32 v7, v1, s12
	v_mul_hi_u32 v9, s16, v1
	v_sub_u32_e32 v5, v5, v7
	v_add_u32_e32 v7, v1, v9
	v_lshrrev_b32_e32 v7, s17, v7
	v_mul_lo_u32 v11, v7, s15
	v_mul_hi_u32 v12, s19, v7
	v_sub_u32_e32 v1, v1, v11
	v_add_u32_e32 v11, v7, v12
	v_mul_lo_u32 v9, v5, s5
	v_mul_lo_u32 v5, v5, s4
	;; [unrolled: 1-line block ×4, first 2 shown]
	v_lshrrev_b32_e32 v11, s20, v11
	v_add3_u32 v1, v5, v8, v1
	v_add3_u32 v8, v9, v10, v12
	v_mul_lo_u32 v5, v11, s18
	v_mul_hi_u32 v9, s22, v11
	v_sub_u32_e32 v5, v7, v5
	v_add_u32_e32 v7, v11, v9
	v_mul_lo_u32 v9, v5, s8
	v_mul_lo_u32 v10, v5, s9
	v_lshrrev_b32_e32 v5, s23, v7
	s_add_i32 s28, s28, 4
	v_mul_lo_u32 v7, v5, s21
	s_add_u32 s2, s2, 32
	v_sub_u32_e32 v7, v11, v7
	s_addc_u32 s3, s3, 0
	v_mul_lo_u32 v11, v7, s10
	v_mul_lo_u32 v7, v7, s11
	s_cmp_lg_u32 s26, s28
	v_add3_u32 v10, v10, v8, v7
	v_add3_u32 v8, v9, v1, v11
	s_cbranch_scc1 .LBB431_50
; %bb.51:
	v_mov_b32_e32 v1, v10
	s_and_b32 s6, s27, 3
	s_cmp_eq_u32 s6, 0
	s_cbranch_scc0 .LBB431_55
	s_branch .LBB431_57
.LBB431_52:
                                        ; implicit-def: $vgpr10
                                        ; implicit-def: $vgpr8
	s_branch .LBB431_58
.LBB431_53:
	v_mov_b32_e32 v10, 0
	v_mov_b32_e32 v8, 0
	s_branch .LBB431_57
.LBB431_54:
	v_mov_b32_e32 v8, 0
                                        ; implicit-def: $vgpr10
	v_mov_b32_e32 v1, v8
	v_mov_b32_e32 v5, v3
	s_and_b32 s6, s27, 3
	s_cmp_eq_u32 s6, 0
	s_cbranch_scc1 .LBB431_57
.LBB431_55:
	s_lshl_b32 s2, s26, 3
	s_add_u32 s2, s34, s2
	s_addc_u32 s3, s35, 0
	s_add_u32 s2, s2, 0xc4
	s_addc_u32 s3, s3, 0
	s_mul_i32 s4, s26, 12
	s_add_u32 s4, s34, s4
	s_addc_u32 s5, s35, 0
.LBB431_56:                             ; =>This Inner Loop Header: Depth=1
	s_load_dwordx2 s[8:9], s[4:5], 0x4
	s_load_dword s7, s[4:5], 0xc
	s_load_dwordx2 s[10:11], s[2:3], 0x0
	v_mov_b32_e32 v10, v1
	s_add_u32 s4, s4, 12
	s_waitcnt lgkmcnt(0)
	v_mul_hi_u32 v1, s9, v5
	v_add_u32_e32 v1, v5, v1
	v_lshrrev_b32_e32 v1, s7, v1
	s_addc_u32 s5, s5, 0
	v_mul_lo_u32 v7, v1, s8
	s_add_u32 s2, s2, 8
	v_sub_u32_e32 v7, v5, v7
	s_addc_u32 s3, s3, 0
	s_add_i32 s6, s6, -1
	v_mad_u64_u32 v[10:11], s[8:9], v7, s11, v[10:11]
	s_cmp_lg_u32 s6, 0
	v_mov_b32_e32 v5, v1
	v_mad_u64_u32 v[8:9], s[8:9], v7, s10, v[8:9]
	v_mov_b32_e32 v1, v10
	s_cbranch_scc1 .LBB431_56
.LBB431_57:
	s_cbranch_execnz .LBB431_60
.LBB431_58:
	s_load_dwordx4 s[4:7], s[34:35], 0x4
	s_load_dwordx2 s[2:3], s[34:35], 0xc4
	s_cmp_lt_u32 s33, 2
	s_waitcnt lgkmcnt(0)
	v_mul_hi_u32 v1, s5, v3
	v_add_u32_e32 v1, v3, v1
	v_lshrrev_b32_e32 v1, s6, v1
	v_mul_lo_u32 v5, v1, s4
	v_sub_u32_e32 v3, v3, v5
	v_mul_lo_u32 v10, v3, s3
	v_mul_lo_u32 v8, v3, s2
	s_cbranch_scc1 .LBB431_60
; %bb.59:
	s_load_dwordx4 s[4:7], s[34:35], 0x10
	s_load_dwordx2 s[2:3], s[34:35], 0xcc
	s_waitcnt lgkmcnt(0)
	v_mul_hi_u32 v3, s5, v1
	v_add_u32_e32 v3, v1, v3
	v_lshrrev_b32_e32 v3, s6, v3
	v_mul_lo_u32 v3, v3, s4
	v_sub_u32_e32 v1, v1, v3
	v_mad_u64_u32 v[8:9], s[4:5], v1, s2, v[8:9]
	v_mad_u64_u32 v[10:11], s[2:3], v1, s3, v[10:11]
.LBB431_60:
	s_and_b64 vcc, exec, s[0:1]
	v_add_u32_e32 v3, 0x180, v24
	s_cbranch_vccnz .LBB431_66
; %bb.61:
	s_cmp_lg_u32 s33, 0
	s_waitcnt lgkmcnt(0)
	s_mov_b32 s26, 0
	s_cbranch_scc0 .LBB431_67
; %bb.62:
	s_min_u32 s27, s54, 15
	s_add_i32 s27, s27, 1
	s_cmp_eq_u32 s54, 2
	s_cbranch_scc1 .LBB431_68
; %bb.63:
	s_and_b32 s26, s27, 28
	s_add_u32 s2, s34, 0xc4
	s_addc_u32 s3, s35, 0
	s_mov_b32 s28, 0
	v_mov_b32_e32 v12, 0
	v_mov_b32_e32 v14, 0
	s_mov_b64 s[24:25], s[34:35]
	v_mov_b32_e32 v5, v3
.LBB431_64:                             ; =>This Inner Loop Header: Depth=1
	s_load_dwordx8 s[12:19], s[24:25], 0x4
	s_load_dwordx4 s[20:23], s[24:25], 0x24
	s_load_dwordx8 s[4:11], s[2:3], 0x0
	s_add_u32 s24, s24, 48
	s_addc_u32 s25, s25, 0
	s_waitcnt lgkmcnt(0)
	v_mul_hi_u32 v1, s13, v5
	v_add_u32_e32 v1, v5, v1
	v_lshrrev_b32_e32 v1, s14, v1
	v_mul_lo_u32 v7, v1, s12
	v_mul_hi_u32 v9, s16, v1
	v_sub_u32_e32 v5, v5, v7
	v_add_u32_e32 v7, v1, v9
	v_lshrrev_b32_e32 v7, s17, v7
	v_mul_lo_u32 v11, v7, s15
	v_mul_hi_u32 v13, s19, v7
	v_sub_u32_e32 v1, v1, v11
	v_add_u32_e32 v11, v7, v13
	v_mul_lo_u32 v9, v5, s5
	v_mul_lo_u32 v5, v5, s4
	;; [unrolled: 1-line block ×4, first 2 shown]
	v_lshrrev_b32_e32 v11, s20, v11
	v_add3_u32 v1, v5, v12, v1
	v_mul_lo_u32 v5, v11, s18
	v_mul_hi_u32 v12, s22, v11
	v_sub_u32_e32 v5, v7, v5
	v_add_u32_e32 v7, v11, v12
	v_add3_u32 v9, v9, v14, v13
	v_mul_lo_u32 v12, v5, s8
	v_mul_lo_u32 v13, v5, s9
	v_lshrrev_b32_e32 v5, s23, v7
	s_add_i32 s28, s28, 4
	v_mul_lo_u32 v7, v5, s21
	s_add_u32 s2, s2, 32
	v_sub_u32_e32 v7, v11, v7
	s_addc_u32 s3, s3, 0
	v_mul_lo_u32 v11, v7, s10
	v_mul_lo_u32 v7, v7, s11
	s_cmp_lg_u32 s26, s28
	v_add3_u32 v14, v13, v9, v7
	v_add3_u32 v12, v12, v1, v11
	s_cbranch_scc1 .LBB431_64
; %bb.65:
	v_mov_b32_e32 v1, v14
	s_and_b32 s6, s27, 3
	s_cmp_eq_u32 s6, 0
	s_cbranch_scc0 .LBB431_69
	s_branch .LBB431_71
.LBB431_66:
                                        ; implicit-def: $vgpr14
                                        ; implicit-def: $vgpr12
	s_branch .LBB431_72
.LBB431_67:
	v_mov_b32_e32 v14, 0
	v_mov_b32_e32 v12, 0
	s_branch .LBB431_71
.LBB431_68:
	v_mov_b32_e32 v12, 0
                                        ; implicit-def: $vgpr14
	v_mov_b32_e32 v1, v12
	v_mov_b32_e32 v5, v3
	s_and_b32 s6, s27, 3
	s_cmp_eq_u32 s6, 0
	s_cbranch_scc1 .LBB431_71
.LBB431_69:
	s_lshl_b32 s2, s26, 3
	s_add_u32 s2, s34, s2
	s_addc_u32 s3, s35, 0
	s_add_u32 s2, s2, 0xc4
	s_addc_u32 s3, s3, 0
	s_mul_i32 s4, s26, 12
	s_add_u32 s4, s34, s4
	s_addc_u32 s5, s35, 0
.LBB431_70:                             ; =>This Inner Loop Header: Depth=1
	s_load_dwordx2 s[8:9], s[4:5], 0x4
	s_load_dword s7, s[4:5], 0xc
	s_load_dwordx2 s[10:11], s[2:3], 0x0
	v_mov_b32_e32 v14, v1
	s_add_u32 s4, s4, 12
	s_waitcnt lgkmcnt(0)
	v_mul_hi_u32 v1, s9, v5
	v_add_u32_e32 v1, v5, v1
	v_lshrrev_b32_e32 v1, s7, v1
	s_addc_u32 s5, s5, 0
	v_mul_lo_u32 v7, v1, s8
	s_add_u32 s2, s2, 8
	v_sub_u32_e32 v7, v5, v7
	s_addc_u32 s3, s3, 0
	s_add_i32 s6, s6, -1
	v_mad_u64_u32 v[14:15], s[8:9], v7, s11, v[14:15]
	s_cmp_lg_u32 s6, 0
	v_mov_b32_e32 v5, v1
	v_mad_u64_u32 v[12:13], s[8:9], v7, s10, v[12:13]
	v_mov_b32_e32 v1, v14
	s_cbranch_scc1 .LBB431_70
.LBB431_71:
	s_cbranch_execnz .LBB431_74
.LBB431_72:
	s_load_dwordx4 s[4:7], s[34:35], 0x4
	s_load_dwordx2 s[2:3], s[34:35], 0xc4
	s_cmp_lt_u32 s33, 2
	s_waitcnt lgkmcnt(0)
	v_mul_hi_u32 v1, s5, v3
	v_add_u32_e32 v1, v3, v1
	v_lshrrev_b32_e32 v1, s6, v1
	v_mul_lo_u32 v5, v1, s4
	v_sub_u32_e32 v3, v3, v5
	v_mul_lo_u32 v14, v3, s3
	v_mul_lo_u32 v12, v3, s2
	s_cbranch_scc1 .LBB431_74
; %bb.73:
	s_load_dwordx4 s[4:7], s[34:35], 0x10
	s_load_dwordx2 s[2:3], s[34:35], 0xcc
	s_waitcnt lgkmcnt(0)
	v_mul_hi_u32 v3, s5, v1
	v_add_u32_e32 v3, v1, v3
	v_lshrrev_b32_e32 v3, s6, v3
	v_mul_lo_u32 v3, v3, s4
	v_sub_u32_e32 v1, v1, v3
	v_mad_u64_u32 v[12:13], s[4:5], v1, s2, v[12:13]
	v_mad_u64_u32 v[14:15], s[2:3], v1, s3, v[14:15]
.LBB431_74:
	s_and_b64 vcc, exec, s[0:1]
	v_add_u32_e32 v3, 0x200, v24
	s_cbranch_vccnz .LBB431_80
; %bb.75:
	s_cmp_lg_u32 s33, 0
	s_waitcnt lgkmcnt(0)
	s_mov_b32 s26, 0
	s_cbranch_scc0 .LBB431_81
; %bb.76:
	s_min_u32 s27, s54, 15
	s_add_i32 s27, s27, 1
	s_cmp_eq_u32 s54, 2
	s_cbranch_scc1 .LBB431_82
; %bb.77:
	s_and_b32 s26, s27, 28
	s_add_u32 s2, s34, 0xc4
	s_addc_u32 s3, s35, 0
	s_mov_b32 s28, 0
	v_mov_b32_e32 v16, 0
	v_mov_b32_e32 v18, 0
	s_mov_b64 s[24:25], s[34:35]
	v_mov_b32_e32 v5, v3
.LBB431_78:                             ; =>This Inner Loop Header: Depth=1
	s_load_dwordx8 s[12:19], s[24:25], 0x4
	s_load_dwordx4 s[20:23], s[24:25], 0x24
	s_load_dwordx8 s[4:11], s[2:3], 0x0
	s_add_u32 s24, s24, 48
	s_addc_u32 s25, s25, 0
	s_waitcnt lgkmcnt(0)
	v_mul_hi_u32 v1, s13, v5
	v_add_u32_e32 v1, v5, v1
	v_lshrrev_b32_e32 v1, s14, v1
	v_mul_lo_u32 v7, v1, s12
	v_mul_hi_u32 v9, s16, v1
	v_sub_u32_e32 v5, v5, v7
	v_add_u32_e32 v7, v1, v9
	v_lshrrev_b32_e32 v7, s17, v7
	v_mul_lo_u32 v11, v7, s15
	v_mul_hi_u32 v13, s19, v7
	v_sub_u32_e32 v1, v1, v11
	v_add_u32_e32 v11, v7, v13
	v_mul_lo_u32 v9, v5, s5
	v_mul_lo_u32 v5, v5, s4
	v_mul_lo_u32 v13, v1, s7
	v_mul_lo_u32 v1, v1, s6
	v_lshrrev_b32_e32 v11, s20, v11
	v_add3_u32 v1, v5, v16, v1
	v_add3_u32 v9, v9, v18, v13
	v_mul_lo_u32 v5, v11, s18
	v_mul_hi_u32 v13, s22, v11
	v_sub_u32_e32 v5, v7, v5
	v_add_u32_e32 v7, v11, v13
	v_mul_lo_u32 v13, v5, s8
	v_mul_lo_u32 v15, v5, s9
	v_lshrrev_b32_e32 v5, s23, v7
	s_add_i32 s28, s28, 4
	v_mul_lo_u32 v7, v5, s21
	s_add_u32 s2, s2, 32
	v_sub_u32_e32 v7, v11, v7
	s_addc_u32 s3, s3, 0
	v_mul_lo_u32 v11, v7, s10
	v_mul_lo_u32 v7, v7, s11
	s_cmp_lg_u32 s26, s28
	v_add3_u32 v18, v15, v9, v7
	v_add3_u32 v16, v13, v1, v11
	s_cbranch_scc1 .LBB431_78
; %bb.79:
	v_mov_b32_e32 v1, v18
	s_and_b32 s6, s27, 3
	s_cmp_eq_u32 s6, 0
	s_cbranch_scc0 .LBB431_83
	s_branch .LBB431_85
.LBB431_80:
                                        ; implicit-def: $vgpr18
                                        ; implicit-def: $vgpr16
	s_branch .LBB431_86
.LBB431_81:
	v_mov_b32_e32 v18, 0
	v_mov_b32_e32 v16, 0
	s_branch .LBB431_85
.LBB431_82:
	v_mov_b32_e32 v16, 0
                                        ; implicit-def: $vgpr18
	v_mov_b32_e32 v1, v16
	v_mov_b32_e32 v5, v3
	s_and_b32 s6, s27, 3
	s_cmp_eq_u32 s6, 0
	s_cbranch_scc1 .LBB431_85
.LBB431_83:
	s_lshl_b32 s2, s26, 3
	s_add_u32 s2, s34, s2
	s_addc_u32 s3, s35, 0
	s_add_u32 s2, s2, 0xc4
	s_addc_u32 s3, s3, 0
	s_mul_i32 s4, s26, 12
	s_add_u32 s4, s34, s4
	s_addc_u32 s5, s35, 0
.LBB431_84:                             ; =>This Inner Loop Header: Depth=1
	s_load_dwordx2 s[8:9], s[4:5], 0x4
	s_load_dword s7, s[4:5], 0xc
	s_load_dwordx2 s[10:11], s[2:3], 0x0
	v_mov_b32_e32 v18, v1
	s_add_u32 s4, s4, 12
	s_waitcnt lgkmcnt(0)
	v_mul_hi_u32 v1, s9, v5
	v_add_u32_e32 v1, v5, v1
	v_lshrrev_b32_e32 v1, s7, v1
	s_addc_u32 s5, s5, 0
	v_mul_lo_u32 v7, v1, s8
	s_add_u32 s2, s2, 8
	v_sub_u32_e32 v7, v5, v7
	s_addc_u32 s3, s3, 0
	s_add_i32 s6, s6, -1
	v_mad_u64_u32 v[18:19], s[8:9], v7, s11, v[18:19]
	s_cmp_lg_u32 s6, 0
	v_mov_b32_e32 v5, v1
	v_mad_u64_u32 v[16:17], s[8:9], v7, s10, v[16:17]
	v_mov_b32_e32 v1, v18
	s_cbranch_scc1 .LBB431_84
.LBB431_85:
	s_cbranch_execnz .LBB431_88
.LBB431_86:
	s_load_dwordx4 s[4:7], s[34:35], 0x4
	s_load_dwordx2 s[2:3], s[34:35], 0xc4
	s_cmp_lt_u32 s33, 2
	s_waitcnt lgkmcnt(0)
	v_mul_hi_u32 v1, s5, v3
	v_add_u32_e32 v1, v3, v1
	v_lshrrev_b32_e32 v1, s6, v1
	v_mul_lo_u32 v5, v1, s4
	v_sub_u32_e32 v3, v3, v5
	v_mul_lo_u32 v18, v3, s3
	v_mul_lo_u32 v16, v3, s2
	s_cbranch_scc1 .LBB431_88
; %bb.87:
	s_load_dwordx4 s[4:7], s[34:35], 0x10
	s_load_dwordx2 s[2:3], s[34:35], 0xcc
	s_waitcnt lgkmcnt(0)
	v_mul_hi_u32 v3, s5, v1
	v_add_u32_e32 v3, v1, v3
	v_lshrrev_b32_e32 v3, s6, v3
	v_mul_lo_u32 v3, v3, s4
	v_sub_u32_e32 v1, v1, v3
	v_mad_u64_u32 v[16:17], s[4:5], v1, s2, v[16:17]
	v_mad_u64_u32 v[18:19], s[2:3], v1, s3, v[18:19]
.LBB431_88:
	s_and_b64 vcc, exec, s[0:1]
	v_add_u32_e32 v3, 0x280, v24
	s_cbranch_vccnz .LBB431_94
; %bb.89:
	s_cmp_lg_u32 s33, 0
	s_waitcnt lgkmcnt(0)
	s_mov_b32 s26, 0
	s_cbranch_scc0 .LBB431_95
; %bb.90:
	s_min_u32 s27, s54, 15
	s_add_i32 s27, s27, 1
	s_cmp_eq_u32 s54, 2
	s_cbranch_scc1 .LBB431_96
; %bb.91:
	s_and_b32 s26, s27, 28
	s_add_u32 s2, s34, 0xc4
	s_addc_u32 s3, s35, 0
	s_mov_b32 s28, 0
	v_mov_b32_e32 v20, 0
	v_mov_b32_e32 v22, 0
	s_mov_b64 s[24:25], s[34:35]
	v_mov_b32_e32 v5, v3
.LBB431_92:                             ; =>This Inner Loop Header: Depth=1
	s_load_dwordx8 s[12:19], s[24:25], 0x4
	s_load_dwordx4 s[20:23], s[24:25], 0x24
	s_load_dwordx8 s[4:11], s[2:3], 0x0
	s_add_u32 s24, s24, 48
	s_addc_u32 s25, s25, 0
	s_waitcnt lgkmcnt(0)
	v_mul_hi_u32 v1, s13, v5
	v_add_u32_e32 v1, v5, v1
	v_lshrrev_b32_e32 v1, s14, v1
	v_mul_lo_u32 v7, v1, s12
	v_mul_hi_u32 v9, s16, v1
	v_sub_u32_e32 v5, v5, v7
	v_add_u32_e32 v7, v1, v9
	v_lshrrev_b32_e32 v7, s17, v7
	v_mul_lo_u32 v11, v7, s15
	v_mul_hi_u32 v13, s19, v7
	v_sub_u32_e32 v1, v1, v11
	v_add_u32_e32 v11, v7, v13
	v_mul_lo_u32 v9, v5, s5
	v_mul_lo_u32 v5, v5, s4
	;; [unrolled: 1-line block ×4, first 2 shown]
	v_lshrrev_b32_e32 v11, s20, v11
	v_add3_u32 v1, v5, v20, v1
	v_add3_u32 v9, v9, v22, v13
	v_mul_lo_u32 v5, v11, s18
	v_mul_hi_u32 v13, s22, v11
	v_sub_u32_e32 v5, v7, v5
	v_add_u32_e32 v7, v11, v13
	v_mul_lo_u32 v13, v5, s8
	v_mul_lo_u32 v15, v5, s9
	v_lshrrev_b32_e32 v5, s23, v7
	s_add_i32 s28, s28, 4
	v_mul_lo_u32 v7, v5, s21
	s_add_u32 s2, s2, 32
	v_sub_u32_e32 v7, v11, v7
	s_addc_u32 s3, s3, 0
	v_mul_lo_u32 v11, v7, s10
	v_mul_lo_u32 v7, v7, s11
	s_cmp_lg_u32 s26, s28
	v_add3_u32 v22, v15, v9, v7
	v_add3_u32 v20, v13, v1, v11
	s_cbranch_scc1 .LBB431_92
; %bb.93:
	v_mov_b32_e32 v1, v22
	s_and_b32 s6, s27, 3
	s_cmp_eq_u32 s6, 0
	s_cbranch_scc0 .LBB431_97
	s_branch .LBB431_99
.LBB431_94:
                                        ; implicit-def: $vgpr22
                                        ; implicit-def: $vgpr20
	s_branch .LBB431_100
.LBB431_95:
	v_mov_b32_e32 v22, 0
	v_mov_b32_e32 v20, 0
	s_branch .LBB431_99
.LBB431_96:
	v_mov_b32_e32 v20, 0
                                        ; implicit-def: $vgpr22
	v_mov_b32_e32 v1, v20
	v_mov_b32_e32 v5, v3
	s_and_b32 s6, s27, 3
	s_cmp_eq_u32 s6, 0
	s_cbranch_scc1 .LBB431_99
.LBB431_97:
	s_lshl_b32 s2, s26, 3
	s_add_u32 s2, s34, s2
	s_addc_u32 s3, s35, 0
	s_add_u32 s2, s2, 0xc4
	s_addc_u32 s3, s3, 0
	s_mul_i32 s4, s26, 12
	s_add_u32 s4, s34, s4
	s_addc_u32 s5, s35, 0
.LBB431_98:                             ; =>This Inner Loop Header: Depth=1
	s_load_dwordx2 s[8:9], s[4:5], 0x4
	s_load_dword s7, s[4:5], 0xc
	s_load_dwordx2 s[10:11], s[2:3], 0x0
	v_mov_b32_e32 v22, v1
	s_add_u32 s4, s4, 12
	s_waitcnt lgkmcnt(0)
	v_mul_hi_u32 v1, s9, v5
	v_add_u32_e32 v1, v5, v1
	v_lshrrev_b32_e32 v1, s7, v1
	s_addc_u32 s5, s5, 0
	v_mul_lo_u32 v7, v1, s8
	s_add_u32 s2, s2, 8
	v_sub_u32_e32 v7, v5, v7
	s_addc_u32 s3, s3, 0
	s_add_i32 s6, s6, -1
	v_mad_u64_u32 v[22:23], s[8:9], v7, s11, v[22:23]
	s_cmp_lg_u32 s6, 0
	v_mov_b32_e32 v5, v1
	v_mad_u64_u32 v[20:21], s[8:9], v7, s10, v[20:21]
	v_mov_b32_e32 v1, v22
	s_cbranch_scc1 .LBB431_98
.LBB431_99:
	s_cbranch_execnz .LBB431_102
.LBB431_100:
	s_load_dwordx4 s[4:7], s[34:35], 0x4
	s_load_dwordx2 s[2:3], s[34:35], 0xc4
	s_cmp_lt_u32 s33, 2
	s_waitcnt lgkmcnt(0)
	v_mul_hi_u32 v1, s5, v3
	v_add_u32_e32 v1, v3, v1
	v_lshrrev_b32_e32 v1, s6, v1
	v_mul_lo_u32 v5, v1, s4
	v_sub_u32_e32 v3, v3, v5
	v_mul_lo_u32 v22, v3, s3
	v_mul_lo_u32 v20, v3, s2
	s_cbranch_scc1 .LBB431_102
; %bb.101:
	s_load_dwordx4 s[4:7], s[34:35], 0x10
	s_load_dwordx2 s[2:3], s[34:35], 0xcc
	s_waitcnt lgkmcnt(0)
	v_mul_hi_u32 v3, s5, v1
	v_add_u32_e32 v3, v1, v3
	v_lshrrev_b32_e32 v3, s6, v3
	v_mul_lo_u32 v3, v3, s4
	v_sub_u32_e32 v1, v1, v3
	v_mad_u64_u32 v[20:21], s[4:5], v1, s2, v[20:21]
	v_mad_u64_u32 v[22:23], s[2:3], v1, s3, v[22:23]
.LBB431_102:
	s_and_b64 vcc, exec, s[0:1]
	v_add_u32_e32 v3, 0x300, v24
	s_cbranch_vccnz .LBB431_108
; %bb.103:
	s_cmp_lg_u32 s33, 0
	s_waitcnt lgkmcnt(0)
	s_mov_b32 s26, 0
	s_cbranch_scc0 .LBB431_109
; %bb.104:
	s_min_u32 s27, s54, 15
	s_add_i32 s27, s27, 1
	s_cmp_eq_u32 s54, 2
	s_cbranch_scc1 .LBB431_110
; %bb.105:
	s_and_b32 s26, s27, 28
	s_add_u32 s2, s34, 0xc4
	s_addc_u32 s3, s35, 0
	s_mov_b32 s28, 0
	v_mov_b32_e32 v24, 0
	v_mov_b32_e32 v26, 0
	s_mov_b64 s[24:25], s[34:35]
	v_mov_b32_e32 v5, v3
.LBB431_106:                            ; =>This Inner Loop Header: Depth=1
	s_load_dwordx8 s[12:19], s[24:25], 0x4
	s_load_dwordx4 s[20:23], s[24:25], 0x24
	s_load_dwordx8 s[4:11], s[2:3], 0x0
	s_add_u32 s24, s24, 48
	s_addc_u32 s25, s25, 0
	s_waitcnt lgkmcnt(0)
	v_mul_hi_u32 v1, s13, v5
	v_add_u32_e32 v1, v5, v1
	v_lshrrev_b32_e32 v1, s14, v1
	v_mul_lo_u32 v7, v1, s12
	v_mul_hi_u32 v9, s16, v1
	v_sub_u32_e32 v5, v5, v7
	v_add_u32_e32 v7, v1, v9
	v_lshrrev_b32_e32 v7, s17, v7
	v_mul_lo_u32 v11, v7, s15
	v_mul_hi_u32 v13, s19, v7
	v_sub_u32_e32 v1, v1, v11
	v_add_u32_e32 v11, v7, v13
	v_mul_lo_u32 v9, v5, s5
	v_mul_lo_u32 v5, v5, s4
	;; [unrolled: 1-line block ×4, first 2 shown]
	v_lshrrev_b32_e32 v11, s20, v11
	v_add3_u32 v1, v5, v24, v1
	v_add3_u32 v9, v9, v26, v13
	v_mul_lo_u32 v5, v11, s18
	v_mul_hi_u32 v13, s22, v11
	v_sub_u32_e32 v5, v7, v5
	v_add_u32_e32 v7, v11, v13
	v_mul_lo_u32 v13, v5, s8
	v_mul_lo_u32 v15, v5, s9
	v_lshrrev_b32_e32 v5, s23, v7
	s_add_i32 s28, s28, 4
	v_mul_lo_u32 v7, v5, s21
	s_add_u32 s2, s2, 32
	v_sub_u32_e32 v7, v11, v7
	s_addc_u32 s3, s3, 0
	v_mul_lo_u32 v11, v7, s10
	v_mul_lo_u32 v7, v7, s11
	s_cmp_lg_u32 s26, s28
	v_add3_u32 v26, v15, v9, v7
	v_add3_u32 v24, v13, v1, v11
	s_cbranch_scc1 .LBB431_106
; %bb.107:
	v_mov_b32_e32 v1, v26
	s_and_b32 s6, s27, 3
	s_cmp_eq_u32 s6, 0
	s_cbranch_scc0 .LBB431_111
	s_branch .LBB431_113
.LBB431_108:
                                        ; implicit-def: $vgpr26
                                        ; implicit-def: $vgpr24
	s_branch .LBB431_114
.LBB431_109:
	v_mov_b32_e32 v26, 0
	v_mov_b32_e32 v24, 0
	s_branch .LBB431_113
.LBB431_110:
	v_mov_b32_e32 v24, 0
                                        ; implicit-def: $vgpr26
	v_mov_b32_e32 v1, v24
	v_mov_b32_e32 v5, v3
	s_and_b32 s6, s27, 3
	s_cmp_eq_u32 s6, 0
	s_cbranch_scc1 .LBB431_113
.LBB431_111:
	s_lshl_b32 s2, s26, 3
	s_add_u32 s2, s34, s2
	s_addc_u32 s3, s35, 0
	s_add_u32 s2, s2, 0xc4
	s_addc_u32 s3, s3, 0
	s_mul_i32 s4, s26, 12
	s_add_u32 s4, s34, s4
	s_addc_u32 s5, s35, 0
.LBB431_112:                            ; =>This Inner Loop Header: Depth=1
	s_load_dwordx2 s[8:9], s[4:5], 0x4
	s_load_dword s7, s[4:5], 0xc
	s_load_dwordx2 s[10:11], s[2:3], 0x0
	v_mov_b32_e32 v26, v1
	s_add_u32 s4, s4, 12
	s_waitcnt lgkmcnt(0)
	v_mul_hi_u32 v1, s9, v5
	v_add_u32_e32 v1, v5, v1
	v_lshrrev_b32_e32 v1, s7, v1
	s_addc_u32 s5, s5, 0
	v_mul_lo_u32 v7, v1, s8
	s_add_u32 s2, s2, 8
	v_sub_u32_e32 v7, v5, v7
	s_addc_u32 s3, s3, 0
	s_add_i32 s6, s6, -1
	v_mad_u64_u32 v[26:27], s[8:9], v7, s11, v[26:27]
	s_cmp_lg_u32 s6, 0
	v_mov_b32_e32 v5, v1
	v_mad_u64_u32 v[24:25], s[8:9], v7, s10, v[24:25]
	v_mov_b32_e32 v1, v26
	s_cbranch_scc1 .LBB431_112
.LBB431_113:
	s_cbranch_execnz .LBB431_116
.LBB431_114:
	s_load_dwordx4 s[4:7], s[34:35], 0x4
	s_load_dwordx2 s[2:3], s[34:35], 0xc4
	s_cmp_lt_u32 s33, 2
	s_waitcnt lgkmcnt(0)
	v_mul_hi_u32 v1, s5, v3
	v_add_u32_e32 v1, v3, v1
	v_lshrrev_b32_e32 v1, s6, v1
	v_mul_lo_u32 v5, v1, s4
	v_sub_u32_e32 v3, v3, v5
	v_mul_lo_u32 v26, v3, s3
	v_mul_lo_u32 v24, v3, s2
	s_cbranch_scc1 .LBB431_116
; %bb.115:
	s_load_dwordx4 s[4:7], s[34:35], 0x10
	s_load_dwordx2 s[2:3], s[34:35], 0xcc
	s_waitcnt lgkmcnt(0)
	v_mul_hi_u32 v3, s5, v1
	v_add_u32_e32 v3, v1, v3
	v_lshrrev_b32_e32 v3, s6, v3
	v_mul_lo_u32 v3, v3, s4
	v_sub_u32_e32 v1, v1, v3
	v_mad_u64_u32 v[24:25], s[4:5], v1, s2, v[24:25]
	v_mad_u64_u32 v[26:27], s[2:3], v1, s3, v[26:27]
.LBB431_116:
	s_and_b64 vcc, exec, s[0:1]
	s_cbranch_vccnz .LBB431_122
; %bb.117:
	s_cmp_lg_u32 s33, 0
	s_waitcnt lgkmcnt(0)
	s_mov_b32 s24, 0
	s_cbranch_scc0 .LBB431_123
; %bb.118:
	s_min_u32 s25, s54, 15
	s_add_i32 s25, s25, 1
	s_cmp_eq_u32 s54, 2
	s_cbranch_scc1 .LBB431_124
; %bb.119:
	s_and_b32 s24, s25, 28
	s_add_u32 s20, s34, 0xc4
	s_addc_u32 s21, s35, 0
	s_mov_b32 s26, 0
	v_mov_b32_e32 v28, 0
	v_mov_b32_e32 v30, 0
	s_mov_b64 s[22:23], s[34:35]
	v_mov_b32_e32 v3, v32
.LBB431_120:                            ; =>This Inner Loop Header: Depth=1
	s_load_dwordx8 s[8:15], s[22:23], 0x4
	s_load_dwordx4 s[16:19], s[22:23], 0x24
	s_load_dwordx8 s[0:7], s[20:21], 0x0
	s_add_u32 s22, s22, 48
	s_addc_u32 s23, s23, 0
	s_waitcnt lgkmcnt(0)
	v_mul_hi_u32 v1, s9, v3
	v_add_u32_e32 v1, v3, v1
	v_lshrrev_b32_e32 v1, s10, v1
	v_mul_lo_u32 v5, v1, s8
	v_mul_hi_u32 v7, s12, v1
	v_sub_u32_e32 v3, v3, v5
	v_add_u32_e32 v5, v1, v7
	v_lshrrev_b32_e32 v5, s13, v5
	v_mul_lo_u32 v9, v5, s11
	v_mul_hi_u32 v11, s15, v5
	v_sub_u32_e32 v1, v1, v9
	v_add_u32_e32 v9, v5, v11
	v_mul_lo_u32 v7, v3, s1
	v_mul_lo_u32 v3, v3, s0
	;; [unrolled: 1-line block ×4, first 2 shown]
	v_lshrrev_b32_e32 v9, s16, v9
	v_add3_u32 v1, v3, v28, v1
	v_add3_u32 v7, v7, v30, v11
	v_mul_lo_u32 v3, v9, s14
	v_mul_hi_u32 v11, s18, v9
	v_sub_u32_e32 v3, v5, v3
	v_add_u32_e32 v5, v9, v11
	v_mul_lo_u32 v11, v3, s4
	v_mul_lo_u32 v13, v3, s5
	v_lshrrev_b32_e32 v3, s19, v5
	s_add_i32 s26, s26, 4
	v_mul_lo_u32 v5, v3, s17
	s_add_u32 s20, s20, 32
	v_sub_u32_e32 v5, v9, v5
	s_addc_u32 s21, s21, 0
	v_mul_lo_u32 v9, v5, s6
	v_mul_lo_u32 v5, v5, s7
	s_cmp_lg_u32 s24, s26
	v_add3_u32 v30, v13, v7, v5
	v_add3_u32 v28, v11, v1, v9
	s_cbranch_scc1 .LBB431_120
; %bb.121:
	v_mov_b32_e32 v1, v30
	s_and_b32 s4, s25, 3
	s_cmp_eq_u32 s4, 0
	s_cbranch_scc0 .LBB431_125
	s_branch .LBB431_127
.LBB431_122:
                                        ; implicit-def: $vgpr30
                                        ; implicit-def: $vgpr28
	s_branch .LBB431_128
.LBB431_123:
	v_mov_b32_e32 v30, 0
	v_mov_b32_e32 v28, 0
	s_branch .LBB431_127
.LBB431_124:
	v_mov_b32_e32 v28, 0
                                        ; implicit-def: $vgpr30
	v_mov_b32_e32 v1, v28
	v_mov_b32_e32 v3, v32
	s_and_b32 s4, s25, 3
	s_cmp_eq_u32 s4, 0
	s_cbranch_scc1 .LBB431_127
.LBB431_125:
	s_lshl_b32 s0, s24, 3
	s_add_u32 s0, s34, s0
	s_addc_u32 s1, s35, 0
	s_add_u32 s0, s0, 0xc4
	s_addc_u32 s1, s1, 0
	s_mul_i32 s2, s24, 12
	s_add_u32 s2, s34, s2
	s_addc_u32 s3, s35, 0
.LBB431_126:                            ; =>This Inner Loop Header: Depth=1
	s_load_dwordx2 s[6:7], s[2:3], 0x4
	s_load_dword s5, s[2:3], 0xc
	s_load_dwordx2 s[8:9], s[0:1], 0x0
	v_mov_b32_e32 v30, v1
	s_add_u32 s2, s2, 12
	s_waitcnt lgkmcnt(0)
	v_mul_hi_u32 v1, s7, v3
	v_add_u32_e32 v1, v3, v1
	v_lshrrev_b32_e32 v1, s5, v1
	s_addc_u32 s3, s3, 0
	v_mul_lo_u32 v5, v1, s6
	s_add_u32 s0, s0, 8
	v_sub_u32_e32 v5, v3, v5
	s_addc_u32 s1, s1, 0
	s_add_i32 s4, s4, -1
	v_mad_u64_u32 v[30:31], s[6:7], v5, s9, v[30:31]
	s_cmp_lg_u32 s4, 0
	v_mov_b32_e32 v3, v1
	v_mad_u64_u32 v[28:29], s[6:7], v5, s8, v[28:29]
	v_mov_b32_e32 v1, v30
	s_cbranch_scc1 .LBB431_126
.LBB431_127:
	s_cbranch_execnz .LBB431_130
.LBB431_128:
	s_load_dwordx4 s[0:3], s[34:35], 0x4
	s_load_dwordx2 s[4:5], s[34:35], 0xc4
	s_cmp_lt_u32 s33, 2
	s_waitcnt lgkmcnt(0)
	v_mul_hi_u32 v1, s1, v32
	v_add_u32_e32 v1, v32, v1
	v_lshrrev_b32_e32 v1, s2, v1
	v_mul_lo_u32 v3, v1, s0
	v_sub_u32_e32 v3, v32, v3
	v_mul_lo_u32 v30, v3, s5
	v_mul_lo_u32 v28, v3, s4
	s_cbranch_scc1 .LBB431_130
; %bb.129:
	s_load_dwordx4 s[0:3], s[34:35], 0x10
	s_load_dwordx2 s[4:5], s[34:35], 0xcc
	s_waitcnt lgkmcnt(0)
	v_mul_hi_u32 v3, s1, v1
	v_add_u32_e32 v3, v1, v3
	v_lshrrev_b32_e32 v3, s2, v3
	v_mul_lo_u32 v3, v3, s0
	v_sub_u32_e32 v1, v1, v3
	v_mad_u64_u32 v[28:29], s[0:1], v1, s4, v[28:29]
	v_mad_u64_u32 v[30:31], s[0:1], v1, s5, v[30:31]
.LBB431_130:
	s_load_dwordx4 s[0:3], s[34:35], 0x148
	s_load_dword s4, s[34:35], 0x158
	s_waitcnt lgkmcnt(0)
	global_load_sbyte v1, v2, s[2:3]
	global_load_sbyte v3, v6, s[2:3]
	;; [unrolled: 1-line block ×8, first 2 shown]
	s_sext_i32_i8 s2, s4
	s_waitcnt vmcnt(7)
	v_min_i16_e32 v1, s2, v1
	s_waitcnt vmcnt(6)
	v_min_i16_e32 v2, s2, v3
	;; [unrolled: 2-line block ×8, first 2 shown]
	global_store_byte v0, v1, s[0:1]
	global_store_byte v4, v2, s[0:1]
	;; [unrolled: 1-line block ×8, first 2 shown]
	s_endpgm
.LBB431_131:
	v_mov_b32_e32 v2, 0
	v_mov_b32_e32 v0, 0
	s_branch .LBB431_137
.LBB431_132:
	v_mov_b32_e32 v2, 0
	v_mov_b32_e32 v0, 0
	s_branch .LBB431_154
.LBB431_133:
	v_mov_b32_e32 v0, 0
	s_mov_b32 s58, 0
	v_mov_b32_e32 v1, v0
                                        ; implicit-def: $vgpr2
	v_mov_b32_e32 v4, v24
.LBB431_134:
	s_and_b32 s4, s59, 3
	s_cmp_eq_u32 s4, 0
	s_cbranch_scc1 .LBB431_137
; %bb.135:
	s_lshl_b32 s0, s58, 3
	s_add_u32 s0, s34, s0
	s_addc_u32 s1, s35, 0
	s_add_u32 s0, s0, 0xc4
	s_addc_u32 s1, s1, 0
	s_mul_i32 s2, s58, 12
	s_add_u32 s2, s34, s2
	s_addc_u32 s3, s35, 0
.LBB431_136:                            ; =>This Inner Loop Header: Depth=1
	s_load_dwordx2 s[6:7], s[2:3], 0x4
	s_load_dword s5, s[2:3], 0xc
	s_load_dwordx2 s[8:9], s[0:1], 0x0
	v_mov_b32_e32 v2, v1
	s_add_u32 s2, s2, 12
	s_waitcnt lgkmcnt(0)
	v_mul_hi_u32 v1, s7, v4
	v_add_u32_e32 v1, v4, v1
	v_lshrrev_b32_e32 v1, s5, v1
	s_addc_u32 s3, s3, 0
	v_mul_lo_u32 v3, v1, s6
	s_add_u32 s0, s0, 8
	v_sub_u32_e32 v5, v4, v3
	s_addc_u32 s1, s1, 0
	s_add_i32 s4, s4, -1
	v_mov_b32_e32 v4, v1
	v_mad_u64_u32 v[2:3], s[6:7], v5, s9, v[2:3]
	v_mad_u64_u32 v[0:1], s[6:7], v5, s8, v[0:1]
	s_cmp_lg_u32 s4, 0
	v_mov_b32_e32 v1, v2
	s_cbranch_scc1 .LBB431_136
.LBB431_137:
	s_cbranch_execnz .LBB431_140
.LBB431_138:
	s_waitcnt lgkmcnt(0)
	v_mul_hi_u32 v0, s25, v24
	v_add_u32_e32 v0, v24, v0
	v_lshrrev_b32_e32 v1, s26, v0
	v_mul_lo_u32 v0, v1, s24
	v_sub_u32_e32 v0, v24, v0
	v_mul_lo_u32 v2, v0, s21
	s_andn2_b64 vcc, exec, s[42:43]
	v_mul_lo_u32 v0, v0, s20
	s_cbranch_vccnz .LBB431_140
; %bb.139:
	v_mul_hi_u32 v3, s40, v1
	v_add_u32_e32 v3, v1, v3
	v_lshrrev_b32_e32 v3, s41, v3
	v_mul_lo_u32 v3, v3, s27
	v_sub_u32_e32 v3, v1, v3
	v_mad_u64_u32 v[0:1], s[0:1], v3, s22, v[0:1]
	v_mad_u64_u32 v[2:3], s[0:1], v3, s23, v[2:3]
.LBB431_140:
	s_waitcnt lgkmcnt(0)
	global_load_sbyte v1, v2, s[18:19]
	s_bfe_i32 s0, s55, 0x80000
	v_add_u32_e32 v24, 0x80, v24
	s_waitcnt vmcnt(0)
	v_min_i16_e32 v1, s0, v1
	global_store_byte v0, v1, s[16:17]
	s_or_b64 exec, exec, s[48:49]
	v_cmp_gt_i32_e32 vcc, s56, v24
	s_and_saveexec_b64 s[48:49], vcc
	s_cbranch_execnz .LBB431_16
.LBB431_141:
	s_or_b64 exec, exec, s[48:49]
	v_cmp_gt_i32_e32 vcc, s56, v24
	s_and_saveexec_b64 s[48:49], vcc
	s_cbranch_execz .LBB431_158
.LBB431_142:
	s_andn2_b64 vcc, exec, s[36:37]
	s_cbranch_vccnz .LBB431_148
; %bb.143:
	s_andn2_b64 vcc, exec, s[46:47]
	s_cbranch_vccnz .LBB431_149
; %bb.144:
	s_add_i32 s59, s57, 1
	s_cmp_eq_u32 s54, 2
	s_cbranch_scc1 .LBB431_167
; %bb.145:
	s_and_b32 s58, s59, 28
	s_mov_b32 s60, 0
	v_mov_b32_e32 v0, 0
	v_mov_b32_e32 v2, 0
	s_mov_b64 s[50:51], s[34:35]
	s_mov_b64 s[52:53], s[44:45]
	v_mov_b32_e32 v4, v24
.LBB431_146:                            ; =>This Inner Loop Header: Depth=1
	s_load_dwordx8 s[8:15], s[50:51], 0x4
	s_load_dwordx4 s[28:31], s[50:51], 0x24
	s_load_dwordx8 s[0:7], s[52:53], 0x0
	s_add_u32 s50, s50, 48
	s_addc_u32 s51, s51, 0
	s_waitcnt lgkmcnt(0)
	v_mul_hi_u32 v1, s9, v4
	v_add_u32_e32 v1, v4, v1
	v_lshrrev_b32_e32 v1, s10, v1
	v_mul_lo_u32 v3, v1, s8
	v_mul_hi_u32 v5, s12, v1
	v_sub_u32_e32 v3, v4, v3
	v_add_u32_e32 v4, v1, v5
	v_lshrrev_b32_e32 v4, s13, v4
	v_mul_lo_u32 v6, v4, s11
	v_mul_hi_u32 v7, s15, v4
	v_sub_u32_e32 v1, v1, v6
	v_add_u32_e32 v6, v4, v7
	v_mul_lo_u32 v5, v3, s1
	v_mul_lo_u32 v3, v3, s0
	;; [unrolled: 1-line block ×4, first 2 shown]
	v_lshrrev_b32_e32 v6, s28, v6
	v_add3_u32 v0, v3, v0, v1
	v_mul_hi_u32 v3, s30, v6
	v_add3_u32 v1, v5, v2, v7
	v_mul_lo_u32 v2, v6, s14
	v_add_u32_e32 v3, v6, v3
	v_sub_u32_e32 v2, v4, v2
	v_lshrrev_b32_e32 v4, s31, v3
	s_add_i32 s60, s60, 4
	v_mul_lo_u32 v3, v4, s29
	s_add_u32 s52, s52, 32
	v_sub_u32_e32 v3, v6, v3
	s_addc_u32 s53, s53, 0
	v_mul_lo_u32 v5, v2, s4
	v_mul_lo_u32 v2, v2, s5
	;; [unrolled: 1-line block ×4, first 2 shown]
	s_cmp_eq_u32 s58, s60
	v_add3_u32 v2, v2, v1, v3
	v_add3_u32 v0, v5, v0, v6
	s_cbranch_scc0 .LBB431_146
; %bb.147:
	v_mov_b32_e32 v1, v2
	s_branch .LBB431_168
.LBB431_148:
                                        ; implicit-def: $vgpr2
                                        ; implicit-def: $vgpr0
	s_branch .LBB431_172
.LBB431_149:
	v_mov_b32_e32 v2, 0
	v_mov_b32_e32 v0, 0
	s_branch .LBB431_171
.LBB431_150:
	v_mov_b32_e32 v0, 0
	s_mov_b32 s58, 0
	v_mov_b32_e32 v1, v0
                                        ; implicit-def: $vgpr2
	v_mov_b32_e32 v4, v24
.LBB431_151:
	s_and_b32 s4, s59, 3
	s_cmp_eq_u32 s4, 0
	s_cbranch_scc1 .LBB431_154
; %bb.152:
	s_lshl_b32 s0, s58, 3
	s_add_u32 s0, s34, s0
	s_addc_u32 s1, s35, 0
	s_add_u32 s0, s0, 0xc4
	s_addc_u32 s1, s1, 0
	s_mul_i32 s2, s58, 12
	s_add_u32 s2, s34, s2
	s_addc_u32 s3, s35, 0
.LBB431_153:                            ; =>This Inner Loop Header: Depth=1
	s_load_dwordx2 s[6:7], s[2:3], 0x4
	s_load_dword s5, s[2:3], 0xc
	s_load_dwordx2 s[8:9], s[0:1], 0x0
	v_mov_b32_e32 v2, v1
	s_add_u32 s2, s2, 12
	s_waitcnt lgkmcnt(0)
	v_mul_hi_u32 v1, s7, v4
	v_add_u32_e32 v1, v4, v1
	v_lshrrev_b32_e32 v1, s5, v1
	s_addc_u32 s3, s3, 0
	v_mul_lo_u32 v3, v1, s6
	s_add_u32 s0, s0, 8
	v_sub_u32_e32 v5, v4, v3
	s_addc_u32 s1, s1, 0
	s_add_i32 s4, s4, -1
	v_mov_b32_e32 v4, v1
	v_mad_u64_u32 v[2:3], s[6:7], v5, s9, v[2:3]
	v_mad_u64_u32 v[0:1], s[6:7], v5, s8, v[0:1]
	s_cmp_lg_u32 s4, 0
	v_mov_b32_e32 v1, v2
	s_cbranch_scc1 .LBB431_153
.LBB431_154:
	s_cbranch_execnz .LBB431_157
.LBB431_155:
	s_waitcnt lgkmcnt(0)
	v_mul_hi_u32 v0, s25, v24
	v_add_u32_e32 v0, v24, v0
	v_lshrrev_b32_e32 v1, s26, v0
	v_mul_lo_u32 v0, v1, s24
	v_sub_u32_e32 v0, v24, v0
	v_mul_lo_u32 v2, v0, s21
	s_andn2_b64 vcc, exec, s[42:43]
	v_mul_lo_u32 v0, v0, s20
	s_cbranch_vccnz .LBB431_157
; %bb.156:
	v_mul_hi_u32 v3, s40, v1
	v_add_u32_e32 v3, v1, v3
	v_lshrrev_b32_e32 v3, s41, v3
	v_mul_lo_u32 v3, v3, s27
	v_sub_u32_e32 v3, v1, v3
	v_mad_u64_u32 v[0:1], s[0:1], v3, s22, v[0:1]
	v_mad_u64_u32 v[2:3], s[0:1], v3, s23, v[2:3]
.LBB431_157:
	s_waitcnt lgkmcnt(0)
	global_load_sbyte v1, v2, s[18:19]
	s_bfe_i32 s0, s55, 0x80000
	v_add_u32_e32 v24, 0x80, v24
	s_waitcnt vmcnt(0)
	v_min_i16_e32 v1, s0, v1
	global_store_byte v0, v1, s[16:17]
	s_or_b64 exec, exec, s[48:49]
	v_cmp_gt_i32_e32 vcc, s56, v24
	s_and_saveexec_b64 s[48:49], vcc
	s_cbranch_execnz .LBB431_142
.LBB431_158:
	s_or_b64 exec, exec, s[48:49]
	v_cmp_gt_i32_e32 vcc, s56, v24
	s_and_saveexec_b64 s[48:49], vcc
	s_cbranch_execz .LBB431_175
.LBB431_159:
	s_andn2_b64 vcc, exec, s[36:37]
	s_cbranch_vccnz .LBB431_165
; %bb.160:
	s_andn2_b64 vcc, exec, s[46:47]
	s_cbranch_vccnz .LBB431_166
; %bb.161:
	s_add_i32 s59, s57, 1
	s_cmp_eq_u32 s54, 2
	s_cbranch_scc1 .LBB431_184
; %bb.162:
	s_and_b32 s58, s59, 28
	s_mov_b32 s60, 0
	v_mov_b32_e32 v0, 0
	v_mov_b32_e32 v2, 0
	s_mov_b64 s[50:51], s[34:35]
	s_mov_b64 s[52:53], s[44:45]
	v_mov_b32_e32 v4, v24
.LBB431_163:                            ; =>This Inner Loop Header: Depth=1
	s_load_dwordx8 s[8:15], s[50:51], 0x4
	s_load_dwordx4 s[28:31], s[50:51], 0x24
	s_load_dwordx8 s[0:7], s[52:53], 0x0
	s_add_u32 s50, s50, 48
	s_addc_u32 s51, s51, 0
	s_waitcnt lgkmcnt(0)
	v_mul_hi_u32 v1, s9, v4
	v_add_u32_e32 v1, v4, v1
	v_lshrrev_b32_e32 v1, s10, v1
	v_mul_lo_u32 v3, v1, s8
	v_mul_hi_u32 v5, s12, v1
	v_sub_u32_e32 v3, v4, v3
	v_add_u32_e32 v4, v1, v5
	v_lshrrev_b32_e32 v4, s13, v4
	v_mul_lo_u32 v6, v4, s11
	v_mul_hi_u32 v7, s15, v4
	v_sub_u32_e32 v1, v1, v6
	v_add_u32_e32 v6, v4, v7
	v_mul_lo_u32 v5, v3, s1
	v_mul_lo_u32 v3, v3, s0
	v_mul_lo_u32 v7, v1, s3
	v_mul_lo_u32 v1, v1, s2
	v_lshrrev_b32_e32 v6, s28, v6
	v_add3_u32 v0, v3, v0, v1
	v_mul_hi_u32 v3, s30, v6
	v_add3_u32 v1, v5, v2, v7
	v_mul_lo_u32 v2, v6, s14
	v_add_u32_e32 v3, v6, v3
	v_sub_u32_e32 v2, v4, v2
	v_lshrrev_b32_e32 v4, s31, v3
	s_add_i32 s60, s60, 4
	v_mul_lo_u32 v3, v4, s29
	s_add_u32 s52, s52, 32
	v_sub_u32_e32 v3, v6, v3
	s_addc_u32 s53, s53, 0
	v_mul_lo_u32 v5, v2, s4
	v_mul_lo_u32 v2, v2, s5
	;; [unrolled: 1-line block ×4, first 2 shown]
	s_cmp_eq_u32 s58, s60
	v_add3_u32 v2, v2, v1, v3
	v_add3_u32 v0, v5, v0, v6
	s_cbranch_scc0 .LBB431_163
; %bb.164:
	v_mov_b32_e32 v1, v2
	s_branch .LBB431_185
.LBB431_165:
                                        ; implicit-def: $vgpr2
                                        ; implicit-def: $vgpr0
	s_branch .LBB431_189
.LBB431_166:
	v_mov_b32_e32 v2, 0
	v_mov_b32_e32 v0, 0
	s_branch .LBB431_188
.LBB431_167:
	v_mov_b32_e32 v0, 0
	s_mov_b32 s58, 0
	v_mov_b32_e32 v1, v0
                                        ; implicit-def: $vgpr2
	v_mov_b32_e32 v4, v24
.LBB431_168:
	s_and_b32 s4, s59, 3
	s_cmp_eq_u32 s4, 0
	s_cbranch_scc1 .LBB431_171
; %bb.169:
	s_lshl_b32 s0, s58, 3
	s_add_u32 s0, s34, s0
	s_addc_u32 s1, s35, 0
	s_add_u32 s0, s0, 0xc4
	s_addc_u32 s1, s1, 0
	s_mul_i32 s2, s58, 12
	s_add_u32 s2, s34, s2
	s_addc_u32 s3, s35, 0
.LBB431_170:                            ; =>This Inner Loop Header: Depth=1
	s_load_dwordx2 s[6:7], s[2:3], 0x4
	s_load_dword s5, s[2:3], 0xc
	s_load_dwordx2 s[8:9], s[0:1], 0x0
	v_mov_b32_e32 v2, v1
	s_add_u32 s2, s2, 12
	s_waitcnt lgkmcnt(0)
	v_mul_hi_u32 v1, s7, v4
	v_add_u32_e32 v1, v4, v1
	v_lshrrev_b32_e32 v1, s5, v1
	s_addc_u32 s3, s3, 0
	v_mul_lo_u32 v3, v1, s6
	s_add_u32 s0, s0, 8
	v_sub_u32_e32 v5, v4, v3
	s_addc_u32 s1, s1, 0
	s_add_i32 s4, s4, -1
	v_mov_b32_e32 v4, v1
	v_mad_u64_u32 v[2:3], s[6:7], v5, s9, v[2:3]
	v_mad_u64_u32 v[0:1], s[6:7], v5, s8, v[0:1]
	s_cmp_lg_u32 s4, 0
	v_mov_b32_e32 v1, v2
	s_cbranch_scc1 .LBB431_170
.LBB431_171:
	s_cbranch_execnz .LBB431_174
.LBB431_172:
	s_waitcnt lgkmcnt(0)
	v_mul_hi_u32 v0, s25, v24
	v_add_u32_e32 v0, v24, v0
	v_lshrrev_b32_e32 v1, s26, v0
	v_mul_lo_u32 v0, v1, s24
	v_sub_u32_e32 v0, v24, v0
	v_mul_lo_u32 v2, v0, s21
	s_andn2_b64 vcc, exec, s[42:43]
	v_mul_lo_u32 v0, v0, s20
	s_cbranch_vccnz .LBB431_174
; %bb.173:
	v_mul_hi_u32 v3, s40, v1
	v_add_u32_e32 v3, v1, v3
	v_lshrrev_b32_e32 v3, s41, v3
	v_mul_lo_u32 v3, v3, s27
	v_sub_u32_e32 v3, v1, v3
	v_mad_u64_u32 v[0:1], s[0:1], v3, s22, v[0:1]
	v_mad_u64_u32 v[2:3], s[0:1], v3, s23, v[2:3]
.LBB431_174:
	s_waitcnt lgkmcnt(0)
	global_load_sbyte v1, v2, s[18:19]
	s_bfe_i32 s0, s55, 0x80000
	v_add_u32_e32 v24, 0x80, v24
	s_waitcnt vmcnt(0)
	v_min_i16_e32 v1, s0, v1
	global_store_byte v0, v1, s[16:17]
	s_or_b64 exec, exec, s[48:49]
	v_cmp_gt_i32_e32 vcc, s56, v24
	s_and_saveexec_b64 s[48:49], vcc
	s_cbranch_execnz .LBB431_159
.LBB431_175:
	s_or_b64 exec, exec, s[48:49]
	v_cmp_gt_i32_e32 vcc, s56, v24
	s_and_saveexec_b64 s[48:49], vcc
	s_cbranch_execz .LBB431_192
.LBB431_176:
	s_andn2_b64 vcc, exec, s[36:37]
	s_cbranch_vccnz .LBB431_182
; %bb.177:
	s_andn2_b64 vcc, exec, s[46:47]
	s_cbranch_vccnz .LBB431_183
; %bb.178:
	s_add_i32 s59, s57, 1
	s_cmp_eq_u32 s54, 2
	s_cbranch_scc1 .LBB431_201
; %bb.179:
	s_and_b32 s58, s59, 28
	s_mov_b32 s60, 0
	v_mov_b32_e32 v0, 0
	v_mov_b32_e32 v2, 0
	s_mov_b64 s[50:51], s[34:35]
	s_mov_b64 s[52:53], s[44:45]
	v_mov_b32_e32 v4, v24
.LBB431_180:                            ; =>This Inner Loop Header: Depth=1
	s_load_dwordx8 s[8:15], s[50:51], 0x4
	s_load_dwordx4 s[28:31], s[50:51], 0x24
	s_load_dwordx8 s[0:7], s[52:53], 0x0
	s_add_u32 s50, s50, 48
	s_addc_u32 s51, s51, 0
	s_waitcnt lgkmcnt(0)
	v_mul_hi_u32 v1, s9, v4
	v_add_u32_e32 v1, v4, v1
	v_lshrrev_b32_e32 v1, s10, v1
	v_mul_lo_u32 v3, v1, s8
	v_mul_hi_u32 v5, s12, v1
	v_sub_u32_e32 v3, v4, v3
	v_add_u32_e32 v4, v1, v5
	v_lshrrev_b32_e32 v4, s13, v4
	v_mul_lo_u32 v6, v4, s11
	v_mul_hi_u32 v7, s15, v4
	v_sub_u32_e32 v1, v1, v6
	v_add_u32_e32 v6, v4, v7
	v_mul_lo_u32 v5, v3, s1
	v_mul_lo_u32 v3, v3, s0
	;; [unrolled: 1-line block ×4, first 2 shown]
	v_lshrrev_b32_e32 v6, s28, v6
	v_add3_u32 v0, v3, v0, v1
	v_mul_hi_u32 v3, s30, v6
	v_add3_u32 v1, v5, v2, v7
	v_mul_lo_u32 v2, v6, s14
	v_add_u32_e32 v3, v6, v3
	v_sub_u32_e32 v2, v4, v2
	v_lshrrev_b32_e32 v4, s31, v3
	s_add_i32 s60, s60, 4
	v_mul_lo_u32 v3, v4, s29
	s_add_u32 s52, s52, 32
	v_sub_u32_e32 v3, v6, v3
	s_addc_u32 s53, s53, 0
	v_mul_lo_u32 v5, v2, s4
	v_mul_lo_u32 v2, v2, s5
	;; [unrolled: 1-line block ×4, first 2 shown]
	s_cmp_eq_u32 s58, s60
	v_add3_u32 v2, v2, v1, v3
	v_add3_u32 v0, v5, v0, v6
	s_cbranch_scc0 .LBB431_180
; %bb.181:
	v_mov_b32_e32 v1, v2
	s_branch .LBB431_202
.LBB431_182:
                                        ; implicit-def: $vgpr2
                                        ; implicit-def: $vgpr0
	s_branch .LBB431_206
.LBB431_183:
	v_mov_b32_e32 v2, 0
	v_mov_b32_e32 v0, 0
	s_branch .LBB431_205
.LBB431_184:
	v_mov_b32_e32 v0, 0
	s_mov_b32 s58, 0
	v_mov_b32_e32 v1, v0
                                        ; implicit-def: $vgpr2
	v_mov_b32_e32 v4, v24
.LBB431_185:
	s_and_b32 s4, s59, 3
	s_cmp_eq_u32 s4, 0
	s_cbranch_scc1 .LBB431_188
; %bb.186:
	s_lshl_b32 s0, s58, 3
	s_add_u32 s0, s34, s0
	s_addc_u32 s1, s35, 0
	s_add_u32 s0, s0, 0xc4
	s_addc_u32 s1, s1, 0
	s_mul_i32 s2, s58, 12
	s_add_u32 s2, s34, s2
	s_addc_u32 s3, s35, 0
.LBB431_187:                            ; =>This Inner Loop Header: Depth=1
	s_load_dwordx2 s[6:7], s[2:3], 0x4
	s_load_dword s5, s[2:3], 0xc
	s_load_dwordx2 s[8:9], s[0:1], 0x0
	v_mov_b32_e32 v2, v1
	s_add_u32 s2, s2, 12
	s_waitcnt lgkmcnt(0)
	v_mul_hi_u32 v1, s7, v4
	v_add_u32_e32 v1, v4, v1
	v_lshrrev_b32_e32 v1, s5, v1
	s_addc_u32 s3, s3, 0
	v_mul_lo_u32 v3, v1, s6
	s_add_u32 s0, s0, 8
	v_sub_u32_e32 v5, v4, v3
	s_addc_u32 s1, s1, 0
	s_add_i32 s4, s4, -1
	v_mov_b32_e32 v4, v1
	v_mad_u64_u32 v[2:3], s[6:7], v5, s9, v[2:3]
	v_mad_u64_u32 v[0:1], s[6:7], v5, s8, v[0:1]
	s_cmp_lg_u32 s4, 0
	v_mov_b32_e32 v1, v2
	s_cbranch_scc1 .LBB431_187
.LBB431_188:
	s_cbranch_execnz .LBB431_191
.LBB431_189:
	s_waitcnt lgkmcnt(0)
	v_mul_hi_u32 v0, s25, v24
	v_add_u32_e32 v0, v24, v0
	v_lshrrev_b32_e32 v1, s26, v0
	v_mul_lo_u32 v0, v1, s24
	v_sub_u32_e32 v0, v24, v0
	v_mul_lo_u32 v2, v0, s21
	s_andn2_b64 vcc, exec, s[42:43]
	v_mul_lo_u32 v0, v0, s20
	s_cbranch_vccnz .LBB431_191
; %bb.190:
	v_mul_hi_u32 v3, s40, v1
	v_add_u32_e32 v3, v1, v3
	v_lshrrev_b32_e32 v3, s41, v3
	v_mul_lo_u32 v3, v3, s27
	v_sub_u32_e32 v3, v1, v3
	v_mad_u64_u32 v[0:1], s[0:1], v3, s22, v[0:1]
	v_mad_u64_u32 v[2:3], s[0:1], v3, s23, v[2:3]
.LBB431_191:
	s_waitcnt lgkmcnt(0)
	global_load_sbyte v1, v2, s[18:19]
	s_bfe_i32 s0, s55, 0x80000
	v_add_u32_e32 v24, 0x80, v24
	s_waitcnt vmcnt(0)
	v_min_i16_e32 v1, s0, v1
	global_store_byte v0, v1, s[16:17]
	s_or_b64 exec, exec, s[48:49]
	v_cmp_gt_i32_e32 vcc, s56, v24
	s_and_saveexec_b64 s[48:49], vcc
	s_cbranch_execnz .LBB431_176
.LBB431_192:
	s_or_b64 exec, exec, s[48:49]
	v_cmp_gt_i32_e32 vcc, s56, v24
	s_and_saveexec_b64 s[48:49], vcc
	s_cbranch_execz .LBB431_209
.LBB431_193:
	s_andn2_b64 vcc, exec, s[36:37]
	s_cbranch_vccnz .LBB431_199
; %bb.194:
	s_andn2_b64 vcc, exec, s[46:47]
	s_cbranch_vccnz .LBB431_200
; %bb.195:
	s_add_i32 s59, s57, 1
	s_cmp_eq_u32 s54, 2
	s_cbranch_scc1 .LBB431_218
; %bb.196:
	s_and_b32 s58, s59, 28
	s_mov_b32 s60, 0
	v_mov_b32_e32 v0, 0
	v_mov_b32_e32 v2, 0
	s_mov_b64 s[50:51], s[34:35]
	s_mov_b64 s[52:53], s[44:45]
	v_mov_b32_e32 v4, v24
.LBB431_197:                            ; =>This Inner Loop Header: Depth=1
	s_load_dwordx8 s[8:15], s[50:51], 0x4
	s_load_dwordx4 s[28:31], s[50:51], 0x24
	s_load_dwordx8 s[0:7], s[52:53], 0x0
	s_add_u32 s50, s50, 48
	s_addc_u32 s51, s51, 0
	s_waitcnt lgkmcnt(0)
	v_mul_hi_u32 v1, s9, v4
	v_add_u32_e32 v1, v4, v1
	v_lshrrev_b32_e32 v1, s10, v1
	v_mul_lo_u32 v3, v1, s8
	v_mul_hi_u32 v5, s12, v1
	v_sub_u32_e32 v3, v4, v3
	v_add_u32_e32 v4, v1, v5
	v_lshrrev_b32_e32 v4, s13, v4
	v_mul_lo_u32 v6, v4, s11
	v_mul_hi_u32 v7, s15, v4
	v_sub_u32_e32 v1, v1, v6
	v_add_u32_e32 v6, v4, v7
	v_mul_lo_u32 v5, v3, s1
	v_mul_lo_u32 v3, v3, s0
	;; [unrolled: 1-line block ×4, first 2 shown]
	v_lshrrev_b32_e32 v6, s28, v6
	v_add3_u32 v0, v3, v0, v1
	v_mul_hi_u32 v3, s30, v6
	v_add3_u32 v1, v5, v2, v7
	v_mul_lo_u32 v2, v6, s14
	v_add_u32_e32 v3, v6, v3
	v_sub_u32_e32 v2, v4, v2
	v_lshrrev_b32_e32 v4, s31, v3
	s_add_i32 s60, s60, 4
	v_mul_lo_u32 v3, v4, s29
	s_add_u32 s52, s52, 32
	v_sub_u32_e32 v3, v6, v3
	s_addc_u32 s53, s53, 0
	v_mul_lo_u32 v5, v2, s4
	v_mul_lo_u32 v2, v2, s5
	;; [unrolled: 1-line block ×4, first 2 shown]
	s_cmp_eq_u32 s58, s60
	v_add3_u32 v2, v2, v1, v3
	v_add3_u32 v0, v5, v0, v6
	s_cbranch_scc0 .LBB431_197
; %bb.198:
	v_mov_b32_e32 v1, v2
	s_branch .LBB431_219
.LBB431_199:
                                        ; implicit-def: $vgpr2
                                        ; implicit-def: $vgpr0
	s_branch .LBB431_223
.LBB431_200:
	v_mov_b32_e32 v2, 0
	v_mov_b32_e32 v0, 0
	s_branch .LBB431_222
.LBB431_201:
	v_mov_b32_e32 v0, 0
	s_mov_b32 s58, 0
	v_mov_b32_e32 v1, v0
                                        ; implicit-def: $vgpr2
	v_mov_b32_e32 v4, v24
.LBB431_202:
	s_and_b32 s4, s59, 3
	s_cmp_eq_u32 s4, 0
	s_cbranch_scc1 .LBB431_205
; %bb.203:
	s_lshl_b32 s0, s58, 3
	s_add_u32 s0, s34, s0
	s_addc_u32 s1, s35, 0
	s_add_u32 s0, s0, 0xc4
	s_addc_u32 s1, s1, 0
	s_mul_i32 s2, s58, 12
	s_add_u32 s2, s34, s2
	s_addc_u32 s3, s35, 0
.LBB431_204:                            ; =>This Inner Loop Header: Depth=1
	s_load_dwordx2 s[6:7], s[2:3], 0x4
	s_load_dword s5, s[2:3], 0xc
	s_load_dwordx2 s[8:9], s[0:1], 0x0
	v_mov_b32_e32 v2, v1
	s_add_u32 s2, s2, 12
	s_waitcnt lgkmcnt(0)
	v_mul_hi_u32 v1, s7, v4
	v_add_u32_e32 v1, v4, v1
	v_lshrrev_b32_e32 v1, s5, v1
	s_addc_u32 s3, s3, 0
	v_mul_lo_u32 v3, v1, s6
	s_add_u32 s0, s0, 8
	v_sub_u32_e32 v5, v4, v3
	s_addc_u32 s1, s1, 0
	s_add_i32 s4, s4, -1
	v_mov_b32_e32 v4, v1
	v_mad_u64_u32 v[2:3], s[6:7], v5, s9, v[2:3]
	v_mad_u64_u32 v[0:1], s[6:7], v5, s8, v[0:1]
	s_cmp_lg_u32 s4, 0
	v_mov_b32_e32 v1, v2
	s_cbranch_scc1 .LBB431_204
.LBB431_205:
	s_cbranch_execnz .LBB431_208
.LBB431_206:
	s_waitcnt lgkmcnt(0)
	v_mul_hi_u32 v0, s25, v24
	v_add_u32_e32 v0, v24, v0
	v_lshrrev_b32_e32 v1, s26, v0
	v_mul_lo_u32 v0, v1, s24
	v_sub_u32_e32 v0, v24, v0
	v_mul_lo_u32 v2, v0, s21
	s_andn2_b64 vcc, exec, s[42:43]
	v_mul_lo_u32 v0, v0, s20
	s_cbranch_vccnz .LBB431_208
; %bb.207:
	v_mul_hi_u32 v3, s40, v1
	v_add_u32_e32 v3, v1, v3
	v_lshrrev_b32_e32 v3, s41, v3
	v_mul_lo_u32 v3, v3, s27
	v_sub_u32_e32 v3, v1, v3
	v_mad_u64_u32 v[0:1], s[0:1], v3, s22, v[0:1]
	v_mad_u64_u32 v[2:3], s[0:1], v3, s23, v[2:3]
.LBB431_208:
	s_waitcnt lgkmcnt(0)
	global_load_sbyte v1, v2, s[18:19]
	s_bfe_i32 s0, s55, 0x80000
	v_add_u32_e32 v24, 0x80, v24
	s_waitcnt vmcnt(0)
	v_min_i16_e32 v1, s0, v1
	global_store_byte v0, v1, s[16:17]
	s_or_b64 exec, exec, s[48:49]
	v_cmp_gt_i32_e32 vcc, s56, v24
	s_and_saveexec_b64 s[48:49], vcc
	s_cbranch_execnz .LBB431_193
.LBB431_209:
	s_or_b64 exec, exec, s[48:49]
	v_cmp_gt_i32_e32 vcc, s56, v24
	s_and_saveexec_b64 s[48:49], vcc
	s_cbranch_execz .LBB431_226
.LBB431_210:
	s_andn2_b64 vcc, exec, s[36:37]
	s_cbranch_vccnz .LBB431_216
; %bb.211:
	s_andn2_b64 vcc, exec, s[46:47]
	s_cbranch_vccnz .LBB431_217
; %bb.212:
	s_add_i32 s59, s57, 1
	s_cmp_eq_u32 s54, 2
	s_cbranch_scc1 .LBB431_229
; %bb.213:
	s_and_b32 s58, s59, 28
	s_mov_b32 s60, 0
	v_mov_b32_e32 v0, 0
	v_mov_b32_e32 v2, 0
	s_mov_b64 s[50:51], s[34:35]
	s_mov_b64 s[52:53], s[44:45]
	v_mov_b32_e32 v4, v24
.LBB431_214:                            ; =>This Inner Loop Header: Depth=1
	s_load_dwordx8 s[8:15], s[50:51], 0x4
	s_load_dwordx4 s[28:31], s[50:51], 0x24
	s_load_dwordx8 s[0:7], s[52:53], 0x0
	s_add_u32 s50, s50, 48
	s_addc_u32 s51, s51, 0
	s_waitcnt lgkmcnt(0)
	v_mul_hi_u32 v1, s9, v4
	v_add_u32_e32 v1, v4, v1
	v_lshrrev_b32_e32 v1, s10, v1
	v_mul_lo_u32 v3, v1, s8
	v_mul_hi_u32 v5, s12, v1
	v_sub_u32_e32 v3, v4, v3
	v_add_u32_e32 v4, v1, v5
	v_lshrrev_b32_e32 v4, s13, v4
	v_mul_lo_u32 v6, v4, s11
	v_mul_hi_u32 v7, s15, v4
	v_sub_u32_e32 v1, v1, v6
	v_add_u32_e32 v6, v4, v7
	v_mul_lo_u32 v5, v3, s1
	v_mul_lo_u32 v3, v3, s0
	;; [unrolled: 1-line block ×4, first 2 shown]
	v_lshrrev_b32_e32 v6, s28, v6
	v_add3_u32 v0, v3, v0, v1
	v_mul_hi_u32 v3, s30, v6
	v_add3_u32 v1, v5, v2, v7
	v_mul_lo_u32 v2, v6, s14
	v_add_u32_e32 v3, v6, v3
	v_sub_u32_e32 v2, v4, v2
	v_lshrrev_b32_e32 v4, s31, v3
	s_add_i32 s60, s60, 4
	v_mul_lo_u32 v3, v4, s29
	s_add_u32 s52, s52, 32
	v_sub_u32_e32 v3, v6, v3
	s_addc_u32 s53, s53, 0
	v_mul_lo_u32 v5, v2, s4
	v_mul_lo_u32 v2, v2, s5
	;; [unrolled: 1-line block ×4, first 2 shown]
	s_cmp_eq_u32 s58, s60
	v_add3_u32 v2, v2, v1, v3
	v_add3_u32 v0, v5, v0, v6
	s_cbranch_scc0 .LBB431_214
; %bb.215:
	v_mov_b32_e32 v1, v2
	s_branch .LBB431_230
.LBB431_216:
                                        ; implicit-def: $vgpr2
                                        ; implicit-def: $vgpr0
	s_branch .LBB431_234
.LBB431_217:
	v_mov_b32_e32 v2, 0
	v_mov_b32_e32 v0, 0
	s_branch .LBB431_233
.LBB431_218:
	v_mov_b32_e32 v0, 0
	s_mov_b32 s58, 0
	v_mov_b32_e32 v1, v0
                                        ; implicit-def: $vgpr2
	v_mov_b32_e32 v4, v24
.LBB431_219:
	s_and_b32 s4, s59, 3
	s_cmp_eq_u32 s4, 0
	s_cbranch_scc1 .LBB431_222
; %bb.220:
	s_lshl_b32 s0, s58, 3
	s_add_u32 s0, s34, s0
	s_addc_u32 s1, s35, 0
	s_add_u32 s0, s0, 0xc4
	s_addc_u32 s1, s1, 0
	s_mul_i32 s2, s58, 12
	s_add_u32 s2, s34, s2
	s_addc_u32 s3, s35, 0
.LBB431_221:                            ; =>This Inner Loop Header: Depth=1
	s_load_dwordx2 s[6:7], s[2:3], 0x4
	s_load_dword s5, s[2:3], 0xc
	s_load_dwordx2 s[8:9], s[0:1], 0x0
	v_mov_b32_e32 v2, v1
	s_add_u32 s2, s2, 12
	s_waitcnt lgkmcnt(0)
	v_mul_hi_u32 v1, s7, v4
	v_add_u32_e32 v1, v4, v1
	v_lshrrev_b32_e32 v1, s5, v1
	s_addc_u32 s3, s3, 0
	v_mul_lo_u32 v3, v1, s6
	s_add_u32 s0, s0, 8
	v_sub_u32_e32 v5, v4, v3
	s_addc_u32 s1, s1, 0
	s_add_i32 s4, s4, -1
	v_mov_b32_e32 v4, v1
	v_mad_u64_u32 v[2:3], s[6:7], v5, s9, v[2:3]
	v_mad_u64_u32 v[0:1], s[6:7], v5, s8, v[0:1]
	s_cmp_lg_u32 s4, 0
	v_mov_b32_e32 v1, v2
	s_cbranch_scc1 .LBB431_221
.LBB431_222:
	s_cbranch_execnz .LBB431_225
.LBB431_223:
	s_waitcnt lgkmcnt(0)
	v_mul_hi_u32 v0, s25, v24
	v_add_u32_e32 v0, v24, v0
	v_lshrrev_b32_e32 v1, s26, v0
	v_mul_lo_u32 v0, v1, s24
	v_sub_u32_e32 v0, v24, v0
	v_mul_lo_u32 v2, v0, s21
	s_andn2_b64 vcc, exec, s[42:43]
	v_mul_lo_u32 v0, v0, s20
	s_cbranch_vccnz .LBB431_225
; %bb.224:
	v_mul_hi_u32 v3, s40, v1
	v_add_u32_e32 v3, v1, v3
	v_lshrrev_b32_e32 v3, s41, v3
	v_mul_lo_u32 v3, v3, s27
	v_sub_u32_e32 v3, v1, v3
	v_mad_u64_u32 v[0:1], s[0:1], v3, s22, v[0:1]
	v_mad_u64_u32 v[2:3], s[0:1], v3, s23, v[2:3]
.LBB431_225:
	s_waitcnt lgkmcnt(0)
	global_load_sbyte v1, v2, s[18:19]
	s_bfe_i32 s0, s55, 0x80000
	v_add_u32_e32 v24, 0x80, v24
	s_waitcnt vmcnt(0)
	v_min_i16_e32 v1, s0, v1
	global_store_byte v0, v1, s[16:17]
	s_or_b64 exec, exec, s[48:49]
	v_cmp_gt_i32_e32 vcc, s56, v24
	s_and_saveexec_b64 s[48:49], vcc
	s_cbranch_execnz .LBB431_210
.LBB431_226:
	s_or_b64 exec, exec, s[48:49]
	v_cmp_gt_i32_e32 vcc, s56, v24
	s_and_saveexec_b64 s[48:49], vcc
	s_cbranch_execnz .LBB431_237
.LBB431_227:
	s_or_b64 exec, exec, s[48:49]
                                        ; implicit-def: $vgpr32
                                        ; implicit-def: $vgpr24
	s_andn2_saveexec_b64 s[0:1], s[38:39]
	s_cbranch_execnz .LBB431_9
.LBB431_228:
	s_endpgm
.LBB431_229:
	v_mov_b32_e32 v0, 0
	s_mov_b32 s58, 0
	v_mov_b32_e32 v1, v0
                                        ; implicit-def: $vgpr2
	v_mov_b32_e32 v4, v24
.LBB431_230:
	s_and_b32 s4, s59, 3
	s_cmp_eq_u32 s4, 0
	s_cbranch_scc1 .LBB431_233
; %bb.231:
	s_lshl_b32 s0, s58, 3
	s_add_u32 s0, s34, s0
	s_addc_u32 s1, s35, 0
	s_add_u32 s0, s0, 0xc4
	s_addc_u32 s1, s1, 0
	s_mul_i32 s2, s58, 12
	s_add_u32 s2, s34, s2
	s_addc_u32 s3, s35, 0
.LBB431_232:                            ; =>This Inner Loop Header: Depth=1
	s_load_dwordx2 s[6:7], s[2:3], 0x4
	s_load_dword s5, s[2:3], 0xc
	s_load_dwordx2 s[8:9], s[0:1], 0x0
	v_mov_b32_e32 v2, v1
	s_add_u32 s2, s2, 12
	s_waitcnt lgkmcnt(0)
	v_mul_hi_u32 v1, s7, v4
	v_add_u32_e32 v1, v4, v1
	v_lshrrev_b32_e32 v1, s5, v1
	s_addc_u32 s3, s3, 0
	v_mul_lo_u32 v3, v1, s6
	s_add_u32 s0, s0, 8
	v_sub_u32_e32 v5, v4, v3
	s_addc_u32 s1, s1, 0
	s_add_i32 s4, s4, -1
	v_mov_b32_e32 v4, v1
	v_mad_u64_u32 v[2:3], s[6:7], v5, s9, v[2:3]
	v_mad_u64_u32 v[0:1], s[6:7], v5, s8, v[0:1]
	s_cmp_lg_u32 s4, 0
	v_mov_b32_e32 v1, v2
	s_cbranch_scc1 .LBB431_232
.LBB431_233:
	s_cbranch_execnz .LBB431_236
.LBB431_234:
	s_waitcnt lgkmcnt(0)
	v_mul_hi_u32 v0, s25, v24
	v_add_u32_e32 v0, v24, v0
	v_lshrrev_b32_e32 v1, s26, v0
	v_mul_lo_u32 v0, v1, s24
	v_sub_u32_e32 v0, v24, v0
	v_mul_lo_u32 v2, v0, s21
	s_andn2_b64 vcc, exec, s[42:43]
	v_mul_lo_u32 v0, v0, s20
	s_cbranch_vccnz .LBB431_236
; %bb.235:
	v_mul_hi_u32 v3, s40, v1
	v_add_u32_e32 v3, v1, v3
	v_lshrrev_b32_e32 v3, s41, v3
	v_mul_lo_u32 v3, v3, s27
	v_sub_u32_e32 v3, v1, v3
	v_mad_u64_u32 v[0:1], s[0:1], v3, s22, v[0:1]
	v_mad_u64_u32 v[2:3], s[0:1], v3, s23, v[2:3]
.LBB431_236:
	s_waitcnt lgkmcnt(0)
	global_load_sbyte v1, v2, s[18:19]
	s_bfe_i32 s0, s55, 0x80000
	v_add_u32_e32 v24, 0x80, v24
	s_waitcnt vmcnt(0)
	v_min_i16_e32 v1, s0, v1
	global_store_byte v0, v1, s[16:17]
	s_or_b64 exec, exec, s[48:49]
	v_cmp_gt_i32_e32 vcc, s56, v24
	s_and_saveexec_b64 s[48:49], vcc
	s_cbranch_execz .LBB431_227
.LBB431_237:
	s_andn2_b64 vcc, exec, s[36:37]
	s_cbranch_vccnz .LBB431_243
; %bb.238:
	s_andn2_b64 vcc, exec, s[46:47]
	s_cbranch_vccnz .LBB431_244
; %bb.239:
	s_add_i32 s57, s57, 1
	s_cmp_eq_u32 s54, 2
	s_cbranch_scc1 .LBB431_245
; %bb.240:
	s_and_b32 s50, s57, 28
	s_mov_b32 s51, 0
	v_mov_b32_e32 v0, 0
	v_mov_b32_e32 v2, 0
	s_mov_b64 s[46:47], s[34:35]
	v_mov_b32_e32 v4, v24
.LBB431_241:                            ; =>This Inner Loop Header: Depth=1
	s_load_dwordx8 s[8:15], s[46:47], 0x4
	s_load_dwordx4 s[28:31], s[46:47], 0x24
	s_load_dwordx8 s[0:7], s[44:45], 0x0
	s_add_u32 s46, s46, 48
	s_addc_u32 s47, s47, 0
	s_waitcnt lgkmcnt(0)
	v_mul_hi_u32 v1, s9, v4
	v_add_u32_e32 v1, v4, v1
	v_lshrrev_b32_e32 v1, s10, v1
	v_mul_lo_u32 v3, v1, s8
	v_mul_hi_u32 v5, s12, v1
	v_sub_u32_e32 v3, v4, v3
	v_add_u32_e32 v4, v1, v5
	v_lshrrev_b32_e32 v4, s13, v4
	v_mul_lo_u32 v6, v4, s11
	v_mul_hi_u32 v7, s15, v4
	v_sub_u32_e32 v1, v1, v6
	v_add_u32_e32 v6, v4, v7
	v_mul_lo_u32 v5, v3, s1
	v_mul_lo_u32 v3, v3, s0
	;; [unrolled: 1-line block ×4, first 2 shown]
	v_lshrrev_b32_e32 v6, s28, v6
	v_add3_u32 v0, v3, v0, v1
	v_mul_hi_u32 v3, s30, v6
	v_add3_u32 v1, v5, v2, v7
	v_mul_lo_u32 v2, v6, s14
	v_add_u32_e32 v3, v6, v3
	v_sub_u32_e32 v2, v4, v2
	v_lshrrev_b32_e32 v4, s31, v3
	s_add_i32 s51, s51, 4
	v_mul_lo_u32 v3, v4, s29
	s_add_u32 s44, s44, 32
	v_sub_u32_e32 v3, v6, v3
	s_addc_u32 s45, s45, 0
	v_mul_lo_u32 v5, v2, s4
	v_mul_lo_u32 v2, v2, s5
	;; [unrolled: 1-line block ×4, first 2 shown]
	s_cmp_eq_u32 s50, s51
	v_add3_u32 v2, v2, v1, v3
	v_add3_u32 v0, v5, v0, v6
	s_cbranch_scc0 .LBB431_241
; %bb.242:
	v_mov_b32_e32 v1, v2
	s_branch .LBB431_246
.LBB431_243:
                                        ; implicit-def: $vgpr2
                                        ; implicit-def: $vgpr0
	s_branch .LBB431_250
.LBB431_244:
	v_mov_b32_e32 v2, 0
	v_mov_b32_e32 v0, 0
	s_branch .LBB431_249
.LBB431_245:
	v_mov_b32_e32 v0, 0
	s_mov_b32 s50, 0
	v_mov_b32_e32 v1, v0
                                        ; implicit-def: $vgpr2
	v_mov_b32_e32 v4, v24
.LBB431_246:
	s_and_b32 s4, s57, 3
	s_cmp_eq_u32 s4, 0
	s_cbranch_scc1 .LBB431_249
; %bb.247:
	s_lshl_b32 s0, s50, 3
	s_add_u32 s0, s34, s0
	s_addc_u32 s1, s35, 0
	s_add_u32 s0, s0, 0xc4
	s_addc_u32 s1, s1, 0
	s_mul_i32 s2, s50, 12
	s_add_u32 s2, s34, s2
	s_addc_u32 s3, s35, 0
.LBB431_248:                            ; =>This Inner Loop Header: Depth=1
	s_load_dwordx2 s[6:7], s[2:3], 0x4
	s_load_dword s5, s[2:3], 0xc
	s_load_dwordx2 s[8:9], s[0:1], 0x0
	v_mov_b32_e32 v2, v1
	s_add_u32 s2, s2, 12
	s_waitcnt lgkmcnt(0)
	v_mul_hi_u32 v1, s7, v4
	v_add_u32_e32 v1, v4, v1
	v_lshrrev_b32_e32 v1, s5, v1
	s_addc_u32 s3, s3, 0
	v_mul_lo_u32 v3, v1, s6
	s_add_u32 s0, s0, 8
	v_sub_u32_e32 v5, v4, v3
	s_addc_u32 s1, s1, 0
	s_add_i32 s4, s4, -1
	v_mov_b32_e32 v4, v1
	v_mad_u64_u32 v[2:3], s[6:7], v5, s9, v[2:3]
	v_mad_u64_u32 v[0:1], s[6:7], v5, s8, v[0:1]
	s_cmp_lg_u32 s4, 0
	v_mov_b32_e32 v1, v2
	s_cbranch_scc1 .LBB431_248
.LBB431_249:
	s_cbranch_execnz .LBB431_252
.LBB431_250:
	s_waitcnt lgkmcnt(0)
	v_mul_hi_u32 v0, s25, v24
	v_add_u32_e32 v0, v24, v0
	v_lshrrev_b32_e32 v1, s26, v0
	v_mul_lo_u32 v0, v1, s24
	v_sub_u32_e32 v0, v24, v0
	v_mul_lo_u32 v2, v0, s21
	s_andn2_b64 vcc, exec, s[42:43]
	v_mul_lo_u32 v0, v0, s20
	s_cbranch_vccnz .LBB431_252
; %bb.251:
	v_mul_hi_u32 v3, s40, v1
	v_add_u32_e32 v3, v1, v3
	v_lshrrev_b32_e32 v3, s41, v3
	v_mul_lo_u32 v3, v3, s27
	v_sub_u32_e32 v3, v1, v3
	v_mad_u64_u32 v[0:1], s[0:1], v3, s22, v[0:1]
	v_mad_u64_u32 v[2:3], s[0:1], v3, s23, v[2:3]
.LBB431_252:
	s_waitcnt lgkmcnt(0)
	global_load_sbyte v1, v2, s[18:19]
	s_bfe_i32 s0, s55, 0x80000
	s_waitcnt vmcnt(0)
	v_min_i16_e32 v1, s0, v1
	global_store_byte v0, v1, s[16:17]
	s_or_b64 exec, exec, s[48:49]
                                        ; implicit-def: $vgpr32
                                        ; implicit-def: $vgpr24
	s_andn2_saveexec_b64 s[0:1], s[38:39]
	s_cbranch_execz .LBB431_228
	s_branch .LBB431_9
	.section	.rodata,"a",@progbits
	.p2align	6, 0x0
	.amdhsa_kernel _ZN2at6native32elementwise_kernel_manual_unrollILi128ELi8EZNS0_22gpu_kernel_impl_nocastIZZZNS0_21clamp_max_kernel_cudaERNS_18TensorIteratorBaseERKN3c106ScalarEENKUlvE_clEvENKUlvE0_clEvEUlaE_EEvS4_RKT_EUlibE_EEviT1_
		.amdhsa_group_segment_fixed_size 0
		.amdhsa_private_segment_fixed_size 0
		.amdhsa_kernarg_size 360
		.amdhsa_user_sgpr_count 2
		.amdhsa_user_sgpr_dispatch_ptr 0
		.amdhsa_user_sgpr_queue_ptr 0
		.amdhsa_user_sgpr_kernarg_segment_ptr 1
		.amdhsa_user_sgpr_dispatch_id 0
		.amdhsa_user_sgpr_kernarg_preload_length 0
		.amdhsa_user_sgpr_kernarg_preload_offset 0
		.amdhsa_user_sgpr_private_segment_size 0
		.amdhsa_uses_dynamic_stack 0
		.amdhsa_enable_private_segment 0
		.amdhsa_system_sgpr_workgroup_id_x 1
		.amdhsa_system_sgpr_workgroup_id_y 0
		.amdhsa_system_sgpr_workgroup_id_z 0
		.amdhsa_system_sgpr_workgroup_info 0
		.amdhsa_system_vgpr_workitem_id 0
		.amdhsa_next_free_vgpr 33
		.amdhsa_next_free_sgpr 61
		.amdhsa_accum_offset 36
		.amdhsa_reserve_vcc 1
		.amdhsa_float_round_mode_32 0
		.amdhsa_float_round_mode_16_64 0
		.amdhsa_float_denorm_mode_32 3
		.amdhsa_float_denorm_mode_16_64 3
		.amdhsa_dx10_clamp 1
		.amdhsa_ieee_mode 1
		.amdhsa_fp16_overflow 0
		.amdhsa_tg_split 0
		.amdhsa_exception_fp_ieee_invalid_op 0
		.amdhsa_exception_fp_denorm_src 0
		.amdhsa_exception_fp_ieee_div_zero 0
		.amdhsa_exception_fp_ieee_overflow 0
		.amdhsa_exception_fp_ieee_underflow 0
		.amdhsa_exception_fp_ieee_inexact 0
		.amdhsa_exception_int_div_zero 0
	.end_amdhsa_kernel
	.section	.text._ZN2at6native32elementwise_kernel_manual_unrollILi128ELi8EZNS0_22gpu_kernel_impl_nocastIZZZNS0_21clamp_max_kernel_cudaERNS_18TensorIteratorBaseERKN3c106ScalarEENKUlvE_clEvENKUlvE0_clEvEUlaE_EEvS4_RKT_EUlibE_EEviT1_,"axG",@progbits,_ZN2at6native32elementwise_kernel_manual_unrollILi128ELi8EZNS0_22gpu_kernel_impl_nocastIZZZNS0_21clamp_max_kernel_cudaERNS_18TensorIteratorBaseERKN3c106ScalarEENKUlvE_clEvENKUlvE0_clEvEUlaE_EEvS4_RKT_EUlibE_EEviT1_,comdat
.Lfunc_end431:
	.size	_ZN2at6native32elementwise_kernel_manual_unrollILi128ELi8EZNS0_22gpu_kernel_impl_nocastIZZZNS0_21clamp_max_kernel_cudaERNS_18TensorIteratorBaseERKN3c106ScalarEENKUlvE_clEvENKUlvE0_clEvEUlaE_EEvS4_RKT_EUlibE_EEviT1_, .Lfunc_end431-_ZN2at6native32elementwise_kernel_manual_unrollILi128ELi8EZNS0_22gpu_kernel_impl_nocastIZZZNS0_21clamp_max_kernel_cudaERNS_18TensorIteratorBaseERKN3c106ScalarEENKUlvE_clEvENKUlvE0_clEvEUlaE_EEvS4_RKT_EUlibE_EEviT1_
                                        ; -- End function
	.set _ZN2at6native32elementwise_kernel_manual_unrollILi128ELi8EZNS0_22gpu_kernel_impl_nocastIZZZNS0_21clamp_max_kernel_cudaERNS_18TensorIteratorBaseERKN3c106ScalarEENKUlvE_clEvENKUlvE0_clEvEUlaE_EEvS4_RKT_EUlibE_EEviT1_.num_vgpr, 33
	.set _ZN2at6native32elementwise_kernel_manual_unrollILi128ELi8EZNS0_22gpu_kernel_impl_nocastIZZZNS0_21clamp_max_kernel_cudaERNS_18TensorIteratorBaseERKN3c106ScalarEENKUlvE_clEvENKUlvE0_clEvEUlaE_EEvS4_RKT_EUlibE_EEviT1_.num_agpr, 0
	.set _ZN2at6native32elementwise_kernel_manual_unrollILi128ELi8EZNS0_22gpu_kernel_impl_nocastIZZZNS0_21clamp_max_kernel_cudaERNS_18TensorIteratorBaseERKN3c106ScalarEENKUlvE_clEvENKUlvE0_clEvEUlaE_EEvS4_RKT_EUlibE_EEviT1_.numbered_sgpr, 61
	.set _ZN2at6native32elementwise_kernel_manual_unrollILi128ELi8EZNS0_22gpu_kernel_impl_nocastIZZZNS0_21clamp_max_kernel_cudaERNS_18TensorIteratorBaseERKN3c106ScalarEENKUlvE_clEvENKUlvE0_clEvEUlaE_EEvS4_RKT_EUlibE_EEviT1_.num_named_barrier, 0
	.set _ZN2at6native32elementwise_kernel_manual_unrollILi128ELi8EZNS0_22gpu_kernel_impl_nocastIZZZNS0_21clamp_max_kernel_cudaERNS_18TensorIteratorBaseERKN3c106ScalarEENKUlvE_clEvENKUlvE0_clEvEUlaE_EEvS4_RKT_EUlibE_EEviT1_.private_seg_size, 0
	.set _ZN2at6native32elementwise_kernel_manual_unrollILi128ELi8EZNS0_22gpu_kernel_impl_nocastIZZZNS0_21clamp_max_kernel_cudaERNS_18TensorIteratorBaseERKN3c106ScalarEENKUlvE_clEvENKUlvE0_clEvEUlaE_EEvS4_RKT_EUlibE_EEviT1_.uses_vcc, 1
	.set _ZN2at6native32elementwise_kernel_manual_unrollILi128ELi8EZNS0_22gpu_kernel_impl_nocastIZZZNS0_21clamp_max_kernel_cudaERNS_18TensorIteratorBaseERKN3c106ScalarEENKUlvE_clEvENKUlvE0_clEvEUlaE_EEvS4_RKT_EUlibE_EEviT1_.uses_flat_scratch, 0
	.set _ZN2at6native32elementwise_kernel_manual_unrollILi128ELi8EZNS0_22gpu_kernel_impl_nocastIZZZNS0_21clamp_max_kernel_cudaERNS_18TensorIteratorBaseERKN3c106ScalarEENKUlvE_clEvENKUlvE0_clEvEUlaE_EEvS4_RKT_EUlibE_EEviT1_.has_dyn_sized_stack, 0
	.set _ZN2at6native32elementwise_kernel_manual_unrollILi128ELi8EZNS0_22gpu_kernel_impl_nocastIZZZNS0_21clamp_max_kernel_cudaERNS_18TensorIteratorBaseERKN3c106ScalarEENKUlvE_clEvENKUlvE0_clEvEUlaE_EEvS4_RKT_EUlibE_EEviT1_.has_recursion, 0
	.set _ZN2at6native32elementwise_kernel_manual_unrollILi128ELi8EZNS0_22gpu_kernel_impl_nocastIZZZNS0_21clamp_max_kernel_cudaERNS_18TensorIteratorBaseERKN3c106ScalarEENKUlvE_clEvENKUlvE0_clEvEUlaE_EEvS4_RKT_EUlibE_EEviT1_.has_indirect_call, 0
	.section	.AMDGPU.csdata,"",@progbits
; Kernel info:
; codeLenInByte = 11540
; TotalNumSgprs: 67
; NumVgprs: 33
; NumAgprs: 0
; TotalNumVgprs: 33
; ScratchSize: 0
; MemoryBound: 0
; FloatMode: 240
; IeeeMode: 1
; LDSByteSize: 0 bytes/workgroup (compile time only)
; SGPRBlocks: 8
; VGPRBlocks: 4
; NumSGPRsForWavesPerEU: 67
; NumVGPRsForWavesPerEU: 33
; AccumOffset: 36
; Occupancy: 8
; WaveLimiterHint : 1
; COMPUTE_PGM_RSRC2:SCRATCH_EN: 0
; COMPUTE_PGM_RSRC2:USER_SGPR: 2
; COMPUTE_PGM_RSRC2:TRAP_HANDLER: 0
; COMPUTE_PGM_RSRC2:TGID_X_EN: 1
; COMPUTE_PGM_RSRC2:TGID_Y_EN: 0
; COMPUTE_PGM_RSRC2:TGID_Z_EN: 0
; COMPUTE_PGM_RSRC2:TIDIG_COMP_CNT: 0
; COMPUTE_PGM_RSRC3_GFX90A:ACCUM_OFFSET: 8
; COMPUTE_PGM_RSRC3_GFX90A:TG_SPLIT: 0
	.section	.text._ZN2at6native32elementwise_kernel_manual_unrollILi128ELi4EZNS0_15gpu_kernel_implIZZZNS0_21clamp_max_kernel_cudaERNS_18TensorIteratorBaseERKN3c106ScalarEENKUlvE_clEvENKUlvE0_clEvEUlaE_EEvS4_RKT_EUlibE_EEviT1_,"axG",@progbits,_ZN2at6native32elementwise_kernel_manual_unrollILi128ELi4EZNS0_15gpu_kernel_implIZZZNS0_21clamp_max_kernel_cudaERNS_18TensorIteratorBaseERKN3c106ScalarEENKUlvE_clEvENKUlvE0_clEvEUlaE_EEvS4_RKT_EUlibE_EEviT1_,comdat
	.globl	_ZN2at6native32elementwise_kernel_manual_unrollILi128ELi4EZNS0_15gpu_kernel_implIZZZNS0_21clamp_max_kernel_cudaERNS_18TensorIteratorBaseERKN3c106ScalarEENKUlvE_clEvENKUlvE0_clEvEUlaE_EEvS4_RKT_EUlibE_EEviT1_ ; -- Begin function _ZN2at6native32elementwise_kernel_manual_unrollILi128ELi4EZNS0_15gpu_kernel_implIZZZNS0_21clamp_max_kernel_cudaERNS_18TensorIteratorBaseERKN3c106ScalarEENKUlvE_clEvENKUlvE0_clEvEUlaE_EEvS4_RKT_EUlibE_EEviT1_
	.p2align	8
	.type	_ZN2at6native32elementwise_kernel_manual_unrollILi128ELi4EZNS0_15gpu_kernel_implIZZZNS0_21clamp_max_kernel_cudaERNS_18TensorIteratorBaseERKN3c106ScalarEENKUlvE_clEvENKUlvE0_clEvEUlaE_EEvS4_RKT_EUlibE_EEviT1_,@function
_ZN2at6native32elementwise_kernel_manual_unrollILi128ELi4EZNS0_15gpu_kernel_implIZZZNS0_21clamp_max_kernel_cudaERNS_18TensorIteratorBaseERKN3c106ScalarEENKUlvE_clEvENKUlvE0_clEvEUlaE_EEvS4_RKT_EUlibE_EEviT1_: ; @_ZN2at6native32elementwise_kernel_manual_unrollILi128ELi4EZNS0_15gpu_kernel_implIZZZNS0_21clamp_max_kernel_cudaERNS_18TensorIteratorBaseERKN3c106ScalarEENKUlvE_clEvENKUlvE0_clEvEUlaE_EEvS4_RKT_EUlibE_EEviT1_
; %bb.0:
	s_load_dword s33, s[0:1], 0x20
	s_load_dwordx2 s[8:9], s[0:1], 0x18
	s_load_dword s38, s[0:1], 0x0
	s_load_dwordx4 s[4:7], s[0:1], 0x8
	v_lshl_or_b32 v10, s2, 9, v0
	v_or_b32_e32 v0, 0x180, v10
	s_waitcnt lgkmcnt(0)
	s_lshr_b32 s42, s33, 8
	s_lshr_b32 s43, s33, 16
	v_cmp_le_i32_e32 vcc, s38, v0
	s_mov_b64 s[2:3], 0
	s_mov_b64 s[12:13], 0
	s_and_saveexec_b64 s[0:1], vcc
	s_xor_b64 s[10:11], exec, s[0:1]
	s_cbranch_execz .LBB432_1011
; %bb.1:
	v_cmp_gt_i32_e32 vcc, s38, v10
	s_mov_b64 s[18:19], -1
	s_mov_b64 s[20:21], 0
	s_mov_b64 s[14:15], 0
	s_and_saveexec_b64 s[16:17], vcc
	s_cbranch_execz .LBB432_248
; %bb.2:
	v_mul_lo_u32 v0, v10, s9
	v_ashrrev_i32_e32 v1, 31, v0
	s_and_b32 s18, s43, 0xff
	s_cmp_lt_i32 s18, 11
	v_lshl_add_u64 v[0:1], s[6:7], 0, v[0:1]
	s_cbranch_scc1 .LBB432_9
; %bb.3:
	s_and_b32 s19, 0xffff, s18
	s_cmp_gt_i32 s19, 25
	s_cbranch_scc0 .LBB432_18
; %bb.4:
	s_cmp_gt_i32 s19, 28
	s_cbranch_scc0 .LBB432_22
; %bb.5:
	;; [unrolled: 3-line block ×4, first 2 shown]
	s_cmp_eq_u32 s19, 46
	s_cbranch_scc0 .LBB432_28
; %bb.8:
	global_load_dword v2, v[0:1], off
	s_mov_b64 s[0:1], -1
	s_waitcnt vmcnt(0)
	v_lshlrev_b32_e32 v2, 16, v2
	v_cvt_i32_f32_e32 v2, v2
	s_branch .LBB432_30
.LBB432_9:
                                        ; implicit-def: $vgpr2
	s_mov_b64 s[0:1], 0
	s_cbranch_execnz .LBB432_199
.LBB432_10:
	s_andn2_b64 vcc, exec, s[0:1]
	s_cbranch_vccnz .LBB432_246
.LBB432_11:
	v_mul_lo_u32 v0, v10, s8
	s_bfe_i32 s0, s33, 0x80000
	v_ashrrev_i32_e32 v1, 31, v0
	s_and_b32 s24, s42, 0xff
	s_waitcnt vmcnt(0)
	v_min_i16_sdwa v4, sext(v2), s0 dst_sel:DWORD dst_unused:UNUSED_PAD src0_sel:BYTE_0 src1_sel:DWORD
	s_cmp_lt_i32 s24, 11
	v_lshl_add_u64 v[0:1], s[4:5], 0, v[0:1]
	s_cbranch_scc1 .LBB432_19
; %bb.12:
	s_and_b32 s25, 0xffff, s24
	s_cmp_gt_i32 s25, 25
	s_cbranch_scc0 .LBB432_23
; %bb.13:
	s_cmp_gt_i32 s25, 28
	s_cbranch_scc0 .LBB432_25
; %bb.14:
	;; [unrolled: 3-line block ×4, first 2 shown]
	s_mov_b64 s[18:19], 0
	s_mov_b64 s[0:1], -1
	s_cmp_eq_u32 s25, 46
	s_mov_b64 s[12:13], 0
	s_cbranch_scc0 .LBB432_34
; %bb.17:
	v_cvt_f32_i32_sdwa v2, sext(v4) dst_sel:DWORD dst_unused:UNUSED_PAD src0_sel:WORD_0
	s_movk_i32 s0, 0x7fff
	s_mov_b64 s[12:13], -1
	v_bfe_u32 v3, v2, 16, 1
	v_add3_u32 v2, v2, v3, s0
	v_lshrrev_b32_e32 v2, 16, v2
	global_store_dword v[0:1], v2, off
	s_mov_b64 s[0:1], 0
	s_branch .LBB432_34
.LBB432_18:
	s_mov_b64 s[0:1], 0
                                        ; implicit-def: $vgpr2
	s_cbranch_execnz .LBB432_166
	s_branch .LBB432_198
.LBB432_19:
	s_mov_b64 s[0:1], 0
	s_mov_b64 s[12:13], 0
	s_cbranch_execnz .LBB432_103
.LBB432_20:
	s_andn2_b64 vcc, exec, s[12:13]
	s_cbranch_vccnz .LBB432_141
.LBB432_21:
	v_add_u32_e32 v10, 0x80, v10
	s_mov_b64 s[18:19], -1
	s_branch .LBB432_247
.LBB432_22:
	s_mov_b64 s[12:13], -1
	s_mov_b64 s[0:1], 0
                                        ; implicit-def: $vgpr2
	s_branch .LBB432_149
.LBB432_23:
	s_mov_b64 s[18:19], -1
	s_mov_b64 s[0:1], 0
	s_mov_b64 s[12:13], 0
	s_branch .LBB432_61
.LBB432_24:
	s_mov_b64 s[12:13], -1
	s_mov_b64 s[0:1], 0
                                        ; implicit-def: $vgpr2
	s_branch .LBB432_144
.LBB432_25:
	s_mov_b64 s[18:19], -1
	s_mov_b64 s[0:1], 0
	s_mov_b64 s[12:13], 0
	s_branch .LBB432_44
.LBB432_26:
	s_mov_b64 s[12:13], -1
	s_branch .LBB432_29
.LBB432_27:
	s_mov_b64 s[18:19], -1
	s_mov_b64 s[0:1], 0
	s_mov_b64 s[12:13], 0
	s_branch .LBB432_40
.LBB432_28:
	s_mov_b64 s[14:15], -1
.LBB432_29:
	s_mov_b64 s[0:1], 0
                                        ; implicit-def: $vgpr2
.LBB432_30:
	s_and_b64 vcc, exec, s[12:13]
	s_cbranch_vccz .LBB432_143
; %bb.31:
	s_cmp_eq_u32 s19, 44
	s_cbranch_scc0 .LBB432_142
; %bb.32:
	global_load_ubyte v2, v[0:1], off
	s_mov_b64 s[0:1], -1
	s_mov_b64 s[14:15], 0
	s_waitcnt vmcnt(0)
	v_lshlrev_b32_e32 v3, 23, v2
	v_cvt_i32_f32_e32 v3, v3
	v_cmp_ne_u32_e32 vcc, 0, v2
	s_nop 1
	v_cndmask_b32_e32 v2, 0, v3, vcc
	s_branch .LBB432_143
.LBB432_33:
	s_mov_b64 s[18:19], -1
	s_mov_b64 s[0:1], 0
	s_mov_b64 s[12:13], 0
.LBB432_34:
	s_and_b64 vcc, exec, s[18:19]
	s_cbranch_vccz .LBB432_39
; %bb.35:
	s_cmp_eq_u32 s25, 44
	s_mov_b64 s[0:1], -1
	s_cbranch_scc0 .LBB432_39
; %bb.36:
	v_cvt_f32_i32_sdwa v2, sext(v4) dst_sel:DWORD dst_unused:UNUSED_PAD src0_sel:WORD_0
	s_movk_i32 s0, 0xff
	v_mov_b32_e32 v5, 0xff
	v_bfe_u32 v3, v2, 23, 8
	v_cmp_ne_u32_e32 vcc, s0, v3
	s_and_saveexec_b64 s[12:13], vcc
; %bb.37:
	s_mov_b32 s0, 0x3fffff
	v_lshrrev_b32_e32 v5, 23, v2
	v_and_b32_e32 v6, 0x400000, v2
	v_and_or_b32 v2, v2, s0, v3
	v_cmp_ne_u32_e32 vcc, 0, v6
	v_cmp_ne_u32_e64 s[0:1], 0, v2
	s_and_b64 s[0:1], vcc, s[0:1]
	s_nop 0
	v_cndmask_b32_e64 v2, 0, 1, s[0:1]
	v_add_u32_e32 v5, v5, v2
; %bb.38:
	s_or_b64 exec, exec, s[12:13]
	s_mov_b64 s[12:13], -1
	s_mov_b64 s[0:1], 0
	global_store_byte v[0:1], v5, off
.LBB432_39:
	s_mov_b64 s[18:19], 0
.LBB432_40:
	s_and_b64 vcc, exec, s[18:19]
	s_cbranch_vccz .LBB432_43
; %bb.41:
	s_cmp_eq_u32 s25, 29
	s_mov_b64 s[0:1], -1
	s_cbranch_scc0 .LBB432_43
; %bb.42:
	v_bfe_i32 v2, v4, 0, 16
	v_ashrrev_i32_e32 v3, 31, v2
	global_store_dwordx2 v[0:1], v[2:3], off
	s_mov_b64 s[12:13], -1
	s_mov_b64 s[0:1], 0
.LBB432_43:
	s_mov_b64 s[18:19], 0
.LBB432_44:
	s_and_b64 vcc, exec, s[18:19]
	s_cbranch_vccz .LBB432_60
; %bb.45:
	s_cmp_lt_i32 s25, 27
	s_mov_b64 s[12:13], -1
	s_cbranch_scc1 .LBB432_51
; %bb.46:
	s_cmp_gt_i32 s25, 27
	s_cbranch_scc0 .LBB432_48
; %bb.47:
	v_bfe_i32 v2, v4, 0, 16
	s_mov_b64 s[12:13], 0
	global_store_dword v[0:1], v2, off
.LBB432_48:
	s_andn2_b64 vcc, exec, s[12:13]
	s_cbranch_vccnz .LBB432_50
; %bb.49:
	global_store_short v[0:1], v4, off
.LBB432_50:
	s_mov_b64 s[12:13], 0
.LBB432_51:
	s_andn2_b64 vcc, exec, s[12:13]
	s_cbranch_vccnz .LBB432_59
; %bb.52:
	v_cvt_f32_i32_sdwa v2, sext(v4) dst_sel:DWORD dst_unused:UNUSED_PAD src0_sel:WORD_0
	s_mov_b32 s12, 0x43800000
	v_mov_b32_e32 v5, 0x80
	v_and_b32_e32 v3, 0x7fffffff, v2
	v_cmp_gt_u32_e32 vcc, s12, v3
	s_and_saveexec_b64 s[12:13], vcc
	s_cbranch_execz .LBB432_58
; %bb.53:
	s_mov_b32 s18, 0x3bffffff
	v_cmp_lt_u32_e32 vcc, s18, v3
	s_mov_b64 s[18:19], 0
                                        ; implicit-def: $vgpr3
	s_and_saveexec_b64 s[22:23], vcc
	s_xor_b64 s[22:23], exec, s[22:23]
	s_cbranch_execz .LBB432_275
; %bb.54:
	v_bfe_u32 v3, v2, 20, 1
	s_mov_b32 s26, 0x487ffff
	v_add3_u32 v3, v2, v3, s26
	s_mov_b64 s[18:19], exec
	v_lshrrev_b32_e32 v3, 20, v3
	s_andn2_saveexec_b64 s[22:23], s[22:23]
	s_cbranch_execnz .LBB432_276
.LBB432_55:
	s_or_b64 exec, exec, s[22:23]
	v_mov_b32_e32 v5, 0
	s_and_saveexec_b64 s[22:23], s[18:19]
.LBB432_56:
	v_lshrrev_b32_e32 v2, 24, v2
	s_movk_i32 s18, 0x80
	v_and_or_b32 v5, v2, s18, v3
.LBB432_57:
	s_or_b64 exec, exec, s[22:23]
.LBB432_58:
	s_or_b64 exec, exec, s[12:13]
	global_store_byte v[0:1], v5, off
.LBB432_59:
	s_mov_b64 s[12:13], -1
.LBB432_60:
	s_mov_b64 s[18:19], 0
.LBB432_61:
	s_and_b64 vcc, exec, s[18:19]
	s_cbranch_vccz .LBB432_102
; %bb.62:
	s_cmp_gt_i32 s25, 22
	s_mov_b64 s[18:19], -1
	s_cbranch_scc0 .LBB432_94
; %bb.63:
	s_cmp_lt_i32 s25, 24
	s_mov_b64 s[12:13], -1
	s_cbranch_scc1 .LBB432_83
; %bb.64:
	s_cmp_gt_i32 s25, 24
	s_cbranch_scc0 .LBB432_72
; %bb.65:
	v_cvt_f32_i32_sdwa v2, sext(v4) dst_sel:DWORD dst_unused:UNUSED_PAD src0_sel:WORD_0
	s_mov_b32 s12, 0x47800000
	v_mov_b32_e32 v5, 0x80
	v_and_b32_e32 v3, 0x7fffffff, v2
	v_cmp_gt_u32_e32 vcc, s12, v3
	s_and_saveexec_b64 s[12:13], vcc
	s_cbranch_execz .LBB432_71
; %bb.66:
	s_mov_b32 s18, 0x37ffffff
	v_cmp_lt_u32_e32 vcc, s18, v3
	s_mov_b64 s[18:19], 0
                                        ; implicit-def: $vgpr3
	s_and_saveexec_b64 s[22:23], vcc
	s_xor_b64 s[22:23], exec, s[22:23]
	s_cbranch_execz .LBB432_279
; %bb.67:
	v_bfe_u32 v3, v2, 21, 1
	s_mov_b32 s26, 0x88fffff
	v_add3_u32 v3, v2, v3, s26
	s_mov_b64 s[18:19], exec
	v_lshrrev_b32_e32 v3, 21, v3
	s_andn2_saveexec_b64 s[22:23], s[22:23]
	s_cbranch_execnz .LBB432_280
.LBB432_68:
	s_or_b64 exec, exec, s[22:23]
	v_mov_b32_e32 v5, 0
	s_and_saveexec_b64 s[22:23], s[18:19]
.LBB432_69:
	v_lshrrev_b32_e32 v2, 24, v2
	s_movk_i32 s18, 0x80
	v_and_or_b32 v5, v2, s18, v3
.LBB432_70:
	s_or_b64 exec, exec, s[22:23]
.LBB432_71:
	s_or_b64 exec, exec, s[12:13]
	s_mov_b64 s[12:13], 0
	global_store_byte v[0:1], v5, off
.LBB432_72:
	s_and_b64 vcc, exec, s[12:13]
	s_cbranch_vccz .LBB432_82
; %bb.73:
	v_cvt_f32_i32_sdwa v2, sext(v4) dst_sel:DWORD dst_unused:UNUSED_PAD src0_sel:WORD_0
	s_mov_b32 s12, 0x43f00000
                                        ; implicit-def: $vgpr3
	v_and_b32_e32 v5, 0x7fffffff, v2
	v_cmp_gt_u32_e32 vcc, s12, v5
	s_and_saveexec_b64 s[12:13], vcc
	s_xor_b64 s[12:13], exec, s[12:13]
	s_cbranch_execz .LBB432_79
; %bb.74:
	s_mov_b32 s18, 0x3c7fffff
	v_cmp_lt_u32_e32 vcc, s18, v5
                                        ; implicit-def: $vgpr3
	s_and_saveexec_b64 s[18:19], vcc
	s_xor_b64 s[18:19], exec, s[18:19]
; %bb.75:
	v_bfe_u32 v3, v2, 20, 1
	s_mov_b32 s22, 0x407ffff
	v_add3_u32 v3, v2, v3, s22
	v_lshrrev_b32_e32 v5, 20, v3
	v_and_b32_e32 v3, 0xff00000, v3
	s_mov_b32 s22, 0x7f00000
	v_mov_b32_e32 v6, 0x7e
	v_cmp_ne_u32_e32 vcc, s22, v3
	s_nop 1
	v_cndmask_b32_e32 v3, v6, v5, vcc
; %bb.76:
	s_andn2_saveexec_b64 s[18:19], s[18:19]
; %bb.77:
	s_mov_b32 s22, 0x46800000
	v_add_f32_e64 v3, |v2|, s22
; %bb.78:
	s_or_b64 exec, exec, s[18:19]
                                        ; implicit-def: $vgpr5
.LBB432_79:
	s_andn2_saveexec_b64 s[12:13], s[12:13]
; %bb.80:
	s_mov_b32 s18, 0x7f800000
	v_mov_b32_e32 v3, 0x7e
	v_mov_b32_e32 v6, 0x7f
	v_cmp_lt_u32_e32 vcc, s18, v5
	s_nop 1
	v_cndmask_b32_e32 v3, v3, v6, vcc
; %bb.81:
	s_or_b64 exec, exec, s[12:13]
	v_lshrrev_b32_e32 v2, 24, v2
	s_movk_i32 s12, 0x80
	v_and_or_b32 v2, v2, s12, v3
	global_store_byte v[0:1], v2, off
.LBB432_82:
	s_mov_b64 s[12:13], 0
.LBB432_83:
	s_andn2_b64 vcc, exec, s[12:13]
	s_cbranch_vccnz .LBB432_93
; %bb.84:
	v_cvt_f32_i32_sdwa v2, sext(v4) dst_sel:DWORD dst_unused:UNUSED_PAD src0_sel:WORD_0
	s_mov_b32 s12, 0x47800000
                                        ; implicit-def: $vgpr3
	v_and_b32_e32 v5, 0x7fffffff, v2
	v_cmp_gt_u32_e32 vcc, s12, v5
	s_and_saveexec_b64 s[12:13], vcc
	s_xor_b64 s[12:13], exec, s[12:13]
	s_cbranch_execz .LBB432_90
; %bb.85:
	s_mov_b32 s18, 0x387fffff
	v_cmp_lt_u32_e32 vcc, s18, v5
                                        ; implicit-def: $vgpr3
	s_and_saveexec_b64 s[18:19], vcc
	s_xor_b64 s[18:19], exec, s[18:19]
; %bb.86:
	v_bfe_u32 v3, v2, 21, 1
	s_mov_b32 s22, 0x80fffff
	v_add3_u32 v3, v2, v3, s22
	v_lshrrev_b32_e32 v3, 21, v3
; %bb.87:
	s_andn2_saveexec_b64 s[18:19], s[18:19]
; %bb.88:
	s_mov_b32 s22, 0x43000000
	v_add_f32_e64 v3, |v2|, s22
; %bb.89:
	s_or_b64 exec, exec, s[18:19]
                                        ; implicit-def: $vgpr5
.LBB432_90:
	s_andn2_saveexec_b64 s[12:13], s[12:13]
; %bb.91:
	s_mov_b32 s18, 0x7f800000
	v_mov_b32_e32 v3, 0x7c
	v_mov_b32_e32 v6, 0x7f
	v_cmp_lt_u32_e32 vcc, s18, v5
	s_nop 1
	v_cndmask_b32_e32 v3, v3, v6, vcc
; %bb.92:
	s_or_b64 exec, exec, s[12:13]
	v_lshrrev_b32_e32 v2, 24, v2
	s_movk_i32 s12, 0x80
	v_and_or_b32 v2, v2, s12, v3
	global_store_byte v[0:1], v2, off
.LBB432_93:
	s_mov_b64 s[18:19], 0
	s_mov_b64 s[12:13], -1
.LBB432_94:
	s_andn2_b64 vcc, exec, s[18:19]
	s_cbranch_vccnz .LBB432_102
; %bb.95:
	s_cmp_gt_i32 s25, 14
	s_mov_b64 s[18:19], -1
	s_cbranch_scc0 .LBB432_99
; %bb.96:
	s_cmp_eq_u32 s25, 15
	s_mov_b64 s[0:1], -1
	s_cbranch_scc0 .LBB432_98
; %bb.97:
	v_cvt_f32_i32_sdwa v2, sext(v4) dst_sel:DWORD dst_unused:UNUSED_PAD src0_sel:WORD_0
	s_movk_i32 s0, 0x7fff
	s_mov_b64 s[12:13], -1
	v_bfe_u32 v3, v2, 16, 1
	v_add3_u32 v2, v2, v3, s0
	global_store_short_d16_hi v[0:1], v2, off
	s_mov_b64 s[0:1], 0
.LBB432_98:
	s_mov_b64 s[18:19], 0
.LBB432_99:
	s_and_b64 vcc, exec, s[18:19]
	s_cbranch_vccz .LBB432_102
; %bb.100:
	s_cmp_eq_u32 s25, 11
	s_mov_b64 s[0:1], -1
	s_cbranch_scc0 .LBB432_102
; %bb.101:
	v_cmp_ne_u16_e32 vcc, 0, v4
	s_mov_b64 s[12:13], -1
	s_mov_b64 s[0:1], 0
	v_cndmask_b32_e64 v2, 0, 1, vcc
	global_store_byte v[0:1], v2, off
.LBB432_102:
	s_branch .LBB432_20
.LBB432_103:
	s_and_b32 s18, 0xffff, s24
	s_cmp_lt_i32 s18, 5
	s_mov_b64 s[12:13], -1
	s_cbranch_scc1 .LBB432_124
; %bb.104:
	s_cmp_lt_i32 s18, 8
	s_cbranch_scc1 .LBB432_114
; %bb.105:
	s_cmp_lt_i32 s18, 9
	s_cbranch_scc1 .LBB432_111
; %bb.106:
	s_cmp_gt_i32 s18, 9
	s_cbranch_scc0 .LBB432_108
; %bb.107:
	v_bfe_i32 v2, v4, 0, 16
	v_mov_b32_e32 v8, 0
	v_cvt_f64_i32_e32 v[6:7], v2
	v_mov_b32_e32 v9, v8
	global_store_dwordx4 v[0:1], v[6:9], off
	s_mov_b64 s[12:13], 0
.LBB432_108:
	s_andn2_b64 vcc, exec, s[12:13]
	s_cbranch_vccnz .LBB432_110
; %bb.109:
	v_cvt_f32_i32_sdwa v2, sext(v4) dst_sel:DWORD dst_unused:UNUSED_PAD src0_sel:WORD_0
	v_mov_b32_e32 v3, 0
	global_store_dwordx2 v[0:1], v[2:3], off
.LBB432_110:
	s_mov_b64 s[12:13], 0
.LBB432_111:
	s_andn2_b64 vcc, exec, s[12:13]
	s_cbranch_vccnz .LBB432_113
; %bb.112:
	v_cvt_f16_i16_e32 v2, v4
	global_store_dword v[0:1], v2, off
.LBB432_113:
	s_mov_b64 s[12:13], 0
.LBB432_114:
	s_andn2_b64 vcc, exec, s[12:13]
	s_cbranch_vccnz .LBB432_123
; %bb.115:
	s_cmp_lt_i32 s18, 6
	s_mov_b64 s[12:13], -1
	s_cbranch_scc1 .LBB432_121
; %bb.116:
	s_cmp_gt_i32 s18, 6
	s_cbranch_scc0 .LBB432_118
; %bb.117:
	v_bfe_i32 v2, v4, 0, 16
	v_cvt_f64_i32_e32 v[2:3], v2
	global_store_dwordx2 v[0:1], v[2:3], off
	s_mov_b64 s[12:13], 0
.LBB432_118:
	s_andn2_b64 vcc, exec, s[12:13]
	s_cbranch_vccnz .LBB432_120
; %bb.119:
	v_cvt_f32_i32_sdwa v2, sext(v4) dst_sel:DWORD dst_unused:UNUSED_PAD src0_sel:WORD_0
	global_store_dword v[0:1], v2, off
.LBB432_120:
	s_mov_b64 s[12:13], 0
.LBB432_121:
	s_andn2_b64 vcc, exec, s[12:13]
	s_cbranch_vccnz .LBB432_123
; %bb.122:
	v_cvt_f16_i16_e32 v2, v4
	global_store_short v[0:1], v2, off
.LBB432_123:
	s_mov_b64 s[12:13], 0
.LBB432_124:
	s_andn2_b64 vcc, exec, s[12:13]
	s_cbranch_vccnz .LBB432_140
; %bb.125:
	s_cmp_lt_i32 s18, 2
	s_mov_b64 s[12:13], -1
	s_cbranch_scc1 .LBB432_135
; %bb.126:
	s_cmp_lt_i32 s18, 3
	s_cbranch_scc1 .LBB432_132
; %bb.127:
	s_cmp_gt_i32 s18, 3
	v_bfe_i32 v2, v4, 0, 16
	s_cbranch_scc0 .LBB432_129
; %bb.128:
	v_ashrrev_i32_e32 v3, 31, v2
	global_store_dwordx2 v[0:1], v[2:3], off
	s_mov_b64 s[12:13], 0
.LBB432_129:
	s_andn2_b64 vcc, exec, s[12:13]
	s_cbranch_vccnz .LBB432_131
; %bb.130:
	global_store_dword v[0:1], v2, off
.LBB432_131:
	s_mov_b64 s[12:13], 0
.LBB432_132:
	s_andn2_b64 vcc, exec, s[12:13]
	s_cbranch_vccnz .LBB432_134
; %bb.133:
	global_store_short v[0:1], v4, off
.LBB432_134:
	s_mov_b64 s[12:13], 0
.LBB432_135:
	s_andn2_b64 vcc, exec, s[12:13]
	s_cbranch_vccnz .LBB432_140
; %bb.136:
	s_cmp_gt_i32 s18, 0
	s_mov_b64 s[12:13], -1
	s_cbranch_scc0 .LBB432_138
; %bb.137:
	global_store_byte v[0:1], v4, off
	s_mov_b64 s[12:13], 0
.LBB432_138:
	s_andn2_b64 vcc, exec, s[12:13]
	s_cbranch_vccnz .LBB432_140
; %bb.139:
	global_store_byte v[0:1], v4, off
.LBB432_140:
	s_branch .LBB432_21
.LBB432_141:
	s_mov_b64 s[18:19], 0
                                        ; implicit-def: $vgpr10
	s_branch .LBB432_247
.LBB432_142:
	s_mov_b64 s[14:15], -1
                                        ; implicit-def: $vgpr2
.LBB432_143:
	s_mov_b64 s[12:13], 0
.LBB432_144:
	s_and_b64 vcc, exec, s[12:13]
	s_cbranch_vccz .LBB432_148
; %bb.145:
	s_cmp_eq_u32 s19, 29
	s_cbranch_scc0 .LBB432_147
; %bb.146:
	global_load_dwordx2 v[2:3], v[0:1], off
	s_mov_b64 s[0:1], -1
	s_mov_b64 s[14:15], 0
	s_branch .LBB432_148
.LBB432_147:
	s_mov_b64 s[14:15], -1
                                        ; implicit-def: $vgpr2
.LBB432_148:
	s_mov_b64 s[12:13], 0
.LBB432_149:
	s_and_b64 vcc, exec, s[12:13]
	s_cbranch_vccz .LBB432_165
; %bb.150:
	s_cmp_lt_i32 s19, 27
	s_cbranch_scc1 .LBB432_153
; %bb.151:
	s_cmp_gt_i32 s19, 27
	s_cbranch_scc0 .LBB432_154
; %bb.152:
	global_load_dword v2, v[0:1], off
	s_mov_b64 s[0:1], 0
	s_branch .LBB432_155
.LBB432_153:
	s_mov_b64 s[0:1], -1
                                        ; implicit-def: $vgpr2
	s_branch .LBB432_158
.LBB432_154:
	s_mov_b64 s[0:1], -1
                                        ; implicit-def: $vgpr2
.LBB432_155:
	s_andn2_b64 vcc, exec, s[0:1]
	s_cbranch_vccnz .LBB432_157
; %bb.156:
	global_load_ushort v2, v[0:1], off
.LBB432_157:
	s_mov_b64 s[0:1], 0
.LBB432_158:
	s_andn2_b64 vcc, exec, s[0:1]
	s_cbranch_vccnz .LBB432_164
; %bb.159:
	global_load_ubyte v3, v[0:1], off
	s_movk_i32 s0, 0x7f
	s_mov_b64 s[12:13], 0
	s_waitcnt vmcnt(0)
	v_cmp_lt_i16_e32 vcc, s0, v3
	s_and_saveexec_b64 s[0:1], vcc
	s_xor_b64 s[0:1], exec, s[0:1]
	s_cbranch_execz .LBB432_175
; %bb.160:
	s_movk_i32 s12, 0x80
	v_cmp_ne_u16_e32 vcc, s12, v3
	s_and_b64 s[12:13], vcc, exec
	s_andn2_saveexec_b64 s[0:1], s[0:1]
	s_cbranch_execnz .LBB432_176
.LBB432_161:
	s_or_b64 exec, exec, s[0:1]
	v_mov_b32_e32 v2, 0
	s_and_saveexec_b64 s[0:1], s[12:13]
	s_cbranch_execz .LBB432_163
.LBB432_162:
	v_lshlrev_b32_e32 v2, 24, v3
	v_and_b32_e32 v3, 0xffff, v3
	v_and_b32_e32 v4, 7, v3
	v_ffbh_u32_e32 v6, v4
	v_min_u32_e32 v6, 32, v6
	v_subrev_u32_e32 v7, 28, v6
	v_bfe_u32 v5, v3, 3, 4
	v_lshlrev_b32_e32 v3, v7, v3
	v_sub_u32_e32 v6, 29, v6
	v_and_b32_e32 v3, 7, v3
	v_cmp_eq_u32_e32 vcc, 0, v5
	v_and_b32_e32 v2, 0x80000000, v2
	s_nop 0
	v_cndmask_b32_e32 v5, v5, v6, vcc
	v_cndmask_b32_e32 v3, v4, v3, vcc
	v_mov_b32_e32 v4, 0x3b800000
	v_lshlrev_b32_e32 v3, 20, v3
	v_lshl_add_u32 v4, v5, 23, v4
	v_or3_b32 v2, v2, v4, v3
	v_cvt_i32_f32_e32 v2, v2
.LBB432_163:
	s_or_b64 exec, exec, s[0:1]
.LBB432_164:
	s_mov_b64 s[0:1], -1
.LBB432_165:
	s_branch .LBB432_198
.LBB432_166:
	s_cmp_gt_i32 s19, 22
	s_cbranch_scc0 .LBB432_174
; %bb.167:
	s_cmp_lt_i32 s19, 24
	s_cbranch_scc1 .LBB432_177
; %bb.168:
	s_cmp_gt_i32 s19, 24
	s_cbranch_scc0 .LBB432_178
; %bb.169:
	global_load_ubyte v3, v[0:1], off
	s_movk_i32 s0, 0x7f
	s_mov_b64 s[12:13], 0
	s_waitcnt vmcnt(0)
	v_cmp_lt_i16_e32 vcc, s0, v3
	s_and_saveexec_b64 s[0:1], vcc
	s_xor_b64 s[0:1], exec, s[0:1]
	s_cbranch_execz .LBB432_190
; %bb.170:
	s_movk_i32 s12, 0x80
	v_cmp_ne_u16_e32 vcc, s12, v3
	s_and_b64 s[12:13], vcc, exec
	s_andn2_saveexec_b64 s[0:1], s[0:1]
	s_cbranch_execnz .LBB432_191
.LBB432_171:
	s_or_b64 exec, exec, s[0:1]
	v_mov_b32_e32 v2, 0
	s_and_saveexec_b64 s[0:1], s[12:13]
	s_cbranch_execz .LBB432_173
.LBB432_172:
	v_lshlrev_b32_e32 v2, 24, v3
	v_and_b32_e32 v3, 0xffff, v3
	v_and_b32_e32 v4, 3, v3
	v_ffbh_u32_e32 v6, v4
	v_min_u32_e32 v6, 32, v6
	v_subrev_u32_e32 v7, 29, v6
	v_bfe_u32 v5, v3, 2, 5
	v_lshlrev_b32_e32 v3, v7, v3
	v_sub_u32_e32 v6, 30, v6
	v_and_b32_e32 v3, 3, v3
	v_cmp_eq_u32_e32 vcc, 0, v5
	v_and_b32_e32 v2, 0x80000000, v2
	s_nop 0
	v_cndmask_b32_e32 v5, v5, v6, vcc
	v_cndmask_b32_e32 v3, v4, v3, vcc
	v_mov_b32_e32 v4, 0x37800000
	v_lshlrev_b32_e32 v3, 21, v3
	v_lshl_add_u32 v4, v5, 23, v4
	v_or3_b32 v2, v2, v4, v3
	v_cvt_i32_f32_e32 v2, v2
.LBB432_173:
	s_or_b64 exec, exec, s[0:1]
	s_mov_b64 s[0:1], 0
	s_branch .LBB432_179
.LBB432_174:
	s_mov_b64 s[12:13], -1
                                        ; implicit-def: $vgpr2
	s_branch .LBB432_185
.LBB432_175:
	s_andn2_saveexec_b64 s[0:1], s[0:1]
	s_cbranch_execz .LBB432_161
.LBB432_176:
	v_cmp_ne_u16_e32 vcc, 0, v3
	s_andn2_b64 s[12:13], s[12:13], exec
	s_and_b64 s[22:23], vcc, exec
	s_or_b64 s[12:13], s[12:13], s[22:23]
	s_or_b64 exec, exec, s[0:1]
	v_mov_b32_e32 v2, 0
	s_and_saveexec_b64 s[0:1], s[12:13]
	s_cbranch_execnz .LBB432_162
	s_branch .LBB432_163
.LBB432_177:
	s_mov_b64 s[0:1], -1
                                        ; implicit-def: $vgpr2
	s_branch .LBB432_182
.LBB432_178:
	s_mov_b64 s[0:1], -1
                                        ; implicit-def: $vgpr2
.LBB432_179:
	s_and_b64 vcc, exec, s[0:1]
	s_cbranch_vccz .LBB432_181
; %bb.180:
	global_load_ubyte v2, v[0:1], off
	s_mov_b32 s0, 0x7f800000
	s_waitcnt vmcnt(0)
	v_lshlrev_b32_e32 v2, 24, v2
	v_and_b32_e32 v3, 0x7f000000, v2
	v_ffbh_u32_e32 v4, v3
	v_min_u32_e32 v4, 32, v4
	v_sub_u32_e64 v4, v4, 4 clamp
	v_lshlrev_b32_e32 v6, v4, v3
	v_lshlrev_b32_e32 v4, 23, v4
	v_lshrrev_b32_e32 v6, 4, v6
	v_add_u32_e32 v5, 0x1000000, v3
	v_sub_u32_e32 v4, v6, v4
	v_ashrrev_i32_e32 v5, 8, v5
	v_add_u32_e32 v4, 0x3c000000, v4
	v_and_or_b32 v4, v5, s0, v4
	v_cmp_ne_u32_e32 vcc, 0, v3
	s_brev_b32 s0, 1
	s_nop 0
	v_cndmask_b32_e32 v3, 0, v4, vcc
	v_and_or_b32 v2, v2, s0, v3
	v_cvt_i32_f32_e32 v2, v2
.LBB432_181:
	s_mov_b64 s[0:1], 0
.LBB432_182:
	s_andn2_b64 vcc, exec, s[0:1]
	s_cbranch_vccnz .LBB432_184
; %bb.183:
	global_load_ubyte v2, v[0:1], off
	s_movk_i32 s0, 0x7f00
	s_brev_b32 s1, 16
	s_waitcnt vmcnt(0)
	v_lshlrev_b16_e32 v3, 8, v2
	v_lshlrev_b32_e32 v2, 25, v2
	v_lshrrev_b32_e32 v4, 4, v2
	v_and_or_b32 v5, v3, s0, 0.5
	v_or_b32_e32 v4, 0x70000000, v4
	v_add_f32_e32 v5, -0.5, v5
	v_mul_f32_e32 v4, 0x7800000, v4
	v_cmp_gt_u32_e32 vcc, s1, v2
	v_bfe_i32 v3, v3, 0, 16
	s_brev_b32 s0, 1
	v_cndmask_b32_e32 v2, v4, v5, vcc
	v_and_or_b32 v2, v3, s0, v2
	v_cvt_i32_f32_e32 v2, v2
.LBB432_184:
	s_mov_b64 s[12:13], 0
	s_mov_b64 s[0:1], -1
.LBB432_185:
	s_andn2_b64 vcc, exec, s[12:13]
	s_cbranch_vccnz .LBB432_198
; %bb.186:
	s_cmp_gt_i32 s19, 14
	s_cbranch_scc0 .LBB432_189
; %bb.187:
	s_cmp_eq_u32 s19, 15
	s_cbranch_scc0 .LBB432_192
; %bb.188:
	global_load_ushort v2, v[0:1], off
	s_mov_b64 s[0:1], -1
	s_mov_b64 s[14:15], 0
	s_waitcnt vmcnt(0)
	v_lshlrev_b32_e32 v2, 16, v2
	v_cvt_i32_f32_e32 v2, v2
	s_branch .LBB432_193
.LBB432_189:
	s_mov_b64 s[12:13], -1
                                        ; implicit-def: $vgpr2
	s_branch .LBB432_194
.LBB432_190:
	s_andn2_saveexec_b64 s[0:1], s[0:1]
	s_cbranch_execz .LBB432_171
.LBB432_191:
	v_cmp_ne_u16_e32 vcc, 0, v3
	s_andn2_b64 s[12:13], s[12:13], exec
	s_and_b64 s[22:23], vcc, exec
	s_or_b64 s[12:13], s[12:13], s[22:23]
	s_or_b64 exec, exec, s[0:1]
	v_mov_b32_e32 v2, 0
	s_and_saveexec_b64 s[0:1], s[12:13]
	s_cbranch_execnz .LBB432_172
	s_branch .LBB432_173
.LBB432_192:
	s_mov_b64 s[14:15], -1
                                        ; implicit-def: $vgpr2
.LBB432_193:
	s_mov_b64 s[12:13], 0
.LBB432_194:
	s_and_b64 vcc, exec, s[12:13]
	s_cbranch_vccz .LBB432_198
; %bb.195:
	s_cmp_eq_u32 s19, 11
	s_cbranch_scc0 .LBB432_197
; %bb.196:
	global_load_ubyte v2, v[0:1], off
	s_mov_b64 s[0:1], -1
	s_mov_b64 s[14:15], 0
	s_waitcnt vmcnt(0)
	v_cmp_ne_u16_e32 vcc, 0, v2
	s_nop 1
	v_cndmask_b32_e64 v2, 0, 1, vcc
	s_branch .LBB432_198
.LBB432_197:
	s_mov_b64 s[14:15], -1
                                        ; implicit-def: $vgpr2
.LBB432_198:
	s_branch .LBB432_10
.LBB432_199:
	s_and_b32 s12, 0xffff, s18
	s_cmp_lt_i32 s12, 5
	s_cbranch_scc1 .LBB432_204
; %bb.200:
	s_cmp_lt_i32 s12, 8
	s_cbranch_scc1 .LBB432_205
; %bb.201:
	;; [unrolled: 3-line block ×3, first 2 shown]
	s_cmp_gt_i32 s12, 9
	s_cbranch_scc0 .LBB432_207
; %bb.203:
	global_load_dwordx2 v[2:3], v[0:1], off
	s_mov_b64 s[0:1], 0
	s_waitcnt vmcnt(0)
	v_cvt_i32_f64_e32 v2, v[2:3]
	s_branch .LBB432_208
.LBB432_204:
                                        ; implicit-def: $vgpr2
	s_branch .LBB432_226
.LBB432_205:
	s_mov_b64 s[0:1], -1
                                        ; implicit-def: $vgpr2
	s_branch .LBB432_214
.LBB432_206:
	s_mov_b64 s[0:1], -1
                                        ; implicit-def: $vgpr2
	s_branch .LBB432_211
.LBB432_207:
	s_mov_b64 s[0:1], -1
                                        ; implicit-def: $vgpr2
.LBB432_208:
	s_andn2_b64 vcc, exec, s[0:1]
	s_cbranch_vccnz .LBB432_210
; %bb.209:
	global_load_dword v2, v[0:1], off
	s_waitcnt vmcnt(0)
	v_cvt_i32_f32_e32 v2, v2
.LBB432_210:
	s_mov_b64 s[0:1], 0
.LBB432_211:
	s_andn2_b64 vcc, exec, s[0:1]
	s_cbranch_vccnz .LBB432_213
; %bb.212:
	global_load_dword v2, v[0:1], off
	s_waitcnt vmcnt(0)
	v_cvt_i16_f16_e32 v2, v2
.LBB432_213:
	s_mov_b64 s[0:1], 0
.LBB432_214:
	s_andn2_b64 vcc, exec, s[0:1]
	s_cbranch_vccnz .LBB432_225
; %bb.215:
	s_cmp_lt_i32 s12, 6
	s_cbranch_scc1 .LBB432_218
; %bb.216:
	s_cmp_gt_i32 s12, 6
	s_cbranch_scc0 .LBB432_219
; %bb.217:
	global_load_dwordx2 v[2:3], v[0:1], off
	s_mov_b64 s[0:1], 0
	s_waitcnt vmcnt(0)
	v_cvt_i32_f64_e32 v2, v[2:3]
	s_branch .LBB432_220
.LBB432_218:
	s_mov_b64 s[0:1], -1
                                        ; implicit-def: $vgpr2
	s_branch .LBB432_223
.LBB432_219:
	s_mov_b64 s[0:1], -1
                                        ; implicit-def: $vgpr2
.LBB432_220:
	s_andn2_b64 vcc, exec, s[0:1]
	s_cbranch_vccnz .LBB432_222
; %bb.221:
	global_load_dword v2, v[0:1], off
	s_waitcnt vmcnt(0)
	v_cvt_i32_f32_e32 v2, v2
.LBB432_222:
	s_mov_b64 s[0:1], 0
.LBB432_223:
	s_andn2_b64 vcc, exec, s[0:1]
	s_cbranch_vccnz .LBB432_225
; %bb.224:
	global_load_ushort v2, v[0:1], off
	s_waitcnt vmcnt(0)
	v_cvt_i16_f16_e32 v2, v2
.LBB432_225:
	s_cbranch_execnz .LBB432_245
.LBB432_226:
	s_cmp_lt_i32 s12, 2
	s_cbranch_scc1 .LBB432_230
; %bb.227:
	s_cmp_lt_i32 s12, 3
	s_cbranch_scc1 .LBB432_231
; %bb.228:
	s_cmp_gt_i32 s12, 3
	s_cbranch_scc0 .LBB432_232
; %bb.229:
	global_load_dwordx2 v[2:3], v[0:1], off
	s_mov_b64 s[0:1], 0
	s_branch .LBB432_233
.LBB432_230:
	s_mov_b64 s[0:1], -1
                                        ; implicit-def: $vgpr2
	s_branch .LBB432_239
.LBB432_231:
	s_mov_b64 s[0:1], -1
                                        ; implicit-def: $vgpr2
	s_branch .LBB432_236
.LBB432_232:
	s_mov_b64 s[0:1], -1
                                        ; implicit-def: $vgpr2
.LBB432_233:
	s_andn2_b64 vcc, exec, s[0:1]
	s_cbranch_vccnz .LBB432_235
; %bb.234:
	global_load_dword v2, v[0:1], off
.LBB432_235:
	s_mov_b64 s[0:1], 0
.LBB432_236:
	s_andn2_b64 vcc, exec, s[0:1]
	s_cbranch_vccnz .LBB432_238
; %bb.237:
	global_load_ushort v2, v[0:1], off
.LBB432_238:
	s_mov_b64 s[0:1], 0
.LBB432_239:
	s_andn2_b64 vcc, exec, s[0:1]
	s_cbranch_vccnz .LBB432_245
; %bb.240:
	s_cmp_gt_i32 s12, 0
	s_cbranch_scc0 .LBB432_242
; %bb.241:
	global_load_ubyte v2, v[0:1], off
	s_mov_b64 s[0:1], 0
	s_branch .LBB432_243
.LBB432_242:
	s_mov_b64 s[0:1], -1
                                        ; implicit-def: $vgpr2
.LBB432_243:
	s_andn2_b64 vcc, exec, s[0:1]
	s_cbranch_vccnz .LBB432_245
; %bb.244:
	global_load_ubyte v2, v[0:1], off
.LBB432_245:
	s_branch .LBB432_11
.LBB432_246:
	s_mov_b64 s[0:1], 0
                                        ; implicit-def: $vgpr10
	s_mov_b64 s[18:19], 0
.LBB432_247:
	s_and_b64 s[12:13], s[0:1], exec
	s_and_b64 s[14:15], s[14:15], exec
	s_orn2_b64 s[18:19], s[18:19], exec
.LBB432_248:
	s_or_b64 exec, exec, s[16:17]
	s_mov_b64 s[22:23], 0
	s_mov_b64 s[0:1], 0
                                        ; implicit-def: $sgpr44
                                        ; implicit-def: $vgpr0_vgpr1
                                        ; implicit-def: $vgpr2
	s_and_saveexec_b64 s[16:17], s[18:19]
	s_cbranch_execz .LBB432_257
; %bb.249:
	v_cmp_gt_i32_e32 vcc, s38, v10
	s_mov_b64 s[0:1], -1
	s_mov_b64 s[18:19], s[14:15]
	s_mov_b64 s[20:21], s[12:13]
	s_and_saveexec_b64 s[22:23], vcc
	s_cbranch_execz .LBB432_505
; %bb.250:
	v_mul_lo_u32 v0, v10, s9
	v_ashrrev_i32_e32 v1, 31, v0
	s_and_b32 s24, s43, 0xff
	s_cmp_lt_i32 s24, 11
	v_lshl_add_u64 v[0:1], s[6:7], 0, v[0:1]
	s_cbranch_scc1 .LBB432_260
; %bb.251:
	s_and_b32 s25, 0xffff, s24
	s_cmp_gt_i32 s25, 25
	s_cbranch_scc0 .LBB432_269
; %bb.252:
	s_cmp_gt_i32 s25, 28
	s_cbranch_scc0 .LBB432_271
; %bb.253:
	;; [unrolled: 3-line block ×4, first 2 shown]
	s_cmp_eq_u32 s25, 46
	s_mov_b64 s[20:21], 0
	s_cbranch_scc0 .LBB432_281
; %bb.256:
	global_load_dword v2, v[0:1], off
	s_mov_b64 s[18:19], 0
	s_waitcnt vmcnt(0)
	v_lshlrev_b32_e32 v2, 16, v2
	v_cvt_i32_f32_e32 v2, v2
	s_branch .LBB432_282
.LBB432_257:
	s_or_b64 exec, exec, s[16:17]
	s_mov_b64 s[16:17], 0
	s_and_saveexec_b64 s[18:19], s[14:15]
	s_cbranch_execnz .LBB432_843
.LBB432_258:
	s_or_b64 exec, exec, s[18:19]
	s_and_saveexec_b64 s[14:15], s[20:21]
	s_xor_b64 s[14:15], exec, s[14:15]
	s_cbranch_execz .LBB432_844
.LBB432_259:
	global_load_ubyte v2, v[0:1], off
	s_or_b64 s[0:1], s[0:1], exec
	s_waitcnt vmcnt(0)
	v_cmp_ne_u16_e32 vcc, 0, v2
	s_nop 1
	v_cndmask_b32_e64 v2, 0, 1, vcc
	s_or_b64 exec, exec, s[14:15]
	s_and_saveexec_b64 s[14:15], s[22:23]
	s_cbranch_execz .LBB432_890
	s_branch .LBB432_845
.LBB432_260:
	s_mov_b64 s[0:1], 0
                                        ; implicit-def: $vgpr2
	s_mov_b64 s[18:19], s[14:15]
	s_cbranch_execnz .LBB432_455
.LBB432_261:
	s_andn2_b64 vcc, exec, s[0:1]
	s_cbranch_vccnz .LBB432_503
.LBB432_262:
	v_mul_lo_u32 v0, v10, s8
	s_bfe_i32 s0, s33, 0x80000
	v_ashrrev_i32_e32 v1, 31, v0
	s_and_b32 s28, s42, 0xff
	s_waitcnt vmcnt(0)
	v_min_i16_sdwa v4, sext(v2), s0 dst_sel:DWORD dst_unused:UNUSED_PAD src0_sel:BYTE_0 src1_sel:DWORD
	s_cmp_lt_i32 s28, 11
	v_lshl_add_u64 v[0:1], s[4:5], 0, v[0:1]
	s_cbranch_scc1 .LBB432_270
; %bb.263:
	s_and_b32 s29, 0xffff, s28
	s_cmp_gt_i32 s29, 25
	s_cbranch_scc0 .LBB432_272
; %bb.264:
	s_cmp_gt_i32 s29, 28
	s_cbranch_scc0 .LBB432_274
; %bb.265:
	s_cmp_gt_i32 s29, 43
	s_cbranch_scc0 .LBB432_278
; %bb.266:
	s_cmp_gt_i32 s29, 45
	s_cbranch_scc0 .LBB432_285
; %bb.267:
	s_mov_b64 s[24:25], 0
	s_mov_b64 s[0:1], -1
	s_cmp_eq_u32 s29, 46
	s_mov_b64 s[20:21], 0
	s_cbranch_scc0 .LBB432_286
; %bb.268:
	v_cvt_f32_i32_sdwa v2, sext(v4) dst_sel:DWORD dst_unused:UNUSED_PAD src0_sel:WORD_0
	s_movk_i32 s0, 0x7fff
	s_mov_b64 s[20:21], -1
	v_bfe_u32 v3, v2, 16, 1
	v_add3_u32 v2, v2, v3, s0
	v_lshrrev_b32_e32 v2, 16, v2
	global_store_dword v[0:1], v2, off
	s_mov_b64 s[0:1], 0
	s_branch .LBB432_286
.LBB432_269:
	s_mov_b64 s[20:21], -1
	s_mov_b64 s[0:1], 0
	s_mov_b64 s[18:19], s[14:15]
                                        ; implicit-def: $vgpr2
	s_branch .LBB432_421
.LBB432_270:
	s_mov_b64 s[24:25], -1
	s_mov_b64 s[20:21], 0
	s_mov_b64 s[0:1], s[12:13]
	s_branch .LBB432_355
.LBB432_271:
	s_mov_b64 s[20:21], -1
	s_mov_b64 s[0:1], 0
	s_mov_b64 s[18:19], s[14:15]
                                        ; implicit-def: $vgpr2
	s_branch .LBB432_404
.LBB432_272:
	s_mov_b64 s[24:25], -1
	s_mov_b64 s[20:21], 0
	s_mov_b64 s[0:1], s[12:13]
	s_branch .LBB432_313
.LBB432_273:
	s_mov_b64 s[20:21], -1
	s_mov_b64 s[0:1], 0
	s_mov_b64 s[18:19], s[14:15]
                                        ; implicit-def: $vgpr2
	s_branch .LBB432_399
.LBB432_274:
	s_mov_b64 s[24:25], -1
	s_mov_b64 s[20:21], 0
	s_mov_b64 s[0:1], s[12:13]
	s_branch .LBB432_296
.LBB432_275:
	s_andn2_saveexec_b64 s[22:23], s[22:23]
	s_cbranch_execz .LBB432_55
.LBB432_276:
	s_mov_b32 s26, 0x46000000
	v_add_f32_e64 v3, |v2|, s26
	v_and_b32_e32 v3, 0xff, v3
	v_cmp_ne_u32_e32 vcc, 0, v3
	s_andn2_b64 s[18:19], s[18:19], exec
	s_and_b64 s[26:27], vcc, exec
	s_or_b64 s[18:19], s[18:19], s[26:27]
	s_or_b64 exec, exec, s[22:23]
	v_mov_b32_e32 v5, 0
	s_and_saveexec_b64 s[22:23], s[18:19]
	s_cbranch_execnz .LBB432_56
	s_branch .LBB432_57
.LBB432_277:
	s_mov_b64 s[20:21], -1
	s_mov_b64 s[0:1], 0
	s_mov_b64 s[18:19], s[14:15]
                                        ; implicit-def: $vgpr2
	s_branch .LBB432_282
.LBB432_278:
	s_mov_b64 s[24:25], -1
	s_mov_b64 s[20:21], 0
	s_mov_b64 s[0:1], s[12:13]
	s_branch .LBB432_292
.LBB432_279:
	s_andn2_saveexec_b64 s[22:23], s[22:23]
	s_cbranch_execz .LBB432_68
.LBB432_280:
	s_mov_b32 s26, 0x42800000
	v_add_f32_e64 v3, |v2|, s26
	v_and_b32_e32 v3, 0xff, v3
	v_cmp_ne_u32_e32 vcc, 0, v3
	s_andn2_b64 s[18:19], s[18:19], exec
	s_and_b64 s[26:27], vcc, exec
	s_or_b64 s[18:19], s[18:19], s[26:27]
	s_or_b64 exec, exec, s[22:23]
	v_mov_b32_e32 v5, 0
	s_and_saveexec_b64 s[22:23], s[18:19]
	s_cbranch_execnz .LBB432_69
	s_branch .LBB432_70
.LBB432_281:
	s_mov_b64 s[18:19], -1
                                        ; implicit-def: $vgpr2
	s_mov_b64 s[0:1], 0
.LBB432_282:
	s_and_b64 vcc, exec, s[20:21]
	s_cbranch_vccz .LBB432_398
; %bb.283:
	s_cmp_eq_u32 s25, 44
	s_cbranch_scc0 .LBB432_397
; %bb.284:
	global_load_ubyte v2, v[0:1], off
	s_mov_b64 s[0:1], -1
	s_mov_b64 s[18:19], 0
	s_waitcnt vmcnt(0)
	v_lshlrev_b32_e32 v3, 23, v2
	v_cvt_i32_f32_e32 v3, v3
	v_cmp_ne_u32_e32 vcc, 0, v2
	s_nop 1
	v_cndmask_b32_e32 v2, 0, v3, vcc
	s_branch .LBB432_398
.LBB432_285:
	s_mov_b64 s[24:25], -1
	s_mov_b64 s[20:21], 0
	s_mov_b64 s[0:1], s[12:13]
.LBB432_286:
	s_and_b64 vcc, exec, s[24:25]
	s_cbranch_vccz .LBB432_291
; %bb.287:
	s_cmp_eq_u32 s29, 44
	s_mov_b64 s[0:1], -1
	s_cbranch_scc0 .LBB432_291
; %bb.288:
	v_cvt_f32_i32_sdwa v2, sext(v4) dst_sel:DWORD dst_unused:UNUSED_PAD src0_sel:WORD_0
	s_movk_i32 s0, 0xff
	v_mov_b32_e32 v5, 0xff
	v_bfe_u32 v3, v2, 23, 8
	v_cmp_ne_u32_e32 vcc, s0, v3
	s_and_saveexec_b64 s[20:21], vcc
; %bb.289:
	s_mov_b32 s0, 0x3fffff
	v_lshrrev_b32_e32 v5, 23, v2
	v_and_b32_e32 v6, 0x400000, v2
	v_and_or_b32 v2, v2, s0, v3
	v_cmp_ne_u32_e32 vcc, 0, v6
	v_cmp_ne_u32_e64 s[0:1], 0, v2
	s_and_b64 s[0:1], vcc, s[0:1]
	s_nop 0
	v_cndmask_b32_e64 v2, 0, 1, s[0:1]
	v_add_u32_e32 v5, v5, v2
; %bb.290:
	s_or_b64 exec, exec, s[20:21]
	s_mov_b64 s[20:21], -1
	s_mov_b64 s[0:1], 0
	global_store_byte v[0:1], v5, off
.LBB432_291:
	s_mov_b64 s[24:25], 0
.LBB432_292:
	s_and_b64 vcc, exec, s[24:25]
	s_cbranch_vccz .LBB432_295
; %bb.293:
	s_cmp_eq_u32 s29, 29
	s_mov_b64 s[0:1], -1
	s_cbranch_scc0 .LBB432_295
; %bb.294:
	v_bfe_i32 v2, v4, 0, 16
	v_ashrrev_i32_e32 v3, 31, v2
	global_store_dwordx2 v[0:1], v[2:3], off
	s_mov_b64 s[20:21], -1
	s_mov_b64 s[0:1], 0
.LBB432_295:
	s_mov_b64 s[24:25], 0
.LBB432_296:
	s_and_b64 vcc, exec, s[24:25]
	s_cbranch_vccz .LBB432_312
; %bb.297:
	s_cmp_lt_i32 s29, 27
	s_mov_b64 s[20:21], -1
	s_cbranch_scc1 .LBB432_303
; %bb.298:
	s_cmp_gt_i32 s29, 27
	s_cbranch_scc0 .LBB432_300
; %bb.299:
	v_bfe_i32 v2, v4, 0, 16
	s_mov_b64 s[20:21], 0
	global_store_dword v[0:1], v2, off
.LBB432_300:
	s_andn2_b64 vcc, exec, s[20:21]
	s_cbranch_vccnz .LBB432_302
; %bb.301:
	global_store_short v[0:1], v4, off
.LBB432_302:
	s_mov_b64 s[20:21], 0
.LBB432_303:
	s_andn2_b64 vcc, exec, s[20:21]
	s_cbranch_vccnz .LBB432_311
; %bb.304:
	v_cvt_f32_i32_sdwa v2, sext(v4) dst_sel:DWORD dst_unused:UNUSED_PAD src0_sel:WORD_0
	s_mov_b32 s20, 0x43800000
	v_mov_b32_e32 v5, 0x80
	v_and_b32_e32 v3, 0x7fffffff, v2
	v_cmp_gt_u32_e32 vcc, s20, v3
	s_and_saveexec_b64 s[20:21], vcc
	s_cbranch_execz .LBB432_310
; %bb.305:
	s_mov_b32 s24, 0x3bffffff
	v_cmp_lt_u32_e32 vcc, s24, v3
	s_mov_b64 s[24:25], 0
                                        ; implicit-def: $vgpr3
	s_and_saveexec_b64 s[26:27], vcc
	s_xor_b64 s[26:27], exec, s[26:27]
	s_cbranch_execz .LBB432_518
; %bb.306:
	v_bfe_u32 v3, v2, 20, 1
	s_mov_b32 s30, 0x487ffff
	v_add3_u32 v3, v2, v3, s30
	s_mov_b64 s[24:25], exec
	v_lshrrev_b32_e32 v3, 20, v3
	s_andn2_saveexec_b64 s[26:27], s[26:27]
	s_cbranch_execnz .LBB432_519
.LBB432_307:
	s_or_b64 exec, exec, s[26:27]
	v_mov_b32_e32 v5, 0
	s_and_saveexec_b64 s[26:27], s[24:25]
.LBB432_308:
	v_lshrrev_b32_e32 v2, 24, v2
	s_movk_i32 s24, 0x80
	v_and_or_b32 v5, v2, s24, v3
.LBB432_309:
	s_or_b64 exec, exec, s[26:27]
.LBB432_310:
	s_or_b64 exec, exec, s[20:21]
	global_store_byte v[0:1], v5, off
.LBB432_311:
	s_mov_b64 s[20:21], -1
.LBB432_312:
	s_mov_b64 s[24:25], 0
.LBB432_313:
	s_and_b64 vcc, exec, s[24:25]
	s_cbranch_vccz .LBB432_354
; %bb.314:
	s_cmp_gt_i32 s29, 22
	s_mov_b64 s[24:25], -1
	s_cbranch_scc0 .LBB432_346
; %bb.315:
	s_cmp_lt_i32 s29, 24
	s_mov_b64 s[20:21], -1
	s_cbranch_scc1 .LBB432_335
; %bb.316:
	s_cmp_gt_i32 s29, 24
	s_cbranch_scc0 .LBB432_324
; %bb.317:
	v_cvt_f32_i32_sdwa v2, sext(v4) dst_sel:DWORD dst_unused:UNUSED_PAD src0_sel:WORD_0
	s_mov_b32 s20, 0x47800000
	v_mov_b32_e32 v5, 0x80
	v_and_b32_e32 v3, 0x7fffffff, v2
	v_cmp_gt_u32_e32 vcc, s20, v3
	s_and_saveexec_b64 s[20:21], vcc
	s_cbranch_execz .LBB432_323
; %bb.318:
	s_mov_b32 s24, 0x37ffffff
	v_cmp_lt_u32_e32 vcc, s24, v3
	s_mov_b64 s[24:25], 0
                                        ; implicit-def: $vgpr3
	s_and_saveexec_b64 s[26:27], vcc
	s_xor_b64 s[26:27], exec, s[26:27]
	s_cbranch_execz .LBB432_521
; %bb.319:
	v_bfe_u32 v3, v2, 21, 1
	s_mov_b32 s30, 0x88fffff
	v_add3_u32 v3, v2, v3, s30
	s_mov_b64 s[24:25], exec
	v_lshrrev_b32_e32 v3, 21, v3
	s_andn2_saveexec_b64 s[26:27], s[26:27]
	s_cbranch_execnz .LBB432_522
.LBB432_320:
	s_or_b64 exec, exec, s[26:27]
	v_mov_b32_e32 v5, 0
	s_and_saveexec_b64 s[26:27], s[24:25]
.LBB432_321:
	v_lshrrev_b32_e32 v2, 24, v2
	s_movk_i32 s24, 0x80
	v_and_or_b32 v5, v2, s24, v3
.LBB432_322:
	s_or_b64 exec, exec, s[26:27]
.LBB432_323:
	s_or_b64 exec, exec, s[20:21]
	s_mov_b64 s[20:21], 0
	global_store_byte v[0:1], v5, off
.LBB432_324:
	s_and_b64 vcc, exec, s[20:21]
	s_cbranch_vccz .LBB432_334
; %bb.325:
	v_cvt_f32_i32_sdwa v2, sext(v4) dst_sel:DWORD dst_unused:UNUSED_PAD src0_sel:WORD_0
	s_mov_b32 s20, 0x43f00000
                                        ; implicit-def: $vgpr3
	v_and_b32_e32 v5, 0x7fffffff, v2
	v_cmp_gt_u32_e32 vcc, s20, v5
	s_and_saveexec_b64 s[20:21], vcc
	s_xor_b64 s[20:21], exec, s[20:21]
	s_cbranch_execz .LBB432_331
; %bb.326:
	s_mov_b32 s24, 0x3c7fffff
	v_cmp_lt_u32_e32 vcc, s24, v5
                                        ; implicit-def: $vgpr3
	s_and_saveexec_b64 s[24:25], vcc
	s_xor_b64 s[24:25], exec, s[24:25]
; %bb.327:
	v_bfe_u32 v3, v2, 20, 1
	s_mov_b32 s26, 0x407ffff
	v_add3_u32 v3, v2, v3, s26
	v_lshrrev_b32_e32 v5, 20, v3
	v_and_b32_e32 v3, 0xff00000, v3
	s_mov_b32 s26, 0x7f00000
	v_mov_b32_e32 v6, 0x7e
	v_cmp_ne_u32_e32 vcc, s26, v3
	s_nop 1
	v_cndmask_b32_e32 v3, v6, v5, vcc
; %bb.328:
	s_andn2_saveexec_b64 s[24:25], s[24:25]
; %bb.329:
	s_mov_b32 s26, 0x46800000
	v_add_f32_e64 v3, |v2|, s26
; %bb.330:
	s_or_b64 exec, exec, s[24:25]
                                        ; implicit-def: $vgpr5
.LBB432_331:
	s_andn2_saveexec_b64 s[20:21], s[20:21]
; %bb.332:
	s_mov_b32 s24, 0x7f800000
	v_mov_b32_e32 v3, 0x7e
	v_mov_b32_e32 v6, 0x7f
	v_cmp_lt_u32_e32 vcc, s24, v5
	s_nop 1
	v_cndmask_b32_e32 v3, v3, v6, vcc
; %bb.333:
	s_or_b64 exec, exec, s[20:21]
	v_lshrrev_b32_e32 v2, 24, v2
	s_movk_i32 s20, 0x80
	v_and_or_b32 v2, v2, s20, v3
	global_store_byte v[0:1], v2, off
.LBB432_334:
	s_mov_b64 s[20:21], 0
.LBB432_335:
	s_andn2_b64 vcc, exec, s[20:21]
	s_cbranch_vccnz .LBB432_345
; %bb.336:
	v_cvt_f32_i32_sdwa v2, sext(v4) dst_sel:DWORD dst_unused:UNUSED_PAD src0_sel:WORD_0
	s_mov_b32 s20, 0x47800000
                                        ; implicit-def: $vgpr3
	v_and_b32_e32 v5, 0x7fffffff, v2
	v_cmp_gt_u32_e32 vcc, s20, v5
	s_and_saveexec_b64 s[20:21], vcc
	s_xor_b64 s[20:21], exec, s[20:21]
	s_cbranch_execz .LBB432_342
; %bb.337:
	s_mov_b32 s24, 0x387fffff
	v_cmp_lt_u32_e32 vcc, s24, v5
                                        ; implicit-def: $vgpr3
	s_and_saveexec_b64 s[24:25], vcc
	s_xor_b64 s[24:25], exec, s[24:25]
; %bb.338:
	v_bfe_u32 v3, v2, 21, 1
	s_mov_b32 s26, 0x80fffff
	v_add3_u32 v3, v2, v3, s26
	v_lshrrev_b32_e32 v3, 21, v3
; %bb.339:
	s_andn2_saveexec_b64 s[24:25], s[24:25]
; %bb.340:
	s_mov_b32 s26, 0x43000000
	v_add_f32_e64 v3, |v2|, s26
; %bb.341:
	s_or_b64 exec, exec, s[24:25]
                                        ; implicit-def: $vgpr5
.LBB432_342:
	s_andn2_saveexec_b64 s[20:21], s[20:21]
; %bb.343:
	s_mov_b32 s24, 0x7f800000
	v_mov_b32_e32 v3, 0x7c
	v_mov_b32_e32 v6, 0x7f
	v_cmp_lt_u32_e32 vcc, s24, v5
	s_nop 1
	v_cndmask_b32_e32 v3, v3, v6, vcc
; %bb.344:
	s_or_b64 exec, exec, s[20:21]
	v_lshrrev_b32_e32 v2, 24, v2
	s_movk_i32 s20, 0x80
	v_and_or_b32 v2, v2, s20, v3
	global_store_byte v[0:1], v2, off
.LBB432_345:
	s_mov_b64 s[24:25], 0
	s_mov_b64 s[20:21], -1
.LBB432_346:
	s_andn2_b64 vcc, exec, s[24:25]
	s_cbranch_vccnz .LBB432_354
; %bb.347:
	s_cmp_gt_i32 s29, 14
	s_mov_b64 s[24:25], -1
	s_cbranch_scc0 .LBB432_351
; %bb.348:
	s_cmp_eq_u32 s29, 15
	s_mov_b64 s[0:1], -1
	s_cbranch_scc0 .LBB432_350
; %bb.349:
	v_cvt_f32_i32_sdwa v2, sext(v4) dst_sel:DWORD dst_unused:UNUSED_PAD src0_sel:WORD_0
	s_movk_i32 s0, 0x7fff
	s_mov_b64 s[20:21], -1
	v_bfe_u32 v3, v2, 16, 1
	v_add3_u32 v2, v2, v3, s0
	global_store_short_d16_hi v[0:1], v2, off
	s_mov_b64 s[0:1], 0
.LBB432_350:
	s_mov_b64 s[24:25], 0
.LBB432_351:
	s_and_b64 vcc, exec, s[24:25]
	s_cbranch_vccz .LBB432_354
; %bb.352:
	s_cmp_eq_u32 s29, 11
	s_mov_b64 s[0:1], -1
	s_cbranch_scc0 .LBB432_354
; %bb.353:
	v_cmp_ne_u16_e32 vcc, 0, v4
	s_mov_b64 s[20:21], -1
	s_mov_b64 s[0:1], 0
	v_cndmask_b32_e64 v2, 0, 1, vcc
	global_store_byte v[0:1], v2, off
.LBB432_354:
	s_mov_b64 s[24:25], 0
.LBB432_355:
	s_and_b64 vcc, exec, s[24:25]
	s_cbranch_vccz .LBB432_394
; %bb.356:
	s_and_b32 s24, 0xffff, s28
	s_cmp_lt_i32 s24, 5
	s_mov_b64 s[20:21], -1
	s_cbranch_scc1 .LBB432_377
; %bb.357:
	s_cmp_lt_i32 s24, 8
	s_cbranch_scc1 .LBB432_367
; %bb.358:
	s_cmp_lt_i32 s24, 9
	s_cbranch_scc1 .LBB432_364
; %bb.359:
	s_cmp_gt_i32 s24, 9
	s_cbranch_scc0 .LBB432_361
; %bb.360:
	v_bfe_i32 v2, v4, 0, 16
	v_mov_b32_e32 v8, 0
	v_cvt_f64_i32_e32 v[6:7], v2
	v_mov_b32_e32 v9, v8
	s_mov_b64 s[20:21], 0
	global_store_dwordx4 v[0:1], v[6:9], off
.LBB432_361:
	s_andn2_b64 vcc, exec, s[20:21]
	s_cbranch_vccnz .LBB432_363
; %bb.362:
	v_cvt_f32_i32_sdwa v2, sext(v4) dst_sel:DWORD dst_unused:UNUSED_PAD src0_sel:WORD_0
	v_mov_b32_e32 v3, 0
	global_store_dwordx2 v[0:1], v[2:3], off
.LBB432_363:
	s_mov_b64 s[20:21], 0
.LBB432_364:
	s_andn2_b64 vcc, exec, s[20:21]
	s_cbranch_vccnz .LBB432_366
; %bb.365:
	v_cvt_f16_i16_e32 v2, v4
	global_store_dword v[0:1], v2, off
.LBB432_366:
	s_mov_b64 s[20:21], 0
.LBB432_367:
	s_andn2_b64 vcc, exec, s[20:21]
	s_cbranch_vccnz .LBB432_376
; %bb.368:
	s_cmp_lt_i32 s24, 6
	s_mov_b64 s[20:21], -1
	s_cbranch_scc1 .LBB432_374
; %bb.369:
	s_cmp_gt_i32 s24, 6
	s_cbranch_scc0 .LBB432_371
; %bb.370:
	v_bfe_i32 v2, v4, 0, 16
	v_cvt_f64_i32_e32 v[2:3], v2
	s_mov_b64 s[20:21], 0
	global_store_dwordx2 v[0:1], v[2:3], off
.LBB432_371:
	s_andn2_b64 vcc, exec, s[20:21]
	s_cbranch_vccnz .LBB432_373
; %bb.372:
	v_cvt_f32_i32_sdwa v2, sext(v4) dst_sel:DWORD dst_unused:UNUSED_PAD src0_sel:WORD_0
	global_store_dword v[0:1], v2, off
.LBB432_373:
	s_mov_b64 s[20:21], 0
.LBB432_374:
	s_andn2_b64 vcc, exec, s[20:21]
	s_cbranch_vccnz .LBB432_376
; %bb.375:
	v_cvt_f16_i16_e32 v2, v4
	global_store_short v[0:1], v2, off
.LBB432_376:
	s_mov_b64 s[20:21], 0
.LBB432_377:
	s_andn2_b64 vcc, exec, s[20:21]
	s_cbranch_vccnz .LBB432_393
; %bb.378:
	s_cmp_lt_i32 s24, 2
	s_mov_b64 s[20:21], -1
	s_cbranch_scc1 .LBB432_388
; %bb.379:
	s_cmp_lt_i32 s24, 3
	s_cbranch_scc1 .LBB432_385
; %bb.380:
	s_cmp_gt_i32 s24, 3
	v_bfe_i32 v2, v4, 0, 16
	s_cbranch_scc0 .LBB432_382
; %bb.381:
	v_ashrrev_i32_e32 v3, 31, v2
	s_mov_b64 s[20:21], 0
	global_store_dwordx2 v[0:1], v[2:3], off
.LBB432_382:
	s_andn2_b64 vcc, exec, s[20:21]
	s_cbranch_vccnz .LBB432_384
; %bb.383:
	global_store_dword v[0:1], v2, off
.LBB432_384:
	s_mov_b64 s[20:21], 0
.LBB432_385:
	s_andn2_b64 vcc, exec, s[20:21]
	s_cbranch_vccnz .LBB432_387
; %bb.386:
	global_store_short v[0:1], v4, off
.LBB432_387:
	s_mov_b64 s[20:21], 0
.LBB432_388:
	s_andn2_b64 vcc, exec, s[20:21]
	s_cbranch_vccnz .LBB432_393
; %bb.389:
	s_cmp_gt_i32 s24, 0
	s_mov_b64 s[20:21], -1
	s_cbranch_scc0 .LBB432_391
; %bb.390:
	s_mov_b64 s[20:21], 0
	global_store_byte v[0:1], v4, off
.LBB432_391:
	s_andn2_b64 vcc, exec, s[20:21]
	s_cbranch_vccnz .LBB432_393
; %bb.392:
	global_store_byte v[0:1], v4, off
.LBB432_393:
	s_mov_b64 s[20:21], -1
.LBB432_394:
	s_andn2_b64 vcc, exec, s[20:21]
	s_cbranch_vccnz .LBB432_396
; %bb.395:
	v_add_u32_e32 v10, 0x80, v10
	s_mov_b64 s[24:25], -1
	s_branch .LBB432_504
.LBB432_396:
	s_mov_b64 s[24:25], 0
                                        ; implicit-def: $vgpr10
	s_branch .LBB432_504
.LBB432_397:
	s_mov_b64 s[18:19], -1
                                        ; implicit-def: $vgpr2
.LBB432_398:
	s_mov_b64 s[20:21], 0
.LBB432_399:
	s_and_b64 vcc, exec, s[20:21]
	s_cbranch_vccz .LBB432_403
; %bb.400:
	s_cmp_eq_u32 s25, 29
	s_cbranch_scc0 .LBB432_402
; %bb.401:
	global_load_dwordx2 v[2:3], v[0:1], off
	s_mov_b64 s[0:1], -1
	s_mov_b64 s[18:19], 0
	s_branch .LBB432_403
.LBB432_402:
	s_mov_b64 s[18:19], -1
                                        ; implicit-def: $vgpr2
.LBB432_403:
	s_mov_b64 s[20:21], 0
.LBB432_404:
	s_and_b64 vcc, exec, s[20:21]
	s_cbranch_vccz .LBB432_420
; %bb.405:
	s_cmp_lt_i32 s25, 27
	s_cbranch_scc1 .LBB432_408
; %bb.406:
	s_cmp_gt_i32 s25, 27
	s_cbranch_scc0 .LBB432_409
; %bb.407:
	global_load_dword v2, v[0:1], off
	s_mov_b64 s[0:1], 0
	s_branch .LBB432_410
.LBB432_408:
	s_mov_b64 s[0:1], -1
                                        ; implicit-def: $vgpr2
	s_branch .LBB432_413
.LBB432_409:
	s_mov_b64 s[0:1], -1
                                        ; implicit-def: $vgpr2
.LBB432_410:
	s_andn2_b64 vcc, exec, s[0:1]
	s_cbranch_vccnz .LBB432_412
; %bb.411:
	global_load_ushort v2, v[0:1], off
.LBB432_412:
	s_mov_b64 s[0:1], 0
.LBB432_413:
	s_andn2_b64 vcc, exec, s[0:1]
	s_cbranch_vccnz .LBB432_419
; %bb.414:
	global_load_ubyte v3, v[0:1], off
	s_movk_i32 s0, 0x7f
	s_mov_b64 s[20:21], 0
	s_waitcnt vmcnt(0)
	v_cmp_lt_i16_e32 vcc, s0, v3
	s_and_saveexec_b64 s[0:1], vcc
	s_xor_b64 s[0:1], exec, s[0:1]
	s_cbranch_execz .LBB432_431
; %bb.415:
	s_movk_i32 s20, 0x80
	v_cmp_ne_u16_e32 vcc, s20, v3
	s_and_b64 s[20:21], vcc, exec
	s_andn2_saveexec_b64 s[0:1], s[0:1]
	s_cbranch_execnz .LBB432_432
.LBB432_416:
	s_or_b64 exec, exec, s[0:1]
	v_mov_b32_e32 v2, 0
	s_and_saveexec_b64 s[0:1], s[20:21]
	s_cbranch_execz .LBB432_418
.LBB432_417:
	v_lshlrev_b32_e32 v2, 24, v3
	v_and_b32_e32 v3, 0xffff, v3
	v_and_b32_e32 v4, 7, v3
	v_ffbh_u32_e32 v6, v4
	v_min_u32_e32 v6, 32, v6
	v_subrev_u32_e32 v7, 28, v6
	v_bfe_u32 v5, v3, 3, 4
	v_lshlrev_b32_e32 v3, v7, v3
	v_sub_u32_e32 v6, 29, v6
	v_and_b32_e32 v3, 7, v3
	v_cmp_eq_u32_e32 vcc, 0, v5
	v_and_b32_e32 v2, 0x80000000, v2
	s_nop 0
	v_cndmask_b32_e32 v5, v5, v6, vcc
	v_cndmask_b32_e32 v3, v4, v3, vcc
	v_mov_b32_e32 v4, 0x3b800000
	v_lshlrev_b32_e32 v3, 20, v3
	v_lshl_add_u32 v4, v5, 23, v4
	v_or3_b32 v2, v2, v4, v3
	v_cvt_i32_f32_e32 v2, v2
.LBB432_418:
	s_or_b64 exec, exec, s[0:1]
.LBB432_419:
	s_mov_b64 s[0:1], -1
.LBB432_420:
	s_mov_b64 s[20:21], 0
.LBB432_421:
	s_and_b64 vcc, exec, s[20:21]
	s_cbranch_vccz .LBB432_454
; %bb.422:
	s_cmp_gt_i32 s25, 22
	s_cbranch_scc0 .LBB432_430
; %bb.423:
	s_cmp_lt_i32 s25, 24
	s_cbranch_scc1 .LBB432_433
; %bb.424:
	s_cmp_gt_i32 s25, 24
	s_cbranch_scc0 .LBB432_434
; %bb.425:
	global_load_ubyte v3, v[0:1], off
	s_movk_i32 s0, 0x7f
	s_mov_b64 s[20:21], 0
	s_waitcnt vmcnt(0)
	v_cmp_lt_i16_e32 vcc, s0, v3
	s_and_saveexec_b64 s[0:1], vcc
	s_xor_b64 s[0:1], exec, s[0:1]
	s_cbranch_execz .LBB432_446
; %bb.426:
	s_movk_i32 s20, 0x80
	v_cmp_ne_u16_e32 vcc, s20, v3
	s_and_b64 s[20:21], vcc, exec
	s_andn2_saveexec_b64 s[0:1], s[0:1]
	s_cbranch_execnz .LBB432_447
.LBB432_427:
	s_or_b64 exec, exec, s[0:1]
	v_mov_b32_e32 v2, 0
	s_and_saveexec_b64 s[0:1], s[20:21]
	s_cbranch_execz .LBB432_429
.LBB432_428:
	v_lshlrev_b32_e32 v2, 24, v3
	v_and_b32_e32 v3, 0xffff, v3
	v_and_b32_e32 v4, 3, v3
	v_ffbh_u32_e32 v6, v4
	v_min_u32_e32 v6, 32, v6
	v_subrev_u32_e32 v7, 29, v6
	v_bfe_u32 v5, v3, 2, 5
	v_lshlrev_b32_e32 v3, v7, v3
	v_sub_u32_e32 v6, 30, v6
	v_and_b32_e32 v3, 3, v3
	v_cmp_eq_u32_e32 vcc, 0, v5
	v_and_b32_e32 v2, 0x80000000, v2
	s_nop 0
	v_cndmask_b32_e32 v5, v5, v6, vcc
	v_cndmask_b32_e32 v3, v4, v3, vcc
	v_mov_b32_e32 v4, 0x37800000
	v_lshlrev_b32_e32 v3, 21, v3
	v_lshl_add_u32 v4, v5, 23, v4
	v_or3_b32 v2, v2, v4, v3
	v_cvt_i32_f32_e32 v2, v2
.LBB432_429:
	s_or_b64 exec, exec, s[0:1]
	s_mov_b64 s[0:1], 0
	s_branch .LBB432_435
.LBB432_430:
	s_mov_b64 s[20:21], -1
                                        ; implicit-def: $vgpr2
	s_branch .LBB432_441
.LBB432_431:
	s_andn2_saveexec_b64 s[0:1], s[0:1]
	s_cbranch_execz .LBB432_416
.LBB432_432:
	v_cmp_ne_u16_e32 vcc, 0, v3
	s_andn2_b64 s[20:21], s[20:21], exec
	s_and_b64 s[26:27], vcc, exec
	s_or_b64 s[20:21], s[20:21], s[26:27]
	s_or_b64 exec, exec, s[0:1]
	v_mov_b32_e32 v2, 0
	s_and_saveexec_b64 s[0:1], s[20:21]
	s_cbranch_execnz .LBB432_417
	s_branch .LBB432_418
.LBB432_433:
	s_mov_b64 s[0:1], -1
                                        ; implicit-def: $vgpr2
	s_branch .LBB432_438
.LBB432_434:
	s_mov_b64 s[0:1], -1
                                        ; implicit-def: $vgpr2
.LBB432_435:
	s_and_b64 vcc, exec, s[0:1]
	s_cbranch_vccz .LBB432_437
; %bb.436:
	global_load_ubyte v2, v[0:1], off
	s_mov_b32 s0, 0x7f800000
	s_waitcnt vmcnt(0)
	v_lshlrev_b32_e32 v2, 24, v2
	v_and_b32_e32 v3, 0x7f000000, v2
	v_ffbh_u32_e32 v4, v3
	v_min_u32_e32 v4, 32, v4
	v_sub_u32_e64 v4, v4, 4 clamp
	v_lshlrev_b32_e32 v6, v4, v3
	v_lshlrev_b32_e32 v4, 23, v4
	v_lshrrev_b32_e32 v6, 4, v6
	v_add_u32_e32 v5, 0x1000000, v3
	v_sub_u32_e32 v4, v6, v4
	v_ashrrev_i32_e32 v5, 8, v5
	v_add_u32_e32 v4, 0x3c000000, v4
	v_and_or_b32 v4, v5, s0, v4
	v_cmp_ne_u32_e32 vcc, 0, v3
	s_brev_b32 s0, 1
	s_nop 0
	v_cndmask_b32_e32 v3, 0, v4, vcc
	v_and_or_b32 v2, v2, s0, v3
	v_cvt_i32_f32_e32 v2, v2
.LBB432_437:
	s_mov_b64 s[0:1], 0
.LBB432_438:
	s_andn2_b64 vcc, exec, s[0:1]
	s_cbranch_vccnz .LBB432_440
; %bb.439:
	global_load_ubyte v2, v[0:1], off
	s_movk_i32 s0, 0x7f00
	s_brev_b32 s1, 16
	s_waitcnt vmcnt(0)
	v_lshlrev_b16_e32 v3, 8, v2
	v_lshlrev_b32_e32 v2, 25, v2
	v_lshrrev_b32_e32 v4, 4, v2
	v_and_or_b32 v5, v3, s0, 0.5
	v_or_b32_e32 v4, 0x70000000, v4
	v_add_f32_e32 v5, -0.5, v5
	v_mul_f32_e32 v4, 0x7800000, v4
	v_cmp_gt_u32_e32 vcc, s1, v2
	v_bfe_i32 v3, v3, 0, 16
	s_brev_b32 s0, 1
	v_cndmask_b32_e32 v2, v4, v5, vcc
	v_and_or_b32 v2, v3, s0, v2
	v_cvt_i32_f32_e32 v2, v2
.LBB432_440:
	s_mov_b64 s[20:21], 0
	s_mov_b64 s[0:1], -1
.LBB432_441:
	s_andn2_b64 vcc, exec, s[20:21]
	s_cbranch_vccnz .LBB432_454
; %bb.442:
	s_cmp_gt_i32 s25, 14
	s_cbranch_scc0 .LBB432_445
; %bb.443:
	s_cmp_eq_u32 s25, 15
	s_cbranch_scc0 .LBB432_448
; %bb.444:
	global_load_ushort v2, v[0:1], off
	s_mov_b64 s[0:1], -1
	s_mov_b64 s[18:19], 0
	s_waitcnt vmcnt(0)
	v_lshlrev_b32_e32 v2, 16, v2
	v_cvt_i32_f32_e32 v2, v2
	s_branch .LBB432_449
.LBB432_445:
	s_mov_b64 s[20:21], -1
                                        ; implicit-def: $vgpr2
	s_branch .LBB432_450
.LBB432_446:
	s_andn2_saveexec_b64 s[0:1], s[0:1]
	s_cbranch_execz .LBB432_427
.LBB432_447:
	v_cmp_ne_u16_e32 vcc, 0, v3
	s_andn2_b64 s[20:21], s[20:21], exec
	s_and_b64 s[26:27], vcc, exec
	s_or_b64 s[20:21], s[20:21], s[26:27]
	s_or_b64 exec, exec, s[0:1]
	v_mov_b32_e32 v2, 0
	s_and_saveexec_b64 s[0:1], s[20:21]
	s_cbranch_execnz .LBB432_428
	s_branch .LBB432_429
.LBB432_448:
	s_mov_b64 s[18:19], -1
                                        ; implicit-def: $vgpr2
.LBB432_449:
	s_mov_b64 s[20:21], 0
.LBB432_450:
	s_and_b64 vcc, exec, s[20:21]
	s_cbranch_vccz .LBB432_454
; %bb.451:
	s_cmp_eq_u32 s25, 11
	s_cbranch_scc0 .LBB432_453
; %bb.452:
	global_load_ubyte v2, v[0:1], off
	s_mov_b64 s[0:1], -1
	s_mov_b64 s[18:19], 0
	s_waitcnt vmcnt(0)
	v_cmp_ne_u16_e32 vcc, 0, v2
	s_nop 1
	v_cndmask_b32_e64 v2, 0, 1, vcc
	s_branch .LBB432_454
.LBB432_453:
	s_mov_b64 s[18:19], -1
                                        ; implicit-def: $vgpr2
.LBB432_454:
	s_branch .LBB432_261
.LBB432_455:
	s_and_b32 s20, 0xffff, s24
	s_cmp_lt_i32 s20, 5
	s_cbranch_scc1 .LBB432_460
; %bb.456:
	s_cmp_lt_i32 s20, 8
	s_cbranch_scc1 .LBB432_461
; %bb.457:
	;; [unrolled: 3-line block ×3, first 2 shown]
	s_cmp_gt_i32 s20, 9
	s_cbranch_scc0 .LBB432_463
; %bb.459:
	global_load_dwordx2 v[2:3], v[0:1], off
	s_mov_b64 s[0:1], 0
	s_waitcnt vmcnt(0)
	v_cvt_i32_f64_e32 v2, v[2:3]
	s_branch .LBB432_464
.LBB432_460:
	s_mov_b64 s[0:1], -1
                                        ; implicit-def: $vgpr2
	s_branch .LBB432_482
.LBB432_461:
	s_mov_b64 s[0:1], -1
                                        ; implicit-def: $vgpr2
	s_branch .LBB432_470
.LBB432_462:
	s_mov_b64 s[0:1], -1
                                        ; implicit-def: $vgpr2
	s_branch .LBB432_467
.LBB432_463:
	s_mov_b64 s[0:1], -1
                                        ; implicit-def: $vgpr2
.LBB432_464:
	s_andn2_b64 vcc, exec, s[0:1]
	s_cbranch_vccnz .LBB432_466
; %bb.465:
	global_load_dword v2, v[0:1], off
	s_waitcnt vmcnt(0)
	v_cvt_i32_f32_e32 v2, v2
.LBB432_466:
	s_mov_b64 s[0:1], 0
.LBB432_467:
	s_andn2_b64 vcc, exec, s[0:1]
	s_cbranch_vccnz .LBB432_469
; %bb.468:
	global_load_dword v2, v[0:1], off
	s_waitcnt vmcnt(0)
	v_cvt_i16_f16_e32 v2, v2
.LBB432_469:
	s_mov_b64 s[0:1], 0
.LBB432_470:
	s_andn2_b64 vcc, exec, s[0:1]
	s_cbranch_vccnz .LBB432_481
; %bb.471:
	s_cmp_lt_i32 s20, 6
	s_cbranch_scc1 .LBB432_474
; %bb.472:
	s_cmp_gt_i32 s20, 6
	s_cbranch_scc0 .LBB432_475
; %bb.473:
	global_load_dwordx2 v[2:3], v[0:1], off
	s_mov_b64 s[0:1], 0
	s_waitcnt vmcnt(0)
	v_cvt_i32_f64_e32 v2, v[2:3]
	s_branch .LBB432_476
.LBB432_474:
	s_mov_b64 s[0:1], -1
                                        ; implicit-def: $vgpr2
	s_branch .LBB432_479
.LBB432_475:
	s_mov_b64 s[0:1], -1
                                        ; implicit-def: $vgpr2
.LBB432_476:
	s_andn2_b64 vcc, exec, s[0:1]
	s_cbranch_vccnz .LBB432_478
; %bb.477:
	global_load_dword v2, v[0:1], off
	s_waitcnt vmcnt(0)
	v_cvt_i32_f32_e32 v2, v2
.LBB432_478:
	s_mov_b64 s[0:1], 0
.LBB432_479:
	s_andn2_b64 vcc, exec, s[0:1]
	s_cbranch_vccnz .LBB432_481
; %bb.480:
	global_load_ushort v2, v[0:1], off
	s_waitcnt vmcnt(0)
	v_cvt_i16_f16_e32 v2, v2
.LBB432_481:
	s_mov_b64 s[0:1], 0
.LBB432_482:
	s_andn2_b64 vcc, exec, s[0:1]
	s_cbranch_vccnz .LBB432_502
; %bb.483:
	s_cmp_lt_i32 s20, 2
	s_cbranch_scc1 .LBB432_487
; %bb.484:
	s_cmp_lt_i32 s20, 3
	s_cbranch_scc1 .LBB432_488
; %bb.485:
	s_cmp_gt_i32 s20, 3
	s_cbranch_scc0 .LBB432_489
; %bb.486:
	global_load_dwordx2 v[2:3], v[0:1], off
	s_mov_b64 s[0:1], 0
	s_branch .LBB432_490
.LBB432_487:
	s_mov_b64 s[0:1], -1
                                        ; implicit-def: $vgpr2
	s_branch .LBB432_496
.LBB432_488:
	s_mov_b64 s[0:1], -1
                                        ; implicit-def: $vgpr2
	s_branch .LBB432_493
.LBB432_489:
	s_mov_b64 s[0:1], -1
                                        ; implicit-def: $vgpr2
.LBB432_490:
	s_andn2_b64 vcc, exec, s[0:1]
	s_cbranch_vccnz .LBB432_492
; %bb.491:
	global_load_dword v2, v[0:1], off
.LBB432_492:
	s_mov_b64 s[0:1], 0
.LBB432_493:
	s_andn2_b64 vcc, exec, s[0:1]
	s_cbranch_vccnz .LBB432_495
; %bb.494:
	global_load_ushort v2, v[0:1], off
.LBB432_495:
	s_mov_b64 s[0:1], 0
.LBB432_496:
	s_andn2_b64 vcc, exec, s[0:1]
	s_cbranch_vccnz .LBB432_502
; %bb.497:
	s_cmp_gt_i32 s20, 0
	s_cbranch_scc0 .LBB432_499
; %bb.498:
	global_load_ubyte v2, v[0:1], off
	s_mov_b64 s[0:1], 0
	s_branch .LBB432_500
.LBB432_499:
	s_mov_b64 s[0:1], -1
                                        ; implicit-def: $vgpr2
.LBB432_500:
	s_andn2_b64 vcc, exec, s[0:1]
	s_cbranch_vccnz .LBB432_502
; %bb.501:
	global_load_ubyte v2, v[0:1], off
.LBB432_502:
	s_branch .LBB432_262
.LBB432_503:
	s_mov_b64 s[24:25], 0
                                        ; implicit-def: $vgpr10
	s_mov_b64 s[0:1], s[12:13]
.LBB432_504:
	s_andn2_b64 s[20:21], s[12:13], exec
	s_and_b64 s[0:1], s[0:1], exec
	s_or_b64 s[20:21], s[20:21], s[0:1]
	s_andn2_b64 s[0:1], s[14:15], exec
	s_and_b64 s[18:19], s[18:19], exec
	s_or_b64 s[18:19], s[0:1], s[18:19]
	s_orn2_b64 s[0:1], s[24:25], exec
.LBB432_505:
	s_or_b64 exec, exec, s[22:23]
	s_mov_b64 s[24:25], 0
	s_mov_b64 s[26:27], 0
	;; [unrolled: 1-line block ×3, first 2 shown]
                                        ; implicit-def: $sgpr44
                                        ; implicit-def: $vgpr0_vgpr1
                                        ; implicit-def: $vgpr2
	s_and_saveexec_b64 s[22:23], s[0:1]
	s_cbranch_execz .LBB432_842
; %bb.506:
	v_cmp_gt_i32_e32 vcc, s38, v10
	s_mov_b64 s[34:35], -1
	s_mov_b64 s[0:1], s[18:19]
	s_mov_b64 s[28:29], s[20:21]
	s_and_saveexec_b64 s[24:25], vcc
	s_cbranch_execz .LBB432_760
; %bb.507:
	v_mul_lo_u32 v0, v10, s9
	v_ashrrev_i32_e32 v1, 31, v0
	s_and_b32 s30, s43, 0xff
	s_cmp_lt_i32 s30, 11
	v_lshl_add_u64 v[0:1], s[6:7], 0, v[0:1]
	s_cbranch_scc1 .LBB432_514
; %bb.508:
	s_and_b32 s31, 0xffff, s30
	s_cmp_gt_i32 s31, 25
	s_cbranch_scc0 .LBB432_515
; %bb.509:
	s_cmp_gt_i32 s31, 28
	s_cbranch_scc0 .LBB432_516
; %bb.510:
	;; [unrolled: 3-line block ×4, first 2 shown]
	s_cmp_eq_u32 s31, 46
	s_mov_b64 s[28:29], 0
	s_cbranch_scc0 .LBB432_523
; %bb.513:
	global_load_dword v2, v[0:1], off
	s_mov_b64 s[0:1], -1
	s_waitcnt vmcnt(0)
	v_lshlrev_b32_e32 v2, 16, v2
	v_cvt_i32_f32_e32 v2, v2
	s_branch .LBB432_524
.LBB432_514:
	s_mov_b64 s[28:29], -1
	s_mov_b64 s[0:1], 0
                                        ; implicit-def: $vgpr2
	s_mov_b64 s[26:27], s[18:19]
	s_branch .LBB432_585
.LBB432_515:
	s_mov_b64 s[28:29], -1
	s_mov_b64 s[0:1], 0
	s_mov_b64 s[26:27], s[18:19]
                                        ; implicit-def: $vgpr2
	s_branch .LBB432_551
.LBB432_516:
	s_mov_b64 s[28:29], -1
	s_mov_b64 s[0:1], 0
	s_mov_b64 s[26:27], s[18:19]
                                        ; implicit-def: $vgpr2
	s_branch .LBB432_534
.LBB432_517:
	s_mov_b64 s[28:29], -1
	s_mov_b64 s[0:1], 0
	s_mov_b64 s[26:27], s[18:19]
                                        ; implicit-def: $vgpr2
	s_branch .LBB432_529
.LBB432_518:
	s_andn2_saveexec_b64 s[26:27], s[26:27]
	s_cbranch_execz .LBB432_307
.LBB432_519:
	s_mov_b32 s30, 0x46000000
	v_add_f32_e64 v3, |v2|, s30
	v_and_b32_e32 v3, 0xff, v3
	v_cmp_ne_u32_e32 vcc, 0, v3
	s_andn2_b64 s[24:25], s[24:25], exec
	s_and_b64 s[30:31], vcc, exec
	s_or_b64 s[24:25], s[24:25], s[30:31]
	s_or_b64 exec, exec, s[26:27]
	v_mov_b32_e32 v5, 0
	s_and_saveexec_b64 s[26:27], s[24:25]
	s_cbranch_execnz .LBB432_308
	s_branch .LBB432_309
.LBB432_520:
	s_mov_b64 s[28:29], -1
	s_mov_b64 s[0:1], 0
	s_mov_b64 s[26:27], s[18:19]
                                        ; implicit-def: $vgpr2
	s_branch .LBB432_524
.LBB432_521:
	s_andn2_saveexec_b64 s[26:27], s[26:27]
	s_cbranch_execz .LBB432_320
.LBB432_522:
	s_mov_b32 s30, 0x42800000
	v_add_f32_e64 v3, |v2|, s30
	v_and_b32_e32 v3, 0xff, v3
	v_cmp_ne_u32_e32 vcc, 0, v3
	s_andn2_b64 s[24:25], s[24:25], exec
	s_and_b64 s[30:31], vcc, exec
	s_or_b64 s[24:25], s[24:25], s[30:31]
	s_or_b64 exec, exec, s[26:27]
	v_mov_b32_e32 v5, 0
	s_and_saveexec_b64 s[26:27], s[24:25]
	s_cbranch_execnz .LBB432_321
	s_branch .LBB432_322
.LBB432_523:
	s_mov_b64 s[26:27], -1
                                        ; implicit-def: $vgpr2
	s_mov_b64 s[0:1], 0
.LBB432_524:
	s_and_b64 vcc, exec, s[28:29]
	s_cbranch_vccz .LBB432_528
; %bb.525:
	s_cmp_eq_u32 s31, 44
	s_cbranch_scc0 .LBB432_527
; %bb.526:
	global_load_ubyte v2, v[0:1], off
	s_mov_b64 s[0:1], -1
	s_mov_b64 s[26:27], 0
	s_waitcnt vmcnt(0)
	v_lshlrev_b32_e32 v3, 23, v2
	v_cvt_i32_f32_e32 v3, v3
	v_cmp_ne_u32_e32 vcc, 0, v2
	s_nop 1
	v_cndmask_b32_e32 v2, 0, v3, vcc
	s_branch .LBB432_528
.LBB432_527:
	s_mov_b64 s[26:27], -1
                                        ; implicit-def: $vgpr2
.LBB432_528:
	s_mov_b64 s[28:29], 0
.LBB432_529:
	s_and_b64 vcc, exec, s[28:29]
	s_cbranch_vccz .LBB432_533
; %bb.530:
	s_cmp_eq_u32 s31, 29
	s_cbranch_scc0 .LBB432_532
; %bb.531:
	global_load_dwordx2 v[2:3], v[0:1], off
	s_mov_b64 s[0:1], -1
	s_mov_b64 s[26:27], 0
	s_branch .LBB432_533
.LBB432_532:
	s_mov_b64 s[26:27], -1
                                        ; implicit-def: $vgpr2
.LBB432_533:
	s_mov_b64 s[28:29], 0
.LBB432_534:
	s_and_b64 vcc, exec, s[28:29]
	s_cbranch_vccz .LBB432_550
; %bb.535:
	s_cmp_lt_i32 s31, 27
	s_cbranch_scc1 .LBB432_538
; %bb.536:
	s_cmp_gt_i32 s31, 27
	s_cbranch_scc0 .LBB432_539
; %bb.537:
	global_load_dword v2, v[0:1], off
	s_mov_b64 s[0:1], 0
	s_branch .LBB432_540
.LBB432_538:
	s_mov_b64 s[0:1], -1
                                        ; implicit-def: $vgpr2
	s_branch .LBB432_543
.LBB432_539:
	s_mov_b64 s[0:1], -1
                                        ; implicit-def: $vgpr2
.LBB432_540:
	s_andn2_b64 vcc, exec, s[0:1]
	s_cbranch_vccnz .LBB432_542
; %bb.541:
	global_load_ushort v2, v[0:1], off
.LBB432_542:
	s_mov_b64 s[0:1], 0
.LBB432_543:
	s_andn2_b64 vcc, exec, s[0:1]
	s_cbranch_vccnz .LBB432_549
; %bb.544:
	global_load_ubyte v3, v[0:1], off
	s_movk_i32 s0, 0x7f
	s_mov_b64 s[28:29], 0
	s_waitcnt vmcnt(0)
	v_cmp_lt_i16_e32 vcc, s0, v3
	s_and_saveexec_b64 s[0:1], vcc
	s_xor_b64 s[0:1], exec, s[0:1]
	s_cbranch_execz .LBB432_561
; %bb.545:
	s_movk_i32 s28, 0x80
	v_cmp_ne_u16_e32 vcc, s28, v3
	s_and_b64 s[28:29], vcc, exec
	s_andn2_saveexec_b64 s[0:1], s[0:1]
	s_cbranch_execnz .LBB432_562
.LBB432_546:
	s_or_b64 exec, exec, s[0:1]
	v_mov_b32_e32 v2, 0
	s_and_saveexec_b64 s[0:1], s[28:29]
	s_cbranch_execz .LBB432_548
.LBB432_547:
	v_lshlrev_b32_e32 v2, 24, v3
	v_and_b32_e32 v3, 0xffff, v3
	v_and_b32_e32 v4, 7, v3
	v_ffbh_u32_e32 v6, v4
	v_min_u32_e32 v6, 32, v6
	v_subrev_u32_e32 v7, 28, v6
	v_bfe_u32 v5, v3, 3, 4
	v_lshlrev_b32_e32 v3, v7, v3
	v_sub_u32_e32 v6, 29, v6
	v_and_b32_e32 v3, 7, v3
	v_cmp_eq_u32_e32 vcc, 0, v5
	v_and_b32_e32 v2, 0x80000000, v2
	s_nop 0
	v_cndmask_b32_e32 v5, v5, v6, vcc
	v_cndmask_b32_e32 v3, v4, v3, vcc
	v_mov_b32_e32 v4, 0x3b800000
	v_lshlrev_b32_e32 v3, 20, v3
	v_lshl_add_u32 v4, v5, 23, v4
	v_or3_b32 v2, v2, v4, v3
	v_cvt_i32_f32_e32 v2, v2
.LBB432_548:
	s_or_b64 exec, exec, s[0:1]
.LBB432_549:
	s_mov_b64 s[0:1], -1
.LBB432_550:
	s_mov_b64 s[28:29], 0
.LBB432_551:
	s_and_b64 vcc, exec, s[28:29]
	s_cbranch_vccz .LBB432_584
; %bb.552:
	s_cmp_gt_i32 s31, 22
	s_cbranch_scc0 .LBB432_560
; %bb.553:
	s_cmp_lt_i32 s31, 24
	s_cbranch_scc1 .LBB432_563
; %bb.554:
	s_cmp_gt_i32 s31, 24
	s_cbranch_scc0 .LBB432_564
; %bb.555:
	global_load_ubyte v3, v[0:1], off
	s_movk_i32 s0, 0x7f
	s_mov_b64 s[28:29], 0
	s_waitcnt vmcnt(0)
	v_cmp_lt_i16_e32 vcc, s0, v3
	s_and_saveexec_b64 s[0:1], vcc
	s_xor_b64 s[0:1], exec, s[0:1]
	s_cbranch_execz .LBB432_576
; %bb.556:
	s_movk_i32 s28, 0x80
	v_cmp_ne_u16_e32 vcc, s28, v3
	s_and_b64 s[28:29], vcc, exec
	s_andn2_saveexec_b64 s[0:1], s[0:1]
	s_cbranch_execnz .LBB432_577
.LBB432_557:
	s_or_b64 exec, exec, s[0:1]
	v_mov_b32_e32 v2, 0
	s_and_saveexec_b64 s[0:1], s[28:29]
	s_cbranch_execz .LBB432_559
.LBB432_558:
	v_lshlrev_b32_e32 v2, 24, v3
	v_and_b32_e32 v3, 0xffff, v3
	v_and_b32_e32 v4, 3, v3
	v_ffbh_u32_e32 v6, v4
	v_min_u32_e32 v6, 32, v6
	v_subrev_u32_e32 v7, 29, v6
	v_bfe_u32 v5, v3, 2, 5
	v_lshlrev_b32_e32 v3, v7, v3
	v_sub_u32_e32 v6, 30, v6
	v_and_b32_e32 v3, 3, v3
	v_cmp_eq_u32_e32 vcc, 0, v5
	v_and_b32_e32 v2, 0x80000000, v2
	s_nop 0
	v_cndmask_b32_e32 v5, v5, v6, vcc
	v_cndmask_b32_e32 v3, v4, v3, vcc
	v_mov_b32_e32 v4, 0x37800000
	v_lshlrev_b32_e32 v3, 21, v3
	v_lshl_add_u32 v4, v5, 23, v4
	v_or3_b32 v2, v2, v4, v3
	v_cvt_i32_f32_e32 v2, v2
.LBB432_559:
	s_or_b64 exec, exec, s[0:1]
	s_mov_b64 s[0:1], 0
	s_branch .LBB432_565
.LBB432_560:
	s_mov_b64 s[28:29], -1
                                        ; implicit-def: $vgpr2
	s_branch .LBB432_571
.LBB432_561:
	s_andn2_saveexec_b64 s[0:1], s[0:1]
	s_cbranch_execz .LBB432_546
.LBB432_562:
	v_cmp_ne_u16_e32 vcc, 0, v3
	s_andn2_b64 s[28:29], s[28:29], exec
	s_and_b64 s[34:35], vcc, exec
	s_or_b64 s[28:29], s[28:29], s[34:35]
	s_or_b64 exec, exec, s[0:1]
	v_mov_b32_e32 v2, 0
	s_and_saveexec_b64 s[0:1], s[28:29]
	s_cbranch_execnz .LBB432_547
	s_branch .LBB432_548
.LBB432_563:
	s_mov_b64 s[0:1], -1
                                        ; implicit-def: $vgpr2
	s_branch .LBB432_568
.LBB432_564:
	s_mov_b64 s[0:1], -1
                                        ; implicit-def: $vgpr2
.LBB432_565:
	s_and_b64 vcc, exec, s[0:1]
	s_cbranch_vccz .LBB432_567
; %bb.566:
	global_load_ubyte v2, v[0:1], off
	s_mov_b32 s0, 0x7f800000
	s_waitcnt vmcnt(0)
	v_lshlrev_b32_e32 v2, 24, v2
	v_and_b32_e32 v3, 0x7f000000, v2
	v_ffbh_u32_e32 v4, v3
	v_min_u32_e32 v4, 32, v4
	v_sub_u32_e64 v4, v4, 4 clamp
	v_lshlrev_b32_e32 v6, v4, v3
	v_lshlrev_b32_e32 v4, 23, v4
	v_lshrrev_b32_e32 v6, 4, v6
	v_add_u32_e32 v5, 0x1000000, v3
	v_sub_u32_e32 v4, v6, v4
	v_ashrrev_i32_e32 v5, 8, v5
	v_add_u32_e32 v4, 0x3c000000, v4
	v_and_or_b32 v4, v5, s0, v4
	v_cmp_ne_u32_e32 vcc, 0, v3
	s_brev_b32 s0, 1
	s_nop 0
	v_cndmask_b32_e32 v3, 0, v4, vcc
	v_and_or_b32 v2, v2, s0, v3
	v_cvt_i32_f32_e32 v2, v2
.LBB432_567:
	s_mov_b64 s[0:1], 0
.LBB432_568:
	s_andn2_b64 vcc, exec, s[0:1]
	s_cbranch_vccnz .LBB432_570
; %bb.569:
	global_load_ubyte v2, v[0:1], off
	s_movk_i32 s0, 0x7f00
	s_brev_b32 s1, 16
	s_waitcnt vmcnt(0)
	v_lshlrev_b16_e32 v3, 8, v2
	v_lshlrev_b32_e32 v2, 25, v2
	v_lshrrev_b32_e32 v4, 4, v2
	v_and_or_b32 v5, v3, s0, 0.5
	v_or_b32_e32 v4, 0x70000000, v4
	v_add_f32_e32 v5, -0.5, v5
	v_mul_f32_e32 v4, 0x7800000, v4
	v_cmp_gt_u32_e32 vcc, s1, v2
	v_bfe_i32 v3, v3, 0, 16
	s_brev_b32 s0, 1
	v_cndmask_b32_e32 v2, v4, v5, vcc
	v_and_or_b32 v2, v3, s0, v2
	v_cvt_i32_f32_e32 v2, v2
.LBB432_570:
	s_mov_b64 s[28:29], 0
	s_mov_b64 s[0:1], -1
.LBB432_571:
	s_andn2_b64 vcc, exec, s[28:29]
	s_cbranch_vccnz .LBB432_584
; %bb.572:
	s_cmp_gt_i32 s31, 14
	s_cbranch_scc0 .LBB432_575
; %bb.573:
	s_cmp_eq_u32 s31, 15
	s_cbranch_scc0 .LBB432_578
; %bb.574:
	global_load_ushort v2, v[0:1], off
	s_mov_b64 s[0:1], -1
	s_mov_b64 s[26:27], 0
	s_waitcnt vmcnt(0)
	v_lshlrev_b32_e32 v2, 16, v2
	v_cvt_i32_f32_e32 v2, v2
	s_branch .LBB432_579
.LBB432_575:
	s_mov_b64 s[28:29], -1
                                        ; implicit-def: $vgpr2
	s_branch .LBB432_580
.LBB432_576:
	s_andn2_saveexec_b64 s[0:1], s[0:1]
	s_cbranch_execz .LBB432_557
.LBB432_577:
	v_cmp_ne_u16_e32 vcc, 0, v3
	s_andn2_b64 s[28:29], s[28:29], exec
	s_and_b64 s[34:35], vcc, exec
	s_or_b64 s[28:29], s[28:29], s[34:35]
	s_or_b64 exec, exec, s[0:1]
	v_mov_b32_e32 v2, 0
	s_and_saveexec_b64 s[0:1], s[28:29]
	s_cbranch_execnz .LBB432_558
	s_branch .LBB432_559
.LBB432_578:
	s_mov_b64 s[26:27], -1
                                        ; implicit-def: $vgpr2
.LBB432_579:
	s_mov_b64 s[28:29], 0
.LBB432_580:
	s_and_b64 vcc, exec, s[28:29]
	s_cbranch_vccz .LBB432_584
; %bb.581:
	s_cmp_eq_u32 s31, 11
	s_cbranch_scc0 .LBB432_583
; %bb.582:
	global_load_ubyte v2, v[0:1], off
	s_mov_b64 s[0:1], -1
	s_mov_b64 s[26:27], 0
	s_waitcnt vmcnt(0)
	v_cmp_ne_u16_e32 vcc, 0, v2
	s_nop 1
	v_cndmask_b32_e64 v2, 0, 1, vcc
	s_branch .LBB432_584
.LBB432_583:
	s_mov_b64 s[26:27], -1
                                        ; implicit-def: $vgpr2
.LBB432_584:
	s_mov_b64 s[28:29], 0
.LBB432_585:
	s_and_b64 vcc, exec, s[28:29]
	s_cbranch_vccz .LBB432_634
; %bb.586:
	s_and_b32 s28, 0xffff, s30
	s_cmp_lt_i32 s28, 5
	s_cbranch_scc1 .LBB432_591
; %bb.587:
	s_cmp_lt_i32 s28, 8
	s_cbranch_scc1 .LBB432_592
; %bb.588:
	;; [unrolled: 3-line block ×3, first 2 shown]
	s_cmp_gt_i32 s28, 9
	s_cbranch_scc0 .LBB432_594
; %bb.590:
	global_load_dwordx2 v[2:3], v[0:1], off
	s_mov_b64 s[0:1], 0
	s_waitcnt vmcnt(0)
	v_cvt_i32_f64_e32 v2, v[2:3]
	s_branch .LBB432_595
.LBB432_591:
	s_mov_b64 s[0:1], -1
                                        ; implicit-def: $vgpr2
	s_branch .LBB432_613
.LBB432_592:
	s_mov_b64 s[0:1], -1
                                        ; implicit-def: $vgpr2
	s_branch .LBB432_601
.LBB432_593:
	s_mov_b64 s[0:1], -1
                                        ; implicit-def: $vgpr2
	s_branch .LBB432_598
.LBB432_594:
	s_mov_b64 s[0:1], -1
                                        ; implicit-def: $vgpr2
.LBB432_595:
	s_andn2_b64 vcc, exec, s[0:1]
	s_cbranch_vccnz .LBB432_597
; %bb.596:
	global_load_dword v2, v[0:1], off
	s_waitcnt vmcnt(0)
	v_cvt_i32_f32_e32 v2, v2
.LBB432_597:
	s_mov_b64 s[0:1], 0
.LBB432_598:
	s_andn2_b64 vcc, exec, s[0:1]
	s_cbranch_vccnz .LBB432_600
; %bb.599:
	global_load_dword v2, v[0:1], off
	s_waitcnt vmcnt(0)
	v_cvt_i16_f16_e32 v2, v2
.LBB432_600:
	s_mov_b64 s[0:1], 0
.LBB432_601:
	s_andn2_b64 vcc, exec, s[0:1]
	s_cbranch_vccnz .LBB432_612
; %bb.602:
	s_cmp_lt_i32 s28, 6
	s_cbranch_scc1 .LBB432_605
; %bb.603:
	s_cmp_gt_i32 s28, 6
	s_cbranch_scc0 .LBB432_606
; %bb.604:
	global_load_dwordx2 v[2:3], v[0:1], off
	s_mov_b64 s[0:1], 0
	s_waitcnt vmcnt(0)
	v_cvt_i32_f64_e32 v2, v[2:3]
	s_branch .LBB432_607
.LBB432_605:
	s_mov_b64 s[0:1], -1
                                        ; implicit-def: $vgpr2
	s_branch .LBB432_610
.LBB432_606:
	s_mov_b64 s[0:1], -1
                                        ; implicit-def: $vgpr2
.LBB432_607:
	s_andn2_b64 vcc, exec, s[0:1]
	s_cbranch_vccnz .LBB432_609
; %bb.608:
	global_load_dword v2, v[0:1], off
	s_waitcnt vmcnt(0)
	v_cvt_i32_f32_e32 v2, v2
.LBB432_609:
	s_mov_b64 s[0:1], 0
.LBB432_610:
	s_andn2_b64 vcc, exec, s[0:1]
	s_cbranch_vccnz .LBB432_612
; %bb.611:
	global_load_ushort v2, v[0:1], off
	s_waitcnt vmcnt(0)
	v_cvt_i16_f16_e32 v2, v2
.LBB432_612:
	s_mov_b64 s[0:1], 0
.LBB432_613:
	s_andn2_b64 vcc, exec, s[0:1]
	s_cbranch_vccnz .LBB432_633
; %bb.614:
	s_cmp_lt_i32 s28, 2
	s_cbranch_scc1 .LBB432_618
; %bb.615:
	s_cmp_lt_i32 s28, 3
	s_cbranch_scc1 .LBB432_619
; %bb.616:
	s_cmp_gt_i32 s28, 3
	s_cbranch_scc0 .LBB432_620
; %bb.617:
	global_load_dwordx2 v[2:3], v[0:1], off
	s_mov_b64 s[0:1], 0
	s_branch .LBB432_621
.LBB432_618:
	s_mov_b64 s[0:1], -1
                                        ; implicit-def: $vgpr2
	s_branch .LBB432_627
.LBB432_619:
	s_mov_b64 s[0:1], -1
                                        ; implicit-def: $vgpr2
	s_branch .LBB432_624
.LBB432_620:
	s_mov_b64 s[0:1], -1
                                        ; implicit-def: $vgpr2
.LBB432_621:
	s_andn2_b64 vcc, exec, s[0:1]
	s_cbranch_vccnz .LBB432_623
; %bb.622:
	global_load_dword v2, v[0:1], off
.LBB432_623:
	s_mov_b64 s[0:1], 0
.LBB432_624:
	s_andn2_b64 vcc, exec, s[0:1]
	s_cbranch_vccnz .LBB432_626
; %bb.625:
	global_load_ushort v2, v[0:1], off
.LBB432_626:
	s_mov_b64 s[0:1], 0
.LBB432_627:
	s_andn2_b64 vcc, exec, s[0:1]
	s_cbranch_vccnz .LBB432_633
; %bb.628:
	s_cmp_gt_i32 s28, 0
	s_cbranch_scc0 .LBB432_630
; %bb.629:
	global_load_ubyte v2, v[0:1], off
	s_mov_b64 s[0:1], 0
	s_branch .LBB432_631
.LBB432_630:
	s_mov_b64 s[0:1], -1
                                        ; implicit-def: $vgpr2
.LBB432_631:
	s_andn2_b64 vcc, exec, s[0:1]
	s_cbranch_vccnz .LBB432_633
; %bb.632:
	global_load_ubyte v2, v[0:1], off
.LBB432_633:
	s_mov_b64 s[0:1], -1
.LBB432_634:
	s_andn2_b64 vcc, exec, s[0:1]
	s_cbranch_vccnz .LBB432_642
; %bb.635:
	v_mul_lo_u32 v0, v10, s8
	s_bfe_i32 s0, s33, 0x80000
	v_ashrrev_i32_e32 v1, 31, v0
	s_and_b32 s36, s42, 0xff
	s_waitcnt vmcnt(0)
	v_min_i16_sdwa v4, sext(v2), s0 dst_sel:DWORD dst_unused:UNUSED_PAD src0_sel:BYTE_0 src1_sel:DWORD
	s_cmp_lt_i32 s36, 11
	v_lshl_add_u64 v[0:1], s[4:5], 0, v[0:1]
	s_cbranch_scc1 .LBB432_643
; %bb.636:
	s_and_b32 s37, 0xffff, s36
	s_cmp_gt_i32 s37, 25
	s_cbranch_scc0 .LBB432_644
; %bb.637:
	s_cmp_gt_i32 s37, 28
	s_cbranch_scc0 .LBB432_645
; %bb.638:
	;; [unrolled: 3-line block ×4, first 2 shown]
	s_mov_b64 s[30:31], 0
	s_mov_b64 s[0:1], -1
	s_cmp_eq_u32 s37, 46
	s_mov_b64 s[28:29], 0
	s_cbranch_scc0 .LBB432_648
; %bb.641:
	v_cvt_f32_i32_sdwa v2, sext(v4) dst_sel:DWORD dst_unused:UNUSED_PAD src0_sel:WORD_0
	s_movk_i32 s0, 0x7fff
	s_mov_b64 s[28:29], -1
	v_bfe_u32 v3, v2, 16, 1
	v_add3_u32 v2, v2, v3, s0
	v_lshrrev_b32_e32 v2, 16, v2
	global_store_dword v[0:1], v2, off
	s_mov_b64 s[0:1], 0
	s_branch .LBB432_648
.LBB432_642:
	s_mov_b64 s[30:31], 0
                                        ; implicit-def: $vgpr10
	s_mov_b64 s[0:1], s[20:21]
	s_branch .LBB432_759
.LBB432_643:
	s_mov_b64 s[30:31], -1
	s_mov_b64 s[28:29], 0
	s_mov_b64 s[0:1], s[20:21]
	s_branch .LBB432_717
.LBB432_644:
	s_mov_b64 s[30:31], -1
	s_mov_b64 s[28:29], 0
	s_mov_b64 s[0:1], s[20:21]
	s_branch .LBB432_675
.LBB432_645:
	s_mov_b64 s[30:31], -1
	s_mov_b64 s[28:29], 0
	s_mov_b64 s[0:1], s[20:21]
	s_branch .LBB432_658
.LBB432_646:
	s_mov_b64 s[30:31], -1
	s_mov_b64 s[28:29], 0
	s_mov_b64 s[0:1], s[20:21]
	s_branch .LBB432_654
.LBB432_647:
	s_mov_b64 s[30:31], -1
	s_mov_b64 s[28:29], 0
	s_mov_b64 s[0:1], s[20:21]
.LBB432_648:
	s_and_b64 vcc, exec, s[30:31]
	s_cbranch_vccz .LBB432_653
; %bb.649:
	s_cmp_eq_u32 s37, 44
	s_mov_b64 s[0:1], -1
	s_cbranch_scc0 .LBB432_653
; %bb.650:
	v_cvt_f32_i32_sdwa v2, sext(v4) dst_sel:DWORD dst_unused:UNUSED_PAD src0_sel:WORD_0
	s_movk_i32 s0, 0xff
	v_mov_b32_e32 v5, 0xff
	v_bfe_u32 v3, v2, 23, 8
	v_cmp_ne_u32_e32 vcc, s0, v3
	s_and_saveexec_b64 s[28:29], vcc
; %bb.651:
	s_mov_b32 s0, 0x3fffff
	v_lshrrev_b32_e32 v5, 23, v2
	v_and_b32_e32 v6, 0x400000, v2
	v_and_or_b32 v2, v2, s0, v3
	v_cmp_ne_u32_e32 vcc, 0, v6
	v_cmp_ne_u32_e64 s[0:1], 0, v2
	s_and_b64 s[0:1], vcc, s[0:1]
	s_nop 0
	v_cndmask_b32_e64 v2, 0, 1, s[0:1]
	v_add_u32_e32 v5, v5, v2
; %bb.652:
	s_or_b64 exec, exec, s[28:29]
	s_mov_b64 s[28:29], -1
	s_mov_b64 s[0:1], 0
	global_store_byte v[0:1], v5, off
.LBB432_653:
	s_mov_b64 s[30:31], 0
.LBB432_654:
	s_and_b64 vcc, exec, s[30:31]
	s_cbranch_vccz .LBB432_657
; %bb.655:
	s_cmp_eq_u32 s37, 29
	s_mov_b64 s[0:1], -1
	s_cbranch_scc0 .LBB432_657
; %bb.656:
	v_bfe_i32 v2, v4, 0, 16
	v_ashrrev_i32_e32 v3, 31, v2
	global_store_dwordx2 v[0:1], v[2:3], off
	s_mov_b64 s[28:29], -1
	s_mov_b64 s[0:1], 0
.LBB432_657:
	s_mov_b64 s[30:31], 0
.LBB432_658:
	s_and_b64 vcc, exec, s[30:31]
	s_cbranch_vccz .LBB432_674
; %bb.659:
	s_cmp_lt_i32 s37, 27
	s_mov_b64 s[28:29], -1
	s_cbranch_scc1 .LBB432_665
; %bb.660:
	s_cmp_gt_i32 s37, 27
	s_cbranch_scc0 .LBB432_662
; %bb.661:
	v_bfe_i32 v2, v4, 0, 16
	s_mov_b64 s[28:29], 0
	global_store_dword v[0:1], v2, off
.LBB432_662:
	s_andn2_b64 vcc, exec, s[28:29]
	s_cbranch_vccnz .LBB432_664
; %bb.663:
	global_store_short v[0:1], v4, off
.LBB432_664:
	s_mov_b64 s[28:29], 0
.LBB432_665:
	s_andn2_b64 vcc, exec, s[28:29]
	s_cbranch_vccnz .LBB432_673
; %bb.666:
	v_cvt_f32_i32_sdwa v2, sext(v4) dst_sel:DWORD dst_unused:UNUSED_PAD src0_sel:WORD_0
	s_mov_b32 s28, 0x43800000
	v_mov_b32_e32 v5, 0x80
	v_and_b32_e32 v3, 0x7fffffff, v2
	v_cmp_gt_u32_e32 vcc, s28, v3
	s_and_saveexec_b64 s[28:29], vcc
	s_cbranch_execz .LBB432_672
; %bb.667:
	s_mov_b32 s30, 0x3bffffff
	v_cmp_lt_u32_e32 vcc, s30, v3
	s_mov_b64 s[30:31], 0
                                        ; implicit-def: $vgpr3
	s_and_saveexec_b64 s[34:35], vcc
	s_xor_b64 s[34:35], exec, s[34:35]
	s_cbranch_execz .LBB432_773
; %bb.668:
	v_bfe_u32 v3, v2, 20, 1
	s_mov_b32 s39, 0x487ffff
	v_add3_u32 v3, v2, v3, s39
	s_mov_b64 s[30:31], exec
	v_lshrrev_b32_e32 v3, 20, v3
	s_andn2_saveexec_b64 s[34:35], s[34:35]
	s_cbranch_execnz .LBB432_774
.LBB432_669:
	s_or_b64 exec, exec, s[34:35]
	v_mov_b32_e32 v5, 0
	s_and_saveexec_b64 s[34:35], s[30:31]
.LBB432_670:
	v_lshrrev_b32_e32 v2, 24, v2
	s_movk_i32 s30, 0x80
	v_and_or_b32 v5, v2, s30, v3
.LBB432_671:
	s_or_b64 exec, exec, s[34:35]
.LBB432_672:
	s_or_b64 exec, exec, s[28:29]
	global_store_byte v[0:1], v5, off
.LBB432_673:
	s_mov_b64 s[28:29], -1
.LBB432_674:
	s_mov_b64 s[30:31], 0
.LBB432_675:
	s_and_b64 vcc, exec, s[30:31]
	s_cbranch_vccz .LBB432_716
; %bb.676:
	s_cmp_gt_i32 s37, 22
	s_mov_b64 s[30:31], -1
	s_cbranch_scc0 .LBB432_708
; %bb.677:
	s_cmp_lt_i32 s37, 24
	s_mov_b64 s[28:29], -1
	s_cbranch_scc1 .LBB432_697
; %bb.678:
	s_cmp_gt_i32 s37, 24
	s_cbranch_scc0 .LBB432_686
; %bb.679:
	v_cvt_f32_i32_sdwa v2, sext(v4) dst_sel:DWORD dst_unused:UNUSED_PAD src0_sel:WORD_0
	s_mov_b32 s28, 0x47800000
	v_mov_b32_e32 v5, 0x80
	v_and_b32_e32 v3, 0x7fffffff, v2
	v_cmp_gt_u32_e32 vcc, s28, v3
	s_and_saveexec_b64 s[28:29], vcc
	s_cbranch_execz .LBB432_685
; %bb.680:
	s_mov_b32 s30, 0x37ffffff
	v_cmp_lt_u32_e32 vcc, s30, v3
	s_mov_b64 s[30:31], 0
                                        ; implicit-def: $vgpr3
	s_and_saveexec_b64 s[34:35], vcc
	s_xor_b64 s[34:35], exec, s[34:35]
	s_cbranch_execz .LBB432_776
; %bb.681:
	v_bfe_u32 v3, v2, 21, 1
	s_mov_b32 s39, 0x88fffff
	v_add3_u32 v3, v2, v3, s39
	s_mov_b64 s[30:31], exec
	v_lshrrev_b32_e32 v3, 21, v3
	s_andn2_saveexec_b64 s[34:35], s[34:35]
	s_cbranch_execnz .LBB432_777
.LBB432_682:
	s_or_b64 exec, exec, s[34:35]
	v_mov_b32_e32 v5, 0
	s_and_saveexec_b64 s[34:35], s[30:31]
.LBB432_683:
	v_lshrrev_b32_e32 v2, 24, v2
	s_movk_i32 s30, 0x80
	v_and_or_b32 v5, v2, s30, v3
.LBB432_684:
	s_or_b64 exec, exec, s[34:35]
.LBB432_685:
	s_or_b64 exec, exec, s[28:29]
	s_mov_b64 s[28:29], 0
	global_store_byte v[0:1], v5, off
.LBB432_686:
	s_and_b64 vcc, exec, s[28:29]
	s_cbranch_vccz .LBB432_696
; %bb.687:
	v_cvt_f32_i32_sdwa v2, sext(v4) dst_sel:DWORD dst_unused:UNUSED_PAD src0_sel:WORD_0
	s_mov_b32 s28, 0x43f00000
                                        ; implicit-def: $vgpr3
	v_and_b32_e32 v5, 0x7fffffff, v2
	v_cmp_gt_u32_e32 vcc, s28, v5
	s_and_saveexec_b64 s[28:29], vcc
	s_xor_b64 s[28:29], exec, s[28:29]
	s_cbranch_execz .LBB432_693
; %bb.688:
	s_mov_b32 s30, 0x3c7fffff
	v_cmp_lt_u32_e32 vcc, s30, v5
                                        ; implicit-def: $vgpr3
	s_and_saveexec_b64 s[30:31], vcc
	s_xor_b64 s[30:31], exec, s[30:31]
; %bb.689:
	v_bfe_u32 v3, v2, 20, 1
	s_mov_b32 s34, 0x407ffff
	v_add3_u32 v3, v2, v3, s34
	v_lshrrev_b32_e32 v5, 20, v3
	v_and_b32_e32 v3, 0xff00000, v3
	s_mov_b32 s34, 0x7f00000
	v_mov_b32_e32 v6, 0x7e
	v_cmp_ne_u32_e32 vcc, s34, v3
	s_nop 1
	v_cndmask_b32_e32 v3, v6, v5, vcc
; %bb.690:
	s_andn2_saveexec_b64 s[30:31], s[30:31]
; %bb.691:
	s_mov_b32 s34, 0x46800000
	v_add_f32_e64 v3, |v2|, s34
; %bb.692:
	s_or_b64 exec, exec, s[30:31]
                                        ; implicit-def: $vgpr5
.LBB432_693:
	s_andn2_saveexec_b64 s[28:29], s[28:29]
; %bb.694:
	s_mov_b32 s30, 0x7f800000
	v_mov_b32_e32 v3, 0x7e
	v_mov_b32_e32 v6, 0x7f
	v_cmp_lt_u32_e32 vcc, s30, v5
	s_nop 1
	v_cndmask_b32_e32 v3, v3, v6, vcc
; %bb.695:
	s_or_b64 exec, exec, s[28:29]
	v_lshrrev_b32_e32 v2, 24, v2
	s_movk_i32 s28, 0x80
	v_and_or_b32 v2, v2, s28, v3
	global_store_byte v[0:1], v2, off
.LBB432_696:
	s_mov_b64 s[28:29], 0
.LBB432_697:
	s_andn2_b64 vcc, exec, s[28:29]
	s_cbranch_vccnz .LBB432_707
; %bb.698:
	v_cvt_f32_i32_sdwa v2, sext(v4) dst_sel:DWORD dst_unused:UNUSED_PAD src0_sel:WORD_0
	s_mov_b32 s28, 0x47800000
                                        ; implicit-def: $vgpr3
	v_and_b32_e32 v5, 0x7fffffff, v2
	v_cmp_gt_u32_e32 vcc, s28, v5
	s_and_saveexec_b64 s[28:29], vcc
	s_xor_b64 s[28:29], exec, s[28:29]
	s_cbranch_execz .LBB432_704
; %bb.699:
	s_mov_b32 s30, 0x387fffff
	v_cmp_lt_u32_e32 vcc, s30, v5
                                        ; implicit-def: $vgpr3
	s_and_saveexec_b64 s[30:31], vcc
	s_xor_b64 s[30:31], exec, s[30:31]
; %bb.700:
	v_bfe_u32 v3, v2, 21, 1
	s_mov_b32 s34, 0x80fffff
	v_add3_u32 v3, v2, v3, s34
	v_lshrrev_b32_e32 v3, 21, v3
; %bb.701:
	s_andn2_saveexec_b64 s[30:31], s[30:31]
; %bb.702:
	s_mov_b32 s34, 0x43000000
	v_add_f32_e64 v3, |v2|, s34
; %bb.703:
	s_or_b64 exec, exec, s[30:31]
                                        ; implicit-def: $vgpr5
.LBB432_704:
	s_andn2_saveexec_b64 s[28:29], s[28:29]
; %bb.705:
	s_mov_b32 s30, 0x7f800000
	v_mov_b32_e32 v3, 0x7c
	v_mov_b32_e32 v6, 0x7f
	v_cmp_lt_u32_e32 vcc, s30, v5
	s_nop 1
	v_cndmask_b32_e32 v3, v3, v6, vcc
; %bb.706:
	s_or_b64 exec, exec, s[28:29]
	v_lshrrev_b32_e32 v2, 24, v2
	s_movk_i32 s28, 0x80
	v_and_or_b32 v2, v2, s28, v3
	global_store_byte v[0:1], v2, off
.LBB432_707:
	s_mov_b64 s[30:31], 0
	s_mov_b64 s[28:29], -1
.LBB432_708:
	s_andn2_b64 vcc, exec, s[30:31]
	s_cbranch_vccnz .LBB432_716
; %bb.709:
	s_cmp_gt_i32 s37, 14
	s_mov_b64 s[30:31], -1
	s_cbranch_scc0 .LBB432_713
; %bb.710:
	s_cmp_eq_u32 s37, 15
	s_mov_b64 s[0:1], -1
	s_cbranch_scc0 .LBB432_712
; %bb.711:
	v_cvt_f32_i32_sdwa v2, sext(v4) dst_sel:DWORD dst_unused:UNUSED_PAD src0_sel:WORD_0
	s_movk_i32 s0, 0x7fff
	s_mov_b64 s[28:29], -1
	v_bfe_u32 v3, v2, 16, 1
	v_add3_u32 v2, v2, v3, s0
	global_store_short_d16_hi v[0:1], v2, off
	s_mov_b64 s[0:1], 0
.LBB432_712:
	s_mov_b64 s[30:31], 0
.LBB432_713:
	s_and_b64 vcc, exec, s[30:31]
	s_cbranch_vccz .LBB432_716
; %bb.714:
	s_cmp_eq_u32 s37, 11
	s_mov_b64 s[0:1], -1
	s_cbranch_scc0 .LBB432_716
; %bb.715:
	v_cmp_ne_u16_e32 vcc, 0, v4
	s_mov_b64 s[28:29], -1
	s_mov_b64 s[0:1], 0
	v_cndmask_b32_e64 v2, 0, 1, vcc
	global_store_byte v[0:1], v2, off
.LBB432_716:
	s_mov_b64 s[30:31], 0
.LBB432_717:
	s_and_b64 vcc, exec, s[30:31]
	s_cbranch_vccz .LBB432_756
; %bb.718:
	s_and_b32 s30, 0xffff, s36
	s_cmp_lt_i32 s30, 5
	s_mov_b64 s[28:29], -1
	s_cbranch_scc1 .LBB432_739
; %bb.719:
	s_cmp_lt_i32 s30, 8
	s_cbranch_scc1 .LBB432_729
; %bb.720:
	s_cmp_lt_i32 s30, 9
	s_cbranch_scc1 .LBB432_726
; %bb.721:
	s_cmp_gt_i32 s30, 9
	s_cbranch_scc0 .LBB432_723
; %bb.722:
	v_bfe_i32 v2, v4, 0, 16
	v_mov_b32_e32 v8, 0
	v_cvt_f64_i32_e32 v[6:7], v2
	v_mov_b32_e32 v9, v8
	s_mov_b64 s[28:29], 0
	global_store_dwordx4 v[0:1], v[6:9], off
.LBB432_723:
	s_andn2_b64 vcc, exec, s[28:29]
	s_cbranch_vccnz .LBB432_725
; %bb.724:
	v_cvt_f32_i32_sdwa v2, sext(v4) dst_sel:DWORD dst_unused:UNUSED_PAD src0_sel:WORD_0
	v_mov_b32_e32 v3, 0
	global_store_dwordx2 v[0:1], v[2:3], off
.LBB432_725:
	s_mov_b64 s[28:29], 0
.LBB432_726:
	s_andn2_b64 vcc, exec, s[28:29]
	s_cbranch_vccnz .LBB432_728
; %bb.727:
	v_cvt_f16_i16_e32 v2, v4
	global_store_dword v[0:1], v2, off
.LBB432_728:
	s_mov_b64 s[28:29], 0
.LBB432_729:
	s_andn2_b64 vcc, exec, s[28:29]
	s_cbranch_vccnz .LBB432_738
; %bb.730:
	s_cmp_lt_i32 s30, 6
	s_mov_b64 s[28:29], -1
	s_cbranch_scc1 .LBB432_736
; %bb.731:
	s_cmp_gt_i32 s30, 6
	s_cbranch_scc0 .LBB432_733
; %bb.732:
	v_bfe_i32 v2, v4, 0, 16
	v_cvt_f64_i32_e32 v[2:3], v2
	s_mov_b64 s[28:29], 0
	global_store_dwordx2 v[0:1], v[2:3], off
.LBB432_733:
	s_andn2_b64 vcc, exec, s[28:29]
	s_cbranch_vccnz .LBB432_735
; %bb.734:
	v_cvt_f32_i32_sdwa v2, sext(v4) dst_sel:DWORD dst_unused:UNUSED_PAD src0_sel:WORD_0
	global_store_dword v[0:1], v2, off
.LBB432_735:
	s_mov_b64 s[28:29], 0
.LBB432_736:
	s_andn2_b64 vcc, exec, s[28:29]
	s_cbranch_vccnz .LBB432_738
; %bb.737:
	v_cvt_f16_i16_e32 v2, v4
	global_store_short v[0:1], v2, off
.LBB432_738:
	s_mov_b64 s[28:29], 0
.LBB432_739:
	s_andn2_b64 vcc, exec, s[28:29]
	s_cbranch_vccnz .LBB432_755
; %bb.740:
	s_cmp_lt_i32 s30, 2
	s_mov_b64 s[28:29], -1
	s_cbranch_scc1 .LBB432_750
; %bb.741:
	s_cmp_lt_i32 s30, 3
	s_cbranch_scc1 .LBB432_747
; %bb.742:
	s_cmp_gt_i32 s30, 3
	v_bfe_i32 v2, v4, 0, 16
	s_cbranch_scc0 .LBB432_744
; %bb.743:
	v_ashrrev_i32_e32 v3, 31, v2
	s_mov_b64 s[28:29], 0
	global_store_dwordx2 v[0:1], v[2:3], off
.LBB432_744:
	s_andn2_b64 vcc, exec, s[28:29]
	s_cbranch_vccnz .LBB432_746
; %bb.745:
	global_store_dword v[0:1], v2, off
.LBB432_746:
	s_mov_b64 s[28:29], 0
.LBB432_747:
	s_andn2_b64 vcc, exec, s[28:29]
	s_cbranch_vccnz .LBB432_749
; %bb.748:
	global_store_short v[0:1], v4, off
.LBB432_749:
	s_mov_b64 s[28:29], 0
.LBB432_750:
	s_andn2_b64 vcc, exec, s[28:29]
	s_cbranch_vccnz .LBB432_755
; %bb.751:
	s_cmp_gt_i32 s30, 0
	s_mov_b64 s[28:29], -1
	s_cbranch_scc0 .LBB432_753
; %bb.752:
	s_mov_b64 s[28:29], 0
	global_store_byte v[0:1], v4, off
.LBB432_753:
	s_andn2_b64 vcc, exec, s[28:29]
	s_cbranch_vccnz .LBB432_755
; %bb.754:
	global_store_byte v[0:1], v4, off
.LBB432_755:
	s_mov_b64 s[28:29], -1
.LBB432_756:
	s_andn2_b64 vcc, exec, s[28:29]
	s_cbranch_vccnz .LBB432_758
; %bb.757:
	v_add_u32_e32 v10, 0x80, v10
	s_mov_b64 s[30:31], -1
	s_branch .LBB432_759
.LBB432_758:
	s_mov_b64 s[30:31], 0
                                        ; implicit-def: $vgpr10
.LBB432_759:
	s_andn2_b64 s[28:29], s[20:21], exec
	s_and_b64 s[0:1], s[0:1], exec
	s_or_b64 s[28:29], s[28:29], s[0:1]
	s_andn2_b64 s[0:1], s[18:19], exec
	s_and_b64 s[26:27], s[26:27], exec
	s_or_b64 s[0:1], s[0:1], s[26:27]
	s_orn2_b64 s[34:35], s[30:31], exec
.LBB432_760:
	s_or_b64 exec, exec, s[24:25]
	s_mov_b64 s[30:31], 0
	s_mov_b64 s[26:27], 0
	;; [unrolled: 1-line block ×3, first 2 shown]
                                        ; implicit-def: $sgpr44
                                        ; implicit-def: $vgpr0_vgpr1
                                        ; implicit-def: $vgpr2
	s_and_saveexec_b64 s[24:25], s[34:35]
	s_cbranch_execz .LBB432_841
; %bb.761:
	v_cmp_gt_i32_e32 vcc, s38, v10
	s_mov_b64 s[34:35], 0
	s_mov_b64 s[38:39], s[0:1]
	;; [unrolled: 1-line block ×3, first 2 shown]
                                        ; implicit-def: $sgpr44
                                        ; implicit-def: $vgpr0_vgpr1
                                        ; implicit-def: $vgpr2
	s_and_saveexec_b64 s[26:27], vcc
	s_cbranch_execz .LBB432_840
; %bb.762:
	v_mul_lo_u32 v0, v10, s9
	v_ashrrev_i32_e32 v1, 31, v0
	s_and_b32 s44, s43, 0xff
	s_cmp_lt_i32 s44, 11
	v_lshl_add_u64 v[0:1], s[6:7], 0, v[0:1]
	s_cbranch_scc1 .LBB432_769
; %bb.763:
	s_and_b32 s40, 0xffff, s44
	s_cmp_gt_i32 s40, 25
	s_cbranch_scc0 .LBB432_770
; %bb.764:
	s_cmp_gt_i32 s40, 28
	s_cbranch_scc0 .LBB432_771
; %bb.765:
	;; [unrolled: 3-line block ×4, first 2 shown]
	s_cmp_eq_u32 s40, 46
	s_mov_b64 s[38:39], 0
	s_cbranch_scc0 .LBB432_778
; %bb.768:
	global_load_dword v2, v[0:1], off
	s_mov_b64 s[36:37], -1
	s_waitcnt vmcnt(0)
	v_lshlrev_b32_e32 v2, 16, v2
	v_cvt_i32_f32_e32 v2, v2
	s_branch .LBB432_780
.LBB432_769:
	s_mov_b64 s[38:39], -1
                                        ; implicit-def: $vgpr2
	s_mov_b64 s[30:31], s[0:1]
	s_branch .LBB432_839
.LBB432_770:
	s_mov_b64 s[38:39], -1
	s_mov_b64 s[30:31], s[0:1]
                                        ; implicit-def: $vgpr2
	s_branch .LBB432_807
.LBB432_771:
	s_mov_b64 s[38:39], -1
	s_mov_b64 s[30:31], s[0:1]
                                        ; implicit-def: $vgpr2
	s_branch .LBB432_790
.LBB432_772:
	s_mov_b64 s[38:39], -1
	s_mov_b64 s[30:31], s[0:1]
                                        ; implicit-def: $vgpr2
	s_branch .LBB432_785
.LBB432_773:
	s_andn2_saveexec_b64 s[34:35], s[34:35]
	s_cbranch_execz .LBB432_669
.LBB432_774:
	s_mov_b32 s39, 0x46000000
	v_add_f32_e64 v3, |v2|, s39
	v_and_b32_e32 v3, 0xff, v3
	v_cmp_ne_u32_e32 vcc, 0, v3
	s_andn2_b64 s[30:31], s[30:31], exec
	s_and_b64 s[40:41], vcc, exec
	s_or_b64 s[30:31], s[30:31], s[40:41]
	s_or_b64 exec, exec, s[34:35]
	v_mov_b32_e32 v5, 0
	s_and_saveexec_b64 s[34:35], s[30:31]
	s_cbranch_execnz .LBB432_670
	s_branch .LBB432_671
.LBB432_775:
	s_mov_b64 s[38:39], -1
	s_mov_b64 s[30:31], s[0:1]
	s_branch .LBB432_779
.LBB432_776:
	s_andn2_saveexec_b64 s[34:35], s[34:35]
	s_cbranch_execz .LBB432_682
.LBB432_777:
	s_mov_b32 s39, 0x42800000
	v_add_f32_e64 v3, |v2|, s39
	v_and_b32_e32 v3, 0xff, v3
	v_cmp_ne_u32_e32 vcc, 0, v3
	s_andn2_b64 s[30:31], s[30:31], exec
	s_and_b64 s[40:41], vcc, exec
	s_or_b64 s[30:31], s[30:31], s[40:41]
	s_or_b64 exec, exec, s[34:35]
	v_mov_b32_e32 v5, 0
	s_and_saveexec_b64 s[34:35], s[30:31]
	s_cbranch_execnz .LBB432_683
	s_branch .LBB432_684
.LBB432_778:
	s_mov_b64 s[30:31], -1
.LBB432_779:
                                        ; implicit-def: $vgpr2
.LBB432_780:
	s_and_b64 vcc, exec, s[38:39]
	s_cbranch_vccz .LBB432_784
; %bb.781:
	s_cmp_eq_u32 s40, 44
	s_cbranch_scc0 .LBB432_783
; %bb.782:
	global_load_ubyte v2, v[0:1], off
	s_mov_b64 s[30:31], 0
	s_mov_b64 s[36:37], -1
	s_waitcnt vmcnt(0)
	v_lshlrev_b32_e32 v3, 23, v2
	v_cvt_i32_f32_e32 v3, v3
	v_cmp_ne_u32_e32 vcc, 0, v2
	s_nop 1
	v_cndmask_b32_e32 v2, 0, v3, vcc
	s_branch .LBB432_784
.LBB432_783:
	s_mov_b64 s[30:31], -1
                                        ; implicit-def: $vgpr2
.LBB432_784:
	s_mov_b64 s[38:39], 0
.LBB432_785:
	s_and_b64 vcc, exec, s[38:39]
	s_cbranch_vccz .LBB432_789
; %bb.786:
	s_cmp_eq_u32 s40, 29
	s_cbranch_scc0 .LBB432_788
; %bb.787:
	global_load_dwordx2 v[2:3], v[0:1], off
	s_mov_b64 s[30:31], 0
	s_mov_b64 s[36:37], -1
	s_branch .LBB432_789
.LBB432_788:
	s_mov_b64 s[30:31], -1
                                        ; implicit-def: $vgpr2
.LBB432_789:
	s_mov_b64 s[38:39], 0
.LBB432_790:
	s_and_b64 vcc, exec, s[38:39]
	s_cbranch_vccz .LBB432_806
; %bb.791:
	s_cmp_lt_i32 s40, 27
	s_cbranch_scc1 .LBB432_794
; %bb.792:
	s_cmp_gt_i32 s40, 27
	s_cbranch_scc0 .LBB432_795
; %bb.793:
	global_load_dword v2, v[0:1], off
	s_mov_b64 s[36:37], 0
	s_branch .LBB432_796
.LBB432_794:
	s_mov_b64 s[36:37], -1
                                        ; implicit-def: $vgpr2
	s_branch .LBB432_799
.LBB432_795:
	s_mov_b64 s[36:37], -1
                                        ; implicit-def: $vgpr2
.LBB432_796:
	s_andn2_b64 vcc, exec, s[36:37]
	s_cbranch_vccnz .LBB432_798
; %bb.797:
	global_load_ushort v2, v[0:1], off
.LBB432_798:
	s_mov_b64 s[36:37], 0
.LBB432_799:
	s_andn2_b64 vcc, exec, s[36:37]
	s_cbranch_vccnz .LBB432_805
; %bb.800:
	global_load_ubyte v3, v[0:1], off
	s_movk_i32 s36, 0x7f
	s_mov_b64 s[38:39], 0
	s_waitcnt vmcnt(0)
	v_cmp_lt_i16_e32 vcc, s36, v3
	s_and_saveexec_b64 s[36:37], vcc
	s_xor_b64 s[36:37], exec, s[36:37]
	s_cbranch_execz .LBB432_817
; %bb.801:
	s_movk_i32 s38, 0x80
	v_cmp_ne_u16_e32 vcc, s38, v3
	s_and_b64 s[38:39], vcc, exec
	s_andn2_saveexec_b64 s[36:37], s[36:37]
	s_cbranch_execnz .LBB432_818
.LBB432_802:
	s_or_b64 exec, exec, s[36:37]
	v_mov_b32_e32 v2, 0
	s_and_saveexec_b64 s[36:37], s[38:39]
	s_cbranch_execz .LBB432_804
.LBB432_803:
	v_lshlrev_b32_e32 v2, 24, v3
	v_and_b32_e32 v3, 0xffff, v3
	v_and_b32_e32 v4, 7, v3
	v_ffbh_u32_e32 v6, v4
	v_min_u32_e32 v6, 32, v6
	v_subrev_u32_e32 v7, 28, v6
	v_bfe_u32 v5, v3, 3, 4
	v_lshlrev_b32_e32 v3, v7, v3
	v_sub_u32_e32 v6, 29, v6
	v_and_b32_e32 v3, 7, v3
	v_cmp_eq_u32_e32 vcc, 0, v5
	v_and_b32_e32 v2, 0x80000000, v2
	s_nop 0
	v_cndmask_b32_e32 v5, v5, v6, vcc
	v_cndmask_b32_e32 v3, v4, v3, vcc
	v_mov_b32_e32 v4, 0x3b800000
	v_lshlrev_b32_e32 v3, 20, v3
	v_lshl_add_u32 v4, v5, 23, v4
	v_or3_b32 v2, v2, v4, v3
	v_cvt_i32_f32_e32 v2, v2
.LBB432_804:
	s_or_b64 exec, exec, s[36:37]
.LBB432_805:
	s_mov_b64 s[36:37], -1
.LBB432_806:
	s_mov_b64 s[38:39], 0
.LBB432_807:
	s_and_b64 vcc, exec, s[38:39]
	s_cbranch_vccz .LBB432_838
; %bb.808:
	s_cmp_gt_i32 s40, 22
	s_cbranch_scc0 .LBB432_816
; %bb.809:
	s_cmp_lt_i32 s40, 24
	s_cbranch_scc1 .LBB432_819
; %bb.810:
	s_cmp_gt_i32 s40, 24
	s_cbranch_scc0 .LBB432_820
; %bb.811:
	global_load_ubyte v3, v[0:1], off
	s_movk_i32 s34, 0x7f
	s_mov_b64 s[36:37], 0
	s_waitcnt vmcnt(0)
	v_cmp_lt_i16_e32 vcc, s34, v3
	s_and_saveexec_b64 s[34:35], vcc
	s_xor_b64 s[34:35], exec, s[34:35]
	s_cbranch_execz .LBB432_832
; %bb.812:
	s_movk_i32 s36, 0x80
	v_cmp_ne_u16_e32 vcc, s36, v3
	s_and_b64 s[36:37], vcc, exec
	s_andn2_saveexec_b64 s[34:35], s[34:35]
	s_cbranch_execnz .LBB432_833
.LBB432_813:
	s_or_b64 exec, exec, s[34:35]
	v_mov_b32_e32 v2, 0
	s_and_saveexec_b64 s[34:35], s[36:37]
	s_cbranch_execz .LBB432_815
.LBB432_814:
	v_lshlrev_b32_e32 v2, 24, v3
	v_and_b32_e32 v3, 0xffff, v3
	v_and_b32_e32 v4, 3, v3
	v_ffbh_u32_e32 v6, v4
	v_min_u32_e32 v6, 32, v6
	v_subrev_u32_e32 v7, 29, v6
	v_bfe_u32 v5, v3, 2, 5
	v_lshlrev_b32_e32 v3, v7, v3
	v_sub_u32_e32 v6, 30, v6
	v_and_b32_e32 v3, 3, v3
	v_cmp_eq_u32_e32 vcc, 0, v5
	v_and_b32_e32 v2, 0x80000000, v2
	s_nop 0
	v_cndmask_b32_e32 v5, v5, v6, vcc
	v_cndmask_b32_e32 v3, v4, v3, vcc
	v_mov_b32_e32 v4, 0x37800000
	v_lshlrev_b32_e32 v3, 21, v3
	v_lshl_add_u32 v4, v5, 23, v4
	v_or3_b32 v2, v2, v4, v3
	v_cvt_i32_f32_e32 v2, v2
.LBB432_815:
	s_or_b64 exec, exec, s[34:35]
	s_mov_b64 s[34:35], 0
	s_branch .LBB432_821
.LBB432_816:
	s_mov_b64 s[34:35], -1
                                        ; implicit-def: $vgpr2
	s_branch .LBB432_827
.LBB432_817:
	s_andn2_saveexec_b64 s[36:37], s[36:37]
	s_cbranch_execz .LBB432_802
.LBB432_818:
	v_cmp_ne_u16_e32 vcc, 0, v3
	s_andn2_b64 s[38:39], s[38:39], exec
	s_and_b64 s[46:47], vcc, exec
	s_or_b64 s[38:39], s[38:39], s[46:47]
	s_or_b64 exec, exec, s[36:37]
	v_mov_b32_e32 v2, 0
	s_and_saveexec_b64 s[36:37], s[38:39]
	s_cbranch_execnz .LBB432_803
	s_branch .LBB432_804
.LBB432_819:
	s_mov_b64 s[34:35], -1
                                        ; implicit-def: $vgpr2
	s_branch .LBB432_824
.LBB432_820:
	s_mov_b64 s[34:35], -1
                                        ; implicit-def: $vgpr2
.LBB432_821:
	s_and_b64 vcc, exec, s[34:35]
	s_cbranch_vccz .LBB432_823
; %bb.822:
	global_load_ubyte v2, v[0:1], off
	s_mov_b32 s34, 0x7f800000
	s_waitcnt vmcnt(0)
	v_lshlrev_b32_e32 v2, 24, v2
	v_and_b32_e32 v3, 0x7f000000, v2
	v_ffbh_u32_e32 v4, v3
	v_min_u32_e32 v4, 32, v4
	v_sub_u32_e64 v4, v4, 4 clamp
	v_lshlrev_b32_e32 v6, v4, v3
	v_lshlrev_b32_e32 v4, 23, v4
	v_lshrrev_b32_e32 v6, 4, v6
	v_add_u32_e32 v5, 0x1000000, v3
	v_sub_u32_e32 v4, v6, v4
	v_ashrrev_i32_e32 v5, 8, v5
	v_add_u32_e32 v4, 0x3c000000, v4
	v_and_or_b32 v4, v5, s34, v4
	v_cmp_ne_u32_e32 vcc, 0, v3
	s_brev_b32 s34, 1
	s_nop 0
	v_cndmask_b32_e32 v3, 0, v4, vcc
	v_and_or_b32 v2, v2, s34, v3
	v_cvt_i32_f32_e32 v2, v2
.LBB432_823:
	s_mov_b64 s[34:35], 0
.LBB432_824:
	s_andn2_b64 vcc, exec, s[34:35]
	s_cbranch_vccnz .LBB432_826
; %bb.825:
	global_load_ubyte v2, v[0:1], off
	s_movk_i32 s34, 0x7f00
	s_brev_b32 s35, 16
	s_waitcnt vmcnt(0)
	v_lshlrev_b16_e32 v3, 8, v2
	v_lshlrev_b32_e32 v2, 25, v2
	v_lshrrev_b32_e32 v4, 4, v2
	v_and_or_b32 v5, v3, s34, 0.5
	v_or_b32_e32 v4, 0x70000000, v4
	v_add_f32_e32 v5, -0.5, v5
	v_mul_f32_e32 v4, 0x7800000, v4
	v_cmp_gt_u32_e32 vcc, s35, v2
	v_bfe_i32 v3, v3, 0, 16
	s_brev_b32 s34, 1
	v_cndmask_b32_e32 v2, v4, v5, vcc
	v_and_or_b32 v2, v3, s34, v2
	v_cvt_i32_f32_e32 v2, v2
.LBB432_826:
	s_mov_b64 s[34:35], 0
	s_mov_b64 s[36:37], -1
.LBB432_827:
	s_andn2_b64 vcc, exec, s[34:35]
	s_mov_b64 s[34:35], 0
	s_cbranch_vccnz .LBB432_838
; %bb.828:
	s_cmp_gt_i32 s40, 14
	s_cbranch_scc0 .LBB432_831
; %bb.829:
	s_cmp_eq_u32 s40, 15
	s_cbranch_scc0 .LBB432_834
; %bb.830:
	global_load_ushort v2, v[0:1], off
	s_mov_b64 s[30:31], 0
	s_mov_b64 s[36:37], -1
	s_waitcnt vmcnt(0)
	v_lshlrev_b32_e32 v2, 16, v2
	v_cvt_i32_f32_e32 v2, v2
	s_branch .LBB432_835
.LBB432_831:
	s_mov_b64 s[38:39], -1
                                        ; implicit-def: $vgpr2
	s_branch .LBB432_836
.LBB432_832:
	s_andn2_saveexec_b64 s[34:35], s[34:35]
	s_cbranch_execz .LBB432_813
.LBB432_833:
	v_cmp_ne_u16_e32 vcc, 0, v3
	s_andn2_b64 s[36:37], s[36:37], exec
	s_and_b64 s[38:39], vcc, exec
	s_or_b64 s[36:37], s[36:37], s[38:39]
	s_or_b64 exec, exec, s[34:35]
	v_mov_b32_e32 v2, 0
	s_and_saveexec_b64 s[34:35], s[36:37]
	s_cbranch_execnz .LBB432_814
	s_branch .LBB432_815
.LBB432_834:
	s_mov_b64 s[30:31], -1
                                        ; implicit-def: $vgpr2
.LBB432_835:
	s_mov_b64 s[38:39], 0
.LBB432_836:
	s_and_b64 vcc, exec, s[38:39]
	s_cbranch_vccz .LBB432_838
; %bb.837:
	s_cmp_lg_u32 s40, 11
	s_cselect_b64 s[38:39], -1, 0
	s_andn2_b64 s[30:31], s[30:31], exec
	s_and_b64 s[38:39], s[38:39], exec
	s_mov_b64 s[34:35], -1
	s_or_b64 s[30:31], s[30:31], s[38:39]
.LBB432_838:
	s_mov_b64 s[38:39], 0
.LBB432_839:
	s_and_b64 s[40:41], s[38:39], exec
	s_andn2_b64 s[38:39], s[0:1], exec
	s_and_b64 s[30:31], s[30:31], exec
	s_and_b64 s[36:37], s[36:37], exec
	s_and_b64 s[34:35], s[34:35], exec
	s_or_b64 s[38:39], s[38:39], s[30:31]
.LBB432_840:
	s_or_b64 exec, exec, s[26:27]
	s_and_b64 s[30:31], s[34:35], exec
	s_andn2_b64 s[0:1], s[0:1], exec
	s_and_b64 s[34:35], s[38:39], exec
	s_and_b64 s[36:37], s[36:37], exec
	;; [unrolled: 1-line block ×3, first 2 shown]
	s_or_b64 s[0:1], s[0:1], s[34:35]
.LBB432_841:
	s_or_b64 exec, exec, s[24:25]
	s_andn2_b64 s[20:21], s[20:21], exec
	s_and_b64 s[24:25], s[28:29], exec
	s_andn2_b64 s[18:19], s[18:19], exec
	s_and_b64 s[0:1], s[0:1], exec
	s_or_b64 s[20:21], s[20:21], s[24:25]
	s_and_b64 s[28:29], s[36:37], exec
	s_and_b64 s[26:27], s[26:27], exec
	;; [unrolled: 1-line block ×3, first 2 shown]
	s_or_b64 s[18:19], s[18:19], s[0:1]
.LBB432_842:
	s_or_b64 exec, exec, s[22:23]
	s_andn2_b64 s[0:1], s[12:13], exec
	s_and_b64 s[12:13], s[20:21], exec
	s_andn2_b64 s[14:15], s[14:15], exec
	s_and_b64 s[18:19], s[18:19], exec
	s_or_b64 s[12:13], s[0:1], s[12:13]
	s_and_b64 s[0:1], s[28:29], exec
	s_and_b64 s[22:23], s[26:27], exec
	;; [unrolled: 1-line block ×3, first 2 shown]
	s_or_b64 s[14:15], s[14:15], s[18:19]
	s_or_b64 exec, exec, s[16:17]
	s_mov_b64 s[16:17], 0
	s_and_saveexec_b64 s[18:19], s[14:15]
	s_cbranch_execz .LBB432_258
.LBB432_843:
	s_mov_b64 s[16:17], exec
	s_andn2_b64 s[20:21], s[20:21], exec
	s_trap 2
	s_or_b64 exec, exec, s[18:19]
	s_and_saveexec_b64 s[14:15], s[20:21]
	s_xor_b64 s[14:15], exec, s[14:15]
	s_cbranch_execnz .LBB432_259
.LBB432_844:
	s_or_b64 exec, exec, s[14:15]
	s_and_saveexec_b64 s[14:15], s[22:23]
	s_cbranch_execz .LBB432_890
.LBB432_845:
	s_sext_i32_i16 s18, s44
	s_cmp_lt_i32 s18, 5
	s_cbranch_scc1 .LBB432_850
; %bb.846:
	s_cmp_lt_i32 s18, 8
	s_cbranch_scc1 .LBB432_851
; %bb.847:
	;; [unrolled: 3-line block ×3, first 2 shown]
	s_cmp_gt_i32 s18, 9
	s_cbranch_scc0 .LBB432_853
; %bb.849:
	global_load_dwordx2 v[2:3], v[0:1], off
	s_mov_b64 s[18:19], 0
	s_waitcnt vmcnt(0)
	v_cvt_i32_f64_e32 v2, v[2:3]
	s_branch .LBB432_854
.LBB432_850:
                                        ; implicit-def: $vgpr2
	s_branch .LBB432_871
.LBB432_851:
                                        ; implicit-def: $vgpr2
	s_branch .LBB432_860
.LBB432_852:
	s_mov_b64 s[18:19], -1
                                        ; implicit-def: $vgpr2
	s_branch .LBB432_857
.LBB432_853:
	s_mov_b64 s[18:19], -1
                                        ; implicit-def: $vgpr2
.LBB432_854:
	s_andn2_b64 vcc, exec, s[18:19]
	s_cbranch_vccnz .LBB432_856
; %bb.855:
	global_load_dword v2, v[0:1], off
	s_waitcnt vmcnt(0)
	v_cvt_i32_f32_e32 v2, v2
.LBB432_856:
	s_mov_b64 s[18:19], 0
.LBB432_857:
	s_andn2_b64 vcc, exec, s[18:19]
	s_cbranch_vccnz .LBB432_859
; %bb.858:
	global_load_dword v2, v[0:1], off
	s_waitcnt vmcnt(0)
	v_cvt_i16_f16_e32 v2, v2
.LBB432_859:
	s_cbranch_execnz .LBB432_870
.LBB432_860:
	s_sext_i32_i16 s18, s44
	s_cmp_lt_i32 s18, 6
	s_cbranch_scc1 .LBB432_863
; %bb.861:
	s_cmp_gt_i32 s18, 6
	s_cbranch_scc0 .LBB432_864
; %bb.862:
	global_load_dwordx2 v[2:3], v[0:1], off
	s_mov_b64 s[18:19], 0
	s_waitcnt vmcnt(0)
	v_cvt_i32_f64_e32 v2, v[2:3]
	s_branch .LBB432_865
.LBB432_863:
	s_mov_b64 s[18:19], -1
                                        ; implicit-def: $vgpr2
	s_branch .LBB432_868
.LBB432_864:
	s_mov_b64 s[18:19], -1
                                        ; implicit-def: $vgpr2
.LBB432_865:
	s_andn2_b64 vcc, exec, s[18:19]
	s_cbranch_vccnz .LBB432_867
; %bb.866:
	global_load_dword v2, v[0:1], off
	s_waitcnt vmcnt(0)
	v_cvt_i32_f32_e32 v2, v2
.LBB432_867:
	s_mov_b64 s[18:19], 0
.LBB432_868:
	s_andn2_b64 vcc, exec, s[18:19]
	s_cbranch_vccnz .LBB432_870
; %bb.869:
	global_load_ushort v2, v[0:1], off
	s_waitcnt vmcnt(0)
	v_cvt_i16_f16_e32 v2, v2
.LBB432_870:
	s_cbranch_execnz .LBB432_889
.LBB432_871:
	s_sext_i32_i16 s18, s44
	s_cmp_lt_i32 s18, 2
	s_cbranch_scc1 .LBB432_875
; %bb.872:
	s_cmp_lt_i32 s18, 3
	s_cbranch_scc1 .LBB432_876
; %bb.873:
	s_cmp_gt_i32 s18, 3
	s_cbranch_scc0 .LBB432_877
; %bb.874:
	global_load_dwordx2 v[2:3], v[0:1], off
	s_mov_b64 s[18:19], 0
	s_branch .LBB432_878
.LBB432_875:
                                        ; implicit-def: $vgpr2
	s_branch .LBB432_884
.LBB432_876:
	s_mov_b64 s[18:19], -1
                                        ; implicit-def: $vgpr2
	s_branch .LBB432_881
.LBB432_877:
	s_mov_b64 s[18:19], -1
                                        ; implicit-def: $vgpr2
.LBB432_878:
	s_andn2_b64 vcc, exec, s[18:19]
	s_cbranch_vccnz .LBB432_880
; %bb.879:
	global_load_dword v2, v[0:1], off
.LBB432_880:
	s_mov_b64 s[18:19], 0
.LBB432_881:
	s_andn2_b64 vcc, exec, s[18:19]
	s_cbranch_vccnz .LBB432_883
; %bb.882:
	global_load_ushort v2, v[0:1], off
.LBB432_883:
	s_cbranch_execnz .LBB432_889
.LBB432_884:
	s_sext_i32_i16 s18, s44
	s_cmp_gt_i32 s18, 0
	s_cbranch_scc0 .LBB432_886
; %bb.885:
	global_load_ubyte v2, v[0:1], off
	s_mov_b64 s[18:19], 0
	s_branch .LBB432_887
.LBB432_886:
	s_mov_b64 s[18:19], -1
                                        ; implicit-def: $vgpr2
.LBB432_887:
	s_andn2_b64 vcc, exec, s[18:19]
	s_cbranch_vccnz .LBB432_889
; %bb.888:
	global_load_ubyte v2, v[0:1], off
.LBB432_889:
	s_or_b64 s[0:1], s[0:1], exec
.LBB432_890:
	s_or_b64 exec, exec, s[14:15]
	s_mov_b64 s[20:21], 0
	s_mov_b64 s[18:19], 0
                                        ; implicit-def: $sgpr26
                                        ; implicit-def: $vgpr0_vgpr1
                                        ; implicit-def: $vgpr3
	s_and_saveexec_b64 s[14:15], s[0:1]
	s_cbranch_execz .LBB432_898
; %bb.891:
	v_mul_lo_u32 v0, v10, s8
	s_bfe_i32 s0, s33, 0x80000
	v_ashrrev_i32_e32 v1, 31, v0
	s_and_b32 s26, s42, 0xff
	s_waitcnt vmcnt(0)
	v_min_i16_sdwa v3, sext(v2), s0 dst_sel:DWORD dst_unused:UNUSED_PAD src0_sel:BYTE_0 src1_sel:DWORD
	s_cmp_lt_i32 s26, 11
	v_lshl_add_u64 v[0:1], s[4:5], 0, v[0:1]
	s_cbranch_scc1 .LBB432_901
; %bb.892:
	s_and_b32 s27, 0xffff, s26
	s_mov_b64 s[20:21], -1
	s_cmp_gt_i32 s27, 25
	s_mov_b64 s[0:1], s[12:13]
	s_cbranch_scc0 .LBB432_929
; %bb.893:
	s_mov_b64 s[18:19], -1
	s_cmp_gt_i32 s27, 28
	s_mov_b64 s[0:1], s[12:13]
	s_cbranch_scc0 .LBB432_913
; %bb.894:
	s_cmp_gt_i32 s27, 43
	s_mov_b64 s[0:1], s[12:13]
	s_cbranch_scc0 .LBB432_909
; %bb.895:
	;; [unrolled: 4-line block ×3, first 2 shown]
	s_cmp_eq_u32 s27, 46
	s_mov_b64 s[0:1], -1
	s_cbranch_scc0 .LBB432_902
; %bb.897:
	v_cvt_f32_i32_sdwa v2, sext(v3) dst_sel:DWORD dst_unused:UNUSED_PAD src0_sel:WORD_0
	s_movk_i32 s0, 0x7fff
	s_mov_b64 s[18:19], 0
	v_bfe_u32 v4, v2, 16, 1
	v_add3_u32 v2, v2, v4, s0
	v_lshrrev_b32_e32 v2, 16, v2
	global_store_dword v[0:1], v2, off
	s_mov_b64 s[0:1], 0
	s_branch .LBB432_903
.LBB432_898:
	s_or_b64 exec, exec, s[14:15]
	s_and_saveexec_b64 s[0:1], s[12:13]
	s_cbranch_execnz .LBB432_971
.LBB432_899:
	s_or_b64 exec, exec, s[0:1]
	s_and_saveexec_b64 s[0:1], s[20:21]
	s_xor_b64 s[0:1], exec, s[0:1]
	s_cbranch_execz .LBB432_972
.LBB432_900:
	s_waitcnt vmcnt(0)
	v_mov_b32_e32 v2, 0
	v_cmp_ne_u16_sdwa s[12:13], v3, v2 src0_sel:BYTE_0 src1_sel:DWORD
	s_nop 1
	v_cndmask_b32_e64 v2, 0, 1, s[12:13]
	global_store_byte v[0:1], v2, off
	s_or_b64 exec, exec, s[0:1]
	s_and_saveexec_b64 s[0:1], s[18:19]
	s_xor_b64 s[0:1], exec, s[0:1]
	s_cbranch_execz .LBB432_1010
	s_branch .LBB432_973
.LBB432_901:
	s_mov_b64 s[18:19], -1
	s_mov_b64 s[0:1], s[12:13]
	s_branch .LBB432_970
.LBB432_902:
	s_mov_b64 s[18:19], 0
.LBB432_903:
	s_and_b64 vcc, exec, s[18:19]
	s_cbranch_vccz .LBB432_908
; %bb.904:
	s_cmp_eq_u32 s27, 44
	s_mov_b64 s[0:1], -1
	s_cbranch_scc0 .LBB432_908
; %bb.905:
	v_cvt_f32_i32_sdwa v2, sext(v3) dst_sel:DWORD dst_unused:UNUSED_PAD src0_sel:WORD_0
	s_movk_i32 s0, 0xff
	v_mov_b32_e32 v5, 0xff
	v_bfe_u32 v4, v2, 23, 8
	v_cmp_ne_u32_e32 vcc, s0, v4
	s_and_saveexec_b64 s[18:19], vcc
; %bb.906:
	s_mov_b32 s0, 0x3fffff
	v_lshrrev_b32_e32 v5, 23, v2
	v_and_b32_e32 v6, 0x400000, v2
	v_and_or_b32 v2, v2, s0, v4
	v_cmp_ne_u32_e32 vcc, 0, v6
	v_cmp_ne_u32_e64 s[0:1], 0, v2
	s_and_b64 s[0:1], vcc, s[0:1]
	s_nop 0
	v_cndmask_b32_e64 v2, 0, 1, s[0:1]
	v_add_u32_e32 v5, v5, v2
; %bb.907:
	s_or_b64 exec, exec, s[18:19]
	s_mov_b64 s[0:1], 0
	global_store_byte v[0:1], v5, off
.LBB432_908:
	s_mov_b64 s[18:19], 0
.LBB432_909:
	s_and_b64 vcc, exec, s[18:19]
	s_cbranch_vccz .LBB432_912
; %bb.910:
	s_cmp_eq_u32 s27, 29
	s_mov_b64 s[0:1], -1
	s_cbranch_scc0 .LBB432_912
; %bb.911:
	v_bfe_i32 v4, v3, 0, 16
	v_ashrrev_i32_e32 v5, 31, v4
	global_store_dwordx2 v[0:1], v[4:5], off
	s_mov_b64 s[0:1], 0
.LBB432_912:
	s_mov_b64 s[18:19], 0
.LBB432_913:
	s_and_b64 vcc, exec, s[18:19]
	s_cbranch_vccz .LBB432_928
; %bb.914:
	s_cmp_lt_i32 s27, 27
	s_mov_b64 s[18:19], -1
	s_cbranch_scc1 .LBB432_920
; %bb.915:
	s_cmp_gt_i32 s27, 27
	s_cbranch_scc0 .LBB432_917
; %bb.916:
	v_bfe_i32 v2, v3, 0, 16
	s_mov_b64 s[18:19], 0
	global_store_dword v[0:1], v2, off
.LBB432_917:
	s_andn2_b64 vcc, exec, s[18:19]
	s_cbranch_vccnz .LBB432_919
; %bb.918:
	global_store_short v[0:1], v3, off
.LBB432_919:
	s_mov_b64 s[18:19], 0
.LBB432_920:
	s_andn2_b64 vcc, exec, s[18:19]
	s_cbranch_vccnz .LBB432_928
; %bb.921:
	v_cvt_f32_i32_sdwa v2, sext(v3) dst_sel:DWORD dst_unused:UNUSED_PAD src0_sel:WORD_0
	s_mov_b32 s18, 0x43800000
	v_mov_b32_e32 v5, 0x80
	v_and_b32_e32 v4, 0x7fffffff, v2
	v_cmp_gt_u32_e32 vcc, s18, v4
	s_and_saveexec_b64 s[18:19], vcc
	s_cbranch_execz .LBB432_927
; %bb.922:
	s_mov_b32 s20, 0x3bffffff
	v_cmp_lt_u32_e32 vcc, s20, v4
	s_mov_b64 s[20:21], 0
                                        ; implicit-def: $vgpr4
	s_and_saveexec_b64 s[22:23], vcc
	s_xor_b64 s[22:23], exec, s[22:23]
	s_cbranch_execz .LBB432_1025
; %bb.923:
	v_bfe_u32 v4, v2, 20, 1
	s_mov_b32 s24, 0x487ffff
	v_add3_u32 v4, v2, v4, s24
	s_mov_b64 s[20:21], exec
	v_lshrrev_b32_e32 v4, 20, v4
	s_andn2_saveexec_b64 s[22:23], s[22:23]
	s_cbranch_execnz .LBB432_1026
.LBB432_924:
	s_or_b64 exec, exec, s[22:23]
	v_mov_b32_e32 v5, 0
	s_and_saveexec_b64 s[22:23], s[20:21]
.LBB432_925:
	v_lshrrev_b32_e32 v2, 24, v2
	s_movk_i32 s20, 0x80
	v_and_or_b32 v5, v2, s20, v4
.LBB432_926:
	s_or_b64 exec, exec, s[22:23]
.LBB432_927:
	s_or_b64 exec, exec, s[18:19]
	global_store_byte v[0:1], v5, off
.LBB432_928:
	s_mov_b64 s[20:21], 0
.LBB432_929:
	s_mov_b64 s[18:19], 0
	s_and_b64 vcc, exec, s[20:21]
	s_cbranch_vccz .LBB432_969
; %bb.930:
	s_cmp_gt_i32 s27, 22
	s_mov_b64 s[20:21], -1
	s_cbranch_scc0 .LBB432_962
; %bb.931:
	s_cmp_lt_i32 s27, 24
	s_cbranch_scc1 .LBB432_951
; %bb.932:
	s_cmp_gt_i32 s27, 24
	s_cbranch_scc0 .LBB432_940
; %bb.933:
	v_cvt_f32_i32_sdwa v2, sext(v3) dst_sel:DWORD dst_unused:UNUSED_PAD src0_sel:WORD_0
	s_mov_b32 s20, 0x47800000
	v_mov_b32_e32 v5, 0x80
	v_and_b32_e32 v4, 0x7fffffff, v2
	v_cmp_gt_u32_e32 vcc, s20, v4
	s_and_saveexec_b64 s[20:21], vcc
	s_cbranch_execz .LBB432_939
; %bb.934:
	s_mov_b32 s22, 0x37ffffff
	v_cmp_lt_u32_e32 vcc, s22, v4
	s_mov_b64 s[22:23], 0
                                        ; implicit-def: $vgpr4
	s_and_saveexec_b64 s[24:25], vcc
	s_xor_b64 s[24:25], exec, s[24:25]
	s_cbranch_execz .LBB432_1145
; %bb.935:
	v_bfe_u32 v4, v2, 21, 1
	s_mov_b32 s28, 0x88fffff
	v_add3_u32 v4, v2, v4, s28
	s_mov_b64 s[22:23], exec
	v_lshrrev_b32_e32 v4, 21, v4
	s_andn2_saveexec_b64 s[24:25], s[24:25]
	s_cbranch_execnz .LBB432_1146
.LBB432_936:
	s_or_b64 exec, exec, s[24:25]
	v_mov_b32_e32 v5, 0
	s_and_saveexec_b64 s[24:25], s[22:23]
.LBB432_937:
	v_lshrrev_b32_e32 v2, 24, v2
	s_movk_i32 s22, 0x80
	v_and_or_b32 v5, v2, s22, v4
.LBB432_938:
	s_or_b64 exec, exec, s[24:25]
.LBB432_939:
	s_or_b64 exec, exec, s[20:21]
	s_mov_b64 s[20:21], 0
	global_store_byte v[0:1], v5, off
.LBB432_940:
	s_and_b64 vcc, exec, s[20:21]
	s_cbranch_vccz .LBB432_950
; %bb.941:
	v_cvt_f32_i32_sdwa v2, sext(v3) dst_sel:DWORD dst_unused:UNUSED_PAD src0_sel:WORD_0
	s_mov_b32 s20, 0x43f00000
                                        ; implicit-def: $vgpr4
	v_and_b32_e32 v5, 0x7fffffff, v2
	v_cmp_gt_u32_e32 vcc, s20, v5
	s_and_saveexec_b64 s[20:21], vcc
	s_xor_b64 s[20:21], exec, s[20:21]
	s_cbranch_execz .LBB432_947
; %bb.942:
	s_mov_b32 s22, 0x3c7fffff
	v_cmp_lt_u32_e32 vcc, s22, v5
                                        ; implicit-def: $vgpr4
	s_and_saveexec_b64 s[22:23], vcc
	s_xor_b64 s[22:23], exec, s[22:23]
; %bb.943:
	v_bfe_u32 v4, v2, 20, 1
	s_mov_b32 s24, 0x407ffff
	v_add3_u32 v4, v2, v4, s24
	v_lshrrev_b32_e32 v5, 20, v4
	v_and_b32_e32 v4, 0xff00000, v4
	s_mov_b32 s24, 0x7f00000
	v_mov_b32_e32 v6, 0x7e
	v_cmp_ne_u32_e32 vcc, s24, v4
	s_nop 1
	v_cndmask_b32_e32 v4, v6, v5, vcc
; %bb.944:
	s_andn2_saveexec_b64 s[22:23], s[22:23]
; %bb.945:
	s_mov_b32 s24, 0x46800000
	v_add_f32_e64 v4, |v2|, s24
; %bb.946:
	s_or_b64 exec, exec, s[22:23]
                                        ; implicit-def: $vgpr5
.LBB432_947:
	s_andn2_saveexec_b64 s[20:21], s[20:21]
; %bb.948:
	s_mov_b32 s22, 0x7f800000
	v_mov_b32_e32 v4, 0x7e
	v_mov_b32_e32 v6, 0x7f
	v_cmp_lt_u32_e32 vcc, s22, v5
	s_nop 1
	v_cndmask_b32_e32 v4, v4, v6, vcc
; %bb.949:
	s_or_b64 exec, exec, s[20:21]
	v_lshrrev_b32_e32 v2, 24, v2
	s_movk_i32 s20, 0x80
	v_and_or_b32 v2, v2, s20, v4
	global_store_byte v[0:1], v2, off
.LBB432_950:
	s_mov_b64 s[20:21], 0
.LBB432_951:
	s_andn2_b64 vcc, exec, s[20:21]
	s_cbranch_vccnz .LBB432_961
; %bb.952:
	v_cvt_f32_i32_sdwa v2, sext(v3) dst_sel:DWORD dst_unused:UNUSED_PAD src0_sel:WORD_0
	s_mov_b32 s20, 0x47800000
                                        ; implicit-def: $vgpr4
	v_and_b32_e32 v5, 0x7fffffff, v2
	v_cmp_gt_u32_e32 vcc, s20, v5
	s_and_saveexec_b64 s[20:21], vcc
	s_xor_b64 s[20:21], exec, s[20:21]
	s_cbranch_execz .LBB432_958
; %bb.953:
	s_mov_b32 s22, 0x387fffff
	v_cmp_lt_u32_e32 vcc, s22, v5
                                        ; implicit-def: $vgpr4
	s_and_saveexec_b64 s[22:23], vcc
	s_xor_b64 s[22:23], exec, s[22:23]
; %bb.954:
	v_bfe_u32 v4, v2, 21, 1
	s_mov_b32 s24, 0x80fffff
	v_add3_u32 v4, v2, v4, s24
	v_lshrrev_b32_e32 v4, 21, v4
; %bb.955:
	s_andn2_saveexec_b64 s[22:23], s[22:23]
; %bb.956:
	s_mov_b32 s24, 0x43000000
	v_add_f32_e64 v4, |v2|, s24
; %bb.957:
	s_or_b64 exec, exec, s[22:23]
                                        ; implicit-def: $vgpr5
.LBB432_958:
	s_andn2_saveexec_b64 s[20:21], s[20:21]
; %bb.959:
	s_mov_b32 s22, 0x7f800000
	v_mov_b32_e32 v4, 0x7c
	v_mov_b32_e32 v6, 0x7f
	v_cmp_lt_u32_e32 vcc, s22, v5
	s_nop 1
	v_cndmask_b32_e32 v4, v4, v6, vcc
; %bb.960:
	s_or_b64 exec, exec, s[20:21]
	v_lshrrev_b32_e32 v2, 24, v2
	s_movk_i32 s20, 0x80
	v_and_or_b32 v2, v2, s20, v4
	global_store_byte v[0:1], v2, off
.LBB432_961:
	s_mov_b64 s[20:21], 0
.LBB432_962:
	s_andn2_b64 vcc, exec, s[20:21]
	s_mov_b64 s[20:21], 0
	s_cbranch_vccnz .LBB432_970
; %bb.963:
	s_cmp_gt_i32 s27, 14
	s_mov_b64 s[22:23], -1
	s_cbranch_scc0 .LBB432_967
; %bb.964:
	s_cmp_eq_u32 s27, 15
	s_mov_b64 s[0:1], -1
	s_cbranch_scc0 .LBB432_966
; %bb.965:
	v_cvt_f32_i32_sdwa v2, sext(v3) dst_sel:DWORD dst_unused:UNUSED_PAD src0_sel:WORD_0
	s_movk_i32 s0, 0x7fff
	v_bfe_u32 v4, v2, 16, 1
	v_add3_u32 v2, v2, v4, s0
	global_store_short_d16_hi v[0:1], v2, off
	s_mov_b64 s[0:1], 0
.LBB432_966:
	s_mov_b64 s[22:23], 0
.LBB432_967:
	s_and_b64 vcc, exec, s[22:23]
	s_cbranch_vccz .LBB432_970
; %bb.968:
	s_cmp_lg_u32 s27, 11
	s_cselect_b64 s[22:23], -1, 0
	s_andn2_b64 s[0:1], s[0:1], exec
	s_and_b64 s[22:23], s[22:23], exec
	s_mov_b64 s[20:21], -1
	s_or_b64 s[0:1], s[0:1], s[22:23]
	s_branch .LBB432_970
.LBB432_969:
	s_mov_b64 s[20:21], 0
.LBB432_970:
	s_andn2_b64 s[12:13], s[12:13], exec
	s_and_b64 s[0:1], s[0:1], exec
	s_and_b64 s[18:19], s[18:19], exec
	;; [unrolled: 1-line block ×3, first 2 shown]
	s_or_b64 s[12:13], s[12:13], s[0:1]
	s_or_b64 exec, exec, s[14:15]
	s_and_saveexec_b64 s[0:1], s[12:13]
	s_cbranch_execz .LBB432_899
.LBB432_971:
	s_or_b64 s[16:17], s[16:17], exec
	s_andn2_b64 s[20:21], s[20:21], exec
	s_trap 2
	s_or_b64 exec, exec, s[0:1]
	s_and_saveexec_b64 s[0:1], s[20:21]
	s_xor_b64 s[0:1], exec, s[0:1]
	s_cbranch_execnz .LBB432_900
.LBB432_972:
	s_or_b64 exec, exec, s[0:1]
	s_and_saveexec_b64 s[0:1], s[18:19]
	s_xor_b64 s[0:1], exec, s[0:1]
	s_cbranch_execz .LBB432_1010
.LBB432_973:
	s_sext_i32_i16 s14, s26
	s_cmp_lt_i32 s14, 5
	s_mov_b64 s[12:13], -1
	s_cbranch_scc1 .LBB432_994
; %bb.974:
	s_cmp_lt_i32 s14, 8
	s_cbranch_scc1 .LBB432_984
; %bb.975:
	s_cmp_lt_i32 s14, 9
	s_cbranch_scc1 .LBB432_981
; %bb.976:
	s_cmp_gt_i32 s14, 9
	s_cbranch_scc0 .LBB432_978
; %bb.977:
	s_waitcnt vmcnt(0)
	v_bfe_i32 v2, v3, 0, 8
	v_bfe_i32 v2, v2, 0, 16
	v_mov_b32_e32 v6, 0
	v_cvt_f64_i32_e32 v[4:5], v2
	v_mov_b32_e32 v7, v6
	s_mov_b64 s[12:13], 0
	global_store_dwordx4 v[0:1], v[4:7], off
.LBB432_978:
	s_andn2_b64 vcc, exec, s[12:13]
	s_cbranch_vccnz .LBB432_980
; %bb.979:
	s_waitcnt vmcnt(0)
	v_bfe_i32 v2, v3, 0, 8
	v_cvt_f32_i32_sdwa v4, sext(v2) dst_sel:DWORD dst_unused:UNUSED_PAD src0_sel:WORD_0
	v_mov_b32_e32 v5, 0
	global_store_dwordx2 v[0:1], v[4:5], off
.LBB432_980:
	s_mov_b64 s[12:13], 0
.LBB432_981:
	s_andn2_b64 vcc, exec, s[12:13]
	s_cbranch_vccnz .LBB432_983
; %bb.982:
	s_waitcnt vmcnt(0)
	v_cvt_f16_i16_sdwa v2, sext(v3) dst_sel:DWORD dst_unused:UNUSED_PAD src0_sel:BYTE_0
	global_store_dword v[0:1], v2, off
.LBB432_983:
	s_mov_b64 s[12:13], 0
.LBB432_984:
	s_andn2_b64 vcc, exec, s[12:13]
	s_cbranch_vccnz .LBB432_993
; %bb.985:
	s_sext_i32_i16 s14, s26
	s_cmp_lt_i32 s14, 6
	s_mov_b64 s[12:13], -1
	s_cbranch_scc1 .LBB432_991
; %bb.986:
	s_cmp_gt_i32 s14, 6
	s_cbranch_scc0 .LBB432_988
; %bb.987:
	s_waitcnt vmcnt(0)
	v_bfe_i32 v2, v3, 0, 8
	v_bfe_i32 v2, v2, 0, 16
	v_cvt_f64_i32_e32 v[4:5], v2
	s_mov_b64 s[12:13], 0
	global_store_dwordx2 v[0:1], v[4:5], off
.LBB432_988:
	s_andn2_b64 vcc, exec, s[12:13]
	s_cbranch_vccnz .LBB432_990
; %bb.989:
	s_waitcnt vmcnt(0)
	v_bfe_i32 v2, v3, 0, 8
	v_cvt_f32_i32_sdwa v2, sext(v2) dst_sel:DWORD dst_unused:UNUSED_PAD src0_sel:WORD_0
	global_store_dword v[0:1], v2, off
.LBB432_990:
	s_mov_b64 s[12:13], 0
.LBB432_991:
	s_andn2_b64 vcc, exec, s[12:13]
	s_cbranch_vccnz .LBB432_993
; %bb.992:
	s_waitcnt vmcnt(0)
	v_cvt_f16_i16_sdwa v2, sext(v3) dst_sel:DWORD dst_unused:UNUSED_PAD src0_sel:BYTE_0
	global_store_short v[0:1], v2, off
.LBB432_993:
	s_mov_b64 s[12:13], 0
.LBB432_994:
	s_andn2_b64 vcc, exec, s[12:13]
	s_cbranch_vccnz .LBB432_1010
; %bb.995:
	s_sext_i32_i16 s14, s26
	s_cmp_lt_i32 s14, 2
	s_mov_b64 s[12:13], -1
	s_cbranch_scc1 .LBB432_1005
; %bb.996:
	s_cmp_lt_i32 s14, 3
	s_cbranch_scc1 .LBB432_1002
; %bb.997:
	s_cmp_gt_i32 s14, 3
	s_cbranch_scc0 .LBB432_999
; %bb.998:
	s_waitcnt vmcnt(0)
	v_bfe_i32 v4, v3, 0, 8
	v_ashrrev_i32_e32 v5, 31, v4
	s_mov_b64 s[12:13], 0
	global_store_dwordx2 v[0:1], v[4:5], off
.LBB432_999:
	s_andn2_b64 vcc, exec, s[12:13]
	s_cbranch_vccnz .LBB432_1001
; %bb.1000:
	s_waitcnt vmcnt(0)
	v_bfe_i32 v2, v3, 0, 8
	global_store_dword v[0:1], v2, off
.LBB432_1001:
	s_mov_b64 s[12:13], 0
.LBB432_1002:
	s_andn2_b64 vcc, exec, s[12:13]
	s_cbranch_vccnz .LBB432_1004
; %bb.1003:
	s_waitcnt vmcnt(0)
	v_bfe_i32 v2, v3, 0, 8
	global_store_short v[0:1], v2, off
.LBB432_1004:
	s_mov_b64 s[12:13], 0
.LBB432_1005:
	s_andn2_b64 vcc, exec, s[12:13]
	s_cbranch_vccnz .LBB432_1010
; %bb.1006:
	s_sext_i32_i16 s12, s26
	s_cmp_gt_i32 s12, 0
	s_mov_b64 s[12:13], -1
	s_cbranch_scc0 .LBB432_1008
; %bb.1007:
	s_mov_b64 s[12:13], 0
	s_waitcnt vmcnt(0)
	global_store_byte v[0:1], v3, off
.LBB432_1008:
	s_andn2_b64 vcc, exec, s[12:13]
	s_cbranch_vccnz .LBB432_1010
; %bb.1009:
	s_waitcnt vmcnt(0)
	global_store_byte v[0:1], v3, off
.LBB432_1010:
	s_or_b64 exec, exec, s[0:1]
	s_and_b64 s[12:13], s[16:17], exec
                                        ; implicit-def: $vgpr10
.LBB432_1011:
	s_or_saveexec_b64 s[10:11], s[10:11]
	s_mov_b64 s[0:1], 0
                                        ; implicit-def: $sgpr20
                                        ; implicit-def: $vgpr0_vgpr1
                                        ; implicit-def: $vgpr3
	s_xor_b64 exec, exec, s[10:11]
	s_cbranch_execz .LBB432_1942
; %bb.1012:
	v_mul_lo_u32 v0, s9, v10
	v_ashrrev_i32_e32 v1, 31, v0
	s_and_b32 s20, s43, 0xff
	s_cmp_lt_i32 s20, 11
	s_waitcnt vmcnt(0)
	v_lshl_add_u64 v[2:3], s[6:7], 0, v[0:1]
	s_cbranch_scc1 .LBB432_1019
; %bb.1013:
	s_and_b32 s18, 0xffff, s20
	s_cmp_gt_i32 s18, 25
	s_cbranch_scc0 .LBB432_1021
; %bb.1014:
	s_cmp_gt_i32 s18, 28
	s_cbranch_scc0 .LBB432_1022
; %bb.1015:
	;; [unrolled: 3-line block ×4, first 2 shown]
	s_cmp_eq_u32 s18, 46
	s_mov_b64 s[14:15], 0
	s_cbranch_scc0 .LBB432_1027
; %bb.1018:
	global_load_dword v1, v[2:3], off
	s_mov_b64 s[16:17], -1
	s_waitcnt vmcnt(0)
	v_lshlrev_b32_e32 v1, 16, v1
	v_cvt_i32_f32_e32 v6, v1
	s_branch .LBB432_1028
.LBB432_1019:
	s_mov_b64 s[16:17], 0
                                        ; implicit-def: $vgpr6
	s_mov_b64 s[14:15], s[12:13]
	s_cbranch_execnz .LBB432_1086
.LBB432_1020:
	s_andn2_b64 vcc, exec, s[16:17]
	s_cbranch_vccz .LBB432_1131
	s_branch .LBB432_1940
.LBB432_1021:
	s_mov_b64 s[16:17], 0
                                        ; implicit-def: $vgpr6
	s_cbranch_execnz .LBB432_1053
	s_branch .LBB432_1082
.LBB432_1022:
	s_mov_b64 s[16:17], 0
                                        ; implicit-def: $vgpr6
	s_cbranch_execz .LBB432_1052
	s_branch .LBB432_1037
.LBB432_1023:
	s_mov_b64 s[16:17], 0
                                        ; implicit-def: $vgpr6
	s_cbranch_execnz .LBB432_1033
	s_branch .LBB432_1036
.LBB432_1024:
	s_mov_b64 s[14:15], -1
	s_mov_b64 s[16:17], 0
                                        ; implicit-def: $vgpr6
	s_branch .LBB432_1028
.LBB432_1025:
	s_andn2_saveexec_b64 s[22:23], s[22:23]
	s_cbranch_execz .LBB432_924
.LBB432_1026:
	s_mov_b32 s24, 0x46000000
	v_add_f32_e64 v4, |v2|, s24
	v_and_b32_e32 v4, 0xff, v4
	v_cmp_ne_u32_e32 vcc, 0, v4
	s_andn2_b64 s[20:21], s[20:21], exec
	s_and_b64 s[24:25], vcc, exec
	s_or_b64 s[20:21], s[20:21], s[24:25]
	s_or_b64 exec, exec, s[22:23]
	v_mov_b32_e32 v5, 0
	s_and_saveexec_b64 s[22:23], s[20:21]
	s_cbranch_execnz .LBB432_925
	s_branch .LBB432_926
.LBB432_1027:
	s_mov_b64 s[0:1], -1
                                        ; implicit-def: $vgpr6
	s_mov_b64 s[16:17], 0
.LBB432_1028:
	s_and_b64 vcc, exec, s[14:15]
	s_cbranch_vccz .LBB432_1031
; %bb.1029:
	s_cmp_eq_u32 s18, 44
	s_cbranch_scc0 .LBB432_1032
; %bb.1030:
	global_load_ubyte v1, v[2:3], off
	s_mov_b64 s[0:1], 0
	s_mov_b64 s[16:17], -1
	s_waitcnt vmcnt(0)
	v_lshlrev_b32_e32 v4, 23, v1
	v_cvt_i32_f32_e32 v4, v4
	v_cmp_ne_u32_e32 vcc, 0, v1
	s_nop 1
	v_cndmask_b32_e32 v6, 0, v4, vcc
.LBB432_1031:
	s_branch .LBB432_1036
.LBB432_1032:
	s_mov_b64 s[0:1], -1
                                        ; implicit-def: $vgpr6
	s_branch .LBB432_1036
.LBB432_1033:
	s_cmp_eq_u32 s18, 29
	s_cbranch_scc0 .LBB432_1035
; %bb.1034:
	global_load_dwordx2 v[6:7], v[2:3], off
	s_mov_b64 s[0:1], 0
	s_mov_b64 s[16:17], -1
	s_branch .LBB432_1036
.LBB432_1035:
	s_mov_b64 s[0:1], -1
                                        ; implicit-def: $vgpr6
.LBB432_1036:
	s_branch .LBB432_1052
.LBB432_1037:
	s_cmp_lt_i32 s18, 27
	s_cbranch_scc1 .LBB432_1040
; %bb.1038:
	s_cmp_gt_i32 s18, 27
	s_cbranch_scc0 .LBB432_1041
; %bb.1039:
	global_load_dword v6, v[2:3], off
	s_mov_b64 s[14:15], 0
	s_branch .LBB432_1042
.LBB432_1040:
	s_mov_b64 s[14:15], -1
                                        ; implicit-def: $vgpr6
	s_branch .LBB432_1045
.LBB432_1041:
	s_mov_b64 s[14:15], -1
                                        ; implicit-def: $vgpr6
.LBB432_1042:
	s_andn2_b64 vcc, exec, s[14:15]
	s_cbranch_vccnz .LBB432_1044
; %bb.1043:
	global_load_ushort v6, v[2:3], off
.LBB432_1044:
	s_mov_b64 s[14:15], 0
.LBB432_1045:
	s_andn2_b64 vcc, exec, s[14:15]
	s_cbranch_vccnz .LBB432_1051
; %bb.1046:
	global_load_ubyte v1, v[2:3], off
	s_movk_i32 s14, 0x7f
	s_mov_b64 s[16:17], 0
	s_waitcnt vmcnt(0)
	v_cmp_lt_i16_e32 vcc, s14, v1
	s_and_saveexec_b64 s[14:15], vcc
	s_xor_b64 s[14:15], exec, s[14:15]
	s_cbranch_execz .LBB432_1062
; %bb.1047:
	s_movk_i32 s16, 0x80
	v_cmp_ne_u16_e32 vcc, s16, v1
	s_and_b64 s[16:17], vcc, exec
	s_andn2_saveexec_b64 s[14:15], s[14:15]
	s_cbranch_execnz .LBB432_1063
.LBB432_1048:
	s_or_b64 exec, exec, s[14:15]
	v_mov_b32_e32 v6, 0
	s_and_saveexec_b64 s[14:15], s[16:17]
	s_cbranch_execz .LBB432_1050
.LBB432_1049:
	v_lshlrev_b32_e32 v4, 24, v1
	v_and_b32_e32 v1, 0xffff, v1
	v_and_b32_e32 v5, 7, v1
	v_ffbh_u32_e32 v7, v5
	v_min_u32_e32 v7, 32, v7
	v_subrev_u32_e32 v8, 28, v7
	v_bfe_u32 v6, v1, 3, 4
	v_lshlrev_b32_e32 v1, v8, v1
	v_sub_u32_e32 v7, 29, v7
	v_and_b32_e32 v1, 7, v1
	v_cmp_eq_u32_e32 vcc, 0, v6
	v_and_b32_e32 v4, 0x80000000, v4
	s_nop 0
	v_cndmask_b32_e32 v6, v6, v7, vcc
	v_cndmask_b32_e32 v1, v5, v1, vcc
	v_mov_b32_e32 v5, 0x3b800000
	v_lshlrev_b32_e32 v1, 20, v1
	v_lshl_add_u32 v5, v6, 23, v5
	v_or3_b32 v1, v4, v5, v1
	v_cvt_i32_f32_e32 v6, v1
.LBB432_1050:
	s_or_b64 exec, exec, s[14:15]
.LBB432_1051:
	s_mov_b64 s[16:17], -1
.LBB432_1052:
	s_branch .LBB432_1082
.LBB432_1053:
	s_cmp_gt_i32 s18, 22
	s_cbranch_scc0 .LBB432_1061
; %bb.1054:
	s_cmp_lt_i32 s18, 24
	s_cbranch_scc1 .LBB432_1064
; %bb.1055:
	s_cmp_gt_i32 s18, 24
	s_cbranch_scc0 .LBB432_1065
; %bb.1056:
	global_load_ubyte v1, v[2:3], off
	s_movk_i32 s2, 0x7f
	s_mov_b64 s[14:15], 0
	s_waitcnt vmcnt(0)
	v_cmp_lt_i16_e32 vcc, s2, v1
	s_and_saveexec_b64 s[2:3], vcc
	s_xor_b64 s[2:3], exec, s[2:3]
	s_cbranch_execz .LBB432_1076
; %bb.1057:
	s_movk_i32 s14, 0x80
	v_cmp_ne_u16_e32 vcc, s14, v1
	s_and_b64 s[14:15], vcc, exec
	s_andn2_saveexec_b64 s[2:3], s[2:3]
	s_cbranch_execnz .LBB432_1077
.LBB432_1058:
	s_or_b64 exec, exec, s[2:3]
	v_mov_b32_e32 v6, 0
	s_and_saveexec_b64 s[2:3], s[14:15]
	s_cbranch_execz .LBB432_1060
.LBB432_1059:
	v_lshlrev_b32_e32 v4, 24, v1
	v_and_b32_e32 v1, 0xffff, v1
	v_and_b32_e32 v5, 3, v1
	v_ffbh_u32_e32 v7, v5
	v_min_u32_e32 v7, 32, v7
	v_subrev_u32_e32 v8, 29, v7
	v_bfe_u32 v6, v1, 2, 5
	v_lshlrev_b32_e32 v1, v8, v1
	v_sub_u32_e32 v7, 30, v7
	v_and_b32_e32 v1, 3, v1
	v_cmp_eq_u32_e32 vcc, 0, v6
	v_and_b32_e32 v4, 0x80000000, v4
	s_nop 0
	v_cndmask_b32_e32 v6, v6, v7, vcc
	v_cndmask_b32_e32 v1, v5, v1, vcc
	v_mov_b32_e32 v5, 0x37800000
	v_lshlrev_b32_e32 v1, 21, v1
	v_lshl_add_u32 v5, v6, 23, v5
	v_or3_b32 v1, v4, v5, v1
	v_cvt_i32_f32_e32 v6, v1
.LBB432_1060:
	s_or_b64 exec, exec, s[2:3]
	s_mov_b64 s[2:3], 0
	s_branch .LBB432_1066
.LBB432_1061:
                                        ; implicit-def: $vgpr6
	s_mov_b64 s[2:3], 0
	s_branch .LBB432_1072
.LBB432_1062:
	s_andn2_saveexec_b64 s[14:15], s[14:15]
	s_cbranch_execz .LBB432_1048
.LBB432_1063:
	v_cmp_ne_u16_e32 vcc, 0, v1
	s_andn2_b64 s[16:17], s[16:17], exec
	s_and_b64 s[22:23], vcc, exec
	s_or_b64 s[16:17], s[16:17], s[22:23]
	s_or_b64 exec, exec, s[14:15]
	v_mov_b32_e32 v6, 0
	s_and_saveexec_b64 s[14:15], s[16:17]
	s_cbranch_execnz .LBB432_1049
	s_branch .LBB432_1050
.LBB432_1064:
	s_mov_b64 s[2:3], -1
                                        ; implicit-def: $vgpr6
	s_branch .LBB432_1069
.LBB432_1065:
	s_mov_b64 s[2:3], -1
                                        ; implicit-def: $vgpr6
.LBB432_1066:
	s_and_b64 vcc, exec, s[2:3]
	s_cbranch_vccz .LBB432_1068
; %bb.1067:
	global_load_ubyte v1, v[2:3], off
	s_mov_b32 s2, 0x7f800000
	s_waitcnt vmcnt(0)
	v_lshlrev_b32_e32 v1, 24, v1
	v_and_b32_e32 v4, 0x7f000000, v1
	v_ffbh_u32_e32 v5, v4
	v_min_u32_e32 v5, 32, v5
	v_sub_u32_e64 v5, v5, 4 clamp
	v_lshlrev_b32_e32 v7, v5, v4
	v_lshlrev_b32_e32 v5, 23, v5
	v_lshrrev_b32_e32 v7, 4, v7
	v_add_u32_e32 v6, 0x1000000, v4
	v_sub_u32_e32 v5, v7, v5
	v_ashrrev_i32_e32 v6, 8, v6
	v_add_u32_e32 v5, 0x3c000000, v5
	v_and_or_b32 v5, v6, s2, v5
	v_cmp_ne_u32_e32 vcc, 0, v4
	s_brev_b32 s2, 1
	s_nop 0
	v_cndmask_b32_e32 v4, 0, v5, vcc
	v_and_or_b32 v1, v1, s2, v4
	v_cvt_i32_f32_e32 v6, v1
.LBB432_1068:
	s_mov_b64 s[2:3], 0
.LBB432_1069:
	s_andn2_b64 vcc, exec, s[2:3]
	s_cbranch_vccnz .LBB432_1071
; %bb.1070:
	global_load_ubyte v1, v[2:3], off
	s_movk_i32 s2, 0x7f00
	s_brev_b32 s3, 16
	s_waitcnt vmcnt(0)
	v_lshlrev_b16_e32 v4, 8, v1
	v_lshlrev_b32_e32 v1, 25, v1
	v_lshrrev_b32_e32 v5, 4, v1
	v_and_or_b32 v6, v4, s2, 0.5
	v_or_b32_e32 v5, 0x70000000, v5
	v_add_f32_e32 v6, -0.5, v6
	v_mul_f32_e32 v5, 0x7800000, v5
	v_cmp_gt_u32_e32 vcc, s3, v1
	v_bfe_i32 v4, v4, 0, 16
	s_brev_b32 s2, 1
	v_cndmask_b32_e32 v1, v5, v6, vcc
	v_and_or_b32 v1, v4, s2, v1
	v_cvt_i32_f32_e32 v6, v1
.LBB432_1071:
	s_mov_b64 s[16:17], -1
	s_mov_b64 s[2:3], 0
	s_cbranch_execnz .LBB432_1082
.LBB432_1072:
	s_cmp_gt_i32 s18, 14
	s_cbranch_scc0 .LBB432_1075
; %bb.1073:
	s_cmp_eq_u32 s18, 15
	s_cbranch_scc0 .LBB432_1078
; %bb.1074:
	global_load_ushort v1, v[2:3], off
	s_mov_b64 s[0:1], 0
	s_mov_b64 s[16:17], -1
	s_waitcnt vmcnt(0)
	v_lshlrev_b32_e32 v1, 16, v1
	v_cvt_i32_f32_e32 v6, v1
	s_branch .LBB432_1079
.LBB432_1075:
	s_mov_b64 s[14:15], -1
                                        ; implicit-def: $vgpr6
	s_branch .LBB432_1080
.LBB432_1076:
	s_andn2_saveexec_b64 s[2:3], s[2:3]
	s_cbranch_execz .LBB432_1058
.LBB432_1077:
	v_cmp_ne_u16_e32 vcc, 0, v1
	s_andn2_b64 s[14:15], s[14:15], exec
	s_and_b64 s[16:17], vcc, exec
	s_or_b64 s[14:15], s[14:15], s[16:17]
	s_or_b64 exec, exec, s[2:3]
	v_mov_b32_e32 v6, 0
	s_and_saveexec_b64 s[2:3], s[14:15]
	s_cbranch_execnz .LBB432_1059
	s_branch .LBB432_1060
.LBB432_1078:
	s_mov_b64 s[0:1], -1
                                        ; implicit-def: $vgpr6
.LBB432_1079:
	s_mov_b64 s[14:15], 0
.LBB432_1080:
	s_and_b64 vcc, exec, s[14:15]
	s_cbranch_vccz .LBB432_1082
; %bb.1081:
	s_cmp_lg_u32 s18, 11
	s_mov_b64 s[2:3], -1
	s_cselect_b64 s[0:1], -1, 0
.LBB432_1082:
	s_and_b64 vcc, exec, s[0:1]
	s_mov_b64 s[14:15], s[12:13]
	s_cbranch_vccnz .LBB432_1143
; %bb.1083:
	s_andn2_b64 vcc, exec, s[2:3]
	s_cbranch_vccnz .LBB432_1085
.LBB432_1084:
	global_load_ubyte v1, v[2:3], off
	s_mov_b64 s[16:17], -1
	s_waitcnt vmcnt(0)
	v_cmp_ne_u16_e32 vcc, 0, v1
	s_nop 1
	v_cndmask_b32_e64 v6, 0, 1, vcc
.LBB432_1085:
	s_branch .LBB432_1020
.LBB432_1086:
	s_and_b32 s2, 0xffff, s20
	s_cmp_lt_i32 s2, 5
	s_cbranch_scc1 .LBB432_1091
; %bb.1087:
	s_cmp_lt_i32 s2, 8
	s_cbranch_scc1 .LBB432_1092
; %bb.1088:
	;; [unrolled: 3-line block ×3, first 2 shown]
	s_cmp_gt_i32 s2, 9
	s_cbranch_scc0 .LBB432_1094
; %bb.1090:
	global_load_dwordx2 v[4:5], v[2:3], off
	s_mov_b64 s[0:1], 0
	s_waitcnt vmcnt(0)
	v_cvt_i32_f64_e32 v6, v[4:5]
	s_branch .LBB432_1095
.LBB432_1091:
                                        ; implicit-def: $vgpr6
	s_branch .LBB432_1112
.LBB432_1092:
                                        ; implicit-def: $vgpr6
	s_branch .LBB432_1101
.LBB432_1093:
	s_mov_b64 s[0:1], -1
                                        ; implicit-def: $vgpr6
	s_branch .LBB432_1098
.LBB432_1094:
	s_mov_b64 s[0:1], -1
                                        ; implicit-def: $vgpr6
.LBB432_1095:
	s_andn2_b64 vcc, exec, s[0:1]
	s_cbranch_vccnz .LBB432_1097
; %bb.1096:
	global_load_dword v1, v[2:3], off
	s_waitcnt vmcnt(0)
	v_cvt_i32_f32_e32 v6, v1
.LBB432_1097:
	s_mov_b64 s[0:1], 0
.LBB432_1098:
	s_andn2_b64 vcc, exec, s[0:1]
	s_cbranch_vccnz .LBB432_1100
; %bb.1099:
	global_load_dword v1, v[2:3], off
	s_waitcnt vmcnt(0)
	v_cvt_i16_f16_e32 v6, v1
.LBB432_1100:
	s_cbranch_execnz .LBB432_1111
.LBB432_1101:
	s_cmp_lt_i32 s2, 6
	s_cbranch_scc1 .LBB432_1104
; %bb.1102:
	s_cmp_gt_i32 s2, 6
	s_cbranch_scc0 .LBB432_1105
; %bb.1103:
	global_load_dwordx2 v[4:5], v[2:3], off
	s_mov_b64 s[0:1], 0
	s_waitcnt vmcnt(0)
	v_cvt_i32_f64_e32 v6, v[4:5]
	s_branch .LBB432_1106
.LBB432_1104:
	s_mov_b64 s[0:1], -1
                                        ; implicit-def: $vgpr6
	s_branch .LBB432_1109
.LBB432_1105:
	s_mov_b64 s[0:1], -1
                                        ; implicit-def: $vgpr6
.LBB432_1106:
	s_andn2_b64 vcc, exec, s[0:1]
	s_cbranch_vccnz .LBB432_1108
; %bb.1107:
	global_load_dword v1, v[2:3], off
	s_waitcnt vmcnt(0)
	v_cvt_i32_f32_e32 v6, v1
.LBB432_1108:
	s_mov_b64 s[0:1], 0
.LBB432_1109:
	s_andn2_b64 vcc, exec, s[0:1]
	s_cbranch_vccnz .LBB432_1111
; %bb.1110:
	global_load_ushort v1, v[2:3], off
	s_waitcnt vmcnt(0)
	v_cvt_i16_f16_e32 v6, v1
.LBB432_1111:
	s_cbranch_execnz .LBB432_1130
.LBB432_1112:
	s_cmp_lt_i32 s2, 2
	s_cbranch_scc1 .LBB432_1116
; %bb.1113:
	s_cmp_lt_i32 s2, 3
	s_cbranch_scc1 .LBB432_1117
; %bb.1114:
	s_cmp_gt_i32 s2, 3
	s_cbranch_scc0 .LBB432_1118
; %bb.1115:
	global_load_dwordx2 v[6:7], v[2:3], off
	s_mov_b64 s[0:1], 0
	s_branch .LBB432_1119
.LBB432_1116:
                                        ; implicit-def: $vgpr6
	s_branch .LBB432_1125
.LBB432_1117:
	s_mov_b64 s[0:1], -1
                                        ; implicit-def: $vgpr6
	s_branch .LBB432_1122
.LBB432_1118:
	s_mov_b64 s[0:1], -1
                                        ; implicit-def: $vgpr6
.LBB432_1119:
	s_andn2_b64 vcc, exec, s[0:1]
	s_cbranch_vccnz .LBB432_1121
; %bb.1120:
	global_load_dword v6, v[2:3], off
.LBB432_1121:
	s_mov_b64 s[0:1], 0
.LBB432_1122:
	s_andn2_b64 vcc, exec, s[0:1]
	s_cbranch_vccnz .LBB432_1124
; %bb.1123:
	global_load_ushort v6, v[2:3], off
.LBB432_1124:
	s_cbranch_execnz .LBB432_1130
.LBB432_1125:
	s_cmp_gt_i32 s2, 0
	s_cbranch_scc0 .LBB432_1127
; %bb.1126:
	global_load_ubyte v6, v[2:3], off
	s_mov_b64 s[0:1], 0
	s_branch .LBB432_1128
.LBB432_1127:
	s_mov_b64 s[0:1], -1
                                        ; implicit-def: $vgpr6
.LBB432_1128:
	s_andn2_b64 vcc, exec, s[0:1]
	s_cbranch_vccnz .LBB432_1130
; %bb.1129:
	global_load_ubyte v6, v[2:3], off
.LBB432_1130:
.LBB432_1131:
	s_lshl_b32 s9, s9, 7
	v_add_u32_e32 v0, s9, v0
	v_ashrrev_i32_e32 v1, 31, v0
	s_cmp_lt_i32 s20, 11
	v_lshl_add_u64 v[2:3], s[6:7], 0, v[0:1]
	s_cbranch_scc1 .LBB432_1138
; %bb.1132:
	s_and_b32 s21, 0xffff, s20
	s_cmp_gt_i32 s21, 25
	s_mov_b64 s[2:3], 0
	s_cbranch_scc0 .LBB432_1140
; %bb.1133:
	s_cmp_gt_i32 s21, 28
	s_cbranch_scc0 .LBB432_1141
; %bb.1134:
	s_cmp_gt_i32 s21, 43
	;; [unrolled: 3-line block ×3, first 2 shown]
	s_cbranch_scc0 .LBB432_1144
; %bb.1136:
	s_cmp_eq_u32 s21, 46
	s_mov_b64 s[18:19], 0
	s_cbranch_scc0 .LBB432_1147
; %bb.1137:
	global_load_dword v1, v[2:3], off
	s_mov_b64 s[0:1], 0
	s_mov_b64 s[16:17], -1
	s_waitcnt vmcnt(0)
	v_lshlrev_b32_e32 v1, 16, v1
	v_cvt_i32_f32_e32 v4, v1
	s_branch .LBB432_1148
.LBB432_1138:
	s_mov_b64 s[16:17], 0
                                        ; implicit-def: $vgpr4
	s_cbranch_execnz .LBB432_1209
.LBB432_1139:
	s_andn2_b64 vcc, exec, s[16:17]
	s_cbranch_vccnz .LBB432_1940
	s_branch .LBB432_1256
.LBB432_1140:
	s_mov_b64 s[16:17], 0
	s_mov_b64 s[0:1], 0
                                        ; implicit-def: $vgpr4
	s_cbranch_execnz .LBB432_1175
	s_branch .LBB432_1205
.LBB432_1141:
	s_mov_b64 s[18:19], -1
	s_mov_b64 s[16:17], 0
	s_mov_b64 s[0:1], 0
                                        ; implicit-def: $vgpr4
	s_branch .LBB432_1158
.LBB432_1142:
	s_mov_b64 s[18:19], -1
	s_mov_b64 s[16:17], 0
	s_mov_b64 s[0:1], 0
                                        ; implicit-def: $vgpr4
	s_branch .LBB432_1153
.LBB432_1143:
	s_or_b64 s[14:15], s[12:13], exec
	s_trap 2
	s_cbranch_execz .LBB432_1084
	s_branch .LBB432_1085
.LBB432_1144:
	s_mov_b64 s[18:19], -1
	s_mov_b64 s[16:17], 0
	s_mov_b64 s[0:1], 0
                                        ; implicit-def: $vgpr4
	s_branch .LBB432_1148
.LBB432_1145:
	s_andn2_saveexec_b64 s[24:25], s[24:25]
	s_cbranch_execz .LBB432_936
.LBB432_1146:
	s_mov_b32 s28, 0x42800000
	v_add_f32_e64 v4, |v2|, s28
	v_and_b32_e32 v4, 0xff, v4
	v_cmp_ne_u32_e32 vcc, 0, v4
	s_andn2_b64 s[22:23], s[22:23], exec
	s_and_b64 s[28:29], vcc, exec
	s_or_b64 s[22:23], s[22:23], s[28:29]
	s_or_b64 exec, exec, s[24:25]
	v_mov_b32_e32 v5, 0
	s_and_saveexec_b64 s[24:25], s[22:23]
	s_cbranch_execnz .LBB432_937
	s_branch .LBB432_938
.LBB432_1147:
	s_mov_b64 s[0:1], -1
                                        ; implicit-def: $vgpr4
	s_mov_b64 s[16:17], 0
.LBB432_1148:
	s_and_b64 vcc, exec, s[18:19]
	s_cbranch_vccz .LBB432_1152
; %bb.1149:
	s_cmp_eq_u32 s21, 44
	s_cbranch_scc0 .LBB432_1151
; %bb.1150:
	global_load_ubyte v1, v[2:3], off
	s_mov_b64 s[0:1], 0
	s_mov_b64 s[16:17], -1
	s_waitcnt vmcnt(0)
	v_lshlrev_b32_e32 v4, 23, v1
	v_cvt_i32_f32_e32 v4, v4
	v_cmp_ne_u32_e32 vcc, 0, v1
	s_nop 1
	v_cndmask_b32_e32 v4, 0, v4, vcc
	s_branch .LBB432_1152
.LBB432_1151:
	s_mov_b64 s[0:1], -1
                                        ; implicit-def: $vgpr4
.LBB432_1152:
	s_mov_b64 s[18:19], 0
.LBB432_1153:
	s_and_b64 vcc, exec, s[18:19]
	s_cbranch_vccz .LBB432_1157
; %bb.1154:
	s_cmp_eq_u32 s21, 29
	s_cbranch_scc0 .LBB432_1156
; %bb.1155:
	global_load_dwordx2 v[4:5], v[2:3], off
	s_mov_b64 s[0:1], 0
	s_mov_b64 s[16:17], -1
	s_branch .LBB432_1157
.LBB432_1156:
	s_mov_b64 s[0:1], -1
                                        ; implicit-def: $vgpr4
.LBB432_1157:
	s_mov_b64 s[18:19], 0
.LBB432_1158:
	s_and_b64 vcc, exec, s[18:19]
	s_cbranch_vccz .LBB432_1174
; %bb.1159:
	s_cmp_lt_i32 s21, 27
	s_cbranch_scc1 .LBB432_1162
; %bb.1160:
	s_cmp_gt_i32 s21, 27
	s_cbranch_scc0 .LBB432_1163
; %bb.1161:
	global_load_dword v4, v[2:3], off
	s_mov_b64 s[16:17], 0
	s_branch .LBB432_1164
.LBB432_1162:
	s_mov_b64 s[16:17], -1
                                        ; implicit-def: $vgpr4
	s_branch .LBB432_1167
.LBB432_1163:
	s_mov_b64 s[16:17], -1
                                        ; implicit-def: $vgpr4
.LBB432_1164:
	s_andn2_b64 vcc, exec, s[16:17]
	s_cbranch_vccnz .LBB432_1166
; %bb.1165:
	global_load_ushort v4, v[2:3], off
.LBB432_1166:
	s_mov_b64 s[16:17], 0
.LBB432_1167:
	s_andn2_b64 vcc, exec, s[16:17]
	s_cbranch_vccnz .LBB432_1173
; %bb.1168:
	global_load_ubyte v1, v[2:3], off
	s_movk_i32 s16, 0x7f
	s_mov_b64 s[18:19], 0
	s_waitcnt vmcnt(0)
	v_cmp_lt_i16_e32 vcc, s16, v1
	s_and_saveexec_b64 s[16:17], vcc
	s_xor_b64 s[16:17], exec, s[16:17]
	s_cbranch_execz .LBB432_1184
; %bb.1169:
	s_movk_i32 s18, 0x80
	v_cmp_ne_u16_e32 vcc, s18, v1
	s_and_b64 s[18:19], vcc, exec
	s_andn2_saveexec_b64 s[16:17], s[16:17]
	s_cbranch_execnz .LBB432_1185
.LBB432_1170:
	s_or_b64 exec, exec, s[16:17]
	v_mov_b32_e32 v4, 0
	s_and_saveexec_b64 s[16:17], s[18:19]
	s_cbranch_execz .LBB432_1172
.LBB432_1171:
	v_lshlrev_b32_e32 v4, 24, v1
	v_and_b32_e32 v1, 0xffff, v1
	v_and_b32_e32 v5, 7, v1
	v_ffbh_u32_e32 v8, v5
	v_min_u32_e32 v8, 32, v8
	v_subrev_u32_e32 v9, 28, v8
	v_bfe_u32 v7, v1, 3, 4
	v_lshlrev_b32_e32 v1, v9, v1
	v_sub_u32_e32 v8, 29, v8
	v_and_b32_e32 v1, 7, v1
	v_cmp_eq_u32_e32 vcc, 0, v7
	v_and_b32_e32 v4, 0x80000000, v4
	s_nop 0
	v_cndmask_b32_e32 v7, v7, v8, vcc
	v_cndmask_b32_e32 v1, v5, v1, vcc
	v_mov_b32_e32 v5, 0x3b800000
	v_lshlrev_b32_e32 v1, 20, v1
	v_lshl_add_u32 v5, v7, 23, v5
	v_or3_b32 v1, v4, v5, v1
	v_cvt_i32_f32_e32 v4, v1
.LBB432_1172:
	s_or_b64 exec, exec, s[16:17]
.LBB432_1173:
	s_mov_b64 s[16:17], -1
.LBB432_1174:
	s_branch .LBB432_1205
.LBB432_1175:
	s_cmp_gt_i32 s21, 22
	s_cbranch_scc0 .LBB432_1183
; %bb.1176:
	s_cmp_lt_i32 s21, 24
	s_cbranch_scc1 .LBB432_1186
; %bb.1177:
	s_cmp_gt_i32 s21, 24
	s_cbranch_scc0 .LBB432_1187
; %bb.1178:
	global_load_ubyte v1, v[2:3], off
	s_movk_i32 s2, 0x7f
	s_mov_b64 s[16:17], 0
	s_waitcnt vmcnt(0)
	v_cmp_lt_i16_e32 vcc, s2, v1
	s_and_saveexec_b64 s[2:3], vcc
	s_xor_b64 s[2:3], exec, s[2:3]
	s_cbranch_execz .LBB432_1199
; %bb.1179:
	s_movk_i32 s16, 0x80
	v_cmp_ne_u16_e32 vcc, s16, v1
	s_and_b64 s[16:17], vcc, exec
	s_andn2_saveexec_b64 s[2:3], s[2:3]
	s_cbranch_execnz .LBB432_1200
.LBB432_1180:
	s_or_b64 exec, exec, s[2:3]
	v_mov_b32_e32 v4, 0
	s_and_saveexec_b64 s[2:3], s[16:17]
	s_cbranch_execz .LBB432_1182
.LBB432_1181:
	v_lshlrev_b32_e32 v4, 24, v1
	v_and_b32_e32 v1, 0xffff, v1
	v_and_b32_e32 v5, 3, v1
	v_ffbh_u32_e32 v8, v5
	v_min_u32_e32 v8, 32, v8
	v_subrev_u32_e32 v9, 29, v8
	v_bfe_u32 v7, v1, 2, 5
	v_lshlrev_b32_e32 v1, v9, v1
	v_sub_u32_e32 v8, 30, v8
	v_and_b32_e32 v1, 3, v1
	v_cmp_eq_u32_e32 vcc, 0, v7
	v_and_b32_e32 v4, 0x80000000, v4
	s_nop 0
	v_cndmask_b32_e32 v7, v7, v8, vcc
	v_cndmask_b32_e32 v1, v5, v1, vcc
	v_mov_b32_e32 v5, 0x37800000
	v_lshlrev_b32_e32 v1, 21, v1
	v_lshl_add_u32 v5, v7, 23, v5
	v_or3_b32 v1, v4, v5, v1
	v_cvt_i32_f32_e32 v4, v1
.LBB432_1182:
	s_or_b64 exec, exec, s[2:3]
	s_mov_b64 s[2:3], 0
	s_branch .LBB432_1188
.LBB432_1183:
	s_mov_b64 s[2:3], -1
                                        ; implicit-def: $vgpr4
	s_branch .LBB432_1194
.LBB432_1184:
	s_andn2_saveexec_b64 s[16:17], s[16:17]
	s_cbranch_execz .LBB432_1170
.LBB432_1185:
	v_cmp_ne_u16_e32 vcc, 0, v1
	s_andn2_b64 s[18:19], s[18:19], exec
	s_and_b64 s[22:23], vcc, exec
	s_or_b64 s[18:19], s[18:19], s[22:23]
	s_or_b64 exec, exec, s[16:17]
	v_mov_b32_e32 v4, 0
	s_and_saveexec_b64 s[16:17], s[18:19]
	s_cbranch_execnz .LBB432_1171
	s_branch .LBB432_1172
.LBB432_1186:
	s_mov_b64 s[2:3], -1
                                        ; implicit-def: $vgpr4
	s_branch .LBB432_1191
.LBB432_1187:
	s_mov_b64 s[2:3], -1
                                        ; implicit-def: $vgpr4
.LBB432_1188:
	s_and_b64 vcc, exec, s[2:3]
	s_cbranch_vccz .LBB432_1190
; %bb.1189:
	global_load_ubyte v1, v[2:3], off
	s_mov_b32 s2, 0x7f800000
	s_waitcnt vmcnt(0)
	v_lshlrev_b32_e32 v1, 24, v1
	v_and_b32_e32 v4, 0x7f000000, v1
	v_ffbh_u32_e32 v5, v4
	v_min_u32_e32 v5, 32, v5
	v_sub_u32_e64 v5, v5, 4 clamp
	v_lshlrev_b32_e32 v8, v5, v4
	v_lshlrev_b32_e32 v5, 23, v5
	v_lshrrev_b32_e32 v8, 4, v8
	v_add_u32_e32 v7, 0x1000000, v4
	v_sub_u32_e32 v5, v8, v5
	v_ashrrev_i32_e32 v7, 8, v7
	v_add_u32_e32 v5, 0x3c000000, v5
	v_and_or_b32 v5, v7, s2, v5
	v_cmp_ne_u32_e32 vcc, 0, v4
	s_brev_b32 s2, 1
	s_nop 0
	v_cndmask_b32_e32 v4, 0, v5, vcc
	v_and_or_b32 v1, v1, s2, v4
	v_cvt_i32_f32_e32 v4, v1
.LBB432_1190:
	s_mov_b64 s[2:3], 0
.LBB432_1191:
	s_andn2_b64 vcc, exec, s[2:3]
	s_cbranch_vccnz .LBB432_1193
; %bb.1192:
	global_load_ubyte v1, v[2:3], off
	s_movk_i32 s2, 0x7f00
	s_brev_b32 s3, 16
	s_waitcnt vmcnt(0)
	v_lshlrev_b16_e32 v4, 8, v1
	v_lshlrev_b32_e32 v1, 25, v1
	v_lshrrev_b32_e32 v5, 4, v1
	v_and_or_b32 v7, v4, s2, 0.5
	v_or_b32_e32 v5, 0x70000000, v5
	v_add_f32_e32 v7, -0.5, v7
	v_mul_f32_e32 v5, 0x7800000, v5
	v_cmp_gt_u32_e32 vcc, s3, v1
	v_bfe_i32 v4, v4, 0, 16
	s_brev_b32 s2, 1
	v_cndmask_b32_e32 v1, v5, v7, vcc
	v_and_or_b32 v1, v4, s2, v1
	v_cvt_i32_f32_e32 v4, v1
.LBB432_1193:
	s_mov_b64 s[2:3], 0
	s_mov_b64 s[16:17], -1
.LBB432_1194:
	s_andn2_b64 vcc, exec, s[2:3]
	s_mov_b64 s[2:3], 0
	s_cbranch_vccnz .LBB432_1205
; %bb.1195:
	s_cmp_gt_i32 s21, 14
	s_cbranch_scc0 .LBB432_1198
; %bb.1196:
	s_cmp_eq_u32 s21, 15
	s_cbranch_scc0 .LBB432_1201
; %bb.1197:
	global_load_ushort v1, v[2:3], off
	s_mov_b64 s[0:1], 0
	s_mov_b64 s[16:17], -1
	s_waitcnt vmcnt(0)
	v_lshlrev_b32_e32 v1, 16, v1
	v_cvt_i32_f32_e32 v4, v1
	s_branch .LBB432_1202
.LBB432_1198:
	s_mov_b64 s[18:19], -1
                                        ; implicit-def: $vgpr4
	s_branch .LBB432_1203
.LBB432_1199:
	s_andn2_saveexec_b64 s[2:3], s[2:3]
	s_cbranch_execz .LBB432_1180
.LBB432_1200:
	v_cmp_ne_u16_e32 vcc, 0, v1
	s_andn2_b64 s[16:17], s[16:17], exec
	s_and_b64 s[18:19], vcc, exec
	s_or_b64 s[16:17], s[16:17], s[18:19]
	s_or_b64 exec, exec, s[2:3]
	v_mov_b32_e32 v4, 0
	s_and_saveexec_b64 s[2:3], s[16:17]
	s_cbranch_execnz .LBB432_1181
	s_branch .LBB432_1182
.LBB432_1201:
	s_mov_b64 s[0:1], -1
                                        ; implicit-def: $vgpr4
.LBB432_1202:
	s_mov_b64 s[18:19], 0
.LBB432_1203:
	s_and_b64 vcc, exec, s[18:19]
	s_cbranch_vccz .LBB432_1205
; %bb.1204:
	s_cmp_lg_u32 s21, 11
	s_mov_b64 s[2:3], -1
	s_cselect_b64 s[0:1], -1, 0
.LBB432_1205:
	s_and_b64 vcc, exec, s[0:1]
	s_cbranch_vccnz .LBB432_1268
; %bb.1206:
	s_andn2_b64 vcc, exec, s[2:3]
	s_cbranch_vccnz .LBB432_1208
.LBB432_1207:
	global_load_ubyte v1, v[2:3], off
	s_mov_b64 s[16:17], -1
	s_waitcnt vmcnt(0)
	v_cmp_ne_u16_e32 vcc, 0, v1
	s_nop 1
	v_cndmask_b32_e64 v4, 0, 1, vcc
.LBB432_1208:
	s_branch .LBB432_1139
.LBB432_1209:
	s_and_b32 s2, 0xffff, s20
	s_cmp_lt_i32 s2, 5
	s_cbranch_scc1 .LBB432_1214
; %bb.1210:
	s_cmp_lt_i32 s2, 8
	s_cbranch_scc1 .LBB432_1215
; %bb.1211:
	;; [unrolled: 3-line block ×3, first 2 shown]
	s_cmp_gt_i32 s2, 9
	s_cbranch_scc0 .LBB432_1217
; %bb.1213:
	global_load_dwordx2 v[4:5], v[2:3], off
	s_mov_b64 s[0:1], 0
	s_waitcnt vmcnt(0)
	v_cvt_i32_f64_e32 v4, v[4:5]
	s_branch .LBB432_1218
.LBB432_1214:
                                        ; implicit-def: $vgpr4
	s_branch .LBB432_1236
.LBB432_1215:
	s_mov_b64 s[0:1], -1
                                        ; implicit-def: $vgpr4
	s_branch .LBB432_1224
.LBB432_1216:
	s_mov_b64 s[0:1], -1
                                        ; implicit-def: $vgpr4
	s_branch .LBB432_1221
.LBB432_1217:
	s_mov_b64 s[0:1], -1
                                        ; implicit-def: $vgpr4
.LBB432_1218:
	s_andn2_b64 vcc, exec, s[0:1]
	s_cbranch_vccnz .LBB432_1220
; %bb.1219:
	global_load_dword v1, v[2:3], off
	s_waitcnt vmcnt(0)
	v_cvt_i32_f32_e32 v4, v1
.LBB432_1220:
	s_mov_b64 s[0:1], 0
.LBB432_1221:
	s_andn2_b64 vcc, exec, s[0:1]
	s_cbranch_vccnz .LBB432_1223
; %bb.1222:
	global_load_dword v1, v[2:3], off
	s_waitcnt vmcnt(0)
	v_cvt_i16_f16_e32 v4, v1
.LBB432_1223:
	s_mov_b64 s[0:1], 0
.LBB432_1224:
	s_andn2_b64 vcc, exec, s[0:1]
	s_cbranch_vccnz .LBB432_1235
; %bb.1225:
	s_cmp_lt_i32 s2, 6
	s_cbranch_scc1 .LBB432_1228
; %bb.1226:
	s_cmp_gt_i32 s2, 6
	s_cbranch_scc0 .LBB432_1229
; %bb.1227:
	global_load_dwordx2 v[4:5], v[2:3], off
	s_mov_b64 s[0:1], 0
	s_waitcnt vmcnt(0)
	v_cvt_i32_f64_e32 v4, v[4:5]
	s_branch .LBB432_1230
.LBB432_1228:
	s_mov_b64 s[0:1], -1
                                        ; implicit-def: $vgpr4
	s_branch .LBB432_1233
.LBB432_1229:
	s_mov_b64 s[0:1], -1
                                        ; implicit-def: $vgpr4
.LBB432_1230:
	s_andn2_b64 vcc, exec, s[0:1]
	s_cbranch_vccnz .LBB432_1232
; %bb.1231:
	global_load_dword v1, v[2:3], off
	s_waitcnt vmcnt(0)
	v_cvt_i32_f32_e32 v4, v1
.LBB432_1232:
	s_mov_b64 s[0:1], 0
.LBB432_1233:
	s_andn2_b64 vcc, exec, s[0:1]
	s_cbranch_vccnz .LBB432_1235
; %bb.1234:
	global_load_ushort v1, v[2:3], off
	s_waitcnt vmcnt(0)
	v_cvt_i16_f16_e32 v4, v1
.LBB432_1235:
	s_cbranch_execnz .LBB432_1255
.LBB432_1236:
	s_cmp_lt_i32 s2, 2
	s_cbranch_scc1 .LBB432_1240
; %bb.1237:
	s_cmp_lt_i32 s2, 3
	s_cbranch_scc1 .LBB432_1241
; %bb.1238:
	s_cmp_gt_i32 s2, 3
	s_cbranch_scc0 .LBB432_1242
; %bb.1239:
	global_load_dwordx2 v[4:5], v[2:3], off
	s_mov_b64 s[0:1], 0
	s_branch .LBB432_1243
.LBB432_1240:
	s_mov_b64 s[0:1], -1
                                        ; implicit-def: $vgpr4
	s_branch .LBB432_1249
.LBB432_1241:
	s_mov_b64 s[0:1], -1
                                        ; implicit-def: $vgpr4
	s_branch .LBB432_1246
.LBB432_1242:
	s_mov_b64 s[0:1], -1
                                        ; implicit-def: $vgpr4
.LBB432_1243:
	s_andn2_b64 vcc, exec, s[0:1]
	s_cbranch_vccnz .LBB432_1245
; %bb.1244:
	global_load_dword v4, v[2:3], off
.LBB432_1245:
	s_mov_b64 s[0:1], 0
.LBB432_1246:
	s_andn2_b64 vcc, exec, s[0:1]
	s_cbranch_vccnz .LBB432_1248
; %bb.1247:
	global_load_ushort v4, v[2:3], off
.LBB432_1248:
	s_mov_b64 s[0:1], 0
.LBB432_1249:
	s_andn2_b64 vcc, exec, s[0:1]
	s_cbranch_vccnz .LBB432_1255
; %bb.1250:
	s_cmp_gt_i32 s2, 0
	s_cbranch_scc0 .LBB432_1252
; %bb.1251:
	global_load_ubyte v4, v[2:3], off
	s_mov_b64 s[0:1], 0
	s_branch .LBB432_1253
.LBB432_1252:
	s_mov_b64 s[0:1], -1
                                        ; implicit-def: $vgpr4
.LBB432_1253:
	s_andn2_b64 vcc, exec, s[0:1]
	s_cbranch_vccnz .LBB432_1255
; %bb.1254:
	global_load_ubyte v4, v[2:3], off
.LBB432_1255:
.LBB432_1256:
	v_add_u32_e32 v0, s9, v0
	v_ashrrev_i32_e32 v1, 31, v0
	s_cmp_lt_i32 s20, 11
	v_lshl_add_u64 v[8:9], s[6:7], 0, v[0:1]
	s_cbranch_scc1 .LBB432_1263
; %bb.1257:
	s_and_b32 s21, 0xffff, s20
	s_cmp_gt_i32 s21, 25
	s_mov_b64 s[2:3], 0
	s_cbranch_scc0 .LBB432_1265
; %bb.1258:
	s_cmp_gt_i32 s21, 28
	s_cbranch_scc0 .LBB432_1266
; %bb.1259:
	s_cmp_gt_i32 s21, 43
	;; [unrolled: 3-line block ×3, first 2 shown]
	s_cbranch_scc0 .LBB432_1269
; %bb.1261:
	s_cmp_eq_u32 s21, 46
	s_mov_b64 s[18:19], 0
	s_cbranch_scc0 .LBB432_1270
; %bb.1262:
	global_load_dword v1, v[8:9], off
	s_mov_b64 s[0:1], 0
	s_mov_b64 s[16:17], -1
	s_waitcnt vmcnt(0)
	v_lshlrev_b32_e32 v1, 16, v1
	v_cvt_i32_f32_e32 v2, v1
	s_branch .LBB432_1271
.LBB432_1263:
	s_mov_b64 s[16:17], 0
                                        ; implicit-def: $vgpr2
	s_cbranch_execnz .LBB432_1333
.LBB432_1264:
	s_andn2_b64 vcc, exec, s[16:17]
	s_cbranch_vccnz .LBB432_1940
	s_branch .LBB432_1381
.LBB432_1265:
	s_mov_b64 s[18:19], -1
	s_mov_b64 s[16:17], 0
	s_mov_b64 s[0:1], 0
                                        ; implicit-def: $vgpr2
	s_branch .LBB432_1298
.LBB432_1266:
	s_mov_b64 s[18:19], -1
	s_mov_b64 s[16:17], 0
	s_mov_b64 s[0:1], 0
                                        ; implicit-def: $vgpr2
	s_branch .LBB432_1281
.LBB432_1267:
	s_mov_b64 s[18:19], -1
	s_mov_b64 s[16:17], 0
	s_mov_b64 s[0:1], 0
                                        ; implicit-def: $vgpr2
	s_branch .LBB432_1276
.LBB432_1268:
	s_trap 2
	s_or_b64 s[14:15], s[14:15], exec
	s_cbranch_execz .LBB432_1207
	s_branch .LBB432_1208
.LBB432_1269:
	s_mov_b64 s[18:19], -1
	s_mov_b64 s[16:17], 0
	s_mov_b64 s[0:1], 0
                                        ; implicit-def: $vgpr2
	s_branch .LBB432_1271
.LBB432_1270:
	s_mov_b64 s[0:1], -1
                                        ; implicit-def: $vgpr2
	s_mov_b64 s[16:17], 0
.LBB432_1271:
	s_and_b64 vcc, exec, s[18:19]
	s_cbranch_vccz .LBB432_1275
; %bb.1272:
	s_cmp_eq_u32 s21, 44
	s_cbranch_scc0 .LBB432_1274
; %bb.1273:
	global_load_ubyte v1, v[8:9], off
	s_mov_b64 s[0:1], 0
	s_mov_b64 s[16:17], -1
	s_waitcnt vmcnt(0)
	v_lshlrev_b32_e32 v2, 23, v1
	v_cvt_i32_f32_e32 v2, v2
	v_cmp_ne_u32_e32 vcc, 0, v1
	s_nop 1
	v_cndmask_b32_e32 v2, 0, v2, vcc
	s_branch .LBB432_1275
.LBB432_1274:
	s_mov_b64 s[0:1], -1
                                        ; implicit-def: $vgpr2
.LBB432_1275:
	s_mov_b64 s[18:19], 0
.LBB432_1276:
	s_and_b64 vcc, exec, s[18:19]
	s_cbranch_vccz .LBB432_1280
; %bb.1277:
	s_cmp_eq_u32 s21, 29
	s_cbranch_scc0 .LBB432_1279
; %bb.1278:
	global_load_dwordx2 v[2:3], v[8:9], off
	s_mov_b64 s[0:1], 0
	s_mov_b64 s[16:17], -1
	s_branch .LBB432_1280
.LBB432_1279:
	s_mov_b64 s[0:1], -1
                                        ; implicit-def: $vgpr2
.LBB432_1280:
	s_mov_b64 s[18:19], 0
.LBB432_1281:
	s_and_b64 vcc, exec, s[18:19]
	s_cbranch_vccz .LBB432_1297
; %bb.1282:
	s_cmp_lt_i32 s21, 27
	s_cbranch_scc1 .LBB432_1285
; %bb.1283:
	s_cmp_gt_i32 s21, 27
	s_cbranch_scc0 .LBB432_1286
; %bb.1284:
	global_load_dword v2, v[8:9], off
	s_mov_b64 s[16:17], 0
	s_branch .LBB432_1287
.LBB432_1285:
	s_mov_b64 s[16:17], -1
                                        ; implicit-def: $vgpr2
	s_branch .LBB432_1290
.LBB432_1286:
	s_mov_b64 s[16:17], -1
                                        ; implicit-def: $vgpr2
.LBB432_1287:
	s_andn2_b64 vcc, exec, s[16:17]
	s_cbranch_vccnz .LBB432_1289
; %bb.1288:
	global_load_ushort v2, v[8:9], off
.LBB432_1289:
	s_mov_b64 s[16:17], 0
.LBB432_1290:
	s_andn2_b64 vcc, exec, s[16:17]
	s_cbranch_vccnz .LBB432_1296
; %bb.1291:
	global_load_ubyte v1, v[8:9], off
	s_movk_i32 s16, 0x7f
	s_mov_b64 s[18:19], 0
	s_waitcnt vmcnt(0)
	v_cmp_lt_i16_e32 vcc, s16, v1
	s_and_saveexec_b64 s[16:17], vcc
	s_xor_b64 s[16:17], exec, s[16:17]
	s_cbranch_execz .LBB432_1308
; %bb.1292:
	s_movk_i32 s18, 0x80
	v_cmp_ne_u16_e32 vcc, s18, v1
	s_and_b64 s[18:19], vcc, exec
	s_andn2_saveexec_b64 s[16:17], s[16:17]
	s_cbranch_execnz .LBB432_1309
.LBB432_1293:
	s_or_b64 exec, exec, s[16:17]
	v_mov_b32_e32 v2, 0
	s_and_saveexec_b64 s[16:17], s[18:19]
	s_cbranch_execz .LBB432_1295
.LBB432_1294:
	v_lshlrev_b32_e32 v2, 24, v1
	v_and_b32_e32 v1, 0xffff, v1
	v_and_b32_e32 v3, 7, v1
	v_ffbh_u32_e32 v7, v3
	v_min_u32_e32 v7, 32, v7
	v_subrev_u32_e32 v11, 28, v7
	v_bfe_u32 v5, v1, 3, 4
	v_lshlrev_b32_e32 v1, v11, v1
	v_sub_u32_e32 v7, 29, v7
	v_and_b32_e32 v1, 7, v1
	v_cmp_eq_u32_e32 vcc, 0, v5
	v_and_b32_e32 v2, 0x80000000, v2
	s_nop 0
	v_cndmask_b32_e32 v5, v5, v7, vcc
	v_cndmask_b32_e32 v1, v3, v1, vcc
	v_mov_b32_e32 v3, 0x3b800000
	v_lshlrev_b32_e32 v1, 20, v1
	v_lshl_add_u32 v3, v5, 23, v3
	v_or3_b32 v1, v2, v3, v1
	v_cvt_i32_f32_e32 v2, v1
.LBB432_1295:
	s_or_b64 exec, exec, s[16:17]
.LBB432_1296:
	s_mov_b64 s[16:17], -1
.LBB432_1297:
	s_mov_b64 s[18:19], 0
.LBB432_1298:
	s_and_b64 vcc, exec, s[18:19]
	s_cbranch_vccz .LBB432_1329
; %bb.1299:
	s_cmp_gt_i32 s21, 22
	s_cbranch_scc0 .LBB432_1307
; %bb.1300:
	s_cmp_lt_i32 s21, 24
	s_cbranch_scc1 .LBB432_1310
; %bb.1301:
	s_cmp_gt_i32 s21, 24
	s_cbranch_scc0 .LBB432_1311
; %bb.1302:
	global_load_ubyte v1, v[8:9], off
	s_movk_i32 s2, 0x7f
	s_mov_b64 s[16:17], 0
	s_waitcnt vmcnt(0)
	v_cmp_lt_i16_e32 vcc, s2, v1
	s_and_saveexec_b64 s[2:3], vcc
	s_xor_b64 s[2:3], exec, s[2:3]
	s_cbranch_execz .LBB432_1323
; %bb.1303:
	s_movk_i32 s16, 0x80
	v_cmp_ne_u16_e32 vcc, s16, v1
	s_and_b64 s[16:17], vcc, exec
	s_andn2_saveexec_b64 s[2:3], s[2:3]
	s_cbranch_execnz .LBB432_1324
.LBB432_1304:
	s_or_b64 exec, exec, s[2:3]
	v_mov_b32_e32 v2, 0
	s_and_saveexec_b64 s[2:3], s[16:17]
	s_cbranch_execz .LBB432_1306
.LBB432_1305:
	v_lshlrev_b32_e32 v2, 24, v1
	v_and_b32_e32 v1, 0xffff, v1
	v_and_b32_e32 v3, 3, v1
	v_ffbh_u32_e32 v7, v3
	v_min_u32_e32 v7, 32, v7
	v_subrev_u32_e32 v11, 29, v7
	v_bfe_u32 v5, v1, 2, 5
	v_lshlrev_b32_e32 v1, v11, v1
	v_sub_u32_e32 v7, 30, v7
	v_and_b32_e32 v1, 3, v1
	v_cmp_eq_u32_e32 vcc, 0, v5
	v_and_b32_e32 v2, 0x80000000, v2
	s_nop 0
	v_cndmask_b32_e32 v5, v5, v7, vcc
	v_cndmask_b32_e32 v1, v3, v1, vcc
	v_mov_b32_e32 v3, 0x37800000
	v_lshlrev_b32_e32 v1, 21, v1
	v_lshl_add_u32 v3, v5, 23, v3
	v_or3_b32 v1, v2, v3, v1
	v_cvt_i32_f32_e32 v2, v1
.LBB432_1306:
	s_or_b64 exec, exec, s[2:3]
	s_mov_b64 s[2:3], 0
	s_branch .LBB432_1312
.LBB432_1307:
	s_mov_b64 s[2:3], -1
                                        ; implicit-def: $vgpr2
	s_branch .LBB432_1318
.LBB432_1308:
	s_andn2_saveexec_b64 s[16:17], s[16:17]
	s_cbranch_execz .LBB432_1293
.LBB432_1309:
	v_cmp_ne_u16_e32 vcc, 0, v1
	s_andn2_b64 s[18:19], s[18:19], exec
	s_and_b64 s[22:23], vcc, exec
	s_or_b64 s[18:19], s[18:19], s[22:23]
	s_or_b64 exec, exec, s[16:17]
	v_mov_b32_e32 v2, 0
	s_and_saveexec_b64 s[16:17], s[18:19]
	s_cbranch_execnz .LBB432_1294
	s_branch .LBB432_1295
.LBB432_1310:
	s_mov_b64 s[2:3], -1
                                        ; implicit-def: $vgpr2
	s_branch .LBB432_1315
.LBB432_1311:
	s_mov_b64 s[2:3], -1
                                        ; implicit-def: $vgpr2
.LBB432_1312:
	s_and_b64 vcc, exec, s[2:3]
	s_cbranch_vccz .LBB432_1314
; %bb.1313:
	global_load_ubyte v1, v[8:9], off
	s_mov_b32 s2, 0x7f800000
	s_waitcnt vmcnt(0)
	v_lshlrev_b32_e32 v1, 24, v1
	v_and_b32_e32 v2, 0x7f000000, v1
	v_ffbh_u32_e32 v3, v2
	v_min_u32_e32 v3, 32, v3
	v_sub_u32_e64 v3, v3, 4 clamp
	v_lshlrev_b32_e32 v7, v3, v2
	v_lshlrev_b32_e32 v3, 23, v3
	v_lshrrev_b32_e32 v7, 4, v7
	v_add_u32_e32 v5, 0x1000000, v2
	v_sub_u32_e32 v3, v7, v3
	v_ashrrev_i32_e32 v5, 8, v5
	v_add_u32_e32 v3, 0x3c000000, v3
	v_and_or_b32 v3, v5, s2, v3
	v_cmp_ne_u32_e32 vcc, 0, v2
	s_brev_b32 s2, 1
	s_nop 0
	v_cndmask_b32_e32 v2, 0, v3, vcc
	v_and_or_b32 v1, v1, s2, v2
	v_cvt_i32_f32_e32 v2, v1
.LBB432_1314:
	s_mov_b64 s[2:3], 0
.LBB432_1315:
	s_andn2_b64 vcc, exec, s[2:3]
	s_cbranch_vccnz .LBB432_1317
; %bb.1316:
	global_load_ubyte v1, v[8:9], off
	s_movk_i32 s2, 0x7f00
	s_brev_b32 s3, 16
	s_waitcnt vmcnt(0)
	v_lshlrev_b16_e32 v2, 8, v1
	v_lshlrev_b32_e32 v1, 25, v1
	v_lshrrev_b32_e32 v3, 4, v1
	v_and_or_b32 v5, v2, s2, 0.5
	v_or_b32_e32 v3, 0x70000000, v3
	v_add_f32_e32 v5, -0.5, v5
	v_mul_f32_e32 v3, 0x7800000, v3
	v_cmp_gt_u32_e32 vcc, s3, v1
	v_bfe_i32 v2, v2, 0, 16
	s_brev_b32 s2, 1
	v_cndmask_b32_e32 v1, v3, v5, vcc
	v_and_or_b32 v1, v2, s2, v1
	v_cvt_i32_f32_e32 v2, v1
.LBB432_1317:
	s_mov_b64 s[2:3], 0
	s_mov_b64 s[16:17], -1
.LBB432_1318:
	s_andn2_b64 vcc, exec, s[2:3]
	s_mov_b64 s[2:3], 0
	s_cbranch_vccnz .LBB432_1329
; %bb.1319:
	s_cmp_gt_i32 s21, 14
	s_cbranch_scc0 .LBB432_1322
; %bb.1320:
	s_cmp_eq_u32 s21, 15
	s_cbranch_scc0 .LBB432_1325
; %bb.1321:
	global_load_ushort v1, v[8:9], off
	s_mov_b64 s[0:1], 0
	s_mov_b64 s[16:17], -1
	s_waitcnt vmcnt(0)
	v_lshlrev_b32_e32 v1, 16, v1
	v_cvt_i32_f32_e32 v2, v1
	s_branch .LBB432_1326
.LBB432_1322:
	s_mov_b64 s[18:19], -1
                                        ; implicit-def: $vgpr2
	s_branch .LBB432_1327
.LBB432_1323:
	s_andn2_saveexec_b64 s[2:3], s[2:3]
	s_cbranch_execz .LBB432_1304
.LBB432_1324:
	v_cmp_ne_u16_e32 vcc, 0, v1
	s_andn2_b64 s[16:17], s[16:17], exec
	s_and_b64 s[18:19], vcc, exec
	s_or_b64 s[16:17], s[16:17], s[18:19]
	s_or_b64 exec, exec, s[2:3]
	v_mov_b32_e32 v2, 0
	s_and_saveexec_b64 s[2:3], s[16:17]
	s_cbranch_execnz .LBB432_1305
	s_branch .LBB432_1306
.LBB432_1325:
	s_mov_b64 s[0:1], -1
                                        ; implicit-def: $vgpr2
.LBB432_1326:
	s_mov_b64 s[18:19], 0
.LBB432_1327:
	s_and_b64 vcc, exec, s[18:19]
	s_cbranch_vccz .LBB432_1329
; %bb.1328:
	s_cmp_lg_u32 s21, 11
	s_mov_b64 s[2:3], -1
	s_cselect_b64 s[0:1], -1, 0
.LBB432_1329:
	s_and_b64 vcc, exec, s[0:1]
	s_cbranch_vccnz .LBB432_1392
; %bb.1330:
	s_andn2_b64 vcc, exec, s[2:3]
	s_cbranch_vccnz .LBB432_1332
.LBB432_1331:
	global_load_ubyte v1, v[8:9], off
	s_mov_b64 s[16:17], -1
	s_waitcnt vmcnt(0)
	v_cmp_ne_u16_e32 vcc, 0, v1
	s_nop 1
	v_cndmask_b32_e64 v2, 0, 1, vcc
.LBB432_1332:
	s_branch .LBB432_1264
.LBB432_1333:
	s_and_b32 s2, 0xffff, s20
	s_cmp_lt_i32 s2, 5
	s_cbranch_scc1 .LBB432_1338
; %bb.1334:
	s_cmp_lt_i32 s2, 8
	s_cbranch_scc1 .LBB432_1339
; %bb.1335:
	s_cmp_lt_i32 s2, 9
	s_cbranch_scc1 .LBB432_1340
; %bb.1336:
	s_cmp_gt_i32 s2, 9
	s_cbranch_scc0 .LBB432_1341
; %bb.1337:
	global_load_dwordx2 v[2:3], v[8:9], off
	s_mov_b64 s[0:1], 0
	s_waitcnt vmcnt(0)
	v_cvt_i32_f64_e32 v2, v[2:3]
	s_branch .LBB432_1342
.LBB432_1338:
	s_mov_b64 s[0:1], -1
                                        ; implicit-def: $vgpr2
	s_branch .LBB432_1360
.LBB432_1339:
	s_mov_b64 s[0:1], -1
                                        ; implicit-def: $vgpr2
	s_branch .LBB432_1348
.LBB432_1340:
	s_mov_b64 s[0:1], -1
                                        ; implicit-def: $vgpr2
	s_branch .LBB432_1345
.LBB432_1341:
	s_mov_b64 s[0:1], -1
                                        ; implicit-def: $vgpr2
.LBB432_1342:
	s_andn2_b64 vcc, exec, s[0:1]
	s_cbranch_vccnz .LBB432_1344
; %bb.1343:
	global_load_dword v1, v[8:9], off
	s_waitcnt vmcnt(0)
	v_cvt_i32_f32_e32 v2, v1
.LBB432_1344:
	s_mov_b64 s[0:1], 0
.LBB432_1345:
	s_andn2_b64 vcc, exec, s[0:1]
	s_cbranch_vccnz .LBB432_1347
; %bb.1346:
	global_load_dword v1, v[8:9], off
	s_waitcnt vmcnt(0)
	v_cvt_i16_f16_e32 v2, v1
.LBB432_1347:
	s_mov_b64 s[0:1], 0
.LBB432_1348:
	s_andn2_b64 vcc, exec, s[0:1]
	s_cbranch_vccnz .LBB432_1359
; %bb.1349:
	s_cmp_lt_i32 s2, 6
	s_cbranch_scc1 .LBB432_1352
; %bb.1350:
	s_cmp_gt_i32 s2, 6
	s_cbranch_scc0 .LBB432_1353
; %bb.1351:
	global_load_dwordx2 v[2:3], v[8:9], off
	s_mov_b64 s[0:1], 0
	s_waitcnt vmcnt(0)
	v_cvt_i32_f64_e32 v2, v[2:3]
	s_branch .LBB432_1354
.LBB432_1352:
	s_mov_b64 s[0:1], -1
                                        ; implicit-def: $vgpr2
	s_branch .LBB432_1357
.LBB432_1353:
	s_mov_b64 s[0:1], -1
                                        ; implicit-def: $vgpr2
.LBB432_1354:
	s_andn2_b64 vcc, exec, s[0:1]
	s_cbranch_vccnz .LBB432_1356
; %bb.1355:
	global_load_dword v1, v[8:9], off
	s_waitcnt vmcnt(0)
	v_cvt_i32_f32_e32 v2, v1
.LBB432_1356:
	s_mov_b64 s[0:1], 0
.LBB432_1357:
	s_andn2_b64 vcc, exec, s[0:1]
	s_cbranch_vccnz .LBB432_1359
; %bb.1358:
	global_load_ushort v1, v[8:9], off
	s_waitcnt vmcnt(0)
	v_cvt_i16_f16_e32 v2, v1
.LBB432_1359:
	s_mov_b64 s[0:1], 0
.LBB432_1360:
	s_andn2_b64 vcc, exec, s[0:1]
	s_cbranch_vccnz .LBB432_1380
; %bb.1361:
	s_cmp_lt_i32 s2, 2
	s_cbranch_scc1 .LBB432_1365
; %bb.1362:
	s_cmp_lt_i32 s2, 3
	s_cbranch_scc1 .LBB432_1366
; %bb.1363:
	s_cmp_gt_i32 s2, 3
	s_cbranch_scc0 .LBB432_1367
; %bb.1364:
	global_load_dwordx2 v[2:3], v[8:9], off
	s_mov_b64 s[0:1], 0
	s_branch .LBB432_1368
.LBB432_1365:
	s_mov_b64 s[0:1], -1
                                        ; implicit-def: $vgpr2
	s_branch .LBB432_1374
.LBB432_1366:
	s_mov_b64 s[0:1], -1
                                        ; implicit-def: $vgpr2
	s_branch .LBB432_1371
.LBB432_1367:
	s_mov_b64 s[0:1], -1
                                        ; implicit-def: $vgpr2
.LBB432_1368:
	s_andn2_b64 vcc, exec, s[0:1]
	s_cbranch_vccnz .LBB432_1370
; %bb.1369:
	global_load_dword v2, v[8:9], off
.LBB432_1370:
	s_mov_b64 s[0:1], 0
.LBB432_1371:
	s_andn2_b64 vcc, exec, s[0:1]
	s_cbranch_vccnz .LBB432_1373
; %bb.1372:
	global_load_ushort v2, v[8:9], off
.LBB432_1373:
	s_mov_b64 s[0:1], 0
.LBB432_1374:
	s_andn2_b64 vcc, exec, s[0:1]
	s_cbranch_vccnz .LBB432_1380
; %bb.1375:
	s_cmp_gt_i32 s2, 0
	s_cbranch_scc0 .LBB432_1377
; %bb.1376:
	global_load_ubyte v2, v[8:9], off
	s_mov_b64 s[0:1], 0
	s_branch .LBB432_1378
.LBB432_1377:
	s_mov_b64 s[0:1], -1
                                        ; implicit-def: $vgpr2
.LBB432_1378:
	s_andn2_b64 vcc, exec, s[0:1]
	s_cbranch_vccnz .LBB432_1380
; %bb.1379:
	global_load_ubyte v2, v[8:9], off
.LBB432_1380:
.LBB432_1381:
	v_add_u32_e32 v0, s9, v0
	v_ashrrev_i32_e32 v1, 31, v0
	s_cmp_lt_i32 s20, 11
	v_lshl_add_u64 v[8:9], s[6:7], 0, v[0:1]
	s_cbranch_scc1 .LBB432_1388
; %bb.1382:
	s_and_b32 s9, 0xffff, s20
	s_cmp_gt_i32 s9, 25
	s_mov_b64 s[2:3], 0
	s_cbranch_scc0 .LBB432_1389
; %bb.1383:
	s_cmp_gt_i32 s9, 28
	s_cbranch_scc0 .LBB432_1390
; %bb.1384:
	s_cmp_gt_i32 s9, 43
	;; [unrolled: 3-line block ×3, first 2 shown]
	s_cbranch_scc0 .LBB432_1393
; %bb.1386:
	s_cmp_eq_u32 s9, 46
	s_mov_b64 s[16:17], 0
	s_cbranch_scc0 .LBB432_1394
; %bb.1387:
	global_load_dword v0, v[8:9], off
	s_mov_b64 s[0:1], 0
	s_mov_b64 s[6:7], -1
	s_waitcnt vmcnt(0)
	v_lshlrev_b32_e32 v0, 16, v0
	v_cvt_i32_f32_e32 v0, v0
	s_branch .LBB432_1395
.LBB432_1388:
	s_mov_b64 s[0:1], -1
	s_mov_b64 s[6:7], 0
                                        ; implicit-def: $vgpr0
	s_branch .LBB432_1457
.LBB432_1389:
	s_mov_b64 s[16:17], -1
	s_mov_b64 s[6:7], 0
	s_mov_b64 s[0:1], 0
                                        ; implicit-def: $vgpr0
	s_branch .LBB432_1422
.LBB432_1390:
	s_mov_b64 s[16:17], -1
	s_mov_b64 s[6:7], 0
	s_mov_b64 s[0:1], 0
                                        ; implicit-def: $vgpr0
	s_branch .LBB432_1405
.LBB432_1391:
	s_mov_b64 s[16:17], -1
	s_mov_b64 s[6:7], 0
	s_mov_b64 s[0:1], 0
                                        ; implicit-def: $vgpr0
	s_branch .LBB432_1400
.LBB432_1392:
	s_trap 2
	s_or_b64 s[14:15], s[14:15], exec
	s_cbranch_execz .LBB432_1331
	s_branch .LBB432_1332
.LBB432_1393:
	s_mov_b64 s[16:17], -1
	s_mov_b64 s[6:7], 0
	s_mov_b64 s[0:1], 0
                                        ; implicit-def: $vgpr0
	s_branch .LBB432_1395
.LBB432_1394:
	s_mov_b64 s[0:1], -1
                                        ; implicit-def: $vgpr0
	s_mov_b64 s[6:7], 0
.LBB432_1395:
	s_and_b64 vcc, exec, s[16:17]
	s_cbranch_vccz .LBB432_1399
; %bb.1396:
	s_cmp_eq_u32 s9, 44
	s_cbranch_scc0 .LBB432_1398
; %bb.1397:
	global_load_ubyte v0, v[8:9], off
	s_mov_b64 s[0:1], 0
	s_mov_b64 s[6:7], -1
	s_waitcnt vmcnt(0)
	v_lshlrev_b32_e32 v1, 23, v0
	v_cvt_i32_f32_e32 v1, v1
	v_cmp_ne_u32_e32 vcc, 0, v0
	s_nop 1
	v_cndmask_b32_e32 v0, 0, v1, vcc
	s_branch .LBB432_1399
.LBB432_1398:
	s_mov_b64 s[0:1], -1
                                        ; implicit-def: $vgpr0
.LBB432_1399:
	s_mov_b64 s[16:17], 0
.LBB432_1400:
	s_and_b64 vcc, exec, s[16:17]
	s_cbranch_vccz .LBB432_1404
; %bb.1401:
	s_cmp_eq_u32 s9, 29
	s_cbranch_scc0 .LBB432_1403
; %bb.1402:
	global_load_dwordx2 v[0:1], v[8:9], off
	s_mov_b64 s[0:1], 0
	s_mov_b64 s[6:7], -1
	s_branch .LBB432_1404
.LBB432_1403:
	s_mov_b64 s[0:1], -1
                                        ; implicit-def: $vgpr0
.LBB432_1404:
	s_mov_b64 s[16:17], 0
.LBB432_1405:
	s_and_b64 vcc, exec, s[16:17]
	s_cbranch_vccz .LBB432_1421
; %bb.1406:
	s_cmp_lt_i32 s9, 27
	s_cbranch_scc1 .LBB432_1409
; %bb.1407:
	s_cmp_gt_i32 s9, 27
	s_cbranch_scc0 .LBB432_1410
; %bb.1408:
	global_load_dword v0, v[8:9], off
	s_mov_b64 s[6:7], 0
	s_branch .LBB432_1411
.LBB432_1409:
	s_mov_b64 s[6:7], -1
                                        ; implicit-def: $vgpr0
	s_branch .LBB432_1414
.LBB432_1410:
	s_mov_b64 s[6:7], -1
                                        ; implicit-def: $vgpr0
.LBB432_1411:
	s_andn2_b64 vcc, exec, s[6:7]
	s_cbranch_vccnz .LBB432_1413
; %bb.1412:
	global_load_ushort v0, v[8:9], off
.LBB432_1413:
	s_mov_b64 s[6:7], 0
.LBB432_1414:
	s_andn2_b64 vcc, exec, s[6:7]
	s_cbranch_vccnz .LBB432_1420
; %bb.1415:
	global_load_ubyte v1, v[8:9], off
	s_movk_i32 s6, 0x7f
	s_mov_b64 s[16:17], 0
	s_waitcnt vmcnt(0)
	v_cmp_lt_i16_e32 vcc, s6, v1
	s_and_saveexec_b64 s[6:7], vcc
	s_xor_b64 s[6:7], exec, s[6:7]
	s_cbranch_execz .LBB432_1432
; %bb.1416:
	s_movk_i32 s16, 0x80
	v_cmp_ne_u16_e32 vcc, s16, v1
	s_and_b64 s[16:17], vcc, exec
	s_andn2_saveexec_b64 s[6:7], s[6:7]
	s_cbranch_execnz .LBB432_1433
.LBB432_1417:
	s_or_b64 exec, exec, s[6:7]
	v_mov_b32_e32 v0, 0
	s_and_saveexec_b64 s[6:7], s[16:17]
	s_cbranch_execz .LBB432_1419
.LBB432_1418:
	v_lshlrev_b32_e32 v0, 24, v1
	v_and_b32_e32 v1, 0xffff, v1
	v_and_b32_e32 v3, 7, v1
	v_ffbh_u32_e32 v7, v3
	v_min_u32_e32 v7, 32, v7
	v_subrev_u32_e32 v11, 28, v7
	v_bfe_u32 v5, v1, 3, 4
	v_lshlrev_b32_e32 v1, v11, v1
	v_sub_u32_e32 v7, 29, v7
	v_and_b32_e32 v1, 7, v1
	v_cmp_eq_u32_e32 vcc, 0, v5
	v_and_b32_e32 v0, 0x80000000, v0
	s_nop 0
	v_cndmask_b32_e32 v5, v5, v7, vcc
	v_cndmask_b32_e32 v1, v3, v1, vcc
	v_mov_b32_e32 v3, 0x3b800000
	v_lshlrev_b32_e32 v1, 20, v1
	v_lshl_add_u32 v3, v5, 23, v3
	v_or3_b32 v0, v0, v3, v1
	v_cvt_i32_f32_e32 v0, v0
.LBB432_1419:
	s_or_b64 exec, exec, s[6:7]
.LBB432_1420:
	s_mov_b64 s[6:7], -1
.LBB432_1421:
	s_mov_b64 s[16:17], 0
.LBB432_1422:
	s_and_b64 vcc, exec, s[16:17]
	s_cbranch_vccz .LBB432_1453
; %bb.1423:
	s_cmp_gt_i32 s9, 22
	s_cbranch_scc0 .LBB432_1431
; %bb.1424:
	s_cmp_lt_i32 s9, 24
	s_cbranch_scc1 .LBB432_1434
; %bb.1425:
	s_cmp_gt_i32 s9, 24
	s_cbranch_scc0 .LBB432_1435
; %bb.1426:
	global_load_ubyte v1, v[8:9], off
	s_movk_i32 s2, 0x7f
	s_mov_b64 s[6:7], 0
	s_waitcnt vmcnt(0)
	v_cmp_lt_i16_e32 vcc, s2, v1
	s_and_saveexec_b64 s[2:3], vcc
	s_xor_b64 s[2:3], exec, s[2:3]
	s_cbranch_execz .LBB432_1447
; %bb.1427:
	s_movk_i32 s6, 0x80
	v_cmp_ne_u16_e32 vcc, s6, v1
	s_and_b64 s[6:7], vcc, exec
	s_andn2_saveexec_b64 s[2:3], s[2:3]
	s_cbranch_execnz .LBB432_1448
.LBB432_1428:
	s_or_b64 exec, exec, s[2:3]
	v_mov_b32_e32 v0, 0
	s_and_saveexec_b64 s[2:3], s[6:7]
	s_cbranch_execz .LBB432_1430
.LBB432_1429:
	v_lshlrev_b32_e32 v0, 24, v1
	v_and_b32_e32 v1, 0xffff, v1
	v_and_b32_e32 v3, 3, v1
	v_ffbh_u32_e32 v7, v3
	v_min_u32_e32 v7, 32, v7
	v_subrev_u32_e32 v11, 29, v7
	v_bfe_u32 v5, v1, 2, 5
	v_lshlrev_b32_e32 v1, v11, v1
	v_sub_u32_e32 v7, 30, v7
	v_and_b32_e32 v1, 3, v1
	v_cmp_eq_u32_e32 vcc, 0, v5
	v_and_b32_e32 v0, 0x80000000, v0
	s_nop 0
	v_cndmask_b32_e32 v5, v5, v7, vcc
	v_cndmask_b32_e32 v1, v3, v1, vcc
	v_mov_b32_e32 v3, 0x37800000
	v_lshlrev_b32_e32 v1, 21, v1
	v_lshl_add_u32 v3, v5, 23, v3
	v_or3_b32 v0, v0, v3, v1
	v_cvt_i32_f32_e32 v0, v0
.LBB432_1430:
	s_or_b64 exec, exec, s[2:3]
	s_mov_b64 s[2:3], 0
	s_branch .LBB432_1436
.LBB432_1431:
	s_mov_b64 s[2:3], -1
                                        ; implicit-def: $vgpr0
	s_branch .LBB432_1442
.LBB432_1432:
	s_andn2_saveexec_b64 s[6:7], s[6:7]
	s_cbranch_execz .LBB432_1417
.LBB432_1433:
	v_cmp_ne_u16_e32 vcc, 0, v1
	s_andn2_b64 s[16:17], s[16:17], exec
	s_and_b64 s[18:19], vcc, exec
	s_or_b64 s[16:17], s[16:17], s[18:19]
	s_or_b64 exec, exec, s[6:7]
	v_mov_b32_e32 v0, 0
	s_and_saveexec_b64 s[6:7], s[16:17]
	s_cbranch_execnz .LBB432_1418
	s_branch .LBB432_1419
.LBB432_1434:
	s_mov_b64 s[2:3], -1
                                        ; implicit-def: $vgpr0
	s_branch .LBB432_1439
.LBB432_1435:
	s_mov_b64 s[2:3], -1
                                        ; implicit-def: $vgpr0
.LBB432_1436:
	s_and_b64 vcc, exec, s[2:3]
	s_cbranch_vccz .LBB432_1438
; %bb.1437:
	global_load_ubyte v0, v[8:9], off
	s_mov_b32 s2, 0x7f800000
	s_waitcnt vmcnt(0)
	v_lshlrev_b32_e32 v0, 24, v0
	v_and_b32_e32 v1, 0x7f000000, v0
	v_ffbh_u32_e32 v3, v1
	v_min_u32_e32 v3, 32, v3
	v_sub_u32_e64 v3, v3, 4 clamp
	v_lshlrev_b32_e32 v7, v3, v1
	v_lshlrev_b32_e32 v3, 23, v3
	v_lshrrev_b32_e32 v7, 4, v7
	v_add_u32_e32 v5, 0x1000000, v1
	v_sub_u32_e32 v3, v7, v3
	v_ashrrev_i32_e32 v5, 8, v5
	v_add_u32_e32 v3, 0x3c000000, v3
	v_and_or_b32 v3, v5, s2, v3
	v_cmp_ne_u32_e32 vcc, 0, v1
	s_brev_b32 s2, 1
	s_nop 0
	v_cndmask_b32_e32 v1, 0, v3, vcc
	v_and_or_b32 v0, v0, s2, v1
	v_cvt_i32_f32_e32 v0, v0
.LBB432_1438:
	s_mov_b64 s[2:3], 0
.LBB432_1439:
	s_andn2_b64 vcc, exec, s[2:3]
	s_cbranch_vccnz .LBB432_1441
; %bb.1440:
	global_load_ubyte v0, v[8:9], off
	s_movk_i32 s2, 0x7f00
	s_brev_b32 s3, 16
	s_waitcnt vmcnt(0)
	v_lshlrev_b16_e32 v1, 8, v0
	v_lshlrev_b32_e32 v0, 25, v0
	v_lshrrev_b32_e32 v3, 4, v0
	v_and_or_b32 v5, v1, s2, 0.5
	v_or_b32_e32 v3, 0x70000000, v3
	v_add_f32_e32 v5, -0.5, v5
	v_mul_f32_e32 v3, 0x7800000, v3
	v_cmp_gt_u32_e32 vcc, s3, v0
	v_bfe_i32 v1, v1, 0, 16
	s_brev_b32 s2, 1
	v_cndmask_b32_e32 v0, v3, v5, vcc
	v_and_or_b32 v0, v1, s2, v0
	v_cvt_i32_f32_e32 v0, v0
.LBB432_1441:
	s_mov_b64 s[2:3], 0
	s_mov_b64 s[6:7], -1
.LBB432_1442:
	s_andn2_b64 vcc, exec, s[2:3]
	s_mov_b64 s[2:3], 0
	s_cbranch_vccnz .LBB432_1453
; %bb.1443:
	s_cmp_gt_i32 s9, 14
	s_cbranch_scc0 .LBB432_1446
; %bb.1444:
	s_cmp_eq_u32 s9, 15
	s_cbranch_scc0 .LBB432_1449
; %bb.1445:
	global_load_ushort v0, v[8:9], off
	s_mov_b64 s[0:1], 0
	s_mov_b64 s[6:7], -1
	s_waitcnt vmcnt(0)
	v_lshlrev_b32_e32 v0, 16, v0
	v_cvt_i32_f32_e32 v0, v0
	s_branch .LBB432_1450
.LBB432_1446:
	s_mov_b64 s[16:17], -1
                                        ; implicit-def: $vgpr0
	s_branch .LBB432_1451
.LBB432_1447:
	s_andn2_saveexec_b64 s[2:3], s[2:3]
	s_cbranch_execz .LBB432_1428
.LBB432_1448:
	v_cmp_ne_u16_e32 vcc, 0, v1
	s_andn2_b64 s[6:7], s[6:7], exec
	s_and_b64 s[16:17], vcc, exec
	s_or_b64 s[6:7], s[6:7], s[16:17]
	s_or_b64 exec, exec, s[2:3]
	v_mov_b32_e32 v0, 0
	s_and_saveexec_b64 s[2:3], s[6:7]
	s_cbranch_execnz .LBB432_1429
	s_branch .LBB432_1430
.LBB432_1449:
	s_mov_b64 s[0:1], -1
                                        ; implicit-def: $vgpr0
.LBB432_1450:
	s_mov_b64 s[16:17], 0
.LBB432_1451:
	s_and_b64 vcc, exec, s[16:17]
	s_cbranch_vccz .LBB432_1453
; %bb.1452:
	s_cmp_lg_u32 s9, 11
	s_mov_b64 s[2:3], -1
	s_cselect_b64 s[0:1], -1, 0
.LBB432_1453:
	s_and_b64 vcc, exec, s[0:1]
	s_cbranch_vccnz .LBB432_1986
; %bb.1454:
	s_andn2_b64 vcc, exec, s[2:3]
	s_cbranch_vccnz .LBB432_1456
.LBB432_1455:
	global_load_ubyte v0, v[8:9], off
	s_mov_b64 s[6:7], -1
	s_waitcnt vmcnt(0)
	v_cmp_ne_u16_e32 vcc, 0, v0
	s_nop 1
	v_cndmask_b32_e64 v0, 0, 1, vcc
.LBB432_1456:
	s_mov_b64 s[0:1], 0
.LBB432_1457:
	s_and_b64 vcc, exec, s[0:1]
	s_cbranch_vccz .LBB432_1506
; %bb.1458:
	s_and_b32 s2, 0xffff, s20
	s_cmp_lt_i32 s2, 5
	s_cbranch_scc1 .LBB432_1463
; %bb.1459:
	s_cmp_lt_i32 s2, 8
	s_cbranch_scc1 .LBB432_1464
; %bb.1460:
	;; [unrolled: 3-line block ×3, first 2 shown]
	s_cmp_gt_i32 s2, 9
	s_cbranch_scc0 .LBB432_1466
; %bb.1462:
	global_load_dwordx2 v[0:1], v[8:9], off
	s_mov_b64 s[0:1], 0
	s_waitcnt vmcnt(0)
	v_cvt_i32_f64_e32 v0, v[0:1]
	s_branch .LBB432_1467
.LBB432_1463:
	s_mov_b64 s[0:1], -1
                                        ; implicit-def: $vgpr0
	s_branch .LBB432_1485
.LBB432_1464:
	s_mov_b64 s[0:1], -1
                                        ; implicit-def: $vgpr0
	s_branch .LBB432_1473
.LBB432_1465:
	s_mov_b64 s[0:1], -1
                                        ; implicit-def: $vgpr0
	s_branch .LBB432_1470
.LBB432_1466:
	s_mov_b64 s[0:1], -1
                                        ; implicit-def: $vgpr0
.LBB432_1467:
	s_andn2_b64 vcc, exec, s[0:1]
	s_cbranch_vccnz .LBB432_1469
; %bb.1468:
	global_load_dword v0, v[8:9], off
	s_waitcnt vmcnt(0)
	v_cvt_i32_f32_e32 v0, v0
.LBB432_1469:
	s_mov_b64 s[0:1], 0
.LBB432_1470:
	s_andn2_b64 vcc, exec, s[0:1]
	s_cbranch_vccnz .LBB432_1472
; %bb.1471:
	global_load_dword v0, v[8:9], off
	s_waitcnt vmcnt(0)
	v_cvt_i16_f16_e32 v0, v0
.LBB432_1472:
	s_mov_b64 s[0:1], 0
.LBB432_1473:
	s_andn2_b64 vcc, exec, s[0:1]
	s_cbranch_vccnz .LBB432_1484
; %bb.1474:
	s_cmp_lt_i32 s2, 6
	s_cbranch_scc1 .LBB432_1477
; %bb.1475:
	s_cmp_gt_i32 s2, 6
	s_cbranch_scc0 .LBB432_1478
; %bb.1476:
	global_load_dwordx2 v[0:1], v[8:9], off
	s_mov_b64 s[0:1], 0
	s_waitcnt vmcnt(0)
	v_cvt_i32_f64_e32 v0, v[0:1]
	s_branch .LBB432_1479
.LBB432_1477:
	s_mov_b64 s[0:1], -1
                                        ; implicit-def: $vgpr0
	s_branch .LBB432_1482
.LBB432_1478:
	s_mov_b64 s[0:1], -1
                                        ; implicit-def: $vgpr0
.LBB432_1479:
	s_andn2_b64 vcc, exec, s[0:1]
	s_cbranch_vccnz .LBB432_1481
; %bb.1480:
	global_load_dword v0, v[8:9], off
	s_waitcnt vmcnt(0)
	v_cvt_i32_f32_e32 v0, v0
.LBB432_1481:
	s_mov_b64 s[0:1], 0
.LBB432_1482:
	s_andn2_b64 vcc, exec, s[0:1]
	s_cbranch_vccnz .LBB432_1484
; %bb.1483:
	global_load_ushort v0, v[8:9], off
	s_waitcnt vmcnt(0)
	v_cvt_i16_f16_e32 v0, v0
.LBB432_1484:
	s_mov_b64 s[0:1], 0
.LBB432_1485:
	s_andn2_b64 vcc, exec, s[0:1]
	s_cbranch_vccnz .LBB432_1505
; %bb.1486:
	s_cmp_lt_i32 s2, 2
	s_cbranch_scc1 .LBB432_1490
; %bb.1487:
	s_cmp_lt_i32 s2, 3
	s_cbranch_scc1 .LBB432_1491
; %bb.1488:
	s_cmp_gt_i32 s2, 3
	s_cbranch_scc0 .LBB432_1492
; %bb.1489:
	global_load_dwordx2 v[0:1], v[8:9], off
	s_mov_b64 s[0:1], 0
	s_branch .LBB432_1493
.LBB432_1490:
	s_mov_b64 s[0:1], -1
                                        ; implicit-def: $vgpr0
	s_branch .LBB432_1499
.LBB432_1491:
	s_mov_b64 s[0:1], -1
                                        ; implicit-def: $vgpr0
	s_branch .LBB432_1496
.LBB432_1492:
	s_mov_b64 s[0:1], -1
                                        ; implicit-def: $vgpr0
.LBB432_1493:
	s_andn2_b64 vcc, exec, s[0:1]
	s_cbranch_vccnz .LBB432_1495
; %bb.1494:
	global_load_dword v0, v[8:9], off
.LBB432_1495:
	s_mov_b64 s[0:1], 0
.LBB432_1496:
	s_andn2_b64 vcc, exec, s[0:1]
	s_cbranch_vccnz .LBB432_1498
; %bb.1497:
	global_load_ushort v0, v[8:9], off
.LBB432_1498:
	s_mov_b64 s[0:1], 0
.LBB432_1499:
	s_andn2_b64 vcc, exec, s[0:1]
	s_cbranch_vccnz .LBB432_1505
; %bb.1500:
	s_cmp_gt_i32 s2, 0
	s_cbranch_scc0 .LBB432_1502
; %bb.1501:
	global_load_ubyte v0, v[8:9], off
	s_mov_b64 s[0:1], 0
	s_branch .LBB432_1503
.LBB432_1502:
	s_mov_b64 s[0:1], -1
                                        ; implicit-def: $vgpr0
.LBB432_1503:
	s_andn2_b64 vcc, exec, s[0:1]
	s_cbranch_vccnz .LBB432_1505
; %bb.1504:
	global_load_ubyte v0, v[8:9], off
.LBB432_1505:
	s_mov_b64 s[6:7], -1
.LBB432_1506:
	s_andn2_b64 vcc, exec, s[6:7]
	s_cbranch_vccnz .LBB432_1940
; %bb.1507:
	s_bfe_i32 s21, s33, 0x80000
	s_waitcnt vmcnt(0)
	v_min_i16_sdwa v1, sext(v6), s21 dst_sel:DWORD dst_unused:UNUSED_PAD src0_sel:BYTE_0 src1_sel:DWORD
	v_mul_lo_u32 v6, s8, v10
	v_ashrrev_i32_e32 v7, 31, v6
	s_and_b32 s20, s42, 0xff
	s_cmp_lt_i32 s20, 11
	v_lshl_add_u64 v[8:9], s[4:5], 0, v[6:7]
	s_cbranch_scc1 .LBB432_1585
; %bb.1508:
	s_and_b32 s9, 0xffff, s20
	s_mov_b64 s[16:17], -1
	s_mov_b64 s[2:3], 0
	s_cmp_gt_i32 s9, 25
	s_mov_b64 s[6:7], 0
	s_mov_b64 s[0:1], 0
	s_cbranch_scc0 .LBB432_1541
; %bb.1509:
	s_cmp_gt_i32 s9, 28
	s_cbranch_scc0 .LBB432_1524
; %bb.1510:
	s_cmp_gt_i32 s9, 43
	s_cbranch_scc0 .LBB432_1520
; %bb.1511:
	s_cmp_gt_i32 s9, 45
	s_cbranch_scc0 .LBB432_1514
; %bb.1512:
	s_mov_b64 s[0:1], -1
	s_mov_b64 s[16:17], 0
	s_cmp_eq_u32 s9, 46
	s_cbranch_scc0 .LBB432_1514
; %bb.1513:
	v_cvt_f32_i32_sdwa v3, sext(v1) dst_sel:DWORD dst_unused:UNUSED_PAD src0_sel:WORD_0
	s_movk_i32 s6, 0x7fff
	s_mov_b64 s[0:1], 0
	v_bfe_u32 v5, v3, 16, 1
	v_add3_u32 v3, v3, v5, s6
	v_lshrrev_b32_e32 v3, 16, v3
	global_store_dword v[8:9], v3, off
	s_mov_b64 s[6:7], -1
.LBB432_1514:
	s_and_b64 vcc, exec, s[16:17]
	s_cbranch_vccz .LBB432_1519
; %bb.1515:
	s_cmp_eq_u32 s9, 44
	s_mov_b64 s[0:1], -1
	s_cbranch_scc0 .LBB432_1519
; %bb.1516:
	v_cvt_f32_i32_sdwa v3, sext(v1) dst_sel:DWORD dst_unused:UNUSED_PAD src0_sel:WORD_0
	s_movk_i32 s0, 0xff
	v_mov_b32_e32 v7, 0xff
	v_bfe_u32 v5, v3, 23, 8
	v_cmp_ne_u32_e32 vcc, s0, v5
	s_and_saveexec_b64 s[6:7], vcc
; %bb.1517:
	s_mov_b32 s0, 0x3fffff
	v_lshrrev_b32_e32 v7, 23, v3
	v_and_b32_e32 v10, 0x400000, v3
	v_and_or_b32 v3, v3, s0, v5
	v_cmp_ne_u32_e32 vcc, 0, v10
	v_cmp_ne_u32_e64 s[0:1], 0, v3
	s_and_b64 s[0:1], vcc, s[0:1]
	s_nop 0
	v_cndmask_b32_e64 v3, 0, 1, s[0:1]
	v_add_u32_e32 v7, v7, v3
; %bb.1518:
	s_or_b64 exec, exec, s[6:7]
	s_mov_b64 s[0:1], 0
	s_mov_b64 s[6:7], -1
	global_store_byte v[8:9], v7, off
.LBB432_1519:
	s_mov_b64 s[16:17], 0
.LBB432_1520:
	s_and_b64 vcc, exec, s[16:17]
	s_cbranch_vccz .LBB432_1523
; %bb.1521:
	s_cmp_eq_u32 s9, 29
	s_mov_b64 s[0:1], -1
	s_cbranch_scc0 .LBB432_1523
; %bb.1522:
	v_bfe_i32 v10, v1, 0, 16
	v_ashrrev_i32_e32 v11, 31, v10
	global_store_dwordx2 v[8:9], v[10:11], off
	s_mov_b64 s[0:1], 0
	s_mov_b64 s[6:7], -1
.LBB432_1523:
	s_mov_b64 s[16:17], 0
.LBB432_1524:
	s_and_b64 vcc, exec, s[16:17]
	s_cbranch_vccz .LBB432_1540
; %bb.1525:
	s_cmp_lt_i32 s9, 27
	s_mov_b64 s[6:7], -1
	s_cbranch_scc1 .LBB432_1531
; %bb.1526:
	s_cmp_gt_i32 s9, 27
	s_cbranch_scc0 .LBB432_1528
; %bb.1527:
	v_bfe_i32 v3, v1, 0, 16
	s_mov_b64 s[6:7], 0
	global_store_dword v[8:9], v3, off
.LBB432_1528:
	s_andn2_b64 vcc, exec, s[6:7]
	s_cbranch_vccnz .LBB432_1530
; %bb.1529:
	global_store_short v[8:9], v1, off
.LBB432_1530:
	s_mov_b64 s[6:7], 0
.LBB432_1531:
	s_andn2_b64 vcc, exec, s[6:7]
	s_cbranch_vccnz .LBB432_1539
; %bb.1532:
	v_cvt_f32_i32_sdwa v3, sext(v1) dst_sel:DWORD dst_unused:UNUSED_PAD src0_sel:WORD_0
	s_mov_b32 s6, 0x43800000
	v_mov_b32_e32 v7, 0x80
	v_and_b32_e32 v5, 0x7fffffff, v3
	v_cmp_gt_u32_e32 vcc, s6, v5
	s_and_saveexec_b64 s[6:7], vcc
	s_cbranch_execz .LBB432_1538
; %bb.1533:
	s_mov_b32 s16, 0x3bffffff
	v_cmp_lt_u32_e32 vcc, s16, v5
	s_mov_b64 s[16:17], 0
                                        ; implicit-def: $vgpr5
	s_and_saveexec_b64 s[18:19], vcc
	s_xor_b64 s[18:19], exec, s[18:19]
	s_cbranch_execz .LBB432_1987
; %bb.1534:
	v_bfe_u32 v5, v3, 20, 1
	s_mov_b32 s22, 0x487ffff
	v_add3_u32 v5, v3, v5, s22
	s_mov_b64 s[16:17], exec
	v_lshrrev_b32_e32 v5, 20, v5
	s_andn2_saveexec_b64 s[18:19], s[18:19]
	s_cbranch_execnz .LBB432_1988
.LBB432_1535:
	s_or_b64 exec, exec, s[18:19]
	v_mov_b32_e32 v7, 0
	s_and_saveexec_b64 s[18:19], s[16:17]
.LBB432_1536:
	v_lshrrev_b32_e32 v3, 24, v3
	s_movk_i32 s16, 0x80
	v_and_or_b32 v7, v3, s16, v5
.LBB432_1537:
	s_or_b64 exec, exec, s[18:19]
.LBB432_1538:
	s_or_b64 exec, exec, s[6:7]
	global_store_byte v[8:9], v7, off
.LBB432_1539:
	s_mov_b64 s[6:7], -1
.LBB432_1540:
	s_mov_b64 s[16:17], 0
.LBB432_1541:
	s_and_b64 vcc, exec, s[16:17]
	s_cbranch_vccz .LBB432_1581
; %bb.1542:
	s_cmp_gt_i32 s9, 22
	s_mov_b64 s[2:3], -1
	s_cbranch_scc0 .LBB432_1574
; %bb.1543:
	s_cmp_lt_i32 s9, 24
	s_cbranch_scc1 .LBB432_1563
; %bb.1544:
	s_cmp_gt_i32 s9, 24
	s_cbranch_scc0 .LBB432_1552
; %bb.1545:
	v_cvt_f32_i32_sdwa v3, sext(v1) dst_sel:DWORD dst_unused:UNUSED_PAD src0_sel:WORD_0
	s_mov_b32 s2, 0x47800000
	v_mov_b32_e32 v7, 0x80
	v_and_b32_e32 v5, 0x7fffffff, v3
	v_cmp_gt_u32_e32 vcc, s2, v5
	s_and_saveexec_b64 s[2:3], vcc
	s_cbranch_execz .LBB432_1551
; %bb.1546:
	s_mov_b32 s6, 0x37ffffff
	v_cmp_lt_u32_e32 vcc, s6, v5
	s_mov_b64 s[6:7], 0
                                        ; implicit-def: $vgpr5
	s_and_saveexec_b64 s[16:17], vcc
	s_xor_b64 s[16:17], exec, s[16:17]
	s_cbranch_execz .LBB432_1990
; %bb.1547:
	v_bfe_u32 v5, v3, 21, 1
	s_mov_b32 s18, 0x88fffff
	v_add3_u32 v5, v3, v5, s18
	s_mov_b64 s[6:7], exec
	v_lshrrev_b32_e32 v5, 21, v5
	s_andn2_saveexec_b64 s[16:17], s[16:17]
	s_cbranch_execnz .LBB432_1991
.LBB432_1548:
	s_or_b64 exec, exec, s[16:17]
	v_mov_b32_e32 v7, 0
	s_and_saveexec_b64 s[16:17], s[6:7]
.LBB432_1549:
	v_lshrrev_b32_e32 v3, 24, v3
	s_movk_i32 s6, 0x80
	v_and_or_b32 v7, v3, s6, v5
.LBB432_1550:
	s_or_b64 exec, exec, s[16:17]
.LBB432_1551:
	s_or_b64 exec, exec, s[2:3]
	s_mov_b64 s[2:3], 0
	global_store_byte v[8:9], v7, off
.LBB432_1552:
	s_and_b64 vcc, exec, s[2:3]
	s_cbranch_vccz .LBB432_1562
; %bb.1553:
	v_cvt_f32_i32_sdwa v3, sext(v1) dst_sel:DWORD dst_unused:UNUSED_PAD src0_sel:WORD_0
	s_mov_b32 s2, 0x43f00000
                                        ; implicit-def: $vgpr5
	v_and_b32_e32 v7, 0x7fffffff, v3
	v_cmp_gt_u32_e32 vcc, s2, v7
	s_and_saveexec_b64 s[2:3], vcc
	s_xor_b64 s[2:3], exec, s[2:3]
	s_cbranch_execz .LBB432_1559
; %bb.1554:
	s_mov_b32 s6, 0x3c7fffff
	v_cmp_lt_u32_e32 vcc, s6, v7
                                        ; implicit-def: $vgpr5
	s_and_saveexec_b64 s[6:7], vcc
	s_xor_b64 s[6:7], exec, s[6:7]
; %bb.1555:
	v_bfe_u32 v5, v3, 20, 1
	s_mov_b32 s16, 0x407ffff
	v_add3_u32 v5, v3, v5, s16
	v_lshrrev_b32_e32 v7, 20, v5
	v_and_b32_e32 v5, 0xff00000, v5
	s_mov_b32 s16, 0x7f00000
	v_mov_b32_e32 v10, 0x7e
	v_cmp_ne_u32_e32 vcc, s16, v5
	s_nop 1
	v_cndmask_b32_e32 v5, v10, v7, vcc
; %bb.1556:
	s_andn2_saveexec_b64 s[6:7], s[6:7]
; %bb.1557:
	s_mov_b32 s16, 0x46800000
	v_add_f32_e64 v5, |v3|, s16
; %bb.1558:
	s_or_b64 exec, exec, s[6:7]
                                        ; implicit-def: $vgpr7
.LBB432_1559:
	s_andn2_saveexec_b64 s[2:3], s[2:3]
; %bb.1560:
	s_mov_b32 s6, 0x7f800000
	v_mov_b32_e32 v5, 0x7e
	v_mov_b32_e32 v10, 0x7f
	v_cmp_lt_u32_e32 vcc, s6, v7
	s_nop 1
	v_cndmask_b32_e32 v5, v5, v10, vcc
; %bb.1561:
	s_or_b64 exec, exec, s[2:3]
	v_lshrrev_b32_e32 v3, 24, v3
	s_movk_i32 s2, 0x80
	v_and_or_b32 v3, v3, s2, v5
	global_store_byte v[8:9], v3, off
.LBB432_1562:
	s_mov_b64 s[2:3], 0
.LBB432_1563:
	s_andn2_b64 vcc, exec, s[2:3]
	s_cbranch_vccnz .LBB432_1573
; %bb.1564:
	v_cvt_f32_i32_sdwa v3, sext(v1) dst_sel:DWORD dst_unused:UNUSED_PAD src0_sel:WORD_0
	s_mov_b32 s2, 0x47800000
                                        ; implicit-def: $vgpr5
	v_and_b32_e32 v7, 0x7fffffff, v3
	v_cmp_gt_u32_e32 vcc, s2, v7
	s_and_saveexec_b64 s[2:3], vcc
	s_xor_b64 s[2:3], exec, s[2:3]
	s_cbranch_execz .LBB432_1570
; %bb.1565:
	s_mov_b32 s6, 0x387fffff
	v_cmp_lt_u32_e32 vcc, s6, v7
                                        ; implicit-def: $vgpr5
	s_and_saveexec_b64 s[6:7], vcc
	s_xor_b64 s[6:7], exec, s[6:7]
; %bb.1566:
	v_bfe_u32 v5, v3, 21, 1
	s_mov_b32 s16, 0x80fffff
	v_add3_u32 v5, v3, v5, s16
	v_lshrrev_b32_e32 v5, 21, v5
; %bb.1567:
	s_andn2_saveexec_b64 s[6:7], s[6:7]
; %bb.1568:
	s_mov_b32 s16, 0x43000000
	v_add_f32_e64 v5, |v3|, s16
; %bb.1569:
	s_or_b64 exec, exec, s[6:7]
                                        ; implicit-def: $vgpr7
.LBB432_1570:
	s_andn2_saveexec_b64 s[2:3], s[2:3]
; %bb.1571:
	s_mov_b32 s6, 0x7f800000
	v_mov_b32_e32 v5, 0x7c
	v_mov_b32_e32 v10, 0x7f
	v_cmp_lt_u32_e32 vcc, s6, v7
	s_nop 1
	v_cndmask_b32_e32 v5, v5, v10, vcc
; %bb.1572:
	s_or_b64 exec, exec, s[2:3]
	v_lshrrev_b32_e32 v3, 24, v3
	s_movk_i32 s2, 0x80
	v_and_or_b32 v3, v3, s2, v5
	global_store_byte v[8:9], v3, off
.LBB432_1573:
	s_mov_b64 s[2:3], 0
	s_mov_b64 s[6:7], -1
.LBB432_1574:
	s_andn2_b64 vcc, exec, s[2:3]
	s_mov_b64 s[2:3], 0
	s_cbranch_vccnz .LBB432_1581
; %bb.1575:
	s_cmp_gt_i32 s9, 14
	s_mov_b64 s[16:17], -1
	s_cbranch_scc0 .LBB432_1579
; %bb.1576:
	s_cmp_eq_u32 s9, 15
	s_mov_b64 s[0:1], -1
	s_cbranch_scc0 .LBB432_1578
; %bb.1577:
	v_cvt_f32_i32_sdwa v3, sext(v1) dst_sel:DWORD dst_unused:UNUSED_PAD src0_sel:WORD_0
	s_movk_i32 s2, 0x7fff
	s_mov_b64 s[0:1], 0
	s_mov_b64 s[6:7], -1
	v_bfe_u32 v5, v3, 16, 1
	v_add3_u32 v3, v3, v5, s2
	global_store_short_d16_hi v[8:9], v3, off
.LBB432_1578:
	s_mov_b64 s[16:17], 0
.LBB432_1579:
	s_mov_b64 s[2:3], 0
	s_and_b64 vcc, exec, s[16:17]
	s_cbranch_vccz .LBB432_1581
; %bb.1580:
	s_cmp_lg_u32 s9, 11
	s_mov_b64 s[2:3], -1
	s_cselect_b64 s[0:1], -1, 0
.LBB432_1581:
	s_and_b64 vcc, exec, s[0:1]
	s_cbranch_vccnz .LBB432_1989
; %bb.1582:
	s_andn2_b64 vcc, exec, s[2:3]
	s_cbranch_vccnz .LBB432_1584
.LBB432_1583:
	v_cmp_ne_u16_e32 vcc, 0, v1
	s_mov_b64 s[6:7], -1
	s_nop 0
	v_cndmask_b32_e64 v3, 0, 1, vcc
	global_store_byte v[8:9], v3, off
.LBB432_1584:
	s_mov_b64 s[0:1], 0
	s_branch .LBB432_1586
.LBB432_1585:
	s_mov_b64 s[0:1], -1
	s_mov_b64 s[6:7], 0
.LBB432_1586:
	s_and_b64 vcc, exec, s[0:1]
	s_cbranch_vccz .LBB432_1625
; %bb.1587:
	s_and_b32 s2, 0xffff, s20
	s_cmp_lt_i32 s2, 5
	s_mov_b64 s[0:1], -1
	s_cbranch_scc1 .LBB432_1608
; %bb.1588:
	s_cmp_lt_i32 s2, 8
	s_cbranch_scc1 .LBB432_1598
; %bb.1589:
	s_cmp_lt_i32 s2, 9
	s_cbranch_scc1 .LBB432_1595
; %bb.1590:
	s_cmp_gt_i32 s2, 9
	s_cbranch_scc0 .LBB432_1592
; %bb.1591:
	v_bfe_i32 v3, v1, 0, 16
	v_mov_b32_e32 v12, 0
	v_cvt_f64_i32_e32 v[10:11], v3
	v_mov_b32_e32 v13, v12
	global_store_dwordx4 v[8:9], v[10:13], off
	s_mov_b64 s[0:1], 0
.LBB432_1592:
	s_andn2_b64 vcc, exec, s[0:1]
	s_cbranch_vccnz .LBB432_1594
; %bb.1593:
	v_cvt_f32_i32_sdwa v10, sext(v1) dst_sel:DWORD dst_unused:UNUSED_PAD src0_sel:WORD_0
	v_mov_b32_e32 v11, 0
	global_store_dwordx2 v[8:9], v[10:11], off
.LBB432_1594:
	s_mov_b64 s[0:1], 0
.LBB432_1595:
	s_andn2_b64 vcc, exec, s[0:1]
	s_cbranch_vccnz .LBB432_1597
; %bb.1596:
	v_cvt_f16_i16_e32 v3, v1
	global_store_dword v[8:9], v3, off
.LBB432_1597:
	s_mov_b64 s[0:1], 0
.LBB432_1598:
	s_andn2_b64 vcc, exec, s[0:1]
	s_cbranch_vccnz .LBB432_1607
; %bb.1599:
	s_cmp_lt_i32 s2, 6
	s_mov_b64 s[0:1], -1
	s_cbranch_scc1 .LBB432_1605
; %bb.1600:
	s_cmp_gt_i32 s2, 6
	s_cbranch_scc0 .LBB432_1602
; %bb.1601:
	v_bfe_i32 v3, v1, 0, 16
	v_cvt_f64_i32_e32 v[10:11], v3
	global_store_dwordx2 v[8:9], v[10:11], off
	s_mov_b64 s[0:1], 0
.LBB432_1602:
	s_andn2_b64 vcc, exec, s[0:1]
	s_cbranch_vccnz .LBB432_1604
; %bb.1603:
	v_cvt_f32_i32_sdwa v3, sext(v1) dst_sel:DWORD dst_unused:UNUSED_PAD src0_sel:WORD_0
	global_store_dword v[8:9], v3, off
.LBB432_1604:
	s_mov_b64 s[0:1], 0
.LBB432_1605:
	s_andn2_b64 vcc, exec, s[0:1]
	s_cbranch_vccnz .LBB432_1607
; %bb.1606:
	v_cvt_f16_i16_e32 v3, v1
	global_store_short v[8:9], v3, off
.LBB432_1607:
	s_mov_b64 s[0:1], 0
.LBB432_1608:
	s_andn2_b64 vcc, exec, s[0:1]
	s_cbranch_vccnz .LBB432_1624
; %bb.1609:
	s_cmp_lt_i32 s2, 2
	s_mov_b64 s[0:1], -1
	s_cbranch_scc1 .LBB432_1619
; %bb.1610:
	s_cmp_lt_i32 s2, 3
	s_cbranch_scc1 .LBB432_1616
; %bb.1611:
	s_cmp_gt_i32 s2, 3
	v_bfe_i32 v10, v1, 0, 16
	s_cbranch_scc0 .LBB432_1613
; %bb.1612:
	v_ashrrev_i32_e32 v11, 31, v10
	global_store_dwordx2 v[8:9], v[10:11], off
	s_mov_b64 s[0:1], 0
.LBB432_1613:
	s_andn2_b64 vcc, exec, s[0:1]
	s_cbranch_vccnz .LBB432_1615
; %bb.1614:
	global_store_dword v[8:9], v10, off
.LBB432_1615:
	s_mov_b64 s[0:1], 0
.LBB432_1616:
	s_andn2_b64 vcc, exec, s[0:1]
	s_cbranch_vccnz .LBB432_1618
; %bb.1617:
	global_store_short v[8:9], v1, off
.LBB432_1618:
	s_mov_b64 s[0:1], 0
.LBB432_1619:
	s_andn2_b64 vcc, exec, s[0:1]
	s_cbranch_vccnz .LBB432_1624
; %bb.1620:
	s_cmp_gt_i32 s2, 0
	s_mov_b64 s[0:1], -1
	s_cbranch_scc0 .LBB432_1622
; %bb.1621:
	global_store_byte v[8:9], v1, off
	s_mov_b64 s[0:1], 0
.LBB432_1622:
	s_andn2_b64 vcc, exec, s[0:1]
	s_cbranch_vccnz .LBB432_1624
; %bb.1623:
	global_store_byte v[8:9], v1, off
.LBB432_1624:
	s_mov_b64 s[6:7], -1
.LBB432_1625:
	s_andn2_b64 vcc, exec, s[6:7]
	s_cbranch_vccnz .LBB432_1940
; %bb.1626:
	s_lshl_b32 s18, s8, 7
	v_min_i16_sdwa v1, sext(v4), s21 dst_sel:DWORD dst_unused:UNUSED_PAD src0_sel:BYTE_0 src1_sel:DWORD
	v_add_u32_e32 v4, s18, v6
	v_ashrrev_i32_e32 v5, 31, v4
	s_cmp_lt_i32 s20, 11
	v_lshl_add_u64 v[6:7], s[4:5], 0, v[4:5]
	s_cbranch_scc1 .LBB432_1704
; %bb.1627:
	s_and_b32 s19, 0xffff, s20
	s_mov_b64 s[8:9], -1
	s_mov_b64 s[2:3], 0
	s_cmp_gt_i32 s19, 25
	s_mov_b64 s[6:7], 0
	s_mov_b64 s[0:1], 0
	s_cbranch_scc0 .LBB432_1660
; %bb.1628:
	s_cmp_gt_i32 s19, 28
	s_cbranch_scc0 .LBB432_1643
; %bb.1629:
	s_cmp_gt_i32 s19, 43
	;; [unrolled: 3-line block ×3, first 2 shown]
	s_cbranch_scc0 .LBB432_1633
; %bb.1631:
	s_mov_b64 s[0:1], -1
	s_mov_b64 s[8:9], 0
	s_cmp_eq_u32 s19, 46
	s_cbranch_scc0 .LBB432_1633
; %bb.1632:
	v_cvt_f32_i32_sdwa v3, sext(v1) dst_sel:DWORD dst_unused:UNUSED_PAD src0_sel:WORD_0
	s_movk_i32 s6, 0x7fff
	s_mov_b64 s[0:1], 0
	v_bfe_u32 v5, v3, 16, 1
	v_add3_u32 v3, v3, v5, s6
	v_lshrrev_b32_e32 v3, 16, v3
	global_store_dword v[6:7], v3, off
	s_mov_b64 s[6:7], -1
.LBB432_1633:
	s_and_b64 vcc, exec, s[8:9]
	s_cbranch_vccz .LBB432_1638
; %bb.1634:
	s_cmp_eq_u32 s19, 44
	s_mov_b64 s[0:1], -1
	s_cbranch_scc0 .LBB432_1638
; %bb.1635:
	v_cvt_f32_i32_sdwa v3, sext(v1) dst_sel:DWORD dst_unused:UNUSED_PAD src0_sel:WORD_0
	s_movk_i32 s0, 0xff
	v_mov_b32_e32 v8, 0xff
	v_bfe_u32 v5, v3, 23, 8
	v_cmp_ne_u32_e32 vcc, s0, v5
	s_and_saveexec_b64 s[6:7], vcc
; %bb.1636:
	s_mov_b32 s0, 0x3fffff
	v_lshrrev_b32_e32 v8, 23, v3
	v_and_b32_e32 v9, 0x400000, v3
	v_and_or_b32 v3, v3, s0, v5
	v_cmp_ne_u32_e32 vcc, 0, v9
	v_cmp_ne_u32_e64 s[0:1], 0, v3
	s_and_b64 s[0:1], vcc, s[0:1]
	s_nop 0
	v_cndmask_b32_e64 v3, 0, 1, s[0:1]
	v_add_u32_e32 v8, v8, v3
; %bb.1637:
	s_or_b64 exec, exec, s[6:7]
	s_mov_b64 s[0:1], 0
	s_mov_b64 s[6:7], -1
	global_store_byte v[6:7], v8, off
.LBB432_1638:
	s_mov_b64 s[8:9], 0
.LBB432_1639:
	s_and_b64 vcc, exec, s[8:9]
	s_cbranch_vccz .LBB432_1642
; %bb.1640:
	s_cmp_eq_u32 s19, 29
	s_mov_b64 s[0:1], -1
	s_cbranch_scc0 .LBB432_1642
; %bb.1641:
	v_bfe_i32 v8, v1, 0, 16
	v_ashrrev_i32_e32 v9, 31, v8
	global_store_dwordx2 v[6:7], v[8:9], off
	s_mov_b64 s[0:1], 0
	s_mov_b64 s[6:7], -1
.LBB432_1642:
	s_mov_b64 s[8:9], 0
.LBB432_1643:
	s_and_b64 vcc, exec, s[8:9]
	s_cbranch_vccz .LBB432_1659
; %bb.1644:
	s_cmp_lt_i32 s19, 27
	s_mov_b64 s[6:7], -1
	s_cbranch_scc1 .LBB432_1650
; %bb.1645:
	s_cmp_gt_i32 s19, 27
	s_cbranch_scc0 .LBB432_1647
; %bb.1646:
	v_bfe_i32 v3, v1, 0, 16
	s_mov_b64 s[6:7], 0
	global_store_dword v[6:7], v3, off
.LBB432_1647:
	s_andn2_b64 vcc, exec, s[6:7]
	s_cbranch_vccnz .LBB432_1649
; %bb.1648:
	global_store_short v[6:7], v1, off
.LBB432_1649:
	s_mov_b64 s[6:7], 0
.LBB432_1650:
	s_andn2_b64 vcc, exec, s[6:7]
	s_cbranch_vccnz .LBB432_1658
; %bb.1651:
	v_cvt_f32_i32_sdwa v3, sext(v1) dst_sel:DWORD dst_unused:UNUSED_PAD src0_sel:WORD_0
	s_mov_b32 s6, 0x43800000
	v_mov_b32_e32 v8, 0x80
	v_and_b32_e32 v5, 0x7fffffff, v3
	v_cmp_gt_u32_e32 vcc, s6, v5
	s_and_saveexec_b64 s[6:7], vcc
	s_cbranch_execz .LBB432_1657
; %bb.1652:
	s_mov_b32 s8, 0x3bffffff
	v_cmp_lt_u32_e32 vcc, s8, v5
	s_mov_b64 s[8:9], 0
                                        ; implicit-def: $vgpr5
	s_and_saveexec_b64 s[16:17], vcc
	s_xor_b64 s[16:17], exec, s[16:17]
	s_cbranch_execz .LBB432_1992
; %bb.1653:
	v_bfe_u32 v5, v3, 20, 1
	s_mov_b32 s22, 0x487ffff
	v_add3_u32 v5, v3, v5, s22
	s_mov_b64 s[8:9], exec
	v_lshrrev_b32_e32 v5, 20, v5
	s_andn2_saveexec_b64 s[16:17], s[16:17]
	s_cbranch_execnz .LBB432_1993
.LBB432_1654:
	s_or_b64 exec, exec, s[16:17]
	v_mov_b32_e32 v8, 0
	s_and_saveexec_b64 s[16:17], s[8:9]
.LBB432_1655:
	v_lshrrev_b32_e32 v3, 24, v3
	s_movk_i32 s8, 0x80
	v_and_or_b32 v8, v3, s8, v5
.LBB432_1656:
	s_or_b64 exec, exec, s[16:17]
.LBB432_1657:
	s_or_b64 exec, exec, s[6:7]
	global_store_byte v[6:7], v8, off
.LBB432_1658:
	s_mov_b64 s[6:7], -1
.LBB432_1659:
	s_mov_b64 s[8:9], 0
.LBB432_1660:
	s_and_b64 vcc, exec, s[8:9]
	s_cbranch_vccz .LBB432_1700
; %bb.1661:
	s_cmp_gt_i32 s19, 22
	s_mov_b64 s[2:3], -1
	s_cbranch_scc0 .LBB432_1693
; %bb.1662:
	s_cmp_lt_i32 s19, 24
	s_cbranch_scc1 .LBB432_1682
; %bb.1663:
	s_cmp_gt_i32 s19, 24
	s_cbranch_scc0 .LBB432_1671
; %bb.1664:
	v_cvt_f32_i32_sdwa v3, sext(v1) dst_sel:DWORD dst_unused:UNUSED_PAD src0_sel:WORD_0
	s_mov_b32 s2, 0x47800000
	v_mov_b32_e32 v8, 0x80
	v_and_b32_e32 v5, 0x7fffffff, v3
	v_cmp_gt_u32_e32 vcc, s2, v5
	s_and_saveexec_b64 s[2:3], vcc
	s_cbranch_execz .LBB432_1670
; %bb.1665:
	s_mov_b32 s6, 0x37ffffff
	v_cmp_lt_u32_e32 vcc, s6, v5
	s_mov_b64 s[6:7], 0
                                        ; implicit-def: $vgpr5
	s_and_saveexec_b64 s[8:9], vcc
	s_xor_b64 s[8:9], exec, s[8:9]
	s_cbranch_execz .LBB432_1995
; %bb.1666:
	v_bfe_u32 v5, v3, 21, 1
	s_mov_b32 s16, 0x88fffff
	v_add3_u32 v5, v3, v5, s16
	s_mov_b64 s[6:7], exec
	v_lshrrev_b32_e32 v5, 21, v5
	s_andn2_saveexec_b64 s[8:9], s[8:9]
	s_cbranch_execnz .LBB432_1996
.LBB432_1667:
	s_or_b64 exec, exec, s[8:9]
	v_mov_b32_e32 v8, 0
	s_and_saveexec_b64 s[8:9], s[6:7]
.LBB432_1668:
	v_lshrrev_b32_e32 v3, 24, v3
	s_movk_i32 s6, 0x80
	v_and_or_b32 v8, v3, s6, v5
.LBB432_1669:
	s_or_b64 exec, exec, s[8:9]
.LBB432_1670:
	s_or_b64 exec, exec, s[2:3]
	s_mov_b64 s[2:3], 0
	global_store_byte v[6:7], v8, off
.LBB432_1671:
	s_and_b64 vcc, exec, s[2:3]
	s_cbranch_vccz .LBB432_1681
; %bb.1672:
	v_cvt_f32_i32_sdwa v3, sext(v1) dst_sel:DWORD dst_unused:UNUSED_PAD src0_sel:WORD_0
	s_mov_b32 s2, 0x43f00000
                                        ; implicit-def: $vgpr5
	v_and_b32_e32 v8, 0x7fffffff, v3
	v_cmp_gt_u32_e32 vcc, s2, v8
	s_and_saveexec_b64 s[2:3], vcc
	s_xor_b64 s[2:3], exec, s[2:3]
	s_cbranch_execz .LBB432_1678
; %bb.1673:
	s_mov_b32 s6, 0x3c7fffff
	v_cmp_lt_u32_e32 vcc, s6, v8
                                        ; implicit-def: $vgpr5
	s_and_saveexec_b64 s[6:7], vcc
	s_xor_b64 s[6:7], exec, s[6:7]
; %bb.1674:
	v_bfe_u32 v5, v3, 20, 1
	s_mov_b32 s8, 0x407ffff
	v_add3_u32 v5, v3, v5, s8
	v_lshrrev_b32_e32 v8, 20, v5
	v_and_b32_e32 v5, 0xff00000, v5
	s_mov_b32 s8, 0x7f00000
	v_mov_b32_e32 v9, 0x7e
	v_cmp_ne_u32_e32 vcc, s8, v5
	s_nop 1
	v_cndmask_b32_e32 v5, v9, v8, vcc
; %bb.1675:
	s_andn2_saveexec_b64 s[6:7], s[6:7]
; %bb.1676:
	s_mov_b32 s8, 0x46800000
	v_add_f32_e64 v5, |v3|, s8
; %bb.1677:
	s_or_b64 exec, exec, s[6:7]
                                        ; implicit-def: $vgpr8
.LBB432_1678:
	s_andn2_saveexec_b64 s[2:3], s[2:3]
; %bb.1679:
	s_mov_b32 s6, 0x7f800000
	v_mov_b32_e32 v5, 0x7e
	v_mov_b32_e32 v9, 0x7f
	v_cmp_lt_u32_e32 vcc, s6, v8
	s_nop 1
	v_cndmask_b32_e32 v5, v5, v9, vcc
; %bb.1680:
	s_or_b64 exec, exec, s[2:3]
	v_lshrrev_b32_e32 v3, 24, v3
	s_movk_i32 s2, 0x80
	v_and_or_b32 v3, v3, s2, v5
	global_store_byte v[6:7], v3, off
.LBB432_1681:
	s_mov_b64 s[2:3], 0
.LBB432_1682:
	s_andn2_b64 vcc, exec, s[2:3]
	s_cbranch_vccnz .LBB432_1692
; %bb.1683:
	v_cvt_f32_i32_sdwa v3, sext(v1) dst_sel:DWORD dst_unused:UNUSED_PAD src0_sel:WORD_0
	s_mov_b32 s2, 0x47800000
                                        ; implicit-def: $vgpr5
	v_and_b32_e32 v8, 0x7fffffff, v3
	v_cmp_gt_u32_e32 vcc, s2, v8
	s_and_saveexec_b64 s[2:3], vcc
	s_xor_b64 s[2:3], exec, s[2:3]
	s_cbranch_execz .LBB432_1689
; %bb.1684:
	s_mov_b32 s6, 0x387fffff
	v_cmp_lt_u32_e32 vcc, s6, v8
                                        ; implicit-def: $vgpr5
	s_and_saveexec_b64 s[6:7], vcc
	s_xor_b64 s[6:7], exec, s[6:7]
; %bb.1685:
	v_bfe_u32 v5, v3, 21, 1
	s_mov_b32 s8, 0x80fffff
	v_add3_u32 v5, v3, v5, s8
	v_lshrrev_b32_e32 v5, 21, v5
; %bb.1686:
	s_andn2_saveexec_b64 s[6:7], s[6:7]
; %bb.1687:
	s_mov_b32 s8, 0x43000000
	v_add_f32_e64 v5, |v3|, s8
; %bb.1688:
	s_or_b64 exec, exec, s[6:7]
                                        ; implicit-def: $vgpr8
.LBB432_1689:
	s_andn2_saveexec_b64 s[2:3], s[2:3]
; %bb.1690:
	s_mov_b32 s6, 0x7f800000
	v_mov_b32_e32 v5, 0x7c
	v_mov_b32_e32 v9, 0x7f
	v_cmp_lt_u32_e32 vcc, s6, v8
	s_nop 1
	v_cndmask_b32_e32 v5, v5, v9, vcc
; %bb.1691:
	s_or_b64 exec, exec, s[2:3]
	v_lshrrev_b32_e32 v3, 24, v3
	s_movk_i32 s2, 0x80
	v_and_or_b32 v3, v3, s2, v5
	global_store_byte v[6:7], v3, off
.LBB432_1692:
	s_mov_b64 s[2:3], 0
	s_mov_b64 s[6:7], -1
.LBB432_1693:
	s_andn2_b64 vcc, exec, s[2:3]
	s_mov_b64 s[2:3], 0
	s_cbranch_vccnz .LBB432_1700
; %bb.1694:
	s_cmp_gt_i32 s19, 14
	s_mov_b64 s[8:9], -1
	s_cbranch_scc0 .LBB432_1698
; %bb.1695:
	s_cmp_eq_u32 s19, 15
	s_mov_b64 s[0:1], -1
	s_cbranch_scc0 .LBB432_1697
; %bb.1696:
	v_cvt_f32_i32_sdwa v3, sext(v1) dst_sel:DWORD dst_unused:UNUSED_PAD src0_sel:WORD_0
	s_movk_i32 s2, 0x7fff
	s_mov_b64 s[0:1], 0
	s_mov_b64 s[6:7], -1
	v_bfe_u32 v5, v3, 16, 1
	v_add3_u32 v3, v3, v5, s2
	global_store_short_d16_hi v[6:7], v3, off
.LBB432_1697:
	s_mov_b64 s[8:9], 0
.LBB432_1698:
	s_mov_b64 s[2:3], 0
	s_and_b64 vcc, exec, s[8:9]
	s_cbranch_vccz .LBB432_1700
; %bb.1699:
	s_cmp_lg_u32 s19, 11
	s_mov_b64 s[2:3], -1
	s_cselect_b64 s[0:1], -1, 0
.LBB432_1700:
	s_and_b64 vcc, exec, s[0:1]
	s_cbranch_vccnz .LBB432_1994
; %bb.1701:
	s_andn2_b64 vcc, exec, s[2:3]
	s_cbranch_vccnz .LBB432_1703
.LBB432_1702:
	v_cmp_ne_u16_e32 vcc, 0, v1
	s_mov_b64 s[6:7], -1
	s_nop 0
	v_cndmask_b32_e64 v3, 0, 1, vcc
	global_store_byte v[6:7], v3, off
.LBB432_1703:
	s_mov_b64 s[0:1], 0
	s_branch .LBB432_1705
.LBB432_1704:
	s_mov_b64 s[0:1], -1
	s_mov_b64 s[6:7], 0
.LBB432_1705:
	s_and_b64 vcc, exec, s[0:1]
	s_cbranch_vccz .LBB432_1744
; %bb.1706:
	s_and_b32 s2, 0xffff, s20
	s_cmp_lt_i32 s2, 5
	s_mov_b64 s[0:1], -1
	s_cbranch_scc1 .LBB432_1727
; %bb.1707:
	s_cmp_lt_i32 s2, 8
	s_cbranch_scc1 .LBB432_1717
; %bb.1708:
	s_cmp_lt_i32 s2, 9
	s_cbranch_scc1 .LBB432_1714
; %bb.1709:
	s_cmp_gt_i32 s2, 9
	s_cbranch_scc0 .LBB432_1711
; %bb.1710:
	v_bfe_i32 v3, v1, 0, 16
	v_mov_b32_e32 v10, 0
	v_cvt_f64_i32_e32 v[8:9], v3
	v_mov_b32_e32 v11, v10
	global_store_dwordx4 v[6:7], v[8:11], off
	s_mov_b64 s[0:1], 0
.LBB432_1711:
	s_andn2_b64 vcc, exec, s[0:1]
	s_cbranch_vccnz .LBB432_1713
; %bb.1712:
	v_cvt_f32_i32_sdwa v8, sext(v1) dst_sel:DWORD dst_unused:UNUSED_PAD src0_sel:WORD_0
	v_mov_b32_e32 v9, 0
	global_store_dwordx2 v[6:7], v[8:9], off
.LBB432_1713:
	s_mov_b64 s[0:1], 0
.LBB432_1714:
	s_andn2_b64 vcc, exec, s[0:1]
	s_cbranch_vccnz .LBB432_1716
; %bb.1715:
	v_cvt_f16_i16_e32 v3, v1
	global_store_dword v[6:7], v3, off
.LBB432_1716:
	s_mov_b64 s[0:1], 0
.LBB432_1717:
	s_andn2_b64 vcc, exec, s[0:1]
	s_cbranch_vccnz .LBB432_1726
; %bb.1718:
	s_cmp_lt_i32 s2, 6
	s_mov_b64 s[0:1], -1
	s_cbranch_scc1 .LBB432_1724
; %bb.1719:
	s_cmp_gt_i32 s2, 6
	s_cbranch_scc0 .LBB432_1721
; %bb.1720:
	v_bfe_i32 v3, v1, 0, 16
	v_cvt_f64_i32_e32 v[8:9], v3
	global_store_dwordx2 v[6:7], v[8:9], off
	s_mov_b64 s[0:1], 0
.LBB432_1721:
	s_andn2_b64 vcc, exec, s[0:1]
	s_cbranch_vccnz .LBB432_1723
; %bb.1722:
	v_cvt_f32_i32_sdwa v3, sext(v1) dst_sel:DWORD dst_unused:UNUSED_PAD src0_sel:WORD_0
	global_store_dword v[6:7], v3, off
.LBB432_1723:
	s_mov_b64 s[0:1], 0
.LBB432_1724:
	s_andn2_b64 vcc, exec, s[0:1]
	s_cbranch_vccnz .LBB432_1726
; %bb.1725:
	v_cvt_f16_i16_e32 v3, v1
	global_store_short v[6:7], v3, off
.LBB432_1726:
	s_mov_b64 s[0:1], 0
.LBB432_1727:
	s_andn2_b64 vcc, exec, s[0:1]
	s_cbranch_vccnz .LBB432_1743
; %bb.1728:
	s_cmp_lt_i32 s2, 2
	s_mov_b64 s[0:1], -1
	s_cbranch_scc1 .LBB432_1738
; %bb.1729:
	s_cmp_lt_i32 s2, 3
	s_cbranch_scc1 .LBB432_1735
; %bb.1730:
	s_cmp_gt_i32 s2, 3
	v_bfe_i32 v8, v1, 0, 16
	s_cbranch_scc0 .LBB432_1732
; %bb.1731:
	v_ashrrev_i32_e32 v9, 31, v8
	global_store_dwordx2 v[6:7], v[8:9], off
	s_mov_b64 s[0:1], 0
.LBB432_1732:
	s_andn2_b64 vcc, exec, s[0:1]
	s_cbranch_vccnz .LBB432_1734
; %bb.1733:
	global_store_dword v[6:7], v8, off
.LBB432_1734:
	s_mov_b64 s[0:1], 0
.LBB432_1735:
	s_andn2_b64 vcc, exec, s[0:1]
	s_cbranch_vccnz .LBB432_1737
; %bb.1736:
	global_store_short v[6:7], v1, off
.LBB432_1737:
	s_mov_b64 s[0:1], 0
.LBB432_1738:
	s_andn2_b64 vcc, exec, s[0:1]
	s_cbranch_vccnz .LBB432_1743
; %bb.1739:
	s_cmp_gt_i32 s2, 0
	s_mov_b64 s[0:1], -1
	s_cbranch_scc0 .LBB432_1741
; %bb.1740:
	global_store_byte v[6:7], v1, off
	s_mov_b64 s[0:1], 0
.LBB432_1741:
	s_andn2_b64 vcc, exec, s[0:1]
	s_cbranch_vccnz .LBB432_1743
; %bb.1742:
	global_store_byte v[6:7], v1, off
.LBB432_1743:
	s_mov_b64 s[6:7], -1
.LBB432_1744:
	s_andn2_b64 vcc, exec, s[6:7]
	s_cbranch_vccnz .LBB432_1940
; %bb.1745:
	v_min_i16_sdwa v1, sext(v2), s21 dst_sel:DWORD dst_unused:UNUSED_PAD src0_sel:BYTE_0 src1_sel:DWORD
	v_add_u32_e32 v2, s18, v4
	v_ashrrev_i32_e32 v3, 31, v2
	s_cmp_lt_i32 s20, 11
	v_lshl_add_u64 v[4:5], s[4:5], 0, v[2:3]
	s_cbranch_scc1 .LBB432_1823
; %bb.1746:
	s_and_b32 s19, 0xffff, s20
	s_mov_b64 s[8:9], -1
	s_mov_b64 s[2:3], 0
	s_cmp_gt_i32 s19, 25
	s_mov_b64 s[6:7], 0
	s_mov_b64 s[0:1], 0
	s_cbranch_scc0 .LBB432_1779
; %bb.1747:
	s_cmp_gt_i32 s19, 28
	s_cbranch_scc0 .LBB432_1762
; %bb.1748:
	s_cmp_gt_i32 s19, 43
	;; [unrolled: 3-line block ×3, first 2 shown]
	s_cbranch_scc0 .LBB432_1752
; %bb.1750:
	s_mov_b64 s[0:1], -1
	s_mov_b64 s[8:9], 0
	s_cmp_eq_u32 s19, 46
	s_cbranch_scc0 .LBB432_1752
; %bb.1751:
	v_cvt_f32_i32_sdwa v3, sext(v1) dst_sel:DWORD dst_unused:UNUSED_PAD src0_sel:WORD_0
	s_movk_i32 s6, 0x7fff
	s_mov_b64 s[0:1], 0
	v_bfe_u32 v6, v3, 16, 1
	v_add3_u32 v3, v3, v6, s6
	v_lshrrev_b32_e32 v3, 16, v3
	global_store_dword v[4:5], v3, off
	s_mov_b64 s[6:7], -1
.LBB432_1752:
	s_and_b64 vcc, exec, s[8:9]
	s_cbranch_vccz .LBB432_1757
; %bb.1753:
	s_cmp_eq_u32 s19, 44
	s_mov_b64 s[0:1], -1
	s_cbranch_scc0 .LBB432_1757
; %bb.1754:
	v_cvt_f32_i32_sdwa v3, sext(v1) dst_sel:DWORD dst_unused:UNUSED_PAD src0_sel:WORD_0
	s_movk_i32 s0, 0xff
	v_mov_b32_e32 v7, 0xff
	v_bfe_u32 v6, v3, 23, 8
	v_cmp_ne_u32_e32 vcc, s0, v6
	s_and_saveexec_b64 s[6:7], vcc
; %bb.1755:
	s_mov_b32 s0, 0x3fffff
	v_lshrrev_b32_e32 v7, 23, v3
	v_and_b32_e32 v8, 0x400000, v3
	v_and_or_b32 v3, v3, s0, v6
	v_cmp_ne_u32_e32 vcc, 0, v8
	v_cmp_ne_u32_e64 s[0:1], 0, v3
	s_and_b64 s[0:1], vcc, s[0:1]
	s_nop 0
	v_cndmask_b32_e64 v3, 0, 1, s[0:1]
	v_add_u32_e32 v7, v7, v3
; %bb.1756:
	s_or_b64 exec, exec, s[6:7]
	s_mov_b64 s[0:1], 0
	s_mov_b64 s[6:7], -1
	global_store_byte v[4:5], v7, off
.LBB432_1757:
	s_mov_b64 s[8:9], 0
.LBB432_1758:
	s_and_b64 vcc, exec, s[8:9]
	s_cbranch_vccz .LBB432_1761
; %bb.1759:
	s_cmp_eq_u32 s19, 29
	s_mov_b64 s[0:1], -1
	s_cbranch_scc0 .LBB432_1761
; %bb.1760:
	v_bfe_i32 v6, v1, 0, 16
	v_ashrrev_i32_e32 v7, 31, v6
	global_store_dwordx2 v[4:5], v[6:7], off
	s_mov_b64 s[0:1], 0
	s_mov_b64 s[6:7], -1
.LBB432_1761:
	s_mov_b64 s[8:9], 0
.LBB432_1762:
	s_and_b64 vcc, exec, s[8:9]
	s_cbranch_vccz .LBB432_1778
; %bb.1763:
	s_cmp_lt_i32 s19, 27
	s_mov_b64 s[6:7], -1
	s_cbranch_scc1 .LBB432_1769
; %bb.1764:
	s_cmp_gt_i32 s19, 27
	s_cbranch_scc0 .LBB432_1766
; %bb.1765:
	v_bfe_i32 v3, v1, 0, 16
	s_mov_b64 s[6:7], 0
	global_store_dword v[4:5], v3, off
.LBB432_1766:
	s_andn2_b64 vcc, exec, s[6:7]
	s_cbranch_vccnz .LBB432_1768
; %bb.1767:
	global_store_short v[4:5], v1, off
.LBB432_1768:
	s_mov_b64 s[6:7], 0
.LBB432_1769:
	s_andn2_b64 vcc, exec, s[6:7]
	s_cbranch_vccnz .LBB432_1777
; %bb.1770:
	v_cvt_f32_i32_sdwa v3, sext(v1) dst_sel:DWORD dst_unused:UNUSED_PAD src0_sel:WORD_0
	s_mov_b32 s6, 0x43800000
	v_mov_b32_e32 v7, 0x80
	v_and_b32_e32 v6, 0x7fffffff, v3
	v_cmp_gt_u32_e32 vcc, s6, v6
	s_and_saveexec_b64 s[6:7], vcc
	s_cbranch_execz .LBB432_1776
; %bb.1771:
	s_mov_b32 s8, 0x3bffffff
	v_cmp_lt_u32_e32 vcc, s8, v6
	s_mov_b64 s[8:9], 0
                                        ; implicit-def: $vgpr6
	s_and_saveexec_b64 s[16:17], vcc
	s_xor_b64 s[16:17], exec, s[16:17]
	s_cbranch_execz .LBB432_1997
; %bb.1772:
	v_bfe_u32 v6, v3, 20, 1
	s_mov_b32 s22, 0x487ffff
	v_add3_u32 v6, v3, v6, s22
	s_mov_b64 s[8:9], exec
	v_lshrrev_b32_e32 v6, 20, v6
	s_andn2_saveexec_b64 s[16:17], s[16:17]
	s_cbranch_execnz .LBB432_1998
.LBB432_1773:
	s_or_b64 exec, exec, s[16:17]
	v_mov_b32_e32 v7, 0
	s_and_saveexec_b64 s[16:17], s[8:9]
.LBB432_1774:
	v_lshrrev_b32_e32 v3, 24, v3
	s_movk_i32 s8, 0x80
	v_and_or_b32 v7, v3, s8, v6
.LBB432_1775:
	s_or_b64 exec, exec, s[16:17]
.LBB432_1776:
	s_or_b64 exec, exec, s[6:7]
	global_store_byte v[4:5], v7, off
.LBB432_1777:
	s_mov_b64 s[6:7], -1
.LBB432_1778:
	s_mov_b64 s[8:9], 0
.LBB432_1779:
	s_and_b64 vcc, exec, s[8:9]
	s_cbranch_vccz .LBB432_1819
; %bb.1780:
	s_cmp_gt_i32 s19, 22
	s_mov_b64 s[2:3], -1
	s_cbranch_scc0 .LBB432_1812
; %bb.1781:
	s_cmp_lt_i32 s19, 24
	s_cbranch_scc1 .LBB432_1801
; %bb.1782:
	s_cmp_gt_i32 s19, 24
	s_cbranch_scc0 .LBB432_1790
; %bb.1783:
	v_cvt_f32_i32_sdwa v3, sext(v1) dst_sel:DWORD dst_unused:UNUSED_PAD src0_sel:WORD_0
	s_mov_b32 s2, 0x47800000
	v_mov_b32_e32 v7, 0x80
	v_and_b32_e32 v6, 0x7fffffff, v3
	v_cmp_gt_u32_e32 vcc, s2, v6
	s_and_saveexec_b64 s[2:3], vcc
	s_cbranch_execz .LBB432_1789
; %bb.1784:
	s_mov_b32 s6, 0x37ffffff
	v_cmp_lt_u32_e32 vcc, s6, v6
	s_mov_b64 s[6:7], 0
                                        ; implicit-def: $vgpr6
	s_and_saveexec_b64 s[8:9], vcc
	s_xor_b64 s[8:9], exec, s[8:9]
	s_cbranch_execz .LBB432_2000
; %bb.1785:
	v_bfe_u32 v6, v3, 21, 1
	s_mov_b32 s16, 0x88fffff
	v_add3_u32 v6, v3, v6, s16
	s_mov_b64 s[6:7], exec
	v_lshrrev_b32_e32 v6, 21, v6
	s_andn2_saveexec_b64 s[8:9], s[8:9]
	s_cbranch_execnz .LBB432_2001
.LBB432_1786:
	s_or_b64 exec, exec, s[8:9]
	v_mov_b32_e32 v7, 0
	s_and_saveexec_b64 s[8:9], s[6:7]
.LBB432_1787:
	v_lshrrev_b32_e32 v3, 24, v3
	s_movk_i32 s6, 0x80
	v_and_or_b32 v7, v3, s6, v6
.LBB432_1788:
	s_or_b64 exec, exec, s[8:9]
.LBB432_1789:
	s_or_b64 exec, exec, s[2:3]
	s_mov_b64 s[2:3], 0
	global_store_byte v[4:5], v7, off
.LBB432_1790:
	s_and_b64 vcc, exec, s[2:3]
	s_cbranch_vccz .LBB432_1800
; %bb.1791:
	v_cvt_f32_i32_sdwa v3, sext(v1) dst_sel:DWORD dst_unused:UNUSED_PAD src0_sel:WORD_0
	s_mov_b32 s2, 0x43f00000
                                        ; implicit-def: $vgpr6
	v_and_b32_e32 v7, 0x7fffffff, v3
	v_cmp_gt_u32_e32 vcc, s2, v7
	s_and_saveexec_b64 s[2:3], vcc
	s_xor_b64 s[2:3], exec, s[2:3]
	s_cbranch_execz .LBB432_1797
; %bb.1792:
	s_mov_b32 s6, 0x3c7fffff
	v_cmp_lt_u32_e32 vcc, s6, v7
                                        ; implicit-def: $vgpr6
	s_and_saveexec_b64 s[6:7], vcc
	s_xor_b64 s[6:7], exec, s[6:7]
; %bb.1793:
	v_bfe_u32 v6, v3, 20, 1
	s_mov_b32 s8, 0x407ffff
	v_add3_u32 v6, v3, v6, s8
	v_lshrrev_b32_e32 v7, 20, v6
	v_and_b32_e32 v6, 0xff00000, v6
	s_mov_b32 s8, 0x7f00000
	v_mov_b32_e32 v8, 0x7e
	v_cmp_ne_u32_e32 vcc, s8, v6
	s_nop 1
	v_cndmask_b32_e32 v6, v8, v7, vcc
; %bb.1794:
	s_andn2_saveexec_b64 s[6:7], s[6:7]
; %bb.1795:
	s_mov_b32 s8, 0x46800000
	v_add_f32_e64 v6, |v3|, s8
; %bb.1796:
	s_or_b64 exec, exec, s[6:7]
                                        ; implicit-def: $vgpr7
.LBB432_1797:
	s_andn2_saveexec_b64 s[2:3], s[2:3]
; %bb.1798:
	s_mov_b32 s6, 0x7f800000
	v_mov_b32_e32 v6, 0x7e
	v_mov_b32_e32 v8, 0x7f
	v_cmp_lt_u32_e32 vcc, s6, v7
	s_nop 1
	v_cndmask_b32_e32 v6, v6, v8, vcc
; %bb.1799:
	s_or_b64 exec, exec, s[2:3]
	v_lshrrev_b32_e32 v3, 24, v3
	s_movk_i32 s2, 0x80
	v_and_or_b32 v3, v3, s2, v6
	global_store_byte v[4:5], v3, off
.LBB432_1800:
	s_mov_b64 s[2:3], 0
.LBB432_1801:
	s_andn2_b64 vcc, exec, s[2:3]
	s_cbranch_vccnz .LBB432_1811
; %bb.1802:
	v_cvt_f32_i32_sdwa v3, sext(v1) dst_sel:DWORD dst_unused:UNUSED_PAD src0_sel:WORD_0
	s_mov_b32 s2, 0x47800000
                                        ; implicit-def: $vgpr6
	v_and_b32_e32 v7, 0x7fffffff, v3
	v_cmp_gt_u32_e32 vcc, s2, v7
	s_and_saveexec_b64 s[2:3], vcc
	s_xor_b64 s[2:3], exec, s[2:3]
	s_cbranch_execz .LBB432_1808
; %bb.1803:
	s_mov_b32 s6, 0x387fffff
	v_cmp_lt_u32_e32 vcc, s6, v7
                                        ; implicit-def: $vgpr6
	s_and_saveexec_b64 s[6:7], vcc
	s_xor_b64 s[6:7], exec, s[6:7]
; %bb.1804:
	v_bfe_u32 v6, v3, 21, 1
	s_mov_b32 s8, 0x80fffff
	v_add3_u32 v6, v3, v6, s8
	v_lshrrev_b32_e32 v6, 21, v6
; %bb.1805:
	s_andn2_saveexec_b64 s[6:7], s[6:7]
; %bb.1806:
	s_mov_b32 s8, 0x43000000
	v_add_f32_e64 v6, |v3|, s8
; %bb.1807:
	s_or_b64 exec, exec, s[6:7]
                                        ; implicit-def: $vgpr7
.LBB432_1808:
	s_andn2_saveexec_b64 s[2:3], s[2:3]
; %bb.1809:
	s_mov_b32 s6, 0x7f800000
	v_mov_b32_e32 v6, 0x7c
	v_mov_b32_e32 v8, 0x7f
	v_cmp_lt_u32_e32 vcc, s6, v7
	s_nop 1
	v_cndmask_b32_e32 v6, v6, v8, vcc
; %bb.1810:
	s_or_b64 exec, exec, s[2:3]
	v_lshrrev_b32_e32 v3, 24, v3
	s_movk_i32 s2, 0x80
	v_and_or_b32 v3, v3, s2, v6
	global_store_byte v[4:5], v3, off
.LBB432_1811:
	s_mov_b64 s[2:3], 0
	s_mov_b64 s[6:7], -1
.LBB432_1812:
	s_andn2_b64 vcc, exec, s[2:3]
	s_mov_b64 s[2:3], 0
	s_cbranch_vccnz .LBB432_1819
; %bb.1813:
	s_cmp_gt_i32 s19, 14
	s_mov_b64 s[8:9], -1
	s_cbranch_scc0 .LBB432_1817
; %bb.1814:
	s_cmp_eq_u32 s19, 15
	s_mov_b64 s[0:1], -1
	s_cbranch_scc0 .LBB432_1816
; %bb.1815:
	v_cvt_f32_i32_sdwa v3, sext(v1) dst_sel:DWORD dst_unused:UNUSED_PAD src0_sel:WORD_0
	s_movk_i32 s2, 0x7fff
	s_mov_b64 s[0:1], 0
	s_mov_b64 s[6:7], -1
	v_bfe_u32 v6, v3, 16, 1
	v_add3_u32 v3, v3, v6, s2
	global_store_short_d16_hi v[4:5], v3, off
.LBB432_1816:
	s_mov_b64 s[8:9], 0
.LBB432_1817:
	s_mov_b64 s[2:3], 0
	s_and_b64 vcc, exec, s[8:9]
	s_cbranch_vccz .LBB432_1819
; %bb.1818:
	s_cmp_lg_u32 s19, 11
	s_mov_b64 s[2:3], -1
	s_cselect_b64 s[0:1], -1, 0
.LBB432_1819:
	s_and_b64 vcc, exec, s[0:1]
	s_cbranch_vccnz .LBB432_1999
; %bb.1820:
	s_andn2_b64 vcc, exec, s[2:3]
	s_cbranch_vccnz .LBB432_1822
.LBB432_1821:
	v_cmp_ne_u16_e32 vcc, 0, v1
	s_mov_b64 s[6:7], -1
	s_nop 0
	v_cndmask_b32_e64 v3, 0, 1, vcc
	global_store_byte v[4:5], v3, off
.LBB432_1822:
	s_mov_b64 s[0:1], 0
	s_branch .LBB432_1824
.LBB432_1823:
	s_mov_b64 s[0:1], -1
	s_mov_b64 s[6:7], 0
.LBB432_1824:
	s_and_b64 vcc, exec, s[0:1]
	s_cbranch_vccz .LBB432_1863
; %bb.1825:
	s_and_b32 s2, 0xffff, s20
	s_cmp_lt_i32 s2, 5
	s_mov_b64 s[0:1], -1
	s_cbranch_scc1 .LBB432_1846
; %bb.1826:
	s_cmp_lt_i32 s2, 8
	s_cbranch_scc1 .LBB432_1836
; %bb.1827:
	s_cmp_lt_i32 s2, 9
	s_cbranch_scc1 .LBB432_1833
; %bb.1828:
	s_cmp_gt_i32 s2, 9
	s_cbranch_scc0 .LBB432_1830
; %bb.1829:
	v_bfe_i32 v3, v1, 0, 16
	v_mov_b32_e32 v8, 0
	v_cvt_f64_i32_e32 v[6:7], v3
	v_mov_b32_e32 v9, v8
	global_store_dwordx4 v[4:5], v[6:9], off
	s_mov_b64 s[0:1], 0
.LBB432_1830:
	s_andn2_b64 vcc, exec, s[0:1]
	s_cbranch_vccnz .LBB432_1832
; %bb.1831:
	v_cvt_f32_i32_sdwa v6, sext(v1) dst_sel:DWORD dst_unused:UNUSED_PAD src0_sel:WORD_0
	v_mov_b32_e32 v7, 0
	global_store_dwordx2 v[4:5], v[6:7], off
.LBB432_1832:
	s_mov_b64 s[0:1], 0
.LBB432_1833:
	s_andn2_b64 vcc, exec, s[0:1]
	s_cbranch_vccnz .LBB432_1835
; %bb.1834:
	v_cvt_f16_i16_e32 v3, v1
	global_store_dword v[4:5], v3, off
.LBB432_1835:
	s_mov_b64 s[0:1], 0
.LBB432_1836:
	s_andn2_b64 vcc, exec, s[0:1]
	s_cbranch_vccnz .LBB432_1845
; %bb.1837:
	s_cmp_lt_i32 s2, 6
	s_mov_b64 s[0:1], -1
	s_cbranch_scc1 .LBB432_1843
; %bb.1838:
	s_cmp_gt_i32 s2, 6
	s_cbranch_scc0 .LBB432_1840
; %bb.1839:
	v_bfe_i32 v3, v1, 0, 16
	v_cvt_f64_i32_e32 v[6:7], v3
	global_store_dwordx2 v[4:5], v[6:7], off
	s_mov_b64 s[0:1], 0
.LBB432_1840:
	s_andn2_b64 vcc, exec, s[0:1]
	s_cbranch_vccnz .LBB432_1842
; %bb.1841:
	v_cvt_f32_i32_sdwa v3, sext(v1) dst_sel:DWORD dst_unused:UNUSED_PAD src0_sel:WORD_0
	global_store_dword v[4:5], v3, off
.LBB432_1842:
	s_mov_b64 s[0:1], 0
.LBB432_1843:
	s_andn2_b64 vcc, exec, s[0:1]
	s_cbranch_vccnz .LBB432_1845
; %bb.1844:
	v_cvt_f16_i16_e32 v3, v1
	global_store_short v[4:5], v3, off
.LBB432_1845:
	s_mov_b64 s[0:1], 0
.LBB432_1846:
	s_andn2_b64 vcc, exec, s[0:1]
	s_cbranch_vccnz .LBB432_1862
; %bb.1847:
	s_cmp_lt_i32 s2, 2
	s_mov_b64 s[0:1], -1
	s_cbranch_scc1 .LBB432_1857
; %bb.1848:
	s_cmp_lt_i32 s2, 3
	s_cbranch_scc1 .LBB432_1854
; %bb.1849:
	s_cmp_gt_i32 s2, 3
	v_bfe_i32 v6, v1, 0, 16
	s_cbranch_scc0 .LBB432_1851
; %bb.1850:
	v_ashrrev_i32_e32 v7, 31, v6
	global_store_dwordx2 v[4:5], v[6:7], off
	s_mov_b64 s[0:1], 0
.LBB432_1851:
	s_andn2_b64 vcc, exec, s[0:1]
	s_cbranch_vccnz .LBB432_1853
; %bb.1852:
	global_store_dword v[4:5], v6, off
.LBB432_1853:
	s_mov_b64 s[0:1], 0
.LBB432_1854:
	s_andn2_b64 vcc, exec, s[0:1]
	s_cbranch_vccnz .LBB432_1856
; %bb.1855:
	global_store_short v[4:5], v1, off
.LBB432_1856:
	s_mov_b64 s[0:1], 0
.LBB432_1857:
	s_andn2_b64 vcc, exec, s[0:1]
	s_cbranch_vccnz .LBB432_1862
; %bb.1858:
	s_cmp_gt_i32 s2, 0
	s_mov_b64 s[0:1], -1
	s_cbranch_scc0 .LBB432_1860
; %bb.1859:
	global_store_byte v[4:5], v1, off
	s_mov_b64 s[0:1], 0
.LBB432_1860:
	s_andn2_b64 vcc, exec, s[0:1]
	s_cbranch_vccnz .LBB432_1862
; %bb.1861:
	global_store_byte v[4:5], v1, off
.LBB432_1862:
	s_mov_b64 s[6:7], -1
.LBB432_1863:
	s_andn2_b64 vcc, exec, s[6:7]
	s_cbranch_vccnz .LBB432_1940
; %bb.1864:
	v_min_i16_sdwa v3, sext(v0), s21 dst_sel:DWORD dst_unused:UNUSED_PAD src0_sel:BYTE_0 src1_sel:DWORD
	v_add_u32_e32 v0, s18, v2
	v_ashrrev_i32_e32 v1, 31, v0
	s_cmp_lt_i32 s20, 11
	v_lshl_add_u64 v[0:1], s[4:5], 0, v[0:1]
	s_cbranch_scc1 .LBB432_1985
; %bb.1865:
	s_and_b32 s16, 0xffff, s20
	s_mov_b64 s[4:5], -1
	s_mov_b64 s[2:3], 0
	s_cmp_gt_i32 s16, 25
	s_mov_b64 s[0:1], 0
	s_cbranch_scc0 .LBB432_1898
; %bb.1866:
	s_cmp_gt_i32 s16, 28
	s_cbranch_scc0 .LBB432_1882
; %bb.1867:
	s_cmp_gt_i32 s16, 43
	;; [unrolled: 3-line block ×3, first 2 shown]
	s_cbranch_scc0 .LBB432_1872
; %bb.1869:
	s_cmp_eq_u32 s16, 46
	s_mov_b64 s[0:1], -1
	s_cbranch_scc0 .LBB432_1871
; %bb.1870:
	v_cvt_f32_i32_sdwa v2, sext(v3) dst_sel:DWORD dst_unused:UNUSED_PAD src0_sel:WORD_0
	s_movk_i32 s0, 0x7fff
	v_bfe_u32 v4, v2, 16, 1
	v_add3_u32 v2, v2, v4, s0
	v_lshrrev_b32_e32 v2, 16, v2
	global_store_dword v[0:1], v2, off
	s_mov_b64 s[0:1], 0
.LBB432_1871:
	s_mov_b64 s[4:5], 0
.LBB432_1872:
	s_and_b64 vcc, exec, s[4:5]
	s_cbranch_vccz .LBB432_1877
; %bb.1873:
	s_cmp_eq_u32 s16, 44
	s_mov_b64 s[0:1], -1
	s_cbranch_scc0 .LBB432_1877
; %bb.1874:
	v_cvt_f32_i32_sdwa v2, sext(v3) dst_sel:DWORD dst_unused:UNUSED_PAD src0_sel:WORD_0
	s_movk_i32 s0, 0xff
	v_mov_b32_e32 v5, 0xff
	v_bfe_u32 v4, v2, 23, 8
	v_cmp_ne_u32_e32 vcc, s0, v4
	s_and_saveexec_b64 s[4:5], vcc
; %bb.1875:
	s_mov_b32 s0, 0x3fffff
	v_lshrrev_b32_e32 v5, 23, v2
	v_and_b32_e32 v6, 0x400000, v2
	v_and_or_b32 v2, v2, s0, v4
	v_cmp_ne_u32_e32 vcc, 0, v6
	v_cmp_ne_u32_e64 s[0:1], 0, v2
	s_and_b64 s[0:1], vcc, s[0:1]
	s_nop 0
	v_cndmask_b32_e64 v2, 0, 1, s[0:1]
	v_add_u32_e32 v5, v5, v2
; %bb.1876:
	s_or_b64 exec, exec, s[4:5]
	s_mov_b64 s[0:1], 0
	global_store_byte v[0:1], v5, off
.LBB432_1877:
	s_mov_b64 s[4:5], 0
.LBB432_1878:
	s_and_b64 vcc, exec, s[4:5]
	s_cbranch_vccz .LBB432_1881
; %bb.1879:
	s_cmp_eq_u32 s16, 29
	s_mov_b64 s[0:1], -1
	s_cbranch_scc0 .LBB432_1881
; %bb.1880:
	v_bfe_i32 v4, v3, 0, 16
	v_ashrrev_i32_e32 v5, 31, v4
	global_store_dwordx2 v[0:1], v[4:5], off
	s_mov_b64 s[0:1], 0
.LBB432_1881:
	s_mov_b64 s[4:5], 0
.LBB432_1882:
	s_and_b64 vcc, exec, s[4:5]
	s_cbranch_vccz .LBB432_1897
; %bb.1883:
	s_cmp_lt_i32 s16, 27
	s_mov_b64 s[4:5], -1
	s_cbranch_scc1 .LBB432_1889
; %bb.1884:
	s_cmp_gt_i32 s16, 27
	s_cbranch_scc0 .LBB432_1886
; %bb.1885:
	v_bfe_i32 v2, v3, 0, 16
	global_store_dword v[0:1], v2, off
	s_mov_b64 s[4:5], 0
.LBB432_1886:
	s_andn2_b64 vcc, exec, s[4:5]
	s_cbranch_vccnz .LBB432_1888
; %bb.1887:
	global_store_short v[0:1], v3, off
.LBB432_1888:
	s_mov_b64 s[4:5], 0
.LBB432_1889:
	s_andn2_b64 vcc, exec, s[4:5]
	s_cbranch_vccnz .LBB432_1897
; %bb.1890:
	v_cvt_f32_i32_sdwa v2, sext(v3) dst_sel:DWORD dst_unused:UNUSED_PAD src0_sel:WORD_0
	s_mov_b32 s4, 0x43800000
	v_mov_b32_e32 v5, 0x80
	v_and_b32_e32 v4, 0x7fffffff, v2
	v_cmp_gt_u32_e32 vcc, s4, v4
	s_and_saveexec_b64 s[4:5], vcc
	s_cbranch_execz .LBB432_1896
; %bb.1891:
	s_mov_b32 s6, 0x3bffffff
	v_cmp_lt_u32_e32 vcc, s6, v4
	s_mov_b64 s[6:7], 0
                                        ; implicit-def: $vgpr4
	s_and_saveexec_b64 s[8:9], vcc
	s_xor_b64 s[8:9], exec, s[8:9]
	s_cbranch_execz .LBB432_2002
; %bb.1892:
	v_bfe_u32 v4, v2, 20, 1
	s_mov_b32 s17, 0x487ffff
	v_add3_u32 v4, v2, v4, s17
	s_mov_b64 s[6:7], exec
	v_lshrrev_b32_e32 v4, 20, v4
	s_andn2_saveexec_b64 s[8:9], s[8:9]
	s_cbranch_execnz .LBB432_2003
.LBB432_1893:
	s_or_b64 exec, exec, s[8:9]
	v_mov_b32_e32 v5, 0
	s_and_saveexec_b64 s[8:9], s[6:7]
.LBB432_1894:
	v_lshrrev_b32_e32 v2, 24, v2
	s_movk_i32 s6, 0x80
	v_and_or_b32 v5, v2, s6, v4
.LBB432_1895:
	s_or_b64 exec, exec, s[8:9]
.LBB432_1896:
	s_or_b64 exec, exec, s[4:5]
	global_store_byte v[0:1], v5, off
.LBB432_1897:
	s_mov_b64 s[4:5], 0
.LBB432_1898:
	s_and_b64 vcc, exec, s[4:5]
	s_cbranch_vccz .LBB432_1938
; %bb.1899:
	s_cmp_gt_i32 s16, 22
	s_mov_b64 s[2:3], -1
	s_cbranch_scc0 .LBB432_1931
; %bb.1900:
	s_cmp_lt_i32 s16, 24
	s_cbranch_scc1 .LBB432_1920
; %bb.1901:
	s_cmp_gt_i32 s16, 24
	s_cbranch_scc0 .LBB432_1909
; %bb.1902:
	v_cvt_f32_i32_sdwa v2, sext(v3) dst_sel:DWORD dst_unused:UNUSED_PAD src0_sel:WORD_0
	s_mov_b32 s2, 0x47800000
	v_mov_b32_e32 v5, 0x80
	v_and_b32_e32 v4, 0x7fffffff, v2
	v_cmp_gt_u32_e32 vcc, s2, v4
	s_and_saveexec_b64 s[2:3], vcc
	s_cbranch_execz .LBB432_1908
; %bb.1903:
	s_mov_b32 s4, 0x37ffffff
	v_cmp_lt_u32_e32 vcc, s4, v4
	s_mov_b64 s[4:5], 0
                                        ; implicit-def: $vgpr4
	s_and_saveexec_b64 s[6:7], vcc
	s_xor_b64 s[6:7], exec, s[6:7]
	s_cbranch_execz .LBB432_2005
; %bb.1904:
	v_bfe_u32 v4, v2, 21, 1
	s_mov_b32 s8, 0x88fffff
	v_add3_u32 v4, v2, v4, s8
	s_mov_b64 s[4:5], exec
	v_lshrrev_b32_e32 v4, 21, v4
	s_andn2_saveexec_b64 s[6:7], s[6:7]
	s_cbranch_execnz .LBB432_2006
.LBB432_1905:
	s_or_b64 exec, exec, s[6:7]
	v_mov_b32_e32 v5, 0
	s_and_saveexec_b64 s[6:7], s[4:5]
.LBB432_1906:
	v_lshrrev_b32_e32 v2, 24, v2
	s_movk_i32 s4, 0x80
	v_and_or_b32 v5, v2, s4, v4
.LBB432_1907:
	s_or_b64 exec, exec, s[6:7]
.LBB432_1908:
	s_or_b64 exec, exec, s[2:3]
	s_mov_b64 s[2:3], 0
	global_store_byte v[0:1], v5, off
.LBB432_1909:
	s_and_b64 vcc, exec, s[2:3]
	s_cbranch_vccz .LBB432_1919
; %bb.1910:
	v_cvt_f32_i32_sdwa v2, sext(v3) dst_sel:DWORD dst_unused:UNUSED_PAD src0_sel:WORD_0
	s_mov_b32 s2, 0x43f00000
                                        ; implicit-def: $vgpr4
	v_and_b32_e32 v5, 0x7fffffff, v2
	v_cmp_gt_u32_e32 vcc, s2, v5
	s_and_saveexec_b64 s[2:3], vcc
	s_xor_b64 s[2:3], exec, s[2:3]
	s_cbranch_execz .LBB432_1916
; %bb.1911:
	s_mov_b32 s4, 0x3c7fffff
	v_cmp_lt_u32_e32 vcc, s4, v5
                                        ; implicit-def: $vgpr4
	s_and_saveexec_b64 s[4:5], vcc
	s_xor_b64 s[4:5], exec, s[4:5]
; %bb.1912:
	v_bfe_u32 v4, v2, 20, 1
	s_mov_b32 s6, 0x407ffff
	v_add3_u32 v4, v2, v4, s6
	v_lshrrev_b32_e32 v5, 20, v4
	v_and_b32_e32 v4, 0xff00000, v4
	s_mov_b32 s6, 0x7f00000
	v_mov_b32_e32 v6, 0x7e
	v_cmp_ne_u32_e32 vcc, s6, v4
	s_nop 1
	v_cndmask_b32_e32 v4, v6, v5, vcc
; %bb.1913:
	s_andn2_saveexec_b64 s[4:5], s[4:5]
; %bb.1914:
	s_mov_b32 s6, 0x46800000
	v_add_f32_e64 v4, |v2|, s6
; %bb.1915:
	s_or_b64 exec, exec, s[4:5]
                                        ; implicit-def: $vgpr5
.LBB432_1916:
	s_andn2_saveexec_b64 s[2:3], s[2:3]
; %bb.1917:
	s_mov_b32 s4, 0x7f800000
	v_mov_b32_e32 v4, 0x7e
	v_mov_b32_e32 v6, 0x7f
	v_cmp_lt_u32_e32 vcc, s4, v5
	s_nop 1
	v_cndmask_b32_e32 v4, v4, v6, vcc
; %bb.1918:
	s_or_b64 exec, exec, s[2:3]
	v_lshrrev_b32_e32 v2, 24, v2
	s_movk_i32 s2, 0x80
	v_and_or_b32 v2, v2, s2, v4
	global_store_byte v[0:1], v2, off
.LBB432_1919:
	s_mov_b64 s[2:3], 0
.LBB432_1920:
	s_andn2_b64 vcc, exec, s[2:3]
	s_cbranch_vccnz .LBB432_1930
; %bb.1921:
	v_cvt_f32_i32_sdwa v2, sext(v3) dst_sel:DWORD dst_unused:UNUSED_PAD src0_sel:WORD_0
	s_mov_b32 s2, 0x47800000
                                        ; implicit-def: $vgpr4
	v_and_b32_e32 v5, 0x7fffffff, v2
	v_cmp_gt_u32_e32 vcc, s2, v5
	s_and_saveexec_b64 s[2:3], vcc
	s_xor_b64 s[2:3], exec, s[2:3]
	s_cbranch_execz .LBB432_1927
; %bb.1922:
	s_mov_b32 s4, 0x387fffff
	v_cmp_lt_u32_e32 vcc, s4, v5
                                        ; implicit-def: $vgpr4
	s_and_saveexec_b64 s[4:5], vcc
	s_xor_b64 s[4:5], exec, s[4:5]
; %bb.1923:
	v_bfe_u32 v4, v2, 21, 1
	s_mov_b32 s6, 0x80fffff
	v_add3_u32 v4, v2, v4, s6
	v_lshrrev_b32_e32 v4, 21, v4
; %bb.1924:
	s_andn2_saveexec_b64 s[4:5], s[4:5]
; %bb.1925:
	s_mov_b32 s6, 0x43000000
	v_add_f32_e64 v4, |v2|, s6
; %bb.1926:
	s_or_b64 exec, exec, s[4:5]
                                        ; implicit-def: $vgpr5
.LBB432_1927:
	s_andn2_saveexec_b64 s[2:3], s[2:3]
; %bb.1928:
	s_mov_b32 s4, 0x7f800000
	v_mov_b32_e32 v4, 0x7c
	v_mov_b32_e32 v6, 0x7f
	v_cmp_lt_u32_e32 vcc, s4, v5
	s_nop 1
	v_cndmask_b32_e32 v4, v4, v6, vcc
; %bb.1929:
	s_or_b64 exec, exec, s[2:3]
	v_lshrrev_b32_e32 v2, 24, v2
	s_movk_i32 s2, 0x80
	v_and_or_b32 v2, v2, s2, v4
	global_store_byte v[0:1], v2, off
.LBB432_1930:
	s_mov_b64 s[2:3], 0
.LBB432_1931:
	s_andn2_b64 vcc, exec, s[2:3]
	s_mov_b64 s[2:3], 0
	s_cbranch_vccnz .LBB432_1938
; %bb.1932:
	s_cmp_gt_i32 s16, 14
	s_mov_b64 s[4:5], -1
	s_cbranch_scc0 .LBB432_1936
; %bb.1933:
	s_cmp_eq_u32 s16, 15
	s_mov_b64 s[0:1], -1
	s_cbranch_scc0 .LBB432_1935
; %bb.1934:
	v_cvt_f32_i32_sdwa v2, sext(v3) dst_sel:DWORD dst_unused:UNUSED_PAD src0_sel:WORD_0
	s_movk_i32 s0, 0x7fff
	v_bfe_u32 v4, v2, 16, 1
	v_add3_u32 v2, v2, v4, s0
	global_store_short_d16_hi v[0:1], v2, off
	s_mov_b64 s[0:1], 0
.LBB432_1935:
	s_mov_b64 s[4:5], 0
.LBB432_1936:
	s_and_b64 vcc, exec, s[4:5]
	s_cbranch_vccz .LBB432_1938
; %bb.1937:
	s_cmp_lg_u32 s16, 11
	s_mov_b64 s[2:3], -1
	s_cselect_b64 s[0:1], -1, 0
.LBB432_1938:
	s_and_b64 vcc, exec, s[0:1]
	s_cbranch_vccnz .LBB432_2004
.LBB432_1939:
	s_mov_b64 s[0:1], 0
	s_branch .LBB432_1941
.LBB432_1940:
	s_mov_b64 s[0:1], 0
	s_mov_b64 s[2:3], 0
                                        ; implicit-def: $sgpr20
                                        ; implicit-def: $vgpr0_vgpr1
                                        ; implicit-def: $vgpr3
.LBB432_1941:
	s_andn2_b64 s[4:5], s[12:13], exec
	s_and_b64 s[6:7], s[14:15], exec
	s_and_b64 s[0:1], s[0:1], exec
	;; [unrolled: 1-line block ×3, first 2 shown]
	s_or_b64 s[12:13], s[4:5], s[6:7]
.LBB432_1942:
	s_or_b64 exec, exec, s[10:11]
	s_and_saveexec_b64 s[4:5], s[12:13]
	s_cbranch_execz .LBB432_1945
; %bb.1943:
	; divergent unreachable
	s_or_b64 exec, exec, s[4:5]
	s_and_saveexec_b64 s[4:5], s[2:3]
	s_xor_b64 s[2:3], exec, s[4:5]
	s_cbranch_execnz .LBB432_1946
.LBB432_1944:
	s_or_b64 exec, exec, s[2:3]
	s_and_saveexec_b64 s[2:3], s[0:1]
	s_cbranch_execnz .LBB432_1947
	s_branch .LBB432_1984
.LBB432_1945:
	s_or_b64 exec, exec, s[4:5]
	s_and_saveexec_b64 s[4:5], s[2:3]
	s_xor_b64 s[2:3], exec, s[4:5]
	s_cbranch_execz .LBB432_1944
.LBB432_1946:
	s_waitcnt vmcnt(0)
	v_mov_b32_e32 v2, 0
	v_cmp_ne_u16_sdwa s[4:5], v3, v2 src0_sel:BYTE_0 src1_sel:DWORD
	s_nop 1
	v_cndmask_b32_e64 v2, 0, 1, s[4:5]
	global_store_byte v[0:1], v2, off
	s_or_b64 exec, exec, s[2:3]
	s_and_saveexec_b64 s[2:3], s[0:1]
	s_cbranch_execz .LBB432_1984
.LBB432_1947:
	s_sext_i32_i16 s2, s20
	s_cmp_lt_i32 s2, 5
	s_mov_b64 s[0:1], -1
	s_cbranch_scc1 .LBB432_1968
; %bb.1948:
	s_cmp_lt_i32 s2, 8
	s_cbranch_scc1 .LBB432_1958
; %bb.1949:
	s_cmp_lt_i32 s2, 9
	s_cbranch_scc1 .LBB432_1955
; %bb.1950:
	s_cmp_gt_i32 s2, 9
	s_cbranch_scc0 .LBB432_1952
; %bb.1951:
	s_waitcnt vmcnt(0)
	v_bfe_i32 v2, v3, 0, 8
	v_bfe_i32 v2, v2, 0, 16
	v_mov_b32_e32 v6, 0
	v_cvt_f64_i32_e32 v[4:5], v2
	v_mov_b32_e32 v7, v6
	global_store_dwordx4 v[0:1], v[4:7], off
	s_mov_b64 s[0:1], 0
.LBB432_1952:
	s_andn2_b64 vcc, exec, s[0:1]
	s_cbranch_vccnz .LBB432_1954
; %bb.1953:
	s_waitcnt vmcnt(0)
	v_bfe_i32 v2, v3, 0, 8
	v_cvt_f32_i32_sdwa v4, sext(v2) dst_sel:DWORD dst_unused:UNUSED_PAD src0_sel:WORD_0
	v_mov_b32_e32 v5, 0
	global_store_dwordx2 v[0:1], v[4:5], off
.LBB432_1954:
	s_mov_b64 s[0:1], 0
.LBB432_1955:
	s_andn2_b64 vcc, exec, s[0:1]
	s_cbranch_vccnz .LBB432_1957
; %bb.1956:
	s_waitcnt vmcnt(0)
	v_cvt_f16_i16_sdwa v2, sext(v3) dst_sel:DWORD dst_unused:UNUSED_PAD src0_sel:BYTE_0
	global_store_dword v[0:1], v2, off
.LBB432_1957:
	s_mov_b64 s[0:1], 0
.LBB432_1958:
	s_andn2_b64 vcc, exec, s[0:1]
	s_cbranch_vccnz .LBB432_1967
; %bb.1959:
	s_sext_i32_i16 s2, s20
	s_cmp_lt_i32 s2, 6
	s_mov_b64 s[0:1], -1
	s_cbranch_scc1 .LBB432_1965
; %bb.1960:
	s_cmp_gt_i32 s2, 6
	s_cbranch_scc0 .LBB432_1962
; %bb.1961:
	s_waitcnt vmcnt(0)
	v_bfe_i32 v2, v3, 0, 8
	v_bfe_i32 v2, v2, 0, 16
	v_cvt_f64_i32_e32 v[4:5], v2
	global_store_dwordx2 v[0:1], v[4:5], off
	s_mov_b64 s[0:1], 0
.LBB432_1962:
	s_andn2_b64 vcc, exec, s[0:1]
	s_cbranch_vccnz .LBB432_1964
; %bb.1963:
	s_waitcnt vmcnt(0)
	v_bfe_i32 v2, v3, 0, 8
	v_cvt_f32_i32_sdwa v2, sext(v2) dst_sel:DWORD dst_unused:UNUSED_PAD src0_sel:WORD_0
	global_store_dword v[0:1], v2, off
.LBB432_1964:
	s_mov_b64 s[0:1], 0
.LBB432_1965:
	s_andn2_b64 vcc, exec, s[0:1]
	s_cbranch_vccnz .LBB432_1967
; %bb.1966:
	s_waitcnt vmcnt(0)
	v_cvt_f16_i16_sdwa v2, sext(v3) dst_sel:DWORD dst_unused:UNUSED_PAD src0_sel:BYTE_0
	global_store_short v[0:1], v2, off
.LBB432_1967:
	s_mov_b64 s[0:1], 0
.LBB432_1968:
	s_andn2_b64 vcc, exec, s[0:1]
	s_cbranch_vccnz .LBB432_1984
; %bb.1969:
	s_sext_i32_i16 s2, s20
	s_cmp_lt_i32 s2, 2
	s_mov_b64 s[0:1], -1
	s_cbranch_scc1 .LBB432_1979
; %bb.1970:
	s_cmp_lt_i32 s2, 3
	s_cbranch_scc1 .LBB432_1976
; %bb.1971:
	s_cmp_gt_i32 s2, 3
	s_cbranch_scc0 .LBB432_1973
; %bb.1972:
	s_waitcnt vmcnt(0)
	v_bfe_i32 v4, v3, 0, 8
	v_ashrrev_i32_e32 v5, 31, v4
	global_store_dwordx2 v[0:1], v[4:5], off
	s_mov_b64 s[0:1], 0
.LBB432_1973:
	s_andn2_b64 vcc, exec, s[0:1]
	s_cbranch_vccnz .LBB432_1975
; %bb.1974:
	s_waitcnt vmcnt(0)
	v_bfe_i32 v2, v3, 0, 8
	global_store_dword v[0:1], v2, off
.LBB432_1975:
	s_mov_b64 s[0:1], 0
.LBB432_1976:
	s_andn2_b64 vcc, exec, s[0:1]
	s_cbranch_vccnz .LBB432_1978
; %bb.1977:
	s_waitcnt vmcnt(0)
	v_bfe_i32 v2, v3, 0, 8
	global_store_short v[0:1], v2, off
.LBB432_1978:
	s_mov_b64 s[0:1], 0
.LBB432_1979:
	s_andn2_b64 vcc, exec, s[0:1]
	s_cbranch_vccnz .LBB432_1984
; %bb.1980:
	s_sext_i32_i16 s0, s20
	s_cmp_gt_i32 s0, 0
	s_mov_b64 s[0:1], -1
	s_cbranch_scc0 .LBB432_1982
; %bb.1981:
	s_waitcnt vmcnt(0)
	global_store_byte v[0:1], v3, off
	s_mov_b64 s[0:1], 0
.LBB432_1982:
	s_andn2_b64 vcc, exec, s[0:1]
	s_cbranch_vccnz .LBB432_1984
; %bb.1983:
	s_waitcnt vmcnt(0)
	global_store_byte v[0:1], v3, off
	s_endpgm
.LBB432_1984:
	s_endpgm
.LBB432_1985:
	s_mov_b64 s[2:3], 0
	s_mov_b64 s[0:1], -1
	s_branch .LBB432_1941
.LBB432_1986:
	s_trap 2
	s_or_b64 s[14:15], s[14:15], exec
	s_cbranch_execz .LBB432_1455
	s_branch .LBB432_1456
.LBB432_1987:
	s_andn2_saveexec_b64 s[18:19], s[18:19]
	s_cbranch_execz .LBB432_1535
.LBB432_1988:
	s_mov_b32 s22, 0x46000000
	v_add_f32_e64 v5, |v3|, s22
	v_and_b32_e32 v5, 0xff, v5
	v_cmp_ne_u32_e32 vcc, 0, v5
	s_andn2_b64 s[16:17], s[16:17], exec
	s_and_b64 s[22:23], vcc, exec
	s_or_b64 s[16:17], s[16:17], s[22:23]
	s_or_b64 exec, exec, s[18:19]
	v_mov_b32_e32 v7, 0
	s_and_saveexec_b64 s[18:19], s[16:17]
	s_cbranch_execnz .LBB432_1536
	s_branch .LBB432_1537
.LBB432_1989:
	s_trap 2
	s_or_b64 s[14:15], s[14:15], exec
	s_cbranch_execz .LBB432_1583
	s_branch .LBB432_1584
.LBB432_1990:
	s_andn2_saveexec_b64 s[16:17], s[16:17]
	s_cbranch_execz .LBB432_1548
.LBB432_1991:
	s_mov_b32 s18, 0x42800000
	v_add_f32_e64 v5, |v3|, s18
	v_and_b32_e32 v5, 0xff, v5
	v_cmp_ne_u32_e32 vcc, 0, v5
	s_andn2_b64 s[6:7], s[6:7], exec
	s_and_b64 s[18:19], vcc, exec
	s_or_b64 s[6:7], s[6:7], s[18:19]
	s_or_b64 exec, exec, s[16:17]
	v_mov_b32_e32 v7, 0
	s_and_saveexec_b64 s[16:17], s[6:7]
	s_cbranch_execnz .LBB432_1549
	s_branch .LBB432_1550
.LBB432_1992:
	s_andn2_saveexec_b64 s[16:17], s[16:17]
	s_cbranch_execz .LBB432_1654
.LBB432_1993:
	s_mov_b32 s22, 0x46000000
	v_add_f32_e64 v5, |v3|, s22
	v_and_b32_e32 v5, 0xff, v5
	v_cmp_ne_u32_e32 vcc, 0, v5
	s_andn2_b64 s[8:9], s[8:9], exec
	s_and_b64 s[22:23], vcc, exec
	s_or_b64 s[8:9], s[8:9], s[22:23]
	s_or_b64 exec, exec, s[16:17]
	v_mov_b32_e32 v8, 0
	s_and_saveexec_b64 s[16:17], s[8:9]
	s_cbranch_execnz .LBB432_1655
	s_branch .LBB432_1656
.LBB432_1994:
	s_trap 2
	s_or_b64 s[14:15], s[14:15], exec
	s_cbranch_execz .LBB432_1702
	s_branch .LBB432_1703
.LBB432_1995:
	s_andn2_saveexec_b64 s[8:9], s[8:9]
	s_cbranch_execz .LBB432_1667
.LBB432_1996:
	s_mov_b32 s16, 0x42800000
	v_add_f32_e64 v5, |v3|, s16
	v_and_b32_e32 v5, 0xff, v5
	v_cmp_ne_u32_e32 vcc, 0, v5
	s_andn2_b64 s[6:7], s[6:7], exec
	s_and_b64 s[16:17], vcc, exec
	s_or_b64 s[6:7], s[6:7], s[16:17]
	s_or_b64 exec, exec, s[8:9]
	v_mov_b32_e32 v8, 0
	s_and_saveexec_b64 s[8:9], s[6:7]
	s_cbranch_execnz .LBB432_1668
	s_branch .LBB432_1669
.LBB432_1997:
	s_andn2_saveexec_b64 s[16:17], s[16:17]
	s_cbranch_execz .LBB432_1773
.LBB432_1998:
	s_mov_b32 s22, 0x46000000
	v_add_f32_e64 v6, |v3|, s22
	v_and_b32_e32 v6, 0xff, v6
	v_cmp_ne_u32_e32 vcc, 0, v6
	s_andn2_b64 s[8:9], s[8:9], exec
	s_and_b64 s[22:23], vcc, exec
	s_or_b64 s[8:9], s[8:9], s[22:23]
	s_or_b64 exec, exec, s[16:17]
	v_mov_b32_e32 v7, 0
	s_and_saveexec_b64 s[16:17], s[8:9]
	s_cbranch_execnz .LBB432_1774
	s_branch .LBB432_1775
.LBB432_1999:
	s_trap 2
	s_or_b64 s[14:15], s[14:15], exec
	s_cbranch_execz .LBB432_1821
	s_branch .LBB432_1822
.LBB432_2000:
	s_andn2_saveexec_b64 s[8:9], s[8:9]
	s_cbranch_execz .LBB432_1786
.LBB432_2001:
	s_mov_b32 s16, 0x42800000
	v_add_f32_e64 v6, |v3|, s16
	v_and_b32_e32 v6, 0xff, v6
	v_cmp_ne_u32_e32 vcc, 0, v6
	s_andn2_b64 s[6:7], s[6:7], exec
	s_and_b64 s[16:17], vcc, exec
	s_or_b64 s[6:7], s[6:7], s[16:17]
	s_or_b64 exec, exec, s[8:9]
	v_mov_b32_e32 v7, 0
	s_and_saveexec_b64 s[8:9], s[6:7]
	s_cbranch_execnz .LBB432_1787
	s_branch .LBB432_1788
.LBB432_2002:
	s_andn2_saveexec_b64 s[8:9], s[8:9]
	s_cbranch_execz .LBB432_1893
.LBB432_2003:
	s_mov_b32 s17, 0x46000000
	v_add_f32_e64 v4, |v2|, s17
	v_and_b32_e32 v4, 0xff, v4
	v_cmp_ne_u32_e32 vcc, 0, v4
	s_andn2_b64 s[6:7], s[6:7], exec
	s_and_b64 s[18:19], vcc, exec
	s_or_b64 s[6:7], s[6:7], s[18:19]
	s_or_b64 exec, exec, s[8:9]
	v_mov_b32_e32 v5, 0
	s_and_saveexec_b64 s[8:9], s[6:7]
	s_cbranch_execnz .LBB432_1894
	s_branch .LBB432_1895
.LBB432_2004:
	s_mov_b64 s[2:3], 0
	s_or_b64 s[14:15], s[14:15], exec
	s_trap 2
	s_branch .LBB432_1939
.LBB432_2005:
	s_andn2_saveexec_b64 s[6:7], s[6:7]
	s_cbranch_execz .LBB432_1905
.LBB432_2006:
	s_mov_b32 s8, 0x42800000
	v_add_f32_e64 v4, |v2|, s8
	v_and_b32_e32 v4, 0xff, v4
	v_cmp_ne_u32_e32 vcc, 0, v4
	s_andn2_b64 s[4:5], s[4:5], exec
	s_and_b64 s[8:9], vcc, exec
	s_or_b64 s[4:5], s[4:5], s[8:9]
	s_or_b64 exec, exec, s[6:7]
	v_mov_b32_e32 v5, 0
	s_and_saveexec_b64 s[6:7], s[4:5]
	s_cbranch_execnz .LBB432_1906
	s_branch .LBB432_1907
	.section	.rodata,"a",@progbits
	.p2align	6, 0x0
	.amdhsa_kernel _ZN2at6native32elementwise_kernel_manual_unrollILi128ELi4EZNS0_15gpu_kernel_implIZZZNS0_21clamp_max_kernel_cudaERNS_18TensorIteratorBaseERKN3c106ScalarEENKUlvE_clEvENKUlvE0_clEvEUlaE_EEvS4_RKT_EUlibE_EEviT1_
		.amdhsa_group_segment_fixed_size 0
		.amdhsa_private_segment_fixed_size 0
		.amdhsa_kernarg_size 40
		.amdhsa_user_sgpr_count 2
		.amdhsa_user_sgpr_dispatch_ptr 0
		.amdhsa_user_sgpr_queue_ptr 0
		.amdhsa_user_sgpr_kernarg_segment_ptr 1
		.amdhsa_user_sgpr_dispatch_id 0
		.amdhsa_user_sgpr_kernarg_preload_length 0
		.amdhsa_user_sgpr_kernarg_preload_offset 0
		.amdhsa_user_sgpr_private_segment_size 0
		.amdhsa_uses_dynamic_stack 0
		.amdhsa_enable_private_segment 0
		.amdhsa_system_sgpr_workgroup_id_x 1
		.amdhsa_system_sgpr_workgroup_id_y 0
		.amdhsa_system_sgpr_workgroup_id_z 0
		.amdhsa_system_sgpr_workgroup_info 0
		.amdhsa_system_vgpr_workitem_id 0
		.amdhsa_next_free_vgpr 14
		.amdhsa_next_free_sgpr 48
		.amdhsa_accum_offset 16
		.amdhsa_reserve_vcc 1
		.amdhsa_float_round_mode_32 0
		.amdhsa_float_round_mode_16_64 0
		.amdhsa_float_denorm_mode_32 3
		.amdhsa_float_denorm_mode_16_64 3
		.amdhsa_dx10_clamp 1
		.amdhsa_ieee_mode 1
		.amdhsa_fp16_overflow 0
		.amdhsa_tg_split 0
		.amdhsa_exception_fp_ieee_invalid_op 0
		.amdhsa_exception_fp_denorm_src 0
		.amdhsa_exception_fp_ieee_div_zero 0
		.amdhsa_exception_fp_ieee_overflow 0
		.amdhsa_exception_fp_ieee_underflow 0
		.amdhsa_exception_fp_ieee_inexact 0
		.amdhsa_exception_int_div_zero 0
	.end_amdhsa_kernel
	.section	.text._ZN2at6native32elementwise_kernel_manual_unrollILi128ELi4EZNS0_15gpu_kernel_implIZZZNS0_21clamp_max_kernel_cudaERNS_18TensorIteratorBaseERKN3c106ScalarEENKUlvE_clEvENKUlvE0_clEvEUlaE_EEvS4_RKT_EUlibE_EEviT1_,"axG",@progbits,_ZN2at6native32elementwise_kernel_manual_unrollILi128ELi4EZNS0_15gpu_kernel_implIZZZNS0_21clamp_max_kernel_cudaERNS_18TensorIteratorBaseERKN3c106ScalarEENKUlvE_clEvENKUlvE0_clEvEUlaE_EEvS4_RKT_EUlibE_EEviT1_,comdat
.Lfunc_end432:
	.size	_ZN2at6native32elementwise_kernel_manual_unrollILi128ELi4EZNS0_15gpu_kernel_implIZZZNS0_21clamp_max_kernel_cudaERNS_18TensorIteratorBaseERKN3c106ScalarEENKUlvE_clEvENKUlvE0_clEvEUlaE_EEvS4_RKT_EUlibE_EEviT1_, .Lfunc_end432-_ZN2at6native32elementwise_kernel_manual_unrollILi128ELi4EZNS0_15gpu_kernel_implIZZZNS0_21clamp_max_kernel_cudaERNS_18TensorIteratorBaseERKN3c106ScalarEENKUlvE_clEvENKUlvE0_clEvEUlaE_EEvS4_RKT_EUlibE_EEviT1_
                                        ; -- End function
	.set _ZN2at6native32elementwise_kernel_manual_unrollILi128ELi4EZNS0_15gpu_kernel_implIZZZNS0_21clamp_max_kernel_cudaERNS_18TensorIteratorBaseERKN3c106ScalarEENKUlvE_clEvENKUlvE0_clEvEUlaE_EEvS4_RKT_EUlibE_EEviT1_.num_vgpr, 14
	.set _ZN2at6native32elementwise_kernel_manual_unrollILi128ELi4EZNS0_15gpu_kernel_implIZZZNS0_21clamp_max_kernel_cudaERNS_18TensorIteratorBaseERKN3c106ScalarEENKUlvE_clEvENKUlvE0_clEvEUlaE_EEvS4_RKT_EUlibE_EEviT1_.num_agpr, 0
	.set _ZN2at6native32elementwise_kernel_manual_unrollILi128ELi4EZNS0_15gpu_kernel_implIZZZNS0_21clamp_max_kernel_cudaERNS_18TensorIteratorBaseERKN3c106ScalarEENKUlvE_clEvENKUlvE0_clEvEUlaE_EEvS4_RKT_EUlibE_EEviT1_.numbered_sgpr, 48
	.set _ZN2at6native32elementwise_kernel_manual_unrollILi128ELi4EZNS0_15gpu_kernel_implIZZZNS0_21clamp_max_kernel_cudaERNS_18TensorIteratorBaseERKN3c106ScalarEENKUlvE_clEvENKUlvE0_clEvEUlaE_EEvS4_RKT_EUlibE_EEviT1_.num_named_barrier, 0
	.set _ZN2at6native32elementwise_kernel_manual_unrollILi128ELi4EZNS0_15gpu_kernel_implIZZZNS0_21clamp_max_kernel_cudaERNS_18TensorIteratorBaseERKN3c106ScalarEENKUlvE_clEvENKUlvE0_clEvEUlaE_EEvS4_RKT_EUlibE_EEviT1_.private_seg_size, 0
	.set _ZN2at6native32elementwise_kernel_manual_unrollILi128ELi4EZNS0_15gpu_kernel_implIZZZNS0_21clamp_max_kernel_cudaERNS_18TensorIteratorBaseERKN3c106ScalarEENKUlvE_clEvENKUlvE0_clEvEUlaE_EEvS4_RKT_EUlibE_EEviT1_.uses_vcc, 1
	.set _ZN2at6native32elementwise_kernel_manual_unrollILi128ELi4EZNS0_15gpu_kernel_implIZZZNS0_21clamp_max_kernel_cudaERNS_18TensorIteratorBaseERKN3c106ScalarEENKUlvE_clEvENKUlvE0_clEvEUlaE_EEvS4_RKT_EUlibE_EEviT1_.uses_flat_scratch, 0
	.set _ZN2at6native32elementwise_kernel_manual_unrollILi128ELi4EZNS0_15gpu_kernel_implIZZZNS0_21clamp_max_kernel_cudaERNS_18TensorIteratorBaseERKN3c106ScalarEENKUlvE_clEvENKUlvE0_clEvEUlaE_EEvS4_RKT_EUlibE_EEviT1_.has_dyn_sized_stack, 0
	.set _ZN2at6native32elementwise_kernel_manual_unrollILi128ELi4EZNS0_15gpu_kernel_implIZZZNS0_21clamp_max_kernel_cudaERNS_18TensorIteratorBaseERKN3c106ScalarEENKUlvE_clEvENKUlvE0_clEvEUlaE_EEvS4_RKT_EUlibE_EEviT1_.has_recursion, 0
	.set _ZN2at6native32elementwise_kernel_manual_unrollILi128ELi4EZNS0_15gpu_kernel_implIZZZNS0_21clamp_max_kernel_cudaERNS_18TensorIteratorBaseERKN3c106ScalarEENKUlvE_clEvENKUlvE0_clEvEUlaE_EEvS4_RKT_EUlibE_EEviT1_.has_indirect_call, 0
	.section	.AMDGPU.csdata,"",@progbits
; Kernel info:
; codeLenInByte = 30336
; TotalNumSgprs: 54
; NumVgprs: 14
; NumAgprs: 0
; TotalNumVgprs: 14
; ScratchSize: 0
; MemoryBound: 1
; FloatMode: 240
; IeeeMode: 1
; LDSByteSize: 0 bytes/workgroup (compile time only)
; SGPRBlocks: 6
; VGPRBlocks: 1
; NumSGPRsForWavesPerEU: 54
; NumVGPRsForWavesPerEU: 14
; AccumOffset: 16
; Occupancy: 8
; WaveLimiterHint : 0
; COMPUTE_PGM_RSRC2:SCRATCH_EN: 0
; COMPUTE_PGM_RSRC2:USER_SGPR: 2
; COMPUTE_PGM_RSRC2:TRAP_HANDLER: 0
; COMPUTE_PGM_RSRC2:TGID_X_EN: 1
; COMPUTE_PGM_RSRC2:TGID_Y_EN: 0
; COMPUTE_PGM_RSRC2:TGID_Z_EN: 0
; COMPUTE_PGM_RSRC2:TIDIG_COMP_CNT: 0
; COMPUTE_PGM_RSRC3_GFX90A:ACCUM_OFFSET: 3
; COMPUTE_PGM_RSRC3_GFX90A:TG_SPLIT: 0
	.section	.text._ZN2at6native32elementwise_kernel_manual_unrollILi128ELi4EZNS0_15gpu_kernel_implIZZZNS0_21clamp_max_kernel_cudaERNS_18TensorIteratorBaseERKN3c106ScalarEENKUlvE_clEvENKUlvE0_clEvEUlaE_EEvS4_RKT_EUlibE0_EEviT1_,"axG",@progbits,_ZN2at6native32elementwise_kernel_manual_unrollILi128ELi4EZNS0_15gpu_kernel_implIZZZNS0_21clamp_max_kernel_cudaERNS_18TensorIteratorBaseERKN3c106ScalarEENKUlvE_clEvENKUlvE0_clEvEUlaE_EEvS4_RKT_EUlibE0_EEviT1_,comdat
	.globl	_ZN2at6native32elementwise_kernel_manual_unrollILi128ELi4EZNS0_15gpu_kernel_implIZZZNS0_21clamp_max_kernel_cudaERNS_18TensorIteratorBaseERKN3c106ScalarEENKUlvE_clEvENKUlvE0_clEvEUlaE_EEvS4_RKT_EUlibE0_EEviT1_ ; -- Begin function _ZN2at6native32elementwise_kernel_manual_unrollILi128ELi4EZNS0_15gpu_kernel_implIZZZNS0_21clamp_max_kernel_cudaERNS_18TensorIteratorBaseERKN3c106ScalarEENKUlvE_clEvENKUlvE0_clEvEUlaE_EEvS4_RKT_EUlibE0_EEviT1_
	.p2align	8
	.type	_ZN2at6native32elementwise_kernel_manual_unrollILi128ELi4EZNS0_15gpu_kernel_implIZZZNS0_21clamp_max_kernel_cudaERNS_18TensorIteratorBaseERKN3c106ScalarEENKUlvE_clEvENKUlvE0_clEvEUlaE_EEvS4_RKT_EUlibE0_EEviT1_,@function
_ZN2at6native32elementwise_kernel_manual_unrollILi128ELi4EZNS0_15gpu_kernel_implIZZZNS0_21clamp_max_kernel_cudaERNS_18TensorIteratorBaseERKN3c106ScalarEENKUlvE_clEvENKUlvE0_clEvEUlaE_EEvS4_RKT_EUlibE0_EEviT1_: ; @_ZN2at6native32elementwise_kernel_manual_unrollILi128ELi4EZNS0_15gpu_kernel_implIZZZNS0_21clamp_max_kernel_cudaERNS_18TensorIteratorBaseERKN3c106ScalarEENKUlvE_clEvENKUlvE0_clEvEUlaE_EEvS4_RKT_EUlibE0_EEviT1_
; %bb.0:
	s_load_dword s70, s[0:1], 0x0
	s_load_dword s33, s[0:1], 0x8
	s_add_u32 s34, s0, 8
	s_addc_u32 s35, s1, 0
	v_lshl_or_b32 v8, s2, 9, v0
	v_or_b32_e32 v16, 0x180, v8
	s_waitcnt lgkmcnt(0)
	s_add_i32 s72, s33, -1
	s_cmp_gt_u32 s72, 1
	v_cmp_le_i32_e32 vcc, s70, v16
	s_cselect_b64 s[42:43], -1, 0
	s_mov_b64 s[40:41], 0
	s_mov_b64 s[24:25], 0
	s_and_saveexec_b64 s[2:3], vcc
	s_xor_b64 s[44:45], exec, s[2:3]
	s_cbranch_execz .LBB433_1074
; %bb.1:
	s_load_dwordx4 s[24:27], s[34:35], 0x4
	s_load_dwordx2 s[46:47], s[34:35], 0x14
	s_load_dword s74, s[34:35], 0x158
	s_cmp_lg_u32 s33, 0
	s_load_dwordx4 s[28:31], s[34:35], 0xc4
	s_load_dwordx4 s[20:23], s[34:35], 0x148
	s_cselect_b64 s[52:53], -1, 0
	s_add_u32 s50, s34, 0xc4
	s_addc_u32 s51, s35, 0
	s_min_u32 s76, s72, 15
	s_cmp_gt_u32 s33, 1
	s_cselect_b64 s[48:49], -1, 0
	s_waitcnt lgkmcnt(0)
	s_lshr_b32 s73, s74, 8
	s_lshr_b32 s75, s74, 16
	v_cmp_gt_i32_e32 vcc, s70, v8
	s_mov_b64 s[4:5], -1
	s_mov_b64 s[62:63], 0
	s_mov_b64 s[56:57], 0
	;; [unrolled: 1-line block ×3, first 2 shown]
	s_and_saveexec_b64 s[58:59], vcc
	s_cbranch_execz .LBB433_263
; %bb.2:
	s_andn2_b64 vcc, exec, s[42:43]
	s_cbranch_vccnz .LBB433_8
; %bb.3:
	s_andn2_b64 vcc, exec, s[52:53]
	s_cbranch_vccnz .LBB433_9
; %bb.4:
	s_add_i32 s57, s76, 1
	s_cmp_eq_u32 s72, 2
	s_cbranch_scc1 .LBB433_10
; %bb.5:
	s_and_b32 s56, s57, 28
	s_mov_b32 s60, 0
	v_mov_b32_e32 v0, 0
	v_mov_b32_e32 v2, 0
	s_mov_b64 s[2:3], s[34:35]
	s_mov_b64 s[54:55], s[50:51]
	v_mov_b32_e32 v4, v8
.LBB433_6:                              ; =>This Inner Loop Header: Depth=1
	s_load_dwordx8 s[12:19], s[2:3], 0x4
	s_load_dwordx4 s[36:39], s[2:3], 0x24
	s_load_dwordx8 s[4:11], s[54:55], 0x0
	s_add_u32 s2, s2, 48
	s_addc_u32 s3, s3, 0
	s_waitcnt lgkmcnt(0)
	v_mul_hi_u32 v1, s13, v4
	v_add_u32_e32 v1, v4, v1
	v_lshrrev_b32_e32 v1, s14, v1
	v_mul_lo_u32 v3, v1, s12
	v_mul_hi_u32 v5, s16, v1
	v_sub_u32_e32 v3, v4, v3
	v_add_u32_e32 v4, v1, v5
	v_lshrrev_b32_e32 v4, s17, v4
	v_mul_lo_u32 v6, v4, s15
	v_mul_hi_u32 v7, s19, v4
	v_sub_u32_e32 v1, v1, v6
	v_add_u32_e32 v6, v4, v7
	v_mul_lo_u32 v5, v3, s5
	v_mul_lo_u32 v3, v3, s4
	;; [unrolled: 1-line block ×4, first 2 shown]
	v_lshrrev_b32_e32 v6, s36, v6
	v_add3_u32 v0, v3, v0, v1
	v_mul_hi_u32 v3, s38, v6
	v_add3_u32 v1, v5, v2, v7
	v_mul_lo_u32 v2, v6, s18
	v_add_u32_e32 v3, v6, v3
	v_sub_u32_e32 v2, v4, v2
	v_lshrrev_b32_e32 v4, s39, v3
	s_add_i32 s60, s60, 4
	v_mul_lo_u32 v3, v4, s37
	s_add_u32 s54, s54, 32
	v_sub_u32_e32 v3, v6, v3
	s_addc_u32 s55, s55, 0
	v_mul_lo_u32 v5, v2, s8
	v_mul_lo_u32 v2, v2, s9
	;; [unrolled: 1-line block ×4, first 2 shown]
	s_cmp_lg_u32 s56, s60
	v_add3_u32 v2, v2, v1, v3
	v_add3_u32 v0, v5, v0, v6
	s_cbranch_scc1 .LBB433_6
; %bb.7:
	v_mov_b32_e32 v1, v2
	s_branch .LBB433_11
.LBB433_8:
                                        ; implicit-def: $vgpr2
                                        ; implicit-def: $vgpr0
	s_branch .LBB433_15
.LBB433_9:
	v_mov_b32_e32 v2, 0
	v_mov_b32_e32 v0, 0
	s_branch .LBB433_14
.LBB433_10:
	v_mov_b32_e32 v0, 0
	s_mov_b32 s56, 0
	v_mov_b32_e32 v1, v0
                                        ; implicit-def: $vgpr2
	v_mov_b32_e32 v4, v8
.LBB433_11:
	s_and_b32 s6, s57, 3
	s_cmp_eq_u32 s6, 0
	s_cbranch_scc1 .LBB433_14
; %bb.12:
	s_lshl_b32 s2, s56, 3
	s_add_u32 s2, s34, s2
	s_addc_u32 s3, s35, 0
	s_add_u32 s2, s2, 0xc4
	s_addc_u32 s3, s3, 0
	s_mul_i32 s4, s56, 12
	s_add_u32 s4, s34, s4
	s_addc_u32 s5, s35, 0
.LBB433_13:                             ; =>This Inner Loop Header: Depth=1
	s_load_dwordx2 s[8:9], s[4:5], 0x4
	s_load_dword s7, s[4:5], 0xc
	s_load_dwordx2 s[10:11], s[2:3], 0x0
	v_mov_b32_e32 v2, v1
	s_add_u32 s4, s4, 12
	s_waitcnt lgkmcnt(0)
	v_mul_hi_u32 v1, s9, v4
	v_add_u32_e32 v1, v4, v1
	v_lshrrev_b32_e32 v1, s7, v1
	s_addc_u32 s5, s5, 0
	v_mul_lo_u32 v3, v1, s8
	s_add_u32 s2, s2, 8
	v_sub_u32_e32 v5, v4, v3
	s_addc_u32 s3, s3, 0
	s_add_i32 s6, s6, -1
	v_mov_b32_e32 v4, v1
	v_mad_u64_u32 v[2:3], s[8:9], v5, s11, v[2:3]
	v_mad_u64_u32 v[0:1], s[8:9], v5, s10, v[0:1]
	s_cmp_lg_u32 s6, 0
	v_mov_b32_e32 v1, v2
	s_cbranch_scc1 .LBB433_13
.LBB433_14:
	s_cbranch_execnz .LBB433_17
.LBB433_15:
	v_mul_hi_u32 v0, s25, v8
	v_add_u32_e32 v0, v8, v0
	v_lshrrev_b32_e32 v1, s26, v0
	v_mul_lo_u32 v0, v1, s24
	v_sub_u32_e32 v0, v8, v0
	v_mul_lo_u32 v2, v0, s29
	s_andn2_b64 vcc, exec, s[48:49]
	v_mul_lo_u32 v0, v0, s28
	s_cbranch_vccnz .LBB433_17
; %bb.16:
	v_mul_hi_u32 v3, s46, v1
	v_add_u32_e32 v3, v1, v3
	v_lshrrev_b32_e32 v3, s47, v3
	v_mul_lo_u32 v3, v3, s27
	v_sub_u32_e32 v3, v1, v3
	v_mad_u64_u32 v[0:1], s[2:3], v3, s30, v[0:1]
	v_mad_u64_u32 v[2:3], s[2:3], v3, s31, v[2:3]
.LBB433_17:
	v_mov_b32_e32 v3, 0
	s_and_b32 s8, s75, 0xff
	s_cmp_lt_i32 s8, 11
	v_lshl_add_u64 v[2:3], s[22:23], 0, v[2:3]
	s_cbranch_scc1 .LBB433_24
; %bb.18:
	s_and_b32 s9, 0xffff, s8
	s_cmp_gt_i32 s9, 25
	s_cbranch_scc0 .LBB433_33
; %bb.19:
	s_cmp_gt_i32 s9, 28
	s_cbranch_scc0 .LBB433_36
; %bb.20:
	;; [unrolled: 3-line block ×4, first 2 shown]
	s_cmp_eq_u32 s9, 46
	s_mov_b64 s[6:7], 0
	s_cbranch_scc0 .LBB433_42
; %bb.23:
	global_load_dword v1, v[2:3], off
	s_mov_b64 s[2:3], -1
	s_mov_b64 s[4:5], 0
	s_waitcnt vmcnt(0)
	v_lshlrev_b32_e32 v1, 16, v1
	v_cvt_i32_f32_e32 v4, v1
	s_branch .LBB433_44
.LBB433_24:
	s_mov_b64 s[4:5], 0
                                        ; implicit-def: $vgpr4
	s_mov_b64 s[2:3], 0
	s_cbranch_execnz .LBB433_213
.LBB433_25:
	s_andn2_b64 vcc, exec, s[2:3]
	s_cbranch_vccnz .LBB433_260
.LBB433_26:
	s_bfe_i32 s2, s74, 0x80000
	v_mov_b32_e32 v1, 0
	s_and_b32 s12, s73, 0xff
	s_waitcnt vmcnt(0)
	v_min_i16_sdwa v4, sext(v4), s2 dst_sel:DWORD dst_unused:UNUSED_PAD src0_sel:BYTE_0 src1_sel:DWORD
	s_cmp_lt_i32 s12, 11
	v_lshl_add_u64 v[0:1], s[20:21], 0, v[0:1]
	s_cbranch_scc1 .LBB433_34
; %bb.27:
	s_and_b32 s13, 0xffff, s12
	s_cmp_gt_i32 s13, 25
	s_cbranch_scc0 .LBB433_37
; %bb.28:
	s_cmp_gt_i32 s13, 28
	s_cbranch_scc0 .LBB433_39
; %bb.29:
	;; [unrolled: 3-line block ×4, first 2 shown]
	s_mov_b64 s[8:9], 0
	s_mov_b64 s[2:3], -1
	s_cmp_eq_u32 s13, 46
	s_mov_b64 s[6:7], 0
	s_cbranch_scc0 .LBB433_48
; %bb.32:
	v_cvt_f32_i32_sdwa v2, sext(v4) dst_sel:DWORD dst_unused:UNUSED_PAD src0_sel:WORD_0
	s_movk_i32 s2, 0x7fff
	s_mov_b64 s[6:7], -1
	v_bfe_u32 v3, v2, 16, 1
	v_add3_u32 v2, v2, v3, s2
	v_lshrrev_b32_e32 v2, 16, v2
	global_store_dword v[0:1], v2, off
	s_mov_b64 s[2:3], 0
	s_branch .LBB433_48
.LBB433_33:
	s_mov_b64 s[4:5], 0
	s_mov_b64 s[2:3], 0
                                        ; implicit-def: $vgpr4
	s_cbranch_execnz .LBB433_180
	s_branch .LBB433_212
.LBB433_34:
	s_mov_b64 s[2:3], 0
	s_mov_b64 s[6:7], 0
	s_cbranch_execnz .LBB433_117
.LBB433_35:
	s_andn2_b64 vcc, exec, s[6:7]
	s_cbranch_vccnz .LBB433_261
	s_branch .LBB433_155
.LBB433_36:
	s_mov_b64 s[6:7], -1
	s_mov_b64 s[4:5], 0
	s_mov_b64 s[2:3], 0
                                        ; implicit-def: $vgpr4
	s_branch .LBB433_163
.LBB433_37:
	s_mov_b64 s[8:9], -1
	s_mov_b64 s[2:3], 0
	s_mov_b64 s[6:7], 0
	s_branch .LBB433_75
.LBB433_38:
	s_mov_b64 s[6:7], -1
	s_mov_b64 s[4:5], 0
	s_mov_b64 s[2:3], 0
                                        ; implicit-def: $vgpr4
	s_branch .LBB433_158
.LBB433_39:
	s_mov_b64 s[8:9], -1
	s_mov_b64 s[2:3], 0
	s_mov_b64 s[6:7], 0
	s_branch .LBB433_58
.LBB433_40:
	s_mov_b64 s[6:7], -1
	s_mov_b64 s[4:5], 0
	s_branch .LBB433_43
.LBB433_41:
	s_mov_b64 s[8:9], -1
	s_mov_b64 s[2:3], 0
	s_mov_b64 s[6:7], 0
	s_branch .LBB433_54
.LBB433_42:
	s_mov_b64 s[4:5], -1
.LBB433_43:
	s_mov_b64 s[2:3], 0
                                        ; implicit-def: $vgpr4
.LBB433_44:
	s_and_b64 vcc, exec, s[6:7]
	s_cbranch_vccz .LBB433_157
; %bb.45:
	s_cmp_eq_u32 s9, 44
	s_cbranch_scc0 .LBB433_156
; %bb.46:
	global_load_ubyte v1, v[2:3], off
	s_mov_b64 s[2:3], -1
	s_mov_b64 s[4:5], 0
	s_waitcnt vmcnt(0)
	v_lshlrev_b32_e32 v4, 23, v1
	v_cvt_i32_f32_e32 v4, v4
	v_cmp_ne_u32_e32 vcc, 0, v1
	s_nop 1
	v_cndmask_b32_e32 v4, 0, v4, vcc
	s_branch .LBB433_157
.LBB433_47:
	s_mov_b64 s[8:9], -1
	s_mov_b64 s[2:3], 0
	s_mov_b64 s[6:7], 0
.LBB433_48:
	s_and_b64 vcc, exec, s[8:9]
	s_cbranch_vccz .LBB433_53
; %bb.49:
	s_cmp_eq_u32 s13, 44
	s_mov_b64 s[2:3], -1
	s_cbranch_scc0 .LBB433_53
; %bb.50:
	v_cvt_f32_i32_sdwa v2, sext(v4) dst_sel:DWORD dst_unused:UNUSED_PAD src0_sel:WORD_0
	s_movk_i32 s2, 0xff
	v_mov_b32_e32 v5, 0xff
	v_bfe_u32 v3, v2, 23, 8
	v_cmp_ne_u32_e32 vcc, s2, v3
	s_and_saveexec_b64 s[6:7], vcc
; %bb.51:
	s_mov_b32 s2, 0x3fffff
	v_lshrrev_b32_e32 v5, 23, v2
	v_and_b32_e32 v6, 0x400000, v2
	v_and_or_b32 v2, v2, s2, v3
	v_cmp_ne_u32_e32 vcc, 0, v6
	v_cmp_ne_u32_e64 s[2:3], 0, v2
	s_and_b64 s[2:3], vcc, s[2:3]
	s_nop 0
	v_cndmask_b32_e64 v2, 0, 1, s[2:3]
	v_add_u32_e32 v5, v5, v2
; %bb.52:
	s_or_b64 exec, exec, s[6:7]
	s_mov_b64 s[6:7], -1
	s_mov_b64 s[2:3], 0
	global_store_byte v[0:1], v5, off
.LBB433_53:
	s_mov_b64 s[8:9], 0
.LBB433_54:
	s_and_b64 vcc, exec, s[8:9]
	s_cbranch_vccz .LBB433_57
; %bb.55:
	s_cmp_eq_u32 s13, 29
	s_mov_b64 s[2:3], -1
	s_cbranch_scc0 .LBB433_57
; %bb.56:
	v_bfe_i32 v2, v4, 0, 16
	v_ashrrev_i32_e32 v3, 31, v2
	global_store_dwordx2 v[0:1], v[2:3], off
	s_mov_b64 s[6:7], -1
	s_mov_b64 s[2:3], 0
.LBB433_57:
	s_mov_b64 s[8:9], 0
.LBB433_58:
	s_and_b64 vcc, exec, s[8:9]
	s_cbranch_vccz .LBB433_74
; %bb.59:
	s_cmp_lt_i32 s13, 27
	s_mov_b64 s[6:7], -1
	s_cbranch_scc1 .LBB433_65
; %bb.60:
	s_cmp_gt_i32 s13, 27
	s_cbranch_scc0 .LBB433_62
; %bb.61:
	v_bfe_i32 v2, v4, 0, 16
	s_mov_b64 s[6:7], 0
	global_store_dword v[0:1], v2, off
.LBB433_62:
	s_andn2_b64 vcc, exec, s[6:7]
	s_cbranch_vccnz .LBB433_64
; %bb.63:
	global_store_short v[0:1], v4, off
.LBB433_64:
	s_mov_b64 s[6:7], 0
.LBB433_65:
	s_andn2_b64 vcc, exec, s[6:7]
	s_cbranch_vccnz .LBB433_73
; %bb.66:
	v_cvt_f32_i32_sdwa v2, sext(v4) dst_sel:DWORD dst_unused:UNUSED_PAD src0_sel:WORD_0
	s_mov_b32 s6, 0x43800000
	v_mov_b32_e32 v5, 0x80
	v_and_b32_e32 v3, 0x7fffffff, v2
	v_cmp_gt_u32_e32 vcc, s6, v3
	s_and_saveexec_b64 s[6:7], vcc
	s_cbranch_execz .LBB433_72
; %bb.67:
	s_mov_b32 s8, 0x3bffffff
	v_cmp_lt_u32_e32 vcc, s8, v3
	s_mov_b64 s[8:9], 0
                                        ; implicit-def: $vgpr3
	s_and_saveexec_b64 s[10:11], vcc
	s_xor_b64 s[10:11], exec, s[10:11]
	s_cbranch_execz .LBB433_305
; %bb.68:
	v_bfe_u32 v3, v2, 20, 1
	s_mov_b32 s14, 0x487ffff
	v_add3_u32 v3, v2, v3, s14
	s_mov_b64 s[8:9], exec
	v_lshrrev_b32_e32 v3, 20, v3
	s_andn2_saveexec_b64 s[10:11], s[10:11]
	s_cbranch_execnz .LBB433_306
.LBB433_69:
	s_or_b64 exec, exec, s[10:11]
	v_mov_b32_e32 v5, 0
	s_and_saveexec_b64 s[10:11], s[8:9]
.LBB433_70:
	v_lshrrev_b32_e32 v2, 24, v2
	s_movk_i32 s8, 0x80
	v_and_or_b32 v5, v2, s8, v3
.LBB433_71:
	s_or_b64 exec, exec, s[10:11]
.LBB433_72:
	s_or_b64 exec, exec, s[6:7]
	global_store_byte v[0:1], v5, off
.LBB433_73:
	s_mov_b64 s[6:7], -1
.LBB433_74:
	s_mov_b64 s[8:9], 0
.LBB433_75:
	s_and_b64 vcc, exec, s[8:9]
	s_cbranch_vccz .LBB433_116
; %bb.76:
	s_cmp_gt_i32 s13, 22
	s_mov_b64 s[8:9], -1
	s_cbranch_scc0 .LBB433_108
; %bb.77:
	s_cmp_lt_i32 s13, 24
	s_mov_b64 s[6:7], -1
	s_cbranch_scc1 .LBB433_97
; %bb.78:
	s_cmp_gt_i32 s13, 24
	s_cbranch_scc0 .LBB433_86
; %bb.79:
	v_cvt_f32_i32_sdwa v2, sext(v4) dst_sel:DWORD dst_unused:UNUSED_PAD src0_sel:WORD_0
	s_mov_b32 s6, 0x47800000
	v_mov_b32_e32 v5, 0x80
	v_and_b32_e32 v3, 0x7fffffff, v2
	v_cmp_gt_u32_e32 vcc, s6, v3
	s_and_saveexec_b64 s[6:7], vcc
	s_cbranch_execz .LBB433_85
; %bb.80:
	s_mov_b32 s8, 0x37ffffff
	v_cmp_lt_u32_e32 vcc, s8, v3
	s_mov_b64 s[8:9], 0
                                        ; implicit-def: $vgpr3
	s_and_saveexec_b64 s[10:11], vcc
	s_xor_b64 s[10:11], exec, s[10:11]
	s_cbranch_execz .LBB433_309
; %bb.81:
	v_bfe_u32 v3, v2, 21, 1
	s_mov_b32 s14, 0x88fffff
	v_add3_u32 v3, v2, v3, s14
	s_mov_b64 s[8:9], exec
	v_lshrrev_b32_e32 v3, 21, v3
	s_andn2_saveexec_b64 s[10:11], s[10:11]
	s_cbranch_execnz .LBB433_310
.LBB433_82:
	s_or_b64 exec, exec, s[10:11]
	v_mov_b32_e32 v5, 0
	s_and_saveexec_b64 s[10:11], s[8:9]
.LBB433_83:
	v_lshrrev_b32_e32 v2, 24, v2
	s_movk_i32 s8, 0x80
	v_and_or_b32 v5, v2, s8, v3
.LBB433_84:
	s_or_b64 exec, exec, s[10:11]
.LBB433_85:
	s_or_b64 exec, exec, s[6:7]
	s_mov_b64 s[6:7], 0
	global_store_byte v[0:1], v5, off
.LBB433_86:
	s_and_b64 vcc, exec, s[6:7]
	s_cbranch_vccz .LBB433_96
; %bb.87:
	v_cvt_f32_i32_sdwa v2, sext(v4) dst_sel:DWORD dst_unused:UNUSED_PAD src0_sel:WORD_0
	s_mov_b32 s6, 0x43f00000
                                        ; implicit-def: $vgpr3
	v_and_b32_e32 v5, 0x7fffffff, v2
	v_cmp_gt_u32_e32 vcc, s6, v5
	s_and_saveexec_b64 s[6:7], vcc
	s_xor_b64 s[6:7], exec, s[6:7]
	s_cbranch_execz .LBB433_93
; %bb.88:
	s_mov_b32 s8, 0x3c7fffff
	v_cmp_lt_u32_e32 vcc, s8, v5
                                        ; implicit-def: $vgpr3
	s_and_saveexec_b64 s[8:9], vcc
	s_xor_b64 s[8:9], exec, s[8:9]
; %bb.89:
	v_bfe_u32 v3, v2, 20, 1
	s_mov_b32 s10, 0x407ffff
	v_add3_u32 v3, v2, v3, s10
	v_lshrrev_b32_e32 v5, 20, v3
	v_and_b32_e32 v3, 0xff00000, v3
	s_mov_b32 s10, 0x7f00000
	v_mov_b32_e32 v6, 0x7e
	v_cmp_ne_u32_e32 vcc, s10, v3
	s_nop 1
	v_cndmask_b32_e32 v3, v6, v5, vcc
; %bb.90:
	s_andn2_saveexec_b64 s[8:9], s[8:9]
; %bb.91:
	s_mov_b32 s10, 0x46800000
	v_add_f32_e64 v3, |v2|, s10
; %bb.92:
	s_or_b64 exec, exec, s[8:9]
                                        ; implicit-def: $vgpr5
.LBB433_93:
	s_andn2_saveexec_b64 s[6:7], s[6:7]
; %bb.94:
	s_mov_b32 s8, 0x7f800000
	v_mov_b32_e32 v3, 0x7e
	v_mov_b32_e32 v6, 0x7f
	v_cmp_lt_u32_e32 vcc, s8, v5
	s_nop 1
	v_cndmask_b32_e32 v3, v3, v6, vcc
; %bb.95:
	s_or_b64 exec, exec, s[6:7]
	v_lshrrev_b32_e32 v2, 24, v2
	s_movk_i32 s6, 0x80
	v_and_or_b32 v2, v2, s6, v3
	global_store_byte v[0:1], v2, off
.LBB433_96:
	s_mov_b64 s[6:7], 0
.LBB433_97:
	s_andn2_b64 vcc, exec, s[6:7]
	s_cbranch_vccnz .LBB433_107
; %bb.98:
	v_cvt_f32_i32_sdwa v2, sext(v4) dst_sel:DWORD dst_unused:UNUSED_PAD src0_sel:WORD_0
	s_mov_b32 s6, 0x47800000
                                        ; implicit-def: $vgpr3
	v_and_b32_e32 v5, 0x7fffffff, v2
	v_cmp_gt_u32_e32 vcc, s6, v5
	s_and_saveexec_b64 s[6:7], vcc
	s_xor_b64 s[6:7], exec, s[6:7]
	s_cbranch_execz .LBB433_104
; %bb.99:
	s_mov_b32 s8, 0x387fffff
	v_cmp_lt_u32_e32 vcc, s8, v5
                                        ; implicit-def: $vgpr3
	s_and_saveexec_b64 s[8:9], vcc
	s_xor_b64 s[8:9], exec, s[8:9]
; %bb.100:
	v_bfe_u32 v3, v2, 21, 1
	s_mov_b32 s10, 0x80fffff
	v_add3_u32 v3, v2, v3, s10
	v_lshrrev_b32_e32 v3, 21, v3
; %bb.101:
	s_andn2_saveexec_b64 s[8:9], s[8:9]
; %bb.102:
	s_mov_b32 s10, 0x43000000
	v_add_f32_e64 v3, |v2|, s10
; %bb.103:
	s_or_b64 exec, exec, s[8:9]
                                        ; implicit-def: $vgpr5
.LBB433_104:
	s_andn2_saveexec_b64 s[6:7], s[6:7]
; %bb.105:
	s_mov_b32 s8, 0x7f800000
	v_mov_b32_e32 v3, 0x7c
	v_mov_b32_e32 v6, 0x7f
	v_cmp_lt_u32_e32 vcc, s8, v5
	s_nop 1
	v_cndmask_b32_e32 v3, v3, v6, vcc
; %bb.106:
	s_or_b64 exec, exec, s[6:7]
	v_lshrrev_b32_e32 v2, 24, v2
	s_movk_i32 s6, 0x80
	v_and_or_b32 v2, v2, s6, v3
	global_store_byte v[0:1], v2, off
.LBB433_107:
	s_mov_b64 s[8:9], 0
	s_mov_b64 s[6:7], -1
.LBB433_108:
	s_andn2_b64 vcc, exec, s[8:9]
	s_cbranch_vccnz .LBB433_116
; %bb.109:
	s_cmp_gt_i32 s13, 14
	s_mov_b64 s[8:9], -1
	s_cbranch_scc0 .LBB433_113
; %bb.110:
	s_cmp_eq_u32 s13, 15
	s_mov_b64 s[2:3], -1
	s_cbranch_scc0 .LBB433_112
; %bb.111:
	v_cvt_f32_i32_sdwa v2, sext(v4) dst_sel:DWORD dst_unused:UNUSED_PAD src0_sel:WORD_0
	s_movk_i32 s2, 0x7fff
	s_mov_b64 s[6:7], -1
	v_bfe_u32 v3, v2, 16, 1
	v_add3_u32 v2, v2, v3, s2
	global_store_short_d16_hi v[0:1], v2, off
	s_mov_b64 s[2:3], 0
.LBB433_112:
	s_mov_b64 s[8:9], 0
.LBB433_113:
	s_and_b64 vcc, exec, s[8:9]
	s_cbranch_vccz .LBB433_116
; %bb.114:
	s_cmp_eq_u32 s13, 11
	s_mov_b64 s[2:3], -1
	s_cbranch_scc0 .LBB433_116
; %bb.115:
	v_cmp_ne_u16_e32 vcc, 0, v4
	s_mov_b64 s[6:7], -1
	s_mov_b64 s[2:3], 0
	v_cndmask_b32_e64 v2, 0, 1, vcc
	global_store_byte v[0:1], v2, off
.LBB433_116:
	s_branch .LBB433_35
.LBB433_117:
	s_and_b32 s8, 0xffff, s12
	s_cmp_lt_i32 s8, 5
	s_mov_b64 s[6:7], -1
	s_cbranch_scc1 .LBB433_138
; %bb.118:
	s_cmp_lt_i32 s8, 8
	s_cbranch_scc1 .LBB433_128
; %bb.119:
	s_cmp_lt_i32 s8, 9
	s_cbranch_scc1 .LBB433_125
; %bb.120:
	s_cmp_gt_i32 s8, 9
	s_cbranch_scc0 .LBB433_122
; %bb.121:
	v_bfe_i32 v2, v4, 0, 16
	v_mov_b32_e32 v12, 0
	v_cvt_f64_i32_e32 v[10:11], v2
	v_mov_b32_e32 v13, v12
	global_store_dwordx4 v[0:1], v[10:13], off
	s_mov_b64 s[6:7], 0
.LBB433_122:
	s_andn2_b64 vcc, exec, s[6:7]
	s_cbranch_vccnz .LBB433_124
; %bb.123:
	v_cvt_f32_i32_sdwa v2, sext(v4) dst_sel:DWORD dst_unused:UNUSED_PAD src0_sel:WORD_0
	v_mov_b32_e32 v3, 0
	global_store_dwordx2 v[0:1], v[2:3], off
.LBB433_124:
	s_mov_b64 s[6:7], 0
.LBB433_125:
	s_andn2_b64 vcc, exec, s[6:7]
	s_cbranch_vccnz .LBB433_127
; %bb.126:
	v_cvt_f16_i16_e32 v2, v4
	global_store_dword v[0:1], v2, off
.LBB433_127:
	s_mov_b64 s[6:7], 0
.LBB433_128:
	s_andn2_b64 vcc, exec, s[6:7]
	s_cbranch_vccnz .LBB433_137
; %bb.129:
	s_cmp_lt_i32 s8, 6
	s_mov_b64 s[6:7], -1
	s_cbranch_scc1 .LBB433_135
; %bb.130:
	s_cmp_gt_i32 s8, 6
	s_cbranch_scc0 .LBB433_132
; %bb.131:
	v_bfe_i32 v2, v4, 0, 16
	v_cvt_f64_i32_e32 v[2:3], v2
	global_store_dwordx2 v[0:1], v[2:3], off
	s_mov_b64 s[6:7], 0
.LBB433_132:
	s_andn2_b64 vcc, exec, s[6:7]
	s_cbranch_vccnz .LBB433_134
; %bb.133:
	v_cvt_f32_i32_sdwa v2, sext(v4) dst_sel:DWORD dst_unused:UNUSED_PAD src0_sel:WORD_0
	global_store_dword v[0:1], v2, off
.LBB433_134:
	s_mov_b64 s[6:7], 0
.LBB433_135:
	s_andn2_b64 vcc, exec, s[6:7]
	s_cbranch_vccnz .LBB433_137
; %bb.136:
	v_cvt_f16_i16_e32 v2, v4
	global_store_short v[0:1], v2, off
.LBB433_137:
	s_mov_b64 s[6:7], 0
.LBB433_138:
	s_andn2_b64 vcc, exec, s[6:7]
	s_cbranch_vccnz .LBB433_154
; %bb.139:
	s_cmp_lt_i32 s8, 2
	s_mov_b64 s[6:7], -1
	s_cbranch_scc1 .LBB433_149
; %bb.140:
	s_cmp_lt_i32 s8, 3
	s_cbranch_scc1 .LBB433_146
; %bb.141:
	s_cmp_gt_i32 s8, 3
	v_bfe_i32 v2, v4, 0, 16
	s_cbranch_scc0 .LBB433_143
; %bb.142:
	v_ashrrev_i32_e32 v3, 31, v2
	global_store_dwordx2 v[0:1], v[2:3], off
	s_mov_b64 s[6:7], 0
.LBB433_143:
	s_andn2_b64 vcc, exec, s[6:7]
	s_cbranch_vccnz .LBB433_145
; %bb.144:
	global_store_dword v[0:1], v2, off
.LBB433_145:
	s_mov_b64 s[6:7], 0
.LBB433_146:
	s_andn2_b64 vcc, exec, s[6:7]
	s_cbranch_vccnz .LBB433_148
; %bb.147:
	global_store_short v[0:1], v4, off
.LBB433_148:
	s_mov_b64 s[6:7], 0
.LBB433_149:
	s_andn2_b64 vcc, exec, s[6:7]
	s_cbranch_vccnz .LBB433_154
; %bb.150:
	s_cmp_gt_i32 s8, 0
	s_mov_b64 s[6:7], -1
	s_cbranch_scc0 .LBB433_152
; %bb.151:
	global_store_byte v[0:1], v4, off
	s_mov_b64 s[6:7], 0
.LBB433_152:
	s_andn2_b64 vcc, exec, s[6:7]
	s_cbranch_vccnz .LBB433_154
; %bb.153:
	global_store_byte v[0:1], v4, off
.LBB433_154:
.LBB433_155:
	v_add_u32_e32 v8, 0x80, v8
	s_mov_b64 s[6:7], -1
	s_branch .LBB433_262
.LBB433_156:
	s_mov_b64 s[4:5], -1
                                        ; implicit-def: $vgpr4
.LBB433_157:
	s_mov_b64 s[6:7], 0
.LBB433_158:
	s_and_b64 vcc, exec, s[6:7]
	s_cbranch_vccz .LBB433_162
; %bb.159:
	s_cmp_eq_u32 s9, 29
	s_cbranch_scc0 .LBB433_161
; %bb.160:
	global_load_dwordx2 v[4:5], v[2:3], off
	s_mov_b64 s[2:3], -1
	s_mov_b64 s[4:5], 0
	s_branch .LBB433_162
.LBB433_161:
	s_mov_b64 s[4:5], -1
                                        ; implicit-def: $vgpr4
.LBB433_162:
	s_mov_b64 s[6:7], 0
.LBB433_163:
	s_and_b64 vcc, exec, s[6:7]
	s_cbranch_vccz .LBB433_179
; %bb.164:
	s_cmp_lt_i32 s9, 27
	s_cbranch_scc1 .LBB433_167
; %bb.165:
	s_cmp_gt_i32 s9, 27
	s_cbranch_scc0 .LBB433_168
; %bb.166:
	global_load_dword v4, v[2:3], off
	s_mov_b64 s[2:3], 0
	s_branch .LBB433_169
.LBB433_167:
	s_mov_b64 s[2:3], -1
                                        ; implicit-def: $vgpr4
	s_branch .LBB433_172
.LBB433_168:
	s_mov_b64 s[2:3], -1
                                        ; implicit-def: $vgpr4
.LBB433_169:
	s_andn2_b64 vcc, exec, s[2:3]
	s_cbranch_vccnz .LBB433_171
; %bb.170:
	global_load_ushort v4, v[2:3], off
.LBB433_171:
	s_mov_b64 s[2:3], 0
.LBB433_172:
	s_andn2_b64 vcc, exec, s[2:3]
	s_cbranch_vccnz .LBB433_178
; %bb.173:
	global_load_ubyte v1, v[2:3], off
	s_movk_i32 s2, 0x7f
	s_mov_b64 s[6:7], 0
	s_waitcnt vmcnt(0)
	v_cmp_lt_i16_e32 vcc, s2, v1
	s_and_saveexec_b64 s[2:3], vcc
	s_xor_b64 s[2:3], exec, s[2:3]
	s_cbranch_execz .LBB433_189
; %bb.174:
	s_movk_i32 s6, 0x80
	v_cmp_ne_u16_e32 vcc, s6, v1
	s_and_b64 s[6:7], vcc, exec
	s_andn2_saveexec_b64 s[2:3], s[2:3]
	s_cbranch_execnz .LBB433_190
.LBB433_175:
	s_or_b64 exec, exec, s[2:3]
	v_mov_b32_e32 v4, 0
	s_and_saveexec_b64 s[2:3], s[6:7]
	s_cbranch_execz .LBB433_177
.LBB433_176:
	v_lshlrev_b32_e32 v4, 24, v1
	v_and_b32_e32 v1, 0xffff, v1
	v_and_b32_e32 v5, 7, v1
	v_ffbh_u32_e32 v7, v5
	v_min_u32_e32 v7, 32, v7
	v_subrev_u32_e32 v9, 28, v7
	v_bfe_u32 v6, v1, 3, 4
	v_lshlrev_b32_e32 v1, v9, v1
	v_sub_u32_e32 v7, 29, v7
	v_and_b32_e32 v1, 7, v1
	v_cmp_eq_u32_e32 vcc, 0, v6
	v_and_b32_e32 v4, 0x80000000, v4
	s_nop 0
	v_cndmask_b32_e32 v6, v6, v7, vcc
	v_cndmask_b32_e32 v1, v5, v1, vcc
	v_mov_b32_e32 v5, 0x3b800000
	v_lshlrev_b32_e32 v1, 20, v1
	v_lshl_add_u32 v5, v6, 23, v5
	v_or3_b32 v1, v4, v5, v1
	v_cvt_i32_f32_e32 v4, v1
.LBB433_177:
	s_or_b64 exec, exec, s[2:3]
.LBB433_178:
	s_mov_b64 s[2:3], -1
.LBB433_179:
	s_branch .LBB433_212
.LBB433_180:
	s_cmp_gt_i32 s9, 22
	s_cbranch_scc0 .LBB433_188
; %bb.181:
	s_cmp_lt_i32 s9, 24
	s_cbranch_scc1 .LBB433_191
; %bb.182:
	s_cmp_gt_i32 s9, 24
	s_cbranch_scc0 .LBB433_192
; %bb.183:
	global_load_ubyte v1, v[2:3], off
	s_movk_i32 s2, 0x7f
	s_mov_b64 s[6:7], 0
	s_waitcnt vmcnt(0)
	v_cmp_lt_i16_e32 vcc, s2, v1
	s_and_saveexec_b64 s[2:3], vcc
	s_xor_b64 s[2:3], exec, s[2:3]
	s_cbranch_execz .LBB433_204
; %bb.184:
	s_movk_i32 s6, 0x80
	v_cmp_ne_u16_e32 vcc, s6, v1
	s_and_b64 s[6:7], vcc, exec
	s_andn2_saveexec_b64 s[2:3], s[2:3]
	s_cbranch_execnz .LBB433_205
.LBB433_185:
	s_or_b64 exec, exec, s[2:3]
	v_mov_b32_e32 v4, 0
	s_and_saveexec_b64 s[2:3], s[6:7]
	s_cbranch_execz .LBB433_187
.LBB433_186:
	v_lshlrev_b32_e32 v4, 24, v1
	v_and_b32_e32 v1, 0xffff, v1
	v_and_b32_e32 v5, 3, v1
	v_ffbh_u32_e32 v7, v5
	v_min_u32_e32 v7, 32, v7
	v_subrev_u32_e32 v9, 29, v7
	v_bfe_u32 v6, v1, 2, 5
	v_lshlrev_b32_e32 v1, v9, v1
	v_sub_u32_e32 v7, 30, v7
	v_and_b32_e32 v1, 3, v1
	v_cmp_eq_u32_e32 vcc, 0, v6
	v_and_b32_e32 v4, 0x80000000, v4
	s_nop 0
	v_cndmask_b32_e32 v6, v6, v7, vcc
	v_cndmask_b32_e32 v1, v5, v1, vcc
	v_mov_b32_e32 v5, 0x37800000
	v_lshlrev_b32_e32 v1, 21, v1
	v_lshl_add_u32 v5, v6, 23, v5
	v_or3_b32 v1, v4, v5, v1
	v_cvt_i32_f32_e32 v4, v1
.LBB433_187:
	s_or_b64 exec, exec, s[2:3]
	s_mov_b64 s[2:3], 0
	s_branch .LBB433_193
.LBB433_188:
	s_mov_b64 s[6:7], -1
                                        ; implicit-def: $vgpr4
	s_branch .LBB433_199
.LBB433_189:
	s_andn2_saveexec_b64 s[2:3], s[2:3]
	s_cbranch_execz .LBB433_175
.LBB433_190:
	v_cmp_ne_u16_e32 vcc, 0, v1
	s_andn2_b64 s[6:7], s[6:7], exec
	s_and_b64 s[10:11], vcc, exec
	s_or_b64 s[6:7], s[6:7], s[10:11]
	s_or_b64 exec, exec, s[2:3]
	v_mov_b32_e32 v4, 0
	s_and_saveexec_b64 s[2:3], s[6:7]
	s_cbranch_execnz .LBB433_176
	s_branch .LBB433_177
.LBB433_191:
	s_mov_b64 s[2:3], -1
                                        ; implicit-def: $vgpr4
	s_branch .LBB433_196
.LBB433_192:
	s_mov_b64 s[2:3], -1
                                        ; implicit-def: $vgpr4
.LBB433_193:
	s_and_b64 vcc, exec, s[2:3]
	s_cbranch_vccz .LBB433_195
; %bb.194:
	global_load_ubyte v1, v[2:3], off
	s_mov_b32 s2, 0x7f800000
	s_waitcnt vmcnt(0)
	v_lshlrev_b32_e32 v1, 24, v1
	v_and_b32_e32 v4, 0x7f000000, v1
	v_ffbh_u32_e32 v5, v4
	v_min_u32_e32 v5, 32, v5
	v_sub_u32_e64 v5, v5, 4 clamp
	v_lshlrev_b32_e32 v7, v5, v4
	v_lshlrev_b32_e32 v5, 23, v5
	v_lshrrev_b32_e32 v7, 4, v7
	v_add_u32_e32 v6, 0x1000000, v4
	v_sub_u32_e32 v5, v7, v5
	v_ashrrev_i32_e32 v6, 8, v6
	v_add_u32_e32 v5, 0x3c000000, v5
	v_and_or_b32 v5, v6, s2, v5
	v_cmp_ne_u32_e32 vcc, 0, v4
	s_brev_b32 s2, 1
	s_nop 0
	v_cndmask_b32_e32 v4, 0, v5, vcc
	v_and_or_b32 v1, v1, s2, v4
	v_cvt_i32_f32_e32 v4, v1
.LBB433_195:
	s_mov_b64 s[2:3], 0
.LBB433_196:
	s_andn2_b64 vcc, exec, s[2:3]
	s_cbranch_vccnz .LBB433_198
; %bb.197:
	global_load_ubyte v1, v[2:3], off
	s_movk_i32 s2, 0x7f00
	s_brev_b32 s3, 16
	s_waitcnt vmcnt(0)
	v_lshlrev_b16_e32 v4, 8, v1
	v_lshlrev_b32_e32 v1, 25, v1
	v_lshrrev_b32_e32 v5, 4, v1
	v_and_or_b32 v6, v4, s2, 0.5
	v_or_b32_e32 v5, 0x70000000, v5
	v_add_f32_e32 v6, -0.5, v6
	v_mul_f32_e32 v5, 0x7800000, v5
	v_cmp_gt_u32_e32 vcc, s3, v1
	v_bfe_i32 v4, v4, 0, 16
	s_brev_b32 s2, 1
	v_cndmask_b32_e32 v1, v5, v6, vcc
	v_and_or_b32 v1, v4, s2, v1
	v_cvt_i32_f32_e32 v4, v1
.LBB433_198:
	s_mov_b64 s[6:7], 0
	s_mov_b64 s[2:3], -1
.LBB433_199:
	s_andn2_b64 vcc, exec, s[6:7]
	s_cbranch_vccnz .LBB433_212
; %bb.200:
	s_cmp_gt_i32 s9, 14
	s_cbranch_scc0 .LBB433_203
; %bb.201:
	s_cmp_eq_u32 s9, 15
	s_cbranch_scc0 .LBB433_206
; %bb.202:
	global_load_ushort v1, v[2:3], off
	s_mov_b64 s[2:3], -1
	s_mov_b64 s[4:5], 0
	s_waitcnt vmcnt(0)
	v_lshlrev_b32_e32 v1, 16, v1
	v_cvt_i32_f32_e32 v4, v1
	s_branch .LBB433_207
.LBB433_203:
	s_mov_b64 s[6:7], -1
                                        ; implicit-def: $vgpr4
	s_branch .LBB433_208
.LBB433_204:
	s_andn2_saveexec_b64 s[2:3], s[2:3]
	s_cbranch_execz .LBB433_185
.LBB433_205:
	v_cmp_ne_u16_e32 vcc, 0, v1
	s_andn2_b64 s[6:7], s[6:7], exec
	s_and_b64 s[10:11], vcc, exec
	s_or_b64 s[6:7], s[6:7], s[10:11]
	s_or_b64 exec, exec, s[2:3]
	v_mov_b32_e32 v4, 0
	s_and_saveexec_b64 s[2:3], s[6:7]
	s_cbranch_execnz .LBB433_186
	s_branch .LBB433_187
.LBB433_206:
	s_mov_b64 s[4:5], -1
                                        ; implicit-def: $vgpr4
.LBB433_207:
	s_mov_b64 s[6:7], 0
.LBB433_208:
	s_and_b64 vcc, exec, s[6:7]
	s_cbranch_vccz .LBB433_212
; %bb.209:
	s_cmp_eq_u32 s9, 11
	s_cbranch_scc0 .LBB433_211
; %bb.210:
	global_load_ubyte v1, v[2:3], off
	s_mov_b64 s[2:3], -1
	s_mov_b64 s[4:5], 0
	s_waitcnt vmcnt(0)
	v_cmp_ne_u16_e32 vcc, 0, v1
	s_nop 1
	v_cndmask_b32_e64 v4, 0, 1, vcc
	s_branch .LBB433_212
.LBB433_211:
	s_mov_b64 s[4:5], -1
                                        ; implicit-def: $vgpr4
.LBB433_212:
	s_branch .LBB433_25
.LBB433_213:
	s_and_b32 s6, 0xffff, s8
	s_cmp_lt_i32 s6, 5
	s_cbranch_scc1 .LBB433_218
; %bb.214:
	s_cmp_lt_i32 s6, 8
	s_cbranch_scc1 .LBB433_219
; %bb.215:
	;; [unrolled: 3-line block ×3, first 2 shown]
	s_cmp_gt_i32 s6, 9
	s_cbranch_scc0 .LBB433_221
; %bb.217:
	global_load_dwordx2 v[4:5], v[2:3], off
	s_mov_b64 s[2:3], 0
	s_waitcnt vmcnt(0)
	v_cvt_i32_f64_e32 v4, v[4:5]
	s_branch .LBB433_222
.LBB433_218:
                                        ; implicit-def: $vgpr4
	s_branch .LBB433_240
.LBB433_219:
	s_mov_b64 s[2:3], -1
                                        ; implicit-def: $vgpr4
	s_branch .LBB433_228
.LBB433_220:
	s_mov_b64 s[2:3], -1
                                        ; implicit-def: $vgpr4
	s_branch .LBB433_225
.LBB433_221:
	s_mov_b64 s[2:3], -1
                                        ; implicit-def: $vgpr4
.LBB433_222:
	s_andn2_b64 vcc, exec, s[2:3]
	s_cbranch_vccnz .LBB433_224
; %bb.223:
	global_load_dword v1, v[2:3], off
	s_waitcnt vmcnt(0)
	v_cvt_i32_f32_e32 v4, v1
.LBB433_224:
	s_mov_b64 s[2:3], 0
.LBB433_225:
	s_andn2_b64 vcc, exec, s[2:3]
	s_cbranch_vccnz .LBB433_227
; %bb.226:
	global_load_dword v1, v[2:3], off
	s_waitcnt vmcnt(0)
	v_cvt_i16_f16_e32 v4, v1
.LBB433_227:
	s_mov_b64 s[2:3], 0
.LBB433_228:
	s_andn2_b64 vcc, exec, s[2:3]
	s_cbranch_vccnz .LBB433_239
; %bb.229:
	s_cmp_lt_i32 s6, 6
	s_cbranch_scc1 .LBB433_232
; %bb.230:
	s_cmp_gt_i32 s6, 6
	s_cbranch_scc0 .LBB433_233
; %bb.231:
	global_load_dwordx2 v[4:5], v[2:3], off
	s_mov_b64 s[2:3], 0
	s_waitcnt vmcnt(0)
	v_cvt_i32_f64_e32 v4, v[4:5]
	s_branch .LBB433_234
.LBB433_232:
	s_mov_b64 s[2:3], -1
                                        ; implicit-def: $vgpr4
	s_branch .LBB433_237
.LBB433_233:
	s_mov_b64 s[2:3], -1
                                        ; implicit-def: $vgpr4
.LBB433_234:
	s_andn2_b64 vcc, exec, s[2:3]
	s_cbranch_vccnz .LBB433_236
; %bb.235:
	global_load_dword v1, v[2:3], off
	s_waitcnt vmcnt(0)
	v_cvt_i32_f32_e32 v4, v1
.LBB433_236:
	s_mov_b64 s[2:3], 0
.LBB433_237:
	s_andn2_b64 vcc, exec, s[2:3]
	s_cbranch_vccnz .LBB433_239
; %bb.238:
	global_load_ushort v1, v[2:3], off
	s_waitcnt vmcnt(0)
	v_cvt_i16_f16_e32 v4, v1
.LBB433_239:
	s_cbranch_execnz .LBB433_259
.LBB433_240:
	s_cmp_lt_i32 s6, 2
	s_cbranch_scc1 .LBB433_244
; %bb.241:
	s_cmp_lt_i32 s6, 3
	s_cbranch_scc1 .LBB433_245
; %bb.242:
	s_cmp_gt_i32 s6, 3
	s_cbranch_scc0 .LBB433_246
; %bb.243:
	global_load_dwordx2 v[4:5], v[2:3], off
	s_mov_b64 s[2:3], 0
	s_branch .LBB433_247
.LBB433_244:
	s_mov_b64 s[2:3], -1
                                        ; implicit-def: $vgpr4
	s_branch .LBB433_253
.LBB433_245:
	s_mov_b64 s[2:3], -1
                                        ; implicit-def: $vgpr4
	s_branch .LBB433_250
.LBB433_246:
	s_mov_b64 s[2:3], -1
                                        ; implicit-def: $vgpr4
.LBB433_247:
	s_andn2_b64 vcc, exec, s[2:3]
	s_cbranch_vccnz .LBB433_249
; %bb.248:
	global_load_dword v4, v[2:3], off
.LBB433_249:
	s_mov_b64 s[2:3], 0
.LBB433_250:
	s_andn2_b64 vcc, exec, s[2:3]
	s_cbranch_vccnz .LBB433_252
; %bb.251:
	global_load_ushort v4, v[2:3], off
.LBB433_252:
	s_mov_b64 s[2:3], 0
.LBB433_253:
	s_andn2_b64 vcc, exec, s[2:3]
	s_cbranch_vccnz .LBB433_259
; %bb.254:
	s_cmp_gt_i32 s6, 0
	s_cbranch_scc0 .LBB433_256
; %bb.255:
	global_load_ubyte v4, v[2:3], off
	s_mov_b64 s[2:3], 0
	s_branch .LBB433_257
.LBB433_256:
	s_mov_b64 s[2:3], -1
                                        ; implicit-def: $vgpr4
.LBB433_257:
	s_andn2_b64 vcc, exec, s[2:3]
	s_cbranch_vccnz .LBB433_259
; %bb.258:
	global_load_ubyte v4, v[2:3], off
.LBB433_259:
	s_branch .LBB433_26
.LBB433_260:
	s_mov_b64 s[2:3], 0
.LBB433_261:
	s_mov_b64 s[6:7], 0
                                        ; implicit-def: $vgpr8
.LBB433_262:
	s_and_b64 s[54:55], s[2:3], exec
	s_and_b64 s[56:57], s[4:5], exec
	s_orn2_b64 s[4:5], s[6:7], exec
.LBB433_263:
	s_or_b64 exec, exec, s[58:59]
	s_mov_b64 s[8:9], 0
	s_mov_b64 s[2:3], 0
                                        ; implicit-def: $sgpr14
                                        ; implicit-def: $vgpr2_vgpr3
                                        ; implicit-def: $vgpr0
                                        ; implicit-def: $vgpr4
	s_and_saveexec_b64 s[58:59], s[4:5]
	s_cbranch_execz .LBB433_271
; %bb.264:
	v_cmp_gt_i32_e32 vcc, s70, v8
	s_mov_b64 s[2:3], -1
	s_mov_b64 s[60:61], s[56:57]
	s_mov_b64 s[62:63], s[54:55]
	s_and_saveexec_b64 s[64:65], vcc
	s_cbranch_execz .LBB433_536
; %bb.265:
	s_andn2_b64 vcc, exec, s[42:43]
	s_cbranch_vccnz .LBB433_274
; %bb.266:
	s_andn2_b64 vcc, exec, s[52:53]
	s_cbranch_vccnz .LBB433_275
; %bb.267:
	s_add_i32 s63, s76, 1
	s_cmp_eq_u32 s72, 2
	s_cbranch_scc1 .LBB433_276
; %bb.268:
	s_and_b32 s62, s63, 28
	s_mov_b32 s66, 0
	v_mov_b32_e32 v0, 0
	v_mov_b32_e32 v2, 0
	s_mov_b64 s[2:3], s[34:35]
	s_mov_b64 s[60:61], s[50:51]
	s_waitcnt vmcnt(0)
	v_mov_b32_e32 v4, v8
.LBB433_269:                            ; =>This Inner Loop Header: Depth=1
	s_load_dwordx8 s[12:19], s[2:3], 0x4
	s_load_dwordx4 s[36:39], s[2:3], 0x24
	s_load_dwordx8 s[4:11], s[60:61], 0x0
	s_add_u32 s2, s2, 48
	s_addc_u32 s3, s3, 0
	s_waitcnt lgkmcnt(0)
	v_mul_hi_u32 v1, s13, v4
	v_add_u32_e32 v1, v4, v1
	v_lshrrev_b32_e32 v1, s14, v1
	v_mul_lo_u32 v3, v1, s12
	v_mul_hi_u32 v5, s16, v1
	v_sub_u32_e32 v3, v4, v3
	v_add_u32_e32 v4, v1, v5
	v_lshrrev_b32_e32 v4, s17, v4
	v_mul_lo_u32 v6, v4, s15
	v_mul_hi_u32 v7, s19, v4
	v_sub_u32_e32 v1, v1, v6
	v_add_u32_e32 v6, v4, v7
	v_mul_lo_u32 v5, v3, s5
	v_mul_lo_u32 v3, v3, s4
	;; [unrolled: 1-line block ×4, first 2 shown]
	v_lshrrev_b32_e32 v6, s36, v6
	v_add3_u32 v0, v3, v0, v1
	v_mul_hi_u32 v3, s38, v6
	v_add3_u32 v1, v5, v2, v7
	v_mul_lo_u32 v2, v6, s18
	v_add_u32_e32 v3, v6, v3
	v_sub_u32_e32 v2, v4, v2
	v_lshrrev_b32_e32 v4, s39, v3
	s_add_i32 s66, s66, 4
	v_mul_lo_u32 v3, v4, s37
	s_add_u32 s60, s60, 32
	v_sub_u32_e32 v3, v6, v3
	s_addc_u32 s61, s61, 0
	v_mul_lo_u32 v5, v2, s8
	v_mul_lo_u32 v2, v2, s9
	;; [unrolled: 1-line block ×4, first 2 shown]
	s_cmp_eq_u32 s62, s66
	v_add3_u32 v2, v2, v1, v3
	v_add3_u32 v0, v5, v0, v6
	s_cbranch_scc0 .LBB433_269
; %bb.270:
	v_mov_b32_e32 v1, v2
	s_branch .LBB433_277
.LBB433_271:
	s_or_b64 exec, exec, s[58:59]
	s_mov_b64 s[4:5], 0
	s_and_saveexec_b64 s[6:7], s[56:57]
	s_cbranch_execnz .LBB433_906
.LBB433_272:
	s_or_b64 exec, exec, s[6:7]
	s_and_saveexec_b64 s[6:7], s[62:63]
	s_xor_b64 s[6:7], exec, s[6:7]
	s_cbranch_execz .LBB433_907
.LBB433_273:
	global_load_ubyte v1, v[2:3], off
	s_or_b64 s[2:3], s[2:3], exec
	s_waitcnt vmcnt(0)
	v_cmp_ne_u16_e32 vcc, 0, v1
	s_nop 1
	v_cndmask_b32_e64 v4, 0, 1, vcc
	s_or_b64 exec, exec, s[6:7]
	s_and_saveexec_b64 s[6:7], s[8:9]
	s_cbranch_execz .LBB433_953
	s_branch .LBB433_908
.LBB433_274:
                                        ; implicit-def: $vgpr2
                                        ; implicit-def: $vgpr0
	s_andn2_b64 vcc, exec, s[2:3]
	s_cbranch_vccz .LBB433_281
	s_branch .LBB433_283
.LBB433_275:
	v_mov_b32_e32 v2, 0
	v_mov_b32_e32 v0, 0
	s_branch .LBB433_280
.LBB433_276:
	v_mov_b32_e32 v0, 0
	s_mov_b32 s62, 0
	v_mov_b32_e32 v1, v0
                                        ; implicit-def: $vgpr2
	s_waitcnt vmcnt(0)
	v_mov_b32_e32 v4, v8
.LBB433_277:
	s_and_b32 s6, s63, 3
	s_cmp_eq_u32 s6, 0
	s_cbranch_scc1 .LBB433_280
; %bb.278:
	s_lshl_b32 s2, s62, 3
	s_add_u32 s2, s34, s2
	s_addc_u32 s3, s35, 0
	s_add_u32 s2, s2, 0xc4
	s_addc_u32 s3, s3, 0
	s_mul_i32 s4, s62, 12
	s_add_u32 s4, s34, s4
	s_addc_u32 s5, s35, 0
.LBB433_279:                            ; =>This Inner Loop Header: Depth=1
	s_load_dwordx2 s[8:9], s[4:5], 0x4
	s_load_dword s7, s[4:5], 0xc
	s_load_dwordx2 s[10:11], s[2:3], 0x0
	v_mov_b32_e32 v2, v1
	s_add_u32 s4, s4, 12
	s_waitcnt lgkmcnt(0)
	v_mul_hi_u32 v1, s9, v4
	v_add_u32_e32 v1, v4, v1
	v_lshrrev_b32_e32 v1, s7, v1
	s_addc_u32 s5, s5, 0
	v_mul_lo_u32 v3, v1, s8
	s_add_u32 s2, s2, 8
	v_sub_u32_e32 v5, v4, v3
	s_addc_u32 s3, s3, 0
	s_add_i32 s6, s6, -1
	v_mov_b32_e32 v4, v1
	v_mad_u64_u32 v[2:3], s[8:9], v5, s11, v[2:3]
	v_mad_u64_u32 v[0:1], s[8:9], v5, s10, v[0:1]
	s_cmp_lg_u32 s6, 0
	v_mov_b32_e32 v1, v2
	s_cbranch_scc1 .LBB433_279
.LBB433_280:
	s_cbranch_execnz .LBB433_283
.LBB433_281:
	v_mul_hi_u32 v0, s25, v8
	v_add_u32_e32 v0, v8, v0
	v_lshrrev_b32_e32 v1, s26, v0
	v_mul_lo_u32 v0, v1, s24
	v_sub_u32_e32 v0, v8, v0
	v_mul_lo_u32 v2, v0, s29
	s_andn2_b64 vcc, exec, s[48:49]
	v_mul_lo_u32 v0, v0, s28
	s_cbranch_vccnz .LBB433_283
; %bb.282:
	v_mul_hi_u32 v3, s46, v1
	v_add_u32_e32 v3, v1, v3
	v_lshrrev_b32_e32 v3, s47, v3
	v_mul_lo_u32 v3, v3, s27
	v_sub_u32_e32 v3, v1, v3
	v_mad_u64_u32 v[0:1], s[2:3], v3, s30, v[0:1]
	v_mad_u64_u32 v[2:3], s[2:3], v3, s31, v[2:3]
.LBB433_283:
	v_mov_b32_e32 v3, 0
	s_and_b32 s8, s75, 0xff
	s_cmp_lt_i32 s8, 11
	v_lshl_add_u64 v[2:3], s[22:23], 0, v[2:3]
	s_cbranch_scc1 .LBB433_290
; %bb.284:
	s_and_b32 s9, 0xffff, s8
	s_cmp_gt_i32 s9, 25
	s_cbranch_scc0 .LBB433_299
; %bb.285:
	s_cmp_gt_i32 s9, 28
	s_cbranch_scc0 .LBB433_301
; %bb.286:
	;; [unrolled: 3-line block ×4, first 2 shown]
	s_cmp_eq_u32 s9, 46
	s_mov_b64 s[6:7], 0
	s_cbranch_scc0 .LBB433_311
; %bb.289:
	global_load_dword v1, v[2:3], off
	s_mov_b64 s[2:3], -1
	s_mov_b64 s[4:5], 0
	s_waitcnt vmcnt(0)
	v_lshlrev_b32_e32 v1, 16, v1
	v_cvt_i32_f32_e32 v4, v1
	s_branch .LBB433_312
.LBB433_290:
	s_mov_b64 s[2:3], 0
                                        ; implicit-def: $vgpr4
	s_mov_b64 s[4:5], s[56:57]
	s_cbranch_execnz .LBB433_485
.LBB433_291:
	s_andn2_b64 vcc, exec, s[2:3]
	s_cbranch_vccnz .LBB433_533
.LBB433_292:
	s_bfe_i32 s2, s74, 0x80000
	v_mov_b32_e32 v1, 0
	s_and_b32 s12, s73, 0xff
	s_waitcnt vmcnt(0)
	v_min_i16_sdwa v4, sext(v4), s2 dst_sel:DWORD dst_unused:UNUSED_PAD src0_sel:BYTE_0 src1_sel:DWORD
	s_cmp_lt_i32 s12, 11
	v_lshl_add_u64 v[0:1], s[20:21], 0, v[0:1]
	s_cbranch_scc1 .LBB433_300
; %bb.293:
	s_and_b32 s13, 0xffff, s12
	s_cmp_gt_i32 s13, 25
	s_cbranch_scc0 .LBB433_302
; %bb.294:
	s_cmp_gt_i32 s13, 28
	s_cbranch_scc0 .LBB433_304
; %bb.295:
	;; [unrolled: 3-line block ×4, first 2 shown]
	s_mov_b64 s[8:9], 0
	s_mov_b64 s[2:3], -1
	s_cmp_eq_u32 s13, 46
	s_mov_b64 s[6:7], 0
	s_cbranch_scc0 .LBB433_316
; %bb.298:
	v_cvt_f32_i32_sdwa v2, sext(v4) dst_sel:DWORD dst_unused:UNUSED_PAD src0_sel:WORD_0
	s_movk_i32 s2, 0x7fff
	s_mov_b64 s[6:7], -1
	v_bfe_u32 v3, v2, 16, 1
	v_add3_u32 v2, v2, v3, s2
	v_lshrrev_b32_e32 v2, 16, v2
	global_store_dword v[0:1], v2, off
	s_mov_b64 s[2:3], 0
	s_branch .LBB433_316
.LBB433_299:
	s_mov_b64 s[6:7], -1
	s_mov_b64 s[2:3], 0
	s_mov_b64 s[4:5], s[56:57]
                                        ; implicit-def: $vgpr4
	s_branch .LBB433_451
.LBB433_300:
	s_mov_b64 s[8:9], -1
	s_mov_b64 s[6:7], 0
	s_mov_b64 s[2:3], s[54:55]
	s_branch .LBB433_385
.LBB433_301:
	s_mov_b64 s[6:7], -1
	s_mov_b64 s[2:3], 0
	s_mov_b64 s[4:5], s[56:57]
                                        ; implicit-def: $vgpr4
	s_branch .LBB433_434
.LBB433_302:
	s_mov_b64 s[8:9], -1
	s_mov_b64 s[6:7], 0
	s_mov_b64 s[2:3], s[54:55]
	s_branch .LBB433_343
.LBB433_303:
	s_mov_b64 s[6:7], -1
	s_mov_b64 s[2:3], 0
	s_mov_b64 s[4:5], s[56:57]
                                        ; implicit-def: $vgpr4
	s_branch .LBB433_429
.LBB433_304:
	s_mov_b64 s[8:9], -1
	s_mov_b64 s[6:7], 0
	s_mov_b64 s[2:3], s[54:55]
	s_branch .LBB433_326
.LBB433_305:
	s_andn2_saveexec_b64 s[10:11], s[10:11]
	s_cbranch_execz .LBB433_69
.LBB433_306:
	s_mov_b32 s14, 0x46000000
	v_add_f32_e64 v3, |v2|, s14
	v_and_b32_e32 v3, 0xff, v3
	v_cmp_ne_u32_e32 vcc, 0, v3
	s_andn2_b64 s[8:9], s[8:9], exec
	s_and_b64 s[14:15], vcc, exec
	s_or_b64 s[8:9], s[8:9], s[14:15]
	s_or_b64 exec, exec, s[10:11]
	v_mov_b32_e32 v5, 0
	s_and_saveexec_b64 s[10:11], s[8:9]
	s_cbranch_execnz .LBB433_70
	s_branch .LBB433_71
.LBB433_307:
	s_mov_b64 s[6:7], -1
	s_mov_b64 s[2:3], 0
	s_mov_b64 s[4:5], s[56:57]
                                        ; implicit-def: $vgpr4
	s_branch .LBB433_312
.LBB433_308:
	s_mov_b64 s[8:9], -1
	s_mov_b64 s[6:7], 0
	s_mov_b64 s[2:3], s[54:55]
	s_branch .LBB433_322
.LBB433_309:
	s_andn2_saveexec_b64 s[10:11], s[10:11]
	s_cbranch_execz .LBB433_82
.LBB433_310:
	s_mov_b32 s14, 0x42800000
	v_add_f32_e64 v3, |v2|, s14
	v_and_b32_e32 v3, 0xff, v3
	v_cmp_ne_u32_e32 vcc, 0, v3
	s_andn2_b64 s[8:9], s[8:9], exec
	s_and_b64 s[14:15], vcc, exec
	s_or_b64 s[8:9], s[8:9], s[14:15]
	s_or_b64 exec, exec, s[10:11]
	v_mov_b32_e32 v5, 0
	s_and_saveexec_b64 s[10:11], s[8:9]
	s_cbranch_execnz .LBB433_83
	s_branch .LBB433_84
.LBB433_311:
	s_mov_b64 s[4:5], -1
                                        ; implicit-def: $vgpr4
	s_mov_b64 s[2:3], 0
.LBB433_312:
	s_and_b64 vcc, exec, s[6:7]
	s_cbranch_vccz .LBB433_428
; %bb.313:
	s_cmp_eq_u32 s9, 44
	s_cbranch_scc0 .LBB433_427
; %bb.314:
	global_load_ubyte v1, v[2:3], off
	s_mov_b64 s[2:3], -1
	s_mov_b64 s[4:5], 0
	s_waitcnt vmcnt(0)
	v_lshlrev_b32_e32 v4, 23, v1
	v_cvt_i32_f32_e32 v4, v4
	v_cmp_ne_u32_e32 vcc, 0, v1
	s_nop 1
	v_cndmask_b32_e32 v4, 0, v4, vcc
	s_branch .LBB433_428
.LBB433_315:
	s_mov_b64 s[8:9], -1
	s_mov_b64 s[6:7], 0
	s_mov_b64 s[2:3], s[54:55]
.LBB433_316:
	s_and_b64 vcc, exec, s[8:9]
	s_cbranch_vccz .LBB433_321
; %bb.317:
	s_cmp_eq_u32 s13, 44
	s_mov_b64 s[2:3], -1
	s_cbranch_scc0 .LBB433_321
; %bb.318:
	v_cvt_f32_i32_sdwa v2, sext(v4) dst_sel:DWORD dst_unused:UNUSED_PAD src0_sel:WORD_0
	s_movk_i32 s2, 0xff
	v_mov_b32_e32 v5, 0xff
	v_bfe_u32 v3, v2, 23, 8
	v_cmp_ne_u32_e32 vcc, s2, v3
	s_and_saveexec_b64 s[6:7], vcc
; %bb.319:
	s_mov_b32 s2, 0x3fffff
	v_lshrrev_b32_e32 v5, 23, v2
	v_and_b32_e32 v6, 0x400000, v2
	v_and_or_b32 v2, v2, s2, v3
	v_cmp_ne_u32_e32 vcc, 0, v6
	v_cmp_ne_u32_e64 s[2:3], 0, v2
	s_and_b64 s[2:3], vcc, s[2:3]
	s_nop 0
	v_cndmask_b32_e64 v2, 0, 1, s[2:3]
	v_add_u32_e32 v5, v5, v2
; %bb.320:
	s_or_b64 exec, exec, s[6:7]
	s_mov_b64 s[6:7], -1
	s_mov_b64 s[2:3], 0
	global_store_byte v[0:1], v5, off
.LBB433_321:
	s_mov_b64 s[8:9], 0
.LBB433_322:
	s_and_b64 vcc, exec, s[8:9]
	s_cbranch_vccz .LBB433_325
; %bb.323:
	s_cmp_eq_u32 s13, 29
	s_mov_b64 s[2:3], -1
	s_cbranch_scc0 .LBB433_325
; %bb.324:
	v_bfe_i32 v2, v4, 0, 16
	v_ashrrev_i32_e32 v3, 31, v2
	global_store_dwordx2 v[0:1], v[2:3], off
	s_mov_b64 s[6:7], -1
	s_mov_b64 s[2:3], 0
.LBB433_325:
	s_mov_b64 s[8:9], 0
.LBB433_326:
	s_and_b64 vcc, exec, s[8:9]
	s_cbranch_vccz .LBB433_342
; %bb.327:
	s_cmp_lt_i32 s13, 27
	s_mov_b64 s[6:7], -1
	s_cbranch_scc1 .LBB433_333
; %bb.328:
	s_cmp_gt_i32 s13, 27
	s_cbranch_scc0 .LBB433_330
; %bb.329:
	v_bfe_i32 v2, v4, 0, 16
	s_mov_b64 s[6:7], 0
	global_store_dword v[0:1], v2, off
.LBB433_330:
	s_andn2_b64 vcc, exec, s[6:7]
	s_cbranch_vccnz .LBB433_332
; %bb.331:
	global_store_short v[0:1], v4, off
.LBB433_332:
	s_mov_b64 s[6:7], 0
.LBB433_333:
	s_andn2_b64 vcc, exec, s[6:7]
	s_cbranch_vccnz .LBB433_341
; %bb.334:
	v_cvt_f32_i32_sdwa v2, sext(v4) dst_sel:DWORD dst_unused:UNUSED_PAD src0_sel:WORD_0
	s_mov_b32 s6, 0x43800000
	v_mov_b32_e32 v5, 0x80
	v_and_b32_e32 v3, 0x7fffffff, v2
	v_cmp_gt_u32_e32 vcc, s6, v3
	s_and_saveexec_b64 s[6:7], vcc
	s_cbranch_execz .LBB433_340
; %bb.335:
	s_mov_b32 s8, 0x3bffffff
	v_cmp_lt_u32_e32 vcc, s8, v3
	s_mov_b64 s[8:9], 0
                                        ; implicit-def: $vgpr3
	s_and_saveexec_b64 s[10:11], vcc
	s_xor_b64 s[10:11], exec, s[10:11]
	s_cbranch_execz .LBB433_565
; %bb.336:
	v_bfe_u32 v3, v2, 20, 1
	s_mov_b32 s14, 0x487ffff
	v_add3_u32 v3, v2, v3, s14
	s_mov_b64 s[8:9], exec
	v_lshrrev_b32_e32 v3, 20, v3
	s_andn2_saveexec_b64 s[10:11], s[10:11]
	s_cbranch_execnz .LBB433_566
.LBB433_337:
	s_or_b64 exec, exec, s[10:11]
	v_mov_b32_e32 v5, 0
	s_and_saveexec_b64 s[10:11], s[8:9]
.LBB433_338:
	v_lshrrev_b32_e32 v2, 24, v2
	s_movk_i32 s8, 0x80
	v_and_or_b32 v5, v2, s8, v3
.LBB433_339:
	s_or_b64 exec, exec, s[10:11]
.LBB433_340:
	s_or_b64 exec, exec, s[6:7]
	global_store_byte v[0:1], v5, off
.LBB433_341:
	s_mov_b64 s[6:7], -1
.LBB433_342:
	s_mov_b64 s[8:9], 0
.LBB433_343:
	s_and_b64 vcc, exec, s[8:9]
	s_cbranch_vccz .LBB433_384
; %bb.344:
	s_cmp_gt_i32 s13, 22
	s_mov_b64 s[8:9], -1
	s_cbranch_scc0 .LBB433_376
; %bb.345:
	s_cmp_lt_i32 s13, 24
	s_mov_b64 s[6:7], -1
	s_cbranch_scc1 .LBB433_365
; %bb.346:
	s_cmp_gt_i32 s13, 24
	s_cbranch_scc0 .LBB433_354
; %bb.347:
	v_cvt_f32_i32_sdwa v2, sext(v4) dst_sel:DWORD dst_unused:UNUSED_PAD src0_sel:WORD_0
	s_mov_b32 s6, 0x47800000
	v_mov_b32_e32 v5, 0x80
	v_and_b32_e32 v3, 0x7fffffff, v2
	v_cmp_gt_u32_e32 vcc, s6, v3
	s_and_saveexec_b64 s[6:7], vcc
	s_cbranch_execz .LBB433_353
; %bb.348:
	s_mov_b32 s8, 0x37ffffff
	v_cmp_lt_u32_e32 vcc, s8, v3
	s_mov_b64 s[8:9], 0
                                        ; implicit-def: $vgpr3
	s_and_saveexec_b64 s[10:11], vcc
	s_xor_b64 s[10:11], exec, s[10:11]
	s_cbranch_execz .LBB433_568
; %bb.349:
	v_bfe_u32 v3, v2, 21, 1
	s_mov_b32 s14, 0x88fffff
	v_add3_u32 v3, v2, v3, s14
	s_mov_b64 s[8:9], exec
	v_lshrrev_b32_e32 v3, 21, v3
	s_andn2_saveexec_b64 s[10:11], s[10:11]
	s_cbranch_execnz .LBB433_569
.LBB433_350:
	s_or_b64 exec, exec, s[10:11]
	v_mov_b32_e32 v5, 0
	s_and_saveexec_b64 s[10:11], s[8:9]
.LBB433_351:
	v_lshrrev_b32_e32 v2, 24, v2
	s_movk_i32 s8, 0x80
	v_and_or_b32 v5, v2, s8, v3
.LBB433_352:
	s_or_b64 exec, exec, s[10:11]
.LBB433_353:
	s_or_b64 exec, exec, s[6:7]
	s_mov_b64 s[6:7], 0
	global_store_byte v[0:1], v5, off
.LBB433_354:
	s_and_b64 vcc, exec, s[6:7]
	s_cbranch_vccz .LBB433_364
; %bb.355:
	v_cvt_f32_i32_sdwa v2, sext(v4) dst_sel:DWORD dst_unused:UNUSED_PAD src0_sel:WORD_0
	s_mov_b32 s6, 0x43f00000
                                        ; implicit-def: $vgpr3
	v_and_b32_e32 v5, 0x7fffffff, v2
	v_cmp_gt_u32_e32 vcc, s6, v5
	s_and_saveexec_b64 s[6:7], vcc
	s_xor_b64 s[6:7], exec, s[6:7]
	s_cbranch_execz .LBB433_361
; %bb.356:
	s_mov_b32 s8, 0x3c7fffff
	v_cmp_lt_u32_e32 vcc, s8, v5
                                        ; implicit-def: $vgpr3
	s_and_saveexec_b64 s[8:9], vcc
	s_xor_b64 s[8:9], exec, s[8:9]
; %bb.357:
	v_bfe_u32 v3, v2, 20, 1
	s_mov_b32 s10, 0x407ffff
	v_add3_u32 v3, v2, v3, s10
	v_lshrrev_b32_e32 v5, 20, v3
	v_and_b32_e32 v3, 0xff00000, v3
	s_mov_b32 s10, 0x7f00000
	v_mov_b32_e32 v6, 0x7e
	v_cmp_ne_u32_e32 vcc, s10, v3
	s_nop 1
	v_cndmask_b32_e32 v3, v6, v5, vcc
; %bb.358:
	s_andn2_saveexec_b64 s[8:9], s[8:9]
; %bb.359:
	s_mov_b32 s10, 0x46800000
	v_add_f32_e64 v3, |v2|, s10
; %bb.360:
	s_or_b64 exec, exec, s[8:9]
                                        ; implicit-def: $vgpr5
.LBB433_361:
	s_andn2_saveexec_b64 s[6:7], s[6:7]
; %bb.362:
	s_mov_b32 s8, 0x7f800000
	v_mov_b32_e32 v3, 0x7e
	v_mov_b32_e32 v6, 0x7f
	v_cmp_lt_u32_e32 vcc, s8, v5
	s_nop 1
	v_cndmask_b32_e32 v3, v3, v6, vcc
; %bb.363:
	s_or_b64 exec, exec, s[6:7]
	v_lshrrev_b32_e32 v2, 24, v2
	s_movk_i32 s6, 0x80
	v_and_or_b32 v2, v2, s6, v3
	global_store_byte v[0:1], v2, off
.LBB433_364:
	s_mov_b64 s[6:7], 0
.LBB433_365:
	s_andn2_b64 vcc, exec, s[6:7]
	s_cbranch_vccnz .LBB433_375
; %bb.366:
	v_cvt_f32_i32_sdwa v2, sext(v4) dst_sel:DWORD dst_unused:UNUSED_PAD src0_sel:WORD_0
	s_mov_b32 s6, 0x47800000
                                        ; implicit-def: $vgpr3
	v_and_b32_e32 v5, 0x7fffffff, v2
	v_cmp_gt_u32_e32 vcc, s6, v5
	s_and_saveexec_b64 s[6:7], vcc
	s_xor_b64 s[6:7], exec, s[6:7]
	s_cbranch_execz .LBB433_372
; %bb.367:
	s_mov_b32 s8, 0x387fffff
	v_cmp_lt_u32_e32 vcc, s8, v5
                                        ; implicit-def: $vgpr3
	s_and_saveexec_b64 s[8:9], vcc
	s_xor_b64 s[8:9], exec, s[8:9]
; %bb.368:
	v_bfe_u32 v3, v2, 21, 1
	s_mov_b32 s10, 0x80fffff
	v_add3_u32 v3, v2, v3, s10
	v_lshrrev_b32_e32 v3, 21, v3
; %bb.369:
	s_andn2_saveexec_b64 s[8:9], s[8:9]
; %bb.370:
	s_mov_b32 s10, 0x43000000
	v_add_f32_e64 v3, |v2|, s10
; %bb.371:
	s_or_b64 exec, exec, s[8:9]
                                        ; implicit-def: $vgpr5
.LBB433_372:
	s_andn2_saveexec_b64 s[6:7], s[6:7]
; %bb.373:
	s_mov_b32 s8, 0x7f800000
	v_mov_b32_e32 v3, 0x7c
	v_mov_b32_e32 v6, 0x7f
	v_cmp_lt_u32_e32 vcc, s8, v5
	s_nop 1
	v_cndmask_b32_e32 v3, v3, v6, vcc
; %bb.374:
	s_or_b64 exec, exec, s[6:7]
	v_lshrrev_b32_e32 v2, 24, v2
	s_movk_i32 s6, 0x80
	v_and_or_b32 v2, v2, s6, v3
	global_store_byte v[0:1], v2, off
.LBB433_375:
	s_mov_b64 s[8:9], 0
	s_mov_b64 s[6:7], -1
.LBB433_376:
	s_andn2_b64 vcc, exec, s[8:9]
	s_cbranch_vccnz .LBB433_384
; %bb.377:
	s_cmp_gt_i32 s13, 14
	s_mov_b64 s[8:9], -1
	s_cbranch_scc0 .LBB433_381
; %bb.378:
	s_cmp_eq_u32 s13, 15
	s_mov_b64 s[2:3], -1
	s_cbranch_scc0 .LBB433_380
; %bb.379:
	v_cvt_f32_i32_sdwa v2, sext(v4) dst_sel:DWORD dst_unused:UNUSED_PAD src0_sel:WORD_0
	s_movk_i32 s2, 0x7fff
	s_mov_b64 s[6:7], -1
	v_bfe_u32 v3, v2, 16, 1
	v_add3_u32 v2, v2, v3, s2
	global_store_short_d16_hi v[0:1], v2, off
	s_mov_b64 s[2:3], 0
.LBB433_380:
	s_mov_b64 s[8:9], 0
.LBB433_381:
	s_and_b64 vcc, exec, s[8:9]
	s_cbranch_vccz .LBB433_384
; %bb.382:
	s_cmp_eq_u32 s13, 11
	s_mov_b64 s[2:3], -1
	s_cbranch_scc0 .LBB433_384
; %bb.383:
	v_cmp_ne_u16_e32 vcc, 0, v4
	s_mov_b64 s[6:7], -1
	s_mov_b64 s[2:3], 0
	v_cndmask_b32_e64 v2, 0, 1, vcc
	global_store_byte v[0:1], v2, off
.LBB433_384:
	s_mov_b64 s[8:9], 0
.LBB433_385:
	s_and_b64 vcc, exec, s[8:9]
	s_cbranch_vccz .LBB433_424
; %bb.386:
	s_and_b32 s8, 0xffff, s12
	s_cmp_lt_i32 s8, 5
	s_mov_b64 s[6:7], -1
	s_cbranch_scc1 .LBB433_407
; %bb.387:
	s_cmp_lt_i32 s8, 8
	s_cbranch_scc1 .LBB433_397
; %bb.388:
	s_cmp_lt_i32 s8, 9
	s_cbranch_scc1 .LBB433_394
; %bb.389:
	s_cmp_gt_i32 s8, 9
	s_cbranch_scc0 .LBB433_391
; %bb.390:
	v_bfe_i32 v2, v4, 0, 16
	v_mov_b32_e32 v12, 0
	v_cvt_f64_i32_e32 v[10:11], v2
	v_mov_b32_e32 v13, v12
	s_mov_b64 s[6:7], 0
	global_store_dwordx4 v[0:1], v[10:13], off
.LBB433_391:
	s_andn2_b64 vcc, exec, s[6:7]
	s_cbranch_vccnz .LBB433_393
; %bb.392:
	v_cvt_f32_i32_sdwa v2, sext(v4) dst_sel:DWORD dst_unused:UNUSED_PAD src0_sel:WORD_0
	v_mov_b32_e32 v3, 0
	global_store_dwordx2 v[0:1], v[2:3], off
.LBB433_393:
	s_mov_b64 s[6:7], 0
.LBB433_394:
	s_andn2_b64 vcc, exec, s[6:7]
	s_cbranch_vccnz .LBB433_396
; %bb.395:
	v_cvt_f16_i16_e32 v2, v4
	global_store_dword v[0:1], v2, off
.LBB433_396:
	s_mov_b64 s[6:7], 0
.LBB433_397:
	s_andn2_b64 vcc, exec, s[6:7]
	s_cbranch_vccnz .LBB433_406
; %bb.398:
	s_cmp_lt_i32 s8, 6
	s_mov_b64 s[6:7], -1
	s_cbranch_scc1 .LBB433_404
; %bb.399:
	s_cmp_gt_i32 s8, 6
	s_cbranch_scc0 .LBB433_401
; %bb.400:
	v_bfe_i32 v2, v4, 0, 16
	v_cvt_f64_i32_e32 v[2:3], v2
	s_mov_b64 s[6:7], 0
	global_store_dwordx2 v[0:1], v[2:3], off
.LBB433_401:
	s_andn2_b64 vcc, exec, s[6:7]
	s_cbranch_vccnz .LBB433_403
; %bb.402:
	v_cvt_f32_i32_sdwa v2, sext(v4) dst_sel:DWORD dst_unused:UNUSED_PAD src0_sel:WORD_0
	global_store_dword v[0:1], v2, off
.LBB433_403:
	s_mov_b64 s[6:7], 0
.LBB433_404:
	s_andn2_b64 vcc, exec, s[6:7]
	s_cbranch_vccnz .LBB433_406
; %bb.405:
	v_cvt_f16_i16_e32 v2, v4
	global_store_short v[0:1], v2, off
.LBB433_406:
	s_mov_b64 s[6:7], 0
.LBB433_407:
	s_andn2_b64 vcc, exec, s[6:7]
	s_cbranch_vccnz .LBB433_423
; %bb.408:
	s_cmp_lt_i32 s8, 2
	s_mov_b64 s[6:7], -1
	s_cbranch_scc1 .LBB433_418
; %bb.409:
	s_cmp_lt_i32 s8, 3
	s_cbranch_scc1 .LBB433_415
; %bb.410:
	s_cmp_gt_i32 s8, 3
	v_bfe_i32 v2, v4, 0, 16
	s_cbranch_scc0 .LBB433_412
; %bb.411:
	v_ashrrev_i32_e32 v3, 31, v2
	s_mov_b64 s[6:7], 0
	global_store_dwordx2 v[0:1], v[2:3], off
.LBB433_412:
	s_andn2_b64 vcc, exec, s[6:7]
	s_cbranch_vccnz .LBB433_414
; %bb.413:
	global_store_dword v[0:1], v2, off
.LBB433_414:
	s_mov_b64 s[6:7], 0
.LBB433_415:
	s_andn2_b64 vcc, exec, s[6:7]
	s_cbranch_vccnz .LBB433_417
; %bb.416:
	global_store_short v[0:1], v4, off
.LBB433_417:
	s_mov_b64 s[6:7], 0
.LBB433_418:
	s_andn2_b64 vcc, exec, s[6:7]
	s_cbranch_vccnz .LBB433_423
; %bb.419:
	s_cmp_gt_i32 s8, 0
	s_mov_b64 s[6:7], -1
	s_cbranch_scc0 .LBB433_421
; %bb.420:
	s_mov_b64 s[6:7], 0
	global_store_byte v[0:1], v4, off
.LBB433_421:
	s_andn2_b64 vcc, exec, s[6:7]
	s_cbranch_vccnz .LBB433_423
; %bb.422:
	global_store_byte v[0:1], v4, off
.LBB433_423:
	s_mov_b64 s[6:7], -1
.LBB433_424:
	s_andn2_b64 vcc, exec, s[6:7]
	s_cbranch_vccnz .LBB433_426
; %bb.425:
	v_add_u32_e32 v8, 0x80, v8
	s_mov_b64 s[6:7], -1
	s_branch .LBB433_535
.LBB433_426:
	s_mov_b64 s[6:7], 0
	s_branch .LBB433_534
.LBB433_427:
	s_mov_b64 s[4:5], -1
                                        ; implicit-def: $vgpr4
.LBB433_428:
	s_mov_b64 s[6:7], 0
.LBB433_429:
	s_and_b64 vcc, exec, s[6:7]
	s_cbranch_vccz .LBB433_433
; %bb.430:
	s_cmp_eq_u32 s9, 29
	s_cbranch_scc0 .LBB433_432
; %bb.431:
	global_load_dwordx2 v[4:5], v[2:3], off
	s_mov_b64 s[2:3], -1
	s_mov_b64 s[4:5], 0
	s_branch .LBB433_433
.LBB433_432:
	s_mov_b64 s[4:5], -1
                                        ; implicit-def: $vgpr4
.LBB433_433:
	s_mov_b64 s[6:7], 0
.LBB433_434:
	s_and_b64 vcc, exec, s[6:7]
	s_cbranch_vccz .LBB433_450
; %bb.435:
	s_cmp_lt_i32 s9, 27
	s_cbranch_scc1 .LBB433_438
; %bb.436:
	s_cmp_gt_i32 s9, 27
	s_cbranch_scc0 .LBB433_439
; %bb.437:
	global_load_dword v4, v[2:3], off
	s_mov_b64 s[2:3], 0
	s_branch .LBB433_440
.LBB433_438:
	s_mov_b64 s[2:3], -1
                                        ; implicit-def: $vgpr4
	s_branch .LBB433_443
.LBB433_439:
	s_mov_b64 s[2:3], -1
                                        ; implicit-def: $vgpr4
.LBB433_440:
	s_andn2_b64 vcc, exec, s[2:3]
	s_cbranch_vccnz .LBB433_442
; %bb.441:
	global_load_ushort v4, v[2:3], off
.LBB433_442:
	s_mov_b64 s[2:3], 0
.LBB433_443:
	s_andn2_b64 vcc, exec, s[2:3]
	s_cbranch_vccnz .LBB433_449
; %bb.444:
	global_load_ubyte v1, v[2:3], off
	s_movk_i32 s2, 0x7f
	s_mov_b64 s[6:7], 0
	s_waitcnt vmcnt(0)
	v_cmp_lt_i16_e32 vcc, s2, v1
	s_and_saveexec_b64 s[2:3], vcc
	s_xor_b64 s[2:3], exec, s[2:3]
	s_cbranch_execz .LBB433_461
; %bb.445:
	s_movk_i32 s6, 0x80
	v_cmp_ne_u16_e32 vcc, s6, v1
	s_and_b64 s[6:7], vcc, exec
	s_andn2_saveexec_b64 s[2:3], s[2:3]
	s_cbranch_execnz .LBB433_462
.LBB433_446:
	s_or_b64 exec, exec, s[2:3]
	v_mov_b32_e32 v4, 0
	s_and_saveexec_b64 s[2:3], s[6:7]
	s_cbranch_execz .LBB433_448
.LBB433_447:
	v_lshlrev_b32_e32 v4, 24, v1
	v_and_b32_e32 v1, 0xffff, v1
	v_and_b32_e32 v5, 7, v1
	v_ffbh_u32_e32 v7, v5
	v_min_u32_e32 v7, 32, v7
	v_subrev_u32_e32 v9, 28, v7
	v_bfe_u32 v6, v1, 3, 4
	v_lshlrev_b32_e32 v1, v9, v1
	v_sub_u32_e32 v7, 29, v7
	v_and_b32_e32 v1, 7, v1
	v_cmp_eq_u32_e32 vcc, 0, v6
	v_and_b32_e32 v4, 0x80000000, v4
	s_nop 0
	v_cndmask_b32_e32 v6, v6, v7, vcc
	v_cndmask_b32_e32 v1, v5, v1, vcc
	v_mov_b32_e32 v5, 0x3b800000
	v_lshlrev_b32_e32 v1, 20, v1
	v_lshl_add_u32 v5, v6, 23, v5
	v_or3_b32 v1, v4, v5, v1
	v_cvt_i32_f32_e32 v4, v1
.LBB433_448:
	s_or_b64 exec, exec, s[2:3]
.LBB433_449:
	s_mov_b64 s[2:3], -1
.LBB433_450:
	s_mov_b64 s[6:7], 0
.LBB433_451:
	s_and_b64 vcc, exec, s[6:7]
	s_cbranch_vccz .LBB433_484
; %bb.452:
	s_cmp_gt_i32 s9, 22
	s_cbranch_scc0 .LBB433_460
; %bb.453:
	s_cmp_lt_i32 s9, 24
	s_cbranch_scc1 .LBB433_463
; %bb.454:
	s_cmp_gt_i32 s9, 24
	s_cbranch_scc0 .LBB433_464
; %bb.455:
	global_load_ubyte v1, v[2:3], off
	s_movk_i32 s2, 0x7f
	s_mov_b64 s[6:7], 0
	s_waitcnt vmcnt(0)
	v_cmp_lt_i16_e32 vcc, s2, v1
	s_and_saveexec_b64 s[2:3], vcc
	s_xor_b64 s[2:3], exec, s[2:3]
	s_cbranch_execz .LBB433_476
; %bb.456:
	s_movk_i32 s6, 0x80
	v_cmp_ne_u16_e32 vcc, s6, v1
	s_and_b64 s[6:7], vcc, exec
	s_andn2_saveexec_b64 s[2:3], s[2:3]
	s_cbranch_execnz .LBB433_477
.LBB433_457:
	s_or_b64 exec, exec, s[2:3]
	v_mov_b32_e32 v4, 0
	s_and_saveexec_b64 s[2:3], s[6:7]
	s_cbranch_execz .LBB433_459
.LBB433_458:
	v_lshlrev_b32_e32 v4, 24, v1
	v_and_b32_e32 v1, 0xffff, v1
	v_and_b32_e32 v5, 3, v1
	v_ffbh_u32_e32 v7, v5
	v_min_u32_e32 v7, 32, v7
	v_subrev_u32_e32 v9, 29, v7
	v_bfe_u32 v6, v1, 2, 5
	v_lshlrev_b32_e32 v1, v9, v1
	v_sub_u32_e32 v7, 30, v7
	v_and_b32_e32 v1, 3, v1
	v_cmp_eq_u32_e32 vcc, 0, v6
	v_and_b32_e32 v4, 0x80000000, v4
	s_nop 0
	v_cndmask_b32_e32 v6, v6, v7, vcc
	v_cndmask_b32_e32 v1, v5, v1, vcc
	v_mov_b32_e32 v5, 0x37800000
	v_lshlrev_b32_e32 v1, 21, v1
	v_lshl_add_u32 v5, v6, 23, v5
	v_or3_b32 v1, v4, v5, v1
	v_cvt_i32_f32_e32 v4, v1
.LBB433_459:
	s_or_b64 exec, exec, s[2:3]
	s_mov_b64 s[2:3], 0
	s_branch .LBB433_465
.LBB433_460:
	s_mov_b64 s[6:7], -1
                                        ; implicit-def: $vgpr4
	s_branch .LBB433_471
.LBB433_461:
	s_andn2_saveexec_b64 s[2:3], s[2:3]
	s_cbranch_execz .LBB433_446
.LBB433_462:
	v_cmp_ne_u16_e32 vcc, 0, v1
	s_andn2_b64 s[6:7], s[6:7], exec
	s_and_b64 s[10:11], vcc, exec
	s_or_b64 s[6:7], s[6:7], s[10:11]
	s_or_b64 exec, exec, s[2:3]
	v_mov_b32_e32 v4, 0
	s_and_saveexec_b64 s[2:3], s[6:7]
	s_cbranch_execnz .LBB433_447
	s_branch .LBB433_448
.LBB433_463:
	s_mov_b64 s[2:3], -1
                                        ; implicit-def: $vgpr4
	s_branch .LBB433_468
.LBB433_464:
	s_mov_b64 s[2:3], -1
                                        ; implicit-def: $vgpr4
.LBB433_465:
	s_and_b64 vcc, exec, s[2:3]
	s_cbranch_vccz .LBB433_467
; %bb.466:
	global_load_ubyte v1, v[2:3], off
	s_mov_b32 s2, 0x7f800000
	s_waitcnt vmcnt(0)
	v_lshlrev_b32_e32 v1, 24, v1
	v_and_b32_e32 v4, 0x7f000000, v1
	v_ffbh_u32_e32 v5, v4
	v_min_u32_e32 v5, 32, v5
	v_sub_u32_e64 v5, v5, 4 clamp
	v_lshlrev_b32_e32 v7, v5, v4
	v_lshlrev_b32_e32 v5, 23, v5
	v_lshrrev_b32_e32 v7, 4, v7
	v_add_u32_e32 v6, 0x1000000, v4
	v_sub_u32_e32 v5, v7, v5
	v_ashrrev_i32_e32 v6, 8, v6
	v_add_u32_e32 v5, 0x3c000000, v5
	v_and_or_b32 v5, v6, s2, v5
	v_cmp_ne_u32_e32 vcc, 0, v4
	s_brev_b32 s2, 1
	s_nop 0
	v_cndmask_b32_e32 v4, 0, v5, vcc
	v_and_or_b32 v1, v1, s2, v4
	v_cvt_i32_f32_e32 v4, v1
.LBB433_467:
	s_mov_b64 s[2:3], 0
.LBB433_468:
	s_andn2_b64 vcc, exec, s[2:3]
	s_cbranch_vccnz .LBB433_470
; %bb.469:
	global_load_ubyte v1, v[2:3], off
	s_movk_i32 s2, 0x7f00
	s_brev_b32 s3, 16
	s_waitcnt vmcnt(0)
	v_lshlrev_b16_e32 v4, 8, v1
	v_lshlrev_b32_e32 v1, 25, v1
	v_lshrrev_b32_e32 v5, 4, v1
	v_and_or_b32 v6, v4, s2, 0.5
	v_or_b32_e32 v5, 0x70000000, v5
	v_add_f32_e32 v6, -0.5, v6
	v_mul_f32_e32 v5, 0x7800000, v5
	v_cmp_gt_u32_e32 vcc, s3, v1
	v_bfe_i32 v4, v4, 0, 16
	s_brev_b32 s2, 1
	v_cndmask_b32_e32 v1, v5, v6, vcc
	v_and_or_b32 v1, v4, s2, v1
	v_cvt_i32_f32_e32 v4, v1
.LBB433_470:
	s_mov_b64 s[6:7], 0
	s_mov_b64 s[2:3], -1
.LBB433_471:
	s_andn2_b64 vcc, exec, s[6:7]
	s_cbranch_vccnz .LBB433_484
; %bb.472:
	s_cmp_gt_i32 s9, 14
	s_cbranch_scc0 .LBB433_475
; %bb.473:
	s_cmp_eq_u32 s9, 15
	s_cbranch_scc0 .LBB433_478
; %bb.474:
	global_load_ushort v1, v[2:3], off
	s_mov_b64 s[2:3], -1
	s_mov_b64 s[4:5], 0
	s_waitcnt vmcnt(0)
	v_lshlrev_b32_e32 v1, 16, v1
	v_cvt_i32_f32_e32 v4, v1
	s_branch .LBB433_479
.LBB433_475:
	s_mov_b64 s[6:7], -1
                                        ; implicit-def: $vgpr4
	s_branch .LBB433_480
.LBB433_476:
	s_andn2_saveexec_b64 s[2:3], s[2:3]
	s_cbranch_execz .LBB433_457
.LBB433_477:
	v_cmp_ne_u16_e32 vcc, 0, v1
	s_andn2_b64 s[6:7], s[6:7], exec
	s_and_b64 s[10:11], vcc, exec
	s_or_b64 s[6:7], s[6:7], s[10:11]
	s_or_b64 exec, exec, s[2:3]
	v_mov_b32_e32 v4, 0
	s_and_saveexec_b64 s[2:3], s[6:7]
	s_cbranch_execnz .LBB433_458
	s_branch .LBB433_459
.LBB433_478:
	s_mov_b64 s[4:5], -1
                                        ; implicit-def: $vgpr4
.LBB433_479:
	s_mov_b64 s[6:7], 0
.LBB433_480:
	s_and_b64 vcc, exec, s[6:7]
	s_cbranch_vccz .LBB433_484
; %bb.481:
	s_cmp_eq_u32 s9, 11
	s_cbranch_scc0 .LBB433_483
; %bb.482:
	global_load_ubyte v1, v[2:3], off
	s_mov_b64 s[2:3], -1
	s_mov_b64 s[4:5], 0
	s_waitcnt vmcnt(0)
	v_cmp_ne_u16_e32 vcc, 0, v1
	s_nop 1
	v_cndmask_b32_e64 v4, 0, 1, vcc
	s_branch .LBB433_484
.LBB433_483:
	s_mov_b64 s[4:5], -1
                                        ; implicit-def: $vgpr4
.LBB433_484:
	s_branch .LBB433_291
.LBB433_485:
	s_and_b32 s6, 0xffff, s8
	s_cmp_lt_i32 s6, 5
	s_cbranch_scc1 .LBB433_490
; %bb.486:
	s_cmp_lt_i32 s6, 8
	s_cbranch_scc1 .LBB433_491
; %bb.487:
	;; [unrolled: 3-line block ×3, first 2 shown]
	s_cmp_gt_i32 s6, 9
	s_cbranch_scc0 .LBB433_493
; %bb.489:
	global_load_dwordx2 v[4:5], v[2:3], off
	s_mov_b64 s[2:3], 0
	s_waitcnt vmcnt(0)
	v_cvt_i32_f64_e32 v4, v[4:5]
	s_branch .LBB433_494
.LBB433_490:
	s_mov_b64 s[2:3], -1
                                        ; implicit-def: $vgpr4
	s_branch .LBB433_512
.LBB433_491:
	s_mov_b64 s[2:3], -1
                                        ; implicit-def: $vgpr4
	s_branch .LBB433_500
.LBB433_492:
	s_mov_b64 s[2:3], -1
                                        ; implicit-def: $vgpr4
	s_branch .LBB433_497
.LBB433_493:
	s_mov_b64 s[2:3], -1
                                        ; implicit-def: $vgpr4
.LBB433_494:
	s_andn2_b64 vcc, exec, s[2:3]
	s_cbranch_vccnz .LBB433_496
; %bb.495:
	global_load_dword v1, v[2:3], off
	s_waitcnt vmcnt(0)
	v_cvt_i32_f32_e32 v4, v1
.LBB433_496:
	s_mov_b64 s[2:3], 0
.LBB433_497:
	s_andn2_b64 vcc, exec, s[2:3]
	s_cbranch_vccnz .LBB433_499
; %bb.498:
	global_load_dword v1, v[2:3], off
	s_waitcnt vmcnt(0)
	v_cvt_i16_f16_e32 v4, v1
.LBB433_499:
	s_mov_b64 s[2:3], 0
.LBB433_500:
	s_andn2_b64 vcc, exec, s[2:3]
	s_cbranch_vccnz .LBB433_511
; %bb.501:
	s_cmp_lt_i32 s6, 6
	s_cbranch_scc1 .LBB433_504
; %bb.502:
	s_cmp_gt_i32 s6, 6
	s_cbranch_scc0 .LBB433_505
; %bb.503:
	global_load_dwordx2 v[4:5], v[2:3], off
	s_mov_b64 s[2:3], 0
	s_waitcnt vmcnt(0)
	v_cvt_i32_f64_e32 v4, v[4:5]
	s_branch .LBB433_506
.LBB433_504:
	s_mov_b64 s[2:3], -1
                                        ; implicit-def: $vgpr4
	s_branch .LBB433_509
.LBB433_505:
	s_mov_b64 s[2:3], -1
                                        ; implicit-def: $vgpr4
.LBB433_506:
	s_andn2_b64 vcc, exec, s[2:3]
	s_cbranch_vccnz .LBB433_508
; %bb.507:
	global_load_dword v1, v[2:3], off
	s_waitcnt vmcnt(0)
	v_cvt_i32_f32_e32 v4, v1
.LBB433_508:
	s_mov_b64 s[2:3], 0
.LBB433_509:
	s_andn2_b64 vcc, exec, s[2:3]
	s_cbranch_vccnz .LBB433_511
; %bb.510:
	global_load_ushort v1, v[2:3], off
	s_waitcnt vmcnt(0)
	v_cvt_i16_f16_e32 v4, v1
.LBB433_511:
	s_mov_b64 s[2:3], 0
.LBB433_512:
	s_andn2_b64 vcc, exec, s[2:3]
	s_cbranch_vccnz .LBB433_532
; %bb.513:
	s_cmp_lt_i32 s6, 2
	s_cbranch_scc1 .LBB433_517
; %bb.514:
	s_cmp_lt_i32 s6, 3
	s_cbranch_scc1 .LBB433_518
; %bb.515:
	s_cmp_gt_i32 s6, 3
	s_cbranch_scc0 .LBB433_519
; %bb.516:
	global_load_dwordx2 v[4:5], v[2:3], off
	s_mov_b64 s[2:3], 0
	s_branch .LBB433_520
.LBB433_517:
	s_mov_b64 s[2:3], -1
                                        ; implicit-def: $vgpr4
	s_branch .LBB433_526
.LBB433_518:
	s_mov_b64 s[2:3], -1
                                        ; implicit-def: $vgpr4
	s_branch .LBB433_523
.LBB433_519:
	s_mov_b64 s[2:3], -1
                                        ; implicit-def: $vgpr4
.LBB433_520:
	s_andn2_b64 vcc, exec, s[2:3]
	s_cbranch_vccnz .LBB433_522
; %bb.521:
	global_load_dword v4, v[2:3], off
.LBB433_522:
	s_mov_b64 s[2:3], 0
.LBB433_523:
	s_andn2_b64 vcc, exec, s[2:3]
	s_cbranch_vccnz .LBB433_525
; %bb.524:
	global_load_ushort v4, v[2:3], off
.LBB433_525:
	s_mov_b64 s[2:3], 0
.LBB433_526:
	s_andn2_b64 vcc, exec, s[2:3]
	s_cbranch_vccnz .LBB433_532
; %bb.527:
	s_cmp_gt_i32 s6, 0
	s_cbranch_scc0 .LBB433_529
; %bb.528:
	global_load_ubyte v4, v[2:3], off
	s_mov_b64 s[2:3], 0
	s_branch .LBB433_530
.LBB433_529:
	s_mov_b64 s[2:3], -1
                                        ; implicit-def: $vgpr4
.LBB433_530:
	s_andn2_b64 vcc, exec, s[2:3]
	s_cbranch_vccnz .LBB433_532
; %bb.531:
	global_load_ubyte v4, v[2:3], off
.LBB433_532:
	s_branch .LBB433_292
.LBB433_533:
	s_mov_b64 s[6:7], 0
	s_mov_b64 s[2:3], s[54:55]
.LBB433_534:
                                        ; implicit-def: $vgpr8
.LBB433_535:
	s_andn2_b64 s[8:9], s[54:55], exec
	s_and_b64 s[2:3], s[2:3], exec
	s_or_b64 s[62:63], s[8:9], s[2:3]
	s_andn2_b64 s[2:3], s[56:57], exec
	s_and_b64 s[4:5], s[4:5], exec
	s_or_b64 s[60:61], s[2:3], s[4:5]
	s_orn2_b64 s[2:3], s[6:7], exec
.LBB433_536:
	s_or_b64 exec, exec, s[64:65]
	s_mov_b64 s[4:5], 0
	s_mov_b64 s[6:7], 0
	;; [unrolled: 1-line block ×3, first 2 shown]
                                        ; implicit-def: $sgpr14
                                        ; implicit-def: $vgpr2_vgpr3
                                        ; implicit-def: $vgpr0
                                        ; implicit-def: $vgpr4
	s_and_saveexec_b64 s[64:65], s[2:3]
	s_cbranch_execz .LBB433_905
; %bb.537:
	v_cmp_gt_i32_e32 vcc, s70, v8
	s_mov_b64 s[6:7], -1
	s_mov_b64 s[2:3], s[60:61]
	s_mov_b64 s[68:69], s[62:63]
	s_and_saveexec_b64 s[66:67], vcc
	s_cbranch_execz .LBB433_808
; %bb.538:
	s_andn2_b64 vcc, exec, s[42:43]
	s_cbranch_vccnz .LBB433_544
; %bb.539:
	s_andn2_b64 vcc, exec, s[52:53]
	s_cbranch_vccnz .LBB433_545
; %bb.540:
	s_add_i32 s77, s76, 1
	s_cmp_eq_u32 s72, 2
	s_cbranch_scc1 .LBB433_546
; %bb.541:
	s_and_b32 s71, s77, 28
	s_mov_b32 s78, 0
	v_mov_b32_e32 v0, 0
	v_mov_b32_e32 v2, 0
	s_mov_b64 s[2:3], s[34:35]
	s_mov_b64 s[68:69], s[50:51]
	s_waitcnt vmcnt(0)
	v_mov_b32_e32 v4, v8
.LBB433_542:                            ; =>This Inner Loop Header: Depth=1
	s_load_dwordx8 s[12:19], s[2:3], 0x4
	s_load_dwordx4 s[36:39], s[2:3], 0x24
	s_load_dwordx8 s[4:11], s[68:69], 0x0
	s_add_u32 s2, s2, 48
	s_addc_u32 s3, s3, 0
	s_waitcnt lgkmcnt(0)
	v_mul_hi_u32 v1, s13, v4
	v_add_u32_e32 v1, v4, v1
	v_lshrrev_b32_e32 v1, s14, v1
	v_mul_lo_u32 v3, v1, s12
	v_mul_hi_u32 v5, s16, v1
	v_sub_u32_e32 v3, v4, v3
	v_add_u32_e32 v4, v1, v5
	v_lshrrev_b32_e32 v4, s17, v4
	v_mul_lo_u32 v6, v4, s15
	v_mul_hi_u32 v7, s19, v4
	v_sub_u32_e32 v1, v1, v6
	v_add_u32_e32 v6, v4, v7
	v_mul_lo_u32 v5, v3, s5
	v_mul_lo_u32 v3, v3, s4
	;; [unrolled: 1-line block ×4, first 2 shown]
	v_lshrrev_b32_e32 v6, s36, v6
	v_add3_u32 v0, v3, v0, v1
	v_mul_hi_u32 v3, s38, v6
	v_add3_u32 v1, v5, v2, v7
	v_mul_lo_u32 v2, v6, s18
	v_add_u32_e32 v3, v6, v3
	v_sub_u32_e32 v2, v4, v2
	v_lshrrev_b32_e32 v4, s39, v3
	s_add_i32 s78, s78, 4
	v_mul_lo_u32 v3, v4, s37
	s_add_u32 s68, s68, 32
	v_sub_u32_e32 v3, v6, v3
	s_addc_u32 s69, s69, 0
	v_mul_lo_u32 v5, v2, s8
	v_mul_lo_u32 v2, v2, s9
	;; [unrolled: 1-line block ×4, first 2 shown]
	s_cmp_eq_u32 s71, s78
	v_add3_u32 v2, v2, v1, v3
	v_add3_u32 v0, v5, v0, v6
	s_cbranch_scc0 .LBB433_542
; %bb.543:
	v_mov_b32_e32 v1, v2
	s_branch .LBB433_547
.LBB433_544:
	s_mov_b64 s[2:3], -1
                                        ; implicit-def: $vgpr2
                                        ; implicit-def: $vgpr0
	s_branch .LBB433_551
.LBB433_545:
	v_mov_b32_e32 v2, 0
	v_mov_b32_e32 v0, 0
	s_branch .LBB433_550
.LBB433_546:
	v_mov_b32_e32 v0, 0
	s_mov_b32 s71, 0
	v_mov_b32_e32 v1, v0
                                        ; implicit-def: $vgpr2
	s_waitcnt vmcnt(0)
	v_mov_b32_e32 v4, v8
.LBB433_547:
	s_and_b32 s6, s77, 3
	s_cmp_eq_u32 s6, 0
	s_cbranch_scc1 .LBB433_550
; %bb.548:
	s_lshl_b32 s2, s71, 3
	s_add_u32 s2, s34, s2
	s_addc_u32 s3, s35, 0
	s_add_u32 s2, s2, 0xc4
	s_addc_u32 s3, s3, 0
	s_mul_i32 s4, s71, 12
	s_add_u32 s4, s34, s4
	s_addc_u32 s5, s35, 0
.LBB433_549:                            ; =>This Inner Loop Header: Depth=1
	s_load_dwordx2 s[8:9], s[4:5], 0x4
	s_load_dword s7, s[4:5], 0xc
	s_load_dwordx2 s[10:11], s[2:3], 0x0
	v_mov_b32_e32 v2, v1
	s_add_u32 s4, s4, 12
	s_waitcnt lgkmcnt(0)
	v_mul_hi_u32 v1, s9, v4
	v_add_u32_e32 v1, v4, v1
	v_lshrrev_b32_e32 v1, s7, v1
	s_addc_u32 s5, s5, 0
	v_mul_lo_u32 v3, v1, s8
	s_add_u32 s2, s2, 8
	v_sub_u32_e32 v5, v4, v3
	s_addc_u32 s3, s3, 0
	s_add_i32 s6, s6, -1
	v_mov_b32_e32 v4, v1
	v_mad_u64_u32 v[2:3], s[8:9], v5, s11, v[2:3]
	v_mad_u64_u32 v[0:1], s[8:9], v5, s10, v[0:1]
	s_cmp_lg_u32 s6, 0
	v_mov_b32_e32 v1, v2
	s_cbranch_scc1 .LBB433_549
.LBB433_550:
	s_mov_b64 s[2:3], 0
.LBB433_551:
	s_andn2_b64 vcc, exec, s[2:3]
	s_cbranch_vccnz .LBB433_554
; %bb.552:
	v_mul_hi_u32 v0, s25, v8
	v_add_u32_e32 v0, v8, v0
	v_lshrrev_b32_e32 v1, s26, v0
	v_mul_lo_u32 v0, v1, s24
	v_sub_u32_e32 v0, v8, v0
	v_mul_lo_u32 v2, v0, s29
	s_andn2_b64 vcc, exec, s[48:49]
	v_mul_lo_u32 v0, v0, s28
	s_cbranch_vccnz .LBB433_554
; %bb.553:
	v_mul_hi_u32 v3, s46, v1
	v_add_u32_e32 v3, v1, v3
	v_lshrrev_b32_e32 v3, s47, v3
	v_mul_lo_u32 v3, v3, s27
	v_sub_u32_e32 v3, v1, v3
	v_mad_u64_u32 v[0:1], s[2:3], v3, s30, v[0:1]
	v_mad_u64_u32 v[2:3], s[2:3], v3, s31, v[2:3]
.LBB433_554:
	v_mov_b32_e32 v3, 0
	s_and_b32 s8, s75, 0xff
	s_cmp_lt_i32 s8, 11
	v_lshl_add_u64 v[2:3], s[22:23], 0, v[2:3]
	s_cbranch_scc1 .LBB433_561
; %bb.555:
	s_and_b32 s9, 0xffff, s8
	s_cmp_gt_i32 s9, 25
	s_cbranch_scc0 .LBB433_562
; %bb.556:
	s_cmp_gt_i32 s9, 28
	s_cbranch_scc0 .LBB433_563
; %bb.557:
	;; [unrolled: 3-line block ×4, first 2 shown]
	s_cmp_eq_u32 s9, 46
	s_mov_b64 s[6:7], 0
	s_cbranch_scc0 .LBB433_570
; %bb.560:
	global_load_dword v1, v[2:3], off
	s_mov_b64 s[2:3], -1
	s_mov_b64 s[4:5], 0
	s_waitcnt vmcnt(0)
	v_lshlrev_b32_e32 v1, 16, v1
	v_cvt_i32_f32_e32 v4, v1
	s_branch .LBB433_571
.LBB433_561:
	s_mov_b64 s[6:7], -1
	s_mov_b64 s[2:3], 0
                                        ; implicit-def: $vgpr4
	s_mov_b64 s[4:5], s[60:61]
	s_branch .LBB433_632
.LBB433_562:
	s_mov_b64 s[6:7], -1
	s_mov_b64 s[2:3], 0
	s_mov_b64 s[4:5], s[60:61]
                                        ; implicit-def: $vgpr4
	s_branch .LBB433_598
.LBB433_563:
	s_mov_b64 s[6:7], -1
	s_mov_b64 s[2:3], 0
	s_mov_b64 s[4:5], s[60:61]
                                        ; implicit-def: $vgpr4
	s_branch .LBB433_581
.LBB433_564:
	s_mov_b64 s[6:7], -1
	s_mov_b64 s[2:3], 0
	s_mov_b64 s[4:5], s[60:61]
                                        ; implicit-def: $vgpr4
	s_branch .LBB433_576
.LBB433_565:
	s_andn2_saveexec_b64 s[10:11], s[10:11]
	s_cbranch_execz .LBB433_337
.LBB433_566:
	s_mov_b32 s14, 0x46000000
	v_add_f32_e64 v3, |v2|, s14
	v_and_b32_e32 v3, 0xff, v3
	v_cmp_ne_u32_e32 vcc, 0, v3
	s_andn2_b64 s[8:9], s[8:9], exec
	s_and_b64 s[14:15], vcc, exec
	s_or_b64 s[8:9], s[8:9], s[14:15]
	s_or_b64 exec, exec, s[10:11]
	v_mov_b32_e32 v5, 0
	s_and_saveexec_b64 s[10:11], s[8:9]
	s_cbranch_execnz .LBB433_338
	s_branch .LBB433_339
.LBB433_567:
	s_mov_b64 s[6:7], -1
	s_mov_b64 s[2:3], 0
	s_mov_b64 s[4:5], s[60:61]
                                        ; implicit-def: $vgpr4
	s_branch .LBB433_571
.LBB433_568:
	s_andn2_saveexec_b64 s[10:11], s[10:11]
	s_cbranch_execz .LBB433_350
.LBB433_569:
	s_mov_b32 s14, 0x42800000
	v_add_f32_e64 v3, |v2|, s14
	v_and_b32_e32 v3, 0xff, v3
	v_cmp_ne_u32_e32 vcc, 0, v3
	s_andn2_b64 s[8:9], s[8:9], exec
	s_and_b64 s[14:15], vcc, exec
	s_or_b64 s[8:9], s[8:9], s[14:15]
	s_or_b64 exec, exec, s[10:11]
	v_mov_b32_e32 v5, 0
	s_and_saveexec_b64 s[10:11], s[8:9]
	s_cbranch_execnz .LBB433_351
	s_branch .LBB433_352
.LBB433_570:
	s_mov_b64 s[4:5], -1
                                        ; implicit-def: $vgpr4
	s_mov_b64 s[2:3], 0
.LBB433_571:
	s_and_b64 vcc, exec, s[6:7]
	s_cbranch_vccz .LBB433_575
; %bb.572:
	s_cmp_eq_u32 s9, 44
	s_cbranch_scc0 .LBB433_574
; %bb.573:
	global_load_ubyte v1, v[2:3], off
	s_mov_b64 s[2:3], -1
	s_mov_b64 s[4:5], 0
	s_waitcnt vmcnt(0)
	v_lshlrev_b32_e32 v4, 23, v1
	v_cvt_i32_f32_e32 v4, v4
	v_cmp_ne_u32_e32 vcc, 0, v1
	s_nop 1
	v_cndmask_b32_e32 v4, 0, v4, vcc
	s_branch .LBB433_575
.LBB433_574:
	s_mov_b64 s[4:5], -1
                                        ; implicit-def: $vgpr4
.LBB433_575:
	s_mov_b64 s[6:7], 0
.LBB433_576:
	s_and_b64 vcc, exec, s[6:7]
	s_cbranch_vccz .LBB433_580
; %bb.577:
	s_cmp_eq_u32 s9, 29
	s_cbranch_scc0 .LBB433_579
; %bb.578:
	global_load_dwordx2 v[4:5], v[2:3], off
	s_mov_b64 s[2:3], -1
	s_mov_b64 s[4:5], 0
	s_branch .LBB433_580
.LBB433_579:
	s_mov_b64 s[4:5], -1
                                        ; implicit-def: $vgpr4
.LBB433_580:
	s_mov_b64 s[6:7], 0
.LBB433_581:
	s_and_b64 vcc, exec, s[6:7]
	s_cbranch_vccz .LBB433_597
; %bb.582:
	s_cmp_lt_i32 s9, 27
	s_cbranch_scc1 .LBB433_585
; %bb.583:
	s_cmp_gt_i32 s9, 27
	s_cbranch_scc0 .LBB433_586
; %bb.584:
	global_load_dword v4, v[2:3], off
	s_mov_b64 s[2:3], 0
	s_branch .LBB433_587
.LBB433_585:
	s_mov_b64 s[2:3], -1
                                        ; implicit-def: $vgpr4
	s_branch .LBB433_590
.LBB433_586:
	s_mov_b64 s[2:3], -1
                                        ; implicit-def: $vgpr4
.LBB433_587:
	s_andn2_b64 vcc, exec, s[2:3]
	s_cbranch_vccnz .LBB433_589
; %bb.588:
	global_load_ushort v4, v[2:3], off
.LBB433_589:
	s_mov_b64 s[2:3], 0
.LBB433_590:
	s_andn2_b64 vcc, exec, s[2:3]
	s_cbranch_vccnz .LBB433_596
; %bb.591:
	global_load_ubyte v1, v[2:3], off
	s_movk_i32 s2, 0x7f
	s_mov_b64 s[6:7], 0
	s_waitcnt vmcnt(0)
	v_cmp_lt_i16_e32 vcc, s2, v1
	s_and_saveexec_b64 s[2:3], vcc
	s_xor_b64 s[2:3], exec, s[2:3]
	s_cbranch_execz .LBB433_608
; %bb.592:
	s_movk_i32 s6, 0x80
	v_cmp_ne_u16_e32 vcc, s6, v1
	s_and_b64 s[6:7], vcc, exec
	s_andn2_saveexec_b64 s[2:3], s[2:3]
	s_cbranch_execnz .LBB433_609
.LBB433_593:
	s_or_b64 exec, exec, s[2:3]
	v_mov_b32_e32 v4, 0
	s_and_saveexec_b64 s[2:3], s[6:7]
	s_cbranch_execz .LBB433_595
.LBB433_594:
	v_lshlrev_b32_e32 v4, 24, v1
	v_and_b32_e32 v1, 0xffff, v1
	v_and_b32_e32 v5, 7, v1
	v_ffbh_u32_e32 v7, v5
	v_min_u32_e32 v7, 32, v7
	v_subrev_u32_e32 v9, 28, v7
	v_bfe_u32 v6, v1, 3, 4
	v_lshlrev_b32_e32 v1, v9, v1
	v_sub_u32_e32 v7, 29, v7
	v_and_b32_e32 v1, 7, v1
	v_cmp_eq_u32_e32 vcc, 0, v6
	v_and_b32_e32 v4, 0x80000000, v4
	s_nop 0
	v_cndmask_b32_e32 v6, v6, v7, vcc
	v_cndmask_b32_e32 v1, v5, v1, vcc
	v_mov_b32_e32 v5, 0x3b800000
	v_lshlrev_b32_e32 v1, 20, v1
	v_lshl_add_u32 v5, v6, 23, v5
	v_or3_b32 v1, v4, v5, v1
	v_cvt_i32_f32_e32 v4, v1
.LBB433_595:
	s_or_b64 exec, exec, s[2:3]
.LBB433_596:
	s_mov_b64 s[2:3], -1
.LBB433_597:
	s_mov_b64 s[6:7], 0
.LBB433_598:
	s_and_b64 vcc, exec, s[6:7]
	s_cbranch_vccz .LBB433_631
; %bb.599:
	s_cmp_gt_i32 s9, 22
	s_cbranch_scc0 .LBB433_607
; %bb.600:
	s_cmp_lt_i32 s9, 24
	s_cbranch_scc1 .LBB433_610
; %bb.601:
	s_cmp_gt_i32 s9, 24
	s_cbranch_scc0 .LBB433_611
; %bb.602:
	global_load_ubyte v1, v[2:3], off
	s_movk_i32 s2, 0x7f
	s_mov_b64 s[6:7], 0
	s_waitcnt vmcnt(0)
	v_cmp_lt_i16_e32 vcc, s2, v1
	s_and_saveexec_b64 s[2:3], vcc
	s_xor_b64 s[2:3], exec, s[2:3]
	s_cbranch_execz .LBB433_623
; %bb.603:
	s_movk_i32 s6, 0x80
	v_cmp_ne_u16_e32 vcc, s6, v1
	s_and_b64 s[6:7], vcc, exec
	s_andn2_saveexec_b64 s[2:3], s[2:3]
	s_cbranch_execnz .LBB433_624
.LBB433_604:
	s_or_b64 exec, exec, s[2:3]
	v_mov_b32_e32 v4, 0
	s_and_saveexec_b64 s[2:3], s[6:7]
	s_cbranch_execz .LBB433_606
.LBB433_605:
	v_lshlrev_b32_e32 v4, 24, v1
	v_and_b32_e32 v1, 0xffff, v1
	v_and_b32_e32 v5, 3, v1
	v_ffbh_u32_e32 v7, v5
	v_min_u32_e32 v7, 32, v7
	v_subrev_u32_e32 v9, 29, v7
	v_bfe_u32 v6, v1, 2, 5
	v_lshlrev_b32_e32 v1, v9, v1
	v_sub_u32_e32 v7, 30, v7
	v_and_b32_e32 v1, 3, v1
	v_cmp_eq_u32_e32 vcc, 0, v6
	v_and_b32_e32 v4, 0x80000000, v4
	s_nop 0
	v_cndmask_b32_e32 v6, v6, v7, vcc
	v_cndmask_b32_e32 v1, v5, v1, vcc
	v_mov_b32_e32 v5, 0x37800000
	v_lshlrev_b32_e32 v1, 21, v1
	v_lshl_add_u32 v5, v6, 23, v5
	v_or3_b32 v1, v4, v5, v1
	v_cvt_i32_f32_e32 v4, v1
.LBB433_606:
	s_or_b64 exec, exec, s[2:3]
	s_mov_b64 s[2:3], 0
	s_branch .LBB433_612
.LBB433_607:
	s_mov_b64 s[6:7], -1
                                        ; implicit-def: $vgpr4
	s_branch .LBB433_618
.LBB433_608:
	s_andn2_saveexec_b64 s[2:3], s[2:3]
	s_cbranch_execz .LBB433_593
.LBB433_609:
	v_cmp_ne_u16_e32 vcc, 0, v1
	s_andn2_b64 s[6:7], s[6:7], exec
	s_and_b64 s[10:11], vcc, exec
	s_or_b64 s[6:7], s[6:7], s[10:11]
	s_or_b64 exec, exec, s[2:3]
	v_mov_b32_e32 v4, 0
	s_and_saveexec_b64 s[2:3], s[6:7]
	s_cbranch_execnz .LBB433_594
	s_branch .LBB433_595
.LBB433_610:
	s_mov_b64 s[2:3], -1
                                        ; implicit-def: $vgpr4
	s_branch .LBB433_615
.LBB433_611:
	s_mov_b64 s[2:3], -1
                                        ; implicit-def: $vgpr4
.LBB433_612:
	s_and_b64 vcc, exec, s[2:3]
	s_cbranch_vccz .LBB433_614
; %bb.613:
	global_load_ubyte v1, v[2:3], off
	s_mov_b32 s2, 0x7f800000
	s_waitcnt vmcnt(0)
	v_lshlrev_b32_e32 v1, 24, v1
	v_and_b32_e32 v4, 0x7f000000, v1
	v_ffbh_u32_e32 v5, v4
	v_min_u32_e32 v5, 32, v5
	v_sub_u32_e64 v5, v5, 4 clamp
	v_lshlrev_b32_e32 v7, v5, v4
	v_lshlrev_b32_e32 v5, 23, v5
	v_lshrrev_b32_e32 v7, 4, v7
	v_add_u32_e32 v6, 0x1000000, v4
	v_sub_u32_e32 v5, v7, v5
	v_ashrrev_i32_e32 v6, 8, v6
	v_add_u32_e32 v5, 0x3c000000, v5
	v_and_or_b32 v5, v6, s2, v5
	v_cmp_ne_u32_e32 vcc, 0, v4
	s_brev_b32 s2, 1
	s_nop 0
	v_cndmask_b32_e32 v4, 0, v5, vcc
	v_and_or_b32 v1, v1, s2, v4
	v_cvt_i32_f32_e32 v4, v1
.LBB433_614:
	s_mov_b64 s[2:3], 0
.LBB433_615:
	s_andn2_b64 vcc, exec, s[2:3]
	s_cbranch_vccnz .LBB433_617
; %bb.616:
	global_load_ubyte v1, v[2:3], off
	s_movk_i32 s2, 0x7f00
	s_brev_b32 s3, 16
	s_waitcnt vmcnt(0)
	v_lshlrev_b16_e32 v4, 8, v1
	v_lshlrev_b32_e32 v1, 25, v1
	v_lshrrev_b32_e32 v5, 4, v1
	v_and_or_b32 v6, v4, s2, 0.5
	v_or_b32_e32 v5, 0x70000000, v5
	v_add_f32_e32 v6, -0.5, v6
	v_mul_f32_e32 v5, 0x7800000, v5
	v_cmp_gt_u32_e32 vcc, s3, v1
	v_bfe_i32 v4, v4, 0, 16
	s_brev_b32 s2, 1
	v_cndmask_b32_e32 v1, v5, v6, vcc
	v_and_or_b32 v1, v4, s2, v1
	v_cvt_i32_f32_e32 v4, v1
.LBB433_617:
	s_mov_b64 s[6:7], 0
	s_mov_b64 s[2:3], -1
.LBB433_618:
	s_andn2_b64 vcc, exec, s[6:7]
	s_cbranch_vccnz .LBB433_631
; %bb.619:
	s_cmp_gt_i32 s9, 14
	s_cbranch_scc0 .LBB433_622
; %bb.620:
	s_cmp_eq_u32 s9, 15
	s_cbranch_scc0 .LBB433_625
; %bb.621:
	global_load_ushort v1, v[2:3], off
	s_mov_b64 s[2:3], -1
	s_mov_b64 s[4:5], 0
	s_waitcnt vmcnt(0)
	v_lshlrev_b32_e32 v1, 16, v1
	v_cvt_i32_f32_e32 v4, v1
	s_branch .LBB433_626
.LBB433_622:
	s_mov_b64 s[6:7], -1
                                        ; implicit-def: $vgpr4
	s_branch .LBB433_627
.LBB433_623:
	s_andn2_saveexec_b64 s[2:3], s[2:3]
	s_cbranch_execz .LBB433_604
.LBB433_624:
	v_cmp_ne_u16_e32 vcc, 0, v1
	s_andn2_b64 s[6:7], s[6:7], exec
	s_and_b64 s[10:11], vcc, exec
	s_or_b64 s[6:7], s[6:7], s[10:11]
	s_or_b64 exec, exec, s[2:3]
	v_mov_b32_e32 v4, 0
	s_and_saveexec_b64 s[2:3], s[6:7]
	s_cbranch_execnz .LBB433_605
	s_branch .LBB433_606
.LBB433_625:
	s_mov_b64 s[4:5], -1
                                        ; implicit-def: $vgpr4
.LBB433_626:
	s_mov_b64 s[6:7], 0
.LBB433_627:
	s_and_b64 vcc, exec, s[6:7]
	s_cbranch_vccz .LBB433_631
; %bb.628:
	s_cmp_eq_u32 s9, 11
	s_cbranch_scc0 .LBB433_630
; %bb.629:
	global_load_ubyte v1, v[2:3], off
	s_mov_b64 s[2:3], -1
	s_mov_b64 s[4:5], 0
	s_waitcnt vmcnt(0)
	v_cmp_ne_u16_e32 vcc, 0, v1
	s_nop 1
	v_cndmask_b32_e64 v4, 0, 1, vcc
	s_branch .LBB433_631
.LBB433_630:
	s_mov_b64 s[4:5], -1
                                        ; implicit-def: $vgpr4
.LBB433_631:
	s_mov_b64 s[6:7], 0
.LBB433_632:
	s_and_b64 vcc, exec, s[6:7]
	s_cbranch_vccz .LBB433_681
; %bb.633:
	s_and_b32 s6, 0xffff, s8
	s_cmp_lt_i32 s6, 5
	s_cbranch_scc1 .LBB433_638
; %bb.634:
	s_cmp_lt_i32 s6, 8
	s_cbranch_scc1 .LBB433_639
; %bb.635:
	;; [unrolled: 3-line block ×3, first 2 shown]
	s_cmp_gt_i32 s6, 9
	s_cbranch_scc0 .LBB433_641
; %bb.637:
	global_load_dwordx2 v[4:5], v[2:3], off
	s_mov_b64 s[2:3], 0
	s_waitcnt vmcnt(0)
	v_cvt_i32_f64_e32 v4, v[4:5]
	s_branch .LBB433_642
.LBB433_638:
	s_mov_b64 s[2:3], -1
                                        ; implicit-def: $vgpr4
	s_branch .LBB433_660
.LBB433_639:
	s_mov_b64 s[2:3], -1
                                        ; implicit-def: $vgpr4
	s_branch .LBB433_648
.LBB433_640:
	s_mov_b64 s[2:3], -1
                                        ; implicit-def: $vgpr4
	s_branch .LBB433_645
.LBB433_641:
	s_mov_b64 s[2:3], -1
                                        ; implicit-def: $vgpr4
.LBB433_642:
	s_andn2_b64 vcc, exec, s[2:3]
	s_cbranch_vccnz .LBB433_644
; %bb.643:
	global_load_dword v1, v[2:3], off
	s_waitcnt vmcnt(0)
	v_cvt_i32_f32_e32 v4, v1
.LBB433_644:
	s_mov_b64 s[2:3], 0
.LBB433_645:
	s_andn2_b64 vcc, exec, s[2:3]
	s_cbranch_vccnz .LBB433_647
; %bb.646:
	global_load_dword v1, v[2:3], off
	s_waitcnt vmcnt(0)
	v_cvt_i16_f16_e32 v4, v1
.LBB433_647:
	s_mov_b64 s[2:3], 0
.LBB433_648:
	s_andn2_b64 vcc, exec, s[2:3]
	s_cbranch_vccnz .LBB433_659
; %bb.649:
	s_cmp_lt_i32 s6, 6
	s_cbranch_scc1 .LBB433_652
; %bb.650:
	s_cmp_gt_i32 s6, 6
	s_cbranch_scc0 .LBB433_653
; %bb.651:
	global_load_dwordx2 v[4:5], v[2:3], off
	s_mov_b64 s[2:3], 0
	s_waitcnt vmcnt(0)
	v_cvt_i32_f64_e32 v4, v[4:5]
	s_branch .LBB433_654
.LBB433_652:
	s_mov_b64 s[2:3], -1
                                        ; implicit-def: $vgpr4
	s_branch .LBB433_657
.LBB433_653:
	s_mov_b64 s[2:3], -1
                                        ; implicit-def: $vgpr4
.LBB433_654:
	s_andn2_b64 vcc, exec, s[2:3]
	s_cbranch_vccnz .LBB433_656
; %bb.655:
	global_load_dword v1, v[2:3], off
	s_waitcnt vmcnt(0)
	v_cvt_i32_f32_e32 v4, v1
.LBB433_656:
	s_mov_b64 s[2:3], 0
.LBB433_657:
	s_andn2_b64 vcc, exec, s[2:3]
	s_cbranch_vccnz .LBB433_659
; %bb.658:
	global_load_ushort v1, v[2:3], off
	s_waitcnt vmcnt(0)
	v_cvt_i16_f16_e32 v4, v1
.LBB433_659:
	s_mov_b64 s[2:3], 0
.LBB433_660:
	s_andn2_b64 vcc, exec, s[2:3]
	s_cbranch_vccnz .LBB433_680
; %bb.661:
	s_cmp_lt_i32 s6, 2
	s_cbranch_scc1 .LBB433_665
; %bb.662:
	s_cmp_lt_i32 s6, 3
	s_cbranch_scc1 .LBB433_666
; %bb.663:
	s_cmp_gt_i32 s6, 3
	s_cbranch_scc0 .LBB433_667
; %bb.664:
	global_load_dwordx2 v[4:5], v[2:3], off
	s_mov_b64 s[2:3], 0
	s_branch .LBB433_668
.LBB433_665:
	s_mov_b64 s[2:3], -1
                                        ; implicit-def: $vgpr4
	s_branch .LBB433_674
.LBB433_666:
	s_mov_b64 s[2:3], -1
                                        ; implicit-def: $vgpr4
	s_branch .LBB433_671
.LBB433_667:
	s_mov_b64 s[2:3], -1
                                        ; implicit-def: $vgpr4
.LBB433_668:
	s_andn2_b64 vcc, exec, s[2:3]
	s_cbranch_vccnz .LBB433_670
; %bb.669:
	global_load_dword v4, v[2:3], off
.LBB433_670:
	s_mov_b64 s[2:3], 0
.LBB433_671:
	s_andn2_b64 vcc, exec, s[2:3]
	s_cbranch_vccnz .LBB433_673
; %bb.672:
	global_load_ushort v4, v[2:3], off
.LBB433_673:
	s_mov_b64 s[2:3], 0
.LBB433_674:
	s_andn2_b64 vcc, exec, s[2:3]
	s_cbranch_vccnz .LBB433_680
; %bb.675:
	s_cmp_gt_i32 s6, 0
	s_cbranch_scc0 .LBB433_677
; %bb.676:
	global_load_ubyte v4, v[2:3], off
	s_mov_b64 s[2:3], 0
	s_branch .LBB433_678
.LBB433_677:
	s_mov_b64 s[2:3], -1
                                        ; implicit-def: $vgpr4
.LBB433_678:
	s_andn2_b64 vcc, exec, s[2:3]
	s_cbranch_vccnz .LBB433_680
; %bb.679:
	global_load_ubyte v4, v[2:3], off
.LBB433_680:
	s_mov_b64 s[2:3], -1
.LBB433_681:
	s_andn2_b64 vcc, exec, s[2:3]
	s_cbranch_vccnz .LBB433_689
; %bb.682:
	s_bfe_i32 s2, s74, 0x80000
	v_mov_b32_e32 v1, 0
	s_and_b32 s12, s73, 0xff
	s_waitcnt vmcnt(0)
	v_min_i16_sdwa v4, sext(v4), s2 dst_sel:DWORD dst_unused:UNUSED_PAD src0_sel:BYTE_0 src1_sel:DWORD
	s_cmp_lt_i32 s12, 11
	v_lshl_add_u64 v[0:1], s[20:21], 0, v[0:1]
	s_cbranch_scc1 .LBB433_690
; %bb.683:
	s_and_b32 s13, 0xffff, s12
	s_cmp_gt_i32 s13, 25
	s_cbranch_scc0 .LBB433_691
; %bb.684:
	s_cmp_gt_i32 s13, 28
	s_cbranch_scc0 .LBB433_692
; %bb.685:
	;; [unrolled: 3-line block ×4, first 2 shown]
	s_mov_b64 s[8:9], 0
	s_mov_b64 s[2:3], -1
	s_cmp_eq_u32 s13, 46
	s_mov_b64 s[6:7], 0
	s_cbranch_scc0 .LBB433_695
; %bb.688:
	v_cvt_f32_i32_sdwa v2, sext(v4) dst_sel:DWORD dst_unused:UNUSED_PAD src0_sel:WORD_0
	s_movk_i32 s2, 0x7fff
	s_mov_b64 s[6:7], -1
	v_bfe_u32 v3, v2, 16, 1
	v_add3_u32 v2, v2, v3, s2
	v_lshrrev_b32_e32 v2, 16, v2
	global_store_dword v[0:1], v2, off
	s_mov_b64 s[2:3], 0
	s_branch .LBB433_695
.LBB433_689:
	s_mov_b64 s[6:7], 0
	s_mov_b64 s[2:3], s[62:63]
	s_branch .LBB433_806
.LBB433_690:
	s_mov_b64 s[8:9], -1
	s_mov_b64 s[6:7], 0
	s_mov_b64 s[2:3], s[62:63]
	s_branch .LBB433_764
.LBB433_691:
	s_mov_b64 s[8:9], -1
	s_mov_b64 s[6:7], 0
	s_mov_b64 s[2:3], s[62:63]
	s_branch .LBB433_722
.LBB433_692:
	s_mov_b64 s[8:9], -1
	s_mov_b64 s[6:7], 0
	s_mov_b64 s[2:3], s[62:63]
	s_branch .LBB433_705
.LBB433_693:
	s_mov_b64 s[8:9], -1
	s_mov_b64 s[6:7], 0
	s_mov_b64 s[2:3], s[62:63]
	s_branch .LBB433_701
.LBB433_694:
	s_mov_b64 s[8:9], -1
	s_mov_b64 s[6:7], 0
	s_mov_b64 s[2:3], s[62:63]
.LBB433_695:
	s_and_b64 vcc, exec, s[8:9]
	s_cbranch_vccz .LBB433_700
; %bb.696:
	s_cmp_eq_u32 s13, 44
	s_mov_b64 s[2:3], -1
	s_cbranch_scc0 .LBB433_700
; %bb.697:
	v_cvt_f32_i32_sdwa v2, sext(v4) dst_sel:DWORD dst_unused:UNUSED_PAD src0_sel:WORD_0
	s_movk_i32 s2, 0xff
	v_mov_b32_e32 v5, 0xff
	v_bfe_u32 v3, v2, 23, 8
	v_cmp_ne_u32_e32 vcc, s2, v3
	s_and_saveexec_b64 s[6:7], vcc
; %bb.698:
	s_mov_b32 s2, 0x3fffff
	v_lshrrev_b32_e32 v5, 23, v2
	v_and_b32_e32 v6, 0x400000, v2
	v_and_or_b32 v2, v2, s2, v3
	v_cmp_ne_u32_e32 vcc, 0, v6
	v_cmp_ne_u32_e64 s[2:3], 0, v2
	s_and_b64 s[2:3], vcc, s[2:3]
	s_nop 0
	v_cndmask_b32_e64 v2, 0, 1, s[2:3]
	v_add_u32_e32 v5, v5, v2
; %bb.699:
	s_or_b64 exec, exec, s[6:7]
	s_mov_b64 s[6:7], -1
	s_mov_b64 s[2:3], 0
	global_store_byte v[0:1], v5, off
.LBB433_700:
	s_mov_b64 s[8:9], 0
.LBB433_701:
	s_and_b64 vcc, exec, s[8:9]
	s_cbranch_vccz .LBB433_704
; %bb.702:
	s_cmp_eq_u32 s13, 29
	s_mov_b64 s[2:3], -1
	s_cbranch_scc0 .LBB433_704
; %bb.703:
	v_bfe_i32 v2, v4, 0, 16
	v_ashrrev_i32_e32 v3, 31, v2
	global_store_dwordx2 v[0:1], v[2:3], off
	s_mov_b64 s[6:7], -1
	s_mov_b64 s[2:3], 0
.LBB433_704:
	s_mov_b64 s[8:9], 0
.LBB433_705:
	s_and_b64 vcc, exec, s[8:9]
	s_cbranch_vccz .LBB433_721
; %bb.706:
	s_cmp_lt_i32 s13, 27
	s_mov_b64 s[6:7], -1
	s_cbranch_scc1 .LBB433_712
; %bb.707:
	s_cmp_gt_i32 s13, 27
	s_cbranch_scc0 .LBB433_709
; %bb.708:
	v_bfe_i32 v2, v4, 0, 16
	s_mov_b64 s[6:7], 0
	global_store_dword v[0:1], v2, off
.LBB433_709:
	s_andn2_b64 vcc, exec, s[6:7]
	s_cbranch_vccnz .LBB433_711
; %bb.710:
	global_store_short v[0:1], v4, off
.LBB433_711:
	s_mov_b64 s[6:7], 0
.LBB433_712:
	s_andn2_b64 vcc, exec, s[6:7]
	s_cbranch_vccnz .LBB433_720
; %bb.713:
	v_cvt_f32_i32_sdwa v2, sext(v4) dst_sel:DWORD dst_unused:UNUSED_PAD src0_sel:WORD_0
	s_mov_b32 s6, 0x43800000
	v_mov_b32_e32 v5, 0x80
	v_and_b32_e32 v3, 0x7fffffff, v2
	v_cmp_gt_u32_e32 vcc, s6, v3
	s_and_saveexec_b64 s[6:7], vcc
	s_cbranch_execz .LBB433_719
; %bb.714:
	s_mov_b32 s8, 0x3bffffff
	v_cmp_lt_u32_e32 vcc, s8, v3
	s_mov_b64 s[8:9], 0
                                        ; implicit-def: $vgpr3
	s_and_saveexec_b64 s[10:11], vcc
	s_xor_b64 s[10:11], exec, s[10:11]
	s_cbranch_execz .LBB433_837
; %bb.715:
	v_bfe_u32 v3, v2, 20, 1
	s_mov_b32 s14, 0x487ffff
	v_add3_u32 v3, v2, v3, s14
	s_mov_b64 s[8:9], exec
	v_lshrrev_b32_e32 v3, 20, v3
	s_andn2_saveexec_b64 s[10:11], s[10:11]
	s_cbranch_execnz .LBB433_838
.LBB433_716:
	s_or_b64 exec, exec, s[10:11]
	v_mov_b32_e32 v5, 0
	s_and_saveexec_b64 s[10:11], s[8:9]
.LBB433_717:
	v_lshrrev_b32_e32 v2, 24, v2
	s_movk_i32 s8, 0x80
	v_and_or_b32 v5, v2, s8, v3
.LBB433_718:
	s_or_b64 exec, exec, s[10:11]
.LBB433_719:
	s_or_b64 exec, exec, s[6:7]
	global_store_byte v[0:1], v5, off
.LBB433_720:
	s_mov_b64 s[6:7], -1
.LBB433_721:
	s_mov_b64 s[8:9], 0
.LBB433_722:
	s_and_b64 vcc, exec, s[8:9]
	s_cbranch_vccz .LBB433_763
; %bb.723:
	s_cmp_gt_i32 s13, 22
	s_mov_b64 s[8:9], -1
	s_cbranch_scc0 .LBB433_755
; %bb.724:
	s_cmp_lt_i32 s13, 24
	s_mov_b64 s[6:7], -1
	s_cbranch_scc1 .LBB433_744
; %bb.725:
	s_cmp_gt_i32 s13, 24
	s_cbranch_scc0 .LBB433_733
; %bb.726:
	v_cvt_f32_i32_sdwa v2, sext(v4) dst_sel:DWORD dst_unused:UNUSED_PAD src0_sel:WORD_0
	s_mov_b32 s6, 0x47800000
	v_mov_b32_e32 v5, 0x80
	v_and_b32_e32 v3, 0x7fffffff, v2
	v_cmp_gt_u32_e32 vcc, s6, v3
	s_and_saveexec_b64 s[6:7], vcc
	s_cbranch_execz .LBB433_732
; %bb.727:
	s_mov_b32 s8, 0x37ffffff
	v_cmp_lt_u32_e32 vcc, s8, v3
	s_mov_b64 s[8:9], 0
                                        ; implicit-def: $vgpr3
	s_and_saveexec_b64 s[10:11], vcc
	s_xor_b64 s[10:11], exec, s[10:11]
	s_cbranch_execz .LBB433_840
; %bb.728:
	v_bfe_u32 v3, v2, 21, 1
	s_mov_b32 s14, 0x88fffff
	v_add3_u32 v3, v2, v3, s14
	s_mov_b64 s[8:9], exec
	v_lshrrev_b32_e32 v3, 21, v3
	s_andn2_saveexec_b64 s[10:11], s[10:11]
	s_cbranch_execnz .LBB433_841
.LBB433_729:
	s_or_b64 exec, exec, s[10:11]
	v_mov_b32_e32 v5, 0
	s_and_saveexec_b64 s[10:11], s[8:9]
.LBB433_730:
	v_lshrrev_b32_e32 v2, 24, v2
	s_movk_i32 s8, 0x80
	v_and_or_b32 v5, v2, s8, v3
.LBB433_731:
	s_or_b64 exec, exec, s[10:11]
.LBB433_732:
	s_or_b64 exec, exec, s[6:7]
	s_mov_b64 s[6:7], 0
	global_store_byte v[0:1], v5, off
.LBB433_733:
	s_and_b64 vcc, exec, s[6:7]
	s_cbranch_vccz .LBB433_743
; %bb.734:
	v_cvt_f32_i32_sdwa v2, sext(v4) dst_sel:DWORD dst_unused:UNUSED_PAD src0_sel:WORD_0
	s_mov_b32 s6, 0x43f00000
                                        ; implicit-def: $vgpr3
	v_and_b32_e32 v5, 0x7fffffff, v2
	v_cmp_gt_u32_e32 vcc, s6, v5
	s_and_saveexec_b64 s[6:7], vcc
	s_xor_b64 s[6:7], exec, s[6:7]
	s_cbranch_execz .LBB433_740
; %bb.735:
	s_mov_b32 s8, 0x3c7fffff
	v_cmp_lt_u32_e32 vcc, s8, v5
                                        ; implicit-def: $vgpr3
	s_and_saveexec_b64 s[8:9], vcc
	s_xor_b64 s[8:9], exec, s[8:9]
; %bb.736:
	v_bfe_u32 v3, v2, 20, 1
	s_mov_b32 s10, 0x407ffff
	v_add3_u32 v3, v2, v3, s10
	v_lshrrev_b32_e32 v5, 20, v3
	v_and_b32_e32 v3, 0xff00000, v3
	s_mov_b32 s10, 0x7f00000
	v_mov_b32_e32 v6, 0x7e
	v_cmp_ne_u32_e32 vcc, s10, v3
	s_nop 1
	v_cndmask_b32_e32 v3, v6, v5, vcc
; %bb.737:
	s_andn2_saveexec_b64 s[8:9], s[8:9]
; %bb.738:
	s_mov_b32 s10, 0x46800000
	v_add_f32_e64 v3, |v2|, s10
; %bb.739:
	s_or_b64 exec, exec, s[8:9]
                                        ; implicit-def: $vgpr5
.LBB433_740:
	s_andn2_saveexec_b64 s[6:7], s[6:7]
; %bb.741:
	s_mov_b32 s8, 0x7f800000
	v_mov_b32_e32 v3, 0x7e
	v_mov_b32_e32 v6, 0x7f
	v_cmp_lt_u32_e32 vcc, s8, v5
	s_nop 1
	v_cndmask_b32_e32 v3, v3, v6, vcc
; %bb.742:
	s_or_b64 exec, exec, s[6:7]
	v_lshrrev_b32_e32 v2, 24, v2
	s_movk_i32 s6, 0x80
	v_and_or_b32 v2, v2, s6, v3
	global_store_byte v[0:1], v2, off
.LBB433_743:
	s_mov_b64 s[6:7], 0
.LBB433_744:
	s_andn2_b64 vcc, exec, s[6:7]
	s_cbranch_vccnz .LBB433_754
; %bb.745:
	v_cvt_f32_i32_sdwa v2, sext(v4) dst_sel:DWORD dst_unused:UNUSED_PAD src0_sel:WORD_0
	s_mov_b32 s6, 0x47800000
                                        ; implicit-def: $vgpr3
	v_and_b32_e32 v5, 0x7fffffff, v2
	v_cmp_gt_u32_e32 vcc, s6, v5
	s_and_saveexec_b64 s[6:7], vcc
	s_xor_b64 s[6:7], exec, s[6:7]
	s_cbranch_execz .LBB433_751
; %bb.746:
	s_mov_b32 s8, 0x387fffff
	v_cmp_lt_u32_e32 vcc, s8, v5
                                        ; implicit-def: $vgpr3
	s_and_saveexec_b64 s[8:9], vcc
	s_xor_b64 s[8:9], exec, s[8:9]
; %bb.747:
	v_bfe_u32 v3, v2, 21, 1
	s_mov_b32 s10, 0x80fffff
	v_add3_u32 v3, v2, v3, s10
	v_lshrrev_b32_e32 v3, 21, v3
; %bb.748:
	s_andn2_saveexec_b64 s[8:9], s[8:9]
; %bb.749:
	s_mov_b32 s10, 0x43000000
	v_add_f32_e64 v3, |v2|, s10
; %bb.750:
	s_or_b64 exec, exec, s[8:9]
                                        ; implicit-def: $vgpr5
.LBB433_751:
	s_andn2_saveexec_b64 s[6:7], s[6:7]
; %bb.752:
	s_mov_b32 s8, 0x7f800000
	v_mov_b32_e32 v3, 0x7c
	v_mov_b32_e32 v6, 0x7f
	v_cmp_lt_u32_e32 vcc, s8, v5
	s_nop 1
	v_cndmask_b32_e32 v3, v3, v6, vcc
; %bb.753:
	s_or_b64 exec, exec, s[6:7]
	v_lshrrev_b32_e32 v2, 24, v2
	s_movk_i32 s6, 0x80
	v_and_or_b32 v2, v2, s6, v3
	global_store_byte v[0:1], v2, off
.LBB433_754:
	s_mov_b64 s[8:9], 0
	s_mov_b64 s[6:7], -1
.LBB433_755:
	s_andn2_b64 vcc, exec, s[8:9]
	s_cbranch_vccnz .LBB433_763
; %bb.756:
	s_cmp_gt_i32 s13, 14
	s_mov_b64 s[8:9], -1
	s_cbranch_scc0 .LBB433_760
; %bb.757:
	s_cmp_eq_u32 s13, 15
	s_mov_b64 s[2:3], -1
	s_cbranch_scc0 .LBB433_759
; %bb.758:
	v_cvt_f32_i32_sdwa v2, sext(v4) dst_sel:DWORD dst_unused:UNUSED_PAD src0_sel:WORD_0
	s_movk_i32 s2, 0x7fff
	s_mov_b64 s[6:7], -1
	v_bfe_u32 v3, v2, 16, 1
	v_add3_u32 v2, v2, v3, s2
	global_store_short_d16_hi v[0:1], v2, off
	s_mov_b64 s[2:3], 0
.LBB433_759:
	s_mov_b64 s[8:9], 0
.LBB433_760:
	s_and_b64 vcc, exec, s[8:9]
	s_cbranch_vccz .LBB433_763
; %bb.761:
	s_cmp_eq_u32 s13, 11
	s_mov_b64 s[2:3], -1
	s_cbranch_scc0 .LBB433_763
; %bb.762:
	v_cmp_ne_u16_e32 vcc, 0, v4
	s_mov_b64 s[6:7], -1
	s_mov_b64 s[2:3], 0
	v_cndmask_b32_e64 v2, 0, 1, vcc
	global_store_byte v[0:1], v2, off
.LBB433_763:
	s_mov_b64 s[8:9], 0
.LBB433_764:
	s_and_b64 vcc, exec, s[8:9]
	s_cbranch_vccz .LBB433_803
; %bb.765:
	s_and_b32 s8, 0xffff, s12
	s_cmp_lt_i32 s8, 5
	s_mov_b64 s[6:7], -1
	s_cbranch_scc1 .LBB433_786
; %bb.766:
	s_cmp_lt_i32 s8, 8
	s_cbranch_scc1 .LBB433_776
; %bb.767:
	s_cmp_lt_i32 s8, 9
	s_cbranch_scc1 .LBB433_773
; %bb.768:
	s_cmp_gt_i32 s8, 9
	s_cbranch_scc0 .LBB433_770
; %bb.769:
	v_bfe_i32 v2, v4, 0, 16
	v_mov_b32_e32 v12, 0
	v_cvt_f64_i32_e32 v[10:11], v2
	v_mov_b32_e32 v13, v12
	s_mov_b64 s[6:7], 0
	global_store_dwordx4 v[0:1], v[10:13], off
.LBB433_770:
	s_andn2_b64 vcc, exec, s[6:7]
	s_cbranch_vccnz .LBB433_772
; %bb.771:
	v_cvt_f32_i32_sdwa v2, sext(v4) dst_sel:DWORD dst_unused:UNUSED_PAD src0_sel:WORD_0
	v_mov_b32_e32 v3, 0
	global_store_dwordx2 v[0:1], v[2:3], off
.LBB433_772:
	s_mov_b64 s[6:7], 0
.LBB433_773:
	s_andn2_b64 vcc, exec, s[6:7]
	s_cbranch_vccnz .LBB433_775
; %bb.774:
	v_cvt_f16_i16_e32 v2, v4
	global_store_dword v[0:1], v2, off
.LBB433_775:
	s_mov_b64 s[6:7], 0
.LBB433_776:
	s_andn2_b64 vcc, exec, s[6:7]
	s_cbranch_vccnz .LBB433_785
; %bb.777:
	s_cmp_lt_i32 s8, 6
	s_mov_b64 s[6:7], -1
	s_cbranch_scc1 .LBB433_783
; %bb.778:
	s_cmp_gt_i32 s8, 6
	s_cbranch_scc0 .LBB433_780
; %bb.779:
	v_bfe_i32 v2, v4, 0, 16
	v_cvt_f64_i32_e32 v[2:3], v2
	s_mov_b64 s[6:7], 0
	global_store_dwordx2 v[0:1], v[2:3], off
.LBB433_780:
	s_andn2_b64 vcc, exec, s[6:7]
	s_cbranch_vccnz .LBB433_782
; %bb.781:
	v_cvt_f32_i32_sdwa v2, sext(v4) dst_sel:DWORD dst_unused:UNUSED_PAD src0_sel:WORD_0
	global_store_dword v[0:1], v2, off
.LBB433_782:
	s_mov_b64 s[6:7], 0
.LBB433_783:
	s_andn2_b64 vcc, exec, s[6:7]
	s_cbranch_vccnz .LBB433_785
; %bb.784:
	v_cvt_f16_i16_e32 v2, v4
	global_store_short v[0:1], v2, off
.LBB433_785:
	s_mov_b64 s[6:7], 0
.LBB433_786:
	s_andn2_b64 vcc, exec, s[6:7]
	s_cbranch_vccnz .LBB433_802
; %bb.787:
	s_cmp_lt_i32 s8, 2
	s_mov_b64 s[6:7], -1
	s_cbranch_scc1 .LBB433_797
; %bb.788:
	s_cmp_lt_i32 s8, 3
	s_cbranch_scc1 .LBB433_794
; %bb.789:
	s_cmp_gt_i32 s8, 3
	v_bfe_i32 v2, v4, 0, 16
	s_cbranch_scc0 .LBB433_791
; %bb.790:
	v_ashrrev_i32_e32 v3, 31, v2
	s_mov_b64 s[6:7], 0
	global_store_dwordx2 v[0:1], v[2:3], off
.LBB433_791:
	s_andn2_b64 vcc, exec, s[6:7]
	s_cbranch_vccnz .LBB433_793
; %bb.792:
	global_store_dword v[0:1], v2, off
.LBB433_793:
	s_mov_b64 s[6:7], 0
.LBB433_794:
	s_andn2_b64 vcc, exec, s[6:7]
	s_cbranch_vccnz .LBB433_796
; %bb.795:
	global_store_short v[0:1], v4, off
.LBB433_796:
	s_mov_b64 s[6:7], 0
.LBB433_797:
	s_andn2_b64 vcc, exec, s[6:7]
	s_cbranch_vccnz .LBB433_802
; %bb.798:
	s_cmp_gt_i32 s8, 0
	s_mov_b64 s[6:7], -1
	s_cbranch_scc0 .LBB433_800
; %bb.799:
	s_mov_b64 s[6:7], 0
	global_store_byte v[0:1], v4, off
.LBB433_800:
	s_andn2_b64 vcc, exec, s[6:7]
	s_cbranch_vccnz .LBB433_802
; %bb.801:
	global_store_byte v[0:1], v4, off
.LBB433_802:
	s_mov_b64 s[6:7], -1
.LBB433_803:
	s_andn2_b64 vcc, exec, s[6:7]
	s_cbranch_vccnz .LBB433_805
; %bb.804:
	v_add_u32_e32 v8, 0x80, v8
	s_mov_b64 s[6:7], -1
	s_branch .LBB433_807
.LBB433_805:
	s_mov_b64 s[6:7], 0
.LBB433_806:
                                        ; implicit-def: $vgpr8
.LBB433_807:
	s_andn2_b64 s[8:9], s[62:63], exec
	s_and_b64 s[2:3], s[2:3], exec
	s_or_b64 s[68:69], s[8:9], s[2:3]
	s_andn2_b64 s[2:3], s[60:61], exec
	s_and_b64 s[4:5], s[4:5], exec
	s_or_b64 s[2:3], s[2:3], s[4:5]
	s_orn2_b64 s[6:7], s[6:7], exec
.LBB433_808:
	s_or_b64 exec, exec, s[66:67]
	s_mov_b64 s[4:5], 0
	s_mov_b64 s[10:11], 0
	;; [unrolled: 1-line block ×3, first 2 shown]
                                        ; implicit-def: $sgpr14
                                        ; implicit-def: $vgpr2_vgpr3
                                        ; implicit-def: $vgpr0
                                        ; implicit-def: $vgpr4
	s_and_saveexec_b64 s[66:67], s[6:7]
	s_cbranch_execz .LBB433_904
; %bb.809:
	v_cmp_gt_i32_e32 vcc, s70, v8
	s_mov_b64 s[6:7], 0
	s_mov_b64 s[12:13], s[2:3]
                                        ; implicit-def: $sgpr14
                                        ; implicit-def: $vgpr2_vgpr3
                                        ; implicit-def: $vgpr0
                                        ; implicit-def: $vgpr4
	s_and_saveexec_b64 s[70:71], vcc
	s_cbranch_execz .LBB433_903
; %bb.810:
	s_andn2_b64 vcc, exec, s[42:43]
	s_cbranch_vccnz .LBB433_816
; %bb.811:
	s_andn2_b64 vcc, exec, s[52:53]
	s_cbranch_vccnz .LBB433_817
; %bb.812:
	s_add_i32 s77, s76, 1
	s_cmp_eq_u32 s72, 2
	s_cbranch_scc1 .LBB433_818
; %bb.813:
	s_and_b32 s76, s77, 28
	s_mov_b32 s78, 0
	v_mov_b32_e32 v0, 0
	v_mov_b32_e32 v2, 0
	s_mov_b64 s[52:53], s[34:35]
	s_waitcnt vmcnt(0)
	v_mov_b32_e32 v4, v8
.LBB433_814:                            ; =>This Inner Loop Header: Depth=1
	s_load_dwordx8 s[12:19], s[52:53], 0x4
	s_load_dwordx4 s[36:39], s[52:53], 0x24
	s_load_dwordx8 s[4:11], s[50:51], 0x0
	s_add_u32 s52, s52, 48
	s_addc_u32 s53, s53, 0
	s_waitcnt lgkmcnt(0)
	v_mul_hi_u32 v1, s13, v4
	v_add_u32_e32 v1, v4, v1
	v_lshrrev_b32_e32 v1, s14, v1
	v_mul_lo_u32 v3, v1, s12
	v_mul_hi_u32 v5, s16, v1
	v_sub_u32_e32 v3, v4, v3
	v_add_u32_e32 v4, v1, v5
	v_lshrrev_b32_e32 v4, s17, v4
	v_mul_lo_u32 v6, v4, s15
	v_mul_hi_u32 v7, s19, v4
	v_sub_u32_e32 v1, v1, v6
	v_add_u32_e32 v6, v4, v7
	v_mul_lo_u32 v5, v3, s5
	v_mul_lo_u32 v3, v3, s4
	;; [unrolled: 1-line block ×4, first 2 shown]
	v_lshrrev_b32_e32 v6, s36, v6
	v_add3_u32 v0, v3, v0, v1
	v_mul_hi_u32 v3, s38, v6
	v_add3_u32 v1, v5, v2, v7
	v_mul_lo_u32 v2, v6, s18
	v_add_u32_e32 v3, v6, v3
	v_sub_u32_e32 v2, v4, v2
	v_lshrrev_b32_e32 v4, s39, v3
	s_add_i32 s78, s78, 4
	v_mul_lo_u32 v3, v4, s37
	s_add_u32 s50, s50, 32
	v_sub_u32_e32 v3, v6, v3
	s_addc_u32 s51, s51, 0
	v_mul_lo_u32 v5, v2, s8
	v_mul_lo_u32 v2, v2, s9
	;; [unrolled: 1-line block ×4, first 2 shown]
	s_cmp_eq_u32 s76, s78
	v_add3_u32 v2, v2, v1, v3
	v_add3_u32 v0, v5, v0, v6
	s_cbranch_scc0 .LBB433_814
; %bb.815:
	v_mov_b32_e32 v1, v2
	s_branch .LBB433_819
.LBB433_816:
	s_mov_b64 s[4:5], -1
                                        ; implicit-def: $vgpr2
                                        ; implicit-def: $vgpr0
	s_branch .LBB433_823
.LBB433_817:
	v_mov_b32_e32 v2, 0
	v_mov_b32_e32 v0, 0
	s_branch .LBB433_822
.LBB433_818:
	v_mov_b32_e32 v0, 0
	s_mov_b32 s76, 0
	v_mov_b32_e32 v1, v0
                                        ; implicit-def: $vgpr2
	s_waitcnt vmcnt(0)
	v_mov_b32_e32 v4, v8
.LBB433_819:
	s_and_b32 s8, s77, 3
	s_cmp_eq_u32 s8, 0
	s_cbranch_scc1 .LBB433_822
; %bb.820:
	s_lshl_b32 s4, s76, 3
	s_add_u32 s4, s34, s4
	s_addc_u32 s5, s35, 0
	s_add_u32 s4, s4, 0xc4
	s_addc_u32 s5, s5, 0
	s_mul_i32 s6, s76, 12
	s_add_u32 s6, s34, s6
	s_addc_u32 s7, s35, 0
.LBB433_821:                            ; =>This Inner Loop Header: Depth=1
	s_load_dwordx2 s[10:11], s[6:7], 0x4
	s_load_dword s9, s[6:7], 0xc
	s_load_dwordx2 s[12:13], s[4:5], 0x0
	v_mov_b32_e32 v2, v1
	s_add_u32 s6, s6, 12
	s_waitcnt lgkmcnt(0)
	v_mul_hi_u32 v1, s11, v4
	v_add_u32_e32 v1, v4, v1
	v_lshrrev_b32_e32 v1, s9, v1
	s_addc_u32 s7, s7, 0
	v_mul_lo_u32 v3, v1, s10
	s_add_u32 s4, s4, 8
	v_sub_u32_e32 v5, v4, v3
	s_addc_u32 s5, s5, 0
	s_add_i32 s8, s8, -1
	v_mov_b32_e32 v4, v1
	v_mad_u64_u32 v[2:3], s[10:11], v5, s13, v[2:3]
	v_mad_u64_u32 v[0:1], s[10:11], v5, s12, v[0:1]
	s_cmp_lg_u32 s8, 0
	v_mov_b32_e32 v1, v2
	s_cbranch_scc1 .LBB433_821
.LBB433_822:
	s_mov_b64 s[4:5], 0
.LBB433_823:
	s_andn2_b64 vcc, exec, s[4:5]
	s_cbranch_vccnz .LBB433_826
; %bb.824:
	v_mul_hi_u32 v0, s25, v8
	v_add_u32_e32 v0, v8, v0
	v_lshrrev_b32_e32 v1, s26, v0
	v_mul_lo_u32 v0, v1, s24
	v_sub_u32_e32 v0, v8, v0
	v_mul_lo_u32 v2, v0, s29
	s_andn2_b64 vcc, exec, s[48:49]
	v_mul_lo_u32 v0, v0, s28
	s_cbranch_vccnz .LBB433_826
; %bb.825:
	v_mul_hi_u32 v3, s46, v1
	v_add_u32_e32 v3, v1, v3
	v_lshrrev_b32_e32 v3, s47, v3
	v_mul_lo_u32 v3, v3, s27
	v_sub_u32_e32 v3, v1, v3
	v_mad_u64_u32 v[0:1], s[4:5], v3, s30, v[0:1]
	v_mad_u64_u32 v[2:3], s[4:5], v3, s31, v[2:3]
.LBB433_826:
	v_mov_b32_e32 v3, 0
	s_and_b32 s14, s75, 0xff
	s_cmp_lt_i32 s14, 11
	v_lshl_add_u64 v[2:3], s[22:23], 0, v[2:3]
	s_cbranch_scc1 .LBB433_833
; %bb.827:
	s_and_b32 s12, 0xffff, s14
	s_cmp_gt_i32 s12, 25
	s_mov_b64 s[6:7], 0
	s_cbranch_scc0 .LBB433_834
; %bb.828:
	s_cmp_gt_i32 s12, 28
	s_cbranch_scc0 .LBB433_835
; %bb.829:
	s_cmp_gt_i32 s12, 43
	;; [unrolled: 3-line block ×3, first 2 shown]
	s_cbranch_scc0 .LBB433_839
; %bb.831:
	s_cmp_eq_u32 s12, 46
	s_mov_b64 s[10:11], 0
	s_cbranch_scc0 .LBB433_842
; %bb.832:
	global_load_dword v1, v[2:3], off
	s_mov_b64 s[4:5], 0
	s_mov_b64 s[8:9], -1
	s_waitcnt vmcnt(0)
	v_lshlrev_b32_e32 v1, 16, v1
	v_cvt_i32_f32_e32 v4, v1
	s_branch .LBB433_843
.LBB433_833:
	s_mov_b64 s[10:11], -1
	s_mov_b64 s[8:9], 0
	s_mov_b64 s[6:7], 0
	;; [unrolled: 1-line block ×3, first 2 shown]
                                        ; implicit-def: $vgpr4
	s_branch .LBB433_902
.LBB433_834:
	s_mov_b64 s[10:11], -1
	s_mov_b64 s[8:9], 0
	s_mov_b64 s[4:5], s[2:3]
                                        ; implicit-def: $vgpr4
	s_branch .LBB433_870
.LBB433_835:
	s_mov_b64 s[10:11], -1
	s_mov_b64 s[8:9], 0
	s_mov_b64 s[4:5], s[2:3]
                                        ; implicit-def: $vgpr4
	s_branch .LBB433_853
.LBB433_836:
	s_mov_b64 s[10:11], -1
	s_mov_b64 s[8:9], 0
	s_mov_b64 s[4:5], s[2:3]
                                        ; implicit-def: $vgpr4
	s_branch .LBB433_848
.LBB433_837:
	s_andn2_saveexec_b64 s[10:11], s[10:11]
	s_cbranch_execz .LBB433_716
.LBB433_838:
	s_mov_b32 s14, 0x46000000
	v_add_f32_e64 v3, |v2|, s14
	v_and_b32_e32 v3, 0xff, v3
	v_cmp_ne_u32_e32 vcc, 0, v3
	s_andn2_b64 s[8:9], s[8:9], exec
	s_and_b64 s[14:15], vcc, exec
	s_or_b64 s[8:9], s[8:9], s[14:15]
	s_or_b64 exec, exec, s[10:11]
	v_mov_b32_e32 v5, 0
	s_and_saveexec_b64 s[10:11], s[8:9]
	s_cbranch_execnz .LBB433_717
	s_branch .LBB433_718
.LBB433_839:
	s_mov_b64 s[10:11], -1
	s_mov_b64 s[8:9], 0
	s_mov_b64 s[4:5], s[2:3]
                                        ; implicit-def: $vgpr4
	s_branch .LBB433_843
.LBB433_840:
	s_andn2_saveexec_b64 s[10:11], s[10:11]
	s_cbranch_execz .LBB433_729
.LBB433_841:
	s_mov_b32 s14, 0x42800000
	v_add_f32_e64 v3, |v2|, s14
	v_and_b32_e32 v3, 0xff, v3
	v_cmp_ne_u32_e32 vcc, 0, v3
	s_andn2_b64 s[8:9], s[8:9], exec
	s_and_b64 s[14:15], vcc, exec
	s_or_b64 s[8:9], s[8:9], s[14:15]
	s_or_b64 exec, exec, s[10:11]
	v_mov_b32_e32 v5, 0
	s_and_saveexec_b64 s[10:11], s[8:9]
	s_cbranch_execnz .LBB433_730
	s_branch .LBB433_731
.LBB433_842:
	s_mov_b64 s[4:5], -1
                                        ; implicit-def: $vgpr4
	s_mov_b64 s[8:9], 0
.LBB433_843:
	s_and_b64 vcc, exec, s[10:11]
	s_cbranch_vccz .LBB433_847
; %bb.844:
	s_cmp_eq_u32 s12, 44
	s_cbranch_scc0 .LBB433_846
; %bb.845:
	global_load_ubyte v1, v[2:3], off
	s_mov_b64 s[4:5], 0
	s_mov_b64 s[8:9], -1
	s_waitcnt vmcnt(0)
	v_lshlrev_b32_e32 v4, 23, v1
	v_cvt_i32_f32_e32 v4, v4
	v_cmp_ne_u32_e32 vcc, 0, v1
	s_nop 1
	v_cndmask_b32_e32 v4, 0, v4, vcc
	s_branch .LBB433_847
.LBB433_846:
	s_mov_b64 s[4:5], -1
                                        ; implicit-def: $vgpr4
.LBB433_847:
	s_mov_b64 s[10:11], 0
.LBB433_848:
	s_and_b64 vcc, exec, s[10:11]
	s_cbranch_vccz .LBB433_852
; %bb.849:
	s_cmp_eq_u32 s12, 29
	s_cbranch_scc0 .LBB433_851
; %bb.850:
	global_load_dwordx2 v[4:5], v[2:3], off
	s_mov_b64 s[4:5], 0
	s_mov_b64 s[8:9], -1
	s_branch .LBB433_852
.LBB433_851:
	s_mov_b64 s[4:5], -1
                                        ; implicit-def: $vgpr4
.LBB433_852:
	s_mov_b64 s[10:11], 0
.LBB433_853:
	s_and_b64 vcc, exec, s[10:11]
	s_cbranch_vccz .LBB433_869
; %bb.854:
	s_cmp_lt_i32 s12, 27
	s_cbranch_scc1 .LBB433_857
; %bb.855:
	s_cmp_gt_i32 s12, 27
	s_cbranch_scc0 .LBB433_858
; %bb.856:
	global_load_dword v4, v[2:3], off
	s_mov_b64 s[8:9], 0
	s_branch .LBB433_859
.LBB433_857:
	s_mov_b64 s[8:9], -1
                                        ; implicit-def: $vgpr4
	s_branch .LBB433_862
.LBB433_858:
	s_mov_b64 s[8:9], -1
                                        ; implicit-def: $vgpr4
.LBB433_859:
	s_andn2_b64 vcc, exec, s[8:9]
	s_cbranch_vccnz .LBB433_861
; %bb.860:
	global_load_ushort v4, v[2:3], off
.LBB433_861:
	s_mov_b64 s[8:9], 0
.LBB433_862:
	s_andn2_b64 vcc, exec, s[8:9]
	s_cbranch_vccnz .LBB433_868
; %bb.863:
	global_load_ubyte v1, v[2:3], off
	s_movk_i32 s8, 0x7f
	s_mov_b64 s[10:11], 0
	s_waitcnt vmcnt(0)
	v_cmp_lt_i16_e32 vcc, s8, v1
	s_and_saveexec_b64 s[8:9], vcc
	s_xor_b64 s[8:9], exec, s[8:9]
	s_cbranch_execz .LBB433_880
; %bb.864:
	s_movk_i32 s10, 0x80
	v_cmp_ne_u16_e32 vcc, s10, v1
	s_and_b64 s[10:11], vcc, exec
	s_andn2_saveexec_b64 s[8:9], s[8:9]
	s_cbranch_execnz .LBB433_881
.LBB433_865:
	s_or_b64 exec, exec, s[8:9]
	v_mov_b32_e32 v4, 0
	s_and_saveexec_b64 s[8:9], s[10:11]
	s_cbranch_execz .LBB433_867
.LBB433_866:
	v_lshlrev_b32_e32 v4, 24, v1
	v_and_b32_e32 v1, 0xffff, v1
	v_and_b32_e32 v5, 7, v1
	v_ffbh_u32_e32 v7, v5
	v_min_u32_e32 v7, 32, v7
	v_subrev_u32_e32 v8, 28, v7
	v_bfe_u32 v6, v1, 3, 4
	v_lshlrev_b32_e32 v1, v8, v1
	v_sub_u32_e32 v7, 29, v7
	v_and_b32_e32 v1, 7, v1
	v_cmp_eq_u32_e32 vcc, 0, v6
	v_and_b32_e32 v4, 0x80000000, v4
	s_nop 0
	v_cndmask_b32_e32 v6, v6, v7, vcc
	v_cndmask_b32_e32 v1, v5, v1, vcc
	v_mov_b32_e32 v5, 0x3b800000
	v_lshlrev_b32_e32 v1, 20, v1
	v_lshl_add_u32 v5, v6, 23, v5
	v_or3_b32 v1, v4, v5, v1
	v_cvt_i32_f32_e32 v4, v1
.LBB433_867:
	s_or_b64 exec, exec, s[8:9]
.LBB433_868:
	s_mov_b64 s[8:9], -1
.LBB433_869:
	s_mov_b64 s[10:11], 0
.LBB433_870:
	s_and_b64 vcc, exec, s[10:11]
	s_cbranch_vccz .LBB433_901
; %bb.871:
	s_cmp_gt_i32 s12, 22
	s_cbranch_scc0 .LBB433_879
; %bb.872:
	s_cmp_lt_i32 s12, 24
	s_cbranch_scc1 .LBB433_882
; %bb.873:
	s_cmp_gt_i32 s12, 24
	s_cbranch_scc0 .LBB433_883
; %bb.874:
	global_load_ubyte v1, v[2:3], off
	s_movk_i32 s6, 0x7f
	s_mov_b64 s[8:9], 0
	s_waitcnt vmcnt(0)
	v_cmp_lt_i16_e32 vcc, s6, v1
	s_and_saveexec_b64 s[6:7], vcc
	s_xor_b64 s[6:7], exec, s[6:7]
	s_cbranch_execz .LBB433_895
; %bb.875:
	s_movk_i32 s8, 0x80
	v_cmp_ne_u16_e32 vcc, s8, v1
	s_and_b64 s[8:9], vcc, exec
	s_andn2_saveexec_b64 s[6:7], s[6:7]
	s_cbranch_execnz .LBB433_896
.LBB433_876:
	s_or_b64 exec, exec, s[6:7]
	v_mov_b32_e32 v4, 0
	s_and_saveexec_b64 s[6:7], s[8:9]
	s_cbranch_execz .LBB433_878
.LBB433_877:
	v_lshlrev_b32_e32 v4, 24, v1
	v_and_b32_e32 v1, 0xffff, v1
	v_and_b32_e32 v5, 3, v1
	v_ffbh_u32_e32 v7, v5
	v_min_u32_e32 v7, 32, v7
	v_subrev_u32_e32 v8, 29, v7
	v_bfe_u32 v6, v1, 2, 5
	v_lshlrev_b32_e32 v1, v8, v1
	v_sub_u32_e32 v7, 30, v7
	v_and_b32_e32 v1, 3, v1
	v_cmp_eq_u32_e32 vcc, 0, v6
	v_and_b32_e32 v4, 0x80000000, v4
	s_nop 0
	v_cndmask_b32_e32 v6, v6, v7, vcc
	v_cndmask_b32_e32 v1, v5, v1, vcc
	v_mov_b32_e32 v5, 0x37800000
	v_lshlrev_b32_e32 v1, 21, v1
	v_lshl_add_u32 v5, v6, 23, v5
	v_or3_b32 v1, v4, v5, v1
	v_cvt_i32_f32_e32 v4, v1
.LBB433_878:
	s_or_b64 exec, exec, s[6:7]
	s_mov_b64 s[6:7], 0
	s_branch .LBB433_884
.LBB433_879:
	s_mov_b64 s[6:7], -1
                                        ; implicit-def: $vgpr4
	s_branch .LBB433_890
.LBB433_880:
	s_andn2_saveexec_b64 s[8:9], s[8:9]
	s_cbranch_execz .LBB433_865
.LBB433_881:
	v_cmp_ne_u16_e32 vcc, 0, v1
	s_andn2_b64 s[10:11], s[10:11], exec
	s_and_b64 s[16:17], vcc, exec
	s_or_b64 s[10:11], s[10:11], s[16:17]
	s_or_b64 exec, exec, s[8:9]
	v_mov_b32_e32 v4, 0
	s_and_saveexec_b64 s[8:9], s[10:11]
	s_cbranch_execnz .LBB433_866
	s_branch .LBB433_867
.LBB433_882:
	s_mov_b64 s[6:7], -1
                                        ; implicit-def: $vgpr4
	s_branch .LBB433_887
.LBB433_883:
	s_mov_b64 s[6:7], -1
                                        ; implicit-def: $vgpr4
.LBB433_884:
	s_and_b64 vcc, exec, s[6:7]
	s_cbranch_vccz .LBB433_886
; %bb.885:
	global_load_ubyte v1, v[2:3], off
	s_mov_b32 s6, 0x7f800000
	s_waitcnt vmcnt(0)
	v_lshlrev_b32_e32 v1, 24, v1
	v_and_b32_e32 v4, 0x7f000000, v1
	v_ffbh_u32_e32 v5, v4
	v_min_u32_e32 v5, 32, v5
	v_sub_u32_e64 v5, v5, 4 clamp
	v_lshlrev_b32_e32 v7, v5, v4
	v_lshlrev_b32_e32 v5, 23, v5
	v_lshrrev_b32_e32 v7, 4, v7
	v_add_u32_e32 v6, 0x1000000, v4
	v_sub_u32_e32 v5, v7, v5
	v_ashrrev_i32_e32 v6, 8, v6
	v_add_u32_e32 v5, 0x3c000000, v5
	v_and_or_b32 v5, v6, s6, v5
	v_cmp_ne_u32_e32 vcc, 0, v4
	s_brev_b32 s6, 1
	s_nop 0
	v_cndmask_b32_e32 v4, 0, v5, vcc
	v_and_or_b32 v1, v1, s6, v4
	v_cvt_i32_f32_e32 v4, v1
.LBB433_886:
	s_mov_b64 s[6:7], 0
.LBB433_887:
	s_andn2_b64 vcc, exec, s[6:7]
	s_cbranch_vccnz .LBB433_889
; %bb.888:
	global_load_ubyte v1, v[2:3], off
	s_movk_i32 s6, 0x7f00
	s_brev_b32 s7, 16
	s_waitcnt vmcnt(0)
	v_lshlrev_b16_e32 v4, 8, v1
	v_lshlrev_b32_e32 v1, 25, v1
	v_lshrrev_b32_e32 v5, 4, v1
	v_and_or_b32 v6, v4, s6, 0.5
	v_or_b32_e32 v5, 0x70000000, v5
	v_add_f32_e32 v6, -0.5, v6
	v_mul_f32_e32 v5, 0x7800000, v5
	v_cmp_gt_u32_e32 vcc, s7, v1
	v_bfe_i32 v4, v4, 0, 16
	s_brev_b32 s6, 1
	v_cndmask_b32_e32 v1, v5, v6, vcc
	v_and_or_b32 v1, v4, s6, v1
	v_cvt_i32_f32_e32 v4, v1
.LBB433_889:
	s_mov_b64 s[6:7], 0
	s_mov_b64 s[8:9], -1
.LBB433_890:
	s_andn2_b64 vcc, exec, s[6:7]
	s_mov_b64 s[6:7], 0
	s_cbranch_vccnz .LBB433_901
; %bb.891:
	s_cmp_gt_i32 s12, 14
	s_cbranch_scc0 .LBB433_894
; %bb.892:
	s_cmp_eq_u32 s12, 15
	s_cbranch_scc0 .LBB433_897
; %bb.893:
	global_load_ushort v1, v[2:3], off
	s_mov_b64 s[4:5], 0
	s_mov_b64 s[8:9], -1
	s_waitcnt vmcnt(0)
	v_lshlrev_b32_e32 v1, 16, v1
	v_cvt_i32_f32_e32 v4, v1
	s_branch .LBB433_898
.LBB433_894:
	s_mov_b64 s[10:11], -1
                                        ; implicit-def: $vgpr4
	s_branch .LBB433_899
.LBB433_895:
	s_andn2_saveexec_b64 s[6:7], s[6:7]
	s_cbranch_execz .LBB433_876
.LBB433_896:
	v_cmp_ne_u16_e32 vcc, 0, v1
	s_andn2_b64 s[8:9], s[8:9], exec
	s_and_b64 s[10:11], vcc, exec
	s_or_b64 s[8:9], s[8:9], s[10:11]
	s_or_b64 exec, exec, s[6:7]
	v_mov_b32_e32 v4, 0
	s_and_saveexec_b64 s[6:7], s[8:9]
	s_cbranch_execnz .LBB433_877
	s_branch .LBB433_878
.LBB433_897:
	s_mov_b64 s[4:5], -1
                                        ; implicit-def: $vgpr4
.LBB433_898:
	s_mov_b64 s[10:11], 0
.LBB433_899:
	s_and_b64 vcc, exec, s[10:11]
	s_cbranch_vccz .LBB433_901
; %bb.900:
	s_cmp_lg_u32 s12, 11
	s_cselect_b64 s[10:11], -1, 0
	s_andn2_b64 s[4:5], s[4:5], exec
	s_and_b64 s[10:11], s[10:11], exec
	s_mov_b64 s[6:7], -1
	s_or_b64 s[4:5], s[4:5], s[10:11]
.LBB433_901:
	s_mov_b64 s[10:11], 0
.LBB433_902:
	s_andn2_b64 s[12:13], s[2:3], exec
	s_and_b64 s[4:5], s[4:5], exec
	s_and_b64 s[8:9], s[8:9], exec
	s_and_b64 s[10:11], s[10:11], exec
	s_and_b64 s[6:7], s[6:7], exec
	s_or_b64 s[12:13], s[12:13], s[4:5]
.LBB433_903:
	s_or_b64 exec, exec, s[70:71]
	s_and_b64 s[4:5], s[6:7], exec
	s_andn2_b64 s[2:3], s[2:3], exec
	s_and_b64 s[6:7], s[12:13], exec
	s_and_b64 s[8:9], s[8:9], exec
	;; [unrolled: 1-line block ×3, first 2 shown]
	s_or_b64 s[2:3], s[2:3], s[6:7]
.LBB433_904:
	s_or_b64 exec, exec, s[66:67]
	s_andn2_b64 s[6:7], s[62:63], exec
	s_and_b64 s[12:13], s[68:69], exec
	s_or_b64 s[62:63], s[6:7], s[12:13]
	s_and_b64 s[6:7], s[10:11], exec
	s_andn2_b64 s[10:11], s[60:61], exec
	s_and_b64 s[2:3], s[2:3], exec
	s_and_b64 s[8:9], s[8:9], exec
	;; [unrolled: 1-line block ×3, first 2 shown]
	s_or_b64 s[60:61], s[10:11], s[2:3]
.LBB433_905:
	s_or_b64 exec, exec, s[64:65]
	s_andn2_b64 s[2:3], s[54:55], exec
	s_and_b64 s[10:11], s[62:63], exec
	s_or_b64 s[54:55], s[2:3], s[10:11]
	s_and_b64 s[2:3], s[8:9], exec
	s_and_b64 s[8:9], s[6:7], exec
	;; [unrolled: 1-line block ×3, first 2 shown]
	s_andn2_b64 s[4:5], s[56:57], exec
	s_and_b64 s[6:7], s[60:61], exec
	s_or_b64 s[56:57], s[4:5], s[6:7]
	s_or_b64 exec, exec, s[58:59]
	s_mov_b64 s[4:5], 0
	s_and_saveexec_b64 s[6:7], s[56:57]
	s_cbranch_execz .LBB433_272
.LBB433_906:
	s_mov_b64 s[4:5], exec
	s_andn2_b64 s[62:63], s[62:63], exec
	s_trap 2
	s_or_b64 exec, exec, s[6:7]
	s_and_saveexec_b64 s[6:7], s[62:63]
	s_xor_b64 s[6:7], exec, s[6:7]
	s_cbranch_execnz .LBB433_273
.LBB433_907:
	s_or_b64 exec, exec, s[6:7]
	s_and_saveexec_b64 s[6:7], s[8:9]
	s_cbranch_execz .LBB433_953
.LBB433_908:
	s_sext_i32_i16 s8, s14
	s_cmp_lt_i32 s8, 5
	s_cbranch_scc1 .LBB433_913
; %bb.909:
	s_cmp_lt_i32 s8, 8
	s_cbranch_scc1 .LBB433_914
; %bb.910:
	;; [unrolled: 3-line block ×3, first 2 shown]
	s_cmp_gt_i32 s8, 9
	s_cbranch_scc0 .LBB433_916
; %bb.912:
	global_load_dwordx2 v[4:5], v[2:3], off
	s_mov_b64 s[8:9], 0
	s_waitcnt vmcnt(0)
	v_cvt_i32_f64_e32 v4, v[4:5]
	s_branch .LBB433_917
.LBB433_913:
                                        ; implicit-def: $vgpr4
	s_branch .LBB433_934
.LBB433_914:
                                        ; implicit-def: $vgpr4
	s_branch .LBB433_923
.LBB433_915:
	s_mov_b64 s[8:9], -1
                                        ; implicit-def: $vgpr4
	s_branch .LBB433_920
.LBB433_916:
	s_mov_b64 s[8:9], -1
                                        ; implicit-def: $vgpr4
.LBB433_917:
	s_andn2_b64 vcc, exec, s[8:9]
	s_cbranch_vccnz .LBB433_919
; %bb.918:
	global_load_dword v1, v[2:3], off
	s_waitcnt vmcnt(0)
	v_cvt_i32_f32_e32 v4, v1
.LBB433_919:
	s_mov_b64 s[8:9], 0
.LBB433_920:
	s_andn2_b64 vcc, exec, s[8:9]
	s_cbranch_vccnz .LBB433_922
; %bb.921:
	global_load_dword v1, v[2:3], off
	s_waitcnt vmcnt(0)
	v_cvt_i16_f16_e32 v4, v1
.LBB433_922:
	s_cbranch_execnz .LBB433_933
.LBB433_923:
	s_sext_i32_i16 s8, s14
	s_cmp_lt_i32 s8, 6
	s_cbranch_scc1 .LBB433_926
; %bb.924:
	s_cmp_gt_i32 s8, 6
	s_cbranch_scc0 .LBB433_927
; %bb.925:
	global_load_dwordx2 v[4:5], v[2:3], off
	s_mov_b64 s[8:9], 0
	s_waitcnt vmcnt(0)
	v_cvt_i32_f64_e32 v4, v[4:5]
	s_branch .LBB433_928
.LBB433_926:
	s_mov_b64 s[8:9], -1
                                        ; implicit-def: $vgpr4
	s_branch .LBB433_931
.LBB433_927:
	s_mov_b64 s[8:9], -1
                                        ; implicit-def: $vgpr4
.LBB433_928:
	s_andn2_b64 vcc, exec, s[8:9]
	s_cbranch_vccnz .LBB433_930
; %bb.929:
	global_load_dword v1, v[2:3], off
	s_waitcnt vmcnt(0)
	v_cvt_i32_f32_e32 v4, v1
.LBB433_930:
	s_mov_b64 s[8:9], 0
.LBB433_931:
	s_andn2_b64 vcc, exec, s[8:9]
	s_cbranch_vccnz .LBB433_933
; %bb.932:
	global_load_ushort v1, v[2:3], off
	s_waitcnt vmcnt(0)
	v_cvt_i16_f16_e32 v4, v1
.LBB433_933:
	s_cbranch_execnz .LBB433_952
.LBB433_934:
	s_sext_i32_i16 s8, s14
	s_cmp_lt_i32 s8, 2
	s_cbranch_scc1 .LBB433_938
; %bb.935:
	s_cmp_lt_i32 s8, 3
	s_cbranch_scc1 .LBB433_939
; %bb.936:
	s_cmp_gt_i32 s8, 3
	s_cbranch_scc0 .LBB433_940
; %bb.937:
	global_load_dwordx2 v[4:5], v[2:3], off
	s_mov_b64 s[8:9], 0
	s_branch .LBB433_941
.LBB433_938:
                                        ; implicit-def: $vgpr4
	s_branch .LBB433_947
.LBB433_939:
	s_mov_b64 s[8:9], -1
                                        ; implicit-def: $vgpr4
	s_branch .LBB433_944
.LBB433_940:
	s_mov_b64 s[8:9], -1
                                        ; implicit-def: $vgpr4
.LBB433_941:
	s_andn2_b64 vcc, exec, s[8:9]
	s_cbranch_vccnz .LBB433_943
; %bb.942:
	global_load_dword v4, v[2:3], off
.LBB433_943:
	s_mov_b64 s[8:9], 0
.LBB433_944:
	s_andn2_b64 vcc, exec, s[8:9]
	s_cbranch_vccnz .LBB433_946
; %bb.945:
	global_load_ushort v4, v[2:3], off
.LBB433_946:
	s_cbranch_execnz .LBB433_952
.LBB433_947:
	s_sext_i32_i16 s8, s14
	s_cmp_gt_i32 s8, 0
	s_cbranch_scc0 .LBB433_949
; %bb.948:
	global_load_ubyte v4, v[2:3], off
	s_mov_b64 s[8:9], 0
	s_branch .LBB433_950
.LBB433_949:
	s_mov_b64 s[8:9], -1
                                        ; implicit-def: $vgpr4
.LBB433_950:
	s_andn2_b64 vcc, exec, s[8:9]
	s_cbranch_vccnz .LBB433_952
; %bb.951:
	global_load_ubyte v4, v[2:3], off
.LBB433_952:
	s_or_b64 s[2:3], s[2:3], exec
.LBB433_953:
	s_or_b64 exec, exec, s[6:7]
	s_mov_b64 s[10:11], 0
	s_mov_b64 s[8:9], 0
                                        ; implicit-def: $sgpr16
                                        ; implicit-def: $vgpr2_vgpr3
                                        ; implicit-def: $vgpr5
	s_and_saveexec_b64 s[6:7], s[2:3]
	s_cbranch_execz .LBB433_961
; %bb.954:
	s_bfe_i32 s2, s74, 0x80000
	v_mov_b32_e32 v1, 0
	s_and_b32 s16, s73, 0xff
	s_waitcnt vmcnt(0)
	v_min_i16_sdwa v5, sext(v4), s2 dst_sel:DWORD dst_unused:UNUSED_PAD src0_sel:BYTE_0 src1_sel:DWORD
	s_cmp_lt_i32 s16, 11
	v_lshl_add_u64 v[2:3], s[20:21], 0, v[0:1]
	s_cbranch_scc1 .LBB433_964
; %bb.955:
	s_and_b32 s17, 0xffff, s16
	s_mov_b64 s[10:11], -1
	s_cmp_gt_i32 s17, 25
	s_mov_b64 s[2:3], s[54:55]
	s_cbranch_scc0 .LBB433_992
; %bb.956:
	s_mov_b64 s[8:9], -1
	s_cmp_gt_i32 s17, 28
	s_mov_b64 s[2:3], s[54:55]
	s_cbranch_scc0 .LBB433_976
; %bb.957:
	s_cmp_gt_i32 s17, 43
	s_mov_b64 s[2:3], s[54:55]
	s_cbranch_scc0 .LBB433_972
; %bb.958:
	s_cmp_gt_i32 s17, 45
	s_mov_b64 s[2:3], s[54:55]
	s_cbranch_scc0 .LBB433_966
; %bb.959:
	s_cmp_eq_u32 s17, 46
	s_mov_b64 s[2:3], -1
	s_cbranch_scc0 .LBB433_965
; %bb.960:
	v_cvt_f32_i32_sdwa v0, sext(v5) dst_sel:DWORD dst_unused:UNUSED_PAD src0_sel:WORD_0
	s_movk_i32 s2, 0x7fff
	s_mov_b64 s[8:9], 0
	v_bfe_u32 v1, v0, 16, 1
	v_add3_u32 v0, v0, v1, s2
	v_lshrrev_b32_e32 v0, 16, v0
	global_store_dword v[2:3], v0, off
	s_mov_b64 s[2:3], 0
	s_branch .LBB433_966
.LBB433_961:
	s_or_b64 exec, exec, s[6:7]
	s_and_saveexec_b64 s[2:3], s[54:55]
	s_cbranch_execnz .LBB433_1034
.LBB433_962:
	s_or_b64 exec, exec, s[2:3]
	s_and_saveexec_b64 s[2:3], s[10:11]
	s_xor_b64 s[2:3], exec, s[2:3]
	s_cbranch_execz .LBB433_1035
.LBB433_963:
	v_mov_b32_e32 v0, 0
	s_waitcnt vmcnt(0)
	v_cmp_ne_u16_sdwa s[6:7], v5, v0 src0_sel:BYTE_0 src1_sel:DWORD
	s_nop 1
	v_cndmask_b32_e64 v0, 0, 1, s[6:7]
	global_store_byte v[2:3], v0, off
	s_or_b64 exec, exec, s[2:3]
	s_and_saveexec_b64 s[2:3], s[8:9]
	s_xor_b64 s[2:3], exec, s[2:3]
	s_cbranch_execz .LBB433_1073
	s_branch .LBB433_1036
.LBB433_964:
	s_mov_b64 s[8:9], -1
	s_mov_b64 s[2:3], s[54:55]
	s_branch .LBB433_1033
.LBB433_965:
	s_mov_b64 s[8:9], 0
.LBB433_966:
	s_and_b64 vcc, exec, s[8:9]
	s_cbranch_vccz .LBB433_971
; %bb.967:
	s_cmp_eq_u32 s17, 44
	s_mov_b64 s[2:3], -1
	s_cbranch_scc0 .LBB433_971
; %bb.968:
	v_cvt_f32_i32_sdwa v0, sext(v5) dst_sel:DWORD dst_unused:UNUSED_PAD src0_sel:WORD_0
	s_movk_i32 s2, 0xff
	v_mov_b32_e32 v4, 0xff
	v_bfe_u32 v1, v0, 23, 8
	v_cmp_ne_u32_e32 vcc, s2, v1
	s_and_saveexec_b64 s[8:9], vcc
; %bb.969:
	s_mov_b32 s2, 0x3fffff
	v_lshrrev_b32_e32 v4, 23, v0
	v_and_b32_e32 v6, 0x400000, v0
	v_and_or_b32 v0, v0, s2, v1
	v_cmp_ne_u32_e32 vcc, 0, v6
	v_cmp_ne_u32_e64 s[2:3], 0, v0
	s_and_b64 s[2:3], vcc, s[2:3]
	s_nop 0
	v_cndmask_b32_e64 v0, 0, 1, s[2:3]
	v_add_u32_e32 v4, v4, v0
; %bb.970:
	s_or_b64 exec, exec, s[8:9]
	s_mov_b64 s[2:3], 0
	global_store_byte v[2:3], v4, off
.LBB433_971:
	s_mov_b64 s[8:9], 0
.LBB433_972:
	s_and_b64 vcc, exec, s[8:9]
	s_cbranch_vccz .LBB433_975
; %bb.973:
	s_cmp_eq_u32 s17, 29
	s_mov_b64 s[2:3], -1
	s_cbranch_scc0 .LBB433_975
; %bb.974:
	v_bfe_i32 v0, v5, 0, 16
	v_ashrrev_i32_e32 v1, 31, v0
	global_store_dwordx2 v[2:3], v[0:1], off
	s_mov_b64 s[2:3], 0
.LBB433_975:
	s_mov_b64 s[8:9], 0
.LBB433_976:
	s_and_b64 vcc, exec, s[8:9]
	s_cbranch_vccz .LBB433_991
; %bb.977:
	s_cmp_lt_i32 s17, 27
	s_mov_b64 s[8:9], -1
	s_cbranch_scc1 .LBB433_983
; %bb.978:
	s_cmp_gt_i32 s17, 27
	s_cbranch_scc0 .LBB433_980
; %bb.979:
	v_bfe_i32 v0, v5, 0, 16
	s_mov_b64 s[8:9], 0
	global_store_dword v[2:3], v0, off
.LBB433_980:
	s_andn2_b64 vcc, exec, s[8:9]
	s_cbranch_vccnz .LBB433_982
; %bb.981:
	global_store_short v[2:3], v5, off
.LBB433_982:
	s_mov_b64 s[8:9], 0
.LBB433_983:
	s_andn2_b64 vcc, exec, s[8:9]
	s_cbranch_vccnz .LBB433_991
; %bb.984:
	v_cvt_f32_i32_sdwa v0, sext(v5) dst_sel:DWORD dst_unused:UNUSED_PAD src0_sel:WORD_0
	s_mov_b32 s8, 0x43800000
	v_mov_b32_e32 v4, 0x80
	v_and_b32_e32 v1, 0x7fffffff, v0
	v_cmp_gt_u32_e32 vcc, s8, v1
	s_and_saveexec_b64 s[8:9], vcc
	s_cbranch_execz .LBB433_990
; %bb.985:
	s_mov_b32 s10, 0x3bffffff
	v_cmp_lt_u32_e32 vcc, s10, v1
	s_mov_b64 s[10:11], 0
                                        ; implicit-def: $vgpr1
	s_and_saveexec_b64 s[12:13], vcc
	s_xor_b64 s[12:13], exec, s[12:13]
	s_cbranch_execz .LBB433_1144
; %bb.986:
	v_bfe_u32 v1, v0, 20, 1
	s_mov_b32 s14, 0x487ffff
	v_add3_u32 v1, v0, v1, s14
	s_mov_b64 s[10:11], exec
	v_lshrrev_b32_e32 v1, 20, v1
	s_andn2_saveexec_b64 s[12:13], s[12:13]
	s_cbranch_execnz .LBB433_1145
.LBB433_987:
	s_or_b64 exec, exec, s[12:13]
	v_mov_b32_e32 v4, 0
	s_and_saveexec_b64 s[12:13], s[10:11]
.LBB433_988:
	v_lshrrev_b32_e32 v0, 24, v0
	s_movk_i32 s10, 0x80
	v_and_or_b32 v4, v0, s10, v1
.LBB433_989:
	s_or_b64 exec, exec, s[12:13]
.LBB433_990:
	s_or_b64 exec, exec, s[8:9]
	global_store_byte v[2:3], v4, off
.LBB433_991:
	s_mov_b64 s[10:11], 0
.LBB433_992:
	s_mov_b64 s[8:9], 0
	s_and_b64 vcc, exec, s[10:11]
	s_cbranch_vccz .LBB433_1032
; %bb.993:
	s_cmp_gt_i32 s17, 22
	s_mov_b64 s[10:11], -1
	s_cbranch_scc0 .LBB433_1025
; %bb.994:
	s_cmp_lt_i32 s17, 24
	s_cbranch_scc1 .LBB433_1014
; %bb.995:
	s_cmp_gt_i32 s17, 24
	s_cbranch_scc0 .LBB433_1003
; %bb.996:
	v_cvt_f32_i32_sdwa v0, sext(v5) dst_sel:DWORD dst_unused:UNUSED_PAD src0_sel:WORD_0
	s_mov_b32 s10, 0x47800000
	v_mov_b32_e32 v4, 0x80
	v_and_b32_e32 v1, 0x7fffffff, v0
	v_cmp_gt_u32_e32 vcc, s10, v1
	s_and_saveexec_b64 s[10:11], vcc
	s_cbranch_execz .LBB433_1002
; %bb.997:
	s_mov_b32 s12, 0x37ffffff
	v_cmp_lt_u32_e32 vcc, s12, v1
	s_mov_b64 s[12:13], 0
                                        ; implicit-def: $vgpr1
	s_and_saveexec_b64 s[14:15], vcc
	s_xor_b64 s[14:15], exec, s[14:15]
	s_cbranch_execz .LBB433_1264
; %bb.998:
	v_bfe_u32 v1, v0, 21, 1
	s_mov_b32 s18, 0x88fffff
	v_add3_u32 v1, v0, v1, s18
	s_mov_b64 s[12:13], exec
	v_lshrrev_b32_e32 v1, 21, v1
	s_andn2_saveexec_b64 s[14:15], s[14:15]
	s_cbranch_execnz .LBB433_1265
.LBB433_999:
	s_or_b64 exec, exec, s[14:15]
	v_mov_b32_e32 v4, 0
	s_and_saveexec_b64 s[14:15], s[12:13]
.LBB433_1000:
	v_lshrrev_b32_e32 v0, 24, v0
	s_movk_i32 s12, 0x80
	v_and_or_b32 v4, v0, s12, v1
.LBB433_1001:
	s_or_b64 exec, exec, s[14:15]
.LBB433_1002:
	s_or_b64 exec, exec, s[10:11]
	s_mov_b64 s[10:11], 0
	global_store_byte v[2:3], v4, off
.LBB433_1003:
	s_and_b64 vcc, exec, s[10:11]
	s_cbranch_vccz .LBB433_1013
; %bb.1004:
	v_cvt_f32_i32_sdwa v0, sext(v5) dst_sel:DWORD dst_unused:UNUSED_PAD src0_sel:WORD_0
	s_mov_b32 s10, 0x43f00000
                                        ; implicit-def: $vgpr1
	v_and_b32_e32 v4, 0x7fffffff, v0
	v_cmp_gt_u32_e32 vcc, s10, v4
	s_and_saveexec_b64 s[10:11], vcc
	s_xor_b64 s[10:11], exec, s[10:11]
	s_cbranch_execz .LBB433_1010
; %bb.1005:
	s_mov_b32 s12, 0x3c7fffff
	v_cmp_lt_u32_e32 vcc, s12, v4
                                        ; implicit-def: $vgpr1
	s_and_saveexec_b64 s[12:13], vcc
	s_xor_b64 s[12:13], exec, s[12:13]
; %bb.1006:
	v_bfe_u32 v1, v0, 20, 1
	s_mov_b32 s14, 0x407ffff
	v_add3_u32 v1, v0, v1, s14
	v_lshrrev_b32_e32 v4, 20, v1
	v_and_b32_e32 v1, 0xff00000, v1
	s_mov_b32 s14, 0x7f00000
	v_mov_b32_e32 v6, 0x7e
	v_cmp_ne_u32_e32 vcc, s14, v1
	s_nop 1
	v_cndmask_b32_e32 v1, v6, v4, vcc
; %bb.1007:
	s_andn2_saveexec_b64 s[12:13], s[12:13]
; %bb.1008:
	s_mov_b32 s14, 0x46800000
	v_add_f32_e64 v1, |v0|, s14
; %bb.1009:
	s_or_b64 exec, exec, s[12:13]
                                        ; implicit-def: $vgpr4
.LBB433_1010:
	s_andn2_saveexec_b64 s[10:11], s[10:11]
; %bb.1011:
	s_mov_b32 s12, 0x7f800000
	v_mov_b32_e32 v1, 0x7e
	v_mov_b32_e32 v6, 0x7f
	v_cmp_lt_u32_e32 vcc, s12, v4
	s_nop 1
	v_cndmask_b32_e32 v1, v1, v6, vcc
; %bb.1012:
	s_or_b64 exec, exec, s[10:11]
	v_lshrrev_b32_e32 v0, 24, v0
	s_movk_i32 s10, 0x80
	v_and_or_b32 v0, v0, s10, v1
	global_store_byte v[2:3], v0, off
.LBB433_1013:
	s_mov_b64 s[10:11], 0
.LBB433_1014:
	s_andn2_b64 vcc, exec, s[10:11]
	s_cbranch_vccnz .LBB433_1024
; %bb.1015:
	v_cvt_f32_i32_sdwa v0, sext(v5) dst_sel:DWORD dst_unused:UNUSED_PAD src0_sel:WORD_0
	s_mov_b32 s10, 0x47800000
                                        ; implicit-def: $vgpr1
	v_and_b32_e32 v4, 0x7fffffff, v0
	v_cmp_gt_u32_e32 vcc, s10, v4
	s_and_saveexec_b64 s[10:11], vcc
	s_xor_b64 s[10:11], exec, s[10:11]
	s_cbranch_execz .LBB433_1021
; %bb.1016:
	s_mov_b32 s12, 0x387fffff
	v_cmp_lt_u32_e32 vcc, s12, v4
                                        ; implicit-def: $vgpr1
	s_and_saveexec_b64 s[12:13], vcc
	s_xor_b64 s[12:13], exec, s[12:13]
; %bb.1017:
	v_bfe_u32 v1, v0, 21, 1
	s_mov_b32 s14, 0x80fffff
	v_add3_u32 v1, v0, v1, s14
	v_lshrrev_b32_e32 v1, 21, v1
; %bb.1018:
	s_andn2_saveexec_b64 s[12:13], s[12:13]
; %bb.1019:
	s_mov_b32 s14, 0x43000000
	v_add_f32_e64 v1, |v0|, s14
; %bb.1020:
	s_or_b64 exec, exec, s[12:13]
                                        ; implicit-def: $vgpr4
.LBB433_1021:
	s_andn2_saveexec_b64 s[10:11], s[10:11]
; %bb.1022:
	s_mov_b32 s12, 0x7f800000
	v_mov_b32_e32 v1, 0x7c
	v_mov_b32_e32 v6, 0x7f
	v_cmp_lt_u32_e32 vcc, s12, v4
	s_nop 1
	v_cndmask_b32_e32 v1, v1, v6, vcc
; %bb.1023:
	s_or_b64 exec, exec, s[10:11]
	v_lshrrev_b32_e32 v0, 24, v0
	s_movk_i32 s10, 0x80
	v_and_or_b32 v0, v0, s10, v1
	global_store_byte v[2:3], v0, off
.LBB433_1024:
	s_mov_b64 s[10:11], 0
.LBB433_1025:
	s_andn2_b64 vcc, exec, s[10:11]
	s_mov_b64 s[10:11], 0
	s_cbranch_vccnz .LBB433_1033
; %bb.1026:
	s_cmp_gt_i32 s17, 14
	s_mov_b64 s[12:13], -1
	s_cbranch_scc0 .LBB433_1030
; %bb.1027:
	s_cmp_eq_u32 s17, 15
	s_mov_b64 s[2:3], -1
	s_cbranch_scc0 .LBB433_1029
; %bb.1028:
	v_cvt_f32_i32_sdwa v0, sext(v5) dst_sel:DWORD dst_unused:UNUSED_PAD src0_sel:WORD_0
	s_movk_i32 s2, 0x7fff
	v_bfe_u32 v1, v0, 16, 1
	v_add3_u32 v0, v0, v1, s2
	global_store_short_d16_hi v[2:3], v0, off
	s_mov_b64 s[2:3], 0
.LBB433_1029:
	s_mov_b64 s[12:13], 0
.LBB433_1030:
	s_and_b64 vcc, exec, s[12:13]
	s_cbranch_vccz .LBB433_1033
; %bb.1031:
	s_cmp_lg_u32 s17, 11
	s_cselect_b64 s[12:13], -1, 0
	s_andn2_b64 s[2:3], s[2:3], exec
	s_and_b64 s[12:13], s[12:13], exec
	s_mov_b64 s[10:11], -1
	s_or_b64 s[2:3], s[2:3], s[12:13]
	s_branch .LBB433_1033
.LBB433_1032:
	s_mov_b64 s[10:11], 0
.LBB433_1033:
	s_andn2_b64 s[12:13], s[54:55], exec
	s_and_b64 s[2:3], s[2:3], exec
	s_and_b64 s[8:9], s[8:9], exec
	;; [unrolled: 1-line block ×3, first 2 shown]
	s_or_b64 s[54:55], s[12:13], s[2:3]
	s_or_b64 exec, exec, s[6:7]
	s_and_saveexec_b64 s[2:3], s[54:55]
	s_cbranch_execz .LBB433_962
.LBB433_1034:
	s_or_b64 s[4:5], s[4:5], exec
	s_andn2_b64 s[10:11], s[10:11], exec
	s_trap 2
	s_or_b64 exec, exec, s[2:3]
	s_and_saveexec_b64 s[2:3], s[10:11]
	s_xor_b64 s[2:3], exec, s[2:3]
	s_cbranch_execnz .LBB433_963
.LBB433_1035:
	s_or_b64 exec, exec, s[2:3]
	s_and_saveexec_b64 s[2:3], s[8:9]
	s_xor_b64 s[2:3], exec, s[2:3]
	s_cbranch_execz .LBB433_1073
.LBB433_1036:
	s_sext_i32_i16 s8, s16
	s_cmp_lt_i32 s8, 5
	s_mov_b64 s[6:7], -1
	s_cbranch_scc1 .LBB433_1057
; %bb.1037:
	s_cmp_lt_i32 s8, 8
	s_cbranch_scc1 .LBB433_1047
; %bb.1038:
	s_cmp_lt_i32 s8, 9
	s_cbranch_scc1 .LBB433_1044
; %bb.1039:
	s_cmp_gt_i32 s8, 9
	s_cbranch_scc0 .LBB433_1041
; %bb.1040:
	s_waitcnt vmcnt(0)
	v_bfe_i32 v0, v5, 0, 8
	v_bfe_i32 v0, v0, 0, 16
	v_mov_b32_e32 v8, 0
	v_cvt_f64_i32_e32 v[6:7], v0
	v_mov_b32_e32 v9, v8
	s_mov_b64 s[6:7], 0
	global_store_dwordx4 v[2:3], v[6:9], off
.LBB433_1041:
	s_andn2_b64 vcc, exec, s[6:7]
	s_cbranch_vccnz .LBB433_1043
; %bb.1042:
	s_waitcnt vmcnt(0)
	v_bfe_i32 v0, v5, 0, 8
	v_cvt_f32_i32_sdwa v0, sext(v0) dst_sel:DWORD dst_unused:UNUSED_PAD src0_sel:WORD_0
	v_mov_b32_e32 v1, 0
	global_store_dwordx2 v[2:3], v[0:1], off
.LBB433_1043:
	s_mov_b64 s[6:7], 0
.LBB433_1044:
	s_andn2_b64 vcc, exec, s[6:7]
	s_cbranch_vccnz .LBB433_1046
; %bb.1045:
	s_waitcnt vmcnt(0)
	v_cvt_f16_i16_sdwa v0, sext(v5) dst_sel:DWORD dst_unused:UNUSED_PAD src0_sel:BYTE_0
	global_store_dword v[2:3], v0, off
.LBB433_1046:
	s_mov_b64 s[6:7], 0
.LBB433_1047:
	s_andn2_b64 vcc, exec, s[6:7]
	s_cbranch_vccnz .LBB433_1056
; %bb.1048:
	s_sext_i32_i16 s8, s16
	s_cmp_lt_i32 s8, 6
	s_mov_b64 s[6:7], -1
	s_cbranch_scc1 .LBB433_1054
; %bb.1049:
	s_cmp_gt_i32 s8, 6
	s_cbranch_scc0 .LBB433_1051
; %bb.1050:
	s_waitcnt vmcnt(0)
	v_bfe_i32 v0, v5, 0, 8
	v_bfe_i32 v0, v0, 0, 16
	v_cvt_f64_i32_e32 v[0:1], v0
	s_mov_b64 s[6:7], 0
	global_store_dwordx2 v[2:3], v[0:1], off
.LBB433_1051:
	s_andn2_b64 vcc, exec, s[6:7]
	s_cbranch_vccnz .LBB433_1053
; %bb.1052:
	s_waitcnt vmcnt(0)
	v_bfe_i32 v0, v5, 0, 8
	v_cvt_f32_i32_sdwa v0, sext(v0) dst_sel:DWORD dst_unused:UNUSED_PAD src0_sel:WORD_0
	global_store_dword v[2:3], v0, off
.LBB433_1053:
	s_mov_b64 s[6:7], 0
.LBB433_1054:
	s_andn2_b64 vcc, exec, s[6:7]
	s_cbranch_vccnz .LBB433_1056
; %bb.1055:
	s_waitcnt vmcnt(0)
	v_cvt_f16_i16_sdwa v0, sext(v5) dst_sel:DWORD dst_unused:UNUSED_PAD src0_sel:BYTE_0
	global_store_short v[2:3], v0, off
.LBB433_1056:
	s_mov_b64 s[6:7], 0
.LBB433_1057:
	s_andn2_b64 vcc, exec, s[6:7]
	s_cbranch_vccnz .LBB433_1073
; %bb.1058:
	s_sext_i32_i16 s8, s16
	s_cmp_lt_i32 s8, 2
	s_mov_b64 s[6:7], -1
	s_cbranch_scc1 .LBB433_1068
; %bb.1059:
	s_cmp_lt_i32 s8, 3
	s_cbranch_scc1 .LBB433_1065
; %bb.1060:
	s_cmp_gt_i32 s8, 3
	s_cbranch_scc0 .LBB433_1062
; %bb.1061:
	s_waitcnt vmcnt(0)
	v_bfe_i32 v0, v5, 0, 8
	v_ashrrev_i32_e32 v1, 31, v0
	s_mov_b64 s[6:7], 0
	global_store_dwordx2 v[2:3], v[0:1], off
.LBB433_1062:
	s_andn2_b64 vcc, exec, s[6:7]
	s_cbranch_vccnz .LBB433_1064
; %bb.1063:
	s_waitcnt vmcnt(0)
	v_bfe_i32 v0, v5, 0, 8
	global_store_dword v[2:3], v0, off
.LBB433_1064:
	s_mov_b64 s[6:7], 0
.LBB433_1065:
	s_andn2_b64 vcc, exec, s[6:7]
	s_cbranch_vccnz .LBB433_1067
; %bb.1066:
	s_waitcnt vmcnt(0)
	v_bfe_i32 v0, v5, 0, 8
	global_store_short v[2:3], v0, off
.LBB433_1067:
	s_mov_b64 s[6:7], 0
.LBB433_1068:
	s_andn2_b64 vcc, exec, s[6:7]
	s_cbranch_vccnz .LBB433_1073
; %bb.1069:
	s_sext_i32_i16 s6, s16
	s_cmp_gt_i32 s6, 0
	s_mov_b64 s[6:7], -1
	s_cbranch_scc0 .LBB433_1071
; %bb.1070:
	s_mov_b64 s[6:7], 0
	s_waitcnt vmcnt(0)
	global_store_byte v[2:3], v5, off
.LBB433_1071:
	s_andn2_b64 vcc, exec, s[6:7]
	s_cbranch_vccnz .LBB433_1073
; %bb.1072:
	s_waitcnt vmcnt(0)
	global_store_byte v[2:3], v5, off
.LBB433_1073:
	s_or_b64 exec, exec, s[2:3]
	s_and_b64 s[24:25], s[4:5], exec
                                        ; implicit-def: $vgpr16
                                        ; implicit-def: $vgpr8
.LBB433_1074:
	s_or_saveexec_b64 s[26:27], s[44:45]
	s_mov_b64 s[6:7], 0
                                        ; implicit-def: $vgpr0_vgpr1
                                        ; implicit-def: $sgpr14
                                        ; implicit-def: $vgpr2
	s_xor_b64 exec, exec, s[26:27]
	s_cbranch_execz .LBB433_2061
; %bb.1075:
	v_cndmask_b32_e64 v0, 0, 1, s[42:43]
	v_cmp_ne_u32_e64 s[2:3], 1, v0
	s_andn2_b64 vcc, exec, s[42:43]
	s_cbranch_vccnz .LBB433_1081
; %bb.1076:
	s_cmp_lg_u32 s33, 0
	s_mov_b32 s36, 0
	s_cbranch_scc0 .LBB433_1082
; %bb.1077:
	s_min_u32 s37, s72, 15
	s_add_i32 s37, s37, 1
	s_cmp_eq_u32 s72, 2
	s_cbranch_scc1 .LBB433_1083
; %bb.1078:
	s_and_b32 s36, s37, 28
	s_add_u32 s28, s34, 0xc4
	s_addc_u32 s29, s35, 0
	s_mov_b32 s38, 0
	v_mov_b32_e32 v6, 0
	v_mov_b32_e32 v14, 0
	s_mov_b64 s[30:31], s[34:35]
	v_mov_b32_e32 v0, v8
.LBB433_1079:                           ; =>This Inner Loop Header: Depth=1
	s_load_dwordx8 s[12:19], s[30:31], 0x4
	s_load_dwordx4 s[20:23], s[30:31], 0x24
	s_load_dwordx8 s[4:11], s[28:29], 0x0
	s_add_u32 s30, s30, 48
	s_addc_u32 s31, s31, 0
	s_waitcnt lgkmcnt(0)
	v_mul_hi_u32 v1, s13, v0
	v_add_u32_e32 v1, v0, v1
	v_lshrrev_b32_e32 v1, s14, v1
	v_mul_lo_u32 v2, v1, s12
	v_mul_hi_u32 v3, s16, v1
	v_sub_u32_e32 v0, v0, v2
	v_add_u32_e32 v2, v1, v3
	v_lshrrev_b32_e32 v2, s17, v2
	s_waitcnt vmcnt(0)
	v_mul_lo_u32 v4, v2, s15
	v_mul_hi_u32 v5, s19, v2
	v_sub_u32_e32 v1, v1, v4
	v_add_u32_e32 v4, v2, v5
	v_mul_lo_u32 v3, v0, s5
	v_mul_lo_u32 v0, v0, s4
	;; [unrolled: 1-line block ×4, first 2 shown]
	v_lshrrev_b32_e32 v4, s20, v4
	v_add3_u32 v1, v0, v6, v1
	v_add3_u32 v3, v3, v14, v5
	v_mul_lo_u32 v0, v4, s18
	v_mul_hi_u32 v5, s22, v4
	v_sub_u32_e32 v0, v2, v0
	v_add_u32_e32 v2, v4, v5
	v_mul_lo_u32 v5, v0, s8
	v_mul_lo_u32 v6, v0, s9
	v_lshrrev_b32_e32 v0, s23, v2
	s_add_i32 s38, s38, 4
	v_mul_lo_u32 v2, v0, s21
	s_add_u32 s28, s28, 32
	v_sub_u32_e32 v2, v4, v2
	s_addc_u32 s29, s29, 0
	v_mul_lo_u32 v4, v2, s10
	v_mul_lo_u32 v2, v2, s11
	s_cmp_lg_u32 s36, s38
	v_add3_u32 v14, v6, v3, v2
	v_add3_u32 v6, v5, v1, v4
	s_cbranch_scc1 .LBB433_1079
; %bb.1080:
	v_mov_b32_e32 v1, v14
	s_and_b32 s8, s37, 3
	s_cmp_eq_u32 s8, 0
	s_cbranch_scc0 .LBB433_1084
	s_branch .LBB433_1086
.LBB433_1081:
                                        ; implicit-def: $vgpr14
                                        ; implicit-def: $vgpr6
	s_branch .LBB433_1087
.LBB433_1082:
	v_mov_b32_e32 v14, 0
	v_mov_b32_e32 v6, 0
	s_branch .LBB433_1086
.LBB433_1083:
	v_mov_b32_e32 v6, 0
                                        ; implicit-def: $vgpr14
	v_mov_b32_e32 v1, v6
	v_mov_b32_e32 v0, v8
	s_and_b32 s8, s37, 3
	s_cmp_eq_u32 s8, 0
	s_cbranch_scc1 .LBB433_1086
.LBB433_1084:
	s_lshl_b32 s4, s36, 3
	s_add_u32 s4, s34, s4
	s_addc_u32 s5, s35, 0
	s_add_u32 s4, s4, 0xc4
	s_addc_u32 s5, s5, 0
	s_mul_i32 s6, s36, 12
	s_add_u32 s6, s34, s6
	s_addc_u32 s7, s35, 0
.LBB433_1085:                           ; =>This Inner Loop Header: Depth=1
	s_load_dwordx2 s[10:11], s[6:7], 0x4
	s_load_dword s9, s[6:7], 0xc
	s_load_dwordx2 s[12:13], s[4:5], 0x0
	v_mov_b32_e32 v2, v1
	s_add_u32 s6, s6, 12
	s_waitcnt lgkmcnt(0)
	v_mul_hi_u32 v1, s11, v0
	v_add_u32_e32 v1, v0, v1
	v_lshrrev_b32_e32 v1, s9, v1
	s_addc_u32 s7, s7, 0
	v_mul_lo_u32 v3, v1, s10
	s_add_u32 s4, s4, 8
	v_sub_u32_e32 v3, v0, v3
	s_addc_u32 s5, s5, 0
	s_add_i32 s8, s8, -1
	v_mad_u64_u32 v[14:15], s[10:11], v3, s13, v[2:3]
	s_cmp_lg_u32 s8, 0
	v_mov_b32_e32 v0, v1
	v_mad_u64_u32 v[6:7], s[10:11], v3, s12, v[6:7]
	v_mov_b32_e32 v1, v14
	s_cbranch_scc1 .LBB433_1085
.LBB433_1086:
	s_cbranch_execnz .LBB433_1089
.LBB433_1087:
	s_load_dwordx4 s[4:7], s[34:35], 0x4
	s_load_dwordx2 s[8:9], s[34:35], 0xc4
	s_cmp_lt_u32 s33, 2
	s_waitcnt lgkmcnt(0)
	v_mul_hi_u32 v0, s5, v8
	v_add_u32_e32 v0, v8, v0
	v_lshrrev_b32_e32 v0, s6, v0
	v_mul_lo_u32 v1, v0, s4
	v_sub_u32_e32 v1, v8, v1
	v_mul_lo_u32 v14, v1, s9
	v_mul_lo_u32 v6, v1, s8
	s_cbranch_scc1 .LBB433_1089
; %bb.1088:
	s_load_dwordx4 s[4:7], s[34:35], 0x10
	s_load_dwordx2 s[8:9], s[34:35], 0xcc
	s_waitcnt lgkmcnt(0)
	v_mul_hi_u32 v1, s5, v0
	v_add_u32_e32 v1, v0, v1
	v_lshrrev_b32_e32 v1, s6, v1
	v_mul_lo_u32 v1, v1, s4
	v_sub_u32_e32 v0, v0, v1
	v_mad_u64_u32 v[6:7], s[4:5], v0, s8, v[6:7]
	v_mad_u64_u32 v[14:15], s[4:5], v0, s9, v[14:15]
.LBB433_1089:
	s_and_b64 vcc, exec, s[2:3]
	v_add_u32_e32 v0, 0x80, v8
	s_cbranch_vccnz .LBB433_1095
; %bb.1090:
	s_cmp_lg_u32 s33, 0
	s_mov_b32 s36, 0
	s_cbranch_scc0 .LBB433_1096
; %bb.1091:
	s_min_u32 s37, s72, 15
	s_add_i32 s37, s37, 1
	s_cmp_eq_u32 s72, 2
	s_cbranch_scc1 .LBB433_1097
; %bb.1092:
	s_and_b32 s36, s37, 28
	s_add_u32 s28, s34, 0xc4
	s_addc_u32 s29, s35, 0
	s_mov_b32 s38, 0
	s_waitcnt vmcnt(0)
	v_mov_b32_e32 v4, 0
	v_mov_b32_e32 v12, 0
	s_mov_b64 s[30:31], s[34:35]
	v_mov_b32_e32 v2, v0
.LBB433_1093:                           ; =>This Inner Loop Header: Depth=1
	s_load_dwordx8 s[12:19], s[30:31], 0x4
	s_load_dwordx4 s[20:23], s[30:31], 0x24
	s_load_dwordx8 s[4:11], s[28:29], 0x0
	s_add_u32 s30, s30, 48
	s_addc_u32 s31, s31, 0
	s_waitcnt lgkmcnt(0)
	v_mul_hi_u32 v1, s13, v2
	v_add_u32_e32 v1, v2, v1
	v_lshrrev_b32_e32 v1, s14, v1
	v_mul_lo_u32 v3, v1, s12
	v_mul_hi_u32 v5, s16, v1
	v_sub_u32_e32 v2, v2, v3
	v_add_u32_e32 v3, v1, v5
	v_lshrrev_b32_e32 v3, s17, v3
	v_mul_lo_u32 v7, v3, s15
	v_mul_hi_u32 v9, s19, v3
	v_sub_u32_e32 v1, v1, v7
	v_add_u32_e32 v7, v3, v9
	v_mul_lo_u32 v5, v2, s5
	v_mul_lo_u32 v2, v2, s4
	;; [unrolled: 1-line block ×4, first 2 shown]
	v_lshrrev_b32_e32 v7, s20, v7
	v_add3_u32 v1, v2, v4, v1
	v_add3_u32 v4, v5, v12, v9
	v_mul_lo_u32 v2, v7, s18
	v_mul_hi_u32 v5, s22, v7
	v_sub_u32_e32 v2, v3, v2
	v_add_u32_e32 v3, v7, v5
	v_mul_lo_u32 v5, v2, s8
	v_mul_lo_u32 v9, v2, s9
	v_lshrrev_b32_e32 v2, s23, v3
	s_add_i32 s38, s38, 4
	v_mul_lo_u32 v3, v2, s21
	s_add_u32 s28, s28, 32
	v_sub_u32_e32 v3, v7, v3
	s_addc_u32 s29, s29, 0
	v_mul_lo_u32 v7, v3, s10
	v_mul_lo_u32 v3, v3, s11
	s_cmp_lg_u32 s36, s38
	v_add3_u32 v12, v9, v4, v3
	v_add3_u32 v4, v5, v1, v7
	s_cbranch_scc1 .LBB433_1093
; %bb.1094:
	v_mov_b32_e32 v1, v12
	s_and_b32 s8, s37, 3
	s_cmp_eq_u32 s8, 0
	s_cbranch_scc0 .LBB433_1098
	s_branch .LBB433_1100
.LBB433_1095:
                                        ; implicit-def: $vgpr12
                                        ; implicit-def: $vgpr4
	s_branch .LBB433_1101
.LBB433_1096:
	v_mov_b32_e32 v12, 0
	s_waitcnt vmcnt(0)
	v_mov_b32_e32 v4, 0
	s_branch .LBB433_1100
.LBB433_1097:
	s_waitcnt vmcnt(0)
	v_mov_b32_e32 v4, 0
                                        ; implicit-def: $vgpr12
	v_mov_b32_e32 v1, v4
	v_mov_b32_e32 v2, v0
	s_and_b32 s8, s37, 3
	s_cmp_eq_u32 s8, 0
	s_cbranch_scc1 .LBB433_1100
.LBB433_1098:
	s_lshl_b32 s4, s36, 3
	s_add_u32 s4, s34, s4
	s_addc_u32 s5, s35, 0
	s_add_u32 s4, s4, 0xc4
	s_addc_u32 s5, s5, 0
	s_mul_i32 s6, s36, 12
	s_add_u32 s6, s34, s6
	s_addc_u32 s7, s35, 0
.LBB433_1099:                           ; =>This Inner Loop Header: Depth=1
	s_load_dwordx2 s[10:11], s[6:7], 0x4
	s_load_dword s9, s[6:7], 0xc
	s_load_dwordx2 s[12:13], s[4:5], 0x0
	v_mov_b32_e32 v10, v1
	s_add_u32 s6, s6, 12
	s_waitcnt lgkmcnt(0)
	v_mul_hi_u32 v1, s11, v2
	v_add_u32_e32 v1, v2, v1
	v_lshrrev_b32_e32 v1, s9, v1
	s_addc_u32 s7, s7, 0
	v_mul_lo_u32 v3, v1, s10
	s_add_u32 s4, s4, 8
	v_sub_u32_e32 v3, v2, v3
	s_addc_u32 s5, s5, 0
	s_add_i32 s8, s8, -1
	v_mad_u64_u32 v[12:13], s[10:11], v3, s13, v[10:11]
	s_cmp_lg_u32 s8, 0
	v_mov_b32_e32 v2, v1
	v_mad_u64_u32 v[4:5], s[10:11], v3, s12, v[4:5]
	v_mov_b32_e32 v1, v12
	s_cbranch_scc1 .LBB433_1099
.LBB433_1100:
	s_cbranch_execnz .LBB433_1103
.LBB433_1101:
	s_load_dwordx4 s[4:7], s[34:35], 0x4
	s_load_dwordx2 s[8:9], s[34:35], 0xc4
	s_cmp_lt_u32 s33, 2
	s_waitcnt lgkmcnt(0)
	v_mul_hi_u32 v1, s5, v0
	v_add_u32_e32 v1, v0, v1
	v_lshrrev_b32_e32 v1, s6, v1
	v_mul_lo_u32 v2, v1, s4
	v_sub_u32_e32 v0, v0, v2
	v_mul_lo_u32 v12, v0, s9
	s_waitcnt vmcnt(0)
	v_mul_lo_u32 v4, v0, s8
	s_cbranch_scc1 .LBB433_1103
; %bb.1102:
	s_load_dwordx4 s[4:7], s[34:35], 0x10
	s_load_dwordx2 s[8:9], s[34:35], 0xcc
	s_waitcnt lgkmcnt(0)
	v_mul_hi_u32 v0, s5, v1
	v_add_u32_e32 v0, v1, v0
	v_lshrrev_b32_e32 v0, s6, v0
	v_mul_lo_u32 v0, v0, s4
	v_sub_u32_e32 v0, v1, v0
	v_mad_u64_u32 v[4:5], s[4:5], v0, s8, v[4:5]
	v_mad_u64_u32 v[12:13], s[4:5], v0, s9, v[12:13]
.LBB433_1103:
	s_and_b64 vcc, exec, s[2:3]
	v_add_u32_e32 v0, 0x100, v8
	s_cbranch_vccnz .LBB433_1109
; %bb.1104:
	s_cmp_lg_u32 s33, 0
	s_mov_b32 s36, 0
	s_cbranch_scc0 .LBB433_1110
; %bb.1105:
	s_min_u32 s37, s72, 15
	s_add_i32 s37, s37, 1
	s_cmp_eq_u32 s72, 2
	s_cbranch_scc1 .LBB433_1111
; %bb.1106:
	s_and_b32 s36, s37, 28
	s_add_u32 s28, s34, 0xc4
	s_addc_u32 s29, s35, 0
	s_mov_b32 s38, 0
	v_mov_b32_e32 v2, 0
	v_mov_b32_e32 v10, 0
	s_mov_b64 s[30:31], s[34:35]
	s_waitcnt vmcnt(0)
	v_mov_b32_e32 v5, v0
.LBB433_1107:                           ; =>This Inner Loop Header: Depth=1
	s_load_dwordx8 s[12:19], s[30:31], 0x4
	s_load_dwordx4 s[20:23], s[30:31], 0x24
	s_load_dwordx8 s[4:11], s[28:29], 0x0
	s_add_u32 s30, s30, 48
	s_addc_u32 s31, s31, 0
	s_waitcnt lgkmcnt(0)
	v_mul_hi_u32 v1, s13, v5
	v_add_u32_e32 v1, v5, v1
	v_lshrrev_b32_e32 v1, s14, v1
	v_mul_lo_u32 v3, v1, s12
	v_mul_hi_u32 v7, s16, v1
	v_sub_u32_e32 v3, v5, v3
	v_add_u32_e32 v5, v1, v7
	v_lshrrev_b32_e32 v5, s17, v5
	v_mul_lo_u32 v8, v5, s15
	v_mul_hi_u32 v9, s19, v5
	v_sub_u32_e32 v1, v1, v8
	v_add_u32_e32 v8, v5, v9
	v_mul_lo_u32 v7, v3, s5
	v_mul_lo_u32 v3, v3, s4
	;; [unrolled: 1-line block ×4, first 2 shown]
	v_lshrrev_b32_e32 v8, s20, v8
	v_add3_u32 v1, v3, v2, v1
	v_add3_u32 v2, v7, v10, v9
	v_mul_lo_u32 v3, v8, s18
	v_mul_hi_u32 v7, s22, v8
	v_sub_u32_e32 v3, v5, v3
	v_add_u32_e32 v5, v8, v7
	v_lshrrev_b32_e32 v5, s23, v5
	s_add_i32 s38, s38, 4
	v_mul_lo_u32 v9, v5, s21
	s_add_u32 s28, s28, 32
	v_sub_u32_e32 v8, v8, v9
	s_addc_u32 s29, s29, 0
	v_mul_lo_u32 v7, v3, s8
	v_mul_lo_u32 v3, v3, s9
	v_mul_lo_u32 v9, v8, s10
	v_mul_lo_u32 v8, v8, s11
	s_cmp_lg_u32 s36, s38
	v_add3_u32 v10, v3, v2, v8
	v_add3_u32 v2, v7, v1, v9
	s_cbranch_scc1 .LBB433_1107
; %bb.1108:
	v_mov_b32_e32 v1, v10
	s_and_b32 s8, s37, 3
	s_cmp_eq_u32 s8, 0
	s_cbranch_scc0 .LBB433_1112
	s_branch .LBB433_1114
.LBB433_1109:
                                        ; implicit-def: $vgpr10
                                        ; implicit-def: $vgpr2
	s_branch .LBB433_1115
.LBB433_1110:
	v_mov_b32_e32 v10, 0
	v_mov_b32_e32 v2, 0
	s_branch .LBB433_1114
.LBB433_1111:
	v_mov_b32_e32 v2, 0
                                        ; implicit-def: $vgpr10
	v_mov_b32_e32 v1, v2
	s_waitcnt vmcnt(0)
	v_mov_b32_e32 v5, v0
	s_and_b32 s8, s37, 3
	s_cmp_eq_u32 s8, 0
	s_cbranch_scc1 .LBB433_1114
.LBB433_1112:
	s_lshl_b32 s4, s36, 3
	s_add_u32 s4, s34, s4
	s_addc_u32 s5, s35, 0
	s_add_u32 s4, s4, 0xc4
	s_addc_u32 s5, s5, 0
	s_mul_i32 s6, s36, 12
	s_add_u32 s6, s34, s6
	s_addc_u32 s7, s35, 0
.LBB433_1113:                           ; =>This Inner Loop Header: Depth=1
	s_load_dwordx2 s[10:11], s[6:7], 0x4
	s_load_dword s9, s[6:7], 0xc
	s_load_dwordx2 s[12:13], s[4:5], 0x0
	v_mov_b32_e32 v8, v1
	s_add_u32 s6, s6, 12
	s_waitcnt lgkmcnt(0)
	v_mul_hi_u32 v1, s11, v5
	v_add_u32_e32 v1, v5, v1
	v_lshrrev_b32_e32 v1, s9, v1
	s_addc_u32 s7, s7, 0
	v_mul_lo_u32 v3, v1, s10
	s_add_u32 s4, s4, 8
	v_sub_u32_e32 v3, v5, v3
	s_addc_u32 s5, s5, 0
	s_add_i32 s8, s8, -1
	v_mad_u64_u32 v[10:11], s[10:11], v3, s13, v[8:9]
	s_cmp_lg_u32 s8, 0
	v_mov_b32_e32 v5, v1
	v_mad_u64_u32 v[2:3], s[10:11], v3, s12, v[2:3]
	v_mov_b32_e32 v1, v10
	s_cbranch_scc1 .LBB433_1113
.LBB433_1114:
	s_cbranch_execnz .LBB433_1117
.LBB433_1115:
	s_load_dwordx4 s[4:7], s[34:35], 0x4
	s_load_dwordx2 s[8:9], s[34:35], 0xc4
	s_cmp_lt_u32 s33, 2
	s_waitcnt lgkmcnt(0)
	v_mul_hi_u32 v1, s5, v0
	v_add_u32_e32 v1, v0, v1
	v_lshrrev_b32_e32 v1, s6, v1
	v_mul_lo_u32 v2, v1, s4
	v_sub_u32_e32 v0, v0, v2
	v_mul_lo_u32 v10, v0, s9
	v_mul_lo_u32 v2, v0, s8
	s_cbranch_scc1 .LBB433_1117
; %bb.1116:
	s_load_dwordx4 s[4:7], s[34:35], 0x10
	s_load_dwordx2 s[8:9], s[34:35], 0xcc
	s_waitcnt lgkmcnt(0)
	v_mul_hi_u32 v0, s5, v1
	v_add_u32_e32 v0, v1, v0
	v_lshrrev_b32_e32 v0, s6, v0
	v_mul_lo_u32 v0, v0, s4
	v_sub_u32_e32 v0, v1, v0
	v_mad_u64_u32 v[2:3], s[4:5], v0, s8, v[2:3]
	v_mad_u64_u32 v[10:11], s[4:5], v0, s9, v[10:11]
.LBB433_1117:
	s_and_b64 vcc, exec, s[2:3]
	s_cbranch_vccnz .LBB433_1123
; %bb.1118:
	s_cmp_lg_u32 s33, 0
	s_mov_b32 s30, 0
	s_cbranch_scc0 .LBB433_1124
; %bb.1119:
	s_min_u32 s31, s72, 15
	s_add_i32 s31, s31, 1
	s_cmp_eq_u32 s72, 2
	s_cbranch_scc1 .LBB433_1125
; %bb.1120:
	s_and_b32 s30, s31, 28
	s_add_u32 s2, s34, 0xc4
	s_addc_u32 s3, s35, 0
	s_mov_b32 s36, 0
	v_mov_b32_e32 v0, 0
	v_mov_b32_e32 v8, 0
	s_mov_b64 s[28:29], s[34:35]
	v_mov_b32_e32 v3, v16
.LBB433_1121:                           ; =>This Inner Loop Header: Depth=1
	s_load_dwordx8 s[12:19], s[28:29], 0x4
	s_load_dwordx4 s[20:23], s[28:29], 0x24
	s_load_dwordx8 s[4:11], s[2:3], 0x0
	s_add_u32 s28, s28, 48
	s_addc_u32 s29, s29, 0
	s_waitcnt lgkmcnt(0)
	v_mul_hi_u32 v1, s13, v3
	v_add_u32_e32 v1, v3, v1
	v_lshrrev_b32_e32 v1, s14, v1
	s_waitcnt vmcnt(0)
	v_mul_lo_u32 v5, v1, s12
	v_mul_hi_u32 v7, s16, v1
	v_sub_u32_e32 v3, v3, v5
	v_add_u32_e32 v5, v1, v7
	v_lshrrev_b32_e32 v5, s17, v5
	v_mul_lo_u32 v9, v5, s15
	v_mul_hi_u32 v11, s19, v5
	v_sub_u32_e32 v1, v1, v9
	v_add_u32_e32 v9, v5, v11
	v_mul_lo_u32 v7, v3, s5
	v_mul_lo_u32 v3, v3, s4
	;; [unrolled: 1-line block ×4, first 2 shown]
	v_lshrrev_b32_e32 v9, s20, v9
	v_add3_u32 v0, v3, v0, v1
	v_add3_u32 v1, v7, v8, v11
	v_mul_lo_u32 v3, v9, s18
	v_mul_hi_u32 v7, s22, v9
	v_sub_u32_e32 v3, v5, v3
	v_add_u32_e32 v5, v9, v7
	v_mul_lo_u32 v7, v3, s8
	v_mul_lo_u32 v8, v3, s9
	v_lshrrev_b32_e32 v3, s23, v5
	s_add_i32 s36, s36, 4
	v_mul_lo_u32 v5, v3, s21
	s_add_u32 s2, s2, 32
	v_sub_u32_e32 v5, v9, v5
	s_addc_u32 s3, s3, 0
	v_mul_lo_u32 v9, v5, s10
	v_mul_lo_u32 v5, v5, s11
	s_cmp_lg_u32 s30, s36
	v_add3_u32 v8, v8, v1, v5
	v_add3_u32 v0, v7, v0, v9
	s_cbranch_scc1 .LBB433_1121
; %bb.1122:
	v_mov_b32_e32 v1, v8
	s_and_b32 s6, s31, 3
	s_cmp_eq_u32 s6, 0
	s_cbranch_scc0 .LBB433_1126
	s_branch .LBB433_1128
.LBB433_1123:
                                        ; implicit-def: $vgpr8
                                        ; implicit-def: $vgpr0
	s_branch .LBB433_1129
.LBB433_1124:
	v_mov_b32_e32 v8, 0
	v_mov_b32_e32 v0, 0
	s_branch .LBB433_1128
.LBB433_1125:
	v_mov_b32_e32 v0, 0
                                        ; implicit-def: $vgpr8
	v_mov_b32_e32 v1, v0
	v_mov_b32_e32 v3, v16
	s_and_b32 s6, s31, 3
	s_cmp_eq_u32 s6, 0
	s_cbranch_scc1 .LBB433_1128
.LBB433_1126:
	s_lshl_b32 s2, s30, 3
	s_add_u32 s2, s34, s2
	s_addc_u32 s3, s35, 0
	s_add_u32 s2, s2, 0xc4
	s_addc_u32 s3, s3, 0
	s_mul_i32 s4, s30, 12
	s_add_u32 s4, s34, s4
	s_addc_u32 s5, s35, 0
.LBB433_1127:                           ; =>This Inner Loop Header: Depth=1
	s_load_dwordx2 s[8:9], s[4:5], 0x4
	s_load_dword s7, s[4:5], 0xc
	s_load_dwordx2 s[10:11], s[2:3], 0x0
	v_mov_b32_e32 v8, v1
	s_add_u32 s4, s4, 12
	s_waitcnt lgkmcnt(0)
	v_mul_hi_u32 v1, s9, v3
	v_add_u32_e32 v1, v3, v1
	v_lshrrev_b32_e32 v1, s7, v1
	s_addc_u32 s5, s5, 0
	s_waitcnt vmcnt(0)
	v_mul_lo_u32 v5, v1, s8
	s_add_u32 s2, s2, 8
	v_sub_u32_e32 v5, v3, v5
	s_addc_u32 s3, s3, 0
	s_add_i32 s6, s6, -1
	v_mov_b32_e32 v3, v1
	v_mad_u64_u32 v[8:9], s[8:9], v5, s11, v[8:9]
	v_mad_u64_u32 v[0:1], s[8:9], v5, s10, v[0:1]
	s_cmp_lg_u32 s6, 0
	v_mov_b32_e32 v1, v8
	s_cbranch_scc1 .LBB433_1127
.LBB433_1128:
	s_cbranch_execnz .LBB433_1131
.LBB433_1129:
	s_load_dwordx4 s[4:7], s[34:35], 0x4
	s_load_dwordx2 s[2:3], s[34:35], 0xc4
	s_cmp_lt_u32 s33, 2
	s_waitcnt lgkmcnt(0)
	v_mul_hi_u32 v0, s5, v16
	v_add_u32_e32 v0, v16, v0
	v_lshrrev_b32_e32 v1, s6, v0
	v_mul_lo_u32 v0, v1, s4
	v_sub_u32_e32 v0, v16, v0
	v_mul_lo_u32 v8, v0, s3
	v_mul_lo_u32 v0, v0, s2
	s_cbranch_scc1 .LBB433_1131
; %bb.1130:
	s_load_dwordx4 s[4:7], s[34:35], 0x10
	s_load_dwordx2 s[2:3], s[34:35], 0xcc
	s_waitcnt lgkmcnt(0)
	v_mul_hi_u32 v3, s5, v1
	v_add_u32_e32 v3, v1, v3
	v_lshrrev_b32_e32 v3, s6, v3
	v_mul_lo_u32 v3, v3, s4
	v_sub_u32_e32 v3, v1, v3
	v_mad_u64_u32 v[0:1], s[4:5], v3, s2, v[0:1]
	v_mad_u64_u32 v[8:9], s[2:3], v3, s3, v[8:9]
.LBB433_1131:
	s_load_dword s14, s[0:1], 0x160
	s_load_dwordx4 s[4:7], s[34:35], 0x148
	v_mov_b32_e32 v15, 0
	s_waitcnt lgkmcnt(0)
	s_bfe_u32 s12, s14, 0x80010
	s_cmp_lt_i32 s12, 11
	v_lshl_add_u64 v[16:17], s[6:7], 0, v[14:15]
	s_cbranch_scc1 .LBB433_1138
; %bb.1132:
	s_and_b32 s13, 0xffff, s12
	s_cmp_gt_i32 s13, 25
	s_mov_b64 s[8:9], 0
	s_cbranch_scc0 .LBB433_1140
; %bb.1133:
	s_cmp_gt_i32 s13, 28
	s_cbranch_scc0 .LBB433_1141
; %bb.1134:
	s_cmp_gt_i32 s13, 43
	;; [unrolled: 3-line block ×3, first 2 shown]
	s_cbranch_scc0 .LBB433_1143
; %bb.1136:
	s_cmp_eq_u32 s13, 46
	s_mov_b64 s[2:3], 0
	s_cbranch_scc0 .LBB433_1146
; %bb.1137:
	global_load_dword v1, v[16:17], off
	s_mov_b64 s[0:1], 0
	s_mov_b64 s[10:11], -1
	s_waitcnt vmcnt(0)
	v_lshlrev_b32_e32 v1, 16, v1
	v_cvt_i32_f32_e32 v14, v1
	s_branch .LBB433_1147
.LBB433_1138:
	s_mov_b64 s[10:11], 0
                                        ; implicit-def: $vgpr14
	s_mov_b64 s[2:3], s[24:25]
	s_cbranch_execnz .LBB433_1205
.LBB433_1139:
	s_andn2_b64 vcc, exec, s[10:11]
	s_cbranch_vccz .LBB433_1250
	s_branch .LBB433_2059
.LBB433_1140:
	s_mov_b64 s[10:11], 0
	s_mov_b64 s[0:1], 0
                                        ; implicit-def: $vgpr14
	s_cbranch_execnz .LBB433_1172
	s_branch .LBB433_1201
.LBB433_1141:
	s_mov_b64 s[10:11], 0
	s_mov_b64 s[0:1], 0
                                        ; implicit-def: $vgpr14
	s_cbranch_execz .LBB433_1171
	s_branch .LBB433_1156
.LBB433_1142:
	s_mov_b64 s[10:11], 0
	s_mov_b64 s[0:1], 0
                                        ; implicit-def: $vgpr14
	s_cbranch_execnz .LBB433_1152
	s_branch .LBB433_1155
.LBB433_1143:
	s_mov_b64 s[2:3], -1
	s_mov_b64 s[10:11], 0
	s_mov_b64 s[0:1], 0
                                        ; implicit-def: $vgpr14
	s_branch .LBB433_1147
.LBB433_1144:
	s_andn2_saveexec_b64 s[12:13], s[12:13]
	s_cbranch_execz .LBB433_987
.LBB433_1145:
	s_mov_b32 s14, 0x46000000
	v_add_f32_e64 v1, |v0|, s14
	v_and_b32_e32 v1, 0xff, v1
	v_cmp_ne_u32_e32 vcc, 0, v1
	s_andn2_b64 s[10:11], s[10:11], exec
	s_and_b64 s[14:15], vcc, exec
	s_or_b64 s[10:11], s[10:11], s[14:15]
	s_or_b64 exec, exec, s[12:13]
	v_mov_b32_e32 v4, 0
	s_and_saveexec_b64 s[12:13], s[10:11]
	s_cbranch_execnz .LBB433_988
	s_branch .LBB433_989
.LBB433_1146:
	s_mov_b64 s[0:1], -1
                                        ; implicit-def: $vgpr14
	s_mov_b64 s[10:11], 0
.LBB433_1147:
	s_and_b64 vcc, exec, s[2:3]
	s_cbranch_vccz .LBB433_1150
; %bb.1148:
	s_cmp_eq_u32 s13, 44
	s_cbranch_scc0 .LBB433_1151
; %bb.1149:
	global_load_ubyte v1, v[16:17], off
	s_mov_b64 s[0:1], 0
	s_mov_b64 s[10:11], -1
	s_waitcnt vmcnt(0)
	v_lshlrev_b32_e32 v3, 23, v1
	v_cvt_i32_f32_e32 v3, v3
	v_cmp_ne_u32_e32 vcc, 0, v1
	s_nop 1
	v_cndmask_b32_e32 v14, 0, v3, vcc
.LBB433_1150:
	s_branch .LBB433_1155
.LBB433_1151:
	s_mov_b64 s[0:1], -1
                                        ; implicit-def: $vgpr14
	s_branch .LBB433_1155
.LBB433_1152:
	s_cmp_eq_u32 s13, 29
	s_cbranch_scc0 .LBB433_1154
; %bb.1153:
	global_load_dwordx2 v[14:15], v[16:17], off
	s_mov_b64 s[0:1], 0
	s_mov_b64 s[10:11], -1
	s_branch .LBB433_1155
.LBB433_1154:
	s_mov_b64 s[0:1], -1
                                        ; implicit-def: $vgpr14
.LBB433_1155:
	s_branch .LBB433_1171
.LBB433_1156:
	s_cmp_lt_i32 s13, 27
	s_cbranch_scc1 .LBB433_1159
; %bb.1157:
	s_cmp_gt_i32 s13, 27
	s_cbranch_scc0 .LBB433_1160
; %bb.1158:
	global_load_dword v14, v[16:17], off
	s_mov_b64 s[2:3], 0
	s_branch .LBB433_1161
.LBB433_1159:
	s_mov_b64 s[2:3], -1
                                        ; implicit-def: $vgpr14
	s_branch .LBB433_1164
.LBB433_1160:
	s_mov_b64 s[2:3], -1
                                        ; implicit-def: $vgpr14
.LBB433_1161:
	s_andn2_b64 vcc, exec, s[2:3]
	s_cbranch_vccnz .LBB433_1163
; %bb.1162:
	global_load_ushort v14, v[16:17], off
.LBB433_1163:
	s_mov_b64 s[2:3], 0
.LBB433_1164:
	s_andn2_b64 vcc, exec, s[2:3]
	s_cbranch_vccnz .LBB433_1170
; %bb.1165:
	global_load_ubyte v1, v[16:17], off
	s_movk_i32 s2, 0x7f
	s_mov_b64 s[10:11], 0
	s_waitcnt vmcnt(0)
	v_cmp_lt_i16_e32 vcc, s2, v1
	s_and_saveexec_b64 s[2:3], vcc
	s_xor_b64 s[2:3], exec, s[2:3]
	s_cbranch_execz .LBB433_1181
; %bb.1166:
	s_movk_i32 s10, 0x80
	v_cmp_ne_u16_e32 vcc, s10, v1
	s_and_b64 s[10:11], vcc, exec
	s_andn2_saveexec_b64 s[2:3], s[2:3]
	s_cbranch_execnz .LBB433_1182
.LBB433_1167:
	s_or_b64 exec, exec, s[2:3]
	v_mov_b32_e32 v14, 0
	s_and_saveexec_b64 s[2:3], s[10:11]
	s_cbranch_execz .LBB433_1169
.LBB433_1168:
	v_lshlrev_b32_e32 v3, 24, v1
	v_and_b32_e32 v1, 0xffff, v1
	v_and_b32_e32 v5, 7, v1
	v_ffbh_u32_e32 v9, v5
	v_min_u32_e32 v9, 32, v9
	v_subrev_u32_e32 v11, 28, v9
	v_bfe_u32 v7, v1, 3, 4
	v_lshlrev_b32_e32 v1, v11, v1
	v_sub_u32_e32 v9, 29, v9
	v_and_b32_e32 v1, 7, v1
	v_cmp_eq_u32_e32 vcc, 0, v7
	v_and_b32_e32 v3, 0x80000000, v3
	s_nop 0
	v_cndmask_b32_e32 v7, v7, v9, vcc
	v_cndmask_b32_e32 v1, v5, v1, vcc
	v_mov_b32_e32 v5, 0x3b800000
	v_lshlrev_b32_e32 v1, 20, v1
	v_lshl_add_u32 v5, v7, 23, v5
	v_or3_b32 v1, v3, v5, v1
	v_cvt_i32_f32_e32 v14, v1
.LBB433_1169:
	s_or_b64 exec, exec, s[2:3]
.LBB433_1170:
	s_mov_b64 s[10:11], -1
.LBB433_1171:
	s_branch .LBB433_1201
.LBB433_1172:
	s_cmp_gt_i32 s13, 22
	s_cbranch_scc0 .LBB433_1180
; %bb.1173:
	s_cmp_lt_i32 s13, 24
	s_cbranch_scc1 .LBB433_1183
; %bb.1174:
	s_cmp_gt_i32 s13, 24
	s_cbranch_scc0 .LBB433_1184
; %bb.1175:
	global_load_ubyte v1, v[16:17], off
	s_movk_i32 s2, 0x7f
	s_waitcnt vmcnt(0)
	v_cmp_lt_i16_e32 vcc, s2, v1
	s_and_saveexec_b64 s[2:3], vcc
	s_xor_b64 s[2:3], exec, s[2:3]
	s_cbranch_execz .LBB433_1195
; %bb.1176:
	s_movk_i32 s8, 0x80
	v_cmp_ne_u16_e32 vcc, s8, v1
	s_and_b64 s[8:9], vcc, exec
	s_andn2_saveexec_b64 s[2:3], s[2:3]
	s_cbranch_execnz .LBB433_1196
.LBB433_1177:
	s_or_b64 exec, exec, s[2:3]
	v_mov_b32_e32 v14, 0
	s_and_saveexec_b64 s[2:3], s[8:9]
	s_cbranch_execz .LBB433_1179
.LBB433_1178:
	v_lshlrev_b32_e32 v3, 24, v1
	v_and_b32_e32 v1, 0xffff, v1
	v_and_b32_e32 v5, 3, v1
	v_ffbh_u32_e32 v9, v5
	v_min_u32_e32 v9, 32, v9
	v_subrev_u32_e32 v11, 29, v9
	v_bfe_u32 v7, v1, 2, 5
	v_lshlrev_b32_e32 v1, v11, v1
	v_sub_u32_e32 v9, 30, v9
	v_and_b32_e32 v1, 3, v1
	v_cmp_eq_u32_e32 vcc, 0, v7
	v_and_b32_e32 v3, 0x80000000, v3
	s_nop 0
	v_cndmask_b32_e32 v7, v7, v9, vcc
	v_cndmask_b32_e32 v1, v5, v1, vcc
	v_mov_b32_e32 v5, 0x37800000
	v_lshlrev_b32_e32 v1, 21, v1
	v_lshl_add_u32 v5, v7, 23, v5
	v_or3_b32 v1, v3, v5, v1
	v_cvt_i32_f32_e32 v14, v1
.LBB433_1179:
	s_or_b64 exec, exec, s[2:3]
	s_mov_b64 s[2:3], 0
	s_branch .LBB433_1185
.LBB433_1180:
                                        ; implicit-def: $vgpr14
	s_mov_b64 s[8:9], 0
	s_branch .LBB433_1191
.LBB433_1181:
	s_andn2_saveexec_b64 s[2:3], s[2:3]
	s_cbranch_execz .LBB433_1167
.LBB433_1182:
	v_cmp_ne_u16_e32 vcc, 0, v1
	s_andn2_b64 s[10:11], s[10:11], exec
	s_and_b64 s[16:17], vcc, exec
	s_or_b64 s[10:11], s[10:11], s[16:17]
	s_or_b64 exec, exec, s[2:3]
	v_mov_b32_e32 v14, 0
	s_and_saveexec_b64 s[2:3], s[10:11]
	s_cbranch_execnz .LBB433_1168
	s_branch .LBB433_1169
.LBB433_1183:
	s_mov_b64 s[2:3], -1
                                        ; implicit-def: $vgpr14
	s_branch .LBB433_1188
.LBB433_1184:
	s_mov_b64 s[2:3], -1
                                        ; implicit-def: $vgpr14
.LBB433_1185:
	s_and_b64 vcc, exec, s[2:3]
	s_cbranch_vccz .LBB433_1187
; %bb.1186:
	global_load_ubyte v1, v[16:17], off
	s_mov_b32 s2, 0x7f800000
	s_waitcnt vmcnt(0)
	v_lshlrev_b32_e32 v1, 24, v1
	v_and_b32_e32 v3, 0x7f000000, v1
	v_ffbh_u32_e32 v5, v3
	v_min_u32_e32 v5, 32, v5
	v_sub_u32_e64 v5, v5, 4 clamp
	v_lshlrev_b32_e32 v9, v5, v3
	v_lshlrev_b32_e32 v5, 23, v5
	v_lshrrev_b32_e32 v9, 4, v9
	v_add_u32_e32 v7, 0x1000000, v3
	v_sub_u32_e32 v5, v9, v5
	v_ashrrev_i32_e32 v7, 8, v7
	v_add_u32_e32 v5, 0x3c000000, v5
	v_and_or_b32 v5, v7, s2, v5
	v_cmp_ne_u32_e32 vcc, 0, v3
	s_brev_b32 s2, 1
	s_nop 0
	v_cndmask_b32_e32 v3, 0, v5, vcc
	v_and_or_b32 v1, v1, s2, v3
	v_cvt_i32_f32_e32 v14, v1
.LBB433_1187:
	s_mov_b64 s[2:3], 0
.LBB433_1188:
	s_andn2_b64 vcc, exec, s[2:3]
	s_cbranch_vccnz .LBB433_1190
; %bb.1189:
	global_load_ubyte v1, v[16:17], off
	s_movk_i32 s2, 0x7f00
	s_brev_b32 s3, 16
	s_waitcnt vmcnt(0)
	v_lshlrev_b16_e32 v3, 8, v1
	v_lshlrev_b32_e32 v1, 25, v1
	v_lshrrev_b32_e32 v5, 4, v1
	v_and_or_b32 v7, v3, s2, 0.5
	v_or_b32_e32 v5, 0x70000000, v5
	v_add_f32_e32 v7, -0.5, v7
	v_mul_f32_e32 v5, 0x7800000, v5
	v_cmp_gt_u32_e32 vcc, s3, v1
	v_bfe_i32 v3, v3, 0, 16
	s_brev_b32 s2, 1
	v_cndmask_b32_e32 v1, v5, v7, vcc
	v_and_or_b32 v1, v3, s2, v1
	v_cvt_i32_f32_e32 v14, v1
.LBB433_1190:
	s_mov_b64 s[10:11], -1
	s_mov_b64 s[8:9], 0
	s_cbranch_execnz .LBB433_1201
.LBB433_1191:
	s_cmp_gt_i32 s13, 14
	s_cbranch_scc0 .LBB433_1194
; %bb.1192:
	s_cmp_eq_u32 s13, 15
	s_cbranch_scc0 .LBB433_1197
; %bb.1193:
	global_load_ushort v1, v[16:17], off
	s_mov_b64 s[0:1], 0
	s_mov_b64 s[10:11], -1
	s_waitcnt vmcnt(0)
	v_lshlrev_b32_e32 v1, 16, v1
	v_cvt_i32_f32_e32 v14, v1
	s_branch .LBB433_1198
.LBB433_1194:
	s_mov_b64 s[2:3], -1
                                        ; implicit-def: $vgpr14
	s_branch .LBB433_1199
.LBB433_1195:
	s_andn2_saveexec_b64 s[2:3], s[2:3]
	s_cbranch_execz .LBB433_1177
.LBB433_1196:
	v_cmp_ne_u16_e32 vcc, 0, v1
	s_andn2_b64 s[8:9], s[8:9], exec
	s_and_b64 s[10:11], vcc, exec
	s_or_b64 s[8:9], s[8:9], s[10:11]
	s_or_b64 exec, exec, s[2:3]
	v_mov_b32_e32 v14, 0
	s_and_saveexec_b64 s[2:3], s[8:9]
	s_cbranch_execnz .LBB433_1178
	s_branch .LBB433_1179
.LBB433_1197:
	s_mov_b64 s[0:1], -1
                                        ; implicit-def: $vgpr14
.LBB433_1198:
	s_mov_b64 s[2:3], 0
.LBB433_1199:
	s_and_b64 vcc, exec, s[2:3]
	s_cbranch_vccz .LBB433_1201
; %bb.1200:
	s_cmp_lg_u32 s13, 11
	s_mov_b64 s[8:9], -1
	s_cselect_b64 s[0:1], -1, 0
.LBB433_1201:
	s_and_b64 vcc, exec, s[0:1]
	s_mov_b64 s[2:3], s[24:25]
	s_cbranch_vccnz .LBB433_1262
; %bb.1202:
	s_andn2_b64 vcc, exec, s[8:9]
	s_cbranch_vccnz .LBB433_1204
.LBB433_1203:
	global_load_ubyte v1, v[16:17], off
	s_mov_b64 s[10:11], -1
	s_waitcnt vmcnt(0)
	v_cmp_ne_u16_e32 vcc, 0, v1
	s_nop 1
	v_cndmask_b32_e64 v14, 0, 1, vcc
.LBB433_1204:
	s_branch .LBB433_1139
.LBB433_1205:
	s_and_b32 s8, 0xffff, s12
	s_cmp_lt_i32 s8, 5
	s_cbranch_scc1 .LBB433_1210
; %bb.1206:
	s_cmp_lt_i32 s8, 8
	s_cbranch_scc1 .LBB433_1211
; %bb.1207:
	;; [unrolled: 3-line block ×3, first 2 shown]
	s_cmp_gt_i32 s8, 9
	s_cbranch_scc0 .LBB433_1213
; %bb.1209:
	global_load_dwordx2 v[14:15], v[16:17], off
	s_mov_b64 s[0:1], 0
	s_waitcnt vmcnt(0)
	v_cvt_i32_f64_e32 v14, v[14:15]
	s_branch .LBB433_1214
.LBB433_1210:
                                        ; implicit-def: $vgpr14
	s_branch .LBB433_1231
.LBB433_1211:
                                        ; implicit-def: $vgpr14
	s_branch .LBB433_1220
.LBB433_1212:
	s_mov_b64 s[0:1], -1
                                        ; implicit-def: $vgpr14
	s_branch .LBB433_1217
.LBB433_1213:
	s_mov_b64 s[0:1], -1
                                        ; implicit-def: $vgpr14
.LBB433_1214:
	s_andn2_b64 vcc, exec, s[0:1]
	s_cbranch_vccnz .LBB433_1216
; %bb.1215:
	global_load_dword v1, v[16:17], off
	s_waitcnt vmcnt(0)
	v_cvt_i32_f32_e32 v14, v1
.LBB433_1216:
	s_mov_b64 s[0:1], 0
.LBB433_1217:
	s_andn2_b64 vcc, exec, s[0:1]
	s_cbranch_vccnz .LBB433_1219
; %bb.1218:
	global_load_dword v1, v[16:17], off
	s_waitcnt vmcnt(0)
	v_cvt_i16_f16_e32 v14, v1
.LBB433_1219:
	s_cbranch_execnz .LBB433_1230
.LBB433_1220:
	s_cmp_lt_i32 s8, 6
	s_cbranch_scc1 .LBB433_1223
; %bb.1221:
	s_cmp_gt_i32 s8, 6
	s_cbranch_scc0 .LBB433_1224
; %bb.1222:
	global_load_dwordx2 v[14:15], v[16:17], off
	s_mov_b64 s[0:1], 0
	s_waitcnt vmcnt(0)
	v_cvt_i32_f64_e32 v14, v[14:15]
	s_branch .LBB433_1225
.LBB433_1223:
	s_mov_b64 s[0:1], -1
                                        ; implicit-def: $vgpr14
	s_branch .LBB433_1228
.LBB433_1224:
	s_mov_b64 s[0:1], -1
                                        ; implicit-def: $vgpr14
.LBB433_1225:
	s_andn2_b64 vcc, exec, s[0:1]
	s_cbranch_vccnz .LBB433_1227
; %bb.1226:
	global_load_dword v1, v[16:17], off
	s_waitcnt vmcnt(0)
	v_cvt_i32_f32_e32 v14, v1
.LBB433_1227:
	s_mov_b64 s[0:1], 0
.LBB433_1228:
	s_andn2_b64 vcc, exec, s[0:1]
	s_cbranch_vccnz .LBB433_1230
; %bb.1229:
	global_load_ushort v1, v[16:17], off
	s_waitcnt vmcnt(0)
	v_cvt_i16_f16_e32 v14, v1
.LBB433_1230:
	s_cbranch_execnz .LBB433_1249
.LBB433_1231:
	s_cmp_lt_i32 s8, 2
	s_cbranch_scc1 .LBB433_1235
; %bb.1232:
	s_cmp_lt_i32 s8, 3
	s_cbranch_scc1 .LBB433_1236
; %bb.1233:
	s_cmp_gt_i32 s8, 3
	s_cbranch_scc0 .LBB433_1237
; %bb.1234:
	global_load_dwordx2 v[14:15], v[16:17], off
	s_mov_b64 s[0:1], 0
	s_branch .LBB433_1238
.LBB433_1235:
                                        ; implicit-def: $vgpr14
	s_branch .LBB433_1244
.LBB433_1236:
	s_mov_b64 s[0:1], -1
                                        ; implicit-def: $vgpr14
	s_branch .LBB433_1241
.LBB433_1237:
	s_mov_b64 s[0:1], -1
                                        ; implicit-def: $vgpr14
.LBB433_1238:
	s_andn2_b64 vcc, exec, s[0:1]
	s_cbranch_vccnz .LBB433_1240
; %bb.1239:
	global_load_dword v14, v[16:17], off
.LBB433_1240:
	s_mov_b64 s[0:1], 0
.LBB433_1241:
	s_andn2_b64 vcc, exec, s[0:1]
	s_cbranch_vccnz .LBB433_1243
; %bb.1242:
	global_load_ushort v14, v[16:17], off
.LBB433_1243:
	s_cbranch_execnz .LBB433_1249
.LBB433_1244:
	s_cmp_gt_i32 s8, 0
	s_cbranch_scc0 .LBB433_1246
; %bb.1245:
	global_load_ubyte v14, v[16:17], off
	s_mov_b64 s[0:1], 0
	s_branch .LBB433_1247
.LBB433_1246:
	s_mov_b64 s[0:1], -1
                                        ; implicit-def: $vgpr14
.LBB433_1247:
	s_andn2_b64 vcc, exec, s[0:1]
	s_cbranch_vccnz .LBB433_1249
; %bb.1248:
	global_load_ubyte v14, v[16:17], off
.LBB433_1249:
.LBB433_1250:
	s_lshr_b32 s0, s14, 16
	v_mov_b32_e32 v13, 0
	s_and_b32 s15, s0, 0xff
	s_cmp_lt_i32 s15, 11
	v_lshl_add_u64 v[16:17], s[6:7], 0, v[12:13]
	s_cbranch_scc1 .LBB433_1257
; %bb.1251:
	s_and_b32 s16, 0xffff, s15
	s_cmp_gt_i32 s16, 25
	s_mov_b64 s[8:9], 0
	s_cbranch_scc0 .LBB433_1259
; %bb.1252:
	s_cmp_gt_i32 s16, 28
	s_cbranch_scc0 .LBB433_1260
; %bb.1253:
	s_cmp_gt_i32 s16, 43
	;; [unrolled: 3-line block ×3, first 2 shown]
	s_cbranch_scc0 .LBB433_1263
; %bb.1255:
	s_cmp_eq_u32 s16, 46
	s_mov_b64 s[12:13], 0
	s_cbranch_scc0 .LBB433_1266
; %bb.1256:
	global_load_dword v1, v[16:17], off
	s_mov_b64 s[0:1], 0
	s_mov_b64 s[10:11], -1
	s_waitcnt vmcnt(0)
	v_lshlrev_b32_e32 v1, 16, v1
	v_cvt_i32_f32_e32 v12, v1
	s_branch .LBB433_1267
.LBB433_1257:
	s_mov_b64 s[10:11], 0
                                        ; implicit-def: $vgpr12
	s_cbranch_execnz .LBB433_1328
.LBB433_1258:
	s_andn2_b64 vcc, exec, s[10:11]
	s_cbranch_vccnz .LBB433_2059
	s_branch .LBB433_1375
.LBB433_1259:
	s_mov_b64 s[10:11], 0
	s_mov_b64 s[0:1], 0
                                        ; implicit-def: $vgpr12
	s_cbranch_execnz .LBB433_1294
	s_branch .LBB433_1324
.LBB433_1260:
	s_mov_b64 s[12:13], -1
	s_mov_b64 s[10:11], 0
	s_mov_b64 s[0:1], 0
                                        ; implicit-def: $vgpr12
	s_branch .LBB433_1277
.LBB433_1261:
	s_mov_b64 s[12:13], -1
	s_mov_b64 s[10:11], 0
	s_mov_b64 s[0:1], 0
                                        ; implicit-def: $vgpr12
	s_branch .LBB433_1272
.LBB433_1262:
	s_or_b64 s[2:3], s[24:25], exec
	s_trap 2
	s_cbranch_execz .LBB433_1203
	s_branch .LBB433_1204
.LBB433_1263:
	s_mov_b64 s[12:13], -1
	s_mov_b64 s[10:11], 0
	s_mov_b64 s[0:1], 0
                                        ; implicit-def: $vgpr12
	s_branch .LBB433_1267
.LBB433_1264:
	s_andn2_saveexec_b64 s[14:15], s[14:15]
	s_cbranch_execz .LBB433_999
.LBB433_1265:
	s_mov_b32 s18, 0x42800000
	v_add_f32_e64 v1, |v0|, s18
	v_and_b32_e32 v1, 0xff, v1
	v_cmp_ne_u32_e32 vcc, 0, v1
	s_andn2_b64 s[12:13], s[12:13], exec
	s_and_b64 s[18:19], vcc, exec
	s_or_b64 s[12:13], s[12:13], s[18:19]
	s_or_b64 exec, exec, s[14:15]
	v_mov_b32_e32 v4, 0
	s_and_saveexec_b64 s[14:15], s[12:13]
	s_cbranch_execnz .LBB433_1000
	s_branch .LBB433_1001
.LBB433_1266:
	s_mov_b64 s[0:1], -1
                                        ; implicit-def: $vgpr12
	s_mov_b64 s[10:11], 0
.LBB433_1267:
	s_and_b64 vcc, exec, s[12:13]
	s_cbranch_vccz .LBB433_1271
; %bb.1268:
	s_cmp_eq_u32 s16, 44
	s_cbranch_scc0 .LBB433_1270
; %bb.1269:
	global_load_ubyte v1, v[16:17], off
	s_mov_b64 s[0:1], 0
	s_mov_b64 s[10:11], -1
	s_waitcnt vmcnt(0)
	v_lshlrev_b32_e32 v3, 23, v1
	v_cvt_i32_f32_e32 v3, v3
	v_cmp_ne_u32_e32 vcc, 0, v1
	s_nop 1
	v_cndmask_b32_e32 v12, 0, v3, vcc
	s_branch .LBB433_1271
.LBB433_1270:
	s_mov_b64 s[0:1], -1
                                        ; implicit-def: $vgpr12
.LBB433_1271:
	s_mov_b64 s[12:13], 0
.LBB433_1272:
	s_and_b64 vcc, exec, s[12:13]
	s_cbranch_vccz .LBB433_1276
; %bb.1273:
	s_cmp_eq_u32 s16, 29
	s_cbranch_scc0 .LBB433_1275
; %bb.1274:
	global_load_dwordx2 v[12:13], v[16:17], off
	s_mov_b64 s[0:1], 0
	s_mov_b64 s[10:11], -1
	s_branch .LBB433_1276
.LBB433_1275:
	s_mov_b64 s[0:1], -1
                                        ; implicit-def: $vgpr12
.LBB433_1276:
	s_mov_b64 s[12:13], 0
.LBB433_1277:
	s_and_b64 vcc, exec, s[12:13]
	s_cbranch_vccz .LBB433_1293
; %bb.1278:
	s_cmp_lt_i32 s16, 27
	s_cbranch_scc1 .LBB433_1281
; %bb.1279:
	s_cmp_gt_i32 s16, 27
	s_cbranch_scc0 .LBB433_1282
; %bb.1280:
	global_load_dword v12, v[16:17], off
	s_mov_b64 s[10:11], 0
	s_branch .LBB433_1283
.LBB433_1281:
	s_mov_b64 s[10:11], -1
                                        ; implicit-def: $vgpr12
	s_branch .LBB433_1286
.LBB433_1282:
	s_mov_b64 s[10:11], -1
                                        ; implicit-def: $vgpr12
.LBB433_1283:
	s_andn2_b64 vcc, exec, s[10:11]
	s_cbranch_vccnz .LBB433_1285
; %bb.1284:
	global_load_ushort v12, v[16:17], off
.LBB433_1285:
	s_mov_b64 s[10:11], 0
.LBB433_1286:
	s_andn2_b64 vcc, exec, s[10:11]
	s_cbranch_vccnz .LBB433_1292
; %bb.1287:
	global_load_ubyte v1, v[16:17], off
	s_movk_i32 s10, 0x7f
	s_mov_b64 s[12:13], 0
	s_waitcnt vmcnt(0)
	v_cmp_lt_i16_e32 vcc, s10, v1
	s_and_saveexec_b64 s[10:11], vcc
	s_xor_b64 s[10:11], exec, s[10:11]
	s_cbranch_execz .LBB433_1303
; %bb.1288:
	s_movk_i32 s12, 0x80
	v_cmp_ne_u16_e32 vcc, s12, v1
	s_and_b64 s[12:13], vcc, exec
	s_andn2_saveexec_b64 s[10:11], s[10:11]
	s_cbranch_execnz .LBB433_1304
.LBB433_1289:
	s_or_b64 exec, exec, s[10:11]
	v_mov_b32_e32 v12, 0
	s_and_saveexec_b64 s[10:11], s[12:13]
	s_cbranch_execz .LBB433_1291
.LBB433_1290:
	v_lshlrev_b32_e32 v3, 24, v1
	v_and_b32_e32 v1, 0xffff, v1
	v_and_b32_e32 v5, 7, v1
	v_ffbh_u32_e32 v9, v5
	v_min_u32_e32 v9, 32, v9
	v_subrev_u32_e32 v11, 28, v9
	v_bfe_u32 v7, v1, 3, 4
	v_lshlrev_b32_e32 v1, v11, v1
	v_sub_u32_e32 v9, 29, v9
	v_and_b32_e32 v1, 7, v1
	v_cmp_eq_u32_e32 vcc, 0, v7
	v_and_b32_e32 v3, 0x80000000, v3
	s_nop 0
	v_cndmask_b32_e32 v7, v7, v9, vcc
	v_cndmask_b32_e32 v1, v5, v1, vcc
	v_mov_b32_e32 v5, 0x3b800000
	v_lshlrev_b32_e32 v1, 20, v1
	v_lshl_add_u32 v5, v7, 23, v5
	v_or3_b32 v1, v3, v5, v1
	v_cvt_i32_f32_e32 v12, v1
.LBB433_1291:
	s_or_b64 exec, exec, s[10:11]
.LBB433_1292:
	s_mov_b64 s[10:11], -1
.LBB433_1293:
	s_branch .LBB433_1324
.LBB433_1294:
	s_cmp_gt_i32 s16, 22
	s_cbranch_scc0 .LBB433_1302
; %bb.1295:
	s_cmp_lt_i32 s16, 24
	s_cbranch_scc1 .LBB433_1305
; %bb.1296:
	s_cmp_gt_i32 s16, 24
	s_cbranch_scc0 .LBB433_1306
; %bb.1297:
	global_load_ubyte v1, v[16:17], off
	s_movk_i32 s8, 0x7f
	s_mov_b64 s[10:11], 0
	s_waitcnt vmcnt(0)
	v_cmp_lt_i16_e32 vcc, s8, v1
	s_and_saveexec_b64 s[8:9], vcc
	s_xor_b64 s[8:9], exec, s[8:9]
	s_cbranch_execz .LBB433_1318
; %bb.1298:
	s_movk_i32 s10, 0x80
	v_cmp_ne_u16_e32 vcc, s10, v1
	s_and_b64 s[10:11], vcc, exec
	s_andn2_saveexec_b64 s[8:9], s[8:9]
	s_cbranch_execnz .LBB433_1319
.LBB433_1299:
	s_or_b64 exec, exec, s[8:9]
	v_mov_b32_e32 v12, 0
	s_and_saveexec_b64 s[8:9], s[10:11]
	s_cbranch_execz .LBB433_1301
.LBB433_1300:
	v_lshlrev_b32_e32 v3, 24, v1
	v_and_b32_e32 v1, 0xffff, v1
	v_and_b32_e32 v5, 3, v1
	v_ffbh_u32_e32 v9, v5
	v_min_u32_e32 v9, 32, v9
	v_subrev_u32_e32 v11, 29, v9
	v_bfe_u32 v7, v1, 2, 5
	v_lshlrev_b32_e32 v1, v11, v1
	v_sub_u32_e32 v9, 30, v9
	v_and_b32_e32 v1, 3, v1
	v_cmp_eq_u32_e32 vcc, 0, v7
	v_and_b32_e32 v3, 0x80000000, v3
	s_nop 0
	v_cndmask_b32_e32 v7, v7, v9, vcc
	v_cndmask_b32_e32 v1, v5, v1, vcc
	v_mov_b32_e32 v5, 0x37800000
	v_lshlrev_b32_e32 v1, 21, v1
	v_lshl_add_u32 v5, v7, 23, v5
	v_or3_b32 v1, v3, v5, v1
	v_cvt_i32_f32_e32 v12, v1
.LBB433_1301:
	s_or_b64 exec, exec, s[8:9]
	s_mov_b64 s[8:9], 0
	s_branch .LBB433_1307
.LBB433_1302:
	s_mov_b64 s[8:9], -1
                                        ; implicit-def: $vgpr12
	s_branch .LBB433_1313
.LBB433_1303:
	s_andn2_saveexec_b64 s[10:11], s[10:11]
	s_cbranch_execz .LBB433_1289
.LBB433_1304:
	v_cmp_ne_u16_e32 vcc, 0, v1
	s_andn2_b64 s[12:13], s[12:13], exec
	s_and_b64 s[18:19], vcc, exec
	s_or_b64 s[12:13], s[12:13], s[18:19]
	s_or_b64 exec, exec, s[10:11]
	v_mov_b32_e32 v12, 0
	s_and_saveexec_b64 s[10:11], s[12:13]
	s_cbranch_execnz .LBB433_1290
	s_branch .LBB433_1291
.LBB433_1305:
	s_mov_b64 s[8:9], -1
                                        ; implicit-def: $vgpr12
	s_branch .LBB433_1310
.LBB433_1306:
	s_mov_b64 s[8:9], -1
                                        ; implicit-def: $vgpr12
.LBB433_1307:
	s_and_b64 vcc, exec, s[8:9]
	s_cbranch_vccz .LBB433_1309
; %bb.1308:
	global_load_ubyte v1, v[16:17], off
	s_mov_b32 s8, 0x7f800000
	s_waitcnt vmcnt(0)
	v_lshlrev_b32_e32 v1, 24, v1
	v_and_b32_e32 v3, 0x7f000000, v1
	v_ffbh_u32_e32 v5, v3
	v_min_u32_e32 v5, 32, v5
	v_sub_u32_e64 v5, v5, 4 clamp
	v_lshlrev_b32_e32 v9, v5, v3
	v_lshlrev_b32_e32 v5, 23, v5
	v_lshrrev_b32_e32 v9, 4, v9
	v_add_u32_e32 v7, 0x1000000, v3
	v_sub_u32_e32 v5, v9, v5
	v_ashrrev_i32_e32 v7, 8, v7
	v_add_u32_e32 v5, 0x3c000000, v5
	v_and_or_b32 v5, v7, s8, v5
	v_cmp_ne_u32_e32 vcc, 0, v3
	s_brev_b32 s8, 1
	s_nop 0
	v_cndmask_b32_e32 v3, 0, v5, vcc
	v_and_or_b32 v1, v1, s8, v3
	v_cvt_i32_f32_e32 v12, v1
.LBB433_1309:
	s_mov_b64 s[8:9], 0
.LBB433_1310:
	s_andn2_b64 vcc, exec, s[8:9]
	s_cbranch_vccnz .LBB433_1312
; %bb.1311:
	global_load_ubyte v1, v[16:17], off
	s_movk_i32 s8, 0x7f00
	s_brev_b32 s9, 16
	s_waitcnt vmcnt(0)
	v_lshlrev_b16_e32 v3, 8, v1
	v_lshlrev_b32_e32 v1, 25, v1
	v_lshrrev_b32_e32 v5, 4, v1
	v_and_or_b32 v7, v3, s8, 0.5
	v_or_b32_e32 v5, 0x70000000, v5
	v_add_f32_e32 v7, -0.5, v7
	v_mul_f32_e32 v5, 0x7800000, v5
	v_cmp_gt_u32_e32 vcc, s9, v1
	v_bfe_i32 v3, v3, 0, 16
	s_brev_b32 s8, 1
	v_cndmask_b32_e32 v1, v5, v7, vcc
	v_and_or_b32 v1, v3, s8, v1
	v_cvt_i32_f32_e32 v12, v1
.LBB433_1312:
	s_mov_b64 s[8:9], 0
	s_mov_b64 s[10:11], -1
.LBB433_1313:
	s_andn2_b64 vcc, exec, s[8:9]
	s_mov_b64 s[8:9], 0
	s_cbranch_vccnz .LBB433_1324
; %bb.1314:
	s_cmp_gt_i32 s16, 14
	s_cbranch_scc0 .LBB433_1317
; %bb.1315:
	s_cmp_eq_u32 s16, 15
	s_cbranch_scc0 .LBB433_1320
; %bb.1316:
	global_load_ushort v1, v[16:17], off
	s_mov_b64 s[0:1], 0
	s_mov_b64 s[10:11], -1
	s_waitcnt vmcnt(0)
	v_lshlrev_b32_e32 v1, 16, v1
	v_cvt_i32_f32_e32 v12, v1
	s_branch .LBB433_1321
.LBB433_1317:
	s_mov_b64 s[12:13], -1
                                        ; implicit-def: $vgpr12
	s_branch .LBB433_1322
.LBB433_1318:
	s_andn2_saveexec_b64 s[8:9], s[8:9]
	s_cbranch_execz .LBB433_1299
.LBB433_1319:
	v_cmp_ne_u16_e32 vcc, 0, v1
	s_andn2_b64 s[10:11], s[10:11], exec
	s_and_b64 s[12:13], vcc, exec
	s_or_b64 s[10:11], s[10:11], s[12:13]
	s_or_b64 exec, exec, s[8:9]
	v_mov_b32_e32 v12, 0
	s_and_saveexec_b64 s[8:9], s[10:11]
	s_cbranch_execnz .LBB433_1300
	s_branch .LBB433_1301
.LBB433_1320:
	s_mov_b64 s[0:1], -1
                                        ; implicit-def: $vgpr12
.LBB433_1321:
	s_mov_b64 s[12:13], 0
.LBB433_1322:
	s_and_b64 vcc, exec, s[12:13]
	s_cbranch_vccz .LBB433_1324
; %bb.1323:
	s_cmp_lg_u32 s16, 11
	s_mov_b64 s[8:9], -1
	s_cselect_b64 s[0:1], -1, 0
.LBB433_1324:
	s_and_b64 vcc, exec, s[0:1]
	s_cbranch_vccnz .LBB433_1387
; %bb.1325:
	s_andn2_b64 vcc, exec, s[8:9]
	s_cbranch_vccnz .LBB433_1327
.LBB433_1326:
	global_load_ubyte v1, v[16:17], off
	s_mov_b64 s[10:11], -1
	s_waitcnt vmcnt(0)
	v_cmp_ne_u16_e32 vcc, 0, v1
	s_nop 1
	v_cndmask_b32_e64 v12, 0, 1, vcc
.LBB433_1327:
	s_branch .LBB433_1258
.LBB433_1328:
	s_and_b32 s8, 0xffff, s15
	s_cmp_lt_i32 s8, 5
	s_cbranch_scc1 .LBB433_1333
; %bb.1329:
	s_cmp_lt_i32 s8, 8
	s_cbranch_scc1 .LBB433_1334
; %bb.1330:
	;; [unrolled: 3-line block ×3, first 2 shown]
	s_cmp_gt_i32 s8, 9
	s_cbranch_scc0 .LBB433_1336
; %bb.1332:
	global_load_dwordx2 v[12:13], v[16:17], off
	s_mov_b64 s[0:1], 0
	s_waitcnt vmcnt(0)
	v_cvt_i32_f64_e32 v12, v[12:13]
	s_branch .LBB433_1337
.LBB433_1333:
                                        ; implicit-def: $vgpr12
	s_branch .LBB433_1355
.LBB433_1334:
	s_mov_b64 s[0:1], -1
                                        ; implicit-def: $vgpr12
	s_branch .LBB433_1343
.LBB433_1335:
	s_mov_b64 s[0:1], -1
                                        ; implicit-def: $vgpr12
	s_branch .LBB433_1340
.LBB433_1336:
	s_mov_b64 s[0:1], -1
                                        ; implicit-def: $vgpr12
.LBB433_1337:
	s_andn2_b64 vcc, exec, s[0:1]
	s_cbranch_vccnz .LBB433_1339
; %bb.1338:
	global_load_dword v1, v[16:17], off
	s_waitcnt vmcnt(0)
	v_cvt_i32_f32_e32 v12, v1
.LBB433_1339:
	s_mov_b64 s[0:1], 0
.LBB433_1340:
	s_andn2_b64 vcc, exec, s[0:1]
	s_cbranch_vccnz .LBB433_1342
; %bb.1341:
	global_load_dword v1, v[16:17], off
	s_waitcnt vmcnt(0)
	v_cvt_i16_f16_e32 v12, v1
.LBB433_1342:
	s_mov_b64 s[0:1], 0
.LBB433_1343:
	s_andn2_b64 vcc, exec, s[0:1]
	s_cbranch_vccnz .LBB433_1354
; %bb.1344:
	s_cmp_lt_i32 s8, 6
	s_cbranch_scc1 .LBB433_1347
; %bb.1345:
	s_cmp_gt_i32 s8, 6
	s_cbranch_scc0 .LBB433_1348
; %bb.1346:
	global_load_dwordx2 v[12:13], v[16:17], off
	s_mov_b64 s[0:1], 0
	s_waitcnt vmcnt(0)
	v_cvt_i32_f64_e32 v12, v[12:13]
	s_branch .LBB433_1349
.LBB433_1347:
	s_mov_b64 s[0:1], -1
                                        ; implicit-def: $vgpr12
	s_branch .LBB433_1352
.LBB433_1348:
	s_mov_b64 s[0:1], -1
                                        ; implicit-def: $vgpr12
.LBB433_1349:
	s_andn2_b64 vcc, exec, s[0:1]
	s_cbranch_vccnz .LBB433_1351
; %bb.1350:
	global_load_dword v1, v[16:17], off
	s_waitcnt vmcnt(0)
	v_cvt_i32_f32_e32 v12, v1
.LBB433_1351:
	s_mov_b64 s[0:1], 0
.LBB433_1352:
	s_andn2_b64 vcc, exec, s[0:1]
	s_cbranch_vccnz .LBB433_1354
; %bb.1353:
	global_load_ushort v1, v[16:17], off
	s_waitcnt vmcnt(0)
	v_cvt_i16_f16_e32 v12, v1
.LBB433_1354:
	s_cbranch_execnz .LBB433_1374
.LBB433_1355:
	s_cmp_lt_i32 s8, 2
	s_cbranch_scc1 .LBB433_1359
; %bb.1356:
	s_cmp_lt_i32 s8, 3
	s_cbranch_scc1 .LBB433_1360
; %bb.1357:
	s_cmp_gt_i32 s8, 3
	s_cbranch_scc0 .LBB433_1361
; %bb.1358:
	global_load_dwordx2 v[12:13], v[16:17], off
	s_mov_b64 s[0:1], 0
	s_branch .LBB433_1362
.LBB433_1359:
	s_mov_b64 s[0:1], -1
                                        ; implicit-def: $vgpr12
	s_branch .LBB433_1368
.LBB433_1360:
	s_mov_b64 s[0:1], -1
                                        ; implicit-def: $vgpr12
	s_branch .LBB433_1365
.LBB433_1361:
	s_mov_b64 s[0:1], -1
                                        ; implicit-def: $vgpr12
.LBB433_1362:
	s_andn2_b64 vcc, exec, s[0:1]
	s_cbranch_vccnz .LBB433_1364
; %bb.1363:
	global_load_dword v12, v[16:17], off
.LBB433_1364:
	s_mov_b64 s[0:1], 0
.LBB433_1365:
	s_andn2_b64 vcc, exec, s[0:1]
	s_cbranch_vccnz .LBB433_1367
; %bb.1366:
	global_load_ushort v12, v[16:17], off
.LBB433_1367:
	s_mov_b64 s[0:1], 0
.LBB433_1368:
	s_andn2_b64 vcc, exec, s[0:1]
	s_cbranch_vccnz .LBB433_1374
; %bb.1369:
	s_cmp_gt_i32 s8, 0
	s_cbranch_scc0 .LBB433_1371
; %bb.1370:
	global_load_ubyte v12, v[16:17], off
	s_mov_b64 s[0:1], 0
	s_branch .LBB433_1372
.LBB433_1371:
	s_mov_b64 s[0:1], -1
                                        ; implicit-def: $vgpr12
.LBB433_1372:
	s_andn2_b64 vcc, exec, s[0:1]
	s_cbranch_vccnz .LBB433_1374
; %bb.1373:
	global_load_ubyte v12, v[16:17], off
.LBB433_1374:
.LBB433_1375:
	v_mov_b32_e32 v11, 0
	s_cmp_lt_i32 s15, 11
	v_lshl_add_u64 v[16:17], s[6:7], 0, v[10:11]
	s_cbranch_scc1 .LBB433_1382
; %bb.1376:
	s_and_b32 s16, 0xffff, s15
	s_cmp_gt_i32 s16, 25
	s_mov_b64 s[8:9], 0
	s_cbranch_scc0 .LBB433_1384
; %bb.1377:
	s_cmp_gt_i32 s16, 28
	s_cbranch_scc0 .LBB433_1385
; %bb.1378:
	s_cmp_gt_i32 s16, 43
	;; [unrolled: 3-line block ×3, first 2 shown]
	s_cbranch_scc0 .LBB433_1388
; %bb.1380:
	s_cmp_eq_u32 s16, 46
	s_mov_b64 s[12:13], 0
	s_cbranch_scc0 .LBB433_1389
; %bb.1381:
	global_load_dword v1, v[16:17], off
	s_mov_b64 s[0:1], 0
	s_mov_b64 s[10:11], -1
	s_waitcnt vmcnt(0)
	v_lshlrev_b32_e32 v1, 16, v1
	v_cvt_i32_f32_e32 v10, v1
	s_branch .LBB433_1390
.LBB433_1382:
	s_mov_b64 s[10:11], 0
                                        ; implicit-def: $vgpr10
	s_cbranch_execnz .LBB433_1452
.LBB433_1383:
	s_andn2_b64 vcc, exec, s[10:11]
	s_cbranch_vccnz .LBB433_2059
	s_branch .LBB433_1500
.LBB433_1384:
	s_mov_b64 s[12:13], -1
	s_mov_b64 s[10:11], 0
	s_mov_b64 s[0:1], 0
                                        ; implicit-def: $vgpr10
	s_branch .LBB433_1417
.LBB433_1385:
	s_mov_b64 s[12:13], -1
	s_mov_b64 s[10:11], 0
	s_mov_b64 s[0:1], 0
                                        ; implicit-def: $vgpr10
	s_branch .LBB433_1400
.LBB433_1386:
	s_mov_b64 s[12:13], -1
	s_mov_b64 s[10:11], 0
	s_mov_b64 s[0:1], 0
                                        ; implicit-def: $vgpr10
	s_branch .LBB433_1395
.LBB433_1387:
	s_trap 2
	s_or_b64 s[2:3], s[2:3], exec
	s_cbranch_execz .LBB433_1326
	s_branch .LBB433_1327
.LBB433_1388:
	s_mov_b64 s[12:13], -1
	s_mov_b64 s[10:11], 0
	s_mov_b64 s[0:1], 0
                                        ; implicit-def: $vgpr10
	s_branch .LBB433_1390
.LBB433_1389:
	s_mov_b64 s[0:1], -1
                                        ; implicit-def: $vgpr10
	s_mov_b64 s[10:11], 0
.LBB433_1390:
	s_and_b64 vcc, exec, s[12:13]
	s_cbranch_vccz .LBB433_1394
; %bb.1391:
	s_cmp_eq_u32 s16, 44
	s_cbranch_scc0 .LBB433_1393
; %bb.1392:
	global_load_ubyte v1, v[16:17], off
	s_mov_b64 s[0:1], 0
	s_mov_b64 s[10:11], -1
	s_waitcnt vmcnt(0)
	v_lshlrev_b32_e32 v3, 23, v1
	v_cvt_i32_f32_e32 v3, v3
	v_cmp_ne_u32_e32 vcc, 0, v1
	s_nop 1
	v_cndmask_b32_e32 v10, 0, v3, vcc
	s_branch .LBB433_1394
.LBB433_1393:
	s_mov_b64 s[0:1], -1
                                        ; implicit-def: $vgpr10
.LBB433_1394:
	s_mov_b64 s[12:13], 0
.LBB433_1395:
	s_and_b64 vcc, exec, s[12:13]
	s_cbranch_vccz .LBB433_1399
; %bb.1396:
	s_cmp_eq_u32 s16, 29
	s_cbranch_scc0 .LBB433_1398
; %bb.1397:
	global_load_dwordx2 v[10:11], v[16:17], off
	s_mov_b64 s[0:1], 0
	s_mov_b64 s[10:11], -1
	s_branch .LBB433_1399
.LBB433_1398:
	s_mov_b64 s[0:1], -1
                                        ; implicit-def: $vgpr10
.LBB433_1399:
	s_mov_b64 s[12:13], 0
.LBB433_1400:
	s_and_b64 vcc, exec, s[12:13]
	s_cbranch_vccz .LBB433_1416
; %bb.1401:
	s_cmp_lt_i32 s16, 27
	s_cbranch_scc1 .LBB433_1404
; %bb.1402:
	s_cmp_gt_i32 s16, 27
	s_cbranch_scc0 .LBB433_1405
; %bb.1403:
	global_load_dword v10, v[16:17], off
	s_mov_b64 s[10:11], 0
	s_branch .LBB433_1406
.LBB433_1404:
	s_mov_b64 s[10:11], -1
                                        ; implicit-def: $vgpr10
	s_branch .LBB433_1409
.LBB433_1405:
	s_mov_b64 s[10:11], -1
                                        ; implicit-def: $vgpr10
.LBB433_1406:
	s_andn2_b64 vcc, exec, s[10:11]
	s_cbranch_vccnz .LBB433_1408
; %bb.1407:
	global_load_ushort v10, v[16:17], off
.LBB433_1408:
	s_mov_b64 s[10:11], 0
.LBB433_1409:
	s_andn2_b64 vcc, exec, s[10:11]
	s_cbranch_vccnz .LBB433_1415
; %bb.1410:
	global_load_ubyte v1, v[16:17], off
	s_movk_i32 s10, 0x7f
	s_mov_b64 s[12:13], 0
	s_waitcnt vmcnt(0)
	v_cmp_lt_i16_e32 vcc, s10, v1
	s_and_saveexec_b64 s[10:11], vcc
	s_xor_b64 s[10:11], exec, s[10:11]
	s_cbranch_execz .LBB433_1427
; %bb.1411:
	s_movk_i32 s12, 0x80
	v_cmp_ne_u16_e32 vcc, s12, v1
	s_and_b64 s[12:13], vcc, exec
	s_andn2_saveexec_b64 s[10:11], s[10:11]
	s_cbranch_execnz .LBB433_1428
.LBB433_1412:
	s_or_b64 exec, exec, s[10:11]
	v_mov_b32_e32 v10, 0
	s_and_saveexec_b64 s[10:11], s[12:13]
	s_cbranch_execz .LBB433_1414
.LBB433_1413:
	v_lshlrev_b32_e32 v3, 24, v1
	v_and_b32_e32 v1, 0xffff, v1
	v_and_b32_e32 v5, 7, v1
	v_ffbh_u32_e32 v9, v5
	v_min_u32_e32 v9, 32, v9
	v_subrev_u32_e32 v10, 28, v9
	v_bfe_u32 v7, v1, 3, 4
	v_lshlrev_b32_e32 v1, v10, v1
	v_sub_u32_e32 v9, 29, v9
	v_and_b32_e32 v1, 7, v1
	v_cmp_eq_u32_e32 vcc, 0, v7
	v_and_b32_e32 v3, 0x80000000, v3
	s_nop 0
	v_cndmask_b32_e32 v7, v7, v9, vcc
	v_cndmask_b32_e32 v1, v5, v1, vcc
	v_mov_b32_e32 v5, 0x3b800000
	v_lshlrev_b32_e32 v1, 20, v1
	v_lshl_add_u32 v5, v7, 23, v5
	v_or3_b32 v1, v3, v5, v1
	v_cvt_i32_f32_e32 v10, v1
.LBB433_1414:
	s_or_b64 exec, exec, s[10:11]
.LBB433_1415:
	s_mov_b64 s[10:11], -1
.LBB433_1416:
	s_mov_b64 s[12:13], 0
.LBB433_1417:
	s_and_b64 vcc, exec, s[12:13]
	s_cbranch_vccz .LBB433_1448
; %bb.1418:
	s_cmp_gt_i32 s16, 22
	s_cbranch_scc0 .LBB433_1426
; %bb.1419:
	s_cmp_lt_i32 s16, 24
	s_cbranch_scc1 .LBB433_1429
; %bb.1420:
	s_cmp_gt_i32 s16, 24
	s_cbranch_scc0 .LBB433_1430
; %bb.1421:
	global_load_ubyte v1, v[16:17], off
	s_movk_i32 s8, 0x7f
	s_mov_b64 s[10:11], 0
	s_waitcnt vmcnt(0)
	v_cmp_lt_i16_e32 vcc, s8, v1
	s_and_saveexec_b64 s[8:9], vcc
	s_xor_b64 s[8:9], exec, s[8:9]
	s_cbranch_execz .LBB433_1442
; %bb.1422:
	s_movk_i32 s10, 0x80
	v_cmp_ne_u16_e32 vcc, s10, v1
	s_and_b64 s[10:11], vcc, exec
	s_andn2_saveexec_b64 s[8:9], s[8:9]
	s_cbranch_execnz .LBB433_1443
.LBB433_1423:
	s_or_b64 exec, exec, s[8:9]
	v_mov_b32_e32 v10, 0
	s_and_saveexec_b64 s[8:9], s[10:11]
	s_cbranch_execz .LBB433_1425
.LBB433_1424:
	v_lshlrev_b32_e32 v3, 24, v1
	v_and_b32_e32 v1, 0xffff, v1
	v_and_b32_e32 v5, 3, v1
	v_ffbh_u32_e32 v9, v5
	v_min_u32_e32 v9, 32, v9
	v_subrev_u32_e32 v10, 29, v9
	v_bfe_u32 v7, v1, 2, 5
	v_lshlrev_b32_e32 v1, v10, v1
	v_sub_u32_e32 v9, 30, v9
	v_and_b32_e32 v1, 3, v1
	v_cmp_eq_u32_e32 vcc, 0, v7
	v_and_b32_e32 v3, 0x80000000, v3
	s_nop 0
	v_cndmask_b32_e32 v7, v7, v9, vcc
	v_cndmask_b32_e32 v1, v5, v1, vcc
	v_mov_b32_e32 v5, 0x37800000
	v_lshlrev_b32_e32 v1, 21, v1
	v_lshl_add_u32 v5, v7, 23, v5
	v_or3_b32 v1, v3, v5, v1
	v_cvt_i32_f32_e32 v10, v1
.LBB433_1425:
	s_or_b64 exec, exec, s[8:9]
	s_mov_b64 s[8:9], 0
	s_branch .LBB433_1431
.LBB433_1426:
	s_mov_b64 s[8:9], -1
                                        ; implicit-def: $vgpr10
	s_branch .LBB433_1437
.LBB433_1427:
	s_andn2_saveexec_b64 s[10:11], s[10:11]
	s_cbranch_execz .LBB433_1412
.LBB433_1428:
	v_cmp_ne_u16_e32 vcc, 0, v1
	s_andn2_b64 s[12:13], s[12:13], exec
	s_and_b64 s[18:19], vcc, exec
	s_or_b64 s[12:13], s[12:13], s[18:19]
	s_or_b64 exec, exec, s[10:11]
	v_mov_b32_e32 v10, 0
	s_and_saveexec_b64 s[10:11], s[12:13]
	s_cbranch_execnz .LBB433_1413
	s_branch .LBB433_1414
.LBB433_1429:
	s_mov_b64 s[8:9], -1
                                        ; implicit-def: $vgpr10
	s_branch .LBB433_1434
.LBB433_1430:
	s_mov_b64 s[8:9], -1
                                        ; implicit-def: $vgpr10
.LBB433_1431:
	s_and_b64 vcc, exec, s[8:9]
	s_cbranch_vccz .LBB433_1433
; %bb.1432:
	global_load_ubyte v1, v[16:17], off
	s_mov_b32 s8, 0x7f800000
	s_waitcnt vmcnt(0)
	v_lshlrev_b32_e32 v1, 24, v1
	v_and_b32_e32 v3, 0x7f000000, v1
	v_ffbh_u32_e32 v5, v3
	v_min_u32_e32 v5, 32, v5
	v_sub_u32_e64 v5, v5, 4 clamp
	v_lshlrev_b32_e32 v9, v5, v3
	v_lshlrev_b32_e32 v5, 23, v5
	v_lshrrev_b32_e32 v9, 4, v9
	v_add_u32_e32 v7, 0x1000000, v3
	v_sub_u32_e32 v5, v9, v5
	v_ashrrev_i32_e32 v7, 8, v7
	v_add_u32_e32 v5, 0x3c000000, v5
	v_and_or_b32 v5, v7, s8, v5
	v_cmp_ne_u32_e32 vcc, 0, v3
	s_brev_b32 s8, 1
	s_nop 0
	v_cndmask_b32_e32 v3, 0, v5, vcc
	v_and_or_b32 v1, v1, s8, v3
	v_cvt_i32_f32_e32 v10, v1
.LBB433_1433:
	s_mov_b64 s[8:9], 0
.LBB433_1434:
	s_andn2_b64 vcc, exec, s[8:9]
	s_cbranch_vccnz .LBB433_1436
; %bb.1435:
	global_load_ubyte v1, v[16:17], off
	s_movk_i32 s8, 0x7f00
	s_brev_b32 s9, 16
	s_waitcnt vmcnt(0)
	v_lshlrev_b16_e32 v3, 8, v1
	v_lshlrev_b32_e32 v1, 25, v1
	v_lshrrev_b32_e32 v5, 4, v1
	v_and_or_b32 v7, v3, s8, 0.5
	v_or_b32_e32 v5, 0x70000000, v5
	v_add_f32_e32 v7, -0.5, v7
	v_mul_f32_e32 v5, 0x7800000, v5
	v_cmp_gt_u32_e32 vcc, s9, v1
	v_bfe_i32 v3, v3, 0, 16
	s_brev_b32 s8, 1
	v_cndmask_b32_e32 v1, v5, v7, vcc
	v_and_or_b32 v1, v3, s8, v1
	v_cvt_i32_f32_e32 v10, v1
.LBB433_1436:
	s_mov_b64 s[8:9], 0
	s_mov_b64 s[10:11], -1
.LBB433_1437:
	s_andn2_b64 vcc, exec, s[8:9]
	s_mov_b64 s[8:9], 0
	s_cbranch_vccnz .LBB433_1448
; %bb.1438:
	s_cmp_gt_i32 s16, 14
	s_cbranch_scc0 .LBB433_1441
; %bb.1439:
	s_cmp_eq_u32 s16, 15
	s_cbranch_scc0 .LBB433_1444
; %bb.1440:
	global_load_ushort v1, v[16:17], off
	s_mov_b64 s[0:1], 0
	s_mov_b64 s[10:11], -1
	s_waitcnt vmcnt(0)
	v_lshlrev_b32_e32 v1, 16, v1
	v_cvt_i32_f32_e32 v10, v1
	s_branch .LBB433_1445
.LBB433_1441:
	s_mov_b64 s[12:13], -1
                                        ; implicit-def: $vgpr10
	s_branch .LBB433_1446
.LBB433_1442:
	s_andn2_saveexec_b64 s[8:9], s[8:9]
	s_cbranch_execz .LBB433_1423
.LBB433_1443:
	v_cmp_ne_u16_e32 vcc, 0, v1
	s_andn2_b64 s[10:11], s[10:11], exec
	s_and_b64 s[12:13], vcc, exec
	s_or_b64 s[10:11], s[10:11], s[12:13]
	s_or_b64 exec, exec, s[8:9]
	v_mov_b32_e32 v10, 0
	s_and_saveexec_b64 s[8:9], s[10:11]
	s_cbranch_execnz .LBB433_1424
	s_branch .LBB433_1425
.LBB433_1444:
	s_mov_b64 s[0:1], -1
                                        ; implicit-def: $vgpr10
.LBB433_1445:
	s_mov_b64 s[12:13], 0
.LBB433_1446:
	s_and_b64 vcc, exec, s[12:13]
	s_cbranch_vccz .LBB433_1448
; %bb.1447:
	s_cmp_lg_u32 s16, 11
	s_mov_b64 s[8:9], -1
	s_cselect_b64 s[0:1], -1, 0
.LBB433_1448:
	s_and_b64 vcc, exec, s[0:1]
	s_cbranch_vccnz .LBB433_1511
; %bb.1449:
	s_andn2_b64 vcc, exec, s[8:9]
	s_cbranch_vccnz .LBB433_1451
.LBB433_1450:
	global_load_ubyte v1, v[16:17], off
	s_mov_b64 s[10:11], -1
	s_waitcnt vmcnt(0)
	v_cmp_ne_u16_e32 vcc, 0, v1
	s_nop 1
	v_cndmask_b32_e64 v10, 0, 1, vcc
.LBB433_1451:
	s_branch .LBB433_1383
.LBB433_1452:
	s_and_b32 s8, 0xffff, s15
	s_cmp_lt_i32 s8, 5
	s_cbranch_scc1 .LBB433_1457
; %bb.1453:
	s_cmp_lt_i32 s8, 8
	s_cbranch_scc1 .LBB433_1458
; %bb.1454:
	;; [unrolled: 3-line block ×3, first 2 shown]
	s_cmp_gt_i32 s8, 9
	s_cbranch_scc0 .LBB433_1460
; %bb.1456:
	global_load_dwordx2 v[10:11], v[16:17], off
	s_mov_b64 s[0:1], 0
	s_waitcnt vmcnt(0)
	v_cvt_i32_f64_e32 v10, v[10:11]
	s_branch .LBB433_1461
.LBB433_1457:
	s_mov_b64 s[0:1], -1
                                        ; implicit-def: $vgpr10
	s_branch .LBB433_1479
.LBB433_1458:
	s_mov_b64 s[0:1], -1
                                        ; implicit-def: $vgpr10
	s_branch .LBB433_1467
.LBB433_1459:
	s_mov_b64 s[0:1], -1
                                        ; implicit-def: $vgpr10
	s_branch .LBB433_1464
.LBB433_1460:
	s_mov_b64 s[0:1], -1
                                        ; implicit-def: $vgpr10
.LBB433_1461:
	s_andn2_b64 vcc, exec, s[0:1]
	s_cbranch_vccnz .LBB433_1463
; %bb.1462:
	global_load_dword v1, v[16:17], off
	s_waitcnt vmcnt(0)
	v_cvt_i32_f32_e32 v10, v1
.LBB433_1463:
	s_mov_b64 s[0:1], 0
.LBB433_1464:
	s_andn2_b64 vcc, exec, s[0:1]
	s_cbranch_vccnz .LBB433_1466
; %bb.1465:
	global_load_dword v1, v[16:17], off
	s_waitcnt vmcnt(0)
	v_cvt_i16_f16_e32 v10, v1
.LBB433_1466:
	s_mov_b64 s[0:1], 0
.LBB433_1467:
	s_andn2_b64 vcc, exec, s[0:1]
	s_cbranch_vccnz .LBB433_1478
; %bb.1468:
	s_cmp_lt_i32 s8, 6
	s_cbranch_scc1 .LBB433_1471
; %bb.1469:
	s_cmp_gt_i32 s8, 6
	s_cbranch_scc0 .LBB433_1472
; %bb.1470:
	global_load_dwordx2 v[10:11], v[16:17], off
	s_mov_b64 s[0:1], 0
	s_waitcnt vmcnt(0)
	v_cvt_i32_f64_e32 v10, v[10:11]
	s_branch .LBB433_1473
.LBB433_1471:
	s_mov_b64 s[0:1], -1
                                        ; implicit-def: $vgpr10
	s_branch .LBB433_1476
.LBB433_1472:
	s_mov_b64 s[0:1], -1
                                        ; implicit-def: $vgpr10
.LBB433_1473:
	s_andn2_b64 vcc, exec, s[0:1]
	s_cbranch_vccnz .LBB433_1475
; %bb.1474:
	global_load_dword v1, v[16:17], off
	s_waitcnt vmcnt(0)
	v_cvt_i32_f32_e32 v10, v1
.LBB433_1475:
	s_mov_b64 s[0:1], 0
.LBB433_1476:
	s_andn2_b64 vcc, exec, s[0:1]
	s_cbranch_vccnz .LBB433_1478
; %bb.1477:
	global_load_ushort v1, v[16:17], off
	s_waitcnt vmcnt(0)
	v_cvt_i16_f16_e32 v10, v1
.LBB433_1478:
	s_mov_b64 s[0:1], 0
.LBB433_1479:
	s_andn2_b64 vcc, exec, s[0:1]
	s_cbranch_vccnz .LBB433_1499
; %bb.1480:
	s_cmp_lt_i32 s8, 2
	s_cbranch_scc1 .LBB433_1484
; %bb.1481:
	s_cmp_lt_i32 s8, 3
	s_cbranch_scc1 .LBB433_1485
; %bb.1482:
	s_cmp_gt_i32 s8, 3
	s_cbranch_scc0 .LBB433_1486
; %bb.1483:
	global_load_dwordx2 v[10:11], v[16:17], off
	s_mov_b64 s[0:1], 0
	s_branch .LBB433_1487
.LBB433_1484:
	s_mov_b64 s[0:1], -1
                                        ; implicit-def: $vgpr10
	s_branch .LBB433_1493
.LBB433_1485:
	s_mov_b64 s[0:1], -1
                                        ; implicit-def: $vgpr10
	s_branch .LBB433_1490
.LBB433_1486:
	s_mov_b64 s[0:1], -1
                                        ; implicit-def: $vgpr10
.LBB433_1487:
	s_andn2_b64 vcc, exec, s[0:1]
	s_cbranch_vccnz .LBB433_1489
; %bb.1488:
	global_load_dword v10, v[16:17], off
.LBB433_1489:
	s_mov_b64 s[0:1], 0
.LBB433_1490:
	s_andn2_b64 vcc, exec, s[0:1]
	s_cbranch_vccnz .LBB433_1492
; %bb.1491:
	global_load_ushort v10, v[16:17], off
.LBB433_1492:
	s_mov_b64 s[0:1], 0
.LBB433_1493:
	s_andn2_b64 vcc, exec, s[0:1]
	s_cbranch_vccnz .LBB433_1499
; %bb.1494:
	s_cmp_gt_i32 s8, 0
	s_cbranch_scc0 .LBB433_1496
; %bb.1495:
	global_load_ubyte v10, v[16:17], off
	s_mov_b64 s[0:1], 0
	s_branch .LBB433_1497
.LBB433_1496:
	s_mov_b64 s[0:1], -1
                                        ; implicit-def: $vgpr10
.LBB433_1497:
	s_andn2_b64 vcc, exec, s[0:1]
	s_cbranch_vccnz .LBB433_1499
; %bb.1498:
	global_load_ubyte v10, v[16:17], off
.LBB433_1499:
.LBB433_1500:
	v_mov_b32_e32 v9, 0
	s_cmp_lt_i32 s15, 11
	v_lshl_add_u64 v[16:17], s[6:7], 0, v[8:9]
	s_cbranch_scc1 .LBB433_1507
; %bb.1501:
	s_and_b32 s12, 0xffff, s15
	s_cmp_gt_i32 s12, 25
	s_mov_b64 s[6:7], 0
	s_cbranch_scc0 .LBB433_1508
; %bb.1502:
	s_cmp_gt_i32 s12, 28
	s_cbranch_scc0 .LBB433_1509
; %bb.1503:
	s_cmp_gt_i32 s12, 43
	;; [unrolled: 3-line block ×3, first 2 shown]
	s_cbranch_scc0 .LBB433_1512
; %bb.1505:
	s_cmp_eq_u32 s12, 46
	s_mov_b64 s[10:11], 0
	s_cbranch_scc0 .LBB433_1513
; %bb.1506:
	global_load_dword v1, v[16:17], off
	s_mov_b64 s[0:1], 0
	s_mov_b64 s[8:9], -1
	s_waitcnt vmcnt(0)
	v_lshlrev_b32_e32 v1, 16, v1
	v_cvt_i32_f32_e32 v8, v1
	s_branch .LBB433_1514
.LBB433_1507:
	s_mov_b64 s[0:1], -1
	s_mov_b64 s[8:9], 0
                                        ; implicit-def: $vgpr8
	s_branch .LBB433_1576
.LBB433_1508:
	s_mov_b64 s[10:11], -1
	s_mov_b64 s[8:9], 0
	s_mov_b64 s[0:1], 0
                                        ; implicit-def: $vgpr8
	s_branch .LBB433_1541
.LBB433_1509:
	s_mov_b64 s[10:11], -1
	s_mov_b64 s[8:9], 0
	s_mov_b64 s[0:1], 0
                                        ; implicit-def: $vgpr8
	s_branch .LBB433_1524
.LBB433_1510:
	s_mov_b64 s[10:11], -1
	s_mov_b64 s[8:9], 0
	s_mov_b64 s[0:1], 0
                                        ; implicit-def: $vgpr8
	s_branch .LBB433_1519
.LBB433_1511:
	s_trap 2
	s_or_b64 s[2:3], s[2:3], exec
	s_cbranch_execz .LBB433_1450
	s_branch .LBB433_1451
.LBB433_1512:
	s_mov_b64 s[10:11], -1
	s_mov_b64 s[8:9], 0
	s_mov_b64 s[0:1], 0
                                        ; implicit-def: $vgpr8
	s_branch .LBB433_1514
.LBB433_1513:
	s_mov_b64 s[0:1], -1
                                        ; implicit-def: $vgpr8
	s_mov_b64 s[8:9], 0
.LBB433_1514:
	s_and_b64 vcc, exec, s[10:11]
	s_cbranch_vccz .LBB433_1518
; %bb.1515:
	s_cmp_eq_u32 s12, 44
	s_cbranch_scc0 .LBB433_1517
; %bb.1516:
	global_load_ubyte v1, v[16:17], off
	s_mov_b64 s[0:1], 0
	s_mov_b64 s[8:9], -1
	s_waitcnt vmcnt(0)
	v_lshlrev_b32_e32 v3, 23, v1
	v_cvt_i32_f32_e32 v3, v3
	v_cmp_ne_u32_e32 vcc, 0, v1
	s_nop 1
	v_cndmask_b32_e32 v8, 0, v3, vcc
	s_branch .LBB433_1518
.LBB433_1517:
	s_mov_b64 s[0:1], -1
                                        ; implicit-def: $vgpr8
.LBB433_1518:
	s_mov_b64 s[10:11], 0
.LBB433_1519:
	s_and_b64 vcc, exec, s[10:11]
	s_cbranch_vccz .LBB433_1523
; %bb.1520:
	s_cmp_eq_u32 s12, 29
	s_cbranch_scc0 .LBB433_1522
; %bb.1521:
	global_load_dwordx2 v[8:9], v[16:17], off
	s_mov_b64 s[0:1], 0
	s_mov_b64 s[8:9], -1
	s_branch .LBB433_1523
.LBB433_1522:
	s_mov_b64 s[0:1], -1
                                        ; implicit-def: $vgpr8
.LBB433_1523:
	s_mov_b64 s[10:11], 0
.LBB433_1524:
	s_and_b64 vcc, exec, s[10:11]
	s_cbranch_vccz .LBB433_1540
; %bb.1525:
	s_cmp_lt_i32 s12, 27
	s_cbranch_scc1 .LBB433_1528
; %bb.1526:
	s_cmp_gt_i32 s12, 27
	s_cbranch_scc0 .LBB433_1529
; %bb.1527:
	global_load_dword v8, v[16:17], off
	s_mov_b64 s[8:9], 0
	s_branch .LBB433_1530
.LBB433_1528:
	s_mov_b64 s[8:9], -1
                                        ; implicit-def: $vgpr8
	s_branch .LBB433_1533
.LBB433_1529:
	s_mov_b64 s[8:9], -1
                                        ; implicit-def: $vgpr8
.LBB433_1530:
	s_andn2_b64 vcc, exec, s[8:9]
	s_cbranch_vccnz .LBB433_1532
; %bb.1531:
	global_load_ushort v8, v[16:17], off
.LBB433_1532:
	s_mov_b64 s[8:9], 0
.LBB433_1533:
	s_andn2_b64 vcc, exec, s[8:9]
	s_cbranch_vccnz .LBB433_1539
; %bb.1534:
	global_load_ubyte v1, v[16:17], off
	s_movk_i32 s8, 0x7f
	s_mov_b64 s[10:11], 0
	s_waitcnt vmcnt(0)
	v_cmp_lt_i16_e32 vcc, s8, v1
	s_and_saveexec_b64 s[8:9], vcc
	s_xor_b64 s[8:9], exec, s[8:9]
	s_cbranch_execz .LBB433_1551
; %bb.1535:
	s_movk_i32 s10, 0x80
	v_cmp_ne_u16_e32 vcc, s10, v1
	s_and_b64 s[10:11], vcc, exec
	s_andn2_saveexec_b64 s[8:9], s[8:9]
	s_cbranch_execnz .LBB433_1552
.LBB433_1536:
	s_or_b64 exec, exec, s[8:9]
	v_mov_b32_e32 v8, 0
	s_and_saveexec_b64 s[8:9], s[10:11]
	s_cbranch_execz .LBB433_1538
.LBB433_1537:
	v_lshlrev_b32_e32 v3, 24, v1
	v_and_b32_e32 v1, 0xffff, v1
	v_and_b32_e32 v5, 7, v1
	v_ffbh_u32_e32 v8, v5
	v_min_u32_e32 v8, 32, v8
	v_subrev_u32_e32 v9, 28, v8
	v_bfe_u32 v7, v1, 3, 4
	v_lshlrev_b32_e32 v1, v9, v1
	v_sub_u32_e32 v8, 29, v8
	v_and_b32_e32 v1, 7, v1
	v_cmp_eq_u32_e32 vcc, 0, v7
	v_and_b32_e32 v3, 0x80000000, v3
	s_nop 0
	v_cndmask_b32_e32 v7, v7, v8, vcc
	v_cndmask_b32_e32 v1, v5, v1, vcc
	v_mov_b32_e32 v5, 0x3b800000
	v_lshlrev_b32_e32 v1, 20, v1
	v_lshl_add_u32 v5, v7, 23, v5
	v_or3_b32 v1, v3, v5, v1
	v_cvt_i32_f32_e32 v8, v1
.LBB433_1538:
	s_or_b64 exec, exec, s[8:9]
.LBB433_1539:
	s_mov_b64 s[8:9], -1
.LBB433_1540:
	s_mov_b64 s[10:11], 0
.LBB433_1541:
	s_and_b64 vcc, exec, s[10:11]
	s_cbranch_vccz .LBB433_1572
; %bb.1542:
	s_cmp_gt_i32 s12, 22
	s_cbranch_scc0 .LBB433_1550
; %bb.1543:
	s_cmp_lt_i32 s12, 24
	s_cbranch_scc1 .LBB433_1553
; %bb.1544:
	s_cmp_gt_i32 s12, 24
	s_cbranch_scc0 .LBB433_1554
; %bb.1545:
	global_load_ubyte v1, v[16:17], off
	s_movk_i32 s6, 0x7f
	s_mov_b64 s[8:9], 0
	s_waitcnt vmcnt(0)
	v_cmp_lt_i16_e32 vcc, s6, v1
	s_and_saveexec_b64 s[6:7], vcc
	s_xor_b64 s[6:7], exec, s[6:7]
	s_cbranch_execz .LBB433_1566
; %bb.1546:
	s_movk_i32 s8, 0x80
	v_cmp_ne_u16_e32 vcc, s8, v1
	s_and_b64 s[8:9], vcc, exec
	s_andn2_saveexec_b64 s[6:7], s[6:7]
	s_cbranch_execnz .LBB433_1567
.LBB433_1547:
	s_or_b64 exec, exec, s[6:7]
	v_mov_b32_e32 v8, 0
	s_and_saveexec_b64 s[6:7], s[8:9]
	s_cbranch_execz .LBB433_1549
.LBB433_1548:
	v_lshlrev_b32_e32 v3, 24, v1
	v_and_b32_e32 v1, 0xffff, v1
	v_and_b32_e32 v5, 3, v1
	v_ffbh_u32_e32 v8, v5
	v_min_u32_e32 v8, 32, v8
	v_subrev_u32_e32 v9, 29, v8
	v_bfe_u32 v7, v1, 2, 5
	v_lshlrev_b32_e32 v1, v9, v1
	v_sub_u32_e32 v8, 30, v8
	v_and_b32_e32 v1, 3, v1
	v_cmp_eq_u32_e32 vcc, 0, v7
	v_and_b32_e32 v3, 0x80000000, v3
	s_nop 0
	v_cndmask_b32_e32 v7, v7, v8, vcc
	v_cndmask_b32_e32 v1, v5, v1, vcc
	v_mov_b32_e32 v5, 0x37800000
	v_lshlrev_b32_e32 v1, 21, v1
	v_lshl_add_u32 v5, v7, 23, v5
	v_or3_b32 v1, v3, v5, v1
	v_cvt_i32_f32_e32 v8, v1
.LBB433_1549:
	s_or_b64 exec, exec, s[6:7]
	s_mov_b64 s[6:7], 0
	s_branch .LBB433_1555
.LBB433_1550:
	s_mov_b64 s[6:7], -1
                                        ; implicit-def: $vgpr8
	s_branch .LBB433_1561
.LBB433_1551:
	s_andn2_saveexec_b64 s[8:9], s[8:9]
	s_cbranch_execz .LBB433_1536
.LBB433_1552:
	v_cmp_ne_u16_e32 vcc, 0, v1
	s_andn2_b64 s[10:11], s[10:11], exec
	s_and_b64 s[16:17], vcc, exec
	s_or_b64 s[10:11], s[10:11], s[16:17]
	s_or_b64 exec, exec, s[8:9]
	v_mov_b32_e32 v8, 0
	s_and_saveexec_b64 s[8:9], s[10:11]
	s_cbranch_execnz .LBB433_1537
	s_branch .LBB433_1538
.LBB433_1553:
	s_mov_b64 s[6:7], -1
                                        ; implicit-def: $vgpr8
	s_branch .LBB433_1558
.LBB433_1554:
	s_mov_b64 s[6:7], -1
                                        ; implicit-def: $vgpr8
.LBB433_1555:
	s_and_b64 vcc, exec, s[6:7]
	s_cbranch_vccz .LBB433_1557
; %bb.1556:
	global_load_ubyte v1, v[16:17], off
	s_mov_b32 s6, 0x7f800000
	s_waitcnt vmcnt(0)
	v_lshlrev_b32_e32 v1, 24, v1
	v_and_b32_e32 v3, 0x7f000000, v1
	v_ffbh_u32_e32 v5, v3
	v_min_u32_e32 v5, 32, v5
	v_sub_u32_e64 v5, v5, 4 clamp
	v_lshlrev_b32_e32 v8, v5, v3
	v_lshlrev_b32_e32 v5, 23, v5
	v_lshrrev_b32_e32 v8, 4, v8
	v_add_u32_e32 v7, 0x1000000, v3
	v_sub_u32_e32 v5, v8, v5
	v_ashrrev_i32_e32 v7, 8, v7
	v_add_u32_e32 v5, 0x3c000000, v5
	v_and_or_b32 v5, v7, s6, v5
	v_cmp_ne_u32_e32 vcc, 0, v3
	s_brev_b32 s6, 1
	s_nop 0
	v_cndmask_b32_e32 v3, 0, v5, vcc
	v_and_or_b32 v1, v1, s6, v3
	v_cvt_i32_f32_e32 v8, v1
.LBB433_1557:
	s_mov_b64 s[6:7], 0
.LBB433_1558:
	s_andn2_b64 vcc, exec, s[6:7]
	s_cbranch_vccnz .LBB433_1560
; %bb.1559:
	global_load_ubyte v1, v[16:17], off
	s_movk_i32 s6, 0x7f00
	s_brev_b32 s7, 16
	s_waitcnt vmcnt(0)
	v_lshlrev_b16_e32 v3, 8, v1
	v_lshlrev_b32_e32 v1, 25, v1
	v_lshrrev_b32_e32 v5, 4, v1
	v_and_or_b32 v7, v3, s6, 0.5
	v_or_b32_e32 v5, 0x70000000, v5
	v_add_f32_e32 v7, -0.5, v7
	v_mul_f32_e32 v5, 0x7800000, v5
	v_cmp_gt_u32_e32 vcc, s7, v1
	v_bfe_i32 v3, v3, 0, 16
	s_brev_b32 s6, 1
	v_cndmask_b32_e32 v1, v5, v7, vcc
	v_and_or_b32 v1, v3, s6, v1
	v_cvt_i32_f32_e32 v8, v1
.LBB433_1560:
	s_mov_b64 s[6:7], 0
	s_mov_b64 s[8:9], -1
.LBB433_1561:
	s_andn2_b64 vcc, exec, s[6:7]
	s_mov_b64 s[6:7], 0
	s_cbranch_vccnz .LBB433_1572
; %bb.1562:
	s_cmp_gt_i32 s12, 14
	s_cbranch_scc0 .LBB433_1565
; %bb.1563:
	s_cmp_eq_u32 s12, 15
	s_cbranch_scc0 .LBB433_1568
; %bb.1564:
	global_load_ushort v1, v[16:17], off
	s_mov_b64 s[0:1], 0
	s_mov_b64 s[8:9], -1
	s_waitcnt vmcnt(0)
	v_lshlrev_b32_e32 v1, 16, v1
	v_cvt_i32_f32_e32 v8, v1
	s_branch .LBB433_1569
.LBB433_1565:
	s_mov_b64 s[10:11], -1
                                        ; implicit-def: $vgpr8
	s_branch .LBB433_1570
.LBB433_1566:
	s_andn2_saveexec_b64 s[6:7], s[6:7]
	s_cbranch_execz .LBB433_1547
.LBB433_1567:
	v_cmp_ne_u16_e32 vcc, 0, v1
	s_andn2_b64 s[8:9], s[8:9], exec
	s_and_b64 s[10:11], vcc, exec
	s_or_b64 s[8:9], s[8:9], s[10:11]
	s_or_b64 exec, exec, s[6:7]
	v_mov_b32_e32 v8, 0
	s_and_saveexec_b64 s[6:7], s[8:9]
	s_cbranch_execnz .LBB433_1548
	s_branch .LBB433_1549
.LBB433_1568:
	s_mov_b64 s[0:1], -1
                                        ; implicit-def: $vgpr8
.LBB433_1569:
	s_mov_b64 s[10:11], 0
.LBB433_1570:
	s_and_b64 vcc, exec, s[10:11]
	s_cbranch_vccz .LBB433_1572
; %bb.1571:
	s_cmp_lg_u32 s12, 11
	s_mov_b64 s[6:7], -1
	s_cselect_b64 s[0:1], -1, 0
.LBB433_1572:
	s_and_b64 vcc, exec, s[0:1]
	s_cbranch_vccnz .LBB433_2105
; %bb.1573:
	s_andn2_b64 vcc, exec, s[6:7]
	s_cbranch_vccnz .LBB433_1575
.LBB433_1574:
	global_load_ubyte v1, v[16:17], off
	s_mov_b64 s[8:9], -1
	s_waitcnt vmcnt(0)
	v_cmp_ne_u16_e32 vcc, 0, v1
	s_nop 1
	v_cndmask_b32_e64 v8, 0, 1, vcc
.LBB433_1575:
	s_mov_b64 s[0:1], 0
.LBB433_1576:
	s_and_b64 vcc, exec, s[0:1]
	s_cbranch_vccz .LBB433_1625
; %bb.1577:
	s_and_b32 s6, 0xffff, s15
	s_cmp_lt_i32 s6, 5
	s_cbranch_scc1 .LBB433_1582
; %bb.1578:
	s_cmp_lt_i32 s6, 8
	s_cbranch_scc1 .LBB433_1583
; %bb.1579:
	;; [unrolled: 3-line block ×3, first 2 shown]
	s_cmp_gt_i32 s6, 9
	s_cbranch_scc0 .LBB433_1585
; %bb.1581:
	global_load_dwordx2 v[8:9], v[16:17], off
	s_mov_b64 s[0:1], 0
	s_waitcnt vmcnt(0)
	v_cvt_i32_f64_e32 v8, v[8:9]
	s_branch .LBB433_1586
.LBB433_1582:
	s_mov_b64 s[0:1], -1
                                        ; implicit-def: $vgpr8
	s_branch .LBB433_1604
.LBB433_1583:
	s_mov_b64 s[0:1], -1
                                        ; implicit-def: $vgpr8
	s_branch .LBB433_1592
.LBB433_1584:
	s_mov_b64 s[0:1], -1
                                        ; implicit-def: $vgpr8
	s_branch .LBB433_1589
.LBB433_1585:
	s_mov_b64 s[0:1], -1
                                        ; implicit-def: $vgpr8
.LBB433_1586:
	s_andn2_b64 vcc, exec, s[0:1]
	s_cbranch_vccnz .LBB433_1588
; %bb.1587:
	global_load_dword v1, v[16:17], off
	s_waitcnt vmcnt(0)
	v_cvt_i32_f32_e32 v8, v1
.LBB433_1588:
	s_mov_b64 s[0:1], 0
.LBB433_1589:
	s_andn2_b64 vcc, exec, s[0:1]
	s_cbranch_vccnz .LBB433_1591
; %bb.1590:
	global_load_dword v1, v[16:17], off
	s_waitcnt vmcnt(0)
	v_cvt_i16_f16_e32 v8, v1
.LBB433_1591:
	s_mov_b64 s[0:1], 0
.LBB433_1592:
	s_andn2_b64 vcc, exec, s[0:1]
	s_cbranch_vccnz .LBB433_1603
; %bb.1593:
	s_cmp_lt_i32 s6, 6
	s_cbranch_scc1 .LBB433_1596
; %bb.1594:
	s_cmp_gt_i32 s6, 6
	s_cbranch_scc0 .LBB433_1597
; %bb.1595:
	global_load_dwordx2 v[8:9], v[16:17], off
	s_mov_b64 s[0:1], 0
	s_waitcnt vmcnt(0)
	v_cvt_i32_f64_e32 v8, v[8:9]
	s_branch .LBB433_1598
.LBB433_1596:
	s_mov_b64 s[0:1], -1
                                        ; implicit-def: $vgpr8
	s_branch .LBB433_1601
.LBB433_1597:
	s_mov_b64 s[0:1], -1
                                        ; implicit-def: $vgpr8
.LBB433_1598:
	s_andn2_b64 vcc, exec, s[0:1]
	s_cbranch_vccnz .LBB433_1600
; %bb.1599:
	global_load_dword v1, v[16:17], off
	s_waitcnt vmcnt(0)
	v_cvt_i32_f32_e32 v8, v1
.LBB433_1600:
	s_mov_b64 s[0:1], 0
.LBB433_1601:
	s_andn2_b64 vcc, exec, s[0:1]
	s_cbranch_vccnz .LBB433_1603
; %bb.1602:
	global_load_ushort v1, v[16:17], off
	s_waitcnt vmcnt(0)
	v_cvt_i16_f16_e32 v8, v1
.LBB433_1603:
	s_mov_b64 s[0:1], 0
.LBB433_1604:
	s_andn2_b64 vcc, exec, s[0:1]
	s_cbranch_vccnz .LBB433_1624
; %bb.1605:
	s_cmp_lt_i32 s6, 2
	s_cbranch_scc1 .LBB433_1609
; %bb.1606:
	s_cmp_lt_i32 s6, 3
	s_cbranch_scc1 .LBB433_1610
; %bb.1607:
	s_cmp_gt_i32 s6, 3
	s_cbranch_scc0 .LBB433_1611
; %bb.1608:
	global_load_dwordx2 v[8:9], v[16:17], off
	s_mov_b64 s[0:1], 0
	s_branch .LBB433_1612
.LBB433_1609:
	s_mov_b64 s[0:1], -1
                                        ; implicit-def: $vgpr8
	s_branch .LBB433_1618
.LBB433_1610:
	s_mov_b64 s[0:1], -1
                                        ; implicit-def: $vgpr8
	s_branch .LBB433_1615
.LBB433_1611:
	s_mov_b64 s[0:1], -1
                                        ; implicit-def: $vgpr8
.LBB433_1612:
	s_andn2_b64 vcc, exec, s[0:1]
	s_cbranch_vccnz .LBB433_1614
; %bb.1613:
	global_load_dword v8, v[16:17], off
.LBB433_1614:
	s_mov_b64 s[0:1], 0
.LBB433_1615:
	s_andn2_b64 vcc, exec, s[0:1]
	s_cbranch_vccnz .LBB433_1617
; %bb.1616:
	global_load_ushort v8, v[16:17], off
.LBB433_1617:
	s_mov_b64 s[0:1], 0
.LBB433_1618:
	s_andn2_b64 vcc, exec, s[0:1]
	s_cbranch_vccnz .LBB433_1624
; %bb.1619:
	s_cmp_gt_i32 s6, 0
	s_cbranch_scc0 .LBB433_1621
; %bb.1620:
	global_load_ubyte v8, v[16:17], off
	s_mov_b64 s[0:1], 0
	s_branch .LBB433_1622
.LBB433_1621:
	s_mov_b64 s[0:1], -1
                                        ; implicit-def: $vgpr8
.LBB433_1622:
	s_andn2_b64 vcc, exec, s[0:1]
	s_cbranch_vccnz .LBB433_1624
; %bb.1623:
	global_load_ubyte v8, v[16:17], off
.LBB433_1624:
	s_mov_b64 s[8:9], -1
.LBB433_1625:
	s_andn2_b64 vcc, exec, s[8:9]
	s_cbranch_vccnz .LBB433_2059
; %bb.1626:
	s_load_dword s0, s[34:35], 0x158
	s_bfe_u32 s16, s14, 0x80008
	v_mov_b32_e32 v7, 0
	v_lshl_add_u64 v[6:7], s[4:5], 0, v[6:7]
	s_waitcnt lgkmcnt(0)
	s_bfe_i32 s15, s0, 0x80000
	s_waitcnt vmcnt(0)
	v_min_i16_sdwa v1, sext(v14), s15 dst_sel:DWORD dst_unused:UNUSED_PAD src0_sel:BYTE_0 src1_sel:DWORD
	s_cmp_lt_i32 s16, 11
	s_cbranch_scc1 .LBB433_1704
; %bb.1627:
	s_and_b32 s17, 0xffff, s16
	s_mov_b64 s[10:11], -1
	s_mov_b64 s[6:7], 0
	s_cmp_gt_i32 s17, 25
	s_mov_b64 s[8:9], 0
	s_mov_b64 s[0:1], 0
	s_cbranch_scc0 .LBB433_1660
; %bb.1628:
	s_cmp_gt_i32 s17, 28
	s_cbranch_scc0 .LBB433_1643
; %bb.1629:
	s_cmp_gt_i32 s17, 43
	;; [unrolled: 3-line block ×3, first 2 shown]
	s_cbranch_scc0 .LBB433_1633
; %bb.1631:
	s_mov_b64 s[0:1], -1
	s_mov_b64 s[10:11], 0
	s_cmp_eq_u32 s17, 46
	s_cbranch_scc0 .LBB433_1633
; %bb.1632:
	v_cvt_f32_i32_sdwa v3, sext(v1) dst_sel:DWORD dst_unused:UNUSED_PAD src0_sel:WORD_0
	s_movk_i32 s8, 0x7fff
	s_mov_b64 s[0:1], 0
	v_bfe_u32 v5, v3, 16, 1
	v_add3_u32 v3, v3, v5, s8
	v_lshrrev_b32_e32 v3, 16, v3
	global_store_dword v[6:7], v3, off
	s_mov_b64 s[8:9], -1
.LBB433_1633:
	s_and_b64 vcc, exec, s[10:11]
	s_cbranch_vccz .LBB433_1638
; %bb.1634:
	s_cmp_eq_u32 s17, 44
	s_mov_b64 s[0:1], -1
	s_cbranch_scc0 .LBB433_1638
; %bb.1635:
	v_cvt_f32_i32_sdwa v3, sext(v1) dst_sel:DWORD dst_unused:UNUSED_PAD src0_sel:WORD_0
	s_movk_i32 s0, 0xff
	v_mov_b32_e32 v9, 0xff
	v_bfe_u32 v5, v3, 23, 8
	v_cmp_ne_u32_e32 vcc, s0, v5
	s_and_saveexec_b64 s[8:9], vcc
; %bb.1636:
	s_mov_b32 s0, 0x3fffff
	v_lshrrev_b32_e32 v9, 23, v3
	v_and_b32_e32 v11, 0x400000, v3
	v_and_or_b32 v3, v3, s0, v5
	v_cmp_ne_u32_e32 vcc, 0, v11
	v_cmp_ne_u32_e64 s[0:1], 0, v3
	s_and_b64 s[0:1], vcc, s[0:1]
	s_nop 0
	v_cndmask_b32_e64 v3, 0, 1, s[0:1]
	v_add_u32_e32 v9, v9, v3
; %bb.1637:
	s_or_b64 exec, exec, s[8:9]
	s_mov_b64 s[0:1], 0
	s_mov_b64 s[8:9], -1
	global_store_byte v[6:7], v9, off
.LBB433_1638:
	s_mov_b64 s[10:11], 0
.LBB433_1639:
	s_and_b64 vcc, exec, s[10:11]
	s_cbranch_vccz .LBB433_1642
; %bb.1640:
	s_cmp_eq_u32 s17, 29
	s_mov_b64 s[0:1], -1
	s_cbranch_scc0 .LBB433_1642
; %bb.1641:
	v_bfe_i32 v14, v1, 0, 16
	v_ashrrev_i32_e32 v15, 31, v14
	global_store_dwordx2 v[6:7], v[14:15], off
	s_mov_b64 s[0:1], 0
	s_mov_b64 s[8:9], -1
.LBB433_1642:
	s_mov_b64 s[10:11], 0
.LBB433_1643:
	s_and_b64 vcc, exec, s[10:11]
	s_cbranch_vccz .LBB433_1659
; %bb.1644:
	s_cmp_lt_i32 s17, 27
	s_mov_b64 s[8:9], -1
	s_cbranch_scc1 .LBB433_1650
; %bb.1645:
	s_cmp_gt_i32 s17, 27
	s_cbranch_scc0 .LBB433_1647
; %bb.1646:
	v_bfe_i32 v3, v1, 0, 16
	s_mov_b64 s[8:9], 0
	global_store_dword v[6:7], v3, off
.LBB433_1647:
	s_andn2_b64 vcc, exec, s[8:9]
	s_cbranch_vccnz .LBB433_1649
; %bb.1648:
	global_store_short v[6:7], v1, off
.LBB433_1649:
	s_mov_b64 s[8:9], 0
.LBB433_1650:
	s_andn2_b64 vcc, exec, s[8:9]
	s_cbranch_vccnz .LBB433_1658
; %bb.1651:
	v_cvt_f32_i32_sdwa v3, sext(v1) dst_sel:DWORD dst_unused:UNUSED_PAD src0_sel:WORD_0
	s_mov_b32 s8, 0x43800000
	v_mov_b32_e32 v9, 0x80
	v_and_b32_e32 v5, 0x7fffffff, v3
	v_cmp_gt_u32_e32 vcc, s8, v5
	s_and_saveexec_b64 s[8:9], vcc
	s_cbranch_execz .LBB433_1657
; %bb.1652:
	s_mov_b32 s10, 0x3bffffff
	v_cmp_lt_u32_e32 vcc, s10, v5
	s_mov_b64 s[10:11], 0
                                        ; implicit-def: $vgpr5
	s_and_saveexec_b64 s[12:13], vcc
	s_xor_b64 s[12:13], exec, s[12:13]
	s_cbranch_execz .LBB433_2106
; %bb.1653:
	v_bfe_u32 v5, v3, 20, 1
	s_mov_b32 s18, 0x487ffff
	v_add3_u32 v5, v3, v5, s18
	s_mov_b64 s[10:11], exec
	v_lshrrev_b32_e32 v5, 20, v5
	s_andn2_saveexec_b64 s[12:13], s[12:13]
	s_cbranch_execnz .LBB433_2107
.LBB433_1654:
	s_or_b64 exec, exec, s[12:13]
	v_mov_b32_e32 v9, 0
	s_and_saveexec_b64 s[12:13], s[10:11]
.LBB433_1655:
	v_lshrrev_b32_e32 v3, 24, v3
	s_movk_i32 s10, 0x80
	v_and_or_b32 v9, v3, s10, v5
.LBB433_1656:
	s_or_b64 exec, exec, s[12:13]
.LBB433_1657:
	s_or_b64 exec, exec, s[8:9]
	global_store_byte v[6:7], v9, off
.LBB433_1658:
	s_mov_b64 s[8:9], -1
.LBB433_1659:
	s_mov_b64 s[10:11], 0
.LBB433_1660:
	s_and_b64 vcc, exec, s[10:11]
	s_cbranch_vccz .LBB433_1700
; %bb.1661:
	s_cmp_gt_i32 s17, 22
	s_mov_b64 s[6:7], -1
	s_cbranch_scc0 .LBB433_1693
; %bb.1662:
	s_cmp_lt_i32 s17, 24
	s_cbranch_scc1 .LBB433_1682
; %bb.1663:
	s_cmp_gt_i32 s17, 24
	s_cbranch_scc0 .LBB433_1671
; %bb.1664:
	v_cvt_f32_i32_sdwa v3, sext(v1) dst_sel:DWORD dst_unused:UNUSED_PAD src0_sel:WORD_0
	s_mov_b32 s6, 0x47800000
	v_mov_b32_e32 v9, 0x80
	v_and_b32_e32 v5, 0x7fffffff, v3
	v_cmp_gt_u32_e32 vcc, s6, v5
	s_and_saveexec_b64 s[6:7], vcc
	s_cbranch_execz .LBB433_1670
; %bb.1665:
	s_mov_b32 s8, 0x37ffffff
	v_cmp_lt_u32_e32 vcc, s8, v5
	s_mov_b64 s[8:9], 0
                                        ; implicit-def: $vgpr5
	s_and_saveexec_b64 s[10:11], vcc
	s_xor_b64 s[10:11], exec, s[10:11]
	s_cbranch_execz .LBB433_2109
; %bb.1666:
	v_bfe_u32 v5, v3, 21, 1
	s_mov_b32 s12, 0x88fffff
	v_add3_u32 v5, v3, v5, s12
	s_mov_b64 s[8:9], exec
	v_lshrrev_b32_e32 v5, 21, v5
	s_andn2_saveexec_b64 s[10:11], s[10:11]
	s_cbranch_execnz .LBB433_2110
.LBB433_1667:
	s_or_b64 exec, exec, s[10:11]
	v_mov_b32_e32 v9, 0
	s_and_saveexec_b64 s[10:11], s[8:9]
.LBB433_1668:
	v_lshrrev_b32_e32 v3, 24, v3
	s_movk_i32 s8, 0x80
	v_and_or_b32 v9, v3, s8, v5
.LBB433_1669:
	s_or_b64 exec, exec, s[10:11]
.LBB433_1670:
	s_or_b64 exec, exec, s[6:7]
	s_mov_b64 s[6:7], 0
	global_store_byte v[6:7], v9, off
.LBB433_1671:
	s_and_b64 vcc, exec, s[6:7]
	s_cbranch_vccz .LBB433_1681
; %bb.1672:
	v_cvt_f32_i32_sdwa v3, sext(v1) dst_sel:DWORD dst_unused:UNUSED_PAD src0_sel:WORD_0
	s_mov_b32 s6, 0x43f00000
                                        ; implicit-def: $vgpr5
	v_and_b32_e32 v9, 0x7fffffff, v3
	v_cmp_gt_u32_e32 vcc, s6, v9
	s_and_saveexec_b64 s[6:7], vcc
	s_xor_b64 s[6:7], exec, s[6:7]
	s_cbranch_execz .LBB433_1678
; %bb.1673:
	s_mov_b32 s8, 0x3c7fffff
	v_cmp_lt_u32_e32 vcc, s8, v9
                                        ; implicit-def: $vgpr5
	s_and_saveexec_b64 s[8:9], vcc
	s_xor_b64 s[8:9], exec, s[8:9]
; %bb.1674:
	v_bfe_u32 v5, v3, 20, 1
	s_mov_b32 s10, 0x407ffff
	v_add3_u32 v5, v3, v5, s10
	v_lshrrev_b32_e32 v9, 20, v5
	v_and_b32_e32 v5, 0xff00000, v5
	s_mov_b32 s10, 0x7f00000
	v_mov_b32_e32 v11, 0x7e
	v_cmp_ne_u32_e32 vcc, s10, v5
	s_nop 1
	v_cndmask_b32_e32 v5, v11, v9, vcc
; %bb.1675:
	s_andn2_saveexec_b64 s[8:9], s[8:9]
; %bb.1676:
	s_mov_b32 s10, 0x46800000
	v_add_f32_e64 v5, |v3|, s10
; %bb.1677:
	s_or_b64 exec, exec, s[8:9]
                                        ; implicit-def: $vgpr9
.LBB433_1678:
	s_andn2_saveexec_b64 s[6:7], s[6:7]
; %bb.1679:
	s_mov_b32 s8, 0x7f800000
	v_mov_b32_e32 v5, 0x7e
	v_mov_b32_e32 v11, 0x7f
	v_cmp_lt_u32_e32 vcc, s8, v9
	s_nop 1
	v_cndmask_b32_e32 v5, v5, v11, vcc
; %bb.1680:
	s_or_b64 exec, exec, s[6:7]
	v_lshrrev_b32_e32 v3, 24, v3
	s_movk_i32 s6, 0x80
	v_and_or_b32 v3, v3, s6, v5
	global_store_byte v[6:7], v3, off
.LBB433_1681:
	s_mov_b64 s[6:7], 0
.LBB433_1682:
	s_andn2_b64 vcc, exec, s[6:7]
	s_cbranch_vccnz .LBB433_1692
; %bb.1683:
	v_cvt_f32_i32_sdwa v3, sext(v1) dst_sel:DWORD dst_unused:UNUSED_PAD src0_sel:WORD_0
	s_mov_b32 s6, 0x47800000
                                        ; implicit-def: $vgpr5
	v_and_b32_e32 v9, 0x7fffffff, v3
	v_cmp_gt_u32_e32 vcc, s6, v9
	s_and_saveexec_b64 s[6:7], vcc
	s_xor_b64 s[6:7], exec, s[6:7]
	s_cbranch_execz .LBB433_1689
; %bb.1684:
	s_mov_b32 s8, 0x387fffff
	v_cmp_lt_u32_e32 vcc, s8, v9
                                        ; implicit-def: $vgpr5
	s_and_saveexec_b64 s[8:9], vcc
	s_xor_b64 s[8:9], exec, s[8:9]
; %bb.1685:
	v_bfe_u32 v5, v3, 21, 1
	s_mov_b32 s10, 0x80fffff
	v_add3_u32 v5, v3, v5, s10
	v_lshrrev_b32_e32 v5, 21, v5
; %bb.1686:
	s_andn2_saveexec_b64 s[8:9], s[8:9]
; %bb.1687:
	s_mov_b32 s10, 0x43000000
	v_add_f32_e64 v5, |v3|, s10
; %bb.1688:
	s_or_b64 exec, exec, s[8:9]
                                        ; implicit-def: $vgpr9
.LBB433_1689:
	s_andn2_saveexec_b64 s[6:7], s[6:7]
; %bb.1690:
	s_mov_b32 s8, 0x7f800000
	v_mov_b32_e32 v5, 0x7c
	v_mov_b32_e32 v11, 0x7f
	v_cmp_lt_u32_e32 vcc, s8, v9
	s_nop 1
	v_cndmask_b32_e32 v5, v5, v11, vcc
; %bb.1691:
	s_or_b64 exec, exec, s[6:7]
	v_lshrrev_b32_e32 v3, 24, v3
	s_movk_i32 s6, 0x80
	v_and_or_b32 v3, v3, s6, v5
	global_store_byte v[6:7], v3, off
.LBB433_1692:
	s_mov_b64 s[6:7], 0
	s_mov_b64 s[8:9], -1
.LBB433_1693:
	s_andn2_b64 vcc, exec, s[6:7]
	s_mov_b64 s[6:7], 0
	s_cbranch_vccnz .LBB433_1700
; %bb.1694:
	s_cmp_gt_i32 s17, 14
	s_mov_b64 s[10:11], -1
	s_cbranch_scc0 .LBB433_1698
; %bb.1695:
	s_cmp_eq_u32 s17, 15
	s_mov_b64 s[0:1], -1
	s_cbranch_scc0 .LBB433_1697
; %bb.1696:
	v_cvt_f32_i32_sdwa v3, sext(v1) dst_sel:DWORD dst_unused:UNUSED_PAD src0_sel:WORD_0
	s_movk_i32 s6, 0x7fff
	s_mov_b64 s[0:1], 0
	s_mov_b64 s[8:9], -1
	v_bfe_u32 v5, v3, 16, 1
	v_add3_u32 v3, v3, v5, s6
	global_store_short_d16_hi v[6:7], v3, off
.LBB433_1697:
	s_mov_b64 s[10:11], 0
.LBB433_1698:
	s_mov_b64 s[6:7], 0
	s_and_b64 vcc, exec, s[10:11]
	s_cbranch_vccz .LBB433_1700
; %bb.1699:
	s_cmp_lg_u32 s17, 11
	s_mov_b64 s[6:7], -1
	s_cselect_b64 s[0:1], -1, 0
.LBB433_1700:
	s_and_b64 vcc, exec, s[0:1]
	s_cbranch_vccnz .LBB433_2108
; %bb.1701:
	s_andn2_b64 vcc, exec, s[6:7]
	s_cbranch_vccnz .LBB433_1703
.LBB433_1702:
	v_cmp_ne_u16_e32 vcc, 0, v1
	s_mov_b64 s[8:9], -1
	s_nop 0
	v_cndmask_b32_e64 v3, 0, 1, vcc
	global_store_byte v[6:7], v3, off
.LBB433_1703:
	s_mov_b64 s[0:1], 0
	s_branch .LBB433_1705
.LBB433_1704:
	s_mov_b64 s[0:1], -1
	s_mov_b64 s[8:9], 0
.LBB433_1705:
	s_and_b64 vcc, exec, s[0:1]
	s_cbranch_vccz .LBB433_1744
; %bb.1706:
	s_and_b32 s6, 0xffff, s16
	s_cmp_lt_i32 s6, 5
	s_mov_b64 s[0:1], -1
	s_cbranch_scc1 .LBB433_1727
; %bb.1707:
	s_cmp_lt_i32 s6, 8
	s_cbranch_scc1 .LBB433_1717
; %bb.1708:
	s_cmp_lt_i32 s6, 9
	s_cbranch_scc1 .LBB433_1714
; %bb.1709:
	s_cmp_gt_i32 s6, 9
	s_cbranch_scc0 .LBB433_1711
; %bb.1710:
	v_bfe_i32 v3, v1, 0, 16
	v_mov_b32_e32 v16, 0
	v_cvt_f64_i32_e32 v[14:15], v3
	v_mov_b32_e32 v17, v16
	global_store_dwordx4 v[6:7], v[14:17], off
	s_mov_b64 s[0:1], 0
.LBB433_1711:
	s_andn2_b64 vcc, exec, s[0:1]
	s_cbranch_vccnz .LBB433_1713
; %bb.1712:
	v_cvt_f32_i32_sdwa v14, sext(v1) dst_sel:DWORD dst_unused:UNUSED_PAD src0_sel:WORD_0
	v_mov_b32_e32 v15, 0
	global_store_dwordx2 v[6:7], v[14:15], off
.LBB433_1713:
	s_mov_b64 s[0:1], 0
.LBB433_1714:
	s_andn2_b64 vcc, exec, s[0:1]
	s_cbranch_vccnz .LBB433_1716
; %bb.1715:
	v_cvt_f16_i16_e32 v3, v1
	global_store_dword v[6:7], v3, off
.LBB433_1716:
	s_mov_b64 s[0:1], 0
.LBB433_1717:
	s_andn2_b64 vcc, exec, s[0:1]
	s_cbranch_vccnz .LBB433_1726
; %bb.1718:
	s_cmp_lt_i32 s6, 6
	s_mov_b64 s[0:1], -1
	s_cbranch_scc1 .LBB433_1724
; %bb.1719:
	s_cmp_gt_i32 s6, 6
	s_cbranch_scc0 .LBB433_1721
; %bb.1720:
	v_bfe_i32 v3, v1, 0, 16
	v_cvt_f64_i32_e32 v[14:15], v3
	global_store_dwordx2 v[6:7], v[14:15], off
	s_mov_b64 s[0:1], 0
.LBB433_1721:
	s_andn2_b64 vcc, exec, s[0:1]
	s_cbranch_vccnz .LBB433_1723
; %bb.1722:
	v_cvt_f32_i32_sdwa v3, sext(v1) dst_sel:DWORD dst_unused:UNUSED_PAD src0_sel:WORD_0
	global_store_dword v[6:7], v3, off
.LBB433_1723:
	s_mov_b64 s[0:1], 0
.LBB433_1724:
	s_andn2_b64 vcc, exec, s[0:1]
	s_cbranch_vccnz .LBB433_1726
; %bb.1725:
	v_cvt_f16_i16_e32 v3, v1
	global_store_short v[6:7], v3, off
.LBB433_1726:
	s_mov_b64 s[0:1], 0
.LBB433_1727:
	s_andn2_b64 vcc, exec, s[0:1]
	s_cbranch_vccnz .LBB433_1743
; %bb.1728:
	s_cmp_lt_i32 s6, 2
	s_mov_b64 s[0:1], -1
	s_cbranch_scc1 .LBB433_1738
; %bb.1729:
	s_cmp_lt_i32 s6, 3
	s_cbranch_scc1 .LBB433_1735
; %bb.1730:
	s_cmp_gt_i32 s6, 3
	v_bfe_i32 v14, v1, 0, 16
	s_cbranch_scc0 .LBB433_1732
; %bb.1731:
	v_ashrrev_i32_e32 v15, 31, v14
	global_store_dwordx2 v[6:7], v[14:15], off
	s_mov_b64 s[0:1], 0
.LBB433_1732:
	s_andn2_b64 vcc, exec, s[0:1]
	s_cbranch_vccnz .LBB433_1734
; %bb.1733:
	global_store_dword v[6:7], v14, off
.LBB433_1734:
	s_mov_b64 s[0:1], 0
.LBB433_1735:
	s_andn2_b64 vcc, exec, s[0:1]
	s_cbranch_vccnz .LBB433_1737
; %bb.1736:
	global_store_short v[6:7], v1, off
.LBB433_1737:
	s_mov_b64 s[0:1], 0
.LBB433_1738:
	s_andn2_b64 vcc, exec, s[0:1]
	s_cbranch_vccnz .LBB433_1743
; %bb.1739:
	s_cmp_gt_i32 s6, 0
	s_mov_b64 s[0:1], -1
	s_cbranch_scc0 .LBB433_1741
; %bb.1740:
	global_store_byte v[6:7], v1, off
	s_mov_b64 s[0:1], 0
.LBB433_1741:
	s_andn2_b64 vcc, exec, s[0:1]
	s_cbranch_vccnz .LBB433_1743
; %bb.1742:
	global_store_byte v[6:7], v1, off
.LBB433_1743:
	s_mov_b64 s[8:9], -1
.LBB433_1744:
	s_andn2_b64 vcc, exec, s[8:9]
	s_cbranch_vccnz .LBB433_2059
; %bb.1745:
	s_lshr_b32 s0, s14, 8
	s_and_b32 s14, s0, 0xff
	v_mov_b32_e32 v5, 0
	v_min_i16_sdwa v1, sext(v12), s15 dst_sel:DWORD dst_unused:UNUSED_PAD src0_sel:BYTE_0 src1_sel:DWORD
	s_cmp_lt_i32 s14, 11
	v_lshl_add_u64 v[4:5], s[4:5], 0, v[4:5]
	s_cbranch_scc1 .LBB433_1823
; %bb.1746:
	s_and_b32 s16, 0xffff, s14
	s_mov_b64 s[10:11], -1
	s_mov_b64 s[6:7], 0
	s_cmp_gt_i32 s16, 25
	s_mov_b64 s[8:9], 0
	s_mov_b64 s[0:1], 0
	s_cbranch_scc0 .LBB433_1779
; %bb.1747:
	s_cmp_gt_i32 s16, 28
	s_cbranch_scc0 .LBB433_1762
; %bb.1748:
	s_cmp_gt_i32 s16, 43
	;; [unrolled: 3-line block ×3, first 2 shown]
	s_cbranch_scc0 .LBB433_1752
; %bb.1750:
	s_mov_b64 s[0:1], -1
	s_mov_b64 s[10:11], 0
	s_cmp_eq_u32 s16, 46
	s_cbranch_scc0 .LBB433_1752
; %bb.1751:
	v_cvt_f32_i32_sdwa v3, sext(v1) dst_sel:DWORD dst_unused:UNUSED_PAD src0_sel:WORD_0
	s_movk_i32 s8, 0x7fff
	s_mov_b64 s[0:1], 0
	v_bfe_u32 v6, v3, 16, 1
	v_add3_u32 v3, v3, v6, s8
	v_lshrrev_b32_e32 v3, 16, v3
	global_store_dword v[4:5], v3, off
	s_mov_b64 s[8:9], -1
.LBB433_1752:
	s_and_b64 vcc, exec, s[10:11]
	s_cbranch_vccz .LBB433_1757
; %bb.1753:
	s_cmp_eq_u32 s16, 44
	s_mov_b64 s[0:1], -1
	s_cbranch_scc0 .LBB433_1757
; %bb.1754:
	v_cvt_f32_i32_sdwa v3, sext(v1) dst_sel:DWORD dst_unused:UNUSED_PAD src0_sel:WORD_0
	s_movk_i32 s0, 0xff
	v_mov_b32_e32 v7, 0xff
	v_bfe_u32 v6, v3, 23, 8
	v_cmp_ne_u32_e32 vcc, s0, v6
	s_and_saveexec_b64 s[8:9], vcc
; %bb.1755:
	s_mov_b32 s0, 0x3fffff
	v_lshrrev_b32_e32 v7, 23, v3
	v_and_b32_e32 v9, 0x400000, v3
	v_and_or_b32 v3, v3, s0, v6
	v_cmp_ne_u32_e32 vcc, 0, v9
	v_cmp_ne_u32_e64 s[0:1], 0, v3
	s_and_b64 s[0:1], vcc, s[0:1]
	s_nop 0
	v_cndmask_b32_e64 v3, 0, 1, s[0:1]
	v_add_u32_e32 v7, v7, v3
; %bb.1756:
	s_or_b64 exec, exec, s[8:9]
	s_mov_b64 s[0:1], 0
	s_mov_b64 s[8:9], -1
	global_store_byte v[4:5], v7, off
.LBB433_1757:
	s_mov_b64 s[10:11], 0
.LBB433_1758:
	s_and_b64 vcc, exec, s[10:11]
	s_cbranch_vccz .LBB433_1761
; %bb.1759:
	s_cmp_eq_u32 s16, 29
	s_mov_b64 s[0:1], -1
	s_cbranch_scc0 .LBB433_1761
; %bb.1760:
	v_bfe_i32 v6, v1, 0, 16
	v_ashrrev_i32_e32 v7, 31, v6
	global_store_dwordx2 v[4:5], v[6:7], off
	s_mov_b64 s[0:1], 0
	s_mov_b64 s[8:9], -1
.LBB433_1761:
	s_mov_b64 s[10:11], 0
.LBB433_1762:
	s_and_b64 vcc, exec, s[10:11]
	s_cbranch_vccz .LBB433_1778
; %bb.1763:
	s_cmp_lt_i32 s16, 27
	s_mov_b64 s[8:9], -1
	s_cbranch_scc1 .LBB433_1769
; %bb.1764:
	s_cmp_gt_i32 s16, 27
	s_cbranch_scc0 .LBB433_1766
; %bb.1765:
	v_bfe_i32 v3, v1, 0, 16
	s_mov_b64 s[8:9], 0
	global_store_dword v[4:5], v3, off
.LBB433_1766:
	s_andn2_b64 vcc, exec, s[8:9]
	s_cbranch_vccnz .LBB433_1768
; %bb.1767:
	global_store_short v[4:5], v1, off
.LBB433_1768:
	s_mov_b64 s[8:9], 0
.LBB433_1769:
	s_andn2_b64 vcc, exec, s[8:9]
	s_cbranch_vccnz .LBB433_1777
; %bb.1770:
	v_cvt_f32_i32_sdwa v3, sext(v1) dst_sel:DWORD dst_unused:UNUSED_PAD src0_sel:WORD_0
	s_mov_b32 s8, 0x43800000
	v_mov_b32_e32 v7, 0x80
	v_and_b32_e32 v6, 0x7fffffff, v3
	v_cmp_gt_u32_e32 vcc, s8, v6
	s_and_saveexec_b64 s[8:9], vcc
	s_cbranch_execz .LBB433_1776
; %bb.1771:
	s_mov_b32 s10, 0x3bffffff
	v_cmp_lt_u32_e32 vcc, s10, v6
	s_mov_b64 s[10:11], 0
                                        ; implicit-def: $vgpr6
	s_and_saveexec_b64 s[12:13], vcc
	s_xor_b64 s[12:13], exec, s[12:13]
	s_cbranch_execz .LBB433_2111
; %bb.1772:
	v_bfe_u32 v6, v3, 20, 1
	s_mov_b32 s17, 0x487ffff
	v_add3_u32 v6, v3, v6, s17
	s_mov_b64 s[10:11], exec
	v_lshrrev_b32_e32 v6, 20, v6
	s_andn2_saveexec_b64 s[12:13], s[12:13]
	s_cbranch_execnz .LBB433_2112
.LBB433_1773:
	s_or_b64 exec, exec, s[12:13]
	v_mov_b32_e32 v7, 0
	s_and_saveexec_b64 s[12:13], s[10:11]
.LBB433_1774:
	v_lshrrev_b32_e32 v3, 24, v3
	s_movk_i32 s10, 0x80
	v_and_or_b32 v7, v3, s10, v6
.LBB433_1775:
	s_or_b64 exec, exec, s[12:13]
.LBB433_1776:
	s_or_b64 exec, exec, s[8:9]
	global_store_byte v[4:5], v7, off
.LBB433_1777:
	s_mov_b64 s[8:9], -1
.LBB433_1778:
	s_mov_b64 s[10:11], 0
.LBB433_1779:
	s_and_b64 vcc, exec, s[10:11]
	s_cbranch_vccz .LBB433_1819
; %bb.1780:
	s_cmp_gt_i32 s16, 22
	s_mov_b64 s[6:7], -1
	s_cbranch_scc0 .LBB433_1812
; %bb.1781:
	s_cmp_lt_i32 s16, 24
	s_cbranch_scc1 .LBB433_1801
; %bb.1782:
	s_cmp_gt_i32 s16, 24
	s_cbranch_scc0 .LBB433_1790
; %bb.1783:
	v_cvt_f32_i32_sdwa v3, sext(v1) dst_sel:DWORD dst_unused:UNUSED_PAD src0_sel:WORD_0
	s_mov_b32 s6, 0x47800000
	v_mov_b32_e32 v7, 0x80
	v_and_b32_e32 v6, 0x7fffffff, v3
	v_cmp_gt_u32_e32 vcc, s6, v6
	s_and_saveexec_b64 s[6:7], vcc
	s_cbranch_execz .LBB433_1789
; %bb.1784:
	s_mov_b32 s8, 0x37ffffff
	v_cmp_lt_u32_e32 vcc, s8, v6
	s_mov_b64 s[8:9], 0
                                        ; implicit-def: $vgpr6
	s_and_saveexec_b64 s[10:11], vcc
	s_xor_b64 s[10:11], exec, s[10:11]
	s_cbranch_execz .LBB433_2114
; %bb.1785:
	v_bfe_u32 v6, v3, 21, 1
	s_mov_b32 s12, 0x88fffff
	v_add3_u32 v6, v3, v6, s12
	s_mov_b64 s[8:9], exec
	v_lshrrev_b32_e32 v6, 21, v6
	s_andn2_saveexec_b64 s[10:11], s[10:11]
	s_cbranch_execnz .LBB433_2115
.LBB433_1786:
	s_or_b64 exec, exec, s[10:11]
	v_mov_b32_e32 v7, 0
	s_and_saveexec_b64 s[10:11], s[8:9]
.LBB433_1787:
	v_lshrrev_b32_e32 v3, 24, v3
	s_movk_i32 s8, 0x80
	v_and_or_b32 v7, v3, s8, v6
.LBB433_1788:
	s_or_b64 exec, exec, s[10:11]
.LBB433_1789:
	s_or_b64 exec, exec, s[6:7]
	s_mov_b64 s[6:7], 0
	global_store_byte v[4:5], v7, off
.LBB433_1790:
	s_and_b64 vcc, exec, s[6:7]
	s_cbranch_vccz .LBB433_1800
; %bb.1791:
	v_cvt_f32_i32_sdwa v3, sext(v1) dst_sel:DWORD dst_unused:UNUSED_PAD src0_sel:WORD_0
	s_mov_b32 s6, 0x43f00000
                                        ; implicit-def: $vgpr6
	v_and_b32_e32 v7, 0x7fffffff, v3
	v_cmp_gt_u32_e32 vcc, s6, v7
	s_and_saveexec_b64 s[6:7], vcc
	s_xor_b64 s[6:7], exec, s[6:7]
	s_cbranch_execz .LBB433_1797
; %bb.1792:
	s_mov_b32 s8, 0x3c7fffff
	v_cmp_lt_u32_e32 vcc, s8, v7
                                        ; implicit-def: $vgpr6
	s_and_saveexec_b64 s[8:9], vcc
	s_xor_b64 s[8:9], exec, s[8:9]
; %bb.1793:
	v_bfe_u32 v6, v3, 20, 1
	s_mov_b32 s10, 0x407ffff
	v_add3_u32 v6, v3, v6, s10
	v_lshrrev_b32_e32 v7, 20, v6
	v_and_b32_e32 v6, 0xff00000, v6
	s_mov_b32 s10, 0x7f00000
	v_mov_b32_e32 v9, 0x7e
	v_cmp_ne_u32_e32 vcc, s10, v6
	s_nop 1
	v_cndmask_b32_e32 v6, v9, v7, vcc
; %bb.1794:
	s_andn2_saveexec_b64 s[8:9], s[8:9]
; %bb.1795:
	s_mov_b32 s10, 0x46800000
	v_add_f32_e64 v6, |v3|, s10
; %bb.1796:
	s_or_b64 exec, exec, s[8:9]
                                        ; implicit-def: $vgpr7
.LBB433_1797:
	s_andn2_saveexec_b64 s[6:7], s[6:7]
; %bb.1798:
	s_mov_b32 s8, 0x7f800000
	v_mov_b32_e32 v6, 0x7e
	v_mov_b32_e32 v9, 0x7f
	v_cmp_lt_u32_e32 vcc, s8, v7
	s_nop 1
	v_cndmask_b32_e32 v6, v6, v9, vcc
; %bb.1799:
	s_or_b64 exec, exec, s[6:7]
	v_lshrrev_b32_e32 v3, 24, v3
	s_movk_i32 s6, 0x80
	v_and_or_b32 v3, v3, s6, v6
	global_store_byte v[4:5], v3, off
.LBB433_1800:
	s_mov_b64 s[6:7], 0
.LBB433_1801:
	s_andn2_b64 vcc, exec, s[6:7]
	s_cbranch_vccnz .LBB433_1811
; %bb.1802:
	v_cvt_f32_i32_sdwa v3, sext(v1) dst_sel:DWORD dst_unused:UNUSED_PAD src0_sel:WORD_0
	s_mov_b32 s6, 0x47800000
                                        ; implicit-def: $vgpr6
	v_and_b32_e32 v7, 0x7fffffff, v3
	v_cmp_gt_u32_e32 vcc, s6, v7
	s_and_saveexec_b64 s[6:7], vcc
	s_xor_b64 s[6:7], exec, s[6:7]
	s_cbranch_execz .LBB433_1808
; %bb.1803:
	s_mov_b32 s8, 0x387fffff
	v_cmp_lt_u32_e32 vcc, s8, v7
                                        ; implicit-def: $vgpr6
	s_and_saveexec_b64 s[8:9], vcc
	s_xor_b64 s[8:9], exec, s[8:9]
; %bb.1804:
	v_bfe_u32 v6, v3, 21, 1
	s_mov_b32 s10, 0x80fffff
	v_add3_u32 v6, v3, v6, s10
	v_lshrrev_b32_e32 v6, 21, v6
; %bb.1805:
	s_andn2_saveexec_b64 s[8:9], s[8:9]
; %bb.1806:
	s_mov_b32 s10, 0x43000000
	v_add_f32_e64 v6, |v3|, s10
; %bb.1807:
	s_or_b64 exec, exec, s[8:9]
                                        ; implicit-def: $vgpr7
.LBB433_1808:
	s_andn2_saveexec_b64 s[6:7], s[6:7]
; %bb.1809:
	s_mov_b32 s8, 0x7f800000
	v_mov_b32_e32 v6, 0x7c
	v_mov_b32_e32 v9, 0x7f
	v_cmp_lt_u32_e32 vcc, s8, v7
	s_nop 1
	v_cndmask_b32_e32 v6, v6, v9, vcc
; %bb.1810:
	s_or_b64 exec, exec, s[6:7]
	v_lshrrev_b32_e32 v3, 24, v3
	s_movk_i32 s6, 0x80
	v_and_or_b32 v3, v3, s6, v6
	global_store_byte v[4:5], v3, off
.LBB433_1811:
	s_mov_b64 s[6:7], 0
	s_mov_b64 s[8:9], -1
.LBB433_1812:
	s_andn2_b64 vcc, exec, s[6:7]
	s_mov_b64 s[6:7], 0
	s_cbranch_vccnz .LBB433_1819
; %bb.1813:
	s_cmp_gt_i32 s16, 14
	s_mov_b64 s[10:11], -1
	s_cbranch_scc0 .LBB433_1817
; %bb.1814:
	s_cmp_eq_u32 s16, 15
	s_mov_b64 s[0:1], -1
	s_cbranch_scc0 .LBB433_1816
; %bb.1815:
	v_cvt_f32_i32_sdwa v3, sext(v1) dst_sel:DWORD dst_unused:UNUSED_PAD src0_sel:WORD_0
	s_movk_i32 s6, 0x7fff
	s_mov_b64 s[0:1], 0
	s_mov_b64 s[8:9], -1
	v_bfe_u32 v6, v3, 16, 1
	v_add3_u32 v3, v3, v6, s6
	global_store_short_d16_hi v[4:5], v3, off
.LBB433_1816:
	s_mov_b64 s[10:11], 0
.LBB433_1817:
	s_mov_b64 s[6:7], 0
	s_and_b64 vcc, exec, s[10:11]
	s_cbranch_vccz .LBB433_1819
; %bb.1818:
	s_cmp_lg_u32 s16, 11
	s_mov_b64 s[6:7], -1
	s_cselect_b64 s[0:1], -1, 0
.LBB433_1819:
	s_and_b64 vcc, exec, s[0:1]
	s_cbranch_vccnz .LBB433_2113
; %bb.1820:
	s_andn2_b64 vcc, exec, s[6:7]
	s_cbranch_vccnz .LBB433_1822
.LBB433_1821:
	v_cmp_ne_u16_e32 vcc, 0, v1
	s_mov_b64 s[8:9], -1
	s_nop 0
	v_cndmask_b32_e64 v3, 0, 1, vcc
	global_store_byte v[4:5], v3, off
.LBB433_1822:
	s_mov_b64 s[0:1], 0
	s_branch .LBB433_1824
.LBB433_1823:
	s_mov_b64 s[0:1], -1
	s_mov_b64 s[8:9], 0
.LBB433_1824:
	s_and_b64 vcc, exec, s[0:1]
	s_cbranch_vccz .LBB433_1863
; %bb.1825:
	s_and_b32 s6, 0xffff, s14
	s_cmp_lt_i32 s6, 5
	s_mov_b64 s[0:1], -1
	s_cbranch_scc1 .LBB433_1846
; %bb.1826:
	s_cmp_lt_i32 s6, 8
	s_cbranch_scc1 .LBB433_1836
; %bb.1827:
	s_cmp_lt_i32 s6, 9
	s_cbranch_scc1 .LBB433_1833
; %bb.1828:
	s_cmp_gt_i32 s6, 9
	s_cbranch_scc0 .LBB433_1830
; %bb.1829:
	v_bfe_i32 v3, v1, 0, 16
	v_mov_b32_e32 v14, 0
	v_cvt_f64_i32_e32 v[12:13], v3
	v_mov_b32_e32 v15, v14
	global_store_dwordx4 v[4:5], v[12:15], off
	s_mov_b64 s[0:1], 0
.LBB433_1830:
	s_andn2_b64 vcc, exec, s[0:1]
	s_cbranch_vccnz .LBB433_1832
; %bb.1831:
	v_cvt_f32_i32_sdwa v6, sext(v1) dst_sel:DWORD dst_unused:UNUSED_PAD src0_sel:WORD_0
	v_mov_b32_e32 v7, 0
	global_store_dwordx2 v[4:5], v[6:7], off
.LBB433_1832:
	s_mov_b64 s[0:1], 0
.LBB433_1833:
	s_andn2_b64 vcc, exec, s[0:1]
	s_cbranch_vccnz .LBB433_1835
; %bb.1834:
	v_cvt_f16_i16_e32 v3, v1
	global_store_dword v[4:5], v3, off
.LBB433_1835:
	s_mov_b64 s[0:1], 0
.LBB433_1836:
	s_andn2_b64 vcc, exec, s[0:1]
	s_cbranch_vccnz .LBB433_1845
; %bb.1837:
	s_cmp_lt_i32 s6, 6
	s_mov_b64 s[0:1], -1
	s_cbranch_scc1 .LBB433_1843
; %bb.1838:
	s_cmp_gt_i32 s6, 6
	s_cbranch_scc0 .LBB433_1840
; %bb.1839:
	v_bfe_i32 v3, v1, 0, 16
	v_cvt_f64_i32_e32 v[6:7], v3
	global_store_dwordx2 v[4:5], v[6:7], off
	s_mov_b64 s[0:1], 0
.LBB433_1840:
	s_andn2_b64 vcc, exec, s[0:1]
	s_cbranch_vccnz .LBB433_1842
; %bb.1841:
	v_cvt_f32_i32_sdwa v3, sext(v1) dst_sel:DWORD dst_unused:UNUSED_PAD src0_sel:WORD_0
	global_store_dword v[4:5], v3, off
.LBB433_1842:
	s_mov_b64 s[0:1], 0
.LBB433_1843:
	s_andn2_b64 vcc, exec, s[0:1]
	s_cbranch_vccnz .LBB433_1845
; %bb.1844:
	v_cvt_f16_i16_e32 v3, v1
	global_store_short v[4:5], v3, off
.LBB433_1845:
	s_mov_b64 s[0:1], 0
.LBB433_1846:
	s_andn2_b64 vcc, exec, s[0:1]
	s_cbranch_vccnz .LBB433_1862
; %bb.1847:
	s_cmp_lt_i32 s6, 2
	s_mov_b64 s[0:1], -1
	s_cbranch_scc1 .LBB433_1857
; %bb.1848:
	s_cmp_lt_i32 s6, 3
	s_cbranch_scc1 .LBB433_1854
; %bb.1849:
	s_cmp_gt_i32 s6, 3
	s_cbranch_scc0 .LBB433_1851
; %bb.1850:
	v_bfe_i32 v6, v1, 0, 16
	v_ashrrev_i32_e32 v7, 31, v6
	global_store_dwordx2 v[4:5], v[6:7], off
	s_mov_b64 s[0:1], 0
.LBB433_1851:
	s_andn2_b64 vcc, exec, s[0:1]
	s_cbranch_vccnz .LBB433_1853
; %bb.1852:
	v_bfe_i32 v3, v1, 0, 16
	global_store_dword v[4:5], v3, off
.LBB433_1853:
	s_mov_b64 s[0:1], 0
.LBB433_1854:
	s_andn2_b64 vcc, exec, s[0:1]
	s_cbranch_vccnz .LBB433_1856
; %bb.1855:
	global_store_short v[4:5], v1, off
.LBB433_1856:
	s_mov_b64 s[0:1], 0
.LBB433_1857:
	s_andn2_b64 vcc, exec, s[0:1]
	s_cbranch_vccnz .LBB433_1862
; %bb.1858:
	s_cmp_gt_i32 s6, 0
	s_mov_b64 s[0:1], -1
	s_cbranch_scc0 .LBB433_1860
; %bb.1859:
	global_store_byte v[4:5], v1, off
	s_mov_b64 s[0:1], 0
.LBB433_1860:
	s_andn2_b64 vcc, exec, s[0:1]
	s_cbranch_vccnz .LBB433_1862
; %bb.1861:
	global_store_byte v[4:5], v1, off
.LBB433_1862:
	s_mov_b64 s[8:9], -1
.LBB433_1863:
	s_andn2_b64 vcc, exec, s[8:9]
	s_cbranch_vccnz .LBB433_2059
; %bb.1864:
	v_mov_b32_e32 v3, 0
	v_min_i16_sdwa v1, sext(v10), s15 dst_sel:DWORD dst_unused:UNUSED_PAD src0_sel:BYTE_0 src1_sel:DWORD
	s_cmp_lt_i32 s14, 11
	v_lshl_add_u64 v[2:3], s[4:5], 0, v[2:3]
	s_cbranch_scc1 .LBB433_1942
; %bb.1865:
	s_and_b32 s16, 0xffff, s14
	s_mov_b64 s[10:11], -1
	s_mov_b64 s[6:7], 0
	s_cmp_gt_i32 s16, 25
	s_mov_b64 s[8:9], 0
	s_mov_b64 s[0:1], 0
	s_cbranch_scc0 .LBB433_1898
; %bb.1866:
	s_cmp_gt_i32 s16, 28
	s_cbranch_scc0 .LBB433_1881
; %bb.1867:
	s_cmp_gt_i32 s16, 43
	;; [unrolled: 3-line block ×3, first 2 shown]
	s_cbranch_scc0 .LBB433_1871
; %bb.1869:
	s_mov_b64 s[0:1], -1
	s_mov_b64 s[10:11], 0
	s_cmp_eq_u32 s16, 46
	s_cbranch_scc0 .LBB433_1871
; %bb.1870:
	v_cvt_f32_i32_sdwa v4, sext(v1) dst_sel:DWORD dst_unused:UNUSED_PAD src0_sel:WORD_0
	s_movk_i32 s8, 0x7fff
	s_mov_b64 s[0:1], 0
	v_bfe_u32 v5, v4, 16, 1
	v_add3_u32 v4, v4, v5, s8
	v_lshrrev_b32_e32 v4, 16, v4
	global_store_dword v[2:3], v4, off
	s_mov_b64 s[8:9], -1
.LBB433_1871:
	s_and_b64 vcc, exec, s[10:11]
	s_cbranch_vccz .LBB433_1876
; %bb.1872:
	s_cmp_eq_u32 s16, 44
	s_mov_b64 s[0:1], -1
	s_cbranch_scc0 .LBB433_1876
; %bb.1873:
	v_cvt_f32_i32_sdwa v4, sext(v1) dst_sel:DWORD dst_unused:UNUSED_PAD src0_sel:WORD_0
	s_movk_i32 s0, 0xff
	v_mov_b32_e32 v6, 0xff
	v_bfe_u32 v5, v4, 23, 8
	v_cmp_ne_u32_e32 vcc, s0, v5
	s_and_saveexec_b64 s[8:9], vcc
; %bb.1874:
	s_mov_b32 s0, 0x3fffff
	v_lshrrev_b32_e32 v6, 23, v4
	v_and_b32_e32 v7, 0x400000, v4
	v_and_or_b32 v4, v4, s0, v5
	v_cmp_ne_u32_e32 vcc, 0, v7
	v_cmp_ne_u32_e64 s[0:1], 0, v4
	s_and_b64 s[0:1], vcc, s[0:1]
	s_nop 0
	v_cndmask_b32_e64 v4, 0, 1, s[0:1]
	v_add_u32_e32 v6, v6, v4
; %bb.1875:
	s_or_b64 exec, exec, s[8:9]
	s_mov_b64 s[0:1], 0
	s_mov_b64 s[8:9], -1
	global_store_byte v[2:3], v6, off
.LBB433_1876:
	s_mov_b64 s[10:11], 0
.LBB433_1877:
	s_and_b64 vcc, exec, s[10:11]
	s_cbranch_vccz .LBB433_1880
; %bb.1878:
	s_cmp_eq_u32 s16, 29
	s_mov_b64 s[0:1], -1
	s_cbranch_scc0 .LBB433_1880
; %bb.1879:
	v_bfe_i32 v4, v1, 0, 16
	v_ashrrev_i32_e32 v5, 31, v4
	global_store_dwordx2 v[2:3], v[4:5], off
	s_mov_b64 s[0:1], 0
	s_mov_b64 s[8:9], -1
.LBB433_1880:
	s_mov_b64 s[10:11], 0
.LBB433_1881:
	s_and_b64 vcc, exec, s[10:11]
	s_cbranch_vccz .LBB433_1897
; %bb.1882:
	s_cmp_lt_i32 s16, 27
	s_mov_b64 s[8:9], -1
	s_cbranch_scc1 .LBB433_1888
; %bb.1883:
	s_cmp_gt_i32 s16, 27
	s_cbranch_scc0 .LBB433_1885
; %bb.1884:
	v_bfe_i32 v4, v1, 0, 16
	s_mov_b64 s[8:9], 0
	global_store_dword v[2:3], v4, off
.LBB433_1885:
	s_andn2_b64 vcc, exec, s[8:9]
	s_cbranch_vccnz .LBB433_1887
; %bb.1886:
	global_store_short v[2:3], v1, off
.LBB433_1887:
	s_mov_b64 s[8:9], 0
.LBB433_1888:
	s_andn2_b64 vcc, exec, s[8:9]
	s_cbranch_vccnz .LBB433_1896
; %bb.1889:
	v_cvt_f32_i32_sdwa v4, sext(v1) dst_sel:DWORD dst_unused:UNUSED_PAD src0_sel:WORD_0
	s_mov_b32 s8, 0x43800000
	v_mov_b32_e32 v6, 0x80
	v_and_b32_e32 v5, 0x7fffffff, v4
	v_cmp_gt_u32_e32 vcc, s8, v5
	s_and_saveexec_b64 s[8:9], vcc
	s_cbranch_execz .LBB433_1895
; %bb.1890:
	s_mov_b32 s10, 0x3bffffff
	v_cmp_lt_u32_e32 vcc, s10, v5
	s_mov_b64 s[10:11], 0
                                        ; implicit-def: $vgpr5
	s_and_saveexec_b64 s[12:13], vcc
	s_xor_b64 s[12:13], exec, s[12:13]
	s_cbranch_execz .LBB433_2116
; %bb.1891:
	v_bfe_u32 v5, v4, 20, 1
	s_mov_b32 s17, 0x487ffff
	v_add3_u32 v5, v4, v5, s17
	s_mov_b64 s[10:11], exec
	v_lshrrev_b32_e32 v5, 20, v5
	s_andn2_saveexec_b64 s[12:13], s[12:13]
	s_cbranch_execnz .LBB433_2117
.LBB433_1892:
	s_or_b64 exec, exec, s[12:13]
	v_mov_b32_e32 v6, 0
	s_and_saveexec_b64 s[12:13], s[10:11]
.LBB433_1893:
	v_lshrrev_b32_e32 v4, 24, v4
	s_movk_i32 s10, 0x80
	v_and_or_b32 v6, v4, s10, v5
.LBB433_1894:
	s_or_b64 exec, exec, s[12:13]
.LBB433_1895:
	s_or_b64 exec, exec, s[8:9]
	global_store_byte v[2:3], v6, off
.LBB433_1896:
	s_mov_b64 s[8:9], -1
.LBB433_1897:
	s_mov_b64 s[10:11], 0
.LBB433_1898:
	s_and_b64 vcc, exec, s[10:11]
	s_cbranch_vccz .LBB433_1938
; %bb.1899:
	s_cmp_gt_i32 s16, 22
	s_mov_b64 s[6:7], -1
	s_cbranch_scc0 .LBB433_1931
; %bb.1900:
	s_cmp_lt_i32 s16, 24
	s_cbranch_scc1 .LBB433_1920
; %bb.1901:
	s_cmp_gt_i32 s16, 24
	s_cbranch_scc0 .LBB433_1909
; %bb.1902:
	v_cvt_f32_i32_sdwa v4, sext(v1) dst_sel:DWORD dst_unused:UNUSED_PAD src0_sel:WORD_0
	s_mov_b32 s6, 0x47800000
	v_mov_b32_e32 v6, 0x80
	v_and_b32_e32 v5, 0x7fffffff, v4
	v_cmp_gt_u32_e32 vcc, s6, v5
	s_and_saveexec_b64 s[6:7], vcc
	s_cbranch_execz .LBB433_1908
; %bb.1903:
	s_mov_b32 s8, 0x37ffffff
	v_cmp_lt_u32_e32 vcc, s8, v5
	s_mov_b64 s[8:9], 0
                                        ; implicit-def: $vgpr5
	s_and_saveexec_b64 s[10:11], vcc
	s_xor_b64 s[10:11], exec, s[10:11]
	s_cbranch_execz .LBB433_2119
; %bb.1904:
	v_bfe_u32 v5, v4, 21, 1
	s_mov_b32 s12, 0x88fffff
	v_add3_u32 v5, v4, v5, s12
	s_mov_b64 s[8:9], exec
	v_lshrrev_b32_e32 v5, 21, v5
	s_andn2_saveexec_b64 s[10:11], s[10:11]
	s_cbranch_execnz .LBB433_2120
.LBB433_1905:
	s_or_b64 exec, exec, s[10:11]
	v_mov_b32_e32 v6, 0
	s_and_saveexec_b64 s[10:11], s[8:9]
.LBB433_1906:
	v_lshrrev_b32_e32 v4, 24, v4
	s_movk_i32 s8, 0x80
	v_and_or_b32 v6, v4, s8, v5
.LBB433_1907:
	s_or_b64 exec, exec, s[10:11]
.LBB433_1908:
	s_or_b64 exec, exec, s[6:7]
	s_mov_b64 s[6:7], 0
	global_store_byte v[2:3], v6, off
.LBB433_1909:
	s_and_b64 vcc, exec, s[6:7]
	s_cbranch_vccz .LBB433_1919
; %bb.1910:
	v_cvt_f32_i32_sdwa v4, sext(v1) dst_sel:DWORD dst_unused:UNUSED_PAD src0_sel:WORD_0
	s_mov_b32 s6, 0x43f00000
                                        ; implicit-def: $vgpr5
	v_and_b32_e32 v6, 0x7fffffff, v4
	v_cmp_gt_u32_e32 vcc, s6, v6
	s_and_saveexec_b64 s[6:7], vcc
	s_xor_b64 s[6:7], exec, s[6:7]
	s_cbranch_execz .LBB433_1916
; %bb.1911:
	s_mov_b32 s8, 0x3c7fffff
	v_cmp_lt_u32_e32 vcc, s8, v6
                                        ; implicit-def: $vgpr5
	s_and_saveexec_b64 s[8:9], vcc
	s_xor_b64 s[8:9], exec, s[8:9]
; %bb.1912:
	v_bfe_u32 v5, v4, 20, 1
	s_mov_b32 s10, 0x407ffff
	v_add3_u32 v5, v4, v5, s10
	v_lshrrev_b32_e32 v6, 20, v5
	v_and_b32_e32 v5, 0xff00000, v5
	s_mov_b32 s10, 0x7f00000
	v_mov_b32_e32 v7, 0x7e
	v_cmp_ne_u32_e32 vcc, s10, v5
	s_nop 1
	v_cndmask_b32_e32 v5, v7, v6, vcc
; %bb.1913:
	s_andn2_saveexec_b64 s[8:9], s[8:9]
; %bb.1914:
	s_mov_b32 s10, 0x46800000
	v_add_f32_e64 v5, |v4|, s10
; %bb.1915:
	s_or_b64 exec, exec, s[8:9]
                                        ; implicit-def: $vgpr6
.LBB433_1916:
	s_andn2_saveexec_b64 s[6:7], s[6:7]
; %bb.1917:
	s_mov_b32 s8, 0x7f800000
	v_mov_b32_e32 v5, 0x7e
	v_mov_b32_e32 v7, 0x7f
	v_cmp_lt_u32_e32 vcc, s8, v6
	s_nop 1
	v_cndmask_b32_e32 v5, v5, v7, vcc
; %bb.1918:
	s_or_b64 exec, exec, s[6:7]
	v_lshrrev_b32_e32 v4, 24, v4
	s_movk_i32 s6, 0x80
	v_and_or_b32 v4, v4, s6, v5
	global_store_byte v[2:3], v4, off
.LBB433_1919:
	s_mov_b64 s[6:7], 0
.LBB433_1920:
	s_andn2_b64 vcc, exec, s[6:7]
	s_cbranch_vccnz .LBB433_1930
; %bb.1921:
	v_cvt_f32_i32_sdwa v4, sext(v1) dst_sel:DWORD dst_unused:UNUSED_PAD src0_sel:WORD_0
	s_mov_b32 s6, 0x47800000
                                        ; implicit-def: $vgpr5
	v_and_b32_e32 v6, 0x7fffffff, v4
	v_cmp_gt_u32_e32 vcc, s6, v6
	s_and_saveexec_b64 s[6:7], vcc
	s_xor_b64 s[6:7], exec, s[6:7]
	s_cbranch_execz .LBB433_1927
; %bb.1922:
	s_mov_b32 s8, 0x387fffff
	v_cmp_lt_u32_e32 vcc, s8, v6
                                        ; implicit-def: $vgpr5
	s_and_saveexec_b64 s[8:9], vcc
	s_xor_b64 s[8:9], exec, s[8:9]
; %bb.1923:
	v_bfe_u32 v5, v4, 21, 1
	s_mov_b32 s10, 0x80fffff
	v_add3_u32 v5, v4, v5, s10
	v_lshrrev_b32_e32 v5, 21, v5
; %bb.1924:
	s_andn2_saveexec_b64 s[8:9], s[8:9]
; %bb.1925:
	s_mov_b32 s10, 0x43000000
	v_add_f32_e64 v5, |v4|, s10
; %bb.1926:
	s_or_b64 exec, exec, s[8:9]
                                        ; implicit-def: $vgpr6
.LBB433_1927:
	s_andn2_saveexec_b64 s[6:7], s[6:7]
; %bb.1928:
	s_mov_b32 s8, 0x7f800000
	v_mov_b32_e32 v5, 0x7c
	v_mov_b32_e32 v7, 0x7f
	v_cmp_lt_u32_e32 vcc, s8, v6
	s_nop 1
	v_cndmask_b32_e32 v5, v5, v7, vcc
; %bb.1929:
	s_or_b64 exec, exec, s[6:7]
	v_lshrrev_b32_e32 v4, 24, v4
	s_movk_i32 s6, 0x80
	v_and_or_b32 v4, v4, s6, v5
	global_store_byte v[2:3], v4, off
.LBB433_1930:
	s_mov_b64 s[6:7], 0
	s_mov_b64 s[8:9], -1
.LBB433_1931:
	s_andn2_b64 vcc, exec, s[6:7]
	s_mov_b64 s[6:7], 0
	s_cbranch_vccnz .LBB433_1938
; %bb.1932:
	s_cmp_gt_i32 s16, 14
	s_mov_b64 s[10:11], -1
	s_cbranch_scc0 .LBB433_1936
; %bb.1933:
	s_cmp_eq_u32 s16, 15
	s_mov_b64 s[0:1], -1
	s_cbranch_scc0 .LBB433_1935
; %bb.1934:
	v_cvt_f32_i32_sdwa v4, sext(v1) dst_sel:DWORD dst_unused:UNUSED_PAD src0_sel:WORD_0
	s_movk_i32 s6, 0x7fff
	s_mov_b64 s[0:1], 0
	s_mov_b64 s[8:9], -1
	v_bfe_u32 v5, v4, 16, 1
	v_add3_u32 v4, v4, v5, s6
	global_store_short_d16_hi v[2:3], v4, off
.LBB433_1935:
	s_mov_b64 s[10:11], 0
.LBB433_1936:
	s_mov_b64 s[6:7], 0
	s_and_b64 vcc, exec, s[10:11]
	s_cbranch_vccz .LBB433_1938
; %bb.1937:
	s_cmp_lg_u32 s16, 11
	s_mov_b64 s[6:7], -1
	s_cselect_b64 s[0:1], -1, 0
.LBB433_1938:
	s_and_b64 vcc, exec, s[0:1]
	s_cbranch_vccnz .LBB433_2118
; %bb.1939:
	s_andn2_b64 vcc, exec, s[6:7]
	s_cbranch_vccnz .LBB433_1941
.LBB433_1940:
	v_cmp_ne_u16_e32 vcc, 0, v1
	s_mov_b64 s[8:9], -1
	s_nop 0
	v_cndmask_b32_e64 v4, 0, 1, vcc
	global_store_byte v[2:3], v4, off
.LBB433_1941:
	s_mov_b64 s[0:1], 0
	s_branch .LBB433_1943
.LBB433_1942:
	s_mov_b64 s[0:1], -1
	s_mov_b64 s[8:9], 0
.LBB433_1943:
	s_and_b64 vcc, exec, s[0:1]
	s_cbranch_vccz .LBB433_1982
; %bb.1944:
	s_and_b32 s6, 0xffff, s14
	s_cmp_lt_i32 s6, 5
	s_mov_b64 s[0:1], -1
	s_cbranch_scc1 .LBB433_1965
; %bb.1945:
	s_cmp_lt_i32 s6, 8
	s_cbranch_scc1 .LBB433_1955
; %bb.1946:
	s_cmp_lt_i32 s6, 9
	s_cbranch_scc1 .LBB433_1952
; %bb.1947:
	s_cmp_gt_i32 s6, 9
	s_cbranch_scc0 .LBB433_1949
; %bb.1948:
	v_bfe_i32 v4, v1, 0, 16
	v_mov_b32_e32 v6, 0
	v_cvt_f64_i32_e32 v[4:5], v4
	v_mov_b32_e32 v7, v6
	global_store_dwordx4 v[2:3], v[4:7], off
	s_mov_b64 s[0:1], 0
.LBB433_1949:
	s_andn2_b64 vcc, exec, s[0:1]
	s_cbranch_vccnz .LBB433_1951
; %bb.1950:
	v_cvt_f32_i32_sdwa v4, sext(v1) dst_sel:DWORD dst_unused:UNUSED_PAD src0_sel:WORD_0
	v_mov_b32_e32 v5, 0
	global_store_dwordx2 v[2:3], v[4:5], off
.LBB433_1951:
	s_mov_b64 s[0:1], 0
.LBB433_1952:
	s_andn2_b64 vcc, exec, s[0:1]
	s_cbranch_vccnz .LBB433_1954
; %bb.1953:
	v_cvt_f16_i16_e32 v4, v1
	global_store_dword v[2:3], v4, off
.LBB433_1954:
	s_mov_b64 s[0:1], 0
.LBB433_1955:
	s_andn2_b64 vcc, exec, s[0:1]
	s_cbranch_vccnz .LBB433_1964
; %bb.1956:
	s_cmp_lt_i32 s6, 6
	s_mov_b64 s[0:1], -1
	s_cbranch_scc1 .LBB433_1962
; %bb.1957:
	s_cmp_gt_i32 s6, 6
	s_cbranch_scc0 .LBB433_1959
; %bb.1958:
	v_bfe_i32 v4, v1, 0, 16
	v_cvt_f64_i32_e32 v[4:5], v4
	global_store_dwordx2 v[2:3], v[4:5], off
	s_mov_b64 s[0:1], 0
.LBB433_1959:
	s_andn2_b64 vcc, exec, s[0:1]
	s_cbranch_vccnz .LBB433_1961
; %bb.1960:
	v_cvt_f32_i32_sdwa v4, sext(v1) dst_sel:DWORD dst_unused:UNUSED_PAD src0_sel:WORD_0
	global_store_dword v[2:3], v4, off
.LBB433_1961:
	s_mov_b64 s[0:1], 0
.LBB433_1962:
	s_andn2_b64 vcc, exec, s[0:1]
	s_cbranch_vccnz .LBB433_1964
; %bb.1963:
	v_cvt_f16_i16_e32 v4, v1
	global_store_short v[2:3], v4, off
.LBB433_1964:
	s_mov_b64 s[0:1], 0
.LBB433_1965:
	s_andn2_b64 vcc, exec, s[0:1]
	s_cbranch_vccnz .LBB433_1981
; %bb.1966:
	s_cmp_lt_i32 s6, 2
	s_mov_b64 s[0:1], -1
	s_cbranch_scc1 .LBB433_1976
; %bb.1967:
	s_cmp_lt_i32 s6, 3
	s_cbranch_scc1 .LBB433_1973
; %bb.1968:
	s_cmp_gt_i32 s6, 3
	v_bfe_i32 v4, v1, 0, 16
	s_cbranch_scc0 .LBB433_1970
; %bb.1969:
	v_ashrrev_i32_e32 v5, 31, v4
	global_store_dwordx2 v[2:3], v[4:5], off
	s_mov_b64 s[0:1], 0
.LBB433_1970:
	s_andn2_b64 vcc, exec, s[0:1]
	s_cbranch_vccnz .LBB433_1972
; %bb.1971:
	global_store_dword v[2:3], v4, off
.LBB433_1972:
	s_mov_b64 s[0:1], 0
.LBB433_1973:
	s_andn2_b64 vcc, exec, s[0:1]
	s_cbranch_vccnz .LBB433_1975
; %bb.1974:
	global_store_short v[2:3], v1, off
.LBB433_1975:
	s_mov_b64 s[0:1], 0
.LBB433_1976:
	s_andn2_b64 vcc, exec, s[0:1]
	s_cbranch_vccnz .LBB433_1981
; %bb.1977:
	s_cmp_gt_i32 s6, 0
	s_mov_b64 s[0:1], -1
	s_cbranch_scc0 .LBB433_1979
; %bb.1978:
	global_store_byte v[2:3], v1, off
	s_mov_b64 s[0:1], 0
.LBB433_1979:
	s_andn2_b64 vcc, exec, s[0:1]
	s_cbranch_vccnz .LBB433_1981
; %bb.1980:
	global_store_byte v[2:3], v1, off
.LBB433_1981:
	s_mov_b64 s[8:9], -1
.LBB433_1982:
	s_andn2_b64 vcc, exec, s[8:9]
	s_cbranch_vccnz .LBB433_2059
; %bb.1983:
	v_mov_b32_e32 v1, 0
	v_min_i16_sdwa v2, sext(v8), s15 dst_sel:DWORD dst_unused:UNUSED_PAD src0_sel:BYTE_0 src1_sel:DWORD
	s_cmp_lt_i32 s14, 11
	v_lshl_add_u64 v[0:1], s[4:5], 0, v[0:1]
	s_cbranch_scc1 .LBB433_2104
; %bb.1984:
	s_and_b32 s12, 0xffff, s14
	s_mov_b64 s[6:7], -1
	s_mov_b64 s[4:5], 0
	s_cmp_gt_i32 s12, 25
	s_mov_b64 s[0:1], 0
	s_cbranch_scc0 .LBB433_2017
; %bb.1985:
	s_cmp_gt_i32 s12, 28
	s_cbranch_scc0 .LBB433_2001
; %bb.1986:
	s_cmp_gt_i32 s12, 43
	;; [unrolled: 3-line block ×3, first 2 shown]
	s_cbranch_scc0 .LBB433_1991
; %bb.1988:
	s_cmp_eq_u32 s12, 46
	s_mov_b64 s[0:1], -1
	s_cbranch_scc0 .LBB433_1990
; %bb.1989:
	v_cvt_f32_i32_sdwa v3, sext(v2) dst_sel:DWORD dst_unused:UNUSED_PAD src0_sel:WORD_0
	s_movk_i32 s0, 0x7fff
	v_bfe_u32 v4, v3, 16, 1
	v_add3_u32 v3, v3, v4, s0
	v_lshrrev_b32_e32 v3, 16, v3
	global_store_dword v[0:1], v3, off
	s_mov_b64 s[0:1], 0
.LBB433_1990:
	s_mov_b64 s[6:7], 0
.LBB433_1991:
	s_and_b64 vcc, exec, s[6:7]
	s_cbranch_vccz .LBB433_1996
; %bb.1992:
	s_cmp_eq_u32 s12, 44
	s_mov_b64 s[0:1], -1
	s_cbranch_scc0 .LBB433_1996
; %bb.1993:
	v_cvt_f32_i32_sdwa v3, sext(v2) dst_sel:DWORD dst_unused:UNUSED_PAD src0_sel:WORD_0
	s_movk_i32 s0, 0xff
	v_mov_b32_e32 v5, 0xff
	v_bfe_u32 v4, v3, 23, 8
	v_cmp_ne_u32_e32 vcc, s0, v4
	s_and_saveexec_b64 s[6:7], vcc
; %bb.1994:
	s_mov_b32 s0, 0x3fffff
	v_lshrrev_b32_e32 v5, 23, v3
	v_and_b32_e32 v6, 0x400000, v3
	v_and_or_b32 v3, v3, s0, v4
	v_cmp_ne_u32_e32 vcc, 0, v6
	v_cmp_ne_u32_e64 s[0:1], 0, v3
	s_and_b64 s[0:1], vcc, s[0:1]
	s_nop 0
	v_cndmask_b32_e64 v3, 0, 1, s[0:1]
	v_add_u32_e32 v5, v5, v3
; %bb.1995:
	s_or_b64 exec, exec, s[6:7]
	s_mov_b64 s[0:1], 0
	global_store_byte v[0:1], v5, off
.LBB433_1996:
	s_mov_b64 s[6:7], 0
.LBB433_1997:
	s_and_b64 vcc, exec, s[6:7]
	s_cbranch_vccz .LBB433_2000
; %bb.1998:
	s_cmp_eq_u32 s12, 29
	s_mov_b64 s[0:1], -1
	s_cbranch_scc0 .LBB433_2000
; %bb.1999:
	v_bfe_i32 v4, v2, 0, 16
	v_ashrrev_i32_e32 v5, 31, v4
	global_store_dwordx2 v[0:1], v[4:5], off
	s_mov_b64 s[0:1], 0
.LBB433_2000:
	s_mov_b64 s[6:7], 0
.LBB433_2001:
	s_and_b64 vcc, exec, s[6:7]
	s_cbranch_vccz .LBB433_2016
; %bb.2002:
	s_cmp_lt_i32 s12, 27
	s_mov_b64 s[6:7], -1
	s_cbranch_scc1 .LBB433_2008
; %bb.2003:
	s_cmp_gt_i32 s12, 27
	s_cbranch_scc0 .LBB433_2005
; %bb.2004:
	v_bfe_i32 v3, v2, 0, 16
	global_store_dword v[0:1], v3, off
	s_mov_b64 s[6:7], 0
.LBB433_2005:
	s_andn2_b64 vcc, exec, s[6:7]
	s_cbranch_vccnz .LBB433_2007
; %bb.2006:
	global_store_short v[0:1], v2, off
.LBB433_2007:
	s_mov_b64 s[6:7], 0
.LBB433_2008:
	s_andn2_b64 vcc, exec, s[6:7]
	s_cbranch_vccnz .LBB433_2016
; %bb.2009:
	v_cvt_f32_i32_sdwa v3, sext(v2) dst_sel:DWORD dst_unused:UNUSED_PAD src0_sel:WORD_0
	s_mov_b32 s6, 0x43800000
	v_mov_b32_e32 v5, 0x80
	v_and_b32_e32 v4, 0x7fffffff, v3
	v_cmp_gt_u32_e32 vcc, s6, v4
	s_and_saveexec_b64 s[6:7], vcc
	s_cbranch_execz .LBB433_2015
; %bb.2010:
	s_mov_b32 s8, 0x3bffffff
	v_cmp_lt_u32_e32 vcc, s8, v4
	s_mov_b64 s[8:9], 0
                                        ; implicit-def: $vgpr4
	s_and_saveexec_b64 s[10:11], vcc
	s_xor_b64 s[10:11], exec, s[10:11]
	s_cbranch_execz .LBB433_2121
; %bb.2011:
	v_bfe_u32 v4, v3, 20, 1
	s_mov_b32 s13, 0x487ffff
	v_add3_u32 v4, v3, v4, s13
	s_mov_b64 s[8:9], exec
	v_lshrrev_b32_e32 v4, 20, v4
	s_andn2_saveexec_b64 s[10:11], s[10:11]
	s_cbranch_execnz .LBB433_2122
.LBB433_2012:
	s_or_b64 exec, exec, s[10:11]
	v_mov_b32_e32 v5, 0
	s_and_saveexec_b64 s[10:11], s[8:9]
.LBB433_2013:
	v_lshrrev_b32_e32 v3, 24, v3
	s_movk_i32 s8, 0x80
	v_and_or_b32 v5, v3, s8, v4
.LBB433_2014:
	s_or_b64 exec, exec, s[10:11]
.LBB433_2015:
	s_or_b64 exec, exec, s[6:7]
	global_store_byte v[0:1], v5, off
.LBB433_2016:
	s_mov_b64 s[6:7], 0
.LBB433_2017:
	s_and_b64 vcc, exec, s[6:7]
	s_cbranch_vccz .LBB433_2057
; %bb.2018:
	s_cmp_gt_i32 s12, 22
	s_mov_b64 s[4:5], -1
	s_cbranch_scc0 .LBB433_2050
; %bb.2019:
	s_cmp_lt_i32 s12, 24
	s_cbranch_scc1 .LBB433_2039
; %bb.2020:
	s_cmp_gt_i32 s12, 24
	s_cbranch_scc0 .LBB433_2028
; %bb.2021:
	v_cvt_f32_i32_sdwa v3, sext(v2) dst_sel:DWORD dst_unused:UNUSED_PAD src0_sel:WORD_0
	s_mov_b32 s4, 0x47800000
	v_mov_b32_e32 v5, 0x80
	v_and_b32_e32 v4, 0x7fffffff, v3
	v_cmp_gt_u32_e32 vcc, s4, v4
	s_and_saveexec_b64 s[4:5], vcc
	s_cbranch_execz .LBB433_2027
; %bb.2022:
	s_mov_b32 s6, 0x37ffffff
	v_cmp_lt_u32_e32 vcc, s6, v4
	s_mov_b64 s[6:7], 0
                                        ; implicit-def: $vgpr4
	s_and_saveexec_b64 s[8:9], vcc
	s_xor_b64 s[8:9], exec, s[8:9]
	s_cbranch_execz .LBB433_2124
; %bb.2023:
	v_bfe_u32 v4, v3, 21, 1
	s_mov_b32 s10, 0x88fffff
	v_add3_u32 v4, v3, v4, s10
	s_mov_b64 s[6:7], exec
	v_lshrrev_b32_e32 v4, 21, v4
	s_andn2_saveexec_b64 s[8:9], s[8:9]
	s_cbranch_execnz .LBB433_2125
.LBB433_2024:
	s_or_b64 exec, exec, s[8:9]
	v_mov_b32_e32 v5, 0
	s_and_saveexec_b64 s[8:9], s[6:7]
.LBB433_2025:
	v_lshrrev_b32_e32 v3, 24, v3
	s_movk_i32 s6, 0x80
	v_and_or_b32 v5, v3, s6, v4
.LBB433_2026:
	s_or_b64 exec, exec, s[8:9]
.LBB433_2027:
	s_or_b64 exec, exec, s[4:5]
	s_mov_b64 s[4:5], 0
	global_store_byte v[0:1], v5, off
.LBB433_2028:
	s_and_b64 vcc, exec, s[4:5]
	s_cbranch_vccz .LBB433_2038
; %bb.2029:
	v_cvt_f32_i32_sdwa v3, sext(v2) dst_sel:DWORD dst_unused:UNUSED_PAD src0_sel:WORD_0
	s_mov_b32 s4, 0x43f00000
                                        ; implicit-def: $vgpr4
	v_and_b32_e32 v5, 0x7fffffff, v3
	v_cmp_gt_u32_e32 vcc, s4, v5
	s_and_saveexec_b64 s[4:5], vcc
	s_xor_b64 s[4:5], exec, s[4:5]
	s_cbranch_execz .LBB433_2035
; %bb.2030:
	s_mov_b32 s6, 0x3c7fffff
	v_cmp_lt_u32_e32 vcc, s6, v5
                                        ; implicit-def: $vgpr4
	s_and_saveexec_b64 s[6:7], vcc
	s_xor_b64 s[6:7], exec, s[6:7]
; %bb.2031:
	v_bfe_u32 v4, v3, 20, 1
	s_mov_b32 s8, 0x407ffff
	v_add3_u32 v4, v3, v4, s8
	v_lshrrev_b32_e32 v5, 20, v4
	v_and_b32_e32 v4, 0xff00000, v4
	s_mov_b32 s8, 0x7f00000
	v_mov_b32_e32 v6, 0x7e
	v_cmp_ne_u32_e32 vcc, s8, v4
	s_nop 1
	v_cndmask_b32_e32 v4, v6, v5, vcc
; %bb.2032:
	s_andn2_saveexec_b64 s[6:7], s[6:7]
; %bb.2033:
	s_mov_b32 s8, 0x46800000
	v_add_f32_e64 v4, |v3|, s8
; %bb.2034:
	s_or_b64 exec, exec, s[6:7]
                                        ; implicit-def: $vgpr5
.LBB433_2035:
	s_andn2_saveexec_b64 s[4:5], s[4:5]
; %bb.2036:
	s_mov_b32 s6, 0x7f800000
	v_mov_b32_e32 v4, 0x7e
	v_mov_b32_e32 v6, 0x7f
	v_cmp_lt_u32_e32 vcc, s6, v5
	s_nop 1
	v_cndmask_b32_e32 v4, v4, v6, vcc
; %bb.2037:
	s_or_b64 exec, exec, s[4:5]
	v_lshrrev_b32_e32 v3, 24, v3
	s_movk_i32 s4, 0x80
	v_and_or_b32 v3, v3, s4, v4
	global_store_byte v[0:1], v3, off
.LBB433_2038:
	s_mov_b64 s[4:5], 0
.LBB433_2039:
	s_andn2_b64 vcc, exec, s[4:5]
	s_cbranch_vccnz .LBB433_2049
; %bb.2040:
	v_cvt_f32_i32_sdwa v3, sext(v2) dst_sel:DWORD dst_unused:UNUSED_PAD src0_sel:WORD_0
	s_mov_b32 s4, 0x47800000
                                        ; implicit-def: $vgpr4
	v_and_b32_e32 v5, 0x7fffffff, v3
	v_cmp_gt_u32_e32 vcc, s4, v5
	s_and_saveexec_b64 s[4:5], vcc
	s_xor_b64 s[4:5], exec, s[4:5]
	s_cbranch_execz .LBB433_2046
; %bb.2041:
	s_mov_b32 s6, 0x387fffff
	v_cmp_lt_u32_e32 vcc, s6, v5
                                        ; implicit-def: $vgpr4
	s_and_saveexec_b64 s[6:7], vcc
	s_xor_b64 s[6:7], exec, s[6:7]
; %bb.2042:
	v_bfe_u32 v4, v3, 21, 1
	s_mov_b32 s8, 0x80fffff
	v_add3_u32 v4, v3, v4, s8
	v_lshrrev_b32_e32 v4, 21, v4
; %bb.2043:
	s_andn2_saveexec_b64 s[6:7], s[6:7]
; %bb.2044:
	s_mov_b32 s8, 0x43000000
	v_add_f32_e64 v4, |v3|, s8
; %bb.2045:
	s_or_b64 exec, exec, s[6:7]
                                        ; implicit-def: $vgpr5
.LBB433_2046:
	s_andn2_saveexec_b64 s[4:5], s[4:5]
; %bb.2047:
	s_mov_b32 s6, 0x7f800000
	v_mov_b32_e32 v4, 0x7c
	v_mov_b32_e32 v6, 0x7f
	v_cmp_lt_u32_e32 vcc, s6, v5
	s_nop 1
	v_cndmask_b32_e32 v4, v4, v6, vcc
; %bb.2048:
	s_or_b64 exec, exec, s[4:5]
	v_lshrrev_b32_e32 v3, 24, v3
	s_movk_i32 s4, 0x80
	v_and_or_b32 v3, v3, s4, v4
	global_store_byte v[0:1], v3, off
.LBB433_2049:
	s_mov_b64 s[4:5], 0
.LBB433_2050:
	s_andn2_b64 vcc, exec, s[4:5]
	s_mov_b64 s[4:5], 0
	s_cbranch_vccnz .LBB433_2057
; %bb.2051:
	s_cmp_gt_i32 s12, 14
	s_mov_b64 s[6:7], -1
	s_cbranch_scc0 .LBB433_2055
; %bb.2052:
	s_cmp_eq_u32 s12, 15
	s_mov_b64 s[0:1], -1
	s_cbranch_scc0 .LBB433_2054
; %bb.2053:
	v_cvt_f32_i32_sdwa v3, sext(v2) dst_sel:DWORD dst_unused:UNUSED_PAD src0_sel:WORD_0
	s_movk_i32 s0, 0x7fff
	v_bfe_u32 v4, v3, 16, 1
	v_add3_u32 v3, v3, v4, s0
	global_store_short_d16_hi v[0:1], v3, off
	s_mov_b64 s[0:1], 0
.LBB433_2054:
	s_mov_b64 s[6:7], 0
.LBB433_2055:
	s_and_b64 vcc, exec, s[6:7]
	s_cbranch_vccz .LBB433_2057
; %bb.2056:
	s_cmp_lg_u32 s12, 11
	s_mov_b64 s[4:5], -1
	s_cselect_b64 s[0:1], -1, 0
.LBB433_2057:
	s_and_b64 vcc, exec, s[0:1]
	s_cbranch_vccnz .LBB433_2123
.LBB433_2058:
	s_mov_b64 s[0:1], 0
	s_branch .LBB433_2060
.LBB433_2059:
	s_mov_b64 s[0:1], 0
	s_mov_b64 s[4:5], 0
                                        ; implicit-def: $vgpr0_vgpr1
                                        ; implicit-def: $sgpr14
                                        ; implicit-def: $vgpr2
.LBB433_2060:
	s_and_b64 s[6:7], s[0:1], exec
	s_andn2_b64 s[0:1], s[24:25], exec
	s_and_b64 s[2:3], s[2:3], exec
	s_and_b64 s[40:41], s[4:5], exec
	s_or_b64 s[24:25], s[0:1], s[2:3]
.LBB433_2061:
	s_or_b64 exec, exec, s[26:27]
	s_and_saveexec_b64 s[0:1], s[24:25]
	s_cbranch_execz .LBB433_2064
; %bb.2062:
	; divergent unreachable
	s_or_b64 exec, exec, s[0:1]
	s_and_saveexec_b64 s[0:1], s[40:41]
	s_xor_b64 s[0:1], exec, s[0:1]
	s_cbranch_execnz .LBB433_2065
.LBB433_2063:
	s_or_b64 exec, exec, s[0:1]
	s_and_saveexec_b64 s[0:1], s[6:7]
	s_cbranch_execnz .LBB433_2066
	s_branch .LBB433_2103
.LBB433_2064:
	s_or_b64 exec, exec, s[0:1]
	s_and_saveexec_b64 s[0:1], s[40:41]
	s_xor_b64 s[0:1], exec, s[0:1]
	s_cbranch_execz .LBB433_2063
.LBB433_2065:
	v_mov_b32_e32 v3, 0
	v_cmp_ne_u16_sdwa s[2:3], v2, v3 src0_sel:BYTE_0 src1_sel:DWORD
	s_nop 1
	v_cndmask_b32_e64 v3, 0, 1, s[2:3]
	global_store_byte v[0:1], v3, off
	s_or_b64 exec, exec, s[0:1]
	s_and_saveexec_b64 s[0:1], s[6:7]
	s_cbranch_execz .LBB433_2103
.LBB433_2066:
	s_sext_i32_i16 s2, s14
	s_cmp_lt_i32 s2, 5
	s_mov_b64 s[0:1], -1
	s_cbranch_scc1 .LBB433_2087
; %bb.2067:
	s_cmp_lt_i32 s2, 8
	s_cbranch_scc1 .LBB433_2077
; %bb.2068:
	s_cmp_lt_i32 s2, 9
	s_cbranch_scc1 .LBB433_2074
; %bb.2069:
	s_cmp_gt_i32 s2, 9
	s_cbranch_scc0 .LBB433_2071
; %bb.2070:
	v_bfe_i32 v3, v2, 0, 8
	v_bfe_i32 v3, v3, 0, 16
	v_mov_b32_e32 v6, 0
	s_waitcnt vmcnt(0)
	v_cvt_f64_i32_e32 v[4:5], v3
	v_mov_b32_e32 v7, v6
	global_store_dwordx4 v[0:1], v[4:7], off
	s_mov_b64 s[0:1], 0
.LBB433_2071:
	s_andn2_b64 vcc, exec, s[0:1]
	s_cbranch_vccnz .LBB433_2073
; %bb.2072:
	v_bfe_i32 v3, v2, 0, 8
	s_waitcnt vmcnt(0)
	v_cvt_f32_i32_sdwa v4, sext(v3) dst_sel:DWORD dst_unused:UNUSED_PAD src0_sel:WORD_0
	v_mov_b32_e32 v5, 0
	global_store_dwordx2 v[0:1], v[4:5], off
.LBB433_2073:
	s_mov_b64 s[0:1], 0
.LBB433_2074:
	s_andn2_b64 vcc, exec, s[0:1]
	s_cbranch_vccnz .LBB433_2076
; %bb.2075:
	v_cvt_f16_i16_sdwa v3, sext(v2) dst_sel:DWORD dst_unused:UNUSED_PAD src0_sel:BYTE_0
	global_store_dword v[0:1], v3, off
.LBB433_2076:
	s_mov_b64 s[0:1], 0
.LBB433_2077:
	s_andn2_b64 vcc, exec, s[0:1]
	s_cbranch_vccnz .LBB433_2086
; %bb.2078:
	s_sext_i32_i16 s2, s14
	s_cmp_lt_i32 s2, 6
	s_mov_b64 s[0:1], -1
	s_cbranch_scc1 .LBB433_2084
; %bb.2079:
	s_cmp_gt_i32 s2, 6
	s_cbranch_scc0 .LBB433_2081
; %bb.2080:
	v_bfe_i32 v3, v2, 0, 8
	v_bfe_i32 v3, v3, 0, 16
	s_waitcnt vmcnt(0)
	v_cvt_f64_i32_e32 v[4:5], v3
	global_store_dwordx2 v[0:1], v[4:5], off
	s_mov_b64 s[0:1], 0
.LBB433_2081:
	s_andn2_b64 vcc, exec, s[0:1]
	s_cbranch_vccnz .LBB433_2083
; %bb.2082:
	v_bfe_i32 v3, v2, 0, 8
	v_cvt_f32_i32_sdwa v3, sext(v3) dst_sel:DWORD dst_unused:UNUSED_PAD src0_sel:WORD_0
	global_store_dword v[0:1], v3, off
.LBB433_2083:
	s_mov_b64 s[0:1], 0
.LBB433_2084:
	s_andn2_b64 vcc, exec, s[0:1]
	s_cbranch_vccnz .LBB433_2086
; %bb.2085:
	v_cvt_f16_i16_sdwa v3, sext(v2) dst_sel:DWORD dst_unused:UNUSED_PAD src0_sel:BYTE_0
	global_store_short v[0:1], v3, off
.LBB433_2086:
	s_mov_b64 s[0:1], 0
.LBB433_2087:
	s_andn2_b64 vcc, exec, s[0:1]
	s_cbranch_vccnz .LBB433_2103
; %bb.2088:
	s_sext_i32_i16 s2, s14
	s_cmp_lt_i32 s2, 2
	s_mov_b64 s[0:1], -1
	s_cbranch_scc1 .LBB433_2098
; %bb.2089:
	s_cmp_lt_i32 s2, 3
	s_cbranch_scc1 .LBB433_2095
; %bb.2090:
	s_cmp_gt_i32 s2, 3
	s_cbranch_scc0 .LBB433_2092
; %bb.2091:
	s_waitcnt vmcnt(0)
	v_bfe_i32 v4, v2, 0, 8
	v_ashrrev_i32_e32 v5, 31, v4
	global_store_dwordx2 v[0:1], v[4:5], off
	s_mov_b64 s[0:1], 0
.LBB433_2092:
	s_andn2_b64 vcc, exec, s[0:1]
	s_cbranch_vccnz .LBB433_2094
; %bb.2093:
	v_bfe_i32 v3, v2, 0, 8
	global_store_dword v[0:1], v3, off
.LBB433_2094:
	s_mov_b64 s[0:1], 0
.LBB433_2095:
	s_andn2_b64 vcc, exec, s[0:1]
	s_cbranch_vccnz .LBB433_2097
; %bb.2096:
	v_bfe_i32 v3, v2, 0, 8
	global_store_short v[0:1], v3, off
.LBB433_2097:
	s_mov_b64 s[0:1], 0
.LBB433_2098:
	s_andn2_b64 vcc, exec, s[0:1]
	s_cbranch_vccnz .LBB433_2103
; %bb.2099:
	s_sext_i32_i16 s0, s14
	s_cmp_gt_i32 s0, 0
	s_mov_b64 s[0:1], -1
	s_cbranch_scc0 .LBB433_2101
; %bb.2100:
	global_store_byte v[0:1], v2, off
	s_mov_b64 s[0:1], 0
.LBB433_2101:
	s_andn2_b64 vcc, exec, s[0:1]
	s_cbranch_vccnz .LBB433_2103
; %bb.2102:
	global_store_byte v[0:1], v2, off
	s_endpgm
.LBB433_2103:
	s_endpgm
.LBB433_2104:
	s_mov_b64 s[4:5], 0
	s_mov_b64 s[0:1], -1
	s_branch .LBB433_2060
.LBB433_2105:
	s_trap 2
	s_or_b64 s[2:3], s[2:3], exec
	s_cbranch_execz .LBB433_1574
	s_branch .LBB433_1575
.LBB433_2106:
	s_andn2_saveexec_b64 s[12:13], s[12:13]
	s_cbranch_execz .LBB433_1654
.LBB433_2107:
	s_mov_b32 s18, 0x46000000
	v_add_f32_e64 v5, |v3|, s18
	v_and_b32_e32 v5, 0xff, v5
	v_cmp_ne_u32_e32 vcc, 0, v5
	s_andn2_b64 s[10:11], s[10:11], exec
	s_and_b64 s[18:19], vcc, exec
	s_or_b64 s[10:11], s[10:11], s[18:19]
	s_or_b64 exec, exec, s[12:13]
	v_mov_b32_e32 v9, 0
	s_and_saveexec_b64 s[12:13], s[10:11]
	s_cbranch_execnz .LBB433_1655
	s_branch .LBB433_1656
.LBB433_2108:
	s_trap 2
	s_or_b64 s[2:3], s[2:3], exec
	s_cbranch_execz .LBB433_1702
	s_branch .LBB433_1703
.LBB433_2109:
	s_andn2_saveexec_b64 s[10:11], s[10:11]
	s_cbranch_execz .LBB433_1667
.LBB433_2110:
	s_mov_b32 s12, 0x42800000
	v_add_f32_e64 v5, |v3|, s12
	v_and_b32_e32 v5, 0xff, v5
	v_cmp_ne_u32_e32 vcc, 0, v5
	s_andn2_b64 s[8:9], s[8:9], exec
	s_and_b64 s[12:13], vcc, exec
	s_or_b64 s[8:9], s[8:9], s[12:13]
	s_or_b64 exec, exec, s[10:11]
	v_mov_b32_e32 v9, 0
	s_and_saveexec_b64 s[10:11], s[8:9]
	s_cbranch_execnz .LBB433_1668
	s_branch .LBB433_1669
.LBB433_2111:
	s_andn2_saveexec_b64 s[12:13], s[12:13]
	s_cbranch_execz .LBB433_1773
.LBB433_2112:
	s_mov_b32 s17, 0x46000000
	v_add_f32_e64 v6, |v3|, s17
	v_and_b32_e32 v6, 0xff, v6
	v_cmp_ne_u32_e32 vcc, 0, v6
	s_andn2_b64 s[10:11], s[10:11], exec
	s_and_b64 s[18:19], vcc, exec
	s_or_b64 s[10:11], s[10:11], s[18:19]
	s_or_b64 exec, exec, s[12:13]
	v_mov_b32_e32 v7, 0
	s_and_saveexec_b64 s[12:13], s[10:11]
	s_cbranch_execnz .LBB433_1774
	s_branch .LBB433_1775
.LBB433_2113:
	s_trap 2
	s_or_b64 s[2:3], s[2:3], exec
	s_cbranch_execz .LBB433_1821
	s_branch .LBB433_1822
.LBB433_2114:
	s_andn2_saveexec_b64 s[10:11], s[10:11]
	s_cbranch_execz .LBB433_1786
.LBB433_2115:
	s_mov_b32 s12, 0x42800000
	v_add_f32_e64 v6, |v3|, s12
	v_and_b32_e32 v6, 0xff, v6
	v_cmp_ne_u32_e32 vcc, 0, v6
	s_andn2_b64 s[8:9], s[8:9], exec
	s_and_b64 s[12:13], vcc, exec
	s_or_b64 s[8:9], s[8:9], s[12:13]
	s_or_b64 exec, exec, s[10:11]
	v_mov_b32_e32 v7, 0
	s_and_saveexec_b64 s[10:11], s[8:9]
	s_cbranch_execnz .LBB433_1787
	s_branch .LBB433_1788
.LBB433_2116:
	s_andn2_saveexec_b64 s[12:13], s[12:13]
	s_cbranch_execz .LBB433_1892
.LBB433_2117:
	s_mov_b32 s17, 0x46000000
	v_add_f32_e64 v5, |v4|, s17
	v_and_b32_e32 v5, 0xff, v5
	v_cmp_ne_u32_e32 vcc, 0, v5
	s_andn2_b64 s[10:11], s[10:11], exec
	s_and_b64 s[18:19], vcc, exec
	s_or_b64 s[10:11], s[10:11], s[18:19]
	s_or_b64 exec, exec, s[12:13]
	v_mov_b32_e32 v6, 0
	s_and_saveexec_b64 s[12:13], s[10:11]
	s_cbranch_execnz .LBB433_1893
	s_branch .LBB433_1894
.LBB433_2118:
	s_trap 2
	s_or_b64 s[2:3], s[2:3], exec
	s_cbranch_execz .LBB433_1940
	s_branch .LBB433_1941
.LBB433_2119:
	s_andn2_saveexec_b64 s[10:11], s[10:11]
	s_cbranch_execz .LBB433_1905
.LBB433_2120:
	s_mov_b32 s12, 0x42800000
	v_add_f32_e64 v5, |v4|, s12
	v_and_b32_e32 v5, 0xff, v5
	v_cmp_ne_u32_e32 vcc, 0, v5
	s_andn2_b64 s[8:9], s[8:9], exec
	s_and_b64 s[12:13], vcc, exec
	s_or_b64 s[8:9], s[8:9], s[12:13]
	s_or_b64 exec, exec, s[10:11]
	v_mov_b32_e32 v6, 0
	s_and_saveexec_b64 s[10:11], s[8:9]
	s_cbranch_execnz .LBB433_1906
	s_branch .LBB433_1907
.LBB433_2121:
	s_andn2_saveexec_b64 s[10:11], s[10:11]
	s_cbranch_execz .LBB433_2012
.LBB433_2122:
	s_mov_b32 s13, 0x46000000
	v_add_f32_e64 v4, |v3|, s13
	v_and_b32_e32 v4, 0xff, v4
	v_cmp_ne_u32_e32 vcc, 0, v4
	s_andn2_b64 s[8:9], s[8:9], exec
	s_and_b64 s[16:17], vcc, exec
	s_or_b64 s[8:9], s[8:9], s[16:17]
	s_or_b64 exec, exec, s[10:11]
	v_mov_b32_e32 v5, 0
	s_and_saveexec_b64 s[10:11], s[8:9]
	s_cbranch_execnz .LBB433_2013
	s_branch .LBB433_2014
.LBB433_2123:
	s_mov_b64 s[4:5], 0
	s_or_b64 s[2:3], s[2:3], exec
	s_trap 2
	s_branch .LBB433_2058
.LBB433_2124:
	s_andn2_saveexec_b64 s[8:9], s[8:9]
	s_cbranch_execz .LBB433_2024
.LBB433_2125:
	s_mov_b32 s10, 0x42800000
	v_add_f32_e64 v4, |v3|, s10
	v_and_b32_e32 v4, 0xff, v4
	v_cmp_ne_u32_e32 vcc, 0, v4
	s_andn2_b64 s[6:7], s[6:7], exec
	s_and_b64 s[10:11], vcc, exec
	s_or_b64 s[6:7], s[6:7], s[10:11]
	s_or_b64 exec, exec, s[8:9]
	v_mov_b32_e32 v5, 0
	s_and_saveexec_b64 s[8:9], s[6:7]
	s_cbranch_execnz .LBB433_2025
	s_branch .LBB433_2026
	.section	.rodata,"a",@progbits
	.p2align	6, 0x0
	.amdhsa_kernel _ZN2at6native32elementwise_kernel_manual_unrollILi128ELi4EZNS0_15gpu_kernel_implIZZZNS0_21clamp_max_kernel_cudaERNS_18TensorIteratorBaseERKN3c106ScalarEENKUlvE_clEvENKUlvE0_clEvEUlaE_EEvS4_RKT_EUlibE0_EEviT1_
		.amdhsa_group_segment_fixed_size 0
		.amdhsa_private_segment_fixed_size 0
		.amdhsa_kernarg_size 360
		.amdhsa_user_sgpr_count 2
		.amdhsa_user_sgpr_dispatch_ptr 0
		.amdhsa_user_sgpr_queue_ptr 0
		.amdhsa_user_sgpr_kernarg_segment_ptr 1
		.amdhsa_user_sgpr_dispatch_id 0
		.amdhsa_user_sgpr_kernarg_preload_length 0
		.amdhsa_user_sgpr_kernarg_preload_offset 0
		.amdhsa_user_sgpr_private_segment_size 0
		.amdhsa_uses_dynamic_stack 0
		.amdhsa_enable_private_segment 0
		.amdhsa_system_sgpr_workgroup_id_x 1
		.amdhsa_system_sgpr_workgroup_id_y 0
		.amdhsa_system_sgpr_workgroup_id_z 0
		.amdhsa_system_sgpr_workgroup_info 0
		.amdhsa_system_vgpr_workitem_id 0
		.amdhsa_next_free_vgpr 18
		.amdhsa_next_free_sgpr 79
		.amdhsa_accum_offset 20
		.amdhsa_reserve_vcc 1
		.amdhsa_float_round_mode_32 0
		.amdhsa_float_round_mode_16_64 0
		.amdhsa_float_denorm_mode_32 3
		.amdhsa_float_denorm_mode_16_64 3
		.amdhsa_dx10_clamp 1
		.amdhsa_ieee_mode 1
		.amdhsa_fp16_overflow 0
		.amdhsa_tg_split 0
		.amdhsa_exception_fp_ieee_invalid_op 0
		.amdhsa_exception_fp_denorm_src 0
		.amdhsa_exception_fp_ieee_div_zero 0
		.amdhsa_exception_fp_ieee_overflow 0
		.amdhsa_exception_fp_ieee_underflow 0
		.amdhsa_exception_fp_ieee_inexact 0
		.amdhsa_exception_int_div_zero 0
	.end_amdhsa_kernel
	.section	.text._ZN2at6native32elementwise_kernel_manual_unrollILi128ELi4EZNS0_15gpu_kernel_implIZZZNS0_21clamp_max_kernel_cudaERNS_18TensorIteratorBaseERKN3c106ScalarEENKUlvE_clEvENKUlvE0_clEvEUlaE_EEvS4_RKT_EUlibE0_EEviT1_,"axG",@progbits,_ZN2at6native32elementwise_kernel_manual_unrollILi128ELi4EZNS0_15gpu_kernel_implIZZZNS0_21clamp_max_kernel_cudaERNS_18TensorIteratorBaseERKN3c106ScalarEENKUlvE_clEvENKUlvE0_clEvEUlaE_EEvS4_RKT_EUlibE0_EEviT1_,comdat
.Lfunc_end433:
	.size	_ZN2at6native32elementwise_kernel_manual_unrollILi128ELi4EZNS0_15gpu_kernel_implIZZZNS0_21clamp_max_kernel_cudaERNS_18TensorIteratorBaseERKN3c106ScalarEENKUlvE_clEvENKUlvE0_clEvEUlaE_EEvS4_RKT_EUlibE0_EEviT1_, .Lfunc_end433-_ZN2at6native32elementwise_kernel_manual_unrollILi128ELi4EZNS0_15gpu_kernel_implIZZZNS0_21clamp_max_kernel_cudaERNS_18TensorIteratorBaseERKN3c106ScalarEENKUlvE_clEvENKUlvE0_clEvEUlaE_EEvS4_RKT_EUlibE0_EEviT1_
                                        ; -- End function
	.set _ZN2at6native32elementwise_kernel_manual_unrollILi128ELi4EZNS0_15gpu_kernel_implIZZZNS0_21clamp_max_kernel_cudaERNS_18TensorIteratorBaseERKN3c106ScalarEENKUlvE_clEvENKUlvE0_clEvEUlaE_EEvS4_RKT_EUlibE0_EEviT1_.num_vgpr, 18
	.set _ZN2at6native32elementwise_kernel_manual_unrollILi128ELi4EZNS0_15gpu_kernel_implIZZZNS0_21clamp_max_kernel_cudaERNS_18TensorIteratorBaseERKN3c106ScalarEENKUlvE_clEvENKUlvE0_clEvEUlaE_EEvS4_RKT_EUlibE0_EEviT1_.num_agpr, 0
	.set _ZN2at6native32elementwise_kernel_manual_unrollILi128ELi4EZNS0_15gpu_kernel_implIZZZNS0_21clamp_max_kernel_cudaERNS_18TensorIteratorBaseERKN3c106ScalarEENKUlvE_clEvENKUlvE0_clEvEUlaE_EEvS4_RKT_EUlibE0_EEviT1_.numbered_sgpr, 79
	.set _ZN2at6native32elementwise_kernel_manual_unrollILi128ELi4EZNS0_15gpu_kernel_implIZZZNS0_21clamp_max_kernel_cudaERNS_18TensorIteratorBaseERKN3c106ScalarEENKUlvE_clEvENKUlvE0_clEvEUlaE_EEvS4_RKT_EUlibE0_EEviT1_.num_named_barrier, 0
	.set _ZN2at6native32elementwise_kernel_manual_unrollILi128ELi4EZNS0_15gpu_kernel_implIZZZNS0_21clamp_max_kernel_cudaERNS_18TensorIteratorBaseERKN3c106ScalarEENKUlvE_clEvENKUlvE0_clEvEUlaE_EEvS4_RKT_EUlibE0_EEviT1_.private_seg_size, 0
	.set _ZN2at6native32elementwise_kernel_manual_unrollILi128ELi4EZNS0_15gpu_kernel_implIZZZNS0_21clamp_max_kernel_cudaERNS_18TensorIteratorBaseERKN3c106ScalarEENKUlvE_clEvENKUlvE0_clEvEUlaE_EEvS4_RKT_EUlibE0_EEviT1_.uses_vcc, 1
	.set _ZN2at6native32elementwise_kernel_manual_unrollILi128ELi4EZNS0_15gpu_kernel_implIZZZNS0_21clamp_max_kernel_cudaERNS_18TensorIteratorBaseERKN3c106ScalarEENKUlvE_clEvENKUlvE0_clEvEUlaE_EEvS4_RKT_EUlibE0_EEviT1_.uses_flat_scratch, 0
	.set _ZN2at6native32elementwise_kernel_manual_unrollILi128ELi4EZNS0_15gpu_kernel_implIZZZNS0_21clamp_max_kernel_cudaERNS_18TensorIteratorBaseERKN3c106ScalarEENKUlvE_clEvENKUlvE0_clEvEUlaE_EEvS4_RKT_EUlibE0_EEviT1_.has_dyn_sized_stack, 0
	.set _ZN2at6native32elementwise_kernel_manual_unrollILi128ELi4EZNS0_15gpu_kernel_implIZZZNS0_21clamp_max_kernel_cudaERNS_18TensorIteratorBaseERKN3c106ScalarEENKUlvE_clEvENKUlvE0_clEvEUlaE_EEvS4_RKT_EUlibE0_EEviT1_.has_recursion, 0
	.set _ZN2at6native32elementwise_kernel_manual_unrollILi128ELi4EZNS0_15gpu_kernel_implIZZZNS0_21clamp_max_kernel_cudaERNS_18TensorIteratorBaseERKN3c106ScalarEENKUlvE_clEvENKUlvE0_clEvEUlaE_EEvS4_RKT_EUlibE0_EEviT1_.has_indirect_call, 0
	.section	.AMDGPU.csdata,"",@progbits
; Kernel info:
; codeLenInByte = 35752
; TotalNumSgprs: 85
; NumVgprs: 18
; NumAgprs: 0
; TotalNumVgprs: 18
; ScratchSize: 0
; MemoryBound: 1
; FloatMode: 240
; IeeeMode: 1
; LDSByteSize: 0 bytes/workgroup (compile time only)
; SGPRBlocks: 10
; VGPRBlocks: 2
; NumSGPRsForWavesPerEU: 85
; NumVGPRsForWavesPerEU: 18
; AccumOffset: 20
; Occupancy: 8
; WaveLimiterHint : 1
; COMPUTE_PGM_RSRC2:SCRATCH_EN: 0
; COMPUTE_PGM_RSRC2:USER_SGPR: 2
; COMPUTE_PGM_RSRC2:TRAP_HANDLER: 0
; COMPUTE_PGM_RSRC2:TGID_X_EN: 1
; COMPUTE_PGM_RSRC2:TGID_Y_EN: 0
; COMPUTE_PGM_RSRC2:TGID_Z_EN: 0
; COMPUTE_PGM_RSRC2:TIDIG_COMP_CNT: 0
; COMPUTE_PGM_RSRC3_GFX90A:ACCUM_OFFSET: 4
; COMPUTE_PGM_RSRC3_GFX90A:TG_SPLIT: 0
	.section	.text._ZN2at6native29vectorized_elementwise_kernelILi16EZZZNS0_21clamp_max_kernel_cudaERNS_18TensorIteratorBaseERKN3c106ScalarEENKUlvE_clEvENKUlvE1_clEvEUliE_St5arrayIPcLm2EEEEviT0_T1_,"axG",@progbits,_ZN2at6native29vectorized_elementwise_kernelILi16EZZZNS0_21clamp_max_kernel_cudaERNS_18TensorIteratorBaseERKN3c106ScalarEENKUlvE_clEvENKUlvE1_clEvEUliE_St5arrayIPcLm2EEEEviT0_T1_,comdat
	.globl	_ZN2at6native29vectorized_elementwise_kernelILi16EZZZNS0_21clamp_max_kernel_cudaERNS_18TensorIteratorBaseERKN3c106ScalarEENKUlvE_clEvENKUlvE1_clEvEUliE_St5arrayIPcLm2EEEEviT0_T1_ ; -- Begin function _ZN2at6native29vectorized_elementwise_kernelILi16EZZZNS0_21clamp_max_kernel_cudaERNS_18TensorIteratorBaseERKN3c106ScalarEENKUlvE_clEvENKUlvE1_clEvEUliE_St5arrayIPcLm2EEEEviT0_T1_
	.p2align	8
	.type	_ZN2at6native29vectorized_elementwise_kernelILi16EZZZNS0_21clamp_max_kernel_cudaERNS_18TensorIteratorBaseERKN3c106ScalarEENKUlvE_clEvENKUlvE1_clEvEUliE_St5arrayIPcLm2EEEEviT0_T1_,@function
_ZN2at6native29vectorized_elementwise_kernelILi16EZZZNS0_21clamp_max_kernel_cudaERNS_18TensorIteratorBaseERKN3c106ScalarEENKUlvE_clEvENKUlvE1_clEvEUliE_St5arrayIPcLm2EEEEviT0_T1_: ; @_ZN2at6native29vectorized_elementwise_kernelILi16EZZZNS0_21clamp_max_kernel_cudaERNS_18TensorIteratorBaseERKN3c106ScalarEENKUlvE_clEvENKUlvE1_clEvEUliE_St5arrayIPcLm2EEEEviT0_T1_
; %bb.0:
	s_load_dwordx2 s[8:9], s[0:1], 0x0
	s_load_dwordx4 s[4:7], s[0:1], 0x8
	s_lshl_b32 s2, s2, 10
	s_mov_b64 s[0:1], -1
	s_waitcnt lgkmcnt(0)
	s_sub_i32 s8, s8, s2
	s_cmpk_gt_i32 s8, 0x3ff
	s_cbranch_scc0 .LBB434_2
; %bb.1:
	s_ashr_i32 s3, s2, 31
	s_lshl_b64 s[0:1], s[2:3], 2
	s_add_u32 s10, s6, s0
	s_addc_u32 s11, s7, s1
	v_lshlrev_b32_e32 v1, 4, v0
	global_load_dwordx4 v[2:5], v1, s[10:11]
	s_add_u32 s0, s4, s0
	s_addc_u32 s1, s5, s1
	s_waitcnt vmcnt(0)
	v_min_i32_e32 v5, s9, v5
	v_min_i32_e32 v4, s9, v4
	;; [unrolled: 1-line block ×4, first 2 shown]
	global_store_dwordx4 v1, v[2:5], s[0:1]
	s_mov_b64 s[0:1], 0
.LBB434_2:
	s_andn2_b64 vcc, exec, s[0:1]
	s_cbranch_vccnz .LBB434_16
; %bb.3:
	v_cmp_gt_i32_e32 vcc, s8, v0
	v_or_b32_e32 v1, 0x100, v0
	v_mov_b32_e32 v4, 0
	v_or_b32_e32 v2, s2, v0
	v_mov_b32_e32 v5, 0
	v_mov_b32_e32 v3, 0
	;; [unrolled: 1-line block ×3, first 2 shown]
	s_and_saveexec_b64 s[10:11], vcc
	s_cbranch_execz .LBB434_11
; %bb.4:
	v_mov_b32_e32 v3, 0
	v_lshl_add_u64 v[4:5], v[2:3], 2, s[6:7]
	global_load_dword v8, v[4:5], off
	v_cmp_gt_u32_e64 s[0:1], s8, v1
	v_mov_b32_e32 v5, v3
	v_mov_b32_e32 v4, v3
	s_and_saveexec_b64 s[12:13], s[0:1]
	s_cbranch_execz .LBB434_10
; %bb.5:
	v_add_u32_e32 v4, s2, v0
	v_mov_b32_e32 v5, 0
	v_lshl_add_u64 v[6:7], v[4:5], 2, s[6:7]
	global_load_dword v3, v[6:7], off offset:1024
	v_or_b32_e32 v4, 0x200, v0
	v_cmp_gt_u32_e64 s[0:1], s8, v4
	v_mov_b32_e32 v4, v5
	s_and_saveexec_b64 s[6:7], s[0:1]
	s_cbranch_execz .LBB434_9
; %bb.6:
	global_load_dword v5, v[6:7], off offset:2048
	v_or_b32_e32 v4, 0x300, v0
	v_cmp_gt_u32_e64 s[0:1], s8, v4
	v_mov_b32_e32 v4, 0
	s_and_saveexec_b64 s[14:15], s[0:1]
	s_cbranch_execz .LBB434_8
; %bb.7:
	global_load_dword v4, v[6:7], off offset:3072
.LBB434_8:
	s_or_b64 exec, exec, s[14:15]
.LBB434_9:
	s_or_b64 exec, exec, s[6:7]
.LBB434_10:
	s_or_b64 exec, exec, s[12:13]
.LBB434_11:
	s_or_b64 exec, exec, s[10:11]
	s_waitcnt vmcnt(0)
	v_min_i32_e32 v6, s9, v8
	v_min_i32_e32 v3, s9, v3
	v_cmp_gt_i32_e64 s[0:1], s8, v1
	v_cndmask_b32_e32 v7, 0, v6, vcc
	v_min_i32_e32 v5, s9, v5
	v_cndmask_b32_e64 v6, 0, v3, s[0:1]
	v_or_b32_e32 v3, 0x200, v0
	v_cmp_gt_i32_e64 s[0:1], s8, v3
	v_or_b32_e32 v3, 0x300, v0
	v_min_i32_e32 v4, s9, v4
	v_cndmask_b32_e64 v5, 0, v5, s[0:1]
	v_cmp_gt_i32_e64 s[0:1], s8, v3
	s_nop 1
	v_cndmask_b32_e64 v4, 0, v4, s[0:1]
	s_and_saveexec_b64 s[0:1], vcc
	s_cbranch_execnz .LBB434_17
; %bb.12:
	s_or_b64 exec, exec, s[0:1]
	v_cmp_gt_i32_e32 vcc, s8, v0
	s_and_saveexec_b64 s[0:1], vcc
	s_cbranch_execnz .LBB434_18
.LBB434_13:
	s_or_b64 exec, exec, s[0:1]
	v_cmp_gt_i32_e32 vcc, s8, v0
	s_and_saveexec_b64 s[0:1], vcc
	s_cbranch_execnz .LBB434_19
.LBB434_14:
	s_or_b64 exec, exec, s[0:1]
	v_cmp_gt_i32_e32 vcc, s8, v0
	s_and_saveexec_b64 s[0:1], vcc
	s_cbranch_execz .LBB434_16
.LBB434_15:
	v_add_u32_e32 v0, s2, v0
	v_mov_b32_e32 v1, 0
	v_lshl_add_u64 v[0:1], v[0:1], 2, s[4:5]
	global_store_dword v[0:1], v4, off
.LBB434_16:
	s_endpgm
.LBB434_17:
	v_mov_b32_e32 v3, 0
	v_lshl_add_u64 v[2:3], v[2:3], 2, s[4:5]
	v_mov_b32_e32 v0, v1
	global_store_dword v[2:3], v7, off
	s_or_b64 exec, exec, s[0:1]
	v_cmp_gt_i32_e32 vcc, s8, v0
	s_and_saveexec_b64 s[0:1], vcc
	s_cbranch_execz .LBB434_13
.LBB434_18:
	v_add_u32_e32 v2, s2, v0
	v_mov_b32_e32 v3, 0
	v_lshl_add_u64 v[2:3], v[2:3], 2, s[4:5]
	v_add_u32_e32 v0, 0x100, v0
	global_store_dword v[2:3], v6, off
	s_or_b64 exec, exec, s[0:1]
	v_cmp_gt_i32_e32 vcc, s8, v0
	s_and_saveexec_b64 s[0:1], vcc
	s_cbranch_execz .LBB434_14
.LBB434_19:
	v_add_u32_e32 v2, s2, v0
	v_mov_b32_e32 v3, 0
	v_lshl_add_u64 v[2:3], v[2:3], 2, s[4:5]
	v_add_u32_e32 v0, 0x100, v0
	global_store_dword v[2:3], v5, off
	s_or_b64 exec, exec, s[0:1]
	v_cmp_gt_i32_e32 vcc, s8, v0
	s_and_saveexec_b64 s[0:1], vcc
	s_cbranch_execnz .LBB434_15
	s_branch .LBB434_16
	.section	.rodata,"a",@progbits
	.p2align	6, 0x0
	.amdhsa_kernel _ZN2at6native29vectorized_elementwise_kernelILi16EZZZNS0_21clamp_max_kernel_cudaERNS_18TensorIteratorBaseERKN3c106ScalarEENKUlvE_clEvENKUlvE1_clEvEUliE_St5arrayIPcLm2EEEEviT0_T1_
		.amdhsa_group_segment_fixed_size 0
		.amdhsa_private_segment_fixed_size 0
		.amdhsa_kernarg_size 24
		.amdhsa_user_sgpr_count 2
		.amdhsa_user_sgpr_dispatch_ptr 0
		.amdhsa_user_sgpr_queue_ptr 0
		.amdhsa_user_sgpr_kernarg_segment_ptr 1
		.amdhsa_user_sgpr_dispatch_id 0
		.amdhsa_user_sgpr_kernarg_preload_length 0
		.amdhsa_user_sgpr_kernarg_preload_offset 0
		.amdhsa_user_sgpr_private_segment_size 0
		.amdhsa_uses_dynamic_stack 0
		.amdhsa_enable_private_segment 0
		.amdhsa_system_sgpr_workgroup_id_x 1
		.amdhsa_system_sgpr_workgroup_id_y 0
		.amdhsa_system_sgpr_workgroup_id_z 0
		.amdhsa_system_sgpr_workgroup_info 0
		.amdhsa_system_vgpr_workitem_id 0
		.amdhsa_next_free_vgpr 9
		.amdhsa_next_free_sgpr 16
		.amdhsa_accum_offset 12
		.amdhsa_reserve_vcc 1
		.amdhsa_float_round_mode_32 0
		.amdhsa_float_round_mode_16_64 0
		.amdhsa_float_denorm_mode_32 3
		.amdhsa_float_denorm_mode_16_64 3
		.amdhsa_dx10_clamp 1
		.amdhsa_ieee_mode 1
		.amdhsa_fp16_overflow 0
		.amdhsa_tg_split 0
		.amdhsa_exception_fp_ieee_invalid_op 0
		.amdhsa_exception_fp_denorm_src 0
		.amdhsa_exception_fp_ieee_div_zero 0
		.amdhsa_exception_fp_ieee_overflow 0
		.amdhsa_exception_fp_ieee_underflow 0
		.amdhsa_exception_fp_ieee_inexact 0
		.amdhsa_exception_int_div_zero 0
	.end_amdhsa_kernel
	.section	.text._ZN2at6native29vectorized_elementwise_kernelILi16EZZZNS0_21clamp_max_kernel_cudaERNS_18TensorIteratorBaseERKN3c106ScalarEENKUlvE_clEvENKUlvE1_clEvEUliE_St5arrayIPcLm2EEEEviT0_T1_,"axG",@progbits,_ZN2at6native29vectorized_elementwise_kernelILi16EZZZNS0_21clamp_max_kernel_cudaERNS_18TensorIteratorBaseERKN3c106ScalarEENKUlvE_clEvENKUlvE1_clEvEUliE_St5arrayIPcLm2EEEEviT0_T1_,comdat
.Lfunc_end434:
	.size	_ZN2at6native29vectorized_elementwise_kernelILi16EZZZNS0_21clamp_max_kernel_cudaERNS_18TensorIteratorBaseERKN3c106ScalarEENKUlvE_clEvENKUlvE1_clEvEUliE_St5arrayIPcLm2EEEEviT0_T1_, .Lfunc_end434-_ZN2at6native29vectorized_elementwise_kernelILi16EZZZNS0_21clamp_max_kernel_cudaERNS_18TensorIteratorBaseERKN3c106ScalarEENKUlvE_clEvENKUlvE1_clEvEUliE_St5arrayIPcLm2EEEEviT0_T1_
                                        ; -- End function
	.set _ZN2at6native29vectorized_elementwise_kernelILi16EZZZNS0_21clamp_max_kernel_cudaERNS_18TensorIteratorBaseERKN3c106ScalarEENKUlvE_clEvENKUlvE1_clEvEUliE_St5arrayIPcLm2EEEEviT0_T1_.num_vgpr, 9
	.set _ZN2at6native29vectorized_elementwise_kernelILi16EZZZNS0_21clamp_max_kernel_cudaERNS_18TensorIteratorBaseERKN3c106ScalarEENKUlvE_clEvENKUlvE1_clEvEUliE_St5arrayIPcLm2EEEEviT0_T1_.num_agpr, 0
	.set _ZN2at6native29vectorized_elementwise_kernelILi16EZZZNS0_21clamp_max_kernel_cudaERNS_18TensorIteratorBaseERKN3c106ScalarEENKUlvE_clEvENKUlvE1_clEvEUliE_St5arrayIPcLm2EEEEviT0_T1_.numbered_sgpr, 16
	.set _ZN2at6native29vectorized_elementwise_kernelILi16EZZZNS0_21clamp_max_kernel_cudaERNS_18TensorIteratorBaseERKN3c106ScalarEENKUlvE_clEvENKUlvE1_clEvEUliE_St5arrayIPcLm2EEEEviT0_T1_.num_named_barrier, 0
	.set _ZN2at6native29vectorized_elementwise_kernelILi16EZZZNS0_21clamp_max_kernel_cudaERNS_18TensorIteratorBaseERKN3c106ScalarEENKUlvE_clEvENKUlvE1_clEvEUliE_St5arrayIPcLm2EEEEviT0_T1_.private_seg_size, 0
	.set _ZN2at6native29vectorized_elementwise_kernelILi16EZZZNS0_21clamp_max_kernel_cudaERNS_18TensorIteratorBaseERKN3c106ScalarEENKUlvE_clEvENKUlvE1_clEvEUliE_St5arrayIPcLm2EEEEviT0_T1_.uses_vcc, 1
	.set _ZN2at6native29vectorized_elementwise_kernelILi16EZZZNS0_21clamp_max_kernel_cudaERNS_18TensorIteratorBaseERKN3c106ScalarEENKUlvE_clEvENKUlvE1_clEvEUliE_St5arrayIPcLm2EEEEviT0_T1_.uses_flat_scratch, 0
	.set _ZN2at6native29vectorized_elementwise_kernelILi16EZZZNS0_21clamp_max_kernel_cudaERNS_18TensorIteratorBaseERKN3c106ScalarEENKUlvE_clEvENKUlvE1_clEvEUliE_St5arrayIPcLm2EEEEviT0_T1_.has_dyn_sized_stack, 0
	.set _ZN2at6native29vectorized_elementwise_kernelILi16EZZZNS0_21clamp_max_kernel_cudaERNS_18TensorIteratorBaseERKN3c106ScalarEENKUlvE_clEvENKUlvE1_clEvEUliE_St5arrayIPcLm2EEEEviT0_T1_.has_recursion, 0
	.set _ZN2at6native29vectorized_elementwise_kernelILi16EZZZNS0_21clamp_max_kernel_cudaERNS_18TensorIteratorBaseERKN3c106ScalarEENKUlvE_clEvENKUlvE1_clEvEUliE_St5arrayIPcLm2EEEEviT0_T1_.has_indirect_call, 0
	.section	.AMDGPU.csdata,"",@progbits
; Kernel info:
; codeLenInByte = 628
; TotalNumSgprs: 22
; NumVgprs: 9
; NumAgprs: 0
; TotalNumVgprs: 9
; ScratchSize: 0
; MemoryBound: 0
; FloatMode: 240
; IeeeMode: 1
; LDSByteSize: 0 bytes/workgroup (compile time only)
; SGPRBlocks: 2
; VGPRBlocks: 1
; NumSGPRsForWavesPerEU: 22
; NumVGPRsForWavesPerEU: 9
; AccumOffset: 12
; Occupancy: 8
; WaveLimiterHint : 0
; COMPUTE_PGM_RSRC2:SCRATCH_EN: 0
; COMPUTE_PGM_RSRC2:USER_SGPR: 2
; COMPUTE_PGM_RSRC2:TRAP_HANDLER: 0
; COMPUTE_PGM_RSRC2:TGID_X_EN: 1
; COMPUTE_PGM_RSRC2:TGID_Y_EN: 0
; COMPUTE_PGM_RSRC2:TGID_Z_EN: 0
; COMPUTE_PGM_RSRC2:TIDIG_COMP_CNT: 0
; COMPUTE_PGM_RSRC3_GFX90A:ACCUM_OFFSET: 2
; COMPUTE_PGM_RSRC3_GFX90A:TG_SPLIT: 0
	.section	.text._ZN2at6native29vectorized_elementwise_kernelILi8EZZZNS0_21clamp_max_kernel_cudaERNS_18TensorIteratorBaseERKN3c106ScalarEENKUlvE_clEvENKUlvE1_clEvEUliE_St5arrayIPcLm2EEEEviT0_T1_,"axG",@progbits,_ZN2at6native29vectorized_elementwise_kernelILi8EZZZNS0_21clamp_max_kernel_cudaERNS_18TensorIteratorBaseERKN3c106ScalarEENKUlvE_clEvENKUlvE1_clEvEUliE_St5arrayIPcLm2EEEEviT0_T1_,comdat
	.globl	_ZN2at6native29vectorized_elementwise_kernelILi8EZZZNS0_21clamp_max_kernel_cudaERNS_18TensorIteratorBaseERKN3c106ScalarEENKUlvE_clEvENKUlvE1_clEvEUliE_St5arrayIPcLm2EEEEviT0_T1_ ; -- Begin function _ZN2at6native29vectorized_elementwise_kernelILi8EZZZNS0_21clamp_max_kernel_cudaERNS_18TensorIteratorBaseERKN3c106ScalarEENKUlvE_clEvENKUlvE1_clEvEUliE_St5arrayIPcLm2EEEEviT0_T1_
	.p2align	8
	.type	_ZN2at6native29vectorized_elementwise_kernelILi8EZZZNS0_21clamp_max_kernel_cudaERNS_18TensorIteratorBaseERKN3c106ScalarEENKUlvE_clEvENKUlvE1_clEvEUliE_St5arrayIPcLm2EEEEviT0_T1_,@function
_ZN2at6native29vectorized_elementwise_kernelILi8EZZZNS0_21clamp_max_kernel_cudaERNS_18TensorIteratorBaseERKN3c106ScalarEENKUlvE_clEvENKUlvE1_clEvEUliE_St5arrayIPcLm2EEEEviT0_T1_: ; @_ZN2at6native29vectorized_elementwise_kernelILi8EZZZNS0_21clamp_max_kernel_cudaERNS_18TensorIteratorBaseERKN3c106ScalarEENKUlvE_clEvENKUlvE1_clEvEUliE_St5arrayIPcLm2EEEEviT0_T1_
; %bb.0:
	s_load_dwordx2 s[8:9], s[0:1], 0x0
	s_load_dwordx4 s[4:7], s[0:1], 0x8
	s_lshl_b32 s2, s2, 10
	s_mov_b64 s[0:1], -1
	s_waitcnt lgkmcnt(0)
	s_sub_i32 s8, s8, s2
	s_cmpk_gt_i32 s8, 0x3ff
	s_cbranch_scc0 .LBB435_2
; %bb.1:
	s_ashr_i32 s3, s2, 31
	s_lshl_b64 s[0:1], s[2:3], 2
	s_add_u32 s10, s6, s0
	s_addc_u32 s11, s7, s1
	v_lshlrev_b32_e32 v1, 4, v0
	global_load_dwordx4 v[2:5], v1, s[10:11]
	s_add_u32 s0, s4, s0
	s_addc_u32 s1, s5, s1
	s_waitcnt vmcnt(0)
	v_min_i32_e32 v5, s9, v5
	v_min_i32_e32 v4, s9, v4
	;; [unrolled: 1-line block ×4, first 2 shown]
	global_store_dwordx4 v1, v[2:5], s[0:1]
	s_mov_b64 s[0:1], 0
.LBB435_2:
	s_andn2_b64 vcc, exec, s[0:1]
	s_cbranch_vccnz .LBB435_16
; %bb.3:
	v_cmp_gt_i32_e32 vcc, s8, v0
	v_or_b32_e32 v1, 0x100, v0
	v_mov_b32_e32 v4, 0
	v_or_b32_e32 v2, s2, v0
	v_mov_b32_e32 v5, 0
	v_mov_b32_e32 v3, 0
	v_mov_b32_e32 v8, 0
	s_and_saveexec_b64 s[10:11], vcc
	s_cbranch_execz .LBB435_11
; %bb.4:
	v_mov_b32_e32 v3, 0
	v_lshl_add_u64 v[4:5], v[2:3], 2, s[6:7]
	global_load_dword v8, v[4:5], off
	v_cmp_gt_u32_e64 s[0:1], s8, v1
	v_mov_b32_e32 v5, v3
	v_mov_b32_e32 v4, v3
	s_and_saveexec_b64 s[12:13], s[0:1]
	s_cbranch_execz .LBB435_10
; %bb.5:
	v_add_u32_e32 v4, s2, v0
	v_mov_b32_e32 v5, 0
	v_lshl_add_u64 v[6:7], v[4:5], 2, s[6:7]
	global_load_dword v3, v[6:7], off offset:1024
	v_or_b32_e32 v4, 0x200, v0
	v_cmp_gt_u32_e64 s[0:1], s8, v4
	v_mov_b32_e32 v4, v5
	s_and_saveexec_b64 s[6:7], s[0:1]
	s_cbranch_execz .LBB435_9
; %bb.6:
	global_load_dword v5, v[6:7], off offset:2048
	v_or_b32_e32 v4, 0x300, v0
	v_cmp_gt_u32_e64 s[0:1], s8, v4
	v_mov_b32_e32 v4, 0
	s_and_saveexec_b64 s[14:15], s[0:1]
	s_cbranch_execz .LBB435_8
; %bb.7:
	global_load_dword v4, v[6:7], off offset:3072
.LBB435_8:
	s_or_b64 exec, exec, s[14:15]
.LBB435_9:
	s_or_b64 exec, exec, s[6:7]
.LBB435_10:
	s_or_b64 exec, exec, s[12:13]
.LBB435_11:
	s_or_b64 exec, exec, s[10:11]
	s_waitcnt vmcnt(0)
	v_min_i32_e32 v6, s9, v8
	v_min_i32_e32 v3, s9, v3
	v_cmp_gt_i32_e64 s[0:1], s8, v1
	v_cndmask_b32_e32 v7, 0, v6, vcc
	v_min_i32_e32 v5, s9, v5
	v_cndmask_b32_e64 v6, 0, v3, s[0:1]
	v_or_b32_e32 v3, 0x200, v0
	v_cmp_gt_i32_e64 s[0:1], s8, v3
	v_or_b32_e32 v3, 0x300, v0
	v_min_i32_e32 v4, s9, v4
	v_cndmask_b32_e64 v5, 0, v5, s[0:1]
	v_cmp_gt_i32_e64 s[0:1], s8, v3
	s_nop 1
	v_cndmask_b32_e64 v4, 0, v4, s[0:1]
	s_and_saveexec_b64 s[0:1], vcc
	s_cbranch_execnz .LBB435_17
; %bb.12:
	s_or_b64 exec, exec, s[0:1]
	v_cmp_gt_i32_e32 vcc, s8, v0
	s_and_saveexec_b64 s[0:1], vcc
	s_cbranch_execnz .LBB435_18
.LBB435_13:
	s_or_b64 exec, exec, s[0:1]
	v_cmp_gt_i32_e32 vcc, s8, v0
	s_and_saveexec_b64 s[0:1], vcc
	s_cbranch_execnz .LBB435_19
.LBB435_14:
	s_or_b64 exec, exec, s[0:1]
	v_cmp_gt_i32_e32 vcc, s8, v0
	s_and_saveexec_b64 s[0:1], vcc
	s_cbranch_execz .LBB435_16
.LBB435_15:
	v_add_u32_e32 v0, s2, v0
	v_mov_b32_e32 v1, 0
	v_lshl_add_u64 v[0:1], v[0:1], 2, s[4:5]
	global_store_dword v[0:1], v4, off
.LBB435_16:
	s_endpgm
.LBB435_17:
	v_mov_b32_e32 v3, 0
	v_lshl_add_u64 v[2:3], v[2:3], 2, s[4:5]
	v_mov_b32_e32 v0, v1
	global_store_dword v[2:3], v7, off
	s_or_b64 exec, exec, s[0:1]
	v_cmp_gt_i32_e32 vcc, s8, v0
	s_and_saveexec_b64 s[0:1], vcc
	s_cbranch_execz .LBB435_13
.LBB435_18:
	v_add_u32_e32 v2, s2, v0
	v_mov_b32_e32 v3, 0
	v_lshl_add_u64 v[2:3], v[2:3], 2, s[4:5]
	v_add_u32_e32 v0, 0x100, v0
	global_store_dword v[2:3], v6, off
	s_or_b64 exec, exec, s[0:1]
	v_cmp_gt_i32_e32 vcc, s8, v0
	s_and_saveexec_b64 s[0:1], vcc
	s_cbranch_execz .LBB435_14
.LBB435_19:
	v_add_u32_e32 v2, s2, v0
	v_mov_b32_e32 v3, 0
	v_lshl_add_u64 v[2:3], v[2:3], 2, s[4:5]
	v_add_u32_e32 v0, 0x100, v0
	global_store_dword v[2:3], v5, off
	s_or_b64 exec, exec, s[0:1]
	v_cmp_gt_i32_e32 vcc, s8, v0
	s_and_saveexec_b64 s[0:1], vcc
	s_cbranch_execnz .LBB435_15
	s_branch .LBB435_16
	.section	.rodata,"a",@progbits
	.p2align	6, 0x0
	.amdhsa_kernel _ZN2at6native29vectorized_elementwise_kernelILi8EZZZNS0_21clamp_max_kernel_cudaERNS_18TensorIteratorBaseERKN3c106ScalarEENKUlvE_clEvENKUlvE1_clEvEUliE_St5arrayIPcLm2EEEEviT0_T1_
		.amdhsa_group_segment_fixed_size 0
		.amdhsa_private_segment_fixed_size 0
		.amdhsa_kernarg_size 24
		.amdhsa_user_sgpr_count 2
		.amdhsa_user_sgpr_dispatch_ptr 0
		.amdhsa_user_sgpr_queue_ptr 0
		.amdhsa_user_sgpr_kernarg_segment_ptr 1
		.amdhsa_user_sgpr_dispatch_id 0
		.amdhsa_user_sgpr_kernarg_preload_length 0
		.amdhsa_user_sgpr_kernarg_preload_offset 0
		.amdhsa_user_sgpr_private_segment_size 0
		.amdhsa_uses_dynamic_stack 0
		.amdhsa_enable_private_segment 0
		.amdhsa_system_sgpr_workgroup_id_x 1
		.amdhsa_system_sgpr_workgroup_id_y 0
		.amdhsa_system_sgpr_workgroup_id_z 0
		.amdhsa_system_sgpr_workgroup_info 0
		.amdhsa_system_vgpr_workitem_id 0
		.amdhsa_next_free_vgpr 9
		.amdhsa_next_free_sgpr 16
		.amdhsa_accum_offset 12
		.amdhsa_reserve_vcc 1
		.amdhsa_float_round_mode_32 0
		.amdhsa_float_round_mode_16_64 0
		.amdhsa_float_denorm_mode_32 3
		.amdhsa_float_denorm_mode_16_64 3
		.amdhsa_dx10_clamp 1
		.amdhsa_ieee_mode 1
		.amdhsa_fp16_overflow 0
		.amdhsa_tg_split 0
		.amdhsa_exception_fp_ieee_invalid_op 0
		.amdhsa_exception_fp_denorm_src 0
		.amdhsa_exception_fp_ieee_div_zero 0
		.amdhsa_exception_fp_ieee_overflow 0
		.amdhsa_exception_fp_ieee_underflow 0
		.amdhsa_exception_fp_ieee_inexact 0
		.amdhsa_exception_int_div_zero 0
	.end_amdhsa_kernel
	.section	.text._ZN2at6native29vectorized_elementwise_kernelILi8EZZZNS0_21clamp_max_kernel_cudaERNS_18TensorIteratorBaseERKN3c106ScalarEENKUlvE_clEvENKUlvE1_clEvEUliE_St5arrayIPcLm2EEEEviT0_T1_,"axG",@progbits,_ZN2at6native29vectorized_elementwise_kernelILi8EZZZNS0_21clamp_max_kernel_cudaERNS_18TensorIteratorBaseERKN3c106ScalarEENKUlvE_clEvENKUlvE1_clEvEUliE_St5arrayIPcLm2EEEEviT0_T1_,comdat
.Lfunc_end435:
	.size	_ZN2at6native29vectorized_elementwise_kernelILi8EZZZNS0_21clamp_max_kernel_cudaERNS_18TensorIteratorBaseERKN3c106ScalarEENKUlvE_clEvENKUlvE1_clEvEUliE_St5arrayIPcLm2EEEEviT0_T1_, .Lfunc_end435-_ZN2at6native29vectorized_elementwise_kernelILi8EZZZNS0_21clamp_max_kernel_cudaERNS_18TensorIteratorBaseERKN3c106ScalarEENKUlvE_clEvENKUlvE1_clEvEUliE_St5arrayIPcLm2EEEEviT0_T1_
                                        ; -- End function
	.set _ZN2at6native29vectorized_elementwise_kernelILi8EZZZNS0_21clamp_max_kernel_cudaERNS_18TensorIteratorBaseERKN3c106ScalarEENKUlvE_clEvENKUlvE1_clEvEUliE_St5arrayIPcLm2EEEEviT0_T1_.num_vgpr, 9
	.set _ZN2at6native29vectorized_elementwise_kernelILi8EZZZNS0_21clamp_max_kernel_cudaERNS_18TensorIteratorBaseERKN3c106ScalarEENKUlvE_clEvENKUlvE1_clEvEUliE_St5arrayIPcLm2EEEEviT0_T1_.num_agpr, 0
	.set _ZN2at6native29vectorized_elementwise_kernelILi8EZZZNS0_21clamp_max_kernel_cudaERNS_18TensorIteratorBaseERKN3c106ScalarEENKUlvE_clEvENKUlvE1_clEvEUliE_St5arrayIPcLm2EEEEviT0_T1_.numbered_sgpr, 16
	.set _ZN2at6native29vectorized_elementwise_kernelILi8EZZZNS0_21clamp_max_kernel_cudaERNS_18TensorIteratorBaseERKN3c106ScalarEENKUlvE_clEvENKUlvE1_clEvEUliE_St5arrayIPcLm2EEEEviT0_T1_.num_named_barrier, 0
	.set _ZN2at6native29vectorized_elementwise_kernelILi8EZZZNS0_21clamp_max_kernel_cudaERNS_18TensorIteratorBaseERKN3c106ScalarEENKUlvE_clEvENKUlvE1_clEvEUliE_St5arrayIPcLm2EEEEviT0_T1_.private_seg_size, 0
	.set _ZN2at6native29vectorized_elementwise_kernelILi8EZZZNS0_21clamp_max_kernel_cudaERNS_18TensorIteratorBaseERKN3c106ScalarEENKUlvE_clEvENKUlvE1_clEvEUliE_St5arrayIPcLm2EEEEviT0_T1_.uses_vcc, 1
	.set _ZN2at6native29vectorized_elementwise_kernelILi8EZZZNS0_21clamp_max_kernel_cudaERNS_18TensorIteratorBaseERKN3c106ScalarEENKUlvE_clEvENKUlvE1_clEvEUliE_St5arrayIPcLm2EEEEviT0_T1_.uses_flat_scratch, 0
	.set _ZN2at6native29vectorized_elementwise_kernelILi8EZZZNS0_21clamp_max_kernel_cudaERNS_18TensorIteratorBaseERKN3c106ScalarEENKUlvE_clEvENKUlvE1_clEvEUliE_St5arrayIPcLm2EEEEviT0_T1_.has_dyn_sized_stack, 0
	.set _ZN2at6native29vectorized_elementwise_kernelILi8EZZZNS0_21clamp_max_kernel_cudaERNS_18TensorIteratorBaseERKN3c106ScalarEENKUlvE_clEvENKUlvE1_clEvEUliE_St5arrayIPcLm2EEEEviT0_T1_.has_recursion, 0
	.set _ZN2at6native29vectorized_elementwise_kernelILi8EZZZNS0_21clamp_max_kernel_cudaERNS_18TensorIteratorBaseERKN3c106ScalarEENKUlvE_clEvENKUlvE1_clEvEUliE_St5arrayIPcLm2EEEEviT0_T1_.has_indirect_call, 0
	.section	.AMDGPU.csdata,"",@progbits
; Kernel info:
; codeLenInByte = 628
; TotalNumSgprs: 22
; NumVgprs: 9
; NumAgprs: 0
; TotalNumVgprs: 9
; ScratchSize: 0
; MemoryBound: 0
; FloatMode: 240
; IeeeMode: 1
; LDSByteSize: 0 bytes/workgroup (compile time only)
; SGPRBlocks: 2
; VGPRBlocks: 1
; NumSGPRsForWavesPerEU: 22
; NumVGPRsForWavesPerEU: 9
; AccumOffset: 12
; Occupancy: 8
; WaveLimiterHint : 0
; COMPUTE_PGM_RSRC2:SCRATCH_EN: 0
; COMPUTE_PGM_RSRC2:USER_SGPR: 2
; COMPUTE_PGM_RSRC2:TRAP_HANDLER: 0
; COMPUTE_PGM_RSRC2:TGID_X_EN: 1
; COMPUTE_PGM_RSRC2:TGID_Y_EN: 0
; COMPUTE_PGM_RSRC2:TGID_Z_EN: 0
; COMPUTE_PGM_RSRC2:TIDIG_COMP_CNT: 0
; COMPUTE_PGM_RSRC3_GFX90A:ACCUM_OFFSET: 2
; COMPUTE_PGM_RSRC3_GFX90A:TG_SPLIT: 0
	.section	.text._ZN2at6native29vectorized_elementwise_kernelILi4EZZZNS0_21clamp_max_kernel_cudaERNS_18TensorIteratorBaseERKN3c106ScalarEENKUlvE_clEvENKUlvE1_clEvEUliE_St5arrayIPcLm2EEEEviT0_T1_,"axG",@progbits,_ZN2at6native29vectorized_elementwise_kernelILi4EZZZNS0_21clamp_max_kernel_cudaERNS_18TensorIteratorBaseERKN3c106ScalarEENKUlvE_clEvENKUlvE1_clEvEUliE_St5arrayIPcLm2EEEEviT0_T1_,comdat
	.globl	_ZN2at6native29vectorized_elementwise_kernelILi4EZZZNS0_21clamp_max_kernel_cudaERNS_18TensorIteratorBaseERKN3c106ScalarEENKUlvE_clEvENKUlvE1_clEvEUliE_St5arrayIPcLm2EEEEviT0_T1_ ; -- Begin function _ZN2at6native29vectorized_elementwise_kernelILi4EZZZNS0_21clamp_max_kernel_cudaERNS_18TensorIteratorBaseERKN3c106ScalarEENKUlvE_clEvENKUlvE1_clEvEUliE_St5arrayIPcLm2EEEEviT0_T1_
	.p2align	8
	.type	_ZN2at6native29vectorized_elementwise_kernelILi4EZZZNS0_21clamp_max_kernel_cudaERNS_18TensorIteratorBaseERKN3c106ScalarEENKUlvE_clEvENKUlvE1_clEvEUliE_St5arrayIPcLm2EEEEviT0_T1_,@function
_ZN2at6native29vectorized_elementwise_kernelILi4EZZZNS0_21clamp_max_kernel_cudaERNS_18TensorIteratorBaseERKN3c106ScalarEENKUlvE_clEvENKUlvE1_clEvEUliE_St5arrayIPcLm2EEEEviT0_T1_: ; @_ZN2at6native29vectorized_elementwise_kernelILi4EZZZNS0_21clamp_max_kernel_cudaERNS_18TensorIteratorBaseERKN3c106ScalarEENKUlvE_clEvENKUlvE1_clEvEUliE_St5arrayIPcLm2EEEEviT0_T1_
; %bb.0:
	s_load_dwordx2 s[8:9], s[0:1], 0x0
	s_load_dwordx4 s[4:7], s[0:1], 0x8
	s_lshl_b32 s2, s2, 10
	s_mov_b64 s[0:1], -1
	s_waitcnt lgkmcnt(0)
	s_sub_i32 s8, s8, s2
	s_cmpk_gt_i32 s8, 0x3ff
	s_cbranch_scc0 .LBB436_2
; %bb.1:
	s_ashr_i32 s3, s2, 31
	s_lshl_b64 s[0:1], s[2:3], 2
	s_add_u32 s10, s6, s0
	s_addc_u32 s11, s7, s1
	v_lshlrev_b32_e32 v1, 4, v0
	global_load_dwordx4 v[2:5], v1, s[10:11]
	s_add_u32 s0, s4, s0
	s_addc_u32 s1, s5, s1
	s_waitcnt vmcnt(0)
	v_min_i32_e32 v5, s9, v5
	v_min_i32_e32 v4, s9, v4
	;; [unrolled: 1-line block ×4, first 2 shown]
	global_store_dwordx4 v1, v[2:5], s[0:1]
	s_mov_b64 s[0:1], 0
.LBB436_2:
	s_andn2_b64 vcc, exec, s[0:1]
	s_cbranch_vccnz .LBB436_16
; %bb.3:
	v_cmp_gt_i32_e32 vcc, s8, v0
	v_or_b32_e32 v1, 0x100, v0
	v_mov_b32_e32 v4, 0
	v_or_b32_e32 v2, s2, v0
	v_mov_b32_e32 v5, 0
	v_mov_b32_e32 v3, 0
	;; [unrolled: 1-line block ×3, first 2 shown]
	s_and_saveexec_b64 s[10:11], vcc
	s_cbranch_execz .LBB436_11
; %bb.4:
	v_mov_b32_e32 v3, 0
	v_lshl_add_u64 v[4:5], v[2:3], 2, s[6:7]
	global_load_dword v8, v[4:5], off
	v_cmp_gt_u32_e64 s[0:1], s8, v1
	v_mov_b32_e32 v5, v3
	v_mov_b32_e32 v4, v3
	s_and_saveexec_b64 s[12:13], s[0:1]
	s_cbranch_execz .LBB436_10
; %bb.5:
	v_add_u32_e32 v4, s2, v0
	v_mov_b32_e32 v5, 0
	v_lshl_add_u64 v[6:7], v[4:5], 2, s[6:7]
	global_load_dword v3, v[6:7], off offset:1024
	v_or_b32_e32 v4, 0x200, v0
	v_cmp_gt_u32_e64 s[0:1], s8, v4
	v_mov_b32_e32 v4, v5
	s_and_saveexec_b64 s[6:7], s[0:1]
	s_cbranch_execz .LBB436_9
; %bb.6:
	global_load_dword v5, v[6:7], off offset:2048
	v_or_b32_e32 v4, 0x300, v0
	v_cmp_gt_u32_e64 s[0:1], s8, v4
	v_mov_b32_e32 v4, 0
	s_and_saveexec_b64 s[14:15], s[0:1]
	s_cbranch_execz .LBB436_8
; %bb.7:
	global_load_dword v4, v[6:7], off offset:3072
.LBB436_8:
	s_or_b64 exec, exec, s[14:15]
.LBB436_9:
	s_or_b64 exec, exec, s[6:7]
.LBB436_10:
	s_or_b64 exec, exec, s[12:13]
.LBB436_11:
	s_or_b64 exec, exec, s[10:11]
	s_waitcnt vmcnt(0)
	v_min_i32_e32 v6, s9, v8
	v_min_i32_e32 v3, s9, v3
	v_cmp_gt_i32_e64 s[0:1], s8, v1
	v_cndmask_b32_e32 v7, 0, v6, vcc
	v_min_i32_e32 v5, s9, v5
	v_cndmask_b32_e64 v6, 0, v3, s[0:1]
	v_or_b32_e32 v3, 0x200, v0
	v_cmp_gt_i32_e64 s[0:1], s8, v3
	v_or_b32_e32 v3, 0x300, v0
	v_min_i32_e32 v4, s9, v4
	v_cndmask_b32_e64 v5, 0, v5, s[0:1]
	v_cmp_gt_i32_e64 s[0:1], s8, v3
	s_nop 1
	v_cndmask_b32_e64 v4, 0, v4, s[0:1]
	s_and_saveexec_b64 s[0:1], vcc
	s_cbranch_execnz .LBB436_17
; %bb.12:
	s_or_b64 exec, exec, s[0:1]
	v_cmp_gt_i32_e32 vcc, s8, v0
	s_and_saveexec_b64 s[0:1], vcc
	s_cbranch_execnz .LBB436_18
.LBB436_13:
	s_or_b64 exec, exec, s[0:1]
	v_cmp_gt_i32_e32 vcc, s8, v0
	s_and_saveexec_b64 s[0:1], vcc
	s_cbranch_execnz .LBB436_19
.LBB436_14:
	s_or_b64 exec, exec, s[0:1]
	v_cmp_gt_i32_e32 vcc, s8, v0
	s_and_saveexec_b64 s[0:1], vcc
	s_cbranch_execz .LBB436_16
.LBB436_15:
	v_add_u32_e32 v0, s2, v0
	v_mov_b32_e32 v1, 0
	v_lshl_add_u64 v[0:1], v[0:1], 2, s[4:5]
	global_store_dword v[0:1], v4, off
.LBB436_16:
	s_endpgm
.LBB436_17:
	v_mov_b32_e32 v3, 0
	v_lshl_add_u64 v[2:3], v[2:3], 2, s[4:5]
	v_mov_b32_e32 v0, v1
	global_store_dword v[2:3], v7, off
	s_or_b64 exec, exec, s[0:1]
	v_cmp_gt_i32_e32 vcc, s8, v0
	s_and_saveexec_b64 s[0:1], vcc
	s_cbranch_execz .LBB436_13
.LBB436_18:
	v_add_u32_e32 v2, s2, v0
	v_mov_b32_e32 v3, 0
	v_lshl_add_u64 v[2:3], v[2:3], 2, s[4:5]
	v_add_u32_e32 v0, 0x100, v0
	global_store_dword v[2:3], v6, off
	s_or_b64 exec, exec, s[0:1]
	v_cmp_gt_i32_e32 vcc, s8, v0
	s_and_saveexec_b64 s[0:1], vcc
	s_cbranch_execz .LBB436_14
.LBB436_19:
	v_add_u32_e32 v2, s2, v0
	v_mov_b32_e32 v3, 0
	v_lshl_add_u64 v[2:3], v[2:3], 2, s[4:5]
	v_add_u32_e32 v0, 0x100, v0
	global_store_dword v[2:3], v5, off
	s_or_b64 exec, exec, s[0:1]
	v_cmp_gt_i32_e32 vcc, s8, v0
	s_and_saveexec_b64 s[0:1], vcc
	s_cbranch_execnz .LBB436_15
	s_branch .LBB436_16
	.section	.rodata,"a",@progbits
	.p2align	6, 0x0
	.amdhsa_kernel _ZN2at6native29vectorized_elementwise_kernelILi4EZZZNS0_21clamp_max_kernel_cudaERNS_18TensorIteratorBaseERKN3c106ScalarEENKUlvE_clEvENKUlvE1_clEvEUliE_St5arrayIPcLm2EEEEviT0_T1_
		.amdhsa_group_segment_fixed_size 0
		.amdhsa_private_segment_fixed_size 0
		.amdhsa_kernarg_size 24
		.amdhsa_user_sgpr_count 2
		.amdhsa_user_sgpr_dispatch_ptr 0
		.amdhsa_user_sgpr_queue_ptr 0
		.amdhsa_user_sgpr_kernarg_segment_ptr 1
		.amdhsa_user_sgpr_dispatch_id 0
		.amdhsa_user_sgpr_kernarg_preload_length 0
		.amdhsa_user_sgpr_kernarg_preload_offset 0
		.amdhsa_user_sgpr_private_segment_size 0
		.amdhsa_uses_dynamic_stack 0
		.amdhsa_enable_private_segment 0
		.amdhsa_system_sgpr_workgroup_id_x 1
		.amdhsa_system_sgpr_workgroup_id_y 0
		.amdhsa_system_sgpr_workgroup_id_z 0
		.amdhsa_system_sgpr_workgroup_info 0
		.amdhsa_system_vgpr_workitem_id 0
		.amdhsa_next_free_vgpr 9
		.amdhsa_next_free_sgpr 16
		.amdhsa_accum_offset 12
		.amdhsa_reserve_vcc 1
		.amdhsa_float_round_mode_32 0
		.amdhsa_float_round_mode_16_64 0
		.amdhsa_float_denorm_mode_32 3
		.amdhsa_float_denorm_mode_16_64 3
		.amdhsa_dx10_clamp 1
		.amdhsa_ieee_mode 1
		.amdhsa_fp16_overflow 0
		.amdhsa_tg_split 0
		.amdhsa_exception_fp_ieee_invalid_op 0
		.amdhsa_exception_fp_denorm_src 0
		.amdhsa_exception_fp_ieee_div_zero 0
		.amdhsa_exception_fp_ieee_overflow 0
		.amdhsa_exception_fp_ieee_underflow 0
		.amdhsa_exception_fp_ieee_inexact 0
		.amdhsa_exception_int_div_zero 0
	.end_amdhsa_kernel
	.section	.text._ZN2at6native29vectorized_elementwise_kernelILi4EZZZNS0_21clamp_max_kernel_cudaERNS_18TensorIteratorBaseERKN3c106ScalarEENKUlvE_clEvENKUlvE1_clEvEUliE_St5arrayIPcLm2EEEEviT0_T1_,"axG",@progbits,_ZN2at6native29vectorized_elementwise_kernelILi4EZZZNS0_21clamp_max_kernel_cudaERNS_18TensorIteratorBaseERKN3c106ScalarEENKUlvE_clEvENKUlvE1_clEvEUliE_St5arrayIPcLm2EEEEviT0_T1_,comdat
.Lfunc_end436:
	.size	_ZN2at6native29vectorized_elementwise_kernelILi4EZZZNS0_21clamp_max_kernel_cudaERNS_18TensorIteratorBaseERKN3c106ScalarEENKUlvE_clEvENKUlvE1_clEvEUliE_St5arrayIPcLm2EEEEviT0_T1_, .Lfunc_end436-_ZN2at6native29vectorized_elementwise_kernelILi4EZZZNS0_21clamp_max_kernel_cudaERNS_18TensorIteratorBaseERKN3c106ScalarEENKUlvE_clEvENKUlvE1_clEvEUliE_St5arrayIPcLm2EEEEviT0_T1_
                                        ; -- End function
	.set _ZN2at6native29vectorized_elementwise_kernelILi4EZZZNS0_21clamp_max_kernel_cudaERNS_18TensorIteratorBaseERKN3c106ScalarEENKUlvE_clEvENKUlvE1_clEvEUliE_St5arrayIPcLm2EEEEviT0_T1_.num_vgpr, 9
	.set _ZN2at6native29vectorized_elementwise_kernelILi4EZZZNS0_21clamp_max_kernel_cudaERNS_18TensorIteratorBaseERKN3c106ScalarEENKUlvE_clEvENKUlvE1_clEvEUliE_St5arrayIPcLm2EEEEviT0_T1_.num_agpr, 0
	.set _ZN2at6native29vectorized_elementwise_kernelILi4EZZZNS0_21clamp_max_kernel_cudaERNS_18TensorIteratorBaseERKN3c106ScalarEENKUlvE_clEvENKUlvE1_clEvEUliE_St5arrayIPcLm2EEEEviT0_T1_.numbered_sgpr, 16
	.set _ZN2at6native29vectorized_elementwise_kernelILi4EZZZNS0_21clamp_max_kernel_cudaERNS_18TensorIteratorBaseERKN3c106ScalarEENKUlvE_clEvENKUlvE1_clEvEUliE_St5arrayIPcLm2EEEEviT0_T1_.num_named_barrier, 0
	.set _ZN2at6native29vectorized_elementwise_kernelILi4EZZZNS0_21clamp_max_kernel_cudaERNS_18TensorIteratorBaseERKN3c106ScalarEENKUlvE_clEvENKUlvE1_clEvEUliE_St5arrayIPcLm2EEEEviT0_T1_.private_seg_size, 0
	.set _ZN2at6native29vectorized_elementwise_kernelILi4EZZZNS0_21clamp_max_kernel_cudaERNS_18TensorIteratorBaseERKN3c106ScalarEENKUlvE_clEvENKUlvE1_clEvEUliE_St5arrayIPcLm2EEEEviT0_T1_.uses_vcc, 1
	.set _ZN2at6native29vectorized_elementwise_kernelILi4EZZZNS0_21clamp_max_kernel_cudaERNS_18TensorIteratorBaseERKN3c106ScalarEENKUlvE_clEvENKUlvE1_clEvEUliE_St5arrayIPcLm2EEEEviT0_T1_.uses_flat_scratch, 0
	.set _ZN2at6native29vectorized_elementwise_kernelILi4EZZZNS0_21clamp_max_kernel_cudaERNS_18TensorIteratorBaseERKN3c106ScalarEENKUlvE_clEvENKUlvE1_clEvEUliE_St5arrayIPcLm2EEEEviT0_T1_.has_dyn_sized_stack, 0
	.set _ZN2at6native29vectorized_elementwise_kernelILi4EZZZNS0_21clamp_max_kernel_cudaERNS_18TensorIteratorBaseERKN3c106ScalarEENKUlvE_clEvENKUlvE1_clEvEUliE_St5arrayIPcLm2EEEEviT0_T1_.has_recursion, 0
	.set _ZN2at6native29vectorized_elementwise_kernelILi4EZZZNS0_21clamp_max_kernel_cudaERNS_18TensorIteratorBaseERKN3c106ScalarEENKUlvE_clEvENKUlvE1_clEvEUliE_St5arrayIPcLm2EEEEviT0_T1_.has_indirect_call, 0
	.section	.AMDGPU.csdata,"",@progbits
; Kernel info:
; codeLenInByte = 628
; TotalNumSgprs: 22
; NumVgprs: 9
; NumAgprs: 0
; TotalNumVgprs: 9
; ScratchSize: 0
; MemoryBound: 0
; FloatMode: 240
; IeeeMode: 1
; LDSByteSize: 0 bytes/workgroup (compile time only)
; SGPRBlocks: 2
; VGPRBlocks: 1
; NumSGPRsForWavesPerEU: 22
; NumVGPRsForWavesPerEU: 9
; AccumOffset: 12
; Occupancy: 8
; WaveLimiterHint : 0
; COMPUTE_PGM_RSRC2:SCRATCH_EN: 0
; COMPUTE_PGM_RSRC2:USER_SGPR: 2
; COMPUTE_PGM_RSRC2:TRAP_HANDLER: 0
; COMPUTE_PGM_RSRC2:TGID_X_EN: 1
; COMPUTE_PGM_RSRC2:TGID_Y_EN: 0
; COMPUTE_PGM_RSRC2:TGID_Z_EN: 0
; COMPUTE_PGM_RSRC2:TIDIG_COMP_CNT: 0
; COMPUTE_PGM_RSRC3_GFX90A:ACCUM_OFFSET: 2
; COMPUTE_PGM_RSRC3_GFX90A:TG_SPLIT: 0
	.section	.text._ZN2at6native29vectorized_elementwise_kernelILi2EZZZNS0_21clamp_max_kernel_cudaERNS_18TensorIteratorBaseERKN3c106ScalarEENKUlvE_clEvENKUlvE1_clEvEUliE_St5arrayIPcLm2EEEEviT0_T1_,"axG",@progbits,_ZN2at6native29vectorized_elementwise_kernelILi2EZZZNS0_21clamp_max_kernel_cudaERNS_18TensorIteratorBaseERKN3c106ScalarEENKUlvE_clEvENKUlvE1_clEvEUliE_St5arrayIPcLm2EEEEviT0_T1_,comdat
	.globl	_ZN2at6native29vectorized_elementwise_kernelILi2EZZZNS0_21clamp_max_kernel_cudaERNS_18TensorIteratorBaseERKN3c106ScalarEENKUlvE_clEvENKUlvE1_clEvEUliE_St5arrayIPcLm2EEEEviT0_T1_ ; -- Begin function _ZN2at6native29vectorized_elementwise_kernelILi2EZZZNS0_21clamp_max_kernel_cudaERNS_18TensorIteratorBaseERKN3c106ScalarEENKUlvE_clEvENKUlvE1_clEvEUliE_St5arrayIPcLm2EEEEviT0_T1_
	.p2align	8
	.type	_ZN2at6native29vectorized_elementwise_kernelILi2EZZZNS0_21clamp_max_kernel_cudaERNS_18TensorIteratorBaseERKN3c106ScalarEENKUlvE_clEvENKUlvE1_clEvEUliE_St5arrayIPcLm2EEEEviT0_T1_,@function
_ZN2at6native29vectorized_elementwise_kernelILi2EZZZNS0_21clamp_max_kernel_cudaERNS_18TensorIteratorBaseERKN3c106ScalarEENKUlvE_clEvENKUlvE1_clEvEUliE_St5arrayIPcLm2EEEEviT0_T1_: ; @_ZN2at6native29vectorized_elementwise_kernelILi2EZZZNS0_21clamp_max_kernel_cudaERNS_18TensorIteratorBaseERKN3c106ScalarEENKUlvE_clEvENKUlvE1_clEvEUliE_St5arrayIPcLm2EEEEviT0_T1_
; %bb.0:
	s_load_dwordx2 s[8:9], s[0:1], 0x0
	s_load_dwordx4 s[4:7], s[0:1], 0x8
	s_lshl_b32 s2, s2, 10
	s_mov_b64 s[0:1], -1
	s_waitcnt lgkmcnt(0)
	s_sub_i32 s8, s8, s2
	s_cmpk_gt_i32 s8, 0x3ff
	s_cbranch_scc0 .LBB437_2
; %bb.1:
	s_ashr_i32 s3, s2, 31
	s_lshl_b64 s[0:1], s[2:3], 2
	s_add_u32 s10, s6, s0
	s_addc_u32 s11, s7, s1
	v_lshlrev_b32_e32 v1, 3, v0
	global_load_dwordx2 v[2:3], v1, s[10:11]
	global_load_dwordx2 v[4:5], v1, s[10:11] offset:2048
	s_add_u32 s0, s4, s0
	s_addc_u32 s1, s5, s1
	s_waitcnt vmcnt(1)
	v_min_i32_e32 v2, s9, v2
	v_min_i32_e32 v3, s9, v3
	s_waitcnt vmcnt(0)
	v_min_i32_e32 v4, s9, v4
	v_min_i32_e32 v5, s9, v5
	global_store_dwordx2 v1, v[2:3], s[0:1]
	global_store_dwordx2 v1, v[4:5], s[0:1] offset:2048
	s_mov_b64 s[0:1], 0
.LBB437_2:
	s_andn2_b64 vcc, exec, s[0:1]
	s_cbranch_vccnz .LBB437_16
; %bb.3:
	v_cmp_gt_i32_e32 vcc, s8, v0
	v_or_b32_e32 v1, 0x100, v0
	v_mov_b32_e32 v4, 0
	v_or_b32_e32 v2, s2, v0
	v_mov_b32_e32 v5, 0
	v_mov_b32_e32 v3, 0
	;; [unrolled: 1-line block ×3, first 2 shown]
	s_and_saveexec_b64 s[10:11], vcc
	s_cbranch_execz .LBB437_11
; %bb.4:
	v_mov_b32_e32 v3, 0
	v_lshl_add_u64 v[4:5], v[2:3], 2, s[6:7]
	global_load_dword v8, v[4:5], off
	v_cmp_gt_u32_e64 s[0:1], s8, v1
	v_mov_b32_e32 v5, v3
	v_mov_b32_e32 v4, v3
	s_and_saveexec_b64 s[12:13], s[0:1]
	s_cbranch_execz .LBB437_10
; %bb.5:
	v_add_u32_e32 v4, s2, v0
	v_mov_b32_e32 v5, 0
	v_lshl_add_u64 v[6:7], v[4:5], 2, s[6:7]
	global_load_dword v3, v[6:7], off offset:1024
	v_or_b32_e32 v4, 0x200, v0
	v_cmp_gt_u32_e64 s[0:1], s8, v4
	v_mov_b32_e32 v4, v5
	s_and_saveexec_b64 s[6:7], s[0:1]
	s_cbranch_execz .LBB437_9
; %bb.6:
	global_load_dword v5, v[6:7], off offset:2048
	v_or_b32_e32 v4, 0x300, v0
	v_cmp_gt_u32_e64 s[0:1], s8, v4
	v_mov_b32_e32 v4, 0
	s_and_saveexec_b64 s[14:15], s[0:1]
	s_cbranch_execz .LBB437_8
; %bb.7:
	global_load_dword v4, v[6:7], off offset:3072
.LBB437_8:
	s_or_b64 exec, exec, s[14:15]
.LBB437_9:
	s_or_b64 exec, exec, s[6:7]
.LBB437_10:
	s_or_b64 exec, exec, s[12:13]
.LBB437_11:
	s_or_b64 exec, exec, s[10:11]
	s_waitcnt vmcnt(0)
	v_min_i32_e32 v6, s9, v8
	v_min_i32_e32 v3, s9, v3
	v_cmp_gt_i32_e64 s[0:1], s8, v1
	v_cndmask_b32_e32 v7, 0, v6, vcc
	v_min_i32_e32 v5, s9, v5
	v_cndmask_b32_e64 v6, 0, v3, s[0:1]
	v_or_b32_e32 v3, 0x200, v0
	v_cmp_gt_i32_e64 s[0:1], s8, v3
	v_or_b32_e32 v3, 0x300, v0
	v_min_i32_e32 v4, s9, v4
	v_cndmask_b32_e64 v5, 0, v5, s[0:1]
	v_cmp_gt_i32_e64 s[0:1], s8, v3
	s_nop 1
	v_cndmask_b32_e64 v4, 0, v4, s[0:1]
	s_and_saveexec_b64 s[0:1], vcc
	s_cbranch_execnz .LBB437_17
; %bb.12:
	s_or_b64 exec, exec, s[0:1]
	v_cmp_gt_i32_e32 vcc, s8, v0
	s_and_saveexec_b64 s[0:1], vcc
	s_cbranch_execnz .LBB437_18
.LBB437_13:
	s_or_b64 exec, exec, s[0:1]
	v_cmp_gt_i32_e32 vcc, s8, v0
	s_and_saveexec_b64 s[0:1], vcc
	s_cbranch_execnz .LBB437_19
.LBB437_14:
	s_or_b64 exec, exec, s[0:1]
	v_cmp_gt_i32_e32 vcc, s8, v0
	s_and_saveexec_b64 s[0:1], vcc
	s_cbranch_execz .LBB437_16
.LBB437_15:
	v_add_u32_e32 v0, s2, v0
	v_mov_b32_e32 v1, 0
	v_lshl_add_u64 v[0:1], v[0:1], 2, s[4:5]
	global_store_dword v[0:1], v4, off
.LBB437_16:
	s_endpgm
.LBB437_17:
	v_mov_b32_e32 v3, 0
	v_lshl_add_u64 v[2:3], v[2:3], 2, s[4:5]
	v_mov_b32_e32 v0, v1
	global_store_dword v[2:3], v7, off
	s_or_b64 exec, exec, s[0:1]
	v_cmp_gt_i32_e32 vcc, s8, v0
	s_and_saveexec_b64 s[0:1], vcc
	s_cbranch_execz .LBB437_13
.LBB437_18:
	v_add_u32_e32 v2, s2, v0
	v_mov_b32_e32 v3, 0
	v_lshl_add_u64 v[2:3], v[2:3], 2, s[4:5]
	v_add_u32_e32 v0, 0x100, v0
	global_store_dword v[2:3], v6, off
	s_or_b64 exec, exec, s[0:1]
	v_cmp_gt_i32_e32 vcc, s8, v0
	s_and_saveexec_b64 s[0:1], vcc
	s_cbranch_execz .LBB437_14
.LBB437_19:
	v_add_u32_e32 v2, s2, v0
	v_mov_b32_e32 v3, 0
	v_lshl_add_u64 v[2:3], v[2:3], 2, s[4:5]
	v_add_u32_e32 v0, 0x100, v0
	global_store_dword v[2:3], v5, off
	s_or_b64 exec, exec, s[0:1]
	v_cmp_gt_i32_e32 vcc, s8, v0
	s_and_saveexec_b64 s[0:1], vcc
	s_cbranch_execnz .LBB437_15
	s_branch .LBB437_16
	.section	.rodata,"a",@progbits
	.p2align	6, 0x0
	.amdhsa_kernel _ZN2at6native29vectorized_elementwise_kernelILi2EZZZNS0_21clamp_max_kernel_cudaERNS_18TensorIteratorBaseERKN3c106ScalarEENKUlvE_clEvENKUlvE1_clEvEUliE_St5arrayIPcLm2EEEEviT0_T1_
		.amdhsa_group_segment_fixed_size 0
		.amdhsa_private_segment_fixed_size 0
		.amdhsa_kernarg_size 24
		.amdhsa_user_sgpr_count 2
		.amdhsa_user_sgpr_dispatch_ptr 0
		.amdhsa_user_sgpr_queue_ptr 0
		.amdhsa_user_sgpr_kernarg_segment_ptr 1
		.amdhsa_user_sgpr_dispatch_id 0
		.amdhsa_user_sgpr_kernarg_preload_length 0
		.amdhsa_user_sgpr_kernarg_preload_offset 0
		.amdhsa_user_sgpr_private_segment_size 0
		.amdhsa_uses_dynamic_stack 0
		.amdhsa_enable_private_segment 0
		.amdhsa_system_sgpr_workgroup_id_x 1
		.amdhsa_system_sgpr_workgroup_id_y 0
		.amdhsa_system_sgpr_workgroup_id_z 0
		.amdhsa_system_sgpr_workgroup_info 0
		.amdhsa_system_vgpr_workitem_id 0
		.amdhsa_next_free_vgpr 9
		.amdhsa_next_free_sgpr 16
		.amdhsa_accum_offset 12
		.amdhsa_reserve_vcc 1
		.amdhsa_float_round_mode_32 0
		.amdhsa_float_round_mode_16_64 0
		.amdhsa_float_denorm_mode_32 3
		.amdhsa_float_denorm_mode_16_64 3
		.amdhsa_dx10_clamp 1
		.amdhsa_ieee_mode 1
		.amdhsa_fp16_overflow 0
		.amdhsa_tg_split 0
		.amdhsa_exception_fp_ieee_invalid_op 0
		.amdhsa_exception_fp_denorm_src 0
		.amdhsa_exception_fp_ieee_div_zero 0
		.amdhsa_exception_fp_ieee_overflow 0
		.amdhsa_exception_fp_ieee_underflow 0
		.amdhsa_exception_fp_ieee_inexact 0
		.amdhsa_exception_int_div_zero 0
	.end_amdhsa_kernel
	.section	.text._ZN2at6native29vectorized_elementwise_kernelILi2EZZZNS0_21clamp_max_kernel_cudaERNS_18TensorIteratorBaseERKN3c106ScalarEENKUlvE_clEvENKUlvE1_clEvEUliE_St5arrayIPcLm2EEEEviT0_T1_,"axG",@progbits,_ZN2at6native29vectorized_elementwise_kernelILi2EZZZNS0_21clamp_max_kernel_cudaERNS_18TensorIteratorBaseERKN3c106ScalarEENKUlvE_clEvENKUlvE1_clEvEUliE_St5arrayIPcLm2EEEEviT0_T1_,comdat
.Lfunc_end437:
	.size	_ZN2at6native29vectorized_elementwise_kernelILi2EZZZNS0_21clamp_max_kernel_cudaERNS_18TensorIteratorBaseERKN3c106ScalarEENKUlvE_clEvENKUlvE1_clEvEUliE_St5arrayIPcLm2EEEEviT0_T1_, .Lfunc_end437-_ZN2at6native29vectorized_elementwise_kernelILi2EZZZNS0_21clamp_max_kernel_cudaERNS_18TensorIteratorBaseERKN3c106ScalarEENKUlvE_clEvENKUlvE1_clEvEUliE_St5arrayIPcLm2EEEEviT0_T1_
                                        ; -- End function
	.set _ZN2at6native29vectorized_elementwise_kernelILi2EZZZNS0_21clamp_max_kernel_cudaERNS_18TensorIteratorBaseERKN3c106ScalarEENKUlvE_clEvENKUlvE1_clEvEUliE_St5arrayIPcLm2EEEEviT0_T1_.num_vgpr, 9
	.set _ZN2at6native29vectorized_elementwise_kernelILi2EZZZNS0_21clamp_max_kernel_cudaERNS_18TensorIteratorBaseERKN3c106ScalarEENKUlvE_clEvENKUlvE1_clEvEUliE_St5arrayIPcLm2EEEEviT0_T1_.num_agpr, 0
	.set _ZN2at6native29vectorized_elementwise_kernelILi2EZZZNS0_21clamp_max_kernel_cudaERNS_18TensorIteratorBaseERKN3c106ScalarEENKUlvE_clEvENKUlvE1_clEvEUliE_St5arrayIPcLm2EEEEviT0_T1_.numbered_sgpr, 16
	.set _ZN2at6native29vectorized_elementwise_kernelILi2EZZZNS0_21clamp_max_kernel_cudaERNS_18TensorIteratorBaseERKN3c106ScalarEENKUlvE_clEvENKUlvE1_clEvEUliE_St5arrayIPcLm2EEEEviT0_T1_.num_named_barrier, 0
	.set _ZN2at6native29vectorized_elementwise_kernelILi2EZZZNS0_21clamp_max_kernel_cudaERNS_18TensorIteratorBaseERKN3c106ScalarEENKUlvE_clEvENKUlvE1_clEvEUliE_St5arrayIPcLm2EEEEviT0_T1_.private_seg_size, 0
	.set _ZN2at6native29vectorized_elementwise_kernelILi2EZZZNS0_21clamp_max_kernel_cudaERNS_18TensorIteratorBaseERKN3c106ScalarEENKUlvE_clEvENKUlvE1_clEvEUliE_St5arrayIPcLm2EEEEviT0_T1_.uses_vcc, 1
	.set _ZN2at6native29vectorized_elementwise_kernelILi2EZZZNS0_21clamp_max_kernel_cudaERNS_18TensorIteratorBaseERKN3c106ScalarEENKUlvE_clEvENKUlvE1_clEvEUliE_St5arrayIPcLm2EEEEviT0_T1_.uses_flat_scratch, 0
	.set _ZN2at6native29vectorized_elementwise_kernelILi2EZZZNS0_21clamp_max_kernel_cudaERNS_18TensorIteratorBaseERKN3c106ScalarEENKUlvE_clEvENKUlvE1_clEvEUliE_St5arrayIPcLm2EEEEviT0_T1_.has_dyn_sized_stack, 0
	.set _ZN2at6native29vectorized_elementwise_kernelILi2EZZZNS0_21clamp_max_kernel_cudaERNS_18TensorIteratorBaseERKN3c106ScalarEENKUlvE_clEvENKUlvE1_clEvEUliE_St5arrayIPcLm2EEEEviT0_T1_.has_recursion, 0
	.set _ZN2at6native29vectorized_elementwise_kernelILi2EZZZNS0_21clamp_max_kernel_cudaERNS_18TensorIteratorBaseERKN3c106ScalarEENKUlvE_clEvENKUlvE1_clEvEUliE_St5arrayIPcLm2EEEEviT0_T1_.has_indirect_call, 0
	.section	.AMDGPU.csdata,"",@progbits
; Kernel info:
; codeLenInByte = 648
; TotalNumSgprs: 22
; NumVgprs: 9
; NumAgprs: 0
; TotalNumVgprs: 9
; ScratchSize: 0
; MemoryBound: 0
; FloatMode: 240
; IeeeMode: 1
; LDSByteSize: 0 bytes/workgroup (compile time only)
; SGPRBlocks: 2
; VGPRBlocks: 1
; NumSGPRsForWavesPerEU: 22
; NumVGPRsForWavesPerEU: 9
; AccumOffset: 12
; Occupancy: 8
; WaveLimiterHint : 1
; COMPUTE_PGM_RSRC2:SCRATCH_EN: 0
; COMPUTE_PGM_RSRC2:USER_SGPR: 2
; COMPUTE_PGM_RSRC2:TRAP_HANDLER: 0
; COMPUTE_PGM_RSRC2:TGID_X_EN: 1
; COMPUTE_PGM_RSRC2:TGID_Y_EN: 0
; COMPUTE_PGM_RSRC2:TGID_Z_EN: 0
; COMPUTE_PGM_RSRC2:TIDIG_COMP_CNT: 0
; COMPUTE_PGM_RSRC3_GFX90A:ACCUM_OFFSET: 2
; COMPUTE_PGM_RSRC3_GFX90A:TG_SPLIT: 0
	.section	.text._ZN2at6native27unrolled_elementwise_kernelIZZZNS0_21clamp_max_kernel_cudaERNS_18TensorIteratorBaseERKN3c106ScalarEENKUlvE_clEvENKUlvE1_clEvEUliE_St5arrayIPcLm2EELi4E23TrivialOffsetCalculatorILi1EjESF_NS0_6memory15LoadWithoutCastENSG_16StoreWithoutCastEEEviT_T0_T2_T3_T4_T5_,"axG",@progbits,_ZN2at6native27unrolled_elementwise_kernelIZZZNS0_21clamp_max_kernel_cudaERNS_18TensorIteratorBaseERKN3c106ScalarEENKUlvE_clEvENKUlvE1_clEvEUliE_St5arrayIPcLm2EELi4E23TrivialOffsetCalculatorILi1EjESF_NS0_6memory15LoadWithoutCastENSG_16StoreWithoutCastEEEviT_T0_T2_T3_T4_T5_,comdat
	.globl	_ZN2at6native27unrolled_elementwise_kernelIZZZNS0_21clamp_max_kernel_cudaERNS_18TensorIteratorBaseERKN3c106ScalarEENKUlvE_clEvENKUlvE1_clEvEUliE_St5arrayIPcLm2EELi4E23TrivialOffsetCalculatorILi1EjESF_NS0_6memory15LoadWithoutCastENSG_16StoreWithoutCastEEEviT_T0_T2_T3_T4_T5_ ; -- Begin function _ZN2at6native27unrolled_elementwise_kernelIZZZNS0_21clamp_max_kernel_cudaERNS_18TensorIteratorBaseERKN3c106ScalarEENKUlvE_clEvENKUlvE1_clEvEUliE_St5arrayIPcLm2EELi4E23TrivialOffsetCalculatorILi1EjESF_NS0_6memory15LoadWithoutCastENSG_16StoreWithoutCastEEEviT_T0_T2_T3_T4_T5_
	.p2align	8
	.type	_ZN2at6native27unrolled_elementwise_kernelIZZZNS0_21clamp_max_kernel_cudaERNS_18TensorIteratorBaseERKN3c106ScalarEENKUlvE_clEvENKUlvE1_clEvEUliE_St5arrayIPcLm2EELi4E23TrivialOffsetCalculatorILi1EjESF_NS0_6memory15LoadWithoutCastENSG_16StoreWithoutCastEEEviT_T0_T2_T3_T4_T5_,@function
_ZN2at6native27unrolled_elementwise_kernelIZZZNS0_21clamp_max_kernel_cudaERNS_18TensorIteratorBaseERKN3c106ScalarEENKUlvE_clEvENKUlvE1_clEvEUliE_St5arrayIPcLm2EELi4E23TrivialOffsetCalculatorILi1EjESF_NS0_6memory15LoadWithoutCastENSG_16StoreWithoutCastEEEviT_T0_T2_T3_T4_T5_: ; @_ZN2at6native27unrolled_elementwise_kernelIZZZNS0_21clamp_max_kernel_cudaERNS_18TensorIteratorBaseERKN3c106ScalarEENKUlvE_clEvENKUlvE1_clEvEUliE_St5arrayIPcLm2EELi4E23TrivialOffsetCalculatorILi1EjESF_NS0_6memory15LoadWithoutCastENSG_16StoreWithoutCastEEEviT_T0_T2_T3_T4_T5_
; %bb.0:
	s_load_dwordx2 s[8:9], s[0:1], 0x0
	s_load_dwordx4 s[4:7], s[0:1], 0x8
	s_lshl_b32 s16, s2, 10
	v_mov_b32_e32 v7, 0
	v_or_b32_e32 v1, 0x100, v0
	s_waitcnt lgkmcnt(0)
	s_sub_i32 s8, s8, s16
	v_cmp_gt_i32_e32 vcc, s8, v0
	v_or_b32_e32 v2, s16, v0
	v_mov_b32_e32 v5, 0
	v_mov_b32_e32 v3, v7
	;; [unrolled: 1-line block ×3, first 2 shown]
	s_and_saveexec_b64 s[2:3], vcc
	s_cbranch_execz .LBB438_8
; %bb.1:
	v_mov_b32_e32 v3, 0
	v_lshl_add_u64 v[4:5], v[2:3], 2, s[6:7]
	global_load_dword v8, v[4:5], off
	v_cmp_gt_u32_e64 s[0:1], s8, v1
	v_mov_b32_e32 v5, v3
	v_mov_b32_e32 v7, v3
	s_and_saveexec_b64 s[10:11], s[0:1]
	s_cbranch_execz .LBB438_7
; %bb.2:
	v_add_u32_e32 v4, s16, v1
	v_mov_b32_e32 v5, 0
	v_lshl_add_u64 v[6:7], v[4:5], 2, s[6:7]
	global_load_dword v3, v[6:7], off
	v_or_b32_e32 v4, 0x200, v0
	v_cmp_gt_u32_e64 s[0:1], s8, v4
	v_mov_b32_e32 v7, v5
	s_and_saveexec_b64 s[12:13], s[0:1]
	s_cbranch_execz .LBB438_6
; %bb.3:
	v_add_u32_e32 v6, s16, v4
	v_mov_b32_e32 v7, 0
	v_lshl_add_u64 v[4:5], v[6:7], 2, s[6:7]
	global_load_dword v5, v[4:5], off
	v_or_b32_e32 v4, 0x300, v0
	v_cmp_gt_u32_e64 s[0:1], s8, v4
	s_and_saveexec_b64 s[14:15], s[0:1]
	s_cbranch_execz .LBB438_5
; %bb.4:
	v_add_u32_e32 v6, s16, v4
	v_mov_b32_e32 v7, 0
	v_lshl_add_u64 v[6:7], v[6:7], 2, s[6:7]
	global_load_dword v7, v[6:7], off
.LBB438_5:
	s_or_b64 exec, exec, s[14:15]
.LBB438_6:
	s_or_b64 exec, exec, s[12:13]
.LBB438_7:
	s_or_b64 exec, exec, s[10:11]
.LBB438_8:
	s_or_b64 exec, exec, s[2:3]
	s_waitcnt vmcnt(0)
	v_min_i32_e32 v3, s9, v3
	v_cmp_gt_i32_e64 s[0:1], s8, v1
	v_min_i32_e32 v4, s9, v8
	v_cndmask_b32_e32 v8, 0, v4, vcc
	v_cndmask_b32_e64 v6, 0, v3, s[0:1]
	v_or_b32_e32 v3, 0x200, v0
	v_min_i32_e32 v4, s9, v5
	v_cmp_gt_i32_e64 s[0:1], s8, v3
	v_or_b32_e32 v3, 0x300, v0
	s_nop 0
	v_cndmask_b32_e64 v5, 0, v4, s[0:1]
	v_min_i32_e32 v4, s9, v7
	v_cmp_gt_i32_e64 s[0:1], s8, v3
	s_nop 1
	v_cndmask_b32_e64 v4, 0, v4, s[0:1]
	s_and_saveexec_b64 s[0:1], vcc
	s_cbranch_execnz .LBB438_13
; %bb.9:
	s_or_b64 exec, exec, s[0:1]
	v_cmp_gt_i32_e32 vcc, s8, v0
	s_and_saveexec_b64 s[0:1], vcc
	s_cbranch_execnz .LBB438_14
.LBB438_10:
	s_or_b64 exec, exec, s[0:1]
	v_cmp_gt_i32_e32 vcc, s8, v0
	s_and_saveexec_b64 s[0:1], vcc
	s_cbranch_execnz .LBB438_15
.LBB438_11:
	s_or_b64 exec, exec, s[0:1]
	v_cmp_gt_i32_e32 vcc, s8, v0
	s_and_saveexec_b64 s[0:1], vcc
	s_cbranch_execnz .LBB438_16
.LBB438_12:
	s_endpgm
.LBB438_13:
	v_mov_b32_e32 v3, 0
	v_lshl_add_u64 v[2:3], v[2:3], 2, s[4:5]
	v_mov_b32_e32 v0, v1
	global_store_dword v[2:3], v8, off
	s_or_b64 exec, exec, s[0:1]
	v_cmp_gt_i32_e32 vcc, s8, v0
	s_and_saveexec_b64 s[0:1], vcc
	s_cbranch_execz .LBB438_10
.LBB438_14:
	v_add_u32_e32 v2, 0x100, v0
	v_add_u32_e32 v0, s16, v0
	v_mov_b32_e32 v1, 0
	v_lshl_add_u64 v[0:1], v[0:1], 2, s[4:5]
	global_store_dword v[0:1], v6, off
	v_mov_b32_e32 v0, v2
	s_or_b64 exec, exec, s[0:1]
	v_cmp_gt_i32_e32 vcc, s8, v0
	s_and_saveexec_b64 s[0:1], vcc
	s_cbranch_execz .LBB438_11
.LBB438_15:
	v_add_u32_e32 v2, 0x100, v0
	v_add_u32_e32 v0, s16, v0
	v_mov_b32_e32 v1, 0
	v_lshl_add_u64 v[0:1], v[0:1], 2, s[4:5]
	global_store_dword v[0:1], v5, off
	v_mov_b32_e32 v0, v2
	s_or_b64 exec, exec, s[0:1]
	v_cmp_gt_i32_e32 vcc, s8, v0
	s_and_saveexec_b64 s[0:1], vcc
	s_cbranch_execz .LBB438_12
.LBB438_16:
	v_add_u32_e32 v0, s16, v0
	v_mov_b32_e32 v1, 0
	v_lshl_add_u64 v[0:1], v[0:1], 2, s[4:5]
	global_store_dword v[0:1], v4, off
	s_endpgm
	.section	.rodata,"a",@progbits
	.p2align	6, 0x0
	.amdhsa_kernel _ZN2at6native27unrolled_elementwise_kernelIZZZNS0_21clamp_max_kernel_cudaERNS_18TensorIteratorBaseERKN3c106ScalarEENKUlvE_clEvENKUlvE1_clEvEUliE_St5arrayIPcLm2EELi4E23TrivialOffsetCalculatorILi1EjESF_NS0_6memory15LoadWithoutCastENSG_16StoreWithoutCastEEEviT_T0_T2_T3_T4_T5_
		.amdhsa_group_segment_fixed_size 0
		.amdhsa_private_segment_fixed_size 0
		.amdhsa_kernarg_size 28
		.amdhsa_user_sgpr_count 2
		.amdhsa_user_sgpr_dispatch_ptr 0
		.amdhsa_user_sgpr_queue_ptr 0
		.amdhsa_user_sgpr_kernarg_segment_ptr 1
		.amdhsa_user_sgpr_dispatch_id 0
		.amdhsa_user_sgpr_kernarg_preload_length 0
		.amdhsa_user_sgpr_kernarg_preload_offset 0
		.amdhsa_user_sgpr_private_segment_size 0
		.amdhsa_uses_dynamic_stack 0
		.amdhsa_enable_private_segment 0
		.amdhsa_system_sgpr_workgroup_id_x 1
		.amdhsa_system_sgpr_workgroup_id_y 0
		.amdhsa_system_sgpr_workgroup_id_z 0
		.amdhsa_system_sgpr_workgroup_info 0
		.amdhsa_system_vgpr_workitem_id 0
		.amdhsa_next_free_vgpr 9
		.amdhsa_next_free_sgpr 17
		.amdhsa_accum_offset 12
		.amdhsa_reserve_vcc 1
		.amdhsa_float_round_mode_32 0
		.amdhsa_float_round_mode_16_64 0
		.amdhsa_float_denorm_mode_32 3
		.amdhsa_float_denorm_mode_16_64 3
		.amdhsa_dx10_clamp 1
		.amdhsa_ieee_mode 1
		.amdhsa_fp16_overflow 0
		.amdhsa_tg_split 0
		.amdhsa_exception_fp_ieee_invalid_op 0
		.amdhsa_exception_fp_denorm_src 0
		.amdhsa_exception_fp_ieee_div_zero 0
		.amdhsa_exception_fp_ieee_overflow 0
		.amdhsa_exception_fp_ieee_underflow 0
		.amdhsa_exception_fp_ieee_inexact 0
		.amdhsa_exception_int_div_zero 0
	.end_amdhsa_kernel
	.section	.text._ZN2at6native27unrolled_elementwise_kernelIZZZNS0_21clamp_max_kernel_cudaERNS_18TensorIteratorBaseERKN3c106ScalarEENKUlvE_clEvENKUlvE1_clEvEUliE_St5arrayIPcLm2EELi4E23TrivialOffsetCalculatorILi1EjESF_NS0_6memory15LoadWithoutCastENSG_16StoreWithoutCastEEEviT_T0_T2_T3_T4_T5_,"axG",@progbits,_ZN2at6native27unrolled_elementwise_kernelIZZZNS0_21clamp_max_kernel_cudaERNS_18TensorIteratorBaseERKN3c106ScalarEENKUlvE_clEvENKUlvE1_clEvEUliE_St5arrayIPcLm2EELi4E23TrivialOffsetCalculatorILi1EjESF_NS0_6memory15LoadWithoutCastENSG_16StoreWithoutCastEEEviT_T0_T2_T3_T4_T5_,comdat
.Lfunc_end438:
	.size	_ZN2at6native27unrolled_elementwise_kernelIZZZNS0_21clamp_max_kernel_cudaERNS_18TensorIteratorBaseERKN3c106ScalarEENKUlvE_clEvENKUlvE1_clEvEUliE_St5arrayIPcLm2EELi4E23TrivialOffsetCalculatorILi1EjESF_NS0_6memory15LoadWithoutCastENSG_16StoreWithoutCastEEEviT_T0_T2_T3_T4_T5_, .Lfunc_end438-_ZN2at6native27unrolled_elementwise_kernelIZZZNS0_21clamp_max_kernel_cudaERNS_18TensorIteratorBaseERKN3c106ScalarEENKUlvE_clEvENKUlvE1_clEvEUliE_St5arrayIPcLm2EELi4E23TrivialOffsetCalculatorILi1EjESF_NS0_6memory15LoadWithoutCastENSG_16StoreWithoutCastEEEviT_T0_T2_T3_T4_T5_
                                        ; -- End function
	.set _ZN2at6native27unrolled_elementwise_kernelIZZZNS0_21clamp_max_kernel_cudaERNS_18TensorIteratorBaseERKN3c106ScalarEENKUlvE_clEvENKUlvE1_clEvEUliE_St5arrayIPcLm2EELi4E23TrivialOffsetCalculatorILi1EjESF_NS0_6memory15LoadWithoutCastENSG_16StoreWithoutCastEEEviT_T0_T2_T3_T4_T5_.num_vgpr, 9
	.set _ZN2at6native27unrolled_elementwise_kernelIZZZNS0_21clamp_max_kernel_cudaERNS_18TensorIteratorBaseERKN3c106ScalarEENKUlvE_clEvENKUlvE1_clEvEUliE_St5arrayIPcLm2EELi4E23TrivialOffsetCalculatorILi1EjESF_NS0_6memory15LoadWithoutCastENSG_16StoreWithoutCastEEEviT_T0_T2_T3_T4_T5_.num_agpr, 0
	.set _ZN2at6native27unrolled_elementwise_kernelIZZZNS0_21clamp_max_kernel_cudaERNS_18TensorIteratorBaseERKN3c106ScalarEENKUlvE_clEvENKUlvE1_clEvEUliE_St5arrayIPcLm2EELi4E23TrivialOffsetCalculatorILi1EjESF_NS0_6memory15LoadWithoutCastENSG_16StoreWithoutCastEEEviT_T0_T2_T3_T4_T5_.numbered_sgpr, 17
	.set _ZN2at6native27unrolled_elementwise_kernelIZZZNS0_21clamp_max_kernel_cudaERNS_18TensorIteratorBaseERKN3c106ScalarEENKUlvE_clEvENKUlvE1_clEvEUliE_St5arrayIPcLm2EELi4E23TrivialOffsetCalculatorILi1EjESF_NS0_6memory15LoadWithoutCastENSG_16StoreWithoutCastEEEviT_T0_T2_T3_T4_T5_.num_named_barrier, 0
	.set _ZN2at6native27unrolled_elementwise_kernelIZZZNS0_21clamp_max_kernel_cudaERNS_18TensorIteratorBaseERKN3c106ScalarEENKUlvE_clEvENKUlvE1_clEvEUliE_St5arrayIPcLm2EELi4E23TrivialOffsetCalculatorILi1EjESF_NS0_6memory15LoadWithoutCastENSG_16StoreWithoutCastEEEviT_T0_T2_T3_T4_T5_.private_seg_size, 0
	.set _ZN2at6native27unrolled_elementwise_kernelIZZZNS0_21clamp_max_kernel_cudaERNS_18TensorIteratorBaseERKN3c106ScalarEENKUlvE_clEvENKUlvE1_clEvEUliE_St5arrayIPcLm2EELi4E23TrivialOffsetCalculatorILi1EjESF_NS0_6memory15LoadWithoutCastENSG_16StoreWithoutCastEEEviT_T0_T2_T3_T4_T5_.uses_vcc, 1
	.set _ZN2at6native27unrolled_elementwise_kernelIZZZNS0_21clamp_max_kernel_cudaERNS_18TensorIteratorBaseERKN3c106ScalarEENKUlvE_clEvENKUlvE1_clEvEUliE_St5arrayIPcLm2EELi4E23TrivialOffsetCalculatorILi1EjESF_NS0_6memory15LoadWithoutCastENSG_16StoreWithoutCastEEEviT_T0_T2_T3_T4_T5_.uses_flat_scratch, 0
	.set _ZN2at6native27unrolled_elementwise_kernelIZZZNS0_21clamp_max_kernel_cudaERNS_18TensorIteratorBaseERKN3c106ScalarEENKUlvE_clEvENKUlvE1_clEvEUliE_St5arrayIPcLm2EELi4E23TrivialOffsetCalculatorILi1EjESF_NS0_6memory15LoadWithoutCastENSG_16StoreWithoutCastEEEviT_T0_T2_T3_T4_T5_.has_dyn_sized_stack, 0
	.set _ZN2at6native27unrolled_elementwise_kernelIZZZNS0_21clamp_max_kernel_cudaERNS_18TensorIteratorBaseERKN3c106ScalarEENKUlvE_clEvENKUlvE1_clEvEUliE_St5arrayIPcLm2EELi4E23TrivialOffsetCalculatorILi1EjESF_NS0_6memory15LoadWithoutCastENSG_16StoreWithoutCastEEEviT_T0_T2_T3_T4_T5_.has_recursion, 0
	.set _ZN2at6native27unrolled_elementwise_kernelIZZZNS0_21clamp_max_kernel_cudaERNS_18TensorIteratorBaseERKN3c106ScalarEENKUlvE_clEvENKUlvE1_clEvEUliE_St5arrayIPcLm2EELi4E23TrivialOffsetCalculatorILi1EjESF_NS0_6memory15LoadWithoutCastENSG_16StoreWithoutCastEEEviT_T0_T2_T3_T4_T5_.has_indirect_call, 0
	.section	.AMDGPU.csdata,"",@progbits
; Kernel info:
; codeLenInByte = 580
; TotalNumSgprs: 23
; NumVgprs: 9
; NumAgprs: 0
; TotalNumVgprs: 9
; ScratchSize: 0
; MemoryBound: 0
; FloatMode: 240
; IeeeMode: 1
; LDSByteSize: 0 bytes/workgroup (compile time only)
; SGPRBlocks: 2
; VGPRBlocks: 1
; NumSGPRsForWavesPerEU: 23
; NumVGPRsForWavesPerEU: 9
; AccumOffset: 12
; Occupancy: 8
; WaveLimiterHint : 0
; COMPUTE_PGM_RSRC2:SCRATCH_EN: 0
; COMPUTE_PGM_RSRC2:USER_SGPR: 2
; COMPUTE_PGM_RSRC2:TRAP_HANDLER: 0
; COMPUTE_PGM_RSRC2:TGID_X_EN: 1
; COMPUTE_PGM_RSRC2:TGID_Y_EN: 0
; COMPUTE_PGM_RSRC2:TGID_Z_EN: 0
; COMPUTE_PGM_RSRC2:TIDIG_COMP_CNT: 0
; COMPUTE_PGM_RSRC3_GFX90A:ACCUM_OFFSET: 2
; COMPUTE_PGM_RSRC3_GFX90A:TG_SPLIT: 0
	.section	.text._ZN2at6native32elementwise_kernel_manual_unrollILi128ELi4EZNS0_22gpu_kernel_impl_nocastIZZZNS0_21clamp_max_kernel_cudaERNS_18TensorIteratorBaseERKN3c106ScalarEENKUlvE_clEvENKUlvE1_clEvEUliE_EEvS4_RKT_EUlibE_EEviT1_,"axG",@progbits,_ZN2at6native32elementwise_kernel_manual_unrollILi128ELi4EZNS0_22gpu_kernel_impl_nocastIZZZNS0_21clamp_max_kernel_cudaERNS_18TensorIteratorBaseERKN3c106ScalarEENKUlvE_clEvENKUlvE1_clEvEUliE_EEvS4_RKT_EUlibE_EEviT1_,comdat
	.globl	_ZN2at6native32elementwise_kernel_manual_unrollILi128ELi4EZNS0_22gpu_kernel_impl_nocastIZZZNS0_21clamp_max_kernel_cudaERNS_18TensorIteratorBaseERKN3c106ScalarEENKUlvE_clEvENKUlvE1_clEvEUliE_EEvS4_RKT_EUlibE_EEviT1_ ; -- Begin function _ZN2at6native32elementwise_kernel_manual_unrollILi128ELi4EZNS0_22gpu_kernel_impl_nocastIZZZNS0_21clamp_max_kernel_cudaERNS_18TensorIteratorBaseERKN3c106ScalarEENKUlvE_clEvENKUlvE1_clEvEUliE_EEvS4_RKT_EUlibE_EEviT1_
	.p2align	8
	.type	_ZN2at6native32elementwise_kernel_manual_unrollILi128ELi4EZNS0_22gpu_kernel_impl_nocastIZZZNS0_21clamp_max_kernel_cudaERNS_18TensorIteratorBaseERKN3c106ScalarEENKUlvE_clEvENKUlvE1_clEvEUliE_EEvS4_RKT_EUlibE_EEviT1_,@function
_ZN2at6native32elementwise_kernel_manual_unrollILi128ELi4EZNS0_22gpu_kernel_impl_nocastIZZZNS0_21clamp_max_kernel_cudaERNS_18TensorIteratorBaseERKN3c106ScalarEENKUlvE_clEvENKUlvE1_clEvEUliE_EEvS4_RKT_EUlibE_EEviT1_: ; @_ZN2at6native32elementwise_kernel_manual_unrollILi128ELi4EZNS0_22gpu_kernel_impl_nocastIZZZNS0_21clamp_max_kernel_cudaERNS_18TensorIteratorBaseERKN3c106ScalarEENKUlvE_clEvENKUlvE1_clEvEUliE_EEvS4_RKT_EUlibE_EEviT1_
; %bb.0:
	s_load_dword s56, s[0:1], 0x0
	s_load_dword s33, s[0:1], 0x8
	s_add_u32 s34, s0, 8
	s_addc_u32 s35, s1, 0
	v_lshl_or_b32 v8, s2, 9, v0
	v_or_b32_e32 v16, 0x180, v8
	s_waitcnt lgkmcnt(0)
	s_add_i32 s54, s33, -1
	s_cmp_gt_u32 s54, 1
	v_cmp_le_i32_e32 vcc, s56, v16
	s_cselect_b64 s[36:37], -1, 0
	s_and_saveexec_b64 s[0:1], vcc
	s_xor_b64 s[38:39], exec, s[0:1]
	s_cbranch_execz .LBB439_8
; %bb.1:
	s_load_dwordx4 s[24:27], s[34:35], 0x4
	s_load_dwordx2 s[40:41], s[34:35], 0x14
	s_load_dwordx4 s[20:23], s[34:35], 0xc4
	s_load_dwordx4 s[16:19], s[34:35], 0x148
	s_load_dword s55, s[34:35], 0x158
	s_cmp_lg_u32 s33, 0
	s_cselect_b64 s[46:47], -1, 0
	s_add_u32 s44, s34, 0xc4
	s_addc_u32 s45, s35, 0
	s_min_u32 s57, s54, 15
	s_cmp_gt_u32 s33, 1
	s_cselect_b64 s[42:43], -1, 0
	v_cmp_gt_i32_e32 vcc, s56, v8
	s_and_saveexec_b64 s[48:49], vcc
	s_cbranch_execz .LBB439_15
; %bb.2:
	s_andn2_b64 vcc, exec, s[36:37]
	s_cbranch_vccnz .LBB439_23
; %bb.3:
	s_andn2_b64 vcc, exec, s[46:47]
	s_cbranch_vccnz .LBB439_75
; %bb.4:
	s_add_i32 s59, s57, 1
	s_cmp_eq_u32 s54, 2
	s_cbranch_scc1 .LBB439_77
; %bb.5:
	s_and_b32 s58, s59, 28
	s_mov_b32 s60, 0
	v_mov_b32_e32 v0, 0
	v_mov_b32_e32 v2, 0
	s_mov_b64 s[50:51], s[34:35]
	s_mov_b64 s[52:53], s[44:45]
	v_mov_b32_e32 v4, v8
.LBB439_6:                              ; =>This Inner Loop Header: Depth=1
	s_load_dwordx8 s[8:15], s[50:51], 0x4
	s_load_dwordx4 s[28:31], s[50:51], 0x24
	s_load_dwordx8 s[0:7], s[52:53], 0x0
	s_add_u32 s50, s50, 48
	s_addc_u32 s51, s51, 0
	s_waitcnt lgkmcnt(0)
	v_mul_hi_u32 v1, s9, v4
	v_add_u32_e32 v1, v4, v1
	v_lshrrev_b32_e32 v1, s10, v1
	v_mul_lo_u32 v3, v1, s8
	v_mul_hi_u32 v5, s12, v1
	v_sub_u32_e32 v3, v4, v3
	v_add_u32_e32 v4, v1, v5
	v_lshrrev_b32_e32 v4, s13, v4
	v_mul_lo_u32 v6, v4, s11
	v_mul_hi_u32 v7, s15, v4
	v_sub_u32_e32 v1, v1, v6
	v_add_u32_e32 v6, v4, v7
	v_mul_lo_u32 v5, v3, s1
	v_mul_lo_u32 v3, v3, s0
	;; [unrolled: 1-line block ×4, first 2 shown]
	v_lshrrev_b32_e32 v6, s28, v6
	v_add3_u32 v0, v3, v0, v1
	v_mul_hi_u32 v3, s30, v6
	v_add3_u32 v1, v5, v2, v7
	v_mul_lo_u32 v2, v6, s14
	v_add_u32_e32 v3, v6, v3
	v_sub_u32_e32 v2, v4, v2
	v_lshrrev_b32_e32 v4, s31, v3
	s_add_i32 s60, s60, 4
	v_mul_lo_u32 v3, v4, s29
	s_add_u32 s52, s52, 32
	v_sub_u32_e32 v3, v6, v3
	s_addc_u32 s53, s53, 0
	v_mul_lo_u32 v5, v2, s4
	v_mul_lo_u32 v2, v2, s5
	;; [unrolled: 1-line block ×4, first 2 shown]
	s_cmp_lg_u32 s58, s60
	v_add3_u32 v2, v2, v1, v3
	v_add3_u32 v0, v5, v0, v6
	s_cbranch_scc1 .LBB439_6
; %bb.7:
	v_mov_b32_e32 v1, v2
	s_branch .LBB439_78
.LBB439_8:
	s_andn2_saveexec_b64 s[0:1], s[38:39]
	s_cbranch_execz .LBB439_104
.LBB439_9:
	v_cndmask_b32_e64 v0, 0, 1, s[36:37]
	v_cmp_ne_u32_e64 s[0:1], 1, v0
	s_andn2_b64 vcc, exec, s[36:37]
	s_cbranch_vccnz .LBB439_22
; %bb.10:
	s_cmp_lg_u32 s33, 0
	s_waitcnt lgkmcnt(0)
	s_mov_b32 s26, 0
	s_cbranch_scc0 .LBB439_25
; %bb.11:
	s_min_u32 s27, s54, 15
	s_add_i32 s27, s27, 1
	s_cmp_eq_u32 s54, 2
	s_cbranch_scc1 .LBB439_26
; %bb.12:
	s_and_b32 s26, s27, 28
	s_add_u32 s2, s34, 0xc4
	s_addc_u32 s3, s35, 0
	s_mov_b32 s28, 0
	v_mov_b32_e32 v0, 0
	v_mov_b32_e32 v2, 0
	s_mov_b64 s[24:25], s[34:35]
	v_mov_b32_e32 v4, v8
.LBB439_13:                             ; =>This Inner Loop Header: Depth=1
	s_load_dwordx8 s[12:19], s[24:25], 0x4
	s_load_dwordx4 s[20:23], s[24:25], 0x24
	s_load_dwordx8 s[4:11], s[2:3], 0x0
	s_add_u32 s24, s24, 48
	s_addc_u32 s25, s25, 0
	s_waitcnt lgkmcnt(0)
	v_mul_hi_u32 v1, s13, v4
	v_add_u32_e32 v1, v4, v1
	v_lshrrev_b32_e32 v1, s14, v1
	v_mul_lo_u32 v3, v1, s12
	v_mul_hi_u32 v5, s16, v1
	v_sub_u32_e32 v3, v4, v3
	v_add_u32_e32 v4, v1, v5
	v_lshrrev_b32_e32 v4, s17, v4
	v_mul_lo_u32 v6, v4, s15
	v_mul_hi_u32 v7, s19, v4
	v_sub_u32_e32 v1, v1, v6
	v_add_u32_e32 v6, v4, v7
	v_mul_lo_u32 v5, v3, s5
	v_mul_lo_u32 v3, v3, s4
	;; [unrolled: 1-line block ×4, first 2 shown]
	v_lshrrev_b32_e32 v6, s20, v6
	v_add3_u32 v0, v3, v0, v1
	v_mul_hi_u32 v3, s22, v6
	v_add3_u32 v1, v5, v2, v7
	v_mul_lo_u32 v2, v6, s18
	v_add_u32_e32 v3, v6, v3
	v_sub_u32_e32 v2, v4, v2
	v_lshrrev_b32_e32 v4, s23, v3
	s_add_i32 s28, s28, 4
	v_mul_lo_u32 v3, v4, s21
	s_add_u32 s2, s2, 32
	v_sub_u32_e32 v3, v6, v3
	s_addc_u32 s3, s3, 0
	v_mul_lo_u32 v5, v2, s8
	v_mul_lo_u32 v2, v2, s9
	v_mul_lo_u32 v6, v3, s10
	v_mul_lo_u32 v3, v3, s11
	s_cmp_lg_u32 s26, s28
	v_add3_u32 v2, v2, v1, v3
	v_add3_u32 v0, v5, v0, v6
	s_cbranch_scc1 .LBB439_13
; %bb.14:
	v_mov_b32_e32 v1, v2
	s_and_b32 s6, s27, 3
	s_cmp_eq_u32 s6, 0
	s_cbranch_scc0 .LBB439_27
	s_branch .LBB439_29
.LBB439_15:
	s_or_b64 exec, exec, s[48:49]
	v_cmp_gt_i32_e32 vcc, s56, v8
	s_and_saveexec_b64 s[48:49], vcc
	s_cbranch_execz .LBB439_85
.LBB439_16:
	s_andn2_b64 vcc, exec, s[36:37]
	s_cbranch_vccnz .LBB439_24
; %bb.17:
	s_andn2_b64 vcc, exec, s[46:47]
	s_cbranch_vccnz .LBB439_76
; %bb.18:
	s_add_i32 s59, s57, 1
	s_cmp_eq_u32 s54, 2
	s_cbranch_scc1 .LBB439_94
; %bb.19:
	s_and_b32 s58, s59, 28
	s_mov_b32 s60, 0
	v_mov_b32_e32 v0, 0
	v_mov_b32_e32 v2, 0
	s_mov_b64 s[50:51], s[34:35]
	s_mov_b64 s[52:53], s[44:45]
	v_mov_b32_e32 v4, v8
.LBB439_20:                             ; =>This Inner Loop Header: Depth=1
	s_load_dwordx8 s[8:15], s[50:51], 0x4
	s_load_dwordx4 s[28:31], s[50:51], 0x24
	s_load_dwordx8 s[0:7], s[52:53], 0x0
	s_add_u32 s50, s50, 48
	s_addc_u32 s51, s51, 0
	s_waitcnt lgkmcnt(0)
	v_mul_hi_u32 v1, s9, v4
	v_add_u32_e32 v1, v4, v1
	v_lshrrev_b32_e32 v1, s10, v1
	v_mul_lo_u32 v3, v1, s8
	v_mul_hi_u32 v5, s12, v1
	v_sub_u32_e32 v3, v4, v3
	v_add_u32_e32 v4, v1, v5
	v_lshrrev_b32_e32 v4, s13, v4
	v_mul_lo_u32 v6, v4, s11
	v_mul_hi_u32 v7, s15, v4
	v_sub_u32_e32 v1, v1, v6
	v_add_u32_e32 v6, v4, v7
	v_mul_lo_u32 v5, v3, s1
	v_mul_lo_u32 v3, v3, s0
	;; [unrolled: 1-line block ×4, first 2 shown]
	v_lshrrev_b32_e32 v6, s28, v6
	v_add3_u32 v0, v3, v0, v1
	v_mul_hi_u32 v3, s30, v6
	v_add3_u32 v1, v5, v2, v7
	v_mul_lo_u32 v2, v6, s14
	v_add_u32_e32 v3, v6, v3
	v_sub_u32_e32 v2, v4, v2
	v_lshrrev_b32_e32 v4, s31, v3
	s_add_i32 s60, s60, 4
	v_mul_lo_u32 v3, v4, s29
	s_add_u32 s52, s52, 32
	v_sub_u32_e32 v3, v6, v3
	s_addc_u32 s53, s53, 0
	v_mul_lo_u32 v5, v2, s4
	v_mul_lo_u32 v2, v2, s5
	;; [unrolled: 1-line block ×4, first 2 shown]
	s_cmp_eq_u32 s58, s60
	v_add3_u32 v2, v2, v1, v3
	v_add3_u32 v0, v5, v0, v6
	s_cbranch_scc0 .LBB439_20
; %bb.21:
	v_mov_b32_e32 v1, v2
	s_branch .LBB439_95
.LBB439_22:
                                        ; implicit-def: $vgpr2
                                        ; implicit-def: $vgpr0
	s_branch .LBB439_30
.LBB439_23:
                                        ; implicit-def: $vgpr2
                                        ; implicit-def: $vgpr0
	s_branch .LBB439_82
.LBB439_24:
                                        ; implicit-def: $vgpr2
                                        ; implicit-def: $vgpr0
	s_branch .LBB439_99
.LBB439_25:
	v_mov_b32_e32 v2, 0
	v_mov_b32_e32 v0, 0
	s_branch .LBB439_29
.LBB439_26:
	v_mov_b32_e32 v0, 0
                                        ; implicit-def: $vgpr2
	v_mov_b32_e32 v1, v0
	v_mov_b32_e32 v4, v8
	s_and_b32 s6, s27, 3
	s_cmp_eq_u32 s6, 0
	s_cbranch_scc1 .LBB439_29
.LBB439_27:
	s_lshl_b32 s2, s26, 3
	s_add_u32 s2, s34, s2
	s_addc_u32 s3, s35, 0
	s_add_u32 s2, s2, 0xc4
	s_addc_u32 s3, s3, 0
	s_mul_i32 s4, s26, 12
	s_add_u32 s4, s34, s4
	s_addc_u32 s5, s35, 0
.LBB439_28:                             ; =>This Inner Loop Header: Depth=1
	s_load_dwordx2 s[8:9], s[4:5], 0x4
	s_load_dword s7, s[4:5], 0xc
	s_load_dwordx2 s[10:11], s[2:3], 0x0
	v_mov_b32_e32 v2, v1
	s_add_u32 s4, s4, 12
	s_waitcnt lgkmcnt(0)
	v_mul_hi_u32 v1, s9, v4
	v_add_u32_e32 v1, v4, v1
	v_lshrrev_b32_e32 v1, s7, v1
	s_addc_u32 s5, s5, 0
	v_mul_lo_u32 v3, v1, s8
	s_add_u32 s2, s2, 8
	v_sub_u32_e32 v5, v4, v3
	s_addc_u32 s3, s3, 0
	s_add_i32 s6, s6, -1
	v_mov_b32_e32 v4, v1
	v_mad_u64_u32 v[2:3], s[8:9], v5, s11, v[2:3]
	v_mad_u64_u32 v[0:1], s[8:9], v5, s10, v[0:1]
	s_cmp_lg_u32 s6, 0
	v_mov_b32_e32 v1, v2
	s_cbranch_scc1 .LBB439_28
.LBB439_29:
	s_cbranch_execnz .LBB439_32
.LBB439_30:
	s_load_dwordx4 s[4:7], s[34:35], 0x4
	s_load_dwordx2 s[2:3], s[34:35], 0xc4
	s_cmp_lt_u32 s33, 2
	s_waitcnt lgkmcnt(0)
	v_mul_hi_u32 v0, s5, v8
	v_add_u32_e32 v0, v8, v0
	v_lshrrev_b32_e32 v1, s6, v0
	v_mul_lo_u32 v0, v1, s4
	v_sub_u32_e32 v0, v8, v0
	v_mul_lo_u32 v2, v0, s3
	v_mul_lo_u32 v0, v0, s2
	s_cbranch_scc1 .LBB439_32
; %bb.31:
	s_load_dwordx4 s[4:7], s[34:35], 0x10
	s_load_dwordx2 s[2:3], s[34:35], 0xcc
	s_waitcnt lgkmcnt(0)
	v_mul_hi_u32 v3, s5, v1
	v_add_u32_e32 v3, v1, v3
	v_lshrrev_b32_e32 v3, s6, v3
	v_mul_lo_u32 v3, v3, s4
	v_sub_u32_e32 v3, v1, v3
	v_mad_u64_u32 v[0:1], s[4:5], v3, s2, v[0:1]
	v_mad_u64_u32 v[2:3], s[2:3], v3, s3, v[2:3]
.LBB439_32:
	s_and_b64 vcc, exec, s[0:1]
	v_add_u32_e32 v3, 0x80, v8
	s_cbranch_vccnz .LBB439_38
; %bb.33:
	s_cmp_lg_u32 s33, 0
	s_waitcnt lgkmcnt(0)
	s_mov_b32 s26, 0
	s_cbranch_scc0 .LBB439_39
; %bb.34:
	s_min_u32 s27, s54, 15
	s_add_i32 s27, s27, 1
	s_cmp_eq_u32 s54, 2
	s_cbranch_scc1 .LBB439_40
; %bb.35:
	s_and_b32 s26, s27, 28
	s_add_u32 s2, s34, 0xc4
	s_addc_u32 s3, s35, 0
	s_mov_b32 s28, 0
	v_mov_b32_e32 v4, 0
	v_mov_b32_e32 v6, 0
	s_mov_b64 s[24:25], s[34:35]
	v_mov_b32_e32 v9, v3
.LBB439_36:                             ; =>This Inner Loop Header: Depth=1
	s_load_dwordx8 s[12:19], s[24:25], 0x4
	s_load_dwordx4 s[20:23], s[24:25], 0x24
	s_load_dwordx8 s[4:11], s[2:3], 0x0
	s_add_u32 s24, s24, 48
	s_addc_u32 s25, s25, 0
	s_waitcnt lgkmcnt(0)
	v_mul_hi_u32 v1, s13, v9
	v_add_u32_e32 v1, v9, v1
	v_lshrrev_b32_e32 v1, s14, v1
	v_mul_hi_u32 v7, s16, v1
	v_add_u32_e32 v7, v1, v7
	v_lshrrev_b32_e32 v7, s17, v7
	v_mul_lo_u32 v5, v1, s12
	v_mul_lo_u32 v10, v7, s15
	v_mul_hi_u32 v11, s19, v7
	v_sub_u32_e32 v5, v9, v5
	v_sub_u32_e32 v1, v1, v10
	v_add_u32_e32 v10, v7, v11
	v_mul_lo_u32 v9, v5, s5
	v_mul_lo_u32 v5, v5, s4
	;; [unrolled: 1-line block ×4, first 2 shown]
	v_lshrrev_b32_e32 v10, s20, v10
	v_add3_u32 v1, v5, v4, v1
	v_add3_u32 v4, v9, v6, v11
	v_mul_hi_u32 v6, s22, v10
	v_add_u32_e32 v6, v10, v6
	v_lshrrev_b32_e32 v9, s23, v6
	s_add_i32 s28, s28, 4
	v_mul_lo_u32 v5, v10, s18
	v_mul_lo_u32 v6, v9, s21
	s_add_u32 s2, s2, 32
	v_sub_u32_e32 v5, v7, v5
	v_sub_u32_e32 v6, v10, v6
	s_addc_u32 s3, s3, 0
	v_mul_lo_u32 v7, v5, s8
	v_mul_lo_u32 v5, v5, s9
	;; [unrolled: 1-line block ×4, first 2 shown]
	s_cmp_lg_u32 s26, s28
	v_add3_u32 v6, v5, v4, v6
	v_add3_u32 v4, v7, v1, v10
	s_cbranch_scc1 .LBB439_36
; %bb.37:
	v_mov_b32_e32 v1, v6
	s_and_b32 s6, s27, 3
	s_cmp_eq_u32 s6, 0
	s_cbranch_scc0 .LBB439_41
	s_branch .LBB439_43
.LBB439_38:
                                        ; implicit-def: $vgpr6
                                        ; implicit-def: $vgpr4
	s_branch .LBB439_44
.LBB439_39:
	v_mov_b32_e32 v6, 0
	v_mov_b32_e32 v4, 0
	s_branch .LBB439_43
.LBB439_40:
	v_mov_b32_e32 v4, 0
                                        ; implicit-def: $vgpr6
	v_mov_b32_e32 v1, v4
	v_mov_b32_e32 v9, v3
	s_and_b32 s6, s27, 3
	s_cmp_eq_u32 s6, 0
	s_cbranch_scc1 .LBB439_43
.LBB439_41:
	s_lshl_b32 s2, s26, 3
	s_add_u32 s2, s34, s2
	s_addc_u32 s3, s35, 0
	s_add_u32 s2, s2, 0xc4
	s_addc_u32 s3, s3, 0
	s_mul_i32 s4, s26, 12
	s_add_u32 s4, s34, s4
	s_addc_u32 s5, s35, 0
.LBB439_42:                             ; =>This Inner Loop Header: Depth=1
	s_load_dwordx2 s[8:9], s[4:5], 0x4
	s_load_dword s7, s[4:5], 0xc
	s_load_dwordx2 s[10:11], s[2:3], 0x0
	v_mov_b32_e32 v6, v1
	s_add_u32 s4, s4, 12
	s_waitcnt lgkmcnt(0)
	v_mul_hi_u32 v1, s9, v9
	v_add_u32_e32 v1, v9, v1
	v_lshrrev_b32_e32 v1, s7, v1
	s_addc_u32 s5, s5, 0
	v_mul_lo_u32 v5, v1, s8
	s_add_u32 s2, s2, 8
	v_sub_u32_e32 v5, v9, v5
	s_addc_u32 s3, s3, 0
	s_add_i32 s6, s6, -1
	v_mad_u64_u32 v[6:7], s[8:9], v5, s11, v[6:7]
	s_cmp_lg_u32 s6, 0
	v_mov_b32_e32 v9, v1
	v_mad_u64_u32 v[4:5], s[8:9], v5, s10, v[4:5]
	v_mov_b32_e32 v1, v6
	s_cbranch_scc1 .LBB439_42
.LBB439_43:
	s_cbranch_execnz .LBB439_46
.LBB439_44:
	s_load_dwordx4 s[4:7], s[34:35], 0x4
	s_load_dwordx2 s[2:3], s[34:35], 0xc4
	s_cmp_lt_u32 s33, 2
	s_waitcnt lgkmcnt(0)
	v_mul_hi_u32 v1, s5, v3
	v_add_u32_e32 v1, v3, v1
	v_lshrrev_b32_e32 v1, s6, v1
	v_mul_lo_u32 v4, v1, s4
	v_sub_u32_e32 v3, v3, v4
	v_mul_lo_u32 v6, v3, s3
	v_mul_lo_u32 v4, v3, s2
	s_cbranch_scc1 .LBB439_46
; %bb.45:
	s_load_dwordx4 s[4:7], s[34:35], 0x10
	s_load_dwordx2 s[2:3], s[34:35], 0xcc
	s_waitcnt lgkmcnt(0)
	v_mul_hi_u32 v3, s5, v1
	v_add_u32_e32 v3, v1, v3
	v_lshrrev_b32_e32 v3, s6, v3
	v_mul_lo_u32 v3, v3, s4
	v_sub_u32_e32 v1, v1, v3
	v_mad_u64_u32 v[4:5], s[4:5], v1, s2, v[4:5]
	v_mad_u64_u32 v[6:7], s[2:3], v1, s3, v[6:7]
.LBB439_46:
	s_and_b64 vcc, exec, s[0:1]
	v_add_u32_e32 v3, 0x100, v8
	s_cbranch_vccnz .LBB439_52
; %bb.47:
	s_cmp_lg_u32 s33, 0
	s_waitcnt lgkmcnt(0)
	s_mov_b32 s26, 0
	s_cbranch_scc0 .LBB439_53
; %bb.48:
	s_min_u32 s27, s54, 15
	s_add_i32 s27, s27, 1
	s_cmp_eq_u32 s54, 2
	s_cbranch_scc1 .LBB439_54
; %bb.49:
	s_and_b32 s26, s27, 28
	s_add_u32 s2, s34, 0xc4
	s_addc_u32 s3, s35, 0
	s_mov_b32 s28, 0
	v_mov_b32_e32 v8, 0
	v_mov_b32_e32 v10, 0
	s_mov_b64 s[24:25], s[34:35]
	v_mov_b32_e32 v5, v3
.LBB439_50:                             ; =>This Inner Loop Header: Depth=1
	s_load_dwordx8 s[12:19], s[24:25], 0x4
	s_load_dwordx4 s[20:23], s[24:25], 0x24
	s_load_dwordx8 s[4:11], s[2:3], 0x0
	s_add_u32 s24, s24, 48
	s_addc_u32 s25, s25, 0
	s_waitcnt lgkmcnt(0)
	v_mul_hi_u32 v1, s13, v5
	v_add_u32_e32 v1, v5, v1
	v_lshrrev_b32_e32 v1, s14, v1
	v_mul_lo_u32 v7, v1, s12
	v_mul_hi_u32 v9, s16, v1
	v_sub_u32_e32 v5, v5, v7
	v_add_u32_e32 v7, v1, v9
	v_lshrrev_b32_e32 v7, s17, v7
	v_mul_lo_u32 v11, v7, s15
	v_mul_hi_u32 v12, s19, v7
	v_sub_u32_e32 v1, v1, v11
	v_add_u32_e32 v11, v7, v12
	v_mul_lo_u32 v9, v5, s5
	v_mul_lo_u32 v5, v5, s4
	;; [unrolled: 1-line block ×4, first 2 shown]
	v_lshrrev_b32_e32 v11, s20, v11
	v_add3_u32 v1, v5, v8, v1
	v_add3_u32 v8, v9, v10, v12
	v_mul_lo_u32 v5, v11, s18
	v_mul_hi_u32 v9, s22, v11
	v_sub_u32_e32 v5, v7, v5
	v_add_u32_e32 v7, v11, v9
	v_mul_lo_u32 v9, v5, s8
	v_mul_lo_u32 v10, v5, s9
	v_lshrrev_b32_e32 v5, s23, v7
	s_add_i32 s28, s28, 4
	v_mul_lo_u32 v7, v5, s21
	s_add_u32 s2, s2, 32
	v_sub_u32_e32 v7, v11, v7
	s_addc_u32 s3, s3, 0
	v_mul_lo_u32 v11, v7, s10
	v_mul_lo_u32 v7, v7, s11
	s_cmp_lg_u32 s26, s28
	v_add3_u32 v10, v10, v8, v7
	v_add3_u32 v8, v9, v1, v11
	s_cbranch_scc1 .LBB439_50
; %bb.51:
	v_mov_b32_e32 v1, v10
	s_and_b32 s6, s27, 3
	s_cmp_eq_u32 s6, 0
	s_cbranch_scc0 .LBB439_55
	s_branch .LBB439_57
.LBB439_52:
                                        ; implicit-def: $vgpr10
                                        ; implicit-def: $vgpr8
	s_branch .LBB439_58
.LBB439_53:
	v_mov_b32_e32 v10, 0
	v_mov_b32_e32 v8, 0
	s_branch .LBB439_57
.LBB439_54:
	v_mov_b32_e32 v8, 0
                                        ; implicit-def: $vgpr10
	v_mov_b32_e32 v1, v8
	v_mov_b32_e32 v5, v3
	s_and_b32 s6, s27, 3
	s_cmp_eq_u32 s6, 0
	s_cbranch_scc1 .LBB439_57
.LBB439_55:
	s_lshl_b32 s2, s26, 3
	s_add_u32 s2, s34, s2
	s_addc_u32 s3, s35, 0
	s_add_u32 s2, s2, 0xc4
	s_addc_u32 s3, s3, 0
	s_mul_i32 s4, s26, 12
	s_add_u32 s4, s34, s4
	s_addc_u32 s5, s35, 0
.LBB439_56:                             ; =>This Inner Loop Header: Depth=1
	s_load_dwordx2 s[8:9], s[4:5], 0x4
	s_load_dword s7, s[4:5], 0xc
	s_load_dwordx2 s[10:11], s[2:3], 0x0
	v_mov_b32_e32 v10, v1
	s_add_u32 s4, s4, 12
	s_waitcnt lgkmcnt(0)
	v_mul_hi_u32 v1, s9, v5
	v_add_u32_e32 v1, v5, v1
	v_lshrrev_b32_e32 v1, s7, v1
	s_addc_u32 s5, s5, 0
	v_mul_lo_u32 v7, v1, s8
	s_add_u32 s2, s2, 8
	v_sub_u32_e32 v7, v5, v7
	s_addc_u32 s3, s3, 0
	s_add_i32 s6, s6, -1
	v_mad_u64_u32 v[10:11], s[8:9], v7, s11, v[10:11]
	s_cmp_lg_u32 s6, 0
	v_mov_b32_e32 v5, v1
	v_mad_u64_u32 v[8:9], s[8:9], v7, s10, v[8:9]
	v_mov_b32_e32 v1, v10
	s_cbranch_scc1 .LBB439_56
.LBB439_57:
	s_cbranch_execnz .LBB439_60
.LBB439_58:
	s_load_dwordx4 s[4:7], s[34:35], 0x4
	s_load_dwordx2 s[2:3], s[34:35], 0xc4
	s_cmp_lt_u32 s33, 2
	s_waitcnt lgkmcnt(0)
	v_mul_hi_u32 v1, s5, v3
	v_add_u32_e32 v1, v3, v1
	v_lshrrev_b32_e32 v1, s6, v1
	v_mul_lo_u32 v5, v1, s4
	v_sub_u32_e32 v3, v3, v5
	v_mul_lo_u32 v10, v3, s3
	v_mul_lo_u32 v8, v3, s2
	s_cbranch_scc1 .LBB439_60
; %bb.59:
	s_load_dwordx4 s[4:7], s[34:35], 0x10
	s_load_dwordx2 s[2:3], s[34:35], 0xcc
	s_waitcnt lgkmcnt(0)
	v_mul_hi_u32 v3, s5, v1
	v_add_u32_e32 v3, v1, v3
	v_lshrrev_b32_e32 v3, s6, v3
	v_mul_lo_u32 v3, v3, s4
	v_sub_u32_e32 v1, v1, v3
	v_mad_u64_u32 v[8:9], s[4:5], v1, s2, v[8:9]
	v_mad_u64_u32 v[10:11], s[2:3], v1, s3, v[10:11]
.LBB439_60:
	s_and_b64 vcc, exec, s[0:1]
	s_cbranch_vccnz .LBB439_66
; %bb.61:
	s_cmp_lg_u32 s33, 0
	s_waitcnt lgkmcnt(0)
	s_mov_b32 s24, 0
	s_cbranch_scc0 .LBB439_67
; %bb.62:
	s_min_u32 s25, s54, 15
	s_add_i32 s25, s25, 1
	s_cmp_eq_u32 s54, 2
	s_cbranch_scc1 .LBB439_68
; %bb.63:
	s_and_b32 s24, s25, 28
	s_add_u32 s20, s34, 0xc4
	s_addc_u32 s21, s35, 0
	s_mov_b32 s26, 0
	v_mov_b32_e32 v12, 0
	v_mov_b32_e32 v14, 0
	s_mov_b64 s[22:23], s[34:35]
	v_mov_b32_e32 v3, v16
.LBB439_64:                             ; =>This Inner Loop Header: Depth=1
	s_load_dwordx8 s[8:15], s[22:23], 0x4
	s_load_dwordx4 s[16:19], s[22:23], 0x24
	s_load_dwordx8 s[0:7], s[20:21], 0x0
	s_add_u32 s22, s22, 48
	s_addc_u32 s23, s23, 0
	s_waitcnt lgkmcnt(0)
	v_mul_hi_u32 v1, s9, v3
	v_add_u32_e32 v1, v3, v1
	v_lshrrev_b32_e32 v1, s10, v1
	v_mul_lo_u32 v5, v1, s8
	v_mul_hi_u32 v7, s12, v1
	v_sub_u32_e32 v3, v3, v5
	v_add_u32_e32 v5, v1, v7
	v_lshrrev_b32_e32 v5, s13, v5
	v_mul_lo_u32 v9, v5, s11
	v_mul_hi_u32 v11, s15, v5
	v_sub_u32_e32 v1, v1, v9
	v_add_u32_e32 v9, v5, v11
	v_mul_lo_u32 v7, v3, s1
	v_mul_lo_u32 v3, v3, s0
	;; [unrolled: 1-line block ×4, first 2 shown]
	v_lshrrev_b32_e32 v9, s16, v9
	v_add3_u32 v1, v3, v12, v1
	v_add3_u32 v7, v7, v14, v11
	v_mul_lo_u32 v3, v9, s14
	v_mul_hi_u32 v11, s18, v9
	v_sub_u32_e32 v3, v5, v3
	v_add_u32_e32 v5, v9, v11
	v_mul_lo_u32 v11, v3, s4
	v_mul_lo_u32 v12, v3, s5
	v_lshrrev_b32_e32 v3, s19, v5
	s_add_i32 s26, s26, 4
	v_mul_lo_u32 v5, v3, s17
	s_add_u32 s20, s20, 32
	v_sub_u32_e32 v5, v9, v5
	s_addc_u32 s21, s21, 0
	v_mul_lo_u32 v9, v5, s6
	v_mul_lo_u32 v5, v5, s7
	s_cmp_lg_u32 s24, s26
	v_add3_u32 v14, v12, v7, v5
	v_add3_u32 v12, v11, v1, v9
	s_cbranch_scc1 .LBB439_64
; %bb.65:
	v_mov_b32_e32 v1, v14
	s_and_b32 s4, s25, 3
	s_cmp_eq_u32 s4, 0
	s_cbranch_scc0 .LBB439_69
	s_branch .LBB439_71
.LBB439_66:
                                        ; implicit-def: $vgpr14
                                        ; implicit-def: $vgpr12
	s_branch .LBB439_72
.LBB439_67:
	v_mov_b32_e32 v14, 0
	v_mov_b32_e32 v12, 0
	s_branch .LBB439_71
.LBB439_68:
	v_mov_b32_e32 v12, 0
                                        ; implicit-def: $vgpr14
	v_mov_b32_e32 v1, v12
	v_mov_b32_e32 v3, v16
	s_and_b32 s4, s25, 3
	s_cmp_eq_u32 s4, 0
	s_cbranch_scc1 .LBB439_71
.LBB439_69:
	s_lshl_b32 s0, s24, 3
	s_add_u32 s0, s34, s0
	s_addc_u32 s1, s35, 0
	s_add_u32 s0, s0, 0xc4
	s_addc_u32 s1, s1, 0
	s_mul_i32 s2, s24, 12
	s_add_u32 s2, s34, s2
	s_addc_u32 s3, s35, 0
.LBB439_70:                             ; =>This Inner Loop Header: Depth=1
	s_load_dwordx2 s[6:7], s[2:3], 0x4
	s_load_dword s5, s[2:3], 0xc
	s_load_dwordx2 s[8:9], s[0:1], 0x0
	v_mov_b32_e32 v14, v1
	s_add_u32 s2, s2, 12
	s_waitcnt lgkmcnt(0)
	v_mul_hi_u32 v1, s7, v3
	v_add_u32_e32 v1, v3, v1
	v_lshrrev_b32_e32 v1, s5, v1
	s_addc_u32 s3, s3, 0
	v_mul_lo_u32 v5, v1, s6
	s_add_u32 s0, s0, 8
	v_sub_u32_e32 v5, v3, v5
	s_addc_u32 s1, s1, 0
	s_add_i32 s4, s4, -1
	v_mad_u64_u32 v[14:15], s[6:7], v5, s9, v[14:15]
	s_cmp_lg_u32 s4, 0
	v_mov_b32_e32 v3, v1
	v_mad_u64_u32 v[12:13], s[6:7], v5, s8, v[12:13]
	v_mov_b32_e32 v1, v14
	s_cbranch_scc1 .LBB439_70
.LBB439_71:
	s_cbranch_execnz .LBB439_74
.LBB439_72:
	s_load_dwordx4 s[0:3], s[34:35], 0x4
	s_load_dwordx2 s[4:5], s[34:35], 0xc4
	s_cmp_lt_u32 s33, 2
	s_waitcnt lgkmcnt(0)
	v_mul_hi_u32 v1, s1, v16
	v_add_u32_e32 v1, v16, v1
	v_lshrrev_b32_e32 v1, s2, v1
	v_mul_lo_u32 v3, v1, s0
	v_sub_u32_e32 v3, v16, v3
	v_mul_lo_u32 v14, v3, s5
	v_mul_lo_u32 v12, v3, s4
	s_cbranch_scc1 .LBB439_74
; %bb.73:
	s_load_dwordx4 s[0:3], s[34:35], 0x10
	s_load_dwordx2 s[4:5], s[34:35], 0xcc
	s_waitcnt lgkmcnt(0)
	v_mul_hi_u32 v3, s1, v1
	v_add_u32_e32 v3, v1, v3
	v_lshrrev_b32_e32 v3, s2, v3
	v_mul_lo_u32 v3, v3, s0
	v_sub_u32_e32 v1, v1, v3
	v_mad_u64_u32 v[12:13], s[0:1], v1, s4, v[12:13]
	v_mad_u64_u32 v[14:15], s[0:1], v1, s5, v[14:15]
.LBB439_74:
	s_load_dwordx4 s[0:3], s[34:35], 0x148
	s_load_dword s4, s[34:35], 0x158
	s_waitcnt lgkmcnt(0)
	global_load_dword v1, v2, s[2:3]
	global_load_dword v3, v6, s[2:3]
	;; [unrolled: 1-line block ×4, first 2 shown]
	s_waitcnt vmcnt(3)
	v_min_i32_e32 v1, s4, v1
	s_waitcnt vmcnt(2)
	v_min_i32_e32 v2, s4, v3
	;; [unrolled: 2-line block ×4, first 2 shown]
	global_store_dword v0, v1, s[0:1]
	global_store_dword v4, v2, s[0:1]
	;; [unrolled: 1-line block ×4, first 2 shown]
	s_endpgm
.LBB439_75:
	v_mov_b32_e32 v2, 0
	v_mov_b32_e32 v0, 0
	s_branch .LBB439_81
.LBB439_76:
	v_mov_b32_e32 v2, 0
	v_mov_b32_e32 v0, 0
	s_branch .LBB439_98
.LBB439_77:
	v_mov_b32_e32 v0, 0
	s_mov_b32 s58, 0
	v_mov_b32_e32 v1, v0
                                        ; implicit-def: $vgpr2
	v_mov_b32_e32 v4, v8
.LBB439_78:
	s_and_b32 s4, s59, 3
	s_cmp_eq_u32 s4, 0
	s_cbranch_scc1 .LBB439_81
; %bb.79:
	s_lshl_b32 s0, s58, 3
	s_add_u32 s0, s34, s0
	s_addc_u32 s1, s35, 0
	s_add_u32 s0, s0, 0xc4
	s_addc_u32 s1, s1, 0
	s_mul_i32 s2, s58, 12
	s_add_u32 s2, s34, s2
	s_addc_u32 s3, s35, 0
.LBB439_80:                             ; =>This Inner Loop Header: Depth=1
	s_load_dwordx2 s[6:7], s[2:3], 0x4
	s_load_dword s5, s[2:3], 0xc
	s_load_dwordx2 s[8:9], s[0:1], 0x0
	v_mov_b32_e32 v2, v1
	s_add_u32 s2, s2, 12
	s_waitcnt lgkmcnt(0)
	v_mul_hi_u32 v1, s7, v4
	v_add_u32_e32 v1, v4, v1
	v_lshrrev_b32_e32 v1, s5, v1
	s_addc_u32 s3, s3, 0
	v_mul_lo_u32 v3, v1, s6
	s_add_u32 s0, s0, 8
	v_sub_u32_e32 v5, v4, v3
	s_addc_u32 s1, s1, 0
	s_add_i32 s4, s4, -1
	v_mov_b32_e32 v4, v1
	v_mad_u64_u32 v[2:3], s[6:7], v5, s9, v[2:3]
	v_mad_u64_u32 v[0:1], s[6:7], v5, s8, v[0:1]
	s_cmp_lg_u32 s4, 0
	v_mov_b32_e32 v1, v2
	s_cbranch_scc1 .LBB439_80
.LBB439_81:
	s_cbranch_execnz .LBB439_84
.LBB439_82:
	s_waitcnt lgkmcnt(0)
	v_mul_hi_u32 v0, s25, v8
	v_add_u32_e32 v0, v8, v0
	v_lshrrev_b32_e32 v1, s26, v0
	v_mul_lo_u32 v0, v1, s24
	v_sub_u32_e32 v0, v8, v0
	v_mul_lo_u32 v2, v0, s21
	s_andn2_b64 vcc, exec, s[42:43]
	v_mul_lo_u32 v0, v0, s20
	s_cbranch_vccnz .LBB439_84
; %bb.83:
	v_mul_hi_u32 v3, s40, v1
	v_add_u32_e32 v3, v1, v3
	v_lshrrev_b32_e32 v3, s41, v3
	v_mul_lo_u32 v3, v3, s27
	v_sub_u32_e32 v3, v1, v3
	v_mad_u64_u32 v[0:1], s[0:1], v3, s22, v[0:1]
	v_mad_u64_u32 v[2:3], s[0:1], v3, s23, v[2:3]
.LBB439_84:
	s_waitcnt lgkmcnt(0)
	global_load_dword v1, v2, s[18:19]
	v_add_u32_e32 v8, 0x80, v8
	s_waitcnt vmcnt(0)
	v_min_i32_e32 v1, s55, v1
	global_store_dword v0, v1, s[16:17]
	s_or_b64 exec, exec, s[48:49]
	v_cmp_gt_i32_e32 vcc, s56, v8
	s_and_saveexec_b64 s[48:49], vcc
	s_cbranch_execnz .LBB439_16
.LBB439_85:
	s_or_b64 exec, exec, s[48:49]
	v_cmp_gt_i32_e32 vcc, s56, v8
	s_and_saveexec_b64 s[48:49], vcc
	s_cbranch_execz .LBB439_102
.LBB439_86:
	s_andn2_b64 vcc, exec, s[36:37]
	s_cbranch_vccnz .LBB439_92
; %bb.87:
	s_andn2_b64 vcc, exec, s[46:47]
	s_cbranch_vccnz .LBB439_93
; %bb.88:
	s_add_i32 s59, s57, 1
	s_cmp_eq_u32 s54, 2
	s_cbranch_scc1 .LBB439_105
; %bb.89:
	s_and_b32 s58, s59, 28
	s_mov_b32 s60, 0
	v_mov_b32_e32 v0, 0
	v_mov_b32_e32 v2, 0
	s_mov_b64 s[50:51], s[34:35]
	s_mov_b64 s[52:53], s[44:45]
	v_mov_b32_e32 v4, v8
.LBB439_90:                             ; =>This Inner Loop Header: Depth=1
	s_load_dwordx8 s[8:15], s[50:51], 0x4
	s_load_dwordx4 s[28:31], s[50:51], 0x24
	s_load_dwordx8 s[0:7], s[52:53], 0x0
	s_add_u32 s50, s50, 48
	s_addc_u32 s51, s51, 0
	s_waitcnt lgkmcnt(0)
	v_mul_hi_u32 v1, s9, v4
	v_add_u32_e32 v1, v4, v1
	v_lshrrev_b32_e32 v1, s10, v1
	v_mul_lo_u32 v3, v1, s8
	v_mul_hi_u32 v5, s12, v1
	v_sub_u32_e32 v3, v4, v3
	v_add_u32_e32 v4, v1, v5
	v_lshrrev_b32_e32 v4, s13, v4
	v_mul_lo_u32 v6, v4, s11
	v_mul_hi_u32 v7, s15, v4
	v_sub_u32_e32 v1, v1, v6
	v_add_u32_e32 v6, v4, v7
	v_mul_lo_u32 v5, v3, s1
	v_mul_lo_u32 v3, v3, s0
	;; [unrolled: 1-line block ×4, first 2 shown]
	v_lshrrev_b32_e32 v6, s28, v6
	v_add3_u32 v0, v3, v0, v1
	v_mul_hi_u32 v3, s30, v6
	v_add3_u32 v1, v5, v2, v7
	v_mul_lo_u32 v2, v6, s14
	v_add_u32_e32 v3, v6, v3
	v_sub_u32_e32 v2, v4, v2
	v_lshrrev_b32_e32 v4, s31, v3
	s_add_i32 s60, s60, 4
	v_mul_lo_u32 v3, v4, s29
	s_add_u32 s52, s52, 32
	v_sub_u32_e32 v3, v6, v3
	s_addc_u32 s53, s53, 0
	v_mul_lo_u32 v5, v2, s4
	v_mul_lo_u32 v2, v2, s5
	;; [unrolled: 1-line block ×4, first 2 shown]
	s_cmp_eq_u32 s58, s60
	v_add3_u32 v2, v2, v1, v3
	v_add3_u32 v0, v5, v0, v6
	s_cbranch_scc0 .LBB439_90
; %bb.91:
	v_mov_b32_e32 v1, v2
	s_branch .LBB439_106
.LBB439_92:
                                        ; implicit-def: $vgpr2
                                        ; implicit-def: $vgpr0
	s_branch .LBB439_110
.LBB439_93:
	v_mov_b32_e32 v2, 0
	v_mov_b32_e32 v0, 0
	s_branch .LBB439_109
.LBB439_94:
	v_mov_b32_e32 v0, 0
	s_mov_b32 s58, 0
	v_mov_b32_e32 v1, v0
                                        ; implicit-def: $vgpr2
	v_mov_b32_e32 v4, v8
.LBB439_95:
	s_and_b32 s4, s59, 3
	s_cmp_eq_u32 s4, 0
	s_cbranch_scc1 .LBB439_98
; %bb.96:
	s_lshl_b32 s0, s58, 3
	s_add_u32 s0, s34, s0
	s_addc_u32 s1, s35, 0
	s_add_u32 s0, s0, 0xc4
	s_addc_u32 s1, s1, 0
	s_mul_i32 s2, s58, 12
	s_add_u32 s2, s34, s2
	s_addc_u32 s3, s35, 0
.LBB439_97:                             ; =>This Inner Loop Header: Depth=1
	s_load_dwordx2 s[6:7], s[2:3], 0x4
	s_load_dword s5, s[2:3], 0xc
	s_load_dwordx2 s[8:9], s[0:1], 0x0
	v_mov_b32_e32 v2, v1
	s_add_u32 s2, s2, 12
	s_waitcnt lgkmcnt(0)
	v_mul_hi_u32 v1, s7, v4
	v_add_u32_e32 v1, v4, v1
	v_lshrrev_b32_e32 v1, s5, v1
	s_addc_u32 s3, s3, 0
	v_mul_lo_u32 v3, v1, s6
	s_add_u32 s0, s0, 8
	v_sub_u32_e32 v5, v4, v3
	s_addc_u32 s1, s1, 0
	s_add_i32 s4, s4, -1
	v_mov_b32_e32 v4, v1
	v_mad_u64_u32 v[2:3], s[6:7], v5, s9, v[2:3]
	v_mad_u64_u32 v[0:1], s[6:7], v5, s8, v[0:1]
	s_cmp_lg_u32 s4, 0
	v_mov_b32_e32 v1, v2
	s_cbranch_scc1 .LBB439_97
.LBB439_98:
	s_cbranch_execnz .LBB439_101
.LBB439_99:
	s_waitcnt lgkmcnt(0)
	v_mul_hi_u32 v0, s25, v8
	v_add_u32_e32 v0, v8, v0
	v_lshrrev_b32_e32 v1, s26, v0
	v_mul_lo_u32 v0, v1, s24
	v_sub_u32_e32 v0, v8, v0
	v_mul_lo_u32 v2, v0, s21
	s_andn2_b64 vcc, exec, s[42:43]
	v_mul_lo_u32 v0, v0, s20
	s_cbranch_vccnz .LBB439_101
; %bb.100:
	v_mul_hi_u32 v3, s40, v1
	v_add_u32_e32 v3, v1, v3
	v_lshrrev_b32_e32 v3, s41, v3
	v_mul_lo_u32 v3, v3, s27
	v_sub_u32_e32 v3, v1, v3
	v_mad_u64_u32 v[0:1], s[0:1], v3, s22, v[0:1]
	v_mad_u64_u32 v[2:3], s[0:1], v3, s23, v[2:3]
.LBB439_101:
	s_waitcnt lgkmcnt(0)
	global_load_dword v1, v2, s[18:19]
	v_add_u32_e32 v8, 0x80, v8
	s_waitcnt vmcnt(0)
	v_min_i32_e32 v1, s55, v1
	global_store_dword v0, v1, s[16:17]
	s_or_b64 exec, exec, s[48:49]
	v_cmp_gt_i32_e32 vcc, s56, v8
	s_and_saveexec_b64 s[48:49], vcc
	s_cbranch_execnz .LBB439_86
.LBB439_102:
	s_or_b64 exec, exec, s[48:49]
	v_cmp_gt_i32_e32 vcc, s56, v8
	s_and_saveexec_b64 s[48:49], vcc
	s_cbranch_execnz .LBB439_113
.LBB439_103:
	s_or_b64 exec, exec, s[48:49]
                                        ; implicit-def: $vgpr16
                                        ; implicit-def: $vgpr8
	s_andn2_saveexec_b64 s[0:1], s[38:39]
	s_cbranch_execnz .LBB439_9
.LBB439_104:
	s_endpgm
.LBB439_105:
	v_mov_b32_e32 v0, 0
	s_mov_b32 s58, 0
	v_mov_b32_e32 v1, v0
                                        ; implicit-def: $vgpr2
	v_mov_b32_e32 v4, v8
.LBB439_106:
	s_and_b32 s4, s59, 3
	s_cmp_eq_u32 s4, 0
	s_cbranch_scc1 .LBB439_109
; %bb.107:
	s_lshl_b32 s0, s58, 3
	s_add_u32 s0, s34, s0
	s_addc_u32 s1, s35, 0
	s_add_u32 s0, s0, 0xc4
	s_addc_u32 s1, s1, 0
	s_mul_i32 s2, s58, 12
	s_add_u32 s2, s34, s2
	s_addc_u32 s3, s35, 0
.LBB439_108:                            ; =>This Inner Loop Header: Depth=1
	s_load_dwordx2 s[6:7], s[2:3], 0x4
	s_load_dword s5, s[2:3], 0xc
	s_load_dwordx2 s[8:9], s[0:1], 0x0
	v_mov_b32_e32 v2, v1
	s_add_u32 s2, s2, 12
	s_waitcnt lgkmcnt(0)
	v_mul_hi_u32 v1, s7, v4
	v_add_u32_e32 v1, v4, v1
	v_lshrrev_b32_e32 v1, s5, v1
	s_addc_u32 s3, s3, 0
	v_mul_lo_u32 v3, v1, s6
	s_add_u32 s0, s0, 8
	v_sub_u32_e32 v5, v4, v3
	s_addc_u32 s1, s1, 0
	s_add_i32 s4, s4, -1
	v_mov_b32_e32 v4, v1
	v_mad_u64_u32 v[2:3], s[6:7], v5, s9, v[2:3]
	v_mad_u64_u32 v[0:1], s[6:7], v5, s8, v[0:1]
	s_cmp_lg_u32 s4, 0
	v_mov_b32_e32 v1, v2
	s_cbranch_scc1 .LBB439_108
.LBB439_109:
	s_cbranch_execnz .LBB439_112
.LBB439_110:
	s_waitcnt lgkmcnt(0)
	v_mul_hi_u32 v0, s25, v8
	v_add_u32_e32 v0, v8, v0
	v_lshrrev_b32_e32 v1, s26, v0
	v_mul_lo_u32 v0, v1, s24
	v_sub_u32_e32 v0, v8, v0
	v_mul_lo_u32 v2, v0, s21
	s_andn2_b64 vcc, exec, s[42:43]
	v_mul_lo_u32 v0, v0, s20
	s_cbranch_vccnz .LBB439_112
; %bb.111:
	v_mul_hi_u32 v3, s40, v1
	v_add_u32_e32 v3, v1, v3
	v_lshrrev_b32_e32 v3, s41, v3
	v_mul_lo_u32 v3, v3, s27
	v_sub_u32_e32 v3, v1, v3
	v_mad_u64_u32 v[0:1], s[0:1], v3, s22, v[0:1]
	v_mad_u64_u32 v[2:3], s[0:1], v3, s23, v[2:3]
.LBB439_112:
	s_waitcnt lgkmcnt(0)
	global_load_dword v1, v2, s[18:19]
	v_add_u32_e32 v8, 0x80, v8
	s_waitcnt vmcnt(0)
	v_min_i32_e32 v1, s55, v1
	global_store_dword v0, v1, s[16:17]
	s_or_b64 exec, exec, s[48:49]
	v_cmp_gt_i32_e32 vcc, s56, v8
	s_and_saveexec_b64 s[48:49], vcc
	s_cbranch_execz .LBB439_103
.LBB439_113:
	s_andn2_b64 vcc, exec, s[36:37]
	s_cbranch_vccnz .LBB439_119
; %bb.114:
	s_andn2_b64 vcc, exec, s[46:47]
	s_cbranch_vccnz .LBB439_120
; %bb.115:
	s_add_i32 s57, s57, 1
	s_cmp_eq_u32 s54, 2
	s_cbranch_scc1 .LBB439_121
; %bb.116:
	s_and_b32 s50, s57, 28
	s_mov_b32 s51, 0
	v_mov_b32_e32 v0, 0
	v_mov_b32_e32 v2, 0
	s_mov_b64 s[46:47], s[34:35]
	v_mov_b32_e32 v4, v8
.LBB439_117:                            ; =>This Inner Loop Header: Depth=1
	s_load_dwordx8 s[8:15], s[46:47], 0x4
	s_load_dwordx4 s[28:31], s[46:47], 0x24
	s_load_dwordx8 s[0:7], s[44:45], 0x0
	s_add_u32 s46, s46, 48
	s_addc_u32 s47, s47, 0
	s_waitcnt lgkmcnt(0)
	v_mul_hi_u32 v1, s9, v4
	v_add_u32_e32 v1, v4, v1
	v_lshrrev_b32_e32 v1, s10, v1
	v_mul_lo_u32 v3, v1, s8
	v_mul_hi_u32 v5, s12, v1
	v_sub_u32_e32 v3, v4, v3
	v_add_u32_e32 v4, v1, v5
	v_lshrrev_b32_e32 v4, s13, v4
	v_mul_lo_u32 v6, v4, s11
	v_mul_hi_u32 v7, s15, v4
	v_sub_u32_e32 v1, v1, v6
	v_add_u32_e32 v6, v4, v7
	v_mul_lo_u32 v5, v3, s1
	v_mul_lo_u32 v3, v3, s0
	;; [unrolled: 1-line block ×4, first 2 shown]
	v_lshrrev_b32_e32 v6, s28, v6
	v_add3_u32 v0, v3, v0, v1
	v_mul_hi_u32 v3, s30, v6
	v_add3_u32 v1, v5, v2, v7
	v_mul_lo_u32 v2, v6, s14
	v_add_u32_e32 v3, v6, v3
	v_sub_u32_e32 v2, v4, v2
	v_lshrrev_b32_e32 v4, s31, v3
	s_add_i32 s51, s51, 4
	v_mul_lo_u32 v3, v4, s29
	s_add_u32 s44, s44, 32
	v_sub_u32_e32 v3, v6, v3
	s_addc_u32 s45, s45, 0
	v_mul_lo_u32 v5, v2, s4
	v_mul_lo_u32 v2, v2, s5
	;; [unrolled: 1-line block ×4, first 2 shown]
	s_cmp_eq_u32 s50, s51
	v_add3_u32 v2, v2, v1, v3
	v_add3_u32 v0, v5, v0, v6
	s_cbranch_scc0 .LBB439_117
; %bb.118:
	v_mov_b32_e32 v1, v2
	s_branch .LBB439_122
.LBB439_119:
                                        ; implicit-def: $vgpr2
                                        ; implicit-def: $vgpr0
	s_branch .LBB439_126
.LBB439_120:
	v_mov_b32_e32 v2, 0
	v_mov_b32_e32 v0, 0
	s_branch .LBB439_125
.LBB439_121:
	v_mov_b32_e32 v0, 0
	s_mov_b32 s50, 0
	v_mov_b32_e32 v1, v0
                                        ; implicit-def: $vgpr2
	v_mov_b32_e32 v4, v8
.LBB439_122:
	s_and_b32 s4, s57, 3
	s_cmp_eq_u32 s4, 0
	s_cbranch_scc1 .LBB439_125
; %bb.123:
	s_lshl_b32 s0, s50, 3
	s_add_u32 s0, s34, s0
	s_addc_u32 s1, s35, 0
	s_add_u32 s0, s0, 0xc4
	s_addc_u32 s1, s1, 0
	s_mul_i32 s2, s50, 12
	s_add_u32 s2, s34, s2
	s_addc_u32 s3, s35, 0
.LBB439_124:                            ; =>This Inner Loop Header: Depth=1
	s_load_dwordx2 s[6:7], s[2:3], 0x4
	s_load_dword s5, s[2:3], 0xc
	s_load_dwordx2 s[8:9], s[0:1], 0x0
	v_mov_b32_e32 v2, v1
	s_add_u32 s2, s2, 12
	s_waitcnt lgkmcnt(0)
	v_mul_hi_u32 v1, s7, v4
	v_add_u32_e32 v1, v4, v1
	v_lshrrev_b32_e32 v1, s5, v1
	s_addc_u32 s3, s3, 0
	v_mul_lo_u32 v3, v1, s6
	s_add_u32 s0, s0, 8
	v_sub_u32_e32 v5, v4, v3
	s_addc_u32 s1, s1, 0
	s_add_i32 s4, s4, -1
	v_mov_b32_e32 v4, v1
	v_mad_u64_u32 v[2:3], s[6:7], v5, s9, v[2:3]
	v_mad_u64_u32 v[0:1], s[6:7], v5, s8, v[0:1]
	s_cmp_lg_u32 s4, 0
	v_mov_b32_e32 v1, v2
	s_cbranch_scc1 .LBB439_124
.LBB439_125:
	s_cbranch_execnz .LBB439_128
.LBB439_126:
	s_waitcnt lgkmcnt(0)
	v_mul_hi_u32 v0, s25, v8
	v_add_u32_e32 v0, v8, v0
	v_lshrrev_b32_e32 v1, s26, v0
	v_mul_lo_u32 v0, v1, s24
	v_sub_u32_e32 v0, v8, v0
	v_mul_lo_u32 v2, v0, s21
	s_andn2_b64 vcc, exec, s[42:43]
	v_mul_lo_u32 v0, v0, s20
	s_cbranch_vccnz .LBB439_128
; %bb.127:
	v_mul_hi_u32 v3, s40, v1
	v_add_u32_e32 v3, v1, v3
	v_lshrrev_b32_e32 v3, s41, v3
	v_mul_lo_u32 v3, v3, s27
	v_sub_u32_e32 v3, v1, v3
	v_mad_u64_u32 v[0:1], s[0:1], v3, s22, v[0:1]
	v_mad_u64_u32 v[2:3], s[0:1], v3, s23, v[2:3]
.LBB439_128:
	s_waitcnt lgkmcnt(0)
	global_load_dword v1, v2, s[18:19]
	s_waitcnt vmcnt(0)
	v_min_i32_e32 v1, s55, v1
	global_store_dword v0, v1, s[16:17]
	s_or_b64 exec, exec, s[48:49]
                                        ; implicit-def: $vgpr16
                                        ; implicit-def: $vgpr8
	s_andn2_saveexec_b64 s[0:1], s[38:39]
	s_cbranch_execz .LBB439_104
	s_branch .LBB439_9
	.section	.rodata,"a",@progbits
	.p2align	6, 0x0
	.amdhsa_kernel _ZN2at6native32elementwise_kernel_manual_unrollILi128ELi4EZNS0_22gpu_kernel_impl_nocastIZZZNS0_21clamp_max_kernel_cudaERNS_18TensorIteratorBaseERKN3c106ScalarEENKUlvE_clEvENKUlvE1_clEvEUliE_EEvS4_RKT_EUlibE_EEviT1_
		.amdhsa_group_segment_fixed_size 0
		.amdhsa_private_segment_fixed_size 0
		.amdhsa_kernarg_size 360
		.amdhsa_user_sgpr_count 2
		.amdhsa_user_sgpr_dispatch_ptr 0
		.amdhsa_user_sgpr_queue_ptr 0
		.amdhsa_user_sgpr_kernarg_segment_ptr 1
		.amdhsa_user_sgpr_dispatch_id 0
		.amdhsa_user_sgpr_kernarg_preload_length 0
		.amdhsa_user_sgpr_kernarg_preload_offset 0
		.amdhsa_user_sgpr_private_segment_size 0
		.amdhsa_uses_dynamic_stack 0
		.amdhsa_enable_private_segment 0
		.amdhsa_system_sgpr_workgroup_id_x 1
		.amdhsa_system_sgpr_workgroup_id_y 0
		.amdhsa_system_sgpr_workgroup_id_z 0
		.amdhsa_system_sgpr_workgroup_info 0
		.amdhsa_system_vgpr_workitem_id 0
		.amdhsa_next_free_vgpr 17
		.amdhsa_next_free_sgpr 61
		.amdhsa_accum_offset 20
		.amdhsa_reserve_vcc 1
		.amdhsa_float_round_mode_32 0
		.amdhsa_float_round_mode_16_64 0
		.amdhsa_float_denorm_mode_32 3
		.amdhsa_float_denorm_mode_16_64 3
		.amdhsa_dx10_clamp 1
		.amdhsa_ieee_mode 1
		.amdhsa_fp16_overflow 0
		.amdhsa_tg_split 0
		.amdhsa_exception_fp_ieee_invalid_op 0
		.amdhsa_exception_fp_denorm_src 0
		.amdhsa_exception_fp_ieee_div_zero 0
		.amdhsa_exception_fp_ieee_overflow 0
		.amdhsa_exception_fp_ieee_underflow 0
		.amdhsa_exception_fp_ieee_inexact 0
		.amdhsa_exception_int_div_zero 0
	.end_amdhsa_kernel
	.section	.text._ZN2at6native32elementwise_kernel_manual_unrollILi128ELi4EZNS0_22gpu_kernel_impl_nocastIZZZNS0_21clamp_max_kernel_cudaERNS_18TensorIteratorBaseERKN3c106ScalarEENKUlvE_clEvENKUlvE1_clEvEUliE_EEvS4_RKT_EUlibE_EEviT1_,"axG",@progbits,_ZN2at6native32elementwise_kernel_manual_unrollILi128ELi4EZNS0_22gpu_kernel_impl_nocastIZZZNS0_21clamp_max_kernel_cudaERNS_18TensorIteratorBaseERKN3c106ScalarEENKUlvE_clEvENKUlvE1_clEvEUliE_EEvS4_RKT_EUlibE_EEviT1_,comdat
.Lfunc_end439:
	.size	_ZN2at6native32elementwise_kernel_manual_unrollILi128ELi4EZNS0_22gpu_kernel_impl_nocastIZZZNS0_21clamp_max_kernel_cudaERNS_18TensorIteratorBaseERKN3c106ScalarEENKUlvE_clEvENKUlvE1_clEvEUliE_EEvS4_RKT_EUlibE_EEviT1_, .Lfunc_end439-_ZN2at6native32elementwise_kernel_manual_unrollILi128ELi4EZNS0_22gpu_kernel_impl_nocastIZZZNS0_21clamp_max_kernel_cudaERNS_18TensorIteratorBaseERKN3c106ScalarEENKUlvE_clEvENKUlvE1_clEvEUliE_EEvS4_RKT_EUlibE_EEviT1_
                                        ; -- End function
	.set _ZN2at6native32elementwise_kernel_manual_unrollILi128ELi4EZNS0_22gpu_kernel_impl_nocastIZZZNS0_21clamp_max_kernel_cudaERNS_18TensorIteratorBaseERKN3c106ScalarEENKUlvE_clEvENKUlvE1_clEvEUliE_EEvS4_RKT_EUlibE_EEviT1_.num_vgpr, 17
	.set _ZN2at6native32elementwise_kernel_manual_unrollILi128ELi4EZNS0_22gpu_kernel_impl_nocastIZZZNS0_21clamp_max_kernel_cudaERNS_18TensorIteratorBaseERKN3c106ScalarEENKUlvE_clEvENKUlvE1_clEvEUliE_EEvS4_RKT_EUlibE_EEviT1_.num_agpr, 0
	.set _ZN2at6native32elementwise_kernel_manual_unrollILi128ELi4EZNS0_22gpu_kernel_impl_nocastIZZZNS0_21clamp_max_kernel_cudaERNS_18TensorIteratorBaseERKN3c106ScalarEENKUlvE_clEvENKUlvE1_clEvEUliE_EEvS4_RKT_EUlibE_EEviT1_.numbered_sgpr, 61
	.set _ZN2at6native32elementwise_kernel_manual_unrollILi128ELi4EZNS0_22gpu_kernel_impl_nocastIZZZNS0_21clamp_max_kernel_cudaERNS_18TensorIteratorBaseERKN3c106ScalarEENKUlvE_clEvENKUlvE1_clEvEUliE_EEvS4_RKT_EUlibE_EEviT1_.num_named_barrier, 0
	.set _ZN2at6native32elementwise_kernel_manual_unrollILi128ELi4EZNS0_22gpu_kernel_impl_nocastIZZZNS0_21clamp_max_kernel_cudaERNS_18TensorIteratorBaseERKN3c106ScalarEENKUlvE_clEvENKUlvE1_clEvEUliE_EEvS4_RKT_EUlibE_EEviT1_.private_seg_size, 0
	.set _ZN2at6native32elementwise_kernel_manual_unrollILi128ELi4EZNS0_22gpu_kernel_impl_nocastIZZZNS0_21clamp_max_kernel_cudaERNS_18TensorIteratorBaseERKN3c106ScalarEENKUlvE_clEvENKUlvE1_clEvEUliE_EEvS4_RKT_EUlibE_EEviT1_.uses_vcc, 1
	.set _ZN2at6native32elementwise_kernel_manual_unrollILi128ELi4EZNS0_22gpu_kernel_impl_nocastIZZZNS0_21clamp_max_kernel_cudaERNS_18TensorIteratorBaseERKN3c106ScalarEENKUlvE_clEvENKUlvE1_clEvEUliE_EEvS4_RKT_EUlibE_EEviT1_.uses_flat_scratch, 0
	.set _ZN2at6native32elementwise_kernel_manual_unrollILi128ELi4EZNS0_22gpu_kernel_impl_nocastIZZZNS0_21clamp_max_kernel_cudaERNS_18TensorIteratorBaseERKN3c106ScalarEENKUlvE_clEvENKUlvE1_clEvEUliE_EEvS4_RKT_EUlibE_EEviT1_.has_dyn_sized_stack, 0
	.set _ZN2at6native32elementwise_kernel_manual_unrollILi128ELi4EZNS0_22gpu_kernel_impl_nocastIZZZNS0_21clamp_max_kernel_cudaERNS_18TensorIteratorBaseERKN3c106ScalarEENKUlvE_clEvENKUlvE1_clEvEUliE_EEvS4_RKT_EUlibE_EEviT1_.has_recursion, 0
	.set _ZN2at6native32elementwise_kernel_manual_unrollILi128ELi4EZNS0_22gpu_kernel_impl_nocastIZZZNS0_21clamp_max_kernel_cudaERNS_18TensorIteratorBaseERKN3c106ScalarEENKUlvE_clEvENKUlvE1_clEvEUliE_EEvS4_RKT_EUlibE_EEviT1_.has_indirect_call, 0
	.section	.AMDGPU.csdata,"",@progbits
; Kernel info:
; codeLenInByte = 5824
; TotalNumSgprs: 67
; NumVgprs: 17
; NumAgprs: 0
; TotalNumVgprs: 17
; ScratchSize: 0
; MemoryBound: 0
; FloatMode: 240
; IeeeMode: 1
; LDSByteSize: 0 bytes/workgroup (compile time only)
; SGPRBlocks: 8
; VGPRBlocks: 2
; NumSGPRsForWavesPerEU: 67
; NumVGPRsForWavesPerEU: 17
; AccumOffset: 20
; Occupancy: 8
; WaveLimiterHint : 1
; COMPUTE_PGM_RSRC2:SCRATCH_EN: 0
; COMPUTE_PGM_RSRC2:USER_SGPR: 2
; COMPUTE_PGM_RSRC2:TRAP_HANDLER: 0
; COMPUTE_PGM_RSRC2:TGID_X_EN: 1
; COMPUTE_PGM_RSRC2:TGID_Y_EN: 0
; COMPUTE_PGM_RSRC2:TGID_Z_EN: 0
; COMPUTE_PGM_RSRC2:TIDIG_COMP_CNT: 0
; COMPUTE_PGM_RSRC3_GFX90A:ACCUM_OFFSET: 4
; COMPUTE_PGM_RSRC3_GFX90A:TG_SPLIT: 0
	.section	.text._ZN2at6native32elementwise_kernel_manual_unrollILi128ELi4EZNS0_15gpu_kernel_implIZZZNS0_21clamp_max_kernel_cudaERNS_18TensorIteratorBaseERKN3c106ScalarEENKUlvE_clEvENKUlvE1_clEvEUliE_EEvS4_RKT_EUlibE_EEviT1_,"axG",@progbits,_ZN2at6native32elementwise_kernel_manual_unrollILi128ELi4EZNS0_15gpu_kernel_implIZZZNS0_21clamp_max_kernel_cudaERNS_18TensorIteratorBaseERKN3c106ScalarEENKUlvE_clEvENKUlvE1_clEvEUliE_EEvS4_RKT_EUlibE_EEviT1_,comdat
	.globl	_ZN2at6native32elementwise_kernel_manual_unrollILi128ELi4EZNS0_15gpu_kernel_implIZZZNS0_21clamp_max_kernel_cudaERNS_18TensorIteratorBaseERKN3c106ScalarEENKUlvE_clEvENKUlvE1_clEvEUliE_EEvS4_RKT_EUlibE_EEviT1_ ; -- Begin function _ZN2at6native32elementwise_kernel_manual_unrollILi128ELi4EZNS0_15gpu_kernel_implIZZZNS0_21clamp_max_kernel_cudaERNS_18TensorIteratorBaseERKN3c106ScalarEENKUlvE_clEvENKUlvE1_clEvEUliE_EEvS4_RKT_EUlibE_EEviT1_
	.p2align	8
	.type	_ZN2at6native32elementwise_kernel_manual_unrollILi128ELi4EZNS0_15gpu_kernel_implIZZZNS0_21clamp_max_kernel_cudaERNS_18TensorIteratorBaseERKN3c106ScalarEENKUlvE_clEvENKUlvE1_clEvEUliE_EEvS4_RKT_EUlibE_EEviT1_,@function
_ZN2at6native32elementwise_kernel_manual_unrollILi128ELi4EZNS0_15gpu_kernel_implIZZZNS0_21clamp_max_kernel_cudaERNS_18TensorIteratorBaseERKN3c106ScalarEENKUlvE_clEvENKUlvE1_clEvEUliE_EEvS4_RKT_EUlibE_EEviT1_: ; @_ZN2at6native32elementwise_kernel_manual_unrollILi128ELi4EZNS0_15gpu_kernel_implIZZZNS0_21clamp_max_kernel_cudaERNS_18TensorIteratorBaseERKN3c106ScalarEENKUlvE_clEvENKUlvE1_clEvEUliE_EEvS4_RKT_EUlibE_EEviT1_
; %bb.0:
	s_load_dword s33, s[0:1], 0x24
	s_load_dword s40, s[0:1], 0x0
	s_load_dwordx8 s[4:11], s[0:1], 0x8
	v_lshl_or_b32 v4, s2, 9, v0
	v_or_b32_e32 v0, 0x180, v4
	s_waitcnt lgkmcnt(0)
	s_bfe_u32 s11, s33, 0x80008
	v_cmp_le_i32_e32 vcc, s40, v0
	s_mov_b64 s[2:3], 0
	s_mov_b64 s[14:15], 0
	s_and_saveexec_b64 s[0:1], vcc
	s_xor_b64 s[12:13], exec, s[0:1]
	s_cbranch_execz .LBB440_1011
; %bb.1:
	v_cmp_gt_i32_e32 vcc, s40, v4
	s_mov_b64 s[20:21], -1
	s_mov_b64 s[22:23], 0
	s_mov_b64 s[16:17], 0
	s_and_saveexec_b64 s[18:19], vcc
	s_cbranch_execz .LBB440_248
; %bb.2:
	v_mul_lo_u32 v0, v4, s9
	v_ashrrev_i32_e32 v1, 31, v0
	s_and_b32 s20, 0xffff, s11
	s_cmp_lt_i32 s20, 11
	v_lshl_add_u64 v[0:1], s[6:7], 0, v[0:1]
	s_cbranch_scc1 .LBB440_9
; %bb.3:
	s_cmp_gt_i32 s20, 25
	s_cbranch_scc0 .LBB440_18
; %bb.4:
	s_cmp_gt_i32 s20, 28
	s_cbranch_scc0 .LBB440_22
; %bb.5:
	s_cmp_gt_i32 s20, 43
	s_cbranch_scc0 .LBB440_24
; %bb.6:
	s_cmp_gt_i32 s20, 45
	s_cbranch_scc0 .LBB440_26
; %bb.7:
	s_cmp_eq_u32 s20, 46
	s_cbranch_scc0 .LBB440_28
; %bb.8:
	global_load_dword v2, v[0:1], off
	s_mov_b64 s[0:1], -1
	s_waitcnt vmcnt(0)
	v_lshlrev_b32_e32 v2, 16, v2
	v_cvt_i32_f32_e32 v2, v2
	s_branch .LBB440_30
.LBB440_9:
                                        ; implicit-def: $vgpr2
	s_mov_b64 s[0:1], 0
	s_cbranch_execnz .LBB440_199
.LBB440_10:
	s_andn2_b64 vcc, exec, s[0:1]
	s_cbranch_vccnz .LBB440_246
.LBB440_11:
	s_waitcnt vmcnt(0)
	v_min_i32_e32 v0, s10, v2
	v_mul_lo_u32 v2, v4, s8
	v_ashrrev_i32_e32 v3, 31, v2
	s_and_b32 s26, s33, 0xff
	s_cmp_lt_i32 s26, 11
	v_lshl_add_u64 v[2:3], s[4:5], 0, v[2:3]
	s_cbranch_scc1 .LBB440_19
; %bb.12:
	s_and_b32 s27, 0xffff, s26
	s_cmp_gt_i32 s27, 25
	s_cbranch_scc0 .LBB440_23
; %bb.13:
	s_cmp_gt_i32 s27, 28
	s_cbranch_scc0 .LBB440_25
; %bb.14:
	;; [unrolled: 3-line block ×4, first 2 shown]
	s_mov_b64 s[20:21], 0
	s_mov_b64 s[0:1], -1
	s_cmp_eq_u32 s27, 46
	s_mov_b64 s[14:15], 0
	s_cbranch_scc0 .LBB440_34
; %bb.17:
	v_cvt_f32_i32_e32 v1, v0
	s_movk_i32 s0, 0x7fff
	s_mov_b64 s[14:15], -1
	v_bfe_u32 v5, v1, 16, 1
	v_add3_u32 v1, v1, v5, s0
	v_lshrrev_b32_e32 v1, 16, v1
	global_store_dword v[2:3], v1, off
	s_mov_b64 s[0:1], 0
	s_branch .LBB440_34
.LBB440_18:
	s_mov_b64 s[0:1], 0
                                        ; implicit-def: $vgpr2
	s_cbranch_execnz .LBB440_166
	s_branch .LBB440_198
.LBB440_19:
	s_mov_b64 s[0:1], 0
	s_mov_b64 s[14:15], 0
	s_cbranch_execnz .LBB440_103
.LBB440_20:
	s_andn2_b64 vcc, exec, s[14:15]
	s_cbranch_vccnz .LBB440_141
.LBB440_21:
	v_add_u32_e32 v4, 0x80, v4
	s_mov_b64 s[20:21], -1
	s_branch .LBB440_247
.LBB440_22:
	s_mov_b64 s[14:15], -1
	s_mov_b64 s[0:1], 0
                                        ; implicit-def: $vgpr2
	s_branch .LBB440_149
.LBB440_23:
	s_mov_b64 s[20:21], -1
	s_mov_b64 s[0:1], 0
	s_mov_b64 s[14:15], 0
	s_branch .LBB440_61
.LBB440_24:
	s_mov_b64 s[14:15], -1
	s_mov_b64 s[0:1], 0
                                        ; implicit-def: $vgpr2
	s_branch .LBB440_144
.LBB440_25:
	s_mov_b64 s[20:21], -1
	s_mov_b64 s[0:1], 0
	s_mov_b64 s[14:15], 0
	s_branch .LBB440_44
.LBB440_26:
	s_mov_b64 s[14:15], -1
	s_branch .LBB440_29
.LBB440_27:
	s_mov_b64 s[20:21], -1
	s_mov_b64 s[0:1], 0
	s_mov_b64 s[14:15], 0
	s_branch .LBB440_40
.LBB440_28:
	s_mov_b64 s[16:17], -1
.LBB440_29:
	s_mov_b64 s[0:1], 0
                                        ; implicit-def: $vgpr2
.LBB440_30:
	s_and_b64 vcc, exec, s[14:15]
	s_cbranch_vccz .LBB440_143
; %bb.31:
	s_cmp_eq_u32 s20, 44
	s_cbranch_scc0 .LBB440_142
; %bb.32:
	global_load_ubyte v2, v[0:1], off
	s_mov_b64 s[0:1], -1
	s_mov_b64 s[16:17], 0
	s_waitcnt vmcnt(0)
	v_lshlrev_b32_e32 v3, 23, v2
	v_cvt_i32_f32_e32 v3, v3
	v_cmp_ne_u32_e32 vcc, 0, v2
	s_nop 1
	v_cndmask_b32_e32 v2, 0, v3, vcc
	s_branch .LBB440_143
.LBB440_33:
	s_mov_b64 s[20:21], -1
	s_mov_b64 s[0:1], 0
	s_mov_b64 s[14:15], 0
.LBB440_34:
	s_and_b64 vcc, exec, s[20:21]
	s_cbranch_vccz .LBB440_39
; %bb.35:
	s_cmp_eq_u32 s27, 44
	s_mov_b64 s[0:1], -1
	s_cbranch_scc0 .LBB440_39
; %bb.36:
	v_cvt_f32_i32_e32 v1, v0
	s_movk_i32 s0, 0xff
	v_mov_b32_e32 v6, 0xff
	v_bfe_u32 v5, v1, 23, 8
	v_cmp_ne_u32_e32 vcc, s0, v5
	s_and_saveexec_b64 s[14:15], vcc
; %bb.37:
	s_mov_b32 s0, 0x3fffff
	v_lshrrev_b32_e32 v6, 23, v1
	v_and_b32_e32 v7, 0x400000, v1
	v_and_or_b32 v1, v1, s0, v5
	v_cmp_ne_u32_e32 vcc, 0, v7
	v_cmp_ne_u32_e64 s[0:1], 0, v1
	s_and_b64 s[0:1], vcc, s[0:1]
	s_nop 0
	v_cndmask_b32_e64 v1, 0, 1, s[0:1]
	v_add_u32_e32 v6, v6, v1
; %bb.38:
	s_or_b64 exec, exec, s[14:15]
	s_mov_b64 s[14:15], -1
	s_mov_b64 s[0:1], 0
	global_store_byte v[2:3], v6, off
.LBB440_39:
	s_mov_b64 s[20:21], 0
.LBB440_40:
	s_and_b64 vcc, exec, s[20:21]
	s_cbranch_vccz .LBB440_43
; %bb.41:
	s_cmp_eq_u32 s27, 29
	s_mov_b64 s[0:1], -1
	s_cbranch_scc0 .LBB440_43
; %bb.42:
	v_ashrrev_i32_e32 v1, 31, v0
	global_store_dwordx2 v[2:3], v[0:1], off
	s_mov_b64 s[14:15], -1
	s_mov_b64 s[0:1], 0
.LBB440_43:
	s_mov_b64 s[20:21], 0
.LBB440_44:
	s_and_b64 vcc, exec, s[20:21]
	s_cbranch_vccz .LBB440_60
; %bb.45:
	s_cmp_lt_i32 s27, 27
	s_mov_b64 s[14:15], -1
	s_cbranch_scc1 .LBB440_51
; %bb.46:
	s_cmp_gt_i32 s27, 27
	s_cbranch_scc0 .LBB440_48
; %bb.47:
	s_mov_b64 s[14:15], 0
	global_store_dword v[2:3], v0, off
.LBB440_48:
	s_andn2_b64 vcc, exec, s[14:15]
	s_cbranch_vccnz .LBB440_50
; %bb.49:
	global_store_short v[2:3], v0, off
.LBB440_50:
	s_mov_b64 s[14:15], 0
.LBB440_51:
	s_andn2_b64 vcc, exec, s[14:15]
	s_cbranch_vccnz .LBB440_59
; %bb.52:
	v_cvt_f32_i32_e32 v1, v0
	s_mov_b32 s14, 0x43800000
	v_mov_b32_e32 v6, 0x80
	v_and_b32_e32 v5, 0x7fffffff, v1
	v_cmp_gt_u32_e32 vcc, s14, v5
	s_and_saveexec_b64 s[14:15], vcc
	s_cbranch_execz .LBB440_58
; %bb.53:
	s_mov_b32 s20, 0x3bffffff
	v_cmp_lt_u32_e32 vcc, s20, v5
	s_mov_b64 s[20:21], 0
                                        ; implicit-def: $vgpr5
	s_and_saveexec_b64 s[24:25], vcc
	s_xor_b64 s[24:25], exec, s[24:25]
	s_cbranch_execz .LBB440_275
; %bb.54:
	v_bfe_u32 v5, v1, 20, 1
	s_mov_b32 s28, 0x487ffff
	v_add3_u32 v5, v1, v5, s28
	s_mov_b64 s[20:21], exec
	v_lshrrev_b32_e32 v5, 20, v5
	s_andn2_saveexec_b64 s[24:25], s[24:25]
	s_cbranch_execnz .LBB440_276
.LBB440_55:
	s_or_b64 exec, exec, s[24:25]
	v_mov_b32_e32 v6, 0
	s_and_saveexec_b64 s[24:25], s[20:21]
.LBB440_56:
	v_lshrrev_b32_e32 v1, 24, v1
	s_movk_i32 s20, 0x80
	v_and_or_b32 v6, v1, s20, v5
.LBB440_57:
	s_or_b64 exec, exec, s[24:25]
.LBB440_58:
	s_or_b64 exec, exec, s[14:15]
	global_store_byte v[2:3], v6, off
.LBB440_59:
	s_mov_b64 s[14:15], -1
.LBB440_60:
	s_mov_b64 s[20:21], 0
.LBB440_61:
	s_and_b64 vcc, exec, s[20:21]
	s_cbranch_vccz .LBB440_102
; %bb.62:
	s_cmp_gt_i32 s27, 22
	s_mov_b64 s[20:21], -1
	s_cbranch_scc0 .LBB440_94
; %bb.63:
	s_cmp_lt_i32 s27, 24
	s_mov_b64 s[14:15], -1
	s_cbranch_scc1 .LBB440_83
; %bb.64:
	s_cmp_gt_i32 s27, 24
	s_cbranch_scc0 .LBB440_72
; %bb.65:
	v_cvt_f32_i32_e32 v1, v0
	s_mov_b32 s14, 0x47800000
	v_mov_b32_e32 v6, 0x80
	v_and_b32_e32 v5, 0x7fffffff, v1
	v_cmp_gt_u32_e32 vcc, s14, v5
	s_and_saveexec_b64 s[14:15], vcc
	s_cbranch_execz .LBB440_71
; %bb.66:
	s_mov_b32 s20, 0x37ffffff
	v_cmp_lt_u32_e32 vcc, s20, v5
	s_mov_b64 s[20:21], 0
                                        ; implicit-def: $vgpr5
	s_and_saveexec_b64 s[24:25], vcc
	s_xor_b64 s[24:25], exec, s[24:25]
	s_cbranch_execz .LBB440_279
; %bb.67:
	v_bfe_u32 v5, v1, 21, 1
	s_mov_b32 s28, 0x88fffff
	v_add3_u32 v5, v1, v5, s28
	s_mov_b64 s[20:21], exec
	v_lshrrev_b32_e32 v5, 21, v5
	s_andn2_saveexec_b64 s[24:25], s[24:25]
	s_cbranch_execnz .LBB440_280
.LBB440_68:
	s_or_b64 exec, exec, s[24:25]
	v_mov_b32_e32 v6, 0
	s_and_saveexec_b64 s[24:25], s[20:21]
.LBB440_69:
	v_lshrrev_b32_e32 v1, 24, v1
	s_movk_i32 s20, 0x80
	v_and_or_b32 v6, v1, s20, v5
.LBB440_70:
	s_or_b64 exec, exec, s[24:25]
.LBB440_71:
	s_or_b64 exec, exec, s[14:15]
	s_mov_b64 s[14:15], 0
	global_store_byte v[2:3], v6, off
.LBB440_72:
	s_and_b64 vcc, exec, s[14:15]
	s_cbranch_vccz .LBB440_82
; %bb.73:
	v_cvt_f32_i32_e32 v1, v0
	s_mov_b32 s14, 0x43f00000
                                        ; implicit-def: $vgpr5
	v_and_b32_e32 v6, 0x7fffffff, v1
	v_cmp_gt_u32_e32 vcc, s14, v6
	s_and_saveexec_b64 s[14:15], vcc
	s_xor_b64 s[14:15], exec, s[14:15]
	s_cbranch_execz .LBB440_79
; %bb.74:
	s_mov_b32 s20, 0x3c7fffff
	v_cmp_lt_u32_e32 vcc, s20, v6
                                        ; implicit-def: $vgpr5
	s_and_saveexec_b64 s[20:21], vcc
	s_xor_b64 s[20:21], exec, s[20:21]
; %bb.75:
	v_bfe_u32 v5, v1, 20, 1
	s_mov_b32 s24, 0x407ffff
	v_add3_u32 v5, v1, v5, s24
	v_lshrrev_b32_e32 v6, 20, v5
	v_and_b32_e32 v5, 0xff00000, v5
	s_mov_b32 s24, 0x7f00000
	v_mov_b32_e32 v7, 0x7e
	v_cmp_ne_u32_e32 vcc, s24, v5
	s_nop 1
	v_cndmask_b32_e32 v5, v7, v6, vcc
; %bb.76:
	s_andn2_saveexec_b64 s[20:21], s[20:21]
; %bb.77:
	s_mov_b32 s24, 0x46800000
	v_add_f32_e64 v5, |v1|, s24
; %bb.78:
	s_or_b64 exec, exec, s[20:21]
                                        ; implicit-def: $vgpr6
.LBB440_79:
	s_andn2_saveexec_b64 s[14:15], s[14:15]
; %bb.80:
	s_mov_b32 s20, 0x7f800000
	v_mov_b32_e32 v5, 0x7e
	v_mov_b32_e32 v7, 0x7f
	v_cmp_lt_u32_e32 vcc, s20, v6
	s_nop 1
	v_cndmask_b32_e32 v5, v5, v7, vcc
; %bb.81:
	s_or_b64 exec, exec, s[14:15]
	v_lshrrev_b32_e32 v1, 24, v1
	s_movk_i32 s14, 0x80
	v_and_or_b32 v1, v1, s14, v5
	global_store_byte v[2:3], v1, off
.LBB440_82:
	s_mov_b64 s[14:15], 0
.LBB440_83:
	s_andn2_b64 vcc, exec, s[14:15]
	s_cbranch_vccnz .LBB440_93
; %bb.84:
	v_cvt_f32_i32_e32 v1, v0
	s_mov_b32 s14, 0x47800000
                                        ; implicit-def: $vgpr5
	v_and_b32_e32 v6, 0x7fffffff, v1
	v_cmp_gt_u32_e32 vcc, s14, v6
	s_and_saveexec_b64 s[14:15], vcc
	s_xor_b64 s[14:15], exec, s[14:15]
	s_cbranch_execz .LBB440_90
; %bb.85:
	s_mov_b32 s20, 0x387fffff
	v_cmp_lt_u32_e32 vcc, s20, v6
                                        ; implicit-def: $vgpr5
	s_and_saveexec_b64 s[20:21], vcc
	s_xor_b64 s[20:21], exec, s[20:21]
; %bb.86:
	v_bfe_u32 v5, v1, 21, 1
	s_mov_b32 s24, 0x80fffff
	v_add3_u32 v5, v1, v5, s24
	v_lshrrev_b32_e32 v5, 21, v5
; %bb.87:
	s_andn2_saveexec_b64 s[20:21], s[20:21]
; %bb.88:
	s_mov_b32 s24, 0x43000000
	v_add_f32_e64 v5, |v1|, s24
; %bb.89:
	s_or_b64 exec, exec, s[20:21]
                                        ; implicit-def: $vgpr6
.LBB440_90:
	s_andn2_saveexec_b64 s[14:15], s[14:15]
; %bb.91:
	s_mov_b32 s20, 0x7f800000
	v_mov_b32_e32 v5, 0x7c
	v_mov_b32_e32 v7, 0x7f
	v_cmp_lt_u32_e32 vcc, s20, v6
	s_nop 1
	v_cndmask_b32_e32 v5, v5, v7, vcc
; %bb.92:
	s_or_b64 exec, exec, s[14:15]
	v_lshrrev_b32_e32 v1, 24, v1
	s_movk_i32 s14, 0x80
	v_and_or_b32 v1, v1, s14, v5
	global_store_byte v[2:3], v1, off
.LBB440_93:
	s_mov_b64 s[20:21], 0
	s_mov_b64 s[14:15], -1
.LBB440_94:
	s_andn2_b64 vcc, exec, s[20:21]
	s_cbranch_vccnz .LBB440_102
; %bb.95:
	s_cmp_gt_i32 s27, 14
	s_mov_b64 s[20:21], -1
	s_cbranch_scc0 .LBB440_99
; %bb.96:
	s_cmp_eq_u32 s27, 15
	s_mov_b64 s[0:1], -1
	s_cbranch_scc0 .LBB440_98
; %bb.97:
	v_cvt_f32_i32_e32 v1, v0
	s_movk_i32 s0, 0x7fff
	s_mov_b64 s[14:15], -1
	v_bfe_u32 v5, v1, 16, 1
	v_add3_u32 v1, v1, v5, s0
	global_store_short_d16_hi v[2:3], v1, off
	s_mov_b64 s[0:1], 0
.LBB440_98:
	s_mov_b64 s[20:21], 0
.LBB440_99:
	s_and_b64 vcc, exec, s[20:21]
	s_cbranch_vccz .LBB440_102
; %bb.100:
	s_cmp_eq_u32 s27, 11
	s_mov_b64 s[0:1], -1
	s_cbranch_scc0 .LBB440_102
; %bb.101:
	v_cmp_ne_u32_e32 vcc, 0, v0
	s_mov_b64 s[14:15], -1
	s_mov_b64 s[0:1], 0
	v_cndmask_b32_e64 v1, 0, 1, vcc
	global_store_byte v[2:3], v1, off
.LBB440_102:
	s_branch .LBB440_20
.LBB440_103:
	s_and_b32 s20, 0xffff, s26
	s_cmp_lt_i32 s20, 5
	s_mov_b64 s[14:15], -1
	s_cbranch_scc1 .LBB440_124
; %bb.104:
	s_cmp_lt_i32 s20, 8
	s_cbranch_scc1 .LBB440_114
; %bb.105:
	s_cmp_lt_i32 s20, 9
	s_cbranch_scc1 .LBB440_111
; %bb.106:
	s_cmp_gt_i32 s20, 9
	s_cbranch_scc0 .LBB440_108
; %bb.107:
	v_mov_b32_e32 v8, 0
	v_cvt_f64_i32_e32 v[6:7], v0
	v_mov_b32_e32 v9, v8
	global_store_dwordx4 v[2:3], v[6:9], off
	s_mov_b64 s[14:15], 0
.LBB440_108:
	s_andn2_b64 vcc, exec, s[14:15]
	s_cbranch_vccnz .LBB440_110
; %bb.109:
	v_cvt_f32_i32_e32 v6, v0
	v_mov_b32_e32 v7, 0
	global_store_dwordx2 v[2:3], v[6:7], off
.LBB440_110:
	s_mov_b64 s[14:15], 0
.LBB440_111:
	s_andn2_b64 vcc, exec, s[14:15]
	s_cbranch_vccnz .LBB440_113
; %bb.112:
	v_cvt_f32_i32_e32 v1, v0
	v_cvt_f16_f32_e32 v1, v1
	global_store_dword v[2:3], v1, off
.LBB440_113:
	s_mov_b64 s[14:15], 0
.LBB440_114:
	s_andn2_b64 vcc, exec, s[14:15]
	s_cbranch_vccnz .LBB440_123
; %bb.115:
	s_cmp_lt_i32 s20, 6
	s_mov_b64 s[14:15], -1
	s_cbranch_scc1 .LBB440_121
; %bb.116:
	s_cmp_gt_i32 s20, 6
	s_cbranch_scc0 .LBB440_118
; %bb.117:
	v_cvt_f64_i32_e32 v[6:7], v0
	global_store_dwordx2 v[2:3], v[6:7], off
	s_mov_b64 s[14:15], 0
.LBB440_118:
	s_andn2_b64 vcc, exec, s[14:15]
	s_cbranch_vccnz .LBB440_120
; %bb.119:
	v_cvt_f32_i32_e32 v1, v0
	global_store_dword v[2:3], v1, off
.LBB440_120:
	s_mov_b64 s[14:15], 0
.LBB440_121:
	s_andn2_b64 vcc, exec, s[14:15]
	s_cbranch_vccnz .LBB440_123
; %bb.122:
	v_cvt_f32_i32_e32 v1, v0
	v_cvt_f16_f32_e32 v1, v1
	global_store_short v[2:3], v1, off
.LBB440_123:
	s_mov_b64 s[14:15], 0
.LBB440_124:
	s_andn2_b64 vcc, exec, s[14:15]
	s_cbranch_vccnz .LBB440_140
; %bb.125:
	s_cmp_lt_i32 s20, 2
	s_mov_b64 s[14:15], -1
	s_cbranch_scc1 .LBB440_135
; %bb.126:
	s_cmp_lt_i32 s20, 3
	s_cbranch_scc1 .LBB440_132
; %bb.127:
	s_cmp_gt_i32 s20, 3
	s_cbranch_scc0 .LBB440_129
; %bb.128:
	v_ashrrev_i32_e32 v1, 31, v0
	global_store_dwordx2 v[2:3], v[0:1], off
	s_mov_b64 s[14:15], 0
.LBB440_129:
	s_andn2_b64 vcc, exec, s[14:15]
	s_cbranch_vccnz .LBB440_131
; %bb.130:
	global_store_dword v[2:3], v0, off
.LBB440_131:
	s_mov_b64 s[14:15], 0
.LBB440_132:
	s_andn2_b64 vcc, exec, s[14:15]
	s_cbranch_vccnz .LBB440_134
; %bb.133:
	global_store_short v[2:3], v0, off
.LBB440_134:
	s_mov_b64 s[14:15], 0
.LBB440_135:
	s_andn2_b64 vcc, exec, s[14:15]
	s_cbranch_vccnz .LBB440_140
; %bb.136:
	s_cmp_gt_i32 s20, 0
	s_mov_b64 s[14:15], -1
	s_cbranch_scc0 .LBB440_138
; %bb.137:
	global_store_byte v[2:3], v0, off
	s_mov_b64 s[14:15], 0
.LBB440_138:
	s_andn2_b64 vcc, exec, s[14:15]
	s_cbranch_vccnz .LBB440_140
; %bb.139:
	global_store_byte v[2:3], v0, off
.LBB440_140:
	s_branch .LBB440_21
.LBB440_141:
	s_mov_b64 s[20:21], 0
                                        ; implicit-def: $vgpr4
	s_branch .LBB440_247
.LBB440_142:
	s_mov_b64 s[16:17], -1
                                        ; implicit-def: $vgpr2
.LBB440_143:
	s_mov_b64 s[14:15], 0
.LBB440_144:
	s_and_b64 vcc, exec, s[14:15]
	s_cbranch_vccz .LBB440_148
; %bb.145:
	s_cmp_eq_u32 s20, 29
	s_cbranch_scc0 .LBB440_147
; %bb.146:
	global_load_dword v2, v[0:1], off
	s_mov_b64 s[0:1], -1
	s_mov_b64 s[16:17], 0
	s_branch .LBB440_148
.LBB440_147:
	s_mov_b64 s[16:17], -1
                                        ; implicit-def: $vgpr2
.LBB440_148:
	s_mov_b64 s[14:15], 0
.LBB440_149:
	s_and_b64 vcc, exec, s[14:15]
	s_cbranch_vccz .LBB440_165
; %bb.150:
	s_cmp_lt_i32 s20, 27
	s_cbranch_scc1 .LBB440_153
; %bb.151:
	s_cmp_gt_i32 s20, 27
	s_cbranch_scc0 .LBB440_154
; %bb.152:
	global_load_dword v2, v[0:1], off
	s_mov_b64 s[0:1], 0
	s_branch .LBB440_155
.LBB440_153:
	s_mov_b64 s[0:1], -1
                                        ; implicit-def: $vgpr2
	s_branch .LBB440_158
.LBB440_154:
	s_mov_b64 s[0:1], -1
                                        ; implicit-def: $vgpr2
.LBB440_155:
	s_andn2_b64 vcc, exec, s[0:1]
	s_cbranch_vccnz .LBB440_157
; %bb.156:
	global_load_ushort v2, v[0:1], off
.LBB440_157:
	s_mov_b64 s[0:1], 0
.LBB440_158:
	s_andn2_b64 vcc, exec, s[0:1]
	s_cbranch_vccnz .LBB440_164
; %bb.159:
	global_load_ubyte v3, v[0:1], off
	s_movk_i32 s0, 0x7f
	s_mov_b64 s[14:15], 0
	s_waitcnt vmcnt(0)
	v_cmp_lt_i16_e32 vcc, s0, v3
	s_and_saveexec_b64 s[0:1], vcc
	s_xor_b64 s[0:1], exec, s[0:1]
	s_cbranch_execz .LBB440_175
; %bb.160:
	s_movk_i32 s14, 0x80
	v_cmp_ne_u16_e32 vcc, s14, v3
	s_and_b64 s[14:15], vcc, exec
	s_andn2_saveexec_b64 s[0:1], s[0:1]
	s_cbranch_execnz .LBB440_176
.LBB440_161:
	s_or_b64 exec, exec, s[0:1]
	v_mov_b32_e32 v2, 0
	s_and_saveexec_b64 s[0:1], s[14:15]
	s_cbranch_execz .LBB440_163
.LBB440_162:
	v_lshlrev_b32_e32 v2, 24, v3
	v_and_b32_e32 v3, 0xffff, v3
	v_and_b32_e32 v5, 7, v3
	v_ffbh_u32_e32 v7, v5
	v_min_u32_e32 v7, 32, v7
	v_subrev_u32_e32 v8, 28, v7
	v_bfe_u32 v6, v3, 3, 4
	v_lshlrev_b32_e32 v3, v8, v3
	v_sub_u32_e32 v7, 29, v7
	v_and_b32_e32 v3, 7, v3
	v_cmp_eq_u32_e32 vcc, 0, v6
	v_and_b32_e32 v2, 0x80000000, v2
	s_nop 0
	v_cndmask_b32_e32 v6, v6, v7, vcc
	v_cndmask_b32_e32 v3, v5, v3, vcc
	v_mov_b32_e32 v5, 0x3b800000
	v_lshlrev_b32_e32 v3, 20, v3
	v_lshl_add_u32 v5, v6, 23, v5
	v_or3_b32 v2, v2, v5, v3
	v_cvt_i32_f32_e32 v2, v2
.LBB440_163:
	s_or_b64 exec, exec, s[0:1]
.LBB440_164:
	s_mov_b64 s[0:1], -1
.LBB440_165:
	s_branch .LBB440_198
.LBB440_166:
	s_cmp_gt_i32 s20, 22
	s_cbranch_scc0 .LBB440_174
; %bb.167:
	s_cmp_lt_i32 s20, 24
	s_cbranch_scc1 .LBB440_177
; %bb.168:
	s_cmp_gt_i32 s20, 24
	s_cbranch_scc0 .LBB440_178
; %bb.169:
	global_load_ubyte v3, v[0:1], off
	s_movk_i32 s0, 0x7f
	s_mov_b64 s[14:15], 0
	s_waitcnt vmcnt(0)
	v_cmp_lt_i16_e32 vcc, s0, v3
	s_and_saveexec_b64 s[0:1], vcc
	s_xor_b64 s[0:1], exec, s[0:1]
	s_cbranch_execz .LBB440_190
; %bb.170:
	s_movk_i32 s14, 0x80
	v_cmp_ne_u16_e32 vcc, s14, v3
	s_and_b64 s[14:15], vcc, exec
	s_andn2_saveexec_b64 s[0:1], s[0:1]
	s_cbranch_execnz .LBB440_191
.LBB440_171:
	s_or_b64 exec, exec, s[0:1]
	v_mov_b32_e32 v2, 0
	s_and_saveexec_b64 s[0:1], s[14:15]
	s_cbranch_execz .LBB440_173
.LBB440_172:
	v_lshlrev_b32_e32 v2, 24, v3
	v_and_b32_e32 v3, 0xffff, v3
	v_and_b32_e32 v5, 3, v3
	v_ffbh_u32_e32 v7, v5
	v_min_u32_e32 v7, 32, v7
	v_subrev_u32_e32 v8, 29, v7
	v_bfe_u32 v6, v3, 2, 5
	v_lshlrev_b32_e32 v3, v8, v3
	v_sub_u32_e32 v7, 30, v7
	v_and_b32_e32 v3, 3, v3
	v_cmp_eq_u32_e32 vcc, 0, v6
	v_and_b32_e32 v2, 0x80000000, v2
	s_nop 0
	v_cndmask_b32_e32 v6, v6, v7, vcc
	v_cndmask_b32_e32 v3, v5, v3, vcc
	v_mov_b32_e32 v5, 0x37800000
	v_lshlrev_b32_e32 v3, 21, v3
	v_lshl_add_u32 v5, v6, 23, v5
	v_or3_b32 v2, v2, v5, v3
	v_cvt_i32_f32_e32 v2, v2
.LBB440_173:
	s_or_b64 exec, exec, s[0:1]
	s_mov_b64 s[0:1], 0
	s_branch .LBB440_179
.LBB440_174:
	s_mov_b64 s[14:15], -1
                                        ; implicit-def: $vgpr2
	s_branch .LBB440_185
.LBB440_175:
	s_andn2_saveexec_b64 s[0:1], s[0:1]
	s_cbranch_execz .LBB440_161
.LBB440_176:
	v_cmp_ne_u16_e32 vcc, 0, v3
	s_andn2_b64 s[14:15], s[14:15], exec
	s_and_b64 s[24:25], vcc, exec
	s_or_b64 s[14:15], s[14:15], s[24:25]
	s_or_b64 exec, exec, s[0:1]
	v_mov_b32_e32 v2, 0
	s_and_saveexec_b64 s[0:1], s[14:15]
	s_cbranch_execnz .LBB440_162
	s_branch .LBB440_163
.LBB440_177:
	s_mov_b64 s[0:1], -1
                                        ; implicit-def: $vgpr2
	s_branch .LBB440_182
.LBB440_178:
	s_mov_b64 s[0:1], -1
                                        ; implicit-def: $vgpr2
.LBB440_179:
	s_and_b64 vcc, exec, s[0:1]
	s_cbranch_vccz .LBB440_181
; %bb.180:
	global_load_ubyte v2, v[0:1], off
	s_mov_b32 s0, 0x7f800000
	s_waitcnt vmcnt(0)
	v_lshlrev_b32_e32 v2, 24, v2
	v_and_b32_e32 v3, 0x7f000000, v2
	v_ffbh_u32_e32 v5, v3
	v_min_u32_e32 v5, 32, v5
	v_sub_u32_e64 v5, v5, 4 clamp
	v_lshlrev_b32_e32 v7, v5, v3
	v_lshlrev_b32_e32 v5, 23, v5
	v_lshrrev_b32_e32 v7, 4, v7
	v_add_u32_e32 v6, 0x1000000, v3
	v_sub_u32_e32 v5, v7, v5
	v_ashrrev_i32_e32 v6, 8, v6
	v_add_u32_e32 v5, 0x3c000000, v5
	v_and_or_b32 v5, v6, s0, v5
	v_cmp_ne_u32_e32 vcc, 0, v3
	s_brev_b32 s0, 1
	s_nop 0
	v_cndmask_b32_e32 v3, 0, v5, vcc
	v_and_or_b32 v2, v2, s0, v3
	v_cvt_i32_f32_e32 v2, v2
.LBB440_181:
	s_mov_b64 s[0:1], 0
.LBB440_182:
	s_andn2_b64 vcc, exec, s[0:1]
	s_cbranch_vccnz .LBB440_184
; %bb.183:
	global_load_ubyte v2, v[0:1], off
	s_movk_i32 s0, 0x7f00
	s_brev_b32 s1, 16
	s_waitcnt vmcnt(0)
	v_lshlrev_b16_e32 v3, 8, v2
	v_lshlrev_b32_e32 v2, 25, v2
	v_lshrrev_b32_e32 v5, 4, v2
	v_and_or_b32 v6, v3, s0, 0.5
	v_or_b32_e32 v5, 0x70000000, v5
	v_add_f32_e32 v6, -0.5, v6
	v_mul_f32_e32 v5, 0x7800000, v5
	v_cmp_gt_u32_e32 vcc, s1, v2
	v_bfe_i32 v3, v3, 0, 16
	s_brev_b32 s0, 1
	v_cndmask_b32_e32 v2, v5, v6, vcc
	v_and_or_b32 v2, v3, s0, v2
	v_cvt_i32_f32_e32 v2, v2
.LBB440_184:
	s_mov_b64 s[14:15], 0
	s_mov_b64 s[0:1], -1
.LBB440_185:
	s_andn2_b64 vcc, exec, s[14:15]
	s_cbranch_vccnz .LBB440_198
; %bb.186:
	s_cmp_gt_i32 s20, 14
	s_cbranch_scc0 .LBB440_189
; %bb.187:
	s_cmp_eq_u32 s20, 15
	s_cbranch_scc0 .LBB440_192
; %bb.188:
	global_load_ushort v2, v[0:1], off
	s_mov_b64 s[0:1], -1
	s_mov_b64 s[16:17], 0
	s_waitcnt vmcnt(0)
	v_lshlrev_b32_e32 v2, 16, v2
	v_cvt_i32_f32_e32 v2, v2
	s_branch .LBB440_193
.LBB440_189:
	s_mov_b64 s[14:15], -1
                                        ; implicit-def: $vgpr2
	s_branch .LBB440_194
.LBB440_190:
	s_andn2_saveexec_b64 s[0:1], s[0:1]
	s_cbranch_execz .LBB440_171
.LBB440_191:
	v_cmp_ne_u16_e32 vcc, 0, v3
	s_andn2_b64 s[14:15], s[14:15], exec
	s_and_b64 s[24:25], vcc, exec
	s_or_b64 s[14:15], s[14:15], s[24:25]
	s_or_b64 exec, exec, s[0:1]
	v_mov_b32_e32 v2, 0
	s_and_saveexec_b64 s[0:1], s[14:15]
	s_cbranch_execnz .LBB440_172
	s_branch .LBB440_173
.LBB440_192:
	s_mov_b64 s[16:17], -1
                                        ; implicit-def: $vgpr2
.LBB440_193:
	s_mov_b64 s[14:15], 0
.LBB440_194:
	s_and_b64 vcc, exec, s[14:15]
	s_cbranch_vccz .LBB440_198
; %bb.195:
	s_cmp_eq_u32 s20, 11
	s_cbranch_scc0 .LBB440_197
; %bb.196:
	global_load_ubyte v2, v[0:1], off
	s_mov_b64 s[0:1], -1
	s_mov_b64 s[16:17], 0
	s_waitcnt vmcnt(0)
	v_cmp_ne_u16_e32 vcc, 0, v2
	s_nop 1
	v_cndmask_b32_e64 v2, 0, 1, vcc
	s_branch .LBB440_198
.LBB440_197:
	s_mov_b64 s[16:17], -1
                                        ; implicit-def: $vgpr2
.LBB440_198:
	s_branch .LBB440_10
.LBB440_199:
	s_cmp_lt_i32 s20, 5
	s_cbranch_scc1 .LBB440_204
; %bb.200:
	s_cmp_lt_i32 s20, 8
	s_cbranch_scc1 .LBB440_205
; %bb.201:
	;; [unrolled: 3-line block ×3, first 2 shown]
	s_cmp_gt_i32 s20, 9
	s_cbranch_scc0 .LBB440_207
; %bb.203:
	global_load_dwordx2 v[2:3], v[0:1], off
	s_mov_b64 s[0:1], 0
	s_waitcnt vmcnt(0)
	v_cvt_i32_f64_e32 v2, v[2:3]
	s_branch .LBB440_208
.LBB440_204:
                                        ; implicit-def: $vgpr2
	s_branch .LBB440_226
.LBB440_205:
	s_mov_b64 s[0:1], -1
                                        ; implicit-def: $vgpr2
	s_branch .LBB440_214
.LBB440_206:
	s_mov_b64 s[0:1], -1
                                        ; implicit-def: $vgpr2
	s_branch .LBB440_211
.LBB440_207:
	s_mov_b64 s[0:1], -1
                                        ; implicit-def: $vgpr2
.LBB440_208:
	s_andn2_b64 vcc, exec, s[0:1]
	s_cbranch_vccnz .LBB440_210
; %bb.209:
	global_load_dword v2, v[0:1], off
	s_waitcnt vmcnt(0)
	v_cvt_i32_f32_e32 v2, v2
.LBB440_210:
	s_mov_b64 s[0:1], 0
.LBB440_211:
	s_andn2_b64 vcc, exec, s[0:1]
	s_cbranch_vccnz .LBB440_213
; %bb.212:
	global_load_dword v2, v[0:1], off
	s_waitcnt vmcnt(0)
	v_cvt_f32_f16_e32 v2, v2
	v_cvt_i32_f32_e32 v2, v2
.LBB440_213:
	s_mov_b64 s[0:1], 0
.LBB440_214:
	s_andn2_b64 vcc, exec, s[0:1]
	s_cbranch_vccnz .LBB440_225
; %bb.215:
	s_cmp_lt_i32 s20, 6
	s_cbranch_scc1 .LBB440_218
; %bb.216:
	s_cmp_gt_i32 s20, 6
	s_cbranch_scc0 .LBB440_219
; %bb.217:
	global_load_dwordx2 v[2:3], v[0:1], off
	s_mov_b64 s[0:1], 0
	s_waitcnt vmcnt(0)
	v_cvt_i32_f64_e32 v2, v[2:3]
	s_branch .LBB440_220
.LBB440_218:
	s_mov_b64 s[0:1], -1
                                        ; implicit-def: $vgpr2
	s_branch .LBB440_223
.LBB440_219:
	s_mov_b64 s[0:1], -1
                                        ; implicit-def: $vgpr2
.LBB440_220:
	s_andn2_b64 vcc, exec, s[0:1]
	s_cbranch_vccnz .LBB440_222
; %bb.221:
	global_load_dword v2, v[0:1], off
	s_waitcnt vmcnt(0)
	v_cvt_i32_f32_e32 v2, v2
.LBB440_222:
	s_mov_b64 s[0:1], 0
.LBB440_223:
	s_andn2_b64 vcc, exec, s[0:1]
	s_cbranch_vccnz .LBB440_225
; %bb.224:
	global_load_ushort v2, v[0:1], off
	s_waitcnt vmcnt(0)
	v_cvt_f32_f16_e32 v2, v2
	v_cvt_i32_f32_e32 v2, v2
.LBB440_225:
	s_cbranch_execnz .LBB440_245
.LBB440_226:
	s_cmp_lt_i32 s20, 2
	s_cbranch_scc1 .LBB440_230
; %bb.227:
	s_cmp_lt_i32 s20, 3
	s_cbranch_scc1 .LBB440_231
; %bb.228:
	s_cmp_gt_i32 s20, 3
	s_cbranch_scc0 .LBB440_232
; %bb.229:
	global_load_dword v2, v[0:1], off
	s_mov_b64 s[0:1], 0
	s_branch .LBB440_233
.LBB440_230:
	s_mov_b64 s[0:1], -1
                                        ; implicit-def: $vgpr2
	s_branch .LBB440_239
.LBB440_231:
	s_mov_b64 s[0:1], -1
                                        ; implicit-def: $vgpr2
	s_branch .LBB440_236
.LBB440_232:
	s_mov_b64 s[0:1], -1
                                        ; implicit-def: $vgpr2
.LBB440_233:
	s_andn2_b64 vcc, exec, s[0:1]
	s_cbranch_vccnz .LBB440_235
; %bb.234:
	global_load_dword v2, v[0:1], off
.LBB440_235:
	s_mov_b64 s[0:1], 0
.LBB440_236:
	s_andn2_b64 vcc, exec, s[0:1]
	s_cbranch_vccnz .LBB440_238
; %bb.237:
	global_load_sshort v2, v[0:1], off
.LBB440_238:
	s_mov_b64 s[0:1], 0
.LBB440_239:
	s_andn2_b64 vcc, exec, s[0:1]
	s_cbranch_vccnz .LBB440_245
; %bb.240:
	s_cmp_gt_i32 s20, 0
	s_cbranch_scc0 .LBB440_242
; %bb.241:
	global_load_sbyte v2, v[0:1], off
	s_mov_b64 s[0:1], 0
	s_branch .LBB440_243
.LBB440_242:
	s_mov_b64 s[0:1], -1
                                        ; implicit-def: $vgpr2
.LBB440_243:
	s_andn2_b64 vcc, exec, s[0:1]
	s_cbranch_vccnz .LBB440_245
; %bb.244:
	global_load_ubyte v2, v[0:1], off
.LBB440_245:
	s_branch .LBB440_11
.LBB440_246:
	s_mov_b64 s[0:1], 0
                                        ; implicit-def: $vgpr4
	s_mov_b64 s[20:21], 0
.LBB440_247:
	s_and_b64 s[14:15], s[0:1], exec
	s_and_b64 s[16:17], s[16:17], exec
	s_orn2_b64 s[20:21], s[20:21], exec
.LBB440_248:
	s_or_b64 exec, exec, s[18:19]
	s_mov_b64 s[24:25], 0
	s_mov_b64 s[0:1], 0
                                        ; implicit-def: $vgpr0_vgpr1
                                        ; implicit-def: $vgpr5
	s_and_saveexec_b64 s[18:19], s[20:21]
	s_cbranch_execz .LBB440_257
; %bb.249:
	v_cmp_gt_i32_e32 vcc, s40, v4
	s_mov_b64 s[0:1], -1
	s_mov_b64 s[20:21], s[16:17]
	s_mov_b64 s[22:23], s[14:15]
	s_and_saveexec_b64 s[24:25], vcc
	s_cbranch_execz .LBB440_505
; %bb.250:
	v_mul_lo_u32 v0, v4, s9
	v_ashrrev_i32_e32 v1, 31, v0
	s_and_b32 s26, 0xffff, s11
	s_cmp_lt_i32 s26, 11
	v_lshl_add_u64 v[0:1], s[6:7], 0, v[0:1]
	s_cbranch_scc1 .LBB440_260
; %bb.251:
	s_cmp_gt_i32 s26, 25
	s_cbranch_scc0 .LBB440_269
; %bb.252:
	s_cmp_gt_i32 s26, 28
	s_cbranch_scc0 .LBB440_271
	;; [unrolled: 3-line block ×4, first 2 shown]
; %bb.255:
	s_cmp_eq_u32 s26, 46
	s_mov_b64 s[22:23], 0
	s_cbranch_scc0 .LBB440_281
; %bb.256:
	global_load_dword v2, v[0:1], off
	s_mov_b64 s[20:21], 0
	s_waitcnt vmcnt(0)
	v_lshlrev_b32_e32 v2, 16, v2
	v_cvt_i32_f32_e32 v2, v2
	s_branch .LBB440_282
.LBB440_257:
	s_or_b64 exec, exec, s[18:19]
	s_mov_b64 s[18:19], 0
	s_and_saveexec_b64 s[20:21], s[16:17]
	s_cbranch_execnz .LBB440_843
.LBB440_258:
	s_or_b64 exec, exec, s[20:21]
	s_and_saveexec_b64 s[16:17], s[22:23]
	s_xor_b64 s[16:17], exec, s[16:17]
	s_cbranch_execz .LBB440_844
.LBB440_259:
	global_load_ubyte v2, v[0:1], off
	s_or_b64 s[0:1], s[0:1], exec
	s_waitcnt vmcnt(0)
	v_cmp_ne_u16_e32 vcc, 0, v2
	s_nop 1
	v_cndmask_b32_e64 v5, 0, 1, vcc
	s_or_b64 exec, exec, s[16:17]
	s_and_saveexec_b64 s[16:17], s[24:25]
	s_cbranch_execz .LBB440_890
	s_branch .LBB440_845
.LBB440_260:
	s_mov_b64 s[0:1], 0
                                        ; implicit-def: $vgpr2
	s_mov_b64 s[20:21], s[16:17]
	s_cbranch_execnz .LBB440_455
.LBB440_261:
	s_andn2_b64 vcc, exec, s[0:1]
	s_cbranch_vccnz .LBB440_503
.LBB440_262:
	s_waitcnt vmcnt(0)
	v_min_i32_e32 v0, s10, v2
	v_mul_lo_u32 v2, v4, s8
	v_ashrrev_i32_e32 v3, 31, v2
	s_and_b32 s30, s33, 0xff
	s_cmp_lt_i32 s30, 11
	v_lshl_add_u64 v[2:3], s[4:5], 0, v[2:3]
	s_cbranch_scc1 .LBB440_270
; %bb.263:
	s_and_b32 s31, 0xffff, s30
	s_cmp_gt_i32 s31, 25
	s_cbranch_scc0 .LBB440_272
; %bb.264:
	s_cmp_gt_i32 s31, 28
	s_cbranch_scc0 .LBB440_274
; %bb.265:
	;; [unrolled: 3-line block ×4, first 2 shown]
	s_mov_b64 s[26:27], 0
	s_mov_b64 s[0:1], -1
	s_cmp_eq_u32 s31, 46
	s_mov_b64 s[22:23], 0
	s_cbranch_scc0 .LBB440_286
; %bb.268:
	v_cvt_f32_i32_e32 v1, v0
	s_movk_i32 s0, 0x7fff
	s_mov_b64 s[22:23], -1
	v_bfe_u32 v5, v1, 16, 1
	v_add3_u32 v1, v1, v5, s0
	v_lshrrev_b32_e32 v1, 16, v1
	global_store_dword v[2:3], v1, off
	s_mov_b64 s[0:1], 0
	s_branch .LBB440_286
.LBB440_269:
	s_mov_b64 s[22:23], -1
	s_mov_b64 s[0:1], 0
	s_mov_b64 s[20:21], s[16:17]
                                        ; implicit-def: $vgpr2
	s_branch .LBB440_421
.LBB440_270:
	s_mov_b64 s[26:27], -1
	s_mov_b64 s[22:23], 0
	s_mov_b64 s[0:1], s[14:15]
	s_branch .LBB440_355
.LBB440_271:
	s_mov_b64 s[22:23], -1
	s_mov_b64 s[0:1], 0
	s_mov_b64 s[20:21], s[16:17]
                                        ; implicit-def: $vgpr2
	s_branch .LBB440_404
.LBB440_272:
	s_mov_b64 s[26:27], -1
	s_mov_b64 s[22:23], 0
	s_mov_b64 s[0:1], s[14:15]
	s_branch .LBB440_313
.LBB440_273:
	s_mov_b64 s[22:23], -1
	s_mov_b64 s[0:1], 0
	s_mov_b64 s[20:21], s[16:17]
                                        ; implicit-def: $vgpr2
	s_branch .LBB440_399
.LBB440_274:
	s_mov_b64 s[26:27], -1
	s_mov_b64 s[22:23], 0
	s_mov_b64 s[0:1], s[14:15]
	s_branch .LBB440_296
.LBB440_275:
	s_andn2_saveexec_b64 s[24:25], s[24:25]
	s_cbranch_execz .LBB440_55
.LBB440_276:
	s_mov_b32 s28, 0x46000000
	v_add_f32_e64 v5, |v1|, s28
	v_and_b32_e32 v5, 0xff, v5
	v_cmp_ne_u32_e32 vcc, 0, v5
	s_andn2_b64 s[20:21], s[20:21], exec
	s_and_b64 s[28:29], vcc, exec
	s_or_b64 s[20:21], s[20:21], s[28:29]
	s_or_b64 exec, exec, s[24:25]
	v_mov_b32_e32 v6, 0
	s_and_saveexec_b64 s[24:25], s[20:21]
	s_cbranch_execnz .LBB440_56
	s_branch .LBB440_57
.LBB440_277:
	s_mov_b64 s[22:23], -1
	s_mov_b64 s[0:1], 0
	s_mov_b64 s[20:21], s[16:17]
                                        ; implicit-def: $vgpr2
	s_branch .LBB440_282
.LBB440_278:
	s_mov_b64 s[26:27], -1
	s_mov_b64 s[22:23], 0
	s_mov_b64 s[0:1], s[14:15]
	s_branch .LBB440_292
.LBB440_279:
	s_andn2_saveexec_b64 s[24:25], s[24:25]
	s_cbranch_execz .LBB440_68
.LBB440_280:
	s_mov_b32 s28, 0x42800000
	v_add_f32_e64 v5, |v1|, s28
	v_and_b32_e32 v5, 0xff, v5
	v_cmp_ne_u32_e32 vcc, 0, v5
	s_andn2_b64 s[20:21], s[20:21], exec
	s_and_b64 s[28:29], vcc, exec
	s_or_b64 s[20:21], s[20:21], s[28:29]
	s_or_b64 exec, exec, s[24:25]
	v_mov_b32_e32 v6, 0
	s_and_saveexec_b64 s[24:25], s[20:21]
	s_cbranch_execnz .LBB440_69
	s_branch .LBB440_70
.LBB440_281:
	s_mov_b64 s[20:21], -1
                                        ; implicit-def: $vgpr2
	s_mov_b64 s[0:1], 0
.LBB440_282:
	s_and_b64 vcc, exec, s[22:23]
	s_cbranch_vccz .LBB440_398
; %bb.283:
	s_cmp_eq_u32 s26, 44
	s_cbranch_scc0 .LBB440_397
; %bb.284:
	global_load_ubyte v2, v[0:1], off
	s_mov_b64 s[0:1], -1
	s_mov_b64 s[20:21], 0
	s_waitcnt vmcnt(0)
	v_lshlrev_b32_e32 v3, 23, v2
	v_cvt_i32_f32_e32 v3, v3
	v_cmp_ne_u32_e32 vcc, 0, v2
	s_nop 1
	v_cndmask_b32_e32 v2, 0, v3, vcc
	s_branch .LBB440_398
.LBB440_285:
	s_mov_b64 s[26:27], -1
	s_mov_b64 s[22:23], 0
	s_mov_b64 s[0:1], s[14:15]
.LBB440_286:
	s_and_b64 vcc, exec, s[26:27]
	s_cbranch_vccz .LBB440_291
; %bb.287:
	s_cmp_eq_u32 s31, 44
	s_mov_b64 s[0:1], -1
	s_cbranch_scc0 .LBB440_291
; %bb.288:
	v_cvt_f32_i32_e32 v1, v0
	s_movk_i32 s0, 0xff
	v_mov_b32_e32 v6, 0xff
	v_bfe_u32 v5, v1, 23, 8
	v_cmp_ne_u32_e32 vcc, s0, v5
	s_and_saveexec_b64 s[22:23], vcc
; %bb.289:
	s_mov_b32 s0, 0x3fffff
	v_lshrrev_b32_e32 v6, 23, v1
	v_and_b32_e32 v7, 0x400000, v1
	v_and_or_b32 v1, v1, s0, v5
	v_cmp_ne_u32_e32 vcc, 0, v7
	v_cmp_ne_u32_e64 s[0:1], 0, v1
	s_and_b64 s[0:1], vcc, s[0:1]
	s_nop 0
	v_cndmask_b32_e64 v1, 0, 1, s[0:1]
	v_add_u32_e32 v6, v6, v1
; %bb.290:
	s_or_b64 exec, exec, s[22:23]
	s_mov_b64 s[22:23], -1
	s_mov_b64 s[0:1], 0
	global_store_byte v[2:3], v6, off
.LBB440_291:
	s_mov_b64 s[26:27], 0
.LBB440_292:
	s_and_b64 vcc, exec, s[26:27]
	s_cbranch_vccz .LBB440_295
; %bb.293:
	s_cmp_eq_u32 s31, 29
	s_mov_b64 s[0:1], -1
	s_cbranch_scc0 .LBB440_295
; %bb.294:
	v_ashrrev_i32_e32 v1, 31, v0
	global_store_dwordx2 v[2:3], v[0:1], off
	s_mov_b64 s[22:23], -1
	s_mov_b64 s[0:1], 0
.LBB440_295:
	s_mov_b64 s[26:27], 0
.LBB440_296:
	s_and_b64 vcc, exec, s[26:27]
	s_cbranch_vccz .LBB440_312
; %bb.297:
	s_cmp_lt_i32 s31, 27
	s_mov_b64 s[22:23], -1
	s_cbranch_scc1 .LBB440_303
; %bb.298:
	s_cmp_gt_i32 s31, 27
	s_cbranch_scc0 .LBB440_300
; %bb.299:
	s_mov_b64 s[22:23], 0
	global_store_dword v[2:3], v0, off
.LBB440_300:
	s_andn2_b64 vcc, exec, s[22:23]
	s_cbranch_vccnz .LBB440_302
; %bb.301:
	global_store_short v[2:3], v0, off
.LBB440_302:
	s_mov_b64 s[22:23], 0
.LBB440_303:
	s_andn2_b64 vcc, exec, s[22:23]
	s_cbranch_vccnz .LBB440_311
; %bb.304:
	v_cvt_f32_i32_e32 v1, v0
	s_mov_b32 s22, 0x43800000
	v_mov_b32_e32 v6, 0x80
	v_and_b32_e32 v5, 0x7fffffff, v1
	v_cmp_gt_u32_e32 vcc, s22, v5
	s_and_saveexec_b64 s[22:23], vcc
	s_cbranch_execz .LBB440_310
; %bb.305:
	s_mov_b32 s26, 0x3bffffff
	v_cmp_lt_u32_e32 vcc, s26, v5
	s_mov_b64 s[26:27], 0
                                        ; implicit-def: $vgpr5
	s_and_saveexec_b64 s[28:29], vcc
	s_xor_b64 s[28:29], exec, s[28:29]
	s_cbranch_execz .LBB440_518
; %bb.306:
	v_bfe_u32 v5, v1, 20, 1
	s_mov_b32 s34, 0x487ffff
	v_add3_u32 v5, v1, v5, s34
	s_mov_b64 s[26:27], exec
	v_lshrrev_b32_e32 v5, 20, v5
	s_andn2_saveexec_b64 s[28:29], s[28:29]
	s_cbranch_execnz .LBB440_519
.LBB440_307:
	s_or_b64 exec, exec, s[28:29]
	v_mov_b32_e32 v6, 0
	s_and_saveexec_b64 s[28:29], s[26:27]
.LBB440_308:
	v_lshrrev_b32_e32 v1, 24, v1
	s_movk_i32 s26, 0x80
	v_and_or_b32 v6, v1, s26, v5
.LBB440_309:
	s_or_b64 exec, exec, s[28:29]
.LBB440_310:
	s_or_b64 exec, exec, s[22:23]
	global_store_byte v[2:3], v6, off
.LBB440_311:
	s_mov_b64 s[22:23], -1
.LBB440_312:
	s_mov_b64 s[26:27], 0
.LBB440_313:
	s_and_b64 vcc, exec, s[26:27]
	s_cbranch_vccz .LBB440_354
; %bb.314:
	s_cmp_gt_i32 s31, 22
	s_mov_b64 s[26:27], -1
	s_cbranch_scc0 .LBB440_346
; %bb.315:
	s_cmp_lt_i32 s31, 24
	s_mov_b64 s[22:23], -1
	s_cbranch_scc1 .LBB440_335
; %bb.316:
	s_cmp_gt_i32 s31, 24
	s_cbranch_scc0 .LBB440_324
; %bb.317:
	v_cvt_f32_i32_e32 v1, v0
	s_mov_b32 s22, 0x47800000
	v_mov_b32_e32 v6, 0x80
	v_and_b32_e32 v5, 0x7fffffff, v1
	v_cmp_gt_u32_e32 vcc, s22, v5
	s_and_saveexec_b64 s[22:23], vcc
	s_cbranch_execz .LBB440_323
; %bb.318:
	s_mov_b32 s26, 0x37ffffff
	v_cmp_lt_u32_e32 vcc, s26, v5
	s_mov_b64 s[26:27], 0
                                        ; implicit-def: $vgpr5
	s_and_saveexec_b64 s[28:29], vcc
	s_xor_b64 s[28:29], exec, s[28:29]
	s_cbranch_execz .LBB440_521
; %bb.319:
	v_bfe_u32 v5, v1, 21, 1
	s_mov_b32 s34, 0x88fffff
	v_add3_u32 v5, v1, v5, s34
	s_mov_b64 s[26:27], exec
	v_lshrrev_b32_e32 v5, 21, v5
	s_andn2_saveexec_b64 s[28:29], s[28:29]
	s_cbranch_execnz .LBB440_522
.LBB440_320:
	s_or_b64 exec, exec, s[28:29]
	v_mov_b32_e32 v6, 0
	s_and_saveexec_b64 s[28:29], s[26:27]
.LBB440_321:
	v_lshrrev_b32_e32 v1, 24, v1
	s_movk_i32 s26, 0x80
	v_and_or_b32 v6, v1, s26, v5
.LBB440_322:
	s_or_b64 exec, exec, s[28:29]
.LBB440_323:
	s_or_b64 exec, exec, s[22:23]
	s_mov_b64 s[22:23], 0
	global_store_byte v[2:3], v6, off
.LBB440_324:
	s_and_b64 vcc, exec, s[22:23]
	s_cbranch_vccz .LBB440_334
; %bb.325:
	v_cvt_f32_i32_e32 v1, v0
	s_mov_b32 s22, 0x43f00000
                                        ; implicit-def: $vgpr5
	v_and_b32_e32 v6, 0x7fffffff, v1
	v_cmp_gt_u32_e32 vcc, s22, v6
	s_and_saveexec_b64 s[22:23], vcc
	s_xor_b64 s[22:23], exec, s[22:23]
	s_cbranch_execz .LBB440_331
; %bb.326:
	s_mov_b32 s26, 0x3c7fffff
	v_cmp_lt_u32_e32 vcc, s26, v6
                                        ; implicit-def: $vgpr5
	s_and_saveexec_b64 s[26:27], vcc
	s_xor_b64 s[26:27], exec, s[26:27]
; %bb.327:
	v_bfe_u32 v5, v1, 20, 1
	s_mov_b32 s28, 0x407ffff
	v_add3_u32 v5, v1, v5, s28
	v_lshrrev_b32_e32 v6, 20, v5
	v_and_b32_e32 v5, 0xff00000, v5
	s_mov_b32 s28, 0x7f00000
	v_mov_b32_e32 v7, 0x7e
	v_cmp_ne_u32_e32 vcc, s28, v5
	s_nop 1
	v_cndmask_b32_e32 v5, v7, v6, vcc
; %bb.328:
	s_andn2_saveexec_b64 s[26:27], s[26:27]
; %bb.329:
	s_mov_b32 s28, 0x46800000
	v_add_f32_e64 v5, |v1|, s28
; %bb.330:
	s_or_b64 exec, exec, s[26:27]
                                        ; implicit-def: $vgpr6
.LBB440_331:
	s_andn2_saveexec_b64 s[22:23], s[22:23]
; %bb.332:
	s_mov_b32 s26, 0x7f800000
	v_mov_b32_e32 v5, 0x7e
	v_mov_b32_e32 v7, 0x7f
	v_cmp_lt_u32_e32 vcc, s26, v6
	s_nop 1
	v_cndmask_b32_e32 v5, v5, v7, vcc
; %bb.333:
	s_or_b64 exec, exec, s[22:23]
	v_lshrrev_b32_e32 v1, 24, v1
	s_movk_i32 s22, 0x80
	v_and_or_b32 v1, v1, s22, v5
	global_store_byte v[2:3], v1, off
.LBB440_334:
	s_mov_b64 s[22:23], 0
.LBB440_335:
	s_andn2_b64 vcc, exec, s[22:23]
	s_cbranch_vccnz .LBB440_345
; %bb.336:
	v_cvt_f32_i32_e32 v1, v0
	s_mov_b32 s22, 0x47800000
                                        ; implicit-def: $vgpr5
	v_and_b32_e32 v6, 0x7fffffff, v1
	v_cmp_gt_u32_e32 vcc, s22, v6
	s_and_saveexec_b64 s[22:23], vcc
	s_xor_b64 s[22:23], exec, s[22:23]
	s_cbranch_execz .LBB440_342
; %bb.337:
	s_mov_b32 s26, 0x387fffff
	v_cmp_lt_u32_e32 vcc, s26, v6
                                        ; implicit-def: $vgpr5
	s_and_saveexec_b64 s[26:27], vcc
	s_xor_b64 s[26:27], exec, s[26:27]
; %bb.338:
	v_bfe_u32 v5, v1, 21, 1
	s_mov_b32 s28, 0x80fffff
	v_add3_u32 v5, v1, v5, s28
	v_lshrrev_b32_e32 v5, 21, v5
; %bb.339:
	s_andn2_saveexec_b64 s[26:27], s[26:27]
; %bb.340:
	s_mov_b32 s28, 0x43000000
	v_add_f32_e64 v5, |v1|, s28
; %bb.341:
	s_or_b64 exec, exec, s[26:27]
                                        ; implicit-def: $vgpr6
.LBB440_342:
	s_andn2_saveexec_b64 s[22:23], s[22:23]
; %bb.343:
	s_mov_b32 s26, 0x7f800000
	v_mov_b32_e32 v5, 0x7c
	v_mov_b32_e32 v7, 0x7f
	v_cmp_lt_u32_e32 vcc, s26, v6
	s_nop 1
	v_cndmask_b32_e32 v5, v5, v7, vcc
; %bb.344:
	s_or_b64 exec, exec, s[22:23]
	v_lshrrev_b32_e32 v1, 24, v1
	s_movk_i32 s22, 0x80
	v_and_or_b32 v1, v1, s22, v5
	global_store_byte v[2:3], v1, off
.LBB440_345:
	s_mov_b64 s[26:27], 0
	s_mov_b64 s[22:23], -1
.LBB440_346:
	s_andn2_b64 vcc, exec, s[26:27]
	s_cbranch_vccnz .LBB440_354
; %bb.347:
	s_cmp_gt_i32 s31, 14
	s_mov_b64 s[26:27], -1
	s_cbranch_scc0 .LBB440_351
; %bb.348:
	s_cmp_eq_u32 s31, 15
	s_mov_b64 s[0:1], -1
	s_cbranch_scc0 .LBB440_350
; %bb.349:
	v_cvt_f32_i32_e32 v1, v0
	s_movk_i32 s0, 0x7fff
	s_mov_b64 s[22:23], -1
	v_bfe_u32 v5, v1, 16, 1
	v_add3_u32 v1, v1, v5, s0
	global_store_short_d16_hi v[2:3], v1, off
	s_mov_b64 s[0:1], 0
.LBB440_350:
	s_mov_b64 s[26:27], 0
.LBB440_351:
	s_and_b64 vcc, exec, s[26:27]
	s_cbranch_vccz .LBB440_354
; %bb.352:
	s_cmp_eq_u32 s31, 11
	s_mov_b64 s[0:1], -1
	s_cbranch_scc0 .LBB440_354
; %bb.353:
	v_cmp_ne_u32_e32 vcc, 0, v0
	s_mov_b64 s[22:23], -1
	s_mov_b64 s[0:1], 0
	v_cndmask_b32_e64 v1, 0, 1, vcc
	global_store_byte v[2:3], v1, off
.LBB440_354:
	s_mov_b64 s[26:27], 0
.LBB440_355:
	s_and_b64 vcc, exec, s[26:27]
	s_cbranch_vccz .LBB440_394
; %bb.356:
	s_and_b32 s26, 0xffff, s30
	s_cmp_lt_i32 s26, 5
	s_mov_b64 s[22:23], -1
	s_cbranch_scc1 .LBB440_377
; %bb.357:
	s_cmp_lt_i32 s26, 8
	s_cbranch_scc1 .LBB440_367
; %bb.358:
	s_cmp_lt_i32 s26, 9
	s_cbranch_scc1 .LBB440_364
; %bb.359:
	s_cmp_gt_i32 s26, 9
	s_cbranch_scc0 .LBB440_361
; %bb.360:
	v_mov_b32_e32 v8, 0
	v_cvt_f64_i32_e32 v[6:7], v0
	v_mov_b32_e32 v9, v8
	s_mov_b64 s[22:23], 0
	global_store_dwordx4 v[2:3], v[6:9], off
.LBB440_361:
	s_andn2_b64 vcc, exec, s[22:23]
	s_cbranch_vccnz .LBB440_363
; %bb.362:
	v_cvt_f32_i32_e32 v6, v0
	v_mov_b32_e32 v7, 0
	global_store_dwordx2 v[2:3], v[6:7], off
.LBB440_363:
	s_mov_b64 s[22:23], 0
.LBB440_364:
	s_andn2_b64 vcc, exec, s[22:23]
	s_cbranch_vccnz .LBB440_366
; %bb.365:
	v_cvt_f32_i32_e32 v1, v0
	v_cvt_f16_f32_e32 v1, v1
	global_store_dword v[2:3], v1, off
.LBB440_366:
	s_mov_b64 s[22:23], 0
.LBB440_367:
	s_andn2_b64 vcc, exec, s[22:23]
	s_cbranch_vccnz .LBB440_376
; %bb.368:
	s_cmp_lt_i32 s26, 6
	s_mov_b64 s[22:23], -1
	s_cbranch_scc1 .LBB440_374
; %bb.369:
	s_cmp_gt_i32 s26, 6
	s_cbranch_scc0 .LBB440_371
; %bb.370:
	v_cvt_f64_i32_e32 v[6:7], v0
	s_mov_b64 s[22:23], 0
	global_store_dwordx2 v[2:3], v[6:7], off
.LBB440_371:
	s_andn2_b64 vcc, exec, s[22:23]
	s_cbranch_vccnz .LBB440_373
; %bb.372:
	v_cvt_f32_i32_e32 v1, v0
	global_store_dword v[2:3], v1, off
.LBB440_373:
	s_mov_b64 s[22:23], 0
.LBB440_374:
	s_andn2_b64 vcc, exec, s[22:23]
	s_cbranch_vccnz .LBB440_376
; %bb.375:
	v_cvt_f32_i32_e32 v1, v0
	v_cvt_f16_f32_e32 v1, v1
	global_store_short v[2:3], v1, off
.LBB440_376:
	s_mov_b64 s[22:23], 0
.LBB440_377:
	s_andn2_b64 vcc, exec, s[22:23]
	s_cbranch_vccnz .LBB440_393
; %bb.378:
	s_cmp_lt_i32 s26, 2
	s_mov_b64 s[22:23], -1
	s_cbranch_scc1 .LBB440_388
; %bb.379:
	s_cmp_lt_i32 s26, 3
	s_cbranch_scc1 .LBB440_385
; %bb.380:
	s_cmp_gt_i32 s26, 3
	s_cbranch_scc0 .LBB440_382
; %bb.381:
	v_ashrrev_i32_e32 v1, 31, v0
	s_mov_b64 s[22:23], 0
	global_store_dwordx2 v[2:3], v[0:1], off
.LBB440_382:
	s_andn2_b64 vcc, exec, s[22:23]
	s_cbranch_vccnz .LBB440_384
; %bb.383:
	global_store_dword v[2:3], v0, off
.LBB440_384:
	s_mov_b64 s[22:23], 0
.LBB440_385:
	s_andn2_b64 vcc, exec, s[22:23]
	s_cbranch_vccnz .LBB440_387
; %bb.386:
	global_store_short v[2:3], v0, off
.LBB440_387:
	s_mov_b64 s[22:23], 0
.LBB440_388:
	s_andn2_b64 vcc, exec, s[22:23]
	s_cbranch_vccnz .LBB440_393
; %bb.389:
	s_cmp_gt_i32 s26, 0
	s_mov_b64 s[22:23], -1
	s_cbranch_scc0 .LBB440_391
; %bb.390:
	s_mov_b64 s[22:23], 0
	global_store_byte v[2:3], v0, off
.LBB440_391:
	s_andn2_b64 vcc, exec, s[22:23]
	s_cbranch_vccnz .LBB440_393
; %bb.392:
	global_store_byte v[2:3], v0, off
.LBB440_393:
	s_mov_b64 s[22:23], -1
.LBB440_394:
	s_andn2_b64 vcc, exec, s[22:23]
	s_cbranch_vccnz .LBB440_396
; %bb.395:
	v_add_u32_e32 v4, 0x80, v4
	s_mov_b64 s[26:27], -1
	s_branch .LBB440_504
.LBB440_396:
	s_mov_b64 s[26:27], 0
                                        ; implicit-def: $vgpr4
	s_branch .LBB440_504
.LBB440_397:
	s_mov_b64 s[20:21], -1
                                        ; implicit-def: $vgpr2
.LBB440_398:
	s_mov_b64 s[22:23], 0
.LBB440_399:
	s_and_b64 vcc, exec, s[22:23]
	s_cbranch_vccz .LBB440_403
; %bb.400:
	s_cmp_eq_u32 s26, 29
	s_cbranch_scc0 .LBB440_402
; %bb.401:
	global_load_dword v2, v[0:1], off
	s_mov_b64 s[0:1], -1
	s_mov_b64 s[20:21], 0
	s_branch .LBB440_403
.LBB440_402:
	s_mov_b64 s[20:21], -1
                                        ; implicit-def: $vgpr2
.LBB440_403:
	s_mov_b64 s[22:23], 0
.LBB440_404:
	s_and_b64 vcc, exec, s[22:23]
	s_cbranch_vccz .LBB440_420
; %bb.405:
	s_cmp_lt_i32 s26, 27
	s_cbranch_scc1 .LBB440_408
; %bb.406:
	s_cmp_gt_i32 s26, 27
	s_cbranch_scc0 .LBB440_409
; %bb.407:
	global_load_dword v2, v[0:1], off
	s_mov_b64 s[0:1], 0
	s_branch .LBB440_410
.LBB440_408:
	s_mov_b64 s[0:1], -1
                                        ; implicit-def: $vgpr2
	s_branch .LBB440_413
.LBB440_409:
	s_mov_b64 s[0:1], -1
                                        ; implicit-def: $vgpr2
.LBB440_410:
	s_andn2_b64 vcc, exec, s[0:1]
	s_cbranch_vccnz .LBB440_412
; %bb.411:
	global_load_ushort v2, v[0:1], off
.LBB440_412:
	s_mov_b64 s[0:1], 0
.LBB440_413:
	s_andn2_b64 vcc, exec, s[0:1]
	s_cbranch_vccnz .LBB440_419
; %bb.414:
	global_load_ubyte v3, v[0:1], off
	s_movk_i32 s0, 0x7f
	s_mov_b64 s[22:23], 0
	s_waitcnt vmcnt(0)
	v_cmp_lt_i16_e32 vcc, s0, v3
	s_and_saveexec_b64 s[0:1], vcc
	s_xor_b64 s[0:1], exec, s[0:1]
	s_cbranch_execz .LBB440_431
; %bb.415:
	s_movk_i32 s22, 0x80
	v_cmp_ne_u16_e32 vcc, s22, v3
	s_and_b64 s[22:23], vcc, exec
	s_andn2_saveexec_b64 s[0:1], s[0:1]
	s_cbranch_execnz .LBB440_432
.LBB440_416:
	s_or_b64 exec, exec, s[0:1]
	v_mov_b32_e32 v2, 0
	s_and_saveexec_b64 s[0:1], s[22:23]
	s_cbranch_execz .LBB440_418
.LBB440_417:
	v_lshlrev_b32_e32 v2, 24, v3
	v_and_b32_e32 v3, 0xffff, v3
	v_and_b32_e32 v5, 7, v3
	v_ffbh_u32_e32 v7, v5
	v_min_u32_e32 v7, 32, v7
	v_subrev_u32_e32 v8, 28, v7
	v_bfe_u32 v6, v3, 3, 4
	v_lshlrev_b32_e32 v3, v8, v3
	v_sub_u32_e32 v7, 29, v7
	v_and_b32_e32 v3, 7, v3
	v_cmp_eq_u32_e32 vcc, 0, v6
	v_and_b32_e32 v2, 0x80000000, v2
	s_nop 0
	v_cndmask_b32_e32 v6, v6, v7, vcc
	v_cndmask_b32_e32 v3, v5, v3, vcc
	v_mov_b32_e32 v5, 0x3b800000
	v_lshlrev_b32_e32 v3, 20, v3
	v_lshl_add_u32 v5, v6, 23, v5
	v_or3_b32 v2, v2, v5, v3
	v_cvt_i32_f32_e32 v2, v2
.LBB440_418:
	s_or_b64 exec, exec, s[0:1]
.LBB440_419:
	s_mov_b64 s[0:1], -1
.LBB440_420:
	s_mov_b64 s[22:23], 0
.LBB440_421:
	s_and_b64 vcc, exec, s[22:23]
	s_cbranch_vccz .LBB440_454
; %bb.422:
	s_cmp_gt_i32 s26, 22
	s_cbranch_scc0 .LBB440_430
; %bb.423:
	s_cmp_lt_i32 s26, 24
	s_cbranch_scc1 .LBB440_433
; %bb.424:
	s_cmp_gt_i32 s26, 24
	s_cbranch_scc0 .LBB440_434
; %bb.425:
	global_load_ubyte v3, v[0:1], off
	s_movk_i32 s0, 0x7f
	s_mov_b64 s[22:23], 0
	s_waitcnt vmcnt(0)
	v_cmp_lt_i16_e32 vcc, s0, v3
	s_and_saveexec_b64 s[0:1], vcc
	s_xor_b64 s[0:1], exec, s[0:1]
	s_cbranch_execz .LBB440_446
; %bb.426:
	s_movk_i32 s22, 0x80
	v_cmp_ne_u16_e32 vcc, s22, v3
	s_and_b64 s[22:23], vcc, exec
	s_andn2_saveexec_b64 s[0:1], s[0:1]
	s_cbranch_execnz .LBB440_447
.LBB440_427:
	s_or_b64 exec, exec, s[0:1]
	v_mov_b32_e32 v2, 0
	s_and_saveexec_b64 s[0:1], s[22:23]
	s_cbranch_execz .LBB440_429
.LBB440_428:
	v_lshlrev_b32_e32 v2, 24, v3
	v_and_b32_e32 v3, 0xffff, v3
	v_and_b32_e32 v5, 3, v3
	v_ffbh_u32_e32 v7, v5
	v_min_u32_e32 v7, 32, v7
	v_subrev_u32_e32 v8, 29, v7
	v_bfe_u32 v6, v3, 2, 5
	v_lshlrev_b32_e32 v3, v8, v3
	v_sub_u32_e32 v7, 30, v7
	v_and_b32_e32 v3, 3, v3
	v_cmp_eq_u32_e32 vcc, 0, v6
	v_and_b32_e32 v2, 0x80000000, v2
	s_nop 0
	v_cndmask_b32_e32 v6, v6, v7, vcc
	v_cndmask_b32_e32 v3, v5, v3, vcc
	v_mov_b32_e32 v5, 0x37800000
	v_lshlrev_b32_e32 v3, 21, v3
	v_lshl_add_u32 v5, v6, 23, v5
	v_or3_b32 v2, v2, v5, v3
	v_cvt_i32_f32_e32 v2, v2
.LBB440_429:
	s_or_b64 exec, exec, s[0:1]
	s_mov_b64 s[0:1], 0
	s_branch .LBB440_435
.LBB440_430:
	s_mov_b64 s[22:23], -1
                                        ; implicit-def: $vgpr2
	s_branch .LBB440_441
.LBB440_431:
	s_andn2_saveexec_b64 s[0:1], s[0:1]
	s_cbranch_execz .LBB440_416
.LBB440_432:
	v_cmp_ne_u16_e32 vcc, 0, v3
	s_andn2_b64 s[22:23], s[22:23], exec
	s_and_b64 s[28:29], vcc, exec
	s_or_b64 s[22:23], s[22:23], s[28:29]
	s_or_b64 exec, exec, s[0:1]
	v_mov_b32_e32 v2, 0
	s_and_saveexec_b64 s[0:1], s[22:23]
	s_cbranch_execnz .LBB440_417
	s_branch .LBB440_418
.LBB440_433:
	s_mov_b64 s[0:1], -1
                                        ; implicit-def: $vgpr2
	s_branch .LBB440_438
.LBB440_434:
	s_mov_b64 s[0:1], -1
                                        ; implicit-def: $vgpr2
.LBB440_435:
	s_and_b64 vcc, exec, s[0:1]
	s_cbranch_vccz .LBB440_437
; %bb.436:
	global_load_ubyte v2, v[0:1], off
	s_mov_b32 s0, 0x7f800000
	s_waitcnt vmcnt(0)
	v_lshlrev_b32_e32 v2, 24, v2
	v_and_b32_e32 v3, 0x7f000000, v2
	v_ffbh_u32_e32 v5, v3
	v_min_u32_e32 v5, 32, v5
	v_sub_u32_e64 v5, v5, 4 clamp
	v_lshlrev_b32_e32 v7, v5, v3
	v_lshlrev_b32_e32 v5, 23, v5
	v_lshrrev_b32_e32 v7, 4, v7
	v_add_u32_e32 v6, 0x1000000, v3
	v_sub_u32_e32 v5, v7, v5
	v_ashrrev_i32_e32 v6, 8, v6
	v_add_u32_e32 v5, 0x3c000000, v5
	v_and_or_b32 v5, v6, s0, v5
	v_cmp_ne_u32_e32 vcc, 0, v3
	s_brev_b32 s0, 1
	s_nop 0
	v_cndmask_b32_e32 v3, 0, v5, vcc
	v_and_or_b32 v2, v2, s0, v3
	v_cvt_i32_f32_e32 v2, v2
.LBB440_437:
	s_mov_b64 s[0:1], 0
.LBB440_438:
	s_andn2_b64 vcc, exec, s[0:1]
	s_cbranch_vccnz .LBB440_440
; %bb.439:
	global_load_ubyte v2, v[0:1], off
	s_movk_i32 s0, 0x7f00
	s_brev_b32 s1, 16
	s_waitcnt vmcnt(0)
	v_lshlrev_b16_e32 v3, 8, v2
	v_lshlrev_b32_e32 v2, 25, v2
	v_lshrrev_b32_e32 v5, 4, v2
	v_and_or_b32 v6, v3, s0, 0.5
	v_or_b32_e32 v5, 0x70000000, v5
	v_add_f32_e32 v6, -0.5, v6
	v_mul_f32_e32 v5, 0x7800000, v5
	v_cmp_gt_u32_e32 vcc, s1, v2
	v_bfe_i32 v3, v3, 0, 16
	s_brev_b32 s0, 1
	v_cndmask_b32_e32 v2, v5, v6, vcc
	v_and_or_b32 v2, v3, s0, v2
	v_cvt_i32_f32_e32 v2, v2
.LBB440_440:
	s_mov_b64 s[22:23], 0
	s_mov_b64 s[0:1], -1
.LBB440_441:
	s_andn2_b64 vcc, exec, s[22:23]
	s_cbranch_vccnz .LBB440_454
; %bb.442:
	s_cmp_gt_i32 s26, 14
	s_cbranch_scc0 .LBB440_445
; %bb.443:
	s_cmp_eq_u32 s26, 15
	s_cbranch_scc0 .LBB440_448
; %bb.444:
	global_load_ushort v2, v[0:1], off
	s_mov_b64 s[0:1], -1
	s_mov_b64 s[20:21], 0
	s_waitcnt vmcnt(0)
	v_lshlrev_b32_e32 v2, 16, v2
	v_cvt_i32_f32_e32 v2, v2
	s_branch .LBB440_449
.LBB440_445:
	s_mov_b64 s[22:23], -1
                                        ; implicit-def: $vgpr2
	s_branch .LBB440_450
.LBB440_446:
	s_andn2_saveexec_b64 s[0:1], s[0:1]
	s_cbranch_execz .LBB440_427
.LBB440_447:
	v_cmp_ne_u16_e32 vcc, 0, v3
	s_andn2_b64 s[22:23], s[22:23], exec
	s_and_b64 s[28:29], vcc, exec
	s_or_b64 s[22:23], s[22:23], s[28:29]
	s_or_b64 exec, exec, s[0:1]
	v_mov_b32_e32 v2, 0
	s_and_saveexec_b64 s[0:1], s[22:23]
	s_cbranch_execnz .LBB440_428
	s_branch .LBB440_429
.LBB440_448:
	s_mov_b64 s[20:21], -1
                                        ; implicit-def: $vgpr2
.LBB440_449:
	s_mov_b64 s[22:23], 0
.LBB440_450:
	s_and_b64 vcc, exec, s[22:23]
	s_cbranch_vccz .LBB440_454
; %bb.451:
	s_cmp_eq_u32 s26, 11
	s_cbranch_scc0 .LBB440_453
; %bb.452:
	global_load_ubyte v2, v[0:1], off
	s_mov_b64 s[0:1], -1
	s_mov_b64 s[20:21], 0
	s_waitcnt vmcnt(0)
	v_cmp_ne_u16_e32 vcc, 0, v2
	s_nop 1
	v_cndmask_b32_e64 v2, 0, 1, vcc
	s_branch .LBB440_454
.LBB440_453:
	s_mov_b64 s[20:21], -1
                                        ; implicit-def: $vgpr2
.LBB440_454:
	s_branch .LBB440_261
.LBB440_455:
	s_cmp_lt_i32 s26, 5
	s_cbranch_scc1 .LBB440_460
; %bb.456:
	s_cmp_lt_i32 s26, 8
	s_cbranch_scc1 .LBB440_461
; %bb.457:
	;; [unrolled: 3-line block ×3, first 2 shown]
	s_cmp_gt_i32 s26, 9
	s_cbranch_scc0 .LBB440_463
; %bb.459:
	global_load_dwordx2 v[2:3], v[0:1], off
	s_mov_b64 s[0:1], 0
	s_waitcnt vmcnt(0)
	v_cvt_i32_f64_e32 v2, v[2:3]
	s_branch .LBB440_464
.LBB440_460:
	s_mov_b64 s[0:1], -1
                                        ; implicit-def: $vgpr2
	s_branch .LBB440_482
.LBB440_461:
	s_mov_b64 s[0:1], -1
                                        ; implicit-def: $vgpr2
	s_branch .LBB440_470
.LBB440_462:
	s_mov_b64 s[0:1], -1
                                        ; implicit-def: $vgpr2
	s_branch .LBB440_467
.LBB440_463:
	s_mov_b64 s[0:1], -1
                                        ; implicit-def: $vgpr2
.LBB440_464:
	s_andn2_b64 vcc, exec, s[0:1]
	s_cbranch_vccnz .LBB440_466
; %bb.465:
	global_load_dword v2, v[0:1], off
	s_waitcnt vmcnt(0)
	v_cvt_i32_f32_e32 v2, v2
.LBB440_466:
	s_mov_b64 s[0:1], 0
.LBB440_467:
	s_andn2_b64 vcc, exec, s[0:1]
	s_cbranch_vccnz .LBB440_469
; %bb.468:
	global_load_dword v2, v[0:1], off
	s_waitcnt vmcnt(0)
	v_cvt_f32_f16_e32 v2, v2
	v_cvt_i32_f32_e32 v2, v2
.LBB440_469:
	s_mov_b64 s[0:1], 0
.LBB440_470:
	s_andn2_b64 vcc, exec, s[0:1]
	s_cbranch_vccnz .LBB440_481
; %bb.471:
	s_cmp_lt_i32 s26, 6
	s_cbranch_scc1 .LBB440_474
; %bb.472:
	s_cmp_gt_i32 s26, 6
	s_cbranch_scc0 .LBB440_475
; %bb.473:
	global_load_dwordx2 v[2:3], v[0:1], off
	s_mov_b64 s[0:1], 0
	s_waitcnt vmcnt(0)
	v_cvt_i32_f64_e32 v2, v[2:3]
	s_branch .LBB440_476
.LBB440_474:
	s_mov_b64 s[0:1], -1
                                        ; implicit-def: $vgpr2
	s_branch .LBB440_479
.LBB440_475:
	s_mov_b64 s[0:1], -1
                                        ; implicit-def: $vgpr2
.LBB440_476:
	s_andn2_b64 vcc, exec, s[0:1]
	s_cbranch_vccnz .LBB440_478
; %bb.477:
	global_load_dword v2, v[0:1], off
	s_waitcnt vmcnt(0)
	v_cvt_i32_f32_e32 v2, v2
.LBB440_478:
	s_mov_b64 s[0:1], 0
.LBB440_479:
	s_andn2_b64 vcc, exec, s[0:1]
	s_cbranch_vccnz .LBB440_481
; %bb.480:
	global_load_ushort v2, v[0:1], off
	s_waitcnt vmcnt(0)
	v_cvt_f32_f16_e32 v2, v2
	v_cvt_i32_f32_e32 v2, v2
.LBB440_481:
	s_mov_b64 s[0:1], 0
.LBB440_482:
	s_andn2_b64 vcc, exec, s[0:1]
	s_cbranch_vccnz .LBB440_502
; %bb.483:
	s_cmp_lt_i32 s26, 2
	s_cbranch_scc1 .LBB440_487
; %bb.484:
	s_cmp_lt_i32 s26, 3
	s_cbranch_scc1 .LBB440_488
; %bb.485:
	s_cmp_gt_i32 s26, 3
	s_cbranch_scc0 .LBB440_489
; %bb.486:
	global_load_dword v2, v[0:1], off
	s_mov_b64 s[0:1], 0
	s_branch .LBB440_490
.LBB440_487:
	s_mov_b64 s[0:1], -1
                                        ; implicit-def: $vgpr2
	s_branch .LBB440_496
.LBB440_488:
	s_mov_b64 s[0:1], -1
                                        ; implicit-def: $vgpr2
	s_branch .LBB440_493
.LBB440_489:
	s_mov_b64 s[0:1], -1
                                        ; implicit-def: $vgpr2
.LBB440_490:
	s_andn2_b64 vcc, exec, s[0:1]
	s_cbranch_vccnz .LBB440_492
; %bb.491:
	global_load_dword v2, v[0:1], off
.LBB440_492:
	s_mov_b64 s[0:1], 0
.LBB440_493:
	s_andn2_b64 vcc, exec, s[0:1]
	s_cbranch_vccnz .LBB440_495
; %bb.494:
	global_load_sshort v2, v[0:1], off
.LBB440_495:
	s_mov_b64 s[0:1], 0
.LBB440_496:
	s_andn2_b64 vcc, exec, s[0:1]
	s_cbranch_vccnz .LBB440_502
; %bb.497:
	s_cmp_gt_i32 s26, 0
	s_cbranch_scc0 .LBB440_499
; %bb.498:
	global_load_sbyte v2, v[0:1], off
	s_mov_b64 s[0:1], 0
	s_branch .LBB440_500
.LBB440_499:
	s_mov_b64 s[0:1], -1
                                        ; implicit-def: $vgpr2
.LBB440_500:
	s_andn2_b64 vcc, exec, s[0:1]
	s_cbranch_vccnz .LBB440_502
; %bb.501:
	global_load_ubyte v2, v[0:1], off
.LBB440_502:
	s_branch .LBB440_262
.LBB440_503:
	s_mov_b64 s[26:27], 0
                                        ; implicit-def: $vgpr4
	s_mov_b64 s[0:1], s[14:15]
.LBB440_504:
	s_andn2_b64 s[22:23], s[14:15], exec
	s_and_b64 s[0:1], s[0:1], exec
	s_or_b64 s[22:23], s[22:23], s[0:1]
	s_andn2_b64 s[0:1], s[16:17], exec
	s_and_b64 s[20:21], s[20:21], exec
	s_or_b64 s[20:21], s[0:1], s[20:21]
	s_orn2_b64 s[0:1], s[26:27], exec
.LBB440_505:
	s_or_b64 exec, exec, s[24:25]
	s_mov_b64 s[26:27], 0
	s_mov_b64 s[28:29], 0
	;; [unrolled: 1-line block ×3, first 2 shown]
                                        ; implicit-def: $vgpr0_vgpr1
                                        ; implicit-def: $vgpr5
	s_and_saveexec_b64 s[24:25], s[0:1]
	s_cbranch_execz .LBB440_842
; %bb.506:
	v_cmp_gt_i32_e32 vcc, s40, v4
	s_mov_b64 s[36:37], -1
	s_mov_b64 s[0:1], s[20:21]
	s_mov_b64 s[30:31], s[22:23]
	s_and_saveexec_b64 s[26:27], vcc
	s_cbranch_execz .LBB440_760
; %bb.507:
	v_mul_lo_u32 v0, v4, s9
	v_ashrrev_i32_e32 v1, 31, v0
	s_and_b32 s34, 0xffff, s11
	s_cmp_lt_i32 s34, 11
	v_lshl_add_u64 v[0:1], s[6:7], 0, v[0:1]
	s_cbranch_scc1 .LBB440_514
; %bb.508:
	s_cmp_gt_i32 s34, 25
	s_cbranch_scc0 .LBB440_515
; %bb.509:
	s_cmp_gt_i32 s34, 28
	s_cbranch_scc0 .LBB440_516
	;; [unrolled: 3-line block ×4, first 2 shown]
; %bb.512:
	s_cmp_eq_u32 s34, 46
	s_mov_b64 s[30:31], 0
	s_cbranch_scc0 .LBB440_523
; %bb.513:
	global_load_dword v2, v[0:1], off
	s_mov_b64 s[0:1], -1
	s_waitcnt vmcnt(0)
	v_lshlrev_b32_e32 v2, 16, v2
	v_cvt_i32_f32_e32 v2, v2
	s_branch .LBB440_524
.LBB440_514:
	s_mov_b64 s[30:31], -1
	s_mov_b64 s[0:1], 0
                                        ; implicit-def: $vgpr2
	s_mov_b64 s[28:29], s[20:21]
	s_branch .LBB440_585
.LBB440_515:
	s_mov_b64 s[30:31], -1
	s_mov_b64 s[0:1], 0
	s_mov_b64 s[28:29], s[20:21]
                                        ; implicit-def: $vgpr2
	s_branch .LBB440_551
.LBB440_516:
	s_mov_b64 s[30:31], -1
	s_mov_b64 s[0:1], 0
	s_mov_b64 s[28:29], s[20:21]
                                        ; implicit-def: $vgpr2
	s_branch .LBB440_534
.LBB440_517:
	s_mov_b64 s[30:31], -1
	s_mov_b64 s[0:1], 0
	s_mov_b64 s[28:29], s[20:21]
                                        ; implicit-def: $vgpr2
	s_branch .LBB440_529
.LBB440_518:
	s_andn2_saveexec_b64 s[28:29], s[28:29]
	s_cbranch_execz .LBB440_307
.LBB440_519:
	s_mov_b32 s34, 0x46000000
	v_add_f32_e64 v5, |v1|, s34
	v_and_b32_e32 v5, 0xff, v5
	v_cmp_ne_u32_e32 vcc, 0, v5
	s_andn2_b64 s[26:27], s[26:27], exec
	s_and_b64 s[34:35], vcc, exec
	s_or_b64 s[26:27], s[26:27], s[34:35]
	s_or_b64 exec, exec, s[28:29]
	v_mov_b32_e32 v6, 0
	s_and_saveexec_b64 s[28:29], s[26:27]
	s_cbranch_execnz .LBB440_308
	s_branch .LBB440_309
.LBB440_520:
	s_mov_b64 s[30:31], -1
	s_mov_b64 s[0:1], 0
	s_mov_b64 s[28:29], s[20:21]
                                        ; implicit-def: $vgpr2
	s_branch .LBB440_524
.LBB440_521:
	s_andn2_saveexec_b64 s[28:29], s[28:29]
	s_cbranch_execz .LBB440_320
.LBB440_522:
	s_mov_b32 s34, 0x42800000
	v_add_f32_e64 v5, |v1|, s34
	v_and_b32_e32 v5, 0xff, v5
	v_cmp_ne_u32_e32 vcc, 0, v5
	s_andn2_b64 s[26:27], s[26:27], exec
	s_and_b64 s[34:35], vcc, exec
	s_or_b64 s[26:27], s[26:27], s[34:35]
	s_or_b64 exec, exec, s[28:29]
	v_mov_b32_e32 v6, 0
	s_and_saveexec_b64 s[28:29], s[26:27]
	s_cbranch_execnz .LBB440_321
	s_branch .LBB440_322
.LBB440_523:
	s_mov_b64 s[28:29], -1
                                        ; implicit-def: $vgpr2
	s_mov_b64 s[0:1], 0
.LBB440_524:
	s_and_b64 vcc, exec, s[30:31]
	s_cbranch_vccz .LBB440_528
; %bb.525:
	s_cmp_eq_u32 s34, 44
	s_cbranch_scc0 .LBB440_527
; %bb.526:
	global_load_ubyte v2, v[0:1], off
	s_mov_b64 s[0:1], -1
	s_mov_b64 s[28:29], 0
	s_waitcnt vmcnt(0)
	v_lshlrev_b32_e32 v3, 23, v2
	v_cvt_i32_f32_e32 v3, v3
	v_cmp_ne_u32_e32 vcc, 0, v2
	s_nop 1
	v_cndmask_b32_e32 v2, 0, v3, vcc
	s_branch .LBB440_528
.LBB440_527:
	s_mov_b64 s[28:29], -1
                                        ; implicit-def: $vgpr2
.LBB440_528:
	s_mov_b64 s[30:31], 0
.LBB440_529:
	s_and_b64 vcc, exec, s[30:31]
	s_cbranch_vccz .LBB440_533
; %bb.530:
	s_cmp_eq_u32 s34, 29
	s_cbranch_scc0 .LBB440_532
; %bb.531:
	global_load_dword v2, v[0:1], off
	s_mov_b64 s[0:1], -1
	s_mov_b64 s[28:29], 0
	s_branch .LBB440_533
.LBB440_532:
	s_mov_b64 s[28:29], -1
                                        ; implicit-def: $vgpr2
.LBB440_533:
	s_mov_b64 s[30:31], 0
.LBB440_534:
	s_and_b64 vcc, exec, s[30:31]
	s_cbranch_vccz .LBB440_550
; %bb.535:
	s_cmp_lt_i32 s34, 27
	s_cbranch_scc1 .LBB440_538
; %bb.536:
	s_cmp_gt_i32 s34, 27
	s_cbranch_scc0 .LBB440_539
; %bb.537:
	global_load_dword v2, v[0:1], off
	s_mov_b64 s[0:1], 0
	s_branch .LBB440_540
.LBB440_538:
	s_mov_b64 s[0:1], -1
                                        ; implicit-def: $vgpr2
	s_branch .LBB440_543
.LBB440_539:
	s_mov_b64 s[0:1], -1
                                        ; implicit-def: $vgpr2
.LBB440_540:
	s_andn2_b64 vcc, exec, s[0:1]
	s_cbranch_vccnz .LBB440_542
; %bb.541:
	global_load_ushort v2, v[0:1], off
.LBB440_542:
	s_mov_b64 s[0:1], 0
.LBB440_543:
	s_andn2_b64 vcc, exec, s[0:1]
	s_cbranch_vccnz .LBB440_549
; %bb.544:
	global_load_ubyte v3, v[0:1], off
	s_movk_i32 s0, 0x7f
	s_mov_b64 s[30:31], 0
	s_waitcnt vmcnt(0)
	v_cmp_lt_i16_e32 vcc, s0, v3
	s_and_saveexec_b64 s[0:1], vcc
	s_xor_b64 s[0:1], exec, s[0:1]
	s_cbranch_execz .LBB440_561
; %bb.545:
	s_movk_i32 s30, 0x80
	v_cmp_ne_u16_e32 vcc, s30, v3
	s_and_b64 s[30:31], vcc, exec
	s_andn2_saveexec_b64 s[0:1], s[0:1]
	s_cbranch_execnz .LBB440_562
.LBB440_546:
	s_or_b64 exec, exec, s[0:1]
	v_mov_b32_e32 v2, 0
	s_and_saveexec_b64 s[0:1], s[30:31]
	s_cbranch_execz .LBB440_548
.LBB440_547:
	v_lshlrev_b32_e32 v2, 24, v3
	v_and_b32_e32 v3, 0xffff, v3
	v_and_b32_e32 v5, 7, v3
	v_ffbh_u32_e32 v7, v5
	v_min_u32_e32 v7, 32, v7
	v_subrev_u32_e32 v8, 28, v7
	v_bfe_u32 v6, v3, 3, 4
	v_lshlrev_b32_e32 v3, v8, v3
	v_sub_u32_e32 v7, 29, v7
	v_and_b32_e32 v3, 7, v3
	v_cmp_eq_u32_e32 vcc, 0, v6
	v_and_b32_e32 v2, 0x80000000, v2
	s_nop 0
	v_cndmask_b32_e32 v6, v6, v7, vcc
	v_cndmask_b32_e32 v3, v5, v3, vcc
	v_mov_b32_e32 v5, 0x3b800000
	v_lshlrev_b32_e32 v3, 20, v3
	v_lshl_add_u32 v5, v6, 23, v5
	v_or3_b32 v2, v2, v5, v3
	v_cvt_i32_f32_e32 v2, v2
.LBB440_548:
	s_or_b64 exec, exec, s[0:1]
.LBB440_549:
	s_mov_b64 s[0:1], -1
.LBB440_550:
	s_mov_b64 s[30:31], 0
.LBB440_551:
	s_and_b64 vcc, exec, s[30:31]
	s_cbranch_vccz .LBB440_584
; %bb.552:
	s_cmp_gt_i32 s34, 22
	s_cbranch_scc0 .LBB440_560
; %bb.553:
	s_cmp_lt_i32 s34, 24
	s_cbranch_scc1 .LBB440_563
; %bb.554:
	s_cmp_gt_i32 s34, 24
	s_cbranch_scc0 .LBB440_564
; %bb.555:
	global_load_ubyte v3, v[0:1], off
	s_movk_i32 s0, 0x7f
	s_mov_b64 s[30:31], 0
	s_waitcnt vmcnt(0)
	v_cmp_lt_i16_e32 vcc, s0, v3
	s_and_saveexec_b64 s[0:1], vcc
	s_xor_b64 s[0:1], exec, s[0:1]
	s_cbranch_execz .LBB440_576
; %bb.556:
	s_movk_i32 s30, 0x80
	v_cmp_ne_u16_e32 vcc, s30, v3
	s_and_b64 s[30:31], vcc, exec
	s_andn2_saveexec_b64 s[0:1], s[0:1]
	s_cbranch_execnz .LBB440_577
.LBB440_557:
	s_or_b64 exec, exec, s[0:1]
	v_mov_b32_e32 v2, 0
	s_and_saveexec_b64 s[0:1], s[30:31]
	s_cbranch_execz .LBB440_559
.LBB440_558:
	v_lshlrev_b32_e32 v2, 24, v3
	v_and_b32_e32 v3, 0xffff, v3
	v_and_b32_e32 v5, 3, v3
	v_ffbh_u32_e32 v7, v5
	v_min_u32_e32 v7, 32, v7
	v_subrev_u32_e32 v8, 29, v7
	v_bfe_u32 v6, v3, 2, 5
	v_lshlrev_b32_e32 v3, v8, v3
	v_sub_u32_e32 v7, 30, v7
	v_and_b32_e32 v3, 3, v3
	v_cmp_eq_u32_e32 vcc, 0, v6
	v_and_b32_e32 v2, 0x80000000, v2
	s_nop 0
	v_cndmask_b32_e32 v6, v6, v7, vcc
	v_cndmask_b32_e32 v3, v5, v3, vcc
	v_mov_b32_e32 v5, 0x37800000
	v_lshlrev_b32_e32 v3, 21, v3
	v_lshl_add_u32 v5, v6, 23, v5
	v_or3_b32 v2, v2, v5, v3
	v_cvt_i32_f32_e32 v2, v2
.LBB440_559:
	s_or_b64 exec, exec, s[0:1]
	s_mov_b64 s[0:1], 0
	s_branch .LBB440_565
.LBB440_560:
	s_mov_b64 s[30:31], -1
                                        ; implicit-def: $vgpr2
	s_branch .LBB440_571
.LBB440_561:
	s_andn2_saveexec_b64 s[0:1], s[0:1]
	s_cbranch_execz .LBB440_546
.LBB440_562:
	v_cmp_ne_u16_e32 vcc, 0, v3
	s_andn2_b64 s[30:31], s[30:31], exec
	s_and_b64 s[36:37], vcc, exec
	s_or_b64 s[30:31], s[30:31], s[36:37]
	s_or_b64 exec, exec, s[0:1]
	v_mov_b32_e32 v2, 0
	s_and_saveexec_b64 s[0:1], s[30:31]
	s_cbranch_execnz .LBB440_547
	s_branch .LBB440_548
.LBB440_563:
	s_mov_b64 s[0:1], -1
                                        ; implicit-def: $vgpr2
	s_branch .LBB440_568
.LBB440_564:
	s_mov_b64 s[0:1], -1
                                        ; implicit-def: $vgpr2
.LBB440_565:
	s_and_b64 vcc, exec, s[0:1]
	s_cbranch_vccz .LBB440_567
; %bb.566:
	global_load_ubyte v2, v[0:1], off
	s_mov_b32 s0, 0x7f800000
	s_waitcnt vmcnt(0)
	v_lshlrev_b32_e32 v2, 24, v2
	v_and_b32_e32 v3, 0x7f000000, v2
	v_ffbh_u32_e32 v5, v3
	v_min_u32_e32 v5, 32, v5
	v_sub_u32_e64 v5, v5, 4 clamp
	v_lshlrev_b32_e32 v7, v5, v3
	v_lshlrev_b32_e32 v5, 23, v5
	v_lshrrev_b32_e32 v7, 4, v7
	v_add_u32_e32 v6, 0x1000000, v3
	v_sub_u32_e32 v5, v7, v5
	v_ashrrev_i32_e32 v6, 8, v6
	v_add_u32_e32 v5, 0x3c000000, v5
	v_and_or_b32 v5, v6, s0, v5
	v_cmp_ne_u32_e32 vcc, 0, v3
	s_brev_b32 s0, 1
	s_nop 0
	v_cndmask_b32_e32 v3, 0, v5, vcc
	v_and_or_b32 v2, v2, s0, v3
	v_cvt_i32_f32_e32 v2, v2
.LBB440_567:
	s_mov_b64 s[0:1], 0
.LBB440_568:
	s_andn2_b64 vcc, exec, s[0:1]
	s_cbranch_vccnz .LBB440_570
; %bb.569:
	global_load_ubyte v2, v[0:1], off
	s_movk_i32 s0, 0x7f00
	s_brev_b32 s1, 16
	s_waitcnt vmcnt(0)
	v_lshlrev_b16_e32 v3, 8, v2
	v_lshlrev_b32_e32 v2, 25, v2
	v_lshrrev_b32_e32 v5, 4, v2
	v_and_or_b32 v6, v3, s0, 0.5
	v_or_b32_e32 v5, 0x70000000, v5
	v_add_f32_e32 v6, -0.5, v6
	v_mul_f32_e32 v5, 0x7800000, v5
	v_cmp_gt_u32_e32 vcc, s1, v2
	v_bfe_i32 v3, v3, 0, 16
	s_brev_b32 s0, 1
	v_cndmask_b32_e32 v2, v5, v6, vcc
	v_and_or_b32 v2, v3, s0, v2
	v_cvt_i32_f32_e32 v2, v2
.LBB440_570:
	s_mov_b64 s[30:31], 0
	s_mov_b64 s[0:1], -1
.LBB440_571:
	s_andn2_b64 vcc, exec, s[30:31]
	s_cbranch_vccnz .LBB440_584
; %bb.572:
	s_cmp_gt_i32 s34, 14
	s_cbranch_scc0 .LBB440_575
; %bb.573:
	s_cmp_eq_u32 s34, 15
	s_cbranch_scc0 .LBB440_578
; %bb.574:
	global_load_ushort v2, v[0:1], off
	s_mov_b64 s[0:1], -1
	s_mov_b64 s[28:29], 0
	s_waitcnt vmcnt(0)
	v_lshlrev_b32_e32 v2, 16, v2
	v_cvt_i32_f32_e32 v2, v2
	s_branch .LBB440_579
.LBB440_575:
	s_mov_b64 s[30:31], -1
                                        ; implicit-def: $vgpr2
	s_branch .LBB440_580
.LBB440_576:
	s_andn2_saveexec_b64 s[0:1], s[0:1]
	s_cbranch_execz .LBB440_557
.LBB440_577:
	v_cmp_ne_u16_e32 vcc, 0, v3
	s_andn2_b64 s[30:31], s[30:31], exec
	s_and_b64 s[36:37], vcc, exec
	s_or_b64 s[30:31], s[30:31], s[36:37]
	s_or_b64 exec, exec, s[0:1]
	v_mov_b32_e32 v2, 0
	s_and_saveexec_b64 s[0:1], s[30:31]
	s_cbranch_execnz .LBB440_558
	s_branch .LBB440_559
.LBB440_578:
	s_mov_b64 s[28:29], -1
                                        ; implicit-def: $vgpr2
.LBB440_579:
	s_mov_b64 s[30:31], 0
.LBB440_580:
	s_and_b64 vcc, exec, s[30:31]
	s_cbranch_vccz .LBB440_584
; %bb.581:
	s_cmp_eq_u32 s34, 11
	s_cbranch_scc0 .LBB440_583
; %bb.582:
	global_load_ubyte v2, v[0:1], off
	s_mov_b64 s[0:1], -1
	s_mov_b64 s[28:29], 0
	s_waitcnt vmcnt(0)
	v_cmp_ne_u16_e32 vcc, 0, v2
	s_nop 1
	v_cndmask_b32_e64 v2, 0, 1, vcc
	s_branch .LBB440_584
.LBB440_583:
	s_mov_b64 s[28:29], -1
                                        ; implicit-def: $vgpr2
.LBB440_584:
	s_mov_b64 s[30:31], 0
.LBB440_585:
	s_and_b64 vcc, exec, s[30:31]
	s_cbranch_vccz .LBB440_634
; %bb.586:
	s_cmp_lt_i32 s34, 5
	s_cbranch_scc1 .LBB440_591
; %bb.587:
	s_cmp_lt_i32 s34, 8
	s_cbranch_scc1 .LBB440_592
	;; [unrolled: 3-line block ×3, first 2 shown]
; %bb.589:
	s_cmp_gt_i32 s34, 9
	s_cbranch_scc0 .LBB440_594
; %bb.590:
	global_load_dwordx2 v[2:3], v[0:1], off
	s_mov_b64 s[0:1], 0
	s_waitcnt vmcnt(0)
	v_cvt_i32_f64_e32 v2, v[2:3]
	s_branch .LBB440_595
.LBB440_591:
	s_mov_b64 s[0:1], -1
                                        ; implicit-def: $vgpr2
	s_branch .LBB440_613
.LBB440_592:
	s_mov_b64 s[0:1], -1
                                        ; implicit-def: $vgpr2
	s_branch .LBB440_601
.LBB440_593:
	s_mov_b64 s[0:1], -1
                                        ; implicit-def: $vgpr2
	s_branch .LBB440_598
.LBB440_594:
	s_mov_b64 s[0:1], -1
                                        ; implicit-def: $vgpr2
.LBB440_595:
	s_andn2_b64 vcc, exec, s[0:1]
	s_cbranch_vccnz .LBB440_597
; %bb.596:
	global_load_dword v2, v[0:1], off
	s_waitcnt vmcnt(0)
	v_cvt_i32_f32_e32 v2, v2
.LBB440_597:
	s_mov_b64 s[0:1], 0
.LBB440_598:
	s_andn2_b64 vcc, exec, s[0:1]
	s_cbranch_vccnz .LBB440_600
; %bb.599:
	global_load_dword v2, v[0:1], off
	s_waitcnt vmcnt(0)
	v_cvt_f32_f16_e32 v2, v2
	v_cvt_i32_f32_e32 v2, v2
.LBB440_600:
	s_mov_b64 s[0:1], 0
.LBB440_601:
	s_andn2_b64 vcc, exec, s[0:1]
	s_cbranch_vccnz .LBB440_612
; %bb.602:
	s_cmp_lt_i32 s34, 6
	s_cbranch_scc1 .LBB440_605
; %bb.603:
	s_cmp_gt_i32 s34, 6
	s_cbranch_scc0 .LBB440_606
; %bb.604:
	global_load_dwordx2 v[2:3], v[0:1], off
	s_mov_b64 s[0:1], 0
	s_waitcnt vmcnt(0)
	v_cvt_i32_f64_e32 v2, v[2:3]
	s_branch .LBB440_607
.LBB440_605:
	s_mov_b64 s[0:1], -1
                                        ; implicit-def: $vgpr2
	s_branch .LBB440_610
.LBB440_606:
	s_mov_b64 s[0:1], -1
                                        ; implicit-def: $vgpr2
.LBB440_607:
	s_andn2_b64 vcc, exec, s[0:1]
	s_cbranch_vccnz .LBB440_609
; %bb.608:
	global_load_dword v2, v[0:1], off
	s_waitcnt vmcnt(0)
	v_cvt_i32_f32_e32 v2, v2
.LBB440_609:
	s_mov_b64 s[0:1], 0
.LBB440_610:
	s_andn2_b64 vcc, exec, s[0:1]
	s_cbranch_vccnz .LBB440_612
; %bb.611:
	global_load_ushort v2, v[0:1], off
	s_waitcnt vmcnt(0)
	v_cvt_f32_f16_e32 v2, v2
	v_cvt_i32_f32_e32 v2, v2
.LBB440_612:
	s_mov_b64 s[0:1], 0
.LBB440_613:
	s_andn2_b64 vcc, exec, s[0:1]
	s_cbranch_vccnz .LBB440_633
; %bb.614:
	s_cmp_lt_i32 s34, 2
	s_cbranch_scc1 .LBB440_618
; %bb.615:
	s_cmp_lt_i32 s34, 3
	s_cbranch_scc1 .LBB440_619
; %bb.616:
	s_cmp_gt_i32 s34, 3
	s_cbranch_scc0 .LBB440_620
; %bb.617:
	global_load_dword v2, v[0:1], off
	s_mov_b64 s[0:1], 0
	s_branch .LBB440_621
.LBB440_618:
	s_mov_b64 s[0:1], -1
                                        ; implicit-def: $vgpr2
	s_branch .LBB440_627
.LBB440_619:
	s_mov_b64 s[0:1], -1
                                        ; implicit-def: $vgpr2
	s_branch .LBB440_624
.LBB440_620:
	s_mov_b64 s[0:1], -1
                                        ; implicit-def: $vgpr2
.LBB440_621:
	s_andn2_b64 vcc, exec, s[0:1]
	s_cbranch_vccnz .LBB440_623
; %bb.622:
	global_load_dword v2, v[0:1], off
.LBB440_623:
	s_mov_b64 s[0:1], 0
.LBB440_624:
	s_andn2_b64 vcc, exec, s[0:1]
	s_cbranch_vccnz .LBB440_626
; %bb.625:
	global_load_sshort v2, v[0:1], off
.LBB440_626:
	s_mov_b64 s[0:1], 0
.LBB440_627:
	s_andn2_b64 vcc, exec, s[0:1]
	s_cbranch_vccnz .LBB440_633
; %bb.628:
	s_cmp_gt_i32 s34, 0
	s_cbranch_scc0 .LBB440_630
; %bb.629:
	global_load_sbyte v2, v[0:1], off
	s_mov_b64 s[0:1], 0
	s_branch .LBB440_631
.LBB440_630:
	s_mov_b64 s[0:1], -1
                                        ; implicit-def: $vgpr2
.LBB440_631:
	s_andn2_b64 vcc, exec, s[0:1]
	s_cbranch_vccnz .LBB440_633
; %bb.632:
	global_load_ubyte v2, v[0:1], off
.LBB440_633:
	s_mov_b64 s[0:1], -1
.LBB440_634:
	s_andn2_b64 vcc, exec, s[0:1]
	s_cbranch_vccnz .LBB440_642
; %bb.635:
	s_waitcnt vmcnt(0)
	v_min_i32_e32 v0, s10, v2
	v_mul_lo_u32 v2, v4, s8
	v_ashrrev_i32_e32 v3, 31, v2
	s_and_b32 s38, s33, 0xff
	s_cmp_lt_i32 s38, 11
	v_lshl_add_u64 v[2:3], s[4:5], 0, v[2:3]
	s_cbranch_scc1 .LBB440_643
; %bb.636:
	s_and_b32 s39, 0xffff, s38
	s_cmp_gt_i32 s39, 25
	s_cbranch_scc0 .LBB440_644
; %bb.637:
	s_cmp_gt_i32 s39, 28
	s_cbranch_scc0 .LBB440_645
; %bb.638:
	;; [unrolled: 3-line block ×4, first 2 shown]
	s_mov_b64 s[34:35], 0
	s_mov_b64 s[0:1], -1
	s_cmp_eq_u32 s39, 46
	s_mov_b64 s[30:31], 0
	s_cbranch_scc0 .LBB440_648
; %bb.641:
	v_cvt_f32_i32_e32 v1, v0
	s_movk_i32 s0, 0x7fff
	s_mov_b64 s[30:31], -1
	v_bfe_u32 v5, v1, 16, 1
	v_add3_u32 v1, v1, v5, s0
	v_lshrrev_b32_e32 v1, 16, v1
	global_store_dword v[2:3], v1, off
	s_mov_b64 s[0:1], 0
	s_branch .LBB440_648
.LBB440_642:
	s_mov_b64 s[34:35], 0
                                        ; implicit-def: $vgpr4
	s_mov_b64 s[0:1], s[22:23]
	s_branch .LBB440_759
.LBB440_643:
	s_mov_b64 s[34:35], -1
	s_mov_b64 s[30:31], 0
	s_mov_b64 s[0:1], s[22:23]
	s_branch .LBB440_717
.LBB440_644:
	s_mov_b64 s[34:35], -1
	s_mov_b64 s[30:31], 0
	s_mov_b64 s[0:1], s[22:23]
	s_branch .LBB440_675
.LBB440_645:
	s_mov_b64 s[34:35], -1
	s_mov_b64 s[30:31], 0
	s_mov_b64 s[0:1], s[22:23]
	s_branch .LBB440_658
.LBB440_646:
	s_mov_b64 s[34:35], -1
	s_mov_b64 s[30:31], 0
	s_mov_b64 s[0:1], s[22:23]
	s_branch .LBB440_654
.LBB440_647:
	s_mov_b64 s[34:35], -1
	s_mov_b64 s[30:31], 0
	s_mov_b64 s[0:1], s[22:23]
.LBB440_648:
	s_and_b64 vcc, exec, s[34:35]
	s_cbranch_vccz .LBB440_653
; %bb.649:
	s_cmp_eq_u32 s39, 44
	s_mov_b64 s[0:1], -1
	s_cbranch_scc0 .LBB440_653
; %bb.650:
	v_cvt_f32_i32_e32 v1, v0
	s_movk_i32 s0, 0xff
	v_mov_b32_e32 v6, 0xff
	v_bfe_u32 v5, v1, 23, 8
	v_cmp_ne_u32_e32 vcc, s0, v5
	s_and_saveexec_b64 s[30:31], vcc
; %bb.651:
	s_mov_b32 s0, 0x3fffff
	v_lshrrev_b32_e32 v6, 23, v1
	v_and_b32_e32 v7, 0x400000, v1
	v_and_or_b32 v1, v1, s0, v5
	v_cmp_ne_u32_e32 vcc, 0, v7
	v_cmp_ne_u32_e64 s[0:1], 0, v1
	s_and_b64 s[0:1], vcc, s[0:1]
	s_nop 0
	v_cndmask_b32_e64 v1, 0, 1, s[0:1]
	v_add_u32_e32 v6, v6, v1
; %bb.652:
	s_or_b64 exec, exec, s[30:31]
	s_mov_b64 s[30:31], -1
	s_mov_b64 s[0:1], 0
	global_store_byte v[2:3], v6, off
.LBB440_653:
	s_mov_b64 s[34:35], 0
.LBB440_654:
	s_and_b64 vcc, exec, s[34:35]
	s_cbranch_vccz .LBB440_657
; %bb.655:
	s_cmp_eq_u32 s39, 29
	s_mov_b64 s[0:1], -1
	s_cbranch_scc0 .LBB440_657
; %bb.656:
	v_ashrrev_i32_e32 v1, 31, v0
	global_store_dwordx2 v[2:3], v[0:1], off
	s_mov_b64 s[30:31], -1
	s_mov_b64 s[0:1], 0
.LBB440_657:
	s_mov_b64 s[34:35], 0
.LBB440_658:
	s_and_b64 vcc, exec, s[34:35]
	s_cbranch_vccz .LBB440_674
; %bb.659:
	s_cmp_lt_i32 s39, 27
	s_mov_b64 s[30:31], -1
	s_cbranch_scc1 .LBB440_665
; %bb.660:
	s_cmp_gt_i32 s39, 27
	s_cbranch_scc0 .LBB440_662
; %bb.661:
	s_mov_b64 s[30:31], 0
	global_store_dword v[2:3], v0, off
.LBB440_662:
	s_andn2_b64 vcc, exec, s[30:31]
	s_cbranch_vccnz .LBB440_664
; %bb.663:
	global_store_short v[2:3], v0, off
.LBB440_664:
	s_mov_b64 s[30:31], 0
.LBB440_665:
	s_andn2_b64 vcc, exec, s[30:31]
	s_cbranch_vccnz .LBB440_673
; %bb.666:
	v_cvt_f32_i32_e32 v1, v0
	s_mov_b32 s30, 0x43800000
	v_mov_b32_e32 v6, 0x80
	v_and_b32_e32 v5, 0x7fffffff, v1
	v_cmp_gt_u32_e32 vcc, s30, v5
	s_and_saveexec_b64 s[30:31], vcc
	s_cbranch_execz .LBB440_672
; %bb.667:
	s_mov_b32 s34, 0x3bffffff
	v_cmp_lt_u32_e32 vcc, s34, v5
	s_mov_b64 s[34:35], 0
                                        ; implicit-def: $vgpr5
	s_and_saveexec_b64 s[36:37], vcc
	s_xor_b64 s[36:37], exec, s[36:37]
	s_cbranch_execz .LBB440_773
; %bb.668:
	v_bfe_u32 v5, v1, 20, 1
	s_mov_b32 s41, 0x487ffff
	v_add3_u32 v5, v1, v5, s41
	s_mov_b64 s[34:35], exec
	v_lshrrev_b32_e32 v5, 20, v5
	s_andn2_saveexec_b64 s[36:37], s[36:37]
	s_cbranch_execnz .LBB440_774
.LBB440_669:
	s_or_b64 exec, exec, s[36:37]
	v_mov_b32_e32 v6, 0
	s_and_saveexec_b64 s[36:37], s[34:35]
.LBB440_670:
	v_lshrrev_b32_e32 v1, 24, v1
	s_movk_i32 s34, 0x80
	v_and_or_b32 v6, v1, s34, v5
.LBB440_671:
	s_or_b64 exec, exec, s[36:37]
.LBB440_672:
	s_or_b64 exec, exec, s[30:31]
	global_store_byte v[2:3], v6, off
.LBB440_673:
	s_mov_b64 s[30:31], -1
.LBB440_674:
	s_mov_b64 s[34:35], 0
.LBB440_675:
	s_and_b64 vcc, exec, s[34:35]
	s_cbranch_vccz .LBB440_716
; %bb.676:
	s_cmp_gt_i32 s39, 22
	s_mov_b64 s[34:35], -1
	s_cbranch_scc0 .LBB440_708
; %bb.677:
	s_cmp_lt_i32 s39, 24
	s_mov_b64 s[30:31], -1
	s_cbranch_scc1 .LBB440_697
; %bb.678:
	s_cmp_gt_i32 s39, 24
	s_cbranch_scc0 .LBB440_686
; %bb.679:
	v_cvt_f32_i32_e32 v1, v0
	s_mov_b32 s30, 0x47800000
	v_mov_b32_e32 v6, 0x80
	v_and_b32_e32 v5, 0x7fffffff, v1
	v_cmp_gt_u32_e32 vcc, s30, v5
	s_and_saveexec_b64 s[30:31], vcc
	s_cbranch_execz .LBB440_685
; %bb.680:
	s_mov_b32 s34, 0x37ffffff
	v_cmp_lt_u32_e32 vcc, s34, v5
	s_mov_b64 s[34:35], 0
                                        ; implicit-def: $vgpr5
	s_and_saveexec_b64 s[36:37], vcc
	s_xor_b64 s[36:37], exec, s[36:37]
	s_cbranch_execz .LBB440_776
; %bb.681:
	v_bfe_u32 v5, v1, 21, 1
	s_mov_b32 s41, 0x88fffff
	v_add3_u32 v5, v1, v5, s41
	s_mov_b64 s[34:35], exec
	v_lshrrev_b32_e32 v5, 21, v5
	s_andn2_saveexec_b64 s[36:37], s[36:37]
	s_cbranch_execnz .LBB440_777
.LBB440_682:
	s_or_b64 exec, exec, s[36:37]
	v_mov_b32_e32 v6, 0
	s_and_saveexec_b64 s[36:37], s[34:35]
.LBB440_683:
	v_lshrrev_b32_e32 v1, 24, v1
	s_movk_i32 s34, 0x80
	v_and_or_b32 v6, v1, s34, v5
.LBB440_684:
	s_or_b64 exec, exec, s[36:37]
.LBB440_685:
	s_or_b64 exec, exec, s[30:31]
	s_mov_b64 s[30:31], 0
	global_store_byte v[2:3], v6, off
.LBB440_686:
	s_and_b64 vcc, exec, s[30:31]
	s_cbranch_vccz .LBB440_696
; %bb.687:
	v_cvt_f32_i32_e32 v1, v0
	s_mov_b32 s30, 0x43f00000
                                        ; implicit-def: $vgpr5
	v_and_b32_e32 v6, 0x7fffffff, v1
	v_cmp_gt_u32_e32 vcc, s30, v6
	s_and_saveexec_b64 s[30:31], vcc
	s_xor_b64 s[30:31], exec, s[30:31]
	s_cbranch_execz .LBB440_693
; %bb.688:
	s_mov_b32 s34, 0x3c7fffff
	v_cmp_lt_u32_e32 vcc, s34, v6
                                        ; implicit-def: $vgpr5
	s_and_saveexec_b64 s[34:35], vcc
	s_xor_b64 s[34:35], exec, s[34:35]
; %bb.689:
	v_bfe_u32 v5, v1, 20, 1
	s_mov_b32 s36, 0x407ffff
	v_add3_u32 v5, v1, v5, s36
	v_lshrrev_b32_e32 v6, 20, v5
	v_and_b32_e32 v5, 0xff00000, v5
	s_mov_b32 s36, 0x7f00000
	v_mov_b32_e32 v7, 0x7e
	v_cmp_ne_u32_e32 vcc, s36, v5
	s_nop 1
	v_cndmask_b32_e32 v5, v7, v6, vcc
; %bb.690:
	s_andn2_saveexec_b64 s[34:35], s[34:35]
; %bb.691:
	s_mov_b32 s36, 0x46800000
	v_add_f32_e64 v5, |v1|, s36
; %bb.692:
	s_or_b64 exec, exec, s[34:35]
                                        ; implicit-def: $vgpr6
.LBB440_693:
	s_andn2_saveexec_b64 s[30:31], s[30:31]
; %bb.694:
	s_mov_b32 s34, 0x7f800000
	v_mov_b32_e32 v5, 0x7e
	v_mov_b32_e32 v7, 0x7f
	v_cmp_lt_u32_e32 vcc, s34, v6
	s_nop 1
	v_cndmask_b32_e32 v5, v5, v7, vcc
; %bb.695:
	s_or_b64 exec, exec, s[30:31]
	v_lshrrev_b32_e32 v1, 24, v1
	s_movk_i32 s30, 0x80
	v_and_or_b32 v1, v1, s30, v5
	global_store_byte v[2:3], v1, off
.LBB440_696:
	s_mov_b64 s[30:31], 0
.LBB440_697:
	s_andn2_b64 vcc, exec, s[30:31]
	s_cbranch_vccnz .LBB440_707
; %bb.698:
	v_cvt_f32_i32_e32 v1, v0
	s_mov_b32 s30, 0x47800000
                                        ; implicit-def: $vgpr5
	v_and_b32_e32 v6, 0x7fffffff, v1
	v_cmp_gt_u32_e32 vcc, s30, v6
	s_and_saveexec_b64 s[30:31], vcc
	s_xor_b64 s[30:31], exec, s[30:31]
	s_cbranch_execz .LBB440_704
; %bb.699:
	s_mov_b32 s34, 0x387fffff
	v_cmp_lt_u32_e32 vcc, s34, v6
                                        ; implicit-def: $vgpr5
	s_and_saveexec_b64 s[34:35], vcc
	s_xor_b64 s[34:35], exec, s[34:35]
; %bb.700:
	v_bfe_u32 v5, v1, 21, 1
	s_mov_b32 s36, 0x80fffff
	v_add3_u32 v5, v1, v5, s36
	v_lshrrev_b32_e32 v5, 21, v5
; %bb.701:
	s_andn2_saveexec_b64 s[34:35], s[34:35]
; %bb.702:
	s_mov_b32 s36, 0x43000000
	v_add_f32_e64 v5, |v1|, s36
; %bb.703:
	s_or_b64 exec, exec, s[34:35]
                                        ; implicit-def: $vgpr6
.LBB440_704:
	s_andn2_saveexec_b64 s[30:31], s[30:31]
; %bb.705:
	s_mov_b32 s34, 0x7f800000
	v_mov_b32_e32 v5, 0x7c
	v_mov_b32_e32 v7, 0x7f
	v_cmp_lt_u32_e32 vcc, s34, v6
	s_nop 1
	v_cndmask_b32_e32 v5, v5, v7, vcc
; %bb.706:
	s_or_b64 exec, exec, s[30:31]
	v_lshrrev_b32_e32 v1, 24, v1
	s_movk_i32 s30, 0x80
	v_and_or_b32 v1, v1, s30, v5
	global_store_byte v[2:3], v1, off
.LBB440_707:
	s_mov_b64 s[34:35], 0
	s_mov_b64 s[30:31], -1
.LBB440_708:
	s_andn2_b64 vcc, exec, s[34:35]
	s_cbranch_vccnz .LBB440_716
; %bb.709:
	s_cmp_gt_i32 s39, 14
	s_mov_b64 s[34:35], -1
	s_cbranch_scc0 .LBB440_713
; %bb.710:
	s_cmp_eq_u32 s39, 15
	s_mov_b64 s[0:1], -1
	s_cbranch_scc0 .LBB440_712
; %bb.711:
	v_cvt_f32_i32_e32 v1, v0
	s_movk_i32 s0, 0x7fff
	s_mov_b64 s[30:31], -1
	v_bfe_u32 v5, v1, 16, 1
	v_add3_u32 v1, v1, v5, s0
	global_store_short_d16_hi v[2:3], v1, off
	s_mov_b64 s[0:1], 0
.LBB440_712:
	s_mov_b64 s[34:35], 0
.LBB440_713:
	s_and_b64 vcc, exec, s[34:35]
	s_cbranch_vccz .LBB440_716
; %bb.714:
	s_cmp_eq_u32 s39, 11
	s_mov_b64 s[0:1], -1
	s_cbranch_scc0 .LBB440_716
; %bb.715:
	v_cmp_ne_u32_e32 vcc, 0, v0
	s_mov_b64 s[30:31], -1
	s_mov_b64 s[0:1], 0
	v_cndmask_b32_e64 v1, 0, 1, vcc
	global_store_byte v[2:3], v1, off
.LBB440_716:
	s_mov_b64 s[34:35], 0
.LBB440_717:
	s_and_b64 vcc, exec, s[34:35]
	s_cbranch_vccz .LBB440_756
; %bb.718:
	s_and_b32 s34, 0xffff, s38
	s_cmp_lt_i32 s34, 5
	s_mov_b64 s[30:31], -1
	s_cbranch_scc1 .LBB440_739
; %bb.719:
	s_cmp_lt_i32 s34, 8
	s_cbranch_scc1 .LBB440_729
; %bb.720:
	s_cmp_lt_i32 s34, 9
	s_cbranch_scc1 .LBB440_726
; %bb.721:
	s_cmp_gt_i32 s34, 9
	s_cbranch_scc0 .LBB440_723
; %bb.722:
	v_mov_b32_e32 v8, 0
	v_cvt_f64_i32_e32 v[6:7], v0
	v_mov_b32_e32 v9, v8
	s_mov_b64 s[30:31], 0
	global_store_dwordx4 v[2:3], v[6:9], off
.LBB440_723:
	s_andn2_b64 vcc, exec, s[30:31]
	s_cbranch_vccnz .LBB440_725
; %bb.724:
	v_cvt_f32_i32_e32 v6, v0
	v_mov_b32_e32 v7, 0
	global_store_dwordx2 v[2:3], v[6:7], off
.LBB440_725:
	s_mov_b64 s[30:31], 0
.LBB440_726:
	s_andn2_b64 vcc, exec, s[30:31]
	s_cbranch_vccnz .LBB440_728
; %bb.727:
	v_cvt_f32_i32_e32 v1, v0
	v_cvt_f16_f32_e32 v1, v1
	global_store_dword v[2:3], v1, off
.LBB440_728:
	s_mov_b64 s[30:31], 0
.LBB440_729:
	s_andn2_b64 vcc, exec, s[30:31]
	s_cbranch_vccnz .LBB440_738
; %bb.730:
	s_cmp_lt_i32 s34, 6
	s_mov_b64 s[30:31], -1
	s_cbranch_scc1 .LBB440_736
; %bb.731:
	s_cmp_gt_i32 s34, 6
	s_cbranch_scc0 .LBB440_733
; %bb.732:
	v_cvt_f64_i32_e32 v[6:7], v0
	s_mov_b64 s[30:31], 0
	global_store_dwordx2 v[2:3], v[6:7], off
.LBB440_733:
	s_andn2_b64 vcc, exec, s[30:31]
	s_cbranch_vccnz .LBB440_735
; %bb.734:
	v_cvt_f32_i32_e32 v1, v0
	global_store_dword v[2:3], v1, off
.LBB440_735:
	s_mov_b64 s[30:31], 0
.LBB440_736:
	s_andn2_b64 vcc, exec, s[30:31]
	s_cbranch_vccnz .LBB440_738
; %bb.737:
	v_cvt_f32_i32_e32 v1, v0
	v_cvt_f16_f32_e32 v1, v1
	global_store_short v[2:3], v1, off
.LBB440_738:
	s_mov_b64 s[30:31], 0
.LBB440_739:
	s_andn2_b64 vcc, exec, s[30:31]
	s_cbranch_vccnz .LBB440_755
; %bb.740:
	s_cmp_lt_i32 s34, 2
	s_mov_b64 s[30:31], -1
	s_cbranch_scc1 .LBB440_750
; %bb.741:
	s_cmp_lt_i32 s34, 3
	s_cbranch_scc1 .LBB440_747
; %bb.742:
	s_cmp_gt_i32 s34, 3
	s_cbranch_scc0 .LBB440_744
; %bb.743:
	v_ashrrev_i32_e32 v1, 31, v0
	s_mov_b64 s[30:31], 0
	global_store_dwordx2 v[2:3], v[0:1], off
.LBB440_744:
	s_andn2_b64 vcc, exec, s[30:31]
	s_cbranch_vccnz .LBB440_746
; %bb.745:
	global_store_dword v[2:3], v0, off
.LBB440_746:
	s_mov_b64 s[30:31], 0
.LBB440_747:
	s_andn2_b64 vcc, exec, s[30:31]
	s_cbranch_vccnz .LBB440_749
; %bb.748:
	global_store_short v[2:3], v0, off
.LBB440_749:
	s_mov_b64 s[30:31], 0
.LBB440_750:
	s_andn2_b64 vcc, exec, s[30:31]
	s_cbranch_vccnz .LBB440_755
; %bb.751:
	s_cmp_gt_i32 s34, 0
	s_mov_b64 s[30:31], -1
	s_cbranch_scc0 .LBB440_753
; %bb.752:
	s_mov_b64 s[30:31], 0
	global_store_byte v[2:3], v0, off
.LBB440_753:
	s_andn2_b64 vcc, exec, s[30:31]
	s_cbranch_vccnz .LBB440_755
; %bb.754:
	global_store_byte v[2:3], v0, off
.LBB440_755:
	s_mov_b64 s[30:31], -1
.LBB440_756:
	s_andn2_b64 vcc, exec, s[30:31]
	s_cbranch_vccnz .LBB440_758
; %bb.757:
	v_add_u32_e32 v4, 0x80, v4
	s_mov_b64 s[34:35], -1
	s_branch .LBB440_759
.LBB440_758:
	s_mov_b64 s[34:35], 0
                                        ; implicit-def: $vgpr4
.LBB440_759:
	s_andn2_b64 s[30:31], s[22:23], exec
	s_and_b64 s[0:1], s[0:1], exec
	s_or_b64 s[30:31], s[30:31], s[0:1]
	s_andn2_b64 s[0:1], s[20:21], exec
	s_and_b64 s[28:29], s[28:29], exec
	s_or_b64 s[0:1], s[0:1], s[28:29]
	s_orn2_b64 s[36:37], s[34:35], exec
.LBB440_760:
	s_or_b64 exec, exec, s[26:27]
	s_mov_b64 s[34:35], 0
	s_mov_b64 s[28:29], 0
	;; [unrolled: 1-line block ×3, first 2 shown]
                                        ; implicit-def: $vgpr0_vgpr1
                                        ; implicit-def: $vgpr5
	s_and_saveexec_b64 s[26:27], s[36:37]
	s_cbranch_execz .LBB440_841
; %bb.761:
	v_cmp_gt_i32_e32 vcc, s40, v4
	s_mov_b64 s[36:37], 0
	s_mov_b64 s[40:41], s[0:1]
	;; [unrolled: 1-line block ×3, first 2 shown]
                                        ; implicit-def: $vgpr0_vgpr1
                                        ; implicit-def: $vgpr5
	s_and_saveexec_b64 s[28:29], vcc
	s_cbranch_execz .LBB440_840
; %bb.762:
	v_mul_lo_u32 v0, v4, s9
	v_ashrrev_i32_e32 v1, 31, v0
	s_and_b32 s42, 0xffff, s11
	s_cmp_lt_i32 s42, 11
	v_lshl_add_u64 v[0:1], s[6:7], 0, v[0:1]
	s_cbranch_scc1 .LBB440_769
; %bb.763:
	s_cmp_gt_i32 s42, 25
	s_cbranch_scc0 .LBB440_770
; %bb.764:
	s_cmp_gt_i32 s42, 28
	s_cbranch_scc0 .LBB440_771
	;; [unrolled: 3-line block ×4, first 2 shown]
; %bb.767:
	s_cmp_eq_u32 s42, 46
	s_mov_b64 s[40:41], 0
	s_cbranch_scc0 .LBB440_778
; %bb.768:
	global_load_dword v2, v[0:1], off
	s_mov_b64 s[38:39], -1
	s_waitcnt vmcnt(0)
	v_lshlrev_b32_e32 v2, 16, v2
	v_cvt_i32_f32_e32 v5, v2
	s_branch .LBB440_780
.LBB440_769:
	s_mov_b64 s[40:41], -1
                                        ; implicit-def: $vgpr5
	s_mov_b64 s[34:35], s[0:1]
	s_branch .LBB440_839
.LBB440_770:
	s_mov_b64 s[40:41], -1
	s_mov_b64 s[34:35], s[0:1]
                                        ; implicit-def: $vgpr5
	s_branch .LBB440_807
.LBB440_771:
	s_mov_b64 s[40:41], -1
	s_mov_b64 s[34:35], s[0:1]
                                        ; implicit-def: $vgpr5
	s_branch .LBB440_790
.LBB440_772:
	s_mov_b64 s[40:41], -1
	s_mov_b64 s[34:35], s[0:1]
                                        ; implicit-def: $vgpr5
	s_branch .LBB440_785
.LBB440_773:
	s_andn2_saveexec_b64 s[36:37], s[36:37]
	s_cbranch_execz .LBB440_669
.LBB440_774:
	s_mov_b32 s41, 0x46000000
	v_add_f32_e64 v5, |v1|, s41
	v_and_b32_e32 v5, 0xff, v5
	v_cmp_ne_u32_e32 vcc, 0, v5
	s_andn2_b64 s[34:35], s[34:35], exec
	s_and_b64 s[42:43], vcc, exec
	s_or_b64 s[34:35], s[34:35], s[42:43]
	s_or_b64 exec, exec, s[36:37]
	v_mov_b32_e32 v6, 0
	s_and_saveexec_b64 s[36:37], s[34:35]
	s_cbranch_execnz .LBB440_670
	s_branch .LBB440_671
.LBB440_775:
	s_mov_b64 s[40:41], -1
	s_mov_b64 s[34:35], s[0:1]
	s_branch .LBB440_779
.LBB440_776:
	s_andn2_saveexec_b64 s[36:37], s[36:37]
	s_cbranch_execz .LBB440_682
.LBB440_777:
	s_mov_b32 s41, 0x42800000
	v_add_f32_e64 v5, |v1|, s41
	v_and_b32_e32 v5, 0xff, v5
	v_cmp_ne_u32_e32 vcc, 0, v5
	s_andn2_b64 s[34:35], s[34:35], exec
	s_and_b64 s[42:43], vcc, exec
	s_or_b64 s[34:35], s[34:35], s[42:43]
	s_or_b64 exec, exec, s[36:37]
	v_mov_b32_e32 v6, 0
	s_and_saveexec_b64 s[36:37], s[34:35]
	s_cbranch_execnz .LBB440_683
	s_branch .LBB440_684
.LBB440_778:
	s_mov_b64 s[34:35], -1
.LBB440_779:
                                        ; implicit-def: $vgpr5
.LBB440_780:
	s_and_b64 vcc, exec, s[40:41]
	s_cbranch_vccz .LBB440_784
; %bb.781:
	s_cmp_eq_u32 s42, 44
	s_cbranch_scc0 .LBB440_783
; %bb.782:
	global_load_ubyte v2, v[0:1], off
	s_mov_b64 s[34:35], 0
	s_mov_b64 s[38:39], -1
	s_waitcnt vmcnt(0)
	v_lshlrev_b32_e32 v3, 23, v2
	v_cvt_i32_f32_e32 v3, v3
	v_cmp_ne_u32_e32 vcc, 0, v2
	s_nop 1
	v_cndmask_b32_e32 v5, 0, v3, vcc
	s_branch .LBB440_784
.LBB440_783:
	s_mov_b64 s[34:35], -1
                                        ; implicit-def: $vgpr5
.LBB440_784:
	s_mov_b64 s[40:41], 0
.LBB440_785:
	s_and_b64 vcc, exec, s[40:41]
	s_cbranch_vccz .LBB440_789
; %bb.786:
	s_cmp_eq_u32 s42, 29
	s_cbranch_scc0 .LBB440_788
; %bb.787:
	global_load_dword v5, v[0:1], off
	s_mov_b64 s[34:35], 0
	s_mov_b64 s[38:39], -1
	s_branch .LBB440_789
.LBB440_788:
	s_mov_b64 s[34:35], -1
                                        ; implicit-def: $vgpr5
.LBB440_789:
	s_mov_b64 s[40:41], 0
.LBB440_790:
	s_and_b64 vcc, exec, s[40:41]
	s_cbranch_vccz .LBB440_806
; %bb.791:
	s_cmp_lt_i32 s42, 27
	s_cbranch_scc1 .LBB440_794
; %bb.792:
	s_cmp_gt_i32 s42, 27
	s_cbranch_scc0 .LBB440_795
; %bb.793:
	global_load_dword v5, v[0:1], off
	s_mov_b64 s[38:39], 0
	s_branch .LBB440_796
.LBB440_794:
	s_mov_b64 s[38:39], -1
                                        ; implicit-def: $vgpr5
	s_branch .LBB440_799
.LBB440_795:
	s_mov_b64 s[38:39], -1
                                        ; implicit-def: $vgpr5
.LBB440_796:
	s_andn2_b64 vcc, exec, s[38:39]
	s_cbranch_vccnz .LBB440_798
; %bb.797:
	global_load_ushort v5, v[0:1], off
.LBB440_798:
	s_mov_b64 s[38:39], 0
.LBB440_799:
	s_andn2_b64 vcc, exec, s[38:39]
	s_cbranch_vccnz .LBB440_805
; %bb.800:
	global_load_ubyte v2, v[0:1], off
	s_movk_i32 s38, 0x7f
	s_mov_b64 s[40:41], 0
	s_waitcnt vmcnt(0)
	v_cmp_lt_i16_e32 vcc, s38, v2
	s_and_saveexec_b64 s[38:39], vcc
	s_xor_b64 s[38:39], exec, s[38:39]
	s_cbranch_execz .LBB440_817
; %bb.801:
	s_movk_i32 s40, 0x80
	v_cmp_ne_u16_e32 vcc, s40, v2
	s_and_b64 s[40:41], vcc, exec
	s_andn2_saveexec_b64 s[38:39], s[38:39]
	s_cbranch_execnz .LBB440_818
.LBB440_802:
	s_or_b64 exec, exec, s[38:39]
	v_mov_b32_e32 v5, 0
	s_and_saveexec_b64 s[38:39], s[40:41]
	s_cbranch_execz .LBB440_804
.LBB440_803:
	v_lshlrev_b32_e32 v3, 24, v2
	v_and_b32_e32 v2, 0xffff, v2
	v_and_b32_e32 v5, 7, v2
	v_ffbh_u32_e32 v7, v5
	v_min_u32_e32 v7, 32, v7
	v_subrev_u32_e32 v8, 28, v7
	v_bfe_u32 v6, v2, 3, 4
	v_lshlrev_b32_e32 v2, v8, v2
	v_sub_u32_e32 v7, 29, v7
	v_and_b32_e32 v2, 7, v2
	v_cmp_eq_u32_e32 vcc, 0, v6
	v_and_b32_e32 v3, 0x80000000, v3
	s_nop 0
	v_cndmask_b32_e32 v6, v6, v7, vcc
	v_cndmask_b32_e32 v2, v5, v2, vcc
	v_mov_b32_e32 v5, 0x3b800000
	v_lshlrev_b32_e32 v2, 20, v2
	v_lshl_add_u32 v5, v6, 23, v5
	v_or3_b32 v2, v3, v5, v2
	v_cvt_i32_f32_e32 v5, v2
.LBB440_804:
	s_or_b64 exec, exec, s[38:39]
.LBB440_805:
	s_mov_b64 s[38:39], -1
.LBB440_806:
	s_mov_b64 s[40:41], 0
.LBB440_807:
	s_and_b64 vcc, exec, s[40:41]
	s_cbranch_vccz .LBB440_838
; %bb.808:
	s_cmp_gt_i32 s42, 22
	s_cbranch_scc0 .LBB440_816
; %bb.809:
	s_cmp_lt_i32 s42, 24
	s_cbranch_scc1 .LBB440_819
; %bb.810:
	s_cmp_gt_i32 s42, 24
	s_cbranch_scc0 .LBB440_820
; %bb.811:
	global_load_ubyte v2, v[0:1], off
	s_movk_i32 s36, 0x7f
	s_mov_b64 s[38:39], 0
	s_waitcnt vmcnt(0)
	v_cmp_lt_i16_e32 vcc, s36, v2
	s_and_saveexec_b64 s[36:37], vcc
	s_xor_b64 s[36:37], exec, s[36:37]
	s_cbranch_execz .LBB440_832
; %bb.812:
	s_movk_i32 s38, 0x80
	v_cmp_ne_u16_e32 vcc, s38, v2
	s_and_b64 s[38:39], vcc, exec
	s_andn2_saveexec_b64 s[36:37], s[36:37]
	s_cbranch_execnz .LBB440_833
.LBB440_813:
	s_or_b64 exec, exec, s[36:37]
	v_mov_b32_e32 v5, 0
	s_and_saveexec_b64 s[36:37], s[38:39]
	s_cbranch_execz .LBB440_815
.LBB440_814:
	v_lshlrev_b32_e32 v3, 24, v2
	v_and_b32_e32 v2, 0xffff, v2
	v_and_b32_e32 v5, 3, v2
	v_ffbh_u32_e32 v7, v5
	v_min_u32_e32 v7, 32, v7
	v_subrev_u32_e32 v8, 29, v7
	v_bfe_u32 v6, v2, 2, 5
	v_lshlrev_b32_e32 v2, v8, v2
	v_sub_u32_e32 v7, 30, v7
	v_and_b32_e32 v2, 3, v2
	v_cmp_eq_u32_e32 vcc, 0, v6
	v_and_b32_e32 v3, 0x80000000, v3
	s_nop 0
	v_cndmask_b32_e32 v6, v6, v7, vcc
	v_cndmask_b32_e32 v2, v5, v2, vcc
	v_mov_b32_e32 v5, 0x37800000
	v_lshlrev_b32_e32 v2, 21, v2
	v_lshl_add_u32 v5, v6, 23, v5
	v_or3_b32 v2, v3, v5, v2
	v_cvt_i32_f32_e32 v5, v2
.LBB440_815:
	s_or_b64 exec, exec, s[36:37]
	s_mov_b64 s[36:37], 0
	s_branch .LBB440_821
.LBB440_816:
	s_mov_b64 s[36:37], -1
                                        ; implicit-def: $vgpr5
	s_branch .LBB440_827
.LBB440_817:
	s_andn2_saveexec_b64 s[38:39], s[38:39]
	s_cbranch_execz .LBB440_802
.LBB440_818:
	v_cmp_ne_u16_e32 vcc, 0, v2
	s_andn2_b64 s[40:41], s[40:41], exec
	s_and_b64 s[44:45], vcc, exec
	s_or_b64 s[40:41], s[40:41], s[44:45]
	s_or_b64 exec, exec, s[38:39]
	v_mov_b32_e32 v5, 0
	s_and_saveexec_b64 s[38:39], s[40:41]
	s_cbranch_execnz .LBB440_803
	s_branch .LBB440_804
.LBB440_819:
	s_mov_b64 s[36:37], -1
                                        ; implicit-def: $vgpr5
	s_branch .LBB440_824
.LBB440_820:
	s_mov_b64 s[36:37], -1
                                        ; implicit-def: $vgpr5
.LBB440_821:
	s_and_b64 vcc, exec, s[36:37]
	s_cbranch_vccz .LBB440_823
; %bb.822:
	global_load_ubyte v2, v[0:1], off
	s_mov_b32 s36, 0x7f800000
	s_waitcnt vmcnt(0)
	v_lshlrev_b32_e32 v2, 24, v2
	v_and_b32_e32 v3, 0x7f000000, v2
	v_ffbh_u32_e32 v5, v3
	v_min_u32_e32 v5, 32, v5
	v_sub_u32_e64 v5, v5, 4 clamp
	v_lshlrev_b32_e32 v7, v5, v3
	v_lshlrev_b32_e32 v5, 23, v5
	v_lshrrev_b32_e32 v7, 4, v7
	v_add_u32_e32 v6, 0x1000000, v3
	v_sub_u32_e32 v5, v7, v5
	v_ashrrev_i32_e32 v6, 8, v6
	v_add_u32_e32 v5, 0x3c000000, v5
	v_and_or_b32 v5, v6, s36, v5
	v_cmp_ne_u32_e32 vcc, 0, v3
	s_brev_b32 s36, 1
	s_nop 0
	v_cndmask_b32_e32 v3, 0, v5, vcc
	v_and_or_b32 v2, v2, s36, v3
	v_cvt_i32_f32_e32 v5, v2
.LBB440_823:
	s_mov_b64 s[36:37], 0
.LBB440_824:
	s_andn2_b64 vcc, exec, s[36:37]
	s_cbranch_vccnz .LBB440_826
; %bb.825:
	global_load_ubyte v2, v[0:1], off
	s_movk_i32 s36, 0x7f00
	s_brev_b32 s37, 16
	s_waitcnt vmcnt(0)
	v_lshlrev_b16_e32 v3, 8, v2
	v_lshlrev_b32_e32 v2, 25, v2
	v_lshrrev_b32_e32 v5, 4, v2
	v_and_or_b32 v6, v3, s36, 0.5
	v_or_b32_e32 v5, 0x70000000, v5
	v_add_f32_e32 v6, -0.5, v6
	v_mul_f32_e32 v5, 0x7800000, v5
	v_cmp_gt_u32_e32 vcc, s37, v2
	v_bfe_i32 v3, v3, 0, 16
	s_brev_b32 s36, 1
	v_cndmask_b32_e32 v2, v5, v6, vcc
	v_and_or_b32 v2, v3, s36, v2
	v_cvt_i32_f32_e32 v5, v2
.LBB440_826:
	s_mov_b64 s[36:37], 0
	s_mov_b64 s[38:39], -1
.LBB440_827:
	s_andn2_b64 vcc, exec, s[36:37]
	s_mov_b64 s[36:37], 0
	s_cbranch_vccnz .LBB440_838
; %bb.828:
	s_cmp_gt_i32 s42, 14
	s_cbranch_scc0 .LBB440_831
; %bb.829:
	s_cmp_eq_u32 s42, 15
	s_cbranch_scc0 .LBB440_834
; %bb.830:
	global_load_ushort v2, v[0:1], off
	s_mov_b64 s[34:35], 0
	s_mov_b64 s[38:39], -1
	s_waitcnt vmcnt(0)
	v_lshlrev_b32_e32 v2, 16, v2
	v_cvt_i32_f32_e32 v5, v2
	s_branch .LBB440_835
.LBB440_831:
	s_mov_b64 s[40:41], -1
                                        ; implicit-def: $vgpr5
	s_branch .LBB440_836
.LBB440_832:
	s_andn2_saveexec_b64 s[36:37], s[36:37]
	s_cbranch_execz .LBB440_813
.LBB440_833:
	v_cmp_ne_u16_e32 vcc, 0, v2
	s_andn2_b64 s[38:39], s[38:39], exec
	s_and_b64 s[40:41], vcc, exec
	s_or_b64 s[38:39], s[38:39], s[40:41]
	s_or_b64 exec, exec, s[36:37]
	v_mov_b32_e32 v5, 0
	s_and_saveexec_b64 s[36:37], s[38:39]
	s_cbranch_execnz .LBB440_814
	s_branch .LBB440_815
.LBB440_834:
	s_mov_b64 s[34:35], -1
                                        ; implicit-def: $vgpr5
.LBB440_835:
	s_mov_b64 s[40:41], 0
.LBB440_836:
	s_and_b64 vcc, exec, s[40:41]
	s_cbranch_vccz .LBB440_838
; %bb.837:
	s_cmp_lg_u32 s42, 11
	s_cselect_b64 s[40:41], -1, 0
	s_andn2_b64 s[34:35], s[34:35], exec
	s_and_b64 s[40:41], s[40:41], exec
	s_mov_b64 s[36:37], -1
	s_or_b64 s[34:35], s[34:35], s[40:41]
.LBB440_838:
	s_mov_b64 s[40:41], 0
.LBB440_839:
	s_and_b64 s[42:43], s[40:41], exec
	s_andn2_b64 s[40:41], s[0:1], exec
	s_and_b64 s[34:35], s[34:35], exec
	s_and_b64 s[38:39], s[38:39], exec
	;; [unrolled: 1-line block ×3, first 2 shown]
	s_or_b64 s[40:41], s[40:41], s[34:35]
.LBB440_840:
	s_or_b64 exec, exec, s[28:29]
	s_and_b64 s[34:35], s[36:37], exec
	s_andn2_b64 s[0:1], s[0:1], exec
	s_and_b64 s[36:37], s[40:41], exec
	s_and_b64 s[38:39], s[38:39], exec
	;; [unrolled: 1-line block ×3, first 2 shown]
	s_or_b64 s[0:1], s[0:1], s[36:37]
.LBB440_841:
	s_or_b64 exec, exec, s[26:27]
	s_andn2_b64 s[22:23], s[22:23], exec
	s_and_b64 s[26:27], s[30:31], exec
	s_andn2_b64 s[20:21], s[20:21], exec
	s_and_b64 s[0:1], s[0:1], exec
	s_or_b64 s[22:23], s[22:23], s[26:27]
	s_and_b64 s[30:31], s[38:39], exec
	s_and_b64 s[28:29], s[28:29], exec
	s_and_b64 s[26:27], s[34:35], exec
	s_or_b64 s[20:21], s[20:21], s[0:1]
.LBB440_842:
	s_or_b64 exec, exec, s[24:25]
	s_andn2_b64 s[0:1], s[14:15], exec
	s_and_b64 s[14:15], s[22:23], exec
	s_andn2_b64 s[16:17], s[16:17], exec
	s_and_b64 s[20:21], s[20:21], exec
	s_or_b64 s[14:15], s[0:1], s[14:15]
	s_and_b64 s[0:1], s[30:31], exec
	s_and_b64 s[24:25], s[28:29], exec
	;; [unrolled: 1-line block ×3, first 2 shown]
	s_or_b64 s[16:17], s[16:17], s[20:21]
	s_or_b64 exec, exec, s[18:19]
	s_mov_b64 s[18:19], 0
	s_and_saveexec_b64 s[20:21], s[16:17]
	s_cbranch_execz .LBB440_258
.LBB440_843:
	s_mov_b64 s[18:19], exec
	s_andn2_b64 s[22:23], s[22:23], exec
	s_trap 2
	s_or_b64 exec, exec, s[20:21]
	s_and_saveexec_b64 s[16:17], s[22:23]
	s_xor_b64 s[16:17], exec, s[16:17]
	s_cbranch_execnz .LBB440_259
.LBB440_844:
	s_or_b64 exec, exec, s[16:17]
	s_and_saveexec_b64 s[16:17], s[24:25]
	s_cbranch_execz .LBB440_890
.LBB440_845:
	s_sext_i32_i16 s20, s11
	s_cmp_lt_i32 s20, 5
	s_cbranch_scc1 .LBB440_850
; %bb.846:
	s_cmp_lt_i32 s20, 8
	s_cbranch_scc1 .LBB440_851
; %bb.847:
	s_cmp_lt_i32 s20, 9
	s_cbranch_scc1 .LBB440_852
; %bb.848:
	s_cmp_gt_i32 s20, 9
	s_cbranch_scc0 .LBB440_853
; %bb.849:
	global_load_dwordx2 v[2:3], v[0:1], off
	s_mov_b64 s[20:21], 0
	s_waitcnt vmcnt(0)
	v_cvt_i32_f64_e32 v5, v[2:3]
	s_branch .LBB440_854
.LBB440_850:
                                        ; implicit-def: $vgpr5
	s_branch .LBB440_871
.LBB440_851:
                                        ; implicit-def: $vgpr5
	s_branch .LBB440_860
.LBB440_852:
	s_mov_b64 s[20:21], -1
                                        ; implicit-def: $vgpr5
	s_branch .LBB440_857
.LBB440_853:
	s_mov_b64 s[20:21], -1
                                        ; implicit-def: $vgpr5
.LBB440_854:
	s_andn2_b64 vcc, exec, s[20:21]
	s_cbranch_vccnz .LBB440_856
; %bb.855:
	global_load_dword v2, v[0:1], off
	s_waitcnt vmcnt(0)
	v_cvt_i32_f32_e32 v5, v2
.LBB440_856:
	s_mov_b64 s[20:21], 0
.LBB440_857:
	s_andn2_b64 vcc, exec, s[20:21]
	s_cbranch_vccnz .LBB440_859
; %bb.858:
	global_load_dword v2, v[0:1], off
	s_waitcnt vmcnt(0)
	v_cvt_f32_f16_e32 v2, v2
	v_cvt_i32_f32_e32 v5, v2
.LBB440_859:
	s_cbranch_execnz .LBB440_870
.LBB440_860:
	s_sext_i32_i16 s20, s11
	s_cmp_lt_i32 s20, 6
	s_cbranch_scc1 .LBB440_863
; %bb.861:
	s_cmp_gt_i32 s20, 6
	s_cbranch_scc0 .LBB440_864
; %bb.862:
	global_load_dwordx2 v[2:3], v[0:1], off
	s_mov_b64 s[20:21], 0
	s_waitcnt vmcnt(0)
	v_cvt_i32_f64_e32 v5, v[2:3]
	s_branch .LBB440_865
.LBB440_863:
	s_mov_b64 s[20:21], -1
                                        ; implicit-def: $vgpr5
	s_branch .LBB440_868
.LBB440_864:
	s_mov_b64 s[20:21], -1
                                        ; implicit-def: $vgpr5
.LBB440_865:
	s_andn2_b64 vcc, exec, s[20:21]
	s_cbranch_vccnz .LBB440_867
; %bb.866:
	global_load_dword v2, v[0:1], off
	s_waitcnt vmcnt(0)
	v_cvt_i32_f32_e32 v5, v2
.LBB440_867:
	s_mov_b64 s[20:21], 0
.LBB440_868:
	s_andn2_b64 vcc, exec, s[20:21]
	s_cbranch_vccnz .LBB440_870
; %bb.869:
	global_load_ushort v2, v[0:1], off
	s_waitcnt vmcnt(0)
	v_cvt_f32_f16_e32 v2, v2
	v_cvt_i32_f32_e32 v5, v2
.LBB440_870:
	s_cbranch_execnz .LBB440_889
.LBB440_871:
	s_sext_i32_i16 s20, s11
	s_cmp_lt_i32 s20, 2
	s_cbranch_scc1 .LBB440_875
; %bb.872:
	s_cmp_lt_i32 s20, 3
	s_cbranch_scc1 .LBB440_876
; %bb.873:
	s_cmp_gt_i32 s20, 3
	s_cbranch_scc0 .LBB440_877
; %bb.874:
	global_load_dword v5, v[0:1], off
	s_mov_b64 s[20:21], 0
	s_branch .LBB440_878
.LBB440_875:
                                        ; implicit-def: $vgpr5
	s_branch .LBB440_884
.LBB440_876:
	s_mov_b64 s[20:21], -1
                                        ; implicit-def: $vgpr5
	s_branch .LBB440_881
.LBB440_877:
	s_mov_b64 s[20:21], -1
                                        ; implicit-def: $vgpr5
.LBB440_878:
	s_andn2_b64 vcc, exec, s[20:21]
	s_cbranch_vccnz .LBB440_880
; %bb.879:
	global_load_dword v5, v[0:1], off
.LBB440_880:
	s_mov_b64 s[20:21], 0
.LBB440_881:
	s_andn2_b64 vcc, exec, s[20:21]
	s_cbranch_vccnz .LBB440_883
; %bb.882:
	global_load_sshort v5, v[0:1], off
.LBB440_883:
	s_cbranch_execnz .LBB440_889
.LBB440_884:
	s_sext_i32_i16 s20, s11
	s_cmp_gt_i32 s20, 0
	s_cbranch_scc0 .LBB440_886
; %bb.885:
	global_load_sbyte v5, v[0:1], off
	s_mov_b64 s[20:21], 0
	s_branch .LBB440_887
.LBB440_886:
	s_mov_b64 s[20:21], -1
                                        ; implicit-def: $vgpr5
.LBB440_887:
	s_andn2_b64 vcc, exec, s[20:21]
	s_cbranch_vccnz .LBB440_889
; %bb.888:
	global_load_ubyte v5, v[0:1], off
.LBB440_889:
	s_or_b64 s[0:1], s[0:1], exec
.LBB440_890:
	s_or_b64 exec, exec, s[16:17]
	s_mov_b64 s[22:23], 0
	s_mov_b64 s[20:21], 0
                                        ; implicit-def: $sgpr28
                                        ; implicit-def: $vgpr2_vgpr3
                                        ; implicit-def: $vgpr0
	s_and_saveexec_b64 s[16:17], s[0:1]
	s_cbranch_execz .LBB440_898
; %bb.891:
	s_waitcnt vmcnt(0)
	v_mul_lo_u32 v2, v4, s8
	v_ashrrev_i32_e32 v3, 31, v2
	s_and_b32 s28, s33, 0xff
	v_min_i32_e32 v0, s10, v5
	s_cmp_lt_i32 s28, 11
	v_lshl_add_u64 v[2:3], s[4:5], 0, v[2:3]
	s_cbranch_scc1 .LBB440_901
; %bb.892:
	s_and_b32 s29, 0xffff, s28
	s_mov_b64 s[22:23], -1
	s_cmp_gt_i32 s29, 25
	s_mov_b64 s[0:1], s[14:15]
	s_cbranch_scc0 .LBB440_929
; %bb.893:
	s_mov_b64 s[20:21], -1
	s_cmp_gt_i32 s29, 28
	s_mov_b64 s[0:1], s[14:15]
	s_cbranch_scc0 .LBB440_913
; %bb.894:
	s_cmp_gt_i32 s29, 43
	s_mov_b64 s[0:1], s[14:15]
	s_cbranch_scc0 .LBB440_909
; %bb.895:
	;; [unrolled: 4-line block ×3, first 2 shown]
	s_cmp_eq_u32 s29, 46
	s_mov_b64 s[0:1], -1
	s_cbranch_scc0 .LBB440_902
; %bb.897:
	v_cvt_f32_i32_e32 v1, v0
	s_movk_i32 s0, 0x7fff
	s_mov_b64 s[20:21], 0
	v_bfe_u32 v4, v1, 16, 1
	v_add3_u32 v1, v1, v4, s0
	v_lshrrev_b32_e32 v1, 16, v1
	global_store_dword v[2:3], v1, off
	s_mov_b64 s[0:1], 0
	s_branch .LBB440_903
.LBB440_898:
	s_or_b64 exec, exec, s[16:17]
	s_and_saveexec_b64 s[0:1], s[14:15]
	s_cbranch_execnz .LBB440_971
.LBB440_899:
	s_or_b64 exec, exec, s[0:1]
	s_and_saveexec_b64 s[0:1], s[22:23]
	s_xor_b64 s[0:1], exec, s[0:1]
	s_cbranch_execz .LBB440_972
.LBB440_900:
	v_cmp_ne_u32_e32 vcc, 0, v0
	s_nop 1
	v_cndmask_b32_e64 v1, 0, 1, vcc
	s_waitcnt vmcnt(0)
	global_store_byte v[2:3], v1, off
	s_or_b64 exec, exec, s[0:1]
	s_and_saveexec_b64 s[0:1], s[20:21]
	s_xor_b64 s[0:1], exec, s[0:1]
	s_cbranch_execz .LBB440_1010
	s_branch .LBB440_973
.LBB440_901:
	s_mov_b64 s[20:21], -1
	s_mov_b64 s[0:1], s[14:15]
	s_branch .LBB440_970
.LBB440_902:
	s_mov_b64 s[20:21], 0
.LBB440_903:
	s_and_b64 vcc, exec, s[20:21]
	s_cbranch_vccz .LBB440_908
; %bb.904:
	s_cmp_eq_u32 s29, 44
	s_mov_b64 s[0:1], -1
	s_cbranch_scc0 .LBB440_908
; %bb.905:
	v_cvt_f32_i32_e32 v1, v0
	s_movk_i32 s0, 0xff
	v_mov_b32_e32 v5, 0xff
	v_bfe_u32 v4, v1, 23, 8
	v_cmp_ne_u32_e32 vcc, s0, v4
	s_and_saveexec_b64 s[20:21], vcc
; %bb.906:
	s_mov_b32 s0, 0x3fffff
	v_lshrrev_b32_e32 v5, 23, v1
	v_and_b32_e32 v6, 0x400000, v1
	v_and_or_b32 v1, v1, s0, v4
	v_cmp_ne_u32_e32 vcc, 0, v6
	v_cmp_ne_u32_e64 s[0:1], 0, v1
	s_and_b64 s[0:1], vcc, s[0:1]
	s_nop 0
	v_cndmask_b32_e64 v1, 0, 1, s[0:1]
	v_add_u32_e32 v5, v5, v1
; %bb.907:
	s_or_b64 exec, exec, s[20:21]
	s_mov_b64 s[0:1], 0
	global_store_byte v[2:3], v5, off
.LBB440_908:
	s_mov_b64 s[20:21], 0
.LBB440_909:
	s_and_b64 vcc, exec, s[20:21]
	s_cbranch_vccz .LBB440_912
; %bb.910:
	s_cmp_eq_u32 s29, 29
	s_mov_b64 s[0:1], -1
	s_cbranch_scc0 .LBB440_912
; %bb.911:
	v_ashrrev_i32_e32 v1, 31, v0
	global_store_dwordx2 v[2:3], v[0:1], off
	s_mov_b64 s[0:1], 0
.LBB440_912:
	s_mov_b64 s[20:21], 0
.LBB440_913:
	s_and_b64 vcc, exec, s[20:21]
	s_cbranch_vccz .LBB440_928
; %bb.914:
	s_cmp_lt_i32 s29, 27
	s_mov_b64 s[20:21], -1
	s_cbranch_scc1 .LBB440_920
; %bb.915:
	s_cmp_gt_i32 s29, 27
	s_cbranch_scc0 .LBB440_917
; %bb.916:
	s_mov_b64 s[20:21], 0
	global_store_dword v[2:3], v0, off
.LBB440_917:
	s_andn2_b64 vcc, exec, s[20:21]
	s_cbranch_vccnz .LBB440_919
; %bb.918:
	global_store_short v[2:3], v0, off
.LBB440_919:
	s_mov_b64 s[20:21], 0
.LBB440_920:
	s_andn2_b64 vcc, exec, s[20:21]
	s_cbranch_vccnz .LBB440_928
; %bb.921:
	v_cvt_f32_i32_e32 v1, v0
	s_mov_b32 s20, 0x43800000
	v_mov_b32_e32 v5, 0x80
	v_and_b32_e32 v4, 0x7fffffff, v1
	v_cmp_gt_u32_e32 vcc, s20, v4
	s_and_saveexec_b64 s[20:21], vcc
	s_cbranch_execz .LBB440_927
; %bb.922:
	s_mov_b32 s22, 0x3bffffff
	v_cmp_lt_u32_e32 vcc, s22, v4
	s_mov_b64 s[22:23], 0
                                        ; implicit-def: $vgpr4
	s_and_saveexec_b64 s[24:25], vcc
	s_xor_b64 s[24:25], exec, s[24:25]
	s_cbranch_execz .LBB440_1025
; %bb.923:
	v_bfe_u32 v4, v1, 20, 1
	s_mov_b32 s26, 0x487ffff
	v_add3_u32 v4, v1, v4, s26
	s_mov_b64 s[22:23], exec
	v_lshrrev_b32_e32 v4, 20, v4
	s_andn2_saveexec_b64 s[24:25], s[24:25]
	s_cbranch_execnz .LBB440_1026
.LBB440_924:
	s_or_b64 exec, exec, s[24:25]
	v_mov_b32_e32 v5, 0
	s_and_saveexec_b64 s[24:25], s[22:23]
.LBB440_925:
	v_lshrrev_b32_e32 v1, 24, v1
	s_movk_i32 s22, 0x80
	v_and_or_b32 v5, v1, s22, v4
.LBB440_926:
	s_or_b64 exec, exec, s[24:25]
.LBB440_927:
	s_or_b64 exec, exec, s[20:21]
	global_store_byte v[2:3], v5, off
.LBB440_928:
	s_mov_b64 s[22:23], 0
.LBB440_929:
	s_mov_b64 s[20:21], 0
	s_and_b64 vcc, exec, s[22:23]
	s_cbranch_vccz .LBB440_969
; %bb.930:
	s_cmp_gt_i32 s29, 22
	s_mov_b64 s[22:23], -1
	s_cbranch_scc0 .LBB440_962
; %bb.931:
	s_cmp_lt_i32 s29, 24
	s_cbranch_scc1 .LBB440_951
; %bb.932:
	s_cmp_gt_i32 s29, 24
	s_cbranch_scc0 .LBB440_940
; %bb.933:
	v_cvt_f32_i32_e32 v1, v0
	s_mov_b32 s22, 0x47800000
	v_mov_b32_e32 v5, 0x80
	v_and_b32_e32 v4, 0x7fffffff, v1
	v_cmp_gt_u32_e32 vcc, s22, v4
	s_and_saveexec_b64 s[22:23], vcc
	s_cbranch_execz .LBB440_939
; %bb.934:
	s_mov_b32 s24, 0x37ffffff
	v_cmp_lt_u32_e32 vcc, s24, v4
	s_mov_b64 s[24:25], 0
                                        ; implicit-def: $vgpr4
	s_and_saveexec_b64 s[26:27], vcc
	s_xor_b64 s[26:27], exec, s[26:27]
	s_cbranch_execz .LBB440_1145
; %bb.935:
	v_bfe_u32 v4, v1, 21, 1
	s_mov_b32 s30, 0x88fffff
	v_add3_u32 v4, v1, v4, s30
	s_mov_b64 s[24:25], exec
	v_lshrrev_b32_e32 v4, 21, v4
	s_andn2_saveexec_b64 s[26:27], s[26:27]
	s_cbranch_execnz .LBB440_1146
.LBB440_936:
	s_or_b64 exec, exec, s[26:27]
	v_mov_b32_e32 v5, 0
	s_and_saveexec_b64 s[26:27], s[24:25]
.LBB440_937:
	v_lshrrev_b32_e32 v1, 24, v1
	s_movk_i32 s24, 0x80
	v_and_or_b32 v5, v1, s24, v4
.LBB440_938:
	s_or_b64 exec, exec, s[26:27]
.LBB440_939:
	s_or_b64 exec, exec, s[22:23]
	s_mov_b64 s[22:23], 0
	global_store_byte v[2:3], v5, off
.LBB440_940:
	s_and_b64 vcc, exec, s[22:23]
	s_cbranch_vccz .LBB440_950
; %bb.941:
	v_cvt_f32_i32_e32 v1, v0
	s_mov_b32 s22, 0x43f00000
                                        ; implicit-def: $vgpr4
	v_and_b32_e32 v5, 0x7fffffff, v1
	v_cmp_gt_u32_e32 vcc, s22, v5
	s_and_saveexec_b64 s[22:23], vcc
	s_xor_b64 s[22:23], exec, s[22:23]
	s_cbranch_execz .LBB440_947
; %bb.942:
	s_mov_b32 s24, 0x3c7fffff
	v_cmp_lt_u32_e32 vcc, s24, v5
                                        ; implicit-def: $vgpr4
	s_and_saveexec_b64 s[24:25], vcc
	s_xor_b64 s[24:25], exec, s[24:25]
; %bb.943:
	v_bfe_u32 v4, v1, 20, 1
	s_mov_b32 s26, 0x407ffff
	v_add3_u32 v4, v1, v4, s26
	v_lshrrev_b32_e32 v5, 20, v4
	v_and_b32_e32 v4, 0xff00000, v4
	s_mov_b32 s26, 0x7f00000
	v_mov_b32_e32 v6, 0x7e
	v_cmp_ne_u32_e32 vcc, s26, v4
	s_nop 1
	v_cndmask_b32_e32 v4, v6, v5, vcc
; %bb.944:
	s_andn2_saveexec_b64 s[24:25], s[24:25]
; %bb.945:
	s_mov_b32 s26, 0x46800000
	v_add_f32_e64 v4, |v1|, s26
; %bb.946:
	s_or_b64 exec, exec, s[24:25]
                                        ; implicit-def: $vgpr5
.LBB440_947:
	s_andn2_saveexec_b64 s[22:23], s[22:23]
; %bb.948:
	s_mov_b32 s24, 0x7f800000
	v_mov_b32_e32 v4, 0x7e
	v_mov_b32_e32 v6, 0x7f
	v_cmp_lt_u32_e32 vcc, s24, v5
	s_nop 1
	v_cndmask_b32_e32 v4, v4, v6, vcc
; %bb.949:
	s_or_b64 exec, exec, s[22:23]
	v_lshrrev_b32_e32 v1, 24, v1
	s_movk_i32 s22, 0x80
	v_and_or_b32 v1, v1, s22, v4
	global_store_byte v[2:3], v1, off
.LBB440_950:
	s_mov_b64 s[22:23], 0
.LBB440_951:
	s_andn2_b64 vcc, exec, s[22:23]
	s_cbranch_vccnz .LBB440_961
; %bb.952:
	v_cvt_f32_i32_e32 v1, v0
	s_mov_b32 s22, 0x47800000
                                        ; implicit-def: $vgpr4
	v_and_b32_e32 v5, 0x7fffffff, v1
	v_cmp_gt_u32_e32 vcc, s22, v5
	s_and_saveexec_b64 s[22:23], vcc
	s_xor_b64 s[22:23], exec, s[22:23]
	s_cbranch_execz .LBB440_958
; %bb.953:
	s_mov_b32 s24, 0x387fffff
	v_cmp_lt_u32_e32 vcc, s24, v5
                                        ; implicit-def: $vgpr4
	s_and_saveexec_b64 s[24:25], vcc
	s_xor_b64 s[24:25], exec, s[24:25]
; %bb.954:
	v_bfe_u32 v4, v1, 21, 1
	s_mov_b32 s26, 0x80fffff
	v_add3_u32 v4, v1, v4, s26
	v_lshrrev_b32_e32 v4, 21, v4
; %bb.955:
	s_andn2_saveexec_b64 s[24:25], s[24:25]
; %bb.956:
	s_mov_b32 s26, 0x43000000
	v_add_f32_e64 v4, |v1|, s26
; %bb.957:
	s_or_b64 exec, exec, s[24:25]
                                        ; implicit-def: $vgpr5
.LBB440_958:
	s_andn2_saveexec_b64 s[22:23], s[22:23]
; %bb.959:
	s_mov_b32 s24, 0x7f800000
	v_mov_b32_e32 v4, 0x7c
	v_mov_b32_e32 v6, 0x7f
	v_cmp_lt_u32_e32 vcc, s24, v5
	s_nop 1
	v_cndmask_b32_e32 v4, v4, v6, vcc
; %bb.960:
	s_or_b64 exec, exec, s[22:23]
	v_lshrrev_b32_e32 v1, 24, v1
	s_movk_i32 s22, 0x80
	v_and_or_b32 v1, v1, s22, v4
	global_store_byte v[2:3], v1, off
.LBB440_961:
	s_mov_b64 s[22:23], 0
.LBB440_962:
	s_andn2_b64 vcc, exec, s[22:23]
	s_mov_b64 s[22:23], 0
	s_cbranch_vccnz .LBB440_970
; %bb.963:
	s_cmp_gt_i32 s29, 14
	s_mov_b64 s[24:25], -1
	s_cbranch_scc0 .LBB440_967
; %bb.964:
	s_cmp_eq_u32 s29, 15
	s_mov_b64 s[0:1], -1
	s_cbranch_scc0 .LBB440_966
; %bb.965:
	v_cvt_f32_i32_e32 v1, v0
	s_movk_i32 s0, 0x7fff
	v_bfe_u32 v4, v1, 16, 1
	v_add3_u32 v1, v1, v4, s0
	global_store_short_d16_hi v[2:3], v1, off
	s_mov_b64 s[0:1], 0
.LBB440_966:
	s_mov_b64 s[24:25], 0
.LBB440_967:
	s_and_b64 vcc, exec, s[24:25]
	s_cbranch_vccz .LBB440_970
; %bb.968:
	s_cmp_lg_u32 s29, 11
	s_cselect_b64 s[24:25], -1, 0
	s_andn2_b64 s[0:1], s[0:1], exec
	s_and_b64 s[24:25], s[24:25], exec
	s_mov_b64 s[22:23], -1
	s_or_b64 s[0:1], s[0:1], s[24:25]
	s_branch .LBB440_970
.LBB440_969:
	s_mov_b64 s[22:23], 0
.LBB440_970:
	s_andn2_b64 s[14:15], s[14:15], exec
	s_and_b64 s[0:1], s[0:1], exec
	s_and_b64 s[20:21], s[20:21], exec
	s_and_b64 s[22:23], s[22:23], exec
	s_or_b64 s[14:15], s[14:15], s[0:1]
	s_or_b64 exec, exec, s[16:17]
	s_and_saveexec_b64 s[0:1], s[14:15]
	s_cbranch_execz .LBB440_899
.LBB440_971:
	s_or_b64 s[18:19], s[18:19], exec
	s_andn2_b64 s[22:23], s[22:23], exec
	s_trap 2
	s_or_b64 exec, exec, s[0:1]
	s_and_saveexec_b64 s[0:1], s[22:23]
	s_xor_b64 s[0:1], exec, s[0:1]
	s_cbranch_execnz .LBB440_900
.LBB440_972:
	s_or_b64 exec, exec, s[0:1]
	s_and_saveexec_b64 s[0:1], s[20:21]
	s_xor_b64 s[0:1], exec, s[0:1]
	s_cbranch_execz .LBB440_1010
.LBB440_973:
	s_sext_i32_i16 s16, s28
	s_cmp_lt_i32 s16, 5
	s_mov_b64 s[14:15], -1
	s_cbranch_scc1 .LBB440_994
; %bb.974:
	s_cmp_lt_i32 s16, 8
	s_cbranch_scc1 .LBB440_984
; %bb.975:
	s_cmp_lt_i32 s16, 9
	s_cbranch_scc1 .LBB440_981
; %bb.976:
	s_cmp_gt_i32 s16, 9
	s_cbranch_scc0 .LBB440_978
; %bb.977:
	v_mov_b32_e32 v6, 0
	s_waitcnt vmcnt(0)
	v_cvt_f64_i32_e32 v[4:5], v0
	v_mov_b32_e32 v7, v6
	s_mov_b64 s[14:15], 0
	global_store_dwordx4 v[2:3], v[4:7], off
.LBB440_978:
	s_andn2_b64 vcc, exec, s[14:15]
	s_cbranch_vccnz .LBB440_980
; %bb.979:
	v_cvt_f32_i32_e32 v4, v0
	s_waitcnt vmcnt(0)
	v_mov_b32_e32 v5, 0
	global_store_dwordx2 v[2:3], v[4:5], off
.LBB440_980:
	s_mov_b64 s[14:15], 0
.LBB440_981:
	s_andn2_b64 vcc, exec, s[14:15]
	s_cbranch_vccnz .LBB440_983
; %bb.982:
	v_cvt_f32_i32_e32 v1, v0
	v_cvt_f16_f32_e32 v1, v1
	s_waitcnt vmcnt(0)
	global_store_dword v[2:3], v1, off
.LBB440_983:
	s_mov_b64 s[14:15], 0
.LBB440_984:
	s_andn2_b64 vcc, exec, s[14:15]
	s_cbranch_vccnz .LBB440_993
; %bb.985:
	s_sext_i32_i16 s16, s28
	s_cmp_lt_i32 s16, 6
	s_mov_b64 s[14:15], -1
	s_cbranch_scc1 .LBB440_991
; %bb.986:
	s_cmp_gt_i32 s16, 6
	s_cbranch_scc0 .LBB440_988
; %bb.987:
	s_waitcnt vmcnt(0)
	v_cvt_f64_i32_e32 v[4:5], v0
	s_mov_b64 s[14:15], 0
	global_store_dwordx2 v[2:3], v[4:5], off
.LBB440_988:
	s_andn2_b64 vcc, exec, s[14:15]
	s_cbranch_vccnz .LBB440_990
; %bb.989:
	v_cvt_f32_i32_e32 v1, v0
	s_waitcnt vmcnt(0)
	global_store_dword v[2:3], v1, off
.LBB440_990:
	s_mov_b64 s[14:15], 0
.LBB440_991:
	s_andn2_b64 vcc, exec, s[14:15]
	s_cbranch_vccnz .LBB440_993
; %bb.992:
	v_cvt_f32_i32_e32 v1, v0
	v_cvt_f16_f32_e32 v1, v1
	s_waitcnt vmcnt(0)
	global_store_short v[2:3], v1, off
.LBB440_993:
	s_mov_b64 s[14:15], 0
.LBB440_994:
	s_andn2_b64 vcc, exec, s[14:15]
	s_cbranch_vccnz .LBB440_1010
; %bb.995:
	s_sext_i32_i16 s16, s28
	s_cmp_lt_i32 s16, 2
	s_mov_b64 s[14:15], -1
	s_cbranch_scc1 .LBB440_1005
; %bb.996:
	s_cmp_lt_i32 s16, 3
	s_cbranch_scc1 .LBB440_1002
; %bb.997:
	s_cmp_gt_i32 s16, 3
	s_cbranch_scc0 .LBB440_999
; %bb.998:
	v_ashrrev_i32_e32 v1, 31, v0
	s_mov_b64 s[14:15], 0
	s_waitcnt vmcnt(0)
	global_store_dwordx2 v[2:3], v[0:1], off
.LBB440_999:
	s_andn2_b64 vcc, exec, s[14:15]
	s_cbranch_vccnz .LBB440_1001
; %bb.1000:
	s_waitcnt vmcnt(0)
	global_store_dword v[2:3], v0, off
.LBB440_1001:
	s_mov_b64 s[14:15], 0
.LBB440_1002:
	s_andn2_b64 vcc, exec, s[14:15]
	s_cbranch_vccnz .LBB440_1004
; %bb.1003:
	s_waitcnt vmcnt(0)
	global_store_short v[2:3], v0, off
.LBB440_1004:
	s_mov_b64 s[14:15], 0
.LBB440_1005:
	s_andn2_b64 vcc, exec, s[14:15]
	s_cbranch_vccnz .LBB440_1010
; %bb.1006:
	s_sext_i32_i16 s14, s28
	s_cmp_gt_i32 s14, 0
	s_mov_b64 s[14:15], -1
	s_cbranch_scc0 .LBB440_1008
; %bb.1007:
	s_mov_b64 s[14:15], 0
	s_waitcnt vmcnt(0)
	global_store_byte v[2:3], v0, off
.LBB440_1008:
	s_andn2_b64 vcc, exec, s[14:15]
	s_cbranch_vccnz .LBB440_1010
; %bb.1009:
	s_waitcnt vmcnt(0)
	global_store_byte v[2:3], v0, off
.LBB440_1010:
	s_or_b64 exec, exec, s[0:1]
	s_and_b64 s[14:15], s[18:19], exec
                                        ; implicit-def: $vgpr4
.LBB440_1011:
	s_or_saveexec_b64 s[12:13], s[12:13]
	s_mov_b64 s[0:1], 0
                                        ; implicit-def: $sgpr22
                                        ; implicit-def: $vgpr0_vgpr1
                                        ; implicit-def: $vgpr2
	s_xor_b64 exec, exec, s[12:13]
	s_cbranch_execz .LBB440_1942
; %bb.1012:
	v_mul_lo_u32 v0, s9, v4
	v_ashrrev_i32_e32 v1, 31, v0
	s_and_b32 s11, 0xffff, s11
	s_cmp_lt_i32 s11, 11
	s_waitcnt vmcnt(0)
	v_lshl_add_u64 v[2:3], s[6:7], 0, v[0:1]
	s_cbranch_scc1 .LBB440_1019
; %bb.1013:
	s_cmp_gt_i32 s11, 25
	s_cbranch_scc0 .LBB440_1021
; %bb.1014:
	s_cmp_gt_i32 s11, 28
	s_cbranch_scc0 .LBB440_1022
	;; [unrolled: 3-line block ×4, first 2 shown]
; %bb.1017:
	s_cmp_eq_u32 s11, 46
	s_mov_b64 s[16:17], 0
	s_cbranch_scc0 .LBB440_1027
; %bb.1018:
	global_load_dword v1, v[2:3], off
	s_mov_b64 s[18:19], -1
	s_waitcnt vmcnt(0)
	v_lshlrev_b32_e32 v1, 16, v1
	v_cvt_i32_f32_e32 v5, v1
	s_branch .LBB440_1028
.LBB440_1019:
	s_mov_b64 s[18:19], 0
                                        ; implicit-def: $vgpr5
	s_mov_b64 s[16:17], s[14:15]
	s_cbranch_execnz .LBB440_1086
.LBB440_1020:
	s_andn2_b64 vcc, exec, s[18:19]
	s_cbranch_vccz .LBB440_1131
	s_branch .LBB440_1940
.LBB440_1021:
	s_mov_b64 s[18:19], 0
                                        ; implicit-def: $vgpr5
	s_cbranch_execnz .LBB440_1053
	s_branch .LBB440_1082
.LBB440_1022:
	s_mov_b64 s[18:19], 0
                                        ; implicit-def: $vgpr5
	s_cbranch_execz .LBB440_1052
	s_branch .LBB440_1037
.LBB440_1023:
	s_mov_b64 s[18:19], 0
                                        ; implicit-def: $vgpr5
	s_cbranch_execnz .LBB440_1033
	s_branch .LBB440_1036
.LBB440_1024:
	s_mov_b64 s[16:17], -1
	s_mov_b64 s[18:19], 0
                                        ; implicit-def: $vgpr5
	s_branch .LBB440_1028
.LBB440_1025:
	s_andn2_saveexec_b64 s[24:25], s[24:25]
	s_cbranch_execz .LBB440_924
.LBB440_1026:
	s_mov_b32 s26, 0x46000000
	v_add_f32_e64 v4, |v1|, s26
	v_and_b32_e32 v4, 0xff, v4
	v_cmp_ne_u32_e32 vcc, 0, v4
	s_andn2_b64 s[22:23], s[22:23], exec
	s_and_b64 s[26:27], vcc, exec
	s_or_b64 s[22:23], s[22:23], s[26:27]
	s_or_b64 exec, exec, s[24:25]
	v_mov_b32_e32 v5, 0
	s_and_saveexec_b64 s[24:25], s[22:23]
	s_cbranch_execnz .LBB440_925
	s_branch .LBB440_926
.LBB440_1027:
	s_mov_b64 s[0:1], -1
                                        ; implicit-def: $vgpr5
	s_mov_b64 s[18:19], 0
.LBB440_1028:
	s_and_b64 vcc, exec, s[16:17]
	s_cbranch_vccz .LBB440_1031
; %bb.1029:
	s_cmp_eq_u32 s11, 44
	s_cbranch_scc0 .LBB440_1032
; %bb.1030:
	global_load_ubyte v1, v[2:3], off
	s_mov_b64 s[0:1], 0
	s_mov_b64 s[18:19], -1
	s_waitcnt vmcnt(0)
	v_lshlrev_b32_e32 v5, 23, v1
	v_cvt_i32_f32_e32 v5, v5
	v_cmp_ne_u32_e32 vcc, 0, v1
	s_nop 1
	v_cndmask_b32_e32 v5, 0, v5, vcc
.LBB440_1031:
	s_branch .LBB440_1036
.LBB440_1032:
	s_mov_b64 s[0:1], -1
                                        ; implicit-def: $vgpr5
	s_branch .LBB440_1036
.LBB440_1033:
	s_cmp_eq_u32 s11, 29
	s_cbranch_scc0 .LBB440_1035
; %bb.1034:
	global_load_dword v5, v[2:3], off
	s_mov_b64 s[0:1], 0
	s_mov_b64 s[18:19], -1
	s_branch .LBB440_1036
.LBB440_1035:
	s_mov_b64 s[0:1], -1
                                        ; implicit-def: $vgpr5
.LBB440_1036:
	s_branch .LBB440_1052
.LBB440_1037:
	s_cmp_lt_i32 s11, 27
	s_cbranch_scc1 .LBB440_1040
; %bb.1038:
	s_cmp_gt_i32 s11, 27
	s_cbranch_scc0 .LBB440_1041
; %bb.1039:
	global_load_dword v5, v[2:3], off
	s_mov_b64 s[16:17], 0
	s_branch .LBB440_1042
.LBB440_1040:
	s_mov_b64 s[16:17], -1
                                        ; implicit-def: $vgpr5
	s_branch .LBB440_1045
.LBB440_1041:
	s_mov_b64 s[16:17], -1
                                        ; implicit-def: $vgpr5
.LBB440_1042:
	s_andn2_b64 vcc, exec, s[16:17]
	s_cbranch_vccnz .LBB440_1044
; %bb.1043:
	global_load_ushort v5, v[2:3], off
.LBB440_1044:
	s_mov_b64 s[16:17], 0
.LBB440_1045:
	s_andn2_b64 vcc, exec, s[16:17]
	s_cbranch_vccnz .LBB440_1051
; %bb.1046:
	global_load_ubyte v1, v[2:3], off
	s_movk_i32 s16, 0x7f
	s_mov_b64 s[18:19], 0
	s_waitcnt vmcnt(0)
	v_cmp_lt_i16_e32 vcc, s16, v1
	s_and_saveexec_b64 s[16:17], vcc
	s_xor_b64 s[16:17], exec, s[16:17]
	s_cbranch_execz .LBB440_1062
; %bb.1047:
	s_movk_i32 s18, 0x80
	v_cmp_ne_u16_e32 vcc, s18, v1
	s_and_b64 s[18:19], vcc, exec
	s_andn2_saveexec_b64 s[16:17], s[16:17]
	s_cbranch_execnz .LBB440_1063
.LBB440_1048:
	s_or_b64 exec, exec, s[16:17]
	v_mov_b32_e32 v5, 0
	s_and_saveexec_b64 s[16:17], s[18:19]
	s_cbranch_execz .LBB440_1050
.LBB440_1049:
	v_lshlrev_b32_e32 v5, 24, v1
	v_and_b32_e32 v1, 0xffff, v1
	v_and_b32_e32 v6, 7, v1
	v_ffbh_u32_e32 v8, v6
	v_min_u32_e32 v8, 32, v8
	v_subrev_u32_e32 v9, 28, v8
	v_bfe_u32 v7, v1, 3, 4
	v_lshlrev_b32_e32 v1, v9, v1
	v_sub_u32_e32 v8, 29, v8
	v_and_b32_e32 v1, 7, v1
	v_cmp_eq_u32_e32 vcc, 0, v7
	v_and_b32_e32 v5, 0x80000000, v5
	s_nop 0
	v_cndmask_b32_e32 v7, v7, v8, vcc
	v_cndmask_b32_e32 v1, v6, v1, vcc
	v_mov_b32_e32 v6, 0x3b800000
	v_lshlrev_b32_e32 v1, 20, v1
	v_lshl_add_u32 v6, v7, 23, v6
	v_or3_b32 v1, v5, v6, v1
	v_cvt_i32_f32_e32 v5, v1
.LBB440_1050:
	s_or_b64 exec, exec, s[16:17]
.LBB440_1051:
	s_mov_b64 s[18:19], -1
.LBB440_1052:
	s_branch .LBB440_1082
.LBB440_1053:
	s_cmp_gt_i32 s11, 22
	s_cbranch_scc0 .LBB440_1061
; %bb.1054:
	s_cmp_lt_i32 s11, 24
	s_cbranch_scc1 .LBB440_1064
; %bb.1055:
	s_cmp_gt_i32 s11, 24
	s_cbranch_scc0 .LBB440_1065
; %bb.1056:
	global_load_ubyte v1, v[2:3], off
	s_movk_i32 s2, 0x7f
	s_mov_b64 s[16:17], 0
	s_waitcnt vmcnt(0)
	v_cmp_lt_i16_e32 vcc, s2, v1
	s_and_saveexec_b64 s[2:3], vcc
	s_xor_b64 s[2:3], exec, s[2:3]
	s_cbranch_execz .LBB440_1076
; %bb.1057:
	s_movk_i32 s16, 0x80
	v_cmp_ne_u16_e32 vcc, s16, v1
	s_and_b64 s[16:17], vcc, exec
	s_andn2_saveexec_b64 s[2:3], s[2:3]
	s_cbranch_execnz .LBB440_1077
.LBB440_1058:
	s_or_b64 exec, exec, s[2:3]
	v_mov_b32_e32 v5, 0
	s_and_saveexec_b64 s[2:3], s[16:17]
	s_cbranch_execz .LBB440_1060
.LBB440_1059:
	v_lshlrev_b32_e32 v5, 24, v1
	v_and_b32_e32 v1, 0xffff, v1
	v_and_b32_e32 v6, 3, v1
	v_ffbh_u32_e32 v8, v6
	v_min_u32_e32 v8, 32, v8
	v_subrev_u32_e32 v9, 29, v8
	v_bfe_u32 v7, v1, 2, 5
	v_lshlrev_b32_e32 v1, v9, v1
	v_sub_u32_e32 v8, 30, v8
	v_and_b32_e32 v1, 3, v1
	v_cmp_eq_u32_e32 vcc, 0, v7
	v_and_b32_e32 v5, 0x80000000, v5
	s_nop 0
	v_cndmask_b32_e32 v7, v7, v8, vcc
	v_cndmask_b32_e32 v1, v6, v1, vcc
	v_mov_b32_e32 v6, 0x37800000
	v_lshlrev_b32_e32 v1, 21, v1
	v_lshl_add_u32 v6, v7, 23, v6
	v_or3_b32 v1, v5, v6, v1
	v_cvt_i32_f32_e32 v5, v1
.LBB440_1060:
	s_or_b64 exec, exec, s[2:3]
	s_mov_b64 s[2:3], 0
	s_branch .LBB440_1066
.LBB440_1061:
                                        ; implicit-def: $vgpr5
	s_mov_b64 s[2:3], 0
	s_branch .LBB440_1072
.LBB440_1062:
	s_andn2_saveexec_b64 s[16:17], s[16:17]
	s_cbranch_execz .LBB440_1048
.LBB440_1063:
	v_cmp_ne_u16_e32 vcc, 0, v1
	s_andn2_b64 s[18:19], s[18:19], exec
	s_and_b64 s[20:21], vcc, exec
	s_or_b64 s[18:19], s[18:19], s[20:21]
	s_or_b64 exec, exec, s[16:17]
	v_mov_b32_e32 v5, 0
	s_and_saveexec_b64 s[16:17], s[18:19]
	s_cbranch_execnz .LBB440_1049
	s_branch .LBB440_1050
.LBB440_1064:
	s_mov_b64 s[2:3], -1
                                        ; implicit-def: $vgpr5
	s_branch .LBB440_1069
.LBB440_1065:
	s_mov_b64 s[2:3], -1
                                        ; implicit-def: $vgpr5
.LBB440_1066:
	s_and_b64 vcc, exec, s[2:3]
	s_cbranch_vccz .LBB440_1068
; %bb.1067:
	global_load_ubyte v1, v[2:3], off
	s_mov_b32 s2, 0x7f800000
	s_waitcnt vmcnt(0)
	v_lshlrev_b32_e32 v1, 24, v1
	v_and_b32_e32 v5, 0x7f000000, v1
	v_ffbh_u32_e32 v6, v5
	v_min_u32_e32 v6, 32, v6
	v_sub_u32_e64 v6, v6, 4 clamp
	v_lshlrev_b32_e32 v8, v6, v5
	v_lshlrev_b32_e32 v6, 23, v6
	v_lshrrev_b32_e32 v8, 4, v8
	v_add_u32_e32 v7, 0x1000000, v5
	v_sub_u32_e32 v6, v8, v6
	v_ashrrev_i32_e32 v7, 8, v7
	v_add_u32_e32 v6, 0x3c000000, v6
	v_and_or_b32 v6, v7, s2, v6
	v_cmp_ne_u32_e32 vcc, 0, v5
	s_brev_b32 s2, 1
	s_nop 0
	v_cndmask_b32_e32 v5, 0, v6, vcc
	v_and_or_b32 v1, v1, s2, v5
	v_cvt_i32_f32_e32 v5, v1
.LBB440_1068:
	s_mov_b64 s[2:3], 0
.LBB440_1069:
	s_andn2_b64 vcc, exec, s[2:3]
	s_cbranch_vccnz .LBB440_1071
; %bb.1070:
	global_load_ubyte v1, v[2:3], off
	s_movk_i32 s2, 0x7f00
	s_brev_b32 s3, 16
	s_waitcnt vmcnt(0)
	v_lshlrev_b16_e32 v5, 8, v1
	v_lshlrev_b32_e32 v1, 25, v1
	v_lshrrev_b32_e32 v6, 4, v1
	v_and_or_b32 v7, v5, s2, 0.5
	v_or_b32_e32 v6, 0x70000000, v6
	v_add_f32_e32 v7, -0.5, v7
	v_mul_f32_e32 v6, 0x7800000, v6
	v_cmp_gt_u32_e32 vcc, s3, v1
	v_bfe_i32 v5, v5, 0, 16
	s_brev_b32 s2, 1
	v_cndmask_b32_e32 v1, v6, v7, vcc
	v_and_or_b32 v1, v5, s2, v1
	v_cvt_i32_f32_e32 v5, v1
.LBB440_1071:
	s_mov_b64 s[18:19], -1
	s_mov_b64 s[2:3], 0
	s_cbranch_execnz .LBB440_1082
.LBB440_1072:
	s_cmp_gt_i32 s11, 14
	s_cbranch_scc0 .LBB440_1075
; %bb.1073:
	s_cmp_eq_u32 s11, 15
	s_cbranch_scc0 .LBB440_1078
; %bb.1074:
	global_load_ushort v1, v[2:3], off
	s_mov_b64 s[0:1], 0
	s_mov_b64 s[18:19], -1
	s_waitcnt vmcnt(0)
	v_lshlrev_b32_e32 v1, 16, v1
	v_cvt_i32_f32_e32 v5, v1
	s_branch .LBB440_1079
.LBB440_1075:
	s_mov_b64 s[16:17], -1
                                        ; implicit-def: $vgpr5
	s_branch .LBB440_1080
.LBB440_1076:
	s_andn2_saveexec_b64 s[2:3], s[2:3]
	s_cbranch_execz .LBB440_1058
.LBB440_1077:
	v_cmp_ne_u16_e32 vcc, 0, v1
	s_andn2_b64 s[16:17], s[16:17], exec
	s_and_b64 s[18:19], vcc, exec
	s_or_b64 s[16:17], s[16:17], s[18:19]
	s_or_b64 exec, exec, s[2:3]
	v_mov_b32_e32 v5, 0
	s_and_saveexec_b64 s[2:3], s[16:17]
	s_cbranch_execnz .LBB440_1059
	s_branch .LBB440_1060
.LBB440_1078:
	s_mov_b64 s[0:1], -1
                                        ; implicit-def: $vgpr5
.LBB440_1079:
	s_mov_b64 s[16:17], 0
.LBB440_1080:
	s_and_b64 vcc, exec, s[16:17]
	s_cbranch_vccz .LBB440_1082
; %bb.1081:
	s_cmp_lg_u32 s11, 11
	s_mov_b64 s[2:3], -1
	s_cselect_b64 s[0:1], -1, 0
.LBB440_1082:
	s_and_b64 vcc, exec, s[0:1]
	s_mov_b64 s[16:17], s[14:15]
	s_cbranch_vccnz .LBB440_1143
; %bb.1083:
	s_andn2_b64 vcc, exec, s[2:3]
	s_cbranch_vccnz .LBB440_1085
.LBB440_1084:
	global_load_ubyte v1, v[2:3], off
	s_mov_b64 s[18:19], -1
	s_waitcnt vmcnt(0)
	v_cmp_ne_u16_e32 vcc, 0, v1
	s_nop 1
	v_cndmask_b32_e64 v5, 0, 1, vcc
.LBB440_1085:
	s_branch .LBB440_1020
.LBB440_1086:
	s_cmp_lt_i32 s11, 5
	s_cbranch_scc1 .LBB440_1091
; %bb.1087:
	s_cmp_lt_i32 s11, 8
	s_cbranch_scc1 .LBB440_1092
; %bb.1088:
	;; [unrolled: 3-line block ×3, first 2 shown]
	s_cmp_gt_i32 s11, 9
	s_cbranch_scc0 .LBB440_1094
; %bb.1090:
	global_load_dwordx2 v[6:7], v[2:3], off
	s_mov_b64 s[0:1], 0
	s_waitcnt vmcnt(0)
	v_cvt_i32_f64_e32 v5, v[6:7]
	s_branch .LBB440_1095
.LBB440_1091:
                                        ; implicit-def: $vgpr5
	s_branch .LBB440_1112
.LBB440_1092:
                                        ; implicit-def: $vgpr5
	s_branch .LBB440_1101
.LBB440_1093:
	s_mov_b64 s[0:1], -1
                                        ; implicit-def: $vgpr5
	s_branch .LBB440_1098
.LBB440_1094:
	s_mov_b64 s[0:1], -1
                                        ; implicit-def: $vgpr5
.LBB440_1095:
	s_andn2_b64 vcc, exec, s[0:1]
	s_cbranch_vccnz .LBB440_1097
; %bb.1096:
	global_load_dword v1, v[2:3], off
	s_waitcnt vmcnt(0)
	v_cvt_i32_f32_e32 v5, v1
.LBB440_1097:
	s_mov_b64 s[0:1], 0
.LBB440_1098:
	s_andn2_b64 vcc, exec, s[0:1]
	s_cbranch_vccnz .LBB440_1100
; %bb.1099:
	global_load_dword v1, v[2:3], off
	s_waitcnt vmcnt(0)
	v_cvt_f32_f16_e32 v1, v1
	v_cvt_i32_f32_e32 v5, v1
.LBB440_1100:
	s_cbranch_execnz .LBB440_1111
.LBB440_1101:
	s_cmp_lt_i32 s11, 6
	s_cbranch_scc1 .LBB440_1104
; %bb.1102:
	s_cmp_gt_i32 s11, 6
	s_cbranch_scc0 .LBB440_1105
; %bb.1103:
	global_load_dwordx2 v[6:7], v[2:3], off
	s_mov_b64 s[0:1], 0
	s_waitcnt vmcnt(0)
	v_cvt_i32_f64_e32 v5, v[6:7]
	s_branch .LBB440_1106
.LBB440_1104:
	s_mov_b64 s[0:1], -1
                                        ; implicit-def: $vgpr5
	s_branch .LBB440_1109
.LBB440_1105:
	s_mov_b64 s[0:1], -1
                                        ; implicit-def: $vgpr5
.LBB440_1106:
	s_andn2_b64 vcc, exec, s[0:1]
	s_cbranch_vccnz .LBB440_1108
; %bb.1107:
	global_load_dword v1, v[2:3], off
	s_waitcnt vmcnt(0)
	v_cvt_i32_f32_e32 v5, v1
.LBB440_1108:
	s_mov_b64 s[0:1], 0
.LBB440_1109:
	s_andn2_b64 vcc, exec, s[0:1]
	s_cbranch_vccnz .LBB440_1111
; %bb.1110:
	global_load_ushort v1, v[2:3], off
	s_waitcnt vmcnt(0)
	v_cvt_f32_f16_e32 v1, v1
	v_cvt_i32_f32_e32 v5, v1
.LBB440_1111:
	s_cbranch_execnz .LBB440_1130
.LBB440_1112:
	s_cmp_lt_i32 s11, 2
	s_cbranch_scc1 .LBB440_1116
; %bb.1113:
	s_cmp_lt_i32 s11, 3
	s_cbranch_scc1 .LBB440_1117
; %bb.1114:
	s_cmp_gt_i32 s11, 3
	s_cbranch_scc0 .LBB440_1118
; %bb.1115:
	global_load_dword v5, v[2:3], off
	s_mov_b64 s[0:1], 0
	s_branch .LBB440_1119
.LBB440_1116:
                                        ; implicit-def: $vgpr5
	s_branch .LBB440_1125
.LBB440_1117:
	s_mov_b64 s[0:1], -1
                                        ; implicit-def: $vgpr5
	s_branch .LBB440_1122
.LBB440_1118:
	s_mov_b64 s[0:1], -1
                                        ; implicit-def: $vgpr5
.LBB440_1119:
	s_andn2_b64 vcc, exec, s[0:1]
	s_cbranch_vccnz .LBB440_1121
; %bb.1120:
	global_load_dword v5, v[2:3], off
.LBB440_1121:
	s_mov_b64 s[0:1], 0
.LBB440_1122:
	s_andn2_b64 vcc, exec, s[0:1]
	s_cbranch_vccnz .LBB440_1124
; %bb.1123:
	global_load_sshort v5, v[2:3], off
.LBB440_1124:
	s_cbranch_execnz .LBB440_1130
.LBB440_1125:
	s_cmp_gt_i32 s11, 0
	s_cbranch_scc0 .LBB440_1127
; %bb.1126:
	global_load_sbyte v5, v[2:3], off
	s_mov_b64 s[0:1], 0
	s_branch .LBB440_1128
.LBB440_1127:
	s_mov_b64 s[0:1], -1
                                        ; implicit-def: $vgpr5
.LBB440_1128:
	s_andn2_b64 vcc, exec, s[0:1]
	s_cbranch_vccnz .LBB440_1130
; %bb.1129:
	global_load_ubyte v5, v[2:3], off
.LBB440_1130:
.LBB440_1131:
	s_lshl_b32 s9, s9, 7
	v_add_u32_e32 v0, s9, v0
	v_ashrrev_i32_e32 v1, 31, v0
	s_cmp_lt_i32 s11, 11
	v_lshl_add_u64 v[2:3], s[6:7], 0, v[0:1]
	s_cbranch_scc1 .LBB440_1138
; %bb.1132:
	s_cmp_gt_i32 s11, 25
	s_mov_b64 s[2:3], 0
	s_cbranch_scc0 .LBB440_1140
; %bb.1133:
	s_cmp_gt_i32 s11, 28
	s_cbranch_scc0 .LBB440_1141
; %bb.1134:
	s_cmp_gt_i32 s11, 43
	;; [unrolled: 3-line block ×3, first 2 shown]
	s_cbranch_scc0 .LBB440_1144
; %bb.1136:
	s_cmp_eq_u32 s11, 46
	s_mov_b64 s[20:21], 0
	s_cbranch_scc0 .LBB440_1147
; %bb.1137:
	global_load_dword v1, v[2:3], off
	s_mov_b64 s[0:1], 0
	s_mov_b64 s[18:19], -1
	s_waitcnt vmcnt(0)
	v_lshlrev_b32_e32 v1, 16, v1
	v_cvt_i32_f32_e32 v8, v1
	s_branch .LBB440_1148
.LBB440_1138:
	s_mov_b64 s[18:19], 0
                                        ; implicit-def: $vgpr8
	s_cbranch_execnz .LBB440_1209
.LBB440_1139:
	s_andn2_b64 vcc, exec, s[18:19]
	s_cbranch_vccnz .LBB440_1940
	s_branch .LBB440_1256
.LBB440_1140:
	s_mov_b64 s[18:19], 0
	s_mov_b64 s[0:1], 0
                                        ; implicit-def: $vgpr8
	s_cbranch_execnz .LBB440_1175
	s_branch .LBB440_1205
.LBB440_1141:
	s_mov_b64 s[20:21], -1
	s_mov_b64 s[18:19], 0
	s_mov_b64 s[0:1], 0
                                        ; implicit-def: $vgpr8
	s_branch .LBB440_1158
.LBB440_1142:
	s_mov_b64 s[20:21], -1
	s_mov_b64 s[18:19], 0
	s_mov_b64 s[0:1], 0
                                        ; implicit-def: $vgpr8
	s_branch .LBB440_1153
.LBB440_1143:
	s_or_b64 s[16:17], s[14:15], exec
	s_trap 2
	s_cbranch_execz .LBB440_1084
	s_branch .LBB440_1085
.LBB440_1144:
	s_mov_b64 s[20:21], -1
	s_mov_b64 s[18:19], 0
	s_mov_b64 s[0:1], 0
                                        ; implicit-def: $vgpr8
	s_branch .LBB440_1148
.LBB440_1145:
	s_andn2_saveexec_b64 s[26:27], s[26:27]
	s_cbranch_execz .LBB440_936
.LBB440_1146:
	s_mov_b32 s30, 0x42800000
	v_add_f32_e64 v4, |v1|, s30
	v_and_b32_e32 v4, 0xff, v4
	v_cmp_ne_u32_e32 vcc, 0, v4
	s_andn2_b64 s[24:25], s[24:25], exec
	s_and_b64 s[30:31], vcc, exec
	s_or_b64 s[24:25], s[24:25], s[30:31]
	s_or_b64 exec, exec, s[26:27]
	v_mov_b32_e32 v5, 0
	s_and_saveexec_b64 s[26:27], s[24:25]
	s_cbranch_execnz .LBB440_937
	s_branch .LBB440_938
.LBB440_1147:
	s_mov_b64 s[0:1], -1
                                        ; implicit-def: $vgpr8
	s_mov_b64 s[18:19], 0
.LBB440_1148:
	s_and_b64 vcc, exec, s[20:21]
	s_cbranch_vccz .LBB440_1152
; %bb.1149:
	s_cmp_eq_u32 s11, 44
	s_cbranch_scc0 .LBB440_1151
; %bb.1150:
	global_load_ubyte v1, v[2:3], off
	s_mov_b64 s[0:1], 0
	s_mov_b64 s[18:19], -1
	s_waitcnt vmcnt(0)
	v_lshlrev_b32_e32 v6, 23, v1
	v_cvt_i32_f32_e32 v6, v6
	v_cmp_ne_u32_e32 vcc, 0, v1
	s_nop 1
	v_cndmask_b32_e32 v8, 0, v6, vcc
	s_branch .LBB440_1152
.LBB440_1151:
	s_mov_b64 s[0:1], -1
                                        ; implicit-def: $vgpr8
.LBB440_1152:
	s_mov_b64 s[20:21], 0
.LBB440_1153:
	s_and_b64 vcc, exec, s[20:21]
	s_cbranch_vccz .LBB440_1157
; %bb.1154:
	s_cmp_eq_u32 s11, 29
	s_cbranch_scc0 .LBB440_1156
; %bb.1155:
	global_load_dword v8, v[2:3], off
	s_mov_b64 s[0:1], 0
	s_mov_b64 s[18:19], -1
	s_branch .LBB440_1157
.LBB440_1156:
	s_mov_b64 s[0:1], -1
                                        ; implicit-def: $vgpr8
.LBB440_1157:
	s_mov_b64 s[20:21], 0
.LBB440_1158:
	s_and_b64 vcc, exec, s[20:21]
	s_cbranch_vccz .LBB440_1174
; %bb.1159:
	s_cmp_lt_i32 s11, 27
	s_cbranch_scc1 .LBB440_1162
; %bb.1160:
	s_cmp_gt_i32 s11, 27
	s_cbranch_scc0 .LBB440_1163
; %bb.1161:
	global_load_dword v8, v[2:3], off
	s_mov_b64 s[18:19], 0
	s_branch .LBB440_1164
.LBB440_1162:
	s_mov_b64 s[18:19], -1
                                        ; implicit-def: $vgpr8
	s_branch .LBB440_1167
.LBB440_1163:
	s_mov_b64 s[18:19], -1
                                        ; implicit-def: $vgpr8
.LBB440_1164:
	s_andn2_b64 vcc, exec, s[18:19]
	s_cbranch_vccnz .LBB440_1166
; %bb.1165:
	global_load_ushort v8, v[2:3], off
.LBB440_1166:
	s_mov_b64 s[18:19], 0
.LBB440_1167:
	s_andn2_b64 vcc, exec, s[18:19]
	s_cbranch_vccnz .LBB440_1173
; %bb.1168:
	global_load_ubyte v1, v[2:3], off
	s_movk_i32 s18, 0x7f
	s_mov_b64 s[20:21], 0
	s_waitcnt vmcnt(0)
	v_cmp_lt_i16_e32 vcc, s18, v1
	s_and_saveexec_b64 s[18:19], vcc
	s_xor_b64 s[18:19], exec, s[18:19]
	s_cbranch_execz .LBB440_1184
; %bb.1169:
	s_movk_i32 s20, 0x80
	v_cmp_ne_u16_e32 vcc, s20, v1
	s_and_b64 s[20:21], vcc, exec
	s_andn2_saveexec_b64 s[18:19], s[18:19]
	s_cbranch_execnz .LBB440_1185
.LBB440_1170:
	s_or_b64 exec, exec, s[18:19]
	v_mov_b32_e32 v8, 0
	s_and_saveexec_b64 s[18:19], s[20:21]
	s_cbranch_execz .LBB440_1172
.LBB440_1171:
	v_lshlrev_b32_e32 v6, 24, v1
	v_and_b32_e32 v1, 0xffff, v1
	v_and_b32_e32 v7, 7, v1
	v_ffbh_u32_e32 v9, v7
	v_min_u32_e32 v9, 32, v9
	v_subrev_u32_e32 v10, 28, v9
	v_bfe_u32 v8, v1, 3, 4
	v_lshlrev_b32_e32 v1, v10, v1
	v_sub_u32_e32 v9, 29, v9
	v_and_b32_e32 v1, 7, v1
	v_cmp_eq_u32_e32 vcc, 0, v8
	v_and_b32_e32 v6, 0x80000000, v6
	s_nop 0
	v_cndmask_b32_e32 v8, v8, v9, vcc
	v_cndmask_b32_e32 v1, v7, v1, vcc
	v_mov_b32_e32 v7, 0x3b800000
	v_lshlrev_b32_e32 v1, 20, v1
	v_lshl_add_u32 v7, v8, 23, v7
	v_or3_b32 v1, v6, v7, v1
	v_cvt_i32_f32_e32 v8, v1
.LBB440_1172:
	s_or_b64 exec, exec, s[18:19]
.LBB440_1173:
	s_mov_b64 s[18:19], -1
.LBB440_1174:
	s_branch .LBB440_1205
.LBB440_1175:
	s_cmp_gt_i32 s11, 22
	s_cbranch_scc0 .LBB440_1183
; %bb.1176:
	s_cmp_lt_i32 s11, 24
	s_cbranch_scc1 .LBB440_1186
; %bb.1177:
	s_cmp_gt_i32 s11, 24
	s_cbranch_scc0 .LBB440_1187
; %bb.1178:
	global_load_ubyte v1, v[2:3], off
	s_movk_i32 s2, 0x7f
	s_mov_b64 s[18:19], 0
	s_waitcnt vmcnt(0)
	v_cmp_lt_i16_e32 vcc, s2, v1
	s_and_saveexec_b64 s[2:3], vcc
	s_xor_b64 s[2:3], exec, s[2:3]
	s_cbranch_execz .LBB440_1199
; %bb.1179:
	s_movk_i32 s18, 0x80
	v_cmp_ne_u16_e32 vcc, s18, v1
	s_and_b64 s[18:19], vcc, exec
	s_andn2_saveexec_b64 s[2:3], s[2:3]
	s_cbranch_execnz .LBB440_1200
.LBB440_1180:
	s_or_b64 exec, exec, s[2:3]
	v_mov_b32_e32 v8, 0
	s_and_saveexec_b64 s[2:3], s[18:19]
	s_cbranch_execz .LBB440_1182
.LBB440_1181:
	v_lshlrev_b32_e32 v6, 24, v1
	v_and_b32_e32 v1, 0xffff, v1
	v_and_b32_e32 v7, 3, v1
	v_ffbh_u32_e32 v9, v7
	v_min_u32_e32 v9, 32, v9
	v_subrev_u32_e32 v10, 29, v9
	v_bfe_u32 v8, v1, 2, 5
	v_lshlrev_b32_e32 v1, v10, v1
	v_sub_u32_e32 v9, 30, v9
	v_and_b32_e32 v1, 3, v1
	v_cmp_eq_u32_e32 vcc, 0, v8
	v_and_b32_e32 v6, 0x80000000, v6
	s_nop 0
	v_cndmask_b32_e32 v8, v8, v9, vcc
	v_cndmask_b32_e32 v1, v7, v1, vcc
	v_mov_b32_e32 v7, 0x37800000
	v_lshlrev_b32_e32 v1, 21, v1
	v_lshl_add_u32 v7, v8, 23, v7
	v_or3_b32 v1, v6, v7, v1
	v_cvt_i32_f32_e32 v8, v1
.LBB440_1182:
	s_or_b64 exec, exec, s[2:3]
	s_mov_b64 s[2:3], 0
	s_branch .LBB440_1188
.LBB440_1183:
	s_mov_b64 s[2:3], -1
                                        ; implicit-def: $vgpr8
	s_branch .LBB440_1194
.LBB440_1184:
	s_andn2_saveexec_b64 s[18:19], s[18:19]
	s_cbranch_execz .LBB440_1170
.LBB440_1185:
	v_cmp_ne_u16_e32 vcc, 0, v1
	s_andn2_b64 s[20:21], s[20:21], exec
	s_and_b64 s[22:23], vcc, exec
	s_or_b64 s[20:21], s[20:21], s[22:23]
	s_or_b64 exec, exec, s[18:19]
	v_mov_b32_e32 v8, 0
	s_and_saveexec_b64 s[18:19], s[20:21]
	s_cbranch_execnz .LBB440_1171
	s_branch .LBB440_1172
.LBB440_1186:
	s_mov_b64 s[2:3], -1
                                        ; implicit-def: $vgpr8
	s_branch .LBB440_1191
.LBB440_1187:
	s_mov_b64 s[2:3], -1
                                        ; implicit-def: $vgpr8
.LBB440_1188:
	s_and_b64 vcc, exec, s[2:3]
	s_cbranch_vccz .LBB440_1190
; %bb.1189:
	global_load_ubyte v1, v[2:3], off
	s_mov_b32 s2, 0x7f800000
	s_waitcnt vmcnt(0)
	v_lshlrev_b32_e32 v1, 24, v1
	v_and_b32_e32 v6, 0x7f000000, v1
	v_ffbh_u32_e32 v7, v6
	v_min_u32_e32 v7, 32, v7
	v_sub_u32_e64 v7, v7, 4 clamp
	v_lshlrev_b32_e32 v9, v7, v6
	v_lshlrev_b32_e32 v7, 23, v7
	v_lshrrev_b32_e32 v9, 4, v9
	v_add_u32_e32 v8, 0x1000000, v6
	v_sub_u32_e32 v7, v9, v7
	v_ashrrev_i32_e32 v8, 8, v8
	v_add_u32_e32 v7, 0x3c000000, v7
	v_and_or_b32 v7, v8, s2, v7
	v_cmp_ne_u32_e32 vcc, 0, v6
	s_brev_b32 s2, 1
	s_nop 0
	v_cndmask_b32_e32 v6, 0, v7, vcc
	v_and_or_b32 v1, v1, s2, v6
	v_cvt_i32_f32_e32 v8, v1
.LBB440_1190:
	s_mov_b64 s[2:3], 0
.LBB440_1191:
	s_andn2_b64 vcc, exec, s[2:3]
	s_cbranch_vccnz .LBB440_1193
; %bb.1192:
	global_load_ubyte v1, v[2:3], off
	s_movk_i32 s2, 0x7f00
	s_brev_b32 s3, 16
	s_waitcnt vmcnt(0)
	v_lshlrev_b16_e32 v6, 8, v1
	v_lshlrev_b32_e32 v1, 25, v1
	v_lshrrev_b32_e32 v7, 4, v1
	v_and_or_b32 v8, v6, s2, 0.5
	v_or_b32_e32 v7, 0x70000000, v7
	v_add_f32_e32 v8, -0.5, v8
	v_mul_f32_e32 v7, 0x7800000, v7
	v_cmp_gt_u32_e32 vcc, s3, v1
	v_bfe_i32 v6, v6, 0, 16
	s_brev_b32 s2, 1
	v_cndmask_b32_e32 v1, v7, v8, vcc
	v_and_or_b32 v1, v6, s2, v1
	v_cvt_i32_f32_e32 v8, v1
.LBB440_1193:
	s_mov_b64 s[2:3], 0
	s_mov_b64 s[18:19], -1
.LBB440_1194:
	s_andn2_b64 vcc, exec, s[2:3]
	s_mov_b64 s[2:3], 0
	s_cbranch_vccnz .LBB440_1205
; %bb.1195:
	s_cmp_gt_i32 s11, 14
	s_cbranch_scc0 .LBB440_1198
; %bb.1196:
	s_cmp_eq_u32 s11, 15
	s_cbranch_scc0 .LBB440_1201
; %bb.1197:
	global_load_ushort v1, v[2:3], off
	s_mov_b64 s[0:1], 0
	s_mov_b64 s[18:19], -1
	s_waitcnt vmcnt(0)
	v_lshlrev_b32_e32 v1, 16, v1
	v_cvt_i32_f32_e32 v8, v1
	s_branch .LBB440_1202
.LBB440_1198:
	s_mov_b64 s[20:21], -1
                                        ; implicit-def: $vgpr8
	s_branch .LBB440_1203
.LBB440_1199:
	s_andn2_saveexec_b64 s[2:3], s[2:3]
	s_cbranch_execz .LBB440_1180
.LBB440_1200:
	v_cmp_ne_u16_e32 vcc, 0, v1
	s_andn2_b64 s[18:19], s[18:19], exec
	s_and_b64 s[20:21], vcc, exec
	s_or_b64 s[18:19], s[18:19], s[20:21]
	s_or_b64 exec, exec, s[2:3]
	v_mov_b32_e32 v8, 0
	s_and_saveexec_b64 s[2:3], s[18:19]
	s_cbranch_execnz .LBB440_1181
	s_branch .LBB440_1182
.LBB440_1201:
	s_mov_b64 s[0:1], -1
                                        ; implicit-def: $vgpr8
.LBB440_1202:
	s_mov_b64 s[20:21], 0
.LBB440_1203:
	s_and_b64 vcc, exec, s[20:21]
	s_cbranch_vccz .LBB440_1205
; %bb.1204:
	s_cmp_lg_u32 s11, 11
	s_mov_b64 s[2:3], -1
	s_cselect_b64 s[0:1], -1, 0
.LBB440_1205:
	s_and_b64 vcc, exec, s[0:1]
	s_cbranch_vccnz .LBB440_1268
; %bb.1206:
	s_andn2_b64 vcc, exec, s[2:3]
	s_cbranch_vccnz .LBB440_1208
.LBB440_1207:
	global_load_ubyte v1, v[2:3], off
	s_mov_b64 s[18:19], -1
	s_waitcnt vmcnt(0)
	v_cmp_ne_u16_e32 vcc, 0, v1
	s_nop 1
	v_cndmask_b32_e64 v8, 0, 1, vcc
.LBB440_1208:
	s_branch .LBB440_1139
.LBB440_1209:
	s_cmp_lt_i32 s11, 5
	s_cbranch_scc1 .LBB440_1214
; %bb.1210:
	s_cmp_lt_i32 s11, 8
	s_cbranch_scc1 .LBB440_1215
; %bb.1211:
	;; [unrolled: 3-line block ×3, first 2 shown]
	s_cmp_gt_i32 s11, 9
	s_cbranch_scc0 .LBB440_1217
; %bb.1213:
	global_load_dwordx2 v[6:7], v[2:3], off
	s_mov_b64 s[0:1], 0
	s_waitcnt vmcnt(0)
	v_cvt_i32_f64_e32 v8, v[6:7]
	s_branch .LBB440_1218
.LBB440_1214:
                                        ; implicit-def: $vgpr8
	s_branch .LBB440_1236
.LBB440_1215:
	s_mov_b64 s[0:1], -1
                                        ; implicit-def: $vgpr8
	s_branch .LBB440_1224
.LBB440_1216:
	s_mov_b64 s[0:1], -1
                                        ; implicit-def: $vgpr8
	s_branch .LBB440_1221
.LBB440_1217:
	s_mov_b64 s[0:1], -1
                                        ; implicit-def: $vgpr8
.LBB440_1218:
	s_andn2_b64 vcc, exec, s[0:1]
	s_cbranch_vccnz .LBB440_1220
; %bb.1219:
	global_load_dword v1, v[2:3], off
	s_waitcnt vmcnt(0)
	v_cvt_i32_f32_e32 v8, v1
.LBB440_1220:
	s_mov_b64 s[0:1], 0
.LBB440_1221:
	s_andn2_b64 vcc, exec, s[0:1]
	s_cbranch_vccnz .LBB440_1223
; %bb.1222:
	global_load_dword v1, v[2:3], off
	s_waitcnt vmcnt(0)
	v_cvt_f32_f16_e32 v1, v1
	v_cvt_i32_f32_e32 v8, v1
.LBB440_1223:
	s_mov_b64 s[0:1], 0
.LBB440_1224:
	s_andn2_b64 vcc, exec, s[0:1]
	s_cbranch_vccnz .LBB440_1235
; %bb.1225:
	s_cmp_lt_i32 s11, 6
	s_cbranch_scc1 .LBB440_1228
; %bb.1226:
	s_cmp_gt_i32 s11, 6
	s_cbranch_scc0 .LBB440_1229
; %bb.1227:
	global_load_dwordx2 v[6:7], v[2:3], off
	s_mov_b64 s[0:1], 0
	s_waitcnt vmcnt(0)
	v_cvt_i32_f64_e32 v8, v[6:7]
	s_branch .LBB440_1230
.LBB440_1228:
	s_mov_b64 s[0:1], -1
                                        ; implicit-def: $vgpr8
	s_branch .LBB440_1233
.LBB440_1229:
	s_mov_b64 s[0:1], -1
                                        ; implicit-def: $vgpr8
.LBB440_1230:
	s_andn2_b64 vcc, exec, s[0:1]
	s_cbranch_vccnz .LBB440_1232
; %bb.1231:
	global_load_dword v1, v[2:3], off
	s_waitcnt vmcnt(0)
	v_cvt_i32_f32_e32 v8, v1
.LBB440_1232:
	s_mov_b64 s[0:1], 0
.LBB440_1233:
	s_andn2_b64 vcc, exec, s[0:1]
	s_cbranch_vccnz .LBB440_1235
; %bb.1234:
	global_load_ushort v1, v[2:3], off
	s_waitcnt vmcnt(0)
	v_cvt_f32_f16_e32 v1, v1
	v_cvt_i32_f32_e32 v8, v1
.LBB440_1235:
	s_cbranch_execnz .LBB440_1255
.LBB440_1236:
	s_cmp_lt_i32 s11, 2
	s_cbranch_scc1 .LBB440_1240
; %bb.1237:
	s_cmp_lt_i32 s11, 3
	s_cbranch_scc1 .LBB440_1241
; %bb.1238:
	s_cmp_gt_i32 s11, 3
	s_cbranch_scc0 .LBB440_1242
; %bb.1239:
	global_load_dword v8, v[2:3], off
	s_mov_b64 s[0:1], 0
	s_branch .LBB440_1243
.LBB440_1240:
	s_mov_b64 s[0:1], -1
                                        ; implicit-def: $vgpr8
	s_branch .LBB440_1249
.LBB440_1241:
	s_mov_b64 s[0:1], -1
                                        ; implicit-def: $vgpr8
	s_branch .LBB440_1246
.LBB440_1242:
	s_mov_b64 s[0:1], -1
                                        ; implicit-def: $vgpr8
.LBB440_1243:
	s_andn2_b64 vcc, exec, s[0:1]
	s_cbranch_vccnz .LBB440_1245
; %bb.1244:
	global_load_dword v8, v[2:3], off
.LBB440_1245:
	s_mov_b64 s[0:1], 0
.LBB440_1246:
	s_andn2_b64 vcc, exec, s[0:1]
	s_cbranch_vccnz .LBB440_1248
; %bb.1247:
	global_load_sshort v8, v[2:3], off
.LBB440_1248:
	s_mov_b64 s[0:1], 0
.LBB440_1249:
	s_andn2_b64 vcc, exec, s[0:1]
	s_cbranch_vccnz .LBB440_1255
; %bb.1250:
	s_cmp_gt_i32 s11, 0
	s_cbranch_scc0 .LBB440_1252
; %bb.1251:
	global_load_sbyte v8, v[2:3], off
	s_mov_b64 s[0:1], 0
	s_branch .LBB440_1253
.LBB440_1252:
	s_mov_b64 s[0:1], -1
                                        ; implicit-def: $vgpr8
.LBB440_1253:
	s_andn2_b64 vcc, exec, s[0:1]
	s_cbranch_vccnz .LBB440_1255
; %bb.1254:
	global_load_ubyte v8, v[2:3], off
.LBB440_1255:
.LBB440_1256:
	v_add_u32_e32 v0, s9, v0
	v_ashrrev_i32_e32 v1, 31, v0
	s_cmp_lt_i32 s11, 11
	v_lshl_add_u64 v[2:3], s[6:7], 0, v[0:1]
	s_cbranch_scc1 .LBB440_1263
; %bb.1257:
	s_cmp_gt_i32 s11, 25
	s_mov_b64 s[2:3], 0
	s_cbranch_scc0 .LBB440_1265
; %bb.1258:
	s_cmp_gt_i32 s11, 28
	s_cbranch_scc0 .LBB440_1266
; %bb.1259:
	s_cmp_gt_i32 s11, 43
	;; [unrolled: 3-line block ×3, first 2 shown]
	s_cbranch_scc0 .LBB440_1269
; %bb.1261:
	s_cmp_eq_u32 s11, 46
	s_mov_b64 s[20:21], 0
	s_cbranch_scc0 .LBB440_1270
; %bb.1262:
	global_load_dword v1, v[2:3], off
	s_mov_b64 s[0:1], 0
	s_mov_b64 s[18:19], -1
	s_waitcnt vmcnt(0)
	v_lshlrev_b32_e32 v1, 16, v1
	v_cvt_i32_f32_e32 v7, v1
	s_branch .LBB440_1271
.LBB440_1263:
	s_mov_b64 s[18:19], 0
                                        ; implicit-def: $vgpr7
	s_cbranch_execnz .LBB440_1333
.LBB440_1264:
	s_andn2_b64 vcc, exec, s[18:19]
	s_cbranch_vccnz .LBB440_1940
	s_branch .LBB440_1381
.LBB440_1265:
	s_mov_b64 s[20:21], -1
	s_mov_b64 s[18:19], 0
	s_mov_b64 s[0:1], 0
                                        ; implicit-def: $vgpr7
	s_branch .LBB440_1298
.LBB440_1266:
	s_mov_b64 s[20:21], -1
	s_mov_b64 s[18:19], 0
	s_mov_b64 s[0:1], 0
                                        ; implicit-def: $vgpr7
	s_branch .LBB440_1281
.LBB440_1267:
	s_mov_b64 s[20:21], -1
	s_mov_b64 s[18:19], 0
	s_mov_b64 s[0:1], 0
                                        ; implicit-def: $vgpr7
	s_branch .LBB440_1276
.LBB440_1268:
	s_trap 2
	s_or_b64 s[16:17], s[16:17], exec
	s_cbranch_execz .LBB440_1207
	s_branch .LBB440_1208
.LBB440_1269:
	s_mov_b64 s[20:21], -1
	s_mov_b64 s[18:19], 0
	s_mov_b64 s[0:1], 0
                                        ; implicit-def: $vgpr7
	s_branch .LBB440_1271
.LBB440_1270:
	s_mov_b64 s[0:1], -1
                                        ; implicit-def: $vgpr7
	s_mov_b64 s[18:19], 0
.LBB440_1271:
	s_and_b64 vcc, exec, s[20:21]
	s_cbranch_vccz .LBB440_1275
; %bb.1272:
	s_cmp_eq_u32 s11, 44
	s_cbranch_scc0 .LBB440_1274
; %bb.1273:
	global_load_ubyte v1, v[2:3], off
	s_mov_b64 s[0:1], 0
	s_mov_b64 s[18:19], -1
	s_waitcnt vmcnt(0)
	v_lshlrev_b32_e32 v6, 23, v1
	v_cvt_i32_f32_e32 v6, v6
	v_cmp_ne_u32_e32 vcc, 0, v1
	s_nop 1
	v_cndmask_b32_e32 v7, 0, v6, vcc
	s_branch .LBB440_1275
.LBB440_1274:
	s_mov_b64 s[0:1], -1
                                        ; implicit-def: $vgpr7
.LBB440_1275:
	s_mov_b64 s[20:21], 0
.LBB440_1276:
	s_and_b64 vcc, exec, s[20:21]
	s_cbranch_vccz .LBB440_1280
; %bb.1277:
	s_cmp_eq_u32 s11, 29
	s_cbranch_scc0 .LBB440_1279
; %bb.1278:
	global_load_dword v7, v[2:3], off
	s_mov_b64 s[0:1], 0
	s_mov_b64 s[18:19], -1
	s_branch .LBB440_1280
.LBB440_1279:
	s_mov_b64 s[0:1], -1
                                        ; implicit-def: $vgpr7
.LBB440_1280:
	s_mov_b64 s[20:21], 0
.LBB440_1281:
	s_and_b64 vcc, exec, s[20:21]
	s_cbranch_vccz .LBB440_1297
; %bb.1282:
	s_cmp_lt_i32 s11, 27
	s_cbranch_scc1 .LBB440_1285
; %bb.1283:
	s_cmp_gt_i32 s11, 27
	s_cbranch_scc0 .LBB440_1286
; %bb.1284:
	global_load_dword v7, v[2:3], off
	s_mov_b64 s[18:19], 0
	s_branch .LBB440_1287
.LBB440_1285:
	s_mov_b64 s[18:19], -1
                                        ; implicit-def: $vgpr7
	s_branch .LBB440_1290
.LBB440_1286:
	s_mov_b64 s[18:19], -1
                                        ; implicit-def: $vgpr7
.LBB440_1287:
	s_andn2_b64 vcc, exec, s[18:19]
	s_cbranch_vccnz .LBB440_1289
; %bb.1288:
	global_load_ushort v7, v[2:3], off
.LBB440_1289:
	s_mov_b64 s[18:19], 0
.LBB440_1290:
	s_andn2_b64 vcc, exec, s[18:19]
	s_cbranch_vccnz .LBB440_1296
; %bb.1291:
	global_load_ubyte v1, v[2:3], off
	s_movk_i32 s18, 0x7f
	s_mov_b64 s[20:21], 0
	s_waitcnt vmcnt(0)
	v_cmp_lt_i16_e32 vcc, s18, v1
	s_and_saveexec_b64 s[18:19], vcc
	s_xor_b64 s[18:19], exec, s[18:19]
	s_cbranch_execz .LBB440_1308
; %bb.1292:
	s_movk_i32 s20, 0x80
	v_cmp_ne_u16_e32 vcc, s20, v1
	s_and_b64 s[20:21], vcc, exec
	s_andn2_saveexec_b64 s[18:19], s[18:19]
	s_cbranch_execnz .LBB440_1309
.LBB440_1293:
	s_or_b64 exec, exec, s[18:19]
	v_mov_b32_e32 v7, 0
	s_and_saveexec_b64 s[18:19], s[20:21]
	s_cbranch_execz .LBB440_1295
.LBB440_1294:
	v_lshlrev_b32_e32 v6, 24, v1
	v_and_b32_e32 v1, 0xffff, v1
	v_and_b32_e32 v7, 7, v1
	v_ffbh_u32_e32 v10, v7
	v_min_u32_e32 v10, 32, v10
	v_subrev_u32_e32 v11, 28, v10
	v_bfe_u32 v9, v1, 3, 4
	v_lshlrev_b32_e32 v1, v11, v1
	v_sub_u32_e32 v10, 29, v10
	v_and_b32_e32 v1, 7, v1
	v_cmp_eq_u32_e32 vcc, 0, v9
	v_and_b32_e32 v6, 0x80000000, v6
	s_nop 0
	v_cndmask_b32_e32 v9, v9, v10, vcc
	v_cndmask_b32_e32 v1, v7, v1, vcc
	v_mov_b32_e32 v7, 0x3b800000
	v_lshlrev_b32_e32 v1, 20, v1
	v_lshl_add_u32 v7, v9, 23, v7
	v_or3_b32 v1, v6, v7, v1
	v_cvt_i32_f32_e32 v7, v1
.LBB440_1295:
	s_or_b64 exec, exec, s[18:19]
.LBB440_1296:
	s_mov_b64 s[18:19], -1
.LBB440_1297:
	s_mov_b64 s[20:21], 0
.LBB440_1298:
	s_and_b64 vcc, exec, s[20:21]
	s_cbranch_vccz .LBB440_1329
; %bb.1299:
	s_cmp_gt_i32 s11, 22
	s_cbranch_scc0 .LBB440_1307
; %bb.1300:
	s_cmp_lt_i32 s11, 24
	s_cbranch_scc1 .LBB440_1310
; %bb.1301:
	s_cmp_gt_i32 s11, 24
	s_cbranch_scc0 .LBB440_1311
; %bb.1302:
	global_load_ubyte v1, v[2:3], off
	s_movk_i32 s2, 0x7f
	s_mov_b64 s[18:19], 0
	s_waitcnt vmcnt(0)
	v_cmp_lt_i16_e32 vcc, s2, v1
	s_and_saveexec_b64 s[2:3], vcc
	s_xor_b64 s[2:3], exec, s[2:3]
	s_cbranch_execz .LBB440_1323
; %bb.1303:
	s_movk_i32 s18, 0x80
	v_cmp_ne_u16_e32 vcc, s18, v1
	s_and_b64 s[18:19], vcc, exec
	s_andn2_saveexec_b64 s[2:3], s[2:3]
	s_cbranch_execnz .LBB440_1324
.LBB440_1304:
	s_or_b64 exec, exec, s[2:3]
	v_mov_b32_e32 v7, 0
	s_and_saveexec_b64 s[2:3], s[18:19]
	s_cbranch_execz .LBB440_1306
.LBB440_1305:
	v_lshlrev_b32_e32 v6, 24, v1
	v_and_b32_e32 v1, 0xffff, v1
	v_and_b32_e32 v7, 3, v1
	v_ffbh_u32_e32 v10, v7
	v_min_u32_e32 v10, 32, v10
	v_subrev_u32_e32 v11, 29, v10
	v_bfe_u32 v9, v1, 2, 5
	v_lshlrev_b32_e32 v1, v11, v1
	v_sub_u32_e32 v10, 30, v10
	v_and_b32_e32 v1, 3, v1
	v_cmp_eq_u32_e32 vcc, 0, v9
	v_and_b32_e32 v6, 0x80000000, v6
	s_nop 0
	v_cndmask_b32_e32 v9, v9, v10, vcc
	v_cndmask_b32_e32 v1, v7, v1, vcc
	v_mov_b32_e32 v7, 0x37800000
	v_lshlrev_b32_e32 v1, 21, v1
	v_lshl_add_u32 v7, v9, 23, v7
	v_or3_b32 v1, v6, v7, v1
	v_cvt_i32_f32_e32 v7, v1
.LBB440_1306:
	s_or_b64 exec, exec, s[2:3]
	s_mov_b64 s[2:3], 0
	s_branch .LBB440_1312
.LBB440_1307:
	s_mov_b64 s[2:3], -1
                                        ; implicit-def: $vgpr7
	s_branch .LBB440_1318
.LBB440_1308:
	s_andn2_saveexec_b64 s[18:19], s[18:19]
	s_cbranch_execz .LBB440_1293
.LBB440_1309:
	v_cmp_ne_u16_e32 vcc, 0, v1
	s_andn2_b64 s[20:21], s[20:21], exec
	s_and_b64 s[22:23], vcc, exec
	s_or_b64 s[20:21], s[20:21], s[22:23]
	s_or_b64 exec, exec, s[18:19]
	v_mov_b32_e32 v7, 0
	s_and_saveexec_b64 s[18:19], s[20:21]
	s_cbranch_execnz .LBB440_1294
	s_branch .LBB440_1295
.LBB440_1310:
	s_mov_b64 s[2:3], -1
                                        ; implicit-def: $vgpr7
	s_branch .LBB440_1315
.LBB440_1311:
	s_mov_b64 s[2:3], -1
                                        ; implicit-def: $vgpr7
.LBB440_1312:
	s_and_b64 vcc, exec, s[2:3]
	s_cbranch_vccz .LBB440_1314
; %bb.1313:
	global_load_ubyte v1, v[2:3], off
	s_mov_b32 s2, 0x7f800000
	s_waitcnt vmcnt(0)
	v_lshlrev_b32_e32 v1, 24, v1
	v_and_b32_e32 v6, 0x7f000000, v1
	v_ffbh_u32_e32 v7, v6
	v_min_u32_e32 v7, 32, v7
	v_sub_u32_e64 v7, v7, 4 clamp
	v_lshlrev_b32_e32 v10, v7, v6
	v_lshlrev_b32_e32 v7, 23, v7
	v_lshrrev_b32_e32 v10, 4, v10
	v_add_u32_e32 v9, 0x1000000, v6
	v_sub_u32_e32 v7, v10, v7
	v_ashrrev_i32_e32 v9, 8, v9
	v_add_u32_e32 v7, 0x3c000000, v7
	v_and_or_b32 v7, v9, s2, v7
	v_cmp_ne_u32_e32 vcc, 0, v6
	s_brev_b32 s2, 1
	s_nop 0
	v_cndmask_b32_e32 v6, 0, v7, vcc
	v_and_or_b32 v1, v1, s2, v6
	v_cvt_i32_f32_e32 v7, v1
.LBB440_1314:
	s_mov_b64 s[2:3], 0
.LBB440_1315:
	s_andn2_b64 vcc, exec, s[2:3]
	s_cbranch_vccnz .LBB440_1317
; %bb.1316:
	global_load_ubyte v1, v[2:3], off
	s_movk_i32 s2, 0x7f00
	s_brev_b32 s3, 16
	s_waitcnt vmcnt(0)
	v_lshlrev_b16_e32 v6, 8, v1
	v_lshlrev_b32_e32 v1, 25, v1
	v_lshrrev_b32_e32 v7, 4, v1
	v_and_or_b32 v9, v6, s2, 0.5
	v_or_b32_e32 v7, 0x70000000, v7
	v_add_f32_e32 v9, -0.5, v9
	v_mul_f32_e32 v7, 0x7800000, v7
	v_cmp_gt_u32_e32 vcc, s3, v1
	v_bfe_i32 v6, v6, 0, 16
	s_brev_b32 s2, 1
	v_cndmask_b32_e32 v1, v7, v9, vcc
	v_and_or_b32 v1, v6, s2, v1
	v_cvt_i32_f32_e32 v7, v1
.LBB440_1317:
	s_mov_b64 s[2:3], 0
	s_mov_b64 s[18:19], -1
.LBB440_1318:
	s_andn2_b64 vcc, exec, s[2:3]
	s_mov_b64 s[2:3], 0
	s_cbranch_vccnz .LBB440_1329
; %bb.1319:
	s_cmp_gt_i32 s11, 14
	s_cbranch_scc0 .LBB440_1322
; %bb.1320:
	s_cmp_eq_u32 s11, 15
	s_cbranch_scc0 .LBB440_1325
; %bb.1321:
	global_load_ushort v1, v[2:3], off
	s_mov_b64 s[0:1], 0
	s_mov_b64 s[18:19], -1
	s_waitcnt vmcnt(0)
	v_lshlrev_b32_e32 v1, 16, v1
	v_cvt_i32_f32_e32 v7, v1
	s_branch .LBB440_1326
.LBB440_1322:
	s_mov_b64 s[20:21], -1
                                        ; implicit-def: $vgpr7
	s_branch .LBB440_1327
.LBB440_1323:
	s_andn2_saveexec_b64 s[2:3], s[2:3]
	s_cbranch_execz .LBB440_1304
.LBB440_1324:
	v_cmp_ne_u16_e32 vcc, 0, v1
	s_andn2_b64 s[18:19], s[18:19], exec
	s_and_b64 s[20:21], vcc, exec
	s_or_b64 s[18:19], s[18:19], s[20:21]
	s_or_b64 exec, exec, s[2:3]
	v_mov_b32_e32 v7, 0
	s_and_saveexec_b64 s[2:3], s[18:19]
	s_cbranch_execnz .LBB440_1305
	s_branch .LBB440_1306
.LBB440_1325:
	s_mov_b64 s[0:1], -1
                                        ; implicit-def: $vgpr7
.LBB440_1326:
	s_mov_b64 s[20:21], 0
.LBB440_1327:
	s_and_b64 vcc, exec, s[20:21]
	s_cbranch_vccz .LBB440_1329
; %bb.1328:
	s_cmp_lg_u32 s11, 11
	s_mov_b64 s[2:3], -1
	s_cselect_b64 s[0:1], -1, 0
.LBB440_1329:
	s_and_b64 vcc, exec, s[0:1]
	s_cbranch_vccnz .LBB440_1392
; %bb.1330:
	s_andn2_b64 vcc, exec, s[2:3]
	s_cbranch_vccnz .LBB440_1332
.LBB440_1331:
	global_load_ubyte v1, v[2:3], off
	s_mov_b64 s[18:19], -1
	s_waitcnt vmcnt(0)
	v_cmp_ne_u16_e32 vcc, 0, v1
	s_nop 1
	v_cndmask_b32_e64 v7, 0, 1, vcc
.LBB440_1332:
	s_branch .LBB440_1264
.LBB440_1333:
	s_cmp_lt_i32 s11, 5
	s_cbranch_scc1 .LBB440_1338
; %bb.1334:
	s_cmp_lt_i32 s11, 8
	s_cbranch_scc1 .LBB440_1339
; %bb.1335:
	;; [unrolled: 3-line block ×3, first 2 shown]
	s_cmp_gt_i32 s11, 9
	s_cbranch_scc0 .LBB440_1341
; %bb.1337:
	global_load_dwordx2 v[6:7], v[2:3], off
	s_mov_b64 s[0:1], 0
	s_waitcnt vmcnt(0)
	v_cvt_i32_f64_e32 v7, v[6:7]
	s_branch .LBB440_1342
.LBB440_1338:
	s_mov_b64 s[0:1], -1
                                        ; implicit-def: $vgpr7
	s_branch .LBB440_1360
.LBB440_1339:
	s_mov_b64 s[0:1], -1
                                        ; implicit-def: $vgpr7
	s_branch .LBB440_1348
.LBB440_1340:
	s_mov_b64 s[0:1], -1
                                        ; implicit-def: $vgpr7
	s_branch .LBB440_1345
.LBB440_1341:
	s_mov_b64 s[0:1], -1
                                        ; implicit-def: $vgpr7
.LBB440_1342:
	s_andn2_b64 vcc, exec, s[0:1]
	s_cbranch_vccnz .LBB440_1344
; %bb.1343:
	global_load_dword v1, v[2:3], off
	s_waitcnt vmcnt(0)
	v_cvt_i32_f32_e32 v7, v1
.LBB440_1344:
	s_mov_b64 s[0:1], 0
.LBB440_1345:
	s_andn2_b64 vcc, exec, s[0:1]
	s_cbranch_vccnz .LBB440_1347
; %bb.1346:
	global_load_dword v1, v[2:3], off
	s_waitcnt vmcnt(0)
	v_cvt_f32_f16_e32 v1, v1
	v_cvt_i32_f32_e32 v7, v1
.LBB440_1347:
	s_mov_b64 s[0:1], 0
.LBB440_1348:
	s_andn2_b64 vcc, exec, s[0:1]
	s_cbranch_vccnz .LBB440_1359
; %bb.1349:
	s_cmp_lt_i32 s11, 6
	s_cbranch_scc1 .LBB440_1352
; %bb.1350:
	s_cmp_gt_i32 s11, 6
	s_cbranch_scc0 .LBB440_1353
; %bb.1351:
	global_load_dwordx2 v[6:7], v[2:3], off
	s_mov_b64 s[0:1], 0
	s_waitcnt vmcnt(0)
	v_cvt_i32_f64_e32 v7, v[6:7]
	s_branch .LBB440_1354
.LBB440_1352:
	s_mov_b64 s[0:1], -1
                                        ; implicit-def: $vgpr7
	s_branch .LBB440_1357
.LBB440_1353:
	s_mov_b64 s[0:1], -1
                                        ; implicit-def: $vgpr7
.LBB440_1354:
	s_andn2_b64 vcc, exec, s[0:1]
	s_cbranch_vccnz .LBB440_1356
; %bb.1355:
	global_load_dword v1, v[2:3], off
	s_waitcnt vmcnt(0)
	v_cvt_i32_f32_e32 v7, v1
.LBB440_1356:
	s_mov_b64 s[0:1], 0
.LBB440_1357:
	s_andn2_b64 vcc, exec, s[0:1]
	s_cbranch_vccnz .LBB440_1359
; %bb.1358:
	global_load_ushort v1, v[2:3], off
	s_waitcnt vmcnt(0)
	v_cvt_f32_f16_e32 v1, v1
	v_cvt_i32_f32_e32 v7, v1
.LBB440_1359:
	s_mov_b64 s[0:1], 0
.LBB440_1360:
	s_andn2_b64 vcc, exec, s[0:1]
	s_cbranch_vccnz .LBB440_1380
; %bb.1361:
	s_cmp_lt_i32 s11, 2
	s_cbranch_scc1 .LBB440_1365
; %bb.1362:
	s_cmp_lt_i32 s11, 3
	s_cbranch_scc1 .LBB440_1366
; %bb.1363:
	s_cmp_gt_i32 s11, 3
	s_cbranch_scc0 .LBB440_1367
; %bb.1364:
	global_load_dword v7, v[2:3], off
	s_mov_b64 s[0:1], 0
	s_branch .LBB440_1368
.LBB440_1365:
	s_mov_b64 s[0:1], -1
                                        ; implicit-def: $vgpr7
	s_branch .LBB440_1374
.LBB440_1366:
	s_mov_b64 s[0:1], -1
                                        ; implicit-def: $vgpr7
	s_branch .LBB440_1371
.LBB440_1367:
	s_mov_b64 s[0:1], -1
                                        ; implicit-def: $vgpr7
.LBB440_1368:
	s_andn2_b64 vcc, exec, s[0:1]
	s_cbranch_vccnz .LBB440_1370
; %bb.1369:
	global_load_dword v7, v[2:3], off
.LBB440_1370:
	s_mov_b64 s[0:1], 0
.LBB440_1371:
	s_andn2_b64 vcc, exec, s[0:1]
	s_cbranch_vccnz .LBB440_1373
; %bb.1372:
	global_load_sshort v7, v[2:3], off
.LBB440_1373:
	s_mov_b64 s[0:1], 0
.LBB440_1374:
	s_andn2_b64 vcc, exec, s[0:1]
	s_cbranch_vccnz .LBB440_1380
; %bb.1375:
	s_cmp_gt_i32 s11, 0
	s_cbranch_scc0 .LBB440_1377
; %bb.1376:
	global_load_sbyte v7, v[2:3], off
	s_mov_b64 s[0:1], 0
	s_branch .LBB440_1378
.LBB440_1377:
	s_mov_b64 s[0:1], -1
                                        ; implicit-def: $vgpr7
.LBB440_1378:
	s_andn2_b64 vcc, exec, s[0:1]
	s_cbranch_vccnz .LBB440_1380
; %bb.1379:
	global_load_ubyte v7, v[2:3], off
.LBB440_1380:
.LBB440_1381:
	v_add_u32_e32 v0, s9, v0
	v_ashrrev_i32_e32 v1, 31, v0
	s_cmp_lt_i32 s11, 11
	v_lshl_add_u64 v[0:1], s[6:7], 0, v[0:1]
	s_cbranch_scc1 .LBB440_1388
; %bb.1382:
	s_cmp_gt_i32 s11, 25
	s_mov_b64 s[2:3], 0
	s_cbranch_scc0 .LBB440_1389
; %bb.1383:
	s_cmp_gt_i32 s11, 28
	s_cbranch_scc0 .LBB440_1390
; %bb.1384:
	s_cmp_gt_i32 s11, 43
	;; [unrolled: 3-line block ×3, first 2 shown]
	s_cbranch_scc0 .LBB440_1393
; %bb.1386:
	s_cmp_eq_u32 s11, 46
	s_mov_b64 s[18:19], 0
	s_cbranch_scc0 .LBB440_1394
; %bb.1387:
	global_load_dword v2, v[0:1], off
	s_mov_b64 s[0:1], 0
	s_mov_b64 s[6:7], -1
	s_waitcnt vmcnt(0)
	v_lshlrev_b32_e32 v2, 16, v2
	v_cvt_i32_f32_e32 v6, v2
	s_branch .LBB440_1395
.LBB440_1388:
	s_mov_b64 s[0:1], -1
	s_mov_b64 s[6:7], 0
                                        ; implicit-def: $vgpr6
	s_branch .LBB440_1457
.LBB440_1389:
	s_mov_b64 s[18:19], -1
	s_mov_b64 s[6:7], 0
	s_mov_b64 s[0:1], 0
                                        ; implicit-def: $vgpr6
	s_branch .LBB440_1422
.LBB440_1390:
	s_mov_b64 s[18:19], -1
	s_mov_b64 s[6:7], 0
	s_mov_b64 s[0:1], 0
                                        ; implicit-def: $vgpr6
	s_branch .LBB440_1405
.LBB440_1391:
	s_mov_b64 s[18:19], -1
	s_mov_b64 s[6:7], 0
	s_mov_b64 s[0:1], 0
                                        ; implicit-def: $vgpr6
	s_branch .LBB440_1400
.LBB440_1392:
	s_trap 2
	s_or_b64 s[16:17], s[16:17], exec
	s_cbranch_execz .LBB440_1331
	s_branch .LBB440_1332
.LBB440_1393:
	s_mov_b64 s[18:19], -1
	s_mov_b64 s[6:7], 0
	s_mov_b64 s[0:1], 0
                                        ; implicit-def: $vgpr6
	s_branch .LBB440_1395
.LBB440_1394:
	s_mov_b64 s[0:1], -1
                                        ; implicit-def: $vgpr6
	s_mov_b64 s[6:7], 0
.LBB440_1395:
	s_and_b64 vcc, exec, s[18:19]
	s_cbranch_vccz .LBB440_1399
; %bb.1396:
	s_cmp_eq_u32 s11, 44
	s_cbranch_scc0 .LBB440_1398
; %bb.1397:
	global_load_ubyte v2, v[0:1], off
	s_mov_b64 s[0:1], 0
	s_mov_b64 s[6:7], -1
	s_waitcnt vmcnt(0)
	v_lshlrev_b32_e32 v3, 23, v2
	v_cvt_i32_f32_e32 v3, v3
	v_cmp_ne_u32_e32 vcc, 0, v2
	s_nop 1
	v_cndmask_b32_e32 v6, 0, v3, vcc
	s_branch .LBB440_1399
.LBB440_1398:
	s_mov_b64 s[0:1], -1
                                        ; implicit-def: $vgpr6
.LBB440_1399:
	s_mov_b64 s[18:19], 0
.LBB440_1400:
	s_and_b64 vcc, exec, s[18:19]
	s_cbranch_vccz .LBB440_1404
; %bb.1401:
	s_cmp_eq_u32 s11, 29
	s_cbranch_scc0 .LBB440_1403
; %bb.1402:
	global_load_dword v6, v[0:1], off
	s_mov_b64 s[0:1], 0
	s_mov_b64 s[6:7], -1
	s_branch .LBB440_1404
.LBB440_1403:
	s_mov_b64 s[0:1], -1
                                        ; implicit-def: $vgpr6
.LBB440_1404:
	s_mov_b64 s[18:19], 0
.LBB440_1405:
	s_and_b64 vcc, exec, s[18:19]
	s_cbranch_vccz .LBB440_1421
; %bb.1406:
	s_cmp_lt_i32 s11, 27
	s_cbranch_scc1 .LBB440_1409
; %bb.1407:
	s_cmp_gt_i32 s11, 27
	s_cbranch_scc0 .LBB440_1410
; %bb.1408:
	global_load_dword v6, v[0:1], off
	s_mov_b64 s[6:7], 0
	s_branch .LBB440_1411
.LBB440_1409:
	s_mov_b64 s[6:7], -1
                                        ; implicit-def: $vgpr6
	s_branch .LBB440_1414
.LBB440_1410:
	s_mov_b64 s[6:7], -1
                                        ; implicit-def: $vgpr6
.LBB440_1411:
	s_andn2_b64 vcc, exec, s[6:7]
	s_cbranch_vccnz .LBB440_1413
; %bb.1412:
	global_load_ushort v6, v[0:1], off
.LBB440_1413:
	s_mov_b64 s[6:7], 0
.LBB440_1414:
	s_andn2_b64 vcc, exec, s[6:7]
	s_cbranch_vccnz .LBB440_1420
; %bb.1415:
	global_load_ubyte v2, v[0:1], off
	s_movk_i32 s6, 0x7f
	s_mov_b64 s[18:19], 0
	s_waitcnt vmcnt(0)
	v_cmp_lt_i16_e32 vcc, s6, v2
	s_and_saveexec_b64 s[6:7], vcc
	s_xor_b64 s[6:7], exec, s[6:7]
	s_cbranch_execz .LBB440_1432
; %bb.1416:
	s_movk_i32 s9, 0x80
	v_cmp_ne_u16_e32 vcc, s9, v2
	s_and_b64 s[18:19], vcc, exec
	s_andn2_saveexec_b64 s[6:7], s[6:7]
	s_cbranch_execnz .LBB440_1433
.LBB440_1417:
	s_or_b64 exec, exec, s[6:7]
	v_mov_b32_e32 v6, 0
	s_and_saveexec_b64 s[6:7], s[18:19]
	s_cbranch_execz .LBB440_1419
.LBB440_1418:
	v_lshlrev_b32_e32 v3, 24, v2
	v_and_b32_e32 v2, 0xffff, v2
	v_and_b32_e32 v6, 7, v2
	v_ffbh_u32_e32 v10, v6
	v_min_u32_e32 v10, 32, v10
	v_subrev_u32_e32 v11, 28, v10
	v_bfe_u32 v9, v2, 3, 4
	v_lshlrev_b32_e32 v2, v11, v2
	v_sub_u32_e32 v10, 29, v10
	v_and_b32_e32 v2, 7, v2
	v_cmp_eq_u32_e32 vcc, 0, v9
	v_and_b32_e32 v3, 0x80000000, v3
	s_nop 0
	v_cndmask_b32_e32 v9, v9, v10, vcc
	v_cndmask_b32_e32 v2, v6, v2, vcc
	v_mov_b32_e32 v6, 0x3b800000
	v_lshlrev_b32_e32 v2, 20, v2
	v_lshl_add_u32 v6, v9, 23, v6
	v_or3_b32 v2, v3, v6, v2
	v_cvt_i32_f32_e32 v6, v2
.LBB440_1419:
	s_or_b64 exec, exec, s[6:7]
.LBB440_1420:
	s_mov_b64 s[6:7], -1
.LBB440_1421:
	s_mov_b64 s[18:19], 0
.LBB440_1422:
	s_and_b64 vcc, exec, s[18:19]
	s_cbranch_vccz .LBB440_1453
; %bb.1423:
	s_cmp_gt_i32 s11, 22
	s_cbranch_scc0 .LBB440_1431
; %bb.1424:
	s_cmp_lt_i32 s11, 24
	s_cbranch_scc1 .LBB440_1434
; %bb.1425:
	s_cmp_gt_i32 s11, 24
	s_cbranch_scc0 .LBB440_1435
; %bb.1426:
	global_load_ubyte v2, v[0:1], off
	s_movk_i32 s2, 0x7f
	s_mov_b64 s[6:7], 0
	s_waitcnt vmcnt(0)
	v_cmp_lt_i16_e32 vcc, s2, v2
	s_and_saveexec_b64 s[2:3], vcc
	s_xor_b64 s[2:3], exec, s[2:3]
	s_cbranch_execz .LBB440_1447
; %bb.1427:
	s_movk_i32 s6, 0x80
	v_cmp_ne_u16_e32 vcc, s6, v2
	s_and_b64 s[6:7], vcc, exec
	s_andn2_saveexec_b64 s[2:3], s[2:3]
	s_cbranch_execnz .LBB440_1448
.LBB440_1428:
	s_or_b64 exec, exec, s[2:3]
	v_mov_b32_e32 v6, 0
	s_and_saveexec_b64 s[2:3], s[6:7]
	s_cbranch_execz .LBB440_1430
.LBB440_1429:
	v_lshlrev_b32_e32 v3, 24, v2
	v_and_b32_e32 v2, 0xffff, v2
	v_and_b32_e32 v6, 3, v2
	v_ffbh_u32_e32 v10, v6
	v_min_u32_e32 v10, 32, v10
	v_subrev_u32_e32 v11, 29, v10
	v_bfe_u32 v9, v2, 2, 5
	v_lshlrev_b32_e32 v2, v11, v2
	v_sub_u32_e32 v10, 30, v10
	v_and_b32_e32 v2, 3, v2
	v_cmp_eq_u32_e32 vcc, 0, v9
	v_and_b32_e32 v3, 0x80000000, v3
	s_nop 0
	v_cndmask_b32_e32 v9, v9, v10, vcc
	v_cndmask_b32_e32 v2, v6, v2, vcc
	v_mov_b32_e32 v6, 0x37800000
	v_lshlrev_b32_e32 v2, 21, v2
	v_lshl_add_u32 v6, v9, 23, v6
	v_or3_b32 v2, v3, v6, v2
	v_cvt_i32_f32_e32 v6, v2
.LBB440_1430:
	s_or_b64 exec, exec, s[2:3]
	s_mov_b64 s[2:3], 0
	s_branch .LBB440_1436
.LBB440_1431:
	s_mov_b64 s[2:3], -1
                                        ; implicit-def: $vgpr6
	s_branch .LBB440_1442
.LBB440_1432:
	s_andn2_saveexec_b64 s[6:7], s[6:7]
	s_cbranch_execz .LBB440_1417
.LBB440_1433:
	v_cmp_ne_u16_e32 vcc, 0, v2
	s_andn2_b64 s[18:19], s[18:19], exec
	s_and_b64 s[20:21], vcc, exec
	s_or_b64 s[18:19], s[18:19], s[20:21]
	s_or_b64 exec, exec, s[6:7]
	v_mov_b32_e32 v6, 0
	s_and_saveexec_b64 s[6:7], s[18:19]
	s_cbranch_execnz .LBB440_1418
	s_branch .LBB440_1419
.LBB440_1434:
	s_mov_b64 s[2:3], -1
                                        ; implicit-def: $vgpr6
	s_branch .LBB440_1439
.LBB440_1435:
	s_mov_b64 s[2:3], -1
                                        ; implicit-def: $vgpr6
.LBB440_1436:
	s_and_b64 vcc, exec, s[2:3]
	s_cbranch_vccz .LBB440_1438
; %bb.1437:
	global_load_ubyte v2, v[0:1], off
	s_mov_b32 s2, 0x7f800000
	s_waitcnt vmcnt(0)
	v_lshlrev_b32_e32 v2, 24, v2
	v_and_b32_e32 v3, 0x7f000000, v2
	v_ffbh_u32_e32 v6, v3
	v_min_u32_e32 v6, 32, v6
	v_sub_u32_e64 v6, v6, 4 clamp
	v_lshlrev_b32_e32 v10, v6, v3
	v_lshlrev_b32_e32 v6, 23, v6
	v_lshrrev_b32_e32 v10, 4, v10
	v_add_u32_e32 v9, 0x1000000, v3
	v_sub_u32_e32 v6, v10, v6
	v_ashrrev_i32_e32 v9, 8, v9
	v_add_u32_e32 v6, 0x3c000000, v6
	v_and_or_b32 v6, v9, s2, v6
	v_cmp_ne_u32_e32 vcc, 0, v3
	s_brev_b32 s2, 1
	s_nop 0
	v_cndmask_b32_e32 v3, 0, v6, vcc
	v_and_or_b32 v2, v2, s2, v3
	v_cvt_i32_f32_e32 v6, v2
.LBB440_1438:
	s_mov_b64 s[2:3], 0
.LBB440_1439:
	s_andn2_b64 vcc, exec, s[2:3]
	s_cbranch_vccnz .LBB440_1441
; %bb.1440:
	global_load_ubyte v2, v[0:1], off
	s_movk_i32 s2, 0x7f00
	s_brev_b32 s3, 16
	s_waitcnt vmcnt(0)
	v_lshlrev_b16_e32 v3, 8, v2
	v_lshlrev_b32_e32 v2, 25, v2
	v_lshrrev_b32_e32 v6, 4, v2
	v_and_or_b32 v9, v3, s2, 0.5
	v_or_b32_e32 v6, 0x70000000, v6
	v_add_f32_e32 v9, -0.5, v9
	v_mul_f32_e32 v6, 0x7800000, v6
	v_cmp_gt_u32_e32 vcc, s3, v2
	v_bfe_i32 v3, v3, 0, 16
	s_brev_b32 s2, 1
	v_cndmask_b32_e32 v2, v6, v9, vcc
	v_and_or_b32 v2, v3, s2, v2
	v_cvt_i32_f32_e32 v6, v2
.LBB440_1441:
	s_mov_b64 s[2:3], 0
	s_mov_b64 s[6:7], -1
.LBB440_1442:
	s_andn2_b64 vcc, exec, s[2:3]
	s_mov_b64 s[2:3], 0
	s_cbranch_vccnz .LBB440_1453
; %bb.1443:
	s_cmp_gt_i32 s11, 14
	s_cbranch_scc0 .LBB440_1446
; %bb.1444:
	s_cmp_eq_u32 s11, 15
	s_cbranch_scc0 .LBB440_1449
; %bb.1445:
	global_load_ushort v2, v[0:1], off
	s_mov_b64 s[0:1], 0
	s_mov_b64 s[6:7], -1
	s_waitcnt vmcnt(0)
	v_lshlrev_b32_e32 v2, 16, v2
	v_cvt_i32_f32_e32 v6, v2
	s_branch .LBB440_1450
.LBB440_1446:
	s_mov_b64 s[18:19], -1
                                        ; implicit-def: $vgpr6
	s_branch .LBB440_1451
.LBB440_1447:
	s_andn2_saveexec_b64 s[2:3], s[2:3]
	s_cbranch_execz .LBB440_1428
.LBB440_1448:
	v_cmp_ne_u16_e32 vcc, 0, v2
	s_andn2_b64 s[6:7], s[6:7], exec
	s_and_b64 s[18:19], vcc, exec
	s_or_b64 s[6:7], s[6:7], s[18:19]
	s_or_b64 exec, exec, s[2:3]
	v_mov_b32_e32 v6, 0
	s_and_saveexec_b64 s[2:3], s[6:7]
	s_cbranch_execnz .LBB440_1429
	s_branch .LBB440_1430
.LBB440_1449:
	s_mov_b64 s[0:1], -1
                                        ; implicit-def: $vgpr6
.LBB440_1450:
	s_mov_b64 s[18:19], 0
.LBB440_1451:
	s_and_b64 vcc, exec, s[18:19]
	s_cbranch_vccz .LBB440_1453
; %bb.1452:
	s_cmp_lg_u32 s11, 11
	s_mov_b64 s[2:3], -1
	s_cselect_b64 s[0:1], -1, 0
.LBB440_1453:
	s_and_b64 vcc, exec, s[0:1]
	s_cbranch_vccnz .LBB440_1986
; %bb.1454:
	s_andn2_b64 vcc, exec, s[2:3]
	s_cbranch_vccnz .LBB440_1456
.LBB440_1455:
	global_load_ubyte v2, v[0:1], off
	s_mov_b64 s[6:7], -1
	s_waitcnt vmcnt(0)
	v_cmp_ne_u16_e32 vcc, 0, v2
	s_nop 1
	v_cndmask_b32_e64 v6, 0, 1, vcc
.LBB440_1456:
	s_mov_b64 s[0:1], 0
.LBB440_1457:
	s_and_b64 vcc, exec, s[0:1]
	s_cbranch_vccz .LBB440_1506
; %bb.1458:
	s_cmp_lt_i32 s11, 5
	s_cbranch_scc1 .LBB440_1463
; %bb.1459:
	s_cmp_lt_i32 s11, 8
	s_cbranch_scc1 .LBB440_1464
	;; [unrolled: 3-line block ×3, first 2 shown]
; %bb.1461:
	s_cmp_gt_i32 s11, 9
	s_cbranch_scc0 .LBB440_1466
; %bb.1462:
	global_load_dwordx2 v[2:3], v[0:1], off
	s_mov_b64 s[0:1], 0
	s_waitcnt vmcnt(0)
	v_cvt_i32_f64_e32 v6, v[2:3]
	s_branch .LBB440_1467
.LBB440_1463:
	s_mov_b64 s[0:1], -1
                                        ; implicit-def: $vgpr6
	s_branch .LBB440_1485
.LBB440_1464:
	s_mov_b64 s[0:1], -1
                                        ; implicit-def: $vgpr6
	s_branch .LBB440_1473
.LBB440_1465:
	s_mov_b64 s[0:1], -1
                                        ; implicit-def: $vgpr6
	s_branch .LBB440_1470
.LBB440_1466:
	s_mov_b64 s[0:1], -1
                                        ; implicit-def: $vgpr6
.LBB440_1467:
	s_andn2_b64 vcc, exec, s[0:1]
	s_cbranch_vccnz .LBB440_1469
; %bb.1468:
	global_load_dword v2, v[0:1], off
	s_waitcnt vmcnt(0)
	v_cvt_i32_f32_e32 v6, v2
.LBB440_1469:
	s_mov_b64 s[0:1], 0
.LBB440_1470:
	s_andn2_b64 vcc, exec, s[0:1]
	s_cbranch_vccnz .LBB440_1472
; %bb.1471:
	global_load_dword v2, v[0:1], off
	s_waitcnt vmcnt(0)
	v_cvt_f32_f16_e32 v2, v2
	v_cvt_i32_f32_e32 v6, v2
.LBB440_1472:
	s_mov_b64 s[0:1], 0
.LBB440_1473:
	s_andn2_b64 vcc, exec, s[0:1]
	s_cbranch_vccnz .LBB440_1484
; %bb.1474:
	s_cmp_lt_i32 s11, 6
	s_cbranch_scc1 .LBB440_1477
; %bb.1475:
	s_cmp_gt_i32 s11, 6
	s_cbranch_scc0 .LBB440_1478
; %bb.1476:
	global_load_dwordx2 v[2:3], v[0:1], off
	s_mov_b64 s[0:1], 0
	s_waitcnt vmcnt(0)
	v_cvt_i32_f64_e32 v6, v[2:3]
	s_branch .LBB440_1479
.LBB440_1477:
	s_mov_b64 s[0:1], -1
                                        ; implicit-def: $vgpr6
	s_branch .LBB440_1482
.LBB440_1478:
	s_mov_b64 s[0:1], -1
                                        ; implicit-def: $vgpr6
.LBB440_1479:
	s_andn2_b64 vcc, exec, s[0:1]
	s_cbranch_vccnz .LBB440_1481
; %bb.1480:
	global_load_dword v2, v[0:1], off
	s_waitcnt vmcnt(0)
	v_cvt_i32_f32_e32 v6, v2
.LBB440_1481:
	s_mov_b64 s[0:1], 0
.LBB440_1482:
	s_andn2_b64 vcc, exec, s[0:1]
	s_cbranch_vccnz .LBB440_1484
; %bb.1483:
	global_load_ushort v2, v[0:1], off
	s_waitcnt vmcnt(0)
	v_cvt_f32_f16_e32 v2, v2
	v_cvt_i32_f32_e32 v6, v2
.LBB440_1484:
	s_mov_b64 s[0:1], 0
.LBB440_1485:
	s_andn2_b64 vcc, exec, s[0:1]
	s_cbranch_vccnz .LBB440_1505
; %bb.1486:
	s_cmp_lt_i32 s11, 2
	s_cbranch_scc1 .LBB440_1490
; %bb.1487:
	s_cmp_lt_i32 s11, 3
	s_cbranch_scc1 .LBB440_1491
; %bb.1488:
	s_cmp_gt_i32 s11, 3
	s_cbranch_scc0 .LBB440_1492
; %bb.1489:
	global_load_dword v6, v[0:1], off
	s_mov_b64 s[0:1], 0
	s_branch .LBB440_1493
.LBB440_1490:
	s_mov_b64 s[0:1], -1
                                        ; implicit-def: $vgpr6
	s_branch .LBB440_1499
.LBB440_1491:
	s_mov_b64 s[0:1], -1
                                        ; implicit-def: $vgpr6
	s_branch .LBB440_1496
.LBB440_1492:
	s_mov_b64 s[0:1], -1
                                        ; implicit-def: $vgpr6
.LBB440_1493:
	s_andn2_b64 vcc, exec, s[0:1]
	s_cbranch_vccnz .LBB440_1495
; %bb.1494:
	global_load_dword v6, v[0:1], off
.LBB440_1495:
	s_mov_b64 s[0:1], 0
.LBB440_1496:
	s_andn2_b64 vcc, exec, s[0:1]
	s_cbranch_vccnz .LBB440_1498
; %bb.1497:
	global_load_sshort v6, v[0:1], off
.LBB440_1498:
	s_mov_b64 s[0:1], 0
.LBB440_1499:
	s_andn2_b64 vcc, exec, s[0:1]
	s_cbranch_vccnz .LBB440_1505
; %bb.1500:
	s_cmp_gt_i32 s11, 0
	s_cbranch_scc0 .LBB440_1502
; %bb.1501:
	global_load_sbyte v6, v[0:1], off
	s_mov_b64 s[0:1], 0
	s_branch .LBB440_1503
.LBB440_1502:
	s_mov_b64 s[0:1], -1
                                        ; implicit-def: $vgpr6
.LBB440_1503:
	s_andn2_b64 vcc, exec, s[0:1]
	s_cbranch_vccnz .LBB440_1505
; %bb.1504:
	global_load_ubyte v6, v[0:1], off
.LBB440_1505:
	s_mov_b64 s[6:7], -1
.LBB440_1506:
	s_andn2_b64 vcc, exec, s[6:7]
	s_cbranch_vccnz .LBB440_1940
; %bb.1507:
	v_mul_lo_u32 v0, s8, v4
	v_ashrrev_i32_e32 v1, 31, v0
	s_and_b32 s22, s33, 0xff
	s_waitcnt vmcnt(0)
	v_min_i32_e32 v2, s10, v5
	s_cmp_lt_i32 s22, 11
	v_lshl_add_u64 v[4:5], s[4:5], 0, v[0:1]
	s_cbranch_scc1 .LBB440_1585
; %bb.1508:
	s_and_b32 s9, 0xffff, s22
	s_mov_b64 s[18:19], -1
	s_mov_b64 s[2:3], 0
	s_cmp_gt_i32 s9, 25
	s_mov_b64 s[6:7], 0
	s_mov_b64 s[0:1], 0
	s_cbranch_scc0 .LBB440_1541
; %bb.1509:
	s_cmp_gt_i32 s9, 28
	s_cbranch_scc0 .LBB440_1524
; %bb.1510:
	s_cmp_gt_i32 s9, 43
	;; [unrolled: 3-line block ×3, first 2 shown]
	s_cbranch_scc0 .LBB440_1514
; %bb.1512:
	s_mov_b64 s[0:1], -1
	s_mov_b64 s[18:19], 0
	s_cmp_eq_u32 s9, 46
	s_cbranch_scc0 .LBB440_1514
; %bb.1513:
	v_cvt_f32_i32_e32 v1, v2
	s_movk_i32 s6, 0x7fff
	s_mov_b64 s[0:1], 0
	v_bfe_u32 v3, v1, 16, 1
	v_add3_u32 v1, v1, v3, s6
	v_lshrrev_b32_e32 v1, 16, v1
	global_store_dword v[4:5], v1, off
	s_mov_b64 s[6:7], -1
.LBB440_1514:
	s_and_b64 vcc, exec, s[18:19]
	s_cbranch_vccz .LBB440_1519
; %bb.1515:
	s_cmp_eq_u32 s9, 44
	s_mov_b64 s[0:1], -1
	s_cbranch_scc0 .LBB440_1519
; %bb.1516:
	v_cvt_f32_i32_e32 v1, v2
	s_movk_i32 s0, 0xff
	v_mov_b32_e32 v9, 0xff
	v_bfe_u32 v3, v1, 23, 8
	v_cmp_ne_u32_e32 vcc, s0, v3
	s_and_saveexec_b64 s[6:7], vcc
; %bb.1517:
	s_mov_b32 s0, 0x3fffff
	v_lshrrev_b32_e32 v9, 23, v1
	v_and_b32_e32 v10, 0x400000, v1
	v_and_or_b32 v1, v1, s0, v3
	v_cmp_ne_u32_e32 vcc, 0, v10
	v_cmp_ne_u32_e64 s[0:1], 0, v1
	s_and_b64 s[0:1], vcc, s[0:1]
	s_nop 0
	v_cndmask_b32_e64 v1, 0, 1, s[0:1]
	v_add_u32_e32 v9, v9, v1
; %bb.1518:
	s_or_b64 exec, exec, s[6:7]
	s_mov_b64 s[0:1], 0
	s_mov_b64 s[6:7], -1
	global_store_byte v[4:5], v9, off
.LBB440_1519:
	s_mov_b64 s[18:19], 0
.LBB440_1520:
	s_and_b64 vcc, exec, s[18:19]
	s_cbranch_vccz .LBB440_1523
; %bb.1521:
	s_cmp_eq_u32 s9, 29
	s_mov_b64 s[0:1], -1
	s_cbranch_scc0 .LBB440_1523
; %bb.1522:
	v_ashrrev_i32_e32 v3, 31, v2
	global_store_dwordx2 v[4:5], v[2:3], off
	s_mov_b64 s[0:1], 0
	s_mov_b64 s[6:7], -1
.LBB440_1523:
	s_mov_b64 s[18:19], 0
.LBB440_1524:
	s_and_b64 vcc, exec, s[18:19]
	s_cbranch_vccz .LBB440_1540
; %bb.1525:
	s_cmp_lt_i32 s9, 27
	s_mov_b64 s[6:7], -1
	s_cbranch_scc1 .LBB440_1531
; %bb.1526:
	s_cmp_gt_i32 s9, 27
	s_cbranch_scc0 .LBB440_1528
; %bb.1527:
	s_mov_b64 s[6:7], 0
	global_store_dword v[4:5], v2, off
.LBB440_1528:
	s_andn2_b64 vcc, exec, s[6:7]
	s_cbranch_vccnz .LBB440_1530
; %bb.1529:
	global_store_short v[4:5], v2, off
.LBB440_1530:
	s_mov_b64 s[6:7], 0
.LBB440_1531:
	s_andn2_b64 vcc, exec, s[6:7]
	s_cbranch_vccnz .LBB440_1539
; %bb.1532:
	v_cvt_f32_i32_e32 v1, v2
	s_mov_b32 s6, 0x43800000
	v_mov_b32_e32 v9, 0x80
	v_and_b32_e32 v3, 0x7fffffff, v1
	v_cmp_gt_u32_e32 vcc, s6, v3
	s_and_saveexec_b64 s[6:7], vcc
	s_cbranch_execz .LBB440_1538
; %bb.1533:
	s_mov_b32 s11, 0x3bffffff
	v_cmp_lt_u32_e32 vcc, s11, v3
	s_mov_b64 s[18:19], 0
                                        ; implicit-def: $vgpr3
	s_and_saveexec_b64 s[20:21], vcc
	s_xor_b64 s[20:21], exec, s[20:21]
	s_cbranch_execz .LBB440_1987
; %bb.1534:
	v_bfe_u32 v3, v1, 20, 1
	s_mov_b32 s11, 0x487ffff
	v_add3_u32 v3, v1, v3, s11
	s_mov_b64 s[18:19], exec
	v_lshrrev_b32_e32 v3, 20, v3
	s_andn2_saveexec_b64 s[20:21], s[20:21]
	s_cbranch_execnz .LBB440_1988
.LBB440_1535:
	s_or_b64 exec, exec, s[20:21]
	v_mov_b32_e32 v9, 0
	s_and_saveexec_b64 s[20:21], s[18:19]
.LBB440_1536:
	v_lshrrev_b32_e32 v1, 24, v1
	s_movk_i32 s11, 0x80
	v_and_or_b32 v9, v1, s11, v3
.LBB440_1537:
	s_or_b64 exec, exec, s[20:21]
.LBB440_1538:
	s_or_b64 exec, exec, s[6:7]
	global_store_byte v[4:5], v9, off
.LBB440_1539:
	s_mov_b64 s[6:7], -1
.LBB440_1540:
	s_mov_b64 s[18:19], 0
.LBB440_1541:
	s_and_b64 vcc, exec, s[18:19]
	s_cbranch_vccz .LBB440_1581
; %bb.1542:
	s_cmp_gt_i32 s9, 22
	s_mov_b64 s[2:3], -1
	s_cbranch_scc0 .LBB440_1574
; %bb.1543:
	s_cmp_lt_i32 s9, 24
	s_cbranch_scc1 .LBB440_1563
; %bb.1544:
	s_cmp_gt_i32 s9, 24
	s_cbranch_scc0 .LBB440_1552
; %bb.1545:
	v_cvt_f32_i32_e32 v1, v2
	s_mov_b32 s2, 0x47800000
	v_mov_b32_e32 v9, 0x80
	v_and_b32_e32 v3, 0x7fffffff, v1
	v_cmp_gt_u32_e32 vcc, s2, v3
	s_and_saveexec_b64 s[2:3], vcc
	s_cbranch_execz .LBB440_1551
; %bb.1546:
	s_mov_b32 s6, 0x37ffffff
	v_cmp_lt_u32_e32 vcc, s6, v3
	s_mov_b64 s[6:7], 0
                                        ; implicit-def: $vgpr3
	s_and_saveexec_b64 s[18:19], vcc
	s_xor_b64 s[18:19], exec, s[18:19]
	s_cbranch_execz .LBB440_1990
; %bb.1547:
	v_bfe_u32 v3, v1, 21, 1
	s_mov_b32 s11, 0x88fffff
	v_add3_u32 v3, v1, v3, s11
	s_mov_b64 s[6:7], exec
	v_lshrrev_b32_e32 v3, 21, v3
	s_andn2_saveexec_b64 s[18:19], s[18:19]
	s_cbranch_execnz .LBB440_1991
.LBB440_1548:
	s_or_b64 exec, exec, s[18:19]
	v_mov_b32_e32 v9, 0
	s_and_saveexec_b64 s[18:19], s[6:7]
.LBB440_1549:
	v_lshrrev_b32_e32 v1, 24, v1
	s_movk_i32 s6, 0x80
	v_and_or_b32 v9, v1, s6, v3
.LBB440_1550:
	s_or_b64 exec, exec, s[18:19]
.LBB440_1551:
	s_or_b64 exec, exec, s[2:3]
	s_mov_b64 s[2:3], 0
	global_store_byte v[4:5], v9, off
.LBB440_1552:
	s_and_b64 vcc, exec, s[2:3]
	s_cbranch_vccz .LBB440_1562
; %bb.1553:
	v_cvt_f32_i32_e32 v1, v2
	s_mov_b32 s2, 0x43f00000
                                        ; implicit-def: $vgpr3
	v_and_b32_e32 v9, 0x7fffffff, v1
	v_cmp_gt_u32_e32 vcc, s2, v9
	s_and_saveexec_b64 s[2:3], vcc
	s_xor_b64 s[2:3], exec, s[2:3]
	s_cbranch_execz .LBB440_1559
; %bb.1554:
	s_mov_b32 s6, 0x3c7fffff
	v_cmp_lt_u32_e32 vcc, s6, v9
                                        ; implicit-def: $vgpr3
	s_and_saveexec_b64 s[6:7], vcc
	s_xor_b64 s[6:7], exec, s[6:7]
; %bb.1555:
	v_bfe_u32 v3, v1, 20, 1
	s_mov_b32 s11, 0x407ffff
	v_add3_u32 v3, v1, v3, s11
	v_lshrrev_b32_e32 v9, 20, v3
	v_and_b32_e32 v3, 0xff00000, v3
	s_mov_b32 s11, 0x7f00000
	v_mov_b32_e32 v10, 0x7e
	v_cmp_ne_u32_e32 vcc, s11, v3
	s_nop 1
	v_cndmask_b32_e32 v3, v10, v9, vcc
; %bb.1556:
	s_andn2_saveexec_b64 s[6:7], s[6:7]
; %bb.1557:
	s_mov_b32 s11, 0x46800000
	v_add_f32_e64 v3, |v1|, s11
; %bb.1558:
	s_or_b64 exec, exec, s[6:7]
                                        ; implicit-def: $vgpr9
.LBB440_1559:
	s_andn2_saveexec_b64 s[2:3], s[2:3]
; %bb.1560:
	s_mov_b32 s6, 0x7f800000
	v_mov_b32_e32 v3, 0x7e
	v_mov_b32_e32 v10, 0x7f
	v_cmp_lt_u32_e32 vcc, s6, v9
	s_nop 1
	v_cndmask_b32_e32 v3, v3, v10, vcc
; %bb.1561:
	s_or_b64 exec, exec, s[2:3]
	v_lshrrev_b32_e32 v1, 24, v1
	s_movk_i32 s2, 0x80
	v_and_or_b32 v1, v1, s2, v3
	global_store_byte v[4:5], v1, off
.LBB440_1562:
	s_mov_b64 s[2:3], 0
.LBB440_1563:
	s_andn2_b64 vcc, exec, s[2:3]
	s_cbranch_vccnz .LBB440_1573
; %bb.1564:
	v_cvt_f32_i32_e32 v1, v2
	s_mov_b32 s2, 0x47800000
                                        ; implicit-def: $vgpr3
	v_and_b32_e32 v9, 0x7fffffff, v1
	v_cmp_gt_u32_e32 vcc, s2, v9
	s_and_saveexec_b64 s[2:3], vcc
	s_xor_b64 s[2:3], exec, s[2:3]
	s_cbranch_execz .LBB440_1570
; %bb.1565:
	s_mov_b32 s6, 0x387fffff
	v_cmp_lt_u32_e32 vcc, s6, v9
                                        ; implicit-def: $vgpr3
	s_and_saveexec_b64 s[6:7], vcc
	s_xor_b64 s[6:7], exec, s[6:7]
; %bb.1566:
	v_bfe_u32 v3, v1, 21, 1
	s_mov_b32 s11, 0x80fffff
	v_add3_u32 v3, v1, v3, s11
	v_lshrrev_b32_e32 v3, 21, v3
; %bb.1567:
	s_andn2_saveexec_b64 s[6:7], s[6:7]
; %bb.1568:
	s_mov_b32 s11, 0x43000000
	v_add_f32_e64 v3, |v1|, s11
; %bb.1569:
	s_or_b64 exec, exec, s[6:7]
                                        ; implicit-def: $vgpr9
.LBB440_1570:
	s_andn2_saveexec_b64 s[2:3], s[2:3]
; %bb.1571:
	s_mov_b32 s6, 0x7f800000
	v_mov_b32_e32 v3, 0x7c
	v_mov_b32_e32 v10, 0x7f
	v_cmp_lt_u32_e32 vcc, s6, v9
	s_nop 1
	v_cndmask_b32_e32 v3, v3, v10, vcc
; %bb.1572:
	s_or_b64 exec, exec, s[2:3]
	v_lshrrev_b32_e32 v1, 24, v1
	s_movk_i32 s2, 0x80
	v_and_or_b32 v1, v1, s2, v3
	global_store_byte v[4:5], v1, off
.LBB440_1573:
	s_mov_b64 s[2:3], 0
	s_mov_b64 s[6:7], -1
.LBB440_1574:
	s_andn2_b64 vcc, exec, s[2:3]
	s_mov_b64 s[2:3], 0
	s_cbranch_vccnz .LBB440_1581
; %bb.1575:
	s_cmp_gt_i32 s9, 14
	s_mov_b64 s[18:19], -1
	s_cbranch_scc0 .LBB440_1579
; %bb.1576:
	s_cmp_eq_u32 s9, 15
	s_mov_b64 s[0:1], -1
	s_cbranch_scc0 .LBB440_1578
; %bb.1577:
	v_cvt_f32_i32_e32 v1, v2
	s_movk_i32 s2, 0x7fff
	s_mov_b64 s[0:1], 0
	s_mov_b64 s[6:7], -1
	v_bfe_u32 v3, v1, 16, 1
	v_add3_u32 v1, v1, v3, s2
	global_store_short_d16_hi v[4:5], v1, off
.LBB440_1578:
	s_mov_b64 s[18:19], 0
.LBB440_1579:
	s_mov_b64 s[2:3], 0
	s_and_b64 vcc, exec, s[18:19]
	s_cbranch_vccz .LBB440_1581
; %bb.1580:
	s_cmp_lg_u32 s9, 11
	s_mov_b64 s[2:3], -1
	s_cselect_b64 s[0:1], -1, 0
.LBB440_1581:
	s_and_b64 vcc, exec, s[0:1]
	s_cbranch_vccnz .LBB440_1989
; %bb.1582:
	s_andn2_b64 vcc, exec, s[2:3]
	s_cbranch_vccnz .LBB440_1584
.LBB440_1583:
	v_cmp_ne_u32_e32 vcc, 0, v2
	s_mov_b64 s[6:7], -1
	s_nop 0
	v_cndmask_b32_e64 v1, 0, 1, vcc
	global_store_byte v[4:5], v1, off
.LBB440_1584:
	s_mov_b64 s[0:1], 0
	s_branch .LBB440_1586
.LBB440_1585:
	s_mov_b64 s[0:1], -1
	s_mov_b64 s[6:7], 0
.LBB440_1586:
	s_and_b64 vcc, exec, s[0:1]
	s_cbranch_vccz .LBB440_1625
; %bb.1587:
	s_and_b32 s2, 0xffff, s22
	s_cmp_lt_i32 s2, 5
	s_mov_b64 s[0:1], -1
	s_cbranch_scc1 .LBB440_1608
; %bb.1588:
	s_cmp_lt_i32 s2, 8
	s_cbranch_scc1 .LBB440_1598
; %bb.1589:
	s_cmp_lt_i32 s2, 9
	s_cbranch_scc1 .LBB440_1595
; %bb.1590:
	s_cmp_gt_i32 s2, 9
	s_cbranch_scc0 .LBB440_1592
; %bb.1591:
	v_mov_b32_e32 v12, 0
	v_cvt_f64_i32_e32 v[10:11], v2
	v_mov_b32_e32 v13, v12
	global_store_dwordx4 v[4:5], v[10:13], off
	s_mov_b64 s[0:1], 0
.LBB440_1592:
	s_andn2_b64 vcc, exec, s[0:1]
	s_cbranch_vccnz .LBB440_1594
; %bb.1593:
	v_cvt_f32_i32_e32 v10, v2
	v_mov_b32_e32 v11, 0
	global_store_dwordx2 v[4:5], v[10:11], off
.LBB440_1594:
	s_mov_b64 s[0:1], 0
.LBB440_1595:
	s_andn2_b64 vcc, exec, s[0:1]
	s_cbranch_vccnz .LBB440_1597
; %bb.1596:
	v_cvt_f32_i32_e32 v1, v2
	v_cvt_f16_f32_e32 v1, v1
	global_store_dword v[4:5], v1, off
.LBB440_1597:
	s_mov_b64 s[0:1], 0
.LBB440_1598:
	s_andn2_b64 vcc, exec, s[0:1]
	s_cbranch_vccnz .LBB440_1607
; %bb.1599:
	s_cmp_lt_i32 s2, 6
	s_mov_b64 s[0:1], -1
	s_cbranch_scc1 .LBB440_1605
; %bb.1600:
	s_cmp_gt_i32 s2, 6
	s_cbranch_scc0 .LBB440_1602
; %bb.1601:
	v_cvt_f64_i32_e32 v[10:11], v2
	global_store_dwordx2 v[4:5], v[10:11], off
	s_mov_b64 s[0:1], 0
.LBB440_1602:
	s_andn2_b64 vcc, exec, s[0:1]
	s_cbranch_vccnz .LBB440_1604
; %bb.1603:
	v_cvt_f32_i32_e32 v1, v2
	global_store_dword v[4:5], v1, off
.LBB440_1604:
	s_mov_b64 s[0:1], 0
.LBB440_1605:
	s_andn2_b64 vcc, exec, s[0:1]
	s_cbranch_vccnz .LBB440_1607
; %bb.1606:
	v_cvt_f32_i32_e32 v1, v2
	v_cvt_f16_f32_e32 v1, v1
	global_store_short v[4:5], v1, off
.LBB440_1607:
	s_mov_b64 s[0:1], 0
.LBB440_1608:
	s_andn2_b64 vcc, exec, s[0:1]
	s_cbranch_vccnz .LBB440_1624
; %bb.1609:
	s_cmp_lt_i32 s2, 2
	s_mov_b64 s[0:1], -1
	s_cbranch_scc1 .LBB440_1619
; %bb.1610:
	s_cmp_lt_i32 s2, 3
	s_cbranch_scc1 .LBB440_1616
; %bb.1611:
	s_cmp_gt_i32 s2, 3
	s_cbranch_scc0 .LBB440_1613
; %bb.1612:
	v_ashrrev_i32_e32 v3, 31, v2
	global_store_dwordx2 v[4:5], v[2:3], off
	s_mov_b64 s[0:1], 0
.LBB440_1613:
	s_andn2_b64 vcc, exec, s[0:1]
	s_cbranch_vccnz .LBB440_1615
; %bb.1614:
	global_store_dword v[4:5], v2, off
.LBB440_1615:
	s_mov_b64 s[0:1], 0
.LBB440_1616:
	s_andn2_b64 vcc, exec, s[0:1]
	s_cbranch_vccnz .LBB440_1618
; %bb.1617:
	global_store_short v[4:5], v2, off
.LBB440_1618:
	s_mov_b64 s[0:1], 0
.LBB440_1619:
	s_andn2_b64 vcc, exec, s[0:1]
	s_cbranch_vccnz .LBB440_1624
; %bb.1620:
	s_cmp_gt_i32 s2, 0
	s_mov_b64 s[0:1], -1
	s_cbranch_scc0 .LBB440_1622
; %bb.1621:
	global_store_byte v[4:5], v2, off
	s_mov_b64 s[0:1], 0
.LBB440_1622:
	s_andn2_b64 vcc, exec, s[0:1]
	s_cbranch_vccnz .LBB440_1624
; %bb.1623:
	global_store_byte v[4:5], v2, off
.LBB440_1624:
	s_mov_b64 s[6:7], -1
.LBB440_1625:
	s_andn2_b64 vcc, exec, s[6:7]
	s_cbranch_vccnz .LBB440_1940
; %bb.1626:
	s_lshl_b32 s11, s8, 7
	v_add_u32_e32 v0, s11, v0
	v_ashrrev_i32_e32 v1, 31, v0
	v_min_i32_e32 v2, s10, v8
	s_cmp_lt_i32 s22, 11
	v_lshl_add_u64 v[4:5], s[4:5], 0, v[0:1]
	s_cbranch_scc1 .LBB440_1704
; %bb.1627:
	s_and_b32 s20, 0xffff, s22
	s_mov_b64 s[8:9], -1
	s_mov_b64 s[2:3], 0
	s_cmp_gt_i32 s20, 25
	s_mov_b64 s[6:7], 0
	s_mov_b64 s[0:1], 0
	s_cbranch_scc0 .LBB440_1660
; %bb.1628:
	s_cmp_gt_i32 s20, 28
	s_cbranch_scc0 .LBB440_1643
; %bb.1629:
	s_cmp_gt_i32 s20, 43
	s_cbranch_scc0 .LBB440_1639
; %bb.1630:
	s_cmp_gt_i32 s20, 45
	s_cbranch_scc0 .LBB440_1633
; %bb.1631:
	s_mov_b64 s[0:1], -1
	s_mov_b64 s[8:9], 0
	s_cmp_eq_u32 s20, 46
	s_cbranch_scc0 .LBB440_1633
; %bb.1632:
	v_cvt_f32_i32_e32 v1, v2
	s_movk_i32 s6, 0x7fff
	s_mov_b64 s[0:1], 0
	v_bfe_u32 v3, v1, 16, 1
	v_add3_u32 v1, v1, v3, s6
	v_lshrrev_b32_e32 v1, 16, v1
	global_store_dword v[4:5], v1, off
	s_mov_b64 s[6:7], -1
.LBB440_1633:
	s_and_b64 vcc, exec, s[8:9]
	s_cbranch_vccz .LBB440_1638
; %bb.1634:
	s_cmp_eq_u32 s20, 44
	s_mov_b64 s[0:1], -1
	s_cbranch_scc0 .LBB440_1638
; %bb.1635:
	v_cvt_f32_i32_e32 v1, v2
	s_movk_i32 s0, 0xff
	v_mov_b32_e32 v8, 0xff
	v_bfe_u32 v3, v1, 23, 8
	v_cmp_ne_u32_e32 vcc, s0, v3
	s_and_saveexec_b64 s[6:7], vcc
; %bb.1636:
	s_mov_b32 s0, 0x3fffff
	v_lshrrev_b32_e32 v8, 23, v1
	v_and_b32_e32 v9, 0x400000, v1
	v_and_or_b32 v1, v1, s0, v3
	v_cmp_ne_u32_e32 vcc, 0, v9
	v_cmp_ne_u32_e64 s[0:1], 0, v1
	s_and_b64 s[0:1], vcc, s[0:1]
	s_nop 0
	v_cndmask_b32_e64 v1, 0, 1, s[0:1]
	v_add_u32_e32 v8, v8, v1
; %bb.1637:
	s_or_b64 exec, exec, s[6:7]
	s_mov_b64 s[0:1], 0
	s_mov_b64 s[6:7], -1
	global_store_byte v[4:5], v8, off
.LBB440_1638:
	s_mov_b64 s[8:9], 0
.LBB440_1639:
	s_and_b64 vcc, exec, s[8:9]
	s_cbranch_vccz .LBB440_1642
; %bb.1640:
	s_cmp_eq_u32 s20, 29
	s_mov_b64 s[0:1], -1
	s_cbranch_scc0 .LBB440_1642
; %bb.1641:
	v_ashrrev_i32_e32 v3, 31, v2
	global_store_dwordx2 v[4:5], v[2:3], off
	s_mov_b64 s[0:1], 0
	s_mov_b64 s[6:7], -1
.LBB440_1642:
	s_mov_b64 s[8:9], 0
.LBB440_1643:
	s_and_b64 vcc, exec, s[8:9]
	s_cbranch_vccz .LBB440_1659
; %bb.1644:
	s_cmp_lt_i32 s20, 27
	s_mov_b64 s[6:7], -1
	s_cbranch_scc1 .LBB440_1650
; %bb.1645:
	s_cmp_gt_i32 s20, 27
	s_cbranch_scc0 .LBB440_1647
; %bb.1646:
	s_mov_b64 s[6:7], 0
	global_store_dword v[4:5], v2, off
.LBB440_1647:
	s_andn2_b64 vcc, exec, s[6:7]
	s_cbranch_vccnz .LBB440_1649
; %bb.1648:
	global_store_short v[4:5], v2, off
.LBB440_1649:
	s_mov_b64 s[6:7], 0
.LBB440_1650:
	s_andn2_b64 vcc, exec, s[6:7]
	s_cbranch_vccnz .LBB440_1658
; %bb.1651:
	v_cvt_f32_i32_e32 v1, v2
	s_mov_b32 s6, 0x43800000
	v_mov_b32_e32 v8, 0x80
	v_and_b32_e32 v3, 0x7fffffff, v1
	v_cmp_gt_u32_e32 vcc, s6, v3
	s_and_saveexec_b64 s[6:7], vcc
	s_cbranch_execz .LBB440_1657
; %bb.1652:
	s_mov_b32 s8, 0x3bffffff
	v_cmp_lt_u32_e32 vcc, s8, v3
	s_mov_b64 s[8:9], 0
                                        ; implicit-def: $vgpr3
	s_and_saveexec_b64 s[18:19], vcc
	s_xor_b64 s[18:19], exec, s[18:19]
	s_cbranch_execz .LBB440_1992
; %bb.1653:
	v_bfe_u32 v3, v1, 20, 1
	s_mov_b32 s21, 0x487ffff
	v_add3_u32 v3, v1, v3, s21
	s_mov_b64 s[8:9], exec
	v_lshrrev_b32_e32 v3, 20, v3
	s_andn2_saveexec_b64 s[18:19], s[18:19]
	s_cbranch_execnz .LBB440_1993
.LBB440_1654:
	s_or_b64 exec, exec, s[18:19]
	v_mov_b32_e32 v8, 0
	s_and_saveexec_b64 s[18:19], s[8:9]
.LBB440_1655:
	v_lshrrev_b32_e32 v1, 24, v1
	s_movk_i32 s8, 0x80
	v_and_or_b32 v8, v1, s8, v3
.LBB440_1656:
	s_or_b64 exec, exec, s[18:19]
.LBB440_1657:
	s_or_b64 exec, exec, s[6:7]
	global_store_byte v[4:5], v8, off
.LBB440_1658:
	s_mov_b64 s[6:7], -1
.LBB440_1659:
	s_mov_b64 s[8:9], 0
.LBB440_1660:
	s_and_b64 vcc, exec, s[8:9]
	s_cbranch_vccz .LBB440_1700
; %bb.1661:
	s_cmp_gt_i32 s20, 22
	s_mov_b64 s[2:3], -1
	s_cbranch_scc0 .LBB440_1693
; %bb.1662:
	s_cmp_lt_i32 s20, 24
	s_cbranch_scc1 .LBB440_1682
; %bb.1663:
	s_cmp_gt_i32 s20, 24
	s_cbranch_scc0 .LBB440_1671
; %bb.1664:
	v_cvt_f32_i32_e32 v1, v2
	s_mov_b32 s2, 0x47800000
	v_mov_b32_e32 v8, 0x80
	v_and_b32_e32 v3, 0x7fffffff, v1
	v_cmp_gt_u32_e32 vcc, s2, v3
	s_and_saveexec_b64 s[2:3], vcc
	s_cbranch_execz .LBB440_1670
; %bb.1665:
	s_mov_b32 s6, 0x37ffffff
	v_cmp_lt_u32_e32 vcc, s6, v3
	s_mov_b64 s[6:7], 0
                                        ; implicit-def: $vgpr3
	s_and_saveexec_b64 s[8:9], vcc
	s_xor_b64 s[8:9], exec, s[8:9]
	s_cbranch_execz .LBB440_1995
; %bb.1666:
	v_bfe_u32 v3, v1, 21, 1
	s_mov_b32 s18, 0x88fffff
	v_add3_u32 v3, v1, v3, s18
	s_mov_b64 s[6:7], exec
	v_lshrrev_b32_e32 v3, 21, v3
	s_andn2_saveexec_b64 s[8:9], s[8:9]
	s_cbranch_execnz .LBB440_1996
.LBB440_1667:
	s_or_b64 exec, exec, s[8:9]
	v_mov_b32_e32 v8, 0
	s_and_saveexec_b64 s[8:9], s[6:7]
.LBB440_1668:
	v_lshrrev_b32_e32 v1, 24, v1
	s_movk_i32 s6, 0x80
	v_and_or_b32 v8, v1, s6, v3
.LBB440_1669:
	s_or_b64 exec, exec, s[8:9]
.LBB440_1670:
	s_or_b64 exec, exec, s[2:3]
	s_mov_b64 s[2:3], 0
	global_store_byte v[4:5], v8, off
.LBB440_1671:
	s_and_b64 vcc, exec, s[2:3]
	s_cbranch_vccz .LBB440_1681
; %bb.1672:
	v_cvt_f32_i32_e32 v1, v2
	s_mov_b32 s2, 0x43f00000
                                        ; implicit-def: $vgpr3
	v_and_b32_e32 v8, 0x7fffffff, v1
	v_cmp_gt_u32_e32 vcc, s2, v8
	s_and_saveexec_b64 s[2:3], vcc
	s_xor_b64 s[2:3], exec, s[2:3]
	s_cbranch_execz .LBB440_1678
; %bb.1673:
	s_mov_b32 s6, 0x3c7fffff
	v_cmp_lt_u32_e32 vcc, s6, v8
                                        ; implicit-def: $vgpr3
	s_and_saveexec_b64 s[6:7], vcc
	s_xor_b64 s[6:7], exec, s[6:7]
; %bb.1674:
	v_bfe_u32 v3, v1, 20, 1
	s_mov_b32 s8, 0x407ffff
	v_add3_u32 v3, v1, v3, s8
	v_lshrrev_b32_e32 v8, 20, v3
	v_and_b32_e32 v3, 0xff00000, v3
	s_mov_b32 s8, 0x7f00000
	v_mov_b32_e32 v9, 0x7e
	v_cmp_ne_u32_e32 vcc, s8, v3
	s_nop 1
	v_cndmask_b32_e32 v3, v9, v8, vcc
; %bb.1675:
	s_andn2_saveexec_b64 s[6:7], s[6:7]
; %bb.1676:
	s_mov_b32 s8, 0x46800000
	v_add_f32_e64 v3, |v1|, s8
; %bb.1677:
	s_or_b64 exec, exec, s[6:7]
                                        ; implicit-def: $vgpr8
.LBB440_1678:
	s_andn2_saveexec_b64 s[2:3], s[2:3]
; %bb.1679:
	s_mov_b32 s6, 0x7f800000
	v_mov_b32_e32 v3, 0x7e
	v_mov_b32_e32 v9, 0x7f
	v_cmp_lt_u32_e32 vcc, s6, v8
	s_nop 1
	v_cndmask_b32_e32 v3, v3, v9, vcc
; %bb.1680:
	s_or_b64 exec, exec, s[2:3]
	v_lshrrev_b32_e32 v1, 24, v1
	s_movk_i32 s2, 0x80
	v_and_or_b32 v1, v1, s2, v3
	global_store_byte v[4:5], v1, off
.LBB440_1681:
	s_mov_b64 s[2:3], 0
.LBB440_1682:
	s_andn2_b64 vcc, exec, s[2:3]
	s_cbranch_vccnz .LBB440_1692
; %bb.1683:
	v_cvt_f32_i32_e32 v1, v2
	s_mov_b32 s2, 0x47800000
                                        ; implicit-def: $vgpr3
	v_and_b32_e32 v8, 0x7fffffff, v1
	v_cmp_gt_u32_e32 vcc, s2, v8
	s_and_saveexec_b64 s[2:3], vcc
	s_xor_b64 s[2:3], exec, s[2:3]
	s_cbranch_execz .LBB440_1689
; %bb.1684:
	s_mov_b32 s6, 0x387fffff
	v_cmp_lt_u32_e32 vcc, s6, v8
                                        ; implicit-def: $vgpr3
	s_and_saveexec_b64 s[6:7], vcc
	s_xor_b64 s[6:7], exec, s[6:7]
; %bb.1685:
	v_bfe_u32 v3, v1, 21, 1
	s_mov_b32 s8, 0x80fffff
	v_add3_u32 v3, v1, v3, s8
	v_lshrrev_b32_e32 v3, 21, v3
; %bb.1686:
	s_andn2_saveexec_b64 s[6:7], s[6:7]
; %bb.1687:
	s_mov_b32 s8, 0x43000000
	v_add_f32_e64 v3, |v1|, s8
; %bb.1688:
	s_or_b64 exec, exec, s[6:7]
                                        ; implicit-def: $vgpr8
.LBB440_1689:
	s_andn2_saveexec_b64 s[2:3], s[2:3]
; %bb.1690:
	s_mov_b32 s6, 0x7f800000
	v_mov_b32_e32 v3, 0x7c
	v_mov_b32_e32 v9, 0x7f
	v_cmp_lt_u32_e32 vcc, s6, v8
	s_nop 1
	v_cndmask_b32_e32 v3, v3, v9, vcc
; %bb.1691:
	s_or_b64 exec, exec, s[2:3]
	v_lshrrev_b32_e32 v1, 24, v1
	s_movk_i32 s2, 0x80
	v_and_or_b32 v1, v1, s2, v3
	global_store_byte v[4:5], v1, off
.LBB440_1692:
	s_mov_b64 s[2:3], 0
	s_mov_b64 s[6:7], -1
.LBB440_1693:
	s_andn2_b64 vcc, exec, s[2:3]
	s_mov_b64 s[2:3], 0
	s_cbranch_vccnz .LBB440_1700
; %bb.1694:
	s_cmp_gt_i32 s20, 14
	s_mov_b64 s[8:9], -1
	s_cbranch_scc0 .LBB440_1698
; %bb.1695:
	s_cmp_eq_u32 s20, 15
	s_mov_b64 s[0:1], -1
	s_cbranch_scc0 .LBB440_1697
; %bb.1696:
	v_cvt_f32_i32_e32 v1, v2
	s_movk_i32 s2, 0x7fff
	s_mov_b64 s[0:1], 0
	s_mov_b64 s[6:7], -1
	v_bfe_u32 v3, v1, 16, 1
	v_add3_u32 v1, v1, v3, s2
	global_store_short_d16_hi v[4:5], v1, off
.LBB440_1697:
	s_mov_b64 s[8:9], 0
.LBB440_1698:
	s_mov_b64 s[2:3], 0
	s_and_b64 vcc, exec, s[8:9]
	s_cbranch_vccz .LBB440_1700
; %bb.1699:
	s_cmp_lg_u32 s20, 11
	s_mov_b64 s[2:3], -1
	s_cselect_b64 s[0:1], -1, 0
.LBB440_1700:
	s_and_b64 vcc, exec, s[0:1]
	s_cbranch_vccnz .LBB440_1994
; %bb.1701:
	s_andn2_b64 vcc, exec, s[2:3]
	s_cbranch_vccnz .LBB440_1703
.LBB440_1702:
	v_cmp_ne_u32_e32 vcc, 0, v2
	s_mov_b64 s[6:7], -1
	s_nop 0
	v_cndmask_b32_e64 v1, 0, 1, vcc
	global_store_byte v[4:5], v1, off
.LBB440_1703:
	s_mov_b64 s[0:1], 0
	s_branch .LBB440_1705
.LBB440_1704:
	s_mov_b64 s[0:1], -1
	s_mov_b64 s[6:7], 0
.LBB440_1705:
	s_and_b64 vcc, exec, s[0:1]
	s_cbranch_vccz .LBB440_1744
; %bb.1706:
	s_and_b32 s2, 0xffff, s22
	s_cmp_lt_i32 s2, 5
	s_mov_b64 s[0:1], -1
	s_cbranch_scc1 .LBB440_1727
; %bb.1707:
	s_cmp_lt_i32 s2, 8
	s_cbranch_scc1 .LBB440_1717
; %bb.1708:
	s_cmp_lt_i32 s2, 9
	s_cbranch_scc1 .LBB440_1714
; %bb.1709:
	s_cmp_gt_i32 s2, 9
	s_cbranch_scc0 .LBB440_1711
; %bb.1710:
	v_mov_b32_e32 v10, 0
	v_cvt_f64_i32_e32 v[8:9], v2
	v_mov_b32_e32 v11, v10
	global_store_dwordx4 v[4:5], v[8:11], off
	s_mov_b64 s[0:1], 0
.LBB440_1711:
	s_andn2_b64 vcc, exec, s[0:1]
	s_cbranch_vccnz .LBB440_1713
; %bb.1712:
	v_cvt_f32_i32_e32 v8, v2
	v_mov_b32_e32 v9, 0
	global_store_dwordx2 v[4:5], v[8:9], off
.LBB440_1713:
	s_mov_b64 s[0:1], 0
.LBB440_1714:
	s_andn2_b64 vcc, exec, s[0:1]
	s_cbranch_vccnz .LBB440_1716
; %bb.1715:
	v_cvt_f32_i32_e32 v1, v2
	v_cvt_f16_f32_e32 v1, v1
	global_store_dword v[4:5], v1, off
.LBB440_1716:
	s_mov_b64 s[0:1], 0
.LBB440_1717:
	s_andn2_b64 vcc, exec, s[0:1]
	s_cbranch_vccnz .LBB440_1726
; %bb.1718:
	s_cmp_lt_i32 s2, 6
	s_mov_b64 s[0:1], -1
	s_cbranch_scc1 .LBB440_1724
; %bb.1719:
	s_cmp_gt_i32 s2, 6
	s_cbranch_scc0 .LBB440_1721
; %bb.1720:
	v_cvt_f64_i32_e32 v[8:9], v2
	global_store_dwordx2 v[4:5], v[8:9], off
	s_mov_b64 s[0:1], 0
.LBB440_1721:
	s_andn2_b64 vcc, exec, s[0:1]
	s_cbranch_vccnz .LBB440_1723
; %bb.1722:
	v_cvt_f32_i32_e32 v1, v2
	global_store_dword v[4:5], v1, off
.LBB440_1723:
	s_mov_b64 s[0:1], 0
.LBB440_1724:
	s_andn2_b64 vcc, exec, s[0:1]
	s_cbranch_vccnz .LBB440_1726
; %bb.1725:
	v_cvt_f32_i32_e32 v1, v2
	v_cvt_f16_f32_e32 v1, v1
	global_store_short v[4:5], v1, off
.LBB440_1726:
	s_mov_b64 s[0:1], 0
.LBB440_1727:
	s_andn2_b64 vcc, exec, s[0:1]
	s_cbranch_vccnz .LBB440_1743
; %bb.1728:
	s_cmp_lt_i32 s2, 2
	s_mov_b64 s[0:1], -1
	s_cbranch_scc1 .LBB440_1738
; %bb.1729:
	s_cmp_lt_i32 s2, 3
	s_cbranch_scc1 .LBB440_1735
; %bb.1730:
	s_cmp_gt_i32 s2, 3
	s_cbranch_scc0 .LBB440_1732
; %bb.1731:
	v_ashrrev_i32_e32 v3, 31, v2
	global_store_dwordx2 v[4:5], v[2:3], off
	s_mov_b64 s[0:1], 0
.LBB440_1732:
	s_andn2_b64 vcc, exec, s[0:1]
	s_cbranch_vccnz .LBB440_1734
; %bb.1733:
	global_store_dword v[4:5], v2, off
.LBB440_1734:
	s_mov_b64 s[0:1], 0
.LBB440_1735:
	s_andn2_b64 vcc, exec, s[0:1]
	s_cbranch_vccnz .LBB440_1737
; %bb.1736:
	global_store_short v[4:5], v2, off
.LBB440_1737:
	s_mov_b64 s[0:1], 0
.LBB440_1738:
	s_andn2_b64 vcc, exec, s[0:1]
	s_cbranch_vccnz .LBB440_1743
; %bb.1739:
	s_cmp_gt_i32 s2, 0
	s_mov_b64 s[0:1], -1
	s_cbranch_scc0 .LBB440_1741
; %bb.1740:
	global_store_byte v[4:5], v2, off
	s_mov_b64 s[0:1], 0
.LBB440_1741:
	s_andn2_b64 vcc, exec, s[0:1]
	s_cbranch_vccnz .LBB440_1743
; %bb.1742:
	global_store_byte v[4:5], v2, off
.LBB440_1743:
	s_mov_b64 s[6:7], -1
.LBB440_1744:
	s_andn2_b64 vcc, exec, s[6:7]
	s_cbranch_vccnz .LBB440_1940
; %bb.1745:
	v_add_u32_e32 v0, s11, v0
	v_ashrrev_i32_e32 v1, 31, v0
	v_min_i32_e32 v2, s10, v7
	s_cmp_lt_i32 s22, 11
	v_lshl_add_u64 v[4:5], s[4:5], 0, v[0:1]
	s_cbranch_scc1 .LBB440_1823
; %bb.1746:
	s_and_b32 s20, 0xffff, s22
	s_mov_b64 s[8:9], -1
	s_mov_b64 s[2:3], 0
	s_cmp_gt_i32 s20, 25
	s_mov_b64 s[6:7], 0
	s_mov_b64 s[0:1], 0
	s_cbranch_scc0 .LBB440_1779
; %bb.1747:
	s_cmp_gt_i32 s20, 28
	s_cbranch_scc0 .LBB440_1762
; %bb.1748:
	s_cmp_gt_i32 s20, 43
	;; [unrolled: 3-line block ×3, first 2 shown]
	s_cbranch_scc0 .LBB440_1752
; %bb.1750:
	s_mov_b64 s[0:1], -1
	s_mov_b64 s[8:9], 0
	s_cmp_eq_u32 s20, 46
	s_cbranch_scc0 .LBB440_1752
; %bb.1751:
	v_cvt_f32_i32_e32 v1, v2
	s_movk_i32 s6, 0x7fff
	s_mov_b64 s[0:1], 0
	v_bfe_u32 v3, v1, 16, 1
	v_add3_u32 v1, v1, v3, s6
	v_lshrrev_b32_e32 v1, 16, v1
	global_store_dword v[4:5], v1, off
	s_mov_b64 s[6:7], -1
.LBB440_1752:
	s_and_b64 vcc, exec, s[8:9]
	s_cbranch_vccz .LBB440_1757
; %bb.1753:
	s_cmp_eq_u32 s20, 44
	s_mov_b64 s[0:1], -1
	s_cbranch_scc0 .LBB440_1757
; %bb.1754:
	v_cvt_f32_i32_e32 v1, v2
	s_movk_i32 s0, 0xff
	v_mov_b32_e32 v7, 0xff
	v_bfe_u32 v3, v1, 23, 8
	v_cmp_ne_u32_e32 vcc, s0, v3
	s_and_saveexec_b64 s[6:7], vcc
; %bb.1755:
	s_mov_b32 s0, 0x3fffff
	v_lshrrev_b32_e32 v7, 23, v1
	v_and_b32_e32 v8, 0x400000, v1
	v_and_or_b32 v1, v1, s0, v3
	v_cmp_ne_u32_e32 vcc, 0, v8
	v_cmp_ne_u32_e64 s[0:1], 0, v1
	s_and_b64 s[0:1], vcc, s[0:1]
	s_nop 0
	v_cndmask_b32_e64 v1, 0, 1, s[0:1]
	v_add_u32_e32 v7, v7, v1
; %bb.1756:
	s_or_b64 exec, exec, s[6:7]
	s_mov_b64 s[0:1], 0
	s_mov_b64 s[6:7], -1
	global_store_byte v[4:5], v7, off
.LBB440_1757:
	s_mov_b64 s[8:9], 0
.LBB440_1758:
	s_and_b64 vcc, exec, s[8:9]
	s_cbranch_vccz .LBB440_1761
; %bb.1759:
	s_cmp_eq_u32 s20, 29
	s_mov_b64 s[0:1], -1
	s_cbranch_scc0 .LBB440_1761
; %bb.1760:
	v_ashrrev_i32_e32 v3, 31, v2
	global_store_dwordx2 v[4:5], v[2:3], off
	s_mov_b64 s[0:1], 0
	s_mov_b64 s[6:7], -1
.LBB440_1761:
	s_mov_b64 s[8:9], 0
.LBB440_1762:
	s_and_b64 vcc, exec, s[8:9]
	s_cbranch_vccz .LBB440_1778
; %bb.1763:
	s_cmp_lt_i32 s20, 27
	s_mov_b64 s[6:7], -1
	s_cbranch_scc1 .LBB440_1769
; %bb.1764:
	s_cmp_gt_i32 s20, 27
	s_cbranch_scc0 .LBB440_1766
; %bb.1765:
	s_mov_b64 s[6:7], 0
	global_store_dword v[4:5], v2, off
.LBB440_1766:
	s_andn2_b64 vcc, exec, s[6:7]
	s_cbranch_vccnz .LBB440_1768
; %bb.1767:
	global_store_short v[4:5], v2, off
.LBB440_1768:
	s_mov_b64 s[6:7], 0
.LBB440_1769:
	s_andn2_b64 vcc, exec, s[6:7]
	s_cbranch_vccnz .LBB440_1777
; %bb.1770:
	v_cvt_f32_i32_e32 v1, v2
	s_mov_b32 s6, 0x43800000
	v_mov_b32_e32 v7, 0x80
	v_and_b32_e32 v3, 0x7fffffff, v1
	v_cmp_gt_u32_e32 vcc, s6, v3
	s_and_saveexec_b64 s[6:7], vcc
	s_cbranch_execz .LBB440_1776
; %bb.1771:
	s_mov_b32 s8, 0x3bffffff
	v_cmp_lt_u32_e32 vcc, s8, v3
	s_mov_b64 s[8:9], 0
                                        ; implicit-def: $vgpr3
	s_and_saveexec_b64 s[18:19], vcc
	s_xor_b64 s[18:19], exec, s[18:19]
	s_cbranch_execz .LBB440_1997
; %bb.1772:
	v_bfe_u32 v3, v1, 20, 1
	s_mov_b32 s21, 0x487ffff
	v_add3_u32 v3, v1, v3, s21
	s_mov_b64 s[8:9], exec
	v_lshrrev_b32_e32 v3, 20, v3
	s_andn2_saveexec_b64 s[18:19], s[18:19]
	s_cbranch_execnz .LBB440_1998
.LBB440_1773:
	s_or_b64 exec, exec, s[18:19]
	v_mov_b32_e32 v7, 0
	s_and_saveexec_b64 s[18:19], s[8:9]
.LBB440_1774:
	v_lshrrev_b32_e32 v1, 24, v1
	s_movk_i32 s8, 0x80
	v_and_or_b32 v7, v1, s8, v3
.LBB440_1775:
	s_or_b64 exec, exec, s[18:19]
.LBB440_1776:
	s_or_b64 exec, exec, s[6:7]
	global_store_byte v[4:5], v7, off
.LBB440_1777:
	s_mov_b64 s[6:7], -1
.LBB440_1778:
	s_mov_b64 s[8:9], 0
.LBB440_1779:
	s_and_b64 vcc, exec, s[8:9]
	s_cbranch_vccz .LBB440_1819
; %bb.1780:
	s_cmp_gt_i32 s20, 22
	s_mov_b64 s[2:3], -1
	s_cbranch_scc0 .LBB440_1812
; %bb.1781:
	s_cmp_lt_i32 s20, 24
	s_cbranch_scc1 .LBB440_1801
; %bb.1782:
	s_cmp_gt_i32 s20, 24
	s_cbranch_scc0 .LBB440_1790
; %bb.1783:
	v_cvt_f32_i32_e32 v1, v2
	s_mov_b32 s2, 0x47800000
	v_mov_b32_e32 v7, 0x80
	v_and_b32_e32 v3, 0x7fffffff, v1
	v_cmp_gt_u32_e32 vcc, s2, v3
	s_and_saveexec_b64 s[2:3], vcc
	s_cbranch_execz .LBB440_1789
; %bb.1784:
	s_mov_b32 s6, 0x37ffffff
	v_cmp_lt_u32_e32 vcc, s6, v3
	s_mov_b64 s[6:7], 0
                                        ; implicit-def: $vgpr3
	s_and_saveexec_b64 s[8:9], vcc
	s_xor_b64 s[8:9], exec, s[8:9]
	s_cbranch_execz .LBB440_2000
; %bb.1785:
	v_bfe_u32 v3, v1, 21, 1
	s_mov_b32 s18, 0x88fffff
	v_add3_u32 v3, v1, v3, s18
	s_mov_b64 s[6:7], exec
	v_lshrrev_b32_e32 v3, 21, v3
	s_andn2_saveexec_b64 s[8:9], s[8:9]
	s_cbranch_execnz .LBB440_2001
.LBB440_1786:
	s_or_b64 exec, exec, s[8:9]
	v_mov_b32_e32 v7, 0
	s_and_saveexec_b64 s[8:9], s[6:7]
.LBB440_1787:
	v_lshrrev_b32_e32 v1, 24, v1
	s_movk_i32 s6, 0x80
	v_and_or_b32 v7, v1, s6, v3
.LBB440_1788:
	s_or_b64 exec, exec, s[8:9]
.LBB440_1789:
	s_or_b64 exec, exec, s[2:3]
	s_mov_b64 s[2:3], 0
	global_store_byte v[4:5], v7, off
.LBB440_1790:
	s_and_b64 vcc, exec, s[2:3]
	s_cbranch_vccz .LBB440_1800
; %bb.1791:
	v_cvt_f32_i32_e32 v1, v2
	s_mov_b32 s2, 0x43f00000
                                        ; implicit-def: $vgpr3
	v_and_b32_e32 v7, 0x7fffffff, v1
	v_cmp_gt_u32_e32 vcc, s2, v7
	s_and_saveexec_b64 s[2:3], vcc
	s_xor_b64 s[2:3], exec, s[2:3]
	s_cbranch_execz .LBB440_1797
; %bb.1792:
	s_mov_b32 s6, 0x3c7fffff
	v_cmp_lt_u32_e32 vcc, s6, v7
                                        ; implicit-def: $vgpr3
	s_and_saveexec_b64 s[6:7], vcc
	s_xor_b64 s[6:7], exec, s[6:7]
; %bb.1793:
	v_bfe_u32 v3, v1, 20, 1
	s_mov_b32 s8, 0x407ffff
	v_add3_u32 v3, v1, v3, s8
	v_lshrrev_b32_e32 v7, 20, v3
	v_and_b32_e32 v3, 0xff00000, v3
	s_mov_b32 s8, 0x7f00000
	v_mov_b32_e32 v8, 0x7e
	v_cmp_ne_u32_e32 vcc, s8, v3
	s_nop 1
	v_cndmask_b32_e32 v3, v8, v7, vcc
; %bb.1794:
	s_andn2_saveexec_b64 s[6:7], s[6:7]
; %bb.1795:
	s_mov_b32 s8, 0x46800000
	v_add_f32_e64 v3, |v1|, s8
; %bb.1796:
	s_or_b64 exec, exec, s[6:7]
                                        ; implicit-def: $vgpr7
.LBB440_1797:
	s_andn2_saveexec_b64 s[2:3], s[2:3]
; %bb.1798:
	s_mov_b32 s6, 0x7f800000
	v_mov_b32_e32 v3, 0x7e
	v_mov_b32_e32 v8, 0x7f
	v_cmp_lt_u32_e32 vcc, s6, v7
	s_nop 1
	v_cndmask_b32_e32 v3, v3, v8, vcc
; %bb.1799:
	s_or_b64 exec, exec, s[2:3]
	v_lshrrev_b32_e32 v1, 24, v1
	s_movk_i32 s2, 0x80
	v_and_or_b32 v1, v1, s2, v3
	global_store_byte v[4:5], v1, off
.LBB440_1800:
	s_mov_b64 s[2:3], 0
.LBB440_1801:
	s_andn2_b64 vcc, exec, s[2:3]
	s_cbranch_vccnz .LBB440_1811
; %bb.1802:
	v_cvt_f32_i32_e32 v1, v2
	s_mov_b32 s2, 0x47800000
                                        ; implicit-def: $vgpr3
	v_and_b32_e32 v7, 0x7fffffff, v1
	v_cmp_gt_u32_e32 vcc, s2, v7
	s_and_saveexec_b64 s[2:3], vcc
	s_xor_b64 s[2:3], exec, s[2:3]
	s_cbranch_execz .LBB440_1808
; %bb.1803:
	s_mov_b32 s6, 0x387fffff
	v_cmp_lt_u32_e32 vcc, s6, v7
                                        ; implicit-def: $vgpr3
	s_and_saveexec_b64 s[6:7], vcc
	s_xor_b64 s[6:7], exec, s[6:7]
; %bb.1804:
	v_bfe_u32 v3, v1, 21, 1
	s_mov_b32 s8, 0x80fffff
	v_add3_u32 v3, v1, v3, s8
	v_lshrrev_b32_e32 v3, 21, v3
; %bb.1805:
	s_andn2_saveexec_b64 s[6:7], s[6:7]
; %bb.1806:
	s_mov_b32 s8, 0x43000000
	v_add_f32_e64 v3, |v1|, s8
; %bb.1807:
	s_or_b64 exec, exec, s[6:7]
                                        ; implicit-def: $vgpr7
.LBB440_1808:
	s_andn2_saveexec_b64 s[2:3], s[2:3]
; %bb.1809:
	s_mov_b32 s6, 0x7f800000
	v_mov_b32_e32 v3, 0x7c
	v_mov_b32_e32 v8, 0x7f
	v_cmp_lt_u32_e32 vcc, s6, v7
	s_nop 1
	v_cndmask_b32_e32 v3, v3, v8, vcc
; %bb.1810:
	s_or_b64 exec, exec, s[2:3]
	v_lshrrev_b32_e32 v1, 24, v1
	s_movk_i32 s2, 0x80
	v_and_or_b32 v1, v1, s2, v3
	global_store_byte v[4:5], v1, off
.LBB440_1811:
	s_mov_b64 s[2:3], 0
	s_mov_b64 s[6:7], -1
.LBB440_1812:
	s_andn2_b64 vcc, exec, s[2:3]
	s_mov_b64 s[2:3], 0
	s_cbranch_vccnz .LBB440_1819
; %bb.1813:
	s_cmp_gt_i32 s20, 14
	s_mov_b64 s[8:9], -1
	s_cbranch_scc0 .LBB440_1817
; %bb.1814:
	s_cmp_eq_u32 s20, 15
	s_mov_b64 s[0:1], -1
	s_cbranch_scc0 .LBB440_1816
; %bb.1815:
	v_cvt_f32_i32_e32 v1, v2
	s_movk_i32 s2, 0x7fff
	s_mov_b64 s[0:1], 0
	s_mov_b64 s[6:7], -1
	v_bfe_u32 v3, v1, 16, 1
	v_add3_u32 v1, v1, v3, s2
	global_store_short_d16_hi v[4:5], v1, off
.LBB440_1816:
	s_mov_b64 s[8:9], 0
.LBB440_1817:
	s_mov_b64 s[2:3], 0
	s_and_b64 vcc, exec, s[8:9]
	s_cbranch_vccz .LBB440_1819
; %bb.1818:
	s_cmp_lg_u32 s20, 11
	s_mov_b64 s[2:3], -1
	s_cselect_b64 s[0:1], -1, 0
.LBB440_1819:
	s_and_b64 vcc, exec, s[0:1]
	s_cbranch_vccnz .LBB440_1999
; %bb.1820:
	s_andn2_b64 vcc, exec, s[2:3]
	s_cbranch_vccnz .LBB440_1822
.LBB440_1821:
	v_cmp_ne_u32_e32 vcc, 0, v2
	s_mov_b64 s[6:7], -1
	s_nop 0
	v_cndmask_b32_e64 v1, 0, 1, vcc
	global_store_byte v[4:5], v1, off
.LBB440_1822:
	s_mov_b64 s[0:1], 0
	s_branch .LBB440_1824
.LBB440_1823:
	s_mov_b64 s[0:1], -1
	s_mov_b64 s[6:7], 0
.LBB440_1824:
	s_and_b64 vcc, exec, s[0:1]
	s_cbranch_vccz .LBB440_1863
; %bb.1825:
	s_and_b32 s2, 0xffff, s22
	s_cmp_lt_i32 s2, 5
	s_mov_b64 s[0:1], -1
	s_cbranch_scc1 .LBB440_1846
; %bb.1826:
	s_cmp_lt_i32 s2, 8
	s_cbranch_scc1 .LBB440_1836
; %bb.1827:
	s_cmp_lt_i32 s2, 9
	s_cbranch_scc1 .LBB440_1833
; %bb.1828:
	s_cmp_gt_i32 s2, 9
	s_cbranch_scc0 .LBB440_1830
; %bb.1829:
	v_mov_b32_e32 v10, 0
	v_cvt_f64_i32_e32 v[8:9], v2
	v_mov_b32_e32 v11, v10
	global_store_dwordx4 v[4:5], v[8:11], off
	s_mov_b64 s[0:1], 0
.LBB440_1830:
	s_andn2_b64 vcc, exec, s[0:1]
	s_cbranch_vccnz .LBB440_1832
; %bb.1831:
	v_cvt_f32_i32_e32 v8, v2
	v_mov_b32_e32 v9, 0
	global_store_dwordx2 v[4:5], v[8:9], off
.LBB440_1832:
	s_mov_b64 s[0:1], 0
.LBB440_1833:
	s_andn2_b64 vcc, exec, s[0:1]
	s_cbranch_vccnz .LBB440_1835
; %bb.1834:
	v_cvt_f32_i32_e32 v1, v2
	v_cvt_f16_f32_e32 v1, v1
	global_store_dword v[4:5], v1, off
.LBB440_1835:
	s_mov_b64 s[0:1], 0
.LBB440_1836:
	s_andn2_b64 vcc, exec, s[0:1]
	s_cbranch_vccnz .LBB440_1845
; %bb.1837:
	s_cmp_lt_i32 s2, 6
	s_mov_b64 s[0:1], -1
	s_cbranch_scc1 .LBB440_1843
; %bb.1838:
	s_cmp_gt_i32 s2, 6
	s_cbranch_scc0 .LBB440_1840
; %bb.1839:
	v_cvt_f64_i32_e32 v[8:9], v2
	global_store_dwordx2 v[4:5], v[8:9], off
	s_mov_b64 s[0:1], 0
.LBB440_1840:
	s_andn2_b64 vcc, exec, s[0:1]
	s_cbranch_vccnz .LBB440_1842
; %bb.1841:
	v_cvt_f32_i32_e32 v1, v2
	global_store_dword v[4:5], v1, off
.LBB440_1842:
	s_mov_b64 s[0:1], 0
.LBB440_1843:
	s_andn2_b64 vcc, exec, s[0:1]
	s_cbranch_vccnz .LBB440_1845
; %bb.1844:
	v_cvt_f32_i32_e32 v1, v2
	v_cvt_f16_f32_e32 v1, v1
	global_store_short v[4:5], v1, off
.LBB440_1845:
	s_mov_b64 s[0:1], 0
.LBB440_1846:
	s_andn2_b64 vcc, exec, s[0:1]
	s_cbranch_vccnz .LBB440_1862
; %bb.1847:
	s_cmp_lt_i32 s2, 2
	s_mov_b64 s[0:1], -1
	s_cbranch_scc1 .LBB440_1857
; %bb.1848:
	s_cmp_lt_i32 s2, 3
	s_cbranch_scc1 .LBB440_1854
; %bb.1849:
	s_cmp_gt_i32 s2, 3
	s_cbranch_scc0 .LBB440_1851
; %bb.1850:
	v_ashrrev_i32_e32 v3, 31, v2
	global_store_dwordx2 v[4:5], v[2:3], off
	s_mov_b64 s[0:1], 0
.LBB440_1851:
	s_andn2_b64 vcc, exec, s[0:1]
	s_cbranch_vccnz .LBB440_1853
; %bb.1852:
	global_store_dword v[4:5], v2, off
.LBB440_1853:
	s_mov_b64 s[0:1], 0
.LBB440_1854:
	s_andn2_b64 vcc, exec, s[0:1]
	s_cbranch_vccnz .LBB440_1856
; %bb.1855:
	global_store_short v[4:5], v2, off
.LBB440_1856:
	s_mov_b64 s[0:1], 0
.LBB440_1857:
	s_andn2_b64 vcc, exec, s[0:1]
	s_cbranch_vccnz .LBB440_1862
; %bb.1858:
	s_cmp_gt_i32 s2, 0
	s_mov_b64 s[0:1], -1
	s_cbranch_scc0 .LBB440_1860
; %bb.1859:
	global_store_byte v[4:5], v2, off
	s_mov_b64 s[0:1], 0
.LBB440_1860:
	s_andn2_b64 vcc, exec, s[0:1]
	s_cbranch_vccnz .LBB440_1862
; %bb.1861:
	global_store_byte v[4:5], v2, off
.LBB440_1862:
	s_mov_b64 s[6:7], -1
.LBB440_1863:
	s_andn2_b64 vcc, exec, s[6:7]
	s_cbranch_vccnz .LBB440_1940
; %bb.1864:
	v_add_u32_e32 v0, s11, v0
	v_ashrrev_i32_e32 v1, 31, v0
	v_min_i32_e32 v2, s10, v6
	s_cmp_lt_i32 s22, 11
	v_lshl_add_u64 v[0:1], s[4:5], 0, v[0:1]
	s_cbranch_scc1 .LBB440_1985
; %bb.1865:
	s_and_b32 s10, 0xffff, s22
	s_mov_b64 s[4:5], -1
	s_mov_b64 s[2:3], 0
	s_cmp_gt_i32 s10, 25
	s_mov_b64 s[0:1], 0
	s_cbranch_scc0 .LBB440_1898
; %bb.1866:
	s_cmp_gt_i32 s10, 28
	s_cbranch_scc0 .LBB440_1882
; %bb.1867:
	s_cmp_gt_i32 s10, 43
	;; [unrolled: 3-line block ×3, first 2 shown]
	s_cbranch_scc0 .LBB440_1872
; %bb.1869:
	s_cmp_eq_u32 s10, 46
	s_mov_b64 s[0:1], -1
	s_cbranch_scc0 .LBB440_1871
; %bb.1870:
	v_cvt_f32_i32_e32 v3, v2
	s_movk_i32 s0, 0x7fff
	v_bfe_u32 v4, v3, 16, 1
	v_add3_u32 v3, v3, v4, s0
	v_lshrrev_b32_e32 v3, 16, v3
	global_store_dword v[0:1], v3, off
	s_mov_b64 s[0:1], 0
.LBB440_1871:
	s_mov_b64 s[4:5], 0
.LBB440_1872:
	s_and_b64 vcc, exec, s[4:5]
	s_cbranch_vccz .LBB440_1877
; %bb.1873:
	s_cmp_eq_u32 s10, 44
	s_mov_b64 s[0:1], -1
	s_cbranch_scc0 .LBB440_1877
; %bb.1874:
	v_cvt_f32_i32_e32 v3, v2
	s_movk_i32 s0, 0xff
	v_mov_b32_e32 v5, 0xff
	v_bfe_u32 v4, v3, 23, 8
	v_cmp_ne_u32_e32 vcc, s0, v4
	s_and_saveexec_b64 s[4:5], vcc
; %bb.1875:
	s_mov_b32 s0, 0x3fffff
	v_lshrrev_b32_e32 v5, 23, v3
	v_and_b32_e32 v6, 0x400000, v3
	v_and_or_b32 v3, v3, s0, v4
	v_cmp_ne_u32_e32 vcc, 0, v6
	v_cmp_ne_u32_e64 s[0:1], 0, v3
	s_and_b64 s[0:1], vcc, s[0:1]
	s_nop 0
	v_cndmask_b32_e64 v3, 0, 1, s[0:1]
	v_add_u32_e32 v5, v5, v3
; %bb.1876:
	s_or_b64 exec, exec, s[4:5]
	s_mov_b64 s[0:1], 0
	global_store_byte v[0:1], v5, off
.LBB440_1877:
	s_mov_b64 s[4:5], 0
.LBB440_1878:
	s_and_b64 vcc, exec, s[4:5]
	s_cbranch_vccz .LBB440_1881
; %bb.1879:
	s_cmp_eq_u32 s10, 29
	s_mov_b64 s[0:1], -1
	s_cbranch_scc0 .LBB440_1881
; %bb.1880:
	v_ashrrev_i32_e32 v3, 31, v2
	global_store_dwordx2 v[0:1], v[2:3], off
	s_mov_b64 s[0:1], 0
.LBB440_1881:
	s_mov_b64 s[4:5], 0
.LBB440_1882:
	s_and_b64 vcc, exec, s[4:5]
	s_cbranch_vccz .LBB440_1897
; %bb.1883:
	s_cmp_lt_i32 s10, 27
	s_mov_b64 s[4:5], -1
	s_cbranch_scc1 .LBB440_1889
; %bb.1884:
	s_cmp_gt_i32 s10, 27
	s_cbranch_scc0 .LBB440_1886
; %bb.1885:
	global_store_dword v[0:1], v2, off
	s_mov_b64 s[4:5], 0
.LBB440_1886:
	s_andn2_b64 vcc, exec, s[4:5]
	s_cbranch_vccnz .LBB440_1888
; %bb.1887:
	global_store_short v[0:1], v2, off
.LBB440_1888:
	s_mov_b64 s[4:5], 0
.LBB440_1889:
	s_andn2_b64 vcc, exec, s[4:5]
	s_cbranch_vccnz .LBB440_1897
; %bb.1890:
	v_cvt_f32_i32_e32 v3, v2
	s_mov_b32 s4, 0x43800000
	v_mov_b32_e32 v5, 0x80
	v_and_b32_e32 v4, 0x7fffffff, v3
	v_cmp_gt_u32_e32 vcc, s4, v4
	s_and_saveexec_b64 s[4:5], vcc
	s_cbranch_execz .LBB440_1896
; %bb.1891:
	s_mov_b32 s6, 0x3bffffff
	v_cmp_lt_u32_e32 vcc, s6, v4
	s_mov_b64 s[6:7], 0
                                        ; implicit-def: $vgpr4
	s_and_saveexec_b64 s[8:9], vcc
	s_xor_b64 s[8:9], exec, s[8:9]
	s_cbranch_execz .LBB440_2002
; %bb.1892:
	v_bfe_u32 v4, v3, 20, 1
	s_mov_b32 s11, 0x487ffff
	v_add3_u32 v4, v3, v4, s11
	s_mov_b64 s[6:7], exec
	v_lshrrev_b32_e32 v4, 20, v4
	s_andn2_saveexec_b64 s[8:9], s[8:9]
	s_cbranch_execnz .LBB440_2003
.LBB440_1893:
	s_or_b64 exec, exec, s[8:9]
	v_mov_b32_e32 v5, 0
	s_and_saveexec_b64 s[8:9], s[6:7]
.LBB440_1894:
	v_lshrrev_b32_e32 v3, 24, v3
	s_movk_i32 s6, 0x80
	v_and_or_b32 v5, v3, s6, v4
.LBB440_1895:
	s_or_b64 exec, exec, s[8:9]
.LBB440_1896:
	s_or_b64 exec, exec, s[4:5]
	global_store_byte v[0:1], v5, off
.LBB440_1897:
	s_mov_b64 s[4:5], 0
.LBB440_1898:
	s_and_b64 vcc, exec, s[4:5]
	s_cbranch_vccz .LBB440_1938
; %bb.1899:
	s_cmp_gt_i32 s10, 22
	s_mov_b64 s[2:3], -1
	s_cbranch_scc0 .LBB440_1931
; %bb.1900:
	s_cmp_lt_i32 s10, 24
	s_cbranch_scc1 .LBB440_1920
; %bb.1901:
	s_cmp_gt_i32 s10, 24
	s_cbranch_scc0 .LBB440_1909
; %bb.1902:
	v_cvt_f32_i32_e32 v3, v2
	s_mov_b32 s2, 0x47800000
	v_mov_b32_e32 v5, 0x80
	v_and_b32_e32 v4, 0x7fffffff, v3
	v_cmp_gt_u32_e32 vcc, s2, v4
	s_and_saveexec_b64 s[2:3], vcc
	s_cbranch_execz .LBB440_1908
; %bb.1903:
	s_mov_b32 s4, 0x37ffffff
	v_cmp_lt_u32_e32 vcc, s4, v4
	s_mov_b64 s[4:5], 0
                                        ; implicit-def: $vgpr4
	s_and_saveexec_b64 s[6:7], vcc
	s_xor_b64 s[6:7], exec, s[6:7]
	s_cbranch_execz .LBB440_2005
; %bb.1904:
	v_bfe_u32 v4, v3, 21, 1
	s_mov_b32 s8, 0x88fffff
	v_add3_u32 v4, v3, v4, s8
	s_mov_b64 s[4:5], exec
	v_lshrrev_b32_e32 v4, 21, v4
	s_andn2_saveexec_b64 s[6:7], s[6:7]
	s_cbranch_execnz .LBB440_2006
.LBB440_1905:
	s_or_b64 exec, exec, s[6:7]
	v_mov_b32_e32 v5, 0
	s_and_saveexec_b64 s[6:7], s[4:5]
.LBB440_1906:
	v_lshrrev_b32_e32 v3, 24, v3
	s_movk_i32 s4, 0x80
	v_and_or_b32 v5, v3, s4, v4
.LBB440_1907:
	s_or_b64 exec, exec, s[6:7]
.LBB440_1908:
	s_or_b64 exec, exec, s[2:3]
	s_mov_b64 s[2:3], 0
	global_store_byte v[0:1], v5, off
.LBB440_1909:
	s_and_b64 vcc, exec, s[2:3]
	s_cbranch_vccz .LBB440_1919
; %bb.1910:
	v_cvt_f32_i32_e32 v3, v2
	s_mov_b32 s2, 0x43f00000
                                        ; implicit-def: $vgpr4
	v_and_b32_e32 v5, 0x7fffffff, v3
	v_cmp_gt_u32_e32 vcc, s2, v5
	s_and_saveexec_b64 s[2:3], vcc
	s_xor_b64 s[2:3], exec, s[2:3]
	s_cbranch_execz .LBB440_1916
; %bb.1911:
	s_mov_b32 s4, 0x3c7fffff
	v_cmp_lt_u32_e32 vcc, s4, v5
                                        ; implicit-def: $vgpr4
	s_and_saveexec_b64 s[4:5], vcc
	s_xor_b64 s[4:5], exec, s[4:5]
; %bb.1912:
	v_bfe_u32 v4, v3, 20, 1
	s_mov_b32 s6, 0x407ffff
	v_add3_u32 v4, v3, v4, s6
	v_lshrrev_b32_e32 v5, 20, v4
	v_and_b32_e32 v4, 0xff00000, v4
	s_mov_b32 s6, 0x7f00000
	v_mov_b32_e32 v6, 0x7e
	v_cmp_ne_u32_e32 vcc, s6, v4
	s_nop 1
	v_cndmask_b32_e32 v4, v6, v5, vcc
; %bb.1913:
	s_andn2_saveexec_b64 s[4:5], s[4:5]
; %bb.1914:
	s_mov_b32 s6, 0x46800000
	v_add_f32_e64 v4, |v3|, s6
; %bb.1915:
	s_or_b64 exec, exec, s[4:5]
                                        ; implicit-def: $vgpr5
.LBB440_1916:
	s_andn2_saveexec_b64 s[2:3], s[2:3]
; %bb.1917:
	s_mov_b32 s4, 0x7f800000
	v_mov_b32_e32 v4, 0x7e
	v_mov_b32_e32 v6, 0x7f
	v_cmp_lt_u32_e32 vcc, s4, v5
	s_nop 1
	v_cndmask_b32_e32 v4, v4, v6, vcc
; %bb.1918:
	s_or_b64 exec, exec, s[2:3]
	v_lshrrev_b32_e32 v3, 24, v3
	s_movk_i32 s2, 0x80
	v_and_or_b32 v3, v3, s2, v4
	global_store_byte v[0:1], v3, off
.LBB440_1919:
	s_mov_b64 s[2:3], 0
.LBB440_1920:
	s_andn2_b64 vcc, exec, s[2:3]
	s_cbranch_vccnz .LBB440_1930
; %bb.1921:
	v_cvt_f32_i32_e32 v3, v2
	s_mov_b32 s2, 0x47800000
                                        ; implicit-def: $vgpr4
	v_and_b32_e32 v5, 0x7fffffff, v3
	v_cmp_gt_u32_e32 vcc, s2, v5
	s_and_saveexec_b64 s[2:3], vcc
	s_xor_b64 s[2:3], exec, s[2:3]
	s_cbranch_execz .LBB440_1927
; %bb.1922:
	s_mov_b32 s4, 0x387fffff
	v_cmp_lt_u32_e32 vcc, s4, v5
                                        ; implicit-def: $vgpr4
	s_and_saveexec_b64 s[4:5], vcc
	s_xor_b64 s[4:5], exec, s[4:5]
; %bb.1923:
	v_bfe_u32 v4, v3, 21, 1
	s_mov_b32 s6, 0x80fffff
	v_add3_u32 v4, v3, v4, s6
	v_lshrrev_b32_e32 v4, 21, v4
; %bb.1924:
	s_andn2_saveexec_b64 s[4:5], s[4:5]
; %bb.1925:
	s_mov_b32 s6, 0x43000000
	v_add_f32_e64 v4, |v3|, s6
; %bb.1926:
	s_or_b64 exec, exec, s[4:5]
                                        ; implicit-def: $vgpr5
.LBB440_1927:
	s_andn2_saveexec_b64 s[2:3], s[2:3]
; %bb.1928:
	s_mov_b32 s4, 0x7f800000
	v_mov_b32_e32 v4, 0x7c
	v_mov_b32_e32 v6, 0x7f
	v_cmp_lt_u32_e32 vcc, s4, v5
	s_nop 1
	v_cndmask_b32_e32 v4, v4, v6, vcc
; %bb.1929:
	s_or_b64 exec, exec, s[2:3]
	v_lshrrev_b32_e32 v3, 24, v3
	s_movk_i32 s2, 0x80
	v_and_or_b32 v3, v3, s2, v4
	global_store_byte v[0:1], v3, off
.LBB440_1930:
	s_mov_b64 s[2:3], 0
.LBB440_1931:
	s_andn2_b64 vcc, exec, s[2:3]
	s_mov_b64 s[2:3], 0
	s_cbranch_vccnz .LBB440_1938
; %bb.1932:
	s_cmp_gt_i32 s10, 14
	s_mov_b64 s[4:5], -1
	s_cbranch_scc0 .LBB440_1936
; %bb.1933:
	s_cmp_eq_u32 s10, 15
	s_mov_b64 s[0:1], -1
	s_cbranch_scc0 .LBB440_1935
; %bb.1934:
	v_cvt_f32_i32_e32 v3, v2
	s_movk_i32 s0, 0x7fff
	v_bfe_u32 v4, v3, 16, 1
	v_add3_u32 v3, v3, v4, s0
	global_store_short_d16_hi v[0:1], v3, off
	s_mov_b64 s[0:1], 0
.LBB440_1935:
	s_mov_b64 s[4:5], 0
.LBB440_1936:
	s_and_b64 vcc, exec, s[4:5]
	s_cbranch_vccz .LBB440_1938
; %bb.1937:
	s_cmp_lg_u32 s10, 11
	s_mov_b64 s[2:3], -1
	s_cselect_b64 s[0:1], -1, 0
.LBB440_1938:
	s_and_b64 vcc, exec, s[0:1]
	s_cbranch_vccnz .LBB440_2004
.LBB440_1939:
	s_mov_b64 s[0:1], 0
	s_branch .LBB440_1941
.LBB440_1940:
	s_mov_b64 s[0:1], 0
	s_mov_b64 s[2:3], 0
                                        ; implicit-def: $sgpr22
                                        ; implicit-def: $vgpr0_vgpr1
                                        ; implicit-def: $vgpr2
.LBB440_1941:
	s_andn2_b64 s[4:5], s[14:15], exec
	s_and_b64 s[6:7], s[16:17], exec
	s_and_b64 s[0:1], s[0:1], exec
	;; [unrolled: 1-line block ×3, first 2 shown]
	s_or_b64 s[14:15], s[4:5], s[6:7]
.LBB440_1942:
	s_or_b64 exec, exec, s[12:13]
	s_and_saveexec_b64 s[4:5], s[14:15]
	s_cbranch_execz .LBB440_1945
; %bb.1943:
	; divergent unreachable
	s_or_b64 exec, exec, s[4:5]
	s_and_saveexec_b64 s[4:5], s[2:3]
	s_xor_b64 s[2:3], exec, s[4:5]
	s_cbranch_execnz .LBB440_1946
.LBB440_1944:
	s_or_b64 exec, exec, s[2:3]
	s_and_saveexec_b64 s[2:3], s[0:1]
	s_cbranch_execnz .LBB440_1947
	s_branch .LBB440_1984
.LBB440_1945:
	s_or_b64 exec, exec, s[4:5]
	s_and_saveexec_b64 s[4:5], s[2:3]
	s_xor_b64 s[2:3], exec, s[4:5]
	s_cbranch_execz .LBB440_1944
.LBB440_1946:
	s_waitcnt vmcnt(0)
	v_cmp_ne_u32_e32 vcc, 0, v2
	s_nop 1
	v_cndmask_b32_e64 v3, 0, 1, vcc
	global_store_byte v[0:1], v3, off
	s_or_b64 exec, exec, s[2:3]
	s_and_saveexec_b64 s[2:3], s[0:1]
	s_cbranch_execz .LBB440_1984
.LBB440_1947:
	s_sext_i32_i16 s2, s22
	s_cmp_lt_i32 s2, 5
	s_mov_b64 s[0:1], -1
	s_cbranch_scc1 .LBB440_1968
; %bb.1948:
	s_cmp_lt_i32 s2, 8
	s_cbranch_scc1 .LBB440_1958
; %bb.1949:
	s_cmp_lt_i32 s2, 9
	s_cbranch_scc1 .LBB440_1955
; %bb.1950:
	s_cmp_gt_i32 s2, 9
	s_cbranch_scc0 .LBB440_1952
; %bb.1951:
	s_waitcnt vmcnt(0)
	v_mov_b32_e32 v6, 0
	v_cvt_f64_i32_e32 v[4:5], v2
	v_mov_b32_e32 v7, v6
	global_store_dwordx4 v[0:1], v[4:7], off
	s_mov_b64 s[0:1], 0
.LBB440_1952:
	s_andn2_b64 vcc, exec, s[0:1]
	s_cbranch_vccnz .LBB440_1954
; %bb.1953:
	s_waitcnt vmcnt(0)
	v_cvt_f32_i32_e32 v4, v2
	v_mov_b32_e32 v5, 0
	global_store_dwordx2 v[0:1], v[4:5], off
.LBB440_1954:
	s_mov_b64 s[0:1], 0
.LBB440_1955:
	s_andn2_b64 vcc, exec, s[0:1]
	s_cbranch_vccnz .LBB440_1957
; %bb.1956:
	s_waitcnt vmcnt(0)
	v_cvt_f32_i32_e32 v3, v2
	v_cvt_f16_f32_e32 v3, v3
	global_store_dword v[0:1], v3, off
.LBB440_1957:
	s_mov_b64 s[0:1], 0
.LBB440_1958:
	s_andn2_b64 vcc, exec, s[0:1]
	s_cbranch_vccnz .LBB440_1967
; %bb.1959:
	s_sext_i32_i16 s2, s22
	s_cmp_lt_i32 s2, 6
	s_mov_b64 s[0:1], -1
	s_cbranch_scc1 .LBB440_1965
; %bb.1960:
	s_cmp_gt_i32 s2, 6
	s_cbranch_scc0 .LBB440_1962
; %bb.1961:
	s_waitcnt vmcnt(0)
	v_cvt_f64_i32_e32 v[4:5], v2
	global_store_dwordx2 v[0:1], v[4:5], off
	s_mov_b64 s[0:1], 0
.LBB440_1962:
	s_andn2_b64 vcc, exec, s[0:1]
	s_cbranch_vccnz .LBB440_1964
; %bb.1963:
	s_waitcnt vmcnt(0)
	v_cvt_f32_i32_e32 v3, v2
	global_store_dword v[0:1], v3, off
.LBB440_1964:
	s_mov_b64 s[0:1], 0
.LBB440_1965:
	s_andn2_b64 vcc, exec, s[0:1]
	s_cbranch_vccnz .LBB440_1967
; %bb.1966:
	s_waitcnt vmcnt(0)
	v_cvt_f32_i32_e32 v3, v2
	v_cvt_f16_f32_e32 v3, v3
	global_store_short v[0:1], v3, off
.LBB440_1967:
	s_mov_b64 s[0:1], 0
.LBB440_1968:
	s_andn2_b64 vcc, exec, s[0:1]
	s_cbranch_vccnz .LBB440_1984
; %bb.1969:
	s_sext_i32_i16 s2, s22
	s_cmp_lt_i32 s2, 2
	s_mov_b64 s[0:1], -1
	s_cbranch_scc1 .LBB440_1979
; %bb.1970:
	s_cmp_lt_i32 s2, 3
	s_cbranch_scc1 .LBB440_1976
; %bb.1971:
	s_cmp_gt_i32 s2, 3
	s_cbranch_scc0 .LBB440_1973
; %bb.1972:
	s_waitcnt vmcnt(0)
	v_ashrrev_i32_e32 v3, 31, v2
	global_store_dwordx2 v[0:1], v[2:3], off
	s_mov_b64 s[0:1], 0
.LBB440_1973:
	s_andn2_b64 vcc, exec, s[0:1]
	s_cbranch_vccnz .LBB440_1975
; %bb.1974:
	s_waitcnt vmcnt(0)
	global_store_dword v[0:1], v2, off
.LBB440_1975:
	s_mov_b64 s[0:1], 0
.LBB440_1976:
	s_andn2_b64 vcc, exec, s[0:1]
	s_cbranch_vccnz .LBB440_1978
; %bb.1977:
	s_waitcnt vmcnt(0)
	global_store_short v[0:1], v2, off
.LBB440_1978:
	s_mov_b64 s[0:1], 0
.LBB440_1979:
	s_andn2_b64 vcc, exec, s[0:1]
	s_cbranch_vccnz .LBB440_1984
; %bb.1980:
	s_sext_i32_i16 s0, s22
	s_cmp_gt_i32 s0, 0
	s_mov_b64 s[0:1], -1
	s_cbranch_scc0 .LBB440_1982
; %bb.1981:
	s_waitcnt vmcnt(0)
	global_store_byte v[0:1], v2, off
	s_mov_b64 s[0:1], 0
.LBB440_1982:
	s_andn2_b64 vcc, exec, s[0:1]
	s_cbranch_vccnz .LBB440_1984
; %bb.1983:
	s_waitcnt vmcnt(0)
	global_store_byte v[0:1], v2, off
	s_endpgm
.LBB440_1984:
	s_endpgm
.LBB440_1985:
	s_mov_b64 s[2:3], 0
	s_mov_b64 s[0:1], -1
	s_branch .LBB440_1941
.LBB440_1986:
	s_trap 2
	s_or_b64 s[16:17], s[16:17], exec
	s_cbranch_execz .LBB440_1455
	s_branch .LBB440_1456
.LBB440_1987:
	s_andn2_saveexec_b64 s[20:21], s[20:21]
	s_cbranch_execz .LBB440_1535
.LBB440_1988:
	s_mov_b32 s11, 0x46000000
	v_add_f32_e64 v3, |v1|, s11
	v_and_b32_e32 v3, 0xff, v3
	v_cmp_ne_u32_e32 vcc, 0, v3
	s_andn2_b64 s[18:19], s[18:19], exec
	s_and_b64 s[24:25], vcc, exec
	s_or_b64 s[18:19], s[18:19], s[24:25]
	s_or_b64 exec, exec, s[20:21]
	v_mov_b32_e32 v9, 0
	s_and_saveexec_b64 s[20:21], s[18:19]
	s_cbranch_execnz .LBB440_1536
	s_branch .LBB440_1537
.LBB440_1989:
	s_trap 2
	s_or_b64 s[16:17], s[16:17], exec
	s_cbranch_execz .LBB440_1583
	s_branch .LBB440_1584
.LBB440_1990:
	s_andn2_saveexec_b64 s[18:19], s[18:19]
	s_cbranch_execz .LBB440_1548
.LBB440_1991:
	s_mov_b32 s11, 0x42800000
	v_add_f32_e64 v3, |v1|, s11
	v_and_b32_e32 v3, 0xff, v3
	v_cmp_ne_u32_e32 vcc, 0, v3
	s_andn2_b64 s[6:7], s[6:7], exec
	s_and_b64 s[20:21], vcc, exec
	s_or_b64 s[6:7], s[6:7], s[20:21]
	s_or_b64 exec, exec, s[18:19]
	v_mov_b32_e32 v9, 0
	s_and_saveexec_b64 s[18:19], s[6:7]
	s_cbranch_execnz .LBB440_1549
	s_branch .LBB440_1550
.LBB440_1992:
	s_andn2_saveexec_b64 s[18:19], s[18:19]
	s_cbranch_execz .LBB440_1654
.LBB440_1993:
	s_mov_b32 s21, 0x46000000
	v_add_f32_e64 v3, |v1|, s21
	v_and_b32_e32 v3, 0xff, v3
	v_cmp_ne_u32_e32 vcc, 0, v3
	s_andn2_b64 s[8:9], s[8:9], exec
	s_and_b64 s[24:25], vcc, exec
	s_or_b64 s[8:9], s[8:9], s[24:25]
	s_or_b64 exec, exec, s[18:19]
	v_mov_b32_e32 v8, 0
	s_and_saveexec_b64 s[18:19], s[8:9]
	s_cbranch_execnz .LBB440_1655
	s_branch .LBB440_1656
.LBB440_1994:
	s_trap 2
	s_or_b64 s[16:17], s[16:17], exec
	s_cbranch_execz .LBB440_1702
	s_branch .LBB440_1703
.LBB440_1995:
	s_andn2_saveexec_b64 s[8:9], s[8:9]
	s_cbranch_execz .LBB440_1667
.LBB440_1996:
	s_mov_b32 s18, 0x42800000
	v_add_f32_e64 v3, |v1|, s18
	v_and_b32_e32 v3, 0xff, v3
	v_cmp_ne_u32_e32 vcc, 0, v3
	s_andn2_b64 s[6:7], s[6:7], exec
	s_and_b64 s[18:19], vcc, exec
	s_or_b64 s[6:7], s[6:7], s[18:19]
	s_or_b64 exec, exec, s[8:9]
	v_mov_b32_e32 v8, 0
	s_and_saveexec_b64 s[8:9], s[6:7]
	s_cbranch_execnz .LBB440_1668
	s_branch .LBB440_1669
.LBB440_1997:
	s_andn2_saveexec_b64 s[18:19], s[18:19]
	s_cbranch_execz .LBB440_1773
.LBB440_1998:
	s_mov_b32 s21, 0x46000000
	v_add_f32_e64 v3, |v1|, s21
	v_and_b32_e32 v3, 0xff, v3
	v_cmp_ne_u32_e32 vcc, 0, v3
	s_andn2_b64 s[8:9], s[8:9], exec
	s_and_b64 s[24:25], vcc, exec
	s_or_b64 s[8:9], s[8:9], s[24:25]
	s_or_b64 exec, exec, s[18:19]
	v_mov_b32_e32 v7, 0
	s_and_saveexec_b64 s[18:19], s[8:9]
	s_cbranch_execnz .LBB440_1774
	s_branch .LBB440_1775
.LBB440_1999:
	s_trap 2
	s_or_b64 s[16:17], s[16:17], exec
	s_cbranch_execz .LBB440_1821
	s_branch .LBB440_1822
.LBB440_2000:
	s_andn2_saveexec_b64 s[8:9], s[8:9]
	s_cbranch_execz .LBB440_1786
.LBB440_2001:
	s_mov_b32 s18, 0x42800000
	v_add_f32_e64 v3, |v1|, s18
	v_and_b32_e32 v3, 0xff, v3
	v_cmp_ne_u32_e32 vcc, 0, v3
	s_andn2_b64 s[6:7], s[6:7], exec
	s_and_b64 s[18:19], vcc, exec
	s_or_b64 s[6:7], s[6:7], s[18:19]
	s_or_b64 exec, exec, s[8:9]
	v_mov_b32_e32 v7, 0
	s_and_saveexec_b64 s[8:9], s[6:7]
	s_cbranch_execnz .LBB440_1787
	s_branch .LBB440_1788
.LBB440_2002:
	s_andn2_saveexec_b64 s[8:9], s[8:9]
	s_cbranch_execz .LBB440_1893
.LBB440_2003:
	s_mov_b32 s11, 0x46000000
	v_add_f32_e64 v4, |v3|, s11
	v_and_b32_e32 v4, 0xff, v4
	v_cmp_ne_u32_e32 vcc, 0, v4
	s_andn2_b64 s[6:7], s[6:7], exec
	s_and_b64 s[18:19], vcc, exec
	s_or_b64 s[6:7], s[6:7], s[18:19]
	s_or_b64 exec, exec, s[8:9]
	v_mov_b32_e32 v5, 0
	s_and_saveexec_b64 s[8:9], s[6:7]
	s_cbranch_execnz .LBB440_1894
	s_branch .LBB440_1895
.LBB440_2004:
	s_mov_b64 s[2:3], 0
	s_or_b64 s[16:17], s[16:17], exec
	s_trap 2
	s_branch .LBB440_1939
.LBB440_2005:
	s_andn2_saveexec_b64 s[6:7], s[6:7]
	s_cbranch_execz .LBB440_1905
.LBB440_2006:
	s_mov_b32 s8, 0x42800000
	v_add_f32_e64 v4, |v3|, s8
	v_and_b32_e32 v4, 0xff, v4
	v_cmp_ne_u32_e32 vcc, 0, v4
	s_andn2_b64 s[4:5], s[4:5], exec
	s_and_b64 s[8:9], vcc, exec
	s_or_b64 s[4:5], s[4:5], s[8:9]
	s_or_b64 exec, exec, s[6:7]
	v_mov_b32_e32 v5, 0
	s_and_saveexec_b64 s[6:7], s[4:5]
	s_cbranch_execnz .LBB440_1906
	s_branch .LBB440_1907
	.section	.rodata,"a",@progbits
	.p2align	6, 0x0
	.amdhsa_kernel _ZN2at6native32elementwise_kernel_manual_unrollILi128ELi4EZNS0_15gpu_kernel_implIZZZNS0_21clamp_max_kernel_cudaERNS_18TensorIteratorBaseERKN3c106ScalarEENKUlvE_clEvENKUlvE1_clEvEUliE_EEvS4_RKT_EUlibE_EEviT1_
		.amdhsa_group_segment_fixed_size 0
		.amdhsa_private_segment_fixed_size 0
		.amdhsa_kernarg_size 40
		.amdhsa_user_sgpr_count 2
		.amdhsa_user_sgpr_dispatch_ptr 0
		.amdhsa_user_sgpr_queue_ptr 0
		.amdhsa_user_sgpr_kernarg_segment_ptr 1
		.amdhsa_user_sgpr_dispatch_id 0
		.amdhsa_user_sgpr_kernarg_preload_length 0
		.amdhsa_user_sgpr_kernarg_preload_offset 0
		.amdhsa_user_sgpr_private_segment_size 0
		.amdhsa_uses_dynamic_stack 0
		.amdhsa_enable_private_segment 0
		.amdhsa_system_sgpr_workgroup_id_x 1
		.amdhsa_system_sgpr_workgroup_id_y 0
		.amdhsa_system_sgpr_workgroup_id_z 0
		.amdhsa_system_sgpr_workgroup_info 0
		.amdhsa_system_vgpr_workitem_id 0
		.amdhsa_next_free_vgpr 14
		.amdhsa_next_free_sgpr 46
		.amdhsa_accum_offset 16
		.amdhsa_reserve_vcc 1
		.amdhsa_float_round_mode_32 0
		.amdhsa_float_round_mode_16_64 0
		.amdhsa_float_denorm_mode_32 3
		.amdhsa_float_denorm_mode_16_64 3
		.amdhsa_dx10_clamp 1
		.amdhsa_ieee_mode 1
		.amdhsa_fp16_overflow 0
		.amdhsa_tg_split 0
		.amdhsa_exception_fp_ieee_invalid_op 0
		.amdhsa_exception_fp_denorm_src 0
		.amdhsa_exception_fp_ieee_div_zero 0
		.amdhsa_exception_fp_ieee_overflow 0
		.amdhsa_exception_fp_ieee_underflow 0
		.amdhsa_exception_fp_ieee_inexact 0
		.amdhsa_exception_int_div_zero 0
	.end_amdhsa_kernel
	.section	.text._ZN2at6native32elementwise_kernel_manual_unrollILi128ELi4EZNS0_15gpu_kernel_implIZZZNS0_21clamp_max_kernel_cudaERNS_18TensorIteratorBaseERKN3c106ScalarEENKUlvE_clEvENKUlvE1_clEvEUliE_EEvS4_RKT_EUlibE_EEviT1_,"axG",@progbits,_ZN2at6native32elementwise_kernel_manual_unrollILi128ELi4EZNS0_15gpu_kernel_implIZZZNS0_21clamp_max_kernel_cudaERNS_18TensorIteratorBaseERKN3c106ScalarEENKUlvE_clEvENKUlvE1_clEvEUliE_EEvS4_RKT_EUlibE_EEviT1_,comdat
.Lfunc_end440:
	.size	_ZN2at6native32elementwise_kernel_manual_unrollILi128ELi4EZNS0_15gpu_kernel_implIZZZNS0_21clamp_max_kernel_cudaERNS_18TensorIteratorBaseERKN3c106ScalarEENKUlvE_clEvENKUlvE1_clEvEUliE_EEvS4_RKT_EUlibE_EEviT1_, .Lfunc_end440-_ZN2at6native32elementwise_kernel_manual_unrollILi128ELi4EZNS0_15gpu_kernel_implIZZZNS0_21clamp_max_kernel_cudaERNS_18TensorIteratorBaseERKN3c106ScalarEENKUlvE_clEvENKUlvE1_clEvEUliE_EEvS4_RKT_EUlibE_EEviT1_
                                        ; -- End function
	.set _ZN2at6native32elementwise_kernel_manual_unrollILi128ELi4EZNS0_15gpu_kernel_implIZZZNS0_21clamp_max_kernel_cudaERNS_18TensorIteratorBaseERKN3c106ScalarEENKUlvE_clEvENKUlvE1_clEvEUliE_EEvS4_RKT_EUlibE_EEviT1_.num_vgpr, 14
	.set _ZN2at6native32elementwise_kernel_manual_unrollILi128ELi4EZNS0_15gpu_kernel_implIZZZNS0_21clamp_max_kernel_cudaERNS_18TensorIteratorBaseERKN3c106ScalarEENKUlvE_clEvENKUlvE1_clEvEUliE_EEvS4_RKT_EUlibE_EEviT1_.num_agpr, 0
	.set _ZN2at6native32elementwise_kernel_manual_unrollILi128ELi4EZNS0_15gpu_kernel_implIZZZNS0_21clamp_max_kernel_cudaERNS_18TensorIteratorBaseERKN3c106ScalarEENKUlvE_clEvENKUlvE1_clEvEUliE_EEvS4_RKT_EUlibE_EEviT1_.numbered_sgpr, 46
	.set _ZN2at6native32elementwise_kernel_manual_unrollILi128ELi4EZNS0_15gpu_kernel_implIZZZNS0_21clamp_max_kernel_cudaERNS_18TensorIteratorBaseERKN3c106ScalarEENKUlvE_clEvENKUlvE1_clEvEUliE_EEvS4_RKT_EUlibE_EEviT1_.num_named_barrier, 0
	.set _ZN2at6native32elementwise_kernel_manual_unrollILi128ELi4EZNS0_15gpu_kernel_implIZZZNS0_21clamp_max_kernel_cudaERNS_18TensorIteratorBaseERKN3c106ScalarEENKUlvE_clEvENKUlvE1_clEvEUliE_EEvS4_RKT_EUlibE_EEviT1_.private_seg_size, 0
	.set _ZN2at6native32elementwise_kernel_manual_unrollILi128ELi4EZNS0_15gpu_kernel_implIZZZNS0_21clamp_max_kernel_cudaERNS_18TensorIteratorBaseERKN3c106ScalarEENKUlvE_clEvENKUlvE1_clEvEUliE_EEvS4_RKT_EUlibE_EEviT1_.uses_vcc, 1
	.set _ZN2at6native32elementwise_kernel_manual_unrollILi128ELi4EZNS0_15gpu_kernel_implIZZZNS0_21clamp_max_kernel_cudaERNS_18TensorIteratorBaseERKN3c106ScalarEENKUlvE_clEvENKUlvE1_clEvEUliE_EEvS4_RKT_EUlibE_EEviT1_.uses_flat_scratch, 0
	.set _ZN2at6native32elementwise_kernel_manual_unrollILi128ELi4EZNS0_15gpu_kernel_implIZZZNS0_21clamp_max_kernel_cudaERNS_18TensorIteratorBaseERKN3c106ScalarEENKUlvE_clEvENKUlvE1_clEvEUliE_EEvS4_RKT_EUlibE_EEviT1_.has_dyn_sized_stack, 0
	.set _ZN2at6native32elementwise_kernel_manual_unrollILi128ELi4EZNS0_15gpu_kernel_implIZZZNS0_21clamp_max_kernel_cudaERNS_18TensorIteratorBaseERKN3c106ScalarEENKUlvE_clEvENKUlvE1_clEvEUliE_EEvS4_RKT_EUlibE_EEviT1_.has_recursion, 0
	.set _ZN2at6native32elementwise_kernel_manual_unrollILi128ELi4EZNS0_15gpu_kernel_implIZZZNS0_21clamp_max_kernel_cudaERNS_18TensorIteratorBaseERKN3c106ScalarEENKUlvE_clEvENKUlvE1_clEvEUliE_EEvS4_RKT_EUlibE_EEviT1_.has_indirect_call, 0
	.section	.AMDGPU.csdata,"",@progbits
; Kernel info:
; codeLenInByte = 29528
; TotalNumSgprs: 52
; NumVgprs: 14
; NumAgprs: 0
; TotalNumVgprs: 14
; ScratchSize: 0
; MemoryBound: 1
; FloatMode: 240
; IeeeMode: 1
; LDSByteSize: 0 bytes/workgroup (compile time only)
; SGPRBlocks: 6
; VGPRBlocks: 1
; NumSGPRsForWavesPerEU: 52
; NumVGPRsForWavesPerEU: 14
; AccumOffset: 16
; Occupancy: 8
; WaveLimiterHint : 0
; COMPUTE_PGM_RSRC2:SCRATCH_EN: 0
; COMPUTE_PGM_RSRC2:USER_SGPR: 2
; COMPUTE_PGM_RSRC2:TRAP_HANDLER: 0
; COMPUTE_PGM_RSRC2:TGID_X_EN: 1
; COMPUTE_PGM_RSRC2:TGID_Y_EN: 0
; COMPUTE_PGM_RSRC2:TGID_Z_EN: 0
; COMPUTE_PGM_RSRC2:TIDIG_COMP_CNT: 0
; COMPUTE_PGM_RSRC3_GFX90A:ACCUM_OFFSET: 3
; COMPUTE_PGM_RSRC3_GFX90A:TG_SPLIT: 0
	.section	.text._ZN2at6native32elementwise_kernel_manual_unrollILi128ELi4EZNS0_15gpu_kernel_implIZZZNS0_21clamp_max_kernel_cudaERNS_18TensorIteratorBaseERKN3c106ScalarEENKUlvE_clEvENKUlvE1_clEvEUliE_EEvS4_RKT_EUlibE0_EEviT1_,"axG",@progbits,_ZN2at6native32elementwise_kernel_manual_unrollILi128ELi4EZNS0_15gpu_kernel_implIZZZNS0_21clamp_max_kernel_cudaERNS_18TensorIteratorBaseERKN3c106ScalarEENKUlvE_clEvENKUlvE1_clEvEUliE_EEvS4_RKT_EUlibE0_EEviT1_,comdat
	.globl	_ZN2at6native32elementwise_kernel_manual_unrollILi128ELi4EZNS0_15gpu_kernel_implIZZZNS0_21clamp_max_kernel_cudaERNS_18TensorIteratorBaseERKN3c106ScalarEENKUlvE_clEvENKUlvE1_clEvEUliE_EEvS4_RKT_EUlibE0_EEviT1_ ; -- Begin function _ZN2at6native32elementwise_kernel_manual_unrollILi128ELi4EZNS0_15gpu_kernel_implIZZZNS0_21clamp_max_kernel_cudaERNS_18TensorIteratorBaseERKN3c106ScalarEENKUlvE_clEvENKUlvE1_clEvEUliE_EEvS4_RKT_EUlibE0_EEviT1_
	.p2align	8
	.type	_ZN2at6native32elementwise_kernel_manual_unrollILi128ELi4EZNS0_15gpu_kernel_implIZZZNS0_21clamp_max_kernel_cudaERNS_18TensorIteratorBaseERKN3c106ScalarEENKUlvE_clEvENKUlvE1_clEvEUliE_EEvS4_RKT_EUlibE0_EEviT1_,@function
_ZN2at6native32elementwise_kernel_manual_unrollILi128ELi4EZNS0_15gpu_kernel_implIZZZNS0_21clamp_max_kernel_cudaERNS_18TensorIteratorBaseERKN3c106ScalarEENKUlvE_clEvENKUlvE1_clEvEUliE_EEvS4_RKT_EUlibE0_EEviT1_: ; @_ZN2at6native32elementwise_kernel_manual_unrollILi128ELi4EZNS0_15gpu_kernel_implIZZZNS0_21clamp_max_kernel_cudaERNS_18TensorIteratorBaseERKN3c106ScalarEENKUlvE_clEvENKUlvE1_clEvEUliE_EEvS4_RKT_EUlibE0_EEviT1_
; %bb.0:
	s_load_dword s72, s[0:1], 0x0
	s_load_dword s33, s[0:1], 0x8
	s_add_u32 s34, s0, 8
	s_addc_u32 s35, s1, 0
	v_lshl_or_b32 v8, s2, 9, v0
	v_or_b32_e32 v16, 0x180, v8
	s_waitcnt lgkmcnt(0)
	s_add_i32 s74, s33, -1
	s_cmp_gt_u32 s74, 1
	v_cmp_le_i32_e32 vcc, s72, v16
	s_cselect_b64 s[42:43], -1, 0
	s_mov_b64 s[40:41], 0
	s_mov_b64 s[24:25], 0
	s_and_saveexec_b64 s[2:3], vcc
	s_xor_b64 s[44:45], exec, s[2:3]
	s_cbranch_execz .LBB441_1074
; %bb.1:
	s_load_dwordx4 s[24:27], s[34:35], 0x4
	s_load_dwordx2 s[48:49], s[34:35], 0x14
	s_load_dwordx2 s[46:47], s[34:35], 0x158
	s_cmp_lg_u32 s33, 0
	s_load_dwordx4 s[28:31], s[34:35], 0xc4
	s_load_dwordx4 s[20:23], s[34:35], 0x148
	s_cselect_b64 s[54:55], -1, 0
	s_add_u32 s52, s34, 0xc4
	s_addc_u32 s53, s35, 0
	s_min_u32 s76, s74, 15
	s_cmp_gt_u32 s33, 1
	s_cselect_b64 s[50:51], -1, 0
	s_waitcnt lgkmcnt(0)
	s_bfe_u32 s75, s47, 0x80008
	v_cmp_gt_i32_e32 vcc, s72, v8
	s_mov_b64 s[4:5], -1
	s_mov_b64 s[64:65], 0
	s_mov_b64 s[58:59], 0
	;; [unrolled: 1-line block ×3, first 2 shown]
	s_and_saveexec_b64 s[60:61], vcc
	s_cbranch_execz .LBB441_263
; %bb.2:
	s_andn2_b64 vcc, exec, s[42:43]
	s_cbranch_vccnz .LBB441_8
; %bb.3:
	s_andn2_b64 vcc, exec, s[54:55]
	s_cbranch_vccnz .LBB441_9
; %bb.4:
	s_add_i32 s59, s76, 1
	s_cmp_eq_u32 s74, 2
	s_cbranch_scc1 .LBB441_10
; %bb.5:
	s_and_b32 s58, s59, 28
	s_mov_b32 s62, 0
	v_mov_b32_e32 v0, 0
	v_mov_b32_e32 v2, 0
	s_mov_b64 s[2:3], s[34:35]
	s_mov_b64 s[56:57], s[52:53]
	v_mov_b32_e32 v4, v8
.LBB441_6:                              ; =>This Inner Loop Header: Depth=1
	s_load_dwordx8 s[12:19], s[2:3], 0x4
	s_load_dwordx4 s[36:39], s[2:3], 0x24
	s_load_dwordx8 s[4:11], s[56:57], 0x0
	s_add_u32 s2, s2, 48
	s_addc_u32 s3, s3, 0
	s_waitcnt lgkmcnt(0)
	v_mul_hi_u32 v1, s13, v4
	v_add_u32_e32 v1, v4, v1
	v_lshrrev_b32_e32 v1, s14, v1
	v_mul_lo_u32 v3, v1, s12
	v_mul_hi_u32 v5, s16, v1
	v_sub_u32_e32 v3, v4, v3
	v_add_u32_e32 v4, v1, v5
	v_lshrrev_b32_e32 v4, s17, v4
	v_mul_lo_u32 v6, v4, s15
	v_mul_hi_u32 v7, s19, v4
	v_sub_u32_e32 v1, v1, v6
	v_add_u32_e32 v6, v4, v7
	v_mul_lo_u32 v5, v3, s5
	v_mul_lo_u32 v3, v3, s4
	;; [unrolled: 1-line block ×4, first 2 shown]
	v_lshrrev_b32_e32 v6, s36, v6
	v_add3_u32 v0, v3, v0, v1
	v_mul_hi_u32 v3, s38, v6
	v_add3_u32 v1, v5, v2, v7
	v_mul_lo_u32 v2, v6, s18
	v_add_u32_e32 v3, v6, v3
	v_sub_u32_e32 v2, v4, v2
	v_lshrrev_b32_e32 v4, s39, v3
	s_add_i32 s62, s62, 4
	v_mul_lo_u32 v3, v4, s37
	s_add_u32 s56, s56, 32
	v_sub_u32_e32 v3, v6, v3
	s_addc_u32 s57, s57, 0
	v_mul_lo_u32 v5, v2, s8
	v_mul_lo_u32 v2, v2, s9
	;; [unrolled: 1-line block ×4, first 2 shown]
	s_cmp_lg_u32 s58, s62
	v_add3_u32 v2, v2, v1, v3
	v_add3_u32 v0, v5, v0, v6
	s_cbranch_scc1 .LBB441_6
; %bb.7:
	v_mov_b32_e32 v1, v2
	s_branch .LBB441_11
.LBB441_8:
                                        ; implicit-def: $vgpr2
                                        ; implicit-def: $vgpr0
	s_branch .LBB441_15
.LBB441_9:
	v_mov_b32_e32 v2, 0
	v_mov_b32_e32 v0, 0
	s_branch .LBB441_14
.LBB441_10:
	v_mov_b32_e32 v0, 0
	s_mov_b32 s58, 0
	v_mov_b32_e32 v1, v0
                                        ; implicit-def: $vgpr2
	v_mov_b32_e32 v4, v8
.LBB441_11:
	s_and_b32 s6, s59, 3
	s_cmp_eq_u32 s6, 0
	s_cbranch_scc1 .LBB441_14
; %bb.12:
	s_lshl_b32 s2, s58, 3
	s_add_u32 s2, s34, s2
	s_addc_u32 s3, s35, 0
	s_add_u32 s2, s2, 0xc4
	s_addc_u32 s3, s3, 0
	s_mul_i32 s4, s58, 12
	s_add_u32 s4, s34, s4
	s_addc_u32 s5, s35, 0
.LBB441_13:                             ; =>This Inner Loop Header: Depth=1
	s_load_dwordx2 s[8:9], s[4:5], 0x4
	s_load_dword s7, s[4:5], 0xc
	s_load_dwordx2 s[10:11], s[2:3], 0x0
	v_mov_b32_e32 v2, v1
	s_add_u32 s4, s4, 12
	s_waitcnt lgkmcnt(0)
	v_mul_hi_u32 v1, s9, v4
	v_add_u32_e32 v1, v4, v1
	v_lshrrev_b32_e32 v1, s7, v1
	s_addc_u32 s5, s5, 0
	v_mul_lo_u32 v3, v1, s8
	s_add_u32 s2, s2, 8
	v_sub_u32_e32 v5, v4, v3
	s_addc_u32 s3, s3, 0
	s_add_i32 s6, s6, -1
	v_mov_b32_e32 v4, v1
	v_mad_u64_u32 v[2:3], s[8:9], v5, s11, v[2:3]
	v_mad_u64_u32 v[0:1], s[8:9], v5, s10, v[0:1]
	s_cmp_lg_u32 s6, 0
	v_mov_b32_e32 v1, v2
	s_cbranch_scc1 .LBB441_13
.LBB441_14:
	s_cbranch_execnz .LBB441_17
.LBB441_15:
	v_mul_hi_u32 v0, s25, v8
	v_add_u32_e32 v0, v8, v0
	v_lshrrev_b32_e32 v1, s26, v0
	v_mul_lo_u32 v0, v1, s24
	v_sub_u32_e32 v0, v8, v0
	v_mul_lo_u32 v2, v0, s29
	s_andn2_b64 vcc, exec, s[50:51]
	v_mul_lo_u32 v0, v0, s28
	s_cbranch_vccnz .LBB441_17
; %bb.16:
	v_mul_hi_u32 v3, s48, v1
	v_add_u32_e32 v3, v1, v3
	v_lshrrev_b32_e32 v3, s49, v3
	v_mul_lo_u32 v3, v3, s27
	v_sub_u32_e32 v3, v1, v3
	v_mad_u64_u32 v[0:1], s[2:3], v3, s30, v[0:1]
	v_mad_u64_u32 v[2:3], s[2:3], v3, s31, v[2:3]
.LBB441_17:
	v_mov_b32_e32 v3, 0
	s_and_b32 s8, 0xffff, s75
	s_cmp_lt_i32 s8, 11
	v_lshl_add_u64 v[2:3], s[22:23], 0, v[2:3]
	s_cbranch_scc1 .LBB441_24
; %bb.18:
	s_cmp_gt_i32 s8, 25
	s_cbranch_scc0 .LBB441_33
; %bb.19:
	s_cmp_gt_i32 s8, 28
	s_cbranch_scc0 .LBB441_36
	;; [unrolled: 3-line block ×4, first 2 shown]
; %bb.22:
	s_cmp_eq_u32 s8, 46
	s_mov_b64 s[6:7], 0
	s_cbranch_scc0 .LBB441_42
; %bb.23:
	global_load_dword v1, v[2:3], off
	s_mov_b64 s[2:3], -1
	s_mov_b64 s[4:5], 0
	s_waitcnt vmcnt(0)
	v_lshlrev_b32_e32 v1, 16, v1
	v_cvt_i32_f32_e32 v1, v1
	s_branch .LBB441_44
.LBB441_24:
	s_mov_b64 s[4:5], 0
                                        ; implicit-def: $vgpr1
	s_mov_b64 s[2:3], 0
	s_cbranch_execnz .LBB441_213
.LBB441_25:
	s_andn2_b64 vcc, exec, s[2:3]
	s_cbranch_vccnz .LBB441_260
.LBB441_26:
	s_waitcnt vmcnt(0)
	v_min_i32_e32 v2, s46, v1
	v_mov_b32_e32 v1, 0
	s_and_b32 s12, s47, 0xff
	s_cmp_lt_i32 s12, 11
	v_lshl_add_u64 v[0:1], s[20:21], 0, v[0:1]
	s_cbranch_scc1 .LBB441_34
; %bb.27:
	s_and_b32 s13, 0xffff, s12
	s_cmp_gt_i32 s13, 25
	s_cbranch_scc0 .LBB441_37
; %bb.28:
	s_cmp_gt_i32 s13, 28
	s_cbranch_scc0 .LBB441_39
; %bb.29:
	;; [unrolled: 3-line block ×4, first 2 shown]
	s_mov_b64 s[8:9], 0
	s_mov_b64 s[2:3], -1
	s_cmp_eq_u32 s13, 46
	s_mov_b64 s[6:7], 0
	s_cbranch_scc0 .LBB441_48
; %bb.32:
	v_cvt_f32_i32_e32 v3, v2
	s_movk_i32 s2, 0x7fff
	s_mov_b64 s[6:7], -1
	v_bfe_u32 v4, v3, 16, 1
	v_add3_u32 v3, v3, v4, s2
	v_lshrrev_b32_e32 v3, 16, v3
	global_store_dword v[0:1], v3, off
	s_mov_b64 s[2:3], 0
	s_branch .LBB441_48
.LBB441_33:
	s_mov_b64 s[4:5], 0
	s_mov_b64 s[2:3], 0
                                        ; implicit-def: $vgpr1
	s_cbranch_execnz .LBB441_180
	s_branch .LBB441_212
.LBB441_34:
	s_mov_b64 s[2:3], 0
	s_mov_b64 s[6:7], 0
	s_cbranch_execnz .LBB441_117
.LBB441_35:
	s_andn2_b64 vcc, exec, s[6:7]
	s_cbranch_vccnz .LBB441_261
	s_branch .LBB441_155
.LBB441_36:
	s_mov_b64 s[6:7], -1
	s_mov_b64 s[4:5], 0
	s_mov_b64 s[2:3], 0
                                        ; implicit-def: $vgpr1
	s_branch .LBB441_163
.LBB441_37:
	s_mov_b64 s[8:9], -1
	s_mov_b64 s[2:3], 0
	s_mov_b64 s[6:7], 0
	s_branch .LBB441_75
.LBB441_38:
	s_mov_b64 s[6:7], -1
	s_mov_b64 s[4:5], 0
	s_mov_b64 s[2:3], 0
                                        ; implicit-def: $vgpr1
	s_branch .LBB441_158
.LBB441_39:
	s_mov_b64 s[8:9], -1
	s_mov_b64 s[2:3], 0
	s_mov_b64 s[6:7], 0
	s_branch .LBB441_58
.LBB441_40:
	s_mov_b64 s[6:7], -1
	s_mov_b64 s[4:5], 0
	s_branch .LBB441_43
.LBB441_41:
	s_mov_b64 s[8:9], -1
	s_mov_b64 s[2:3], 0
	s_mov_b64 s[6:7], 0
	s_branch .LBB441_54
.LBB441_42:
	s_mov_b64 s[4:5], -1
.LBB441_43:
	s_mov_b64 s[2:3], 0
                                        ; implicit-def: $vgpr1
.LBB441_44:
	s_and_b64 vcc, exec, s[6:7]
	s_cbranch_vccz .LBB441_157
; %bb.45:
	s_cmp_eq_u32 s8, 44
	s_cbranch_scc0 .LBB441_156
; %bb.46:
	global_load_ubyte v1, v[2:3], off
	s_mov_b64 s[2:3], -1
	s_mov_b64 s[4:5], 0
	s_waitcnt vmcnt(0)
	v_lshlrev_b32_e32 v4, 23, v1
	v_cvt_i32_f32_e32 v4, v4
	v_cmp_ne_u32_e32 vcc, 0, v1
	s_nop 1
	v_cndmask_b32_e32 v1, 0, v4, vcc
	s_branch .LBB441_157
.LBB441_47:
	s_mov_b64 s[8:9], -1
	s_mov_b64 s[2:3], 0
	s_mov_b64 s[6:7], 0
.LBB441_48:
	s_and_b64 vcc, exec, s[8:9]
	s_cbranch_vccz .LBB441_53
; %bb.49:
	s_cmp_eq_u32 s13, 44
	s_mov_b64 s[2:3], -1
	s_cbranch_scc0 .LBB441_53
; %bb.50:
	v_cvt_f32_i32_e32 v3, v2
	s_movk_i32 s2, 0xff
	v_mov_b32_e32 v5, 0xff
	v_bfe_u32 v4, v3, 23, 8
	v_cmp_ne_u32_e32 vcc, s2, v4
	s_and_saveexec_b64 s[6:7], vcc
; %bb.51:
	s_mov_b32 s2, 0x3fffff
	v_lshrrev_b32_e32 v5, 23, v3
	v_and_b32_e32 v6, 0x400000, v3
	v_and_or_b32 v3, v3, s2, v4
	v_cmp_ne_u32_e32 vcc, 0, v6
	v_cmp_ne_u32_e64 s[2:3], 0, v3
	s_and_b64 s[2:3], vcc, s[2:3]
	s_nop 0
	v_cndmask_b32_e64 v3, 0, 1, s[2:3]
	v_add_u32_e32 v5, v5, v3
; %bb.52:
	s_or_b64 exec, exec, s[6:7]
	s_mov_b64 s[6:7], -1
	s_mov_b64 s[2:3], 0
	global_store_byte v[0:1], v5, off
.LBB441_53:
	s_mov_b64 s[8:9], 0
.LBB441_54:
	s_and_b64 vcc, exec, s[8:9]
	s_cbranch_vccz .LBB441_57
; %bb.55:
	s_cmp_eq_u32 s13, 29
	s_mov_b64 s[2:3], -1
	s_cbranch_scc0 .LBB441_57
; %bb.56:
	v_ashrrev_i32_e32 v3, 31, v2
	global_store_dwordx2 v[0:1], v[2:3], off
	s_mov_b64 s[6:7], -1
	s_mov_b64 s[2:3], 0
.LBB441_57:
	s_mov_b64 s[8:9], 0
.LBB441_58:
	s_and_b64 vcc, exec, s[8:9]
	s_cbranch_vccz .LBB441_74
; %bb.59:
	s_cmp_lt_i32 s13, 27
	s_mov_b64 s[6:7], -1
	s_cbranch_scc1 .LBB441_65
; %bb.60:
	s_cmp_gt_i32 s13, 27
	s_cbranch_scc0 .LBB441_62
; %bb.61:
	s_mov_b64 s[6:7], 0
	global_store_dword v[0:1], v2, off
.LBB441_62:
	s_andn2_b64 vcc, exec, s[6:7]
	s_cbranch_vccnz .LBB441_64
; %bb.63:
	global_store_short v[0:1], v2, off
.LBB441_64:
	s_mov_b64 s[6:7], 0
.LBB441_65:
	s_andn2_b64 vcc, exec, s[6:7]
	s_cbranch_vccnz .LBB441_73
; %bb.66:
	v_cvt_f32_i32_e32 v3, v2
	s_mov_b32 s6, 0x43800000
	v_mov_b32_e32 v5, 0x80
	v_and_b32_e32 v4, 0x7fffffff, v3
	v_cmp_gt_u32_e32 vcc, s6, v4
	s_and_saveexec_b64 s[6:7], vcc
	s_cbranch_execz .LBB441_72
; %bb.67:
	s_mov_b32 s8, 0x3bffffff
	v_cmp_lt_u32_e32 vcc, s8, v4
	s_mov_b64 s[8:9], 0
                                        ; implicit-def: $vgpr4
	s_and_saveexec_b64 s[10:11], vcc
	s_xor_b64 s[10:11], exec, s[10:11]
	s_cbranch_execz .LBB441_305
; %bb.68:
	v_bfe_u32 v4, v3, 20, 1
	s_mov_b32 s14, 0x487ffff
	v_add3_u32 v4, v3, v4, s14
	s_mov_b64 s[8:9], exec
	v_lshrrev_b32_e32 v4, 20, v4
	s_andn2_saveexec_b64 s[10:11], s[10:11]
	s_cbranch_execnz .LBB441_306
.LBB441_69:
	s_or_b64 exec, exec, s[10:11]
	v_mov_b32_e32 v5, 0
	s_and_saveexec_b64 s[10:11], s[8:9]
.LBB441_70:
	v_lshrrev_b32_e32 v3, 24, v3
	s_movk_i32 s8, 0x80
	v_and_or_b32 v5, v3, s8, v4
.LBB441_71:
	s_or_b64 exec, exec, s[10:11]
.LBB441_72:
	s_or_b64 exec, exec, s[6:7]
	global_store_byte v[0:1], v5, off
.LBB441_73:
	s_mov_b64 s[6:7], -1
.LBB441_74:
	s_mov_b64 s[8:9], 0
.LBB441_75:
	s_and_b64 vcc, exec, s[8:9]
	s_cbranch_vccz .LBB441_116
; %bb.76:
	s_cmp_gt_i32 s13, 22
	s_mov_b64 s[8:9], -1
	s_cbranch_scc0 .LBB441_108
; %bb.77:
	s_cmp_lt_i32 s13, 24
	s_mov_b64 s[6:7], -1
	s_cbranch_scc1 .LBB441_97
; %bb.78:
	s_cmp_gt_i32 s13, 24
	s_cbranch_scc0 .LBB441_86
; %bb.79:
	v_cvt_f32_i32_e32 v3, v2
	s_mov_b32 s6, 0x47800000
	v_mov_b32_e32 v5, 0x80
	v_and_b32_e32 v4, 0x7fffffff, v3
	v_cmp_gt_u32_e32 vcc, s6, v4
	s_and_saveexec_b64 s[6:7], vcc
	s_cbranch_execz .LBB441_85
; %bb.80:
	s_mov_b32 s8, 0x37ffffff
	v_cmp_lt_u32_e32 vcc, s8, v4
	s_mov_b64 s[8:9], 0
                                        ; implicit-def: $vgpr4
	s_and_saveexec_b64 s[10:11], vcc
	s_xor_b64 s[10:11], exec, s[10:11]
	s_cbranch_execz .LBB441_309
; %bb.81:
	v_bfe_u32 v4, v3, 21, 1
	s_mov_b32 s14, 0x88fffff
	v_add3_u32 v4, v3, v4, s14
	s_mov_b64 s[8:9], exec
	v_lshrrev_b32_e32 v4, 21, v4
	s_andn2_saveexec_b64 s[10:11], s[10:11]
	s_cbranch_execnz .LBB441_310
.LBB441_82:
	s_or_b64 exec, exec, s[10:11]
	v_mov_b32_e32 v5, 0
	s_and_saveexec_b64 s[10:11], s[8:9]
.LBB441_83:
	v_lshrrev_b32_e32 v3, 24, v3
	s_movk_i32 s8, 0x80
	v_and_or_b32 v5, v3, s8, v4
.LBB441_84:
	s_or_b64 exec, exec, s[10:11]
.LBB441_85:
	s_or_b64 exec, exec, s[6:7]
	s_mov_b64 s[6:7], 0
	global_store_byte v[0:1], v5, off
.LBB441_86:
	s_and_b64 vcc, exec, s[6:7]
	s_cbranch_vccz .LBB441_96
; %bb.87:
	v_cvt_f32_i32_e32 v3, v2
	s_mov_b32 s6, 0x43f00000
                                        ; implicit-def: $vgpr4
	v_and_b32_e32 v5, 0x7fffffff, v3
	v_cmp_gt_u32_e32 vcc, s6, v5
	s_and_saveexec_b64 s[6:7], vcc
	s_xor_b64 s[6:7], exec, s[6:7]
	s_cbranch_execz .LBB441_93
; %bb.88:
	s_mov_b32 s8, 0x3c7fffff
	v_cmp_lt_u32_e32 vcc, s8, v5
                                        ; implicit-def: $vgpr4
	s_and_saveexec_b64 s[8:9], vcc
	s_xor_b64 s[8:9], exec, s[8:9]
; %bb.89:
	v_bfe_u32 v4, v3, 20, 1
	s_mov_b32 s10, 0x407ffff
	v_add3_u32 v4, v3, v4, s10
	v_lshrrev_b32_e32 v5, 20, v4
	v_and_b32_e32 v4, 0xff00000, v4
	s_mov_b32 s10, 0x7f00000
	v_mov_b32_e32 v6, 0x7e
	v_cmp_ne_u32_e32 vcc, s10, v4
	s_nop 1
	v_cndmask_b32_e32 v4, v6, v5, vcc
; %bb.90:
	s_andn2_saveexec_b64 s[8:9], s[8:9]
; %bb.91:
	s_mov_b32 s10, 0x46800000
	v_add_f32_e64 v4, |v3|, s10
; %bb.92:
	s_or_b64 exec, exec, s[8:9]
                                        ; implicit-def: $vgpr5
.LBB441_93:
	s_andn2_saveexec_b64 s[6:7], s[6:7]
; %bb.94:
	s_mov_b32 s8, 0x7f800000
	v_mov_b32_e32 v4, 0x7e
	v_mov_b32_e32 v6, 0x7f
	v_cmp_lt_u32_e32 vcc, s8, v5
	s_nop 1
	v_cndmask_b32_e32 v4, v4, v6, vcc
; %bb.95:
	s_or_b64 exec, exec, s[6:7]
	v_lshrrev_b32_e32 v3, 24, v3
	s_movk_i32 s6, 0x80
	v_and_or_b32 v3, v3, s6, v4
	global_store_byte v[0:1], v3, off
.LBB441_96:
	s_mov_b64 s[6:7], 0
.LBB441_97:
	s_andn2_b64 vcc, exec, s[6:7]
	s_cbranch_vccnz .LBB441_107
; %bb.98:
	v_cvt_f32_i32_e32 v3, v2
	s_mov_b32 s6, 0x47800000
                                        ; implicit-def: $vgpr4
	v_and_b32_e32 v5, 0x7fffffff, v3
	v_cmp_gt_u32_e32 vcc, s6, v5
	s_and_saveexec_b64 s[6:7], vcc
	s_xor_b64 s[6:7], exec, s[6:7]
	s_cbranch_execz .LBB441_104
; %bb.99:
	s_mov_b32 s8, 0x387fffff
	v_cmp_lt_u32_e32 vcc, s8, v5
                                        ; implicit-def: $vgpr4
	s_and_saveexec_b64 s[8:9], vcc
	s_xor_b64 s[8:9], exec, s[8:9]
; %bb.100:
	v_bfe_u32 v4, v3, 21, 1
	s_mov_b32 s10, 0x80fffff
	v_add3_u32 v4, v3, v4, s10
	v_lshrrev_b32_e32 v4, 21, v4
; %bb.101:
	s_andn2_saveexec_b64 s[8:9], s[8:9]
; %bb.102:
	s_mov_b32 s10, 0x43000000
	v_add_f32_e64 v4, |v3|, s10
; %bb.103:
	s_or_b64 exec, exec, s[8:9]
                                        ; implicit-def: $vgpr5
.LBB441_104:
	s_andn2_saveexec_b64 s[6:7], s[6:7]
; %bb.105:
	s_mov_b32 s8, 0x7f800000
	v_mov_b32_e32 v4, 0x7c
	v_mov_b32_e32 v6, 0x7f
	v_cmp_lt_u32_e32 vcc, s8, v5
	s_nop 1
	v_cndmask_b32_e32 v4, v4, v6, vcc
; %bb.106:
	s_or_b64 exec, exec, s[6:7]
	v_lshrrev_b32_e32 v3, 24, v3
	s_movk_i32 s6, 0x80
	v_and_or_b32 v3, v3, s6, v4
	global_store_byte v[0:1], v3, off
.LBB441_107:
	s_mov_b64 s[8:9], 0
	s_mov_b64 s[6:7], -1
.LBB441_108:
	s_andn2_b64 vcc, exec, s[8:9]
	s_cbranch_vccnz .LBB441_116
; %bb.109:
	s_cmp_gt_i32 s13, 14
	s_mov_b64 s[8:9], -1
	s_cbranch_scc0 .LBB441_113
; %bb.110:
	s_cmp_eq_u32 s13, 15
	s_mov_b64 s[2:3], -1
	s_cbranch_scc0 .LBB441_112
; %bb.111:
	v_cvt_f32_i32_e32 v3, v2
	s_movk_i32 s2, 0x7fff
	s_mov_b64 s[6:7], -1
	v_bfe_u32 v4, v3, 16, 1
	v_add3_u32 v3, v3, v4, s2
	global_store_short_d16_hi v[0:1], v3, off
	s_mov_b64 s[2:3], 0
.LBB441_112:
	s_mov_b64 s[8:9], 0
.LBB441_113:
	s_and_b64 vcc, exec, s[8:9]
	s_cbranch_vccz .LBB441_116
; %bb.114:
	s_cmp_eq_u32 s13, 11
	s_mov_b64 s[2:3], -1
	s_cbranch_scc0 .LBB441_116
; %bb.115:
	v_cmp_ne_u32_e32 vcc, 0, v2
	s_mov_b64 s[6:7], -1
	s_mov_b64 s[2:3], 0
	v_cndmask_b32_e64 v3, 0, 1, vcc
	global_store_byte v[0:1], v3, off
.LBB441_116:
	s_branch .LBB441_35
.LBB441_117:
	s_and_b32 s8, 0xffff, s12
	s_cmp_lt_i32 s8, 5
	s_mov_b64 s[6:7], -1
	s_cbranch_scc1 .LBB441_138
; %bb.118:
	s_cmp_lt_i32 s8, 8
	s_cbranch_scc1 .LBB441_128
; %bb.119:
	s_cmp_lt_i32 s8, 9
	s_cbranch_scc1 .LBB441_125
; %bb.120:
	s_cmp_gt_i32 s8, 9
	s_cbranch_scc0 .LBB441_122
; %bb.121:
	v_mov_b32_e32 v6, 0
	v_cvt_f64_i32_e32 v[4:5], v2
	v_mov_b32_e32 v7, v6
	global_store_dwordx4 v[0:1], v[4:7], off
	s_mov_b64 s[6:7], 0
.LBB441_122:
	s_andn2_b64 vcc, exec, s[6:7]
	s_cbranch_vccnz .LBB441_124
; %bb.123:
	v_cvt_f32_i32_e32 v4, v2
	v_mov_b32_e32 v5, 0
	global_store_dwordx2 v[0:1], v[4:5], off
.LBB441_124:
	s_mov_b64 s[6:7], 0
.LBB441_125:
	s_andn2_b64 vcc, exec, s[6:7]
	s_cbranch_vccnz .LBB441_127
; %bb.126:
	v_cvt_f32_i32_e32 v3, v2
	v_cvt_f16_f32_e32 v3, v3
	global_store_dword v[0:1], v3, off
.LBB441_127:
	s_mov_b64 s[6:7], 0
.LBB441_128:
	s_andn2_b64 vcc, exec, s[6:7]
	s_cbranch_vccnz .LBB441_137
; %bb.129:
	s_cmp_lt_i32 s8, 6
	s_mov_b64 s[6:7], -1
	s_cbranch_scc1 .LBB441_135
; %bb.130:
	s_cmp_gt_i32 s8, 6
	s_cbranch_scc0 .LBB441_132
; %bb.131:
	v_cvt_f64_i32_e32 v[4:5], v2
	global_store_dwordx2 v[0:1], v[4:5], off
	s_mov_b64 s[6:7], 0
.LBB441_132:
	s_andn2_b64 vcc, exec, s[6:7]
	s_cbranch_vccnz .LBB441_134
; %bb.133:
	v_cvt_f32_i32_e32 v3, v2
	global_store_dword v[0:1], v3, off
.LBB441_134:
	s_mov_b64 s[6:7], 0
.LBB441_135:
	s_andn2_b64 vcc, exec, s[6:7]
	s_cbranch_vccnz .LBB441_137
; %bb.136:
	v_cvt_f32_i32_e32 v3, v2
	v_cvt_f16_f32_e32 v3, v3
	global_store_short v[0:1], v3, off
.LBB441_137:
	s_mov_b64 s[6:7], 0
.LBB441_138:
	s_andn2_b64 vcc, exec, s[6:7]
	s_cbranch_vccnz .LBB441_154
; %bb.139:
	s_cmp_lt_i32 s8, 2
	s_mov_b64 s[6:7], -1
	s_cbranch_scc1 .LBB441_149
; %bb.140:
	s_cmp_lt_i32 s8, 3
	s_cbranch_scc1 .LBB441_146
; %bb.141:
	s_cmp_gt_i32 s8, 3
	s_cbranch_scc0 .LBB441_143
; %bb.142:
	v_ashrrev_i32_e32 v3, 31, v2
	global_store_dwordx2 v[0:1], v[2:3], off
	s_mov_b64 s[6:7], 0
.LBB441_143:
	s_andn2_b64 vcc, exec, s[6:7]
	s_cbranch_vccnz .LBB441_145
; %bb.144:
	global_store_dword v[0:1], v2, off
.LBB441_145:
	s_mov_b64 s[6:7], 0
.LBB441_146:
	s_andn2_b64 vcc, exec, s[6:7]
	s_cbranch_vccnz .LBB441_148
; %bb.147:
	global_store_short v[0:1], v2, off
.LBB441_148:
	s_mov_b64 s[6:7], 0
.LBB441_149:
	s_andn2_b64 vcc, exec, s[6:7]
	s_cbranch_vccnz .LBB441_154
; %bb.150:
	s_cmp_gt_i32 s8, 0
	s_mov_b64 s[6:7], -1
	s_cbranch_scc0 .LBB441_152
; %bb.151:
	global_store_byte v[0:1], v2, off
	s_mov_b64 s[6:7], 0
.LBB441_152:
	s_andn2_b64 vcc, exec, s[6:7]
	s_cbranch_vccnz .LBB441_154
; %bb.153:
	global_store_byte v[0:1], v2, off
.LBB441_154:
.LBB441_155:
	v_add_u32_e32 v8, 0x80, v8
	s_mov_b64 s[6:7], -1
	s_branch .LBB441_262
.LBB441_156:
	s_mov_b64 s[4:5], -1
                                        ; implicit-def: $vgpr1
.LBB441_157:
	s_mov_b64 s[6:7], 0
.LBB441_158:
	s_and_b64 vcc, exec, s[6:7]
	s_cbranch_vccz .LBB441_162
; %bb.159:
	s_cmp_eq_u32 s8, 29
	s_cbranch_scc0 .LBB441_161
; %bb.160:
	global_load_dword v1, v[2:3], off
	s_mov_b64 s[2:3], -1
	s_mov_b64 s[4:5], 0
	s_branch .LBB441_162
.LBB441_161:
	s_mov_b64 s[4:5], -1
                                        ; implicit-def: $vgpr1
.LBB441_162:
	s_mov_b64 s[6:7], 0
.LBB441_163:
	s_and_b64 vcc, exec, s[6:7]
	s_cbranch_vccz .LBB441_179
; %bb.164:
	s_cmp_lt_i32 s8, 27
	s_cbranch_scc1 .LBB441_167
; %bb.165:
	s_cmp_gt_i32 s8, 27
	s_cbranch_scc0 .LBB441_168
; %bb.166:
	global_load_dword v1, v[2:3], off
	s_mov_b64 s[2:3], 0
	s_branch .LBB441_169
.LBB441_167:
	s_mov_b64 s[2:3], -1
                                        ; implicit-def: $vgpr1
	s_branch .LBB441_172
.LBB441_168:
	s_mov_b64 s[2:3], -1
                                        ; implicit-def: $vgpr1
.LBB441_169:
	s_andn2_b64 vcc, exec, s[2:3]
	s_cbranch_vccnz .LBB441_171
; %bb.170:
	global_load_ushort v1, v[2:3], off
.LBB441_171:
	s_mov_b64 s[2:3], 0
.LBB441_172:
	s_andn2_b64 vcc, exec, s[2:3]
	s_cbranch_vccnz .LBB441_178
; %bb.173:
	global_load_ubyte v4, v[2:3], off
	s_movk_i32 s2, 0x7f
	s_mov_b64 s[6:7], 0
	s_waitcnt vmcnt(0)
	v_cmp_lt_i16_e32 vcc, s2, v4
	s_and_saveexec_b64 s[2:3], vcc
	s_xor_b64 s[2:3], exec, s[2:3]
	s_cbranch_execz .LBB441_189
; %bb.174:
	s_movk_i32 s6, 0x80
	v_cmp_ne_u16_e32 vcc, s6, v4
	s_and_b64 s[6:7], vcc, exec
	s_andn2_saveexec_b64 s[2:3], s[2:3]
	s_cbranch_execnz .LBB441_190
.LBB441_175:
	s_or_b64 exec, exec, s[2:3]
	v_mov_b32_e32 v1, 0
	s_and_saveexec_b64 s[2:3], s[6:7]
	s_cbranch_execz .LBB441_177
.LBB441_176:
	v_lshlrev_b32_e32 v1, 24, v4
	v_and_b32_e32 v4, 0xffff, v4
	v_and_b32_e32 v5, 7, v4
	v_ffbh_u32_e32 v7, v5
	v_min_u32_e32 v7, 32, v7
	v_subrev_u32_e32 v9, 28, v7
	v_bfe_u32 v6, v4, 3, 4
	v_lshlrev_b32_e32 v4, v9, v4
	v_sub_u32_e32 v7, 29, v7
	v_and_b32_e32 v4, 7, v4
	v_cmp_eq_u32_e32 vcc, 0, v6
	v_and_b32_e32 v1, 0x80000000, v1
	s_nop 0
	v_cndmask_b32_e32 v6, v6, v7, vcc
	v_cndmask_b32_e32 v4, v5, v4, vcc
	v_mov_b32_e32 v5, 0x3b800000
	v_lshlrev_b32_e32 v4, 20, v4
	v_lshl_add_u32 v5, v6, 23, v5
	v_or3_b32 v1, v1, v5, v4
	v_cvt_i32_f32_e32 v1, v1
.LBB441_177:
	s_or_b64 exec, exec, s[2:3]
.LBB441_178:
	s_mov_b64 s[2:3], -1
.LBB441_179:
	s_branch .LBB441_212
.LBB441_180:
	s_cmp_gt_i32 s8, 22
	s_cbranch_scc0 .LBB441_188
; %bb.181:
	s_cmp_lt_i32 s8, 24
	s_cbranch_scc1 .LBB441_191
; %bb.182:
	s_cmp_gt_i32 s8, 24
	s_cbranch_scc0 .LBB441_192
; %bb.183:
	global_load_ubyte v4, v[2:3], off
	s_movk_i32 s2, 0x7f
	s_mov_b64 s[6:7], 0
	s_waitcnt vmcnt(0)
	v_cmp_lt_i16_e32 vcc, s2, v4
	s_and_saveexec_b64 s[2:3], vcc
	s_xor_b64 s[2:3], exec, s[2:3]
	s_cbranch_execz .LBB441_204
; %bb.184:
	s_movk_i32 s6, 0x80
	v_cmp_ne_u16_e32 vcc, s6, v4
	s_and_b64 s[6:7], vcc, exec
	s_andn2_saveexec_b64 s[2:3], s[2:3]
	s_cbranch_execnz .LBB441_205
.LBB441_185:
	s_or_b64 exec, exec, s[2:3]
	v_mov_b32_e32 v1, 0
	s_and_saveexec_b64 s[2:3], s[6:7]
	s_cbranch_execz .LBB441_187
.LBB441_186:
	v_lshlrev_b32_e32 v1, 24, v4
	v_and_b32_e32 v4, 0xffff, v4
	v_and_b32_e32 v5, 3, v4
	v_ffbh_u32_e32 v7, v5
	v_min_u32_e32 v7, 32, v7
	v_subrev_u32_e32 v9, 29, v7
	v_bfe_u32 v6, v4, 2, 5
	v_lshlrev_b32_e32 v4, v9, v4
	v_sub_u32_e32 v7, 30, v7
	v_and_b32_e32 v4, 3, v4
	v_cmp_eq_u32_e32 vcc, 0, v6
	v_and_b32_e32 v1, 0x80000000, v1
	s_nop 0
	v_cndmask_b32_e32 v6, v6, v7, vcc
	v_cndmask_b32_e32 v4, v5, v4, vcc
	v_mov_b32_e32 v5, 0x37800000
	v_lshlrev_b32_e32 v4, 21, v4
	v_lshl_add_u32 v5, v6, 23, v5
	v_or3_b32 v1, v1, v5, v4
	v_cvt_i32_f32_e32 v1, v1
.LBB441_187:
	s_or_b64 exec, exec, s[2:3]
	s_mov_b64 s[2:3], 0
	s_branch .LBB441_193
.LBB441_188:
	s_mov_b64 s[6:7], -1
                                        ; implicit-def: $vgpr1
	s_branch .LBB441_199
.LBB441_189:
	s_andn2_saveexec_b64 s[2:3], s[2:3]
	s_cbranch_execz .LBB441_175
.LBB441_190:
	v_cmp_ne_u16_e32 vcc, 0, v4
	s_andn2_b64 s[6:7], s[6:7], exec
	s_and_b64 s[10:11], vcc, exec
	s_or_b64 s[6:7], s[6:7], s[10:11]
	s_or_b64 exec, exec, s[2:3]
	v_mov_b32_e32 v1, 0
	s_and_saveexec_b64 s[2:3], s[6:7]
	s_cbranch_execnz .LBB441_176
	s_branch .LBB441_177
.LBB441_191:
	s_mov_b64 s[2:3], -1
                                        ; implicit-def: $vgpr1
	s_branch .LBB441_196
.LBB441_192:
	s_mov_b64 s[2:3], -1
                                        ; implicit-def: $vgpr1
.LBB441_193:
	s_and_b64 vcc, exec, s[2:3]
	s_cbranch_vccz .LBB441_195
; %bb.194:
	global_load_ubyte v1, v[2:3], off
	s_mov_b32 s2, 0x7f800000
	s_waitcnt vmcnt(0)
	v_lshlrev_b32_e32 v1, 24, v1
	v_and_b32_e32 v4, 0x7f000000, v1
	v_ffbh_u32_e32 v5, v4
	v_min_u32_e32 v5, 32, v5
	v_sub_u32_e64 v5, v5, 4 clamp
	v_lshlrev_b32_e32 v7, v5, v4
	v_lshlrev_b32_e32 v5, 23, v5
	v_lshrrev_b32_e32 v7, 4, v7
	v_add_u32_e32 v6, 0x1000000, v4
	v_sub_u32_e32 v5, v7, v5
	v_ashrrev_i32_e32 v6, 8, v6
	v_add_u32_e32 v5, 0x3c000000, v5
	v_and_or_b32 v5, v6, s2, v5
	v_cmp_ne_u32_e32 vcc, 0, v4
	s_brev_b32 s2, 1
	s_nop 0
	v_cndmask_b32_e32 v4, 0, v5, vcc
	v_and_or_b32 v1, v1, s2, v4
	v_cvt_i32_f32_e32 v1, v1
.LBB441_195:
	s_mov_b64 s[2:3], 0
.LBB441_196:
	s_andn2_b64 vcc, exec, s[2:3]
	s_cbranch_vccnz .LBB441_198
; %bb.197:
	global_load_ubyte v1, v[2:3], off
	s_movk_i32 s2, 0x7f00
	s_brev_b32 s3, 16
	s_waitcnt vmcnt(0)
	v_lshlrev_b16_e32 v4, 8, v1
	v_lshlrev_b32_e32 v1, 25, v1
	v_lshrrev_b32_e32 v5, 4, v1
	v_and_or_b32 v6, v4, s2, 0.5
	v_or_b32_e32 v5, 0x70000000, v5
	v_add_f32_e32 v6, -0.5, v6
	v_mul_f32_e32 v5, 0x7800000, v5
	v_cmp_gt_u32_e32 vcc, s3, v1
	v_bfe_i32 v4, v4, 0, 16
	s_brev_b32 s2, 1
	v_cndmask_b32_e32 v1, v5, v6, vcc
	v_and_or_b32 v1, v4, s2, v1
	v_cvt_i32_f32_e32 v1, v1
.LBB441_198:
	s_mov_b64 s[6:7], 0
	s_mov_b64 s[2:3], -1
.LBB441_199:
	s_andn2_b64 vcc, exec, s[6:7]
	s_cbranch_vccnz .LBB441_212
; %bb.200:
	s_cmp_gt_i32 s8, 14
	s_cbranch_scc0 .LBB441_203
; %bb.201:
	s_cmp_eq_u32 s8, 15
	s_cbranch_scc0 .LBB441_206
; %bb.202:
	global_load_ushort v1, v[2:3], off
	s_mov_b64 s[2:3], -1
	s_mov_b64 s[4:5], 0
	s_waitcnt vmcnt(0)
	v_lshlrev_b32_e32 v1, 16, v1
	v_cvt_i32_f32_e32 v1, v1
	s_branch .LBB441_207
.LBB441_203:
	s_mov_b64 s[6:7], -1
                                        ; implicit-def: $vgpr1
	s_branch .LBB441_208
.LBB441_204:
	s_andn2_saveexec_b64 s[2:3], s[2:3]
	s_cbranch_execz .LBB441_185
.LBB441_205:
	v_cmp_ne_u16_e32 vcc, 0, v4
	s_andn2_b64 s[6:7], s[6:7], exec
	s_and_b64 s[10:11], vcc, exec
	s_or_b64 s[6:7], s[6:7], s[10:11]
	s_or_b64 exec, exec, s[2:3]
	v_mov_b32_e32 v1, 0
	s_and_saveexec_b64 s[2:3], s[6:7]
	s_cbranch_execnz .LBB441_186
	s_branch .LBB441_187
.LBB441_206:
	s_mov_b64 s[4:5], -1
                                        ; implicit-def: $vgpr1
.LBB441_207:
	s_mov_b64 s[6:7], 0
.LBB441_208:
	s_and_b64 vcc, exec, s[6:7]
	s_cbranch_vccz .LBB441_212
; %bb.209:
	s_cmp_eq_u32 s8, 11
	s_cbranch_scc0 .LBB441_211
; %bb.210:
	global_load_ubyte v1, v[2:3], off
	s_mov_b64 s[2:3], -1
	s_mov_b64 s[4:5], 0
	s_waitcnt vmcnt(0)
	v_cmp_ne_u16_e32 vcc, 0, v1
	s_nop 1
	v_cndmask_b32_e64 v1, 0, 1, vcc
	s_branch .LBB441_212
.LBB441_211:
	s_mov_b64 s[4:5], -1
                                        ; implicit-def: $vgpr1
.LBB441_212:
	s_branch .LBB441_25
.LBB441_213:
	s_cmp_lt_i32 s8, 5
	s_cbranch_scc1 .LBB441_218
; %bb.214:
	s_cmp_lt_i32 s8, 8
	s_cbranch_scc1 .LBB441_219
; %bb.215:
	;; [unrolled: 3-line block ×3, first 2 shown]
	s_cmp_gt_i32 s8, 9
	s_cbranch_scc0 .LBB441_221
; %bb.217:
	global_load_dwordx2 v[4:5], v[2:3], off
	s_mov_b64 s[2:3], 0
	s_waitcnt vmcnt(0)
	v_cvt_i32_f64_e32 v1, v[4:5]
	s_branch .LBB441_222
.LBB441_218:
                                        ; implicit-def: $vgpr1
	s_branch .LBB441_240
.LBB441_219:
	s_mov_b64 s[2:3], -1
                                        ; implicit-def: $vgpr1
	s_branch .LBB441_228
.LBB441_220:
	s_mov_b64 s[2:3], -1
                                        ; implicit-def: $vgpr1
	s_branch .LBB441_225
.LBB441_221:
	s_mov_b64 s[2:3], -1
                                        ; implicit-def: $vgpr1
.LBB441_222:
	s_andn2_b64 vcc, exec, s[2:3]
	s_cbranch_vccnz .LBB441_224
; %bb.223:
	global_load_dword v1, v[2:3], off
	s_waitcnt vmcnt(0)
	v_cvt_i32_f32_e32 v1, v1
.LBB441_224:
	s_mov_b64 s[2:3], 0
.LBB441_225:
	s_andn2_b64 vcc, exec, s[2:3]
	s_cbranch_vccnz .LBB441_227
; %bb.226:
	global_load_dword v1, v[2:3], off
	s_waitcnt vmcnt(0)
	v_cvt_f32_f16_e32 v1, v1
	v_cvt_i32_f32_e32 v1, v1
.LBB441_227:
	s_mov_b64 s[2:3], 0
.LBB441_228:
	s_andn2_b64 vcc, exec, s[2:3]
	s_cbranch_vccnz .LBB441_239
; %bb.229:
	s_cmp_lt_i32 s8, 6
	s_cbranch_scc1 .LBB441_232
; %bb.230:
	s_cmp_gt_i32 s8, 6
	s_cbranch_scc0 .LBB441_233
; %bb.231:
	global_load_dwordx2 v[4:5], v[2:3], off
	s_mov_b64 s[2:3], 0
	s_waitcnt vmcnt(0)
	v_cvt_i32_f64_e32 v1, v[4:5]
	s_branch .LBB441_234
.LBB441_232:
	s_mov_b64 s[2:3], -1
                                        ; implicit-def: $vgpr1
	s_branch .LBB441_237
.LBB441_233:
	s_mov_b64 s[2:3], -1
                                        ; implicit-def: $vgpr1
.LBB441_234:
	s_andn2_b64 vcc, exec, s[2:3]
	s_cbranch_vccnz .LBB441_236
; %bb.235:
	global_load_dword v1, v[2:3], off
	s_waitcnt vmcnt(0)
	v_cvt_i32_f32_e32 v1, v1
.LBB441_236:
	s_mov_b64 s[2:3], 0
.LBB441_237:
	s_andn2_b64 vcc, exec, s[2:3]
	s_cbranch_vccnz .LBB441_239
; %bb.238:
	global_load_ushort v1, v[2:3], off
	s_waitcnt vmcnt(0)
	v_cvt_f32_f16_e32 v1, v1
	v_cvt_i32_f32_e32 v1, v1
.LBB441_239:
	s_cbranch_execnz .LBB441_259
.LBB441_240:
	s_cmp_lt_i32 s8, 2
	s_cbranch_scc1 .LBB441_244
; %bb.241:
	s_cmp_lt_i32 s8, 3
	s_cbranch_scc1 .LBB441_245
; %bb.242:
	s_cmp_gt_i32 s8, 3
	s_cbranch_scc0 .LBB441_246
; %bb.243:
	global_load_dword v1, v[2:3], off
	s_mov_b64 s[2:3], 0
	s_branch .LBB441_247
.LBB441_244:
	s_mov_b64 s[2:3], -1
                                        ; implicit-def: $vgpr1
	s_branch .LBB441_253
.LBB441_245:
	s_mov_b64 s[2:3], -1
                                        ; implicit-def: $vgpr1
	s_branch .LBB441_250
.LBB441_246:
	s_mov_b64 s[2:3], -1
                                        ; implicit-def: $vgpr1
.LBB441_247:
	s_andn2_b64 vcc, exec, s[2:3]
	s_cbranch_vccnz .LBB441_249
; %bb.248:
	global_load_dword v1, v[2:3], off
.LBB441_249:
	s_mov_b64 s[2:3], 0
.LBB441_250:
	s_andn2_b64 vcc, exec, s[2:3]
	s_cbranch_vccnz .LBB441_252
; %bb.251:
	global_load_sshort v1, v[2:3], off
.LBB441_252:
	s_mov_b64 s[2:3], 0
.LBB441_253:
	s_andn2_b64 vcc, exec, s[2:3]
	s_cbranch_vccnz .LBB441_259
; %bb.254:
	s_cmp_gt_i32 s8, 0
	s_cbranch_scc0 .LBB441_256
; %bb.255:
	global_load_sbyte v1, v[2:3], off
	s_mov_b64 s[2:3], 0
	s_branch .LBB441_257
.LBB441_256:
	s_mov_b64 s[2:3], -1
                                        ; implicit-def: $vgpr1
.LBB441_257:
	s_andn2_b64 vcc, exec, s[2:3]
	s_cbranch_vccnz .LBB441_259
; %bb.258:
	global_load_ubyte v1, v[2:3], off
.LBB441_259:
	s_branch .LBB441_26
.LBB441_260:
	s_mov_b64 s[2:3], 0
.LBB441_261:
	s_mov_b64 s[6:7], 0
                                        ; implicit-def: $vgpr8
.LBB441_262:
	s_and_b64 s[56:57], s[2:3], exec
	s_and_b64 s[58:59], s[4:5], exec
	s_orn2_b64 s[4:5], s[6:7], exec
.LBB441_263:
	s_or_b64 exec, exec, s[60:61]
	s_mov_b64 s[8:9], 0
	s_mov_b64 s[2:3], 0
                                        ; implicit-def: $vgpr2_vgpr3
                                        ; implicit-def: $vgpr0
                                        ; implicit-def: $vgpr1
	s_and_saveexec_b64 s[60:61], s[4:5]
	s_cbranch_execz .LBB441_271
; %bb.264:
	v_cmp_gt_i32_e32 vcc, s72, v8
	s_mov_b64 s[2:3], -1
	s_mov_b64 s[62:63], s[58:59]
	s_mov_b64 s[64:65], s[56:57]
	s_and_saveexec_b64 s[66:67], vcc
	s_cbranch_execz .LBB441_536
; %bb.265:
	s_andn2_b64 vcc, exec, s[42:43]
	s_cbranch_vccnz .LBB441_274
; %bb.266:
	s_andn2_b64 vcc, exec, s[54:55]
	s_cbranch_vccnz .LBB441_275
; %bb.267:
	s_add_i32 s65, s76, 1
	s_cmp_eq_u32 s74, 2
	s_cbranch_scc1 .LBB441_276
; %bb.268:
	s_and_b32 s64, s65, 28
	s_mov_b32 s68, 0
	v_mov_b32_e32 v0, 0
	v_mov_b32_e32 v2, 0
	s_mov_b64 s[2:3], s[34:35]
	s_mov_b64 s[62:63], s[52:53]
	v_mov_b32_e32 v4, v8
.LBB441_269:                            ; =>This Inner Loop Header: Depth=1
	s_load_dwordx8 s[12:19], s[2:3], 0x4
	s_load_dwordx4 s[36:39], s[2:3], 0x24
	s_load_dwordx8 s[4:11], s[62:63], 0x0
	s_add_u32 s2, s2, 48
	s_addc_u32 s3, s3, 0
	s_waitcnt vmcnt(0) lgkmcnt(0)
	v_mul_hi_u32 v1, s13, v4
	v_add_u32_e32 v1, v4, v1
	v_lshrrev_b32_e32 v1, s14, v1
	v_mul_lo_u32 v3, v1, s12
	v_mul_hi_u32 v5, s16, v1
	v_sub_u32_e32 v3, v4, v3
	v_add_u32_e32 v4, v1, v5
	v_lshrrev_b32_e32 v4, s17, v4
	v_mul_lo_u32 v6, v4, s15
	v_mul_hi_u32 v7, s19, v4
	v_sub_u32_e32 v1, v1, v6
	v_add_u32_e32 v6, v4, v7
	v_mul_lo_u32 v5, v3, s5
	v_mul_lo_u32 v3, v3, s4
	;; [unrolled: 1-line block ×4, first 2 shown]
	v_lshrrev_b32_e32 v6, s36, v6
	v_add3_u32 v0, v3, v0, v1
	v_mul_hi_u32 v3, s38, v6
	v_add3_u32 v1, v5, v2, v7
	v_mul_lo_u32 v2, v6, s18
	v_add_u32_e32 v3, v6, v3
	v_sub_u32_e32 v2, v4, v2
	v_lshrrev_b32_e32 v4, s39, v3
	s_add_i32 s68, s68, 4
	v_mul_lo_u32 v3, v4, s37
	s_add_u32 s62, s62, 32
	v_sub_u32_e32 v3, v6, v3
	s_addc_u32 s63, s63, 0
	v_mul_lo_u32 v5, v2, s8
	v_mul_lo_u32 v2, v2, s9
	;; [unrolled: 1-line block ×4, first 2 shown]
	s_cmp_eq_u32 s64, s68
	v_add3_u32 v2, v2, v1, v3
	v_add3_u32 v0, v5, v0, v6
	s_cbranch_scc0 .LBB441_269
; %bb.270:
	v_mov_b32_e32 v1, v2
	s_branch .LBB441_277
.LBB441_271:
	s_or_b64 exec, exec, s[60:61]
	s_mov_b64 s[4:5], 0
	s_and_saveexec_b64 s[6:7], s[58:59]
	s_cbranch_execnz .LBB441_906
.LBB441_272:
	s_or_b64 exec, exec, s[6:7]
	s_and_saveexec_b64 s[6:7], s[64:65]
	s_xor_b64 s[6:7], exec, s[6:7]
	s_cbranch_execz .LBB441_907
.LBB441_273:
	global_load_ubyte v1, v[2:3], off
	s_or_b64 s[2:3], s[2:3], exec
	s_waitcnt vmcnt(0)
	v_cmp_ne_u16_e32 vcc, 0, v1
	s_nop 1
	v_cndmask_b32_e64 v1, 0, 1, vcc
	s_or_b64 exec, exec, s[6:7]
	s_and_saveexec_b64 s[6:7], s[8:9]
	s_cbranch_execz .LBB441_953
	s_branch .LBB441_908
.LBB441_274:
                                        ; implicit-def: $vgpr2
                                        ; implicit-def: $vgpr0
	s_andn2_b64 vcc, exec, s[2:3]
	s_cbranch_vccz .LBB441_281
	s_branch .LBB441_283
.LBB441_275:
	v_mov_b32_e32 v2, 0
	v_mov_b32_e32 v0, 0
	s_branch .LBB441_280
.LBB441_276:
	v_mov_b32_e32 v0, 0
	s_mov_b32 s64, 0
	s_waitcnt vmcnt(0)
	v_mov_b32_e32 v1, v0
                                        ; implicit-def: $vgpr2
	v_mov_b32_e32 v4, v8
.LBB441_277:
	s_and_b32 s6, s65, 3
	s_cmp_eq_u32 s6, 0
	s_cbranch_scc1 .LBB441_280
; %bb.278:
	s_lshl_b32 s2, s64, 3
	s_add_u32 s2, s34, s2
	s_addc_u32 s3, s35, 0
	s_add_u32 s2, s2, 0xc4
	s_addc_u32 s3, s3, 0
	s_mul_i32 s4, s64, 12
	s_add_u32 s4, s34, s4
	s_addc_u32 s5, s35, 0
.LBB441_279:                            ; =>This Inner Loop Header: Depth=1
	s_load_dwordx2 s[8:9], s[4:5], 0x4
	s_load_dword s7, s[4:5], 0xc
	s_load_dwordx2 s[10:11], s[2:3], 0x0
	v_mov_b32_e32 v2, v1
	s_add_u32 s4, s4, 12
	s_waitcnt lgkmcnt(0)
	v_mul_hi_u32 v1, s9, v4
	v_add_u32_e32 v1, v4, v1
	v_lshrrev_b32_e32 v1, s7, v1
	s_addc_u32 s5, s5, 0
	v_mul_lo_u32 v3, v1, s8
	s_add_u32 s2, s2, 8
	v_sub_u32_e32 v5, v4, v3
	s_addc_u32 s3, s3, 0
	s_add_i32 s6, s6, -1
	v_mov_b32_e32 v4, v1
	v_mad_u64_u32 v[2:3], s[8:9], v5, s11, v[2:3]
	v_mad_u64_u32 v[0:1], s[8:9], v5, s10, v[0:1]
	s_cmp_lg_u32 s6, 0
	v_mov_b32_e32 v1, v2
	s_cbranch_scc1 .LBB441_279
.LBB441_280:
	s_cbranch_execnz .LBB441_283
.LBB441_281:
	v_mul_hi_u32 v0, s25, v8
	v_add_u32_e32 v0, v8, v0
	s_waitcnt vmcnt(0)
	v_lshrrev_b32_e32 v1, s26, v0
	v_mul_lo_u32 v0, v1, s24
	v_sub_u32_e32 v0, v8, v0
	v_mul_lo_u32 v2, v0, s29
	s_andn2_b64 vcc, exec, s[50:51]
	v_mul_lo_u32 v0, v0, s28
	s_cbranch_vccnz .LBB441_283
; %bb.282:
	v_mul_hi_u32 v3, s48, v1
	v_add_u32_e32 v3, v1, v3
	v_lshrrev_b32_e32 v3, s49, v3
	v_mul_lo_u32 v3, v3, s27
	v_sub_u32_e32 v3, v1, v3
	v_mad_u64_u32 v[0:1], s[2:3], v3, s30, v[0:1]
	v_mad_u64_u32 v[2:3], s[2:3], v3, s31, v[2:3]
.LBB441_283:
	v_mov_b32_e32 v3, 0
	s_and_b32 s8, 0xffff, s75
	s_cmp_lt_i32 s8, 11
	v_lshl_add_u64 v[2:3], s[22:23], 0, v[2:3]
	s_cbranch_scc1 .LBB441_290
; %bb.284:
	s_cmp_gt_i32 s8, 25
	s_cbranch_scc0 .LBB441_299
; %bb.285:
	s_cmp_gt_i32 s8, 28
	s_cbranch_scc0 .LBB441_301
	;; [unrolled: 3-line block ×4, first 2 shown]
; %bb.288:
	s_cmp_eq_u32 s8, 46
	s_mov_b64 s[6:7], 0
	s_cbranch_scc0 .LBB441_311
; %bb.289:
	global_load_dword v1, v[2:3], off
	s_mov_b64 s[2:3], -1
	s_mov_b64 s[4:5], 0
	s_waitcnt vmcnt(0)
	v_lshlrev_b32_e32 v1, 16, v1
	v_cvt_i32_f32_e32 v1, v1
	s_branch .LBB441_312
.LBB441_290:
	s_mov_b64 s[2:3], 0
                                        ; implicit-def: $vgpr1
	s_mov_b64 s[4:5], s[58:59]
	s_cbranch_execnz .LBB441_485
.LBB441_291:
	s_andn2_b64 vcc, exec, s[2:3]
	s_cbranch_vccnz .LBB441_533
.LBB441_292:
	s_waitcnt vmcnt(0)
	v_min_i32_e32 v2, s46, v1
	v_mov_b32_e32 v1, 0
	s_and_b32 s12, s47, 0xff
	s_cmp_lt_i32 s12, 11
	v_lshl_add_u64 v[0:1], s[20:21], 0, v[0:1]
	s_cbranch_scc1 .LBB441_300
; %bb.293:
	s_and_b32 s13, 0xffff, s12
	s_cmp_gt_i32 s13, 25
	s_cbranch_scc0 .LBB441_302
; %bb.294:
	s_cmp_gt_i32 s13, 28
	s_cbranch_scc0 .LBB441_304
; %bb.295:
	;; [unrolled: 3-line block ×4, first 2 shown]
	s_mov_b64 s[8:9], 0
	s_mov_b64 s[2:3], -1
	s_cmp_eq_u32 s13, 46
	s_mov_b64 s[6:7], 0
	s_cbranch_scc0 .LBB441_316
; %bb.298:
	v_cvt_f32_i32_e32 v3, v2
	s_movk_i32 s2, 0x7fff
	s_mov_b64 s[6:7], -1
	v_bfe_u32 v4, v3, 16, 1
	v_add3_u32 v3, v3, v4, s2
	v_lshrrev_b32_e32 v3, 16, v3
	global_store_dword v[0:1], v3, off
	s_mov_b64 s[2:3], 0
	s_branch .LBB441_316
.LBB441_299:
	s_mov_b64 s[6:7], -1
	s_mov_b64 s[2:3], 0
	s_mov_b64 s[4:5], s[58:59]
                                        ; implicit-def: $vgpr1
	s_branch .LBB441_451
.LBB441_300:
	s_mov_b64 s[8:9], -1
	s_mov_b64 s[6:7], 0
	s_mov_b64 s[2:3], s[56:57]
	s_branch .LBB441_385
.LBB441_301:
	s_mov_b64 s[6:7], -1
	s_mov_b64 s[2:3], 0
	s_mov_b64 s[4:5], s[58:59]
                                        ; implicit-def: $vgpr1
	s_branch .LBB441_434
.LBB441_302:
	s_mov_b64 s[8:9], -1
	s_mov_b64 s[6:7], 0
	s_mov_b64 s[2:3], s[56:57]
	s_branch .LBB441_343
.LBB441_303:
	s_mov_b64 s[6:7], -1
	s_mov_b64 s[2:3], 0
	s_mov_b64 s[4:5], s[58:59]
                                        ; implicit-def: $vgpr1
	s_branch .LBB441_429
.LBB441_304:
	s_mov_b64 s[8:9], -1
	s_mov_b64 s[6:7], 0
	s_mov_b64 s[2:3], s[56:57]
	s_branch .LBB441_326
.LBB441_305:
	s_andn2_saveexec_b64 s[10:11], s[10:11]
	s_cbranch_execz .LBB441_69
.LBB441_306:
	s_mov_b32 s14, 0x46000000
	v_add_f32_e64 v4, |v3|, s14
	v_and_b32_e32 v4, 0xff, v4
	v_cmp_ne_u32_e32 vcc, 0, v4
	s_andn2_b64 s[8:9], s[8:9], exec
	s_and_b64 s[14:15], vcc, exec
	s_or_b64 s[8:9], s[8:9], s[14:15]
	s_or_b64 exec, exec, s[10:11]
	v_mov_b32_e32 v5, 0
	s_and_saveexec_b64 s[10:11], s[8:9]
	s_cbranch_execnz .LBB441_70
	s_branch .LBB441_71
.LBB441_307:
	s_mov_b64 s[6:7], -1
	s_mov_b64 s[2:3], 0
	s_mov_b64 s[4:5], s[58:59]
                                        ; implicit-def: $vgpr1
	s_branch .LBB441_312
.LBB441_308:
	s_mov_b64 s[8:9], -1
	s_mov_b64 s[6:7], 0
	s_mov_b64 s[2:3], s[56:57]
	s_branch .LBB441_322
.LBB441_309:
	s_andn2_saveexec_b64 s[10:11], s[10:11]
	s_cbranch_execz .LBB441_82
.LBB441_310:
	s_mov_b32 s14, 0x42800000
	v_add_f32_e64 v4, |v3|, s14
	v_and_b32_e32 v4, 0xff, v4
	v_cmp_ne_u32_e32 vcc, 0, v4
	s_andn2_b64 s[8:9], s[8:9], exec
	s_and_b64 s[14:15], vcc, exec
	s_or_b64 s[8:9], s[8:9], s[14:15]
	s_or_b64 exec, exec, s[10:11]
	v_mov_b32_e32 v5, 0
	s_and_saveexec_b64 s[10:11], s[8:9]
	s_cbranch_execnz .LBB441_83
	s_branch .LBB441_84
.LBB441_311:
	s_mov_b64 s[4:5], -1
                                        ; implicit-def: $vgpr1
	s_mov_b64 s[2:3], 0
.LBB441_312:
	s_and_b64 vcc, exec, s[6:7]
	s_cbranch_vccz .LBB441_428
; %bb.313:
	s_cmp_eq_u32 s8, 44
	s_cbranch_scc0 .LBB441_427
; %bb.314:
	global_load_ubyte v1, v[2:3], off
	s_mov_b64 s[2:3], -1
	s_mov_b64 s[4:5], 0
	s_waitcnt vmcnt(0)
	v_lshlrev_b32_e32 v4, 23, v1
	v_cvt_i32_f32_e32 v4, v4
	v_cmp_ne_u32_e32 vcc, 0, v1
	s_nop 1
	v_cndmask_b32_e32 v1, 0, v4, vcc
	s_branch .LBB441_428
.LBB441_315:
	s_mov_b64 s[8:9], -1
	s_mov_b64 s[6:7], 0
	s_mov_b64 s[2:3], s[56:57]
.LBB441_316:
	s_and_b64 vcc, exec, s[8:9]
	s_cbranch_vccz .LBB441_321
; %bb.317:
	s_cmp_eq_u32 s13, 44
	s_mov_b64 s[2:3], -1
	s_cbranch_scc0 .LBB441_321
; %bb.318:
	v_cvt_f32_i32_e32 v3, v2
	s_movk_i32 s2, 0xff
	v_mov_b32_e32 v5, 0xff
	v_bfe_u32 v4, v3, 23, 8
	v_cmp_ne_u32_e32 vcc, s2, v4
	s_and_saveexec_b64 s[6:7], vcc
; %bb.319:
	s_mov_b32 s2, 0x3fffff
	v_lshrrev_b32_e32 v5, 23, v3
	v_and_b32_e32 v6, 0x400000, v3
	v_and_or_b32 v3, v3, s2, v4
	v_cmp_ne_u32_e32 vcc, 0, v6
	v_cmp_ne_u32_e64 s[2:3], 0, v3
	s_and_b64 s[2:3], vcc, s[2:3]
	s_nop 0
	v_cndmask_b32_e64 v3, 0, 1, s[2:3]
	v_add_u32_e32 v5, v5, v3
; %bb.320:
	s_or_b64 exec, exec, s[6:7]
	s_mov_b64 s[6:7], -1
	s_mov_b64 s[2:3], 0
	global_store_byte v[0:1], v5, off
.LBB441_321:
	s_mov_b64 s[8:9], 0
.LBB441_322:
	s_and_b64 vcc, exec, s[8:9]
	s_cbranch_vccz .LBB441_325
; %bb.323:
	s_cmp_eq_u32 s13, 29
	s_mov_b64 s[2:3], -1
	s_cbranch_scc0 .LBB441_325
; %bb.324:
	v_ashrrev_i32_e32 v3, 31, v2
	global_store_dwordx2 v[0:1], v[2:3], off
	s_mov_b64 s[6:7], -1
	s_mov_b64 s[2:3], 0
.LBB441_325:
	s_mov_b64 s[8:9], 0
.LBB441_326:
	s_and_b64 vcc, exec, s[8:9]
	s_cbranch_vccz .LBB441_342
; %bb.327:
	s_cmp_lt_i32 s13, 27
	s_mov_b64 s[6:7], -1
	s_cbranch_scc1 .LBB441_333
; %bb.328:
	s_cmp_gt_i32 s13, 27
	s_cbranch_scc0 .LBB441_330
; %bb.329:
	s_mov_b64 s[6:7], 0
	global_store_dword v[0:1], v2, off
.LBB441_330:
	s_andn2_b64 vcc, exec, s[6:7]
	s_cbranch_vccnz .LBB441_332
; %bb.331:
	global_store_short v[0:1], v2, off
.LBB441_332:
	s_mov_b64 s[6:7], 0
.LBB441_333:
	s_andn2_b64 vcc, exec, s[6:7]
	s_cbranch_vccnz .LBB441_341
; %bb.334:
	v_cvt_f32_i32_e32 v3, v2
	s_mov_b32 s6, 0x43800000
	v_mov_b32_e32 v5, 0x80
	v_and_b32_e32 v4, 0x7fffffff, v3
	v_cmp_gt_u32_e32 vcc, s6, v4
	s_and_saveexec_b64 s[6:7], vcc
	s_cbranch_execz .LBB441_340
; %bb.335:
	s_mov_b32 s8, 0x3bffffff
	v_cmp_lt_u32_e32 vcc, s8, v4
	s_mov_b64 s[8:9], 0
                                        ; implicit-def: $vgpr4
	s_and_saveexec_b64 s[10:11], vcc
	s_xor_b64 s[10:11], exec, s[10:11]
	s_cbranch_execz .LBB441_565
; %bb.336:
	v_bfe_u32 v4, v3, 20, 1
	s_mov_b32 s14, 0x487ffff
	v_add3_u32 v4, v3, v4, s14
	s_mov_b64 s[8:9], exec
	v_lshrrev_b32_e32 v4, 20, v4
	s_andn2_saveexec_b64 s[10:11], s[10:11]
	s_cbranch_execnz .LBB441_566
.LBB441_337:
	s_or_b64 exec, exec, s[10:11]
	v_mov_b32_e32 v5, 0
	s_and_saveexec_b64 s[10:11], s[8:9]
.LBB441_338:
	v_lshrrev_b32_e32 v3, 24, v3
	s_movk_i32 s8, 0x80
	v_and_or_b32 v5, v3, s8, v4
.LBB441_339:
	s_or_b64 exec, exec, s[10:11]
.LBB441_340:
	s_or_b64 exec, exec, s[6:7]
	global_store_byte v[0:1], v5, off
.LBB441_341:
	s_mov_b64 s[6:7], -1
.LBB441_342:
	s_mov_b64 s[8:9], 0
.LBB441_343:
	s_and_b64 vcc, exec, s[8:9]
	s_cbranch_vccz .LBB441_384
; %bb.344:
	s_cmp_gt_i32 s13, 22
	s_mov_b64 s[8:9], -1
	s_cbranch_scc0 .LBB441_376
; %bb.345:
	s_cmp_lt_i32 s13, 24
	s_mov_b64 s[6:7], -1
	s_cbranch_scc1 .LBB441_365
; %bb.346:
	s_cmp_gt_i32 s13, 24
	s_cbranch_scc0 .LBB441_354
; %bb.347:
	v_cvt_f32_i32_e32 v3, v2
	s_mov_b32 s6, 0x47800000
	v_mov_b32_e32 v5, 0x80
	v_and_b32_e32 v4, 0x7fffffff, v3
	v_cmp_gt_u32_e32 vcc, s6, v4
	s_and_saveexec_b64 s[6:7], vcc
	s_cbranch_execz .LBB441_353
; %bb.348:
	s_mov_b32 s8, 0x37ffffff
	v_cmp_lt_u32_e32 vcc, s8, v4
	s_mov_b64 s[8:9], 0
                                        ; implicit-def: $vgpr4
	s_and_saveexec_b64 s[10:11], vcc
	s_xor_b64 s[10:11], exec, s[10:11]
	s_cbranch_execz .LBB441_568
; %bb.349:
	v_bfe_u32 v4, v3, 21, 1
	s_mov_b32 s14, 0x88fffff
	v_add3_u32 v4, v3, v4, s14
	s_mov_b64 s[8:9], exec
	v_lshrrev_b32_e32 v4, 21, v4
	s_andn2_saveexec_b64 s[10:11], s[10:11]
	s_cbranch_execnz .LBB441_569
.LBB441_350:
	s_or_b64 exec, exec, s[10:11]
	v_mov_b32_e32 v5, 0
	s_and_saveexec_b64 s[10:11], s[8:9]
.LBB441_351:
	v_lshrrev_b32_e32 v3, 24, v3
	s_movk_i32 s8, 0x80
	v_and_or_b32 v5, v3, s8, v4
.LBB441_352:
	s_or_b64 exec, exec, s[10:11]
.LBB441_353:
	s_or_b64 exec, exec, s[6:7]
	s_mov_b64 s[6:7], 0
	global_store_byte v[0:1], v5, off
.LBB441_354:
	s_and_b64 vcc, exec, s[6:7]
	s_cbranch_vccz .LBB441_364
; %bb.355:
	v_cvt_f32_i32_e32 v3, v2
	s_mov_b32 s6, 0x43f00000
                                        ; implicit-def: $vgpr4
	v_and_b32_e32 v5, 0x7fffffff, v3
	v_cmp_gt_u32_e32 vcc, s6, v5
	s_and_saveexec_b64 s[6:7], vcc
	s_xor_b64 s[6:7], exec, s[6:7]
	s_cbranch_execz .LBB441_361
; %bb.356:
	s_mov_b32 s8, 0x3c7fffff
	v_cmp_lt_u32_e32 vcc, s8, v5
                                        ; implicit-def: $vgpr4
	s_and_saveexec_b64 s[8:9], vcc
	s_xor_b64 s[8:9], exec, s[8:9]
; %bb.357:
	v_bfe_u32 v4, v3, 20, 1
	s_mov_b32 s10, 0x407ffff
	v_add3_u32 v4, v3, v4, s10
	v_lshrrev_b32_e32 v5, 20, v4
	v_and_b32_e32 v4, 0xff00000, v4
	s_mov_b32 s10, 0x7f00000
	v_mov_b32_e32 v6, 0x7e
	v_cmp_ne_u32_e32 vcc, s10, v4
	s_nop 1
	v_cndmask_b32_e32 v4, v6, v5, vcc
; %bb.358:
	s_andn2_saveexec_b64 s[8:9], s[8:9]
; %bb.359:
	s_mov_b32 s10, 0x46800000
	v_add_f32_e64 v4, |v3|, s10
; %bb.360:
	s_or_b64 exec, exec, s[8:9]
                                        ; implicit-def: $vgpr5
.LBB441_361:
	s_andn2_saveexec_b64 s[6:7], s[6:7]
; %bb.362:
	s_mov_b32 s8, 0x7f800000
	v_mov_b32_e32 v4, 0x7e
	v_mov_b32_e32 v6, 0x7f
	v_cmp_lt_u32_e32 vcc, s8, v5
	s_nop 1
	v_cndmask_b32_e32 v4, v4, v6, vcc
; %bb.363:
	s_or_b64 exec, exec, s[6:7]
	v_lshrrev_b32_e32 v3, 24, v3
	s_movk_i32 s6, 0x80
	v_and_or_b32 v3, v3, s6, v4
	global_store_byte v[0:1], v3, off
.LBB441_364:
	s_mov_b64 s[6:7], 0
.LBB441_365:
	s_andn2_b64 vcc, exec, s[6:7]
	s_cbranch_vccnz .LBB441_375
; %bb.366:
	v_cvt_f32_i32_e32 v3, v2
	s_mov_b32 s6, 0x47800000
                                        ; implicit-def: $vgpr4
	v_and_b32_e32 v5, 0x7fffffff, v3
	v_cmp_gt_u32_e32 vcc, s6, v5
	s_and_saveexec_b64 s[6:7], vcc
	s_xor_b64 s[6:7], exec, s[6:7]
	s_cbranch_execz .LBB441_372
; %bb.367:
	s_mov_b32 s8, 0x387fffff
	v_cmp_lt_u32_e32 vcc, s8, v5
                                        ; implicit-def: $vgpr4
	s_and_saveexec_b64 s[8:9], vcc
	s_xor_b64 s[8:9], exec, s[8:9]
; %bb.368:
	v_bfe_u32 v4, v3, 21, 1
	s_mov_b32 s10, 0x80fffff
	v_add3_u32 v4, v3, v4, s10
	v_lshrrev_b32_e32 v4, 21, v4
; %bb.369:
	s_andn2_saveexec_b64 s[8:9], s[8:9]
; %bb.370:
	s_mov_b32 s10, 0x43000000
	v_add_f32_e64 v4, |v3|, s10
; %bb.371:
	s_or_b64 exec, exec, s[8:9]
                                        ; implicit-def: $vgpr5
.LBB441_372:
	s_andn2_saveexec_b64 s[6:7], s[6:7]
; %bb.373:
	s_mov_b32 s8, 0x7f800000
	v_mov_b32_e32 v4, 0x7c
	v_mov_b32_e32 v6, 0x7f
	v_cmp_lt_u32_e32 vcc, s8, v5
	s_nop 1
	v_cndmask_b32_e32 v4, v4, v6, vcc
; %bb.374:
	s_or_b64 exec, exec, s[6:7]
	v_lshrrev_b32_e32 v3, 24, v3
	s_movk_i32 s6, 0x80
	v_and_or_b32 v3, v3, s6, v4
	global_store_byte v[0:1], v3, off
.LBB441_375:
	s_mov_b64 s[8:9], 0
	s_mov_b64 s[6:7], -1
.LBB441_376:
	s_andn2_b64 vcc, exec, s[8:9]
	s_cbranch_vccnz .LBB441_384
; %bb.377:
	s_cmp_gt_i32 s13, 14
	s_mov_b64 s[8:9], -1
	s_cbranch_scc0 .LBB441_381
; %bb.378:
	s_cmp_eq_u32 s13, 15
	s_mov_b64 s[2:3], -1
	s_cbranch_scc0 .LBB441_380
; %bb.379:
	v_cvt_f32_i32_e32 v3, v2
	s_movk_i32 s2, 0x7fff
	s_mov_b64 s[6:7], -1
	v_bfe_u32 v4, v3, 16, 1
	v_add3_u32 v3, v3, v4, s2
	global_store_short_d16_hi v[0:1], v3, off
	s_mov_b64 s[2:3], 0
.LBB441_380:
	s_mov_b64 s[8:9], 0
.LBB441_381:
	s_and_b64 vcc, exec, s[8:9]
	s_cbranch_vccz .LBB441_384
; %bb.382:
	s_cmp_eq_u32 s13, 11
	s_mov_b64 s[2:3], -1
	s_cbranch_scc0 .LBB441_384
; %bb.383:
	v_cmp_ne_u32_e32 vcc, 0, v2
	s_mov_b64 s[6:7], -1
	s_mov_b64 s[2:3], 0
	v_cndmask_b32_e64 v3, 0, 1, vcc
	global_store_byte v[0:1], v3, off
.LBB441_384:
	s_mov_b64 s[8:9], 0
.LBB441_385:
	s_and_b64 vcc, exec, s[8:9]
	s_cbranch_vccz .LBB441_424
; %bb.386:
	s_and_b32 s8, 0xffff, s12
	s_cmp_lt_i32 s8, 5
	s_mov_b64 s[6:7], -1
	s_cbranch_scc1 .LBB441_407
; %bb.387:
	s_cmp_lt_i32 s8, 8
	s_cbranch_scc1 .LBB441_397
; %bb.388:
	s_cmp_lt_i32 s8, 9
	s_cbranch_scc1 .LBB441_394
; %bb.389:
	s_cmp_gt_i32 s8, 9
	s_cbranch_scc0 .LBB441_391
; %bb.390:
	v_mov_b32_e32 v6, 0
	v_cvt_f64_i32_e32 v[4:5], v2
	v_mov_b32_e32 v7, v6
	s_mov_b64 s[6:7], 0
	global_store_dwordx4 v[0:1], v[4:7], off
.LBB441_391:
	s_andn2_b64 vcc, exec, s[6:7]
	s_cbranch_vccnz .LBB441_393
; %bb.392:
	v_cvt_f32_i32_e32 v4, v2
	v_mov_b32_e32 v5, 0
	global_store_dwordx2 v[0:1], v[4:5], off
.LBB441_393:
	s_mov_b64 s[6:7], 0
.LBB441_394:
	s_andn2_b64 vcc, exec, s[6:7]
	s_cbranch_vccnz .LBB441_396
; %bb.395:
	v_cvt_f32_i32_e32 v3, v2
	v_cvt_f16_f32_e32 v3, v3
	global_store_dword v[0:1], v3, off
.LBB441_396:
	s_mov_b64 s[6:7], 0
.LBB441_397:
	s_andn2_b64 vcc, exec, s[6:7]
	s_cbranch_vccnz .LBB441_406
; %bb.398:
	s_cmp_lt_i32 s8, 6
	s_mov_b64 s[6:7], -1
	s_cbranch_scc1 .LBB441_404
; %bb.399:
	s_cmp_gt_i32 s8, 6
	s_cbranch_scc0 .LBB441_401
; %bb.400:
	v_cvt_f64_i32_e32 v[4:5], v2
	s_mov_b64 s[6:7], 0
	global_store_dwordx2 v[0:1], v[4:5], off
.LBB441_401:
	s_andn2_b64 vcc, exec, s[6:7]
	s_cbranch_vccnz .LBB441_403
; %bb.402:
	v_cvt_f32_i32_e32 v3, v2
	global_store_dword v[0:1], v3, off
.LBB441_403:
	s_mov_b64 s[6:7], 0
.LBB441_404:
	s_andn2_b64 vcc, exec, s[6:7]
	s_cbranch_vccnz .LBB441_406
; %bb.405:
	v_cvt_f32_i32_e32 v3, v2
	v_cvt_f16_f32_e32 v3, v3
	global_store_short v[0:1], v3, off
.LBB441_406:
	s_mov_b64 s[6:7], 0
.LBB441_407:
	s_andn2_b64 vcc, exec, s[6:7]
	s_cbranch_vccnz .LBB441_423
; %bb.408:
	s_cmp_lt_i32 s8, 2
	s_mov_b64 s[6:7], -1
	s_cbranch_scc1 .LBB441_418
; %bb.409:
	s_cmp_lt_i32 s8, 3
	s_cbranch_scc1 .LBB441_415
; %bb.410:
	s_cmp_gt_i32 s8, 3
	s_cbranch_scc0 .LBB441_412
; %bb.411:
	v_ashrrev_i32_e32 v3, 31, v2
	s_mov_b64 s[6:7], 0
	global_store_dwordx2 v[0:1], v[2:3], off
.LBB441_412:
	s_andn2_b64 vcc, exec, s[6:7]
	s_cbranch_vccnz .LBB441_414
; %bb.413:
	global_store_dword v[0:1], v2, off
.LBB441_414:
	s_mov_b64 s[6:7], 0
.LBB441_415:
	s_andn2_b64 vcc, exec, s[6:7]
	s_cbranch_vccnz .LBB441_417
; %bb.416:
	global_store_short v[0:1], v2, off
.LBB441_417:
	s_mov_b64 s[6:7], 0
.LBB441_418:
	s_andn2_b64 vcc, exec, s[6:7]
	s_cbranch_vccnz .LBB441_423
; %bb.419:
	s_cmp_gt_i32 s8, 0
	s_mov_b64 s[6:7], -1
	s_cbranch_scc0 .LBB441_421
; %bb.420:
	s_mov_b64 s[6:7], 0
	global_store_byte v[0:1], v2, off
.LBB441_421:
	s_andn2_b64 vcc, exec, s[6:7]
	s_cbranch_vccnz .LBB441_423
; %bb.422:
	global_store_byte v[0:1], v2, off
.LBB441_423:
	s_mov_b64 s[6:7], -1
.LBB441_424:
	s_andn2_b64 vcc, exec, s[6:7]
	s_cbranch_vccnz .LBB441_426
; %bb.425:
	v_add_u32_e32 v8, 0x80, v8
	s_mov_b64 s[6:7], -1
	s_branch .LBB441_535
.LBB441_426:
	s_mov_b64 s[6:7], 0
	s_branch .LBB441_534
.LBB441_427:
	s_mov_b64 s[4:5], -1
                                        ; implicit-def: $vgpr1
.LBB441_428:
	s_mov_b64 s[6:7], 0
.LBB441_429:
	s_and_b64 vcc, exec, s[6:7]
	s_cbranch_vccz .LBB441_433
; %bb.430:
	s_cmp_eq_u32 s8, 29
	s_cbranch_scc0 .LBB441_432
; %bb.431:
	global_load_dword v1, v[2:3], off
	s_mov_b64 s[2:3], -1
	s_mov_b64 s[4:5], 0
	s_branch .LBB441_433
.LBB441_432:
	s_mov_b64 s[4:5], -1
                                        ; implicit-def: $vgpr1
.LBB441_433:
	s_mov_b64 s[6:7], 0
.LBB441_434:
	s_and_b64 vcc, exec, s[6:7]
	s_cbranch_vccz .LBB441_450
; %bb.435:
	s_cmp_lt_i32 s8, 27
	s_cbranch_scc1 .LBB441_438
; %bb.436:
	s_cmp_gt_i32 s8, 27
	s_cbranch_scc0 .LBB441_439
; %bb.437:
	global_load_dword v1, v[2:3], off
	s_mov_b64 s[2:3], 0
	s_branch .LBB441_440
.LBB441_438:
	s_mov_b64 s[2:3], -1
                                        ; implicit-def: $vgpr1
	s_branch .LBB441_443
.LBB441_439:
	s_mov_b64 s[2:3], -1
                                        ; implicit-def: $vgpr1
.LBB441_440:
	s_andn2_b64 vcc, exec, s[2:3]
	s_cbranch_vccnz .LBB441_442
; %bb.441:
	global_load_ushort v1, v[2:3], off
.LBB441_442:
	s_mov_b64 s[2:3], 0
.LBB441_443:
	s_andn2_b64 vcc, exec, s[2:3]
	s_cbranch_vccnz .LBB441_449
; %bb.444:
	global_load_ubyte v4, v[2:3], off
	s_movk_i32 s2, 0x7f
	s_mov_b64 s[6:7], 0
	s_waitcnt vmcnt(0)
	v_cmp_lt_i16_e32 vcc, s2, v4
	s_and_saveexec_b64 s[2:3], vcc
	s_xor_b64 s[2:3], exec, s[2:3]
	s_cbranch_execz .LBB441_461
; %bb.445:
	s_movk_i32 s6, 0x80
	v_cmp_ne_u16_e32 vcc, s6, v4
	s_and_b64 s[6:7], vcc, exec
	s_andn2_saveexec_b64 s[2:3], s[2:3]
	s_cbranch_execnz .LBB441_462
.LBB441_446:
	s_or_b64 exec, exec, s[2:3]
	v_mov_b32_e32 v1, 0
	s_and_saveexec_b64 s[2:3], s[6:7]
	s_cbranch_execz .LBB441_448
.LBB441_447:
	v_lshlrev_b32_e32 v1, 24, v4
	v_and_b32_e32 v4, 0xffff, v4
	v_and_b32_e32 v5, 7, v4
	v_ffbh_u32_e32 v7, v5
	v_min_u32_e32 v7, 32, v7
	v_subrev_u32_e32 v9, 28, v7
	v_bfe_u32 v6, v4, 3, 4
	v_lshlrev_b32_e32 v4, v9, v4
	v_sub_u32_e32 v7, 29, v7
	v_and_b32_e32 v4, 7, v4
	v_cmp_eq_u32_e32 vcc, 0, v6
	v_and_b32_e32 v1, 0x80000000, v1
	s_nop 0
	v_cndmask_b32_e32 v6, v6, v7, vcc
	v_cndmask_b32_e32 v4, v5, v4, vcc
	v_mov_b32_e32 v5, 0x3b800000
	v_lshlrev_b32_e32 v4, 20, v4
	v_lshl_add_u32 v5, v6, 23, v5
	v_or3_b32 v1, v1, v5, v4
	v_cvt_i32_f32_e32 v1, v1
.LBB441_448:
	s_or_b64 exec, exec, s[2:3]
.LBB441_449:
	s_mov_b64 s[2:3], -1
.LBB441_450:
	s_mov_b64 s[6:7], 0
.LBB441_451:
	s_and_b64 vcc, exec, s[6:7]
	s_cbranch_vccz .LBB441_484
; %bb.452:
	s_cmp_gt_i32 s8, 22
	s_cbranch_scc0 .LBB441_460
; %bb.453:
	s_cmp_lt_i32 s8, 24
	s_cbranch_scc1 .LBB441_463
; %bb.454:
	s_cmp_gt_i32 s8, 24
	s_cbranch_scc0 .LBB441_464
; %bb.455:
	global_load_ubyte v4, v[2:3], off
	s_movk_i32 s2, 0x7f
	s_mov_b64 s[6:7], 0
	s_waitcnt vmcnt(0)
	v_cmp_lt_i16_e32 vcc, s2, v4
	s_and_saveexec_b64 s[2:3], vcc
	s_xor_b64 s[2:3], exec, s[2:3]
	s_cbranch_execz .LBB441_476
; %bb.456:
	s_movk_i32 s6, 0x80
	v_cmp_ne_u16_e32 vcc, s6, v4
	s_and_b64 s[6:7], vcc, exec
	s_andn2_saveexec_b64 s[2:3], s[2:3]
	s_cbranch_execnz .LBB441_477
.LBB441_457:
	s_or_b64 exec, exec, s[2:3]
	v_mov_b32_e32 v1, 0
	s_and_saveexec_b64 s[2:3], s[6:7]
	s_cbranch_execz .LBB441_459
.LBB441_458:
	v_lshlrev_b32_e32 v1, 24, v4
	v_and_b32_e32 v4, 0xffff, v4
	v_and_b32_e32 v5, 3, v4
	v_ffbh_u32_e32 v7, v5
	v_min_u32_e32 v7, 32, v7
	v_subrev_u32_e32 v9, 29, v7
	v_bfe_u32 v6, v4, 2, 5
	v_lshlrev_b32_e32 v4, v9, v4
	v_sub_u32_e32 v7, 30, v7
	v_and_b32_e32 v4, 3, v4
	v_cmp_eq_u32_e32 vcc, 0, v6
	v_and_b32_e32 v1, 0x80000000, v1
	s_nop 0
	v_cndmask_b32_e32 v6, v6, v7, vcc
	v_cndmask_b32_e32 v4, v5, v4, vcc
	v_mov_b32_e32 v5, 0x37800000
	v_lshlrev_b32_e32 v4, 21, v4
	v_lshl_add_u32 v5, v6, 23, v5
	v_or3_b32 v1, v1, v5, v4
	v_cvt_i32_f32_e32 v1, v1
.LBB441_459:
	s_or_b64 exec, exec, s[2:3]
	s_mov_b64 s[2:3], 0
	s_branch .LBB441_465
.LBB441_460:
	s_mov_b64 s[6:7], -1
                                        ; implicit-def: $vgpr1
	s_branch .LBB441_471
.LBB441_461:
	s_andn2_saveexec_b64 s[2:3], s[2:3]
	s_cbranch_execz .LBB441_446
.LBB441_462:
	v_cmp_ne_u16_e32 vcc, 0, v4
	s_andn2_b64 s[6:7], s[6:7], exec
	s_and_b64 s[10:11], vcc, exec
	s_or_b64 s[6:7], s[6:7], s[10:11]
	s_or_b64 exec, exec, s[2:3]
	v_mov_b32_e32 v1, 0
	s_and_saveexec_b64 s[2:3], s[6:7]
	s_cbranch_execnz .LBB441_447
	s_branch .LBB441_448
.LBB441_463:
	s_mov_b64 s[2:3], -1
                                        ; implicit-def: $vgpr1
	s_branch .LBB441_468
.LBB441_464:
	s_mov_b64 s[2:3], -1
                                        ; implicit-def: $vgpr1
.LBB441_465:
	s_and_b64 vcc, exec, s[2:3]
	s_cbranch_vccz .LBB441_467
; %bb.466:
	global_load_ubyte v1, v[2:3], off
	s_mov_b32 s2, 0x7f800000
	s_waitcnt vmcnt(0)
	v_lshlrev_b32_e32 v1, 24, v1
	v_and_b32_e32 v4, 0x7f000000, v1
	v_ffbh_u32_e32 v5, v4
	v_min_u32_e32 v5, 32, v5
	v_sub_u32_e64 v5, v5, 4 clamp
	v_lshlrev_b32_e32 v7, v5, v4
	v_lshlrev_b32_e32 v5, 23, v5
	v_lshrrev_b32_e32 v7, 4, v7
	v_add_u32_e32 v6, 0x1000000, v4
	v_sub_u32_e32 v5, v7, v5
	v_ashrrev_i32_e32 v6, 8, v6
	v_add_u32_e32 v5, 0x3c000000, v5
	v_and_or_b32 v5, v6, s2, v5
	v_cmp_ne_u32_e32 vcc, 0, v4
	s_brev_b32 s2, 1
	s_nop 0
	v_cndmask_b32_e32 v4, 0, v5, vcc
	v_and_or_b32 v1, v1, s2, v4
	v_cvt_i32_f32_e32 v1, v1
.LBB441_467:
	s_mov_b64 s[2:3], 0
.LBB441_468:
	s_andn2_b64 vcc, exec, s[2:3]
	s_cbranch_vccnz .LBB441_470
; %bb.469:
	global_load_ubyte v1, v[2:3], off
	s_movk_i32 s2, 0x7f00
	s_brev_b32 s3, 16
	s_waitcnt vmcnt(0)
	v_lshlrev_b16_e32 v4, 8, v1
	v_lshlrev_b32_e32 v1, 25, v1
	v_lshrrev_b32_e32 v5, 4, v1
	v_and_or_b32 v6, v4, s2, 0.5
	v_or_b32_e32 v5, 0x70000000, v5
	v_add_f32_e32 v6, -0.5, v6
	v_mul_f32_e32 v5, 0x7800000, v5
	v_cmp_gt_u32_e32 vcc, s3, v1
	v_bfe_i32 v4, v4, 0, 16
	s_brev_b32 s2, 1
	v_cndmask_b32_e32 v1, v5, v6, vcc
	v_and_or_b32 v1, v4, s2, v1
	v_cvt_i32_f32_e32 v1, v1
.LBB441_470:
	s_mov_b64 s[6:7], 0
	s_mov_b64 s[2:3], -1
.LBB441_471:
	s_andn2_b64 vcc, exec, s[6:7]
	s_cbranch_vccnz .LBB441_484
; %bb.472:
	s_cmp_gt_i32 s8, 14
	s_cbranch_scc0 .LBB441_475
; %bb.473:
	s_cmp_eq_u32 s8, 15
	s_cbranch_scc0 .LBB441_478
; %bb.474:
	global_load_ushort v1, v[2:3], off
	s_mov_b64 s[2:3], -1
	s_mov_b64 s[4:5], 0
	s_waitcnt vmcnt(0)
	v_lshlrev_b32_e32 v1, 16, v1
	v_cvt_i32_f32_e32 v1, v1
	s_branch .LBB441_479
.LBB441_475:
	s_mov_b64 s[6:7], -1
                                        ; implicit-def: $vgpr1
	s_branch .LBB441_480
.LBB441_476:
	s_andn2_saveexec_b64 s[2:3], s[2:3]
	s_cbranch_execz .LBB441_457
.LBB441_477:
	v_cmp_ne_u16_e32 vcc, 0, v4
	s_andn2_b64 s[6:7], s[6:7], exec
	s_and_b64 s[10:11], vcc, exec
	s_or_b64 s[6:7], s[6:7], s[10:11]
	s_or_b64 exec, exec, s[2:3]
	v_mov_b32_e32 v1, 0
	s_and_saveexec_b64 s[2:3], s[6:7]
	s_cbranch_execnz .LBB441_458
	s_branch .LBB441_459
.LBB441_478:
	s_mov_b64 s[4:5], -1
                                        ; implicit-def: $vgpr1
.LBB441_479:
	s_mov_b64 s[6:7], 0
.LBB441_480:
	s_and_b64 vcc, exec, s[6:7]
	s_cbranch_vccz .LBB441_484
; %bb.481:
	s_cmp_eq_u32 s8, 11
	s_cbranch_scc0 .LBB441_483
; %bb.482:
	global_load_ubyte v1, v[2:3], off
	s_mov_b64 s[2:3], -1
	s_mov_b64 s[4:5], 0
	s_waitcnt vmcnt(0)
	v_cmp_ne_u16_e32 vcc, 0, v1
	s_nop 1
	v_cndmask_b32_e64 v1, 0, 1, vcc
	s_branch .LBB441_484
.LBB441_483:
	s_mov_b64 s[4:5], -1
                                        ; implicit-def: $vgpr1
.LBB441_484:
	s_branch .LBB441_291
.LBB441_485:
	s_cmp_lt_i32 s8, 5
	s_cbranch_scc1 .LBB441_490
; %bb.486:
	s_cmp_lt_i32 s8, 8
	s_cbranch_scc1 .LBB441_491
; %bb.487:
	;; [unrolled: 3-line block ×3, first 2 shown]
	s_cmp_gt_i32 s8, 9
	s_cbranch_scc0 .LBB441_493
; %bb.489:
	global_load_dwordx2 v[4:5], v[2:3], off
	s_mov_b64 s[2:3], 0
	s_waitcnt vmcnt(0)
	v_cvt_i32_f64_e32 v1, v[4:5]
	s_branch .LBB441_494
.LBB441_490:
	s_mov_b64 s[2:3], -1
                                        ; implicit-def: $vgpr1
	s_branch .LBB441_512
.LBB441_491:
	s_mov_b64 s[2:3], -1
                                        ; implicit-def: $vgpr1
	s_branch .LBB441_500
.LBB441_492:
	s_mov_b64 s[2:3], -1
                                        ; implicit-def: $vgpr1
	s_branch .LBB441_497
.LBB441_493:
	s_mov_b64 s[2:3], -1
                                        ; implicit-def: $vgpr1
.LBB441_494:
	s_andn2_b64 vcc, exec, s[2:3]
	s_cbranch_vccnz .LBB441_496
; %bb.495:
	global_load_dword v1, v[2:3], off
	s_waitcnt vmcnt(0)
	v_cvt_i32_f32_e32 v1, v1
.LBB441_496:
	s_mov_b64 s[2:3], 0
.LBB441_497:
	s_andn2_b64 vcc, exec, s[2:3]
	s_cbranch_vccnz .LBB441_499
; %bb.498:
	global_load_dword v1, v[2:3], off
	s_waitcnt vmcnt(0)
	v_cvt_f32_f16_e32 v1, v1
	v_cvt_i32_f32_e32 v1, v1
.LBB441_499:
	s_mov_b64 s[2:3], 0
.LBB441_500:
	s_andn2_b64 vcc, exec, s[2:3]
	s_cbranch_vccnz .LBB441_511
; %bb.501:
	s_cmp_lt_i32 s8, 6
	s_cbranch_scc1 .LBB441_504
; %bb.502:
	s_cmp_gt_i32 s8, 6
	s_cbranch_scc0 .LBB441_505
; %bb.503:
	global_load_dwordx2 v[4:5], v[2:3], off
	s_mov_b64 s[2:3], 0
	s_waitcnt vmcnt(0)
	v_cvt_i32_f64_e32 v1, v[4:5]
	s_branch .LBB441_506
.LBB441_504:
	s_mov_b64 s[2:3], -1
                                        ; implicit-def: $vgpr1
	s_branch .LBB441_509
.LBB441_505:
	s_mov_b64 s[2:3], -1
                                        ; implicit-def: $vgpr1
.LBB441_506:
	s_andn2_b64 vcc, exec, s[2:3]
	s_cbranch_vccnz .LBB441_508
; %bb.507:
	global_load_dword v1, v[2:3], off
	s_waitcnt vmcnt(0)
	v_cvt_i32_f32_e32 v1, v1
.LBB441_508:
	s_mov_b64 s[2:3], 0
.LBB441_509:
	s_andn2_b64 vcc, exec, s[2:3]
	s_cbranch_vccnz .LBB441_511
; %bb.510:
	global_load_ushort v1, v[2:3], off
	s_waitcnt vmcnt(0)
	v_cvt_f32_f16_e32 v1, v1
	v_cvt_i32_f32_e32 v1, v1
.LBB441_511:
	s_mov_b64 s[2:3], 0
.LBB441_512:
	s_andn2_b64 vcc, exec, s[2:3]
	s_cbranch_vccnz .LBB441_532
; %bb.513:
	s_cmp_lt_i32 s8, 2
	s_cbranch_scc1 .LBB441_517
; %bb.514:
	s_cmp_lt_i32 s8, 3
	s_cbranch_scc1 .LBB441_518
; %bb.515:
	s_cmp_gt_i32 s8, 3
	s_cbranch_scc0 .LBB441_519
; %bb.516:
	global_load_dword v1, v[2:3], off
	s_mov_b64 s[2:3], 0
	s_branch .LBB441_520
.LBB441_517:
	s_mov_b64 s[2:3], -1
                                        ; implicit-def: $vgpr1
	s_branch .LBB441_526
.LBB441_518:
	s_mov_b64 s[2:3], -1
                                        ; implicit-def: $vgpr1
	s_branch .LBB441_523
.LBB441_519:
	s_mov_b64 s[2:3], -1
                                        ; implicit-def: $vgpr1
.LBB441_520:
	s_andn2_b64 vcc, exec, s[2:3]
	s_cbranch_vccnz .LBB441_522
; %bb.521:
	global_load_dword v1, v[2:3], off
.LBB441_522:
	s_mov_b64 s[2:3], 0
.LBB441_523:
	s_andn2_b64 vcc, exec, s[2:3]
	s_cbranch_vccnz .LBB441_525
; %bb.524:
	global_load_sshort v1, v[2:3], off
.LBB441_525:
	s_mov_b64 s[2:3], 0
.LBB441_526:
	s_andn2_b64 vcc, exec, s[2:3]
	s_cbranch_vccnz .LBB441_532
; %bb.527:
	s_cmp_gt_i32 s8, 0
	s_cbranch_scc0 .LBB441_529
; %bb.528:
	global_load_sbyte v1, v[2:3], off
	s_mov_b64 s[2:3], 0
	s_branch .LBB441_530
.LBB441_529:
	s_mov_b64 s[2:3], -1
                                        ; implicit-def: $vgpr1
.LBB441_530:
	s_andn2_b64 vcc, exec, s[2:3]
	s_cbranch_vccnz .LBB441_532
; %bb.531:
	global_load_ubyte v1, v[2:3], off
.LBB441_532:
	s_branch .LBB441_292
.LBB441_533:
	s_mov_b64 s[6:7], 0
	s_mov_b64 s[2:3], s[56:57]
.LBB441_534:
                                        ; implicit-def: $vgpr8
.LBB441_535:
	s_andn2_b64 s[8:9], s[56:57], exec
	s_and_b64 s[2:3], s[2:3], exec
	s_or_b64 s[64:65], s[8:9], s[2:3]
	s_andn2_b64 s[2:3], s[58:59], exec
	s_and_b64 s[4:5], s[4:5], exec
	s_or_b64 s[62:63], s[2:3], s[4:5]
	s_orn2_b64 s[2:3], s[6:7], exec
.LBB441_536:
	s_or_b64 exec, exec, s[66:67]
	s_mov_b64 s[4:5], 0
	s_mov_b64 s[6:7], 0
	;; [unrolled: 1-line block ×3, first 2 shown]
                                        ; implicit-def: $vgpr2_vgpr3
                                        ; implicit-def: $vgpr0
                                        ; implicit-def: $vgpr1
	s_and_saveexec_b64 s[66:67], s[2:3]
	s_cbranch_execz .LBB441_905
; %bb.537:
	v_cmp_gt_i32_e32 vcc, s72, v8
	s_mov_b64 s[6:7], -1
	s_mov_b64 s[2:3], s[62:63]
	s_mov_b64 s[70:71], s[64:65]
	s_and_saveexec_b64 s[68:69], vcc
	s_cbranch_execz .LBB441_808
; %bb.538:
	s_andn2_b64 vcc, exec, s[42:43]
	s_cbranch_vccnz .LBB441_544
; %bb.539:
	s_andn2_b64 vcc, exec, s[54:55]
	s_cbranch_vccnz .LBB441_545
; %bb.540:
	s_add_i32 s77, s76, 1
	s_cmp_eq_u32 s74, 2
	s_cbranch_scc1 .LBB441_546
; %bb.541:
	s_and_b32 s73, s77, 28
	s_mov_b32 s78, 0
	v_mov_b32_e32 v0, 0
	v_mov_b32_e32 v2, 0
	s_mov_b64 s[2:3], s[34:35]
	s_mov_b64 s[70:71], s[52:53]
	v_mov_b32_e32 v4, v8
.LBB441_542:                            ; =>This Inner Loop Header: Depth=1
	s_load_dwordx8 s[12:19], s[2:3], 0x4
	s_load_dwordx4 s[36:39], s[2:3], 0x24
	s_load_dwordx8 s[4:11], s[70:71], 0x0
	s_add_u32 s2, s2, 48
	s_addc_u32 s3, s3, 0
	s_waitcnt vmcnt(0) lgkmcnt(0)
	v_mul_hi_u32 v1, s13, v4
	v_add_u32_e32 v1, v4, v1
	v_lshrrev_b32_e32 v1, s14, v1
	v_mul_lo_u32 v3, v1, s12
	v_mul_hi_u32 v5, s16, v1
	v_sub_u32_e32 v3, v4, v3
	v_add_u32_e32 v4, v1, v5
	v_lshrrev_b32_e32 v4, s17, v4
	v_mul_lo_u32 v6, v4, s15
	v_mul_hi_u32 v7, s19, v4
	v_sub_u32_e32 v1, v1, v6
	v_add_u32_e32 v6, v4, v7
	v_mul_lo_u32 v5, v3, s5
	v_mul_lo_u32 v3, v3, s4
	;; [unrolled: 1-line block ×4, first 2 shown]
	v_lshrrev_b32_e32 v6, s36, v6
	v_add3_u32 v0, v3, v0, v1
	v_mul_hi_u32 v3, s38, v6
	v_add3_u32 v1, v5, v2, v7
	v_mul_lo_u32 v2, v6, s18
	v_add_u32_e32 v3, v6, v3
	v_sub_u32_e32 v2, v4, v2
	v_lshrrev_b32_e32 v4, s39, v3
	s_add_i32 s78, s78, 4
	v_mul_lo_u32 v3, v4, s37
	s_add_u32 s70, s70, 32
	v_sub_u32_e32 v3, v6, v3
	s_addc_u32 s71, s71, 0
	v_mul_lo_u32 v5, v2, s8
	v_mul_lo_u32 v2, v2, s9
	;; [unrolled: 1-line block ×4, first 2 shown]
	s_cmp_eq_u32 s73, s78
	v_add3_u32 v2, v2, v1, v3
	v_add3_u32 v0, v5, v0, v6
	s_cbranch_scc0 .LBB441_542
; %bb.543:
	v_mov_b32_e32 v1, v2
	s_branch .LBB441_547
.LBB441_544:
	s_mov_b64 s[2:3], -1
                                        ; implicit-def: $vgpr2
                                        ; implicit-def: $vgpr0
	s_branch .LBB441_551
.LBB441_545:
	v_mov_b32_e32 v2, 0
	v_mov_b32_e32 v0, 0
	s_branch .LBB441_550
.LBB441_546:
	v_mov_b32_e32 v0, 0
	s_mov_b32 s73, 0
	s_waitcnt vmcnt(0)
	v_mov_b32_e32 v1, v0
                                        ; implicit-def: $vgpr2
	v_mov_b32_e32 v4, v8
.LBB441_547:
	s_and_b32 s6, s77, 3
	s_cmp_eq_u32 s6, 0
	s_cbranch_scc1 .LBB441_550
; %bb.548:
	s_lshl_b32 s2, s73, 3
	s_add_u32 s2, s34, s2
	s_addc_u32 s3, s35, 0
	s_add_u32 s2, s2, 0xc4
	s_addc_u32 s3, s3, 0
	s_mul_i32 s4, s73, 12
	s_add_u32 s4, s34, s4
	s_addc_u32 s5, s35, 0
.LBB441_549:                            ; =>This Inner Loop Header: Depth=1
	s_load_dwordx2 s[8:9], s[4:5], 0x4
	s_load_dword s7, s[4:5], 0xc
	s_load_dwordx2 s[10:11], s[2:3], 0x0
	v_mov_b32_e32 v2, v1
	s_add_u32 s4, s4, 12
	s_waitcnt lgkmcnt(0)
	v_mul_hi_u32 v1, s9, v4
	v_add_u32_e32 v1, v4, v1
	v_lshrrev_b32_e32 v1, s7, v1
	s_addc_u32 s5, s5, 0
	v_mul_lo_u32 v3, v1, s8
	s_add_u32 s2, s2, 8
	v_sub_u32_e32 v5, v4, v3
	s_addc_u32 s3, s3, 0
	s_add_i32 s6, s6, -1
	v_mov_b32_e32 v4, v1
	v_mad_u64_u32 v[2:3], s[8:9], v5, s11, v[2:3]
	v_mad_u64_u32 v[0:1], s[8:9], v5, s10, v[0:1]
	s_cmp_lg_u32 s6, 0
	v_mov_b32_e32 v1, v2
	s_cbranch_scc1 .LBB441_549
.LBB441_550:
	s_mov_b64 s[2:3], 0
.LBB441_551:
	s_andn2_b64 vcc, exec, s[2:3]
	s_cbranch_vccnz .LBB441_554
; %bb.552:
	v_mul_hi_u32 v0, s25, v8
	v_add_u32_e32 v0, v8, v0
	s_waitcnt vmcnt(0)
	v_lshrrev_b32_e32 v1, s26, v0
	v_mul_lo_u32 v0, v1, s24
	v_sub_u32_e32 v0, v8, v0
	v_mul_lo_u32 v2, v0, s29
	s_andn2_b64 vcc, exec, s[50:51]
	v_mul_lo_u32 v0, v0, s28
	s_cbranch_vccnz .LBB441_554
; %bb.553:
	v_mul_hi_u32 v3, s48, v1
	v_add_u32_e32 v3, v1, v3
	v_lshrrev_b32_e32 v3, s49, v3
	v_mul_lo_u32 v3, v3, s27
	v_sub_u32_e32 v3, v1, v3
	v_mad_u64_u32 v[0:1], s[2:3], v3, s30, v[0:1]
	v_mad_u64_u32 v[2:3], s[2:3], v3, s31, v[2:3]
.LBB441_554:
	v_mov_b32_e32 v3, 0
	s_and_b32 s8, 0xffff, s75
	s_cmp_lt_i32 s8, 11
	v_lshl_add_u64 v[2:3], s[22:23], 0, v[2:3]
	s_cbranch_scc1 .LBB441_561
; %bb.555:
	s_cmp_gt_i32 s8, 25
	s_cbranch_scc0 .LBB441_562
; %bb.556:
	s_cmp_gt_i32 s8, 28
	s_cbranch_scc0 .LBB441_563
	;; [unrolled: 3-line block ×4, first 2 shown]
; %bb.559:
	s_cmp_eq_u32 s8, 46
	s_mov_b64 s[6:7], 0
	s_cbranch_scc0 .LBB441_570
; %bb.560:
	global_load_dword v1, v[2:3], off
	s_mov_b64 s[2:3], -1
	s_mov_b64 s[4:5], 0
	s_waitcnt vmcnt(0)
	v_lshlrev_b32_e32 v1, 16, v1
	v_cvt_i32_f32_e32 v1, v1
	s_branch .LBB441_571
.LBB441_561:
	s_mov_b64 s[6:7], -1
	s_mov_b64 s[2:3], 0
                                        ; implicit-def: $vgpr1
	s_mov_b64 s[4:5], s[62:63]
	s_branch .LBB441_632
.LBB441_562:
	s_mov_b64 s[6:7], -1
	s_mov_b64 s[2:3], 0
	s_mov_b64 s[4:5], s[62:63]
                                        ; implicit-def: $vgpr1
	s_branch .LBB441_598
.LBB441_563:
	s_mov_b64 s[6:7], -1
	s_mov_b64 s[2:3], 0
	s_mov_b64 s[4:5], s[62:63]
                                        ; implicit-def: $vgpr1
	s_branch .LBB441_581
.LBB441_564:
	s_mov_b64 s[6:7], -1
	s_mov_b64 s[2:3], 0
	s_mov_b64 s[4:5], s[62:63]
                                        ; implicit-def: $vgpr1
	s_branch .LBB441_576
.LBB441_565:
	s_andn2_saveexec_b64 s[10:11], s[10:11]
	s_cbranch_execz .LBB441_337
.LBB441_566:
	s_mov_b32 s14, 0x46000000
	v_add_f32_e64 v4, |v3|, s14
	v_and_b32_e32 v4, 0xff, v4
	v_cmp_ne_u32_e32 vcc, 0, v4
	s_andn2_b64 s[8:9], s[8:9], exec
	s_and_b64 s[14:15], vcc, exec
	s_or_b64 s[8:9], s[8:9], s[14:15]
	s_or_b64 exec, exec, s[10:11]
	v_mov_b32_e32 v5, 0
	s_and_saveexec_b64 s[10:11], s[8:9]
	s_cbranch_execnz .LBB441_338
	s_branch .LBB441_339
.LBB441_567:
	s_mov_b64 s[6:7], -1
	s_mov_b64 s[2:3], 0
	s_mov_b64 s[4:5], s[62:63]
                                        ; implicit-def: $vgpr1
	s_branch .LBB441_571
.LBB441_568:
	s_andn2_saveexec_b64 s[10:11], s[10:11]
	s_cbranch_execz .LBB441_350
.LBB441_569:
	s_mov_b32 s14, 0x42800000
	v_add_f32_e64 v4, |v3|, s14
	v_and_b32_e32 v4, 0xff, v4
	v_cmp_ne_u32_e32 vcc, 0, v4
	s_andn2_b64 s[8:9], s[8:9], exec
	s_and_b64 s[14:15], vcc, exec
	s_or_b64 s[8:9], s[8:9], s[14:15]
	s_or_b64 exec, exec, s[10:11]
	v_mov_b32_e32 v5, 0
	s_and_saveexec_b64 s[10:11], s[8:9]
	s_cbranch_execnz .LBB441_351
	s_branch .LBB441_352
.LBB441_570:
	s_mov_b64 s[4:5], -1
                                        ; implicit-def: $vgpr1
	s_mov_b64 s[2:3], 0
.LBB441_571:
	s_and_b64 vcc, exec, s[6:7]
	s_cbranch_vccz .LBB441_575
; %bb.572:
	s_cmp_eq_u32 s8, 44
	s_cbranch_scc0 .LBB441_574
; %bb.573:
	global_load_ubyte v1, v[2:3], off
	s_mov_b64 s[2:3], -1
	s_mov_b64 s[4:5], 0
	s_waitcnt vmcnt(0)
	v_lshlrev_b32_e32 v4, 23, v1
	v_cvt_i32_f32_e32 v4, v4
	v_cmp_ne_u32_e32 vcc, 0, v1
	s_nop 1
	v_cndmask_b32_e32 v1, 0, v4, vcc
	s_branch .LBB441_575
.LBB441_574:
	s_mov_b64 s[4:5], -1
                                        ; implicit-def: $vgpr1
.LBB441_575:
	s_mov_b64 s[6:7], 0
.LBB441_576:
	s_and_b64 vcc, exec, s[6:7]
	s_cbranch_vccz .LBB441_580
; %bb.577:
	s_cmp_eq_u32 s8, 29
	s_cbranch_scc0 .LBB441_579
; %bb.578:
	global_load_dword v1, v[2:3], off
	s_mov_b64 s[2:3], -1
	s_mov_b64 s[4:5], 0
	s_branch .LBB441_580
.LBB441_579:
	s_mov_b64 s[4:5], -1
                                        ; implicit-def: $vgpr1
.LBB441_580:
	s_mov_b64 s[6:7], 0
.LBB441_581:
	s_and_b64 vcc, exec, s[6:7]
	s_cbranch_vccz .LBB441_597
; %bb.582:
	s_cmp_lt_i32 s8, 27
	s_cbranch_scc1 .LBB441_585
; %bb.583:
	s_cmp_gt_i32 s8, 27
	s_cbranch_scc0 .LBB441_586
; %bb.584:
	global_load_dword v1, v[2:3], off
	s_mov_b64 s[2:3], 0
	s_branch .LBB441_587
.LBB441_585:
	s_mov_b64 s[2:3], -1
                                        ; implicit-def: $vgpr1
	s_branch .LBB441_590
.LBB441_586:
	s_mov_b64 s[2:3], -1
                                        ; implicit-def: $vgpr1
.LBB441_587:
	s_andn2_b64 vcc, exec, s[2:3]
	s_cbranch_vccnz .LBB441_589
; %bb.588:
	global_load_ushort v1, v[2:3], off
.LBB441_589:
	s_mov_b64 s[2:3], 0
.LBB441_590:
	s_andn2_b64 vcc, exec, s[2:3]
	s_cbranch_vccnz .LBB441_596
; %bb.591:
	global_load_ubyte v4, v[2:3], off
	s_movk_i32 s2, 0x7f
	s_mov_b64 s[6:7], 0
	s_waitcnt vmcnt(0)
	v_cmp_lt_i16_e32 vcc, s2, v4
	s_and_saveexec_b64 s[2:3], vcc
	s_xor_b64 s[2:3], exec, s[2:3]
	s_cbranch_execz .LBB441_608
; %bb.592:
	s_movk_i32 s6, 0x80
	v_cmp_ne_u16_e32 vcc, s6, v4
	s_and_b64 s[6:7], vcc, exec
	s_andn2_saveexec_b64 s[2:3], s[2:3]
	s_cbranch_execnz .LBB441_609
.LBB441_593:
	s_or_b64 exec, exec, s[2:3]
	v_mov_b32_e32 v1, 0
	s_and_saveexec_b64 s[2:3], s[6:7]
	s_cbranch_execz .LBB441_595
.LBB441_594:
	v_lshlrev_b32_e32 v1, 24, v4
	v_and_b32_e32 v4, 0xffff, v4
	v_and_b32_e32 v5, 7, v4
	v_ffbh_u32_e32 v7, v5
	v_min_u32_e32 v7, 32, v7
	v_subrev_u32_e32 v9, 28, v7
	v_bfe_u32 v6, v4, 3, 4
	v_lshlrev_b32_e32 v4, v9, v4
	v_sub_u32_e32 v7, 29, v7
	v_and_b32_e32 v4, 7, v4
	v_cmp_eq_u32_e32 vcc, 0, v6
	v_and_b32_e32 v1, 0x80000000, v1
	s_nop 0
	v_cndmask_b32_e32 v6, v6, v7, vcc
	v_cndmask_b32_e32 v4, v5, v4, vcc
	v_mov_b32_e32 v5, 0x3b800000
	v_lshlrev_b32_e32 v4, 20, v4
	v_lshl_add_u32 v5, v6, 23, v5
	v_or3_b32 v1, v1, v5, v4
	v_cvt_i32_f32_e32 v1, v1
.LBB441_595:
	s_or_b64 exec, exec, s[2:3]
.LBB441_596:
	s_mov_b64 s[2:3], -1
.LBB441_597:
	s_mov_b64 s[6:7], 0
.LBB441_598:
	s_and_b64 vcc, exec, s[6:7]
	s_cbranch_vccz .LBB441_631
; %bb.599:
	s_cmp_gt_i32 s8, 22
	s_cbranch_scc0 .LBB441_607
; %bb.600:
	s_cmp_lt_i32 s8, 24
	s_cbranch_scc1 .LBB441_610
; %bb.601:
	s_cmp_gt_i32 s8, 24
	s_cbranch_scc0 .LBB441_611
; %bb.602:
	global_load_ubyte v4, v[2:3], off
	s_movk_i32 s2, 0x7f
	s_mov_b64 s[6:7], 0
	s_waitcnt vmcnt(0)
	v_cmp_lt_i16_e32 vcc, s2, v4
	s_and_saveexec_b64 s[2:3], vcc
	s_xor_b64 s[2:3], exec, s[2:3]
	s_cbranch_execz .LBB441_623
; %bb.603:
	s_movk_i32 s6, 0x80
	v_cmp_ne_u16_e32 vcc, s6, v4
	s_and_b64 s[6:7], vcc, exec
	s_andn2_saveexec_b64 s[2:3], s[2:3]
	s_cbranch_execnz .LBB441_624
.LBB441_604:
	s_or_b64 exec, exec, s[2:3]
	v_mov_b32_e32 v1, 0
	s_and_saveexec_b64 s[2:3], s[6:7]
	s_cbranch_execz .LBB441_606
.LBB441_605:
	v_lshlrev_b32_e32 v1, 24, v4
	v_and_b32_e32 v4, 0xffff, v4
	v_and_b32_e32 v5, 3, v4
	v_ffbh_u32_e32 v7, v5
	v_min_u32_e32 v7, 32, v7
	v_subrev_u32_e32 v9, 29, v7
	v_bfe_u32 v6, v4, 2, 5
	v_lshlrev_b32_e32 v4, v9, v4
	v_sub_u32_e32 v7, 30, v7
	v_and_b32_e32 v4, 3, v4
	v_cmp_eq_u32_e32 vcc, 0, v6
	v_and_b32_e32 v1, 0x80000000, v1
	s_nop 0
	v_cndmask_b32_e32 v6, v6, v7, vcc
	v_cndmask_b32_e32 v4, v5, v4, vcc
	v_mov_b32_e32 v5, 0x37800000
	v_lshlrev_b32_e32 v4, 21, v4
	v_lshl_add_u32 v5, v6, 23, v5
	v_or3_b32 v1, v1, v5, v4
	v_cvt_i32_f32_e32 v1, v1
.LBB441_606:
	s_or_b64 exec, exec, s[2:3]
	s_mov_b64 s[2:3], 0
	s_branch .LBB441_612
.LBB441_607:
	s_mov_b64 s[6:7], -1
                                        ; implicit-def: $vgpr1
	s_branch .LBB441_618
.LBB441_608:
	s_andn2_saveexec_b64 s[2:3], s[2:3]
	s_cbranch_execz .LBB441_593
.LBB441_609:
	v_cmp_ne_u16_e32 vcc, 0, v4
	s_andn2_b64 s[6:7], s[6:7], exec
	s_and_b64 s[10:11], vcc, exec
	s_or_b64 s[6:7], s[6:7], s[10:11]
	s_or_b64 exec, exec, s[2:3]
	v_mov_b32_e32 v1, 0
	s_and_saveexec_b64 s[2:3], s[6:7]
	s_cbranch_execnz .LBB441_594
	s_branch .LBB441_595
.LBB441_610:
	s_mov_b64 s[2:3], -1
                                        ; implicit-def: $vgpr1
	s_branch .LBB441_615
.LBB441_611:
	s_mov_b64 s[2:3], -1
                                        ; implicit-def: $vgpr1
.LBB441_612:
	s_and_b64 vcc, exec, s[2:3]
	s_cbranch_vccz .LBB441_614
; %bb.613:
	global_load_ubyte v1, v[2:3], off
	s_mov_b32 s2, 0x7f800000
	s_waitcnt vmcnt(0)
	v_lshlrev_b32_e32 v1, 24, v1
	v_and_b32_e32 v4, 0x7f000000, v1
	v_ffbh_u32_e32 v5, v4
	v_min_u32_e32 v5, 32, v5
	v_sub_u32_e64 v5, v5, 4 clamp
	v_lshlrev_b32_e32 v7, v5, v4
	v_lshlrev_b32_e32 v5, 23, v5
	v_lshrrev_b32_e32 v7, 4, v7
	v_add_u32_e32 v6, 0x1000000, v4
	v_sub_u32_e32 v5, v7, v5
	v_ashrrev_i32_e32 v6, 8, v6
	v_add_u32_e32 v5, 0x3c000000, v5
	v_and_or_b32 v5, v6, s2, v5
	v_cmp_ne_u32_e32 vcc, 0, v4
	s_brev_b32 s2, 1
	s_nop 0
	v_cndmask_b32_e32 v4, 0, v5, vcc
	v_and_or_b32 v1, v1, s2, v4
	v_cvt_i32_f32_e32 v1, v1
.LBB441_614:
	s_mov_b64 s[2:3], 0
.LBB441_615:
	s_andn2_b64 vcc, exec, s[2:3]
	s_cbranch_vccnz .LBB441_617
; %bb.616:
	global_load_ubyte v1, v[2:3], off
	s_movk_i32 s2, 0x7f00
	s_brev_b32 s3, 16
	s_waitcnt vmcnt(0)
	v_lshlrev_b16_e32 v4, 8, v1
	v_lshlrev_b32_e32 v1, 25, v1
	v_lshrrev_b32_e32 v5, 4, v1
	v_and_or_b32 v6, v4, s2, 0.5
	v_or_b32_e32 v5, 0x70000000, v5
	v_add_f32_e32 v6, -0.5, v6
	v_mul_f32_e32 v5, 0x7800000, v5
	v_cmp_gt_u32_e32 vcc, s3, v1
	v_bfe_i32 v4, v4, 0, 16
	s_brev_b32 s2, 1
	v_cndmask_b32_e32 v1, v5, v6, vcc
	v_and_or_b32 v1, v4, s2, v1
	v_cvt_i32_f32_e32 v1, v1
.LBB441_617:
	s_mov_b64 s[6:7], 0
	s_mov_b64 s[2:3], -1
.LBB441_618:
	s_andn2_b64 vcc, exec, s[6:7]
	s_cbranch_vccnz .LBB441_631
; %bb.619:
	s_cmp_gt_i32 s8, 14
	s_cbranch_scc0 .LBB441_622
; %bb.620:
	s_cmp_eq_u32 s8, 15
	s_cbranch_scc0 .LBB441_625
; %bb.621:
	global_load_ushort v1, v[2:3], off
	s_mov_b64 s[2:3], -1
	s_mov_b64 s[4:5], 0
	s_waitcnt vmcnt(0)
	v_lshlrev_b32_e32 v1, 16, v1
	v_cvt_i32_f32_e32 v1, v1
	s_branch .LBB441_626
.LBB441_622:
	s_mov_b64 s[6:7], -1
                                        ; implicit-def: $vgpr1
	s_branch .LBB441_627
.LBB441_623:
	s_andn2_saveexec_b64 s[2:3], s[2:3]
	s_cbranch_execz .LBB441_604
.LBB441_624:
	v_cmp_ne_u16_e32 vcc, 0, v4
	s_andn2_b64 s[6:7], s[6:7], exec
	s_and_b64 s[10:11], vcc, exec
	s_or_b64 s[6:7], s[6:7], s[10:11]
	s_or_b64 exec, exec, s[2:3]
	v_mov_b32_e32 v1, 0
	s_and_saveexec_b64 s[2:3], s[6:7]
	s_cbranch_execnz .LBB441_605
	s_branch .LBB441_606
.LBB441_625:
	s_mov_b64 s[4:5], -1
                                        ; implicit-def: $vgpr1
.LBB441_626:
	s_mov_b64 s[6:7], 0
.LBB441_627:
	s_and_b64 vcc, exec, s[6:7]
	s_cbranch_vccz .LBB441_631
; %bb.628:
	s_cmp_eq_u32 s8, 11
	s_cbranch_scc0 .LBB441_630
; %bb.629:
	global_load_ubyte v1, v[2:3], off
	s_mov_b64 s[2:3], -1
	s_mov_b64 s[4:5], 0
	s_waitcnt vmcnt(0)
	v_cmp_ne_u16_e32 vcc, 0, v1
	s_nop 1
	v_cndmask_b32_e64 v1, 0, 1, vcc
	s_branch .LBB441_631
.LBB441_630:
	s_mov_b64 s[4:5], -1
                                        ; implicit-def: $vgpr1
.LBB441_631:
	s_mov_b64 s[6:7], 0
.LBB441_632:
	s_and_b64 vcc, exec, s[6:7]
	s_cbranch_vccz .LBB441_681
; %bb.633:
	s_cmp_lt_i32 s8, 5
	s_cbranch_scc1 .LBB441_638
; %bb.634:
	s_cmp_lt_i32 s8, 8
	s_cbranch_scc1 .LBB441_639
	;; [unrolled: 3-line block ×3, first 2 shown]
; %bb.636:
	s_cmp_gt_i32 s8, 9
	s_cbranch_scc0 .LBB441_641
; %bb.637:
	global_load_dwordx2 v[4:5], v[2:3], off
	s_mov_b64 s[2:3], 0
	s_waitcnt vmcnt(0)
	v_cvt_i32_f64_e32 v1, v[4:5]
	s_branch .LBB441_642
.LBB441_638:
	s_mov_b64 s[2:3], -1
                                        ; implicit-def: $vgpr1
	s_branch .LBB441_660
.LBB441_639:
	s_mov_b64 s[2:3], -1
                                        ; implicit-def: $vgpr1
	s_branch .LBB441_648
.LBB441_640:
	s_mov_b64 s[2:3], -1
                                        ; implicit-def: $vgpr1
	s_branch .LBB441_645
.LBB441_641:
	s_mov_b64 s[2:3], -1
                                        ; implicit-def: $vgpr1
.LBB441_642:
	s_andn2_b64 vcc, exec, s[2:3]
	s_cbranch_vccnz .LBB441_644
; %bb.643:
	global_load_dword v1, v[2:3], off
	s_waitcnt vmcnt(0)
	v_cvt_i32_f32_e32 v1, v1
.LBB441_644:
	s_mov_b64 s[2:3], 0
.LBB441_645:
	s_andn2_b64 vcc, exec, s[2:3]
	s_cbranch_vccnz .LBB441_647
; %bb.646:
	global_load_dword v1, v[2:3], off
	s_waitcnt vmcnt(0)
	v_cvt_f32_f16_e32 v1, v1
	v_cvt_i32_f32_e32 v1, v1
.LBB441_647:
	s_mov_b64 s[2:3], 0
.LBB441_648:
	s_andn2_b64 vcc, exec, s[2:3]
	s_cbranch_vccnz .LBB441_659
; %bb.649:
	s_cmp_lt_i32 s8, 6
	s_cbranch_scc1 .LBB441_652
; %bb.650:
	s_cmp_gt_i32 s8, 6
	s_cbranch_scc0 .LBB441_653
; %bb.651:
	global_load_dwordx2 v[4:5], v[2:3], off
	s_mov_b64 s[2:3], 0
	s_waitcnt vmcnt(0)
	v_cvt_i32_f64_e32 v1, v[4:5]
	s_branch .LBB441_654
.LBB441_652:
	s_mov_b64 s[2:3], -1
                                        ; implicit-def: $vgpr1
	s_branch .LBB441_657
.LBB441_653:
	s_mov_b64 s[2:3], -1
                                        ; implicit-def: $vgpr1
.LBB441_654:
	s_andn2_b64 vcc, exec, s[2:3]
	s_cbranch_vccnz .LBB441_656
; %bb.655:
	global_load_dword v1, v[2:3], off
	s_waitcnt vmcnt(0)
	v_cvt_i32_f32_e32 v1, v1
.LBB441_656:
	s_mov_b64 s[2:3], 0
.LBB441_657:
	s_andn2_b64 vcc, exec, s[2:3]
	s_cbranch_vccnz .LBB441_659
; %bb.658:
	global_load_ushort v1, v[2:3], off
	s_waitcnt vmcnt(0)
	v_cvt_f32_f16_e32 v1, v1
	v_cvt_i32_f32_e32 v1, v1
.LBB441_659:
	s_mov_b64 s[2:3], 0
.LBB441_660:
	s_andn2_b64 vcc, exec, s[2:3]
	s_cbranch_vccnz .LBB441_680
; %bb.661:
	s_cmp_lt_i32 s8, 2
	s_cbranch_scc1 .LBB441_665
; %bb.662:
	s_cmp_lt_i32 s8, 3
	s_cbranch_scc1 .LBB441_666
; %bb.663:
	s_cmp_gt_i32 s8, 3
	s_cbranch_scc0 .LBB441_667
; %bb.664:
	global_load_dword v1, v[2:3], off
	s_mov_b64 s[2:3], 0
	s_branch .LBB441_668
.LBB441_665:
	s_mov_b64 s[2:3], -1
                                        ; implicit-def: $vgpr1
	s_branch .LBB441_674
.LBB441_666:
	s_mov_b64 s[2:3], -1
                                        ; implicit-def: $vgpr1
	s_branch .LBB441_671
.LBB441_667:
	s_mov_b64 s[2:3], -1
                                        ; implicit-def: $vgpr1
.LBB441_668:
	s_andn2_b64 vcc, exec, s[2:3]
	s_cbranch_vccnz .LBB441_670
; %bb.669:
	global_load_dword v1, v[2:3], off
.LBB441_670:
	s_mov_b64 s[2:3], 0
.LBB441_671:
	s_andn2_b64 vcc, exec, s[2:3]
	s_cbranch_vccnz .LBB441_673
; %bb.672:
	global_load_sshort v1, v[2:3], off
.LBB441_673:
	s_mov_b64 s[2:3], 0
.LBB441_674:
	s_andn2_b64 vcc, exec, s[2:3]
	s_cbranch_vccnz .LBB441_680
; %bb.675:
	s_cmp_gt_i32 s8, 0
	s_cbranch_scc0 .LBB441_677
; %bb.676:
	global_load_sbyte v1, v[2:3], off
	s_mov_b64 s[2:3], 0
	s_branch .LBB441_678
.LBB441_677:
	s_mov_b64 s[2:3], -1
                                        ; implicit-def: $vgpr1
.LBB441_678:
	s_andn2_b64 vcc, exec, s[2:3]
	s_cbranch_vccnz .LBB441_680
; %bb.679:
	global_load_ubyte v1, v[2:3], off
.LBB441_680:
	s_mov_b64 s[2:3], -1
.LBB441_681:
	s_andn2_b64 vcc, exec, s[2:3]
	s_cbranch_vccnz .LBB441_689
; %bb.682:
	s_waitcnt vmcnt(0)
	v_min_i32_e32 v2, s46, v1
	v_mov_b32_e32 v1, 0
	s_and_b32 s12, s47, 0xff
	s_cmp_lt_i32 s12, 11
	v_lshl_add_u64 v[0:1], s[20:21], 0, v[0:1]
	s_cbranch_scc1 .LBB441_690
; %bb.683:
	s_and_b32 s13, 0xffff, s12
	s_cmp_gt_i32 s13, 25
	s_cbranch_scc0 .LBB441_691
; %bb.684:
	s_cmp_gt_i32 s13, 28
	s_cbranch_scc0 .LBB441_692
; %bb.685:
	;; [unrolled: 3-line block ×4, first 2 shown]
	s_mov_b64 s[8:9], 0
	s_mov_b64 s[2:3], -1
	s_cmp_eq_u32 s13, 46
	s_mov_b64 s[6:7], 0
	s_cbranch_scc0 .LBB441_695
; %bb.688:
	v_cvt_f32_i32_e32 v3, v2
	s_movk_i32 s2, 0x7fff
	s_mov_b64 s[6:7], -1
	v_bfe_u32 v4, v3, 16, 1
	v_add3_u32 v3, v3, v4, s2
	v_lshrrev_b32_e32 v3, 16, v3
	global_store_dword v[0:1], v3, off
	s_mov_b64 s[2:3], 0
	s_branch .LBB441_695
.LBB441_689:
	s_mov_b64 s[6:7], 0
	s_mov_b64 s[2:3], s[64:65]
	s_branch .LBB441_806
.LBB441_690:
	s_mov_b64 s[8:9], -1
	s_mov_b64 s[6:7], 0
	s_mov_b64 s[2:3], s[64:65]
	s_branch .LBB441_764
.LBB441_691:
	s_mov_b64 s[8:9], -1
	s_mov_b64 s[6:7], 0
	s_mov_b64 s[2:3], s[64:65]
	s_branch .LBB441_722
.LBB441_692:
	s_mov_b64 s[8:9], -1
	s_mov_b64 s[6:7], 0
	s_mov_b64 s[2:3], s[64:65]
	s_branch .LBB441_705
.LBB441_693:
	s_mov_b64 s[8:9], -1
	s_mov_b64 s[6:7], 0
	s_mov_b64 s[2:3], s[64:65]
	s_branch .LBB441_701
.LBB441_694:
	s_mov_b64 s[8:9], -1
	s_mov_b64 s[6:7], 0
	s_mov_b64 s[2:3], s[64:65]
.LBB441_695:
	s_and_b64 vcc, exec, s[8:9]
	s_cbranch_vccz .LBB441_700
; %bb.696:
	s_cmp_eq_u32 s13, 44
	s_mov_b64 s[2:3], -1
	s_cbranch_scc0 .LBB441_700
; %bb.697:
	v_cvt_f32_i32_e32 v3, v2
	s_movk_i32 s2, 0xff
	v_mov_b32_e32 v5, 0xff
	v_bfe_u32 v4, v3, 23, 8
	v_cmp_ne_u32_e32 vcc, s2, v4
	s_and_saveexec_b64 s[6:7], vcc
; %bb.698:
	s_mov_b32 s2, 0x3fffff
	v_lshrrev_b32_e32 v5, 23, v3
	v_and_b32_e32 v6, 0x400000, v3
	v_and_or_b32 v3, v3, s2, v4
	v_cmp_ne_u32_e32 vcc, 0, v6
	v_cmp_ne_u32_e64 s[2:3], 0, v3
	s_and_b64 s[2:3], vcc, s[2:3]
	s_nop 0
	v_cndmask_b32_e64 v3, 0, 1, s[2:3]
	v_add_u32_e32 v5, v5, v3
; %bb.699:
	s_or_b64 exec, exec, s[6:7]
	s_mov_b64 s[6:7], -1
	s_mov_b64 s[2:3], 0
	global_store_byte v[0:1], v5, off
.LBB441_700:
	s_mov_b64 s[8:9], 0
.LBB441_701:
	s_and_b64 vcc, exec, s[8:9]
	s_cbranch_vccz .LBB441_704
; %bb.702:
	s_cmp_eq_u32 s13, 29
	s_mov_b64 s[2:3], -1
	s_cbranch_scc0 .LBB441_704
; %bb.703:
	v_ashrrev_i32_e32 v3, 31, v2
	global_store_dwordx2 v[0:1], v[2:3], off
	s_mov_b64 s[6:7], -1
	s_mov_b64 s[2:3], 0
.LBB441_704:
	s_mov_b64 s[8:9], 0
.LBB441_705:
	s_and_b64 vcc, exec, s[8:9]
	s_cbranch_vccz .LBB441_721
; %bb.706:
	s_cmp_lt_i32 s13, 27
	s_mov_b64 s[6:7], -1
	s_cbranch_scc1 .LBB441_712
; %bb.707:
	s_cmp_gt_i32 s13, 27
	s_cbranch_scc0 .LBB441_709
; %bb.708:
	s_mov_b64 s[6:7], 0
	global_store_dword v[0:1], v2, off
.LBB441_709:
	s_andn2_b64 vcc, exec, s[6:7]
	s_cbranch_vccnz .LBB441_711
; %bb.710:
	global_store_short v[0:1], v2, off
.LBB441_711:
	s_mov_b64 s[6:7], 0
.LBB441_712:
	s_andn2_b64 vcc, exec, s[6:7]
	s_cbranch_vccnz .LBB441_720
; %bb.713:
	v_cvt_f32_i32_e32 v3, v2
	s_mov_b32 s6, 0x43800000
	v_mov_b32_e32 v5, 0x80
	v_and_b32_e32 v4, 0x7fffffff, v3
	v_cmp_gt_u32_e32 vcc, s6, v4
	s_and_saveexec_b64 s[6:7], vcc
	s_cbranch_execz .LBB441_719
; %bb.714:
	s_mov_b32 s8, 0x3bffffff
	v_cmp_lt_u32_e32 vcc, s8, v4
	s_mov_b64 s[8:9], 0
                                        ; implicit-def: $vgpr4
	s_and_saveexec_b64 s[10:11], vcc
	s_xor_b64 s[10:11], exec, s[10:11]
	s_cbranch_execz .LBB441_837
; %bb.715:
	v_bfe_u32 v4, v3, 20, 1
	s_mov_b32 s14, 0x487ffff
	v_add3_u32 v4, v3, v4, s14
	s_mov_b64 s[8:9], exec
	v_lshrrev_b32_e32 v4, 20, v4
	s_andn2_saveexec_b64 s[10:11], s[10:11]
	s_cbranch_execnz .LBB441_838
.LBB441_716:
	s_or_b64 exec, exec, s[10:11]
	v_mov_b32_e32 v5, 0
	s_and_saveexec_b64 s[10:11], s[8:9]
.LBB441_717:
	v_lshrrev_b32_e32 v3, 24, v3
	s_movk_i32 s8, 0x80
	v_and_or_b32 v5, v3, s8, v4
.LBB441_718:
	s_or_b64 exec, exec, s[10:11]
.LBB441_719:
	s_or_b64 exec, exec, s[6:7]
	global_store_byte v[0:1], v5, off
.LBB441_720:
	s_mov_b64 s[6:7], -1
.LBB441_721:
	s_mov_b64 s[8:9], 0
.LBB441_722:
	s_and_b64 vcc, exec, s[8:9]
	s_cbranch_vccz .LBB441_763
; %bb.723:
	s_cmp_gt_i32 s13, 22
	s_mov_b64 s[8:9], -1
	s_cbranch_scc0 .LBB441_755
; %bb.724:
	s_cmp_lt_i32 s13, 24
	s_mov_b64 s[6:7], -1
	s_cbranch_scc1 .LBB441_744
; %bb.725:
	s_cmp_gt_i32 s13, 24
	s_cbranch_scc0 .LBB441_733
; %bb.726:
	v_cvt_f32_i32_e32 v3, v2
	s_mov_b32 s6, 0x47800000
	v_mov_b32_e32 v5, 0x80
	v_and_b32_e32 v4, 0x7fffffff, v3
	v_cmp_gt_u32_e32 vcc, s6, v4
	s_and_saveexec_b64 s[6:7], vcc
	s_cbranch_execz .LBB441_732
; %bb.727:
	s_mov_b32 s8, 0x37ffffff
	v_cmp_lt_u32_e32 vcc, s8, v4
	s_mov_b64 s[8:9], 0
                                        ; implicit-def: $vgpr4
	s_and_saveexec_b64 s[10:11], vcc
	s_xor_b64 s[10:11], exec, s[10:11]
	s_cbranch_execz .LBB441_840
; %bb.728:
	v_bfe_u32 v4, v3, 21, 1
	s_mov_b32 s14, 0x88fffff
	v_add3_u32 v4, v3, v4, s14
	s_mov_b64 s[8:9], exec
	v_lshrrev_b32_e32 v4, 21, v4
	s_andn2_saveexec_b64 s[10:11], s[10:11]
	s_cbranch_execnz .LBB441_841
.LBB441_729:
	s_or_b64 exec, exec, s[10:11]
	v_mov_b32_e32 v5, 0
	s_and_saveexec_b64 s[10:11], s[8:9]
.LBB441_730:
	v_lshrrev_b32_e32 v3, 24, v3
	s_movk_i32 s8, 0x80
	v_and_or_b32 v5, v3, s8, v4
.LBB441_731:
	s_or_b64 exec, exec, s[10:11]
.LBB441_732:
	s_or_b64 exec, exec, s[6:7]
	s_mov_b64 s[6:7], 0
	global_store_byte v[0:1], v5, off
.LBB441_733:
	s_and_b64 vcc, exec, s[6:7]
	s_cbranch_vccz .LBB441_743
; %bb.734:
	v_cvt_f32_i32_e32 v3, v2
	s_mov_b32 s6, 0x43f00000
                                        ; implicit-def: $vgpr4
	v_and_b32_e32 v5, 0x7fffffff, v3
	v_cmp_gt_u32_e32 vcc, s6, v5
	s_and_saveexec_b64 s[6:7], vcc
	s_xor_b64 s[6:7], exec, s[6:7]
	s_cbranch_execz .LBB441_740
; %bb.735:
	s_mov_b32 s8, 0x3c7fffff
	v_cmp_lt_u32_e32 vcc, s8, v5
                                        ; implicit-def: $vgpr4
	s_and_saveexec_b64 s[8:9], vcc
	s_xor_b64 s[8:9], exec, s[8:9]
; %bb.736:
	v_bfe_u32 v4, v3, 20, 1
	s_mov_b32 s10, 0x407ffff
	v_add3_u32 v4, v3, v4, s10
	v_lshrrev_b32_e32 v5, 20, v4
	v_and_b32_e32 v4, 0xff00000, v4
	s_mov_b32 s10, 0x7f00000
	v_mov_b32_e32 v6, 0x7e
	v_cmp_ne_u32_e32 vcc, s10, v4
	s_nop 1
	v_cndmask_b32_e32 v4, v6, v5, vcc
; %bb.737:
	s_andn2_saveexec_b64 s[8:9], s[8:9]
; %bb.738:
	s_mov_b32 s10, 0x46800000
	v_add_f32_e64 v4, |v3|, s10
; %bb.739:
	s_or_b64 exec, exec, s[8:9]
                                        ; implicit-def: $vgpr5
.LBB441_740:
	s_andn2_saveexec_b64 s[6:7], s[6:7]
; %bb.741:
	s_mov_b32 s8, 0x7f800000
	v_mov_b32_e32 v4, 0x7e
	v_mov_b32_e32 v6, 0x7f
	v_cmp_lt_u32_e32 vcc, s8, v5
	s_nop 1
	v_cndmask_b32_e32 v4, v4, v6, vcc
; %bb.742:
	s_or_b64 exec, exec, s[6:7]
	v_lshrrev_b32_e32 v3, 24, v3
	s_movk_i32 s6, 0x80
	v_and_or_b32 v3, v3, s6, v4
	global_store_byte v[0:1], v3, off
.LBB441_743:
	s_mov_b64 s[6:7], 0
.LBB441_744:
	s_andn2_b64 vcc, exec, s[6:7]
	s_cbranch_vccnz .LBB441_754
; %bb.745:
	v_cvt_f32_i32_e32 v3, v2
	s_mov_b32 s6, 0x47800000
                                        ; implicit-def: $vgpr4
	v_and_b32_e32 v5, 0x7fffffff, v3
	v_cmp_gt_u32_e32 vcc, s6, v5
	s_and_saveexec_b64 s[6:7], vcc
	s_xor_b64 s[6:7], exec, s[6:7]
	s_cbranch_execz .LBB441_751
; %bb.746:
	s_mov_b32 s8, 0x387fffff
	v_cmp_lt_u32_e32 vcc, s8, v5
                                        ; implicit-def: $vgpr4
	s_and_saveexec_b64 s[8:9], vcc
	s_xor_b64 s[8:9], exec, s[8:9]
; %bb.747:
	v_bfe_u32 v4, v3, 21, 1
	s_mov_b32 s10, 0x80fffff
	v_add3_u32 v4, v3, v4, s10
	v_lshrrev_b32_e32 v4, 21, v4
; %bb.748:
	s_andn2_saveexec_b64 s[8:9], s[8:9]
; %bb.749:
	s_mov_b32 s10, 0x43000000
	v_add_f32_e64 v4, |v3|, s10
; %bb.750:
	s_or_b64 exec, exec, s[8:9]
                                        ; implicit-def: $vgpr5
.LBB441_751:
	s_andn2_saveexec_b64 s[6:7], s[6:7]
; %bb.752:
	s_mov_b32 s8, 0x7f800000
	v_mov_b32_e32 v4, 0x7c
	v_mov_b32_e32 v6, 0x7f
	v_cmp_lt_u32_e32 vcc, s8, v5
	s_nop 1
	v_cndmask_b32_e32 v4, v4, v6, vcc
; %bb.753:
	s_or_b64 exec, exec, s[6:7]
	v_lshrrev_b32_e32 v3, 24, v3
	s_movk_i32 s6, 0x80
	v_and_or_b32 v3, v3, s6, v4
	global_store_byte v[0:1], v3, off
.LBB441_754:
	s_mov_b64 s[8:9], 0
	s_mov_b64 s[6:7], -1
.LBB441_755:
	s_andn2_b64 vcc, exec, s[8:9]
	s_cbranch_vccnz .LBB441_763
; %bb.756:
	s_cmp_gt_i32 s13, 14
	s_mov_b64 s[8:9], -1
	s_cbranch_scc0 .LBB441_760
; %bb.757:
	s_cmp_eq_u32 s13, 15
	s_mov_b64 s[2:3], -1
	s_cbranch_scc0 .LBB441_759
; %bb.758:
	v_cvt_f32_i32_e32 v3, v2
	s_movk_i32 s2, 0x7fff
	s_mov_b64 s[6:7], -1
	v_bfe_u32 v4, v3, 16, 1
	v_add3_u32 v3, v3, v4, s2
	global_store_short_d16_hi v[0:1], v3, off
	s_mov_b64 s[2:3], 0
.LBB441_759:
	s_mov_b64 s[8:9], 0
.LBB441_760:
	s_and_b64 vcc, exec, s[8:9]
	s_cbranch_vccz .LBB441_763
; %bb.761:
	s_cmp_eq_u32 s13, 11
	s_mov_b64 s[2:3], -1
	s_cbranch_scc0 .LBB441_763
; %bb.762:
	v_cmp_ne_u32_e32 vcc, 0, v2
	s_mov_b64 s[6:7], -1
	s_mov_b64 s[2:3], 0
	v_cndmask_b32_e64 v3, 0, 1, vcc
	global_store_byte v[0:1], v3, off
.LBB441_763:
	s_mov_b64 s[8:9], 0
.LBB441_764:
	s_and_b64 vcc, exec, s[8:9]
	s_cbranch_vccz .LBB441_803
; %bb.765:
	s_and_b32 s8, 0xffff, s12
	s_cmp_lt_i32 s8, 5
	s_mov_b64 s[6:7], -1
	s_cbranch_scc1 .LBB441_786
; %bb.766:
	s_cmp_lt_i32 s8, 8
	s_cbranch_scc1 .LBB441_776
; %bb.767:
	s_cmp_lt_i32 s8, 9
	s_cbranch_scc1 .LBB441_773
; %bb.768:
	s_cmp_gt_i32 s8, 9
	s_cbranch_scc0 .LBB441_770
; %bb.769:
	v_mov_b32_e32 v6, 0
	v_cvt_f64_i32_e32 v[4:5], v2
	v_mov_b32_e32 v7, v6
	s_mov_b64 s[6:7], 0
	global_store_dwordx4 v[0:1], v[4:7], off
.LBB441_770:
	s_andn2_b64 vcc, exec, s[6:7]
	s_cbranch_vccnz .LBB441_772
; %bb.771:
	v_cvt_f32_i32_e32 v4, v2
	v_mov_b32_e32 v5, 0
	global_store_dwordx2 v[0:1], v[4:5], off
.LBB441_772:
	s_mov_b64 s[6:7], 0
.LBB441_773:
	s_andn2_b64 vcc, exec, s[6:7]
	s_cbranch_vccnz .LBB441_775
; %bb.774:
	v_cvt_f32_i32_e32 v3, v2
	v_cvt_f16_f32_e32 v3, v3
	global_store_dword v[0:1], v3, off
.LBB441_775:
	s_mov_b64 s[6:7], 0
.LBB441_776:
	s_andn2_b64 vcc, exec, s[6:7]
	s_cbranch_vccnz .LBB441_785
; %bb.777:
	s_cmp_lt_i32 s8, 6
	s_mov_b64 s[6:7], -1
	s_cbranch_scc1 .LBB441_783
; %bb.778:
	s_cmp_gt_i32 s8, 6
	s_cbranch_scc0 .LBB441_780
; %bb.779:
	v_cvt_f64_i32_e32 v[4:5], v2
	s_mov_b64 s[6:7], 0
	global_store_dwordx2 v[0:1], v[4:5], off
.LBB441_780:
	s_andn2_b64 vcc, exec, s[6:7]
	s_cbranch_vccnz .LBB441_782
; %bb.781:
	v_cvt_f32_i32_e32 v3, v2
	global_store_dword v[0:1], v3, off
.LBB441_782:
	s_mov_b64 s[6:7], 0
.LBB441_783:
	s_andn2_b64 vcc, exec, s[6:7]
	s_cbranch_vccnz .LBB441_785
; %bb.784:
	v_cvt_f32_i32_e32 v3, v2
	v_cvt_f16_f32_e32 v3, v3
	global_store_short v[0:1], v3, off
.LBB441_785:
	s_mov_b64 s[6:7], 0
.LBB441_786:
	s_andn2_b64 vcc, exec, s[6:7]
	s_cbranch_vccnz .LBB441_802
; %bb.787:
	s_cmp_lt_i32 s8, 2
	s_mov_b64 s[6:7], -1
	s_cbranch_scc1 .LBB441_797
; %bb.788:
	s_cmp_lt_i32 s8, 3
	s_cbranch_scc1 .LBB441_794
; %bb.789:
	s_cmp_gt_i32 s8, 3
	s_cbranch_scc0 .LBB441_791
; %bb.790:
	v_ashrrev_i32_e32 v3, 31, v2
	s_mov_b64 s[6:7], 0
	global_store_dwordx2 v[0:1], v[2:3], off
.LBB441_791:
	s_andn2_b64 vcc, exec, s[6:7]
	s_cbranch_vccnz .LBB441_793
; %bb.792:
	global_store_dword v[0:1], v2, off
.LBB441_793:
	s_mov_b64 s[6:7], 0
.LBB441_794:
	s_andn2_b64 vcc, exec, s[6:7]
	s_cbranch_vccnz .LBB441_796
; %bb.795:
	global_store_short v[0:1], v2, off
.LBB441_796:
	s_mov_b64 s[6:7], 0
.LBB441_797:
	s_andn2_b64 vcc, exec, s[6:7]
	s_cbranch_vccnz .LBB441_802
; %bb.798:
	s_cmp_gt_i32 s8, 0
	s_mov_b64 s[6:7], -1
	s_cbranch_scc0 .LBB441_800
; %bb.799:
	s_mov_b64 s[6:7], 0
	global_store_byte v[0:1], v2, off
.LBB441_800:
	s_andn2_b64 vcc, exec, s[6:7]
	s_cbranch_vccnz .LBB441_802
; %bb.801:
	global_store_byte v[0:1], v2, off
.LBB441_802:
	s_mov_b64 s[6:7], -1
.LBB441_803:
	s_andn2_b64 vcc, exec, s[6:7]
	s_cbranch_vccnz .LBB441_805
; %bb.804:
	v_add_u32_e32 v8, 0x80, v8
	s_mov_b64 s[6:7], -1
	s_branch .LBB441_807
.LBB441_805:
	s_mov_b64 s[6:7], 0
.LBB441_806:
                                        ; implicit-def: $vgpr8
.LBB441_807:
	s_andn2_b64 s[8:9], s[64:65], exec
	s_and_b64 s[2:3], s[2:3], exec
	s_or_b64 s[70:71], s[8:9], s[2:3]
	s_andn2_b64 s[2:3], s[62:63], exec
	s_and_b64 s[4:5], s[4:5], exec
	s_or_b64 s[2:3], s[2:3], s[4:5]
	s_orn2_b64 s[6:7], s[6:7], exec
.LBB441_808:
	s_or_b64 exec, exec, s[68:69]
	s_mov_b64 s[4:5], 0
	s_mov_b64 s[10:11], 0
	;; [unrolled: 1-line block ×3, first 2 shown]
                                        ; implicit-def: $vgpr2_vgpr3
                                        ; implicit-def: $vgpr0
                                        ; implicit-def: $vgpr1
	s_and_saveexec_b64 s[68:69], s[6:7]
	s_cbranch_execz .LBB441_904
; %bb.809:
	v_cmp_gt_i32_e32 vcc, s72, v8
	s_mov_b64 s[6:7], 0
	s_mov_b64 s[12:13], s[2:3]
                                        ; implicit-def: $vgpr2_vgpr3
                                        ; implicit-def: $vgpr0
                                        ; implicit-def: $vgpr1
	s_and_saveexec_b64 s[72:73], vcc
	s_cbranch_execz .LBB441_903
; %bb.810:
	s_andn2_b64 vcc, exec, s[42:43]
	s_cbranch_vccnz .LBB441_816
; %bb.811:
	s_andn2_b64 vcc, exec, s[54:55]
	s_cbranch_vccnz .LBB441_817
; %bb.812:
	s_add_i32 s77, s76, 1
	s_cmp_eq_u32 s74, 2
	s_cbranch_scc1 .LBB441_818
; %bb.813:
	s_and_b32 s76, s77, 28
	s_mov_b32 s78, 0
	v_mov_b32_e32 v0, 0
	v_mov_b32_e32 v2, 0
	s_mov_b64 s[54:55], s[34:35]
	v_mov_b32_e32 v4, v8
.LBB441_814:                            ; =>This Inner Loop Header: Depth=1
	s_load_dwordx8 s[12:19], s[54:55], 0x4
	s_load_dwordx4 s[36:39], s[54:55], 0x24
	s_load_dwordx8 s[4:11], s[52:53], 0x0
	s_add_u32 s54, s54, 48
	s_addc_u32 s55, s55, 0
	s_waitcnt vmcnt(0) lgkmcnt(0)
	v_mul_hi_u32 v1, s13, v4
	v_add_u32_e32 v1, v4, v1
	v_lshrrev_b32_e32 v1, s14, v1
	v_mul_lo_u32 v3, v1, s12
	v_mul_hi_u32 v5, s16, v1
	v_sub_u32_e32 v3, v4, v3
	v_add_u32_e32 v4, v1, v5
	v_lshrrev_b32_e32 v4, s17, v4
	v_mul_lo_u32 v6, v4, s15
	v_mul_hi_u32 v7, s19, v4
	v_sub_u32_e32 v1, v1, v6
	v_add_u32_e32 v6, v4, v7
	v_mul_lo_u32 v5, v3, s5
	v_mul_lo_u32 v3, v3, s4
	;; [unrolled: 1-line block ×4, first 2 shown]
	v_lshrrev_b32_e32 v6, s36, v6
	v_add3_u32 v0, v3, v0, v1
	v_mul_hi_u32 v3, s38, v6
	v_add3_u32 v1, v5, v2, v7
	v_mul_lo_u32 v2, v6, s18
	v_add_u32_e32 v3, v6, v3
	v_sub_u32_e32 v2, v4, v2
	v_lshrrev_b32_e32 v4, s39, v3
	s_add_i32 s78, s78, 4
	v_mul_lo_u32 v3, v4, s37
	s_add_u32 s52, s52, 32
	v_sub_u32_e32 v3, v6, v3
	s_addc_u32 s53, s53, 0
	v_mul_lo_u32 v5, v2, s8
	v_mul_lo_u32 v2, v2, s9
	;; [unrolled: 1-line block ×4, first 2 shown]
	s_cmp_eq_u32 s76, s78
	v_add3_u32 v2, v2, v1, v3
	v_add3_u32 v0, v5, v0, v6
	s_cbranch_scc0 .LBB441_814
; %bb.815:
	v_mov_b32_e32 v1, v2
	s_branch .LBB441_819
.LBB441_816:
	s_mov_b64 s[4:5], -1
                                        ; implicit-def: $vgpr2
                                        ; implicit-def: $vgpr0
	s_branch .LBB441_823
.LBB441_817:
	v_mov_b32_e32 v2, 0
	v_mov_b32_e32 v0, 0
	s_branch .LBB441_822
.LBB441_818:
	v_mov_b32_e32 v0, 0
	s_mov_b32 s76, 0
	s_waitcnt vmcnt(0)
	v_mov_b32_e32 v1, v0
                                        ; implicit-def: $vgpr2
	v_mov_b32_e32 v4, v8
.LBB441_819:
	s_and_b32 s8, s77, 3
	s_cmp_eq_u32 s8, 0
	s_cbranch_scc1 .LBB441_822
; %bb.820:
	s_lshl_b32 s4, s76, 3
	s_add_u32 s4, s34, s4
	s_addc_u32 s5, s35, 0
	s_add_u32 s4, s4, 0xc4
	s_addc_u32 s5, s5, 0
	s_mul_i32 s6, s76, 12
	s_add_u32 s6, s34, s6
	s_addc_u32 s7, s35, 0
.LBB441_821:                            ; =>This Inner Loop Header: Depth=1
	s_load_dwordx2 s[10:11], s[6:7], 0x4
	s_load_dword s9, s[6:7], 0xc
	s_load_dwordx2 s[12:13], s[4:5], 0x0
	v_mov_b32_e32 v2, v1
	s_add_u32 s6, s6, 12
	s_waitcnt lgkmcnt(0)
	v_mul_hi_u32 v1, s11, v4
	v_add_u32_e32 v1, v4, v1
	v_lshrrev_b32_e32 v1, s9, v1
	s_addc_u32 s7, s7, 0
	v_mul_lo_u32 v3, v1, s10
	s_add_u32 s4, s4, 8
	v_sub_u32_e32 v5, v4, v3
	s_addc_u32 s5, s5, 0
	s_add_i32 s8, s8, -1
	v_mov_b32_e32 v4, v1
	v_mad_u64_u32 v[2:3], s[10:11], v5, s13, v[2:3]
	v_mad_u64_u32 v[0:1], s[10:11], v5, s12, v[0:1]
	s_cmp_lg_u32 s8, 0
	v_mov_b32_e32 v1, v2
	s_cbranch_scc1 .LBB441_821
.LBB441_822:
	s_mov_b64 s[4:5], 0
.LBB441_823:
	s_andn2_b64 vcc, exec, s[4:5]
	s_cbranch_vccnz .LBB441_826
; %bb.824:
	v_mul_hi_u32 v0, s25, v8
	v_add_u32_e32 v0, v8, v0
	s_waitcnt vmcnt(0)
	v_lshrrev_b32_e32 v1, s26, v0
	v_mul_lo_u32 v0, v1, s24
	v_sub_u32_e32 v0, v8, v0
	v_mul_lo_u32 v2, v0, s29
	s_andn2_b64 vcc, exec, s[50:51]
	v_mul_lo_u32 v0, v0, s28
	s_cbranch_vccnz .LBB441_826
; %bb.825:
	v_mul_hi_u32 v3, s48, v1
	v_add_u32_e32 v3, v1, v3
	v_lshrrev_b32_e32 v3, s49, v3
	v_mul_lo_u32 v3, v3, s27
	v_sub_u32_e32 v3, v1, v3
	v_mad_u64_u32 v[0:1], s[4:5], v3, s30, v[0:1]
	v_mad_u64_u32 v[2:3], s[4:5], v3, s31, v[2:3]
.LBB441_826:
	v_mov_b32_e32 v3, 0
	s_and_b32 s12, 0xffff, s75
	s_cmp_lt_i32 s12, 11
	v_lshl_add_u64 v[2:3], s[22:23], 0, v[2:3]
	s_cbranch_scc1 .LBB441_833
; %bb.827:
	s_cmp_gt_i32 s12, 25
	s_mov_b64 s[6:7], 0
	s_cbranch_scc0 .LBB441_834
; %bb.828:
	s_cmp_gt_i32 s12, 28
	s_cbranch_scc0 .LBB441_835
; %bb.829:
	s_cmp_gt_i32 s12, 43
	s_cbranch_scc0 .LBB441_836
; %bb.830:
	s_cmp_gt_i32 s12, 45
	s_cbranch_scc0 .LBB441_839
; %bb.831:
	s_cmp_eq_u32 s12, 46
	s_mov_b64 s[10:11], 0
	s_cbranch_scc0 .LBB441_842
; %bb.832:
	global_load_dword v1, v[2:3], off
	s_mov_b64 s[4:5], 0
	s_mov_b64 s[8:9], -1
	s_waitcnt vmcnt(0)
	v_lshlrev_b32_e32 v1, 16, v1
	v_cvt_i32_f32_e32 v1, v1
	s_branch .LBB441_843
.LBB441_833:
	s_mov_b64 s[10:11], -1
	s_mov_b64 s[8:9], 0
	s_mov_b64 s[6:7], 0
	;; [unrolled: 1-line block ×3, first 2 shown]
                                        ; implicit-def: $vgpr1
	s_branch .LBB441_902
.LBB441_834:
	s_mov_b64 s[10:11], -1
	s_mov_b64 s[8:9], 0
	s_mov_b64 s[4:5], s[2:3]
                                        ; implicit-def: $vgpr1
	s_branch .LBB441_870
.LBB441_835:
	s_mov_b64 s[10:11], -1
	s_mov_b64 s[8:9], 0
	s_mov_b64 s[4:5], s[2:3]
                                        ; implicit-def: $vgpr1
	s_branch .LBB441_853
.LBB441_836:
	s_mov_b64 s[10:11], -1
	s_mov_b64 s[8:9], 0
	s_mov_b64 s[4:5], s[2:3]
                                        ; implicit-def: $vgpr1
	s_branch .LBB441_848
.LBB441_837:
	s_andn2_saveexec_b64 s[10:11], s[10:11]
	s_cbranch_execz .LBB441_716
.LBB441_838:
	s_mov_b32 s14, 0x46000000
	v_add_f32_e64 v4, |v3|, s14
	v_and_b32_e32 v4, 0xff, v4
	v_cmp_ne_u32_e32 vcc, 0, v4
	s_andn2_b64 s[8:9], s[8:9], exec
	s_and_b64 s[14:15], vcc, exec
	s_or_b64 s[8:9], s[8:9], s[14:15]
	s_or_b64 exec, exec, s[10:11]
	v_mov_b32_e32 v5, 0
	s_and_saveexec_b64 s[10:11], s[8:9]
	s_cbranch_execnz .LBB441_717
	s_branch .LBB441_718
.LBB441_839:
	s_mov_b64 s[10:11], -1
	s_mov_b64 s[8:9], 0
	s_mov_b64 s[4:5], s[2:3]
                                        ; implicit-def: $vgpr1
	s_branch .LBB441_843
.LBB441_840:
	s_andn2_saveexec_b64 s[10:11], s[10:11]
	s_cbranch_execz .LBB441_729
.LBB441_841:
	s_mov_b32 s14, 0x42800000
	v_add_f32_e64 v4, |v3|, s14
	v_and_b32_e32 v4, 0xff, v4
	v_cmp_ne_u32_e32 vcc, 0, v4
	s_andn2_b64 s[8:9], s[8:9], exec
	s_and_b64 s[14:15], vcc, exec
	s_or_b64 s[8:9], s[8:9], s[14:15]
	s_or_b64 exec, exec, s[10:11]
	v_mov_b32_e32 v5, 0
	s_and_saveexec_b64 s[10:11], s[8:9]
	s_cbranch_execnz .LBB441_730
	s_branch .LBB441_731
.LBB441_842:
	s_mov_b64 s[4:5], -1
                                        ; implicit-def: $vgpr1
	s_mov_b64 s[8:9], 0
.LBB441_843:
	s_and_b64 vcc, exec, s[10:11]
	s_cbranch_vccz .LBB441_847
; %bb.844:
	s_cmp_eq_u32 s12, 44
	s_cbranch_scc0 .LBB441_846
; %bb.845:
	global_load_ubyte v1, v[2:3], off
	s_mov_b64 s[4:5], 0
	s_mov_b64 s[8:9], -1
	s_waitcnt vmcnt(0)
	v_lshlrev_b32_e32 v4, 23, v1
	v_cvt_i32_f32_e32 v4, v4
	v_cmp_ne_u32_e32 vcc, 0, v1
	s_nop 1
	v_cndmask_b32_e32 v1, 0, v4, vcc
	s_branch .LBB441_847
.LBB441_846:
	s_mov_b64 s[4:5], -1
                                        ; implicit-def: $vgpr1
.LBB441_847:
	s_mov_b64 s[10:11], 0
.LBB441_848:
	s_and_b64 vcc, exec, s[10:11]
	s_cbranch_vccz .LBB441_852
; %bb.849:
	s_cmp_eq_u32 s12, 29
	s_cbranch_scc0 .LBB441_851
; %bb.850:
	global_load_dword v1, v[2:3], off
	s_mov_b64 s[4:5], 0
	s_mov_b64 s[8:9], -1
	s_branch .LBB441_852
.LBB441_851:
	s_mov_b64 s[4:5], -1
                                        ; implicit-def: $vgpr1
.LBB441_852:
	s_mov_b64 s[10:11], 0
.LBB441_853:
	s_and_b64 vcc, exec, s[10:11]
	s_cbranch_vccz .LBB441_869
; %bb.854:
	s_cmp_lt_i32 s12, 27
	s_cbranch_scc1 .LBB441_857
; %bb.855:
	s_cmp_gt_i32 s12, 27
	s_cbranch_scc0 .LBB441_858
; %bb.856:
	global_load_dword v1, v[2:3], off
	s_mov_b64 s[8:9], 0
	s_branch .LBB441_859
.LBB441_857:
	s_mov_b64 s[8:9], -1
                                        ; implicit-def: $vgpr1
	s_branch .LBB441_862
.LBB441_858:
	s_mov_b64 s[8:9], -1
                                        ; implicit-def: $vgpr1
.LBB441_859:
	s_andn2_b64 vcc, exec, s[8:9]
	s_cbranch_vccnz .LBB441_861
; %bb.860:
	global_load_ushort v1, v[2:3], off
.LBB441_861:
	s_mov_b64 s[8:9], 0
.LBB441_862:
	s_andn2_b64 vcc, exec, s[8:9]
	s_cbranch_vccnz .LBB441_868
; %bb.863:
	global_load_ubyte v4, v[2:3], off
	s_movk_i32 s8, 0x7f
	s_mov_b64 s[10:11], 0
	s_waitcnt vmcnt(0)
	v_cmp_lt_i16_e32 vcc, s8, v4
	s_and_saveexec_b64 s[8:9], vcc
	s_xor_b64 s[8:9], exec, s[8:9]
	s_cbranch_execz .LBB441_880
; %bb.864:
	s_movk_i32 s10, 0x80
	v_cmp_ne_u16_e32 vcc, s10, v4
	s_and_b64 s[10:11], vcc, exec
	s_andn2_saveexec_b64 s[8:9], s[8:9]
	s_cbranch_execnz .LBB441_881
.LBB441_865:
	s_or_b64 exec, exec, s[8:9]
	v_mov_b32_e32 v1, 0
	s_and_saveexec_b64 s[8:9], s[10:11]
	s_cbranch_execz .LBB441_867
.LBB441_866:
	v_lshlrev_b32_e32 v1, 24, v4
	v_and_b32_e32 v4, 0xffff, v4
	v_and_b32_e32 v5, 7, v4
	v_ffbh_u32_e32 v7, v5
	v_min_u32_e32 v7, 32, v7
	v_subrev_u32_e32 v8, 28, v7
	v_bfe_u32 v6, v4, 3, 4
	v_lshlrev_b32_e32 v4, v8, v4
	v_sub_u32_e32 v7, 29, v7
	v_and_b32_e32 v4, 7, v4
	v_cmp_eq_u32_e32 vcc, 0, v6
	v_and_b32_e32 v1, 0x80000000, v1
	s_nop 0
	v_cndmask_b32_e32 v6, v6, v7, vcc
	v_cndmask_b32_e32 v4, v5, v4, vcc
	v_mov_b32_e32 v5, 0x3b800000
	v_lshlrev_b32_e32 v4, 20, v4
	v_lshl_add_u32 v5, v6, 23, v5
	v_or3_b32 v1, v1, v5, v4
	v_cvt_i32_f32_e32 v1, v1
.LBB441_867:
	s_or_b64 exec, exec, s[8:9]
.LBB441_868:
	s_mov_b64 s[8:9], -1
.LBB441_869:
	s_mov_b64 s[10:11], 0
.LBB441_870:
	s_and_b64 vcc, exec, s[10:11]
	s_cbranch_vccz .LBB441_901
; %bb.871:
	s_cmp_gt_i32 s12, 22
	s_cbranch_scc0 .LBB441_879
; %bb.872:
	s_cmp_lt_i32 s12, 24
	s_cbranch_scc1 .LBB441_882
; %bb.873:
	s_cmp_gt_i32 s12, 24
	s_cbranch_scc0 .LBB441_883
; %bb.874:
	global_load_ubyte v4, v[2:3], off
	s_movk_i32 s6, 0x7f
	s_mov_b64 s[8:9], 0
	s_waitcnt vmcnt(0)
	v_cmp_lt_i16_e32 vcc, s6, v4
	s_and_saveexec_b64 s[6:7], vcc
	s_xor_b64 s[6:7], exec, s[6:7]
	s_cbranch_execz .LBB441_895
; %bb.875:
	s_movk_i32 s8, 0x80
	v_cmp_ne_u16_e32 vcc, s8, v4
	s_and_b64 s[8:9], vcc, exec
	s_andn2_saveexec_b64 s[6:7], s[6:7]
	s_cbranch_execnz .LBB441_896
.LBB441_876:
	s_or_b64 exec, exec, s[6:7]
	v_mov_b32_e32 v1, 0
	s_and_saveexec_b64 s[6:7], s[8:9]
	s_cbranch_execz .LBB441_878
.LBB441_877:
	v_lshlrev_b32_e32 v1, 24, v4
	v_and_b32_e32 v4, 0xffff, v4
	v_and_b32_e32 v5, 3, v4
	v_ffbh_u32_e32 v7, v5
	v_min_u32_e32 v7, 32, v7
	v_subrev_u32_e32 v8, 29, v7
	v_bfe_u32 v6, v4, 2, 5
	v_lshlrev_b32_e32 v4, v8, v4
	v_sub_u32_e32 v7, 30, v7
	v_and_b32_e32 v4, 3, v4
	v_cmp_eq_u32_e32 vcc, 0, v6
	v_and_b32_e32 v1, 0x80000000, v1
	s_nop 0
	v_cndmask_b32_e32 v6, v6, v7, vcc
	v_cndmask_b32_e32 v4, v5, v4, vcc
	v_mov_b32_e32 v5, 0x37800000
	v_lshlrev_b32_e32 v4, 21, v4
	v_lshl_add_u32 v5, v6, 23, v5
	v_or3_b32 v1, v1, v5, v4
	v_cvt_i32_f32_e32 v1, v1
.LBB441_878:
	s_or_b64 exec, exec, s[6:7]
	s_mov_b64 s[6:7], 0
	s_branch .LBB441_884
.LBB441_879:
	s_mov_b64 s[6:7], -1
                                        ; implicit-def: $vgpr1
	s_branch .LBB441_890
.LBB441_880:
	s_andn2_saveexec_b64 s[8:9], s[8:9]
	s_cbranch_execz .LBB441_865
.LBB441_881:
	v_cmp_ne_u16_e32 vcc, 0, v4
	s_andn2_b64 s[10:11], s[10:11], exec
	s_and_b64 s[14:15], vcc, exec
	s_or_b64 s[10:11], s[10:11], s[14:15]
	s_or_b64 exec, exec, s[8:9]
	v_mov_b32_e32 v1, 0
	s_and_saveexec_b64 s[8:9], s[10:11]
	s_cbranch_execnz .LBB441_866
	s_branch .LBB441_867
.LBB441_882:
	s_mov_b64 s[6:7], -1
                                        ; implicit-def: $vgpr1
	s_branch .LBB441_887
.LBB441_883:
	s_mov_b64 s[6:7], -1
                                        ; implicit-def: $vgpr1
.LBB441_884:
	s_and_b64 vcc, exec, s[6:7]
	s_cbranch_vccz .LBB441_886
; %bb.885:
	global_load_ubyte v1, v[2:3], off
	s_mov_b32 s6, 0x7f800000
	s_waitcnt vmcnt(0)
	v_lshlrev_b32_e32 v1, 24, v1
	v_and_b32_e32 v4, 0x7f000000, v1
	v_ffbh_u32_e32 v5, v4
	v_min_u32_e32 v5, 32, v5
	v_sub_u32_e64 v5, v5, 4 clamp
	v_lshlrev_b32_e32 v7, v5, v4
	v_lshlrev_b32_e32 v5, 23, v5
	v_lshrrev_b32_e32 v7, 4, v7
	v_add_u32_e32 v6, 0x1000000, v4
	v_sub_u32_e32 v5, v7, v5
	v_ashrrev_i32_e32 v6, 8, v6
	v_add_u32_e32 v5, 0x3c000000, v5
	v_and_or_b32 v5, v6, s6, v5
	v_cmp_ne_u32_e32 vcc, 0, v4
	s_brev_b32 s6, 1
	s_nop 0
	v_cndmask_b32_e32 v4, 0, v5, vcc
	v_and_or_b32 v1, v1, s6, v4
	v_cvt_i32_f32_e32 v1, v1
.LBB441_886:
	s_mov_b64 s[6:7], 0
.LBB441_887:
	s_andn2_b64 vcc, exec, s[6:7]
	s_cbranch_vccnz .LBB441_889
; %bb.888:
	global_load_ubyte v1, v[2:3], off
	s_movk_i32 s6, 0x7f00
	s_brev_b32 s7, 16
	s_waitcnt vmcnt(0)
	v_lshlrev_b16_e32 v4, 8, v1
	v_lshlrev_b32_e32 v1, 25, v1
	v_lshrrev_b32_e32 v5, 4, v1
	v_and_or_b32 v6, v4, s6, 0.5
	v_or_b32_e32 v5, 0x70000000, v5
	v_add_f32_e32 v6, -0.5, v6
	v_mul_f32_e32 v5, 0x7800000, v5
	v_cmp_gt_u32_e32 vcc, s7, v1
	v_bfe_i32 v4, v4, 0, 16
	s_brev_b32 s6, 1
	v_cndmask_b32_e32 v1, v5, v6, vcc
	v_and_or_b32 v1, v4, s6, v1
	v_cvt_i32_f32_e32 v1, v1
.LBB441_889:
	s_mov_b64 s[6:7], 0
	s_mov_b64 s[8:9], -1
.LBB441_890:
	s_andn2_b64 vcc, exec, s[6:7]
	s_mov_b64 s[6:7], 0
	s_cbranch_vccnz .LBB441_901
; %bb.891:
	s_cmp_gt_i32 s12, 14
	s_cbranch_scc0 .LBB441_894
; %bb.892:
	s_cmp_eq_u32 s12, 15
	s_cbranch_scc0 .LBB441_897
; %bb.893:
	global_load_ushort v1, v[2:3], off
	s_mov_b64 s[4:5], 0
	s_mov_b64 s[8:9], -1
	s_waitcnt vmcnt(0)
	v_lshlrev_b32_e32 v1, 16, v1
	v_cvt_i32_f32_e32 v1, v1
	s_branch .LBB441_898
.LBB441_894:
	s_mov_b64 s[10:11], -1
                                        ; implicit-def: $vgpr1
	s_branch .LBB441_899
.LBB441_895:
	s_andn2_saveexec_b64 s[6:7], s[6:7]
	s_cbranch_execz .LBB441_876
.LBB441_896:
	v_cmp_ne_u16_e32 vcc, 0, v4
	s_andn2_b64 s[8:9], s[8:9], exec
	s_and_b64 s[10:11], vcc, exec
	s_or_b64 s[8:9], s[8:9], s[10:11]
	s_or_b64 exec, exec, s[6:7]
	v_mov_b32_e32 v1, 0
	s_and_saveexec_b64 s[6:7], s[8:9]
	s_cbranch_execnz .LBB441_877
	s_branch .LBB441_878
.LBB441_897:
	s_mov_b64 s[4:5], -1
                                        ; implicit-def: $vgpr1
.LBB441_898:
	s_mov_b64 s[10:11], 0
.LBB441_899:
	s_and_b64 vcc, exec, s[10:11]
	s_cbranch_vccz .LBB441_901
; %bb.900:
	s_cmp_lg_u32 s12, 11
	s_cselect_b64 s[10:11], -1, 0
	s_andn2_b64 s[4:5], s[4:5], exec
	s_and_b64 s[10:11], s[10:11], exec
	s_mov_b64 s[6:7], -1
	s_or_b64 s[4:5], s[4:5], s[10:11]
.LBB441_901:
	s_mov_b64 s[10:11], 0
.LBB441_902:
	s_andn2_b64 s[12:13], s[2:3], exec
	s_and_b64 s[4:5], s[4:5], exec
	s_and_b64 s[8:9], s[8:9], exec
	;; [unrolled: 1-line block ×4, first 2 shown]
	s_or_b64 s[12:13], s[12:13], s[4:5]
.LBB441_903:
	s_or_b64 exec, exec, s[72:73]
	s_and_b64 s[4:5], s[6:7], exec
	s_andn2_b64 s[2:3], s[2:3], exec
	s_and_b64 s[6:7], s[12:13], exec
	s_and_b64 s[8:9], s[8:9], exec
	;; [unrolled: 1-line block ×3, first 2 shown]
	s_or_b64 s[2:3], s[2:3], s[6:7]
.LBB441_904:
	s_or_b64 exec, exec, s[68:69]
	s_andn2_b64 s[6:7], s[64:65], exec
	s_and_b64 s[12:13], s[70:71], exec
	s_or_b64 s[64:65], s[6:7], s[12:13]
	s_and_b64 s[6:7], s[10:11], exec
	s_andn2_b64 s[10:11], s[62:63], exec
	s_and_b64 s[2:3], s[2:3], exec
	s_and_b64 s[8:9], s[8:9], exec
	;; [unrolled: 1-line block ×3, first 2 shown]
	s_or_b64 s[62:63], s[10:11], s[2:3]
.LBB441_905:
	s_or_b64 exec, exec, s[66:67]
	s_andn2_b64 s[2:3], s[56:57], exec
	s_and_b64 s[10:11], s[64:65], exec
	s_or_b64 s[56:57], s[2:3], s[10:11]
	s_and_b64 s[2:3], s[8:9], exec
	s_and_b64 s[8:9], s[6:7], exec
	;; [unrolled: 1-line block ×3, first 2 shown]
	s_andn2_b64 s[4:5], s[58:59], exec
	s_and_b64 s[6:7], s[62:63], exec
	s_or_b64 s[58:59], s[4:5], s[6:7]
	s_or_b64 exec, exec, s[60:61]
	s_mov_b64 s[4:5], 0
	s_and_saveexec_b64 s[6:7], s[58:59]
	s_cbranch_execz .LBB441_272
.LBB441_906:
	s_mov_b64 s[4:5], exec
	s_andn2_b64 s[64:65], s[64:65], exec
	s_trap 2
	s_or_b64 exec, exec, s[6:7]
	s_and_saveexec_b64 s[6:7], s[64:65]
	s_xor_b64 s[6:7], exec, s[6:7]
	s_cbranch_execnz .LBB441_273
.LBB441_907:
	s_or_b64 exec, exec, s[6:7]
	s_and_saveexec_b64 s[6:7], s[8:9]
	s_cbranch_execz .LBB441_953
.LBB441_908:
	s_sext_i32_i16 s8, s75
	s_cmp_lt_i32 s8, 5
	s_cbranch_scc1 .LBB441_913
; %bb.909:
	s_cmp_lt_i32 s8, 8
	s_cbranch_scc1 .LBB441_914
; %bb.910:
	;; [unrolled: 3-line block ×3, first 2 shown]
	s_cmp_gt_i32 s8, 9
	s_cbranch_scc0 .LBB441_916
; %bb.912:
	global_load_dwordx2 v[4:5], v[2:3], off
	s_mov_b64 s[8:9], 0
	s_waitcnt vmcnt(0)
	v_cvt_i32_f64_e32 v1, v[4:5]
	s_branch .LBB441_917
.LBB441_913:
                                        ; implicit-def: $vgpr1
	s_branch .LBB441_934
.LBB441_914:
                                        ; implicit-def: $vgpr1
	s_branch .LBB441_923
.LBB441_915:
	s_mov_b64 s[8:9], -1
                                        ; implicit-def: $vgpr1
	s_branch .LBB441_920
.LBB441_916:
	s_mov_b64 s[8:9], -1
                                        ; implicit-def: $vgpr1
.LBB441_917:
	s_andn2_b64 vcc, exec, s[8:9]
	s_cbranch_vccnz .LBB441_919
; %bb.918:
	global_load_dword v1, v[2:3], off
	s_waitcnt vmcnt(0)
	v_cvt_i32_f32_e32 v1, v1
.LBB441_919:
	s_mov_b64 s[8:9], 0
.LBB441_920:
	s_andn2_b64 vcc, exec, s[8:9]
	s_cbranch_vccnz .LBB441_922
; %bb.921:
	global_load_dword v1, v[2:3], off
	s_waitcnt vmcnt(0)
	v_cvt_f32_f16_e32 v1, v1
	v_cvt_i32_f32_e32 v1, v1
.LBB441_922:
	s_cbranch_execnz .LBB441_933
.LBB441_923:
	s_sext_i32_i16 s8, s75
	s_cmp_lt_i32 s8, 6
	s_cbranch_scc1 .LBB441_926
; %bb.924:
	s_cmp_gt_i32 s8, 6
	s_cbranch_scc0 .LBB441_927
; %bb.925:
	global_load_dwordx2 v[4:5], v[2:3], off
	s_mov_b64 s[8:9], 0
	s_waitcnt vmcnt(0)
	v_cvt_i32_f64_e32 v1, v[4:5]
	s_branch .LBB441_928
.LBB441_926:
	s_mov_b64 s[8:9], -1
                                        ; implicit-def: $vgpr1
	s_branch .LBB441_931
.LBB441_927:
	s_mov_b64 s[8:9], -1
                                        ; implicit-def: $vgpr1
.LBB441_928:
	s_andn2_b64 vcc, exec, s[8:9]
	s_cbranch_vccnz .LBB441_930
; %bb.929:
	global_load_dword v1, v[2:3], off
	s_waitcnt vmcnt(0)
	v_cvt_i32_f32_e32 v1, v1
.LBB441_930:
	s_mov_b64 s[8:9], 0
.LBB441_931:
	s_andn2_b64 vcc, exec, s[8:9]
	s_cbranch_vccnz .LBB441_933
; %bb.932:
	global_load_ushort v1, v[2:3], off
	s_waitcnt vmcnt(0)
	v_cvt_f32_f16_e32 v1, v1
	v_cvt_i32_f32_e32 v1, v1
.LBB441_933:
	s_cbranch_execnz .LBB441_952
.LBB441_934:
	s_sext_i32_i16 s8, s75
	s_cmp_lt_i32 s8, 2
	s_cbranch_scc1 .LBB441_938
; %bb.935:
	s_cmp_lt_i32 s8, 3
	s_cbranch_scc1 .LBB441_939
; %bb.936:
	s_cmp_gt_i32 s8, 3
	s_cbranch_scc0 .LBB441_940
; %bb.937:
	global_load_dword v1, v[2:3], off
	s_mov_b64 s[8:9], 0
	s_branch .LBB441_941
.LBB441_938:
                                        ; implicit-def: $vgpr1
	s_branch .LBB441_947
.LBB441_939:
	s_mov_b64 s[8:9], -1
                                        ; implicit-def: $vgpr1
	s_branch .LBB441_944
.LBB441_940:
	s_mov_b64 s[8:9], -1
                                        ; implicit-def: $vgpr1
.LBB441_941:
	s_andn2_b64 vcc, exec, s[8:9]
	s_cbranch_vccnz .LBB441_943
; %bb.942:
	global_load_dword v1, v[2:3], off
.LBB441_943:
	s_mov_b64 s[8:9], 0
.LBB441_944:
	s_andn2_b64 vcc, exec, s[8:9]
	s_cbranch_vccnz .LBB441_946
; %bb.945:
	global_load_sshort v1, v[2:3], off
.LBB441_946:
	s_cbranch_execnz .LBB441_952
.LBB441_947:
	s_sext_i32_i16 s8, s75
	s_cmp_gt_i32 s8, 0
	s_cbranch_scc0 .LBB441_949
; %bb.948:
	global_load_sbyte v1, v[2:3], off
	s_mov_b64 s[8:9], 0
	s_branch .LBB441_950
.LBB441_949:
	s_mov_b64 s[8:9], -1
                                        ; implicit-def: $vgpr1
.LBB441_950:
	s_andn2_b64 vcc, exec, s[8:9]
	s_cbranch_vccnz .LBB441_952
; %bb.951:
	global_load_ubyte v1, v[2:3], off
.LBB441_952:
	s_or_b64 s[2:3], s[2:3], exec
.LBB441_953:
	s_or_b64 exec, exec, s[6:7]
	s_mov_b64 s[10:11], 0
	s_mov_b64 s[8:9], 0
                                        ; implicit-def: $sgpr16
                                        ; implicit-def: $vgpr4_vgpr5
                                        ; implicit-def: $vgpr2
	s_and_saveexec_b64 s[6:7], s[2:3]
	s_cbranch_execz .LBB441_961
; %bb.954:
	s_waitcnt vmcnt(0)
	v_min_i32_e32 v2, s46, v1
	v_mov_b32_e32 v1, 0
	s_and_b32 s16, s47, 0xff
	s_cmp_lt_i32 s16, 11
	v_lshl_add_u64 v[4:5], s[20:21], 0, v[0:1]
	s_cbranch_scc1 .LBB441_964
; %bb.955:
	s_and_b32 s17, 0xffff, s16
	s_mov_b64 s[10:11], -1
	s_cmp_gt_i32 s17, 25
	s_mov_b64 s[2:3], s[56:57]
	s_cbranch_scc0 .LBB441_992
; %bb.956:
	s_mov_b64 s[8:9], -1
	s_cmp_gt_i32 s17, 28
	s_mov_b64 s[2:3], s[56:57]
	s_cbranch_scc0 .LBB441_976
; %bb.957:
	s_cmp_gt_i32 s17, 43
	s_mov_b64 s[2:3], s[56:57]
	s_cbranch_scc0 .LBB441_972
; %bb.958:
	;; [unrolled: 4-line block ×3, first 2 shown]
	s_cmp_eq_u32 s17, 46
	s_mov_b64 s[2:3], -1
	s_cbranch_scc0 .LBB441_965
; %bb.960:
	v_cvt_f32_i32_e32 v0, v2
	s_movk_i32 s2, 0x7fff
	s_mov_b64 s[8:9], 0
	v_bfe_u32 v1, v0, 16, 1
	v_add3_u32 v0, v0, v1, s2
	v_lshrrev_b32_e32 v0, 16, v0
	global_store_dword v[4:5], v0, off
	s_mov_b64 s[2:3], 0
	s_branch .LBB441_966
.LBB441_961:
	s_or_b64 exec, exec, s[6:7]
	s_and_saveexec_b64 s[2:3], s[56:57]
	s_cbranch_execnz .LBB441_1034
.LBB441_962:
	s_or_b64 exec, exec, s[2:3]
	s_and_saveexec_b64 s[2:3], s[10:11]
	s_xor_b64 s[2:3], exec, s[2:3]
	s_cbranch_execz .LBB441_1035
.LBB441_963:
	v_cmp_ne_u32_e32 vcc, 0, v2
	s_nop 1
	v_cndmask_b32_e64 v0, 0, 1, vcc
	global_store_byte v[4:5], v0, off
	s_or_b64 exec, exec, s[2:3]
	s_and_saveexec_b64 s[2:3], s[8:9]
	s_xor_b64 s[2:3], exec, s[2:3]
	s_cbranch_execz .LBB441_1073
	s_branch .LBB441_1036
.LBB441_964:
	s_mov_b64 s[8:9], -1
	s_mov_b64 s[2:3], s[56:57]
	s_branch .LBB441_1033
.LBB441_965:
	s_mov_b64 s[8:9], 0
.LBB441_966:
	s_and_b64 vcc, exec, s[8:9]
	s_cbranch_vccz .LBB441_971
; %bb.967:
	s_cmp_eq_u32 s17, 44
	s_mov_b64 s[2:3], -1
	s_cbranch_scc0 .LBB441_971
; %bb.968:
	v_cvt_f32_i32_e32 v0, v2
	s_movk_i32 s2, 0xff
	v_mov_b32_e32 v3, 0xff
	v_bfe_u32 v1, v0, 23, 8
	v_cmp_ne_u32_e32 vcc, s2, v1
	s_and_saveexec_b64 s[8:9], vcc
; %bb.969:
	s_mov_b32 s2, 0x3fffff
	v_lshrrev_b32_e32 v3, 23, v0
	v_and_b32_e32 v6, 0x400000, v0
	v_and_or_b32 v0, v0, s2, v1
	v_cmp_ne_u32_e32 vcc, 0, v6
	v_cmp_ne_u32_e64 s[2:3], 0, v0
	s_and_b64 s[2:3], vcc, s[2:3]
	s_nop 0
	v_cndmask_b32_e64 v0, 0, 1, s[2:3]
	v_add_u32_e32 v3, v3, v0
; %bb.970:
	s_or_b64 exec, exec, s[8:9]
	s_mov_b64 s[2:3], 0
	global_store_byte v[4:5], v3, off
.LBB441_971:
	s_mov_b64 s[8:9], 0
.LBB441_972:
	s_and_b64 vcc, exec, s[8:9]
	s_cbranch_vccz .LBB441_975
; %bb.973:
	s_cmp_eq_u32 s17, 29
	s_mov_b64 s[2:3], -1
	s_cbranch_scc0 .LBB441_975
; %bb.974:
	v_ashrrev_i32_e32 v3, 31, v2
	global_store_dwordx2 v[4:5], v[2:3], off
	s_mov_b64 s[2:3], 0
.LBB441_975:
	s_mov_b64 s[8:9], 0
.LBB441_976:
	s_and_b64 vcc, exec, s[8:9]
	s_cbranch_vccz .LBB441_991
; %bb.977:
	s_cmp_lt_i32 s17, 27
	s_mov_b64 s[8:9], -1
	s_cbranch_scc1 .LBB441_983
; %bb.978:
	s_cmp_gt_i32 s17, 27
	s_cbranch_scc0 .LBB441_980
; %bb.979:
	s_mov_b64 s[8:9], 0
	global_store_dword v[4:5], v2, off
.LBB441_980:
	s_andn2_b64 vcc, exec, s[8:9]
	s_cbranch_vccnz .LBB441_982
; %bb.981:
	global_store_short v[4:5], v2, off
.LBB441_982:
	s_mov_b64 s[8:9], 0
.LBB441_983:
	s_andn2_b64 vcc, exec, s[8:9]
	s_cbranch_vccnz .LBB441_991
; %bb.984:
	v_cvt_f32_i32_e32 v0, v2
	s_mov_b32 s8, 0x43800000
	v_mov_b32_e32 v3, 0x80
	v_and_b32_e32 v1, 0x7fffffff, v0
	v_cmp_gt_u32_e32 vcc, s8, v1
	s_and_saveexec_b64 s[8:9], vcc
	s_cbranch_execz .LBB441_990
; %bb.985:
	s_mov_b32 s10, 0x3bffffff
	v_cmp_lt_u32_e32 vcc, s10, v1
	s_mov_b64 s[10:11], 0
                                        ; implicit-def: $vgpr1
	s_and_saveexec_b64 s[12:13], vcc
	s_xor_b64 s[12:13], exec, s[12:13]
	s_cbranch_execz .LBB441_1144
; %bb.986:
	v_bfe_u32 v1, v0, 20, 1
	s_mov_b32 s14, 0x487ffff
	v_add3_u32 v1, v0, v1, s14
	s_mov_b64 s[10:11], exec
	v_lshrrev_b32_e32 v1, 20, v1
	s_andn2_saveexec_b64 s[12:13], s[12:13]
	s_cbranch_execnz .LBB441_1145
.LBB441_987:
	s_or_b64 exec, exec, s[12:13]
	v_mov_b32_e32 v3, 0
	s_and_saveexec_b64 s[12:13], s[10:11]
.LBB441_988:
	v_lshrrev_b32_e32 v0, 24, v0
	s_movk_i32 s10, 0x80
	v_and_or_b32 v3, v0, s10, v1
.LBB441_989:
	s_or_b64 exec, exec, s[12:13]
.LBB441_990:
	s_or_b64 exec, exec, s[8:9]
	global_store_byte v[4:5], v3, off
.LBB441_991:
	s_mov_b64 s[10:11], 0
.LBB441_992:
	s_mov_b64 s[8:9], 0
	s_and_b64 vcc, exec, s[10:11]
	s_cbranch_vccz .LBB441_1032
; %bb.993:
	s_cmp_gt_i32 s17, 22
	s_mov_b64 s[10:11], -1
	s_cbranch_scc0 .LBB441_1025
; %bb.994:
	s_cmp_lt_i32 s17, 24
	s_cbranch_scc1 .LBB441_1014
; %bb.995:
	s_cmp_gt_i32 s17, 24
	s_cbranch_scc0 .LBB441_1003
; %bb.996:
	v_cvt_f32_i32_e32 v0, v2
	s_mov_b32 s10, 0x47800000
	v_mov_b32_e32 v3, 0x80
	v_and_b32_e32 v1, 0x7fffffff, v0
	v_cmp_gt_u32_e32 vcc, s10, v1
	s_and_saveexec_b64 s[10:11], vcc
	s_cbranch_execz .LBB441_1002
; %bb.997:
	s_mov_b32 s12, 0x37ffffff
	v_cmp_lt_u32_e32 vcc, s12, v1
	s_mov_b64 s[12:13], 0
                                        ; implicit-def: $vgpr1
	s_and_saveexec_b64 s[14:15], vcc
	s_xor_b64 s[14:15], exec, s[14:15]
	s_cbranch_execz .LBB441_1264
; %bb.998:
	v_bfe_u32 v1, v0, 21, 1
	s_mov_b32 s18, 0x88fffff
	v_add3_u32 v1, v0, v1, s18
	s_mov_b64 s[12:13], exec
	v_lshrrev_b32_e32 v1, 21, v1
	s_andn2_saveexec_b64 s[14:15], s[14:15]
	s_cbranch_execnz .LBB441_1265
.LBB441_999:
	s_or_b64 exec, exec, s[14:15]
	v_mov_b32_e32 v3, 0
	s_and_saveexec_b64 s[14:15], s[12:13]
.LBB441_1000:
	v_lshrrev_b32_e32 v0, 24, v0
	s_movk_i32 s12, 0x80
	v_and_or_b32 v3, v0, s12, v1
.LBB441_1001:
	s_or_b64 exec, exec, s[14:15]
.LBB441_1002:
	s_or_b64 exec, exec, s[10:11]
	s_mov_b64 s[10:11], 0
	global_store_byte v[4:5], v3, off
.LBB441_1003:
	s_and_b64 vcc, exec, s[10:11]
	s_cbranch_vccz .LBB441_1013
; %bb.1004:
	v_cvt_f32_i32_e32 v0, v2
	s_mov_b32 s10, 0x43f00000
                                        ; implicit-def: $vgpr1
	v_and_b32_e32 v3, 0x7fffffff, v0
	v_cmp_gt_u32_e32 vcc, s10, v3
	s_and_saveexec_b64 s[10:11], vcc
	s_xor_b64 s[10:11], exec, s[10:11]
	s_cbranch_execz .LBB441_1010
; %bb.1005:
	s_mov_b32 s12, 0x3c7fffff
	v_cmp_lt_u32_e32 vcc, s12, v3
                                        ; implicit-def: $vgpr1
	s_and_saveexec_b64 s[12:13], vcc
	s_xor_b64 s[12:13], exec, s[12:13]
; %bb.1006:
	v_bfe_u32 v1, v0, 20, 1
	s_mov_b32 s14, 0x407ffff
	v_add3_u32 v1, v0, v1, s14
	v_lshrrev_b32_e32 v3, 20, v1
	v_and_b32_e32 v1, 0xff00000, v1
	s_mov_b32 s14, 0x7f00000
	v_mov_b32_e32 v6, 0x7e
	v_cmp_ne_u32_e32 vcc, s14, v1
	s_nop 1
	v_cndmask_b32_e32 v1, v6, v3, vcc
; %bb.1007:
	s_andn2_saveexec_b64 s[12:13], s[12:13]
; %bb.1008:
	s_mov_b32 s14, 0x46800000
	v_add_f32_e64 v1, |v0|, s14
; %bb.1009:
	s_or_b64 exec, exec, s[12:13]
                                        ; implicit-def: $vgpr3
.LBB441_1010:
	s_andn2_saveexec_b64 s[10:11], s[10:11]
; %bb.1011:
	s_mov_b32 s12, 0x7f800000
	v_mov_b32_e32 v1, 0x7e
	v_mov_b32_e32 v6, 0x7f
	v_cmp_lt_u32_e32 vcc, s12, v3
	s_nop 1
	v_cndmask_b32_e32 v1, v1, v6, vcc
; %bb.1012:
	s_or_b64 exec, exec, s[10:11]
	v_lshrrev_b32_e32 v0, 24, v0
	s_movk_i32 s10, 0x80
	v_and_or_b32 v0, v0, s10, v1
	global_store_byte v[4:5], v0, off
.LBB441_1013:
	s_mov_b64 s[10:11], 0
.LBB441_1014:
	s_andn2_b64 vcc, exec, s[10:11]
	s_cbranch_vccnz .LBB441_1024
; %bb.1015:
	v_cvt_f32_i32_e32 v0, v2
	s_mov_b32 s10, 0x47800000
                                        ; implicit-def: $vgpr1
	v_and_b32_e32 v3, 0x7fffffff, v0
	v_cmp_gt_u32_e32 vcc, s10, v3
	s_and_saveexec_b64 s[10:11], vcc
	s_xor_b64 s[10:11], exec, s[10:11]
	s_cbranch_execz .LBB441_1021
; %bb.1016:
	s_mov_b32 s12, 0x387fffff
	v_cmp_lt_u32_e32 vcc, s12, v3
                                        ; implicit-def: $vgpr1
	s_and_saveexec_b64 s[12:13], vcc
	s_xor_b64 s[12:13], exec, s[12:13]
; %bb.1017:
	v_bfe_u32 v1, v0, 21, 1
	s_mov_b32 s14, 0x80fffff
	v_add3_u32 v1, v0, v1, s14
	v_lshrrev_b32_e32 v1, 21, v1
; %bb.1018:
	s_andn2_saveexec_b64 s[12:13], s[12:13]
; %bb.1019:
	s_mov_b32 s14, 0x43000000
	v_add_f32_e64 v1, |v0|, s14
; %bb.1020:
	s_or_b64 exec, exec, s[12:13]
                                        ; implicit-def: $vgpr3
.LBB441_1021:
	s_andn2_saveexec_b64 s[10:11], s[10:11]
; %bb.1022:
	s_mov_b32 s12, 0x7f800000
	v_mov_b32_e32 v1, 0x7c
	v_mov_b32_e32 v6, 0x7f
	v_cmp_lt_u32_e32 vcc, s12, v3
	s_nop 1
	v_cndmask_b32_e32 v1, v1, v6, vcc
; %bb.1023:
	s_or_b64 exec, exec, s[10:11]
	v_lshrrev_b32_e32 v0, 24, v0
	s_movk_i32 s10, 0x80
	v_and_or_b32 v0, v0, s10, v1
	global_store_byte v[4:5], v0, off
.LBB441_1024:
	s_mov_b64 s[10:11], 0
.LBB441_1025:
	s_andn2_b64 vcc, exec, s[10:11]
	s_mov_b64 s[10:11], 0
	s_cbranch_vccnz .LBB441_1033
; %bb.1026:
	s_cmp_gt_i32 s17, 14
	s_mov_b64 s[12:13], -1
	s_cbranch_scc0 .LBB441_1030
; %bb.1027:
	s_cmp_eq_u32 s17, 15
	s_mov_b64 s[2:3], -1
	s_cbranch_scc0 .LBB441_1029
; %bb.1028:
	v_cvt_f32_i32_e32 v0, v2
	s_movk_i32 s2, 0x7fff
	v_bfe_u32 v1, v0, 16, 1
	v_add3_u32 v0, v0, v1, s2
	global_store_short_d16_hi v[4:5], v0, off
	s_mov_b64 s[2:3], 0
.LBB441_1029:
	s_mov_b64 s[12:13], 0
.LBB441_1030:
	s_and_b64 vcc, exec, s[12:13]
	s_cbranch_vccz .LBB441_1033
; %bb.1031:
	s_cmp_lg_u32 s17, 11
	s_cselect_b64 s[12:13], -1, 0
	s_andn2_b64 s[2:3], s[2:3], exec
	s_and_b64 s[12:13], s[12:13], exec
	s_mov_b64 s[10:11], -1
	s_or_b64 s[2:3], s[2:3], s[12:13]
	s_branch .LBB441_1033
.LBB441_1032:
	s_mov_b64 s[10:11], 0
.LBB441_1033:
	s_andn2_b64 s[12:13], s[56:57], exec
	s_and_b64 s[2:3], s[2:3], exec
	s_and_b64 s[8:9], s[8:9], exec
	;; [unrolled: 1-line block ×3, first 2 shown]
	s_or_b64 s[56:57], s[12:13], s[2:3]
	s_or_b64 exec, exec, s[6:7]
	s_and_saveexec_b64 s[2:3], s[56:57]
	s_cbranch_execz .LBB441_962
.LBB441_1034:
	s_or_b64 s[4:5], s[4:5], exec
	s_andn2_b64 s[10:11], s[10:11], exec
	s_trap 2
	s_or_b64 exec, exec, s[2:3]
	s_and_saveexec_b64 s[2:3], s[10:11]
	s_xor_b64 s[2:3], exec, s[2:3]
	s_cbranch_execnz .LBB441_963
.LBB441_1035:
	s_or_b64 exec, exec, s[2:3]
	s_and_saveexec_b64 s[2:3], s[8:9]
	s_xor_b64 s[2:3], exec, s[2:3]
	s_cbranch_execz .LBB441_1073
.LBB441_1036:
	s_sext_i32_i16 s8, s16
	s_cmp_lt_i32 s8, 5
	s_mov_b64 s[6:7], -1
	s_cbranch_scc1 .LBB441_1057
; %bb.1037:
	s_cmp_lt_i32 s8, 8
	s_cbranch_scc1 .LBB441_1047
; %bb.1038:
	s_cmp_lt_i32 s8, 9
	s_cbranch_scc1 .LBB441_1044
; %bb.1039:
	s_cmp_gt_i32 s8, 9
	s_cbranch_scc0 .LBB441_1041
; %bb.1040:
	v_mov_b32_e32 v8, 0
	v_cvt_f64_i32_e32 v[6:7], v2
	v_mov_b32_e32 v9, v8
	s_mov_b64 s[6:7], 0
	global_store_dwordx4 v[4:5], v[6:9], off
.LBB441_1041:
	s_andn2_b64 vcc, exec, s[6:7]
	s_cbranch_vccnz .LBB441_1043
; %bb.1042:
	v_cvt_f32_i32_e32 v0, v2
	s_waitcnt vmcnt(0)
	v_mov_b32_e32 v1, 0
	global_store_dwordx2 v[4:5], v[0:1], off
.LBB441_1043:
	s_mov_b64 s[6:7], 0
.LBB441_1044:
	s_andn2_b64 vcc, exec, s[6:7]
	s_cbranch_vccnz .LBB441_1046
; %bb.1045:
	v_cvt_f32_i32_e32 v0, v2
	v_cvt_f16_f32_e32 v0, v0
	global_store_dword v[4:5], v0, off
.LBB441_1046:
	s_mov_b64 s[6:7], 0
.LBB441_1047:
	s_andn2_b64 vcc, exec, s[6:7]
	s_cbranch_vccnz .LBB441_1056
; %bb.1048:
	s_sext_i32_i16 s8, s16
	s_cmp_lt_i32 s8, 6
	s_mov_b64 s[6:7], -1
	s_cbranch_scc1 .LBB441_1054
; %bb.1049:
	s_cmp_gt_i32 s8, 6
	s_cbranch_scc0 .LBB441_1051
; %bb.1050:
	s_waitcnt vmcnt(0)
	v_cvt_f64_i32_e32 v[0:1], v2
	s_mov_b64 s[6:7], 0
	global_store_dwordx2 v[4:5], v[0:1], off
.LBB441_1051:
	s_andn2_b64 vcc, exec, s[6:7]
	s_cbranch_vccnz .LBB441_1053
; %bb.1052:
	v_cvt_f32_i32_e32 v0, v2
	global_store_dword v[4:5], v0, off
.LBB441_1053:
	s_mov_b64 s[6:7], 0
.LBB441_1054:
	s_andn2_b64 vcc, exec, s[6:7]
	s_cbranch_vccnz .LBB441_1056
; %bb.1055:
	v_cvt_f32_i32_e32 v0, v2
	v_cvt_f16_f32_e32 v0, v0
	global_store_short v[4:5], v0, off
.LBB441_1056:
	s_mov_b64 s[6:7], 0
.LBB441_1057:
	s_andn2_b64 vcc, exec, s[6:7]
	s_cbranch_vccnz .LBB441_1073
; %bb.1058:
	s_sext_i32_i16 s8, s16
	s_cmp_lt_i32 s8, 2
	s_mov_b64 s[6:7], -1
	s_cbranch_scc1 .LBB441_1068
; %bb.1059:
	s_cmp_lt_i32 s8, 3
	s_cbranch_scc1 .LBB441_1065
; %bb.1060:
	s_cmp_gt_i32 s8, 3
	s_cbranch_scc0 .LBB441_1062
; %bb.1061:
	v_ashrrev_i32_e32 v3, 31, v2
	s_mov_b64 s[6:7], 0
	global_store_dwordx2 v[4:5], v[2:3], off
.LBB441_1062:
	s_andn2_b64 vcc, exec, s[6:7]
	s_cbranch_vccnz .LBB441_1064
; %bb.1063:
	global_store_dword v[4:5], v2, off
.LBB441_1064:
	s_mov_b64 s[6:7], 0
.LBB441_1065:
	s_andn2_b64 vcc, exec, s[6:7]
	s_cbranch_vccnz .LBB441_1067
; %bb.1066:
	global_store_short v[4:5], v2, off
.LBB441_1067:
	s_mov_b64 s[6:7], 0
.LBB441_1068:
	s_andn2_b64 vcc, exec, s[6:7]
	s_cbranch_vccnz .LBB441_1073
; %bb.1069:
	s_sext_i32_i16 s6, s16
	s_cmp_gt_i32 s6, 0
	s_mov_b64 s[6:7], -1
	s_cbranch_scc0 .LBB441_1071
; %bb.1070:
	s_mov_b64 s[6:7], 0
	global_store_byte v[4:5], v2, off
.LBB441_1071:
	s_andn2_b64 vcc, exec, s[6:7]
	s_cbranch_vccnz .LBB441_1073
; %bb.1072:
	global_store_byte v[4:5], v2, off
.LBB441_1073:
	s_or_b64 exec, exec, s[2:3]
	s_and_b64 s[24:25], s[4:5], exec
                                        ; implicit-def: $vgpr16
                                        ; implicit-def: $vgpr8
.LBB441_1074:
	s_or_saveexec_b64 s[26:27], s[44:45]
	s_mov_b64 s[6:7], 0
                                        ; implicit-def: $vgpr0_vgpr1
                                        ; implicit-def: $sgpr16
                                        ; implicit-def: $vgpr2
	s_xor_b64 exec, exec, s[26:27]
	s_cbranch_execz .LBB441_2061
; %bb.1075:
	v_cndmask_b32_e64 v0, 0, 1, s[42:43]
	v_cmp_ne_u32_e64 s[2:3], 1, v0
	s_andn2_b64 vcc, exec, s[42:43]
	s_cbranch_vccnz .LBB441_1081
; %bb.1076:
	s_cmp_lg_u32 s33, 0
	s_mov_b32 s36, 0
	s_cbranch_scc0 .LBB441_1082
; %bb.1077:
	s_min_u32 s37, s74, 15
	s_add_i32 s37, s37, 1
	s_cmp_eq_u32 s74, 2
	s_cbranch_scc1 .LBB441_1083
; %bb.1078:
	s_and_b32 s36, s37, 28
	s_add_u32 s28, s34, 0xc4
	s_addc_u32 s29, s35, 0
	s_mov_b32 s38, 0
	v_mov_b32_e32 v6, 0
	v_mov_b32_e32 v14, 0
	s_mov_b64 s[30:31], s[34:35]
	v_mov_b32_e32 v0, v8
.LBB441_1079:                           ; =>This Inner Loop Header: Depth=1
	s_load_dwordx8 s[12:19], s[30:31], 0x4
	s_load_dwordx4 s[20:23], s[30:31], 0x24
	s_load_dwordx8 s[4:11], s[28:29], 0x0
	s_add_u32 s30, s30, 48
	s_addc_u32 s31, s31, 0
	s_waitcnt vmcnt(0) lgkmcnt(0)
	v_mul_hi_u32 v1, s13, v0
	v_add_u32_e32 v1, v0, v1
	v_lshrrev_b32_e32 v1, s14, v1
	v_mul_lo_u32 v2, v1, s12
	v_mul_hi_u32 v3, s16, v1
	v_sub_u32_e32 v0, v0, v2
	v_add_u32_e32 v2, v1, v3
	v_lshrrev_b32_e32 v2, s17, v2
	v_mul_lo_u32 v4, v2, s15
	v_mul_hi_u32 v5, s19, v2
	v_sub_u32_e32 v1, v1, v4
	v_add_u32_e32 v4, v2, v5
	v_mul_lo_u32 v3, v0, s5
	v_mul_lo_u32 v0, v0, s4
	;; [unrolled: 1-line block ×4, first 2 shown]
	v_lshrrev_b32_e32 v4, s20, v4
	v_add3_u32 v1, v0, v6, v1
	v_add3_u32 v3, v3, v14, v5
	v_mul_lo_u32 v0, v4, s18
	v_mul_hi_u32 v5, s22, v4
	v_sub_u32_e32 v0, v2, v0
	v_add_u32_e32 v2, v4, v5
	v_mul_lo_u32 v5, v0, s8
	v_mul_lo_u32 v6, v0, s9
	v_lshrrev_b32_e32 v0, s23, v2
	s_add_i32 s38, s38, 4
	v_mul_lo_u32 v2, v0, s21
	s_add_u32 s28, s28, 32
	v_sub_u32_e32 v2, v4, v2
	s_addc_u32 s29, s29, 0
	v_mul_lo_u32 v4, v2, s10
	v_mul_lo_u32 v2, v2, s11
	s_cmp_lg_u32 s36, s38
	v_add3_u32 v14, v6, v3, v2
	v_add3_u32 v6, v5, v1, v4
	s_cbranch_scc1 .LBB441_1079
; %bb.1080:
	v_mov_b32_e32 v1, v14
	s_and_b32 s8, s37, 3
	s_cmp_eq_u32 s8, 0
	s_cbranch_scc0 .LBB441_1084
	s_branch .LBB441_1086
.LBB441_1081:
                                        ; implicit-def: $vgpr14
                                        ; implicit-def: $vgpr6
	s_branch .LBB441_1087
.LBB441_1082:
	v_mov_b32_e32 v14, 0
	v_mov_b32_e32 v6, 0
	s_branch .LBB441_1086
.LBB441_1083:
	v_mov_b32_e32 v6, 0
                                        ; implicit-def: $vgpr14
	s_waitcnt vmcnt(0)
	v_mov_b32_e32 v1, v6
	v_mov_b32_e32 v0, v8
	s_and_b32 s8, s37, 3
	s_cmp_eq_u32 s8, 0
	s_cbranch_scc1 .LBB441_1086
.LBB441_1084:
	s_lshl_b32 s4, s36, 3
	s_add_u32 s4, s34, s4
	s_addc_u32 s5, s35, 0
	s_add_u32 s4, s4, 0xc4
	s_addc_u32 s5, s5, 0
	s_mul_i32 s6, s36, 12
	s_add_u32 s6, s34, s6
	s_addc_u32 s7, s35, 0
.LBB441_1085:                           ; =>This Inner Loop Header: Depth=1
	s_load_dwordx2 s[10:11], s[6:7], 0x4
	s_load_dword s9, s[6:7], 0xc
	s_load_dwordx2 s[12:13], s[4:5], 0x0
	v_mov_b32_e32 v2, v1
	s_add_u32 s6, s6, 12
	s_waitcnt lgkmcnt(0)
	v_mul_hi_u32 v1, s11, v0
	v_add_u32_e32 v1, v0, v1
	v_lshrrev_b32_e32 v1, s9, v1
	s_addc_u32 s7, s7, 0
	v_mul_lo_u32 v3, v1, s10
	s_add_u32 s4, s4, 8
	v_sub_u32_e32 v3, v0, v3
	s_addc_u32 s5, s5, 0
	s_add_i32 s8, s8, -1
	v_mad_u64_u32 v[14:15], s[10:11], v3, s13, v[2:3]
	s_cmp_lg_u32 s8, 0
	v_mov_b32_e32 v0, v1
	v_mad_u64_u32 v[6:7], s[10:11], v3, s12, v[6:7]
	v_mov_b32_e32 v1, v14
	s_cbranch_scc1 .LBB441_1085
.LBB441_1086:
	s_cbranch_execnz .LBB441_1089
.LBB441_1087:
	s_load_dwordx4 s[4:7], s[34:35], 0x4
	s_load_dwordx2 s[8:9], s[34:35], 0xc4
	s_cmp_lt_u32 s33, 2
	s_waitcnt lgkmcnt(0)
	v_mul_hi_u32 v0, s5, v8
	v_add_u32_e32 v0, v8, v0
	v_lshrrev_b32_e32 v0, s6, v0
	s_waitcnt vmcnt(0)
	v_mul_lo_u32 v1, v0, s4
	v_sub_u32_e32 v1, v8, v1
	v_mul_lo_u32 v14, v1, s9
	v_mul_lo_u32 v6, v1, s8
	s_cbranch_scc1 .LBB441_1089
; %bb.1088:
	s_load_dwordx4 s[4:7], s[34:35], 0x10
	s_load_dwordx2 s[8:9], s[34:35], 0xcc
	s_waitcnt lgkmcnt(0)
	v_mul_hi_u32 v1, s5, v0
	v_add_u32_e32 v1, v0, v1
	v_lshrrev_b32_e32 v1, s6, v1
	v_mul_lo_u32 v1, v1, s4
	v_sub_u32_e32 v0, v0, v1
	v_mad_u64_u32 v[6:7], s[4:5], v0, s8, v[6:7]
	v_mad_u64_u32 v[14:15], s[4:5], v0, s9, v[14:15]
.LBB441_1089:
	s_and_b64 vcc, exec, s[2:3]
	v_add_u32_e32 v0, 0x80, v8
	s_cbranch_vccnz .LBB441_1095
; %bb.1090:
	s_cmp_lg_u32 s33, 0
	s_mov_b32 s36, 0
	s_cbranch_scc0 .LBB441_1096
; %bb.1091:
	s_min_u32 s37, s74, 15
	s_add_i32 s37, s37, 1
	s_cmp_eq_u32 s74, 2
	s_cbranch_scc1 .LBB441_1097
; %bb.1092:
	s_and_b32 s36, s37, 28
	s_add_u32 s28, s34, 0xc4
	s_addc_u32 s29, s35, 0
	s_mov_b32 s38, 0
	v_mov_b32_e32 v4, 0
	v_mov_b32_e32 v12, 0
	s_mov_b64 s[30:31], s[34:35]
	v_mov_b32_e32 v2, v0
.LBB441_1093:                           ; =>This Inner Loop Header: Depth=1
	s_load_dwordx8 s[12:19], s[30:31], 0x4
	s_load_dwordx4 s[20:23], s[30:31], 0x24
	s_load_dwordx8 s[4:11], s[28:29], 0x0
	s_add_u32 s30, s30, 48
	s_addc_u32 s31, s31, 0
	s_waitcnt vmcnt(0) lgkmcnt(0)
	v_mul_hi_u32 v1, s13, v2
	v_add_u32_e32 v1, v2, v1
	v_lshrrev_b32_e32 v1, s14, v1
	v_mul_lo_u32 v3, v1, s12
	v_mul_hi_u32 v5, s16, v1
	v_sub_u32_e32 v2, v2, v3
	v_add_u32_e32 v3, v1, v5
	v_lshrrev_b32_e32 v3, s17, v3
	v_mul_lo_u32 v7, v3, s15
	v_mul_hi_u32 v9, s19, v3
	v_sub_u32_e32 v1, v1, v7
	v_add_u32_e32 v7, v3, v9
	v_mul_lo_u32 v5, v2, s5
	v_mul_lo_u32 v2, v2, s4
	;; [unrolled: 1-line block ×4, first 2 shown]
	v_lshrrev_b32_e32 v7, s20, v7
	v_add3_u32 v1, v2, v4, v1
	v_add3_u32 v4, v5, v12, v9
	v_mul_lo_u32 v2, v7, s18
	v_mul_hi_u32 v5, s22, v7
	v_sub_u32_e32 v2, v3, v2
	v_add_u32_e32 v3, v7, v5
	v_mul_lo_u32 v5, v2, s8
	v_mul_lo_u32 v9, v2, s9
	v_lshrrev_b32_e32 v2, s23, v3
	s_add_i32 s38, s38, 4
	v_mul_lo_u32 v3, v2, s21
	s_add_u32 s28, s28, 32
	v_sub_u32_e32 v3, v7, v3
	s_addc_u32 s29, s29, 0
	v_mul_lo_u32 v7, v3, s10
	v_mul_lo_u32 v3, v3, s11
	s_cmp_lg_u32 s36, s38
	v_add3_u32 v12, v9, v4, v3
	v_add3_u32 v4, v5, v1, v7
	s_cbranch_scc1 .LBB441_1093
; %bb.1094:
	v_mov_b32_e32 v1, v12
	s_and_b32 s8, s37, 3
	s_cmp_eq_u32 s8, 0
	s_cbranch_scc0 .LBB441_1098
	s_branch .LBB441_1100
.LBB441_1095:
                                        ; implicit-def: $vgpr12
                                        ; implicit-def: $vgpr4
	s_branch .LBB441_1101
.LBB441_1096:
	v_mov_b32_e32 v12, 0
	v_mov_b32_e32 v4, 0
	s_branch .LBB441_1100
.LBB441_1097:
	v_mov_b32_e32 v4, 0
                                        ; implicit-def: $vgpr12
	s_waitcnt vmcnt(0)
	v_mov_b32_e32 v1, v4
	v_mov_b32_e32 v2, v0
	s_and_b32 s8, s37, 3
	s_cmp_eq_u32 s8, 0
	s_cbranch_scc1 .LBB441_1100
.LBB441_1098:
	s_lshl_b32 s4, s36, 3
	s_add_u32 s4, s34, s4
	s_addc_u32 s5, s35, 0
	s_add_u32 s4, s4, 0xc4
	s_addc_u32 s5, s5, 0
	s_mul_i32 s6, s36, 12
	s_add_u32 s6, s34, s6
	s_addc_u32 s7, s35, 0
.LBB441_1099:                           ; =>This Inner Loop Header: Depth=1
	s_load_dwordx2 s[10:11], s[6:7], 0x4
	s_load_dword s9, s[6:7], 0xc
	s_load_dwordx2 s[12:13], s[4:5], 0x0
	v_mov_b32_e32 v10, v1
	s_add_u32 s6, s6, 12
	s_waitcnt lgkmcnt(0)
	v_mul_hi_u32 v1, s11, v2
	v_add_u32_e32 v1, v2, v1
	v_lshrrev_b32_e32 v1, s9, v1
	s_addc_u32 s7, s7, 0
	v_mul_lo_u32 v3, v1, s10
	s_add_u32 s4, s4, 8
	v_sub_u32_e32 v3, v2, v3
	s_addc_u32 s5, s5, 0
	s_add_i32 s8, s8, -1
	v_mad_u64_u32 v[12:13], s[10:11], v3, s13, v[10:11]
	s_cmp_lg_u32 s8, 0
	v_mov_b32_e32 v2, v1
	v_mad_u64_u32 v[4:5], s[10:11], v3, s12, v[4:5]
	v_mov_b32_e32 v1, v12
	s_cbranch_scc1 .LBB441_1099
.LBB441_1100:
	s_cbranch_execnz .LBB441_1103
.LBB441_1101:
	s_load_dwordx4 s[4:7], s[34:35], 0x4
	s_load_dwordx2 s[8:9], s[34:35], 0xc4
	s_cmp_lt_u32 s33, 2
	s_waitcnt vmcnt(0) lgkmcnt(0)
	v_mul_hi_u32 v1, s5, v0
	v_add_u32_e32 v1, v0, v1
	v_lshrrev_b32_e32 v1, s6, v1
	v_mul_lo_u32 v2, v1, s4
	v_sub_u32_e32 v0, v0, v2
	v_mul_lo_u32 v12, v0, s9
	v_mul_lo_u32 v4, v0, s8
	s_cbranch_scc1 .LBB441_1103
; %bb.1102:
	s_load_dwordx4 s[4:7], s[34:35], 0x10
	s_load_dwordx2 s[8:9], s[34:35], 0xcc
	s_waitcnt lgkmcnt(0)
	v_mul_hi_u32 v0, s5, v1
	v_add_u32_e32 v0, v1, v0
	v_lshrrev_b32_e32 v0, s6, v0
	v_mul_lo_u32 v0, v0, s4
	v_sub_u32_e32 v0, v1, v0
	v_mad_u64_u32 v[4:5], s[4:5], v0, s8, v[4:5]
	v_mad_u64_u32 v[12:13], s[4:5], v0, s9, v[12:13]
.LBB441_1103:
	s_and_b64 vcc, exec, s[2:3]
	v_add_u32_e32 v0, 0x100, v8
	s_cbranch_vccnz .LBB441_1109
; %bb.1104:
	s_cmp_lg_u32 s33, 0
	s_mov_b32 s36, 0
	s_cbranch_scc0 .LBB441_1110
; %bb.1105:
	s_min_u32 s37, s74, 15
	s_add_i32 s37, s37, 1
	s_cmp_eq_u32 s74, 2
	s_cbranch_scc1 .LBB441_1111
; %bb.1106:
	s_and_b32 s36, s37, 28
	s_add_u32 s28, s34, 0xc4
	s_addc_u32 s29, s35, 0
	s_mov_b32 s38, 0
	v_mov_b32_e32 v2, 0
	v_mov_b32_e32 v10, 0
	s_mov_b64 s[30:31], s[34:35]
	v_mov_b32_e32 v5, v0
.LBB441_1107:                           ; =>This Inner Loop Header: Depth=1
	s_load_dwordx8 s[12:19], s[30:31], 0x4
	s_load_dwordx4 s[20:23], s[30:31], 0x24
	s_load_dwordx8 s[4:11], s[28:29], 0x0
	s_add_u32 s30, s30, 48
	s_addc_u32 s31, s31, 0
	s_waitcnt vmcnt(0) lgkmcnt(0)
	v_mul_hi_u32 v1, s13, v5
	v_add_u32_e32 v1, v5, v1
	v_lshrrev_b32_e32 v1, s14, v1
	v_mul_lo_u32 v3, v1, s12
	v_mul_hi_u32 v7, s16, v1
	v_sub_u32_e32 v3, v5, v3
	v_add_u32_e32 v5, v1, v7
	v_lshrrev_b32_e32 v5, s17, v5
	v_mul_lo_u32 v8, v5, s15
	v_mul_hi_u32 v9, s19, v5
	v_sub_u32_e32 v1, v1, v8
	v_add_u32_e32 v8, v5, v9
	v_mul_lo_u32 v7, v3, s5
	v_mul_lo_u32 v3, v3, s4
	;; [unrolled: 1-line block ×4, first 2 shown]
	v_lshrrev_b32_e32 v8, s20, v8
	v_add3_u32 v1, v3, v2, v1
	v_add3_u32 v2, v7, v10, v9
	v_mul_lo_u32 v3, v8, s18
	v_mul_hi_u32 v7, s22, v8
	v_sub_u32_e32 v3, v5, v3
	v_add_u32_e32 v5, v8, v7
	v_lshrrev_b32_e32 v5, s23, v5
	s_add_i32 s38, s38, 4
	v_mul_lo_u32 v9, v5, s21
	s_add_u32 s28, s28, 32
	v_sub_u32_e32 v8, v8, v9
	s_addc_u32 s29, s29, 0
	v_mul_lo_u32 v7, v3, s8
	v_mul_lo_u32 v3, v3, s9
	;; [unrolled: 1-line block ×4, first 2 shown]
	s_cmp_lg_u32 s36, s38
	v_add3_u32 v10, v3, v2, v8
	v_add3_u32 v2, v7, v1, v9
	s_cbranch_scc1 .LBB441_1107
; %bb.1108:
	v_mov_b32_e32 v1, v10
	s_and_b32 s8, s37, 3
	s_cmp_eq_u32 s8, 0
	s_cbranch_scc0 .LBB441_1112
	s_branch .LBB441_1114
.LBB441_1109:
                                        ; implicit-def: $vgpr10
                                        ; implicit-def: $vgpr2
	s_branch .LBB441_1115
.LBB441_1110:
	v_mov_b32_e32 v10, 0
	v_mov_b32_e32 v2, 0
	s_branch .LBB441_1114
.LBB441_1111:
	v_mov_b32_e32 v2, 0
                                        ; implicit-def: $vgpr10
	s_waitcnt vmcnt(0)
	v_mov_b32_e32 v1, v2
	v_mov_b32_e32 v5, v0
	s_and_b32 s8, s37, 3
	s_cmp_eq_u32 s8, 0
	s_cbranch_scc1 .LBB441_1114
.LBB441_1112:
	s_lshl_b32 s4, s36, 3
	s_add_u32 s4, s34, s4
	s_addc_u32 s5, s35, 0
	s_add_u32 s4, s4, 0xc4
	s_addc_u32 s5, s5, 0
	s_mul_i32 s6, s36, 12
	s_add_u32 s6, s34, s6
	s_addc_u32 s7, s35, 0
.LBB441_1113:                           ; =>This Inner Loop Header: Depth=1
	s_load_dwordx2 s[10:11], s[6:7], 0x4
	s_load_dword s9, s[6:7], 0xc
	s_load_dwordx2 s[12:13], s[4:5], 0x0
	v_mov_b32_e32 v8, v1
	s_add_u32 s6, s6, 12
	s_waitcnt lgkmcnt(0)
	v_mul_hi_u32 v1, s11, v5
	v_add_u32_e32 v1, v5, v1
	v_lshrrev_b32_e32 v1, s9, v1
	s_addc_u32 s7, s7, 0
	v_mul_lo_u32 v3, v1, s10
	s_add_u32 s4, s4, 8
	v_sub_u32_e32 v3, v5, v3
	s_addc_u32 s5, s5, 0
	s_add_i32 s8, s8, -1
	v_mad_u64_u32 v[10:11], s[10:11], v3, s13, v[8:9]
	s_cmp_lg_u32 s8, 0
	v_mov_b32_e32 v5, v1
	v_mad_u64_u32 v[2:3], s[10:11], v3, s12, v[2:3]
	v_mov_b32_e32 v1, v10
	s_cbranch_scc1 .LBB441_1113
.LBB441_1114:
	s_cbranch_execnz .LBB441_1117
.LBB441_1115:
	s_load_dwordx4 s[4:7], s[34:35], 0x4
	s_load_dwordx2 s[8:9], s[34:35], 0xc4
	s_cmp_lt_u32 s33, 2
	s_waitcnt vmcnt(0) lgkmcnt(0)
	v_mul_hi_u32 v1, s5, v0
	v_add_u32_e32 v1, v0, v1
	v_lshrrev_b32_e32 v1, s6, v1
	v_mul_lo_u32 v2, v1, s4
	v_sub_u32_e32 v0, v0, v2
	v_mul_lo_u32 v10, v0, s9
	v_mul_lo_u32 v2, v0, s8
	s_cbranch_scc1 .LBB441_1117
; %bb.1116:
	s_load_dwordx4 s[4:7], s[34:35], 0x10
	s_load_dwordx2 s[8:9], s[34:35], 0xcc
	s_waitcnt lgkmcnt(0)
	v_mul_hi_u32 v0, s5, v1
	v_add_u32_e32 v0, v1, v0
	v_lshrrev_b32_e32 v0, s6, v0
	v_mul_lo_u32 v0, v0, s4
	v_sub_u32_e32 v0, v1, v0
	v_mad_u64_u32 v[2:3], s[4:5], v0, s8, v[2:3]
	v_mad_u64_u32 v[10:11], s[4:5], v0, s9, v[10:11]
.LBB441_1117:
	s_and_b64 vcc, exec, s[2:3]
	s_cbranch_vccnz .LBB441_1123
; %bb.1118:
	s_cmp_lg_u32 s33, 0
	s_mov_b32 s30, 0
	s_cbranch_scc0 .LBB441_1124
; %bb.1119:
	s_min_u32 s31, s74, 15
	s_add_i32 s31, s31, 1
	s_cmp_eq_u32 s74, 2
	s_cbranch_scc1 .LBB441_1125
; %bb.1120:
	s_and_b32 s30, s31, 28
	s_add_u32 s2, s34, 0xc4
	s_addc_u32 s3, s35, 0
	s_mov_b32 s36, 0
	v_mov_b32_e32 v0, 0
	v_mov_b32_e32 v8, 0
	s_mov_b64 s[28:29], s[34:35]
	v_mov_b32_e32 v3, v16
.LBB441_1121:                           ; =>This Inner Loop Header: Depth=1
	s_load_dwordx8 s[12:19], s[28:29], 0x4
	s_load_dwordx4 s[20:23], s[28:29], 0x24
	s_load_dwordx8 s[4:11], s[2:3], 0x0
	s_add_u32 s28, s28, 48
	s_addc_u32 s29, s29, 0
	s_waitcnt vmcnt(0) lgkmcnt(0)
	v_mul_hi_u32 v1, s13, v3
	v_add_u32_e32 v1, v3, v1
	v_lshrrev_b32_e32 v1, s14, v1
	v_mul_lo_u32 v5, v1, s12
	v_mul_hi_u32 v7, s16, v1
	v_sub_u32_e32 v3, v3, v5
	v_add_u32_e32 v5, v1, v7
	v_lshrrev_b32_e32 v5, s17, v5
	v_mul_lo_u32 v9, v5, s15
	v_mul_hi_u32 v11, s19, v5
	v_sub_u32_e32 v1, v1, v9
	v_add_u32_e32 v9, v5, v11
	v_mul_lo_u32 v7, v3, s5
	v_mul_lo_u32 v3, v3, s4
	;; [unrolled: 1-line block ×4, first 2 shown]
	v_lshrrev_b32_e32 v9, s20, v9
	v_add3_u32 v0, v3, v0, v1
	v_add3_u32 v1, v7, v8, v11
	v_mul_lo_u32 v3, v9, s18
	v_mul_hi_u32 v7, s22, v9
	v_sub_u32_e32 v3, v5, v3
	v_add_u32_e32 v5, v9, v7
	v_mul_lo_u32 v7, v3, s8
	v_mul_lo_u32 v8, v3, s9
	v_lshrrev_b32_e32 v3, s23, v5
	s_add_i32 s36, s36, 4
	v_mul_lo_u32 v5, v3, s21
	s_add_u32 s2, s2, 32
	v_sub_u32_e32 v5, v9, v5
	s_addc_u32 s3, s3, 0
	v_mul_lo_u32 v9, v5, s10
	v_mul_lo_u32 v5, v5, s11
	s_cmp_lg_u32 s30, s36
	v_add3_u32 v8, v8, v1, v5
	v_add3_u32 v0, v7, v0, v9
	s_cbranch_scc1 .LBB441_1121
; %bb.1122:
	v_mov_b32_e32 v1, v8
	s_and_b32 s6, s31, 3
	s_cmp_eq_u32 s6, 0
	s_cbranch_scc0 .LBB441_1126
	s_branch .LBB441_1128
.LBB441_1123:
                                        ; implicit-def: $vgpr8
                                        ; implicit-def: $vgpr0
	s_branch .LBB441_1129
.LBB441_1124:
	v_mov_b32_e32 v8, 0
	v_mov_b32_e32 v0, 0
	s_branch .LBB441_1128
.LBB441_1125:
	v_mov_b32_e32 v0, 0
                                        ; implicit-def: $vgpr8
	s_waitcnt vmcnt(0)
	v_mov_b32_e32 v1, v0
	v_mov_b32_e32 v3, v16
	s_and_b32 s6, s31, 3
	s_cmp_eq_u32 s6, 0
	s_cbranch_scc1 .LBB441_1128
.LBB441_1126:
	s_lshl_b32 s2, s30, 3
	s_add_u32 s2, s34, s2
	s_addc_u32 s3, s35, 0
	s_add_u32 s2, s2, 0xc4
	s_addc_u32 s3, s3, 0
	s_mul_i32 s4, s30, 12
	s_add_u32 s4, s34, s4
	s_addc_u32 s5, s35, 0
.LBB441_1127:                           ; =>This Inner Loop Header: Depth=1
	s_load_dwordx2 s[8:9], s[4:5], 0x4
	s_load_dword s7, s[4:5], 0xc
	s_load_dwordx2 s[10:11], s[2:3], 0x0
	v_mov_b32_e32 v8, v1
	s_add_u32 s4, s4, 12
	s_waitcnt lgkmcnt(0)
	v_mul_hi_u32 v1, s9, v3
	v_add_u32_e32 v1, v3, v1
	v_lshrrev_b32_e32 v1, s7, v1
	s_addc_u32 s5, s5, 0
	v_mul_lo_u32 v5, v1, s8
	s_add_u32 s2, s2, 8
	v_sub_u32_e32 v5, v3, v5
	s_addc_u32 s3, s3, 0
	s_add_i32 s6, s6, -1
	v_mov_b32_e32 v3, v1
	v_mad_u64_u32 v[8:9], s[8:9], v5, s11, v[8:9]
	v_mad_u64_u32 v[0:1], s[8:9], v5, s10, v[0:1]
	s_cmp_lg_u32 s6, 0
	v_mov_b32_e32 v1, v8
	s_cbranch_scc1 .LBB441_1127
.LBB441_1128:
	s_cbranch_execnz .LBB441_1131
.LBB441_1129:
	s_load_dwordx4 s[4:7], s[34:35], 0x4
	s_load_dwordx2 s[2:3], s[34:35], 0xc4
	s_cmp_lt_u32 s33, 2
	s_waitcnt lgkmcnt(0)
	v_mul_hi_u32 v0, s5, v16
	v_add_u32_e32 v0, v16, v0
	s_waitcnt vmcnt(0)
	v_lshrrev_b32_e32 v1, s6, v0
	v_mul_lo_u32 v0, v1, s4
	v_sub_u32_e32 v0, v16, v0
	v_mul_lo_u32 v8, v0, s3
	v_mul_lo_u32 v0, v0, s2
	s_cbranch_scc1 .LBB441_1131
; %bb.1130:
	s_load_dwordx4 s[4:7], s[34:35], 0x10
	s_load_dwordx2 s[2:3], s[34:35], 0xcc
	s_waitcnt lgkmcnt(0)
	v_mul_hi_u32 v3, s5, v1
	v_add_u32_e32 v3, v1, v3
	v_lshrrev_b32_e32 v3, s6, v3
	v_mul_lo_u32 v3, v3, s4
	v_sub_u32_e32 v3, v1, v3
	v_mad_u64_u32 v[0:1], s[4:5], v3, s2, v[0:1]
	v_mad_u64_u32 v[8:9], s[2:3], v3, s3, v[8:9]
.LBB441_1131:
	s_load_dword s12, s[0:1], 0x164
	s_load_dwordx4 s[4:7], s[34:35], 0x148
	v_mov_b32_e32 v15, 0
	s_waitcnt lgkmcnt(0)
	s_bfe_u32 s13, s12, 0x80008
	s_cmp_lt_i32 s13, 11
	v_lshl_add_u64 v[14:15], s[6:7], 0, v[14:15]
	s_cbranch_scc1 .LBB441_1138
; %bb.1132:
	s_and_b32 s14, 0xffff, s13
	s_cmp_gt_i32 s14, 25
	s_mov_b64 s[8:9], 0
	s_cbranch_scc0 .LBB441_1140
; %bb.1133:
	s_cmp_gt_i32 s14, 28
	s_cbranch_scc0 .LBB441_1141
; %bb.1134:
	s_cmp_gt_i32 s14, 43
	;; [unrolled: 3-line block ×3, first 2 shown]
	s_cbranch_scc0 .LBB441_1143
; %bb.1136:
	s_cmp_eq_u32 s14, 46
	s_mov_b64 s[2:3], 0
	s_cbranch_scc0 .LBB441_1146
; %bb.1137:
	global_load_dword v1, v[14:15], off
	s_mov_b64 s[0:1], 0
	s_mov_b64 s[10:11], -1
	s_waitcnt vmcnt(0)
	v_lshlrev_b32_e32 v1, 16, v1
	v_cvt_i32_f32_e32 v7, v1
	s_branch .LBB441_1147
.LBB441_1138:
	s_mov_b64 s[10:11], 0
                                        ; implicit-def: $vgpr7
	s_mov_b64 s[2:3], s[24:25]
	s_cbranch_execnz .LBB441_1205
.LBB441_1139:
	s_andn2_b64 vcc, exec, s[10:11]
	s_cbranch_vccz .LBB441_1250
	s_branch .LBB441_2059
.LBB441_1140:
	s_mov_b64 s[10:11], 0
	s_mov_b64 s[0:1], 0
                                        ; implicit-def: $vgpr7
	s_cbranch_execnz .LBB441_1172
	s_branch .LBB441_1201
.LBB441_1141:
	s_mov_b64 s[10:11], 0
	s_mov_b64 s[0:1], 0
                                        ; implicit-def: $vgpr7
	s_cbranch_execz .LBB441_1171
	s_branch .LBB441_1156
.LBB441_1142:
	s_mov_b64 s[10:11], 0
	s_mov_b64 s[0:1], 0
                                        ; implicit-def: $vgpr7
	s_cbranch_execnz .LBB441_1152
	s_branch .LBB441_1155
.LBB441_1143:
	s_mov_b64 s[2:3], -1
	s_mov_b64 s[10:11], 0
	s_mov_b64 s[0:1], 0
                                        ; implicit-def: $vgpr7
	s_branch .LBB441_1147
.LBB441_1144:
	s_andn2_saveexec_b64 s[12:13], s[12:13]
	s_cbranch_execz .LBB441_987
.LBB441_1145:
	s_mov_b32 s14, 0x46000000
	v_add_f32_e64 v1, |v0|, s14
	v_and_b32_e32 v1, 0xff, v1
	v_cmp_ne_u32_e32 vcc, 0, v1
	s_andn2_b64 s[10:11], s[10:11], exec
	s_and_b64 s[14:15], vcc, exec
	s_or_b64 s[10:11], s[10:11], s[14:15]
	s_or_b64 exec, exec, s[12:13]
	v_mov_b32_e32 v3, 0
	s_and_saveexec_b64 s[12:13], s[10:11]
	s_cbranch_execnz .LBB441_988
	s_branch .LBB441_989
.LBB441_1146:
	s_mov_b64 s[0:1], -1
                                        ; implicit-def: $vgpr7
	s_mov_b64 s[10:11], 0
.LBB441_1147:
	s_and_b64 vcc, exec, s[2:3]
	s_cbranch_vccz .LBB441_1150
; %bb.1148:
	s_cmp_eq_u32 s14, 44
	s_cbranch_scc0 .LBB441_1151
; %bb.1149:
	global_load_ubyte v1, v[14:15], off
	s_mov_b64 s[0:1], 0
	s_mov_b64 s[10:11], -1
	s_waitcnt vmcnt(0)
	v_lshlrev_b32_e32 v3, 23, v1
	v_cvt_i32_f32_e32 v3, v3
	v_cmp_ne_u32_e32 vcc, 0, v1
	s_nop 1
	v_cndmask_b32_e32 v7, 0, v3, vcc
.LBB441_1150:
	s_branch .LBB441_1155
.LBB441_1151:
	s_mov_b64 s[0:1], -1
                                        ; implicit-def: $vgpr7
	s_branch .LBB441_1155
.LBB441_1152:
	s_cmp_eq_u32 s14, 29
	s_cbranch_scc0 .LBB441_1154
; %bb.1153:
	global_load_dword v7, v[14:15], off
	s_mov_b64 s[0:1], 0
	s_mov_b64 s[10:11], -1
	s_branch .LBB441_1155
.LBB441_1154:
	s_mov_b64 s[0:1], -1
                                        ; implicit-def: $vgpr7
.LBB441_1155:
	s_branch .LBB441_1171
.LBB441_1156:
	s_cmp_lt_i32 s14, 27
	s_cbranch_scc1 .LBB441_1159
; %bb.1157:
	s_cmp_gt_i32 s14, 27
	s_cbranch_scc0 .LBB441_1160
; %bb.1158:
	global_load_dword v7, v[14:15], off
	s_mov_b64 s[2:3], 0
	s_branch .LBB441_1161
.LBB441_1159:
	s_mov_b64 s[2:3], -1
                                        ; implicit-def: $vgpr7
	s_branch .LBB441_1164
.LBB441_1160:
	s_mov_b64 s[2:3], -1
                                        ; implicit-def: $vgpr7
.LBB441_1161:
	s_andn2_b64 vcc, exec, s[2:3]
	s_cbranch_vccnz .LBB441_1163
; %bb.1162:
	global_load_ushort v7, v[14:15], off
.LBB441_1163:
	s_mov_b64 s[2:3], 0
.LBB441_1164:
	s_andn2_b64 vcc, exec, s[2:3]
	s_cbranch_vccnz .LBB441_1170
; %bb.1165:
	global_load_ubyte v1, v[14:15], off
	s_movk_i32 s2, 0x7f
	s_mov_b64 s[10:11], 0
	s_waitcnt vmcnt(0)
	v_cmp_lt_i16_e32 vcc, s2, v1
	s_and_saveexec_b64 s[2:3], vcc
	s_xor_b64 s[2:3], exec, s[2:3]
	s_cbranch_execz .LBB441_1181
; %bb.1166:
	s_movk_i32 s10, 0x80
	v_cmp_ne_u16_e32 vcc, s10, v1
	s_and_b64 s[10:11], vcc, exec
	s_andn2_saveexec_b64 s[2:3], s[2:3]
	s_cbranch_execnz .LBB441_1182
.LBB441_1167:
	s_or_b64 exec, exec, s[2:3]
	v_mov_b32_e32 v7, 0
	s_and_saveexec_b64 s[2:3], s[10:11]
	s_cbranch_execz .LBB441_1169
.LBB441_1168:
	v_lshlrev_b32_e32 v3, 24, v1
	v_and_b32_e32 v1, 0xffff, v1
	v_and_b32_e32 v5, 7, v1
	v_ffbh_u32_e32 v9, v5
	v_min_u32_e32 v9, 32, v9
	v_subrev_u32_e32 v11, 28, v9
	v_bfe_u32 v7, v1, 3, 4
	v_lshlrev_b32_e32 v1, v11, v1
	v_sub_u32_e32 v9, 29, v9
	v_and_b32_e32 v1, 7, v1
	v_cmp_eq_u32_e32 vcc, 0, v7
	v_and_b32_e32 v3, 0x80000000, v3
	s_nop 0
	v_cndmask_b32_e32 v7, v7, v9, vcc
	v_cndmask_b32_e32 v1, v5, v1, vcc
	v_mov_b32_e32 v5, 0x3b800000
	v_lshlrev_b32_e32 v1, 20, v1
	v_lshl_add_u32 v5, v7, 23, v5
	v_or3_b32 v1, v3, v5, v1
	v_cvt_i32_f32_e32 v7, v1
.LBB441_1169:
	s_or_b64 exec, exec, s[2:3]
.LBB441_1170:
	s_mov_b64 s[10:11], -1
.LBB441_1171:
	s_branch .LBB441_1201
.LBB441_1172:
	s_cmp_gt_i32 s14, 22
	s_cbranch_scc0 .LBB441_1180
; %bb.1173:
	s_cmp_lt_i32 s14, 24
	s_cbranch_scc1 .LBB441_1183
; %bb.1174:
	s_cmp_gt_i32 s14, 24
	s_cbranch_scc0 .LBB441_1184
; %bb.1175:
	global_load_ubyte v1, v[14:15], off
	s_movk_i32 s2, 0x7f
	s_waitcnt vmcnt(0)
	v_cmp_lt_i16_e32 vcc, s2, v1
	s_and_saveexec_b64 s[2:3], vcc
	s_xor_b64 s[2:3], exec, s[2:3]
	s_cbranch_execz .LBB441_1195
; %bb.1176:
	s_movk_i32 s8, 0x80
	v_cmp_ne_u16_e32 vcc, s8, v1
	s_and_b64 s[8:9], vcc, exec
	s_andn2_saveexec_b64 s[2:3], s[2:3]
	s_cbranch_execnz .LBB441_1196
.LBB441_1177:
	s_or_b64 exec, exec, s[2:3]
	v_mov_b32_e32 v7, 0
	s_and_saveexec_b64 s[2:3], s[8:9]
	s_cbranch_execz .LBB441_1179
.LBB441_1178:
	v_lshlrev_b32_e32 v3, 24, v1
	v_and_b32_e32 v1, 0xffff, v1
	v_and_b32_e32 v5, 3, v1
	v_ffbh_u32_e32 v9, v5
	v_min_u32_e32 v9, 32, v9
	v_subrev_u32_e32 v11, 29, v9
	v_bfe_u32 v7, v1, 2, 5
	v_lshlrev_b32_e32 v1, v11, v1
	v_sub_u32_e32 v9, 30, v9
	v_and_b32_e32 v1, 3, v1
	v_cmp_eq_u32_e32 vcc, 0, v7
	v_and_b32_e32 v3, 0x80000000, v3
	s_nop 0
	v_cndmask_b32_e32 v7, v7, v9, vcc
	v_cndmask_b32_e32 v1, v5, v1, vcc
	v_mov_b32_e32 v5, 0x37800000
	v_lshlrev_b32_e32 v1, 21, v1
	v_lshl_add_u32 v5, v7, 23, v5
	v_or3_b32 v1, v3, v5, v1
	v_cvt_i32_f32_e32 v7, v1
.LBB441_1179:
	s_or_b64 exec, exec, s[2:3]
	s_mov_b64 s[2:3], 0
	s_branch .LBB441_1185
.LBB441_1180:
                                        ; implicit-def: $vgpr7
	s_mov_b64 s[8:9], 0
	s_branch .LBB441_1191
.LBB441_1181:
	s_andn2_saveexec_b64 s[2:3], s[2:3]
	s_cbranch_execz .LBB441_1167
.LBB441_1182:
	v_cmp_ne_u16_e32 vcc, 0, v1
	s_andn2_b64 s[10:11], s[10:11], exec
	s_and_b64 s[16:17], vcc, exec
	s_or_b64 s[10:11], s[10:11], s[16:17]
	s_or_b64 exec, exec, s[2:3]
	v_mov_b32_e32 v7, 0
	s_and_saveexec_b64 s[2:3], s[10:11]
	s_cbranch_execnz .LBB441_1168
	s_branch .LBB441_1169
.LBB441_1183:
	s_mov_b64 s[2:3], -1
                                        ; implicit-def: $vgpr7
	s_branch .LBB441_1188
.LBB441_1184:
	s_mov_b64 s[2:3], -1
                                        ; implicit-def: $vgpr7
.LBB441_1185:
	s_and_b64 vcc, exec, s[2:3]
	s_cbranch_vccz .LBB441_1187
; %bb.1186:
	global_load_ubyte v1, v[14:15], off
	s_mov_b32 s2, 0x7f800000
	s_waitcnt vmcnt(0)
	v_lshlrev_b32_e32 v1, 24, v1
	v_and_b32_e32 v3, 0x7f000000, v1
	v_ffbh_u32_e32 v5, v3
	v_min_u32_e32 v5, 32, v5
	v_sub_u32_e64 v5, v5, 4 clamp
	v_lshlrev_b32_e32 v9, v5, v3
	v_lshlrev_b32_e32 v5, 23, v5
	v_lshrrev_b32_e32 v9, 4, v9
	v_add_u32_e32 v7, 0x1000000, v3
	v_sub_u32_e32 v5, v9, v5
	v_ashrrev_i32_e32 v7, 8, v7
	v_add_u32_e32 v5, 0x3c000000, v5
	v_and_or_b32 v5, v7, s2, v5
	v_cmp_ne_u32_e32 vcc, 0, v3
	s_brev_b32 s2, 1
	s_nop 0
	v_cndmask_b32_e32 v3, 0, v5, vcc
	v_and_or_b32 v1, v1, s2, v3
	v_cvt_i32_f32_e32 v7, v1
.LBB441_1187:
	s_mov_b64 s[2:3], 0
.LBB441_1188:
	s_andn2_b64 vcc, exec, s[2:3]
	s_cbranch_vccnz .LBB441_1190
; %bb.1189:
	global_load_ubyte v1, v[14:15], off
	s_movk_i32 s2, 0x7f00
	s_brev_b32 s3, 16
	s_waitcnt vmcnt(0)
	v_lshlrev_b16_e32 v3, 8, v1
	v_lshlrev_b32_e32 v1, 25, v1
	v_lshrrev_b32_e32 v5, 4, v1
	v_and_or_b32 v7, v3, s2, 0.5
	v_or_b32_e32 v5, 0x70000000, v5
	v_add_f32_e32 v7, -0.5, v7
	v_mul_f32_e32 v5, 0x7800000, v5
	v_cmp_gt_u32_e32 vcc, s3, v1
	v_bfe_i32 v3, v3, 0, 16
	s_brev_b32 s2, 1
	v_cndmask_b32_e32 v1, v5, v7, vcc
	v_and_or_b32 v1, v3, s2, v1
	v_cvt_i32_f32_e32 v7, v1
.LBB441_1190:
	s_mov_b64 s[10:11], -1
	s_mov_b64 s[8:9], 0
	s_cbranch_execnz .LBB441_1201
.LBB441_1191:
	s_cmp_gt_i32 s14, 14
	s_cbranch_scc0 .LBB441_1194
; %bb.1192:
	s_cmp_eq_u32 s14, 15
	s_cbranch_scc0 .LBB441_1197
; %bb.1193:
	global_load_ushort v1, v[14:15], off
	s_mov_b64 s[0:1], 0
	s_mov_b64 s[10:11], -1
	s_waitcnt vmcnt(0)
	v_lshlrev_b32_e32 v1, 16, v1
	v_cvt_i32_f32_e32 v7, v1
	s_branch .LBB441_1198
.LBB441_1194:
	s_mov_b64 s[2:3], -1
                                        ; implicit-def: $vgpr7
	s_branch .LBB441_1199
.LBB441_1195:
	s_andn2_saveexec_b64 s[2:3], s[2:3]
	s_cbranch_execz .LBB441_1177
.LBB441_1196:
	v_cmp_ne_u16_e32 vcc, 0, v1
	s_andn2_b64 s[8:9], s[8:9], exec
	s_and_b64 s[10:11], vcc, exec
	s_or_b64 s[8:9], s[8:9], s[10:11]
	s_or_b64 exec, exec, s[2:3]
	v_mov_b32_e32 v7, 0
	s_and_saveexec_b64 s[2:3], s[8:9]
	s_cbranch_execnz .LBB441_1178
	s_branch .LBB441_1179
.LBB441_1197:
	s_mov_b64 s[0:1], -1
                                        ; implicit-def: $vgpr7
.LBB441_1198:
	s_mov_b64 s[2:3], 0
.LBB441_1199:
	s_and_b64 vcc, exec, s[2:3]
	s_cbranch_vccz .LBB441_1201
; %bb.1200:
	s_cmp_lg_u32 s14, 11
	s_mov_b64 s[8:9], -1
	s_cselect_b64 s[0:1], -1, 0
.LBB441_1201:
	s_and_b64 vcc, exec, s[0:1]
	s_mov_b64 s[2:3], s[24:25]
	s_cbranch_vccnz .LBB441_1262
; %bb.1202:
	s_andn2_b64 vcc, exec, s[8:9]
	s_cbranch_vccnz .LBB441_1204
.LBB441_1203:
	global_load_ubyte v1, v[14:15], off
	s_mov_b64 s[10:11], -1
	s_waitcnt vmcnt(0)
	v_cmp_ne_u16_e32 vcc, 0, v1
	s_nop 1
	v_cndmask_b32_e64 v7, 0, 1, vcc
.LBB441_1204:
	s_branch .LBB441_1139
.LBB441_1205:
	s_and_b32 s8, 0xffff, s13
	s_cmp_lt_i32 s8, 5
	s_cbranch_scc1 .LBB441_1210
; %bb.1206:
	s_cmp_lt_i32 s8, 8
	s_cbranch_scc1 .LBB441_1211
; %bb.1207:
	;; [unrolled: 3-line block ×3, first 2 shown]
	s_cmp_gt_i32 s8, 9
	s_cbranch_scc0 .LBB441_1213
; %bb.1209:
	global_load_dwordx2 v[16:17], v[14:15], off
	s_mov_b64 s[0:1], 0
	s_waitcnt vmcnt(0)
	v_cvt_i32_f64_e32 v7, v[16:17]
	s_branch .LBB441_1214
.LBB441_1210:
                                        ; implicit-def: $vgpr7
	s_branch .LBB441_1231
.LBB441_1211:
                                        ; implicit-def: $vgpr7
	s_branch .LBB441_1220
.LBB441_1212:
	s_mov_b64 s[0:1], -1
                                        ; implicit-def: $vgpr7
	s_branch .LBB441_1217
.LBB441_1213:
	s_mov_b64 s[0:1], -1
                                        ; implicit-def: $vgpr7
.LBB441_1214:
	s_andn2_b64 vcc, exec, s[0:1]
	s_cbranch_vccnz .LBB441_1216
; %bb.1215:
	global_load_dword v1, v[14:15], off
	s_waitcnt vmcnt(0)
	v_cvt_i32_f32_e32 v7, v1
.LBB441_1216:
	s_mov_b64 s[0:1], 0
.LBB441_1217:
	s_andn2_b64 vcc, exec, s[0:1]
	s_cbranch_vccnz .LBB441_1219
; %bb.1218:
	global_load_dword v1, v[14:15], off
	s_waitcnt vmcnt(0)
	v_cvt_f32_f16_e32 v1, v1
	v_cvt_i32_f32_e32 v7, v1
.LBB441_1219:
	s_cbranch_execnz .LBB441_1230
.LBB441_1220:
	s_cmp_lt_i32 s8, 6
	s_cbranch_scc1 .LBB441_1223
; %bb.1221:
	s_cmp_gt_i32 s8, 6
	s_cbranch_scc0 .LBB441_1224
; %bb.1222:
	global_load_dwordx2 v[16:17], v[14:15], off
	s_mov_b64 s[0:1], 0
	s_waitcnt vmcnt(0)
	v_cvt_i32_f64_e32 v7, v[16:17]
	s_branch .LBB441_1225
.LBB441_1223:
	s_mov_b64 s[0:1], -1
                                        ; implicit-def: $vgpr7
	s_branch .LBB441_1228
.LBB441_1224:
	s_mov_b64 s[0:1], -1
                                        ; implicit-def: $vgpr7
.LBB441_1225:
	s_andn2_b64 vcc, exec, s[0:1]
	s_cbranch_vccnz .LBB441_1227
; %bb.1226:
	global_load_dword v1, v[14:15], off
	s_waitcnt vmcnt(0)
	v_cvt_i32_f32_e32 v7, v1
.LBB441_1227:
	s_mov_b64 s[0:1], 0
.LBB441_1228:
	s_andn2_b64 vcc, exec, s[0:1]
	s_cbranch_vccnz .LBB441_1230
; %bb.1229:
	global_load_ushort v1, v[14:15], off
	s_waitcnt vmcnt(0)
	v_cvt_f32_f16_e32 v1, v1
	v_cvt_i32_f32_e32 v7, v1
.LBB441_1230:
	s_cbranch_execnz .LBB441_1249
.LBB441_1231:
	s_cmp_lt_i32 s8, 2
	s_cbranch_scc1 .LBB441_1235
; %bb.1232:
	s_cmp_lt_i32 s8, 3
	s_cbranch_scc1 .LBB441_1236
; %bb.1233:
	s_cmp_gt_i32 s8, 3
	s_cbranch_scc0 .LBB441_1237
; %bb.1234:
	global_load_dword v7, v[14:15], off
	s_mov_b64 s[0:1], 0
	s_branch .LBB441_1238
.LBB441_1235:
                                        ; implicit-def: $vgpr7
	s_branch .LBB441_1244
.LBB441_1236:
	s_mov_b64 s[0:1], -1
                                        ; implicit-def: $vgpr7
	s_branch .LBB441_1241
.LBB441_1237:
	s_mov_b64 s[0:1], -1
                                        ; implicit-def: $vgpr7
.LBB441_1238:
	s_andn2_b64 vcc, exec, s[0:1]
	s_cbranch_vccnz .LBB441_1240
; %bb.1239:
	global_load_dword v7, v[14:15], off
.LBB441_1240:
	s_mov_b64 s[0:1], 0
.LBB441_1241:
	s_andn2_b64 vcc, exec, s[0:1]
	s_cbranch_vccnz .LBB441_1243
; %bb.1242:
	global_load_sshort v7, v[14:15], off
.LBB441_1243:
	s_cbranch_execnz .LBB441_1249
.LBB441_1244:
	s_cmp_gt_i32 s8, 0
	s_cbranch_scc0 .LBB441_1246
; %bb.1245:
	global_load_sbyte v7, v[14:15], off
	s_mov_b64 s[0:1], 0
	s_branch .LBB441_1247
.LBB441_1246:
	s_mov_b64 s[0:1], -1
                                        ; implicit-def: $vgpr7
.LBB441_1247:
	s_andn2_b64 vcc, exec, s[0:1]
	s_cbranch_vccnz .LBB441_1249
; %bb.1248:
	global_load_ubyte v7, v[14:15], off
.LBB441_1249:
.LBB441_1250:
	s_lshr_b32 s0, s12, 8
	v_mov_b32_e32 v13, 0
	s_and_b32 s14, s0, 0xff
	s_cmp_lt_i32 s14, 11
	v_lshl_add_u64 v[12:13], s[6:7], 0, v[12:13]
	s_cbranch_scc1 .LBB441_1257
; %bb.1251:
	s_and_b32 s15, 0xffff, s14
	s_cmp_gt_i32 s15, 25
	s_mov_b64 s[8:9], 0
	s_cbranch_scc0 .LBB441_1259
; %bb.1252:
	s_cmp_gt_i32 s15, 28
	s_cbranch_scc0 .LBB441_1260
; %bb.1253:
	s_cmp_gt_i32 s15, 43
	;; [unrolled: 3-line block ×3, first 2 shown]
	s_cbranch_scc0 .LBB441_1263
; %bb.1255:
	s_cmp_eq_u32 s15, 46
	s_mov_b64 s[12:13], 0
	s_cbranch_scc0 .LBB441_1266
; %bb.1256:
	global_load_dword v1, v[12:13], off
	s_mov_b64 s[0:1], 0
	s_mov_b64 s[10:11], -1
	s_waitcnt vmcnt(0)
	v_lshlrev_b32_e32 v1, 16, v1
	v_cvt_i32_f32_e32 v5, v1
	s_branch .LBB441_1267
.LBB441_1257:
	s_mov_b64 s[10:11], 0
                                        ; implicit-def: $vgpr5
	s_cbranch_execnz .LBB441_1328
.LBB441_1258:
	s_andn2_b64 vcc, exec, s[10:11]
	s_cbranch_vccnz .LBB441_2059
	s_branch .LBB441_1375
.LBB441_1259:
	s_mov_b64 s[10:11], 0
	s_mov_b64 s[0:1], 0
                                        ; implicit-def: $vgpr5
	s_cbranch_execnz .LBB441_1294
	s_branch .LBB441_1324
.LBB441_1260:
	s_mov_b64 s[12:13], -1
	s_mov_b64 s[10:11], 0
	s_mov_b64 s[0:1], 0
                                        ; implicit-def: $vgpr5
	s_branch .LBB441_1277
.LBB441_1261:
	s_mov_b64 s[12:13], -1
	s_mov_b64 s[10:11], 0
	s_mov_b64 s[0:1], 0
                                        ; implicit-def: $vgpr5
	s_branch .LBB441_1272
.LBB441_1262:
	s_or_b64 s[2:3], s[24:25], exec
	s_trap 2
	s_cbranch_execz .LBB441_1203
	s_branch .LBB441_1204
.LBB441_1263:
	s_mov_b64 s[12:13], -1
	s_mov_b64 s[10:11], 0
	s_mov_b64 s[0:1], 0
                                        ; implicit-def: $vgpr5
	s_branch .LBB441_1267
.LBB441_1264:
	s_andn2_saveexec_b64 s[14:15], s[14:15]
	s_cbranch_execz .LBB441_999
.LBB441_1265:
	s_mov_b32 s18, 0x42800000
	v_add_f32_e64 v1, |v0|, s18
	v_and_b32_e32 v1, 0xff, v1
	v_cmp_ne_u32_e32 vcc, 0, v1
	s_andn2_b64 s[12:13], s[12:13], exec
	s_and_b64 s[18:19], vcc, exec
	s_or_b64 s[12:13], s[12:13], s[18:19]
	s_or_b64 exec, exec, s[14:15]
	v_mov_b32_e32 v3, 0
	s_and_saveexec_b64 s[14:15], s[12:13]
	s_cbranch_execnz .LBB441_1000
	s_branch .LBB441_1001
.LBB441_1266:
	s_mov_b64 s[0:1], -1
                                        ; implicit-def: $vgpr5
	s_mov_b64 s[10:11], 0
.LBB441_1267:
	s_and_b64 vcc, exec, s[12:13]
	s_cbranch_vccz .LBB441_1271
; %bb.1268:
	s_cmp_eq_u32 s15, 44
	s_cbranch_scc0 .LBB441_1270
; %bb.1269:
	global_load_ubyte v1, v[12:13], off
	s_mov_b64 s[0:1], 0
	s_mov_b64 s[10:11], -1
	s_waitcnt vmcnt(0)
	v_lshlrev_b32_e32 v3, 23, v1
	v_cvt_i32_f32_e32 v3, v3
	v_cmp_ne_u32_e32 vcc, 0, v1
	s_nop 1
	v_cndmask_b32_e32 v5, 0, v3, vcc
	s_branch .LBB441_1271
.LBB441_1270:
	s_mov_b64 s[0:1], -1
                                        ; implicit-def: $vgpr5
.LBB441_1271:
	s_mov_b64 s[12:13], 0
.LBB441_1272:
	s_and_b64 vcc, exec, s[12:13]
	s_cbranch_vccz .LBB441_1276
; %bb.1273:
	s_cmp_eq_u32 s15, 29
	s_cbranch_scc0 .LBB441_1275
; %bb.1274:
	global_load_dword v5, v[12:13], off
	s_mov_b64 s[0:1], 0
	s_mov_b64 s[10:11], -1
	s_branch .LBB441_1276
.LBB441_1275:
	s_mov_b64 s[0:1], -1
                                        ; implicit-def: $vgpr5
.LBB441_1276:
	s_mov_b64 s[12:13], 0
.LBB441_1277:
	s_and_b64 vcc, exec, s[12:13]
	s_cbranch_vccz .LBB441_1293
; %bb.1278:
	s_cmp_lt_i32 s15, 27
	s_cbranch_scc1 .LBB441_1281
; %bb.1279:
	s_cmp_gt_i32 s15, 27
	s_cbranch_scc0 .LBB441_1282
; %bb.1280:
	global_load_dword v5, v[12:13], off
	s_mov_b64 s[10:11], 0
	s_branch .LBB441_1283
.LBB441_1281:
	s_mov_b64 s[10:11], -1
                                        ; implicit-def: $vgpr5
	s_branch .LBB441_1286
.LBB441_1282:
	s_mov_b64 s[10:11], -1
                                        ; implicit-def: $vgpr5
.LBB441_1283:
	s_andn2_b64 vcc, exec, s[10:11]
	s_cbranch_vccnz .LBB441_1285
; %bb.1284:
	global_load_ushort v5, v[12:13], off
.LBB441_1285:
	s_mov_b64 s[10:11], 0
.LBB441_1286:
	s_andn2_b64 vcc, exec, s[10:11]
	s_cbranch_vccnz .LBB441_1292
; %bb.1287:
	global_load_ubyte v1, v[12:13], off
	s_movk_i32 s10, 0x7f
	s_mov_b64 s[12:13], 0
	s_waitcnt vmcnt(0)
	v_cmp_lt_i16_e32 vcc, s10, v1
	s_and_saveexec_b64 s[10:11], vcc
	s_xor_b64 s[10:11], exec, s[10:11]
	s_cbranch_execz .LBB441_1303
; %bb.1288:
	s_movk_i32 s12, 0x80
	v_cmp_ne_u16_e32 vcc, s12, v1
	s_and_b64 s[12:13], vcc, exec
	s_andn2_saveexec_b64 s[10:11], s[10:11]
	s_cbranch_execnz .LBB441_1304
.LBB441_1289:
	s_or_b64 exec, exec, s[10:11]
	v_mov_b32_e32 v5, 0
	s_and_saveexec_b64 s[10:11], s[12:13]
	s_cbranch_execz .LBB441_1291
.LBB441_1290:
	v_lshlrev_b32_e32 v3, 24, v1
	v_and_b32_e32 v1, 0xffff, v1
	v_and_b32_e32 v5, 7, v1
	v_ffbh_u32_e32 v11, v5
	v_min_u32_e32 v11, 32, v11
	v_subrev_u32_e32 v14, 28, v11
	v_bfe_u32 v9, v1, 3, 4
	v_lshlrev_b32_e32 v1, v14, v1
	v_sub_u32_e32 v11, 29, v11
	v_and_b32_e32 v1, 7, v1
	v_cmp_eq_u32_e32 vcc, 0, v9
	v_and_b32_e32 v3, 0x80000000, v3
	s_nop 0
	v_cndmask_b32_e32 v9, v9, v11, vcc
	v_cndmask_b32_e32 v1, v5, v1, vcc
	v_mov_b32_e32 v5, 0x3b800000
	v_lshlrev_b32_e32 v1, 20, v1
	v_lshl_add_u32 v5, v9, 23, v5
	v_or3_b32 v1, v3, v5, v1
	v_cvt_i32_f32_e32 v5, v1
.LBB441_1291:
	s_or_b64 exec, exec, s[10:11]
.LBB441_1292:
	s_mov_b64 s[10:11], -1
.LBB441_1293:
	s_branch .LBB441_1324
.LBB441_1294:
	s_cmp_gt_i32 s15, 22
	s_cbranch_scc0 .LBB441_1302
; %bb.1295:
	s_cmp_lt_i32 s15, 24
	s_cbranch_scc1 .LBB441_1305
; %bb.1296:
	s_cmp_gt_i32 s15, 24
	s_cbranch_scc0 .LBB441_1306
; %bb.1297:
	global_load_ubyte v1, v[12:13], off
	s_movk_i32 s8, 0x7f
	s_mov_b64 s[10:11], 0
	s_waitcnt vmcnt(0)
	v_cmp_lt_i16_e32 vcc, s8, v1
	s_and_saveexec_b64 s[8:9], vcc
	s_xor_b64 s[8:9], exec, s[8:9]
	s_cbranch_execz .LBB441_1318
; %bb.1298:
	s_movk_i32 s10, 0x80
	v_cmp_ne_u16_e32 vcc, s10, v1
	s_and_b64 s[10:11], vcc, exec
	s_andn2_saveexec_b64 s[8:9], s[8:9]
	s_cbranch_execnz .LBB441_1319
.LBB441_1299:
	s_or_b64 exec, exec, s[8:9]
	v_mov_b32_e32 v5, 0
	s_and_saveexec_b64 s[8:9], s[10:11]
	s_cbranch_execz .LBB441_1301
.LBB441_1300:
	v_lshlrev_b32_e32 v3, 24, v1
	v_and_b32_e32 v1, 0xffff, v1
	v_and_b32_e32 v5, 3, v1
	v_ffbh_u32_e32 v11, v5
	v_min_u32_e32 v11, 32, v11
	v_subrev_u32_e32 v14, 29, v11
	v_bfe_u32 v9, v1, 2, 5
	v_lshlrev_b32_e32 v1, v14, v1
	v_sub_u32_e32 v11, 30, v11
	v_and_b32_e32 v1, 3, v1
	v_cmp_eq_u32_e32 vcc, 0, v9
	v_and_b32_e32 v3, 0x80000000, v3
	s_nop 0
	v_cndmask_b32_e32 v9, v9, v11, vcc
	v_cndmask_b32_e32 v1, v5, v1, vcc
	v_mov_b32_e32 v5, 0x37800000
	v_lshlrev_b32_e32 v1, 21, v1
	v_lshl_add_u32 v5, v9, 23, v5
	v_or3_b32 v1, v3, v5, v1
	v_cvt_i32_f32_e32 v5, v1
.LBB441_1301:
	s_or_b64 exec, exec, s[8:9]
	s_mov_b64 s[8:9], 0
	s_branch .LBB441_1307
.LBB441_1302:
	s_mov_b64 s[8:9], -1
                                        ; implicit-def: $vgpr5
	s_branch .LBB441_1313
.LBB441_1303:
	s_andn2_saveexec_b64 s[10:11], s[10:11]
	s_cbranch_execz .LBB441_1289
.LBB441_1304:
	v_cmp_ne_u16_e32 vcc, 0, v1
	s_andn2_b64 s[12:13], s[12:13], exec
	s_and_b64 s[16:17], vcc, exec
	s_or_b64 s[12:13], s[12:13], s[16:17]
	s_or_b64 exec, exec, s[10:11]
	v_mov_b32_e32 v5, 0
	s_and_saveexec_b64 s[10:11], s[12:13]
	s_cbranch_execnz .LBB441_1290
	s_branch .LBB441_1291
.LBB441_1305:
	s_mov_b64 s[8:9], -1
                                        ; implicit-def: $vgpr5
	s_branch .LBB441_1310
.LBB441_1306:
	s_mov_b64 s[8:9], -1
                                        ; implicit-def: $vgpr5
.LBB441_1307:
	s_and_b64 vcc, exec, s[8:9]
	s_cbranch_vccz .LBB441_1309
; %bb.1308:
	global_load_ubyte v1, v[12:13], off
	s_mov_b32 s8, 0x7f800000
	s_waitcnt vmcnt(0)
	v_lshlrev_b32_e32 v1, 24, v1
	v_and_b32_e32 v3, 0x7f000000, v1
	v_ffbh_u32_e32 v5, v3
	v_min_u32_e32 v5, 32, v5
	v_sub_u32_e64 v5, v5, 4 clamp
	v_lshlrev_b32_e32 v11, v5, v3
	v_lshlrev_b32_e32 v5, 23, v5
	v_lshrrev_b32_e32 v11, 4, v11
	v_add_u32_e32 v9, 0x1000000, v3
	v_sub_u32_e32 v5, v11, v5
	v_ashrrev_i32_e32 v9, 8, v9
	v_add_u32_e32 v5, 0x3c000000, v5
	v_and_or_b32 v5, v9, s8, v5
	v_cmp_ne_u32_e32 vcc, 0, v3
	s_brev_b32 s8, 1
	s_nop 0
	v_cndmask_b32_e32 v3, 0, v5, vcc
	v_and_or_b32 v1, v1, s8, v3
	v_cvt_i32_f32_e32 v5, v1
.LBB441_1309:
	s_mov_b64 s[8:9], 0
.LBB441_1310:
	s_andn2_b64 vcc, exec, s[8:9]
	s_cbranch_vccnz .LBB441_1312
; %bb.1311:
	global_load_ubyte v1, v[12:13], off
	s_movk_i32 s8, 0x7f00
	s_brev_b32 s9, 16
	s_waitcnt vmcnt(0)
	v_lshlrev_b16_e32 v3, 8, v1
	v_lshlrev_b32_e32 v1, 25, v1
	v_lshrrev_b32_e32 v5, 4, v1
	v_and_or_b32 v9, v3, s8, 0.5
	v_or_b32_e32 v5, 0x70000000, v5
	v_add_f32_e32 v9, -0.5, v9
	v_mul_f32_e32 v5, 0x7800000, v5
	v_cmp_gt_u32_e32 vcc, s9, v1
	v_bfe_i32 v3, v3, 0, 16
	s_brev_b32 s8, 1
	v_cndmask_b32_e32 v1, v5, v9, vcc
	v_and_or_b32 v1, v3, s8, v1
	v_cvt_i32_f32_e32 v5, v1
.LBB441_1312:
	s_mov_b64 s[8:9], 0
	s_mov_b64 s[10:11], -1
.LBB441_1313:
	s_andn2_b64 vcc, exec, s[8:9]
	s_mov_b64 s[8:9], 0
	s_cbranch_vccnz .LBB441_1324
; %bb.1314:
	s_cmp_gt_i32 s15, 14
	s_cbranch_scc0 .LBB441_1317
; %bb.1315:
	s_cmp_eq_u32 s15, 15
	s_cbranch_scc0 .LBB441_1320
; %bb.1316:
	global_load_ushort v1, v[12:13], off
	s_mov_b64 s[0:1], 0
	s_mov_b64 s[10:11], -1
	s_waitcnt vmcnt(0)
	v_lshlrev_b32_e32 v1, 16, v1
	v_cvt_i32_f32_e32 v5, v1
	s_branch .LBB441_1321
.LBB441_1317:
	s_mov_b64 s[12:13], -1
                                        ; implicit-def: $vgpr5
	s_branch .LBB441_1322
.LBB441_1318:
	s_andn2_saveexec_b64 s[8:9], s[8:9]
	s_cbranch_execz .LBB441_1299
.LBB441_1319:
	v_cmp_ne_u16_e32 vcc, 0, v1
	s_andn2_b64 s[10:11], s[10:11], exec
	s_and_b64 s[12:13], vcc, exec
	s_or_b64 s[10:11], s[10:11], s[12:13]
	s_or_b64 exec, exec, s[8:9]
	v_mov_b32_e32 v5, 0
	s_and_saveexec_b64 s[8:9], s[10:11]
	s_cbranch_execnz .LBB441_1300
	s_branch .LBB441_1301
.LBB441_1320:
	s_mov_b64 s[0:1], -1
                                        ; implicit-def: $vgpr5
.LBB441_1321:
	s_mov_b64 s[12:13], 0
.LBB441_1322:
	s_and_b64 vcc, exec, s[12:13]
	s_cbranch_vccz .LBB441_1324
; %bb.1323:
	s_cmp_lg_u32 s15, 11
	s_mov_b64 s[8:9], -1
	s_cselect_b64 s[0:1], -1, 0
.LBB441_1324:
	s_and_b64 vcc, exec, s[0:1]
	s_cbranch_vccnz .LBB441_1387
; %bb.1325:
	s_andn2_b64 vcc, exec, s[8:9]
	s_cbranch_vccnz .LBB441_1327
.LBB441_1326:
	global_load_ubyte v1, v[12:13], off
	s_mov_b64 s[10:11], -1
	s_waitcnt vmcnt(0)
	v_cmp_ne_u16_e32 vcc, 0, v1
	s_nop 1
	v_cndmask_b32_e64 v5, 0, 1, vcc
.LBB441_1327:
	s_branch .LBB441_1258
.LBB441_1328:
	s_and_b32 s8, 0xffff, s14
	s_cmp_lt_i32 s8, 5
	s_cbranch_scc1 .LBB441_1333
; %bb.1329:
	s_cmp_lt_i32 s8, 8
	s_cbranch_scc1 .LBB441_1334
; %bb.1330:
	;; [unrolled: 3-line block ×3, first 2 shown]
	s_cmp_gt_i32 s8, 9
	s_cbranch_scc0 .LBB441_1336
; %bb.1332:
	global_load_dwordx2 v[14:15], v[12:13], off
	s_mov_b64 s[0:1], 0
	s_waitcnt vmcnt(0)
	v_cvt_i32_f64_e32 v5, v[14:15]
	s_branch .LBB441_1337
.LBB441_1333:
                                        ; implicit-def: $vgpr5
	s_branch .LBB441_1355
.LBB441_1334:
	s_mov_b64 s[0:1], -1
                                        ; implicit-def: $vgpr5
	s_branch .LBB441_1343
.LBB441_1335:
	s_mov_b64 s[0:1], -1
                                        ; implicit-def: $vgpr5
	s_branch .LBB441_1340
.LBB441_1336:
	s_mov_b64 s[0:1], -1
                                        ; implicit-def: $vgpr5
.LBB441_1337:
	s_andn2_b64 vcc, exec, s[0:1]
	s_cbranch_vccnz .LBB441_1339
; %bb.1338:
	global_load_dword v1, v[12:13], off
	s_waitcnt vmcnt(0)
	v_cvt_i32_f32_e32 v5, v1
.LBB441_1339:
	s_mov_b64 s[0:1], 0
.LBB441_1340:
	s_andn2_b64 vcc, exec, s[0:1]
	s_cbranch_vccnz .LBB441_1342
; %bb.1341:
	global_load_dword v1, v[12:13], off
	s_waitcnt vmcnt(0)
	v_cvt_f32_f16_e32 v1, v1
	v_cvt_i32_f32_e32 v5, v1
.LBB441_1342:
	s_mov_b64 s[0:1], 0
.LBB441_1343:
	s_andn2_b64 vcc, exec, s[0:1]
	s_cbranch_vccnz .LBB441_1354
; %bb.1344:
	s_cmp_lt_i32 s8, 6
	s_cbranch_scc1 .LBB441_1347
; %bb.1345:
	s_cmp_gt_i32 s8, 6
	s_cbranch_scc0 .LBB441_1348
; %bb.1346:
	global_load_dwordx2 v[14:15], v[12:13], off
	s_mov_b64 s[0:1], 0
	s_waitcnt vmcnt(0)
	v_cvt_i32_f64_e32 v5, v[14:15]
	s_branch .LBB441_1349
.LBB441_1347:
	s_mov_b64 s[0:1], -1
                                        ; implicit-def: $vgpr5
	s_branch .LBB441_1352
.LBB441_1348:
	s_mov_b64 s[0:1], -1
                                        ; implicit-def: $vgpr5
.LBB441_1349:
	s_andn2_b64 vcc, exec, s[0:1]
	s_cbranch_vccnz .LBB441_1351
; %bb.1350:
	global_load_dword v1, v[12:13], off
	s_waitcnt vmcnt(0)
	v_cvt_i32_f32_e32 v5, v1
.LBB441_1351:
	s_mov_b64 s[0:1], 0
.LBB441_1352:
	s_andn2_b64 vcc, exec, s[0:1]
	s_cbranch_vccnz .LBB441_1354
; %bb.1353:
	global_load_ushort v1, v[12:13], off
	s_waitcnt vmcnt(0)
	v_cvt_f32_f16_e32 v1, v1
	v_cvt_i32_f32_e32 v5, v1
.LBB441_1354:
	s_cbranch_execnz .LBB441_1374
.LBB441_1355:
	s_cmp_lt_i32 s8, 2
	s_cbranch_scc1 .LBB441_1359
; %bb.1356:
	s_cmp_lt_i32 s8, 3
	s_cbranch_scc1 .LBB441_1360
; %bb.1357:
	s_cmp_gt_i32 s8, 3
	s_cbranch_scc0 .LBB441_1361
; %bb.1358:
	global_load_dword v5, v[12:13], off
	s_mov_b64 s[0:1], 0
	s_branch .LBB441_1362
.LBB441_1359:
	s_mov_b64 s[0:1], -1
                                        ; implicit-def: $vgpr5
	s_branch .LBB441_1368
.LBB441_1360:
	s_mov_b64 s[0:1], -1
                                        ; implicit-def: $vgpr5
	s_branch .LBB441_1365
.LBB441_1361:
	s_mov_b64 s[0:1], -1
                                        ; implicit-def: $vgpr5
.LBB441_1362:
	s_andn2_b64 vcc, exec, s[0:1]
	s_cbranch_vccnz .LBB441_1364
; %bb.1363:
	global_load_dword v5, v[12:13], off
.LBB441_1364:
	s_mov_b64 s[0:1], 0
.LBB441_1365:
	s_andn2_b64 vcc, exec, s[0:1]
	s_cbranch_vccnz .LBB441_1367
; %bb.1366:
	global_load_sshort v5, v[12:13], off
.LBB441_1367:
	s_mov_b64 s[0:1], 0
.LBB441_1368:
	s_andn2_b64 vcc, exec, s[0:1]
	s_cbranch_vccnz .LBB441_1374
; %bb.1369:
	s_cmp_gt_i32 s8, 0
	s_cbranch_scc0 .LBB441_1371
; %bb.1370:
	global_load_sbyte v5, v[12:13], off
	s_mov_b64 s[0:1], 0
	s_branch .LBB441_1372
.LBB441_1371:
	s_mov_b64 s[0:1], -1
                                        ; implicit-def: $vgpr5
.LBB441_1372:
	s_andn2_b64 vcc, exec, s[0:1]
	s_cbranch_vccnz .LBB441_1374
; %bb.1373:
	global_load_ubyte v5, v[12:13], off
.LBB441_1374:
.LBB441_1375:
	v_mov_b32_e32 v11, 0
	s_cmp_lt_i32 s14, 11
	v_lshl_add_u64 v[10:11], s[6:7], 0, v[10:11]
	s_cbranch_scc1 .LBB441_1382
; %bb.1376:
	s_and_b32 s15, 0xffff, s14
	s_cmp_gt_i32 s15, 25
	s_mov_b64 s[8:9], 0
	s_cbranch_scc0 .LBB441_1384
; %bb.1377:
	s_cmp_gt_i32 s15, 28
	s_cbranch_scc0 .LBB441_1385
; %bb.1378:
	s_cmp_gt_i32 s15, 43
	;; [unrolled: 3-line block ×3, first 2 shown]
	s_cbranch_scc0 .LBB441_1388
; %bb.1380:
	s_cmp_eq_u32 s15, 46
	s_mov_b64 s[12:13], 0
	s_cbranch_scc0 .LBB441_1389
; %bb.1381:
	global_load_dword v1, v[10:11], off
	s_mov_b64 s[0:1], 0
	s_mov_b64 s[10:11], -1
	s_waitcnt vmcnt(0)
	v_lshlrev_b32_e32 v1, 16, v1
	v_cvt_i32_f32_e32 v3, v1
	s_branch .LBB441_1390
.LBB441_1382:
	s_mov_b64 s[10:11], 0
                                        ; implicit-def: $vgpr3
	s_cbranch_execnz .LBB441_1452
.LBB441_1383:
	s_andn2_b64 vcc, exec, s[10:11]
	s_cbranch_vccnz .LBB441_2059
	s_branch .LBB441_1500
.LBB441_1384:
	s_mov_b64 s[12:13], -1
	s_mov_b64 s[10:11], 0
	s_mov_b64 s[0:1], 0
                                        ; implicit-def: $vgpr3
	s_branch .LBB441_1417
.LBB441_1385:
	s_mov_b64 s[12:13], -1
	s_mov_b64 s[10:11], 0
	s_mov_b64 s[0:1], 0
                                        ; implicit-def: $vgpr3
	s_branch .LBB441_1400
.LBB441_1386:
	s_mov_b64 s[12:13], -1
	s_mov_b64 s[10:11], 0
	s_mov_b64 s[0:1], 0
                                        ; implicit-def: $vgpr3
	s_branch .LBB441_1395
.LBB441_1387:
	s_trap 2
	s_or_b64 s[2:3], s[2:3], exec
	s_cbranch_execz .LBB441_1326
	s_branch .LBB441_1327
.LBB441_1388:
	s_mov_b64 s[12:13], -1
	s_mov_b64 s[10:11], 0
	s_mov_b64 s[0:1], 0
                                        ; implicit-def: $vgpr3
	s_branch .LBB441_1390
.LBB441_1389:
	s_mov_b64 s[0:1], -1
                                        ; implicit-def: $vgpr3
	s_mov_b64 s[10:11], 0
.LBB441_1390:
	s_and_b64 vcc, exec, s[12:13]
	s_cbranch_vccz .LBB441_1394
; %bb.1391:
	s_cmp_eq_u32 s15, 44
	s_cbranch_scc0 .LBB441_1393
; %bb.1392:
	global_load_ubyte v1, v[10:11], off
	s_mov_b64 s[0:1], 0
	s_mov_b64 s[10:11], -1
	s_waitcnt vmcnt(0)
	v_lshlrev_b32_e32 v3, 23, v1
	v_cvt_i32_f32_e32 v3, v3
	v_cmp_ne_u32_e32 vcc, 0, v1
	s_nop 1
	v_cndmask_b32_e32 v3, 0, v3, vcc
	s_branch .LBB441_1394
.LBB441_1393:
	s_mov_b64 s[0:1], -1
                                        ; implicit-def: $vgpr3
.LBB441_1394:
	s_mov_b64 s[12:13], 0
.LBB441_1395:
	s_and_b64 vcc, exec, s[12:13]
	s_cbranch_vccz .LBB441_1399
; %bb.1396:
	s_cmp_eq_u32 s15, 29
	s_cbranch_scc0 .LBB441_1398
; %bb.1397:
	global_load_dword v3, v[10:11], off
	s_mov_b64 s[0:1], 0
	s_mov_b64 s[10:11], -1
	s_branch .LBB441_1399
.LBB441_1398:
	s_mov_b64 s[0:1], -1
                                        ; implicit-def: $vgpr3
.LBB441_1399:
	s_mov_b64 s[12:13], 0
.LBB441_1400:
	s_and_b64 vcc, exec, s[12:13]
	s_cbranch_vccz .LBB441_1416
; %bb.1401:
	s_cmp_lt_i32 s15, 27
	s_cbranch_scc1 .LBB441_1404
; %bb.1402:
	s_cmp_gt_i32 s15, 27
	s_cbranch_scc0 .LBB441_1405
; %bb.1403:
	global_load_dword v3, v[10:11], off
	s_mov_b64 s[10:11], 0
	s_branch .LBB441_1406
.LBB441_1404:
	s_mov_b64 s[10:11], -1
                                        ; implicit-def: $vgpr3
	s_branch .LBB441_1409
.LBB441_1405:
	s_mov_b64 s[10:11], -1
                                        ; implicit-def: $vgpr3
.LBB441_1406:
	s_andn2_b64 vcc, exec, s[10:11]
	s_cbranch_vccnz .LBB441_1408
; %bb.1407:
	global_load_ushort v3, v[10:11], off
.LBB441_1408:
	s_mov_b64 s[10:11], 0
.LBB441_1409:
	s_andn2_b64 vcc, exec, s[10:11]
	s_cbranch_vccnz .LBB441_1415
; %bb.1410:
	global_load_ubyte v1, v[10:11], off
	s_movk_i32 s10, 0x7f
	s_mov_b64 s[12:13], 0
	s_waitcnt vmcnt(0)
	v_cmp_lt_i16_e32 vcc, s10, v1
	s_and_saveexec_b64 s[10:11], vcc
	s_xor_b64 s[10:11], exec, s[10:11]
	s_cbranch_execz .LBB441_1427
; %bb.1411:
	s_movk_i32 s12, 0x80
	v_cmp_ne_u16_e32 vcc, s12, v1
	s_and_b64 s[12:13], vcc, exec
	s_andn2_saveexec_b64 s[10:11], s[10:11]
	s_cbranch_execnz .LBB441_1428
.LBB441_1412:
	s_or_b64 exec, exec, s[10:11]
	v_mov_b32_e32 v3, 0
	s_and_saveexec_b64 s[10:11], s[12:13]
	s_cbranch_execz .LBB441_1414
.LBB441_1413:
	v_lshlrev_b32_e32 v3, 24, v1
	v_and_b32_e32 v1, 0xffff, v1
	v_and_b32_e32 v9, 7, v1
	v_ffbh_u32_e32 v13, v9
	v_min_u32_e32 v13, 32, v13
	v_subrev_u32_e32 v14, 28, v13
	v_bfe_u32 v12, v1, 3, 4
	v_lshlrev_b32_e32 v1, v14, v1
	v_sub_u32_e32 v13, 29, v13
	v_and_b32_e32 v1, 7, v1
	v_cmp_eq_u32_e32 vcc, 0, v12
	v_and_b32_e32 v3, 0x80000000, v3
	s_nop 0
	v_cndmask_b32_e32 v12, v12, v13, vcc
	v_cndmask_b32_e32 v1, v9, v1, vcc
	v_mov_b32_e32 v9, 0x3b800000
	v_lshlrev_b32_e32 v1, 20, v1
	v_lshl_add_u32 v9, v12, 23, v9
	v_or3_b32 v1, v3, v9, v1
	v_cvt_i32_f32_e32 v3, v1
.LBB441_1414:
	s_or_b64 exec, exec, s[10:11]
.LBB441_1415:
	s_mov_b64 s[10:11], -1
.LBB441_1416:
	s_mov_b64 s[12:13], 0
.LBB441_1417:
	s_and_b64 vcc, exec, s[12:13]
	s_cbranch_vccz .LBB441_1448
; %bb.1418:
	s_cmp_gt_i32 s15, 22
	s_cbranch_scc0 .LBB441_1426
; %bb.1419:
	s_cmp_lt_i32 s15, 24
	s_cbranch_scc1 .LBB441_1429
; %bb.1420:
	s_cmp_gt_i32 s15, 24
	s_cbranch_scc0 .LBB441_1430
; %bb.1421:
	global_load_ubyte v1, v[10:11], off
	s_movk_i32 s8, 0x7f
	s_mov_b64 s[10:11], 0
	s_waitcnt vmcnt(0)
	v_cmp_lt_i16_e32 vcc, s8, v1
	s_and_saveexec_b64 s[8:9], vcc
	s_xor_b64 s[8:9], exec, s[8:9]
	s_cbranch_execz .LBB441_1442
; %bb.1422:
	s_movk_i32 s10, 0x80
	v_cmp_ne_u16_e32 vcc, s10, v1
	s_and_b64 s[10:11], vcc, exec
	s_andn2_saveexec_b64 s[8:9], s[8:9]
	s_cbranch_execnz .LBB441_1443
.LBB441_1423:
	s_or_b64 exec, exec, s[8:9]
	v_mov_b32_e32 v3, 0
	s_and_saveexec_b64 s[8:9], s[10:11]
	s_cbranch_execz .LBB441_1425
.LBB441_1424:
	v_lshlrev_b32_e32 v3, 24, v1
	v_and_b32_e32 v1, 0xffff, v1
	v_and_b32_e32 v9, 3, v1
	v_ffbh_u32_e32 v13, v9
	v_min_u32_e32 v13, 32, v13
	v_subrev_u32_e32 v14, 29, v13
	v_bfe_u32 v12, v1, 2, 5
	v_lshlrev_b32_e32 v1, v14, v1
	v_sub_u32_e32 v13, 30, v13
	v_and_b32_e32 v1, 3, v1
	v_cmp_eq_u32_e32 vcc, 0, v12
	v_and_b32_e32 v3, 0x80000000, v3
	s_nop 0
	v_cndmask_b32_e32 v12, v12, v13, vcc
	v_cndmask_b32_e32 v1, v9, v1, vcc
	v_mov_b32_e32 v9, 0x37800000
	v_lshlrev_b32_e32 v1, 21, v1
	v_lshl_add_u32 v9, v12, 23, v9
	v_or3_b32 v1, v3, v9, v1
	v_cvt_i32_f32_e32 v3, v1
.LBB441_1425:
	s_or_b64 exec, exec, s[8:9]
	s_mov_b64 s[8:9], 0
	s_branch .LBB441_1431
.LBB441_1426:
	s_mov_b64 s[8:9], -1
                                        ; implicit-def: $vgpr3
	s_branch .LBB441_1437
.LBB441_1427:
	s_andn2_saveexec_b64 s[10:11], s[10:11]
	s_cbranch_execz .LBB441_1412
.LBB441_1428:
	v_cmp_ne_u16_e32 vcc, 0, v1
	s_andn2_b64 s[12:13], s[12:13], exec
	s_and_b64 s[16:17], vcc, exec
	s_or_b64 s[12:13], s[12:13], s[16:17]
	s_or_b64 exec, exec, s[10:11]
	v_mov_b32_e32 v3, 0
	s_and_saveexec_b64 s[10:11], s[12:13]
	s_cbranch_execnz .LBB441_1413
	s_branch .LBB441_1414
.LBB441_1429:
	s_mov_b64 s[8:9], -1
                                        ; implicit-def: $vgpr3
	s_branch .LBB441_1434
.LBB441_1430:
	s_mov_b64 s[8:9], -1
                                        ; implicit-def: $vgpr3
.LBB441_1431:
	s_and_b64 vcc, exec, s[8:9]
	s_cbranch_vccz .LBB441_1433
; %bb.1432:
	global_load_ubyte v1, v[10:11], off
	s_mov_b32 s8, 0x7f800000
	s_waitcnt vmcnt(0)
	v_lshlrev_b32_e32 v1, 24, v1
	v_and_b32_e32 v3, 0x7f000000, v1
	v_ffbh_u32_e32 v9, v3
	v_min_u32_e32 v9, 32, v9
	v_sub_u32_e64 v9, v9, 4 clamp
	v_lshlrev_b32_e32 v13, v9, v3
	v_lshlrev_b32_e32 v9, 23, v9
	v_lshrrev_b32_e32 v13, 4, v13
	v_add_u32_e32 v12, 0x1000000, v3
	v_sub_u32_e32 v9, v13, v9
	v_ashrrev_i32_e32 v12, 8, v12
	v_add_u32_e32 v9, 0x3c000000, v9
	v_and_or_b32 v9, v12, s8, v9
	v_cmp_ne_u32_e32 vcc, 0, v3
	s_brev_b32 s8, 1
	s_nop 0
	v_cndmask_b32_e32 v3, 0, v9, vcc
	v_and_or_b32 v1, v1, s8, v3
	v_cvt_i32_f32_e32 v3, v1
.LBB441_1433:
	s_mov_b64 s[8:9], 0
.LBB441_1434:
	s_andn2_b64 vcc, exec, s[8:9]
	s_cbranch_vccnz .LBB441_1436
; %bb.1435:
	global_load_ubyte v1, v[10:11], off
	s_movk_i32 s8, 0x7f00
	s_brev_b32 s9, 16
	s_waitcnt vmcnt(0)
	v_lshlrev_b16_e32 v3, 8, v1
	v_lshlrev_b32_e32 v1, 25, v1
	v_lshrrev_b32_e32 v9, 4, v1
	v_and_or_b32 v12, v3, s8, 0.5
	v_or_b32_e32 v9, 0x70000000, v9
	v_add_f32_e32 v12, -0.5, v12
	v_mul_f32_e32 v9, 0x7800000, v9
	v_cmp_gt_u32_e32 vcc, s9, v1
	v_bfe_i32 v3, v3, 0, 16
	s_brev_b32 s8, 1
	v_cndmask_b32_e32 v1, v9, v12, vcc
	v_and_or_b32 v1, v3, s8, v1
	v_cvt_i32_f32_e32 v3, v1
.LBB441_1436:
	s_mov_b64 s[8:9], 0
	s_mov_b64 s[10:11], -1
.LBB441_1437:
	s_andn2_b64 vcc, exec, s[8:9]
	s_mov_b64 s[8:9], 0
	s_cbranch_vccnz .LBB441_1448
; %bb.1438:
	s_cmp_gt_i32 s15, 14
	s_cbranch_scc0 .LBB441_1441
; %bb.1439:
	s_cmp_eq_u32 s15, 15
	s_cbranch_scc0 .LBB441_1444
; %bb.1440:
	global_load_ushort v1, v[10:11], off
	s_mov_b64 s[0:1], 0
	s_mov_b64 s[10:11], -1
	s_waitcnt vmcnt(0)
	v_lshlrev_b32_e32 v1, 16, v1
	v_cvt_i32_f32_e32 v3, v1
	s_branch .LBB441_1445
.LBB441_1441:
	s_mov_b64 s[12:13], -1
                                        ; implicit-def: $vgpr3
	s_branch .LBB441_1446
.LBB441_1442:
	s_andn2_saveexec_b64 s[8:9], s[8:9]
	s_cbranch_execz .LBB441_1423
.LBB441_1443:
	v_cmp_ne_u16_e32 vcc, 0, v1
	s_andn2_b64 s[10:11], s[10:11], exec
	s_and_b64 s[12:13], vcc, exec
	s_or_b64 s[10:11], s[10:11], s[12:13]
	s_or_b64 exec, exec, s[8:9]
	v_mov_b32_e32 v3, 0
	s_and_saveexec_b64 s[8:9], s[10:11]
	s_cbranch_execnz .LBB441_1424
	s_branch .LBB441_1425
.LBB441_1444:
	s_mov_b64 s[0:1], -1
                                        ; implicit-def: $vgpr3
.LBB441_1445:
	s_mov_b64 s[12:13], 0
.LBB441_1446:
	s_and_b64 vcc, exec, s[12:13]
	s_cbranch_vccz .LBB441_1448
; %bb.1447:
	s_cmp_lg_u32 s15, 11
	s_mov_b64 s[8:9], -1
	s_cselect_b64 s[0:1], -1, 0
.LBB441_1448:
	s_and_b64 vcc, exec, s[0:1]
	s_cbranch_vccnz .LBB441_1511
; %bb.1449:
	s_andn2_b64 vcc, exec, s[8:9]
	s_cbranch_vccnz .LBB441_1451
.LBB441_1450:
	global_load_ubyte v1, v[10:11], off
	s_mov_b64 s[10:11], -1
	s_waitcnt vmcnt(0)
	v_cmp_ne_u16_e32 vcc, 0, v1
	s_nop 1
	v_cndmask_b32_e64 v3, 0, 1, vcc
.LBB441_1451:
	s_branch .LBB441_1383
.LBB441_1452:
	s_and_b32 s8, 0xffff, s14
	s_cmp_lt_i32 s8, 5
	s_cbranch_scc1 .LBB441_1457
; %bb.1453:
	s_cmp_lt_i32 s8, 8
	s_cbranch_scc1 .LBB441_1458
; %bb.1454:
	;; [unrolled: 3-line block ×3, first 2 shown]
	s_cmp_gt_i32 s8, 9
	s_cbranch_scc0 .LBB441_1460
; %bb.1456:
	global_load_dwordx2 v[12:13], v[10:11], off
	s_mov_b64 s[0:1], 0
	s_waitcnt vmcnt(0)
	v_cvt_i32_f64_e32 v3, v[12:13]
	s_branch .LBB441_1461
.LBB441_1457:
	s_mov_b64 s[0:1], -1
                                        ; implicit-def: $vgpr3
	s_branch .LBB441_1479
.LBB441_1458:
	s_mov_b64 s[0:1], -1
                                        ; implicit-def: $vgpr3
	s_branch .LBB441_1467
.LBB441_1459:
	s_mov_b64 s[0:1], -1
                                        ; implicit-def: $vgpr3
	s_branch .LBB441_1464
.LBB441_1460:
	s_mov_b64 s[0:1], -1
                                        ; implicit-def: $vgpr3
.LBB441_1461:
	s_andn2_b64 vcc, exec, s[0:1]
	s_cbranch_vccnz .LBB441_1463
; %bb.1462:
	global_load_dword v1, v[10:11], off
	s_waitcnt vmcnt(0)
	v_cvt_i32_f32_e32 v3, v1
.LBB441_1463:
	s_mov_b64 s[0:1], 0
.LBB441_1464:
	s_andn2_b64 vcc, exec, s[0:1]
	s_cbranch_vccnz .LBB441_1466
; %bb.1465:
	global_load_dword v1, v[10:11], off
	s_waitcnt vmcnt(0)
	v_cvt_f32_f16_e32 v1, v1
	v_cvt_i32_f32_e32 v3, v1
.LBB441_1466:
	s_mov_b64 s[0:1], 0
.LBB441_1467:
	s_andn2_b64 vcc, exec, s[0:1]
	s_cbranch_vccnz .LBB441_1478
; %bb.1468:
	s_cmp_lt_i32 s8, 6
	s_cbranch_scc1 .LBB441_1471
; %bb.1469:
	s_cmp_gt_i32 s8, 6
	s_cbranch_scc0 .LBB441_1472
; %bb.1470:
	global_load_dwordx2 v[12:13], v[10:11], off
	s_mov_b64 s[0:1], 0
	s_waitcnt vmcnt(0)
	v_cvt_i32_f64_e32 v3, v[12:13]
	s_branch .LBB441_1473
.LBB441_1471:
	s_mov_b64 s[0:1], -1
                                        ; implicit-def: $vgpr3
	s_branch .LBB441_1476
.LBB441_1472:
	s_mov_b64 s[0:1], -1
                                        ; implicit-def: $vgpr3
.LBB441_1473:
	s_andn2_b64 vcc, exec, s[0:1]
	s_cbranch_vccnz .LBB441_1475
; %bb.1474:
	global_load_dword v1, v[10:11], off
	s_waitcnt vmcnt(0)
	v_cvt_i32_f32_e32 v3, v1
.LBB441_1475:
	s_mov_b64 s[0:1], 0
.LBB441_1476:
	s_andn2_b64 vcc, exec, s[0:1]
	s_cbranch_vccnz .LBB441_1478
; %bb.1477:
	global_load_ushort v1, v[10:11], off
	s_waitcnt vmcnt(0)
	v_cvt_f32_f16_e32 v1, v1
	v_cvt_i32_f32_e32 v3, v1
.LBB441_1478:
	s_mov_b64 s[0:1], 0
.LBB441_1479:
	s_andn2_b64 vcc, exec, s[0:1]
	s_cbranch_vccnz .LBB441_1499
; %bb.1480:
	s_cmp_lt_i32 s8, 2
	s_cbranch_scc1 .LBB441_1484
; %bb.1481:
	s_cmp_lt_i32 s8, 3
	s_cbranch_scc1 .LBB441_1485
; %bb.1482:
	s_cmp_gt_i32 s8, 3
	s_cbranch_scc0 .LBB441_1486
; %bb.1483:
	global_load_dword v3, v[10:11], off
	s_mov_b64 s[0:1], 0
	s_branch .LBB441_1487
.LBB441_1484:
	s_mov_b64 s[0:1], -1
                                        ; implicit-def: $vgpr3
	s_branch .LBB441_1493
.LBB441_1485:
	s_mov_b64 s[0:1], -1
                                        ; implicit-def: $vgpr3
	s_branch .LBB441_1490
.LBB441_1486:
	s_mov_b64 s[0:1], -1
                                        ; implicit-def: $vgpr3
.LBB441_1487:
	s_andn2_b64 vcc, exec, s[0:1]
	s_cbranch_vccnz .LBB441_1489
; %bb.1488:
	global_load_dword v3, v[10:11], off
.LBB441_1489:
	s_mov_b64 s[0:1], 0
.LBB441_1490:
	s_andn2_b64 vcc, exec, s[0:1]
	s_cbranch_vccnz .LBB441_1492
; %bb.1491:
	global_load_sshort v3, v[10:11], off
.LBB441_1492:
	s_mov_b64 s[0:1], 0
.LBB441_1493:
	s_andn2_b64 vcc, exec, s[0:1]
	s_cbranch_vccnz .LBB441_1499
; %bb.1494:
	s_cmp_gt_i32 s8, 0
	s_cbranch_scc0 .LBB441_1496
; %bb.1495:
	global_load_sbyte v3, v[10:11], off
	s_mov_b64 s[0:1], 0
	s_branch .LBB441_1497
.LBB441_1496:
	s_mov_b64 s[0:1], -1
                                        ; implicit-def: $vgpr3
.LBB441_1497:
	s_andn2_b64 vcc, exec, s[0:1]
	s_cbranch_vccnz .LBB441_1499
; %bb.1498:
	global_load_ubyte v3, v[10:11], off
.LBB441_1499:
.LBB441_1500:
	v_mov_b32_e32 v9, 0
	s_cmp_lt_i32 s14, 11
	v_lshl_add_u64 v[8:9], s[6:7], 0, v[8:9]
	s_cbranch_scc1 .LBB441_1507
; %bb.1501:
	s_and_b32 s12, 0xffff, s14
	s_cmp_gt_i32 s12, 25
	s_mov_b64 s[6:7], 0
	s_cbranch_scc0 .LBB441_1508
; %bb.1502:
	s_cmp_gt_i32 s12, 28
	s_cbranch_scc0 .LBB441_1509
; %bb.1503:
	s_cmp_gt_i32 s12, 43
	;; [unrolled: 3-line block ×3, first 2 shown]
	s_cbranch_scc0 .LBB441_1512
; %bb.1505:
	s_cmp_eq_u32 s12, 46
	s_mov_b64 s[10:11], 0
	s_cbranch_scc0 .LBB441_1513
; %bb.1506:
	global_load_dword v1, v[8:9], off
	s_mov_b64 s[0:1], 0
	s_mov_b64 s[8:9], -1
	s_waitcnt vmcnt(0)
	v_lshlrev_b32_e32 v1, 16, v1
	v_cvt_i32_f32_e32 v1, v1
	s_branch .LBB441_1514
.LBB441_1507:
	s_mov_b64 s[0:1], -1
	s_mov_b64 s[8:9], 0
                                        ; implicit-def: $vgpr1
	s_branch .LBB441_1576
.LBB441_1508:
	s_mov_b64 s[10:11], -1
	s_mov_b64 s[8:9], 0
	s_mov_b64 s[0:1], 0
                                        ; implicit-def: $vgpr1
	s_branch .LBB441_1541
.LBB441_1509:
	s_mov_b64 s[10:11], -1
	s_mov_b64 s[8:9], 0
	s_mov_b64 s[0:1], 0
                                        ; implicit-def: $vgpr1
	s_branch .LBB441_1524
.LBB441_1510:
	s_mov_b64 s[10:11], -1
	s_mov_b64 s[8:9], 0
	s_mov_b64 s[0:1], 0
                                        ; implicit-def: $vgpr1
	s_branch .LBB441_1519
.LBB441_1511:
	s_trap 2
	s_or_b64 s[2:3], s[2:3], exec
	s_cbranch_execz .LBB441_1450
	s_branch .LBB441_1451
.LBB441_1512:
	s_mov_b64 s[10:11], -1
	s_mov_b64 s[8:9], 0
	s_mov_b64 s[0:1], 0
                                        ; implicit-def: $vgpr1
	s_branch .LBB441_1514
.LBB441_1513:
	s_mov_b64 s[0:1], -1
                                        ; implicit-def: $vgpr1
	s_mov_b64 s[8:9], 0
.LBB441_1514:
	s_and_b64 vcc, exec, s[10:11]
	s_cbranch_vccz .LBB441_1518
; %bb.1515:
	s_cmp_eq_u32 s12, 44
	s_cbranch_scc0 .LBB441_1517
; %bb.1516:
	global_load_ubyte v1, v[8:9], off
	s_mov_b64 s[0:1], 0
	s_mov_b64 s[8:9], -1
	s_waitcnt vmcnt(0)
	v_lshlrev_b32_e32 v10, 23, v1
	v_cvt_i32_f32_e32 v10, v10
	v_cmp_ne_u32_e32 vcc, 0, v1
	s_nop 1
	v_cndmask_b32_e32 v1, 0, v10, vcc
	s_branch .LBB441_1518
.LBB441_1517:
	s_mov_b64 s[0:1], -1
                                        ; implicit-def: $vgpr1
.LBB441_1518:
	s_mov_b64 s[10:11], 0
.LBB441_1519:
	s_and_b64 vcc, exec, s[10:11]
	s_cbranch_vccz .LBB441_1523
; %bb.1520:
	s_cmp_eq_u32 s12, 29
	s_cbranch_scc0 .LBB441_1522
; %bb.1521:
	global_load_dword v1, v[8:9], off
	s_mov_b64 s[0:1], 0
	s_mov_b64 s[8:9], -1
	s_branch .LBB441_1523
.LBB441_1522:
	s_mov_b64 s[0:1], -1
                                        ; implicit-def: $vgpr1
.LBB441_1523:
	s_mov_b64 s[10:11], 0
.LBB441_1524:
	s_and_b64 vcc, exec, s[10:11]
	s_cbranch_vccz .LBB441_1540
; %bb.1525:
	s_cmp_lt_i32 s12, 27
	s_cbranch_scc1 .LBB441_1528
; %bb.1526:
	s_cmp_gt_i32 s12, 27
	s_cbranch_scc0 .LBB441_1529
; %bb.1527:
	global_load_dword v1, v[8:9], off
	s_mov_b64 s[8:9], 0
	s_branch .LBB441_1530
.LBB441_1528:
	s_mov_b64 s[8:9], -1
                                        ; implicit-def: $vgpr1
	s_branch .LBB441_1533
.LBB441_1529:
	s_mov_b64 s[8:9], -1
                                        ; implicit-def: $vgpr1
.LBB441_1530:
	s_andn2_b64 vcc, exec, s[8:9]
	s_cbranch_vccnz .LBB441_1532
; %bb.1531:
	global_load_ushort v1, v[8:9], off
.LBB441_1532:
	s_mov_b64 s[8:9], 0
.LBB441_1533:
	s_andn2_b64 vcc, exec, s[8:9]
	s_cbranch_vccnz .LBB441_1539
; %bb.1534:
	global_load_ubyte v10, v[8:9], off
	s_movk_i32 s8, 0x7f
	s_mov_b64 s[10:11], 0
	s_waitcnt vmcnt(0)
	v_cmp_lt_i16_e32 vcc, s8, v10
	s_and_saveexec_b64 s[8:9], vcc
	s_xor_b64 s[8:9], exec, s[8:9]
	s_cbranch_execz .LBB441_1551
; %bb.1535:
	s_movk_i32 s10, 0x80
	v_cmp_ne_u16_e32 vcc, s10, v10
	s_and_b64 s[10:11], vcc, exec
	s_andn2_saveexec_b64 s[8:9], s[8:9]
	s_cbranch_execnz .LBB441_1552
.LBB441_1536:
	s_or_b64 exec, exec, s[8:9]
	v_mov_b32_e32 v1, 0
	s_and_saveexec_b64 s[8:9], s[10:11]
	s_cbranch_execz .LBB441_1538
.LBB441_1537:
	v_lshlrev_b32_e32 v1, 24, v10
	v_and_b32_e32 v10, 0xffff, v10
	v_and_b32_e32 v11, 7, v10
	v_ffbh_u32_e32 v13, v11
	v_min_u32_e32 v13, 32, v13
	v_subrev_u32_e32 v14, 28, v13
	v_bfe_u32 v12, v10, 3, 4
	v_lshlrev_b32_e32 v10, v14, v10
	v_sub_u32_e32 v13, 29, v13
	v_and_b32_e32 v10, 7, v10
	v_cmp_eq_u32_e32 vcc, 0, v12
	v_and_b32_e32 v1, 0x80000000, v1
	s_nop 0
	v_cndmask_b32_e32 v12, v12, v13, vcc
	v_cndmask_b32_e32 v10, v11, v10, vcc
	v_mov_b32_e32 v11, 0x3b800000
	v_lshlrev_b32_e32 v10, 20, v10
	v_lshl_add_u32 v11, v12, 23, v11
	v_or3_b32 v1, v1, v11, v10
	v_cvt_i32_f32_e32 v1, v1
.LBB441_1538:
	s_or_b64 exec, exec, s[8:9]
.LBB441_1539:
	s_mov_b64 s[8:9], -1
.LBB441_1540:
	s_mov_b64 s[10:11], 0
.LBB441_1541:
	s_and_b64 vcc, exec, s[10:11]
	s_cbranch_vccz .LBB441_1572
; %bb.1542:
	s_cmp_gt_i32 s12, 22
	s_cbranch_scc0 .LBB441_1550
; %bb.1543:
	s_cmp_lt_i32 s12, 24
	s_cbranch_scc1 .LBB441_1553
; %bb.1544:
	s_cmp_gt_i32 s12, 24
	s_cbranch_scc0 .LBB441_1554
; %bb.1545:
	global_load_ubyte v10, v[8:9], off
	s_movk_i32 s6, 0x7f
	s_mov_b64 s[8:9], 0
	s_waitcnt vmcnt(0)
	v_cmp_lt_i16_e32 vcc, s6, v10
	s_and_saveexec_b64 s[6:7], vcc
	s_xor_b64 s[6:7], exec, s[6:7]
	s_cbranch_execz .LBB441_1566
; %bb.1546:
	s_movk_i32 s8, 0x80
	v_cmp_ne_u16_e32 vcc, s8, v10
	s_and_b64 s[8:9], vcc, exec
	s_andn2_saveexec_b64 s[6:7], s[6:7]
	s_cbranch_execnz .LBB441_1567
.LBB441_1547:
	s_or_b64 exec, exec, s[6:7]
	v_mov_b32_e32 v1, 0
	s_and_saveexec_b64 s[6:7], s[8:9]
	s_cbranch_execz .LBB441_1549
.LBB441_1548:
	v_lshlrev_b32_e32 v1, 24, v10
	v_and_b32_e32 v10, 0xffff, v10
	v_and_b32_e32 v11, 3, v10
	v_ffbh_u32_e32 v13, v11
	v_min_u32_e32 v13, 32, v13
	v_subrev_u32_e32 v14, 29, v13
	v_bfe_u32 v12, v10, 2, 5
	v_lshlrev_b32_e32 v10, v14, v10
	v_sub_u32_e32 v13, 30, v13
	v_and_b32_e32 v10, 3, v10
	v_cmp_eq_u32_e32 vcc, 0, v12
	v_and_b32_e32 v1, 0x80000000, v1
	s_nop 0
	v_cndmask_b32_e32 v12, v12, v13, vcc
	v_cndmask_b32_e32 v10, v11, v10, vcc
	v_mov_b32_e32 v11, 0x37800000
	v_lshlrev_b32_e32 v10, 21, v10
	v_lshl_add_u32 v11, v12, 23, v11
	v_or3_b32 v1, v1, v11, v10
	v_cvt_i32_f32_e32 v1, v1
.LBB441_1549:
	s_or_b64 exec, exec, s[6:7]
	s_mov_b64 s[6:7], 0
	s_branch .LBB441_1555
.LBB441_1550:
	s_mov_b64 s[6:7], -1
                                        ; implicit-def: $vgpr1
	s_branch .LBB441_1561
.LBB441_1551:
	s_andn2_saveexec_b64 s[8:9], s[8:9]
	s_cbranch_execz .LBB441_1536
.LBB441_1552:
	v_cmp_ne_u16_e32 vcc, 0, v10
	s_andn2_b64 s[10:11], s[10:11], exec
	s_and_b64 s[16:17], vcc, exec
	s_or_b64 s[10:11], s[10:11], s[16:17]
	s_or_b64 exec, exec, s[8:9]
	v_mov_b32_e32 v1, 0
	s_and_saveexec_b64 s[8:9], s[10:11]
	s_cbranch_execnz .LBB441_1537
	s_branch .LBB441_1538
.LBB441_1553:
	s_mov_b64 s[6:7], -1
                                        ; implicit-def: $vgpr1
	s_branch .LBB441_1558
.LBB441_1554:
	s_mov_b64 s[6:7], -1
                                        ; implicit-def: $vgpr1
.LBB441_1555:
	s_and_b64 vcc, exec, s[6:7]
	s_cbranch_vccz .LBB441_1557
; %bb.1556:
	global_load_ubyte v1, v[8:9], off
	s_mov_b32 s6, 0x7f800000
	s_waitcnt vmcnt(0)
	v_lshlrev_b32_e32 v1, 24, v1
	v_and_b32_e32 v10, 0x7f000000, v1
	v_ffbh_u32_e32 v11, v10
	v_min_u32_e32 v11, 32, v11
	v_sub_u32_e64 v11, v11, 4 clamp
	v_lshlrev_b32_e32 v13, v11, v10
	v_lshlrev_b32_e32 v11, 23, v11
	v_lshrrev_b32_e32 v13, 4, v13
	v_add_u32_e32 v12, 0x1000000, v10
	v_sub_u32_e32 v11, v13, v11
	v_ashrrev_i32_e32 v12, 8, v12
	v_add_u32_e32 v11, 0x3c000000, v11
	v_and_or_b32 v11, v12, s6, v11
	v_cmp_ne_u32_e32 vcc, 0, v10
	s_brev_b32 s6, 1
	s_nop 0
	v_cndmask_b32_e32 v10, 0, v11, vcc
	v_and_or_b32 v1, v1, s6, v10
	v_cvt_i32_f32_e32 v1, v1
.LBB441_1557:
	s_mov_b64 s[6:7], 0
.LBB441_1558:
	s_andn2_b64 vcc, exec, s[6:7]
	s_cbranch_vccnz .LBB441_1560
; %bb.1559:
	global_load_ubyte v1, v[8:9], off
	s_movk_i32 s6, 0x7f00
	s_brev_b32 s7, 16
	s_waitcnt vmcnt(0)
	v_lshlrev_b16_e32 v10, 8, v1
	v_lshlrev_b32_e32 v1, 25, v1
	v_lshrrev_b32_e32 v11, 4, v1
	v_and_or_b32 v12, v10, s6, 0.5
	v_or_b32_e32 v11, 0x70000000, v11
	v_add_f32_e32 v12, -0.5, v12
	v_mul_f32_e32 v11, 0x7800000, v11
	v_cmp_gt_u32_e32 vcc, s7, v1
	v_bfe_i32 v10, v10, 0, 16
	s_brev_b32 s6, 1
	v_cndmask_b32_e32 v1, v11, v12, vcc
	v_and_or_b32 v1, v10, s6, v1
	v_cvt_i32_f32_e32 v1, v1
.LBB441_1560:
	s_mov_b64 s[6:7], 0
	s_mov_b64 s[8:9], -1
.LBB441_1561:
	s_andn2_b64 vcc, exec, s[6:7]
	s_mov_b64 s[6:7], 0
	s_cbranch_vccnz .LBB441_1572
; %bb.1562:
	s_cmp_gt_i32 s12, 14
	s_cbranch_scc0 .LBB441_1565
; %bb.1563:
	s_cmp_eq_u32 s12, 15
	s_cbranch_scc0 .LBB441_1568
; %bb.1564:
	global_load_ushort v1, v[8:9], off
	s_mov_b64 s[0:1], 0
	s_mov_b64 s[8:9], -1
	s_waitcnt vmcnt(0)
	v_lshlrev_b32_e32 v1, 16, v1
	v_cvt_i32_f32_e32 v1, v1
	s_branch .LBB441_1569
.LBB441_1565:
	s_mov_b64 s[10:11], -1
                                        ; implicit-def: $vgpr1
	s_branch .LBB441_1570
.LBB441_1566:
	s_andn2_saveexec_b64 s[6:7], s[6:7]
	s_cbranch_execz .LBB441_1547
.LBB441_1567:
	v_cmp_ne_u16_e32 vcc, 0, v10
	s_andn2_b64 s[8:9], s[8:9], exec
	s_and_b64 s[10:11], vcc, exec
	s_or_b64 s[8:9], s[8:9], s[10:11]
	s_or_b64 exec, exec, s[6:7]
	v_mov_b32_e32 v1, 0
	s_and_saveexec_b64 s[6:7], s[8:9]
	s_cbranch_execnz .LBB441_1548
	s_branch .LBB441_1549
.LBB441_1568:
	s_mov_b64 s[0:1], -1
                                        ; implicit-def: $vgpr1
.LBB441_1569:
	s_mov_b64 s[10:11], 0
.LBB441_1570:
	s_and_b64 vcc, exec, s[10:11]
	s_cbranch_vccz .LBB441_1572
; %bb.1571:
	s_cmp_lg_u32 s12, 11
	s_mov_b64 s[6:7], -1
	s_cselect_b64 s[0:1], -1, 0
.LBB441_1572:
	s_and_b64 vcc, exec, s[0:1]
	s_cbranch_vccnz .LBB441_2105
; %bb.1573:
	s_andn2_b64 vcc, exec, s[6:7]
	s_cbranch_vccnz .LBB441_1575
.LBB441_1574:
	global_load_ubyte v1, v[8:9], off
	s_mov_b64 s[8:9], -1
	s_waitcnt vmcnt(0)
	v_cmp_ne_u16_e32 vcc, 0, v1
	s_nop 1
	v_cndmask_b32_e64 v1, 0, 1, vcc
.LBB441_1575:
	s_mov_b64 s[0:1], 0
.LBB441_1576:
	s_and_b64 vcc, exec, s[0:1]
	s_cbranch_vccz .LBB441_1625
; %bb.1577:
	s_and_b32 s6, 0xffff, s14
	s_cmp_lt_i32 s6, 5
	s_cbranch_scc1 .LBB441_1582
; %bb.1578:
	s_cmp_lt_i32 s6, 8
	s_cbranch_scc1 .LBB441_1583
; %bb.1579:
	;; [unrolled: 3-line block ×3, first 2 shown]
	s_cmp_gt_i32 s6, 9
	s_cbranch_scc0 .LBB441_1585
; %bb.1581:
	global_load_dwordx2 v[10:11], v[8:9], off
	s_mov_b64 s[0:1], 0
	s_waitcnt vmcnt(0)
	v_cvt_i32_f64_e32 v1, v[10:11]
	s_branch .LBB441_1586
.LBB441_1582:
	s_mov_b64 s[0:1], -1
                                        ; implicit-def: $vgpr1
	s_branch .LBB441_1604
.LBB441_1583:
	s_mov_b64 s[0:1], -1
                                        ; implicit-def: $vgpr1
	s_branch .LBB441_1592
.LBB441_1584:
	s_mov_b64 s[0:1], -1
                                        ; implicit-def: $vgpr1
	s_branch .LBB441_1589
.LBB441_1585:
	s_mov_b64 s[0:1], -1
                                        ; implicit-def: $vgpr1
.LBB441_1586:
	s_andn2_b64 vcc, exec, s[0:1]
	s_cbranch_vccnz .LBB441_1588
; %bb.1587:
	global_load_dword v1, v[8:9], off
	s_waitcnt vmcnt(0)
	v_cvt_i32_f32_e32 v1, v1
.LBB441_1588:
	s_mov_b64 s[0:1], 0
.LBB441_1589:
	s_andn2_b64 vcc, exec, s[0:1]
	s_cbranch_vccnz .LBB441_1591
; %bb.1590:
	global_load_dword v1, v[8:9], off
	s_waitcnt vmcnt(0)
	v_cvt_f32_f16_e32 v1, v1
	v_cvt_i32_f32_e32 v1, v1
.LBB441_1591:
	s_mov_b64 s[0:1], 0
.LBB441_1592:
	s_andn2_b64 vcc, exec, s[0:1]
	s_cbranch_vccnz .LBB441_1603
; %bb.1593:
	s_cmp_lt_i32 s6, 6
	s_cbranch_scc1 .LBB441_1596
; %bb.1594:
	s_cmp_gt_i32 s6, 6
	s_cbranch_scc0 .LBB441_1597
; %bb.1595:
	global_load_dwordx2 v[10:11], v[8:9], off
	s_mov_b64 s[0:1], 0
	s_waitcnt vmcnt(0)
	v_cvt_i32_f64_e32 v1, v[10:11]
	s_branch .LBB441_1598
.LBB441_1596:
	s_mov_b64 s[0:1], -1
                                        ; implicit-def: $vgpr1
	s_branch .LBB441_1601
.LBB441_1597:
	s_mov_b64 s[0:1], -1
                                        ; implicit-def: $vgpr1
.LBB441_1598:
	s_andn2_b64 vcc, exec, s[0:1]
	s_cbranch_vccnz .LBB441_1600
; %bb.1599:
	global_load_dword v1, v[8:9], off
	s_waitcnt vmcnt(0)
	v_cvt_i32_f32_e32 v1, v1
.LBB441_1600:
	s_mov_b64 s[0:1], 0
.LBB441_1601:
	s_andn2_b64 vcc, exec, s[0:1]
	s_cbranch_vccnz .LBB441_1603
; %bb.1602:
	global_load_ushort v1, v[8:9], off
	s_waitcnt vmcnt(0)
	v_cvt_f32_f16_e32 v1, v1
	v_cvt_i32_f32_e32 v1, v1
.LBB441_1603:
	s_mov_b64 s[0:1], 0
.LBB441_1604:
	s_andn2_b64 vcc, exec, s[0:1]
	s_cbranch_vccnz .LBB441_1624
; %bb.1605:
	s_cmp_lt_i32 s6, 2
	s_cbranch_scc1 .LBB441_1609
; %bb.1606:
	s_cmp_lt_i32 s6, 3
	s_cbranch_scc1 .LBB441_1610
; %bb.1607:
	s_cmp_gt_i32 s6, 3
	s_cbranch_scc0 .LBB441_1611
; %bb.1608:
	global_load_dword v1, v[8:9], off
	s_mov_b64 s[0:1], 0
	s_branch .LBB441_1612
.LBB441_1609:
	s_mov_b64 s[0:1], -1
                                        ; implicit-def: $vgpr1
	s_branch .LBB441_1618
.LBB441_1610:
	s_mov_b64 s[0:1], -1
                                        ; implicit-def: $vgpr1
	s_branch .LBB441_1615
.LBB441_1611:
	s_mov_b64 s[0:1], -1
                                        ; implicit-def: $vgpr1
.LBB441_1612:
	s_andn2_b64 vcc, exec, s[0:1]
	s_cbranch_vccnz .LBB441_1614
; %bb.1613:
	global_load_dword v1, v[8:9], off
.LBB441_1614:
	s_mov_b64 s[0:1], 0
.LBB441_1615:
	s_andn2_b64 vcc, exec, s[0:1]
	s_cbranch_vccnz .LBB441_1617
; %bb.1616:
	global_load_sshort v1, v[8:9], off
.LBB441_1617:
	s_mov_b64 s[0:1], 0
.LBB441_1618:
	s_andn2_b64 vcc, exec, s[0:1]
	s_cbranch_vccnz .LBB441_1624
; %bb.1619:
	s_cmp_gt_i32 s6, 0
	s_cbranch_scc0 .LBB441_1621
; %bb.1620:
	global_load_sbyte v1, v[8:9], off
	s_mov_b64 s[0:1], 0
	s_branch .LBB441_1622
.LBB441_1621:
	s_mov_b64 s[0:1], -1
                                        ; implicit-def: $vgpr1
.LBB441_1622:
	s_andn2_b64 vcc, exec, s[0:1]
	s_cbranch_vccnz .LBB441_1624
; %bb.1623:
	global_load_ubyte v1, v[8:9], off
.LBB441_1624:
	s_mov_b64 s[8:9], -1
.LBB441_1625:
	s_andn2_b64 vcc, exec, s[8:9]
	s_cbranch_vccnz .LBB441_2059
; %bb.1626:
	s_load_dwordx2 s[6:7], s[34:35], 0x158
	s_waitcnt lgkmcnt(0)
	s_and_b32 s16, s7, 0xff
	s_waitcnt vmcnt(0)
	v_min_i32_e32 v8, s6, v7
	v_mov_b32_e32 v7, 0
	s_cmp_lt_i32 s16, 11
	v_lshl_add_u64 v[6:7], s[4:5], 0, v[6:7]
	s_cbranch_scc1 .LBB441_1704
; %bb.1627:
	s_and_b32 s7, 0xffff, s16
	s_mov_b64 s[12:13], -1
	s_mov_b64 s[8:9], 0
	s_cmp_gt_i32 s7, 25
	s_mov_b64 s[10:11], 0
	s_mov_b64 s[0:1], 0
	s_cbranch_scc0 .LBB441_1660
; %bb.1628:
	s_cmp_gt_i32 s7, 28
	s_cbranch_scc0 .LBB441_1643
; %bb.1629:
	s_cmp_gt_i32 s7, 43
	;; [unrolled: 3-line block ×3, first 2 shown]
	s_cbranch_scc0 .LBB441_1633
; %bb.1631:
	s_mov_b64 s[0:1], -1
	s_mov_b64 s[12:13], 0
	s_cmp_eq_u32 s7, 46
	s_cbranch_scc0 .LBB441_1633
; %bb.1632:
	v_cvt_f32_i32_e32 v9, v8
	s_movk_i32 s10, 0x7fff
	s_mov_b64 s[0:1], 0
	v_bfe_u32 v10, v9, 16, 1
	v_add3_u32 v9, v9, v10, s10
	v_lshrrev_b32_e32 v9, 16, v9
	global_store_dword v[6:7], v9, off
	s_mov_b64 s[10:11], -1
.LBB441_1633:
	s_and_b64 vcc, exec, s[12:13]
	s_cbranch_vccz .LBB441_1638
; %bb.1634:
	s_cmp_eq_u32 s7, 44
	s_mov_b64 s[0:1], -1
	s_cbranch_scc0 .LBB441_1638
; %bb.1635:
	v_cvt_f32_i32_e32 v9, v8
	s_movk_i32 s0, 0xff
	v_mov_b32_e32 v11, 0xff
	v_bfe_u32 v10, v9, 23, 8
	v_cmp_ne_u32_e32 vcc, s0, v10
	s_and_saveexec_b64 s[10:11], vcc
; %bb.1636:
	s_mov_b32 s0, 0x3fffff
	v_lshrrev_b32_e32 v11, 23, v9
	v_and_b32_e32 v12, 0x400000, v9
	v_and_or_b32 v9, v9, s0, v10
	v_cmp_ne_u32_e32 vcc, 0, v12
	v_cmp_ne_u32_e64 s[0:1], 0, v9
	s_and_b64 s[0:1], vcc, s[0:1]
	s_nop 0
	v_cndmask_b32_e64 v9, 0, 1, s[0:1]
	v_add_u32_e32 v11, v11, v9
; %bb.1637:
	s_or_b64 exec, exec, s[10:11]
	s_mov_b64 s[0:1], 0
	s_mov_b64 s[10:11], -1
	global_store_byte v[6:7], v11, off
.LBB441_1638:
	s_mov_b64 s[12:13], 0
.LBB441_1639:
	s_and_b64 vcc, exec, s[12:13]
	s_cbranch_vccz .LBB441_1642
; %bb.1640:
	s_cmp_eq_u32 s7, 29
	s_mov_b64 s[0:1], -1
	s_cbranch_scc0 .LBB441_1642
; %bb.1641:
	v_ashrrev_i32_e32 v9, 31, v8
	global_store_dwordx2 v[6:7], v[8:9], off
	s_mov_b64 s[0:1], 0
	s_mov_b64 s[10:11], -1
.LBB441_1642:
	s_mov_b64 s[12:13], 0
.LBB441_1643:
	s_and_b64 vcc, exec, s[12:13]
	s_cbranch_vccz .LBB441_1659
; %bb.1644:
	s_cmp_lt_i32 s7, 27
	s_mov_b64 s[10:11], -1
	s_cbranch_scc1 .LBB441_1650
; %bb.1645:
	s_cmp_gt_i32 s7, 27
	s_cbranch_scc0 .LBB441_1647
; %bb.1646:
	s_mov_b64 s[10:11], 0
	global_store_dword v[6:7], v8, off
.LBB441_1647:
	s_andn2_b64 vcc, exec, s[10:11]
	s_cbranch_vccnz .LBB441_1649
; %bb.1648:
	global_store_short v[6:7], v8, off
.LBB441_1649:
	s_mov_b64 s[10:11], 0
.LBB441_1650:
	s_andn2_b64 vcc, exec, s[10:11]
	s_cbranch_vccnz .LBB441_1658
; %bb.1651:
	v_cvt_f32_i32_e32 v9, v8
	s_mov_b32 s10, 0x43800000
	v_mov_b32_e32 v11, 0x80
	v_and_b32_e32 v10, 0x7fffffff, v9
	v_cmp_gt_u32_e32 vcc, s10, v10
	s_and_saveexec_b64 s[10:11], vcc
	s_cbranch_execz .LBB441_1657
; %bb.1652:
	s_mov_b32 s12, 0x3bffffff
	v_cmp_lt_u32_e32 vcc, s12, v10
	s_mov_b64 s[12:13], 0
                                        ; implicit-def: $vgpr10
	s_and_saveexec_b64 s[14:15], vcc
	s_xor_b64 s[14:15], exec, s[14:15]
	s_cbranch_execz .LBB441_2106
; %bb.1653:
	v_bfe_u32 v10, v9, 20, 1
	s_mov_b32 s17, 0x487ffff
	v_add3_u32 v10, v9, v10, s17
	s_mov_b64 s[12:13], exec
	v_lshrrev_b32_e32 v10, 20, v10
	s_andn2_saveexec_b64 s[14:15], s[14:15]
	s_cbranch_execnz .LBB441_2107
.LBB441_1654:
	s_or_b64 exec, exec, s[14:15]
	v_mov_b32_e32 v11, 0
	s_and_saveexec_b64 s[14:15], s[12:13]
.LBB441_1655:
	v_lshrrev_b32_e32 v9, 24, v9
	s_movk_i32 s12, 0x80
	v_and_or_b32 v11, v9, s12, v10
.LBB441_1656:
	s_or_b64 exec, exec, s[14:15]
.LBB441_1657:
	s_or_b64 exec, exec, s[10:11]
	global_store_byte v[6:7], v11, off
.LBB441_1658:
	s_mov_b64 s[10:11], -1
.LBB441_1659:
	s_mov_b64 s[12:13], 0
.LBB441_1660:
	s_and_b64 vcc, exec, s[12:13]
	s_cbranch_vccz .LBB441_1700
; %bb.1661:
	s_cmp_gt_i32 s7, 22
	s_mov_b64 s[8:9], -1
	s_cbranch_scc0 .LBB441_1693
; %bb.1662:
	s_cmp_lt_i32 s7, 24
	s_cbranch_scc1 .LBB441_1682
; %bb.1663:
	s_cmp_gt_i32 s7, 24
	s_cbranch_scc0 .LBB441_1671
; %bb.1664:
	v_cvt_f32_i32_e32 v9, v8
	s_mov_b32 s8, 0x47800000
	v_mov_b32_e32 v11, 0x80
	v_and_b32_e32 v10, 0x7fffffff, v9
	v_cmp_gt_u32_e32 vcc, s8, v10
	s_and_saveexec_b64 s[8:9], vcc
	s_cbranch_execz .LBB441_1670
; %bb.1665:
	s_mov_b32 s10, 0x37ffffff
	v_cmp_lt_u32_e32 vcc, s10, v10
	s_mov_b64 s[10:11], 0
                                        ; implicit-def: $vgpr10
	s_and_saveexec_b64 s[12:13], vcc
	s_xor_b64 s[12:13], exec, s[12:13]
	s_cbranch_execz .LBB441_2109
; %bb.1666:
	v_bfe_u32 v10, v9, 21, 1
	s_mov_b32 s14, 0x88fffff
	v_add3_u32 v10, v9, v10, s14
	s_mov_b64 s[10:11], exec
	v_lshrrev_b32_e32 v10, 21, v10
	s_andn2_saveexec_b64 s[12:13], s[12:13]
	s_cbranch_execnz .LBB441_2110
.LBB441_1667:
	s_or_b64 exec, exec, s[12:13]
	v_mov_b32_e32 v11, 0
	s_and_saveexec_b64 s[12:13], s[10:11]
.LBB441_1668:
	v_lshrrev_b32_e32 v9, 24, v9
	s_movk_i32 s10, 0x80
	v_and_or_b32 v11, v9, s10, v10
.LBB441_1669:
	s_or_b64 exec, exec, s[12:13]
.LBB441_1670:
	s_or_b64 exec, exec, s[8:9]
	s_mov_b64 s[8:9], 0
	global_store_byte v[6:7], v11, off
.LBB441_1671:
	s_and_b64 vcc, exec, s[8:9]
	s_cbranch_vccz .LBB441_1681
; %bb.1672:
	v_cvt_f32_i32_e32 v9, v8
	s_mov_b32 s8, 0x43f00000
                                        ; implicit-def: $vgpr10
	v_and_b32_e32 v11, 0x7fffffff, v9
	v_cmp_gt_u32_e32 vcc, s8, v11
	s_and_saveexec_b64 s[8:9], vcc
	s_xor_b64 s[8:9], exec, s[8:9]
	s_cbranch_execz .LBB441_1678
; %bb.1673:
	s_mov_b32 s10, 0x3c7fffff
	v_cmp_lt_u32_e32 vcc, s10, v11
                                        ; implicit-def: $vgpr10
	s_and_saveexec_b64 s[10:11], vcc
	s_xor_b64 s[10:11], exec, s[10:11]
; %bb.1674:
	v_bfe_u32 v10, v9, 20, 1
	s_mov_b32 s12, 0x407ffff
	v_add3_u32 v10, v9, v10, s12
	v_lshrrev_b32_e32 v11, 20, v10
	v_and_b32_e32 v10, 0xff00000, v10
	s_mov_b32 s12, 0x7f00000
	v_mov_b32_e32 v12, 0x7e
	v_cmp_ne_u32_e32 vcc, s12, v10
	s_nop 1
	v_cndmask_b32_e32 v10, v12, v11, vcc
; %bb.1675:
	s_andn2_saveexec_b64 s[10:11], s[10:11]
; %bb.1676:
	s_mov_b32 s12, 0x46800000
	v_add_f32_e64 v10, |v9|, s12
; %bb.1677:
	s_or_b64 exec, exec, s[10:11]
                                        ; implicit-def: $vgpr11
.LBB441_1678:
	s_andn2_saveexec_b64 s[8:9], s[8:9]
; %bb.1679:
	s_mov_b32 s10, 0x7f800000
	v_mov_b32_e32 v10, 0x7e
	v_mov_b32_e32 v12, 0x7f
	v_cmp_lt_u32_e32 vcc, s10, v11
	s_nop 1
	v_cndmask_b32_e32 v10, v10, v12, vcc
; %bb.1680:
	s_or_b64 exec, exec, s[8:9]
	v_lshrrev_b32_e32 v9, 24, v9
	s_movk_i32 s8, 0x80
	v_and_or_b32 v9, v9, s8, v10
	global_store_byte v[6:7], v9, off
.LBB441_1681:
	s_mov_b64 s[8:9], 0
.LBB441_1682:
	s_andn2_b64 vcc, exec, s[8:9]
	s_cbranch_vccnz .LBB441_1692
; %bb.1683:
	v_cvt_f32_i32_e32 v9, v8
	s_mov_b32 s8, 0x47800000
                                        ; implicit-def: $vgpr10
	v_and_b32_e32 v11, 0x7fffffff, v9
	v_cmp_gt_u32_e32 vcc, s8, v11
	s_and_saveexec_b64 s[8:9], vcc
	s_xor_b64 s[8:9], exec, s[8:9]
	s_cbranch_execz .LBB441_1689
; %bb.1684:
	s_mov_b32 s10, 0x387fffff
	v_cmp_lt_u32_e32 vcc, s10, v11
                                        ; implicit-def: $vgpr10
	s_and_saveexec_b64 s[10:11], vcc
	s_xor_b64 s[10:11], exec, s[10:11]
; %bb.1685:
	v_bfe_u32 v10, v9, 21, 1
	s_mov_b32 s12, 0x80fffff
	v_add3_u32 v10, v9, v10, s12
	v_lshrrev_b32_e32 v10, 21, v10
; %bb.1686:
	s_andn2_saveexec_b64 s[10:11], s[10:11]
; %bb.1687:
	s_mov_b32 s12, 0x43000000
	v_add_f32_e64 v10, |v9|, s12
; %bb.1688:
	s_or_b64 exec, exec, s[10:11]
                                        ; implicit-def: $vgpr11
.LBB441_1689:
	s_andn2_saveexec_b64 s[8:9], s[8:9]
; %bb.1690:
	s_mov_b32 s10, 0x7f800000
	v_mov_b32_e32 v10, 0x7c
	v_mov_b32_e32 v12, 0x7f
	v_cmp_lt_u32_e32 vcc, s10, v11
	s_nop 1
	v_cndmask_b32_e32 v10, v10, v12, vcc
; %bb.1691:
	s_or_b64 exec, exec, s[8:9]
	v_lshrrev_b32_e32 v9, 24, v9
	s_movk_i32 s8, 0x80
	v_and_or_b32 v9, v9, s8, v10
	global_store_byte v[6:7], v9, off
.LBB441_1692:
	s_mov_b64 s[8:9], 0
	s_mov_b64 s[10:11], -1
.LBB441_1693:
	s_andn2_b64 vcc, exec, s[8:9]
	s_mov_b64 s[8:9], 0
	s_cbranch_vccnz .LBB441_1700
; %bb.1694:
	s_cmp_gt_i32 s7, 14
	s_mov_b64 s[12:13], -1
	s_cbranch_scc0 .LBB441_1698
; %bb.1695:
	s_cmp_eq_u32 s7, 15
	s_mov_b64 s[0:1], -1
	s_cbranch_scc0 .LBB441_1697
; %bb.1696:
	v_cvt_f32_i32_e32 v9, v8
	s_movk_i32 s8, 0x7fff
	s_mov_b64 s[0:1], 0
	s_mov_b64 s[10:11], -1
	v_bfe_u32 v10, v9, 16, 1
	v_add3_u32 v9, v9, v10, s8
	global_store_short_d16_hi v[6:7], v9, off
.LBB441_1697:
	s_mov_b64 s[12:13], 0
.LBB441_1698:
	s_mov_b64 s[8:9], 0
	s_and_b64 vcc, exec, s[12:13]
	s_cbranch_vccz .LBB441_1700
; %bb.1699:
	s_cmp_lg_u32 s7, 11
	s_mov_b64 s[8:9], -1
	s_cselect_b64 s[0:1], -1, 0
.LBB441_1700:
	s_and_b64 vcc, exec, s[0:1]
	s_cbranch_vccnz .LBB441_2108
; %bb.1701:
	s_andn2_b64 vcc, exec, s[8:9]
	s_cbranch_vccnz .LBB441_1703
.LBB441_1702:
	v_cmp_ne_u32_e32 vcc, 0, v8
	s_mov_b64 s[10:11], -1
	s_nop 0
	v_cndmask_b32_e64 v9, 0, 1, vcc
	global_store_byte v[6:7], v9, off
.LBB441_1703:
	s_mov_b64 s[0:1], 0
	s_branch .LBB441_1705
.LBB441_1704:
	s_mov_b64 s[0:1], -1
	s_mov_b64 s[10:11], 0
.LBB441_1705:
	s_and_b64 vcc, exec, s[0:1]
	s_cbranch_vccz .LBB441_1744
; %bb.1706:
	s_and_b32 s7, 0xffff, s16
	s_cmp_lt_i32 s7, 5
	s_mov_b64 s[0:1], -1
	s_cbranch_scc1 .LBB441_1727
; %bb.1707:
	s_cmp_lt_i32 s7, 8
	s_cbranch_scc1 .LBB441_1717
; %bb.1708:
	s_cmp_lt_i32 s7, 9
	s_cbranch_scc1 .LBB441_1714
; %bb.1709:
	s_cmp_gt_i32 s7, 9
	s_cbranch_scc0 .LBB441_1711
; %bb.1710:
	v_mov_b32_e32 v12, 0
	v_cvt_f64_i32_e32 v[10:11], v8
	v_mov_b32_e32 v13, v12
	global_store_dwordx4 v[6:7], v[10:13], off
	s_mov_b64 s[0:1], 0
.LBB441_1711:
	s_andn2_b64 vcc, exec, s[0:1]
	s_cbranch_vccnz .LBB441_1713
; %bb.1712:
	v_cvt_f32_i32_e32 v10, v8
	v_mov_b32_e32 v11, 0
	global_store_dwordx2 v[6:7], v[10:11], off
.LBB441_1713:
	s_mov_b64 s[0:1], 0
.LBB441_1714:
	s_andn2_b64 vcc, exec, s[0:1]
	s_cbranch_vccnz .LBB441_1716
; %bb.1715:
	v_cvt_f32_i32_e32 v9, v8
	v_cvt_f16_f32_e32 v9, v9
	global_store_dword v[6:7], v9, off
.LBB441_1716:
	s_mov_b64 s[0:1], 0
.LBB441_1717:
	s_andn2_b64 vcc, exec, s[0:1]
	s_cbranch_vccnz .LBB441_1726
; %bb.1718:
	s_cmp_lt_i32 s7, 6
	s_mov_b64 s[0:1], -1
	s_cbranch_scc1 .LBB441_1724
; %bb.1719:
	s_cmp_gt_i32 s7, 6
	s_cbranch_scc0 .LBB441_1721
; %bb.1720:
	v_cvt_f64_i32_e32 v[10:11], v8
	global_store_dwordx2 v[6:7], v[10:11], off
	s_mov_b64 s[0:1], 0
.LBB441_1721:
	s_andn2_b64 vcc, exec, s[0:1]
	s_cbranch_vccnz .LBB441_1723
; %bb.1722:
	v_cvt_f32_i32_e32 v9, v8
	global_store_dword v[6:7], v9, off
.LBB441_1723:
	s_mov_b64 s[0:1], 0
.LBB441_1724:
	s_andn2_b64 vcc, exec, s[0:1]
	s_cbranch_vccnz .LBB441_1726
; %bb.1725:
	v_cvt_f32_i32_e32 v9, v8
	v_cvt_f16_f32_e32 v9, v9
	global_store_short v[6:7], v9, off
.LBB441_1726:
	s_mov_b64 s[0:1], 0
.LBB441_1727:
	s_andn2_b64 vcc, exec, s[0:1]
	s_cbranch_vccnz .LBB441_1743
; %bb.1728:
	s_cmp_lt_i32 s7, 2
	s_mov_b64 s[0:1], -1
	s_cbranch_scc1 .LBB441_1738
; %bb.1729:
	s_cmp_lt_i32 s7, 3
	s_cbranch_scc1 .LBB441_1735
; %bb.1730:
	s_cmp_gt_i32 s7, 3
	s_cbranch_scc0 .LBB441_1732
; %bb.1731:
	v_ashrrev_i32_e32 v9, 31, v8
	global_store_dwordx2 v[6:7], v[8:9], off
	s_mov_b64 s[0:1], 0
.LBB441_1732:
	s_andn2_b64 vcc, exec, s[0:1]
	s_cbranch_vccnz .LBB441_1734
; %bb.1733:
	global_store_dword v[6:7], v8, off
.LBB441_1734:
	s_mov_b64 s[0:1], 0
.LBB441_1735:
	s_andn2_b64 vcc, exec, s[0:1]
	s_cbranch_vccnz .LBB441_1737
; %bb.1736:
	global_store_short v[6:7], v8, off
.LBB441_1737:
	s_mov_b64 s[0:1], 0
.LBB441_1738:
	s_andn2_b64 vcc, exec, s[0:1]
	s_cbranch_vccnz .LBB441_1743
; %bb.1739:
	s_cmp_gt_i32 s7, 0
	s_mov_b64 s[0:1], -1
	s_cbranch_scc0 .LBB441_1741
; %bb.1740:
	global_store_byte v[6:7], v8, off
	s_mov_b64 s[0:1], 0
.LBB441_1741:
	s_andn2_b64 vcc, exec, s[0:1]
	s_cbranch_vccnz .LBB441_1743
; %bb.1742:
	global_store_byte v[6:7], v8, off
.LBB441_1743:
	s_mov_b64 s[10:11], -1
.LBB441_1744:
	s_andn2_b64 vcc, exec, s[10:11]
	s_cbranch_vccnz .LBB441_2059
; %bb.1745:
	v_min_i32_e32 v6, s6, v5
	v_mov_b32_e32 v5, 0
	s_and_b32 s17, 0xffff, s16
	s_cmp_lt_i32 s17, 11
	v_lshl_add_u64 v[4:5], s[4:5], 0, v[4:5]
	s_cbranch_scc1 .LBB441_1823
; %bb.1746:
	s_mov_b64 s[12:13], -1
	s_mov_b64 s[8:9], 0
	s_cmp_gt_i32 s17, 25
	s_mov_b64 s[10:11], 0
	s_mov_b64 s[0:1], 0
	s_cbranch_scc0 .LBB441_1779
; %bb.1747:
	s_cmp_gt_i32 s17, 28
	s_cbranch_scc0 .LBB441_1762
; %bb.1748:
	s_cmp_gt_i32 s17, 43
	;; [unrolled: 3-line block ×3, first 2 shown]
	s_cbranch_scc0 .LBB441_1752
; %bb.1750:
	s_mov_b64 s[0:1], -1
	s_mov_b64 s[12:13], 0
	s_cmp_eq_u32 s17, 46
	s_cbranch_scc0 .LBB441_1752
; %bb.1751:
	v_cvt_f32_i32_e32 v7, v6
	s_movk_i32 s7, 0x7fff
	s_mov_b64 s[0:1], 0
	s_mov_b64 s[10:11], -1
	v_bfe_u32 v8, v7, 16, 1
	v_add3_u32 v7, v7, v8, s7
	v_lshrrev_b32_e32 v7, 16, v7
	global_store_dword v[4:5], v7, off
.LBB441_1752:
	s_and_b64 vcc, exec, s[12:13]
	s_cbranch_vccz .LBB441_1757
; %bb.1753:
	s_cmp_eq_u32 s17, 44
	s_mov_b64 s[0:1], -1
	s_cbranch_scc0 .LBB441_1757
; %bb.1754:
	v_cvt_f32_i32_e32 v7, v6
	s_movk_i32 s0, 0xff
	v_mov_b32_e32 v9, 0xff
	v_bfe_u32 v8, v7, 23, 8
	v_cmp_ne_u32_e32 vcc, s0, v8
	s_and_saveexec_b64 s[10:11], vcc
; %bb.1755:
	s_mov_b32 s0, 0x3fffff
	v_lshrrev_b32_e32 v9, 23, v7
	v_and_b32_e32 v10, 0x400000, v7
	v_and_or_b32 v7, v7, s0, v8
	v_cmp_ne_u32_e32 vcc, 0, v10
	v_cmp_ne_u32_e64 s[0:1], 0, v7
	s_and_b64 s[0:1], vcc, s[0:1]
	s_nop 0
	v_cndmask_b32_e64 v7, 0, 1, s[0:1]
	v_add_u32_e32 v9, v9, v7
; %bb.1756:
	s_or_b64 exec, exec, s[10:11]
	s_mov_b64 s[0:1], 0
	s_mov_b64 s[10:11], -1
	global_store_byte v[4:5], v9, off
.LBB441_1757:
	s_mov_b64 s[12:13], 0
.LBB441_1758:
	s_and_b64 vcc, exec, s[12:13]
	s_cbranch_vccz .LBB441_1761
; %bb.1759:
	s_cmp_eq_u32 s17, 29
	s_mov_b64 s[0:1], -1
	s_cbranch_scc0 .LBB441_1761
; %bb.1760:
	v_ashrrev_i32_e32 v7, 31, v6
	global_store_dwordx2 v[4:5], v[6:7], off
	s_mov_b64 s[0:1], 0
	s_mov_b64 s[10:11], -1
.LBB441_1761:
	s_mov_b64 s[12:13], 0
.LBB441_1762:
	s_and_b64 vcc, exec, s[12:13]
	s_cbranch_vccz .LBB441_1778
; %bb.1763:
	s_cmp_lt_i32 s17, 27
	s_mov_b64 s[10:11], -1
	s_cbranch_scc1 .LBB441_1769
; %bb.1764:
	s_cmp_gt_i32 s17, 27
	s_cbranch_scc0 .LBB441_1766
; %bb.1765:
	s_mov_b64 s[10:11], 0
	global_store_dword v[4:5], v6, off
.LBB441_1766:
	s_andn2_b64 vcc, exec, s[10:11]
	s_cbranch_vccnz .LBB441_1768
; %bb.1767:
	global_store_short v[4:5], v6, off
.LBB441_1768:
	s_mov_b64 s[10:11], 0
.LBB441_1769:
	s_andn2_b64 vcc, exec, s[10:11]
	s_cbranch_vccnz .LBB441_1777
; %bb.1770:
	v_cvt_f32_i32_e32 v7, v6
	s_mov_b32 s7, 0x43800000
	v_mov_b32_e32 v9, 0x80
	v_and_b32_e32 v8, 0x7fffffff, v7
	v_cmp_gt_u32_e32 vcc, s7, v8
	s_and_saveexec_b64 s[10:11], vcc
	s_cbranch_execz .LBB441_1776
; %bb.1771:
	s_mov_b32 s7, 0x3bffffff
	v_cmp_lt_u32_e32 vcc, s7, v8
	s_mov_b64 s[12:13], 0
                                        ; implicit-def: $vgpr8
	s_and_saveexec_b64 s[14:15], vcc
	s_xor_b64 s[14:15], exec, s[14:15]
	s_cbranch_execz .LBB441_2111
; %bb.1772:
	v_bfe_u32 v8, v7, 20, 1
	s_mov_b32 s7, 0x487ffff
	v_add3_u32 v8, v7, v8, s7
	s_mov_b64 s[12:13], exec
	v_lshrrev_b32_e32 v8, 20, v8
	s_andn2_saveexec_b64 s[14:15], s[14:15]
	s_cbranch_execnz .LBB441_2112
.LBB441_1773:
	s_or_b64 exec, exec, s[14:15]
	v_mov_b32_e32 v9, 0
	s_and_saveexec_b64 s[14:15], s[12:13]
.LBB441_1774:
	v_lshrrev_b32_e32 v7, 24, v7
	s_movk_i32 s7, 0x80
	v_and_or_b32 v9, v7, s7, v8
.LBB441_1775:
	s_or_b64 exec, exec, s[14:15]
.LBB441_1776:
	s_or_b64 exec, exec, s[10:11]
	global_store_byte v[4:5], v9, off
.LBB441_1777:
	s_mov_b64 s[10:11], -1
.LBB441_1778:
	s_mov_b64 s[12:13], 0
.LBB441_1779:
	s_and_b64 vcc, exec, s[12:13]
	s_cbranch_vccz .LBB441_1819
; %bb.1780:
	s_cmp_gt_i32 s17, 22
	s_mov_b64 s[8:9], -1
	s_cbranch_scc0 .LBB441_1812
; %bb.1781:
	s_cmp_lt_i32 s17, 24
	s_cbranch_scc1 .LBB441_1801
; %bb.1782:
	s_cmp_gt_i32 s17, 24
	s_cbranch_scc0 .LBB441_1790
; %bb.1783:
	v_cvt_f32_i32_e32 v7, v6
	s_mov_b32 s7, 0x47800000
	v_mov_b32_e32 v9, 0x80
	v_and_b32_e32 v8, 0x7fffffff, v7
	v_cmp_gt_u32_e32 vcc, s7, v8
	s_and_saveexec_b64 s[8:9], vcc
	s_cbranch_execz .LBB441_1789
; %bb.1784:
	s_mov_b32 s7, 0x37ffffff
	v_cmp_lt_u32_e32 vcc, s7, v8
	s_mov_b64 s[10:11], 0
                                        ; implicit-def: $vgpr8
	s_and_saveexec_b64 s[12:13], vcc
	s_xor_b64 s[12:13], exec, s[12:13]
	s_cbranch_execz .LBB441_2114
; %bb.1785:
	v_bfe_u32 v8, v7, 21, 1
	s_mov_b32 s7, 0x88fffff
	v_add3_u32 v8, v7, v8, s7
	s_mov_b64 s[10:11], exec
	v_lshrrev_b32_e32 v8, 21, v8
	s_andn2_saveexec_b64 s[12:13], s[12:13]
	s_cbranch_execnz .LBB441_2115
.LBB441_1786:
	s_or_b64 exec, exec, s[12:13]
	v_mov_b32_e32 v9, 0
	s_and_saveexec_b64 s[12:13], s[10:11]
.LBB441_1787:
	v_lshrrev_b32_e32 v7, 24, v7
	s_movk_i32 s7, 0x80
	v_and_or_b32 v9, v7, s7, v8
.LBB441_1788:
	s_or_b64 exec, exec, s[12:13]
.LBB441_1789:
	s_or_b64 exec, exec, s[8:9]
	s_mov_b64 s[8:9], 0
	global_store_byte v[4:5], v9, off
.LBB441_1790:
	s_and_b64 vcc, exec, s[8:9]
	s_cbranch_vccz .LBB441_1800
; %bb.1791:
	v_cvt_f32_i32_e32 v7, v6
	s_mov_b32 s7, 0x43f00000
                                        ; implicit-def: $vgpr8
	v_and_b32_e32 v9, 0x7fffffff, v7
	v_cmp_gt_u32_e32 vcc, s7, v9
	s_and_saveexec_b64 s[8:9], vcc
	s_xor_b64 s[8:9], exec, s[8:9]
	s_cbranch_execz .LBB441_1797
; %bb.1792:
	s_mov_b32 s7, 0x3c7fffff
	v_cmp_lt_u32_e32 vcc, s7, v9
                                        ; implicit-def: $vgpr8
	s_and_saveexec_b64 s[10:11], vcc
	s_xor_b64 s[10:11], exec, s[10:11]
; %bb.1793:
	v_bfe_u32 v8, v7, 20, 1
	s_mov_b32 s7, 0x407ffff
	v_add3_u32 v8, v7, v8, s7
	v_lshrrev_b32_e32 v9, 20, v8
	v_and_b32_e32 v8, 0xff00000, v8
	s_mov_b32 s7, 0x7f00000
	v_mov_b32_e32 v10, 0x7e
	v_cmp_ne_u32_e32 vcc, s7, v8
	s_nop 1
	v_cndmask_b32_e32 v8, v10, v9, vcc
; %bb.1794:
	s_andn2_saveexec_b64 s[10:11], s[10:11]
; %bb.1795:
	s_mov_b32 s7, 0x46800000
	v_add_f32_e64 v8, |v7|, s7
; %bb.1796:
	s_or_b64 exec, exec, s[10:11]
                                        ; implicit-def: $vgpr9
.LBB441_1797:
	s_andn2_saveexec_b64 s[8:9], s[8:9]
; %bb.1798:
	s_mov_b32 s7, 0x7f800000
	v_mov_b32_e32 v8, 0x7e
	v_mov_b32_e32 v10, 0x7f
	v_cmp_lt_u32_e32 vcc, s7, v9
	s_nop 1
	v_cndmask_b32_e32 v8, v8, v10, vcc
; %bb.1799:
	s_or_b64 exec, exec, s[8:9]
	v_lshrrev_b32_e32 v7, 24, v7
	s_movk_i32 s7, 0x80
	v_and_or_b32 v7, v7, s7, v8
	global_store_byte v[4:5], v7, off
.LBB441_1800:
	s_mov_b64 s[8:9], 0
.LBB441_1801:
	s_andn2_b64 vcc, exec, s[8:9]
	s_cbranch_vccnz .LBB441_1811
; %bb.1802:
	v_cvt_f32_i32_e32 v7, v6
	s_mov_b32 s7, 0x47800000
                                        ; implicit-def: $vgpr8
	v_and_b32_e32 v9, 0x7fffffff, v7
	v_cmp_gt_u32_e32 vcc, s7, v9
	s_and_saveexec_b64 s[8:9], vcc
	s_xor_b64 s[8:9], exec, s[8:9]
	s_cbranch_execz .LBB441_1808
; %bb.1803:
	s_mov_b32 s7, 0x387fffff
	v_cmp_lt_u32_e32 vcc, s7, v9
                                        ; implicit-def: $vgpr8
	s_and_saveexec_b64 s[10:11], vcc
	s_xor_b64 s[10:11], exec, s[10:11]
; %bb.1804:
	v_bfe_u32 v8, v7, 21, 1
	s_mov_b32 s7, 0x80fffff
	v_add3_u32 v8, v7, v8, s7
	v_lshrrev_b32_e32 v8, 21, v8
; %bb.1805:
	s_andn2_saveexec_b64 s[10:11], s[10:11]
; %bb.1806:
	s_mov_b32 s7, 0x43000000
	v_add_f32_e64 v8, |v7|, s7
; %bb.1807:
	s_or_b64 exec, exec, s[10:11]
                                        ; implicit-def: $vgpr9
.LBB441_1808:
	s_andn2_saveexec_b64 s[8:9], s[8:9]
; %bb.1809:
	s_mov_b32 s7, 0x7f800000
	v_mov_b32_e32 v8, 0x7c
	v_mov_b32_e32 v10, 0x7f
	v_cmp_lt_u32_e32 vcc, s7, v9
	s_nop 1
	v_cndmask_b32_e32 v8, v8, v10, vcc
; %bb.1810:
	s_or_b64 exec, exec, s[8:9]
	v_lshrrev_b32_e32 v7, 24, v7
	s_movk_i32 s7, 0x80
	v_and_or_b32 v7, v7, s7, v8
	global_store_byte v[4:5], v7, off
.LBB441_1811:
	s_mov_b64 s[8:9], 0
	s_mov_b64 s[10:11], -1
.LBB441_1812:
	s_andn2_b64 vcc, exec, s[8:9]
	s_mov_b64 s[8:9], 0
	s_cbranch_vccnz .LBB441_1819
; %bb.1813:
	s_cmp_gt_i32 s17, 14
	s_mov_b64 s[12:13], -1
	s_cbranch_scc0 .LBB441_1817
; %bb.1814:
	s_cmp_eq_u32 s17, 15
	s_mov_b64 s[0:1], -1
	s_cbranch_scc0 .LBB441_1816
; %bb.1815:
	v_cvt_f32_i32_e32 v7, v6
	s_movk_i32 s7, 0x7fff
	s_mov_b64 s[0:1], 0
	s_mov_b64 s[10:11], -1
	v_bfe_u32 v8, v7, 16, 1
	v_add3_u32 v7, v7, v8, s7
	global_store_short_d16_hi v[4:5], v7, off
.LBB441_1816:
	s_mov_b64 s[12:13], 0
.LBB441_1817:
	s_and_b64 vcc, exec, s[12:13]
	s_cbranch_vccz .LBB441_1819
; %bb.1818:
	s_cmp_lg_u32 s17, 11
	s_mov_b64 s[8:9], -1
	s_cselect_b64 s[0:1], -1, 0
.LBB441_1819:
	s_and_b64 vcc, exec, s[0:1]
	s_cbranch_vccnz .LBB441_2113
; %bb.1820:
	s_andn2_b64 vcc, exec, s[8:9]
	s_cbranch_vccnz .LBB441_1822
.LBB441_1821:
	v_cmp_ne_u32_e32 vcc, 0, v6
	s_mov_b64 s[10:11], -1
	s_nop 0
	v_cndmask_b32_e64 v7, 0, 1, vcc
	global_store_byte v[4:5], v7, off
.LBB441_1822:
	s_mov_b64 s[0:1], 0
	s_branch .LBB441_1824
.LBB441_1823:
	s_mov_b64 s[0:1], -1
	s_mov_b64 s[10:11], 0
.LBB441_1824:
	s_and_b64 vcc, exec, s[0:1]
	s_cbranch_vccz .LBB441_1863
; %bb.1825:
	s_cmp_lt_i32 s17, 5
	s_mov_b64 s[0:1], -1
	s_cbranch_scc1 .LBB441_1846
; %bb.1826:
	s_cmp_lt_i32 s17, 8
	s_cbranch_scc1 .LBB441_1836
; %bb.1827:
	s_cmp_lt_i32 s17, 9
	s_cbranch_scc1 .LBB441_1833
; %bb.1828:
	s_cmp_gt_i32 s17, 9
	s_cbranch_scc0 .LBB441_1830
; %bb.1829:
	v_mov_b32_e32 v10, 0
	v_cvt_f64_i32_e32 v[8:9], v6
	v_mov_b32_e32 v11, v10
	global_store_dwordx4 v[4:5], v[8:11], off
	s_mov_b64 s[0:1], 0
.LBB441_1830:
	s_andn2_b64 vcc, exec, s[0:1]
	s_cbranch_vccnz .LBB441_1832
; %bb.1831:
	v_cvt_f32_i32_e32 v8, v6
	v_mov_b32_e32 v9, 0
	global_store_dwordx2 v[4:5], v[8:9], off
.LBB441_1832:
	s_mov_b64 s[0:1], 0
.LBB441_1833:
	s_andn2_b64 vcc, exec, s[0:1]
	s_cbranch_vccnz .LBB441_1835
; %bb.1834:
	v_cvt_f32_i32_e32 v7, v6
	v_cvt_f16_f32_e32 v7, v7
	global_store_dword v[4:5], v7, off
.LBB441_1835:
	s_mov_b64 s[0:1], 0
.LBB441_1836:
	s_andn2_b64 vcc, exec, s[0:1]
	s_cbranch_vccnz .LBB441_1845
; %bb.1837:
	s_cmp_lt_i32 s17, 6
	s_mov_b64 s[0:1], -1
	s_cbranch_scc1 .LBB441_1843
; %bb.1838:
	s_cmp_gt_i32 s17, 6
	s_cbranch_scc0 .LBB441_1840
; %bb.1839:
	v_cvt_f64_i32_e32 v[8:9], v6
	global_store_dwordx2 v[4:5], v[8:9], off
	s_mov_b64 s[0:1], 0
.LBB441_1840:
	s_andn2_b64 vcc, exec, s[0:1]
	s_cbranch_vccnz .LBB441_1842
; %bb.1841:
	v_cvt_f32_i32_e32 v7, v6
	global_store_dword v[4:5], v7, off
.LBB441_1842:
	s_mov_b64 s[0:1], 0
.LBB441_1843:
	s_andn2_b64 vcc, exec, s[0:1]
	s_cbranch_vccnz .LBB441_1845
; %bb.1844:
	v_cvt_f32_i32_e32 v7, v6
	v_cvt_f16_f32_e32 v7, v7
	global_store_short v[4:5], v7, off
.LBB441_1845:
	s_mov_b64 s[0:1], 0
.LBB441_1846:
	s_andn2_b64 vcc, exec, s[0:1]
	s_cbranch_vccnz .LBB441_1862
; %bb.1847:
	s_cmp_lt_i32 s17, 2
	s_mov_b64 s[0:1], -1
	s_cbranch_scc1 .LBB441_1857
; %bb.1848:
	s_cmp_lt_i32 s17, 3
	s_cbranch_scc1 .LBB441_1854
; %bb.1849:
	s_cmp_gt_i32 s17, 3
	s_cbranch_scc0 .LBB441_1851
; %bb.1850:
	v_ashrrev_i32_e32 v7, 31, v6
	global_store_dwordx2 v[4:5], v[6:7], off
	s_mov_b64 s[0:1], 0
.LBB441_1851:
	s_andn2_b64 vcc, exec, s[0:1]
	s_cbranch_vccnz .LBB441_1853
; %bb.1852:
	global_store_dword v[4:5], v6, off
.LBB441_1853:
	s_mov_b64 s[0:1], 0
.LBB441_1854:
	s_andn2_b64 vcc, exec, s[0:1]
	s_cbranch_vccnz .LBB441_1856
; %bb.1855:
	global_store_short v[4:5], v6, off
.LBB441_1856:
	s_mov_b64 s[0:1], 0
.LBB441_1857:
	s_andn2_b64 vcc, exec, s[0:1]
	s_cbranch_vccnz .LBB441_1862
; %bb.1858:
	s_cmp_gt_i32 s17, 0
	s_mov_b64 s[0:1], -1
	s_cbranch_scc0 .LBB441_1860
; %bb.1859:
	global_store_byte v[4:5], v6, off
	s_mov_b64 s[0:1], 0
.LBB441_1860:
	s_andn2_b64 vcc, exec, s[0:1]
	s_cbranch_vccnz .LBB441_1862
; %bb.1861:
	global_store_byte v[4:5], v6, off
.LBB441_1862:
	s_mov_b64 s[10:11], -1
.LBB441_1863:
	s_andn2_b64 vcc, exec, s[10:11]
	s_cbranch_vccnz .LBB441_2059
; %bb.1864:
	v_min_i32_e32 v4, s6, v3
	v_mov_b32_e32 v3, 0
	s_cmp_lt_i32 s17, 11
	v_lshl_add_u64 v[2:3], s[4:5], 0, v[2:3]
	s_cbranch_scc1 .LBB441_1942
; %bb.1865:
	s_mov_b64 s[12:13], -1
	s_mov_b64 s[8:9], 0
	s_cmp_gt_i32 s17, 25
	s_mov_b64 s[10:11], 0
	s_mov_b64 s[0:1], 0
	s_cbranch_scc0 .LBB441_1898
; %bb.1866:
	s_cmp_gt_i32 s17, 28
	s_cbranch_scc0 .LBB441_1881
; %bb.1867:
	s_cmp_gt_i32 s17, 43
	;; [unrolled: 3-line block ×3, first 2 shown]
	s_cbranch_scc0 .LBB441_1871
; %bb.1869:
	s_mov_b64 s[0:1], -1
	s_mov_b64 s[12:13], 0
	s_cmp_eq_u32 s17, 46
	s_cbranch_scc0 .LBB441_1871
; %bb.1870:
	v_cvt_f32_i32_e32 v5, v4
	s_movk_i32 s7, 0x7fff
	s_mov_b64 s[0:1], 0
	s_mov_b64 s[10:11], -1
	v_bfe_u32 v6, v5, 16, 1
	v_add3_u32 v5, v5, v6, s7
	v_lshrrev_b32_e32 v5, 16, v5
	global_store_dword v[2:3], v5, off
.LBB441_1871:
	s_and_b64 vcc, exec, s[12:13]
	s_cbranch_vccz .LBB441_1876
; %bb.1872:
	s_cmp_eq_u32 s17, 44
	s_mov_b64 s[0:1], -1
	s_cbranch_scc0 .LBB441_1876
; %bb.1873:
	v_cvt_f32_i32_e32 v5, v4
	s_movk_i32 s0, 0xff
	v_mov_b32_e32 v7, 0xff
	v_bfe_u32 v6, v5, 23, 8
	v_cmp_ne_u32_e32 vcc, s0, v6
	s_and_saveexec_b64 s[10:11], vcc
; %bb.1874:
	s_mov_b32 s0, 0x3fffff
	v_lshrrev_b32_e32 v7, 23, v5
	v_and_b32_e32 v8, 0x400000, v5
	v_and_or_b32 v5, v5, s0, v6
	v_cmp_ne_u32_e32 vcc, 0, v8
	v_cmp_ne_u32_e64 s[0:1], 0, v5
	s_and_b64 s[0:1], vcc, s[0:1]
	s_nop 0
	v_cndmask_b32_e64 v5, 0, 1, s[0:1]
	v_add_u32_e32 v7, v7, v5
; %bb.1875:
	s_or_b64 exec, exec, s[10:11]
	s_mov_b64 s[0:1], 0
	s_mov_b64 s[10:11], -1
	global_store_byte v[2:3], v7, off
.LBB441_1876:
	s_mov_b64 s[12:13], 0
.LBB441_1877:
	s_and_b64 vcc, exec, s[12:13]
	s_cbranch_vccz .LBB441_1880
; %bb.1878:
	s_cmp_eq_u32 s17, 29
	s_mov_b64 s[0:1], -1
	s_cbranch_scc0 .LBB441_1880
; %bb.1879:
	v_ashrrev_i32_e32 v5, 31, v4
	global_store_dwordx2 v[2:3], v[4:5], off
	s_mov_b64 s[0:1], 0
	s_mov_b64 s[10:11], -1
.LBB441_1880:
	s_mov_b64 s[12:13], 0
.LBB441_1881:
	s_and_b64 vcc, exec, s[12:13]
	s_cbranch_vccz .LBB441_1897
; %bb.1882:
	s_cmp_lt_i32 s17, 27
	s_mov_b64 s[10:11], -1
	s_cbranch_scc1 .LBB441_1888
; %bb.1883:
	s_cmp_gt_i32 s17, 27
	s_cbranch_scc0 .LBB441_1885
; %bb.1884:
	s_mov_b64 s[10:11], 0
	global_store_dword v[2:3], v4, off
.LBB441_1885:
	s_andn2_b64 vcc, exec, s[10:11]
	s_cbranch_vccnz .LBB441_1887
; %bb.1886:
	global_store_short v[2:3], v4, off
.LBB441_1887:
	s_mov_b64 s[10:11], 0
.LBB441_1888:
	s_andn2_b64 vcc, exec, s[10:11]
	s_cbranch_vccnz .LBB441_1896
; %bb.1889:
	v_cvt_f32_i32_e32 v5, v4
	s_mov_b32 s7, 0x43800000
	v_mov_b32_e32 v7, 0x80
	v_and_b32_e32 v6, 0x7fffffff, v5
	v_cmp_gt_u32_e32 vcc, s7, v6
	s_and_saveexec_b64 s[10:11], vcc
	s_cbranch_execz .LBB441_1895
; %bb.1890:
	s_mov_b32 s7, 0x3bffffff
	v_cmp_lt_u32_e32 vcc, s7, v6
	s_mov_b64 s[12:13], 0
                                        ; implicit-def: $vgpr6
	s_and_saveexec_b64 s[14:15], vcc
	s_xor_b64 s[14:15], exec, s[14:15]
	s_cbranch_execz .LBB441_2116
; %bb.1891:
	v_bfe_u32 v6, v5, 20, 1
	s_mov_b32 s7, 0x487ffff
	v_add3_u32 v6, v5, v6, s7
	s_mov_b64 s[12:13], exec
	v_lshrrev_b32_e32 v6, 20, v6
	s_andn2_saveexec_b64 s[14:15], s[14:15]
	s_cbranch_execnz .LBB441_2117
.LBB441_1892:
	s_or_b64 exec, exec, s[14:15]
	v_mov_b32_e32 v7, 0
	s_and_saveexec_b64 s[14:15], s[12:13]
.LBB441_1893:
	v_lshrrev_b32_e32 v5, 24, v5
	s_movk_i32 s7, 0x80
	v_and_or_b32 v7, v5, s7, v6
.LBB441_1894:
	s_or_b64 exec, exec, s[14:15]
.LBB441_1895:
	s_or_b64 exec, exec, s[10:11]
	global_store_byte v[2:3], v7, off
.LBB441_1896:
	s_mov_b64 s[10:11], -1
.LBB441_1897:
	s_mov_b64 s[12:13], 0
.LBB441_1898:
	s_and_b64 vcc, exec, s[12:13]
	s_cbranch_vccz .LBB441_1938
; %bb.1899:
	s_cmp_gt_i32 s17, 22
	s_mov_b64 s[8:9], -1
	s_cbranch_scc0 .LBB441_1931
; %bb.1900:
	s_cmp_lt_i32 s17, 24
	s_cbranch_scc1 .LBB441_1920
; %bb.1901:
	s_cmp_gt_i32 s17, 24
	s_cbranch_scc0 .LBB441_1909
; %bb.1902:
	v_cvt_f32_i32_e32 v5, v4
	s_mov_b32 s7, 0x47800000
	v_mov_b32_e32 v7, 0x80
	v_and_b32_e32 v6, 0x7fffffff, v5
	v_cmp_gt_u32_e32 vcc, s7, v6
	s_and_saveexec_b64 s[8:9], vcc
	s_cbranch_execz .LBB441_1908
; %bb.1903:
	s_mov_b32 s7, 0x37ffffff
	v_cmp_lt_u32_e32 vcc, s7, v6
	s_mov_b64 s[10:11], 0
                                        ; implicit-def: $vgpr6
	s_and_saveexec_b64 s[12:13], vcc
	s_xor_b64 s[12:13], exec, s[12:13]
	s_cbranch_execz .LBB441_2119
; %bb.1904:
	v_bfe_u32 v6, v5, 21, 1
	s_mov_b32 s7, 0x88fffff
	v_add3_u32 v6, v5, v6, s7
	s_mov_b64 s[10:11], exec
	v_lshrrev_b32_e32 v6, 21, v6
	s_andn2_saveexec_b64 s[12:13], s[12:13]
	s_cbranch_execnz .LBB441_2120
.LBB441_1905:
	s_or_b64 exec, exec, s[12:13]
	v_mov_b32_e32 v7, 0
	s_and_saveexec_b64 s[12:13], s[10:11]
.LBB441_1906:
	v_lshrrev_b32_e32 v5, 24, v5
	s_movk_i32 s7, 0x80
	v_and_or_b32 v7, v5, s7, v6
.LBB441_1907:
	s_or_b64 exec, exec, s[12:13]
.LBB441_1908:
	s_or_b64 exec, exec, s[8:9]
	s_mov_b64 s[8:9], 0
	global_store_byte v[2:3], v7, off
.LBB441_1909:
	s_and_b64 vcc, exec, s[8:9]
	s_cbranch_vccz .LBB441_1919
; %bb.1910:
	v_cvt_f32_i32_e32 v5, v4
	s_mov_b32 s7, 0x43f00000
                                        ; implicit-def: $vgpr6
	v_and_b32_e32 v7, 0x7fffffff, v5
	v_cmp_gt_u32_e32 vcc, s7, v7
	s_and_saveexec_b64 s[8:9], vcc
	s_xor_b64 s[8:9], exec, s[8:9]
	s_cbranch_execz .LBB441_1916
; %bb.1911:
	s_mov_b32 s7, 0x3c7fffff
	v_cmp_lt_u32_e32 vcc, s7, v7
                                        ; implicit-def: $vgpr6
	s_and_saveexec_b64 s[10:11], vcc
	s_xor_b64 s[10:11], exec, s[10:11]
; %bb.1912:
	v_bfe_u32 v6, v5, 20, 1
	s_mov_b32 s7, 0x407ffff
	v_add3_u32 v6, v5, v6, s7
	v_lshrrev_b32_e32 v7, 20, v6
	v_and_b32_e32 v6, 0xff00000, v6
	s_mov_b32 s7, 0x7f00000
	v_mov_b32_e32 v8, 0x7e
	v_cmp_ne_u32_e32 vcc, s7, v6
	s_nop 1
	v_cndmask_b32_e32 v6, v8, v7, vcc
; %bb.1913:
	s_andn2_saveexec_b64 s[10:11], s[10:11]
; %bb.1914:
	s_mov_b32 s7, 0x46800000
	v_add_f32_e64 v6, |v5|, s7
; %bb.1915:
	s_or_b64 exec, exec, s[10:11]
                                        ; implicit-def: $vgpr7
.LBB441_1916:
	s_andn2_saveexec_b64 s[8:9], s[8:9]
; %bb.1917:
	s_mov_b32 s7, 0x7f800000
	v_mov_b32_e32 v6, 0x7e
	v_mov_b32_e32 v8, 0x7f
	v_cmp_lt_u32_e32 vcc, s7, v7
	s_nop 1
	v_cndmask_b32_e32 v6, v6, v8, vcc
; %bb.1918:
	s_or_b64 exec, exec, s[8:9]
	v_lshrrev_b32_e32 v5, 24, v5
	s_movk_i32 s7, 0x80
	v_and_or_b32 v5, v5, s7, v6
	global_store_byte v[2:3], v5, off
.LBB441_1919:
	s_mov_b64 s[8:9], 0
.LBB441_1920:
	s_andn2_b64 vcc, exec, s[8:9]
	s_cbranch_vccnz .LBB441_1930
; %bb.1921:
	v_cvt_f32_i32_e32 v5, v4
	s_mov_b32 s7, 0x47800000
                                        ; implicit-def: $vgpr6
	v_and_b32_e32 v7, 0x7fffffff, v5
	v_cmp_gt_u32_e32 vcc, s7, v7
	s_and_saveexec_b64 s[8:9], vcc
	s_xor_b64 s[8:9], exec, s[8:9]
	s_cbranch_execz .LBB441_1927
; %bb.1922:
	s_mov_b32 s7, 0x387fffff
	v_cmp_lt_u32_e32 vcc, s7, v7
                                        ; implicit-def: $vgpr6
	s_and_saveexec_b64 s[10:11], vcc
	s_xor_b64 s[10:11], exec, s[10:11]
; %bb.1923:
	v_bfe_u32 v6, v5, 21, 1
	s_mov_b32 s7, 0x80fffff
	v_add3_u32 v6, v5, v6, s7
	v_lshrrev_b32_e32 v6, 21, v6
; %bb.1924:
	s_andn2_saveexec_b64 s[10:11], s[10:11]
; %bb.1925:
	s_mov_b32 s7, 0x43000000
	v_add_f32_e64 v6, |v5|, s7
; %bb.1926:
	s_or_b64 exec, exec, s[10:11]
                                        ; implicit-def: $vgpr7
.LBB441_1927:
	s_andn2_saveexec_b64 s[8:9], s[8:9]
; %bb.1928:
	s_mov_b32 s7, 0x7f800000
	v_mov_b32_e32 v6, 0x7c
	v_mov_b32_e32 v8, 0x7f
	v_cmp_lt_u32_e32 vcc, s7, v7
	s_nop 1
	v_cndmask_b32_e32 v6, v6, v8, vcc
; %bb.1929:
	s_or_b64 exec, exec, s[8:9]
	v_lshrrev_b32_e32 v5, 24, v5
	s_movk_i32 s7, 0x80
	v_and_or_b32 v5, v5, s7, v6
	global_store_byte v[2:3], v5, off
.LBB441_1930:
	s_mov_b64 s[8:9], 0
	s_mov_b64 s[10:11], -1
.LBB441_1931:
	s_andn2_b64 vcc, exec, s[8:9]
	s_mov_b64 s[8:9], 0
	s_cbranch_vccnz .LBB441_1938
; %bb.1932:
	s_cmp_gt_i32 s17, 14
	s_mov_b64 s[12:13], -1
	s_cbranch_scc0 .LBB441_1936
; %bb.1933:
	s_cmp_eq_u32 s17, 15
	s_mov_b64 s[0:1], -1
	s_cbranch_scc0 .LBB441_1935
; %bb.1934:
	v_cvt_f32_i32_e32 v5, v4
	s_movk_i32 s7, 0x7fff
	s_mov_b64 s[0:1], 0
	s_mov_b64 s[10:11], -1
	v_bfe_u32 v6, v5, 16, 1
	v_add3_u32 v5, v5, v6, s7
	global_store_short_d16_hi v[2:3], v5, off
.LBB441_1935:
	s_mov_b64 s[12:13], 0
.LBB441_1936:
	s_and_b64 vcc, exec, s[12:13]
	s_cbranch_vccz .LBB441_1938
; %bb.1937:
	s_cmp_lg_u32 s17, 11
	s_mov_b64 s[8:9], -1
	s_cselect_b64 s[0:1], -1, 0
.LBB441_1938:
	s_and_b64 vcc, exec, s[0:1]
	s_cbranch_vccnz .LBB441_2118
; %bb.1939:
	s_andn2_b64 vcc, exec, s[8:9]
	s_cbranch_vccnz .LBB441_1941
.LBB441_1940:
	v_cmp_ne_u32_e32 vcc, 0, v4
	s_mov_b64 s[10:11], -1
	s_nop 0
	v_cndmask_b32_e64 v5, 0, 1, vcc
	global_store_byte v[2:3], v5, off
.LBB441_1941:
	s_mov_b64 s[0:1], 0
	s_branch .LBB441_1943
.LBB441_1942:
	s_mov_b64 s[0:1], -1
	s_mov_b64 s[10:11], 0
.LBB441_1943:
	s_and_b64 vcc, exec, s[0:1]
	s_cbranch_vccz .LBB441_1982
; %bb.1944:
	s_cmp_lt_i32 s17, 5
	s_mov_b64 s[0:1], -1
	s_cbranch_scc1 .LBB441_1965
; %bb.1945:
	s_cmp_lt_i32 s17, 8
	s_cbranch_scc1 .LBB441_1955
; %bb.1946:
	s_cmp_lt_i32 s17, 9
	s_cbranch_scc1 .LBB441_1952
; %bb.1947:
	s_cmp_gt_i32 s17, 9
	s_cbranch_scc0 .LBB441_1949
; %bb.1948:
	v_mov_b32_e32 v8, 0
	v_cvt_f64_i32_e32 v[6:7], v4
	v_mov_b32_e32 v9, v8
	global_store_dwordx4 v[2:3], v[6:9], off
	s_mov_b64 s[0:1], 0
.LBB441_1949:
	s_andn2_b64 vcc, exec, s[0:1]
	s_cbranch_vccnz .LBB441_1951
; %bb.1950:
	v_cvt_f32_i32_e32 v6, v4
	v_mov_b32_e32 v7, 0
	global_store_dwordx2 v[2:3], v[6:7], off
.LBB441_1951:
	s_mov_b64 s[0:1], 0
.LBB441_1952:
	s_andn2_b64 vcc, exec, s[0:1]
	s_cbranch_vccnz .LBB441_1954
; %bb.1953:
	v_cvt_f32_i32_e32 v5, v4
	v_cvt_f16_f32_e32 v5, v5
	global_store_dword v[2:3], v5, off
.LBB441_1954:
	s_mov_b64 s[0:1], 0
.LBB441_1955:
	s_andn2_b64 vcc, exec, s[0:1]
	s_cbranch_vccnz .LBB441_1964
; %bb.1956:
	s_cmp_lt_i32 s17, 6
	s_mov_b64 s[0:1], -1
	s_cbranch_scc1 .LBB441_1962
; %bb.1957:
	s_cmp_gt_i32 s17, 6
	s_cbranch_scc0 .LBB441_1959
; %bb.1958:
	v_cvt_f64_i32_e32 v[6:7], v4
	global_store_dwordx2 v[2:3], v[6:7], off
	s_mov_b64 s[0:1], 0
.LBB441_1959:
	s_andn2_b64 vcc, exec, s[0:1]
	s_cbranch_vccnz .LBB441_1961
; %bb.1960:
	v_cvt_f32_i32_e32 v5, v4
	global_store_dword v[2:3], v5, off
.LBB441_1961:
	s_mov_b64 s[0:1], 0
.LBB441_1962:
	s_andn2_b64 vcc, exec, s[0:1]
	s_cbranch_vccnz .LBB441_1964
; %bb.1963:
	v_cvt_f32_i32_e32 v5, v4
	v_cvt_f16_f32_e32 v5, v5
	global_store_short v[2:3], v5, off
.LBB441_1964:
	s_mov_b64 s[0:1], 0
.LBB441_1965:
	s_andn2_b64 vcc, exec, s[0:1]
	s_cbranch_vccnz .LBB441_1981
; %bb.1966:
	s_cmp_lt_i32 s17, 2
	s_mov_b64 s[0:1], -1
	s_cbranch_scc1 .LBB441_1976
; %bb.1967:
	s_cmp_lt_i32 s17, 3
	s_cbranch_scc1 .LBB441_1973
; %bb.1968:
	s_cmp_gt_i32 s17, 3
	s_cbranch_scc0 .LBB441_1970
; %bb.1969:
	v_ashrrev_i32_e32 v5, 31, v4
	global_store_dwordx2 v[2:3], v[4:5], off
	s_mov_b64 s[0:1], 0
.LBB441_1970:
	s_andn2_b64 vcc, exec, s[0:1]
	s_cbranch_vccnz .LBB441_1972
; %bb.1971:
	global_store_dword v[2:3], v4, off
.LBB441_1972:
	s_mov_b64 s[0:1], 0
.LBB441_1973:
	s_andn2_b64 vcc, exec, s[0:1]
	s_cbranch_vccnz .LBB441_1975
; %bb.1974:
	global_store_short v[2:3], v4, off
.LBB441_1975:
	s_mov_b64 s[0:1], 0
.LBB441_1976:
	s_andn2_b64 vcc, exec, s[0:1]
	s_cbranch_vccnz .LBB441_1981
; %bb.1977:
	s_cmp_gt_i32 s17, 0
	s_mov_b64 s[0:1], -1
	s_cbranch_scc0 .LBB441_1979
; %bb.1978:
	global_store_byte v[2:3], v4, off
	s_mov_b64 s[0:1], 0
.LBB441_1979:
	s_andn2_b64 vcc, exec, s[0:1]
	s_cbranch_vccnz .LBB441_1981
; %bb.1980:
	global_store_byte v[2:3], v4, off
.LBB441_1981:
	s_mov_b64 s[10:11], -1
.LBB441_1982:
	s_andn2_b64 vcc, exec, s[10:11]
	s_cbranch_vccnz .LBB441_2059
; %bb.1983:
	v_min_i32_e32 v2, s6, v1
	v_mov_b32_e32 v1, 0
	s_cmp_lt_i32 s17, 11
	v_lshl_add_u64 v[0:1], s[4:5], 0, v[0:1]
	s_cbranch_scc1 .LBB441_2104
; %bb.1984:
	s_mov_b64 s[6:7], -1
	s_mov_b64 s[4:5], 0
	s_cmp_gt_i32 s17, 25
	s_mov_b64 s[0:1], 0
	s_cbranch_scc0 .LBB441_2017
; %bb.1985:
	s_cmp_gt_i32 s17, 28
	s_cbranch_scc0 .LBB441_2001
; %bb.1986:
	s_cmp_gt_i32 s17, 43
	;; [unrolled: 3-line block ×3, first 2 shown]
	s_cbranch_scc0 .LBB441_1991
; %bb.1988:
	s_cmp_eq_u32 s17, 46
	s_mov_b64 s[0:1], -1
	s_cbranch_scc0 .LBB441_1990
; %bb.1989:
	v_cvt_f32_i32_e32 v3, v2
	s_movk_i32 s0, 0x7fff
	v_bfe_u32 v4, v3, 16, 1
	v_add3_u32 v3, v3, v4, s0
	v_lshrrev_b32_e32 v3, 16, v3
	global_store_dword v[0:1], v3, off
	s_mov_b64 s[0:1], 0
.LBB441_1990:
	s_mov_b64 s[6:7], 0
.LBB441_1991:
	s_and_b64 vcc, exec, s[6:7]
	s_cbranch_vccz .LBB441_1996
; %bb.1992:
	s_cmp_eq_u32 s17, 44
	s_mov_b64 s[0:1], -1
	s_cbranch_scc0 .LBB441_1996
; %bb.1993:
	v_cvt_f32_i32_e32 v3, v2
	s_movk_i32 s0, 0xff
	v_mov_b32_e32 v5, 0xff
	v_bfe_u32 v4, v3, 23, 8
	v_cmp_ne_u32_e32 vcc, s0, v4
	s_and_saveexec_b64 s[6:7], vcc
; %bb.1994:
	s_mov_b32 s0, 0x3fffff
	v_lshrrev_b32_e32 v5, 23, v3
	v_and_b32_e32 v6, 0x400000, v3
	v_and_or_b32 v3, v3, s0, v4
	v_cmp_ne_u32_e32 vcc, 0, v6
	v_cmp_ne_u32_e64 s[0:1], 0, v3
	s_and_b64 s[0:1], vcc, s[0:1]
	s_nop 0
	v_cndmask_b32_e64 v3, 0, 1, s[0:1]
	v_add_u32_e32 v5, v5, v3
; %bb.1995:
	s_or_b64 exec, exec, s[6:7]
	s_mov_b64 s[0:1], 0
	global_store_byte v[0:1], v5, off
.LBB441_1996:
	s_mov_b64 s[6:7], 0
.LBB441_1997:
	s_and_b64 vcc, exec, s[6:7]
	s_cbranch_vccz .LBB441_2000
; %bb.1998:
	s_cmp_eq_u32 s17, 29
	s_mov_b64 s[0:1], -1
	s_cbranch_scc0 .LBB441_2000
; %bb.1999:
	v_ashrrev_i32_e32 v3, 31, v2
	global_store_dwordx2 v[0:1], v[2:3], off
	s_mov_b64 s[0:1], 0
.LBB441_2000:
	s_mov_b64 s[6:7], 0
.LBB441_2001:
	s_and_b64 vcc, exec, s[6:7]
	s_cbranch_vccz .LBB441_2016
; %bb.2002:
	s_cmp_lt_i32 s17, 27
	s_mov_b64 s[6:7], -1
	s_cbranch_scc1 .LBB441_2008
; %bb.2003:
	s_cmp_gt_i32 s17, 27
	s_cbranch_scc0 .LBB441_2005
; %bb.2004:
	global_store_dword v[0:1], v2, off
	s_mov_b64 s[6:7], 0
.LBB441_2005:
	s_andn2_b64 vcc, exec, s[6:7]
	s_cbranch_vccnz .LBB441_2007
; %bb.2006:
	global_store_short v[0:1], v2, off
.LBB441_2007:
	s_mov_b64 s[6:7], 0
.LBB441_2008:
	s_andn2_b64 vcc, exec, s[6:7]
	s_cbranch_vccnz .LBB441_2016
; %bb.2009:
	v_cvt_f32_i32_e32 v3, v2
	s_mov_b32 s6, 0x43800000
	v_mov_b32_e32 v5, 0x80
	v_and_b32_e32 v4, 0x7fffffff, v3
	v_cmp_gt_u32_e32 vcc, s6, v4
	s_and_saveexec_b64 s[6:7], vcc
	s_cbranch_execz .LBB441_2015
; %bb.2010:
	s_mov_b32 s8, 0x3bffffff
	v_cmp_lt_u32_e32 vcc, s8, v4
	s_mov_b64 s[8:9], 0
                                        ; implicit-def: $vgpr4
	s_and_saveexec_b64 s[10:11], vcc
	s_xor_b64 s[10:11], exec, s[10:11]
	s_cbranch_execz .LBB441_2121
; %bb.2011:
	v_bfe_u32 v4, v3, 20, 1
	s_mov_b32 s12, 0x487ffff
	v_add3_u32 v4, v3, v4, s12
	s_mov_b64 s[8:9], exec
	v_lshrrev_b32_e32 v4, 20, v4
	s_andn2_saveexec_b64 s[10:11], s[10:11]
	s_cbranch_execnz .LBB441_2122
.LBB441_2012:
	s_or_b64 exec, exec, s[10:11]
	v_mov_b32_e32 v5, 0
	s_and_saveexec_b64 s[10:11], s[8:9]
.LBB441_2013:
	v_lshrrev_b32_e32 v3, 24, v3
	s_movk_i32 s8, 0x80
	v_and_or_b32 v5, v3, s8, v4
.LBB441_2014:
	s_or_b64 exec, exec, s[10:11]
.LBB441_2015:
	s_or_b64 exec, exec, s[6:7]
	global_store_byte v[0:1], v5, off
.LBB441_2016:
	s_mov_b64 s[6:7], 0
.LBB441_2017:
	s_and_b64 vcc, exec, s[6:7]
	s_cbranch_vccz .LBB441_2057
; %bb.2018:
	s_cmp_gt_i32 s17, 22
	s_mov_b64 s[4:5], -1
	s_cbranch_scc0 .LBB441_2050
; %bb.2019:
	s_cmp_lt_i32 s17, 24
	s_cbranch_scc1 .LBB441_2039
; %bb.2020:
	s_cmp_gt_i32 s17, 24
	s_cbranch_scc0 .LBB441_2028
; %bb.2021:
	v_cvt_f32_i32_e32 v3, v2
	s_mov_b32 s4, 0x47800000
	v_mov_b32_e32 v5, 0x80
	v_and_b32_e32 v4, 0x7fffffff, v3
	v_cmp_gt_u32_e32 vcc, s4, v4
	s_and_saveexec_b64 s[4:5], vcc
	s_cbranch_execz .LBB441_2027
; %bb.2022:
	s_mov_b32 s6, 0x37ffffff
	v_cmp_lt_u32_e32 vcc, s6, v4
	s_mov_b64 s[6:7], 0
                                        ; implicit-def: $vgpr4
	s_and_saveexec_b64 s[8:9], vcc
	s_xor_b64 s[8:9], exec, s[8:9]
	s_cbranch_execz .LBB441_2124
; %bb.2023:
	v_bfe_u32 v4, v3, 21, 1
	s_mov_b32 s10, 0x88fffff
	v_add3_u32 v4, v3, v4, s10
	s_mov_b64 s[6:7], exec
	v_lshrrev_b32_e32 v4, 21, v4
	s_andn2_saveexec_b64 s[8:9], s[8:9]
	s_cbranch_execnz .LBB441_2125
.LBB441_2024:
	s_or_b64 exec, exec, s[8:9]
	v_mov_b32_e32 v5, 0
	s_and_saveexec_b64 s[8:9], s[6:7]
.LBB441_2025:
	v_lshrrev_b32_e32 v3, 24, v3
	s_movk_i32 s6, 0x80
	v_and_or_b32 v5, v3, s6, v4
.LBB441_2026:
	s_or_b64 exec, exec, s[8:9]
.LBB441_2027:
	s_or_b64 exec, exec, s[4:5]
	s_mov_b64 s[4:5], 0
	global_store_byte v[0:1], v5, off
.LBB441_2028:
	s_and_b64 vcc, exec, s[4:5]
	s_cbranch_vccz .LBB441_2038
; %bb.2029:
	v_cvt_f32_i32_e32 v3, v2
	s_mov_b32 s4, 0x43f00000
                                        ; implicit-def: $vgpr4
	v_and_b32_e32 v5, 0x7fffffff, v3
	v_cmp_gt_u32_e32 vcc, s4, v5
	s_and_saveexec_b64 s[4:5], vcc
	s_xor_b64 s[4:5], exec, s[4:5]
	s_cbranch_execz .LBB441_2035
; %bb.2030:
	s_mov_b32 s6, 0x3c7fffff
	v_cmp_lt_u32_e32 vcc, s6, v5
                                        ; implicit-def: $vgpr4
	s_and_saveexec_b64 s[6:7], vcc
	s_xor_b64 s[6:7], exec, s[6:7]
; %bb.2031:
	v_bfe_u32 v4, v3, 20, 1
	s_mov_b32 s8, 0x407ffff
	v_add3_u32 v4, v3, v4, s8
	v_lshrrev_b32_e32 v5, 20, v4
	v_and_b32_e32 v4, 0xff00000, v4
	s_mov_b32 s8, 0x7f00000
	v_mov_b32_e32 v6, 0x7e
	v_cmp_ne_u32_e32 vcc, s8, v4
	s_nop 1
	v_cndmask_b32_e32 v4, v6, v5, vcc
; %bb.2032:
	s_andn2_saveexec_b64 s[6:7], s[6:7]
; %bb.2033:
	s_mov_b32 s8, 0x46800000
	v_add_f32_e64 v4, |v3|, s8
; %bb.2034:
	s_or_b64 exec, exec, s[6:7]
                                        ; implicit-def: $vgpr5
.LBB441_2035:
	s_andn2_saveexec_b64 s[4:5], s[4:5]
; %bb.2036:
	s_mov_b32 s6, 0x7f800000
	v_mov_b32_e32 v4, 0x7e
	v_mov_b32_e32 v6, 0x7f
	v_cmp_lt_u32_e32 vcc, s6, v5
	s_nop 1
	v_cndmask_b32_e32 v4, v4, v6, vcc
; %bb.2037:
	s_or_b64 exec, exec, s[4:5]
	v_lshrrev_b32_e32 v3, 24, v3
	s_movk_i32 s4, 0x80
	v_and_or_b32 v3, v3, s4, v4
	global_store_byte v[0:1], v3, off
.LBB441_2038:
	s_mov_b64 s[4:5], 0
.LBB441_2039:
	s_andn2_b64 vcc, exec, s[4:5]
	s_cbranch_vccnz .LBB441_2049
; %bb.2040:
	v_cvt_f32_i32_e32 v3, v2
	s_mov_b32 s4, 0x47800000
                                        ; implicit-def: $vgpr4
	v_and_b32_e32 v5, 0x7fffffff, v3
	v_cmp_gt_u32_e32 vcc, s4, v5
	s_and_saveexec_b64 s[4:5], vcc
	s_xor_b64 s[4:5], exec, s[4:5]
	s_cbranch_execz .LBB441_2046
; %bb.2041:
	s_mov_b32 s6, 0x387fffff
	v_cmp_lt_u32_e32 vcc, s6, v5
                                        ; implicit-def: $vgpr4
	s_and_saveexec_b64 s[6:7], vcc
	s_xor_b64 s[6:7], exec, s[6:7]
; %bb.2042:
	v_bfe_u32 v4, v3, 21, 1
	s_mov_b32 s8, 0x80fffff
	v_add3_u32 v4, v3, v4, s8
	v_lshrrev_b32_e32 v4, 21, v4
; %bb.2043:
	s_andn2_saveexec_b64 s[6:7], s[6:7]
; %bb.2044:
	s_mov_b32 s8, 0x43000000
	v_add_f32_e64 v4, |v3|, s8
; %bb.2045:
	s_or_b64 exec, exec, s[6:7]
                                        ; implicit-def: $vgpr5
.LBB441_2046:
	s_andn2_saveexec_b64 s[4:5], s[4:5]
; %bb.2047:
	s_mov_b32 s6, 0x7f800000
	v_mov_b32_e32 v4, 0x7c
	v_mov_b32_e32 v6, 0x7f
	v_cmp_lt_u32_e32 vcc, s6, v5
	s_nop 1
	v_cndmask_b32_e32 v4, v4, v6, vcc
; %bb.2048:
	s_or_b64 exec, exec, s[4:5]
	v_lshrrev_b32_e32 v3, 24, v3
	s_movk_i32 s4, 0x80
	v_and_or_b32 v3, v3, s4, v4
	global_store_byte v[0:1], v3, off
.LBB441_2049:
	s_mov_b64 s[4:5], 0
.LBB441_2050:
	s_andn2_b64 vcc, exec, s[4:5]
	s_mov_b64 s[4:5], 0
	s_cbranch_vccnz .LBB441_2057
; %bb.2051:
	s_cmp_gt_i32 s17, 14
	s_mov_b64 s[6:7], -1
	s_cbranch_scc0 .LBB441_2055
; %bb.2052:
	s_cmp_eq_u32 s17, 15
	s_mov_b64 s[0:1], -1
	s_cbranch_scc0 .LBB441_2054
; %bb.2053:
	v_cvt_f32_i32_e32 v3, v2
	s_movk_i32 s0, 0x7fff
	v_bfe_u32 v4, v3, 16, 1
	v_add3_u32 v3, v3, v4, s0
	global_store_short_d16_hi v[0:1], v3, off
	s_mov_b64 s[0:1], 0
.LBB441_2054:
	s_mov_b64 s[6:7], 0
.LBB441_2055:
	s_and_b64 vcc, exec, s[6:7]
	s_cbranch_vccz .LBB441_2057
; %bb.2056:
	s_cmp_lg_u32 s17, 11
	s_mov_b64 s[4:5], -1
	s_cselect_b64 s[0:1], -1, 0
.LBB441_2057:
	s_and_b64 vcc, exec, s[0:1]
	s_cbranch_vccnz .LBB441_2123
.LBB441_2058:
	s_mov_b64 s[0:1], 0
	s_branch .LBB441_2060
.LBB441_2059:
	s_mov_b64 s[0:1], 0
	s_mov_b64 s[4:5], 0
                                        ; implicit-def: $vgpr0_vgpr1
                                        ; implicit-def: $sgpr16
                                        ; implicit-def: $vgpr2
.LBB441_2060:
	s_and_b64 s[6:7], s[0:1], exec
	s_andn2_b64 s[0:1], s[24:25], exec
	s_and_b64 s[2:3], s[2:3], exec
	s_and_b64 s[40:41], s[4:5], exec
	s_or_b64 s[24:25], s[0:1], s[2:3]
.LBB441_2061:
	s_or_b64 exec, exec, s[26:27]
	s_and_saveexec_b64 s[0:1], s[24:25]
	s_cbranch_execz .LBB441_2064
; %bb.2062:
	; divergent unreachable
	s_or_b64 exec, exec, s[0:1]
	s_and_saveexec_b64 s[0:1], s[40:41]
	s_xor_b64 s[0:1], exec, s[0:1]
	s_cbranch_execnz .LBB441_2065
.LBB441_2063:
	s_or_b64 exec, exec, s[0:1]
	s_and_saveexec_b64 s[0:1], s[6:7]
	s_cbranch_execnz .LBB441_2066
	s_branch .LBB441_2103
.LBB441_2064:
	s_or_b64 exec, exec, s[0:1]
	s_and_saveexec_b64 s[0:1], s[40:41]
	s_xor_b64 s[0:1], exec, s[0:1]
	s_cbranch_execz .LBB441_2063
.LBB441_2065:
	v_cmp_ne_u32_e32 vcc, 0, v2
	s_waitcnt vmcnt(0)
	s_nop 0
	v_cndmask_b32_e64 v3, 0, 1, vcc
	global_store_byte v[0:1], v3, off
	s_or_b64 exec, exec, s[0:1]
	s_and_saveexec_b64 s[0:1], s[6:7]
	s_cbranch_execz .LBB441_2103
.LBB441_2066:
	s_sext_i32_i16 s2, s16
	s_cmp_lt_i32 s2, 5
	s_mov_b64 s[0:1], -1
	s_cbranch_scc1 .LBB441_2087
; %bb.2067:
	s_cmp_lt_i32 s2, 8
	s_cbranch_scc1 .LBB441_2077
; %bb.2068:
	s_cmp_lt_i32 s2, 9
	s_cbranch_scc1 .LBB441_2074
; %bb.2069:
	s_cmp_gt_i32 s2, 9
	s_cbranch_scc0 .LBB441_2071
; %bb.2070:
	v_mov_b32_e32 v6, 0
	s_waitcnt vmcnt(0)
	v_cvt_f64_i32_e32 v[4:5], v2
	v_mov_b32_e32 v7, v6
	global_store_dwordx4 v[0:1], v[4:7], off
	s_mov_b64 s[0:1], 0
.LBB441_2071:
	s_andn2_b64 vcc, exec, s[0:1]
	s_cbranch_vccnz .LBB441_2073
; %bb.2072:
	v_cvt_f32_i32_e32 v4, v2
	s_waitcnt vmcnt(0)
	v_mov_b32_e32 v5, 0
	global_store_dwordx2 v[0:1], v[4:5], off
.LBB441_2073:
	s_mov_b64 s[0:1], 0
.LBB441_2074:
	s_andn2_b64 vcc, exec, s[0:1]
	s_cbranch_vccnz .LBB441_2076
; %bb.2075:
	s_waitcnt vmcnt(0)
	v_cvt_f32_i32_e32 v3, v2
	v_cvt_f16_f32_e32 v3, v3
	global_store_dword v[0:1], v3, off
.LBB441_2076:
	s_mov_b64 s[0:1], 0
.LBB441_2077:
	s_andn2_b64 vcc, exec, s[0:1]
	s_cbranch_vccnz .LBB441_2086
; %bb.2078:
	s_sext_i32_i16 s2, s16
	s_cmp_lt_i32 s2, 6
	s_mov_b64 s[0:1], -1
	s_cbranch_scc1 .LBB441_2084
; %bb.2079:
	s_cmp_gt_i32 s2, 6
	s_cbranch_scc0 .LBB441_2081
; %bb.2080:
	s_waitcnt vmcnt(0)
	v_cvt_f64_i32_e32 v[4:5], v2
	global_store_dwordx2 v[0:1], v[4:5], off
	s_mov_b64 s[0:1], 0
.LBB441_2081:
	s_andn2_b64 vcc, exec, s[0:1]
	s_cbranch_vccnz .LBB441_2083
; %bb.2082:
	s_waitcnt vmcnt(0)
	v_cvt_f32_i32_e32 v3, v2
	global_store_dword v[0:1], v3, off
.LBB441_2083:
	s_mov_b64 s[0:1], 0
.LBB441_2084:
	s_andn2_b64 vcc, exec, s[0:1]
	s_cbranch_vccnz .LBB441_2086
; %bb.2085:
	s_waitcnt vmcnt(0)
	v_cvt_f32_i32_e32 v3, v2
	v_cvt_f16_f32_e32 v3, v3
	global_store_short v[0:1], v3, off
.LBB441_2086:
	s_mov_b64 s[0:1], 0
.LBB441_2087:
	s_andn2_b64 vcc, exec, s[0:1]
	s_cbranch_vccnz .LBB441_2103
; %bb.2088:
	s_sext_i32_i16 s2, s16
	s_cmp_lt_i32 s2, 2
	s_mov_b64 s[0:1], -1
	s_cbranch_scc1 .LBB441_2098
; %bb.2089:
	s_cmp_lt_i32 s2, 3
	s_cbranch_scc1 .LBB441_2095
; %bb.2090:
	s_cmp_gt_i32 s2, 3
	s_cbranch_scc0 .LBB441_2092
; %bb.2091:
	s_waitcnt vmcnt(0)
	v_ashrrev_i32_e32 v3, 31, v2
	global_store_dwordx2 v[0:1], v[2:3], off
	s_mov_b64 s[0:1], 0
.LBB441_2092:
	s_andn2_b64 vcc, exec, s[0:1]
	s_cbranch_vccnz .LBB441_2094
; %bb.2093:
	s_waitcnt vmcnt(0)
	global_store_dword v[0:1], v2, off
.LBB441_2094:
	s_mov_b64 s[0:1], 0
.LBB441_2095:
	s_andn2_b64 vcc, exec, s[0:1]
	s_cbranch_vccnz .LBB441_2097
; %bb.2096:
	s_waitcnt vmcnt(0)
	global_store_short v[0:1], v2, off
.LBB441_2097:
	s_mov_b64 s[0:1], 0
.LBB441_2098:
	s_andn2_b64 vcc, exec, s[0:1]
	s_cbranch_vccnz .LBB441_2103
; %bb.2099:
	s_sext_i32_i16 s0, s16
	s_cmp_gt_i32 s0, 0
	s_mov_b64 s[0:1], -1
	s_cbranch_scc0 .LBB441_2101
; %bb.2100:
	s_waitcnt vmcnt(0)
	global_store_byte v[0:1], v2, off
	s_mov_b64 s[0:1], 0
.LBB441_2101:
	s_andn2_b64 vcc, exec, s[0:1]
	s_cbranch_vccnz .LBB441_2103
; %bb.2102:
	s_waitcnt vmcnt(0)
	global_store_byte v[0:1], v2, off
	s_endpgm
.LBB441_2103:
	s_endpgm
.LBB441_2104:
	s_mov_b64 s[4:5], 0
	s_mov_b64 s[0:1], -1
	s_branch .LBB441_2060
.LBB441_2105:
	s_trap 2
	s_or_b64 s[2:3], s[2:3], exec
	s_cbranch_execz .LBB441_1574
	s_branch .LBB441_1575
.LBB441_2106:
	s_andn2_saveexec_b64 s[14:15], s[14:15]
	s_cbranch_execz .LBB441_1654
.LBB441_2107:
	s_mov_b32 s17, 0x46000000
	v_add_f32_e64 v10, |v9|, s17
	v_and_b32_e32 v10, 0xff, v10
	v_cmp_ne_u32_e32 vcc, 0, v10
	s_andn2_b64 s[12:13], s[12:13], exec
	s_and_b64 s[18:19], vcc, exec
	s_or_b64 s[12:13], s[12:13], s[18:19]
	s_or_b64 exec, exec, s[14:15]
	v_mov_b32_e32 v11, 0
	s_and_saveexec_b64 s[14:15], s[12:13]
	s_cbranch_execnz .LBB441_1655
	s_branch .LBB441_1656
.LBB441_2108:
	s_trap 2
	s_or_b64 s[2:3], s[2:3], exec
	s_cbranch_execz .LBB441_1702
	s_branch .LBB441_1703
.LBB441_2109:
	s_andn2_saveexec_b64 s[12:13], s[12:13]
	s_cbranch_execz .LBB441_1667
.LBB441_2110:
	s_mov_b32 s14, 0x42800000
	v_add_f32_e64 v10, |v9|, s14
	v_and_b32_e32 v10, 0xff, v10
	v_cmp_ne_u32_e32 vcc, 0, v10
	s_andn2_b64 s[10:11], s[10:11], exec
	s_and_b64 s[14:15], vcc, exec
	s_or_b64 s[10:11], s[10:11], s[14:15]
	s_or_b64 exec, exec, s[12:13]
	v_mov_b32_e32 v11, 0
	s_and_saveexec_b64 s[12:13], s[10:11]
	s_cbranch_execnz .LBB441_1668
	s_branch .LBB441_1669
.LBB441_2111:
	s_andn2_saveexec_b64 s[14:15], s[14:15]
	s_cbranch_execz .LBB441_1773
.LBB441_2112:
	s_mov_b32 s7, 0x46000000
	v_add_f32_e64 v8, |v7|, s7
	v_and_b32_e32 v8, 0xff, v8
	v_cmp_ne_u32_e32 vcc, 0, v8
	s_andn2_b64 s[12:13], s[12:13], exec
	s_and_b64 s[18:19], vcc, exec
	s_or_b64 s[12:13], s[12:13], s[18:19]
	s_or_b64 exec, exec, s[14:15]
	v_mov_b32_e32 v9, 0
	s_and_saveexec_b64 s[14:15], s[12:13]
	s_cbranch_execnz .LBB441_1774
	s_branch .LBB441_1775
.LBB441_2113:
	s_trap 2
	s_or_b64 s[2:3], s[2:3], exec
	s_cbranch_execz .LBB441_1821
	s_branch .LBB441_1822
.LBB441_2114:
	s_andn2_saveexec_b64 s[12:13], s[12:13]
	s_cbranch_execz .LBB441_1786
.LBB441_2115:
	s_mov_b32 s7, 0x42800000
	v_add_f32_e64 v8, |v7|, s7
	v_and_b32_e32 v8, 0xff, v8
	v_cmp_ne_u32_e32 vcc, 0, v8
	s_andn2_b64 s[10:11], s[10:11], exec
	s_and_b64 s[14:15], vcc, exec
	s_or_b64 s[10:11], s[10:11], s[14:15]
	s_or_b64 exec, exec, s[12:13]
	v_mov_b32_e32 v9, 0
	s_and_saveexec_b64 s[12:13], s[10:11]
	s_cbranch_execnz .LBB441_1787
	s_branch .LBB441_1788
.LBB441_2116:
	s_andn2_saveexec_b64 s[14:15], s[14:15]
	s_cbranch_execz .LBB441_1892
.LBB441_2117:
	s_mov_b32 s7, 0x46000000
	v_add_f32_e64 v6, |v5|, s7
	v_and_b32_e32 v6, 0xff, v6
	v_cmp_ne_u32_e32 vcc, 0, v6
	s_andn2_b64 s[12:13], s[12:13], exec
	s_and_b64 s[18:19], vcc, exec
	s_or_b64 s[12:13], s[12:13], s[18:19]
	s_or_b64 exec, exec, s[14:15]
	v_mov_b32_e32 v7, 0
	s_and_saveexec_b64 s[14:15], s[12:13]
	s_cbranch_execnz .LBB441_1893
	s_branch .LBB441_1894
.LBB441_2118:
	s_trap 2
	s_or_b64 s[2:3], s[2:3], exec
	s_cbranch_execz .LBB441_1940
	s_branch .LBB441_1941
.LBB441_2119:
	s_andn2_saveexec_b64 s[12:13], s[12:13]
	s_cbranch_execz .LBB441_1905
.LBB441_2120:
	s_mov_b32 s7, 0x42800000
	v_add_f32_e64 v6, |v5|, s7
	v_and_b32_e32 v6, 0xff, v6
	v_cmp_ne_u32_e32 vcc, 0, v6
	s_andn2_b64 s[10:11], s[10:11], exec
	s_and_b64 s[14:15], vcc, exec
	s_or_b64 s[10:11], s[10:11], s[14:15]
	s_or_b64 exec, exec, s[12:13]
	v_mov_b32_e32 v7, 0
	s_and_saveexec_b64 s[12:13], s[10:11]
	s_cbranch_execnz .LBB441_1906
	s_branch .LBB441_1907
.LBB441_2121:
	s_andn2_saveexec_b64 s[10:11], s[10:11]
	s_cbranch_execz .LBB441_2012
.LBB441_2122:
	s_mov_b32 s12, 0x46000000
	v_add_f32_e64 v4, |v3|, s12
	v_and_b32_e32 v4, 0xff, v4
	v_cmp_ne_u32_e32 vcc, 0, v4
	s_andn2_b64 s[8:9], s[8:9], exec
	s_and_b64 s[12:13], vcc, exec
	s_or_b64 s[8:9], s[8:9], s[12:13]
	s_or_b64 exec, exec, s[10:11]
	v_mov_b32_e32 v5, 0
	s_and_saveexec_b64 s[10:11], s[8:9]
	s_cbranch_execnz .LBB441_2013
	s_branch .LBB441_2014
.LBB441_2123:
	s_mov_b64 s[4:5], 0
	s_or_b64 s[2:3], s[2:3], exec
	s_trap 2
	s_branch .LBB441_2058
.LBB441_2124:
	s_andn2_saveexec_b64 s[8:9], s[8:9]
	s_cbranch_execz .LBB441_2024
.LBB441_2125:
	s_mov_b32 s10, 0x42800000
	v_add_f32_e64 v4, |v3|, s10
	v_and_b32_e32 v4, 0xff, v4
	v_cmp_ne_u32_e32 vcc, 0, v4
	s_andn2_b64 s[6:7], s[6:7], exec
	s_and_b64 s[10:11], vcc, exec
	s_or_b64 s[6:7], s[6:7], s[10:11]
	s_or_b64 exec, exec, s[8:9]
	v_mov_b32_e32 v5, 0
	s_and_saveexec_b64 s[8:9], s[6:7]
	s_cbranch_execnz .LBB441_2025
	s_branch .LBB441_2026
	.section	.rodata,"a",@progbits
	.p2align	6, 0x0
	.amdhsa_kernel _ZN2at6native32elementwise_kernel_manual_unrollILi128ELi4EZNS0_15gpu_kernel_implIZZZNS0_21clamp_max_kernel_cudaERNS_18TensorIteratorBaseERKN3c106ScalarEENKUlvE_clEvENKUlvE1_clEvEUliE_EEvS4_RKT_EUlibE0_EEviT1_
		.amdhsa_group_segment_fixed_size 0
		.amdhsa_private_segment_fixed_size 0
		.amdhsa_kernarg_size 360
		.amdhsa_user_sgpr_count 2
		.amdhsa_user_sgpr_dispatch_ptr 0
		.amdhsa_user_sgpr_queue_ptr 0
		.amdhsa_user_sgpr_kernarg_segment_ptr 1
		.amdhsa_user_sgpr_dispatch_id 0
		.amdhsa_user_sgpr_kernarg_preload_length 0
		.amdhsa_user_sgpr_kernarg_preload_offset 0
		.amdhsa_user_sgpr_private_segment_size 0
		.amdhsa_uses_dynamic_stack 0
		.amdhsa_enable_private_segment 0
		.amdhsa_system_sgpr_workgroup_id_x 1
		.amdhsa_system_sgpr_workgroup_id_y 0
		.amdhsa_system_sgpr_workgroup_id_z 0
		.amdhsa_system_sgpr_workgroup_info 0
		.amdhsa_system_vgpr_workitem_id 0
		.amdhsa_next_free_vgpr 18
		.amdhsa_next_free_sgpr 79
		.amdhsa_accum_offset 20
		.amdhsa_reserve_vcc 1
		.amdhsa_float_round_mode_32 0
		.amdhsa_float_round_mode_16_64 0
		.amdhsa_float_denorm_mode_32 3
		.amdhsa_float_denorm_mode_16_64 3
		.amdhsa_dx10_clamp 1
		.amdhsa_ieee_mode 1
		.amdhsa_fp16_overflow 0
		.amdhsa_tg_split 0
		.amdhsa_exception_fp_ieee_invalid_op 0
		.amdhsa_exception_fp_denorm_src 0
		.amdhsa_exception_fp_ieee_div_zero 0
		.amdhsa_exception_fp_ieee_overflow 0
		.amdhsa_exception_fp_ieee_underflow 0
		.amdhsa_exception_fp_ieee_inexact 0
		.amdhsa_exception_int_div_zero 0
	.end_amdhsa_kernel
	.section	.text._ZN2at6native32elementwise_kernel_manual_unrollILi128ELi4EZNS0_15gpu_kernel_implIZZZNS0_21clamp_max_kernel_cudaERNS_18TensorIteratorBaseERKN3c106ScalarEENKUlvE_clEvENKUlvE1_clEvEUliE_EEvS4_RKT_EUlibE0_EEviT1_,"axG",@progbits,_ZN2at6native32elementwise_kernel_manual_unrollILi128ELi4EZNS0_15gpu_kernel_implIZZZNS0_21clamp_max_kernel_cudaERNS_18TensorIteratorBaseERKN3c106ScalarEENKUlvE_clEvENKUlvE1_clEvEUliE_EEvS4_RKT_EUlibE0_EEviT1_,comdat
.Lfunc_end441:
	.size	_ZN2at6native32elementwise_kernel_manual_unrollILi128ELi4EZNS0_15gpu_kernel_implIZZZNS0_21clamp_max_kernel_cudaERNS_18TensorIteratorBaseERKN3c106ScalarEENKUlvE_clEvENKUlvE1_clEvEUliE_EEvS4_RKT_EUlibE0_EEviT1_, .Lfunc_end441-_ZN2at6native32elementwise_kernel_manual_unrollILi128ELi4EZNS0_15gpu_kernel_implIZZZNS0_21clamp_max_kernel_cudaERNS_18TensorIteratorBaseERKN3c106ScalarEENKUlvE_clEvENKUlvE1_clEvEUliE_EEvS4_RKT_EUlibE0_EEviT1_
                                        ; -- End function
	.set _ZN2at6native32elementwise_kernel_manual_unrollILi128ELi4EZNS0_15gpu_kernel_implIZZZNS0_21clamp_max_kernel_cudaERNS_18TensorIteratorBaseERKN3c106ScalarEENKUlvE_clEvENKUlvE1_clEvEUliE_EEvS4_RKT_EUlibE0_EEviT1_.num_vgpr, 18
	.set _ZN2at6native32elementwise_kernel_manual_unrollILi128ELi4EZNS0_15gpu_kernel_implIZZZNS0_21clamp_max_kernel_cudaERNS_18TensorIteratorBaseERKN3c106ScalarEENKUlvE_clEvENKUlvE1_clEvEUliE_EEvS4_RKT_EUlibE0_EEviT1_.num_agpr, 0
	.set _ZN2at6native32elementwise_kernel_manual_unrollILi128ELi4EZNS0_15gpu_kernel_implIZZZNS0_21clamp_max_kernel_cudaERNS_18TensorIteratorBaseERKN3c106ScalarEENKUlvE_clEvENKUlvE1_clEvEUliE_EEvS4_RKT_EUlibE0_EEviT1_.numbered_sgpr, 79
	.set _ZN2at6native32elementwise_kernel_manual_unrollILi128ELi4EZNS0_15gpu_kernel_implIZZZNS0_21clamp_max_kernel_cudaERNS_18TensorIteratorBaseERKN3c106ScalarEENKUlvE_clEvENKUlvE1_clEvEUliE_EEvS4_RKT_EUlibE0_EEviT1_.num_named_barrier, 0
	.set _ZN2at6native32elementwise_kernel_manual_unrollILi128ELi4EZNS0_15gpu_kernel_implIZZZNS0_21clamp_max_kernel_cudaERNS_18TensorIteratorBaseERKN3c106ScalarEENKUlvE_clEvENKUlvE1_clEvEUliE_EEvS4_RKT_EUlibE0_EEviT1_.private_seg_size, 0
	.set _ZN2at6native32elementwise_kernel_manual_unrollILi128ELi4EZNS0_15gpu_kernel_implIZZZNS0_21clamp_max_kernel_cudaERNS_18TensorIteratorBaseERKN3c106ScalarEENKUlvE_clEvENKUlvE1_clEvEUliE_EEvS4_RKT_EUlibE0_EEviT1_.uses_vcc, 1
	.set _ZN2at6native32elementwise_kernel_manual_unrollILi128ELi4EZNS0_15gpu_kernel_implIZZZNS0_21clamp_max_kernel_cudaERNS_18TensorIteratorBaseERKN3c106ScalarEENKUlvE_clEvENKUlvE1_clEvEUliE_EEvS4_RKT_EUlibE0_EEviT1_.uses_flat_scratch, 0
	.set _ZN2at6native32elementwise_kernel_manual_unrollILi128ELi4EZNS0_15gpu_kernel_implIZZZNS0_21clamp_max_kernel_cudaERNS_18TensorIteratorBaseERKN3c106ScalarEENKUlvE_clEvENKUlvE1_clEvEUliE_EEvS4_RKT_EUlibE0_EEviT1_.has_dyn_sized_stack, 0
	.set _ZN2at6native32elementwise_kernel_manual_unrollILi128ELi4EZNS0_15gpu_kernel_implIZZZNS0_21clamp_max_kernel_cudaERNS_18TensorIteratorBaseERKN3c106ScalarEENKUlvE_clEvENKUlvE1_clEvEUliE_EEvS4_RKT_EUlibE0_EEviT1_.has_recursion, 0
	.set _ZN2at6native32elementwise_kernel_manual_unrollILi128ELi4EZNS0_15gpu_kernel_implIZZZNS0_21clamp_max_kernel_cudaERNS_18TensorIteratorBaseERKN3c106ScalarEENKUlvE_clEvENKUlvE1_clEvEUliE_EEvS4_RKT_EUlibE0_EEviT1_.has_indirect_call, 0
	.section	.AMDGPU.csdata,"",@progbits
; Kernel info:
; codeLenInByte = 34936
; TotalNumSgprs: 85
; NumVgprs: 18
; NumAgprs: 0
; TotalNumVgprs: 18
; ScratchSize: 0
; MemoryBound: 1
; FloatMode: 240
; IeeeMode: 1
; LDSByteSize: 0 bytes/workgroup (compile time only)
; SGPRBlocks: 10
; VGPRBlocks: 2
; NumSGPRsForWavesPerEU: 85
; NumVGPRsForWavesPerEU: 18
; AccumOffset: 20
; Occupancy: 8
; WaveLimiterHint : 1
; COMPUTE_PGM_RSRC2:SCRATCH_EN: 0
; COMPUTE_PGM_RSRC2:USER_SGPR: 2
; COMPUTE_PGM_RSRC2:TRAP_HANDLER: 0
; COMPUTE_PGM_RSRC2:TGID_X_EN: 1
; COMPUTE_PGM_RSRC2:TGID_Y_EN: 0
; COMPUTE_PGM_RSRC2:TGID_Z_EN: 0
; COMPUTE_PGM_RSRC2:TIDIG_COMP_CNT: 0
; COMPUTE_PGM_RSRC3_GFX90A:ACCUM_OFFSET: 4
; COMPUTE_PGM_RSRC3_GFX90A:TG_SPLIT: 0
	.section	.text._ZN2at6native29vectorized_elementwise_kernelILi16EZZZNS0_21clamp_max_kernel_cudaERNS_18TensorIteratorBaseERKN3c106ScalarEENKUlvE_clEvENKUlvE2_clEvEUllE_St5arrayIPcLm2EEEEviT0_T1_,"axG",@progbits,_ZN2at6native29vectorized_elementwise_kernelILi16EZZZNS0_21clamp_max_kernel_cudaERNS_18TensorIteratorBaseERKN3c106ScalarEENKUlvE_clEvENKUlvE2_clEvEUllE_St5arrayIPcLm2EEEEviT0_T1_,comdat
	.globl	_ZN2at6native29vectorized_elementwise_kernelILi16EZZZNS0_21clamp_max_kernel_cudaERNS_18TensorIteratorBaseERKN3c106ScalarEENKUlvE_clEvENKUlvE2_clEvEUllE_St5arrayIPcLm2EEEEviT0_T1_ ; -- Begin function _ZN2at6native29vectorized_elementwise_kernelILi16EZZZNS0_21clamp_max_kernel_cudaERNS_18TensorIteratorBaseERKN3c106ScalarEENKUlvE_clEvENKUlvE2_clEvEUllE_St5arrayIPcLm2EEEEviT0_T1_
	.p2align	8
	.type	_ZN2at6native29vectorized_elementwise_kernelILi16EZZZNS0_21clamp_max_kernel_cudaERNS_18TensorIteratorBaseERKN3c106ScalarEENKUlvE_clEvENKUlvE2_clEvEUllE_St5arrayIPcLm2EEEEviT0_T1_,@function
_ZN2at6native29vectorized_elementwise_kernelILi16EZZZNS0_21clamp_max_kernel_cudaERNS_18TensorIteratorBaseERKN3c106ScalarEENKUlvE_clEvENKUlvE2_clEvEUllE_St5arrayIPcLm2EEEEviT0_T1_: ; @_ZN2at6native29vectorized_elementwise_kernelILi16EZZZNS0_21clamp_max_kernel_cudaERNS_18TensorIteratorBaseERKN3c106ScalarEENKUlvE_clEvENKUlvE2_clEvEUllE_St5arrayIPcLm2EEEEviT0_T1_
; %bb.0:
	s_load_dword s3, s[0:1], 0x0
	s_load_dwordx4 s[8:11], s[0:1], 0x8
	s_load_dwordx2 s[12:13], s[0:1], 0x18
	s_lshl_b32 s6, s2, 10
	s_mov_b64 s[0:1], -1
	s_waitcnt lgkmcnt(0)
	s_sub_i32 s14, s3, s6
	s_cmpk_gt_i32 s14, 0x3ff
	s_cbranch_scc0 .LBB442_2
; %bb.1:
	s_ashr_i32 s7, s6, 31
	s_lshl_b64 s[0:1], s[6:7], 3
	s_add_u32 s2, s12, s0
	s_addc_u32 s3, s13, s1
	v_lshlrev_b32_e32 v1, 5, v0
	global_load_dwordx4 v[2:5], v1, s[2:3]
	global_load_dwordx4 v[6:9], v1, s[2:3] offset:16
	s_add_u32 s16, s10, s0
	v_mov_b32_e32 v10, s9
	v_mov_b32_e32 v11, s8
	s_addc_u32 s17, s11, s1
	s_waitcnt vmcnt(1)
	v_cmp_gt_i64_e32 vcc, s[8:9], v[2:3]
	v_cmp_gt_i64_e64 s[0:1], s[8:9], v[4:5]
	s_nop 0
	v_cndmask_b32_e32 v3, v10, v3, vcc
	s_waitcnt vmcnt(0)
	v_cmp_gt_i64_e64 s[2:3], s[8:9], v[6:7]
	v_cndmask_b32_e64 v5, v10, v5, s[0:1]
	v_cmp_gt_i64_e64 s[4:5], s[8:9], v[8:9]
	v_cndmask_b32_e32 v2, v11, v2, vcc
	v_cndmask_b32_e64 v4, v11, v4, s[0:1]
	v_cndmask_b32_e64 v7, v10, v7, s[2:3]
	;; [unrolled: 1-line block ×5, first 2 shown]
	global_store_dwordx4 v1, v[2:5], s[16:17]
	global_store_dwordx4 v1, v[6:9], s[16:17] offset:16
	s_mov_b64 s[0:1], 0
.LBB442_2:
	s_andn2_b64 vcc, exec, s[0:1]
	s_cbranch_vccnz .LBB442_16
; %bb.3:
	v_cmp_gt_i32_e32 vcc, s14, v0
	v_mov_b64_e32 v[4:5], 0
	v_or_b32_e32 v2, s6, v0
	v_mov_b64_e32 v[6:7], 0
	v_mov_b32_e32 v1, v0
	s_and_saveexec_b64 s[0:1], vcc
	s_cbranch_execz .LBB442_5
; %bb.4:
	v_mov_b32_e32 v3, 0
	v_lshl_add_u64 v[6:7], v[2:3], 3, s[12:13]
	global_load_dwordx2 v[6:7], v[6:7], off
	v_or_b32_e32 v1, 0x100, v0
.LBB442_5:
	s_or_b64 exec, exec, s[0:1]
	v_cmp_gt_i32_e64 s[0:1], s14, v1
	s_and_saveexec_b64 s[2:3], s[0:1]
	s_cbranch_execz .LBB442_7
; %bb.6:
	v_add_u32_e32 v4, s6, v1
	v_mov_b32_e32 v5, 0
	v_lshl_add_u64 v[4:5], v[4:5], 3, s[12:13]
	global_load_dwordx2 v[4:5], v[4:5], off
	v_add_u32_e32 v1, 0x100, v1
.LBB442_7:
	s_or_b64 exec, exec, s[2:3]
	v_cmp_gt_i32_e64 s[0:1], s14, v1
	v_mov_b64_e32 v[8:9], 0
	v_mov_b64_e32 v[10:11], 0
	s_and_saveexec_b64 s[2:3], s[0:1]
	s_cbranch_execz .LBB442_9
; %bb.8:
	v_add_u32_e32 v10, s6, v1
	v_mov_b32_e32 v11, 0
	v_lshl_add_u64 v[10:11], v[10:11], 3, s[12:13]
	global_load_dwordx2 v[10:11], v[10:11], off
	v_add_u32_e32 v1, 0x100, v1
.LBB442_9:
	s_or_b64 exec, exec, s[2:3]
	v_cmp_gt_i32_e64 s[0:1], s14, v1
	s_and_saveexec_b64 s[2:3], s[0:1]
	s_cbranch_execz .LBB442_11
; %bb.10:
	v_add_u32_e32 v8, s6, v1
	v_mov_b32_e32 v9, 0
	v_lshl_add_u64 v[8:9], v[8:9], 3, s[12:13]
	global_load_dwordx2 v[8:9], v[8:9], off
.LBB442_11:
	s_or_b64 exec, exec, s[2:3]
	v_mov_b32_e32 v3, s8
	s_waitcnt vmcnt(0)
	v_cmp_gt_i64_e64 s[0:1], s[8:9], v[6:7]
	v_mov_b32_e32 v16, s9
	s_nop 0
	v_cndmask_b32_e64 v1, v3, v6, s[0:1]
	v_cndmask_b32_e64 v6, v16, v7, s[0:1]
	v_cndmask_b32_e32 v14, 0, v1, vcc
	v_or_b32_e32 v1, 0x100, v0
	v_cmp_gt_i64_e64 s[0:1], s[8:9], v[4:5]
	v_cndmask_b32_e32 v15, 0, v6, vcc
	s_nop 0
	v_cndmask_b32_e64 v4, v3, v4, s[0:1]
	v_cndmask_b32_e64 v5, v16, v5, s[0:1]
	v_cmp_gt_i32_e64 s[0:1], s14, v1
	s_nop 1
	v_cndmask_b32_e64 v13, 0, v5, s[0:1]
	v_cndmask_b32_e64 v12, 0, v4, s[0:1]
	v_or_b32_e32 v4, 0x200, v0
	v_cmp_gt_i64_e64 s[0:1], s[8:9], v[10:11]
	s_nop 1
	v_cndmask_b32_e64 v5, v3, v10, s[0:1]
	v_cndmask_b32_e64 v6, v16, v11, s[0:1]
	v_cmp_gt_i32_e64 s[0:1], s14, v4
	v_or_b32_e32 v4, 0x300, v0
	s_nop 0
	v_cndmask_b32_e64 v7, 0, v6, s[0:1]
	v_cndmask_b32_e64 v6, 0, v5, s[0:1]
	v_cmp_gt_i64_e64 s[0:1], s[8:9], v[8:9]
	s_nop 1
	v_cndmask_b32_e64 v3, v3, v8, s[0:1]
	v_cndmask_b32_e64 v5, v16, v9, s[0:1]
	v_cmp_gt_i32_e64 s[0:1], s14, v4
	s_nop 1
	v_cndmask_b32_e64 v5, 0, v5, s[0:1]
	v_cndmask_b32_e64 v4, 0, v3, s[0:1]
	s_and_saveexec_b64 s[0:1], vcc
	s_cbranch_execnz .LBB442_17
; %bb.12:
	s_or_b64 exec, exec, s[0:1]
	v_cmp_gt_i32_e32 vcc, s14, v0
	s_and_saveexec_b64 s[0:1], vcc
	s_cbranch_execnz .LBB442_18
.LBB442_13:
	s_or_b64 exec, exec, s[0:1]
	v_cmp_gt_i32_e32 vcc, s14, v0
	s_and_saveexec_b64 s[0:1], vcc
	s_cbranch_execnz .LBB442_19
.LBB442_14:
	s_or_b64 exec, exec, s[0:1]
	v_cmp_gt_i32_e32 vcc, s14, v0
	s_and_saveexec_b64 s[0:1], vcc
	s_cbranch_execz .LBB442_16
.LBB442_15:
	v_add_u32_e32 v0, s6, v0
	v_mov_b32_e32 v1, 0
	v_lshl_add_u64 v[0:1], v[0:1], 3, s[10:11]
	global_store_dwordx2 v[0:1], v[4:5], off
.LBB442_16:
	s_endpgm
.LBB442_17:
	v_mov_b32_e32 v3, 0
	v_lshl_add_u64 v[2:3], v[2:3], 3, s[10:11]
	v_mov_b32_e32 v0, v1
	global_store_dwordx2 v[2:3], v[14:15], off
	s_or_b64 exec, exec, s[0:1]
	v_cmp_gt_i32_e32 vcc, s14, v0
	s_and_saveexec_b64 s[0:1], vcc
	s_cbranch_execz .LBB442_13
.LBB442_18:
	v_add_u32_e32 v2, s6, v0
	v_mov_b32_e32 v3, 0
	v_lshl_add_u64 v[2:3], v[2:3], 3, s[10:11]
	v_add_u32_e32 v0, 0x100, v0
	global_store_dwordx2 v[2:3], v[12:13], off
	s_or_b64 exec, exec, s[0:1]
	v_cmp_gt_i32_e32 vcc, s14, v0
	s_and_saveexec_b64 s[0:1], vcc
	s_cbranch_execz .LBB442_14
.LBB442_19:
	v_add_u32_e32 v2, s6, v0
	v_mov_b32_e32 v3, 0
	v_lshl_add_u64 v[2:3], v[2:3], 3, s[10:11]
	v_add_u32_e32 v0, 0x100, v0
	global_store_dwordx2 v[2:3], v[6:7], off
	s_or_b64 exec, exec, s[0:1]
	v_cmp_gt_i32_e32 vcc, s14, v0
	s_and_saveexec_b64 s[0:1], vcc
	s_cbranch_execnz .LBB442_15
	s_branch .LBB442_16
	.section	.rodata,"a",@progbits
	.p2align	6, 0x0
	.amdhsa_kernel _ZN2at6native29vectorized_elementwise_kernelILi16EZZZNS0_21clamp_max_kernel_cudaERNS_18TensorIteratorBaseERKN3c106ScalarEENKUlvE_clEvENKUlvE2_clEvEUllE_St5arrayIPcLm2EEEEviT0_T1_
		.amdhsa_group_segment_fixed_size 0
		.amdhsa_private_segment_fixed_size 0
		.amdhsa_kernarg_size 32
		.amdhsa_user_sgpr_count 2
		.amdhsa_user_sgpr_dispatch_ptr 0
		.amdhsa_user_sgpr_queue_ptr 0
		.amdhsa_user_sgpr_kernarg_segment_ptr 1
		.amdhsa_user_sgpr_dispatch_id 0
		.amdhsa_user_sgpr_kernarg_preload_length 0
		.amdhsa_user_sgpr_kernarg_preload_offset 0
		.amdhsa_user_sgpr_private_segment_size 0
		.amdhsa_uses_dynamic_stack 0
		.amdhsa_enable_private_segment 0
		.amdhsa_system_sgpr_workgroup_id_x 1
		.amdhsa_system_sgpr_workgroup_id_y 0
		.amdhsa_system_sgpr_workgroup_id_z 0
		.amdhsa_system_sgpr_workgroup_info 0
		.amdhsa_system_vgpr_workitem_id 0
		.amdhsa_next_free_vgpr 17
		.amdhsa_next_free_sgpr 18
		.amdhsa_accum_offset 20
		.amdhsa_reserve_vcc 1
		.amdhsa_float_round_mode_32 0
		.amdhsa_float_round_mode_16_64 0
		.amdhsa_float_denorm_mode_32 3
		.amdhsa_float_denorm_mode_16_64 3
		.amdhsa_dx10_clamp 1
		.amdhsa_ieee_mode 1
		.amdhsa_fp16_overflow 0
		.amdhsa_tg_split 0
		.amdhsa_exception_fp_ieee_invalid_op 0
		.amdhsa_exception_fp_denorm_src 0
		.amdhsa_exception_fp_ieee_div_zero 0
		.amdhsa_exception_fp_ieee_overflow 0
		.amdhsa_exception_fp_ieee_underflow 0
		.amdhsa_exception_fp_ieee_inexact 0
		.amdhsa_exception_int_div_zero 0
	.end_amdhsa_kernel
	.section	.text._ZN2at6native29vectorized_elementwise_kernelILi16EZZZNS0_21clamp_max_kernel_cudaERNS_18TensorIteratorBaseERKN3c106ScalarEENKUlvE_clEvENKUlvE2_clEvEUllE_St5arrayIPcLm2EEEEviT0_T1_,"axG",@progbits,_ZN2at6native29vectorized_elementwise_kernelILi16EZZZNS0_21clamp_max_kernel_cudaERNS_18TensorIteratorBaseERKN3c106ScalarEENKUlvE_clEvENKUlvE2_clEvEUllE_St5arrayIPcLm2EEEEviT0_T1_,comdat
.Lfunc_end442:
	.size	_ZN2at6native29vectorized_elementwise_kernelILi16EZZZNS0_21clamp_max_kernel_cudaERNS_18TensorIteratorBaseERKN3c106ScalarEENKUlvE_clEvENKUlvE2_clEvEUllE_St5arrayIPcLm2EEEEviT0_T1_, .Lfunc_end442-_ZN2at6native29vectorized_elementwise_kernelILi16EZZZNS0_21clamp_max_kernel_cudaERNS_18TensorIteratorBaseERKN3c106ScalarEENKUlvE_clEvENKUlvE2_clEvEUllE_St5arrayIPcLm2EEEEviT0_T1_
                                        ; -- End function
	.set _ZN2at6native29vectorized_elementwise_kernelILi16EZZZNS0_21clamp_max_kernel_cudaERNS_18TensorIteratorBaseERKN3c106ScalarEENKUlvE_clEvENKUlvE2_clEvEUllE_St5arrayIPcLm2EEEEviT0_T1_.num_vgpr, 17
	.set _ZN2at6native29vectorized_elementwise_kernelILi16EZZZNS0_21clamp_max_kernel_cudaERNS_18TensorIteratorBaseERKN3c106ScalarEENKUlvE_clEvENKUlvE2_clEvEUllE_St5arrayIPcLm2EEEEviT0_T1_.num_agpr, 0
	.set _ZN2at6native29vectorized_elementwise_kernelILi16EZZZNS0_21clamp_max_kernel_cudaERNS_18TensorIteratorBaseERKN3c106ScalarEENKUlvE_clEvENKUlvE2_clEvEUllE_St5arrayIPcLm2EEEEviT0_T1_.numbered_sgpr, 18
	.set _ZN2at6native29vectorized_elementwise_kernelILi16EZZZNS0_21clamp_max_kernel_cudaERNS_18TensorIteratorBaseERKN3c106ScalarEENKUlvE_clEvENKUlvE2_clEvEUllE_St5arrayIPcLm2EEEEviT0_T1_.num_named_barrier, 0
	.set _ZN2at6native29vectorized_elementwise_kernelILi16EZZZNS0_21clamp_max_kernel_cudaERNS_18TensorIteratorBaseERKN3c106ScalarEENKUlvE_clEvENKUlvE2_clEvEUllE_St5arrayIPcLm2EEEEviT0_T1_.private_seg_size, 0
	.set _ZN2at6native29vectorized_elementwise_kernelILi16EZZZNS0_21clamp_max_kernel_cudaERNS_18TensorIteratorBaseERKN3c106ScalarEENKUlvE_clEvENKUlvE2_clEvEUllE_St5arrayIPcLm2EEEEviT0_T1_.uses_vcc, 1
	.set _ZN2at6native29vectorized_elementwise_kernelILi16EZZZNS0_21clamp_max_kernel_cudaERNS_18TensorIteratorBaseERKN3c106ScalarEENKUlvE_clEvENKUlvE2_clEvEUllE_St5arrayIPcLm2EEEEviT0_T1_.uses_flat_scratch, 0
	.set _ZN2at6native29vectorized_elementwise_kernelILi16EZZZNS0_21clamp_max_kernel_cudaERNS_18TensorIteratorBaseERKN3c106ScalarEENKUlvE_clEvENKUlvE2_clEvEUllE_St5arrayIPcLm2EEEEviT0_T1_.has_dyn_sized_stack, 0
	.set _ZN2at6native29vectorized_elementwise_kernelILi16EZZZNS0_21clamp_max_kernel_cudaERNS_18TensorIteratorBaseERKN3c106ScalarEENKUlvE_clEvENKUlvE2_clEvEUllE_St5arrayIPcLm2EEEEviT0_T1_.has_recursion, 0
	.set _ZN2at6native29vectorized_elementwise_kernelILi16EZZZNS0_21clamp_max_kernel_cudaERNS_18TensorIteratorBaseERKN3c106ScalarEENKUlvE_clEvENKUlvE2_clEvEUllE_St5arrayIPcLm2EEEEviT0_T1_.has_indirect_call, 0
	.section	.AMDGPU.csdata,"",@progbits
; Kernel info:
; codeLenInByte = 904
; TotalNumSgprs: 24
; NumVgprs: 17
; NumAgprs: 0
; TotalNumVgprs: 17
; ScratchSize: 0
; MemoryBound: 0
; FloatMode: 240
; IeeeMode: 1
; LDSByteSize: 0 bytes/workgroup (compile time only)
; SGPRBlocks: 2
; VGPRBlocks: 2
; NumSGPRsForWavesPerEU: 24
; NumVGPRsForWavesPerEU: 17
; AccumOffset: 20
; Occupancy: 8
; WaveLimiterHint : 0
; COMPUTE_PGM_RSRC2:SCRATCH_EN: 0
; COMPUTE_PGM_RSRC2:USER_SGPR: 2
; COMPUTE_PGM_RSRC2:TRAP_HANDLER: 0
; COMPUTE_PGM_RSRC2:TGID_X_EN: 1
; COMPUTE_PGM_RSRC2:TGID_Y_EN: 0
; COMPUTE_PGM_RSRC2:TGID_Z_EN: 0
; COMPUTE_PGM_RSRC2:TIDIG_COMP_CNT: 0
; COMPUTE_PGM_RSRC3_GFX90A:ACCUM_OFFSET: 4
; COMPUTE_PGM_RSRC3_GFX90A:TG_SPLIT: 0
	.section	.text._ZN2at6native29vectorized_elementwise_kernelILi8EZZZNS0_21clamp_max_kernel_cudaERNS_18TensorIteratorBaseERKN3c106ScalarEENKUlvE_clEvENKUlvE2_clEvEUllE_St5arrayIPcLm2EEEEviT0_T1_,"axG",@progbits,_ZN2at6native29vectorized_elementwise_kernelILi8EZZZNS0_21clamp_max_kernel_cudaERNS_18TensorIteratorBaseERKN3c106ScalarEENKUlvE_clEvENKUlvE2_clEvEUllE_St5arrayIPcLm2EEEEviT0_T1_,comdat
	.globl	_ZN2at6native29vectorized_elementwise_kernelILi8EZZZNS0_21clamp_max_kernel_cudaERNS_18TensorIteratorBaseERKN3c106ScalarEENKUlvE_clEvENKUlvE2_clEvEUllE_St5arrayIPcLm2EEEEviT0_T1_ ; -- Begin function _ZN2at6native29vectorized_elementwise_kernelILi8EZZZNS0_21clamp_max_kernel_cudaERNS_18TensorIteratorBaseERKN3c106ScalarEENKUlvE_clEvENKUlvE2_clEvEUllE_St5arrayIPcLm2EEEEviT0_T1_
	.p2align	8
	.type	_ZN2at6native29vectorized_elementwise_kernelILi8EZZZNS0_21clamp_max_kernel_cudaERNS_18TensorIteratorBaseERKN3c106ScalarEENKUlvE_clEvENKUlvE2_clEvEUllE_St5arrayIPcLm2EEEEviT0_T1_,@function
_ZN2at6native29vectorized_elementwise_kernelILi8EZZZNS0_21clamp_max_kernel_cudaERNS_18TensorIteratorBaseERKN3c106ScalarEENKUlvE_clEvENKUlvE2_clEvEUllE_St5arrayIPcLm2EEEEviT0_T1_: ; @_ZN2at6native29vectorized_elementwise_kernelILi8EZZZNS0_21clamp_max_kernel_cudaERNS_18TensorIteratorBaseERKN3c106ScalarEENKUlvE_clEvENKUlvE2_clEvEUllE_St5arrayIPcLm2EEEEviT0_T1_
; %bb.0:
	s_load_dword s3, s[0:1], 0x0
	s_load_dwordx4 s[8:11], s[0:1], 0x8
	s_load_dwordx2 s[12:13], s[0:1], 0x18
	s_lshl_b32 s6, s2, 10
	s_mov_b64 s[0:1], -1
	s_waitcnt lgkmcnt(0)
	s_sub_i32 s14, s3, s6
	s_cmpk_gt_i32 s14, 0x3ff
	s_cbranch_scc0 .LBB443_2
; %bb.1:
	s_ashr_i32 s7, s6, 31
	s_lshl_b64 s[0:1], s[6:7], 3
	s_add_u32 s2, s12, s0
	s_addc_u32 s3, s13, s1
	v_lshlrev_b32_e32 v1, 5, v0
	global_load_dwordx4 v[2:5], v1, s[2:3]
	global_load_dwordx4 v[6:9], v1, s[2:3] offset:16
	s_add_u32 s16, s10, s0
	v_mov_b32_e32 v10, s9
	v_mov_b32_e32 v11, s8
	s_addc_u32 s17, s11, s1
	s_waitcnt vmcnt(1)
	v_cmp_gt_i64_e32 vcc, s[8:9], v[2:3]
	v_cmp_gt_i64_e64 s[0:1], s[8:9], v[4:5]
	s_nop 0
	v_cndmask_b32_e32 v3, v10, v3, vcc
	s_waitcnt vmcnt(0)
	v_cmp_gt_i64_e64 s[2:3], s[8:9], v[6:7]
	v_cndmask_b32_e64 v5, v10, v5, s[0:1]
	v_cmp_gt_i64_e64 s[4:5], s[8:9], v[8:9]
	v_cndmask_b32_e32 v2, v11, v2, vcc
	v_cndmask_b32_e64 v4, v11, v4, s[0:1]
	v_cndmask_b32_e64 v7, v10, v7, s[2:3]
	;; [unrolled: 1-line block ×5, first 2 shown]
	global_store_dwordx4 v1, v[2:5], s[16:17]
	global_store_dwordx4 v1, v[6:9], s[16:17] offset:16
	s_mov_b64 s[0:1], 0
.LBB443_2:
	s_andn2_b64 vcc, exec, s[0:1]
	s_cbranch_vccnz .LBB443_16
; %bb.3:
	v_cmp_gt_i32_e32 vcc, s14, v0
	v_mov_b64_e32 v[4:5], 0
	v_or_b32_e32 v2, s6, v0
	v_mov_b64_e32 v[6:7], 0
	v_mov_b32_e32 v1, v0
	s_and_saveexec_b64 s[0:1], vcc
	s_cbranch_execz .LBB443_5
; %bb.4:
	v_mov_b32_e32 v3, 0
	v_lshl_add_u64 v[6:7], v[2:3], 3, s[12:13]
	global_load_dwordx2 v[6:7], v[6:7], off
	v_or_b32_e32 v1, 0x100, v0
.LBB443_5:
	s_or_b64 exec, exec, s[0:1]
	v_cmp_gt_i32_e64 s[0:1], s14, v1
	s_and_saveexec_b64 s[2:3], s[0:1]
	s_cbranch_execz .LBB443_7
; %bb.6:
	v_add_u32_e32 v4, s6, v1
	v_mov_b32_e32 v5, 0
	v_lshl_add_u64 v[4:5], v[4:5], 3, s[12:13]
	global_load_dwordx2 v[4:5], v[4:5], off
	v_add_u32_e32 v1, 0x100, v1
.LBB443_7:
	s_or_b64 exec, exec, s[2:3]
	v_cmp_gt_i32_e64 s[0:1], s14, v1
	v_mov_b64_e32 v[8:9], 0
	v_mov_b64_e32 v[10:11], 0
	s_and_saveexec_b64 s[2:3], s[0:1]
	s_cbranch_execz .LBB443_9
; %bb.8:
	v_add_u32_e32 v10, s6, v1
	v_mov_b32_e32 v11, 0
	v_lshl_add_u64 v[10:11], v[10:11], 3, s[12:13]
	global_load_dwordx2 v[10:11], v[10:11], off
	v_add_u32_e32 v1, 0x100, v1
.LBB443_9:
	s_or_b64 exec, exec, s[2:3]
	v_cmp_gt_i32_e64 s[0:1], s14, v1
	s_and_saveexec_b64 s[2:3], s[0:1]
	s_cbranch_execz .LBB443_11
; %bb.10:
	v_add_u32_e32 v8, s6, v1
	v_mov_b32_e32 v9, 0
	v_lshl_add_u64 v[8:9], v[8:9], 3, s[12:13]
	global_load_dwordx2 v[8:9], v[8:9], off
.LBB443_11:
	s_or_b64 exec, exec, s[2:3]
	v_mov_b32_e32 v3, s8
	s_waitcnt vmcnt(0)
	v_cmp_gt_i64_e64 s[0:1], s[8:9], v[6:7]
	v_mov_b32_e32 v16, s9
	s_nop 0
	v_cndmask_b32_e64 v1, v3, v6, s[0:1]
	v_cndmask_b32_e64 v6, v16, v7, s[0:1]
	v_cndmask_b32_e32 v14, 0, v1, vcc
	v_or_b32_e32 v1, 0x100, v0
	v_cmp_gt_i64_e64 s[0:1], s[8:9], v[4:5]
	v_cndmask_b32_e32 v15, 0, v6, vcc
	s_nop 0
	v_cndmask_b32_e64 v4, v3, v4, s[0:1]
	v_cndmask_b32_e64 v5, v16, v5, s[0:1]
	v_cmp_gt_i32_e64 s[0:1], s14, v1
	s_nop 1
	v_cndmask_b32_e64 v13, 0, v5, s[0:1]
	v_cndmask_b32_e64 v12, 0, v4, s[0:1]
	v_or_b32_e32 v4, 0x200, v0
	v_cmp_gt_i64_e64 s[0:1], s[8:9], v[10:11]
	s_nop 1
	v_cndmask_b32_e64 v5, v3, v10, s[0:1]
	v_cndmask_b32_e64 v6, v16, v11, s[0:1]
	v_cmp_gt_i32_e64 s[0:1], s14, v4
	v_or_b32_e32 v4, 0x300, v0
	s_nop 0
	v_cndmask_b32_e64 v7, 0, v6, s[0:1]
	v_cndmask_b32_e64 v6, 0, v5, s[0:1]
	v_cmp_gt_i64_e64 s[0:1], s[8:9], v[8:9]
	s_nop 1
	v_cndmask_b32_e64 v3, v3, v8, s[0:1]
	v_cndmask_b32_e64 v5, v16, v9, s[0:1]
	v_cmp_gt_i32_e64 s[0:1], s14, v4
	s_nop 1
	v_cndmask_b32_e64 v5, 0, v5, s[0:1]
	v_cndmask_b32_e64 v4, 0, v3, s[0:1]
	s_and_saveexec_b64 s[0:1], vcc
	s_cbranch_execnz .LBB443_17
; %bb.12:
	s_or_b64 exec, exec, s[0:1]
	v_cmp_gt_i32_e32 vcc, s14, v0
	s_and_saveexec_b64 s[0:1], vcc
	s_cbranch_execnz .LBB443_18
.LBB443_13:
	s_or_b64 exec, exec, s[0:1]
	v_cmp_gt_i32_e32 vcc, s14, v0
	s_and_saveexec_b64 s[0:1], vcc
	s_cbranch_execnz .LBB443_19
.LBB443_14:
	s_or_b64 exec, exec, s[0:1]
	v_cmp_gt_i32_e32 vcc, s14, v0
	s_and_saveexec_b64 s[0:1], vcc
	s_cbranch_execz .LBB443_16
.LBB443_15:
	v_add_u32_e32 v0, s6, v0
	v_mov_b32_e32 v1, 0
	v_lshl_add_u64 v[0:1], v[0:1], 3, s[10:11]
	global_store_dwordx2 v[0:1], v[4:5], off
.LBB443_16:
	s_endpgm
.LBB443_17:
	v_mov_b32_e32 v3, 0
	v_lshl_add_u64 v[2:3], v[2:3], 3, s[10:11]
	v_mov_b32_e32 v0, v1
	global_store_dwordx2 v[2:3], v[14:15], off
	s_or_b64 exec, exec, s[0:1]
	v_cmp_gt_i32_e32 vcc, s14, v0
	s_and_saveexec_b64 s[0:1], vcc
	s_cbranch_execz .LBB443_13
.LBB443_18:
	v_add_u32_e32 v2, s6, v0
	v_mov_b32_e32 v3, 0
	v_lshl_add_u64 v[2:3], v[2:3], 3, s[10:11]
	v_add_u32_e32 v0, 0x100, v0
	global_store_dwordx2 v[2:3], v[12:13], off
	s_or_b64 exec, exec, s[0:1]
	v_cmp_gt_i32_e32 vcc, s14, v0
	s_and_saveexec_b64 s[0:1], vcc
	s_cbranch_execz .LBB443_14
.LBB443_19:
	v_add_u32_e32 v2, s6, v0
	v_mov_b32_e32 v3, 0
	v_lshl_add_u64 v[2:3], v[2:3], 3, s[10:11]
	v_add_u32_e32 v0, 0x100, v0
	global_store_dwordx2 v[2:3], v[6:7], off
	s_or_b64 exec, exec, s[0:1]
	v_cmp_gt_i32_e32 vcc, s14, v0
	s_and_saveexec_b64 s[0:1], vcc
	s_cbranch_execnz .LBB443_15
	s_branch .LBB443_16
	.section	.rodata,"a",@progbits
	.p2align	6, 0x0
	.amdhsa_kernel _ZN2at6native29vectorized_elementwise_kernelILi8EZZZNS0_21clamp_max_kernel_cudaERNS_18TensorIteratorBaseERKN3c106ScalarEENKUlvE_clEvENKUlvE2_clEvEUllE_St5arrayIPcLm2EEEEviT0_T1_
		.amdhsa_group_segment_fixed_size 0
		.amdhsa_private_segment_fixed_size 0
		.amdhsa_kernarg_size 32
		.amdhsa_user_sgpr_count 2
		.amdhsa_user_sgpr_dispatch_ptr 0
		.amdhsa_user_sgpr_queue_ptr 0
		.amdhsa_user_sgpr_kernarg_segment_ptr 1
		.amdhsa_user_sgpr_dispatch_id 0
		.amdhsa_user_sgpr_kernarg_preload_length 0
		.amdhsa_user_sgpr_kernarg_preload_offset 0
		.amdhsa_user_sgpr_private_segment_size 0
		.amdhsa_uses_dynamic_stack 0
		.amdhsa_enable_private_segment 0
		.amdhsa_system_sgpr_workgroup_id_x 1
		.amdhsa_system_sgpr_workgroup_id_y 0
		.amdhsa_system_sgpr_workgroup_id_z 0
		.amdhsa_system_sgpr_workgroup_info 0
		.amdhsa_system_vgpr_workitem_id 0
		.amdhsa_next_free_vgpr 17
		.amdhsa_next_free_sgpr 18
		.amdhsa_accum_offset 20
		.amdhsa_reserve_vcc 1
		.amdhsa_float_round_mode_32 0
		.amdhsa_float_round_mode_16_64 0
		.amdhsa_float_denorm_mode_32 3
		.amdhsa_float_denorm_mode_16_64 3
		.amdhsa_dx10_clamp 1
		.amdhsa_ieee_mode 1
		.amdhsa_fp16_overflow 0
		.amdhsa_tg_split 0
		.amdhsa_exception_fp_ieee_invalid_op 0
		.amdhsa_exception_fp_denorm_src 0
		.amdhsa_exception_fp_ieee_div_zero 0
		.amdhsa_exception_fp_ieee_overflow 0
		.amdhsa_exception_fp_ieee_underflow 0
		.amdhsa_exception_fp_ieee_inexact 0
		.amdhsa_exception_int_div_zero 0
	.end_amdhsa_kernel
	.section	.text._ZN2at6native29vectorized_elementwise_kernelILi8EZZZNS0_21clamp_max_kernel_cudaERNS_18TensorIteratorBaseERKN3c106ScalarEENKUlvE_clEvENKUlvE2_clEvEUllE_St5arrayIPcLm2EEEEviT0_T1_,"axG",@progbits,_ZN2at6native29vectorized_elementwise_kernelILi8EZZZNS0_21clamp_max_kernel_cudaERNS_18TensorIteratorBaseERKN3c106ScalarEENKUlvE_clEvENKUlvE2_clEvEUllE_St5arrayIPcLm2EEEEviT0_T1_,comdat
.Lfunc_end443:
	.size	_ZN2at6native29vectorized_elementwise_kernelILi8EZZZNS0_21clamp_max_kernel_cudaERNS_18TensorIteratorBaseERKN3c106ScalarEENKUlvE_clEvENKUlvE2_clEvEUllE_St5arrayIPcLm2EEEEviT0_T1_, .Lfunc_end443-_ZN2at6native29vectorized_elementwise_kernelILi8EZZZNS0_21clamp_max_kernel_cudaERNS_18TensorIteratorBaseERKN3c106ScalarEENKUlvE_clEvENKUlvE2_clEvEUllE_St5arrayIPcLm2EEEEviT0_T1_
                                        ; -- End function
	.set _ZN2at6native29vectorized_elementwise_kernelILi8EZZZNS0_21clamp_max_kernel_cudaERNS_18TensorIteratorBaseERKN3c106ScalarEENKUlvE_clEvENKUlvE2_clEvEUllE_St5arrayIPcLm2EEEEviT0_T1_.num_vgpr, 17
	.set _ZN2at6native29vectorized_elementwise_kernelILi8EZZZNS0_21clamp_max_kernel_cudaERNS_18TensorIteratorBaseERKN3c106ScalarEENKUlvE_clEvENKUlvE2_clEvEUllE_St5arrayIPcLm2EEEEviT0_T1_.num_agpr, 0
	.set _ZN2at6native29vectorized_elementwise_kernelILi8EZZZNS0_21clamp_max_kernel_cudaERNS_18TensorIteratorBaseERKN3c106ScalarEENKUlvE_clEvENKUlvE2_clEvEUllE_St5arrayIPcLm2EEEEviT0_T1_.numbered_sgpr, 18
	.set _ZN2at6native29vectorized_elementwise_kernelILi8EZZZNS0_21clamp_max_kernel_cudaERNS_18TensorIteratorBaseERKN3c106ScalarEENKUlvE_clEvENKUlvE2_clEvEUllE_St5arrayIPcLm2EEEEviT0_T1_.num_named_barrier, 0
	.set _ZN2at6native29vectorized_elementwise_kernelILi8EZZZNS0_21clamp_max_kernel_cudaERNS_18TensorIteratorBaseERKN3c106ScalarEENKUlvE_clEvENKUlvE2_clEvEUllE_St5arrayIPcLm2EEEEviT0_T1_.private_seg_size, 0
	.set _ZN2at6native29vectorized_elementwise_kernelILi8EZZZNS0_21clamp_max_kernel_cudaERNS_18TensorIteratorBaseERKN3c106ScalarEENKUlvE_clEvENKUlvE2_clEvEUllE_St5arrayIPcLm2EEEEviT0_T1_.uses_vcc, 1
	.set _ZN2at6native29vectorized_elementwise_kernelILi8EZZZNS0_21clamp_max_kernel_cudaERNS_18TensorIteratorBaseERKN3c106ScalarEENKUlvE_clEvENKUlvE2_clEvEUllE_St5arrayIPcLm2EEEEviT0_T1_.uses_flat_scratch, 0
	.set _ZN2at6native29vectorized_elementwise_kernelILi8EZZZNS0_21clamp_max_kernel_cudaERNS_18TensorIteratorBaseERKN3c106ScalarEENKUlvE_clEvENKUlvE2_clEvEUllE_St5arrayIPcLm2EEEEviT0_T1_.has_dyn_sized_stack, 0
	.set _ZN2at6native29vectorized_elementwise_kernelILi8EZZZNS0_21clamp_max_kernel_cudaERNS_18TensorIteratorBaseERKN3c106ScalarEENKUlvE_clEvENKUlvE2_clEvEUllE_St5arrayIPcLm2EEEEviT0_T1_.has_recursion, 0
	.set _ZN2at6native29vectorized_elementwise_kernelILi8EZZZNS0_21clamp_max_kernel_cudaERNS_18TensorIteratorBaseERKN3c106ScalarEENKUlvE_clEvENKUlvE2_clEvEUllE_St5arrayIPcLm2EEEEviT0_T1_.has_indirect_call, 0
	.section	.AMDGPU.csdata,"",@progbits
; Kernel info:
; codeLenInByte = 904
; TotalNumSgprs: 24
; NumVgprs: 17
; NumAgprs: 0
; TotalNumVgprs: 17
; ScratchSize: 0
; MemoryBound: 0
; FloatMode: 240
; IeeeMode: 1
; LDSByteSize: 0 bytes/workgroup (compile time only)
; SGPRBlocks: 2
; VGPRBlocks: 2
; NumSGPRsForWavesPerEU: 24
; NumVGPRsForWavesPerEU: 17
; AccumOffset: 20
; Occupancy: 8
; WaveLimiterHint : 0
; COMPUTE_PGM_RSRC2:SCRATCH_EN: 0
; COMPUTE_PGM_RSRC2:USER_SGPR: 2
; COMPUTE_PGM_RSRC2:TRAP_HANDLER: 0
; COMPUTE_PGM_RSRC2:TGID_X_EN: 1
; COMPUTE_PGM_RSRC2:TGID_Y_EN: 0
; COMPUTE_PGM_RSRC2:TGID_Z_EN: 0
; COMPUTE_PGM_RSRC2:TIDIG_COMP_CNT: 0
; COMPUTE_PGM_RSRC3_GFX90A:ACCUM_OFFSET: 4
; COMPUTE_PGM_RSRC3_GFX90A:TG_SPLIT: 0
	.section	.text._ZN2at6native29vectorized_elementwise_kernelILi4EZZZNS0_21clamp_max_kernel_cudaERNS_18TensorIteratorBaseERKN3c106ScalarEENKUlvE_clEvENKUlvE2_clEvEUllE_St5arrayIPcLm2EEEEviT0_T1_,"axG",@progbits,_ZN2at6native29vectorized_elementwise_kernelILi4EZZZNS0_21clamp_max_kernel_cudaERNS_18TensorIteratorBaseERKN3c106ScalarEENKUlvE_clEvENKUlvE2_clEvEUllE_St5arrayIPcLm2EEEEviT0_T1_,comdat
	.globl	_ZN2at6native29vectorized_elementwise_kernelILi4EZZZNS0_21clamp_max_kernel_cudaERNS_18TensorIteratorBaseERKN3c106ScalarEENKUlvE_clEvENKUlvE2_clEvEUllE_St5arrayIPcLm2EEEEviT0_T1_ ; -- Begin function _ZN2at6native29vectorized_elementwise_kernelILi4EZZZNS0_21clamp_max_kernel_cudaERNS_18TensorIteratorBaseERKN3c106ScalarEENKUlvE_clEvENKUlvE2_clEvEUllE_St5arrayIPcLm2EEEEviT0_T1_
	.p2align	8
	.type	_ZN2at6native29vectorized_elementwise_kernelILi4EZZZNS0_21clamp_max_kernel_cudaERNS_18TensorIteratorBaseERKN3c106ScalarEENKUlvE_clEvENKUlvE2_clEvEUllE_St5arrayIPcLm2EEEEviT0_T1_,@function
_ZN2at6native29vectorized_elementwise_kernelILi4EZZZNS0_21clamp_max_kernel_cudaERNS_18TensorIteratorBaseERKN3c106ScalarEENKUlvE_clEvENKUlvE2_clEvEUllE_St5arrayIPcLm2EEEEviT0_T1_: ; @_ZN2at6native29vectorized_elementwise_kernelILi4EZZZNS0_21clamp_max_kernel_cudaERNS_18TensorIteratorBaseERKN3c106ScalarEENKUlvE_clEvENKUlvE2_clEvEUllE_St5arrayIPcLm2EEEEviT0_T1_
; %bb.0:
	s_load_dword s3, s[0:1], 0x0
	s_load_dwordx4 s[8:11], s[0:1], 0x8
	s_load_dwordx2 s[12:13], s[0:1], 0x18
	s_lshl_b32 s6, s2, 10
	s_mov_b64 s[0:1], -1
	s_waitcnt lgkmcnt(0)
	s_sub_i32 s14, s3, s6
	s_cmpk_gt_i32 s14, 0x3ff
	s_cbranch_scc0 .LBB444_2
; %bb.1:
	s_ashr_i32 s7, s6, 31
	s_lshl_b64 s[0:1], s[6:7], 3
	s_add_u32 s2, s12, s0
	s_addc_u32 s3, s13, s1
	v_lshlrev_b32_e32 v1, 5, v0
	global_load_dwordx4 v[2:5], v1, s[2:3]
	global_load_dwordx4 v[6:9], v1, s[2:3] offset:16
	s_add_u32 s16, s10, s0
	v_mov_b32_e32 v10, s9
	v_mov_b32_e32 v11, s8
	s_addc_u32 s17, s11, s1
	s_waitcnt vmcnt(1)
	v_cmp_gt_i64_e32 vcc, s[8:9], v[2:3]
	v_cmp_gt_i64_e64 s[0:1], s[8:9], v[4:5]
	s_nop 0
	v_cndmask_b32_e32 v3, v10, v3, vcc
	s_waitcnt vmcnt(0)
	v_cmp_gt_i64_e64 s[2:3], s[8:9], v[6:7]
	v_cndmask_b32_e64 v5, v10, v5, s[0:1]
	v_cmp_gt_i64_e64 s[4:5], s[8:9], v[8:9]
	v_cndmask_b32_e32 v2, v11, v2, vcc
	v_cndmask_b32_e64 v4, v11, v4, s[0:1]
	v_cndmask_b32_e64 v7, v10, v7, s[2:3]
	;; [unrolled: 1-line block ×5, first 2 shown]
	global_store_dwordx4 v1, v[2:5], s[16:17]
	global_store_dwordx4 v1, v[6:9], s[16:17] offset:16
	s_mov_b64 s[0:1], 0
.LBB444_2:
	s_andn2_b64 vcc, exec, s[0:1]
	s_cbranch_vccnz .LBB444_16
; %bb.3:
	v_cmp_gt_i32_e32 vcc, s14, v0
	v_mov_b64_e32 v[4:5], 0
	v_or_b32_e32 v2, s6, v0
	v_mov_b64_e32 v[6:7], 0
	v_mov_b32_e32 v1, v0
	s_and_saveexec_b64 s[0:1], vcc
	s_cbranch_execz .LBB444_5
; %bb.4:
	v_mov_b32_e32 v3, 0
	v_lshl_add_u64 v[6:7], v[2:3], 3, s[12:13]
	global_load_dwordx2 v[6:7], v[6:7], off
	v_or_b32_e32 v1, 0x100, v0
.LBB444_5:
	s_or_b64 exec, exec, s[0:1]
	v_cmp_gt_i32_e64 s[0:1], s14, v1
	s_and_saveexec_b64 s[2:3], s[0:1]
	s_cbranch_execz .LBB444_7
; %bb.6:
	v_add_u32_e32 v4, s6, v1
	v_mov_b32_e32 v5, 0
	v_lshl_add_u64 v[4:5], v[4:5], 3, s[12:13]
	global_load_dwordx2 v[4:5], v[4:5], off
	v_add_u32_e32 v1, 0x100, v1
.LBB444_7:
	s_or_b64 exec, exec, s[2:3]
	v_cmp_gt_i32_e64 s[0:1], s14, v1
	v_mov_b64_e32 v[8:9], 0
	v_mov_b64_e32 v[10:11], 0
	s_and_saveexec_b64 s[2:3], s[0:1]
	s_cbranch_execz .LBB444_9
; %bb.8:
	v_add_u32_e32 v10, s6, v1
	v_mov_b32_e32 v11, 0
	v_lshl_add_u64 v[10:11], v[10:11], 3, s[12:13]
	global_load_dwordx2 v[10:11], v[10:11], off
	v_add_u32_e32 v1, 0x100, v1
.LBB444_9:
	s_or_b64 exec, exec, s[2:3]
	v_cmp_gt_i32_e64 s[0:1], s14, v1
	s_and_saveexec_b64 s[2:3], s[0:1]
	s_cbranch_execz .LBB444_11
; %bb.10:
	v_add_u32_e32 v8, s6, v1
	v_mov_b32_e32 v9, 0
	v_lshl_add_u64 v[8:9], v[8:9], 3, s[12:13]
	global_load_dwordx2 v[8:9], v[8:9], off
.LBB444_11:
	s_or_b64 exec, exec, s[2:3]
	v_mov_b32_e32 v3, s8
	s_waitcnt vmcnt(0)
	v_cmp_gt_i64_e64 s[0:1], s[8:9], v[6:7]
	v_mov_b32_e32 v16, s9
	s_nop 0
	v_cndmask_b32_e64 v1, v3, v6, s[0:1]
	v_cndmask_b32_e64 v6, v16, v7, s[0:1]
	v_cndmask_b32_e32 v14, 0, v1, vcc
	v_or_b32_e32 v1, 0x100, v0
	v_cmp_gt_i64_e64 s[0:1], s[8:9], v[4:5]
	v_cndmask_b32_e32 v15, 0, v6, vcc
	s_nop 0
	v_cndmask_b32_e64 v4, v3, v4, s[0:1]
	v_cndmask_b32_e64 v5, v16, v5, s[0:1]
	v_cmp_gt_i32_e64 s[0:1], s14, v1
	s_nop 1
	v_cndmask_b32_e64 v13, 0, v5, s[0:1]
	v_cndmask_b32_e64 v12, 0, v4, s[0:1]
	v_or_b32_e32 v4, 0x200, v0
	v_cmp_gt_i64_e64 s[0:1], s[8:9], v[10:11]
	s_nop 1
	v_cndmask_b32_e64 v5, v3, v10, s[0:1]
	v_cndmask_b32_e64 v6, v16, v11, s[0:1]
	v_cmp_gt_i32_e64 s[0:1], s14, v4
	v_or_b32_e32 v4, 0x300, v0
	s_nop 0
	v_cndmask_b32_e64 v7, 0, v6, s[0:1]
	v_cndmask_b32_e64 v6, 0, v5, s[0:1]
	v_cmp_gt_i64_e64 s[0:1], s[8:9], v[8:9]
	s_nop 1
	v_cndmask_b32_e64 v3, v3, v8, s[0:1]
	v_cndmask_b32_e64 v5, v16, v9, s[0:1]
	v_cmp_gt_i32_e64 s[0:1], s14, v4
	s_nop 1
	v_cndmask_b32_e64 v5, 0, v5, s[0:1]
	v_cndmask_b32_e64 v4, 0, v3, s[0:1]
	s_and_saveexec_b64 s[0:1], vcc
	s_cbranch_execnz .LBB444_17
; %bb.12:
	s_or_b64 exec, exec, s[0:1]
	v_cmp_gt_i32_e32 vcc, s14, v0
	s_and_saveexec_b64 s[0:1], vcc
	s_cbranch_execnz .LBB444_18
.LBB444_13:
	s_or_b64 exec, exec, s[0:1]
	v_cmp_gt_i32_e32 vcc, s14, v0
	s_and_saveexec_b64 s[0:1], vcc
	s_cbranch_execnz .LBB444_19
.LBB444_14:
	s_or_b64 exec, exec, s[0:1]
	v_cmp_gt_i32_e32 vcc, s14, v0
	s_and_saveexec_b64 s[0:1], vcc
	s_cbranch_execz .LBB444_16
.LBB444_15:
	v_add_u32_e32 v0, s6, v0
	v_mov_b32_e32 v1, 0
	v_lshl_add_u64 v[0:1], v[0:1], 3, s[10:11]
	global_store_dwordx2 v[0:1], v[4:5], off
.LBB444_16:
	s_endpgm
.LBB444_17:
	v_mov_b32_e32 v3, 0
	v_lshl_add_u64 v[2:3], v[2:3], 3, s[10:11]
	v_mov_b32_e32 v0, v1
	global_store_dwordx2 v[2:3], v[14:15], off
	s_or_b64 exec, exec, s[0:1]
	v_cmp_gt_i32_e32 vcc, s14, v0
	s_and_saveexec_b64 s[0:1], vcc
	s_cbranch_execz .LBB444_13
.LBB444_18:
	v_add_u32_e32 v2, s6, v0
	v_mov_b32_e32 v3, 0
	v_lshl_add_u64 v[2:3], v[2:3], 3, s[10:11]
	v_add_u32_e32 v0, 0x100, v0
	global_store_dwordx2 v[2:3], v[12:13], off
	s_or_b64 exec, exec, s[0:1]
	v_cmp_gt_i32_e32 vcc, s14, v0
	s_and_saveexec_b64 s[0:1], vcc
	s_cbranch_execz .LBB444_14
.LBB444_19:
	v_add_u32_e32 v2, s6, v0
	v_mov_b32_e32 v3, 0
	v_lshl_add_u64 v[2:3], v[2:3], 3, s[10:11]
	v_add_u32_e32 v0, 0x100, v0
	global_store_dwordx2 v[2:3], v[6:7], off
	s_or_b64 exec, exec, s[0:1]
	v_cmp_gt_i32_e32 vcc, s14, v0
	s_and_saveexec_b64 s[0:1], vcc
	s_cbranch_execnz .LBB444_15
	s_branch .LBB444_16
	.section	.rodata,"a",@progbits
	.p2align	6, 0x0
	.amdhsa_kernel _ZN2at6native29vectorized_elementwise_kernelILi4EZZZNS0_21clamp_max_kernel_cudaERNS_18TensorIteratorBaseERKN3c106ScalarEENKUlvE_clEvENKUlvE2_clEvEUllE_St5arrayIPcLm2EEEEviT0_T1_
		.amdhsa_group_segment_fixed_size 0
		.amdhsa_private_segment_fixed_size 0
		.amdhsa_kernarg_size 32
		.amdhsa_user_sgpr_count 2
		.amdhsa_user_sgpr_dispatch_ptr 0
		.amdhsa_user_sgpr_queue_ptr 0
		.amdhsa_user_sgpr_kernarg_segment_ptr 1
		.amdhsa_user_sgpr_dispatch_id 0
		.amdhsa_user_sgpr_kernarg_preload_length 0
		.amdhsa_user_sgpr_kernarg_preload_offset 0
		.amdhsa_user_sgpr_private_segment_size 0
		.amdhsa_uses_dynamic_stack 0
		.amdhsa_enable_private_segment 0
		.amdhsa_system_sgpr_workgroup_id_x 1
		.amdhsa_system_sgpr_workgroup_id_y 0
		.amdhsa_system_sgpr_workgroup_id_z 0
		.amdhsa_system_sgpr_workgroup_info 0
		.amdhsa_system_vgpr_workitem_id 0
		.amdhsa_next_free_vgpr 17
		.amdhsa_next_free_sgpr 18
		.amdhsa_accum_offset 20
		.amdhsa_reserve_vcc 1
		.amdhsa_float_round_mode_32 0
		.amdhsa_float_round_mode_16_64 0
		.amdhsa_float_denorm_mode_32 3
		.amdhsa_float_denorm_mode_16_64 3
		.amdhsa_dx10_clamp 1
		.amdhsa_ieee_mode 1
		.amdhsa_fp16_overflow 0
		.amdhsa_tg_split 0
		.amdhsa_exception_fp_ieee_invalid_op 0
		.amdhsa_exception_fp_denorm_src 0
		.amdhsa_exception_fp_ieee_div_zero 0
		.amdhsa_exception_fp_ieee_overflow 0
		.amdhsa_exception_fp_ieee_underflow 0
		.amdhsa_exception_fp_ieee_inexact 0
		.amdhsa_exception_int_div_zero 0
	.end_amdhsa_kernel
	.section	.text._ZN2at6native29vectorized_elementwise_kernelILi4EZZZNS0_21clamp_max_kernel_cudaERNS_18TensorIteratorBaseERKN3c106ScalarEENKUlvE_clEvENKUlvE2_clEvEUllE_St5arrayIPcLm2EEEEviT0_T1_,"axG",@progbits,_ZN2at6native29vectorized_elementwise_kernelILi4EZZZNS0_21clamp_max_kernel_cudaERNS_18TensorIteratorBaseERKN3c106ScalarEENKUlvE_clEvENKUlvE2_clEvEUllE_St5arrayIPcLm2EEEEviT0_T1_,comdat
.Lfunc_end444:
	.size	_ZN2at6native29vectorized_elementwise_kernelILi4EZZZNS0_21clamp_max_kernel_cudaERNS_18TensorIteratorBaseERKN3c106ScalarEENKUlvE_clEvENKUlvE2_clEvEUllE_St5arrayIPcLm2EEEEviT0_T1_, .Lfunc_end444-_ZN2at6native29vectorized_elementwise_kernelILi4EZZZNS0_21clamp_max_kernel_cudaERNS_18TensorIteratorBaseERKN3c106ScalarEENKUlvE_clEvENKUlvE2_clEvEUllE_St5arrayIPcLm2EEEEviT0_T1_
                                        ; -- End function
	.set _ZN2at6native29vectorized_elementwise_kernelILi4EZZZNS0_21clamp_max_kernel_cudaERNS_18TensorIteratorBaseERKN3c106ScalarEENKUlvE_clEvENKUlvE2_clEvEUllE_St5arrayIPcLm2EEEEviT0_T1_.num_vgpr, 17
	.set _ZN2at6native29vectorized_elementwise_kernelILi4EZZZNS0_21clamp_max_kernel_cudaERNS_18TensorIteratorBaseERKN3c106ScalarEENKUlvE_clEvENKUlvE2_clEvEUllE_St5arrayIPcLm2EEEEviT0_T1_.num_agpr, 0
	.set _ZN2at6native29vectorized_elementwise_kernelILi4EZZZNS0_21clamp_max_kernel_cudaERNS_18TensorIteratorBaseERKN3c106ScalarEENKUlvE_clEvENKUlvE2_clEvEUllE_St5arrayIPcLm2EEEEviT0_T1_.numbered_sgpr, 18
	.set _ZN2at6native29vectorized_elementwise_kernelILi4EZZZNS0_21clamp_max_kernel_cudaERNS_18TensorIteratorBaseERKN3c106ScalarEENKUlvE_clEvENKUlvE2_clEvEUllE_St5arrayIPcLm2EEEEviT0_T1_.num_named_barrier, 0
	.set _ZN2at6native29vectorized_elementwise_kernelILi4EZZZNS0_21clamp_max_kernel_cudaERNS_18TensorIteratorBaseERKN3c106ScalarEENKUlvE_clEvENKUlvE2_clEvEUllE_St5arrayIPcLm2EEEEviT0_T1_.private_seg_size, 0
	.set _ZN2at6native29vectorized_elementwise_kernelILi4EZZZNS0_21clamp_max_kernel_cudaERNS_18TensorIteratorBaseERKN3c106ScalarEENKUlvE_clEvENKUlvE2_clEvEUllE_St5arrayIPcLm2EEEEviT0_T1_.uses_vcc, 1
	.set _ZN2at6native29vectorized_elementwise_kernelILi4EZZZNS0_21clamp_max_kernel_cudaERNS_18TensorIteratorBaseERKN3c106ScalarEENKUlvE_clEvENKUlvE2_clEvEUllE_St5arrayIPcLm2EEEEviT0_T1_.uses_flat_scratch, 0
	.set _ZN2at6native29vectorized_elementwise_kernelILi4EZZZNS0_21clamp_max_kernel_cudaERNS_18TensorIteratorBaseERKN3c106ScalarEENKUlvE_clEvENKUlvE2_clEvEUllE_St5arrayIPcLm2EEEEviT0_T1_.has_dyn_sized_stack, 0
	.set _ZN2at6native29vectorized_elementwise_kernelILi4EZZZNS0_21clamp_max_kernel_cudaERNS_18TensorIteratorBaseERKN3c106ScalarEENKUlvE_clEvENKUlvE2_clEvEUllE_St5arrayIPcLm2EEEEviT0_T1_.has_recursion, 0
	.set _ZN2at6native29vectorized_elementwise_kernelILi4EZZZNS0_21clamp_max_kernel_cudaERNS_18TensorIteratorBaseERKN3c106ScalarEENKUlvE_clEvENKUlvE2_clEvEUllE_St5arrayIPcLm2EEEEviT0_T1_.has_indirect_call, 0
	.section	.AMDGPU.csdata,"",@progbits
; Kernel info:
; codeLenInByte = 904
; TotalNumSgprs: 24
; NumVgprs: 17
; NumAgprs: 0
; TotalNumVgprs: 17
; ScratchSize: 0
; MemoryBound: 0
; FloatMode: 240
; IeeeMode: 1
; LDSByteSize: 0 bytes/workgroup (compile time only)
; SGPRBlocks: 2
; VGPRBlocks: 2
; NumSGPRsForWavesPerEU: 24
; NumVGPRsForWavesPerEU: 17
; AccumOffset: 20
; Occupancy: 8
; WaveLimiterHint : 0
; COMPUTE_PGM_RSRC2:SCRATCH_EN: 0
; COMPUTE_PGM_RSRC2:USER_SGPR: 2
; COMPUTE_PGM_RSRC2:TRAP_HANDLER: 0
; COMPUTE_PGM_RSRC2:TGID_X_EN: 1
; COMPUTE_PGM_RSRC2:TGID_Y_EN: 0
; COMPUTE_PGM_RSRC2:TGID_Z_EN: 0
; COMPUTE_PGM_RSRC2:TIDIG_COMP_CNT: 0
; COMPUTE_PGM_RSRC3_GFX90A:ACCUM_OFFSET: 4
; COMPUTE_PGM_RSRC3_GFX90A:TG_SPLIT: 0
	.section	.text._ZN2at6native29vectorized_elementwise_kernelILi2EZZZNS0_21clamp_max_kernel_cudaERNS_18TensorIteratorBaseERKN3c106ScalarEENKUlvE_clEvENKUlvE2_clEvEUllE_St5arrayIPcLm2EEEEviT0_T1_,"axG",@progbits,_ZN2at6native29vectorized_elementwise_kernelILi2EZZZNS0_21clamp_max_kernel_cudaERNS_18TensorIteratorBaseERKN3c106ScalarEENKUlvE_clEvENKUlvE2_clEvEUllE_St5arrayIPcLm2EEEEviT0_T1_,comdat
	.globl	_ZN2at6native29vectorized_elementwise_kernelILi2EZZZNS0_21clamp_max_kernel_cudaERNS_18TensorIteratorBaseERKN3c106ScalarEENKUlvE_clEvENKUlvE2_clEvEUllE_St5arrayIPcLm2EEEEviT0_T1_ ; -- Begin function _ZN2at6native29vectorized_elementwise_kernelILi2EZZZNS0_21clamp_max_kernel_cudaERNS_18TensorIteratorBaseERKN3c106ScalarEENKUlvE_clEvENKUlvE2_clEvEUllE_St5arrayIPcLm2EEEEviT0_T1_
	.p2align	8
	.type	_ZN2at6native29vectorized_elementwise_kernelILi2EZZZNS0_21clamp_max_kernel_cudaERNS_18TensorIteratorBaseERKN3c106ScalarEENKUlvE_clEvENKUlvE2_clEvEUllE_St5arrayIPcLm2EEEEviT0_T1_,@function
_ZN2at6native29vectorized_elementwise_kernelILi2EZZZNS0_21clamp_max_kernel_cudaERNS_18TensorIteratorBaseERKN3c106ScalarEENKUlvE_clEvENKUlvE2_clEvEUllE_St5arrayIPcLm2EEEEviT0_T1_: ; @_ZN2at6native29vectorized_elementwise_kernelILi2EZZZNS0_21clamp_max_kernel_cudaERNS_18TensorIteratorBaseERKN3c106ScalarEENKUlvE_clEvENKUlvE2_clEvEUllE_St5arrayIPcLm2EEEEviT0_T1_
; %bb.0:
	s_load_dword s3, s[0:1], 0x0
	s_load_dwordx4 s[4:7], s[0:1], 0x8
	s_load_dwordx2 s[8:9], s[0:1], 0x18
	s_lshl_b32 s2, s2, 10
	s_mov_b64 s[0:1], -1
	s_waitcnt lgkmcnt(0)
	s_sub_i32 s12, s3, s2
	s_cmpk_gt_i32 s12, 0x3ff
	s_cbranch_scc0 .LBB445_2
; %bb.1:
	s_ashr_i32 s3, s2, 31
	s_lshl_b64 s[0:1], s[2:3], 3
	s_add_u32 s10, s8, s0
	s_addc_u32 s11, s9, s1
	v_lshlrev_b32_e32 v10, 4, v0
	v_mov_b32_e32 v11, 0
	v_lshl_add_u64 v[6:7], s[10:11], 0, v[10:11]
	v_add_co_u32_e32 v6, vcc, 0x1000, v6
	global_load_dwordx4 v[2:5], v10, s[10:11]
	s_nop 0
	v_addc_co_u32_e32 v7, vcc, 0, v7, vcc
	global_load_dwordx4 v[6:9], v[6:7], off
	s_add_u32 s10, s6, s0
	s_addc_u32 s11, s7, s1
	v_lshl_add_u64 v[12:13], s[10:11], 0, v[10:11]
	v_add_co_u32_e32 v12, vcc, 0x1000, v12
	v_mov_b32_e32 v1, s5
	s_nop 0
	v_addc_co_u32_e32 v13, vcc, 0, v13, vcc
	v_mov_b32_e32 v14, s4
	s_waitcnt vmcnt(1)
	v_cmp_gt_i64_e32 vcc, s[4:5], v[2:3]
	v_cmp_gt_i64_e64 s[0:1], s[4:5], v[4:5]
	s_nop 0
	v_cndmask_b32_e32 v3, v1, v3, vcc
	v_cndmask_b32_e32 v2, v14, v2, vcc
	v_cndmask_b32_e64 v5, v1, v5, s[0:1]
	v_cndmask_b32_e64 v4, v14, v4, s[0:1]
	s_waitcnt vmcnt(0)
	v_cmp_gt_i64_e32 vcc, s[4:5], v[6:7]
	v_cmp_gt_i64_e64 s[0:1], s[4:5], v[8:9]
	global_store_dwordx4 v10, v[2:5], s[10:11]
	s_nop 1
	v_cndmask_b32_e32 v3, v1, v7, vcc
	v_cndmask_b32_e64 v5, v1, v9, s[0:1]
	v_cndmask_b32_e32 v2, v14, v6, vcc
	v_cndmask_b32_e64 v4, v14, v8, s[0:1]
	global_store_dwordx4 v[12:13], v[2:5], off
	s_mov_b64 s[0:1], 0
.LBB445_2:
	s_andn2_b64 vcc, exec, s[0:1]
	s_cbranch_vccnz .LBB445_16
; %bb.3:
	v_cmp_gt_i32_e32 vcc, s12, v0
	v_mov_b64_e32 v[4:5], 0
	v_or_b32_e32 v2, s2, v0
	v_mov_b64_e32 v[6:7], 0
	v_mov_b32_e32 v1, v0
	s_and_saveexec_b64 s[0:1], vcc
	s_cbranch_execz .LBB445_5
; %bb.4:
	v_mov_b32_e32 v3, 0
	v_lshl_add_u64 v[6:7], v[2:3], 3, s[8:9]
	global_load_dwordx2 v[6:7], v[6:7], off
	v_or_b32_e32 v1, 0x100, v0
.LBB445_5:
	s_or_b64 exec, exec, s[0:1]
	v_cmp_gt_i32_e64 s[0:1], s12, v1
	s_and_saveexec_b64 s[10:11], s[0:1]
	s_cbranch_execz .LBB445_7
; %bb.6:
	v_add_u32_e32 v4, s2, v1
	v_mov_b32_e32 v5, 0
	v_lshl_add_u64 v[4:5], v[4:5], 3, s[8:9]
	global_load_dwordx2 v[4:5], v[4:5], off
	v_add_u32_e32 v1, 0x100, v1
.LBB445_7:
	s_or_b64 exec, exec, s[10:11]
	v_cmp_gt_i32_e64 s[0:1], s12, v1
	v_mov_b64_e32 v[8:9], 0
	v_mov_b64_e32 v[10:11], 0
	s_and_saveexec_b64 s[10:11], s[0:1]
	s_cbranch_execz .LBB445_9
; %bb.8:
	v_add_u32_e32 v10, s2, v1
	v_mov_b32_e32 v11, 0
	v_lshl_add_u64 v[10:11], v[10:11], 3, s[8:9]
	global_load_dwordx2 v[10:11], v[10:11], off
	v_add_u32_e32 v1, 0x100, v1
.LBB445_9:
	s_or_b64 exec, exec, s[10:11]
	v_cmp_gt_i32_e64 s[0:1], s12, v1
	s_and_saveexec_b64 s[10:11], s[0:1]
	s_cbranch_execz .LBB445_11
; %bb.10:
	v_add_u32_e32 v8, s2, v1
	v_mov_b32_e32 v9, 0
	v_lshl_add_u64 v[8:9], v[8:9], 3, s[8:9]
	global_load_dwordx2 v[8:9], v[8:9], off
.LBB445_11:
	s_or_b64 exec, exec, s[10:11]
	v_mov_b32_e32 v3, s4
	s_waitcnt vmcnt(0)
	v_cmp_gt_i64_e64 s[0:1], s[4:5], v[6:7]
	v_mov_b32_e32 v16, s5
	s_nop 0
	v_cndmask_b32_e64 v1, v3, v6, s[0:1]
	v_cndmask_b32_e64 v6, v16, v7, s[0:1]
	v_cndmask_b32_e32 v14, 0, v1, vcc
	v_or_b32_e32 v1, 0x100, v0
	v_cmp_gt_i64_e64 s[0:1], s[4:5], v[4:5]
	v_cndmask_b32_e32 v15, 0, v6, vcc
	s_nop 0
	v_cndmask_b32_e64 v4, v3, v4, s[0:1]
	v_cndmask_b32_e64 v5, v16, v5, s[0:1]
	v_cmp_gt_i32_e64 s[0:1], s12, v1
	s_nop 1
	v_cndmask_b32_e64 v13, 0, v5, s[0:1]
	v_cndmask_b32_e64 v12, 0, v4, s[0:1]
	v_or_b32_e32 v4, 0x200, v0
	v_cmp_gt_i64_e64 s[0:1], s[4:5], v[10:11]
	s_nop 1
	v_cndmask_b32_e64 v5, v3, v10, s[0:1]
	v_cndmask_b32_e64 v6, v16, v11, s[0:1]
	v_cmp_gt_i32_e64 s[0:1], s12, v4
	v_or_b32_e32 v4, 0x300, v0
	s_nop 0
	v_cndmask_b32_e64 v7, 0, v6, s[0:1]
	v_cndmask_b32_e64 v6, 0, v5, s[0:1]
	v_cmp_gt_i64_e64 s[0:1], s[4:5], v[8:9]
	s_nop 1
	v_cndmask_b32_e64 v3, v3, v8, s[0:1]
	v_cndmask_b32_e64 v5, v16, v9, s[0:1]
	v_cmp_gt_i32_e64 s[0:1], s12, v4
	s_nop 1
	v_cndmask_b32_e64 v5, 0, v5, s[0:1]
	v_cndmask_b32_e64 v4, 0, v3, s[0:1]
	s_and_saveexec_b64 s[0:1], vcc
	s_cbranch_execnz .LBB445_17
; %bb.12:
	s_or_b64 exec, exec, s[0:1]
	v_cmp_gt_i32_e32 vcc, s12, v0
	s_and_saveexec_b64 s[0:1], vcc
	s_cbranch_execnz .LBB445_18
.LBB445_13:
	s_or_b64 exec, exec, s[0:1]
	v_cmp_gt_i32_e32 vcc, s12, v0
	s_and_saveexec_b64 s[0:1], vcc
	s_cbranch_execnz .LBB445_19
.LBB445_14:
	s_or_b64 exec, exec, s[0:1]
	v_cmp_gt_i32_e32 vcc, s12, v0
	s_and_saveexec_b64 s[0:1], vcc
	s_cbranch_execz .LBB445_16
.LBB445_15:
	v_add_u32_e32 v0, s2, v0
	v_mov_b32_e32 v1, 0
	v_lshl_add_u64 v[0:1], v[0:1], 3, s[6:7]
	global_store_dwordx2 v[0:1], v[4:5], off
.LBB445_16:
	s_endpgm
.LBB445_17:
	v_mov_b32_e32 v3, 0
	v_lshl_add_u64 v[2:3], v[2:3], 3, s[6:7]
	v_mov_b32_e32 v0, v1
	global_store_dwordx2 v[2:3], v[14:15], off
	s_or_b64 exec, exec, s[0:1]
	v_cmp_gt_i32_e32 vcc, s12, v0
	s_and_saveexec_b64 s[0:1], vcc
	s_cbranch_execz .LBB445_13
.LBB445_18:
	v_add_u32_e32 v2, s2, v0
	v_mov_b32_e32 v3, 0
	v_lshl_add_u64 v[2:3], v[2:3], 3, s[6:7]
	v_add_u32_e32 v0, 0x100, v0
	global_store_dwordx2 v[2:3], v[12:13], off
	s_or_b64 exec, exec, s[0:1]
	v_cmp_gt_i32_e32 vcc, s12, v0
	s_and_saveexec_b64 s[0:1], vcc
	s_cbranch_execz .LBB445_14
.LBB445_19:
	v_add_u32_e32 v2, s2, v0
	v_mov_b32_e32 v3, 0
	v_lshl_add_u64 v[2:3], v[2:3], 3, s[6:7]
	v_add_u32_e32 v0, 0x100, v0
	global_store_dwordx2 v[2:3], v[6:7], off
	s_or_b64 exec, exec, s[0:1]
	v_cmp_gt_i32_e32 vcc, s12, v0
	s_and_saveexec_b64 s[0:1], vcc
	s_cbranch_execnz .LBB445_15
	s_branch .LBB445_16
	.section	.rodata,"a",@progbits
	.p2align	6, 0x0
	.amdhsa_kernel _ZN2at6native29vectorized_elementwise_kernelILi2EZZZNS0_21clamp_max_kernel_cudaERNS_18TensorIteratorBaseERKN3c106ScalarEENKUlvE_clEvENKUlvE2_clEvEUllE_St5arrayIPcLm2EEEEviT0_T1_
		.amdhsa_group_segment_fixed_size 0
		.amdhsa_private_segment_fixed_size 0
		.amdhsa_kernarg_size 32
		.amdhsa_user_sgpr_count 2
		.amdhsa_user_sgpr_dispatch_ptr 0
		.amdhsa_user_sgpr_queue_ptr 0
		.amdhsa_user_sgpr_kernarg_segment_ptr 1
		.amdhsa_user_sgpr_dispatch_id 0
		.amdhsa_user_sgpr_kernarg_preload_length 0
		.amdhsa_user_sgpr_kernarg_preload_offset 0
		.amdhsa_user_sgpr_private_segment_size 0
		.amdhsa_uses_dynamic_stack 0
		.amdhsa_enable_private_segment 0
		.amdhsa_system_sgpr_workgroup_id_x 1
		.amdhsa_system_sgpr_workgroup_id_y 0
		.amdhsa_system_sgpr_workgroup_id_z 0
		.amdhsa_system_sgpr_workgroup_info 0
		.amdhsa_system_vgpr_workitem_id 0
		.amdhsa_next_free_vgpr 17
		.amdhsa_next_free_sgpr 13
		.amdhsa_accum_offset 20
		.amdhsa_reserve_vcc 1
		.amdhsa_float_round_mode_32 0
		.amdhsa_float_round_mode_16_64 0
		.amdhsa_float_denorm_mode_32 3
		.amdhsa_float_denorm_mode_16_64 3
		.amdhsa_dx10_clamp 1
		.amdhsa_ieee_mode 1
		.amdhsa_fp16_overflow 0
		.amdhsa_tg_split 0
		.amdhsa_exception_fp_ieee_invalid_op 0
		.amdhsa_exception_fp_denorm_src 0
		.amdhsa_exception_fp_ieee_div_zero 0
		.amdhsa_exception_fp_ieee_overflow 0
		.amdhsa_exception_fp_ieee_underflow 0
		.amdhsa_exception_fp_ieee_inexact 0
		.amdhsa_exception_int_div_zero 0
	.end_amdhsa_kernel
	.section	.text._ZN2at6native29vectorized_elementwise_kernelILi2EZZZNS0_21clamp_max_kernel_cudaERNS_18TensorIteratorBaseERKN3c106ScalarEENKUlvE_clEvENKUlvE2_clEvEUllE_St5arrayIPcLm2EEEEviT0_T1_,"axG",@progbits,_ZN2at6native29vectorized_elementwise_kernelILi2EZZZNS0_21clamp_max_kernel_cudaERNS_18TensorIteratorBaseERKN3c106ScalarEENKUlvE_clEvENKUlvE2_clEvEUllE_St5arrayIPcLm2EEEEviT0_T1_,comdat
.Lfunc_end445:
	.size	_ZN2at6native29vectorized_elementwise_kernelILi2EZZZNS0_21clamp_max_kernel_cudaERNS_18TensorIteratorBaseERKN3c106ScalarEENKUlvE_clEvENKUlvE2_clEvEUllE_St5arrayIPcLm2EEEEviT0_T1_, .Lfunc_end445-_ZN2at6native29vectorized_elementwise_kernelILi2EZZZNS0_21clamp_max_kernel_cudaERNS_18TensorIteratorBaseERKN3c106ScalarEENKUlvE_clEvENKUlvE2_clEvEUllE_St5arrayIPcLm2EEEEviT0_T1_
                                        ; -- End function
	.set _ZN2at6native29vectorized_elementwise_kernelILi2EZZZNS0_21clamp_max_kernel_cudaERNS_18TensorIteratorBaseERKN3c106ScalarEENKUlvE_clEvENKUlvE2_clEvEUllE_St5arrayIPcLm2EEEEviT0_T1_.num_vgpr, 17
	.set _ZN2at6native29vectorized_elementwise_kernelILi2EZZZNS0_21clamp_max_kernel_cudaERNS_18TensorIteratorBaseERKN3c106ScalarEENKUlvE_clEvENKUlvE2_clEvEUllE_St5arrayIPcLm2EEEEviT0_T1_.num_agpr, 0
	.set _ZN2at6native29vectorized_elementwise_kernelILi2EZZZNS0_21clamp_max_kernel_cudaERNS_18TensorIteratorBaseERKN3c106ScalarEENKUlvE_clEvENKUlvE2_clEvEUllE_St5arrayIPcLm2EEEEviT0_T1_.numbered_sgpr, 13
	.set _ZN2at6native29vectorized_elementwise_kernelILi2EZZZNS0_21clamp_max_kernel_cudaERNS_18TensorIteratorBaseERKN3c106ScalarEENKUlvE_clEvENKUlvE2_clEvEUllE_St5arrayIPcLm2EEEEviT0_T1_.num_named_barrier, 0
	.set _ZN2at6native29vectorized_elementwise_kernelILi2EZZZNS0_21clamp_max_kernel_cudaERNS_18TensorIteratorBaseERKN3c106ScalarEENKUlvE_clEvENKUlvE2_clEvEUllE_St5arrayIPcLm2EEEEviT0_T1_.private_seg_size, 0
	.set _ZN2at6native29vectorized_elementwise_kernelILi2EZZZNS0_21clamp_max_kernel_cudaERNS_18TensorIteratorBaseERKN3c106ScalarEENKUlvE_clEvENKUlvE2_clEvEUllE_St5arrayIPcLm2EEEEviT0_T1_.uses_vcc, 1
	.set _ZN2at6native29vectorized_elementwise_kernelILi2EZZZNS0_21clamp_max_kernel_cudaERNS_18TensorIteratorBaseERKN3c106ScalarEENKUlvE_clEvENKUlvE2_clEvEUllE_St5arrayIPcLm2EEEEviT0_T1_.uses_flat_scratch, 0
	.set _ZN2at6native29vectorized_elementwise_kernelILi2EZZZNS0_21clamp_max_kernel_cudaERNS_18TensorIteratorBaseERKN3c106ScalarEENKUlvE_clEvENKUlvE2_clEvEUllE_St5arrayIPcLm2EEEEviT0_T1_.has_dyn_sized_stack, 0
	.set _ZN2at6native29vectorized_elementwise_kernelILi2EZZZNS0_21clamp_max_kernel_cudaERNS_18TensorIteratorBaseERKN3c106ScalarEENKUlvE_clEvENKUlvE2_clEvEUllE_St5arrayIPcLm2EEEEviT0_T1_.has_recursion, 0
	.set _ZN2at6native29vectorized_elementwise_kernelILi2EZZZNS0_21clamp_max_kernel_cudaERNS_18TensorIteratorBaseERKN3c106ScalarEENKUlvE_clEvENKUlvE2_clEvEUllE_St5arrayIPcLm2EEEEviT0_T1_.has_indirect_call, 0
	.section	.AMDGPU.csdata,"",@progbits
; Kernel info:
; codeLenInByte = 948
; TotalNumSgprs: 19
; NumVgprs: 17
; NumAgprs: 0
; TotalNumVgprs: 17
; ScratchSize: 0
; MemoryBound: 0
; FloatMode: 240
; IeeeMode: 1
; LDSByteSize: 0 bytes/workgroup (compile time only)
; SGPRBlocks: 2
; VGPRBlocks: 2
; NumSGPRsForWavesPerEU: 19
; NumVGPRsForWavesPerEU: 17
; AccumOffset: 20
; Occupancy: 8
; WaveLimiterHint : 1
; COMPUTE_PGM_RSRC2:SCRATCH_EN: 0
; COMPUTE_PGM_RSRC2:USER_SGPR: 2
; COMPUTE_PGM_RSRC2:TRAP_HANDLER: 0
; COMPUTE_PGM_RSRC2:TGID_X_EN: 1
; COMPUTE_PGM_RSRC2:TGID_Y_EN: 0
; COMPUTE_PGM_RSRC2:TGID_Z_EN: 0
; COMPUTE_PGM_RSRC2:TIDIG_COMP_CNT: 0
; COMPUTE_PGM_RSRC3_GFX90A:ACCUM_OFFSET: 4
; COMPUTE_PGM_RSRC3_GFX90A:TG_SPLIT: 0
	.section	.text._ZN2at6native27unrolled_elementwise_kernelIZZZNS0_21clamp_max_kernel_cudaERNS_18TensorIteratorBaseERKN3c106ScalarEENKUlvE_clEvENKUlvE2_clEvEUllE_St5arrayIPcLm2EELi4E23TrivialOffsetCalculatorILi1EjESF_NS0_6memory15LoadWithoutCastENSG_16StoreWithoutCastEEEviT_T0_T2_T3_T4_T5_,"axG",@progbits,_ZN2at6native27unrolled_elementwise_kernelIZZZNS0_21clamp_max_kernel_cudaERNS_18TensorIteratorBaseERKN3c106ScalarEENKUlvE_clEvENKUlvE2_clEvEUllE_St5arrayIPcLm2EELi4E23TrivialOffsetCalculatorILi1EjESF_NS0_6memory15LoadWithoutCastENSG_16StoreWithoutCastEEEviT_T0_T2_T3_T4_T5_,comdat
	.globl	_ZN2at6native27unrolled_elementwise_kernelIZZZNS0_21clamp_max_kernel_cudaERNS_18TensorIteratorBaseERKN3c106ScalarEENKUlvE_clEvENKUlvE2_clEvEUllE_St5arrayIPcLm2EELi4E23TrivialOffsetCalculatorILi1EjESF_NS0_6memory15LoadWithoutCastENSG_16StoreWithoutCastEEEviT_T0_T2_T3_T4_T5_ ; -- Begin function _ZN2at6native27unrolled_elementwise_kernelIZZZNS0_21clamp_max_kernel_cudaERNS_18TensorIteratorBaseERKN3c106ScalarEENKUlvE_clEvENKUlvE2_clEvEUllE_St5arrayIPcLm2EELi4E23TrivialOffsetCalculatorILi1EjESF_NS0_6memory15LoadWithoutCastENSG_16StoreWithoutCastEEEviT_T0_T2_T3_T4_T5_
	.p2align	8
	.type	_ZN2at6native27unrolled_elementwise_kernelIZZZNS0_21clamp_max_kernel_cudaERNS_18TensorIteratorBaseERKN3c106ScalarEENKUlvE_clEvENKUlvE2_clEvEUllE_St5arrayIPcLm2EELi4E23TrivialOffsetCalculatorILi1EjESF_NS0_6memory15LoadWithoutCastENSG_16StoreWithoutCastEEEviT_T0_T2_T3_T4_T5_,@function
_ZN2at6native27unrolled_elementwise_kernelIZZZNS0_21clamp_max_kernel_cudaERNS_18TensorIteratorBaseERKN3c106ScalarEENKUlvE_clEvENKUlvE2_clEvEUllE_St5arrayIPcLm2EELi4E23TrivialOffsetCalculatorILi1EjESF_NS0_6memory15LoadWithoutCastENSG_16StoreWithoutCastEEEviT_T0_T2_T3_T4_T5_: ; @_ZN2at6native27unrolled_elementwise_kernelIZZZNS0_21clamp_max_kernel_cudaERNS_18TensorIteratorBaseERKN3c106ScalarEENKUlvE_clEvENKUlvE2_clEvEUllE_St5arrayIPcLm2EELi4E23TrivialOffsetCalculatorILi1EjESF_NS0_6memory15LoadWithoutCastENSG_16StoreWithoutCastEEEviT_T0_T2_T3_T4_T5_
; %bb.0:
	s_load_dword s3, s[0:1], 0x0
	s_load_dwordx2 s[8:9], s[0:1], 0x18
	s_lshl_b32 s10, s2, 10
	v_mov_b64_e32 v[4:5], 0
	v_or_b32_e32 v2, s10, v0
	s_waitcnt lgkmcnt(0)
	s_sub_i32 s11, s3, s10
	v_cmp_gt_i32_e32 vcc, s11, v0
	v_mov_b64_e32 v[6:7], 0
	v_mov_b32_e32 v1, v0
	s_and_saveexec_b64 s[2:3], vcc
	s_cbranch_execz .LBB446_2
; %bb.1:
	v_mov_b32_e32 v3, 0
	v_lshl_add_u64 v[6:7], v[2:3], 3, s[8:9]
	global_load_dwordx2 v[6:7], v[6:7], off
	v_or_b32_e32 v1, 0x100, v0
.LBB446_2:
	s_or_b64 exec, exec, s[2:3]
	s_load_dwordx4 s[4:7], s[0:1], 0x8
	v_cmp_gt_i32_e64 s[0:1], s11, v1
	s_and_saveexec_b64 s[2:3], s[0:1]
	s_cbranch_execz .LBB446_4
; %bb.3:
	v_add_u32_e32 v4, s10, v1
	v_mov_b32_e32 v5, 0
	v_lshl_add_u64 v[4:5], v[4:5], 3, s[8:9]
	global_load_dwordx2 v[4:5], v[4:5], off
	v_add_u32_e32 v1, 0x100, v1
.LBB446_4:
	s_or_b64 exec, exec, s[2:3]
	v_cmp_gt_i32_e64 s[0:1], s11, v1
	v_mov_b64_e32 v[8:9], 0
	v_mov_b64_e32 v[10:11], 0
	s_and_saveexec_b64 s[2:3], s[0:1]
	s_cbranch_execz .LBB446_6
; %bb.5:
	v_add_u32_e32 v10, s10, v1
	v_mov_b32_e32 v11, 0
	v_lshl_add_u64 v[10:11], v[10:11], 3, s[8:9]
	global_load_dwordx2 v[10:11], v[10:11], off
	v_add_u32_e32 v1, 0x100, v1
.LBB446_6:
	s_or_b64 exec, exec, s[2:3]
	v_cmp_gt_i32_e64 s[0:1], s11, v1
	s_and_saveexec_b64 s[2:3], s[0:1]
	s_cbranch_execz .LBB446_8
; %bb.7:
	v_add_u32_e32 v8, s10, v1
	v_mov_b32_e32 v9, 0
	v_lshl_add_u64 v[8:9], v[8:9], 3, s[8:9]
	global_load_dwordx2 v[8:9], v[8:9], off
.LBB446_8:
	s_or_b64 exec, exec, s[2:3]
	s_waitcnt lgkmcnt(0)
	v_mov_b32_e32 v3, s4
	s_waitcnt vmcnt(0)
	v_cmp_gt_i64_e64 s[0:1], s[4:5], v[6:7]
	v_mov_b32_e32 v16, s5
	s_nop 0
	v_cndmask_b32_e64 v1, v3, v6, s[0:1]
	v_cndmask_b32_e64 v6, v16, v7, s[0:1]
	v_cndmask_b32_e32 v14, 0, v1, vcc
	v_or_b32_e32 v1, 0x100, v0
	v_cmp_gt_i64_e64 s[0:1], s[4:5], v[4:5]
	v_cndmask_b32_e32 v15, 0, v6, vcc
	s_nop 0
	v_cndmask_b32_e64 v4, v3, v4, s[0:1]
	v_cndmask_b32_e64 v5, v16, v5, s[0:1]
	v_cmp_gt_i32_e64 s[0:1], s11, v1
	s_nop 1
	v_cndmask_b32_e64 v13, 0, v5, s[0:1]
	v_cndmask_b32_e64 v12, 0, v4, s[0:1]
	v_or_b32_e32 v4, 0x200, v0
	v_cmp_gt_i64_e64 s[0:1], s[4:5], v[10:11]
	s_nop 1
	v_cndmask_b32_e64 v5, v3, v10, s[0:1]
	v_cndmask_b32_e64 v6, v16, v11, s[0:1]
	v_cmp_gt_i32_e64 s[0:1], s11, v4
	v_or_b32_e32 v4, 0x300, v0
	s_nop 0
	v_cndmask_b32_e64 v7, 0, v6, s[0:1]
	v_cndmask_b32_e64 v6, 0, v5, s[0:1]
	v_cmp_gt_i64_e64 s[0:1], s[4:5], v[8:9]
	s_nop 1
	v_cndmask_b32_e64 v3, v3, v8, s[0:1]
	v_cndmask_b32_e64 v5, v16, v9, s[0:1]
	v_cmp_gt_i32_e64 s[0:1], s11, v4
	s_nop 1
	v_cndmask_b32_e64 v5, 0, v5, s[0:1]
	v_cndmask_b32_e64 v4, 0, v3, s[0:1]
	s_and_saveexec_b64 s[0:1], vcc
	s_cbranch_execnz .LBB446_13
; %bb.9:
	s_or_b64 exec, exec, s[0:1]
	v_cmp_gt_i32_e32 vcc, s11, v0
	s_and_saveexec_b64 s[0:1], vcc
	s_cbranch_execnz .LBB446_14
.LBB446_10:
	s_or_b64 exec, exec, s[0:1]
	v_cmp_gt_i32_e32 vcc, s11, v0
	s_and_saveexec_b64 s[0:1], vcc
	s_cbranch_execnz .LBB446_15
.LBB446_11:
	s_or_b64 exec, exec, s[0:1]
	v_cmp_gt_i32_e32 vcc, s11, v0
	s_and_saveexec_b64 s[0:1], vcc
	s_cbranch_execnz .LBB446_16
.LBB446_12:
	s_endpgm
.LBB446_13:
	v_mov_b32_e32 v3, 0
	v_lshl_add_u64 v[2:3], v[2:3], 3, s[6:7]
	v_mov_b32_e32 v0, v1
	global_store_dwordx2 v[2:3], v[14:15], off
	s_or_b64 exec, exec, s[0:1]
	v_cmp_gt_i32_e32 vcc, s11, v0
	s_and_saveexec_b64 s[0:1], vcc
	s_cbranch_execz .LBB446_10
.LBB446_14:
	v_add_u32_e32 v2, 0x100, v0
	v_add_u32_e32 v0, s10, v0
	v_mov_b32_e32 v1, 0
	v_lshl_add_u64 v[0:1], v[0:1], 3, s[6:7]
	global_store_dwordx2 v[0:1], v[12:13], off
	v_mov_b32_e32 v0, v2
	s_or_b64 exec, exec, s[0:1]
	v_cmp_gt_i32_e32 vcc, s11, v0
	s_and_saveexec_b64 s[0:1], vcc
	s_cbranch_execz .LBB446_11
.LBB446_15:
	v_add_u32_e32 v2, 0x100, v0
	v_add_u32_e32 v0, s10, v0
	v_mov_b32_e32 v1, 0
	v_lshl_add_u64 v[0:1], v[0:1], 3, s[6:7]
	global_store_dwordx2 v[0:1], v[6:7], off
	v_mov_b32_e32 v0, v2
	s_or_b64 exec, exec, s[0:1]
	v_cmp_gt_i32_e32 vcc, s11, v0
	s_and_saveexec_b64 s[0:1], vcc
	s_cbranch_execz .LBB446_12
.LBB446_16:
	v_add_u32_e32 v0, s10, v0
	v_mov_b32_e32 v1, 0
	v_lshl_add_u64 v[0:1], v[0:1], 3, s[6:7]
	global_store_dwordx2 v[0:1], v[4:5], off
	s_endpgm
	.section	.rodata,"a",@progbits
	.p2align	6, 0x0
	.amdhsa_kernel _ZN2at6native27unrolled_elementwise_kernelIZZZNS0_21clamp_max_kernel_cudaERNS_18TensorIteratorBaseERKN3c106ScalarEENKUlvE_clEvENKUlvE2_clEvEUllE_St5arrayIPcLm2EELi4E23TrivialOffsetCalculatorILi1EjESF_NS0_6memory15LoadWithoutCastENSG_16StoreWithoutCastEEEviT_T0_T2_T3_T4_T5_
		.amdhsa_group_segment_fixed_size 0
		.amdhsa_private_segment_fixed_size 0
		.amdhsa_kernarg_size 36
		.amdhsa_user_sgpr_count 2
		.amdhsa_user_sgpr_dispatch_ptr 0
		.amdhsa_user_sgpr_queue_ptr 0
		.amdhsa_user_sgpr_kernarg_segment_ptr 1
		.amdhsa_user_sgpr_dispatch_id 0
		.amdhsa_user_sgpr_kernarg_preload_length 0
		.amdhsa_user_sgpr_kernarg_preload_offset 0
		.amdhsa_user_sgpr_private_segment_size 0
		.amdhsa_uses_dynamic_stack 0
		.amdhsa_enable_private_segment 0
		.amdhsa_system_sgpr_workgroup_id_x 1
		.amdhsa_system_sgpr_workgroup_id_y 0
		.amdhsa_system_sgpr_workgroup_id_z 0
		.amdhsa_system_sgpr_workgroup_info 0
		.amdhsa_system_vgpr_workitem_id 0
		.amdhsa_next_free_vgpr 17
		.amdhsa_next_free_sgpr 12
		.amdhsa_accum_offset 20
		.amdhsa_reserve_vcc 1
		.amdhsa_float_round_mode_32 0
		.amdhsa_float_round_mode_16_64 0
		.amdhsa_float_denorm_mode_32 3
		.amdhsa_float_denorm_mode_16_64 3
		.amdhsa_dx10_clamp 1
		.amdhsa_ieee_mode 1
		.amdhsa_fp16_overflow 0
		.amdhsa_tg_split 0
		.amdhsa_exception_fp_ieee_invalid_op 0
		.amdhsa_exception_fp_denorm_src 0
		.amdhsa_exception_fp_ieee_div_zero 0
		.amdhsa_exception_fp_ieee_overflow 0
		.amdhsa_exception_fp_ieee_underflow 0
		.amdhsa_exception_fp_ieee_inexact 0
		.amdhsa_exception_int_div_zero 0
	.end_amdhsa_kernel
	.section	.text._ZN2at6native27unrolled_elementwise_kernelIZZZNS0_21clamp_max_kernel_cudaERNS_18TensorIteratorBaseERKN3c106ScalarEENKUlvE_clEvENKUlvE2_clEvEUllE_St5arrayIPcLm2EELi4E23TrivialOffsetCalculatorILi1EjESF_NS0_6memory15LoadWithoutCastENSG_16StoreWithoutCastEEEviT_T0_T2_T3_T4_T5_,"axG",@progbits,_ZN2at6native27unrolled_elementwise_kernelIZZZNS0_21clamp_max_kernel_cudaERNS_18TensorIteratorBaseERKN3c106ScalarEENKUlvE_clEvENKUlvE2_clEvEUllE_St5arrayIPcLm2EELi4E23TrivialOffsetCalculatorILi1EjESF_NS0_6memory15LoadWithoutCastENSG_16StoreWithoutCastEEEviT_T0_T2_T3_T4_T5_,comdat
.Lfunc_end446:
	.size	_ZN2at6native27unrolled_elementwise_kernelIZZZNS0_21clamp_max_kernel_cudaERNS_18TensorIteratorBaseERKN3c106ScalarEENKUlvE_clEvENKUlvE2_clEvEUllE_St5arrayIPcLm2EELi4E23TrivialOffsetCalculatorILi1EjESF_NS0_6memory15LoadWithoutCastENSG_16StoreWithoutCastEEEviT_T0_T2_T3_T4_T5_, .Lfunc_end446-_ZN2at6native27unrolled_elementwise_kernelIZZZNS0_21clamp_max_kernel_cudaERNS_18TensorIteratorBaseERKN3c106ScalarEENKUlvE_clEvENKUlvE2_clEvEUllE_St5arrayIPcLm2EELi4E23TrivialOffsetCalculatorILi1EjESF_NS0_6memory15LoadWithoutCastENSG_16StoreWithoutCastEEEviT_T0_T2_T3_T4_T5_
                                        ; -- End function
	.set _ZN2at6native27unrolled_elementwise_kernelIZZZNS0_21clamp_max_kernel_cudaERNS_18TensorIteratorBaseERKN3c106ScalarEENKUlvE_clEvENKUlvE2_clEvEUllE_St5arrayIPcLm2EELi4E23TrivialOffsetCalculatorILi1EjESF_NS0_6memory15LoadWithoutCastENSG_16StoreWithoutCastEEEviT_T0_T2_T3_T4_T5_.num_vgpr, 17
	.set _ZN2at6native27unrolled_elementwise_kernelIZZZNS0_21clamp_max_kernel_cudaERNS_18TensorIteratorBaseERKN3c106ScalarEENKUlvE_clEvENKUlvE2_clEvEUllE_St5arrayIPcLm2EELi4E23TrivialOffsetCalculatorILi1EjESF_NS0_6memory15LoadWithoutCastENSG_16StoreWithoutCastEEEviT_T0_T2_T3_T4_T5_.num_agpr, 0
	.set _ZN2at6native27unrolled_elementwise_kernelIZZZNS0_21clamp_max_kernel_cudaERNS_18TensorIteratorBaseERKN3c106ScalarEENKUlvE_clEvENKUlvE2_clEvEUllE_St5arrayIPcLm2EELi4E23TrivialOffsetCalculatorILi1EjESF_NS0_6memory15LoadWithoutCastENSG_16StoreWithoutCastEEEviT_T0_T2_T3_T4_T5_.numbered_sgpr, 12
	.set _ZN2at6native27unrolled_elementwise_kernelIZZZNS0_21clamp_max_kernel_cudaERNS_18TensorIteratorBaseERKN3c106ScalarEENKUlvE_clEvENKUlvE2_clEvEUllE_St5arrayIPcLm2EELi4E23TrivialOffsetCalculatorILi1EjESF_NS0_6memory15LoadWithoutCastENSG_16StoreWithoutCastEEEviT_T0_T2_T3_T4_T5_.num_named_barrier, 0
	.set _ZN2at6native27unrolled_elementwise_kernelIZZZNS0_21clamp_max_kernel_cudaERNS_18TensorIteratorBaseERKN3c106ScalarEENKUlvE_clEvENKUlvE2_clEvEUllE_St5arrayIPcLm2EELi4E23TrivialOffsetCalculatorILi1EjESF_NS0_6memory15LoadWithoutCastENSG_16StoreWithoutCastEEEviT_T0_T2_T3_T4_T5_.private_seg_size, 0
	.set _ZN2at6native27unrolled_elementwise_kernelIZZZNS0_21clamp_max_kernel_cudaERNS_18TensorIteratorBaseERKN3c106ScalarEENKUlvE_clEvENKUlvE2_clEvEUllE_St5arrayIPcLm2EELi4E23TrivialOffsetCalculatorILi1EjESF_NS0_6memory15LoadWithoutCastENSG_16StoreWithoutCastEEEviT_T0_T2_T3_T4_T5_.uses_vcc, 1
	.set _ZN2at6native27unrolled_elementwise_kernelIZZZNS0_21clamp_max_kernel_cudaERNS_18TensorIteratorBaseERKN3c106ScalarEENKUlvE_clEvENKUlvE2_clEvEUllE_St5arrayIPcLm2EELi4E23TrivialOffsetCalculatorILi1EjESF_NS0_6memory15LoadWithoutCastENSG_16StoreWithoutCastEEEviT_T0_T2_T3_T4_T5_.uses_flat_scratch, 0
	.set _ZN2at6native27unrolled_elementwise_kernelIZZZNS0_21clamp_max_kernel_cudaERNS_18TensorIteratorBaseERKN3c106ScalarEENKUlvE_clEvENKUlvE2_clEvEUllE_St5arrayIPcLm2EELi4E23TrivialOffsetCalculatorILi1EjESF_NS0_6memory15LoadWithoutCastENSG_16StoreWithoutCastEEEviT_T0_T2_T3_T4_T5_.has_dyn_sized_stack, 0
	.set _ZN2at6native27unrolled_elementwise_kernelIZZZNS0_21clamp_max_kernel_cudaERNS_18TensorIteratorBaseERKN3c106ScalarEENKUlvE_clEvENKUlvE2_clEvEUllE_St5arrayIPcLm2EELi4E23TrivialOffsetCalculatorILi1EjESF_NS0_6memory15LoadWithoutCastENSG_16StoreWithoutCastEEEviT_T0_T2_T3_T4_T5_.has_recursion, 0
	.set _ZN2at6native27unrolled_elementwise_kernelIZZZNS0_21clamp_max_kernel_cudaERNS_18TensorIteratorBaseERKN3c106ScalarEENKUlvE_clEvENKUlvE2_clEvEUllE_St5arrayIPcLm2EELi4E23TrivialOffsetCalculatorILi1EjESF_NS0_6memory15LoadWithoutCastENSG_16StoreWithoutCastEEEviT_T0_T2_T3_T4_T5_.has_indirect_call, 0
	.section	.AMDGPU.csdata,"",@progbits
; Kernel info:
; codeLenInByte = 728
; TotalNumSgprs: 18
; NumVgprs: 17
; NumAgprs: 0
; TotalNumVgprs: 17
; ScratchSize: 0
; MemoryBound: 0
; FloatMode: 240
; IeeeMode: 1
; LDSByteSize: 0 bytes/workgroup (compile time only)
; SGPRBlocks: 2
; VGPRBlocks: 2
; NumSGPRsForWavesPerEU: 18
; NumVGPRsForWavesPerEU: 17
; AccumOffset: 20
; Occupancy: 8
; WaveLimiterHint : 0
; COMPUTE_PGM_RSRC2:SCRATCH_EN: 0
; COMPUTE_PGM_RSRC2:USER_SGPR: 2
; COMPUTE_PGM_RSRC2:TRAP_HANDLER: 0
; COMPUTE_PGM_RSRC2:TGID_X_EN: 1
; COMPUTE_PGM_RSRC2:TGID_Y_EN: 0
; COMPUTE_PGM_RSRC2:TGID_Z_EN: 0
; COMPUTE_PGM_RSRC2:TIDIG_COMP_CNT: 0
; COMPUTE_PGM_RSRC3_GFX90A:ACCUM_OFFSET: 4
; COMPUTE_PGM_RSRC3_GFX90A:TG_SPLIT: 0
	.section	.text._ZN2at6native32elementwise_kernel_manual_unrollILi128ELi4EZNS0_22gpu_kernel_impl_nocastIZZZNS0_21clamp_max_kernel_cudaERNS_18TensorIteratorBaseERKN3c106ScalarEENKUlvE_clEvENKUlvE2_clEvEUllE_EEvS4_RKT_EUlibE_EEviT1_,"axG",@progbits,_ZN2at6native32elementwise_kernel_manual_unrollILi128ELi4EZNS0_22gpu_kernel_impl_nocastIZZZNS0_21clamp_max_kernel_cudaERNS_18TensorIteratorBaseERKN3c106ScalarEENKUlvE_clEvENKUlvE2_clEvEUllE_EEvS4_RKT_EUlibE_EEviT1_,comdat
	.globl	_ZN2at6native32elementwise_kernel_manual_unrollILi128ELi4EZNS0_22gpu_kernel_impl_nocastIZZZNS0_21clamp_max_kernel_cudaERNS_18TensorIteratorBaseERKN3c106ScalarEENKUlvE_clEvENKUlvE2_clEvEUllE_EEvS4_RKT_EUlibE_EEviT1_ ; -- Begin function _ZN2at6native32elementwise_kernel_manual_unrollILi128ELi4EZNS0_22gpu_kernel_impl_nocastIZZZNS0_21clamp_max_kernel_cudaERNS_18TensorIteratorBaseERKN3c106ScalarEENKUlvE_clEvENKUlvE2_clEvEUllE_EEvS4_RKT_EUlibE_EEviT1_
	.p2align	8
	.type	_ZN2at6native32elementwise_kernel_manual_unrollILi128ELi4EZNS0_22gpu_kernel_impl_nocastIZZZNS0_21clamp_max_kernel_cudaERNS_18TensorIteratorBaseERKN3c106ScalarEENKUlvE_clEvENKUlvE2_clEvEUllE_EEvS4_RKT_EUlibE_EEviT1_,@function
_ZN2at6native32elementwise_kernel_manual_unrollILi128ELi4EZNS0_22gpu_kernel_impl_nocastIZZZNS0_21clamp_max_kernel_cudaERNS_18TensorIteratorBaseERKN3c106ScalarEENKUlvE_clEvENKUlvE2_clEvEUllE_EEvS4_RKT_EUlibE_EEviT1_: ; @_ZN2at6native32elementwise_kernel_manual_unrollILi128ELi4EZNS0_22gpu_kernel_impl_nocastIZZZNS0_21clamp_max_kernel_cudaERNS_18TensorIteratorBaseERKN3c106ScalarEENKUlvE_clEvENKUlvE2_clEvEUllE_EEvS4_RKT_EUlibE_EEviT1_
; %bb.0:
	s_load_dword s57, s[0:1], 0x0
	s_load_dword s33, s[0:1], 0x8
	s_add_u32 s34, s0, 8
	s_addc_u32 s35, s1, 0
	v_lshl_or_b32 v8, s2, 9, v0
	v_or_b32_e32 v16, 0x180, v8
	s_waitcnt lgkmcnt(0)
	s_add_i32 s56, s33, -1
	s_cmp_gt_u32 s56, 1
	v_cmp_le_i32_e32 vcc, s57, v16
	s_cselect_b64 s[36:37], -1, 0
	s_and_saveexec_b64 s[0:1], vcc
	s_xor_b64 s[38:39], exec, s[0:1]
	s_cbranch_execz .LBB447_8
; %bb.1:
	s_load_dwordx4 s[20:23], s[34:35], 0x4
	s_load_dwordx2 s[42:43], s[34:35], 0x14
	s_load_dwordx2 s[40:41], s[34:35], 0x158
	s_load_dwordx4 s[24:27], s[34:35], 0xc4
	s_load_dwordx4 s[16:19], s[34:35], 0x148
	s_cmp_lg_u32 s33, 0
	s_cselect_b64 s[48:49], -1, 0
	s_add_u32 s46, s34, 0xc4
	s_addc_u32 s47, s35, 0
	s_min_u32 s58, s56, 15
	s_cmp_gt_u32 s33, 1
	s_cselect_b64 s[44:45], -1, 0
	v_cmp_gt_i32_e32 vcc, s57, v8
	s_and_saveexec_b64 s[50:51], vcc
	s_cbranch_execz .LBB447_15
; %bb.2:
	s_andn2_b64 vcc, exec, s[36:37]
	s_cbranch_vccnz .LBB447_23
; %bb.3:
	s_andn2_b64 vcc, exec, s[48:49]
	s_cbranch_vccnz .LBB447_75
; %bb.4:
	s_add_i32 s60, s58, 1
	s_cmp_eq_u32 s56, 2
	s_cbranch_scc1 .LBB447_77
; %bb.5:
	s_and_b32 s59, s60, 28
	s_mov_b32 s61, 0
	v_mov_b32_e32 v0, 0
	v_mov_b32_e32 v2, 0
	s_mov_b64 s[52:53], s[34:35]
	s_mov_b64 s[54:55], s[46:47]
	v_mov_b32_e32 v4, v8
.LBB447_6:                              ; =>This Inner Loop Header: Depth=1
	s_load_dwordx8 s[8:15], s[52:53], 0x4
	s_load_dwordx4 s[28:31], s[52:53], 0x24
	s_load_dwordx8 s[0:7], s[54:55], 0x0
	s_add_u32 s52, s52, 48
	s_addc_u32 s53, s53, 0
	s_waitcnt lgkmcnt(0)
	v_mul_hi_u32 v1, s9, v4
	v_add_u32_e32 v1, v4, v1
	v_lshrrev_b32_e32 v1, s10, v1
	v_mul_lo_u32 v3, v1, s8
	v_mul_hi_u32 v5, s12, v1
	v_sub_u32_e32 v3, v4, v3
	v_add_u32_e32 v4, v1, v5
	v_lshrrev_b32_e32 v4, s13, v4
	v_mul_lo_u32 v6, v4, s11
	v_mul_hi_u32 v7, s15, v4
	v_sub_u32_e32 v1, v1, v6
	v_add_u32_e32 v6, v4, v7
	v_mul_lo_u32 v5, v3, s1
	v_mul_lo_u32 v3, v3, s0
	;; [unrolled: 1-line block ×4, first 2 shown]
	v_lshrrev_b32_e32 v6, s28, v6
	v_add3_u32 v0, v3, v0, v1
	v_mul_hi_u32 v3, s30, v6
	v_add3_u32 v1, v5, v2, v7
	v_mul_lo_u32 v2, v6, s14
	v_add_u32_e32 v3, v6, v3
	v_sub_u32_e32 v2, v4, v2
	v_lshrrev_b32_e32 v4, s31, v3
	s_add_i32 s61, s61, 4
	v_mul_lo_u32 v3, v4, s29
	s_add_u32 s54, s54, 32
	v_sub_u32_e32 v3, v6, v3
	s_addc_u32 s55, s55, 0
	v_mul_lo_u32 v5, v2, s4
	v_mul_lo_u32 v2, v2, s5
	;; [unrolled: 1-line block ×4, first 2 shown]
	s_cmp_lg_u32 s59, s61
	v_add3_u32 v2, v2, v1, v3
	v_add3_u32 v0, v5, v0, v6
	s_cbranch_scc1 .LBB447_6
; %bb.7:
	v_mov_b32_e32 v1, v2
	s_branch .LBB447_78
.LBB447_8:
	s_andn2_saveexec_b64 s[0:1], s[38:39]
	s_cbranch_execz .LBB447_104
.LBB447_9:
	v_cndmask_b32_e64 v0, 0, 1, s[36:37]
	v_cmp_ne_u32_e64 s[0:1], 1, v0
	s_andn2_b64 vcc, exec, s[36:37]
	s_cbranch_vccnz .LBB447_22
; %bb.10:
	s_cmp_lg_u32 s33, 0
	s_waitcnt lgkmcnt(0)
	s_mov_b32 s26, 0
	s_cbranch_scc0 .LBB447_25
; %bb.11:
	s_min_u32 s27, s56, 15
	s_add_i32 s27, s27, 1
	s_cmp_eq_u32 s56, 2
	s_cbranch_scc1 .LBB447_26
; %bb.12:
	s_and_b32 s26, s27, 28
	s_add_u32 s2, s34, 0xc4
	s_addc_u32 s3, s35, 0
	s_mov_b32 s28, 0
	v_mov_b32_e32 v0, 0
	v_mov_b32_e32 v2, 0
	s_mov_b64 s[24:25], s[34:35]
	v_mov_b32_e32 v4, v8
.LBB447_13:                             ; =>This Inner Loop Header: Depth=1
	s_load_dwordx8 s[12:19], s[24:25], 0x4
	s_load_dwordx4 s[20:23], s[24:25], 0x24
	s_load_dwordx8 s[4:11], s[2:3], 0x0
	s_add_u32 s24, s24, 48
	s_addc_u32 s25, s25, 0
	s_waitcnt lgkmcnt(0)
	v_mul_hi_u32 v1, s13, v4
	v_add_u32_e32 v1, v4, v1
	v_lshrrev_b32_e32 v1, s14, v1
	v_mul_lo_u32 v3, v1, s12
	v_mul_hi_u32 v5, s16, v1
	v_sub_u32_e32 v3, v4, v3
	v_add_u32_e32 v4, v1, v5
	v_lshrrev_b32_e32 v4, s17, v4
	v_mul_lo_u32 v6, v4, s15
	v_mul_hi_u32 v7, s19, v4
	v_sub_u32_e32 v1, v1, v6
	v_add_u32_e32 v6, v4, v7
	v_mul_lo_u32 v5, v3, s5
	v_mul_lo_u32 v3, v3, s4
	v_mul_lo_u32 v7, v1, s7
	v_mul_lo_u32 v1, v1, s6
	v_lshrrev_b32_e32 v6, s20, v6
	v_add3_u32 v0, v3, v0, v1
	v_mul_hi_u32 v3, s22, v6
	v_add3_u32 v1, v5, v2, v7
	v_mul_lo_u32 v2, v6, s18
	v_add_u32_e32 v3, v6, v3
	v_sub_u32_e32 v2, v4, v2
	v_lshrrev_b32_e32 v4, s23, v3
	s_add_i32 s28, s28, 4
	v_mul_lo_u32 v3, v4, s21
	s_add_u32 s2, s2, 32
	v_sub_u32_e32 v3, v6, v3
	s_addc_u32 s3, s3, 0
	v_mul_lo_u32 v5, v2, s8
	v_mul_lo_u32 v2, v2, s9
	;; [unrolled: 1-line block ×4, first 2 shown]
	s_cmp_lg_u32 s26, s28
	v_add3_u32 v2, v2, v1, v3
	v_add3_u32 v0, v5, v0, v6
	s_cbranch_scc1 .LBB447_13
; %bb.14:
	v_mov_b32_e32 v1, v2
	s_and_b32 s6, s27, 3
	s_cmp_eq_u32 s6, 0
	s_cbranch_scc0 .LBB447_27
	s_branch .LBB447_29
.LBB447_15:
	s_or_b64 exec, exec, s[50:51]
	v_cmp_gt_i32_e32 vcc, s57, v8
	s_and_saveexec_b64 s[50:51], vcc
	s_cbranch_execz .LBB447_85
.LBB447_16:
	s_andn2_b64 vcc, exec, s[36:37]
	s_cbranch_vccnz .LBB447_24
; %bb.17:
	s_andn2_b64 vcc, exec, s[48:49]
	s_cbranch_vccnz .LBB447_76
; %bb.18:
	s_add_i32 s60, s58, 1
	s_cmp_eq_u32 s56, 2
	s_cbranch_scc1 .LBB447_94
; %bb.19:
	s_and_b32 s59, s60, 28
	s_mov_b32 s61, 0
	v_mov_b32_e32 v0, 0
	v_mov_b32_e32 v2, 0
	s_mov_b64 s[52:53], s[34:35]
	s_mov_b64 s[54:55], s[46:47]
	v_mov_b32_e32 v4, v8
.LBB447_20:                             ; =>This Inner Loop Header: Depth=1
	s_load_dwordx8 s[8:15], s[52:53], 0x4
	s_load_dwordx4 s[28:31], s[52:53], 0x24
	s_load_dwordx8 s[0:7], s[54:55], 0x0
	s_add_u32 s52, s52, 48
	s_addc_u32 s53, s53, 0
	s_waitcnt lgkmcnt(0)
	v_mul_hi_u32 v1, s9, v4
	v_add_u32_e32 v1, v4, v1
	v_lshrrev_b32_e32 v1, s10, v1
	v_mul_lo_u32 v3, v1, s8
	v_mul_hi_u32 v5, s12, v1
	v_sub_u32_e32 v3, v4, v3
	v_add_u32_e32 v4, v1, v5
	v_lshrrev_b32_e32 v4, s13, v4
	v_mul_lo_u32 v6, v4, s11
	v_mul_hi_u32 v7, s15, v4
	v_sub_u32_e32 v1, v1, v6
	v_add_u32_e32 v6, v4, v7
	v_mul_lo_u32 v5, v3, s1
	v_mul_lo_u32 v3, v3, s0
	;; [unrolled: 1-line block ×4, first 2 shown]
	v_lshrrev_b32_e32 v6, s28, v6
	v_add3_u32 v0, v3, v0, v1
	v_mul_hi_u32 v3, s30, v6
	v_add3_u32 v1, v5, v2, v7
	v_mul_lo_u32 v2, v6, s14
	v_add_u32_e32 v3, v6, v3
	v_sub_u32_e32 v2, v4, v2
	v_lshrrev_b32_e32 v4, s31, v3
	s_add_i32 s61, s61, 4
	v_mul_lo_u32 v3, v4, s29
	s_add_u32 s54, s54, 32
	v_sub_u32_e32 v3, v6, v3
	s_addc_u32 s55, s55, 0
	v_mul_lo_u32 v5, v2, s4
	v_mul_lo_u32 v2, v2, s5
	;; [unrolled: 1-line block ×4, first 2 shown]
	s_cmp_eq_u32 s59, s61
	v_add3_u32 v2, v2, v1, v3
	v_add3_u32 v0, v5, v0, v6
	s_cbranch_scc0 .LBB447_20
; %bb.21:
	v_mov_b32_e32 v1, v2
	s_branch .LBB447_95
.LBB447_22:
                                        ; implicit-def: $vgpr2
                                        ; implicit-def: $vgpr0
	s_branch .LBB447_30
.LBB447_23:
                                        ; implicit-def: $vgpr2
                                        ; implicit-def: $vgpr0
	s_branch .LBB447_82
.LBB447_24:
                                        ; implicit-def: $vgpr2
                                        ; implicit-def: $vgpr0
	s_branch .LBB447_99
.LBB447_25:
	v_mov_b32_e32 v2, 0
	v_mov_b32_e32 v0, 0
	s_branch .LBB447_29
.LBB447_26:
	v_mov_b32_e32 v0, 0
                                        ; implicit-def: $vgpr2
	v_mov_b32_e32 v1, v0
	v_mov_b32_e32 v4, v8
	s_and_b32 s6, s27, 3
	s_cmp_eq_u32 s6, 0
	s_cbranch_scc1 .LBB447_29
.LBB447_27:
	s_lshl_b32 s2, s26, 3
	s_add_u32 s2, s34, s2
	s_addc_u32 s3, s35, 0
	s_add_u32 s2, s2, 0xc4
	s_addc_u32 s3, s3, 0
	s_mul_i32 s4, s26, 12
	s_add_u32 s4, s34, s4
	s_addc_u32 s5, s35, 0
.LBB447_28:                             ; =>This Inner Loop Header: Depth=1
	s_load_dwordx2 s[8:9], s[4:5], 0x4
	s_load_dword s7, s[4:5], 0xc
	s_load_dwordx2 s[10:11], s[2:3], 0x0
	v_mov_b32_e32 v2, v1
	s_add_u32 s4, s4, 12
	s_waitcnt lgkmcnt(0)
	v_mul_hi_u32 v1, s9, v4
	v_add_u32_e32 v1, v4, v1
	v_lshrrev_b32_e32 v1, s7, v1
	s_addc_u32 s5, s5, 0
	v_mul_lo_u32 v3, v1, s8
	s_add_u32 s2, s2, 8
	v_sub_u32_e32 v5, v4, v3
	s_addc_u32 s3, s3, 0
	s_add_i32 s6, s6, -1
	v_mov_b32_e32 v4, v1
	v_mad_u64_u32 v[2:3], s[8:9], v5, s11, v[2:3]
	v_mad_u64_u32 v[0:1], s[8:9], v5, s10, v[0:1]
	s_cmp_lg_u32 s6, 0
	v_mov_b32_e32 v1, v2
	s_cbranch_scc1 .LBB447_28
.LBB447_29:
	s_cbranch_execnz .LBB447_32
.LBB447_30:
	s_load_dwordx4 s[4:7], s[34:35], 0x4
	s_load_dwordx2 s[2:3], s[34:35], 0xc4
	s_cmp_lt_u32 s33, 2
	s_waitcnt lgkmcnt(0)
	v_mul_hi_u32 v0, s5, v8
	v_add_u32_e32 v0, v8, v0
	v_lshrrev_b32_e32 v1, s6, v0
	v_mul_lo_u32 v0, v1, s4
	v_sub_u32_e32 v0, v8, v0
	v_mul_lo_u32 v2, v0, s3
	v_mul_lo_u32 v0, v0, s2
	s_cbranch_scc1 .LBB447_32
; %bb.31:
	s_load_dwordx4 s[4:7], s[34:35], 0x10
	s_load_dwordx2 s[2:3], s[34:35], 0xcc
	s_waitcnt lgkmcnt(0)
	v_mul_hi_u32 v3, s5, v1
	v_add_u32_e32 v3, v1, v3
	v_lshrrev_b32_e32 v3, s6, v3
	v_mul_lo_u32 v3, v3, s4
	v_sub_u32_e32 v3, v1, v3
	v_mad_u64_u32 v[0:1], s[4:5], v3, s2, v[0:1]
	v_mad_u64_u32 v[2:3], s[2:3], v3, s3, v[2:3]
.LBB447_32:
	s_and_b64 vcc, exec, s[0:1]
	v_add_u32_e32 v3, 0x80, v8
	s_cbranch_vccnz .LBB447_38
; %bb.33:
	s_cmp_lg_u32 s33, 0
	s_waitcnt lgkmcnt(0)
	s_mov_b32 s26, 0
	s_cbranch_scc0 .LBB447_39
; %bb.34:
	s_min_u32 s27, s56, 15
	s_add_i32 s27, s27, 1
	s_cmp_eq_u32 s56, 2
	s_cbranch_scc1 .LBB447_40
; %bb.35:
	s_and_b32 s26, s27, 28
	s_add_u32 s2, s34, 0xc4
	s_addc_u32 s3, s35, 0
	s_mov_b32 s28, 0
	v_mov_b32_e32 v4, 0
	v_mov_b32_e32 v6, 0
	s_mov_b64 s[24:25], s[34:35]
	v_mov_b32_e32 v9, v3
.LBB447_36:                             ; =>This Inner Loop Header: Depth=1
	s_load_dwordx8 s[12:19], s[24:25], 0x4
	s_load_dwordx4 s[20:23], s[24:25], 0x24
	s_load_dwordx8 s[4:11], s[2:3], 0x0
	s_add_u32 s24, s24, 48
	s_addc_u32 s25, s25, 0
	s_waitcnt lgkmcnt(0)
	v_mul_hi_u32 v1, s13, v9
	v_add_u32_e32 v1, v9, v1
	v_lshrrev_b32_e32 v1, s14, v1
	v_mul_hi_u32 v7, s16, v1
	v_add_u32_e32 v7, v1, v7
	v_lshrrev_b32_e32 v7, s17, v7
	v_mul_lo_u32 v5, v1, s12
	v_mul_lo_u32 v10, v7, s15
	v_mul_hi_u32 v11, s19, v7
	v_sub_u32_e32 v5, v9, v5
	v_sub_u32_e32 v1, v1, v10
	v_add_u32_e32 v10, v7, v11
	v_mul_lo_u32 v9, v5, s5
	v_mul_lo_u32 v5, v5, s4
	;; [unrolled: 1-line block ×4, first 2 shown]
	v_lshrrev_b32_e32 v10, s20, v10
	v_add3_u32 v1, v5, v4, v1
	v_add3_u32 v4, v9, v6, v11
	v_mul_hi_u32 v6, s22, v10
	v_add_u32_e32 v6, v10, v6
	v_lshrrev_b32_e32 v9, s23, v6
	s_add_i32 s28, s28, 4
	v_mul_lo_u32 v5, v10, s18
	v_mul_lo_u32 v6, v9, s21
	s_add_u32 s2, s2, 32
	v_sub_u32_e32 v5, v7, v5
	v_sub_u32_e32 v6, v10, v6
	s_addc_u32 s3, s3, 0
	v_mul_lo_u32 v7, v5, s8
	v_mul_lo_u32 v5, v5, s9
	;; [unrolled: 1-line block ×4, first 2 shown]
	s_cmp_lg_u32 s26, s28
	v_add3_u32 v6, v5, v4, v6
	v_add3_u32 v4, v7, v1, v10
	s_cbranch_scc1 .LBB447_36
; %bb.37:
	v_mov_b32_e32 v1, v6
	s_and_b32 s6, s27, 3
	s_cmp_eq_u32 s6, 0
	s_cbranch_scc0 .LBB447_41
	s_branch .LBB447_43
.LBB447_38:
                                        ; implicit-def: $vgpr6
                                        ; implicit-def: $vgpr4
	s_branch .LBB447_44
.LBB447_39:
	v_mov_b32_e32 v6, 0
	v_mov_b32_e32 v4, 0
	s_branch .LBB447_43
.LBB447_40:
	v_mov_b32_e32 v4, 0
                                        ; implicit-def: $vgpr6
	v_mov_b32_e32 v1, v4
	v_mov_b32_e32 v9, v3
	s_and_b32 s6, s27, 3
	s_cmp_eq_u32 s6, 0
	s_cbranch_scc1 .LBB447_43
.LBB447_41:
	s_lshl_b32 s2, s26, 3
	s_add_u32 s2, s34, s2
	s_addc_u32 s3, s35, 0
	s_add_u32 s2, s2, 0xc4
	s_addc_u32 s3, s3, 0
	s_mul_i32 s4, s26, 12
	s_add_u32 s4, s34, s4
	s_addc_u32 s5, s35, 0
.LBB447_42:                             ; =>This Inner Loop Header: Depth=1
	s_load_dwordx2 s[8:9], s[4:5], 0x4
	s_load_dword s7, s[4:5], 0xc
	s_load_dwordx2 s[10:11], s[2:3], 0x0
	v_mov_b32_e32 v6, v1
	s_add_u32 s4, s4, 12
	s_waitcnt lgkmcnt(0)
	v_mul_hi_u32 v1, s9, v9
	v_add_u32_e32 v1, v9, v1
	v_lshrrev_b32_e32 v1, s7, v1
	s_addc_u32 s5, s5, 0
	v_mul_lo_u32 v5, v1, s8
	s_add_u32 s2, s2, 8
	v_sub_u32_e32 v5, v9, v5
	s_addc_u32 s3, s3, 0
	s_add_i32 s6, s6, -1
	v_mad_u64_u32 v[6:7], s[8:9], v5, s11, v[6:7]
	s_cmp_lg_u32 s6, 0
	v_mov_b32_e32 v9, v1
	v_mad_u64_u32 v[4:5], s[8:9], v5, s10, v[4:5]
	v_mov_b32_e32 v1, v6
	s_cbranch_scc1 .LBB447_42
.LBB447_43:
	s_cbranch_execnz .LBB447_46
.LBB447_44:
	s_load_dwordx4 s[4:7], s[34:35], 0x4
	s_load_dwordx2 s[2:3], s[34:35], 0xc4
	s_cmp_lt_u32 s33, 2
	s_waitcnt lgkmcnt(0)
	v_mul_hi_u32 v1, s5, v3
	v_add_u32_e32 v1, v3, v1
	v_lshrrev_b32_e32 v1, s6, v1
	v_mul_lo_u32 v4, v1, s4
	v_sub_u32_e32 v3, v3, v4
	v_mul_lo_u32 v6, v3, s3
	v_mul_lo_u32 v4, v3, s2
	s_cbranch_scc1 .LBB447_46
; %bb.45:
	s_load_dwordx4 s[4:7], s[34:35], 0x10
	s_load_dwordx2 s[2:3], s[34:35], 0xcc
	s_waitcnt lgkmcnt(0)
	v_mul_hi_u32 v3, s5, v1
	v_add_u32_e32 v3, v1, v3
	v_lshrrev_b32_e32 v3, s6, v3
	v_mul_lo_u32 v3, v3, s4
	v_sub_u32_e32 v1, v1, v3
	v_mad_u64_u32 v[4:5], s[4:5], v1, s2, v[4:5]
	v_mad_u64_u32 v[6:7], s[2:3], v1, s3, v[6:7]
.LBB447_46:
	s_and_b64 vcc, exec, s[0:1]
	v_add_u32_e32 v3, 0x100, v8
	s_cbranch_vccnz .LBB447_52
; %bb.47:
	s_cmp_lg_u32 s33, 0
	s_waitcnt lgkmcnt(0)
	s_mov_b32 s26, 0
	s_cbranch_scc0 .LBB447_53
; %bb.48:
	s_min_u32 s27, s56, 15
	s_add_i32 s27, s27, 1
	s_cmp_eq_u32 s56, 2
	s_cbranch_scc1 .LBB447_54
; %bb.49:
	s_and_b32 s26, s27, 28
	s_add_u32 s2, s34, 0xc4
	s_addc_u32 s3, s35, 0
	s_mov_b32 s28, 0
	v_mov_b32_e32 v8, 0
	v_mov_b32_e32 v10, 0
	s_mov_b64 s[24:25], s[34:35]
	v_mov_b32_e32 v5, v3
.LBB447_50:                             ; =>This Inner Loop Header: Depth=1
	s_load_dwordx8 s[12:19], s[24:25], 0x4
	s_load_dwordx4 s[20:23], s[24:25], 0x24
	s_load_dwordx8 s[4:11], s[2:3], 0x0
	s_add_u32 s24, s24, 48
	s_addc_u32 s25, s25, 0
	s_waitcnt lgkmcnt(0)
	v_mul_hi_u32 v1, s13, v5
	v_add_u32_e32 v1, v5, v1
	v_lshrrev_b32_e32 v1, s14, v1
	v_mul_lo_u32 v7, v1, s12
	v_mul_hi_u32 v9, s16, v1
	v_sub_u32_e32 v5, v5, v7
	v_add_u32_e32 v7, v1, v9
	v_lshrrev_b32_e32 v7, s17, v7
	v_mul_lo_u32 v11, v7, s15
	v_mul_hi_u32 v12, s19, v7
	v_sub_u32_e32 v1, v1, v11
	v_add_u32_e32 v11, v7, v12
	v_mul_lo_u32 v9, v5, s5
	v_mul_lo_u32 v5, v5, s4
	;; [unrolled: 1-line block ×4, first 2 shown]
	v_lshrrev_b32_e32 v11, s20, v11
	v_add3_u32 v1, v5, v8, v1
	v_add3_u32 v8, v9, v10, v12
	v_mul_lo_u32 v5, v11, s18
	v_mul_hi_u32 v9, s22, v11
	v_sub_u32_e32 v5, v7, v5
	v_add_u32_e32 v7, v11, v9
	v_mul_lo_u32 v9, v5, s8
	v_mul_lo_u32 v10, v5, s9
	v_lshrrev_b32_e32 v5, s23, v7
	s_add_i32 s28, s28, 4
	v_mul_lo_u32 v7, v5, s21
	s_add_u32 s2, s2, 32
	v_sub_u32_e32 v7, v11, v7
	s_addc_u32 s3, s3, 0
	v_mul_lo_u32 v11, v7, s10
	v_mul_lo_u32 v7, v7, s11
	s_cmp_lg_u32 s26, s28
	v_add3_u32 v10, v10, v8, v7
	v_add3_u32 v8, v9, v1, v11
	s_cbranch_scc1 .LBB447_50
; %bb.51:
	v_mov_b32_e32 v1, v10
	s_and_b32 s6, s27, 3
	s_cmp_eq_u32 s6, 0
	s_cbranch_scc0 .LBB447_55
	s_branch .LBB447_57
.LBB447_52:
                                        ; implicit-def: $vgpr10
                                        ; implicit-def: $vgpr8
	s_branch .LBB447_58
.LBB447_53:
	v_mov_b32_e32 v10, 0
	v_mov_b32_e32 v8, 0
	s_branch .LBB447_57
.LBB447_54:
	v_mov_b32_e32 v8, 0
                                        ; implicit-def: $vgpr10
	v_mov_b32_e32 v1, v8
	v_mov_b32_e32 v5, v3
	s_and_b32 s6, s27, 3
	s_cmp_eq_u32 s6, 0
	s_cbranch_scc1 .LBB447_57
.LBB447_55:
	s_lshl_b32 s2, s26, 3
	s_add_u32 s2, s34, s2
	s_addc_u32 s3, s35, 0
	s_add_u32 s2, s2, 0xc4
	s_addc_u32 s3, s3, 0
	s_mul_i32 s4, s26, 12
	s_add_u32 s4, s34, s4
	s_addc_u32 s5, s35, 0
.LBB447_56:                             ; =>This Inner Loop Header: Depth=1
	s_load_dwordx2 s[8:9], s[4:5], 0x4
	s_load_dword s7, s[4:5], 0xc
	s_load_dwordx2 s[10:11], s[2:3], 0x0
	v_mov_b32_e32 v10, v1
	s_add_u32 s4, s4, 12
	s_waitcnt lgkmcnt(0)
	v_mul_hi_u32 v1, s9, v5
	v_add_u32_e32 v1, v5, v1
	v_lshrrev_b32_e32 v1, s7, v1
	s_addc_u32 s5, s5, 0
	v_mul_lo_u32 v7, v1, s8
	s_add_u32 s2, s2, 8
	v_sub_u32_e32 v7, v5, v7
	s_addc_u32 s3, s3, 0
	s_add_i32 s6, s6, -1
	v_mad_u64_u32 v[10:11], s[8:9], v7, s11, v[10:11]
	s_cmp_lg_u32 s6, 0
	v_mov_b32_e32 v5, v1
	v_mad_u64_u32 v[8:9], s[8:9], v7, s10, v[8:9]
	v_mov_b32_e32 v1, v10
	s_cbranch_scc1 .LBB447_56
.LBB447_57:
	s_cbranch_execnz .LBB447_60
.LBB447_58:
	s_load_dwordx4 s[4:7], s[34:35], 0x4
	s_load_dwordx2 s[2:3], s[34:35], 0xc4
	s_cmp_lt_u32 s33, 2
	s_waitcnt lgkmcnt(0)
	v_mul_hi_u32 v1, s5, v3
	v_add_u32_e32 v1, v3, v1
	v_lshrrev_b32_e32 v1, s6, v1
	v_mul_lo_u32 v5, v1, s4
	v_sub_u32_e32 v3, v3, v5
	v_mul_lo_u32 v10, v3, s3
	v_mul_lo_u32 v8, v3, s2
	s_cbranch_scc1 .LBB447_60
; %bb.59:
	s_load_dwordx4 s[4:7], s[34:35], 0x10
	s_load_dwordx2 s[2:3], s[34:35], 0xcc
	s_waitcnt lgkmcnt(0)
	v_mul_hi_u32 v3, s5, v1
	v_add_u32_e32 v3, v1, v3
	v_lshrrev_b32_e32 v3, s6, v3
	v_mul_lo_u32 v3, v3, s4
	v_sub_u32_e32 v1, v1, v3
	v_mad_u64_u32 v[8:9], s[4:5], v1, s2, v[8:9]
	v_mad_u64_u32 v[10:11], s[2:3], v1, s3, v[10:11]
.LBB447_60:
	s_and_b64 vcc, exec, s[0:1]
	s_cbranch_vccnz .LBB447_66
; %bb.61:
	s_cmp_lg_u32 s33, 0
	s_waitcnt lgkmcnt(0)
	s_mov_b32 s24, 0
	s_cbranch_scc0 .LBB447_67
; %bb.62:
	s_min_u32 s25, s56, 15
	s_add_i32 s25, s25, 1
	s_cmp_eq_u32 s56, 2
	s_cbranch_scc1 .LBB447_68
; %bb.63:
	s_and_b32 s24, s25, 28
	s_add_u32 s20, s34, 0xc4
	s_addc_u32 s21, s35, 0
	s_mov_b32 s26, 0
	v_mov_b32_e32 v12, 0
	v_mov_b32_e32 v14, 0
	s_mov_b64 s[22:23], s[34:35]
	v_mov_b32_e32 v3, v16
.LBB447_64:                             ; =>This Inner Loop Header: Depth=1
	s_load_dwordx8 s[8:15], s[22:23], 0x4
	s_load_dwordx4 s[16:19], s[22:23], 0x24
	s_load_dwordx8 s[0:7], s[20:21], 0x0
	s_add_u32 s22, s22, 48
	s_addc_u32 s23, s23, 0
	s_waitcnt lgkmcnt(0)
	v_mul_hi_u32 v1, s9, v3
	v_add_u32_e32 v1, v3, v1
	v_lshrrev_b32_e32 v1, s10, v1
	v_mul_lo_u32 v5, v1, s8
	v_mul_hi_u32 v7, s12, v1
	v_sub_u32_e32 v3, v3, v5
	v_add_u32_e32 v5, v1, v7
	v_lshrrev_b32_e32 v5, s13, v5
	v_mul_lo_u32 v9, v5, s11
	v_mul_hi_u32 v11, s15, v5
	v_sub_u32_e32 v1, v1, v9
	v_add_u32_e32 v9, v5, v11
	v_mul_lo_u32 v7, v3, s1
	v_mul_lo_u32 v3, v3, s0
	;; [unrolled: 1-line block ×4, first 2 shown]
	v_lshrrev_b32_e32 v9, s16, v9
	v_add3_u32 v1, v3, v12, v1
	v_add3_u32 v7, v7, v14, v11
	v_mul_lo_u32 v3, v9, s14
	v_mul_hi_u32 v11, s18, v9
	v_sub_u32_e32 v3, v5, v3
	v_add_u32_e32 v5, v9, v11
	v_mul_lo_u32 v11, v3, s4
	v_mul_lo_u32 v12, v3, s5
	v_lshrrev_b32_e32 v3, s19, v5
	s_add_i32 s26, s26, 4
	v_mul_lo_u32 v5, v3, s17
	s_add_u32 s20, s20, 32
	v_sub_u32_e32 v5, v9, v5
	s_addc_u32 s21, s21, 0
	v_mul_lo_u32 v9, v5, s6
	v_mul_lo_u32 v5, v5, s7
	s_cmp_lg_u32 s24, s26
	v_add3_u32 v14, v12, v7, v5
	v_add3_u32 v12, v11, v1, v9
	s_cbranch_scc1 .LBB447_64
; %bb.65:
	v_mov_b32_e32 v1, v14
	s_and_b32 s4, s25, 3
	s_cmp_eq_u32 s4, 0
	s_cbranch_scc0 .LBB447_69
	s_branch .LBB447_71
.LBB447_66:
                                        ; implicit-def: $vgpr14
                                        ; implicit-def: $vgpr12
	s_branch .LBB447_72
.LBB447_67:
	v_mov_b32_e32 v14, 0
	v_mov_b32_e32 v12, 0
	s_branch .LBB447_71
.LBB447_68:
	v_mov_b32_e32 v12, 0
                                        ; implicit-def: $vgpr14
	v_mov_b32_e32 v1, v12
	v_mov_b32_e32 v3, v16
	s_and_b32 s4, s25, 3
	s_cmp_eq_u32 s4, 0
	s_cbranch_scc1 .LBB447_71
.LBB447_69:
	s_lshl_b32 s0, s24, 3
	s_add_u32 s0, s34, s0
	s_addc_u32 s1, s35, 0
	s_add_u32 s0, s0, 0xc4
	s_addc_u32 s1, s1, 0
	s_mul_i32 s2, s24, 12
	s_add_u32 s2, s34, s2
	s_addc_u32 s3, s35, 0
.LBB447_70:                             ; =>This Inner Loop Header: Depth=1
	s_load_dwordx2 s[6:7], s[2:3], 0x4
	s_load_dword s5, s[2:3], 0xc
	s_load_dwordx2 s[8:9], s[0:1], 0x0
	v_mov_b32_e32 v14, v1
	s_add_u32 s2, s2, 12
	s_waitcnt lgkmcnt(0)
	v_mul_hi_u32 v1, s7, v3
	v_add_u32_e32 v1, v3, v1
	v_lshrrev_b32_e32 v1, s5, v1
	s_addc_u32 s3, s3, 0
	v_mul_lo_u32 v5, v1, s6
	s_add_u32 s0, s0, 8
	v_sub_u32_e32 v5, v3, v5
	s_addc_u32 s1, s1, 0
	s_add_i32 s4, s4, -1
	v_mad_u64_u32 v[14:15], s[6:7], v5, s9, v[14:15]
	s_cmp_lg_u32 s4, 0
	v_mov_b32_e32 v3, v1
	v_mad_u64_u32 v[12:13], s[6:7], v5, s8, v[12:13]
	v_mov_b32_e32 v1, v14
	s_cbranch_scc1 .LBB447_70
.LBB447_71:
	s_cbranch_execnz .LBB447_74
.LBB447_72:
	s_load_dwordx4 s[0:3], s[34:35], 0x4
	s_load_dwordx2 s[4:5], s[34:35], 0xc4
	s_cmp_lt_u32 s33, 2
	s_waitcnt lgkmcnt(0)
	v_mul_hi_u32 v1, s1, v16
	v_add_u32_e32 v1, v16, v1
	v_lshrrev_b32_e32 v1, s2, v1
	v_mul_lo_u32 v3, v1, s0
	v_sub_u32_e32 v3, v16, v3
	v_mul_lo_u32 v14, v3, s5
	v_mul_lo_u32 v12, v3, s4
	s_cbranch_scc1 .LBB447_74
; %bb.73:
	s_load_dwordx4 s[0:3], s[34:35], 0x10
	s_load_dwordx2 s[4:5], s[34:35], 0xcc
	s_waitcnt lgkmcnt(0)
	v_mul_hi_u32 v3, s1, v1
	v_add_u32_e32 v3, v1, v3
	v_lshrrev_b32_e32 v3, s2, v3
	v_mul_lo_u32 v3, v3, s0
	v_sub_u32_e32 v1, v1, v3
	v_mad_u64_u32 v[12:13], s[0:1], v1, s4, v[12:13]
	v_mad_u64_u32 v[14:15], s[0:1], v1, s5, v[14:15]
.LBB447_74:
	s_load_dwordx4 s[8:11], s[34:35], 0x148
	s_load_dwordx2 s[4:5], s[34:35], 0x158
	s_waitcnt lgkmcnt(0)
	global_load_dwordx2 v[16:17], v2, s[10:11]
	global_load_dwordx2 v[18:19], v6, s[10:11]
	;; [unrolled: 1-line block ×4, first 2 shown]
	v_mov_b32_e32 v1, s5
	v_mov_b32_e32 v5, s4
	s_waitcnt vmcnt(3)
	v_cmp_gt_i64_e32 vcc, s[4:5], v[16:17]
	s_nop 1
	v_cndmask_b32_e32 v3, v1, v17, vcc
	s_waitcnt vmcnt(2)
	v_cmp_gt_i64_e64 s[0:1], s[4:5], v[18:19]
	s_waitcnt vmcnt(1)
	v_cmp_gt_i64_e64 s[2:3], s[4:5], v[20:21]
	;; [unrolled: 2-line block ×3, first 2 shown]
	v_cndmask_b32_e32 v2, v5, v16, vcc
	v_cndmask_b32_e64 v7, v1, v19, s[0:1]
	v_cndmask_b32_e64 v11, v1, v21, s[2:3]
	;; [unrolled: 1-line block ×6, first 2 shown]
	global_store_dwordx2 v0, v[2:3], s[8:9]
	global_store_dwordx2 v4, v[6:7], s[8:9]
	;; [unrolled: 1-line block ×4, first 2 shown]
	s_endpgm
.LBB447_75:
	v_mov_b32_e32 v2, 0
	v_mov_b32_e32 v0, 0
	s_branch .LBB447_81
.LBB447_76:
	v_mov_b32_e32 v2, 0
	v_mov_b32_e32 v0, 0
	s_branch .LBB447_98
.LBB447_77:
	v_mov_b32_e32 v0, 0
	s_mov_b32 s59, 0
	v_mov_b32_e32 v1, v0
                                        ; implicit-def: $vgpr2
	v_mov_b32_e32 v4, v8
.LBB447_78:
	s_and_b32 s4, s60, 3
	s_cmp_eq_u32 s4, 0
	s_cbranch_scc1 .LBB447_81
; %bb.79:
	s_lshl_b32 s0, s59, 3
	s_add_u32 s0, s34, s0
	s_addc_u32 s1, s35, 0
	s_add_u32 s0, s0, 0xc4
	s_addc_u32 s1, s1, 0
	s_mul_i32 s2, s59, 12
	s_add_u32 s2, s34, s2
	s_addc_u32 s3, s35, 0
.LBB447_80:                             ; =>This Inner Loop Header: Depth=1
	s_load_dwordx2 s[6:7], s[2:3], 0x4
	s_load_dword s5, s[2:3], 0xc
	s_load_dwordx2 s[8:9], s[0:1], 0x0
	v_mov_b32_e32 v2, v1
	s_add_u32 s2, s2, 12
	s_waitcnt lgkmcnt(0)
	v_mul_hi_u32 v1, s7, v4
	v_add_u32_e32 v1, v4, v1
	v_lshrrev_b32_e32 v1, s5, v1
	s_addc_u32 s3, s3, 0
	v_mul_lo_u32 v3, v1, s6
	s_add_u32 s0, s0, 8
	v_sub_u32_e32 v5, v4, v3
	s_addc_u32 s1, s1, 0
	s_add_i32 s4, s4, -1
	v_mov_b32_e32 v4, v1
	v_mad_u64_u32 v[2:3], s[6:7], v5, s9, v[2:3]
	v_mad_u64_u32 v[0:1], s[6:7], v5, s8, v[0:1]
	s_cmp_lg_u32 s4, 0
	v_mov_b32_e32 v1, v2
	s_cbranch_scc1 .LBB447_80
.LBB447_81:
	s_cbranch_execnz .LBB447_84
.LBB447_82:
	s_waitcnt lgkmcnt(0)
	v_mul_hi_u32 v0, s21, v8
	v_add_u32_e32 v0, v8, v0
	v_lshrrev_b32_e32 v1, s22, v0
	v_mul_lo_u32 v0, v1, s20
	v_sub_u32_e32 v0, v8, v0
	v_mul_lo_u32 v2, v0, s25
	s_andn2_b64 vcc, exec, s[44:45]
	v_mul_lo_u32 v0, v0, s24
	s_cbranch_vccnz .LBB447_84
; %bb.83:
	v_mul_hi_u32 v3, s42, v1
	v_add_u32_e32 v3, v1, v3
	v_lshrrev_b32_e32 v3, s43, v3
	v_mul_lo_u32 v3, v3, s23
	v_sub_u32_e32 v3, v1, v3
	v_mad_u64_u32 v[0:1], s[0:1], v3, s26, v[0:1]
	v_mad_u64_u32 v[2:3], s[0:1], v3, s27, v[2:3]
.LBB447_84:
	s_waitcnt lgkmcnt(0)
	global_load_dwordx2 v[2:3], v2, s[18:19]
	v_mov_b32_e32 v1, s41
	v_mov_b32_e32 v4, s40
	v_add_u32_e32 v8, 0x80, v8
	s_waitcnt vmcnt(0)
	v_cmp_gt_i64_e32 vcc, s[40:41], v[2:3]
	s_nop 1
	v_cndmask_b32_e32 v3, v1, v3, vcc
	v_cndmask_b32_e32 v2, v4, v2, vcc
	global_store_dwordx2 v0, v[2:3], s[16:17]
	s_or_b64 exec, exec, s[50:51]
	v_cmp_gt_i32_e32 vcc, s57, v8
	s_and_saveexec_b64 s[50:51], vcc
	s_cbranch_execnz .LBB447_16
.LBB447_85:
	s_or_b64 exec, exec, s[50:51]
	v_cmp_gt_i32_e32 vcc, s57, v8
	s_and_saveexec_b64 s[50:51], vcc
	s_cbranch_execz .LBB447_102
.LBB447_86:
	s_andn2_b64 vcc, exec, s[36:37]
	s_cbranch_vccnz .LBB447_92
; %bb.87:
	s_andn2_b64 vcc, exec, s[48:49]
	s_cbranch_vccnz .LBB447_93
; %bb.88:
	s_add_i32 s60, s58, 1
	s_cmp_eq_u32 s56, 2
	s_cbranch_scc1 .LBB447_105
; %bb.89:
	s_and_b32 s59, s60, 28
	s_mov_b32 s61, 0
	v_mov_b32_e32 v0, 0
	v_mov_b32_e32 v2, 0
	s_mov_b64 s[52:53], s[34:35]
	s_mov_b64 s[54:55], s[46:47]
	v_mov_b32_e32 v4, v8
.LBB447_90:                             ; =>This Inner Loop Header: Depth=1
	s_load_dwordx8 s[8:15], s[52:53], 0x4
	s_load_dwordx4 s[28:31], s[52:53], 0x24
	s_load_dwordx8 s[0:7], s[54:55], 0x0
	s_add_u32 s52, s52, 48
	s_addc_u32 s53, s53, 0
	s_waitcnt lgkmcnt(0)
	v_mul_hi_u32 v1, s9, v4
	v_add_u32_e32 v1, v4, v1
	v_lshrrev_b32_e32 v1, s10, v1
	v_mul_lo_u32 v3, v1, s8
	v_mul_hi_u32 v5, s12, v1
	v_sub_u32_e32 v3, v4, v3
	v_add_u32_e32 v4, v1, v5
	v_lshrrev_b32_e32 v4, s13, v4
	v_mul_lo_u32 v6, v4, s11
	v_mul_hi_u32 v7, s15, v4
	v_sub_u32_e32 v1, v1, v6
	v_add_u32_e32 v6, v4, v7
	v_mul_lo_u32 v5, v3, s1
	v_mul_lo_u32 v3, v3, s0
	;; [unrolled: 1-line block ×4, first 2 shown]
	v_lshrrev_b32_e32 v6, s28, v6
	v_add3_u32 v0, v3, v0, v1
	v_mul_hi_u32 v3, s30, v6
	v_add3_u32 v1, v5, v2, v7
	v_mul_lo_u32 v2, v6, s14
	v_add_u32_e32 v3, v6, v3
	v_sub_u32_e32 v2, v4, v2
	v_lshrrev_b32_e32 v4, s31, v3
	s_add_i32 s61, s61, 4
	v_mul_lo_u32 v3, v4, s29
	s_add_u32 s54, s54, 32
	v_sub_u32_e32 v3, v6, v3
	s_addc_u32 s55, s55, 0
	v_mul_lo_u32 v5, v2, s4
	v_mul_lo_u32 v2, v2, s5
	;; [unrolled: 1-line block ×4, first 2 shown]
	s_cmp_eq_u32 s59, s61
	v_add3_u32 v2, v2, v1, v3
	v_add3_u32 v0, v5, v0, v6
	s_cbranch_scc0 .LBB447_90
; %bb.91:
	v_mov_b32_e32 v1, v2
	s_branch .LBB447_106
.LBB447_92:
                                        ; implicit-def: $vgpr2
                                        ; implicit-def: $vgpr0
	s_branch .LBB447_110
.LBB447_93:
	v_mov_b32_e32 v2, 0
	v_mov_b32_e32 v0, 0
	s_branch .LBB447_109
.LBB447_94:
	v_mov_b32_e32 v0, 0
	s_mov_b32 s59, 0
	v_mov_b32_e32 v1, v0
                                        ; implicit-def: $vgpr2
	v_mov_b32_e32 v4, v8
.LBB447_95:
	s_and_b32 s4, s60, 3
	s_cmp_eq_u32 s4, 0
	s_cbranch_scc1 .LBB447_98
; %bb.96:
	s_lshl_b32 s0, s59, 3
	s_add_u32 s0, s34, s0
	s_addc_u32 s1, s35, 0
	s_add_u32 s0, s0, 0xc4
	s_addc_u32 s1, s1, 0
	s_mul_i32 s2, s59, 12
	s_add_u32 s2, s34, s2
	s_addc_u32 s3, s35, 0
.LBB447_97:                             ; =>This Inner Loop Header: Depth=1
	s_load_dwordx2 s[6:7], s[2:3], 0x4
	s_load_dword s5, s[2:3], 0xc
	s_load_dwordx2 s[8:9], s[0:1], 0x0
	v_mov_b32_e32 v2, v1
	s_add_u32 s2, s2, 12
	s_waitcnt lgkmcnt(0)
	v_mul_hi_u32 v1, s7, v4
	v_add_u32_e32 v1, v4, v1
	v_lshrrev_b32_e32 v1, s5, v1
	s_addc_u32 s3, s3, 0
	v_mul_lo_u32 v3, v1, s6
	s_add_u32 s0, s0, 8
	v_sub_u32_e32 v5, v4, v3
	s_addc_u32 s1, s1, 0
	s_add_i32 s4, s4, -1
	v_mov_b32_e32 v4, v1
	v_mad_u64_u32 v[2:3], s[6:7], v5, s9, v[2:3]
	v_mad_u64_u32 v[0:1], s[6:7], v5, s8, v[0:1]
	s_cmp_lg_u32 s4, 0
	v_mov_b32_e32 v1, v2
	s_cbranch_scc1 .LBB447_97
.LBB447_98:
	s_cbranch_execnz .LBB447_101
.LBB447_99:
	s_waitcnt lgkmcnt(0)
	v_mul_hi_u32 v0, s21, v8
	v_add_u32_e32 v0, v8, v0
	v_lshrrev_b32_e32 v1, s22, v0
	v_mul_lo_u32 v0, v1, s20
	v_sub_u32_e32 v0, v8, v0
	v_mul_lo_u32 v2, v0, s25
	s_andn2_b64 vcc, exec, s[44:45]
	v_mul_lo_u32 v0, v0, s24
	s_cbranch_vccnz .LBB447_101
; %bb.100:
	v_mul_hi_u32 v3, s42, v1
	v_add_u32_e32 v3, v1, v3
	v_lshrrev_b32_e32 v3, s43, v3
	v_mul_lo_u32 v3, v3, s23
	v_sub_u32_e32 v3, v1, v3
	v_mad_u64_u32 v[0:1], s[0:1], v3, s26, v[0:1]
	v_mad_u64_u32 v[2:3], s[0:1], v3, s27, v[2:3]
.LBB447_101:
	s_waitcnt lgkmcnt(0)
	global_load_dwordx2 v[2:3], v2, s[18:19]
	v_mov_b32_e32 v1, s41
	v_mov_b32_e32 v4, s40
	v_add_u32_e32 v8, 0x80, v8
	s_waitcnt vmcnt(0)
	v_cmp_gt_i64_e32 vcc, s[40:41], v[2:3]
	s_nop 1
	v_cndmask_b32_e32 v3, v1, v3, vcc
	v_cndmask_b32_e32 v2, v4, v2, vcc
	global_store_dwordx2 v0, v[2:3], s[16:17]
	s_or_b64 exec, exec, s[50:51]
	v_cmp_gt_i32_e32 vcc, s57, v8
	s_and_saveexec_b64 s[50:51], vcc
	s_cbranch_execnz .LBB447_86
.LBB447_102:
	s_or_b64 exec, exec, s[50:51]
	v_cmp_gt_i32_e32 vcc, s57, v8
	s_and_saveexec_b64 s[50:51], vcc
	s_cbranch_execnz .LBB447_113
.LBB447_103:
	s_or_b64 exec, exec, s[50:51]
                                        ; implicit-def: $vgpr16
                                        ; implicit-def: $vgpr8
	s_andn2_saveexec_b64 s[0:1], s[38:39]
	s_cbranch_execnz .LBB447_9
.LBB447_104:
	s_endpgm
.LBB447_105:
	v_mov_b32_e32 v0, 0
	s_mov_b32 s59, 0
	v_mov_b32_e32 v1, v0
                                        ; implicit-def: $vgpr2
	v_mov_b32_e32 v4, v8
.LBB447_106:
	s_and_b32 s4, s60, 3
	s_cmp_eq_u32 s4, 0
	s_cbranch_scc1 .LBB447_109
; %bb.107:
	s_lshl_b32 s0, s59, 3
	s_add_u32 s0, s34, s0
	s_addc_u32 s1, s35, 0
	s_add_u32 s0, s0, 0xc4
	s_addc_u32 s1, s1, 0
	s_mul_i32 s2, s59, 12
	s_add_u32 s2, s34, s2
	s_addc_u32 s3, s35, 0
.LBB447_108:                            ; =>This Inner Loop Header: Depth=1
	s_load_dwordx2 s[6:7], s[2:3], 0x4
	s_load_dword s5, s[2:3], 0xc
	s_load_dwordx2 s[8:9], s[0:1], 0x0
	v_mov_b32_e32 v2, v1
	s_add_u32 s2, s2, 12
	s_waitcnt lgkmcnt(0)
	v_mul_hi_u32 v1, s7, v4
	v_add_u32_e32 v1, v4, v1
	v_lshrrev_b32_e32 v1, s5, v1
	s_addc_u32 s3, s3, 0
	v_mul_lo_u32 v3, v1, s6
	s_add_u32 s0, s0, 8
	v_sub_u32_e32 v5, v4, v3
	s_addc_u32 s1, s1, 0
	s_add_i32 s4, s4, -1
	v_mov_b32_e32 v4, v1
	v_mad_u64_u32 v[2:3], s[6:7], v5, s9, v[2:3]
	v_mad_u64_u32 v[0:1], s[6:7], v5, s8, v[0:1]
	s_cmp_lg_u32 s4, 0
	v_mov_b32_e32 v1, v2
	s_cbranch_scc1 .LBB447_108
.LBB447_109:
	s_cbranch_execnz .LBB447_112
.LBB447_110:
	s_waitcnt lgkmcnt(0)
	v_mul_hi_u32 v0, s21, v8
	v_add_u32_e32 v0, v8, v0
	v_lshrrev_b32_e32 v1, s22, v0
	v_mul_lo_u32 v0, v1, s20
	v_sub_u32_e32 v0, v8, v0
	v_mul_lo_u32 v2, v0, s25
	s_andn2_b64 vcc, exec, s[44:45]
	v_mul_lo_u32 v0, v0, s24
	s_cbranch_vccnz .LBB447_112
; %bb.111:
	v_mul_hi_u32 v3, s42, v1
	v_add_u32_e32 v3, v1, v3
	v_lshrrev_b32_e32 v3, s43, v3
	v_mul_lo_u32 v3, v3, s23
	v_sub_u32_e32 v3, v1, v3
	v_mad_u64_u32 v[0:1], s[0:1], v3, s26, v[0:1]
	v_mad_u64_u32 v[2:3], s[0:1], v3, s27, v[2:3]
.LBB447_112:
	s_waitcnt lgkmcnt(0)
	global_load_dwordx2 v[2:3], v2, s[18:19]
	v_mov_b32_e32 v1, s41
	v_mov_b32_e32 v4, s40
	v_add_u32_e32 v8, 0x80, v8
	s_waitcnt vmcnt(0)
	v_cmp_gt_i64_e32 vcc, s[40:41], v[2:3]
	s_nop 1
	v_cndmask_b32_e32 v3, v1, v3, vcc
	v_cndmask_b32_e32 v2, v4, v2, vcc
	global_store_dwordx2 v0, v[2:3], s[16:17]
	s_or_b64 exec, exec, s[50:51]
	v_cmp_gt_i32_e32 vcc, s57, v8
	s_and_saveexec_b64 s[50:51], vcc
	s_cbranch_execz .LBB447_103
.LBB447_113:
	s_andn2_b64 vcc, exec, s[36:37]
	s_cbranch_vccnz .LBB447_119
; %bb.114:
	s_andn2_b64 vcc, exec, s[48:49]
	s_cbranch_vccnz .LBB447_120
; %bb.115:
	s_add_i32 s58, s58, 1
	s_cmp_eq_u32 s56, 2
	s_cbranch_scc1 .LBB447_121
; %bb.116:
	s_and_b32 s52, s58, 28
	s_mov_b32 s53, 0
	v_mov_b32_e32 v0, 0
	v_mov_b32_e32 v2, 0
	s_mov_b64 s[48:49], s[34:35]
	v_mov_b32_e32 v4, v8
.LBB447_117:                            ; =>This Inner Loop Header: Depth=1
	s_load_dwordx8 s[8:15], s[48:49], 0x4
	s_load_dwordx4 s[28:31], s[48:49], 0x24
	s_load_dwordx8 s[0:7], s[46:47], 0x0
	s_add_u32 s48, s48, 48
	s_addc_u32 s49, s49, 0
	s_waitcnt lgkmcnt(0)
	v_mul_hi_u32 v1, s9, v4
	v_add_u32_e32 v1, v4, v1
	v_lshrrev_b32_e32 v1, s10, v1
	v_mul_lo_u32 v3, v1, s8
	v_mul_hi_u32 v5, s12, v1
	v_sub_u32_e32 v3, v4, v3
	v_add_u32_e32 v4, v1, v5
	v_lshrrev_b32_e32 v4, s13, v4
	v_mul_lo_u32 v6, v4, s11
	v_mul_hi_u32 v7, s15, v4
	v_sub_u32_e32 v1, v1, v6
	v_add_u32_e32 v6, v4, v7
	v_mul_lo_u32 v5, v3, s1
	v_mul_lo_u32 v3, v3, s0
	;; [unrolled: 1-line block ×4, first 2 shown]
	v_lshrrev_b32_e32 v6, s28, v6
	v_add3_u32 v0, v3, v0, v1
	v_mul_hi_u32 v3, s30, v6
	v_add3_u32 v1, v5, v2, v7
	v_mul_lo_u32 v2, v6, s14
	v_add_u32_e32 v3, v6, v3
	v_sub_u32_e32 v2, v4, v2
	v_lshrrev_b32_e32 v4, s31, v3
	s_add_i32 s53, s53, 4
	v_mul_lo_u32 v3, v4, s29
	s_add_u32 s46, s46, 32
	v_sub_u32_e32 v3, v6, v3
	s_addc_u32 s47, s47, 0
	v_mul_lo_u32 v5, v2, s4
	v_mul_lo_u32 v2, v2, s5
	;; [unrolled: 1-line block ×4, first 2 shown]
	s_cmp_eq_u32 s52, s53
	v_add3_u32 v2, v2, v1, v3
	v_add3_u32 v0, v5, v0, v6
	s_cbranch_scc0 .LBB447_117
; %bb.118:
	v_mov_b32_e32 v1, v2
	s_branch .LBB447_122
.LBB447_119:
                                        ; implicit-def: $vgpr2
                                        ; implicit-def: $vgpr0
	s_branch .LBB447_126
.LBB447_120:
	v_mov_b32_e32 v2, 0
	v_mov_b32_e32 v0, 0
	s_branch .LBB447_125
.LBB447_121:
	v_mov_b32_e32 v0, 0
	s_mov_b32 s52, 0
	v_mov_b32_e32 v1, v0
                                        ; implicit-def: $vgpr2
	v_mov_b32_e32 v4, v8
.LBB447_122:
	s_and_b32 s4, s58, 3
	s_cmp_eq_u32 s4, 0
	s_cbranch_scc1 .LBB447_125
; %bb.123:
	s_lshl_b32 s0, s52, 3
	s_add_u32 s0, s34, s0
	s_addc_u32 s1, s35, 0
	s_add_u32 s0, s0, 0xc4
	s_addc_u32 s1, s1, 0
	s_mul_i32 s2, s52, 12
	s_add_u32 s2, s34, s2
	s_addc_u32 s3, s35, 0
.LBB447_124:                            ; =>This Inner Loop Header: Depth=1
	s_load_dwordx2 s[6:7], s[2:3], 0x4
	s_load_dword s5, s[2:3], 0xc
	s_load_dwordx2 s[8:9], s[0:1], 0x0
	v_mov_b32_e32 v2, v1
	s_add_u32 s2, s2, 12
	s_waitcnt lgkmcnt(0)
	v_mul_hi_u32 v1, s7, v4
	v_add_u32_e32 v1, v4, v1
	v_lshrrev_b32_e32 v1, s5, v1
	s_addc_u32 s3, s3, 0
	v_mul_lo_u32 v3, v1, s6
	s_add_u32 s0, s0, 8
	v_sub_u32_e32 v5, v4, v3
	s_addc_u32 s1, s1, 0
	s_add_i32 s4, s4, -1
	v_mov_b32_e32 v4, v1
	v_mad_u64_u32 v[2:3], s[6:7], v5, s9, v[2:3]
	v_mad_u64_u32 v[0:1], s[6:7], v5, s8, v[0:1]
	s_cmp_lg_u32 s4, 0
	v_mov_b32_e32 v1, v2
	s_cbranch_scc1 .LBB447_124
.LBB447_125:
	s_cbranch_execnz .LBB447_128
.LBB447_126:
	s_waitcnt lgkmcnt(0)
	v_mul_hi_u32 v0, s21, v8
	v_add_u32_e32 v0, v8, v0
	v_lshrrev_b32_e32 v1, s22, v0
	v_mul_lo_u32 v0, v1, s20
	v_sub_u32_e32 v0, v8, v0
	v_mul_lo_u32 v2, v0, s25
	s_andn2_b64 vcc, exec, s[44:45]
	v_mul_lo_u32 v0, v0, s24
	s_cbranch_vccnz .LBB447_128
; %bb.127:
	v_mul_hi_u32 v3, s42, v1
	v_add_u32_e32 v3, v1, v3
	v_lshrrev_b32_e32 v3, s43, v3
	v_mul_lo_u32 v3, v3, s23
	v_sub_u32_e32 v3, v1, v3
	v_mad_u64_u32 v[0:1], s[0:1], v3, s26, v[0:1]
	v_mad_u64_u32 v[2:3], s[0:1], v3, s27, v[2:3]
.LBB447_128:
	s_waitcnt lgkmcnt(0)
	global_load_dwordx2 v[2:3], v2, s[18:19]
	v_mov_b32_e32 v1, s41
	s_waitcnt vmcnt(0)
	v_cmp_gt_i64_e32 vcc, s[40:41], v[2:3]
	s_nop 1
	v_cndmask_b32_e32 v3, v1, v3, vcc
	v_mov_b32_e32 v1, s40
	v_cndmask_b32_e32 v2, v1, v2, vcc
	global_store_dwordx2 v0, v[2:3], s[16:17]
	s_or_b64 exec, exec, s[50:51]
                                        ; implicit-def: $vgpr16
                                        ; implicit-def: $vgpr8
	s_andn2_saveexec_b64 s[0:1], s[38:39]
	s_cbranch_execz .LBB447_104
	s_branch .LBB447_9
	.section	.rodata,"a",@progbits
	.p2align	6, 0x0
	.amdhsa_kernel _ZN2at6native32elementwise_kernel_manual_unrollILi128ELi4EZNS0_22gpu_kernel_impl_nocastIZZZNS0_21clamp_max_kernel_cudaERNS_18TensorIteratorBaseERKN3c106ScalarEENKUlvE_clEvENKUlvE2_clEvEUllE_EEvS4_RKT_EUlibE_EEviT1_
		.amdhsa_group_segment_fixed_size 0
		.amdhsa_private_segment_fixed_size 0
		.amdhsa_kernarg_size 360
		.amdhsa_user_sgpr_count 2
		.amdhsa_user_sgpr_dispatch_ptr 0
		.amdhsa_user_sgpr_queue_ptr 0
		.amdhsa_user_sgpr_kernarg_segment_ptr 1
		.amdhsa_user_sgpr_dispatch_id 0
		.amdhsa_user_sgpr_kernarg_preload_length 0
		.amdhsa_user_sgpr_kernarg_preload_offset 0
		.amdhsa_user_sgpr_private_segment_size 0
		.amdhsa_uses_dynamic_stack 0
		.amdhsa_enable_private_segment 0
		.amdhsa_system_sgpr_workgroup_id_x 1
		.amdhsa_system_sgpr_workgroup_id_y 0
		.amdhsa_system_sgpr_workgroup_id_z 0
		.amdhsa_system_sgpr_workgroup_info 0
		.amdhsa_system_vgpr_workitem_id 0
		.amdhsa_next_free_vgpr 24
		.amdhsa_next_free_sgpr 62
		.amdhsa_accum_offset 24
		.amdhsa_reserve_vcc 1
		.amdhsa_float_round_mode_32 0
		.amdhsa_float_round_mode_16_64 0
		.amdhsa_float_denorm_mode_32 3
		.amdhsa_float_denorm_mode_16_64 3
		.amdhsa_dx10_clamp 1
		.amdhsa_ieee_mode 1
		.amdhsa_fp16_overflow 0
		.amdhsa_tg_split 0
		.amdhsa_exception_fp_ieee_invalid_op 0
		.amdhsa_exception_fp_denorm_src 0
		.amdhsa_exception_fp_ieee_div_zero 0
		.amdhsa_exception_fp_ieee_overflow 0
		.amdhsa_exception_fp_ieee_underflow 0
		.amdhsa_exception_fp_ieee_inexact 0
		.amdhsa_exception_int_div_zero 0
	.end_amdhsa_kernel
	.section	.text._ZN2at6native32elementwise_kernel_manual_unrollILi128ELi4EZNS0_22gpu_kernel_impl_nocastIZZZNS0_21clamp_max_kernel_cudaERNS_18TensorIteratorBaseERKN3c106ScalarEENKUlvE_clEvENKUlvE2_clEvEUllE_EEvS4_RKT_EUlibE_EEviT1_,"axG",@progbits,_ZN2at6native32elementwise_kernel_manual_unrollILi128ELi4EZNS0_22gpu_kernel_impl_nocastIZZZNS0_21clamp_max_kernel_cudaERNS_18TensorIteratorBaseERKN3c106ScalarEENKUlvE_clEvENKUlvE2_clEvEUllE_EEvS4_RKT_EUlibE_EEviT1_,comdat
.Lfunc_end447:
	.size	_ZN2at6native32elementwise_kernel_manual_unrollILi128ELi4EZNS0_22gpu_kernel_impl_nocastIZZZNS0_21clamp_max_kernel_cudaERNS_18TensorIteratorBaseERKN3c106ScalarEENKUlvE_clEvENKUlvE2_clEvEUllE_EEvS4_RKT_EUlibE_EEviT1_, .Lfunc_end447-_ZN2at6native32elementwise_kernel_manual_unrollILi128ELi4EZNS0_22gpu_kernel_impl_nocastIZZZNS0_21clamp_max_kernel_cudaERNS_18TensorIteratorBaseERKN3c106ScalarEENKUlvE_clEvENKUlvE2_clEvEUllE_EEvS4_RKT_EUlibE_EEviT1_
                                        ; -- End function
	.set _ZN2at6native32elementwise_kernel_manual_unrollILi128ELi4EZNS0_22gpu_kernel_impl_nocastIZZZNS0_21clamp_max_kernel_cudaERNS_18TensorIteratorBaseERKN3c106ScalarEENKUlvE_clEvENKUlvE2_clEvEUllE_EEvS4_RKT_EUlibE_EEviT1_.num_vgpr, 24
	.set _ZN2at6native32elementwise_kernel_manual_unrollILi128ELi4EZNS0_22gpu_kernel_impl_nocastIZZZNS0_21clamp_max_kernel_cudaERNS_18TensorIteratorBaseERKN3c106ScalarEENKUlvE_clEvENKUlvE2_clEvEUllE_EEvS4_RKT_EUlibE_EEviT1_.num_agpr, 0
	.set _ZN2at6native32elementwise_kernel_manual_unrollILi128ELi4EZNS0_22gpu_kernel_impl_nocastIZZZNS0_21clamp_max_kernel_cudaERNS_18TensorIteratorBaseERKN3c106ScalarEENKUlvE_clEvENKUlvE2_clEvEUllE_EEvS4_RKT_EUlibE_EEviT1_.numbered_sgpr, 62
	.set _ZN2at6native32elementwise_kernel_manual_unrollILi128ELi4EZNS0_22gpu_kernel_impl_nocastIZZZNS0_21clamp_max_kernel_cudaERNS_18TensorIteratorBaseERKN3c106ScalarEENKUlvE_clEvENKUlvE2_clEvEUllE_EEvS4_RKT_EUlibE_EEviT1_.num_named_barrier, 0
	.set _ZN2at6native32elementwise_kernel_manual_unrollILi128ELi4EZNS0_22gpu_kernel_impl_nocastIZZZNS0_21clamp_max_kernel_cudaERNS_18TensorIteratorBaseERKN3c106ScalarEENKUlvE_clEvENKUlvE2_clEvEUllE_EEvS4_RKT_EUlibE_EEviT1_.private_seg_size, 0
	.set _ZN2at6native32elementwise_kernel_manual_unrollILi128ELi4EZNS0_22gpu_kernel_impl_nocastIZZZNS0_21clamp_max_kernel_cudaERNS_18TensorIteratorBaseERKN3c106ScalarEENKUlvE_clEvENKUlvE2_clEvEUllE_EEvS4_RKT_EUlibE_EEviT1_.uses_vcc, 1
	.set _ZN2at6native32elementwise_kernel_manual_unrollILi128ELi4EZNS0_22gpu_kernel_impl_nocastIZZZNS0_21clamp_max_kernel_cudaERNS_18TensorIteratorBaseERKN3c106ScalarEENKUlvE_clEvENKUlvE2_clEvEUllE_EEvS4_RKT_EUlibE_EEviT1_.uses_flat_scratch, 0
	.set _ZN2at6native32elementwise_kernel_manual_unrollILi128ELi4EZNS0_22gpu_kernel_impl_nocastIZZZNS0_21clamp_max_kernel_cudaERNS_18TensorIteratorBaseERKN3c106ScalarEENKUlvE_clEvENKUlvE2_clEvEUllE_EEvS4_RKT_EUlibE_EEviT1_.has_dyn_sized_stack, 0
	.set _ZN2at6native32elementwise_kernel_manual_unrollILi128ELi4EZNS0_22gpu_kernel_impl_nocastIZZZNS0_21clamp_max_kernel_cudaERNS_18TensorIteratorBaseERKN3c106ScalarEENKUlvE_clEvENKUlvE2_clEvEUllE_EEvS4_RKT_EUlibE_EEviT1_.has_recursion, 0
	.set _ZN2at6native32elementwise_kernel_manual_unrollILi128ELi4EZNS0_22gpu_kernel_impl_nocastIZZZNS0_21clamp_max_kernel_cudaERNS_18TensorIteratorBaseERKN3c106ScalarEENKUlvE_clEvENKUlvE2_clEvEUllE_EEvS4_RKT_EUlibE_EEviT1_.has_indirect_call, 0
	.section	.AMDGPU.csdata,"",@progbits
; Kernel info:
; codeLenInByte = 5984
; TotalNumSgprs: 68
; NumVgprs: 24
; NumAgprs: 0
; TotalNumVgprs: 24
; ScratchSize: 0
; MemoryBound: 0
; FloatMode: 240
; IeeeMode: 1
; LDSByteSize: 0 bytes/workgroup (compile time only)
; SGPRBlocks: 8
; VGPRBlocks: 2
; NumSGPRsForWavesPerEU: 68
; NumVGPRsForWavesPerEU: 24
; AccumOffset: 24
; Occupancy: 8
; WaveLimiterHint : 1
; COMPUTE_PGM_RSRC2:SCRATCH_EN: 0
; COMPUTE_PGM_RSRC2:USER_SGPR: 2
; COMPUTE_PGM_RSRC2:TRAP_HANDLER: 0
; COMPUTE_PGM_RSRC2:TGID_X_EN: 1
; COMPUTE_PGM_RSRC2:TGID_Y_EN: 0
; COMPUTE_PGM_RSRC2:TGID_Z_EN: 0
; COMPUTE_PGM_RSRC2:TIDIG_COMP_CNT: 0
; COMPUTE_PGM_RSRC3_GFX90A:ACCUM_OFFSET: 5
; COMPUTE_PGM_RSRC3_GFX90A:TG_SPLIT: 0
	.section	.text._ZN2at6native32elementwise_kernel_manual_unrollILi128ELi4EZNS0_15gpu_kernel_implIZZZNS0_21clamp_max_kernel_cudaERNS_18TensorIteratorBaseERKN3c106ScalarEENKUlvE_clEvENKUlvE2_clEvEUllE_EEvS4_RKT_EUlibE_EEviT1_,"axG",@progbits,_ZN2at6native32elementwise_kernel_manual_unrollILi128ELi4EZNS0_15gpu_kernel_implIZZZNS0_21clamp_max_kernel_cudaERNS_18TensorIteratorBaseERKN3c106ScalarEENKUlvE_clEvENKUlvE2_clEvEUllE_EEvS4_RKT_EUlibE_EEviT1_,comdat
	.globl	_ZN2at6native32elementwise_kernel_manual_unrollILi128ELi4EZNS0_15gpu_kernel_implIZZZNS0_21clamp_max_kernel_cudaERNS_18TensorIteratorBaseERKN3c106ScalarEENKUlvE_clEvENKUlvE2_clEvEUllE_EEvS4_RKT_EUlibE_EEviT1_ ; -- Begin function _ZN2at6native32elementwise_kernel_manual_unrollILi128ELi4EZNS0_15gpu_kernel_implIZZZNS0_21clamp_max_kernel_cudaERNS_18TensorIteratorBaseERKN3c106ScalarEENKUlvE_clEvENKUlvE2_clEvEUllE_EEvS4_RKT_EUlibE_EEviT1_
	.p2align	8
	.type	_ZN2at6native32elementwise_kernel_manual_unrollILi128ELi4EZNS0_15gpu_kernel_implIZZZNS0_21clamp_max_kernel_cudaERNS_18TensorIteratorBaseERKN3c106ScalarEENKUlvE_clEvENKUlvE2_clEvEUllE_EEvS4_RKT_EUlibE_EEviT1_,@function
_ZN2at6native32elementwise_kernel_manual_unrollILi128ELi4EZNS0_15gpu_kernel_implIZZZNS0_21clamp_max_kernel_cudaERNS_18TensorIteratorBaseERKN3c106ScalarEENKUlvE_clEvENKUlvE2_clEvEUllE_EEvS4_RKT_EUlibE_EEviT1_: ; @_ZN2at6native32elementwise_kernel_manual_unrollILi128ELi4EZNS0_15gpu_kernel_implIZZZNS0_21clamp_max_kernel_cudaERNS_18TensorIteratorBaseERKN3c106ScalarEENKUlvE_clEvENKUlvE2_clEvEUllE_EEvS4_RKT_EUlibE_EEviT1_
; %bb.0:
	s_load_dword s33, s[0:1], 0x28
	s_load_dword s40, s[0:1], 0x0
	s_load_dwordx8 s[4:11], s[0:1], 0x8
	v_lshl_or_b32 v10, s2, 9, v0
	v_or_b32_e32 v0, 0x180, v10
	s_waitcnt lgkmcnt(0)
	s_bfe_u32 s44, s33, 0x80008
	v_cmp_le_i32_e32 vcc, s40, v0
	s_mov_b64 s[2:3], 0
	s_mov_b64 s[14:15], 0
	s_and_saveexec_b64 s[0:1], vcc
	s_xor_b64 s[12:13], exec, s[0:1]
	s_cbranch_execz .LBB448_1011
; %bb.1:
	v_cmp_gt_i32_e32 vcc, s40, v10
	s_mov_b64 s[20:21], -1
	s_mov_b64 s[22:23], 0
	s_mov_b64 s[16:17], 0
	s_and_saveexec_b64 s[18:19], vcc
	s_cbranch_execz .LBB448_248
; %bb.2:
	v_mul_lo_u32 v0, v10, s9
	v_ashrrev_i32_e32 v1, 31, v0
	s_and_b32 s20, 0xffff, s44
	s_cmp_lt_i32 s20, 11
	v_lshl_add_u64 v[0:1], s[6:7], 0, v[0:1]
	s_cbranch_scc1 .LBB448_9
; %bb.3:
	s_cmp_gt_i32 s20, 25
	s_cbranch_scc0 .LBB448_18
; %bb.4:
	s_cmp_gt_i32 s20, 28
	s_cbranch_scc0 .LBB448_22
; %bb.5:
	s_cmp_gt_i32 s20, 43
	s_cbranch_scc0 .LBB448_24
; %bb.6:
	s_cmp_gt_i32 s20, 45
	s_cbranch_scc0 .LBB448_26
; %bb.7:
	s_cmp_eq_u32 s20, 46
	s_cbranch_scc0 .LBB448_28
; %bb.8:
	global_load_dword v2, v[0:1], off
	s_mov_b32 s0, 0x2f800000
	s_mov_b32 s1, 0xcf800000
	s_waitcnt vmcnt(0)
	v_lshlrev_b32_e32 v2, 16, v2
	v_trunc_f32_e32 v2, v2
	v_mul_f32_e64 v3, |v2|, s0
	v_floor_f32_e32 v3, v3
	v_fma_f32 v4, v3, s1, |v2|
	v_cvt_u32_f32_e32 v4, v4
	v_cvt_u32_f32_e32 v3, v3
	v_ashrrev_i32_e32 v5, 31, v2
	s_mov_b64 s[0:1], -1
	v_xor_b32_e32 v2, v4, v5
	v_xor_b32_e32 v3, v3, v5
	v_sub_co_u32_e32 v2, vcc, v2, v5
	s_nop 1
	v_subb_co_u32_e32 v3, vcc, v3, v5, vcc
	s_branch .LBB448_30
.LBB448_9:
                                        ; implicit-def: $vgpr2_vgpr3
	s_mov_b64 s[0:1], 0
	s_cbranch_execnz .LBB448_199
.LBB448_10:
	s_andn2_b64 vcc, exec, s[0:1]
	s_cbranch_vccnz .LBB448_246
.LBB448_11:
	v_mov_b32_e32 v0, s11
	s_waitcnt vmcnt(0)
	v_cmp_gt_i64_e32 vcc, s[10:11], v[2:3]
	s_and_b32 s26, s33, 0xff
	s_cmp_lt_i32 s26, 11
	v_cndmask_b32_e32 v1, v0, v3, vcc
	v_mov_b32_e32 v0, s10
	v_cndmask_b32_e32 v0, v0, v2, vcc
	v_mul_lo_u32 v2, v10, s8
	v_ashrrev_i32_e32 v3, 31, v2
	v_lshl_add_u64 v[2:3], s[4:5], 0, v[2:3]
	s_cbranch_scc1 .LBB448_19
; %bb.12:
	s_and_b32 s27, 0xffff, s26
	s_cmp_gt_i32 s27, 25
	s_cbranch_scc0 .LBB448_23
; %bb.13:
	s_cmp_gt_i32 s27, 28
	s_cbranch_scc0 .LBB448_25
; %bb.14:
	s_cmp_gt_i32 s27, 43
	s_cbranch_scc0 .LBB448_27
; %bb.15:
	s_cmp_gt_i32 s27, 45
	s_cbranch_scc0 .LBB448_33
; %bb.16:
	s_mov_b64 s[20:21], 0
	s_mov_b64 s[0:1], -1
	s_cmp_eq_u32 s27, 46
	s_mov_b64 s[14:15], 0
	s_cbranch_scc0 .LBB448_34
; %bb.17:
	v_xor_b32_e32 v5, v0, v1
	v_ffbh_i32_e32 v4, v1
	v_ashrrev_i32_e32 v5, 31, v5
	v_add_u32_e32 v4, -1, v4
	v_add_u32_e32 v5, 32, v5
	v_min_u32_e32 v6, v4, v5
	v_lshlrev_b64 v[4:5], v6, v[0:1]
	v_min_u32_e32 v4, 1, v4
	v_or_b32_e32 v4, v5, v4
	v_cvt_f32_i32_e32 v4, v4
	v_sub_u32_e32 v5, 32, v6
	s_movk_i32 s0, 0x7fff
	s_mov_b64 s[14:15], -1
	v_ldexp_f32 v4, v4, v5
	v_bfe_u32 v5, v4, 16, 1
	v_add3_u32 v4, v4, v5, s0
	v_lshrrev_b32_e32 v4, 16, v4
	global_store_dword v[2:3], v4, off
	s_mov_b64 s[0:1], 0
	s_branch .LBB448_34
.LBB448_18:
	s_mov_b64 s[0:1], 0
                                        ; implicit-def: $vgpr2_vgpr3
	s_cbranch_execnz .LBB448_166
	s_branch .LBB448_198
.LBB448_19:
	s_mov_b64 s[0:1], 0
	s_mov_b64 s[14:15], 0
	s_cbranch_execnz .LBB448_103
.LBB448_20:
	s_andn2_b64 vcc, exec, s[14:15]
	s_cbranch_vccnz .LBB448_141
.LBB448_21:
	v_add_u32_e32 v10, 0x80, v10
	s_mov_b64 s[20:21], -1
	s_branch .LBB448_247
.LBB448_22:
	s_mov_b64 s[14:15], -1
	s_mov_b64 s[0:1], 0
                                        ; implicit-def: $vgpr2_vgpr3
	s_branch .LBB448_149
.LBB448_23:
	s_mov_b64 s[20:21], -1
	s_mov_b64 s[0:1], 0
	s_mov_b64 s[14:15], 0
	s_branch .LBB448_61
.LBB448_24:
	s_mov_b64 s[14:15], -1
	s_mov_b64 s[0:1], 0
                                        ; implicit-def: $vgpr2_vgpr3
	s_branch .LBB448_144
.LBB448_25:
	s_mov_b64 s[20:21], -1
	s_mov_b64 s[0:1], 0
	s_mov_b64 s[14:15], 0
	s_branch .LBB448_44
.LBB448_26:
	s_mov_b64 s[14:15], -1
	s_branch .LBB448_29
.LBB448_27:
	s_mov_b64 s[20:21], -1
	s_mov_b64 s[0:1], 0
	s_mov_b64 s[14:15], 0
	s_branch .LBB448_40
.LBB448_28:
	s_mov_b64 s[16:17], -1
.LBB448_29:
	s_mov_b64 s[0:1], 0
                                        ; implicit-def: $vgpr2_vgpr3
.LBB448_30:
	s_and_b64 vcc, exec, s[14:15]
	s_cbranch_vccz .LBB448_143
; %bb.31:
	s_cmp_eq_u32 s20, 44
	s_cbranch_scc0 .LBB448_142
; %bb.32:
	global_load_ubyte v2, v[0:1], off
	s_mov_b32 s0, 0x2f800000
	s_mov_b32 s1, 0xcf800000
	s_mov_b64 s[16:17], 0
	s_waitcnt vmcnt(0)
	v_lshlrev_b32_e32 v3, 23, v2
	v_trunc_f32_e32 v3, v3
	v_mul_f32_e64 v4, |v3|, s0
	v_floor_f32_e32 v4, v4
	v_fma_f32 v5, v4, s1, |v3|
	v_cvt_u32_f32_e32 v5, v5
	v_cvt_u32_f32_e32 v4, v4
	v_ashrrev_i32_e32 v3, 31, v3
	s_mov_b64 s[0:1], -1
	v_xor_b32_e32 v5, v5, v3
	v_xor_b32_e32 v4, v4, v3
	v_sub_co_u32_e32 v5, vcc, v5, v3
	s_nop 1
	v_subb_co_u32_e32 v3, vcc, v4, v3, vcc
	v_cmp_ne_u32_e32 vcc, 0, v2
	s_nop 1
	v_cndmask_b32_e32 v3, 0, v3, vcc
	v_cndmask_b32_e32 v2, 0, v5, vcc
	s_branch .LBB448_143
.LBB448_33:
	s_mov_b64 s[20:21], -1
	s_mov_b64 s[0:1], 0
	s_mov_b64 s[14:15], 0
.LBB448_34:
	s_and_b64 vcc, exec, s[20:21]
	s_cbranch_vccz .LBB448_39
; %bb.35:
	s_cmp_eq_u32 s27, 44
	s_mov_b64 s[0:1], -1
	s_cbranch_scc0 .LBB448_39
; %bb.36:
	v_xor_b32_e32 v5, v0, v1
	v_ffbh_i32_e32 v4, v1
	v_ashrrev_i32_e32 v5, 31, v5
	v_add_u32_e32 v4, -1, v4
	v_add_u32_e32 v5, 32, v5
	v_min_u32_e32 v6, v4, v5
	v_lshlrev_b64 v[4:5], v6, v[0:1]
	v_min_u32_e32 v4, 1, v4
	v_or_b32_e32 v4, v5, v4
	v_cvt_f32_i32_e32 v4, v4
	v_sub_u32_e32 v5, 32, v6
	s_movk_i32 s0, 0xff
	v_mov_b32_e32 v6, 0xff
	v_ldexp_f32 v4, v4, v5
	v_bfe_u32 v5, v4, 23, 8
	v_cmp_ne_u32_e32 vcc, s0, v5
	s_and_saveexec_b64 s[14:15], vcc
; %bb.37:
	s_mov_b32 s0, 0x3fffff
	v_lshrrev_b32_e32 v6, 23, v4
	v_and_b32_e32 v7, 0x400000, v4
	v_and_or_b32 v4, v4, s0, v5
	v_cmp_ne_u32_e32 vcc, 0, v7
	v_cmp_ne_u32_e64 s[0:1], 0, v4
	s_and_b64 s[0:1], vcc, s[0:1]
	s_nop 0
	v_cndmask_b32_e64 v4, 0, 1, s[0:1]
	v_add_u32_e32 v6, v6, v4
; %bb.38:
	s_or_b64 exec, exec, s[14:15]
	s_mov_b64 s[14:15], -1
	s_mov_b64 s[0:1], 0
	global_store_byte v[2:3], v6, off
.LBB448_39:
	s_mov_b64 s[20:21], 0
.LBB448_40:
	s_and_b64 vcc, exec, s[20:21]
	s_cbranch_vccz .LBB448_43
; %bb.41:
	s_cmp_eq_u32 s27, 29
	s_mov_b64 s[0:1], -1
	s_cbranch_scc0 .LBB448_43
; %bb.42:
	global_store_dwordx2 v[2:3], v[0:1], off
	s_mov_b64 s[14:15], -1
	s_mov_b64 s[0:1], 0
.LBB448_43:
	s_mov_b64 s[20:21], 0
.LBB448_44:
	s_and_b64 vcc, exec, s[20:21]
	s_cbranch_vccz .LBB448_60
; %bb.45:
	s_cmp_lt_i32 s27, 27
	s_mov_b64 s[14:15], -1
	s_cbranch_scc1 .LBB448_51
; %bb.46:
	s_cmp_gt_i32 s27, 27
	s_cbranch_scc0 .LBB448_48
; %bb.47:
	s_mov_b64 s[14:15], 0
	global_store_dword v[2:3], v0, off
.LBB448_48:
	s_andn2_b64 vcc, exec, s[14:15]
	s_cbranch_vccnz .LBB448_50
; %bb.49:
	global_store_short v[2:3], v0, off
.LBB448_50:
	s_mov_b64 s[14:15], 0
.LBB448_51:
	s_andn2_b64 vcc, exec, s[14:15]
	s_cbranch_vccnz .LBB448_59
; %bb.52:
	v_xor_b32_e32 v5, v0, v1
	v_ffbh_i32_e32 v4, v1
	v_ashrrev_i32_e32 v5, 31, v5
	v_add_u32_e32 v4, -1, v4
	v_add_u32_e32 v5, 32, v5
	v_min_u32_e32 v6, v4, v5
	v_lshlrev_b64 v[4:5], v6, v[0:1]
	v_min_u32_e32 v4, 1, v4
	v_or_b32_e32 v4, v5, v4
	v_cvt_f32_i32_e32 v4, v4
	v_sub_u32_e32 v5, 32, v6
	s_mov_b32 s14, 0x43800000
	v_mov_b32_e32 v6, 0x80
	v_ldexp_f32 v4, v4, v5
	v_and_b32_e32 v5, 0x7fffffff, v4
	v_cmp_gt_u32_e32 vcc, s14, v5
	s_and_saveexec_b64 s[14:15], vcc
	s_cbranch_execz .LBB448_58
; %bb.53:
	s_mov_b32 s20, 0x3bffffff
	v_cmp_lt_u32_e32 vcc, s20, v5
	s_mov_b64 s[20:21], 0
                                        ; implicit-def: $vgpr5
	s_and_saveexec_b64 s[24:25], vcc
	s_xor_b64 s[24:25], exec, s[24:25]
	s_cbranch_execz .LBB448_275
; %bb.54:
	v_bfe_u32 v5, v4, 20, 1
	s_mov_b32 s28, 0x487ffff
	v_add3_u32 v5, v4, v5, s28
	s_mov_b64 s[20:21], exec
	v_lshrrev_b32_e32 v5, 20, v5
	s_andn2_saveexec_b64 s[24:25], s[24:25]
	s_cbranch_execnz .LBB448_276
.LBB448_55:
	s_or_b64 exec, exec, s[24:25]
	v_mov_b32_e32 v6, 0
	s_and_saveexec_b64 s[24:25], s[20:21]
.LBB448_56:
	v_lshrrev_b32_e32 v4, 24, v4
	s_movk_i32 s20, 0x80
	v_and_or_b32 v6, v4, s20, v5
.LBB448_57:
	s_or_b64 exec, exec, s[24:25]
.LBB448_58:
	s_or_b64 exec, exec, s[14:15]
	global_store_byte v[2:3], v6, off
.LBB448_59:
	s_mov_b64 s[14:15], -1
.LBB448_60:
	s_mov_b64 s[20:21], 0
.LBB448_61:
	s_and_b64 vcc, exec, s[20:21]
	s_cbranch_vccz .LBB448_102
; %bb.62:
	s_cmp_gt_i32 s27, 22
	s_mov_b64 s[20:21], -1
	s_cbranch_scc0 .LBB448_94
; %bb.63:
	s_cmp_lt_i32 s27, 24
	s_mov_b64 s[14:15], -1
	s_cbranch_scc1 .LBB448_83
; %bb.64:
	s_cmp_gt_i32 s27, 24
	s_cbranch_scc0 .LBB448_72
; %bb.65:
	v_xor_b32_e32 v5, v0, v1
	v_ffbh_i32_e32 v4, v1
	v_ashrrev_i32_e32 v5, 31, v5
	v_add_u32_e32 v4, -1, v4
	v_add_u32_e32 v5, 32, v5
	v_min_u32_e32 v6, v4, v5
	v_lshlrev_b64 v[4:5], v6, v[0:1]
	v_min_u32_e32 v4, 1, v4
	v_or_b32_e32 v4, v5, v4
	v_cvt_f32_i32_e32 v4, v4
	v_sub_u32_e32 v5, 32, v6
	s_mov_b32 s14, 0x47800000
	v_mov_b32_e32 v6, 0x80
	v_ldexp_f32 v4, v4, v5
	v_and_b32_e32 v5, 0x7fffffff, v4
	v_cmp_gt_u32_e32 vcc, s14, v5
	s_and_saveexec_b64 s[14:15], vcc
	s_cbranch_execz .LBB448_71
; %bb.66:
	s_mov_b32 s20, 0x37ffffff
	v_cmp_lt_u32_e32 vcc, s20, v5
	s_mov_b64 s[20:21], 0
                                        ; implicit-def: $vgpr5
	s_and_saveexec_b64 s[24:25], vcc
	s_xor_b64 s[24:25], exec, s[24:25]
	s_cbranch_execz .LBB448_279
; %bb.67:
	v_bfe_u32 v5, v4, 21, 1
	s_mov_b32 s28, 0x88fffff
	v_add3_u32 v5, v4, v5, s28
	s_mov_b64 s[20:21], exec
	v_lshrrev_b32_e32 v5, 21, v5
	s_andn2_saveexec_b64 s[24:25], s[24:25]
	s_cbranch_execnz .LBB448_280
.LBB448_68:
	s_or_b64 exec, exec, s[24:25]
	v_mov_b32_e32 v6, 0
	s_and_saveexec_b64 s[24:25], s[20:21]
.LBB448_69:
	v_lshrrev_b32_e32 v4, 24, v4
	s_movk_i32 s20, 0x80
	v_and_or_b32 v6, v4, s20, v5
.LBB448_70:
	s_or_b64 exec, exec, s[24:25]
.LBB448_71:
	s_or_b64 exec, exec, s[14:15]
	s_mov_b64 s[14:15], 0
	global_store_byte v[2:3], v6, off
.LBB448_72:
	s_and_b64 vcc, exec, s[14:15]
	s_cbranch_vccz .LBB448_82
; %bb.73:
	v_xor_b32_e32 v5, v0, v1
	v_ffbh_i32_e32 v4, v1
	v_ashrrev_i32_e32 v5, 31, v5
	v_add_u32_e32 v4, -1, v4
	v_add_u32_e32 v5, 32, v5
	v_min_u32_e32 v6, v4, v5
	v_lshlrev_b64 v[4:5], v6, v[0:1]
	v_min_u32_e32 v4, 1, v4
	v_or_b32_e32 v4, v5, v4
	v_cvt_f32_i32_e32 v4, v4
	v_sub_u32_e32 v5, 32, v6
	s_mov_b32 s14, 0x43f00000
	v_ldexp_f32 v4, v4, v5
	v_and_b32_e32 v6, 0x7fffffff, v4
	v_cmp_gt_u32_e32 vcc, s14, v6
                                        ; implicit-def: $vgpr5
	s_and_saveexec_b64 s[14:15], vcc
	s_xor_b64 s[14:15], exec, s[14:15]
	s_cbranch_execz .LBB448_79
; %bb.74:
	s_mov_b32 s20, 0x3c7fffff
	v_cmp_lt_u32_e32 vcc, s20, v6
                                        ; implicit-def: $vgpr5
	s_and_saveexec_b64 s[20:21], vcc
	s_xor_b64 s[20:21], exec, s[20:21]
; %bb.75:
	v_bfe_u32 v5, v4, 20, 1
	s_mov_b32 s24, 0x407ffff
	v_add3_u32 v5, v4, v5, s24
	v_lshrrev_b32_e32 v6, 20, v5
	v_and_b32_e32 v5, 0xff00000, v5
	s_mov_b32 s24, 0x7f00000
	v_mov_b32_e32 v7, 0x7e
	v_cmp_ne_u32_e32 vcc, s24, v5
	s_nop 1
	v_cndmask_b32_e32 v5, v7, v6, vcc
; %bb.76:
	s_andn2_saveexec_b64 s[20:21], s[20:21]
; %bb.77:
	s_mov_b32 s24, 0x46800000
	v_add_f32_e64 v5, |v4|, s24
; %bb.78:
	s_or_b64 exec, exec, s[20:21]
                                        ; implicit-def: $vgpr6
.LBB448_79:
	s_andn2_saveexec_b64 s[14:15], s[14:15]
; %bb.80:
	s_mov_b32 s20, 0x7f800000
	v_mov_b32_e32 v5, 0x7e
	v_mov_b32_e32 v7, 0x7f
	v_cmp_lt_u32_e32 vcc, s20, v6
	s_nop 1
	v_cndmask_b32_e32 v5, v5, v7, vcc
; %bb.81:
	s_or_b64 exec, exec, s[14:15]
	v_lshrrev_b32_e32 v4, 24, v4
	s_movk_i32 s14, 0x80
	v_and_or_b32 v4, v4, s14, v5
	global_store_byte v[2:3], v4, off
.LBB448_82:
	s_mov_b64 s[14:15], 0
.LBB448_83:
	s_andn2_b64 vcc, exec, s[14:15]
	s_cbranch_vccnz .LBB448_93
; %bb.84:
	v_xor_b32_e32 v5, v0, v1
	v_ffbh_i32_e32 v4, v1
	v_ashrrev_i32_e32 v5, 31, v5
	v_add_u32_e32 v4, -1, v4
	v_add_u32_e32 v5, 32, v5
	v_min_u32_e32 v6, v4, v5
	v_lshlrev_b64 v[4:5], v6, v[0:1]
	v_min_u32_e32 v4, 1, v4
	v_or_b32_e32 v4, v5, v4
	v_cvt_f32_i32_e32 v4, v4
	v_sub_u32_e32 v5, 32, v6
	s_mov_b32 s14, 0x47800000
	v_ldexp_f32 v4, v4, v5
	v_and_b32_e32 v6, 0x7fffffff, v4
	v_cmp_gt_u32_e32 vcc, s14, v6
                                        ; implicit-def: $vgpr5
	s_and_saveexec_b64 s[14:15], vcc
	s_xor_b64 s[14:15], exec, s[14:15]
	s_cbranch_execz .LBB448_90
; %bb.85:
	s_mov_b32 s20, 0x387fffff
	v_cmp_lt_u32_e32 vcc, s20, v6
                                        ; implicit-def: $vgpr5
	s_and_saveexec_b64 s[20:21], vcc
	s_xor_b64 s[20:21], exec, s[20:21]
; %bb.86:
	v_bfe_u32 v5, v4, 21, 1
	s_mov_b32 s24, 0x80fffff
	v_add3_u32 v5, v4, v5, s24
	v_lshrrev_b32_e32 v5, 21, v5
; %bb.87:
	s_andn2_saveexec_b64 s[20:21], s[20:21]
; %bb.88:
	s_mov_b32 s24, 0x43000000
	v_add_f32_e64 v5, |v4|, s24
; %bb.89:
	s_or_b64 exec, exec, s[20:21]
                                        ; implicit-def: $vgpr6
.LBB448_90:
	s_andn2_saveexec_b64 s[14:15], s[14:15]
; %bb.91:
	s_mov_b32 s20, 0x7f800000
	v_mov_b32_e32 v5, 0x7c
	v_mov_b32_e32 v7, 0x7f
	v_cmp_lt_u32_e32 vcc, s20, v6
	s_nop 1
	v_cndmask_b32_e32 v5, v5, v7, vcc
; %bb.92:
	s_or_b64 exec, exec, s[14:15]
	v_lshrrev_b32_e32 v4, 24, v4
	s_movk_i32 s14, 0x80
	v_and_or_b32 v4, v4, s14, v5
	global_store_byte v[2:3], v4, off
.LBB448_93:
	s_mov_b64 s[20:21], 0
	s_mov_b64 s[14:15], -1
.LBB448_94:
	s_andn2_b64 vcc, exec, s[20:21]
	s_cbranch_vccnz .LBB448_102
; %bb.95:
	s_cmp_gt_i32 s27, 14
	s_mov_b64 s[20:21], -1
	s_cbranch_scc0 .LBB448_99
; %bb.96:
	s_cmp_eq_u32 s27, 15
	s_mov_b64 s[0:1], -1
	s_cbranch_scc0 .LBB448_98
; %bb.97:
	v_xor_b32_e32 v5, v0, v1
	v_ffbh_i32_e32 v4, v1
	v_ashrrev_i32_e32 v5, 31, v5
	v_add_u32_e32 v4, -1, v4
	v_add_u32_e32 v5, 32, v5
	v_min_u32_e32 v6, v4, v5
	v_lshlrev_b64 v[4:5], v6, v[0:1]
	v_min_u32_e32 v4, 1, v4
	v_or_b32_e32 v4, v5, v4
	v_cvt_f32_i32_e32 v4, v4
	v_sub_u32_e32 v5, 32, v6
	s_movk_i32 s0, 0x7fff
	s_mov_b64 s[14:15], -1
	v_ldexp_f32 v4, v4, v5
	v_bfe_u32 v5, v4, 16, 1
	v_add3_u32 v4, v4, v5, s0
	global_store_short_d16_hi v[2:3], v4, off
	s_mov_b64 s[0:1], 0
.LBB448_98:
	s_mov_b64 s[20:21], 0
.LBB448_99:
	s_and_b64 vcc, exec, s[20:21]
	s_cbranch_vccz .LBB448_102
; %bb.100:
	s_cmp_eq_u32 s27, 11
	s_mov_b64 s[0:1], -1
	s_cbranch_scc0 .LBB448_102
; %bb.101:
	v_cmp_ne_u64_e32 vcc, 0, v[0:1]
	s_mov_b64 s[0:1], 0
	s_mov_b64 s[14:15], -1
	v_cndmask_b32_e64 v4, 0, 1, vcc
	global_store_byte v[2:3], v4, off
.LBB448_102:
	s_branch .LBB448_20
.LBB448_103:
	s_and_b32 s20, 0xffff, s26
	s_cmp_lt_i32 s20, 5
	s_mov_b64 s[14:15], -1
	s_cbranch_scc1 .LBB448_124
; %bb.104:
	s_cmp_lt_i32 s20, 8
	s_cbranch_scc1 .LBB448_114
; %bb.105:
	s_cmp_lt_i32 s20, 9
	s_cbranch_scc1 .LBB448_111
; %bb.106:
	s_cmp_gt_i32 s20, 9
	s_cbranch_scc0 .LBB448_108
; %bb.107:
	v_cvt_f64_i32_e32 v[4:5], v1
	v_ldexp_f64 v[4:5], v[4:5], 32
	v_cvt_f64_u32_e32 v[6:7], v0
	v_add_f64 v[4:5], v[4:5], v[6:7]
	v_mov_b32_e32 v6, 0
	v_mov_b32_e32 v7, v6
	global_store_dwordx4 v[2:3], v[4:7], off
	s_mov_b64 s[14:15], 0
.LBB448_108:
	s_andn2_b64 vcc, exec, s[14:15]
	s_cbranch_vccnz .LBB448_110
; %bb.109:
	v_xor_b32_e32 v5, v0, v1
	v_ffbh_i32_e32 v4, v1
	v_ashrrev_i32_e32 v5, 31, v5
	v_add_u32_e32 v4, -1, v4
	v_add_u32_e32 v5, 32, v5
	v_min_u32_e32 v6, v4, v5
	v_lshlrev_b64 v[4:5], v6, v[0:1]
	v_min_u32_e32 v4, 1, v4
	v_or_b32_e32 v4, v5, v4
	v_cvt_f32_i32_e32 v4, v4
	v_sub_u32_e32 v5, 32, v6
	v_ldexp_f32 v4, v4, v5
	v_mov_b32_e32 v5, 0
	global_store_dwordx2 v[2:3], v[4:5], off
.LBB448_110:
	s_mov_b64 s[14:15], 0
.LBB448_111:
	s_andn2_b64 vcc, exec, s[14:15]
	s_cbranch_vccnz .LBB448_113
; %bb.112:
	v_xor_b32_e32 v5, v0, v1
	v_ffbh_i32_e32 v4, v1
	v_ashrrev_i32_e32 v5, 31, v5
	v_add_u32_e32 v4, -1, v4
	v_add_u32_e32 v5, 32, v5
	v_min_u32_e32 v6, v4, v5
	v_lshlrev_b64 v[4:5], v6, v[0:1]
	v_min_u32_e32 v4, 1, v4
	v_or_b32_e32 v4, v5, v4
	v_cvt_f32_i32_e32 v4, v4
	v_sub_u32_e32 v5, 32, v6
	v_ldexp_f32 v4, v4, v5
	v_cvt_f16_f32_e32 v4, v4
	global_store_dword v[2:3], v4, off
.LBB448_113:
	s_mov_b64 s[14:15], 0
.LBB448_114:
	s_andn2_b64 vcc, exec, s[14:15]
	s_cbranch_vccnz .LBB448_123
; %bb.115:
	s_cmp_lt_i32 s20, 6
	s_mov_b64 s[14:15], -1
	s_cbranch_scc1 .LBB448_121
; %bb.116:
	s_cmp_gt_i32 s20, 6
	s_cbranch_scc0 .LBB448_118
; %bb.117:
	v_cvt_f64_i32_e32 v[4:5], v1
	v_ldexp_f64 v[4:5], v[4:5], 32
	v_cvt_f64_u32_e32 v[6:7], v0
	v_add_f64 v[4:5], v[4:5], v[6:7]
	global_store_dwordx2 v[2:3], v[4:5], off
	s_mov_b64 s[14:15], 0
.LBB448_118:
	s_andn2_b64 vcc, exec, s[14:15]
	s_cbranch_vccnz .LBB448_120
; %bb.119:
	v_xor_b32_e32 v5, v0, v1
	v_ffbh_i32_e32 v4, v1
	v_ashrrev_i32_e32 v5, 31, v5
	v_add_u32_e32 v4, -1, v4
	v_add_u32_e32 v5, 32, v5
	v_min_u32_e32 v6, v4, v5
	v_lshlrev_b64 v[4:5], v6, v[0:1]
	v_min_u32_e32 v4, 1, v4
	v_or_b32_e32 v4, v5, v4
	v_cvt_f32_i32_e32 v4, v4
	v_sub_u32_e32 v5, 32, v6
	v_ldexp_f32 v4, v4, v5
	global_store_dword v[2:3], v4, off
.LBB448_120:
	s_mov_b64 s[14:15], 0
.LBB448_121:
	s_andn2_b64 vcc, exec, s[14:15]
	s_cbranch_vccnz .LBB448_123
; %bb.122:
	v_xor_b32_e32 v5, v0, v1
	v_ffbh_i32_e32 v4, v1
	v_ashrrev_i32_e32 v5, 31, v5
	v_add_u32_e32 v4, -1, v4
	v_add_u32_e32 v5, 32, v5
	v_min_u32_e32 v6, v4, v5
	v_lshlrev_b64 v[4:5], v6, v[0:1]
	v_min_u32_e32 v4, 1, v4
	v_or_b32_e32 v4, v5, v4
	v_cvt_f32_i32_e32 v4, v4
	v_sub_u32_e32 v5, 32, v6
	v_ldexp_f32 v4, v4, v5
	v_cvt_f16_f32_e32 v4, v4
	global_store_short v[2:3], v4, off
.LBB448_123:
	s_mov_b64 s[14:15], 0
.LBB448_124:
	s_andn2_b64 vcc, exec, s[14:15]
	s_cbranch_vccnz .LBB448_140
; %bb.125:
	s_cmp_lt_i32 s20, 2
	s_mov_b64 s[14:15], -1
	s_cbranch_scc1 .LBB448_135
; %bb.126:
	s_cmp_lt_i32 s20, 3
	s_cbranch_scc1 .LBB448_132
; %bb.127:
	s_cmp_gt_i32 s20, 3
	s_cbranch_scc0 .LBB448_129
; %bb.128:
	global_store_dwordx2 v[2:3], v[0:1], off
	s_mov_b64 s[14:15], 0
.LBB448_129:
	s_andn2_b64 vcc, exec, s[14:15]
	s_cbranch_vccnz .LBB448_131
; %bb.130:
	global_store_dword v[2:3], v0, off
.LBB448_131:
	s_mov_b64 s[14:15], 0
.LBB448_132:
	s_andn2_b64 vcc, exec, s[14:15]
	s_cbranch_vccnz .LBB448_134
; %bb.133:
	global_store_short v[2:3], v0, off
.LBB448_134:
	s_mov_b64 s[14:15], 0
.LBB448_135:
	s_andn2_b64 vcc, exec, s[14:15]
	s_cbranch_vccnz .LBB448_140
; %bb.136:
	s_cmp_gt_i32 s20, 0
	s_mov_b64 s[14:15], -1
	s_cbranch_scc0 .LBB448_138
; %bb.137:
	global_store_byte v[2:3], v0, off
	s_mov_b64 s[14:15], 0
.LBB448_138:
	s_andn2_b64 vcc, exec, s[14:15]
	s_cbranch_vccnz .LBB448_140
; %bb.139:
	global_store_byte v[2:3], v0, off
.LBB448_140:
	s_branch .LBB448_21
.LBB448_141:
	s_mov_b64 s[20:21], 0
                                        ; implicit-def: $vgpr10
	s_branch .LBB448_247
.LBB448_142:
	s_mov_b64 s[16:17], -1
                                        ; implicit-def: $vgpr2_vgpr3
.LBB448_143:
	s_mov_b64 s[14:15], 0
.LBB448_144:
	s_and_b64 vcc, exec, s[14:15]
	s_cbranch_vccz .LBB448_148
; %bb.145:
	s_cmp_eq_u32 s20, 29
	s_cbranch_scc0 .LBB448_147
; %bb.146:
	global_load_dwordx2 v[2:3], v[0:1], off
	s_mov_b64 s[0:1], -1
	s_mov_b64 s[16:17], 0
	s_branch .LBB448_148
.LBB448_147:
	s_mov_b64 s[16:17], -1
                                        ; implicit-def: $vgpr2_vgpr3
.LBB448_148:
	s_mov_b64 s[14:15], 0
.LBB448_149:
	s_and_b64 vcc, exec, s[14:15]
	s_cbranch_vccz .LBB448_165
; %bb.150:
	s_cmp_lt_i32 s20, 27
	s_cbranch_scc1 .LBB448_153
; %bb.151:
	s_cmp_gt_i32 s20, 27
	s_cbranch_scc0 .LBB448_154
; %bb.152:
	global_load_dword v2, v[0:1], off
	s_waitcnt vmcnt(1)
	v_mov_b32_e32 v3, 0
	s_mov_b64 s[0:1], 0
	s_branch .LBB448_155
.LBB448_153:
	s_mov_b64 s[0:1], -1
                                        ; implicit-def: $vgpr2_vgpr3
	s_branch .LBB448_158
.LBB448_154:
	s_mov_b64 s[0:1], -1
                                        ; implicit-def: $vgpr2_vgpr3
.LBB448_155:
	s_andn2_b64 vcc, exec, s[0:1]
	s_cbranch_vccnz .LBB448_157
; %bb.156:
	global_load_ushort v2, v[0:1], off
	s_mov_b32 s0, 0
	s_waitcnt vmcnt(1)
	v_mov_b32_e32 v3, s0
	s_waitcnt vmcnt(0)
	v_and_b32_e32 v2, 0xffff, v2
.LBB448_157:
	s_mov_b64 s[0:1], 0
.LBB448_158:
	s_andn2_b64 vcc, exec, s[0:1]
	s_cbranch_vccnz .LBB448_164
; %bb.159:
	global_load_ubyte v4, v[0:1], off
	s_movk_i32 s0, 0x7f
	s_mov_b64 s[14:15], 0
	s_waitcnt vmcnt(0)
	v_cmp_lt_i16_e32 vcc, s0, v4
	s_and_saveexec_b64 s[0:1], vcc
	s_xor_b64 s[0:1], exec, s[0:1]
	s_cbranch_execz .LBB448_175
; %bb.160:
	s_movk_i32 s14, 0x80
	v_cmp_ne_u16_e32 vcc, s14, v4
	s_and_b64 s[14:15], vcc, exec
	s_andn2_saveexec_b64 s[0:1], s[0:1]
	s_cbranch_execnz .LBB448_176
.LBB448_161:
	s_or_b64 exec, exec, s[0:1]
	v_mov_b64_e32 v[2:3], 0
	s_and_saveexec_b64 s[0:1], s[14:15]
	s_cbranch_execz .LBB448_163
.LBB448_162:
	v_and_b32_e32 v3, 0xffff, v4
	v_lshlrev_b32_e32 v2, 24, v4
	v_and_b32_e32 v4, 7, v3
	v_ffbh_u32_e32 v6, v4
	v_min_u32_e32 v6, 32, v6
	v_subrev_u32_e32 v7, 28, v6
	v_bfe_u32 v5, v3, 3, 4
	v_lshlrev_b32_e32 v3, v7, v3
	v_sub_u32_e32 v6, 29, v6
	v_and_b32_e32 v3, 7, v3
	v_cmp_eq_u32_e32 vcc, 0, v5
	v_and_b32_e32 v2, 0x80000000, v2
	s_mov_b32 s14, 0x2f800000
	v_cndmask_b32_e32 v5, v5, v6, vcc
	v_cndmask_b32_e32 v3, v4, v3, vcc
	v_mov_b32_e32 v4, 0x3b800000
	v_lshlrev_b32_e32 v3, 20, v3
	v_lshl_add_u32 v4, v5, 23, v4
	v_or3_b32 v2, v2, v4, v3
	v_trunc_f32_e32 v2, v2
	v_mul_f32_e64 v3, |v2|, s14
	v_floor_f32_e32 v3, v3
	s_mov_b32 s14, 0xcf800000
	v_fma_f32 v4, v3, s14, |v2|
	v_cvt_u32_f32_e32 v4, v4
	v_cvt_u32_f32_e32 v3, v3
	v_ashrrev_i32_e32 v5, 31, v2
	v_xor_b32_e32 v2, v4, v5
	v_xor_b32_e32 v3, v3, v5
	v_sub_co_u32_e32 v2, vcc, v2, v5
	s_nop 1
	v_subb_co_u32_e32 v3, vcc, v3, v5, vcc
.LBB448_163:
	s_or_b64 exec, exec, s[0:1]
.LBB448_164:
	s_mov_b64 s[0:1], -1
.LBB448_165:
	s_branch .LBB448_198
.LBB448_166:
	s_cmp_gt_i32 s20, 22
	s_cbranch_scc0 .LBB448_174
; %bb.167:
	s_cmp_lt_i32 s20, 24
	s_cbranch_scc1 .LBB448_177
; %bb.168:
	s_cmp_gt_i32 s20, 24
	s_cbranch_scc0 .LBB448_178
; %bb.169:
	global_load_ubyte v4, v[0:1], off
	s_movk_i32 s0, 0x7f
	s_mov_b64 s[14:15], 0
	s_waitcnt vmcnt(0)
	v_cmp_lt_i16_e32 vcc, s0, v4
	s_and_saveexec_b64 s[0:1], vcc
	s_xor_b64 s[0:1], exec, s[0:1]
	s_cbranch_execz .LBB448_190
; %bb.170:
	s_movk_i32 s14, 0x80
	v_cmp_ne_u16_e32 vcc, s14, v4
	s_and_b64 s[14:15], vcc, exec
	s_andn2_saveexec_b64 s[0:1], s[0:1]
	s_cbranch_execnz .LBB448_191
.LBB448_171:
	s_or_b64 exec, exec, s[0:1]
	v_mov_b64_e32 v[2:3], 0
	s_and_saveexec_b64 s[0:1], s[14:15]
	s_cbranch_execz .LBB448_173
.LBB448_172:
	v_and_b32_e32 v3, 0xffff, v4
	v_lshlrev_b32_e32 v2, 24, v4
	v_and_b32_e32 v4, 3, v3
	v_ffbh_u32_e32 v6, v4
	v_min_u32_e32 v6, 32, v6
	v_subrev_u32_e32 v7, 29, v6
	v_bfe_u32 v5, v3, 2, 5
	v_lshlrev_b32_e32 v3, v7, v3
	v_sub_u32_e32 v6, 30, v6
	v_and_b32_e32 v3, 3, v3
	v_cmp_eq_u32_e32 vcc, 0, v5
	v_and_b32_e32 v2, 0x80000000, v2
	s_mov_b32 s14, 0x2f800000
	v_cndmask_b32_e32 v5, v5, v6, vcc
	v_cndmask_b32_e32 v3, v4, v3, vcc
	v_mov_b32_e32 v4, 0x37800000
	v_lshlrev_b32_e32 v3, 21, v3
	v_lshl_add_u32 v4, v5, 23, v4
	v_or3_b32 v2, v2, v4, v3
	v_trunc_f32_e32 v2, v2
	v_mul_f32_e64 v3, |v2|, s14
	v_floor_f32_e32 v3, v3
	s_mov_b32 s14, 0xcf800000
	v_fma_f32 v4, v3, s14, |v2|
	v_cvt_u32_f32_e32 v4, v4
	v_cvt_u32_f32_e32 v3, v3
	v_ashrrev_i32_e32 v5, 31, v2
	v_xor_b32_e32 v2, v4, v5
	v_xor_b32_e32 v3, v3, v5
	v_sub_co_u32_e32 v2, vcc, v2, v5
	s_nop 1
	v_subb_co_u32_e32 v3, vcc, v3, v5, vcc
.LBB448_173:
	s_or_b64 exec, exec, s[0:1]
	s_mov_b64 s[0:1], 0
	s_branch .LBB448_179
.LBB448_174:
	s_mov_b64 s[14:15], -1
                                        ; implicit-def: $vgpr2_vgpr3
	s_branch .LBB448_185
.LBB448_175:
	s_andn2_saveexec_b64 s[0:1], s[0:1]
	s_cbranch_execz .LBB448_161
.LBB448_176:
	v_cmp_ne_u16_e32 vcc, 0, v4
	s_andn2_b64 s[14:15], s[14:15], exec
	s_and_b64 s[24:25], vcc, exec
	s_or_b64 s[14:15], s[14:15], s[24:25]
	s_or_b64 exec, exec, s[0:1]
	v_mov_b64_e32 v[2:3], 0
	s_and_saveexec_b64 s[0:1], s[14:15]
	s_cbranch_execnz .LBB448_162
	s_branch .LBB448_163
.LBB448_177:
	s_mov_b64 s[0:1], -1
                                        ; implicit-def: $vgpr2_vgpr3
	s_branch .LBB448_182
.LBB448_178:
	s_mov_b64 s[0:1], -1
                                        ; implicit-def: $vgpr2_vgpr3
.LBB448_179:
	s_and_b64 vcc, exec, s[0:1]
	s_cbranch_vccz .LBB448_181
; %bb.180:
	global_load_ubyte v2, v[0:1], off
	s_mov_b32 s0, 0x7f800000
	s_brev_b32 s1, 1
	s_mov_b32 s14, 0x2f800000
	s_mov_b32 s15, 0xcf800000
	s_waitcnt vmcnt(0)
	v_lshlrev_b32_e32 v2, 24, v2
	v_and_b32_e32 v3, 0x7f000000, v2
	v_ffbh_u32_e32 v4, v3
	v_min_u32_e32 v4, 32, v4
	v_sub_u32_e64 v4, v4, 4 clamp
	v_lshlrev_b32_e32 v6, v4, v3
	v_lshlrev_b32_e32 v4, 23, v4
	v_lshrrev_b32_e32 v6, 4, v6
	v_add_u32_e32 v5, 0x1000000, v3
	v_sub_u32_e32 v4, v6, v4
	v_ashrrev_i32_e32 v5, 8, v5
	v_add_u32_e32 v4, 0x3c000000, v4
	v_and_or_b32 v4, v5, s0, v4
	v_cmp_ne_u32_e32 vcc, 0, v3
	s_nop 1
	v_cndmask_b32_e32 v3, 0, v4, vcc
	v_and_or_b32 v2, v2, s1, v3
	v_trunc_f32_e32 v2, v2
	v_mul_f32_e64 v3, |v2|, s14
	v_floor_f32_e32 v3, v3
	v_fma_f32 v4, v3, s15, |v2|
	v_cvt_u32_f32_e32 v4, v4
	v_cvt_u32_f32_e32 v3, v3
	v_ashrrev_i32_e32 v5, 31, v2
	v_xor_b32_e32 v2, v4, v5
	v_xor_b32_e32 v3, v3, v5
	v_sub_co_u32_e32 v2, vcc, v2, v5
	s_nop 1
	v_subb_co_u32_e32 v3, vcc, v3, v5, vcc
.LBB448_181:
	s_mov_b64 s[0:1], 0
.LBB448_182:
	s_andn2_b64 vcc, exec, s[0:1]
	s_cbranch_vccnz .LBB448_184
; %bb.183:
	global_load_ubyte v2, v[0:1], off
	s_movk_i32 s0, 0x7f00
	s_brev_b32 s1, 16
	s_brev_b32 s14, 1
	s_mov_b32 s15, 0x2f800000
	s_mov_b32 s21, 0xcf800000
	s_waitcnt vmcnt(0)
	v_lshlrev_b16_e32 v3, 8, v2
	v_lshlrev_b32_e32 v2, 25, v2
	v_lshrrev_b32_e32 v4, 4, v2
	v_and_or_b32 v5, v3, s0, 0.5
	v_or_b32_e32 v4, 0x70000000, v4
	v_add_f32_e32 v5, -0.5, v5
	v_mul_f32_e32 v4, 0x7800000, v4
	v_cmp_gt_u32_e32 vcc, s1, v2
	v_bfe_i32 v3, v3, 0, 16
	s_nop 0
	v_cndmask_b32_e32 v2, v4, v5, vcc
	v_and_or_b32 v2, v3, s14, v2
	v_trunc_f32_e32 v2, v2
	v_mul_f32_e64 v3, |v2|, s15
	v_floor_f32_e32 v3, v3
	v_fma_f32 v4, v3, s21, |v2|
	v_cvt_u32_f32_e32 v4, v4
	v_cvt_u32_f32_e32 v3, v3
	v_ashrrev_i32_e32 v5, 31, v2
	v_xor_b32_e32 v2, v4, v5
	v_xor_b32_e32 v3, v3, v5
	v_sub_co_u32_e32 v2, vcc, v2, v5
	s_nop 1
	v_subb_co_u32_e32 v3, vcc, v3, v5, vcc
.LBB448_184:
	s_mov_b64 s[14:15], 0
	s_mov_b64 s[0:1], -1
.LBB448_185:
	s_andn2_b64 vcc, exec, s[14:15]
	s_cbranch_vccnz .LBB448_198
; %bb.186:
	s_cmp_gt_i32 s20, 14
	s_cbranch_scc0 .LBB448_189
; %bb.187:
	s_cmp_eq_u32 s20, 15
	s_cbranch_scc0 .LBB448_192
; %bb.188:
	global_load_ushort v2, v[0:1], off
	s_mov_b32 s0, 0x2f800000
	s_mov_b32 s1, 0xcf800000
	s_mov_b64 s[16:17], 0
	s_waitcnt vmcnt(0)
	v_lshlrev_b32_e32 v2, 16, v2
	v_trunc_f32_e32 v2, v2
	v_mul_f32_e64 v3, |v2|, s0
	v_floor_f32_e32 v3, v3
	v_fma_f32 v4, v3, s1, |v2|
	v_cvt_u32_f32_e32 v4, v4
	v_cvt_u32_f32_e32 v3, v3
	v_ashrrev_i32_e32 v5, 31, v2
	s_mov_b64 s[0:1], -1
	v_xor_b32_e32 v2, v4, v5
	v_xor_b32_e32 v3, v3, v5
	v_sub_co_u32_e32 v2, vcc, v2, v5
	s_nop 1
	v_subb_co_u32_e32 v3, vcc, v3, v5, vcc
	s_branch .LBB448_193
.LBB448_189:
	s_mov_b64 s[14:15], -1
                                        ; implicit-def: $vgpr2_vgpr3
	s_branch .LBB448_194
.LBB448_190:
	s_andn2_saveexec_b64 s[0:1], s[0:1]
	s_cbranch_execz .LBB448_171
.LBB448_191:
	v_cmp_ne_u16_e32 vcc, 0, v4
	s_andn2_b64 s[14:15], s[14:15], exec
	s_and_b64 s[24:25], vcc, exec
	s_or_b64 s[14:15], s[14:15], s[24:25]
	s_or_b64 exec, exec, s[0:1]
	v_mov_b64_e32 v[2:3], 0
	s_and_saveexec_b64 s[0:1], s[14:15]
	s_cbranch_execnz .LBB448_172
	s_branch .LBB448_173
.LBB448_192:
	s_mov_b64 s[16:17], -1
                                        ; implicit-def: $vgpr2_vgpr3
.LBB448_193:
	s_mov_b64 s[14:15], 0
.LBB448_194:
	s_and_b64 vcc, exec, s[14:15]
	s_cbranch_vccz .LBB448_198
; %bb.195:
	s_cmp_eq_u32 s20, 11
	s_cbranch_scc0 .LBB448_197
; %bb.196:
	global_load_ubyte v2, v[0:1], off
	s_mov_b32 s14, 0
	s_mov_b64 s[0:1], -1
	s_waitcnt vmcnt(1)
	v_mov_b32_e32 v3, s14
	s_mov_b64 s[16:17], 0
	s_waitcnt vmcnt(0)
	v_cmp_ne_u16_e32 vcc, 0, v2
	s_nop 1
	v_cndmask_b32_e64 v2, 0, 1, vcc
	s_branch .LBB448_198
.LBB448_197:
	s_mov_b64 s[16:17], -1
                                        ; implicit-def: $vgpr2_vgpr3
.LBB448_198:
	s_branch .LBB448_10
.LBB448_199:
	s_cmp_lt_i32 s20, 5
	s_cbranch_scc1 .LBB448_204
; %bb.200:
	s_cmp_lt_i32 s20, 8
	s_cbranch_scc1 .LBB448_205
; %bb.201:
	;; [unrolled: 3-line block ×3, first 2 shown]
	s_cmp_gt_i32 s20, 9
	s_cbranch_scc0 .LBB448_207
; %bb.203:
	global_load_dwordx2 v[2:3], v[0:1], off
	s_movk_i32 s0, 0xffe0
	s_waitcnt vmcnt(0)
	v_trunc_f64_e32 v[4:5], v[2:3]
	v_ldexp_f64 v[2:3], v[4:5], s0
	v_floor_f64_e32 v[6:7], v[2:3]
	v_fmac_f64_e32 v[4:5], 0xc1f00000, v[6:7]
	v_cvt_i32_f64_e32 v3, v[6:7]
	v_cvt_u32_f64_e32 v2, v[4:5]
	s_mov_b64 s[0:1], 0
	s_branch .LBB448_208
.LBB448_204:
                                        ; implicit-def: $vgpr2_vgpr3
	s_branch .LBB448_226
.LBB448_205:
	s_mov_b64 s[0:1], -1
                                        ; implicit-def: $vgpr2_vgpr3
	s_branch .LBB448_214
.LBB448_206:
	s_mov_b64 s[0:1], -1
                                        ; implicit-def: $vgpr2_vgpr3
	s_branch .LBB448_211
.LBB448_207:
	s_mov_b64 s[0:1], -1
                                        ; implicit-def: $vgpr2_vgpr3
.LBB448_208:
	s_andn2_b64 vcc, exec, s[0:1]
	s_cbranch_vccnz .LBB448_210
; %bb.209:
	global_load_dword v2, v[0:1], off
	s_mov_b32 s0, 0x2f800000
	s_mov_b32 s1, 0xcf800000
	s_waitcnt vmcnt(0)
	v_trunc_f32_e32 v2, v2
	v_mul_f32_e64 v3, |v2|, s0
	v_floor_f32_e32 v3, v3
	v_cvt_u32_f32_e32 v4, v3
	v_fma_f32 v3, v3, s1, |v2|
	v_cvt_u32_f32_e32 v3, v3
	v_ashrrev_i32_e32 v5, 31, v2
	v_xor_b32_e32 v4, v4, v5
	v_xor_b32_e32 v2, v3, v5
	v_sub_co_u32_e32 v2, vcc, v2, v5
	s_nop 1
	v_subb_co_u32_e32 v3, vcc, v4, v5, vcc
.LBB448_210:
	s_mov_b64 s[0:1], 0
.LBB448_211:
	s_andn2_b64 vcc, exec, s[0:1]
	s_cbranch_vccnz .LBB448_213
; %bb.212:
	global_load_dword v2, v[0:1], off
	s_waitcnt vmcnt(0)
	v_cvt_f32_f16_e32 v2, v2
	v_cvt_i32_f32_e32 v2, v2
	v_ashrrev_i32_e32 v3, 31, v2
.LBB448_213:
	s_mov_b64 s[0:1], 0
.LBB448_214:
	s_andn2_b64 vcc, exec, s[0:1]
	s_cbranch_vccnz .LBB448_225
; %bb.215:
	s_cmp_lt_i32 s20, 6
	s_cbranch_scc1 .LBB448_218
; %bb.216:
	s_cmp_gt_i32 s20, 6
	s_cbranch_scc0 .LBB448_219
; %bb.217:
	global_load_dwordx2 v[2:3], v[0:1], off
	s_movk_i32 s0, 0xffe0
	s_waitcnt vmcnt(0)
	v_trunc_f64_e32 v[4:5], v[2:3]
	v_ldexp_f64 v[2:3], v[4:5], s0
	v_floor_f64_e32 v[6:7], v[2:3]
	v_fmac_f64_e32 v[4:5], 0xc1f00000, v[6:7]
	v_cvt_i32_f64_e32 v3, v[6:7]
	v_cvt_u32_f64_e32 v2, v[4:5]
	s_mov_b64 s[0:1], 0
	s_branch .LBB448_220
.LBB448_218:
	s_mov_b64 s[0:1], -1
                                        ; implicit-def: $vgpr2_vgpr3
	s_branch .LBB448_223
.LBB448_219:
	s_mov_b64 s[0:1], -1
                                        ; implicit-def: $vgpr2_vgpr3
.LBB448_220:
	s_andn2_b64 vcc, exec, s[0:1]
	s_cbranch_vccnz .LBB448_222
; %bb.221:
	global_load_dword v2, v[0:1], off
	s_mov_b32 s0, 0x2f800000
	s_mov_b32 s1, 0xcf800000
	s_waitcnt vmcnt(0)
	v_trunc_f32_e32 v2, v2
	v_mul_f32_e64 v3, |v2|, s0
	v_floor_f32_e32 v3, v3
	v_cvt_u32_f32_e32 v4, v3
	v_fma_f32 v3, v3, s1, |v2|
	v_cvt_u32_f32_e32 v3, v3
	v_ashrrev_i32_e32 v5, 31, v2
	v_xor_b32_e32 v4, v4, v5
	v_xor_b32_e32 v2, v3, v5
	v_sub_co_u32_e32 v2, vcc, v2, v5
	s_nop 1
	v_subb_co_u32_e32 v3, vcc, v4, v5, vcc
.LBB448_222:
	s_mov_b64 s[0:1], 0
.LBB448_223:
	s_andn2_b64 vcc, exec, s[0:1]
	s_cbranch_vccnz .LBB448_225
; %bb.224:
	global_load_ushort v2, v[0:1], off
	s_waitcnt vmcnt(0)
	v_cvt_f32_f16_e32 v2, v2
	v_cvt_i32_f32_e32 v2, v2
	v_ashrrev_i32_e32 v3, 31, v2
.LBB448_225:
	s_cbranch_execnz .LBB448_245
.LBB448_226:
	s_cmp_lt_i32 s20, 2
	s_cbranch_scc1 .LBB448_230
; %bb.227:
	s_cmp_lt_i32 s20, 3
	s_cbranch_scc1 .LBB448_231
; %bb.228:
	s_cmp_gt_i32 s20, 3
	s_cbranch_scc0 .LBB448_232
; %bb.229:
	global_load_dwordx2 v[2:3], v[0:1], off
	s_mov_b64 s[0:1], 0
	s_branch .LBB448_233
.LBB448_230:
	s_mov_b64 s[0:1], -1
                                        ; implicit-def: $vgpr2_vgpr3
	s_branch .LBB448_239
.LBB448_231:
	s_mov_b64 s[0:1], -1
                                        ; implicit-def: $vgpr2_vgpr3
	s_branch .LBB448_236
.LBB448_232:
	s_mov_b64 s[0:1], -1
                                        ; implicit-def: $vgpr2_vgpr3
.LBB448_233:
	s_andn2_b64 vcc, exec, s[0:1]
	s_cbranch_vccnz .LBB448_235
; %bb.234:
	global_load_dword v2, v[0:1], off
	s_waitcnt vmcnt(0)
	v_ashrrev_i32_e32 v3, 31, v2
.LBB448_235:
	s_mov_b64 s[0:1], 0
.LBB448_236:
	s_andn2_b64 vcc, exec, s[0:1]
	s_cbranch_vccnz .LBB448_238
; %bb.237:
	global_load_ushort v2, v[0:1], off
	s_waitcnt vmcnt(0)
	v_bfe_i32 v2, v2, 0, 16
	v_ashrrev_i32_e32 v3, 31, v2
.LBB448_238:
	s_mov_b64 s[0:1], 0
.LBB448_239:
	s_andn2_b64 vcc, exec, s[0:1]
	s_cbranch_vccnz .LBB448_245
; %bb.240:
	s_cmp_gt_i32 s20, 0
	s_cbranch_scc0 .LBB448_242
; %bb.241:
	global_load_sbyte v2, v[0:1], off
	s_mov_b64 s[0:1], 0
	s_waitcnt vmcnt(0)
	v_bfe_i32 v2, v2, 0, 16
	v_ashrrev_i32_e32 v3, 31, v2
	s_branch .LBB448_243
.LBB448_242:
	s_mov_b64 s[0:1], -1
                                        ; implicit-def: $vgpr2_vgpr3
.LBB448_243:
	s_andn2_b64 vcc, exec, s[0:1]
	s_cbranch_vccnz .LBB448_245
; %bb.244:
	global_load_ubyte v0, v[0:1], off
	s_mov_b32 s0, 0
	s_waitcnt vmcnt(1)
	v_mov_b32_e32 v3, s0
	s_waitcnt vmcnt(0)
	v_and_b32_e32 v2, 0xffff, v0
.LBB448_245:
	s_branch .LBB448_11
.LBB448_246:
	s_mov_b64 s[0:1], 0
                                        ; implicit-def: $vgpr10
	s_mov_b64 s[20:21], 0
.LBB448_247:
	s_and_b64 s[14:15], s[0:1], exec
	s_and_b64 s[16:17], s[16:17], exec
	s_orn2_b64 s[20:21], s[20:21], exec
.LBB448_248:
	s_or_b64 exec, exec, s[18:19]
	s_mov_b64 s[24:25], 0
	s_mov_b64 s[0:1], 0
                                        ; implicit-def: $vgpr0_vgpr1
                                        ; implicit-def: $vgpr4_vgpr5
	s_and_saveexec_b64 s[18:19], s[20:21]
	s_cbranch_execz .LBB448_257
; %bb.249:
	v_cmp_gt_i32_e32 vcc, s40, v10
	s_mov_b64 s[0:1], -1
	s_mov_b64 s[20:21], s[16:17]
	s_mov_b64 s[22:23], s[14:15]
	s_and_saveexec_b64 s[24:25], vcc
	s_cbranch_execz .LBB448_505
; %bb.250:
	v_mul_lo_u32 v0, v10, s9
	v_ashrrev_i32_e32 v1, 31, v0
	s_and_b32 s26, 0xffff, s44
	s_cmp_lt_i32 s26, 11
	v_lshl_add_u64 v[0:1], s[6:7], 0, v[0:1]
	s_cbranch_scc1 .LBB448_260
; %bb.251:
	s_cmp_gt_i32 s26, 25
	s_cbranch_scc0 .LBB448_269
; %bb.252:
	s_cmp_gt_i32 s26, 28
	s_cbranch_scc0 .LBB448_271
	;; [unrolled: 3-line block ×4, first 2 shown]
; %bb.255:
	s_cmp_eq_u32 s26, 46
	s_mov_b64 s[22:23], 0
	s_cbranch_scc0 .LBB448_281
; %bb.256:
	global_load_dword v2, v[0:1], off
	s_mov_b32 s0, 0x2f800000
	s_mov_b32 s1, 0xcf800000
	s_mov_b64 s[20:21], 0
	s_waitcnt vmcnt(0)
	v_lshlrev_b32_e32 v2, 16, v2
	v_trunc_f32_e32 v2, v2
	v_mul_f32_e64 v3, |v2|, s0
	v_floor_f32_e32 v3, v3
	v_fma_f32 v4, v3, s1, |v2|
	v_cvt_u32_f32_e32 v4, v4
	v_cvt_u32_f32_e32 v3, v3
	v_ashrrev_i32_e32 v5, 31, v2
	s_mov_b64 s[0:1], -1
	v_xor_b32_e32 v2, v4, v5
	v_xor_b32_e32 v3, v3, v5
	v_sub_co_u32_e32 v2, vcc, v2, v5
	s_nop 1
	v_subb_co_u32_e32 v3, vcc, v3, v5, vcc
	s_branch .LBB448_282
.LBB448_257:
	s_or_b64 exec, exec, s[18:19]
	s_mov_b64 s[18:19], 0
	s_and_saveexec_b64 s[20:21], s[16:17]
	s_cbranch_execnz .LBB448_843
.LBB448_258:
	s_or_b64 exec, exec, s[20:21]
	s_and_saveexec_b64 s[16:17], s[22:23]
	s_xor_b64 s[16:17], exec, s[16:17]
	s_cbranch_execz .LBB448_844
.LBB448_259:
	global_load_ubyte v2, v[0:1], off
	s_mov_b32 s20, 0
	s_waitcnt vmcnt(1)
	v_mov_b32_e32 v5, s20
	s_or_b64 s[0:1], s[0:1], exec
	s_waitcnt vmcnt(0)
	v_cmp_ne_u16_e32 vcc, 0, v2
	s_nop 1
	v_cndmask_b32_e64 v4, 0, 1, vcc
	s_or_b64 exec, exec, s[16:17]
	s_and_saveexec_b64 s[16:17], s[24:25]
	s_cbranch_execz .LBB448_890
	s_branch .LBB448_845
.LBB448_260:
	s_mov_b64 s[0:1], 0
                                        ; implicit-def: $vgpr2_vgpr3
	s_mov_b64 s[20:21], s[16:17]
	s_cbranch_execnz .LBB448_455
.LBB448_261:
	s_andn2_b64 vcc, exec, s[0:1]
	s_cbranch_vccnz .LBB448_503
.LBB448_262:
	v_mov_b32_e32 v0, s11
	s_waitcnt vmcnt(0)
	v_cmp_gt_i64_e32 vcc, s[10:11], v[2:3]
	s_and_b32 s30, s33, 0xff
	s_cmp_lt_i32 s30, 11
	v_cndmask_b32_e32 v1, v0, v3, vcc
	v_mov_b32_e32 v0, s10
	v_cndmask_b32_e32 v0, v0, v2, vcc
	v_mul_lo_u32 v2, v10, s8
	v_ashrrev_i32_e32 v3, 31, v2
	v_lshl_add_u64 v[2:3], s[4:5], 0, v[2:3]
	s_cbranch_scc1 .LBB448_270
; %bb.263:
	s_and_b32 s31, 0xffff, s30
	s_cmp_gt_i32 s31, 25
	s_cbranch_scc0 .LBB448_272
; %bb.264:
	s_cmp_gt_i32 s31, 28
	s_cbranch_scc0 .LBB448_274
; %bb.265:
	s_cmp_gt_i32 s31, 43
	s_cbranch_scc0 .LBB448_278
; %bb.266:
	s_cmp_gt_i32 s31, 45
	s_cbranch_scc0 .LBB448_285
; %bb.267:
	s_mov_b64 s[26:27], 0
	s_mov_b64 s[0:1], -1
	s_cmp_eq_u32 s31, 46
	s_mov_b64 s[22:23], 0
	s_cbranch_scc0 .LBB448_286
; %bb.268:
	v_xor_b32_e32 v5, v0, v1
	v_ffbh_i32_e32 v4, v1
	v_ashrrev_i32_e32 v5, 31, v5
	v_add_u32_e32 v4, -1, v4
	v_add_u32_e32 v5, 32, v5
	v_min_u32_e32 v6, v4, v5
	v_lshlrev_b64 v[4:5], v6, v[0:1]
	v_min_u32_e32 v4, 1, v4
	v_or_b32_e32 v4, v5, v4
	v_cvt_f32_i32_e32 v4, v4
	v_sub_u32_e32 v5, 32, v6
	s_movk_i32 s0, 0x7fff
	s_mov_b64 s[22:23], -1
	v_ldexp_f32 v4, v4, v5
	v_bfe_u32 v5, v4, 16, 1
	v_add3_u32 v4, v4, v5, s0
	v_lshrrev_b32_e32 v4, 16, v4
	global_store_dword v[2:3], v4, off
	s_mov_b64 s[0:1], 0
	s_branch .LBB448_286
.LBB448_269:
	s_mov_b64 s[22:23], -1
	s_mov_b64 s[0:1], 0
	s_mov_b64 s[20:21], s[16:17]
                                        ; implicit-def: $vgpr2_vgpr3
	s_branch .LBB448_421
.LBB448_270:
	s_mov_b64 s[26:27], -1
	s_mov_b64 s[22:23], 0
	s_mov_b64 s[0:1], s[14:15]
	s_branch .LBB448_355
.LBB448_271:
	s_mov_b64 s[22:23], -1
	s_mov_b64 s[0:1], 0
	s_mov_b64 s[20:21], s[16:17]
                                        ; implicit-def: $vgpr2_vgpr3
	s_branch .LBB448_404
.LBB448_272:
	s_mov_b64 s[26:27], -1
	s_mov_b64 s[22:23], 0
	s_mov_b64 s[0:1], s[14:15]
	s_branch .LBB448_313
.LBB448_273:
	s_mov_b64 s[22:23], -1
	s_mov_b64 s[0:1], 0
	s_mov_b64 s[20:21], s[16:17]
                                        ; implicit-def: $vgpr2_vgpr3
	s_branch .LBB448_399
.LBB448_274:
	s_mov_b64 s[26:27], -1
	s_mov_b64 s[22:23], 0
	s_mov_b64 s[0:1], s[14:15]
	s_branch .LBB448_296
.LBB448_275:
	s_andn2_saveexec_b64 s[24:25], s[24:25]
	s_cbranch_execz .LBB448_55
.LBB448_276:
	s_mov_b32 s28, 0x46000000
	v_add_f32_e64 v5, |v4|, s28
	v_and_b32_e32 v5, 0xff, v5
	v_cmp_ne_u32_e32 vcc, 0, v5
	s_andn2_b64 s[20:21], s[20:21], exec
	s_and_b64 s[28:29], vcc, exec
	s_or_b64 s[20:21], s[20:21], s[28:29]
	s_or_b64 exec, exec, s[24:25]
	v_mov_b32_e32 v6, 0
	s_and_saveexec_b64 s[24:25], s[20:21]
	s_cbranch_execnz .LBB448_56
	s_branch .LBB448_57
.LBB448_277:
	s_mov_b64 s[22:23], -1
	s_mov_b64 s[0:1], 0
	s_mov_b64 s[20:21], s[16:17]
                                        ; implicit-def: $vgpr2_vgpr3
	s_branch .LBB448_282
.LBB448_278:
	s_mov_b64 s[26:27], -1
	s_mov_b64 s[22:23], 0
	s_mov_b64 s[0:1], s[14:15]
	s_branch .LBB448_292
.LBB448_279:
	s_andn2_saveexec_b64 s[24:25], s[24:25]
	s_cbranch_execz .LBB448_68
.LBB448_280:
	s_mov_b32 s28, 0x42800000
	v_add_f32_e64 v5, |v4|, s28
	v_and_b32_e32 v5, 0xff, v5
	v_cmp_ne_u32_e32 vcc, 0, v5
	s_andn2_b64 s[20:21], s[20:21], exec
	s_and_b64 s[28:29], vcc, exec
	s_or_b64 s[20:21], s[20:21], s[28:29]
	s_or_b64 exec, exec, s[24:25]
	v_mov_b32_e32 v6, 0
	s_and_saveexec_b64 s[24:25], s[20:21]
	s_cbranch_execnz .LBB448_69
	s_branch .LBB448_70
.LBB448_281:
	s_mov_b64 s[20:21], -1
                                        ; implicit-def: $vgpr2_vgpr3
	s_mov_b64 s[0:1], 0
.LBB448_282:
	s_and_b64 vcc, exec, s[22:23]
	s_cbranch_vccz .LBB448_398
; %bb.283:
	s_cmp_eq_u32 s26, 44
	s_cbranch_scc0 .LBB448_397
; %bb.284:
	global_load_ubyte v2, v[0:1], off
	s_mov_b32 s0, 0x2f800000
	s_mov_b32 s1, 0xcf800000
	s_mov_b64 s[20:21], 0
	s_waitcnt vmcnt(0)
	v_lshlrev_b32_e32 v3, 23, v2
	v_trunc_f32_e32 v3, v3
	v_mul_f32_e64 v4, |v3|, s0
	v_floor_f32_e32 v4, v4
	v_fma_f32 v5, v4, s1, |v3|
	v_cvt_u32_f32_e32 v5, v5
	v_cvt_u32_f32_e32 v4, v4
	v_ashrrev_i32_e32 v3, 31, v3
	s_mov_b64 s[0:1], -1
	v_xor_b32_e32 v5, v5, v3
	v_xor_b32_e32 v4, v4, v3
	v_sub_co_u32_e32 v5, vcc, v5, v3
	s_nop 1
	v_subb_co_u32_e32 v3, vcc, v4, v3, vcc
	v_cmp_ne_u32_e32 vcc, 0, v2
	s_nop 1
	v_cndmask_b32_e32 v3, 0, v3, vcc
	v_cndmask_b32_e32 v2, 0, v5, vcc
	s_branch .LBB448_398
.LBB448_285:
	s_mov_b64 s[26:27], -1
	s_mov_b64 s[22:23], 0
	s_mov_b64 s[0:1], s[14:15]
.LBB448_286:
	s_and_b64 vcc, exec, s[26:27]
	s_cbranch_vccz .LBB448_291
; %bb.287:
	s_cmp_eq_u32 s31, 44
	s_mov_b64 s[0:1], -1
	s_cbranch_scc0 .LBB448_291
; %bb.288:
	v_xor_b32_e32 v5, v0, v1
	v_ffbh_i32_e32 v4, v1
	v_ashrrev_i32_e32 v5, 31, v5
	v_add_u32_e32 v4, -1, v4
	v_add_u32_e32 v5, 32, v5
	v_min_u32_e32 v6, v4, v5
	v_lshlrev_b64 v[4:5], v6, v[0:1]
	v_min_u32_e32 v4, 1, v4
	v_or_b32_e32 v4, v5, v4
	v_cvt_f32_i32_e32 v4, v4
	v_sub_u32_e32 v5, 32, v6
	s_movk_i32 s0, 0xff
	v_mov_b32_e32 v6, 0xff
	v_ldexp_f32 v4, v4, v5
	v_bfe_u32 v5, v4, 23, 8
	v_cmp_ne_u32_e32 vcc, s0, v5
	s_and_saveexec_b64 s[22:23], vcc
; %bb.289:
	s_mov_b32 s0, 0x3fffff
	v_lshrrev_b32_e32 v6, 23, v4
	v_and_b32_e32 v7, 0x400000, v4
	v_and_or_b32 v4, v4, s0, v5
	v_cmp_ne_u32_e32 vcc, 0, v7
	v_cmp_ne_u32_e64 s[0:1], 0, v4
	s_and_b64 s[0:1], vcc, s[0:1]
	s_nop 0
	v_cndmask_b32_e64 v4, 0, 1, s[0:1]
	v_add_u32_e32 v6, v6, v4
; %bb.290:
	s_or_b64 exec, exec, s[22:23]
	s_mov_b64 s[22:23], -1
	s_mov_b64 s[0:1], 0
	global_store_byte v[2:3], v6, off
.LBB448_291:
	s_mov_b64 s[26:27], 0
.LBB448_292:
	s_and_b64 vcc, exec, s[26:27]
	s_cbranch_vccz .LBB448_295
; %bb.293:
	s_cmp_eq_u32 s31, 29
	s_mov_b64 s[0:1], -1
	s_cbranch_scc0 .LBB448_295
; %bb.294:
	global_store_dwordx2 v[2:3], v[0:1], off
	s_mov_b64 s[22:23], -1
	s_mov_b64 s[0:1], 0
.LBB448_295:
	s_mov_b64 s[26:27], 0
.LBB448_296:
	s_and_b64 vcc, exec, s[26:27]
	s_cbranch_vccz .LBB448_312
; %bb.297:
	s_cmp_lt_i32 s31, 27
	s_mov_b64 s[22:23], -1
	s_cbranch_scc1 .LBB448_303
; %bb.298:
	s_cmp_gt_i32 s31, 27
	s_cbranch_scc0 .LBB448_300
; %bb.299:
	s_mov_b64 s[22:23], 0
	global_store_dword v[2:3], v0, off
.LBB448_300:
	s_andn2_b64 vcc, exec, s[22:23]
	s_cbranch_vccnz .LBB448_302
; %bb.301:
	global_store_short v[2:3], v0, off
.LBB448_302:
	s_mov_b64 s[22:23], 0
.LBB448_303:
	s_andn2_b64 vcc, exec, s[22:23]
	s_cbranch_vccnz .LBB448_311
; %bb.304:
	v_xor_b32_e32 v5, v0, v1
	v_ffbh_i32_e32 v4, v1
	v_ashrrev_i32_e32 v5, 31, v5
	v_add_u32_e32 v4, -1, v4
	v_add_u32_e32 v5, 32, v5
	v_min_u32_e32 v6, v4, v5
	v_lshlrev_b64 v[4:5], v6, v[0:1]
	v_min_u32_e32 v4, 1, v4
	v_or_b32_e32 v4, v5, v4
	v_cvt_f32_i32_e32 v4, v4
	v_sub_u32_e32 v5, 32, v6
	s_mov_b32 s22, 0x43800000
	v_mov_b32_e32 v6, 0x80
	v_ldexp_f32 v4, v4, v5
	v_and_b32_e32 v5, 0x7fffffff, v4
	v_cmp_gt_u32_e32 vcc, s22, v5
	s_and_saveexec_b64 s[22:23], vcc
	s_cbranch_execz .LBB448_310
; %bb.305:
	s_mov_b32 s26, 0x3bffffff
	v_cmp_lt_u32_e32 vcc, s26, v5
	s_mov_b64 s[26:27], 0
                                        ; implicit-def: $vgpr5
	s_and_saveexec_b64 s[28:29], vcc
	s_xor_b64 s[28:29], exec, s[28:29]
	s_cbranch_execz .LBB448_518
; %bb.306:
	v_bfe_u32 v5, v4, 20, 1
	s_mov_b32 s34, 0x487ffff
	v_add3_u32 v5, v4, v5, s34
	s_mov_b64 s[26:27], exec
	v_lshrrev_b32_e32 v5, 20, v5
	s_andn2_saveexec_b64 s[28:29], s[28:29]
	s_cbranch_execnz .LBB448_519
.LBB448_307:
	s_or_b64 exec, exec, s[28:29]
	v_mov_b32_e32 v6, 0
	s_and_saveexec_b64 s[28:29], s[26:27]
.LBB448_308:
	v_lshrrev_b32_e32 v4, 24, v4
	s_movk_i32 s26, 0x80
	v_and_or_b32 v6, v4, s26, v5
.LBB448_309:
	s_or_b64 exec, exec, s[28:29]
.LBB448_310:
	s_or_b64 exec, exec, s[22:23]
	global_store_byte v[2:3], v6, off
.LBB448_311:
	s_mov_b64 s[22:23], -1
.LBB448_312:
	s_mov_b64 s[26:27], 0
.LBB448_313:
	s_and_b64 vcc, exec, s[26:27]
	s_cbranch_vccz .LBB448_354
; %bb.314:
	s_cmp_gt_i32 s31, 22
	s_mov_b64 s[26:27], -1
	s_cbranch_scc0 .LBB448_346
; %bb.315:
	s_cmp_lt_i32 s31, 24
	s_mov_b64 s[22:23], -1
	s_cbranch_scc1 .LBB448_335
; %bb.316:
	s_cmp_gt_i32 s31, 24
	s_cbranch_scc0 .LBB448_324
; %bb.317:
	v_xor_b32_e32 v5, v0, v1
	v_ffbh_i32_e32 v4, v1
	v_ashrrev_i32_e32 v5, 31, v5
	v_add_u32_e32 v4, -1, v4
	v_add_u32_e32 v5, 32, v5
	v_min_u32_e32 v6, v4, v5
	v_lshlrev_b64 v[4:5], v6, v[0:1]
	v_min_u32_e32 v4, 1, v4
	v_or_b32_e32 v4, v5, v4
	v_cvt_f32_i32_e32 v4, v4
	v_sub_u32_e32 v5, 32, v6
	s_mov_b32 s22, 0x47800000
	v_mov_b32_e32 v6, 0x80
	v_ldexp_f32 v4, v4, v5
	v_and_b32_e32 v5, 0x7fffffff, v4
	v_cmp_gt_u32_e32 vcc, s22, v5
	s_and_saveexec_b64 s[22:23], vcc
	s_cbranch_execz .LBB448_323
; %bb.318:
	s_mov_b32 s26, 0x37ffffff
	v_cmp_lt_u32_e32 vcc, s26, v5
	s_mov_b64 s[26:27], 0
                                        ; implicit-def: $vgpr5
	s_and_saveexec_b64 s[28:29], vcc
	s_xor_b64 s[28:29], exec, s[28:29]
	s_cbranch_execz .LBB448_521
; %bb.319:
	v_bfe_u32 v5, v4, 21, 1
	s_mov_b32 s34, 0x88fffff
	v_add3_u32 v5, v4, v5, s34
	s_mov_b64 s[26:27], exec
	v_lshrrev_b32_e32 v5, 21, v5
	s_andn2_saveexec_b64 s[28:29], s[28:29]
	s_cbranch_execnz .LBB448_522
.LBB448_320:
	s_or_b64 exec, exec, s[28:29]
	v_mov_b32_e32 v6, 0
	s_and_saveexec_b64 s[28:29], s[26:27]
.LBB448_321:
	v_lshrrev_b32_e32 v4, 24, v4
	s_movk_i32 s26, 0x80
	v_and_or_b32 v6, v4, s26, v5
.LBB448_322:
	s_or_b64 exec, exec, s[28:29]
.LBB448_323:
	s_or_b64 exec, exec, s[22:23]
	s_mov_b64 s[22:23], 0
	global_store_byte v[2:3], v6, off
.LBB448_324:
	s_and_b64 vcc, exec, s[22:23]
	s_cbranch_vccz .LBB448_334
; %bb.325:
	v_xor_b32_e32 v5, v0, v1
	v_ffbh_i32_e32 v4, v1
	v_ashrrev_i32_e32 v5, 31, v5
	v_add_u32_e32 v4, -1, v4
	v_add_u32_e32 v5, 32, v5
	v_min_u32_e32 v6, v4, v5
	v_lshlrev_b64 v[4:5], v6, v[0:1]
	v_min_u32_e32 v4, 1, v4
	v_or_b32_e32 v4, v5, v4
	v_cvt_f32_i32_e32 v4, v4
	v_sub_u32_e32 v5, 32, v6
	s_mov_b32 s22, 0x43f00000
	v_ldexp_f32 v4, v4, v5
	v_and_b32_e32 v6, 0x7fffffff, v4
	v_cmp_gt_u32_e32 vcc, s22, v6
                                        ; implicit-def: $vgpr5
	s_and_saveexec_b64 s[22:23], vcc
	s_xor_b64 s[22:23], exec, s[22:23]
	s_cbranch_execz .LBB448_331
; %bb.326:
	s_mov_b32 s26, 0x3c7fffff
	v_cmp_lt_u32_e32 vcc, s26, v6
                                        ; implicit-def: $vgpr5
	s_and_saveexec_b64 s[26:27], vcc
	s_xor_b64 s[26:27], exec, s[26:27]
; %bb.327:
	v_bfe_u32 v5, v4, 20, 1
	s_mov_b32 s28, 0x407ffff
	v_add3_u32 v5, v4, v5, s28
	v_lshrrev_b32_e32 v6, 20, v5
	v_and_b32_e32 v5, 0xff00000, v5
	s_mov_b32 s28, 0x7f00000
	v_mov_b32_e32 v7, 0x7e
	v_cmp_ne_u32_e32 vcc, s28, v5
	s_nop 1
	v_cndmask_b32_e32 v5, v7, v6, vcc
; %bb.328:
	s_andn2_saveexec_b64 s[26:27], s[26:27]
; %bb.329:
	s_mov_b32 s28, 0x46800000
	v_add_f32_e64 v5, |v4|, s28
; %bb.330:
	s_or_b64 exec, exec, s[26:27]
                                        ; implicit-def: $vgpr6
.LBB448_331:
	s_andn2_saveexec_b64 s[22:23], s[22:23]
; %bb.332:
	s_mov_b32 s26, 0x7f800000
	v_mov_b32_e32 v5, 0x7e
	v_mov_b32_e32 v7, 0x7f
	v_cmp_lt_u32_e32 vcc, s26, v6
	s_nop 1
	v_cndmask_b32_e32 v5, v5, v7, vcc
; %bb.333:
	s_or_b64 exec, exec, s[22:23]
	v_lshrrev_b32_e32 v4, 24, v4
	s_movk_i32 s22, 0x80
	v_and_or_b32 v4, v4, s22, v5
	global_store_byte v[2:3], v4, off
.LBB448_334:
	s_mov_b64 s[22:23], 0
.LBB448_335:
	s_andn2_b64 vcc, exec, s[22:23]
	s_cbranch_vccnz .LBB448_345
; %bb.336:
	v_xor_b32_e32 v5, v0, v1
	v_ffbh_i32_e32 v4, v1
	v_ashrrev_i32_e32 v5, 31, v5
	v_add_u32_e32 v4, -1, v4
	v_add_u32_e32 v5, 32, v5
	v_min_u32_e32 v6, v4, v5
	v_lshlrev_b64 v[4:5], v6, v[0:1]
	v_min_u32_e32 v4, 1, v4
	v_or_b32_e32 v4, v5, v4
	v_cvt_f32_i32_e32 v4, v4
	v_sub_u32_e32 v5, 32, v6
	s_mov_b32 s22, 0x47800000
	v_ldexp_f32 v4, v4, v5
	v_and_b32_e32 v6, 0x7fffffff, v4
	v_cmp_gt_u32_e32 vcc, s22, v6
                                        ; implicit-def: $vgpr5
	s_and_saveexec_b64 s[22:23], vcc
	s_xor_b64 s[22:23], exec, s[22:23]
	s_cbranch_execz .LBB448_342
; %bb.337:
	s_mov_b32 s26, 0x387fffff
	v_cmp_lt_u32_e32 vcc, s26, v6
                                        ; implicit-def: $vgpr5
	s_and_saveexec_b64 s[26:27], vcc
	s_xor_b64 s[26:27], exec, s[26:27]
; %bb.338:
	v_bfe_u32 v5, v4, 21, 1
	s_mov_b32 s28, 0x80fffff
	v_add3_u32 v5, v4, v5, s28
	v_lshrrev_b32_e32 v5, 21, v5
; %bb.339:
	s_andn2_saveexec_b64 s[26:27], s[26:27]
; %bb.340:
	s_mov_b32 s28, 0x43000000
	v_add_f32_e64 v5, |v4|, s28
; %bb.341:
	s_or_b64 exec, exec, s[26:27]
                                        ; implicit-def: $vgpr6
.LBB448_342:
	s_andn2_saveexec_b64 s[22:23], s[22:23]
; %bb.343:
	s_mov_b32 s26, 0x7f800000
	v_mov_b32_e32 v5, 0x7c
	v_mov_b32_e32 v7, 0x7f
	v_cmp_lt_u32_e32 vcc, s26, v6
	s_nop 1
	v_cndmask_b32_e32 v5, v5, v7, vcc
; %bb.344:
	s_or_b64 exec, exec, s[22:23]
	v_lshrrev_b32_e32 v4, 24, v4
	s_movk_i32 s22, 0x80
	v_and_or_b32 v4, v4, s22, v5
	global_store_byte v[2:3], v4, off
.LBB448_345:
	s_mov_b64 s[26:27], 0
	s_mov_b64 s[22:23], -1
.LBB448_346:
	s_andn2_b64 vcc, exec, s[26:27]
	s_cbranch_vccnz .LBB448_354
; %bb.347:
	s_cmp_gt_i32 s31, 14
	s_mov_b64 s[26:27], -1
	s_cbranch_scc0 .LBB448_351
; %bb.348:
	s_cmp_eq_u32 s31, 15
	s_mov_b64 s[0:1], -1
	s_cbranch_scc0 .LBB448_350
; %bb.349:
	v_xor_b32_e32 v5, v0, v1
	v_ffbh_i32_e32 v4, v1
	v_ashrrev_i32_e32 v5, 31, v5
	v_add_u32_e32 v4, -1, v4
	v_add_u32_e32 v5, 32, v5
	v_min_u32_e32 v6, v4, v5
	v_lshlrev_b64 v[4:5], v6, v[0:1]
	v_min_u32_e32 v4, 1, v4
	v_or_b32_e32 v4, v5, v4
	v_cvt_f32_i32_e32 v4, v4
	v_sub_u32_e32 v5, 32, v6
	s_movk_i32 s0, 0x7fff
	s_mov_b64 s[22:23], -1
	v_ldexp_f32 v4, v4, v5
	v_bfe_u32 v5, v4, 16, 1
	v_add3_u32 v4, v4, v5, s0
	global_store_short_d16_hi v[2:3], v4, off
	s_mov_b64 s[0:1], 0
.LBB448_350:
	s_mov_b64 s[26:27], 0
.LBB448_351:
	s_and_b64 vcc, exec, s[26:27]
	s_cbranch_vccz .LBB448_354
; %bb.352:
	s_cmp_eq_u32 s31, 11
	s_mov_b64 s[0:1], -1
	s_cbranch_scc0 .LBB448_354
; %bb.353:
	v_cmp_ne_u64_e32 vcc, 0, v[0:1]
	s_mov_b64 s[0:1], 0
	s_mov_b64 s[22:23], -1
	v_cndmask_b32_e64 v4, 0, 1, vcc
	global_store_byte v[2:3], v4, off
.LBB448_354:
	s_mov_b64 s[26:27], 0
.LBB448_355:
	s_and_b64 vcc, exec, s[26:27]
	s_cbranch_vccz .LBB448_394
; %bb.356:
	s_and_b32 s26, 0xffff, s30
	s_cmp_lt_i32 s26, 5
	s_mov_b64 s[22:23], -1
	s_cbranch_scc1 .LBB448_377
; %bb.357:
	s_cmp_lt_i32 s26, 8
	s_cbranch_scc1 .LBB448_367
; %bb.358:
	s_cmp_lt_i32 s26, 9
	s_cbranch_scc1 .LBB448_364
; %bb.359:
	s_cmp_gt_i32 s26, 9
	s_cbranch_scc0 .LBB448_361
; %bb.360:
	v_cvt_f64_i32_e32 v[4:5], v1
	v_ldexp_f64 v[4:5], v[4:5], 32
	v_cvt_f64_u32_e32 v[6:7], v0
	v_add_f64 v[4:5], v[4:5], v[6:7]
	v_mov_b32_e32 v6, 0
	v_mov_b32_e32 v7, v6
	s_mov_b64 s[22:23], 0
	global_store_dwordx4 v[2:3], v[4:7], off
.LBB448_361:
	s_andn2_b64 vcc, exec, s[22:23]
	s_cbranch_vccnz .LBB448_363
; %bb.362:
	v_xor_b32_e32 v5, v0, v1
	v_ffbh_i32_e32 v4, v1
	v_ashrrev_i32_e32 v5, 31, v5
	v_add_u32_e32 v4, -1, v4
	v_add_u32_e32 v5, 32, v5
	v_min_u32_e32 v6, v4, v5
	v_lshlrev_b64 v[4:5], v6, v[0:1]
	v_min_u32_e32 v4, 1, v4
	v_or_b32_e32 v4, v5, v4
	v_cvt_f32_i32_e32 v4, v4
	v_sub_u32_e32 v5, 32, v6
	v_ldexp_f32 v4, v4, v5
	v_mov_b32_e32 v5, 0
	global_store_dwordx2 v[2:3], v[4:5], off
.LBB448_363:
	s_mov_b64 s[22:23], 0
.LBB448_364:
	s_andn2_b64 vcc, exec, s[22:23]
	s_cbranch_vccnz .LBB448_366
; %bb.365:
	v_xor_b32_e32 v5, v0, v1
	v_ffbh_i32_e32 v4, v1
	v_ashrrev_i32_e32 v5, 31, v5
	v_add_u32_e32 v4, -1, v4
	v_add_u32_e32 v5, 32, v5
	v_min_u32_e32 v6, v4, v5
	v_lshlrev_b64 v[4:5], v6, v[0:1]
	v_min_u32_e32 v4, 1, v4
	v_or_b32_e32 v4, v5, v4
	v_cvt_f32_i32_e32 v4, v4
	v_sub_u32_e32 v5, 32, v6
	v_ldexp_f32 v4, v4, v5
	v_cvt_f16_f32_e32 v4, v4
	global_store_dword v[2:3], v4, off
.LBB448_366:
	s_mov_b64 s[22:23], 0
.LBB448_367:
	s_andn2_b64 vcc, exec, s[22:23]
	s_cbranch_vccnz .LBB448_376
; %bb.368:
	s_cmp_lt_i32 s26, 6
	s_mov_b64 s[22:23], -1
	s_cbranch_scc1 .LBB448_374
; %bb.369:
	s_cmp_gt_i32 s26, 6
	s_cbranch_scc0 .LBB448_371
; %bb.370:
	v_cvt_f64_i32_e32 v[4:5], v1
	v_ldexp_f64 v[4:5], v[4:5], 32
	v_cvt_f64_u32_e32 v[6:7], v0
	v_add_f64 v[4:5], v[4:5], v[6:7]
	s_mov_b64 s[22:23], 0
	global_store_dwordx2 v[2:3], v[4:5], off
.LBB448_371:
	s_andn2_b64 vcc, exec, s[22:23]
	s_cbranch_vccnz .LBB448_373
; %bb.372:
	v_xor_b32_e32 v5, v0, v1
	v_ffbh_i32_e32 v4, v1
	v_ashrrev_i32_e32 v5, 31, v5
	v_add_u32_e32 v4, -1, v4
	v_add_u32_e32 v5, 32, v5
	v_min_u32_e32 v6, v4, v5
	v_lshlrev_b64 v[4:5], v6, v[0:1]
	v_min_u32_e32 v4, 1, v4
	v_or_b32_e32 v4, v5, v4
	v_cvt_f32_i32_e32 v4, v4
	v_sub_u32_e32 v5, 32, v6
	v_ldexp_f32 v4, v4, v5
	global_store_dword v[2:3], v4, off
.LBB448_373:
	s_mov_b64 s[22:23], 0
.LBB448_374:
	s_andn2_b64 vcc, exec, s[22:23]
	s_cbranch_vccnz .LBB448_376
; %bb.375:
	v_xor_b32_e32 v5, v0, v1
	v_ffbh_i32_e32 v4, v1
	v_ashrrev_i32_e32 v5, 31, v5
	v_add_u32_e32 v4, -1, v4
	v_add_u32_e32 v5, 32, v5
	v_min_u32_e32 v6, v4, v5
	v_lshlrev_b64 v[4:5], v6, v[0:1]
	v_min_u32_e32 v4, 1, v4
	v_or_b32_e32 v4, v5, v4
	v_cvt_f32_i32_e32 v4, v4
	v_sub_u32_e32 v5, 32, v6
	v_ldexp_f32 v4, v4, v5
	v_cvt_f16_f32_e32 v4, v4
	global_store_short v[2:3], v4, off
.LBB448_376:
	s_mov_b64 s[22:23], 0
.LBB448_377:
	s_andn2_b64 vcc, exec, s[22:23]
	s_cbranch_vccnz .LBB448_393
; %bb.378:
	s_cmp_lt_i32 s26, 2
	s_mov_b64 s[22:23], -1
	s_cbranch_scc1 .LBB448_388
; %bb.379:
	s_cmp_lt_i32 s26, 3
	s_cbranch_scc1 .LBB448_385
; %bb.380:
	s_cmp_gt_i32 s26, 3
	s_cbranch_scc0 .LBB448_382
; %bb.381:
	s_mov_b64 s[22:23], 0
	global_store_dwordx2 v[2:3], v[0:1], off
.LBB448_382:
	s_andn2_b64 vcc, exec, s[22:23]
	s_cbranch_vccnz .LBB448_384
; %bb.383:
	global_store_dword v[2:3], v0, off
.LBB448_384:
	s_mov_b64 s[22:23], 0
.LBB448_385:
	s_andn2_b64 vcc, exec, s[22:23]
	s_cbranch_vccnz .LBB448_387
; %bb.386:
	global_store_short v[2:3], v0, off
.LBB448_387:
	s_mov_b64 s[22:23], 0
.LBB448_388:
	s_andn2_b64 vcc, exec, s[22:23]
	s_cbranch_vccnz .LBB448_393
; %bb.389:
	s_cmp_gt_i32 s26, 0
	s_mov_b64 s[22:23], -1
	s_cbranch_scc0 .LBB448_391
; %bb.390:
	s_mov_b64 s[22:23], 0
	global_store_byte v[2:3], v0, off
.LBB448_391:
	s_andn2_b64 vcc, exec, s[22:23]
	s_cbranch_vccnz .LBB448_393
; %bb.392:
	global_store_byte v[2:3], v0, off
.LBB448_393:
	s_mov_b64 s[22:23], -1
.LBB448_394:
	s_andn2_b64 vcc, exec, s[22:23]
	s_cbranch_vccnz .LBB448_396
; %bb.395:
	v_add_u32_e32 v10, 0x80, v10
	s_mov_b64 s[26:27], -1
	s_branch .LBB448_504
.LBB448_396:
	s_mov_b64 s[26:27], 0
                                        ; implicit-def: $vgpr10
	s_branch .LBB448_504
.LBB448_397:
	s_mov_b64 s[20:21], -1
                                        ; implicit-def: $vgpr2_vgpr3
.LBB448_398:
	s_mov_b64 s[22:23], 0
.LBB448_399:
	s_and_b64 vcc, exec, s[22:23]
	s_cbranch_vccz .LBB448_403
; %bb.400:
	s_cmp_eq_u32 s26, 29
	s_cbranch_scc0 .LBB448_402
; %bb.401:
	global_load_dwordx2 v[2:3], v[0:1], off
	s_mov_b64 s[0:1], -1
	s_mov_b64 s[20:21], 0
	s_branch .LBB448_403
.LBB448_402:
	s_mov_b64 s[20:21], -1
                                        ; implicit-def: $vgpr2_vgpr3
.LBB448_403:
	s_mov_b64 s[22:23], 0
.LBB448_404:
	s_and_b64 vcc, exec, s[22:23]
	s_cbranch_vccz .LBB448_420
; %bb.405:
	s_cmp_lt_i32 s26, 27
	s_cbranch_scc1 .LBB448_408
; %bb.406:
	s_cmp_gt_i32 s26, 27
	s_cbranch_scc0 .LBB448_409
; %bb.407:
	global_load_dword v2, v[0:1], off
	s_waitcnt vmcnt(1)
	v_mov_b32_e32 v3, 0
	s_mov_b64 s[0:1], 0
	s_branch .LBB448_410
.LBB448_408:
	s_mov_b64 s[0:1], -1
                                        ; implicit-def: $vgpr2_vgpr3
	s_branch .LBB448_413
.LBB448_409:
	s_mov_b64 s[0:1], -1
                                        ; implicit-def: $vgpr2_vgpr3
.LBB448_410:
	s_andn2_b64 vcc, exec, s[0:1]
	s_cbranch_vccnz .LBB448_412
; %bb.411:
	global_load_ushort v2, v[0:1], off
	s_mov_b32 s0, 0
	s_waitcnt vmcnt(1)
	v_mov_b32_e32 v3, s0
	s_waitcnt vmcnt(0)
	v_and_b32_e32 v2, 0xffff, v2
.LBB448_412:
	s_mov_b64 s[0:1], 0
.LBB448_413:
	s_andn2_b64 vcc, exec, s[0:1]
	s_cbranch_vccnz .LBB448_419
; %bb.414:
	global_load_ubyte v4, v[0:1], off
	s_movk_i32 s0, 0x7f
	s_mov_b64 s[22:23], 0
	s_waitcnt vmcnt(0)
	v_cmp_lt_i16_e32 vcc, s0, v4
	s_and_saveexec_b64 s[0:1], vcc
	s_xor_b64 s[0:1], exec, s[0:1]
	s_cbranch_execz .LBB448_431
; %bb.415:
	s_movk_i32 s22, 0x80
	v_cmp_ne_u16_e32 vcc, s22, v4
	s_and_b64 s[22:23], vcc, exec
	s_andn2_saveexec_b64 s[0:1], s[0:1]
	s_cbranch_execnz .LBB448_432
.LBB448_416:
	s_or_b64 exec, exec, s[0:1]
	v_mov_b64_e32 v[2:3], 0
	s_and_saveexec_b64 s[0:1], s[22:23]
	s_cbranch_execz .LBB448_418
.LBB448_417:
	v_and_b32_e32 v3, 0xffff, v4
	v_lshlrev_b32_e32 v2, 24, v4
	v_and_b32_e32 v4, 7, v3
	v_ffbh_u32_e32 v6, v4
	v_min_u32_e32 v6, 32, v6
	v_subrev_u32_e32 v7, 28, v6
	v_bfe_u32 v5, v3, 3, 4
	v_lshlrev_b32_e32 v3, v7, v3
	v_sub_u32_e32 v6, 29, v6
	v_and_b32_e32 v3, 7, v3
	v_cmp_eq_u32_e32 vcc, 0, v5
	v_and_b32_e32 v2, 0x80000000, v2
	s_mov_b32 s22, 0x2f800000
	v_cndmask_b32_e32 v5, v5, v6, vcc
	v_cndmask_b32_e32 v3, v4, v3, vcc
	v_mov_b32_e32 v4, 0x3b800000
	v_lshlrev_b32_e32 v3, 20, v3
	v_lshl_add_u32 v4, v5, 23, v4
	v_or3_b32 v2, v2, v4, v3
	v_trunc_f32_e32 v2, v2
	v_mul_f32_e64 v3, |v2|, s22
	v_floor_f32_e32 v3, v3
	s_mov_b32 s22, 0xcf800000
	v_fma_f32 v4, v3, s22, |v2|
	v_cvt_u32_f32_e32 v4, v4
	v_cvt_u32_f32_e32 v3, v3
	v_ashrrev_i32_e32 v5, 31, v2
	v_xor_b32_e32 v2, v4, v5
	v_xor_b32_e32 v3, v3, v5
	v_sub_co_u32_e32 v2, vcc, v2, v5
	s_nop 1
	v_subb_co_u32_e32 v3, vcc, v3, v5, vcc
.LBB448_418:
	s_or_b64 exec, exec, s[0:1]
.LBB448_419:
	s_mov_b64 s[0:1], -1
.LBB448_420:
	s_mov_b64 s[22:23], 0
.LBB448_421:
	s_and_b64 vcc, exec, s[22:23]
	s_cbranch_vccz .LBB448_454
; %bb.422:
	s_cmp_gt_i32 s26, 22
	s_cbranch_scc0 .LBB448_430
; %bb.423:
	s_cmp_lt_i32 s26, 24
	s_cbranch_scc1 .LBB448_433
; %bb.424:
	s_cmp_gt_i32 s26, 24
	s_cbranch_scc0 .LBB448_434
; %bb.425:
	global_load_ubyte v4, v[0:1], off
	s_movk_i32 s0, 0x7f
	s_mov_b64 s[22:23], 0
	s_waitcnt vmcnt(0)
	v_cmp_lt_i16_e32 vcc, s0, v4
	s_and_saveexec_b64 s[0:1], vcc
	s_xor_b64 s[0:1], exec, s[0:1]
	s_cbranch_execz .LBB448_446
; %bb.426:
	s_movk_i32 s22, 0x80
	v_cmp_ne_u16_e32 vcc, s22, v4
	s_and_b64 s[22:23], vcc, exec
	s_andn2_saveexec_b64 s[0:1], s[0:1]
	s_cbranch_execnz .LBB448_447
.LBB448_427:
	s_or_b64 exec, exec, s[0:1]
	v_mov_b64_e32 v[2:3], 0
	s_and_saveexec_b64 s[0:1], s[22:23]
	s_cbranch_execz .LBB448_429
.LBB448_428:
	v_and_b32_e32 v3, 0xffff, v4
	v_lshlrev_b32_e32 v2, 24, v4
	v_and_b32_e32 v4, 3, v3
	v_ffbh_u32_e32 v6, v4
	v_min_u32_e32 v6, 32, v6
	v_subrev_u32_e32 v7, 29, v6
	v_bfe_u32 v5, v3, 2, 5
	v_lshlrev_b32_e32 v3, v7, v3
	v_sub_u32_e32 v6, 30, v6
	v_and_b32_e32 v3, 3, v3
	v_cmp_eq_u32_e32 vcc, 0, v5
	v_and_b32_e32 v2, 0x80000000, v2
	s_mov_b32 s22, 0x2f800000
	v_cndmask_b32_e32 v5, v5, v6, vcc
	v_cndmask_b32_e32 v3, v4, v3, vcc
	v_mov_b32_e32 v4, 0x37800000
	v_lshlrev_b32_e32 v3, 21, v3
	v_lshl_add_u32 v4, v5, 23, v4
	v_or3_b32 v2, v2, v4, v3
	v_trunc_f32_e32 v2, v2
	v_mul_f32_e64 v3, |v2|, s22
	v_floor_f32_e32 v3, v3
	s_mov_b32 s22, 0xcf800000
	v_fma_f32 v4, v3, s22, |v2|
	v_cvt_u32_f32_e32 v4, v4
	v_cvt_u32_f32_e32 v3, v3
	v_ashrrev_i32_e32 v5, 31, v2
	v_xor_b32_e32 v2, v4, v5
	v_xor_b32_e32 v3, v3, v5
	v_sub_co_u32_e32 v2, vcc, v2, v5
	s_nop 1
	v_subb_co_u32_e32 v3, vcc, v3, v5, vcc
.LBB448_429:
	s_or_b64 exec, exec, s[0:1]
	s_mov_b64 s[0:1], 0
	s_branch .LBB448_435
.LBB448_430:
	s_mov_b64 s[22:23], -1
                                        ; implicit-def: $vgpr2_vgpr3
	s_branch .LBB448_441
.LBB448_431:
	s_andn2_saveexec_b64 s[0:1], s[0:1]
	s_cbranch_execz .LBB448_416
.LBB448_432:
	v_cmp_ne_u16_e32 vcc, 0, v4
	s_andn2_b64 s[22:23], s[22:23], exec
	s_and_b64 s[28:29], vcc, exec
	s_or_b64 s[22:23], s[22:23], s[28:29]
	s_or_b64 exec, exec, s[0:1]
	v_mov_b64_e32 v[2:3], 0
	s_and_saveexec_b64 s[0:1], s[22:23]
	s_cbranch_execnz .LBB448_417
	s_branch .LBB448_418
.LBB448_433:
	s_mov_b64 s[0:1], -1
                                        ; implicit-def: $vgpr2_vgpr3
	s_branch .LBB448_438
.LBB448_434:
	s_mov_b64 s[0:1], -1
                                        ; implicit-def: $vgpr2_vgpr3
.LBB448_435:
	s_and_b64 vcc, exec, s[0:1]
	s_cbranch_vccz .LBB448_437
; %bb.436:
	global_load_ubyte v2, v[0:1], off
	s_mov_b32 s0, 0x7f800000
	s_brev_b32 s1, 1
	s_mov_b32 s22, 0x2f800000
	s_mov_b32 s23, 0xcf800000
	s_waitcnt vmcnt(0)
	v_lshlrev_b32_e32 v2, 24, v2
	v_and_b32_e32 v3, 0x7f000000, v2
	v_ffbh_u32_e32 v4, v3
	v_min_u32_e32 v4, 32, v4
	v_sub_u32_e64 v4, v4, 4 clamp
	v_lshlrev_b32_e32 v6, v4, v3
	v_lshlrev_b32_e32 v4, 23, v4
	v_lshrrev_b32_e32 v6, 4, v6
	v_add_u32_e32 v5, 0x1000000, v3
	v_sub_u32_e32 v4, v6, v4
	v_ashrrev_i32_e32 v5, 8, v5
	v_add_u32_e32 v4, 0x3c000000, v4
	v_and_or_b32 v4, v5, s0, v4
	v_cmp_ne_u32_e32 vcc, 0, v3
	s_nop 1
	v_cndmask_b32_e32 v3, 0, v4, vcc
	v_and_or_b32 v2, v2, s1, v3
	v_trunc_f32_e32 v2, v2
	v_mul_f32_e64 v3, |v2|, s22
	v_floor_f32_e32 v3, v3
	v_fma_f32 v4, v3, s23, |v2|
	v_cvt_u32_f32_e32 v4, v4
	v_cvt_u32_f32_e32 v3, v3
	v_ashrrev_i32_e32 v5, 31, v2
	v_xor_b32_e32 v2, v4, v5
	v_xor_b32_e32 v3, v3, v5
	v_sub_co_u32_e32 v2, vcc, v2, v5
	s_nop 1
	v_subb_co_u32_e32 v3, vcc, v3, v5, vcc
.LBB448_437:
	s_mov_b64 s[0:1], 0
.LBB448_438:
	s_andn2_b64 vcc, exec, s[0:1]
	s_cbranch_vccnz .LBB448_440
; %bb.439:
	global_load_ubyte v2, v[0:1], off
	s_movk_i32 s0, 0x7f00
	s_brev_b32 s1, 16
	s_brev_b32 s22, 1
	s_mov_b32 s23, 0x2f800000
	s_mov_b32 s27, 0xcf800000
	s_waitcnt vmcnt(0)
	v_lshlrev_b16_e32 v3, 8, v2
	v_lshlrev_b32_e32 v2, 25, v2
	v_lshrrev_b32_e32 v4, 4, v2
	v_and_or_b32 v5, v3, s0, 0.5
	v_or_b32_e32 v4, 0x70000000, v4
	v_add_f32_e32 v5, -0.5, v5
	v_mul_f32_e32 v4, 0x7800000, v4
	v_cmp_gt_u32_e32 vcc, s1, v2
	v_bfe_i32 v3, v3, 0, 16
	s_nop 0
	v_cndmask_b32_e32 v2, v4, v5, vcc
	v_and_or_b32 v2, v3, s22, v2
	v_trunc_f32_e32 v2, v2
	v_mul_f32_e64 v3, |v2|, s23
	v_floor_f32_e32 v3, v3
	v_fma_f32 v4, v3, s27, |v2|
	v_cvt_u32_f32_e32 v4, v4
	v_cvt_u32_f32_e32 v3, v3
	v_ashrrev_i32_e32 v5, 31, v2
	v_xor_b32_e32 v2, v4, v5
	v_xor_b32_e32 v3, v3, v5
	v_sub_co_u32_e32 v2, vcc, v2, v5
	s_nop 1
	v_subb_co_u32_e32 v3, vcc, v3, v5, vcc
.LBB448_440:
	s_mov_b64 s[22:23], 0
	s_mov_b64 s[0:1], -1
.LBB448_441:
	s_andn2_b64 vcc, exec, s[22:23]
	s_cbranch_vccnz .LBB448_454
; %bb.442:
	s_cmp_gt_i32 s26, 14
	s_cbranch_scc0 .LBB448_445
; %bb.443:
	s_cmp_eq_u32 s26, 15
	s_cbranch_scc0 .LBB448_448
; %bb.444:
	global_load_ushort v2, v[0:1], off
	s_mov_b32 s0, 0x2f800000
	s_mov_b32 s1, 0xcf800000
	s_mov_b64 s[20:21], 0
	s_waitcnt vmcnt(0)
	v_lshlrev_b32_e32 v2, 16, v2
	v_trunc_f32_e32 v2, v2
	v_mul_f32_e64 v3, |v2|, s0
	v_floor_f32_e32 v3, v3
	v_fma_f32 v4, v3, s1, |v2|
	v_cvt_u32_f32_e32 v4, v4
	v_cvt_u32_f32_e32 v3, v3
	v_ashrrev_i32_e32 v5, 31, v2
	s_mov_b64 s[0:1], -1
	v_xor_b32_e32 v2, v4, v5
	v_xor_b32_e32 v3, v3, v5
	v_sub_co_u32_e32 v2, vcc, v2, v5
	s_nop 1
	v_subb_co_u32_e32 v3, vcc, v3, v5, vcc
	s_branch .LBB448_449
.LBB448_445:
	s_mov_b64 s[22:23], -1
                                        ; implicit-def: $vgpr2_vgpr3
	s_branch .LBB448_450
.LBB448_446:
	s_andn2_saveexec_b64 s[0:1], s[0:1]
	s_cbranch_execz .LBB448_427
.LBB448_447:
	v_cmp_ne_u16_e32 vcc, 0, v4
	s_andn2_b64 s[22:23], s[22:23], exec
	s_and_b64 s[28:29], vcc, exec
	s_or_b64 s[22:23], s[22:23], s[28:29]
	s_or_b64 exec, exec, s[0:1]
	v_mov_b64_e32 v[2:3], 0
	s_and_saveexec_b64 s[0:1], s[22:23]
	s_cbranch_execnz .LBB448_428
	s_branch .LBB448_429
.LBB448_448:
	s_mov_b64 s[20:21], -1
                                        ; implicit-def: $vgpr2_vgpr3
.LBB448_449:
	s_mov_b64 s[22:23], 0
.LBB448_450:
	s_and_b64 vcc, exec, s[22:23]
	s_cbranch_vccz .LBB448_454
; %bb.451:
	s_cmp_eq_u32 s26, 11
	s_cbranch_scc0 .LBB448_453
; %bb.452:
	global_load_ubyte v2, v[0:1], off
	s_mov_b32 s20, 0
	s_mov_b64 s[0:1], -1
	s_waitcnt vmcnt(1)
	v_mov_b32_e32 v3, s20
	s_mov_b64 s[20:21], 0
	s_waitcnt vmcnt(0)
	v_cmp_ne_u16_e32 vcc, 0, v2
	s_nop 1
	v_cndmask_b32_e64 v2, 0, 1, vcc
	s_branch .LBB448_454
.LBB448_453:
	s_mov_b64 s[20:21], -1
                                        ; implicit-def: $vgpr2_vgpr3
.LBB448_454:
	s_branch .LBB448_261
.LBB448_455:
	s_cmp_lt_i32 s26, 5
	s_cbranch_scc1 .LBB448_460
; %bb.456:
	s_cmp_lt_i32 s26, 8
	s_cbranch_scc1 .LBB448_461
; %bb.457:
	;; [unrolled: 3-line block ×3, first 2 shown]
	s_cmp_gt_i32 s26, 9
	s_cbranch_scc0 .LBB448_463
; %bb.459:
	global_load_dwordx2 v[2:3], v[0:1], off
	s_movk_i32 s0, 0xffe0
	s_waitcnt vmcnt(0)
	v_trunc_f64_e32 v[4:5], v[2:3]
	v_ldexp_f64 v[2:3], v[4:5], s0
	v_floor_f64_e32 v[6:7], v[2:3]
	v_fmac_f64_e32 v[4:5], 0xc1f00000, v[6:7]
	v_cvt_i32_f64_e32 v3, v[6:7]
	v_cvt_u32_f64_e32 v2, v[4:5]
	s_mov_b64 s[0:1], 0
	s_branch .LBB448_464
.LBB448_460:
	s_mov_b64 s[0:1], -1
                                        ; implicit-def: $vgpr2_vgpr3
	s_branch .LBB448_482
.LBB448_461:
	s_mov_b64 s[0:1], -1
                                        ; implicit-def: $vgpr2_vgpr3
	s_branch .LBB448_470
.LBB448_462:
	s_mov_b64 s[0:1], -1
                                        ; implicit-def: $vgpr2_vgpr3
	s_branch .LBB448_467
.LBB448_463:
	s_mov_b64 s[0:1], -1
                                        ; implicit-def: $vgpr2_vgpr3
.LBB448_464:
	s_andn2_b64 vcc, exec, s[0:1]
	s_cbranch_vccnz .LBB448_466
; %bb.465:
	global_load_dword v2, v[0:1], off
	s_mov_b32 s0, 0x2f800000
	s_mov_b32 s1, 0xcf800000
	s_waitcnt vmcnt(0)
	v_trunc_f32_e32 v2, v2
	v_mul_f32_e64 v3, |v2|, s0
	v_floor_f32_e32 v3, v3
	v_cvt_u32_f32_e32 v4, v3
	v_fma_f32 v3, v3, s1, |v2|
	v_cvt_u32_f32_e32 v3, v3
	v_ashrrev_i32_e32 v5, 31, v2
	v_xor_b32_e32 v4, v4, v5
	v_xor_b32_e32 v2, v3, v5
	v_sub_co_u32_e32 v2, vcc, v2, v5
	s_nop 1
	v_subb_co_u32_e32 v3, vcc, v4, v5, vcc
.LBB448_466:
	s_mov_b64 s[0:1], 0
.LBB448_467:
	s_andn2_b64 vcc, exec, s[0:1]
	s_cbranch_vccnz .LBB448_469
; %bb.468:
	global_load_dword v2, v[0:1], off
	s_waitcnt vmcnt(0)
	v_cvt_f32_f16_e32 v2, v2
	v_cvt_i32_f32_e32 v2, v2
	v_ashrrev_i32_e32 v3, 31, v2
.LBB448_469:
	s_mov_b64 s[0:1], 0
.LBB448_470:
	s_andn2_b64 vcc, exec, s[0:1]
	s_cbranch_vccnz .LBB448_481
; %bb.471:
	s_cmp_lt_i32 s26, 6
	s_cbranch_scc1 .LBB448_474
; %bb.472:
	s_cmp_gt_i32 s26, 6
	s_cbranch_scc0 .LBB448_475
; %bb.473:
	global_load_dwordx2 v[2:3], v[0:1], off
	s_movk_i32 s0, 0xffe0
	s_waitcnt vmcnt(0)
	v_trunc_f64_e32 v[4:5], v[2:3]
	v_ldexp_f64 v[2:3], v[4:5], s0
	v_floor_f64_e32 v[6:7], v[2:3]
	v_fmac_f64_e32 v[4:5], 0xc1f00000, v[6:7]
	v_cvt_i32_f64_e32 v3, v[6:7]
	v_cvt_u32_f64_e32 v2, v[4:5]
	s_mov_b64 s[0:1], 0
	s_branch .LBB448_476
.LBB448_474:
	s_mov_b64 s[0:1], -1
                                        ; implicit-def: $vgpr2_vgpr3
	s_branch .LBB448_479
.LBB448_475:
	s_mov_b64 s[0:1], -1
                                        ; implicit-def: $vgpr2_vgpr3
.LBB448_476:
	s_andn2_b64 vcc, exec, s[0:1]
	s_cbranch_vccnz .LBB448_478
; %bb.477:
	global_load_dword v2, v[0:1], off
	s_mov_b32 s0, 0x2f800000
	s_mov_b32 s1, 0xcf800000
	s_waitcnt vmcnt(0)
	v_trunc_f32_e32 v2, v2
	v_mul_f32_e64 v3, |v2|, s0
	v_floor_f32_e32 v3, v3
	v_cvt_u32_f32_e32 v4, v3
	v_fma_f32 v3, v3, s1, |v2|
	v_cvt_u32_f32_e32 v3, v3
	v_ashrrev_i32_e32 v5, 31, v2
	v_xor_b32_e32 v4, v4, v5
	v_xor_b32_e32 v2, v3, v5
	v_sub_co_u32_e32 v2, vcc, v2, v5
	s_nop 1
	v_subb_co_u32_e32 v3, vcc, v4, v5, vcc
.LBB448_478:
	s_mov_b64 s[0:1], 0
.LBB448_479:
	s_andn2_b64 vcc, exec, s[0:1]
	s_cbranch_vccnz .LBB448_481
; %bb.480:
	global_load_ushort v2, v[0:1], off
	s_waitcnt vmcnt(0)
	v_cvt_f32_f16_e32 v2, v2
	v_cvt_i32_f32_e32 v2, v2
	v_ashrrev_i32_e32 v3, 31, v2
.LBB448_481:
	s_mov_b64 s[0:1], 0
.LBB448_482:
	s_andn2_b64 vcc, exec, s[0:1]
	s_cbranch_vccnz .LBB448_502
; %bb.483:
	s_cmp_lt_i32 s26, 2
	s_cbranch_scc1 .LBB448_487
; %bb.484:
	s_cmp_lt_i32 s26, 3
	s_cbranch_scc1 .LBB448_488
; %bb.485:
	s_cmp_gt_i32 s26, 3
	s_cbranch_scc0 .LBB448_489
; %bb.486:
	global_load_dwordx2 v[2:3], v[0:1], off
	s_mov_b64 s[0:1], 0
	s_branch .LBB448_490
.LBB448_487:
	s_mov_b64 s[0:1], -1
                                        ; implicit-def: $vgpr2_vgpr3
	s_branch .LBB448_496
.LBB448_488:
	s_mov_b64 s[0:1], -1
                                        ; implicit-def: $vgpr2_vgpr3
	s_branch .LBB448_493
.LBB448_489:
	s_mov_b64 s[0:1], -1
                                        ; implicit-def: $vgpr2_vgpr3
.LBB448_490:
	s_andn2_b64 vcc, exec, s[0:1]
	s_cbranch_vccnz .LBB448_492
; %bb.491:
	global_load_dword v2, v[0:1], off
	s_waitcnt vmcnt(0)
	v_ashrrev_i32_e32 v3, 31, v2
.LBB448_492:
	s_mov_b64 s[0:1], 0
.LBB448_493:
	s_andn2_b64 vcc, exec, s[0:1]
	s_cbranch_vccnz .LBB448_495
; %bb.494:
	global_load_ushort v2, v[0:1], off
	s_waitcnt vmcnt(0)
	v_bfe_i32 v2, v2, 0, 16
	v_ashrrev_i32_e32 v3, 31, v2
.LBB448_495:
	s_mov_b64 s[0:1], 0
.LBB448_496:
	s_andn2_b64 vcc, exec, s[0:1]
	s_cbranch_vccnz .LBB448_502
; %bb.497:
	s_cmp_gt_i32 s26, 0
	s_cbranch_scc0 .LBB448_499
; %bb.498:
	global_load_sbyte v2, v[0:1], off
	s_mov_b64 s[0:1], 0
	s_waitcnt vmcnt(0)
	v_bfe_i32 v2, v2, 0, 16
	v_ashrrev_i32_e32 v3, 31, v2
	s_branch .LBB448_500
.LBB448_499:
	s_mov_b64 s[0:1], -1
                                        ; implicit-def: $vgpr2_vgpr3
.LBB448_500:
	s_andn2_b64 vcc, exec, s[0:1]
	s_cbranch_vccnz .LBB448_502
; %bb.501:
	global_load_ubyte v0, v[0:1], off
	s_mov_b32 s0, 0
	s_waitcnt vmcnt(1)
	v_mov_b32_e32 v3, s0
	s_waitcnt vmcnt(0)
	v_and_b32_e32 v2, 0xffff, v0
.LBB448_502:
	s_branch .LBB448_262
.LBB448_503:
	s_mov_b64 s[26:27], 0
                                        ; implicit-def: $vgpr10
	s_mov_b64 s[0:1], s[14:15]
.LBB448_504:
	s_andn2_b64 s[22:23], s[14:15], exec
	s_and_b64 s[0:1], s[0:1], exec
	s_or_b64 s[22:23], s[22:23], s[0:1]
	s_andn2_b64 s[0:1], s[16:17], exec
	s_and_b64 s[20:21], s[20:21], exec
	s_or_b64 s[20:21], s[0:1], s[20:21]
	s_orn2_b64 s[0:1], s[26:27], exec
.LBB448_505:
	s_or_b64 exec, exec, s[24:25]
	s_mov_b64 s[26:27], 0
	s_mov_b64 s[28:29], 0
	;; [unrolled: 1-line block ×3, first 2 shown]
                                        ; implicit-def: $vgpr0_vgpr1
                                        ; implicit-def: $vgpr4_vgpr5
	s_and_saveexec_b64 s[24:25], s[0:1]
	s_cbranch_execz .LBB448_842
; %bb.506:
	v_cmp_gt_i32_e32 vcc, s40, v10
	s_mov_b64 s[36:37], -1
	s_mov_b64 s[0:1], s[20:21]
	s_mov_b64 s[30:31], s[22:23]
	s_and_saveexec_b64 s[26:27], vcc
	s_cbranch_execz .LBB448_760
; %bb.507:
	v_mul_lo_u32 v0, v10, s9
	v_ashrrev_i32_e32 v1, 31, v0
	s_and_b32 s34, 0xffff, s44
	s_cmp_lt_i32 s34, 11
	v_lshl_add_u64 v[0:1], s[6:7], 0, v[0:1]
	s_cbranch_scc1 .LBB448_514
; %bb.508:
	s_cmp_gt_i32 s34, 25
	s_cbranch_scc0 .LBB448_515
; %bb.509:
	s_cmp_gt_i32 s34, 28
	s_cbranch_scc0 .LBB448_516
	;; [unrolled: 3-line block ×4, first 2 shown]
; %bb.512:
	s_cmp_eq_u32 s34, 46
	s_mov_b64 s[30:31], 0
	s_cbranch_scc0 .LBB448_523
; %bb.513:
	global_load_dword v2, v[0:1], off
	s_mov_b32 s0, 0x2f800000
	s_mov_b32 s1, 0xcf800000
	s_waitcnt vmcnt(0)
	v_lshlrev_b32_e32 v2, 16, v2
	v_trunc_f32_e32 v2, v2
	v_mul_f32_e64 v3, |v2|, s0
	v_floor_f32_e32 v3, v3
	v_fma_f32 v4, v3, s1, |v2|
	v_cvt_u32_f32_e32 v4, v4
	v_cvt_u32_f32_e32 v3, v3
	v_ashrrev_i32_e32 v5, 31, v2
	s_mov_b64 s[0:1], -1
	v_xor_b32_e32 v2, v4, v5
	v_xor_b32_e32 v3, v3, v5
	v_sub_co_u32_e32 v2, vcc, v2, v5
	s_nop 1
	v_subb_co_u32_e32 v3, vcc, v3, v5, vcc
	s_branch .LBB448_524
.LBB448_514:
	s_mov_b64 s[30:31], -1
	s_mov_b64 s[0:1], 0
                                        ; implicit-def: $vgpr2_vgpr3
	s_mov_b64 s[28:29], s[20:21]
	s_branch .LBB448_585
.LBB448_515:
	s_mov_b64 s[30:31], -1
	s_mov_b64 s[0:1], 0
	s_mov_b64 s[28:29], s[20:21]
                                        ; implicit-def: $vgpr2_vgpr3
	s_branch .LBB448_551
.LBB448_516:
	s_mov_b64 s[30:31], -1
	s_mov_b64 s[0:1], 0
	s_mov_b64 s[28:29], s[20:21]
                                        ; implicit-def: $vgpr2_vgpr3
	s_branch .LBB448_534
.LBB448_517:
	s_mov_b64 s[30:31], -1
	s_mov_b64 s[0:1], 0
	s_mov_b64 s[28:29], s[20:21]
                                        ; implicit-def: $vgpr2_vgpr3
	s_branch .LBB448_529
.LBB448_518:
	s_andn2_saveexec_b64 s[28:29], s[28:29]
	s_cbranch_execz .LBB448_307
.LBB448_519:
	s_mov_b32 s34, 0x46000000
	v_add_f32_e64 v5, |v4|, s34
	v_and_b32_e32 v5, 0xff, v5
	v_cmp_ne_u32_e32 vcc, 0, v5
	s_andn2_b64 s[26:27], s[26:27], exec
	s_and_b64 s[34:35], vcc, exec
	s_or_b64 s[26:27], s[26:27], s[34:35]
	s_or_b64 exec, exec, s[28:29]
	v_mov_b32_e32 v6, 0
	s_and_saveexec_b64 s[28:29], s[26:27]
	s_cbranch_execnz .LBB448_308
	s_branch .LBB448_309
.LBB448_520:
	s_mov_b64 s[30:31], -1
	s_mov_b64 s[0:1], 0
	s_mov_b64 s[28:29], s[20:21]
                                        ; implicit-def: $vgpr2_vgpr3
	s_branch .LBB448_524
.LBB448_521:
	s_andn2_saveexec_b64 s[28:29], s[28:29]
	s_cbranch_execz .LBB448_320
.LBB448_522:
	s_mov_b32 s34, 0x42800000
	v_add_f32_e64 v5, |v4|, s34
	v_and_b32_e32 v5, 0xff, v5
	v_cmp_ne_u32_e32 vcc, 0, v5
	s_andn2_b64 s[26:27], s[26:27], exec
	s_and_b64 s[34:35], vcc, exec
	s_or_b64 s[26:27], s[26:27], s[34:35]
	s_or_b64 exec, exec, s[28:29]
	v_mov_b32_e32 v6, 0
	s_and_saveexec_b64 s[28:29], s[26:27]
	s_cbranch_execnz .LBB448_321
	s_branch .LBB448_322
.LBB448_523:
	s_mov_b64 s[28:29], -1
                                        ; implicit-def: $vgpr2_vgpr3
	s_mov_b64 s[0:1], 0
.LBB448_524:
	s_and_b64 vcc, exec, s[30:31]
	s_cbranch_vccz .LBB448_528
; %bb.525:
	s_cmp_eq_u32 s34, 44
	s_cbranch_scc0 .LBB448_527
; %bb.526:
	global_load_ubyte v2, v[0:1], off
	s_mov_b32 s0, 0x2f800000
	s_mov_b32 s1, 0xcf800000
	s_mov_b64 s[28:29], 0
	s_waitcnt vmcnt(0)
	v_lshlrev_b32_e32 v3, 23, v2
	v_trunc_f32_e32 v3, v3
	v_mul_f32_e64 v4, |v3|, s0
	v_floor_f32_e32 v4, v4
	v_fma_f32 v5, v4, s1, |v3|
	v_cvt_u32_f32_e32 v5, v5
	v_cvt_u32_f32_e32 v4, v4
	v_ashrrev_i32_e32 v3, 31, v3
	s_mov_b64 s[0:1], -1
	v_xor_b32_e32 v5, v5, v3
	v_xor_b32_e32 v4, v4, v3
	v_sub_co_u32_e32 v5, vcc, v5, v3
	s_nop 1
	v_subb_co_u32_e32 v3, vcc, v4, v3, vcc
	v_cmp_ne_u32_e32 vcc, 0, v2
	s_nop 1
	v_cndmask_b32_e32 v3, 0, v3, vcc
	v_cndmask_b32_e32 v2, 0, v5, vcc
	s_branch .LBB448_528
.LBB448_527:
	s_mov_b64 s[28:29], -1
                                        ; implicit-def: $vgpr2_vgpr3
.LBB448_528:
	s_mov_b64 s[30:31], 0
.LBB448_529:
	s_and_b64 vcc, exec, s[30:31]
	s_cbranch_vccz .LBB448_533
; %bb.530:
	s_cmp_eq_u32 s34, 29
	s_cbranch_scc0 .LBB448_532
; %bb.531:
	global_load_dwordx2 v[2:3], v[0:1], off
	s_mov_b64 s[0:1], -1
	s_mov_b64 s[28:29], 0
	s_branch .LBB448_533
.LBB448_532:
	s_mov_b64 s[28:29], -1
                                        ; implicit-def: $vgpr2_vgpr3
.LBB448_533:
	s_mov_b64 s[30:31], 0
.LBB448_534:
	s_and_b64 vcc, exec, s[30:31]
	s_cbranch_vccz .LBB448_550
; %bb.535:
	s_cmp_lt_i32 s34, 27
	s_cbranch_scc1 .LBB448_538
; %bb.536:
	s_cmp_gt_i32 s34, 27
	s_cbranch_scc0 .LBB448_539
; %bb.537:
	global_load_dword v2, v[0:1], off
	s_waitcnt vmcnt(1)
	v_mov_b32_e32 v3, 0
	s_mov_b64 s[0:1], 0
	s_branch .LBB448_540
.LBB448_538:
	s_mov_b64 s[0:1], -1
                                        ; implicit-def: $vgpr2_vgpr3
	s_branch .LBB448_543
.LBB448_539:
	s_mov_b64 s[0:1], -1
                                        ; implicit-def: $vgpr2_vgpr3
.LBB448_540:
	s_andn2_b64 vcc, exec, s[0:1]
	s_cbranch_vccnz .LBB448_542
; %bb.541:
	global_load_ushort v2, v[0:1], off
	s_mov_b32 s0, 0
	s_waitcnt vmcnt(1)
	v_mov_b32_e32 v3, s0
	s_waitcnt vmcnt(0)
	v_and_b32_e32 v2, 0xffff, v2
.LBB448_542:
	s_mov_b64 s[0:1], 0
.LBB448_543:
	s_andn2_b64 vcc, exec, s[0:1]
	s_cbranch_vccnz .LBB448_549
; %bb.544:
	global_load_ubyte v4, v[0:1], off
	s_movk_i32 s0, 0x7f
	s_mov_b64 s[30:31], 0
	s_waitcnt vmcnt(0)
	v_cmp_lt_i16_e32 vcc, s0, v4
	s_and_saveexec_b64 s[0:1], vcc
	s_xor_b64 s[0:1], exec, s[0:1]
	s_cbranch_execz .LBB448_561
; %bb.545:
	s_movk_i32 s30, 0x80
	v_cmp_ne_u16_e32 vcc, s30, v4
	s_and_b64 s[30:31], vcc, exec
	s_andn2_saveexec_b64 s[0:1], s[0:1]
	s_cbranch_execnz .LBB448_562
.LBB448_546:
	s_or_b64 exec, exec, s[0:1]
	v_mov_b64_e32 v[2:3], 0
	s_and_saveexec_b64 s[0:1], s[30:31]
	s_cbranch_execz .LBB448_548
.LBB448_547:
	v_and_b32_e32 v3, 0xffff, v4
	v_lshlrev_b32_e32 v2, 24, v4
	v_and_b32_e32 v4, 7, v3
	v_ffbh_u32_e32 v6, v4
	v_min_u32_e32 v6, 32, v6
	v_subrev_u32_e32 v7, 28, v6
	v_bfe_u32 v5, v3, 3, 4
	v_lshlrev_b32_e32 v3, v7, v3
	v_sub_u32_e32 v6, 29, v6
	v_and_b32_e32 v3, 7, v3
	v_cmp_eq_u32_e32 vcc, 0, v5
	v_and_b32_e32 v2, 0x80000000, v2
	s_mov_b32 s30, 0x2f800000
	v_cndmask_b32_e32 v5, v5, v6, vcc
	v_cndmask_b32_e32 v3, v4, v3, vcc
	v_mov_b32_e32 v4, 0x3b800000
	v_lshlrev_b32_e32 v3, 20, v3
	v_lshl_add_u32 v4, v5, 23, v4
	v_or3_b32 v2, v2, v4, v3
	v_trunc_f32_e32 v2, v2
	v_mul_f32_e64 v3, |v2|, s30
	v_floor_f32_e32 v3, v3
	s_mov_b32 s30, 0xcf800000
	v_fma_f32 v4, v3, s30, |v2|
	v_cvt_u32_f32_e32 v4, v4
	v_cvt_u32_f32_e32 v3, v3
	v_ashrrev_i32_e32 v5, 31, v2
	v_xor_b32_e32 v2, v4, v5
	v_xor_b32_e32 v3, v3, v5
	v_sub_co_u32_e32 v2, vcc, v2, v5
	s_nop 1
	v_subb_co_u32_e32 v3, vcc, v3, v5, vcc
.LBB448_548:
	s_or_b64 exec, exec, s[0:1]
.LBB448_549:
	s_mov_b64 s[0:1], -1
.LBB448_550:
	s_mov_b64 s[30:31], 0
.LBB448_551:
	s_and_b64 vcc, exec, s[30:31]
	s_cbranch_vccz .LBB448_584
; %bb.552:
	s_cmp_gt_i32 s34, 22
	s_cbranch_scc0 .LBB448_560
; %bb.553:
	s_cmp_lt_i32 s34, 24
	s_cbranch_scc1 .LBB448_563
; %bb.554:
	s_cmp_gt_i32 s34, 24
	s_cbranch_scc0 .LBB448_564
; %bb.555:
	global_load_ubyte v4, v[0:1], off
	s_movk_i32 s0, 0x7f
	s_mov_b64 s[30:31], 0
	s_waitcnt vmcnt(0)
	v_cmp_lt_i16_e32 vcc, s0, v4
	s_and_saveexec_b64 s[0:1], vcc
	s_xor_b64 s[0:1], exec, s[0:1]
	s_cbranch_execz .LBB448_576
; %bb.556:
	s_movk_i32 s30, 0x80
	v_cmp_ne_u16_e32 vcc, s30, v4
	s_and_b64 s[30:31], vcc, exec
	s_andn2_saveexec_b64 s[0:1], s[0:1]
	s_cbranch_execnz .LBB448_577
.LBB448_557:
	s_or_b64 exec, exec, s[0:1]
	v_mov_b64_e32 v[2:3], 0
	s_and_saveexec_b64 s[0:1], s[30:31]
	s_cbranch_execz .LBB448_559
.LBB448_558:
	v_and_b32_e32 v3, 0xffff, v4
	v_lshlrev_b32_e32 v2, 24, v4
	v_and_b32_e32 v4, 3, v3
	v_ffbh_u32_e32 v6, v4
	v_min_u32_e32 v6, 32, v6
	v_subrev_u32_e32 v7, 29, v6
	v_bfe_u32 v5, v3, 2, 5
	v_lshlrev_b32_e32 v3, v7, v3
	v_sub_u32_e32 v6, 30, v6
	v_and_b32_e32 v3, 3, v3
	v_cmp_eq_u32_e32 vcc, 0, v5
	v_and_b32_e32 v2, 0x80000000, v2
	s_mov_b32 s30, 0x2f800000
	v_cndmask_b32_e32 v5, v5, v6, vcc
	v_cndmask_b32_e32 v3, v4, v3, vcc
	v_mov_b32_e32 v4, 0x37800000
	v_lshlrev_b32_e32 v3, 21, v3
	v_lshl_add_u32 v4, v5, 23, v4
	v_or3_b32 v2, v2, v4, v3
	v_trunc_f32_e32 v2, v2
	v_mul_f32_e64 v3, |v2|, s30
	v_floor_f32_e32 v3, v3
	s_mov_b32 s30, 0xcf800000
	v_fma_f32 v4, v3, s30, |v2|
	v_cvt_u32_f32_e32 v4, v4
	v_cvt_u32_f32_e32 v3, v3
	v_ashrrev_i32_e32 v5, 31, v2
	v_xor_b32_e32 v2, v4, v5
	v_xor_b32_e32 v3, v3, v5
	v_sub_co_u32_e32 v2, vcc, v2, v5
	s_nop 1
	v_subb_co_u32_e32 v3, vcc, v3, v5, vcc
.LBB448_559:
	s_or_b64 exec, exec, s[0:1]
	s_mov_b64 s[0:1], 0
	s_branch .LBB448_565
.LBB448_560:
	s_mov_b64 s[30:31], -1
                                        ; implicit-def: $vgpr2_vgpr3
	s_branch .LBB448_571
.LBB448_561:
	s_andn2_saveexec_b64 s[0:1], s[0:1]
	s_cbranch_execz .LBB448_546
.LBB448_562:
	v_cmp_ne_u16_e32 vcc, 0, v4
	s_andn2_b64 s[30:31], s[30:31], exec
	s_and_b64 s[36:37], vcc, exec
	s_or_b64 s[30:31], s[30:31], s[36:37]
	s_or_b64 exec, exec, s[0:1]
	v_mov_b64_e32 v[2:3], 0
	s_and_saveexec_b64 s[0:1], s[30:31]
	s_cbranch_execnz .LBB448_547
	s_branch .LBB448_548
.LBB448_563:
	s_mov_b64 s[0:1], -1
                                        ; implicit-def: $vgpr2_vgpr3
	s_branch .LBB448_568
.LBB448_564:
	s_mov_b64 s[0:1], -1
                                        ; implicit-def: $vgpr2_vgpr3
.LBB448_565:
	s_and_b64 vcc, exec, s[0:1]
	s_cbranch_vccz .LBB448_567
; %bb.566:
	global_load_ubyte v2, v[0:1], off
	s_mov_b32 s0, 0x7f800000
	s_brev_b32 s1, 1
	s_mov_b32 s30, 0x2f800000
	s_mov_b32 s31, 0xcf800000
	s_waitcnt vmcnt(0)
	v_lshlrev_b32_e32 v2, 24, v2
	v_and_b32_e32 v3, 0x7f000000, v2
	v_ffbh_u32_e32 v4, v3
	v_min_u32_e32 v4, 32, v4
	v_sub_u32_e64 v4, v4, 4 clamp
	v_lshlrev_b32_e32 v6, v4, v3
	v_lshlrev_b32_e32 v4, 23, v4
	v_lshrrev_b32_e32 v6, 4, v6
	v_add_u32_e32 v5, 0x1000000, v3
	v_sub_u32_e32 v4, v6, v4
	v_ashrrev_i32_e32 v5, 8, v5
	v_add_u32_e32 v4, 0x3c000000, v4
	v_and_or_b32 v4, v5, s0, v4
	v_cmp_ne_u32_e32 vcc, 0, v3
	s_nop 1
	v_cndmask_b32_e32 v3, 0, v4, vcc
	v_and_or_b32 v2, v2, s1, v3
	v_trunc_f32_e32 v2, v2
	v_mul_f32_e64 v3, |v2|, s30
	v_floor_f32_e32 v3, v3
	v_fma_f32 v4, v3, s31, |v2|
	v_cvt_u32_f32_e32 v4, v4
	v_cvt_u32_f32_e32 v3, v3
	v_ashrrev_i32_e32 v5, 31, v2
	v_xor_b32_e32 v2, v4, v5
	v_xor_b32_e32 v3, v3, v5
	v_sub_co_u32_e32 v2, vcc, v2, v5
	s_nop 1
	v_subb_co_u32_e32 v3, vcc, v3, v5, vcc
.LBB448_567:
	s_mov_b64 s[0:1], 0
.LBB448_568:
	s_andn2_b64 vcc, exec, s[0:1]
	s_cbranch_vccnz .LBB448_570
; %bb.569:
	global_load_ubyte v2, v[0:1], off
	s_movk_i32 s0, 0x7f00
	s_brev_b32 s1, 16
	s_brev_b32 s30, 1
	s_mov_b32 s31, 0x2f800000
	s_mov_b32 s35, 0xcf800000
	s_waitcnt vmcnt(0)
	v_lshlrev_b16_e32 v3, 8, v2
	v_lshlrev_b32_e32 v2, 25, v2
	v_lshrrev_b32_e32 v4, 4, v2
	v_and_or_b32 v5, v3, s0, 0.5
	v_or_b32_e32 v4, 0x70000000, v4
	v_add_f32_e32 v5, -0.5, v5
	v_mul_f32_e32 v4, 0x7800000, v4
	v_cmp_gt_u32_e32 vcc, s1, v2
	v_bfe_i32 v3, v3, 0, 16
	s_nop 0
	v_cndmask_b32_e32 v2, v4, v5, vcc
	v_and_or_b32 v2, v3, s30, v2
	v_trunc_f32_e32 v2, v2
	v_mul_f32_e64 v3, |v2|, s31
	v_floor_f32_e32 v3, v3
	v_fma_f32 v4, v3, s35, |v2|
	v_cvt_u32_f32_e32 v4, v4
	v_cvt_u32_f32_e32 v3, v3
	v_ashrrev_i32_e32 v5, 31, v2
	v_xor_b32_e32 v2, v4, v5
	v_xor_b32_e32 v3, v3, v5
	v_sub_co_u32_e32 v2, vcc, v2, v5
	s_nop 1
	v_subb_co_u32_e32 v3, vcc, v3, v5, vcc
.LBB448_570:
	s_mov_b64 s[30:31], 0
	s_mov_b64 s[0:1], -1
.LBB448_571:
	s_andn2_b64 vcc, exec, s[30:31]
	s_cbranch_vccnz .LBB448_584
; %bb.572:
	s_cmp_gt_i32 s34, 14
	s_cbranch_scc0 .LBB448_575
; %bb.573:
	s_cmp_eq_u32 s34, 15
	s_cbranch_scc0 .LBB448_578
; %bb.574:
	global_load_ushort v2, v[0:1], off
	s_mov_b32 s0, 0x2f800000
	s_mov_b32 s1, 0xcf800000
	s_mov_b64 s[28:29], 0
	s_waitcnt vmcnt(0)
	v_lshlrev_b32_e32 v2, 16, v2
	v_trunc_f32_e32 v2, v2
	v_mul_f32_e64 v3, |v2|, s0
	v_floor_f32_e32 v3, v3
	v_fma_f32 v4, v3, s1, |v2|
	v_cvt_u32_f32_e32 v4, v4
	v_cvt_u32_f32_e32 v3, v3
	v_ashrrev_i32_e32 v5, 31, v2
	s_mov_b64 s[0:1], -1
	v_xor_b32_e32 v2, v4, v5
	v_xor_b32_e32 v3, v3, v5
	v_sub_co_u32_e32 v2, vcc, v2, v5
	s_nop 1
	v_subb_co_u32_e32 v3, vcc, v3, v5, vcc
	s_branch .LBB448_579
.LBB448_575:
	s_mov_b64 s[30:31], -1
                                        ; implicit-def: $vgpr2_vgpr3
	s_branch .LBB448_580
.LBB448_576:
	s_andn2_saveexec_b64 s[0:1], s[0:1]
	s_cbranch_execz .LBB448_557
.LBB448_577:
	v_cmp_ne_u16_e32 vcc, 0, v4
	s_andn2_b64 s[30:31], s[30:31], exec
	s_and_b64 s[36:37], vcc, exec
	s_or_b64 s[30:31], s[30:31], s[36:37]
	s_or_b64 exec, exec, s[0:1]
	v_mov_b64_e32 v[2:3], 0
	s_and_saveexec_b64 s[0:1], s[30:31]
	s_cbranch_execnz .LBB448_558
	s_branch .LBB448_559
.LBB448_578:
	s_mov_b64 s[28:29], -1
                                        ; implicit-def: $vgpr2_vgpr3
.LBB448_579:
	s_mov_b64 s[30:31], 0
.LBB448_580:
	s_and_b64 vcc, exec, s[30:31]
	s_cbranch_vccz .LBB448_584
; %bb.581:
	s_cmp_eq_u32 s34, 11
	s_cbranch_scc0 .LBB448_583
; %bb.582:
	global_load_ubyte v2, v[0:1], off
	s_mov_b32 s28, 0
	s_mov_b64 s[0:1], -1
	s_waitcnt vmcnt(1)
	v_mov_b32_e32 v3, s28
	s_mov_b64 s[28:29], 0
	s_waitcnt vmcnt(0)
	v_cmp_ne_u16_e32 vcc, 0, v2
	s_nop 1
	v_cndmask_b32_e64 v2, 0, 1, vcc
	s_branch .LBB448_584
.LBB448_583:
	s_mov_b64 s[28:29], -1
                                        ; implicit-def: $vgpr2_vgpr3
.LBB448_584:
	s_mov_b64 s[30:31], 0
.LBB448_585:
	s_and_b64 vcc, exec, s[30:31]
	s_cbranch_vccz .LBB448_634
; %bb.586:
	s_cmp_lt_i32 s34, 5
	s_cbranch_scc1 .LBB448_591
; %bb.587:
	s_cmp_lt_i32 s34, 8
	s_cbranch_scc1 .LBB448_592
	;; [unrolled: 3-line block ×3, first 2 shown]
; %bb.589:
	s_cmp_gt_i32 s34, 9
	s_cbranch_scc0 .LBB448_594
; %bb.590:
	global_load_dwordx2 v[2:3], v[0:1], off
	s_movk_i32 s0, 0xffe0
	s_waitcnt vmcnt(0)
	v_trunc_f64_e32 v[4:5], v[2:3]
	v_ldexp_f64 v[2:3], v[4:5], s0
	v_floor_f64_e32 v[6:7], v[2:3]
	v_fmac_f64_e32 v[4:5], 0xc1f00000, v[6:7]
	v_cvt_i32_f64_e32 v3, v[6:7]
	v_cvt_u32_f64_e32 v2, v[4:5]
	s_mov_b64 s[0:1], 0
	s_branch .LBB448_595
.LBB448_591:
	s_mov_b64 s[0:1], -1
                                        ; implicit-def: $vgpr2_vgpr3
	s_branch .LBB448_613
.LBB448_592:
	s_mov_b64 s[0:1], -1
                                        ; implicit-def: $vgpr2_vgpr3
	s_branch .LBB448_601
.LBB448_593:
	s_mov_b64 s[0:1], -1
                                        ; implicit-def: $vgpr2_vgpr3
	s_branch .LBB448_598
.LBB448_594:
	s_mov_b64 s[0:1], -1
                                        ; implicit-def: $vgpr2_vgpr3
.LBB448_595:
	s_andn2_b64 vcc, exec, s[0:1]
	s_cbranch_vccnz .LBB448_597
; %bb.596:
	global_load_dword v2, v[0:1], off
	s_mov_b32 s0, 0x2f800000
	s_mov_b32 s1, 0xcf800000
	s_waitcnt vmcnt(0)
	v_trunc_f32_e32 v2, v2
	v_mul_f32_e64 v3, |v2|, s0
	v_floor_f32_e32 v3, v3
	v_cvt_u32_f32_e32 v4, v3
	v_fma_f32 v3, v3, s1, |v2|
	v_cvt_u32_f32_e32 v3, v3
	v_ashrrev_i32_e32 v5, 31, v2
	v_xor_b32_e32 v4, v4, v5
	v_xor_b32_e32 v2, v3, v5
	v_sub_co_u32_e32 v2, vcc, v2, v5
	s_nop 1
	v_subb_co_u32_e32 v3, vcc, v4, v5, vcc
.LBB448_597:
	s_mov_b64 s[0:1], 0
.LBB448_598:
	s_andn2_b64 vcc, exec, s[0:1]
	s_cbranch_vccnz .LBB448_600
; %bb.599:
	global_load_dword v2, v[0:1], off
	s_waitcnt vmcnt(0)
	v_cvt_f32_f16_e32 v2, v2
	v_cvt_i32_f32_e32 v2, v2
	v_ashrrev_i32_e32 v3, 31, v2
.LBB448_600:
	s_mov_b64 s[0:1], 0
.LBB448_601:
	s_andn2_b64 vcc, exec, s[0:1]
	s_cbranch_vccnz .LBB448_612
; %bb.602:
	s_cmp_lt_i32 s34, 6
	s_cbranch_scc1 .LBB448_605
; %bb.603:
	s_cmp_gt_i32 s34, 6
	s_cbranch_scc0 .LBB448_606
; %bb.604:
	global_load_dwordx2 v[2:3], v[0:1], off
	s_movk_i32 s0, 0xffe0
	s_waitcnt vmcnt(0)
	v_trunc_f64_e32 v[4:5], v[2:3]
	v_ldexp_f64 v[2:3], v[4:5], s0
	v_floor_f64_e32 v[6:7], v[2:3]
	v_fmac_f64_e32 v[4:5], 0xc1f00000, v[6:7]
	v_cvt_i32_f64_e32 v3, v[6:7]
	v_cvt_u32_f64_e32 v2, v[4:5]
	s_mov_b64 s[0:1], 0
	s_branch .LBB448_607
.LBB448_605:
	s_mov_b64 s[0:1], -1
                                        ; implicit-def: $vgpr2_vgpr3
	s_branch .LBB448_610
.LBB448_606:
	s_mov_b64 s[0:1], -1
                                        ; implicit-def: $vgpr2_vgpr3
.LBB448_607:
	s_andn2_b64 vcc, exec, s[0:1]
	s_cbranch_vccnz .LBB448_609
; %bb.608:
	global_load_dword v2, v[0:1], off
	s_mov_b32 s0, 0x2f800000
	s_mov_b32 s1, 0xcf800000
	s_waitcnt vmcnt(0)
	v_trunc_f32_e32 v2, v2
	v_mul_f32_e64 v3, |v2|, s0
	v_floor_f32_e32 v3, v3
	v_cvt_u32_f32_e32 v4, v3
	v_fma_f32 v3, v3, s1, |v2|
	v_cvt_u32_f32_e32 v3, v3
	v_ashrrev_i32_e32 v5, 31, v2
	v_xor_b32_e32 v4, v4, v5
	v_xor_b32_e32 v2, v3, v5
	v_sub_co_u32_e32 v2, vcc, v2, v5
	s_nop 1
	v_subb_co_u32_e32 v3, vcc, v4, v5, vcc
.LBB448_609:
	s_mov_b64 s[0:1], 0
.LBB448_610:
	s_andn2_b64 vcc, exec, s[0:1]
	s_cbranch_vccnz .LBB448_612
; %bb.611:
	global_load_ushort v2, v[0:1], off
	s_waitcnt vmcnt(0)
	v_cvt_f32_f16_e32 v2, v2
	v_cvt_i32_f32_e32 v2, v2
	v_ashrrev_i32_e32 v3, 31, v2
.LBB448_612:
	s_mov_b64 s[0:1], 0
.LBB448_613:
	s_andn2_b64 vcc, exec, s[0:1]
	s_cbranch_vccnz .LBB448_633
; %bb.614:
	s_cmp_lt_i32 s34, 2
	s_cbranch_scc1 .LBB448_618
; %bb.615:
	s_cmp_lt_i32 s34, 3
	s_cbranch_scc1 .LBB448_619
; %bb.616:
	s_cmp_gt_i32 s34, 3
	s_cbranch_scc0 .LBB448_620
; %bb.617:
	global_load_dwordx2 v[2:3], v[0:1], off
	s_mov_b64 s[0:1], 0
	s_branch .LBB448_621
.LBB448_618:
	s_mov_b64 s[0:1], -1
                                        ; implicit-def: $vgpr2_vgpr3
	s_branch .LBB448_627
.LBB448_619:
	s_mov_b64 s[0:1], -1
                                        ; implicit-def: $vgpr2_vgpr3
	s_branch .LBB448_624
.LBB448_620:
	s_mov_b64 s[0:1], -1
                                        ; implicit-def: $vgpr2_vgpr3
.LBB448_621:
	s_andn2_b64 vcc, exec, s[0:1]
	s_cbranch_vccnz .LBB448_623
; %bb.622:
	global_load_dword v2, v[0:1], off
	s_waitcnt vmcnt(0)
	v_ashrrev_i32_e32 v3, 31, v2
.LBB448_623:
	s_mov_b64 s[0:1], 0
.LBB448_624:
	s_andn2_b64 vcc, exec, s[0:1]
	s_cbranch_vccnz .LBB448_626
; %bb.625:
	global_load_ushort v2, v[0:1], off
	s_waitcnt vmcnt(0)
	v_bfe_i32 v2, v2, 0, 16
	v_ashrrev_i32_e32 v3, 31, v2
.LBB448_626:
	s_mov_b64 s[0:1], 0
.LBB448_627:
	s_andn2_b64 vcc, exec, s[0:1]
	s_cbranch_vccnz .LBB448_633
; %bb.628:
	s_cmp_gt_i32 s34, 0
	s_cbranch_scc0 .LBB448_630
; %bb.629:
	global_load_sbyte v2, v[0:1], off
	s_mov_b64 s[0:1], 0
	s_waitcnt vmcnt(0)
	v_bfe_i32 v2, v2, 0, 16
	v_ashrrev_i32_e32 v3, 31, v2
	s_branch .LBB448_631
.LBB448_630:
	s_mov_b64 s[0:1], -1
                                        ; implicit-def: $vgpr2_vgpr3
.LBB448_631:
	s_andn2_b64 vcc, exec, s[0:1]
	s_cbranch_vccnz .LBB448_633
; %bb.632:
	global_load_ubyte v0, v[0:1], off
	s_mov_b32 s0, 0
	s_waitcnt vmcnt(1)
	v_mov_b32_e32 v3, s0
	s_waitcnt vmcnt(0)
	v_and_b32_e32 v2, 0xffff, v0
.LBB448_633:
	s_mov_b64 s[0:1], -1
.LBB448_634:
	s_andn2_b64 vcc, exec, s[0:1]
	s_cbranch_vccnz .LBB448_642
; %bb.635:
	v_mov_b32_e32 v0, s11
	s_waitcnt vmcnt(0)
	v_cmp_gt_i64_e32 vcc, s[10:11], v[2:3]
	s_and_b32 s38, s33, 0xff
	s_cmp_lt_i32 s38, 11
	v_cndmask_b32_e32 v1, v0, v3, vcc
	v_mov_b32_e32 v0, s10
	v_cndmask_b32_e32 v0, v0, v2, vcc
	v_mul_lo_u32 v2, v10, s8
	v_ashrrev_i32_e32 v3, 31, v2
	v_lshl_add_u64 v[2:3], s[4:5], 0, v[2:3]
	s_cbranch_scc1 .LBB448_643
; %bb.636:
	s_and_b32 s39, 0xffff, s38
	s_cmp_gt_i32 s39, 25
	s_cbranch_scc0 .LBB448_644
; %bb.637:
	s_cmp_gt_i32 s39, 28
	s_cbranch_scc0 .LBB448_645
; %bb.638:
	;; [unrolled: 3-line block ×4, first 2 shown]
	s_mov_b64 s[34:35], 0
	s_mov_b64 s[0:1], -1
	s_cmp_eq_u32 s39, 46
	s_mov_b64 s[30:31], 0
	s_cbranch_scc0 .LBB448_648
; %bb.641:
	v_xor_b32_e32 v5, v0, v1
	v_ffbh_i32_e32 v4, v1
	v_ashrrev_i32_e32 v5, 31, v5
	v_add_u32_e32 v4, -1, v4
	v_add_u32_e32 v5, 32, v5
	v_min_u32_e32 v6, v4, v5
	v_lshlrev_b64 v[4:5], v6, v[0:1]
	v_min_u32_e32 v4, 1, v4
	v_or_b32_e32 v4, v5, v4
	v_cvt_f32_i32_e32 v4, v4
	v_sub_u32_e32 v5, 32, v6
	s_movk_i32 s0, 0x7fff
	s_mov_b64 s[30:31], -1
	v_ldexp_f32 v4, v4, v5
	v_bfe_u32 v5, v4, 16, 1
	v_add3_u32 v4, v4, v5, s0
	v_lshrrev_b32_e32 v4, 16, v4
	global_store_dword v[2:3], v4, off
	s_mov_b64 s[0:1], 0
	s_branch .LBB448_648
.LBB448_642:
	s_mov_b64 s[34:35], 0
                                        ; implicit-def: $vgpr10
	s_mov_b64 s[0:1], s[22:23]
	s_branch .LBB448_759
.LBB448_643:
	s_mov_b64 s[34:35], -1
	s_mov_b64 s[30:31], 0
	s_mov_b64 s[0:1], s[22:23]
	s_branch .LBB448_717
.LBB448_644:
	s_mov_b64 s[34:35], -1
	s_mov_b64 s[30:31], 0
	s_mov_b64 s[0:1], s[22:23]
	s_branch .LBB448_675
.LBB448_645:
	s_mov_b64 s[34:35], -1
	s_mov_b64 s[30:31], 0
	s_mov_b64 s[0:1], s[22:23]
	s_branch .LBB448_658
.LBB448_646:
	s_mov_b64 s[34:35], -1
	s_mov_b64 s[30:31], 0
	s_mov_b64 s[0:1], s[22:23]
	s_branch .LBB448_654
.LBB448_647:
	s_mov_b64 s[34:35], -1
	s_mov_b64 s[30:31], 0
	s_mov_b64 s[0:1], s[22:23]
.LBB448_648:
	s_and_b64 vcc, exec, s[34:35]
	s_cbranch_vccz .LBB448_653
; %bb.649:
	s_cmp_eq_u32 s39, 44
	s_mov_b64 s[0:1], -1
	s_cbranch_scc0 .LBB448_653
; %bb.650:
	v_xor_b32_e32 v5, v0, v1
	v_ffbh_i32_e32 v4, v1
	v_ashrrev_i32_e32 v5, 31, v5
	v_add_u32_e32 v4, -1, v4
	v_add_u32_e32 v5, 32, v5
	v_min_u32_e32 v6, v4, v5
	v_lshlrev_b64 v[4:5], v6, v[0:1]
	v_min_u32_e32 v4, 1, v4
	v_or_b32_e32 v4, v5, v4
	v_cvt_f32_i32_e32 v4, v4
	v_sub_u32_e32 v5, 32, v6
	s_movk_i32 s0, 0xff
	v_mov_b32_e32 v6, 0xff
	v_ldexp_f32 v4, v4, v5
	v_bfe_u32 v5, v4, 23, 8
	v_cmp_ne_u32_e32 vcc, s0, v5
	s_and_saveexec_b64 s[30:31], vcc
; %bb.651:
	s_mov_b32 s0, 0x3fffff
	v_lshrrev_b32_e32 v6, 23, v4
	v_and_b32_e32 v7, 0x400000, v4
	v_and_or_b32 v4, v4, s0, v5
	v_cmp_ne_u32_e32 vcc, 0, v7
	v_cmp_ne_u32_e64 s[0:1], 0, v4
	s_and_b64 s[0:1], vcc, s[0:1]
	s_nop 0
	v_cndmask_b32_e64 v4, 0, 1, s[0:1]
	v_add_u32_e32 v6, v6, v4
; %bb.652:
	s_or_b64 exec, exec, s[30:31]
	s_mov_b64 s[30:31], -1
	s_mov_b64 s[0:1], 0
	global_store_byte v[2:3], v6, off
.LBB448_653:
	s_mov_b64 s[34:35], 0
.LBB448_654:
	s_and_b64 vcc, exec, s[34:35]
	s_cbranch_vccz .LBB448_657
; %bb.655:
	s_cmp_eq_u32 s39, 29
	s_mov_b64 s[0:1], -1
	s_cbranch_scc0 .LBB448_657
; %bb.656:
	global_store_dwordx2 v[2:3], v[0:1], off
	s_mov_b64 s[30:31], -1
	s_mov_b64 s[0:1], 0
.LBB448_657:
	s_mov_b64 s[34:35], 0
.LBB448_658:
	s_and_b64 vcc, exec, s[34:35]
	s_cbranch_vccz .LBB448_674
; %bb.659:
	s_cmp_lt_i32 s39, 27
	s_mov_b64 s[30:31], -1
	s_cbranch_scc1 .LBB448_665
; %bb.660:
	s_cmp_gt_i32 s39, 27
	s_cbranch_scc0 .LBB448_662
; %bb.661:
	s_mov_b64 s[30:31], 0
	global_store_dword v[2:3], v0, off
.LBB448_662:
	s_andn2_b64 vcc, exec, s[30:31]
	s_cbranch_vccnz .LBB448_664
; %bb.663:
	global_store_short v[2:3], v0, off
.LBB448_664:
	s_mov_b64 s[30:31], 0
.LBB448_665:
	s_andn2_b64 vcc, exec, s[30:31]
	s_cbranch_vccnz .LBB448_673
; %bb.666:
	v_xor_b32_e32 v5, v0, v1
	v_ffbh_i32_e32 v4, v1
	v_ashrrev_i32_e32 v5, 31, v5
	v_add_u32_e32 v4, -1, v4
	v_add_u32_e32 v5, 32, v5
	v_min_u32_e32 v6, v4, v5
	v_lshlrev_b64 v[4:5], v6, v[0:1]
	v_min_u32_e32 v4, 1, v4
	v_or_b32_e32 v4, v5, v4
	v_cvt_f32_i32_e32 v4, v4
	v_sub_u32_e32 v5, 32, v6
	s_mov_b32 s30, 0x43800000
	v_mov_b32_e32 v6, 0x80
	v_ldexp_f32 v4, v4, v5
	v_and_b32_e32 v5, 0x7fffffff, v4
	v_cmp_gt_u32_e32 vcc, s30, v5
	s_and_saveexec_b64 s[30:31], vcc
	s_cbranch_execz .LBB448_672
; %bb.667:
	s_mov_b32 s34, 0x3bffffff
	v_cmp_lt_u32_e32 vcc, s34, v5
	s_mov_b64 s[34:35], 0
                                        ; implicit-def: $vgpr5
	s_and_saveexec_b64 s[36:37], vcc
	s_xor_b64 s[36:37], exec, s[36:37]
	s_cbranch_execz .LBB448_773
; %bb.668:
	v_bfe_u32 v5, v4, 20, 1
	s_mov_b32 s41, 0x487ffff
	v_add3_u32 v5, v4, v5, s41
	s_mov_b64 s[34:35], exec
	v_lshrrev_b32_e32 v5, 20, v5
	s_andn2_saveexec_b64 s[36:37], s[36:37]
	s_cbranch_execnz .LBB448_774
.LBB448_669:
	s_or_b64 exec, exec, s[36:37]
	v_mov_b32_e32 v6, 0
	s_and_saveexec_b64 s[36:37], s[34:35]
.LBB448_670:
	v_lshrrev_b32_e32 v4, 24, v4
	s_movk_i32 s34, 0x80
	v_and_or_b32 v6, v4, s34, v5
.LBB448_671:
	s_or_b64 exec, exec, s[36:37]
.LBB448_672:
	s_or_b64 exec, exec, s[30:31]
	global_store_byte v[2:3], v6, off
.LBB448_673:
	s_mov_b64 s[30:31], -1
.LBB448_674:
	s_mov_b64 s[34:35], 0
.LBB448_675:
	s_and_b64 vcc, exec, s[34:35]
	s_cbranch_vccz .LBB448_716
; %bb.676:
	s_cmp_gt_i32 s39, 22
	s_mov_b64 s[34:35], -1
	s_cbranch_scc0 .LBB448_708
; %bb.677:
	s_cmp_lt_i32 s39, 24
	s_mov_b64 s[30:31], -1
	s_cbranch_scc1 .LBB448_697
; %bb.678:
	s_cmp_gt_i32 s39, 24
	s_cbranch_scc0 .LBB448_686
; %bb.679:
	v_xor_b32_e32 v5, v0, v1
	v_ffbh_i32_e32 v4, v1
	v_ashrrev_i32_e32 v5, 31, v5
	v_add_u32_e32 v4, -1, v4
	v_add_u32_e32 v5, 32, v5
	v_min_u32_e32 v6, v4, v5
	v_lshlrev_b64 v[4:5], v6, v[0:1]
	v_min_u32_e32 v4, 1, v4
	v_or_b32_e32 v4, v5, v4
	v_cvt_f32_i32_e32 v4, v4
	v_sub_u32_e32 v5, 32, v6
	s_mov_b32 s30, 0x47800000
	v_mov_b32_e32 v6, 0x80
	v_ldexp_f32 v4, v4, v5
	v_and_b32_e32 v5, 0x7fffffff, v4
	v_cmp_gt_u32_e32 vcc, s30, v5
	s_and_saveexec_b64 s[30:31], vcc
	s_cbranch_execz .LBB448_685
; %bb.680:
	s_mov_b32 s34, 0x37ffffff
	v_cmp_lt_u32_e32 vcc, s34, v5
	s_mov_b64 s[34:35], 0
                                        ; implicit-def: $vgpr5
	s_and_saveexec_b64 s[36:37], vcc
	s_xor_b64 s[36:37], exec, s[36:37]
	s_cbranch_execz .LBB448_776
; %bb.681:
	v_bfe_u32 v5, v4, 21, 1
	s_mov_b32 s41, 0x88fffff
	v_add3_u32 v5, v4, v5, s41
	s_mov_b64 s[34:35], exec
	v_lshrrev_b32_e32 v5, 21, v5
	s_andn2_saveexec_b64 s[36:37], s[36:37]
	s_cbranch_execnz .LBB448_777
.LBB448_682:
	s_or_b64 exec, exec, s[36:37]
	v_mov_b32_e32 v6, 0
	s_and_saveexec_b64 s[36:37], s[34:35]
.LBB448_683:
	v_lshrrev_b32_e32 v4, 24, v4
	s_movk_i32 s34, 0x80
	v_and_or_b32 v6, v4, s34, v5
.LBB448_684:
	s_or_b64 exec, exec, s[36:37]
.LBB448_685:
	s_or_b64 exec, exec, s[30:31]
	s_mov_b64 s[30:31], 0
	global_store_byte v[2:3], v6, off
.LBB448_686:
	s_and_b64 vcc, exec, s[30:31]
	s_cbranch_vccz .LBB448_696
; %bb.687:
	v_xor_b32_e32 v5, v0, v1
	v_ffbh_i32_e32 v4, v1
	v_ashrrev_i32_e32 v5, 31, v5
	v_add_u32_e32 v4, -1, v4
	v_add_u32_e32 v5, 32, v5
	v_min_u32_e32 v6, v4, v5
	v_lshlrev_b64 v[4:5], v6, v[0:1]
	v_min_u32_e32 v4, 1, v4
	v_or_b32_e32 v4, v5, v4
	v_cvt_f32_i32_e32 v4, v4
	v_sub_u32_e32 v5, 32, v6
	s_mov_b32 s30, 0x43f00000
	v_ldexp_f32 v4, v4, v5
	v_and_b32_e32 v6, 0x7fffffff, v4
	v_cmp_gt_u32_e32 vcc, s30, v6
                                        ; implicit-def: $vgpr5
	s_and_saveexec_b64 s[30:31], vcc
	s_xor_b64 s[30:31], exec, s[30:31]
	s_cbranch_execz .LBB448_693
; %bb.688:
	s_mov_b32 s34, 0x3c7fffff
	v_cmp_lt_u32_e32 vcc, s34, v6
                                        ; implicit-def: $vgpr5
	s_and_saveexec_b64 s[34:35], vcc
	s_xor_b64 s[34:35], exec, s[34:35]
; %bb.689:
	v_bfe_u32 v5, v4, 20, 1
	s_mov_b32 s36, 0x407ffff
	v_add3_u32 v5, v4, v5, s36
	v_lshrrev_b32_e32 v6, 20, v5
	v_and_b32_e32 v5, 0xff00000, v5
	s_mov_b32 s36, 0x7f00000
	v_mov_b32_e32 v7, 0x7e
	v_cmp_ne_u32_e32 vcc, s36, v5
	s_nop 1
	v_cndmask_b32_e32 v5, v7, v6, vcc
; %bb.690:
	s_andn2_saveexec_b64 s[34:35], s[34:35]
; %bb.691:
	s_mov_b32 s36, 0x46800000
	v_add_f32_e64 v5, |v4|, s36
; %bb.692:
	s_or_b64 exec, exec, s[34:35]
                                        ; implicit-def: $vgpr6
.LBB448_693:
	s_andn2_saveexec_b64 s[30:31], s[30:31]
; %bb.694:
	s_mov_b32 s34, 0x7f800000
	v_mov_b32_e32 v5, 0x7e
	v_mov_b32_e32 v7, 0x7f
	v_cmp_lt_u32_e32 vcc, s34, v6
	s_nop 1
	v_cndmask_b32_e32 v5, v5, v7, vcc
; %bb.695:
	s_or_b64 exec, exec, s[30:31]
	v_lshrrev_b32_e32 v4, 24, v4
	s_movk_i32 s30, 0x80
	v_and_or_b32 v4, v4, s30, v5
	global_store_byte v[2:3], v4, off
.LBB448_696:
	s_mov_b64 s[30:31], 0
.LBB448_697:
	s_andn2_b64 vcc, exec, s[30:31]
	s_cbranch_vccnz .LBB448_707
; %bb.698:
	v_xor_b32_e32 v5, v0, v1
	v_ffbh_i32_e32 v4, v1
	v_ashrrev_i32_e32 v5, 31, v5
	v_add_u32_e32 v4, -1, v4
	v_add_u32_e32 v5, 32, v5
	v_min_u32_e32 v6, v4, v5
	v_lshlrev_b64 v[4:5], v6, v[0:1]
	v_min_u32_e32 v4, 1, v4
	v_or_b32_e32 v4, v5, v4
	v_cvt_f32_i32_e32 v4, v4
	v_sub_u32_e32 v5, 32, v6
	s_mov_b32 s30, 0x47800000
	v_ldexp_f32 v4, v4, v5
	v_and_b32_e32 v6, 0x7fffffff, v4
	v_cmp_gt_u32_e32 vcc, s30, v6
                                        ; implicit-def: $vgpr5
	s_and_saveexec_b64 s[30:31], vcc
	s_xor_b64 s[30:31], exec, s[30:31]
	s_cbranch_execz .LBB448_704
; %bb.699:
	s_mov_b32 s34, 0x387fffff
	v_cmp_lt_u32_e32 vcc, s34, v6
                                        ; implicit-def: $vgpr5
	s_and_saveexec_b64 s[34:35], vcc
	s_xor_b64 s[34:35], exec, s[34:35]
; %bb.700:
	v_bfe_u32 v5, v4, 21, 1
	s_mov_b32 s36, 0x80fffff
	v_add3_u32 v5, v4, v5, s36
	v_lshrrev_b32_e32 v5, 21, v5
; %bb.701:
	s_andn2_saveexec_b64 s[34:35], s[34:35]
; %bb.702:
	s_mov_b32 s36, 0x43000000
	v_add_f32_e64 v5, |v4|, s36
; %bb.703:
	s_or_b64 exec, exec, s[34:35]
                                        ; implicit-def: $vgpr6
.LBB448_704:
	s_andn2_saveexec_b64 s[30:31], s[30:31]
; %bb.705:
	s_mov_b32 s34, 0x7f800000
	v_mov_b32_e32 v5, 0x7c
	v_mov_b32_e32 v7, 0x7f
	v_cmp_lt_u32_e32 vcc, s34, v6
	s_nop 1
	v_cndmask_b32_e32 v5, v5, v7, vcc
; %bb.706:
	s_or_b64 exec, exec, s[30:31]
	v_lshrrev_b32_e32 v4, 24, v4
	s_movk_i32 s30, 0x80
	v_and_or_b32 v4, v4, s30, v5
	global_store_byte v[2:3], v4, off
.LBB448_707:
	s_mov_b64 s[34:35], 0
	s_mov_b64 s[30:31], -1
.LBB448_708:
	s_andn2_b64 vcc, exec, s[34:35]
	s_cbranch_vccnz .LBB448_716
; %bb.709:
	s_cmp_gt_i32 s39, 14
	s_mov_b64 s[34:35], -1
	s_cbranch_scc0 .LBB448_713
; %bb.710:
	s_cmp_eq_u32 s39, 15
	s_mov_b64 s[0:1], -1
	s_cbranch_scc0 .LBB448_712
; %bb.711:
	v_xor_b32_e32 v5, v0, v1
	v_ffbh_i32_e32 v4, v1
	v_ashrrev_i32_e32 v5, 31, v5
	v_add_u32_e32 v4, -1, v4
	v_add_u32_e32 v5, 32, v5
	v_min_u32_e32 v6, v4, v5
	v_lshlrev_b64 v[4:5], v6, v[0:1]
	v_min_u32_e32 v4, 1, v4
	v_or_b32_e32 v4, v5, v4
	v_cvt_f32_i32_e32 v4, v4
	v_sub_u32_e32 v5, 32, v6
	s_movk_i32 s0, 0x7fff
	s_mov_b64 s[30:31], -1
	v_ldexp_f32 v4, v4, v5
	v_bfe_u32 v5, v4, 16, 1
	v_add3_u32 v4, v4, v5, s0
	global_store_short_d16_hi v[2:3], v4, off
	s_mov_b64 s[0:1], 0
.LBB448_712:
	s_mov_b64 s[34:35], 0
.LBB448_713:
	s_and_b64 vcc, exec, s[34:35]
	s_cbranch_vccz .LBB448_716
; %bb.714:
	s_cmp_eq_u32 s39, 11
	s_mov_b64 s[0:1], -1
	s_cbranch_scc0 .LBB448_716
; %bb.715:
	v_cmp_ne_u64_e32 vcc, 0, v[0:1]
	s_mov_b64 s[0:1], 0
	s_mov_b64 s[30:31], -1
	v_cndmask_b32_e64 v4, 0, 1, vcc
	global_store_byte v[2:3], v4, off
.LBB448_716:
	s_mov_b64 s[34:35], 0
.LBB448_717:
	s_and_b64 vcc, exec, s[34:35]
	s_cbranch_vccz .LBB448_756
; %bb.718:
	s_and_b32 s34, 0xffff, s38
	s_cmp_lt_i32 s34, 5
	s_mov_b64 s[30:31], -1
	s_cbranch_scc1 .LBB448_739
; %bb.719:
	s_cmp_lt_i32 s34, 8
	s_cbranch_scc1 .LBB448_729
; %bb.720:
	s_cmp_lt_i32 s34, 9
	s_cbranch_scc1 .LBB448_726
; %bb.721:
	s_cmp_gt_i32 s34, 9
	s_cbranch_scc0 .LBB448_723
; %bb.722:
	v_cvt_f64_i32_e32 v[4:5], v1
	v_ldexp_f64 v[4:5], v[4:5], 32
	v_cvt_f64_u32_e32 v[6:7], v0
	v_add_f64 v[4:5], v[4:5], v[6:7]
	v_mov_b32_e32 v6, 0
	v_mov_b32_e32 v7, v6
	s_mov_b64 s[30:31], 0
	global_store_dwordx4 v[2:3], v[4:7], off
.LBB448_723:
	s_andn2_b64 vcc, exec, s[30:31]
	s_cbranch_vccnz .LBB448_725
; %bb.724:
	v_xor_b32_e32 v5, v0, v1
	v_ffbh_i32_e32 v4, v1
	v_ashrrev_i32_e32 v5, 31, v5
	v_add_u32_e32 v4, -1, v4
	v_add_u32_e32 v5, 32, v5
	v_min_u32_e32 v6, v4, v5
	v_lshlrev_b64 v[4:5], v6, v[0:1]
	v_min_u32_e32 v4, 1, v4
	v_or_b32_e32 v4, v5, v4
	v_cvt_f32_i32_e32 v4, v4
	v_sub_u32_e32 v5, 32, v6
	v_ldexp_f32 v4, v4, v5
	v_mov_b32_e32 v5, 0
	global_store_dwordx2 v[2:3], v[4:5], off
.LBB448_725:
	s_mov_b64 s[30:31], 0
.LBB448_726:
	s_andn2_b64 vcc, exec, s[30:31]
	s_cbranch_vccnz .LBB448_728
; %bb.727:
	v_xor_b32_e32 v5, v0, v1
	v_ffbh_i32_e32 v4, v1
	v_ashrrev_i32_e32 v5, 31, v5
	v_add_u32_e32 v4, -1, v4
	v_add_u32_e32 v5, 32, v5
	v_min_u32_e32 v6, v4, v5
	v_lshlrev_b64 v[4:5], v6, v[0:1]
	v_min_u32_e32 v4, 1, v4
	v_or_b32_e32 v4, v5, v4
	v_cvt_f32_i32_e32 v4, v4
	v_sub_u32_e32 v5, 32, v6
	v_ldexp_f32 v4, v4, v5
	v_cvt_f16_f32_e32 v4, v4
	global_store_dword v[2:3], v4, off
.LBB448_728:
	s_mov_b64 s[30:31], 0
.LBB448_729:
	s_andn2_b64 vcc, exec, s[30:31]
	s_cbranch_vccnz .LBB448_738
; %bb.730:
	s_cmp_lt_i32 s34, 6
	s_mov_b64 s[30:31], -1
	s_cbranch_scc1 .LBB448_736
; %bb.731:
	s_cmp_gt_i32 s34, 6
	s_cbranch_scc0 .LBB448_733
; %bb.732:
	v_cvt_f64_i32_e32 v[4:5], v1
	v_ldexp_f64 v[4:5], v[4:5], 32
	v_cvt_f64_u32_e32 v[6:7], v0
	v_add_f64 v[4:5], v[4:5], v[6:7]
	s_mov_b64 s[30:31], 0
	global_store_dwordx2 v[2:3], v[4:5], off
.LBB448_733:
	s_andn2_b64 vcc, exec, s[30:31]
	s_cbranch_vccnz .LBB448_735
; %bb.734:
	v_xor_b32_e32 v5, v0, v1
	v_ffbh_i32_e32 v4, v1
	v_ashrrev_i32_e32 v5, 31, v5
	v_add_u32_e32 v4, -1, v4
	v_add_u32_e32 v5, 32, v5
	v_min_u32_e32 v6, v4, v5
	v_lshlrev_b64 v[4:5], v6, v[0:1]
	v_min_u32_e32 v4, 1, v4
	v_or_b32_e32 v4, v5, v4
	v_cvt_f32_i32_e32 v4, v4
	v_sub_u32_e32 v5, 32, v6
	v_ldexp_f32 v4, v4, v5
	global_store_dword v[2:3], v4, off
.LBB448_735:
	s_mov_b64 s[30:31], 0
.LBB448_736:
	s_andn2_b64 vcc, exec, s[30:31]
	s_cbranch_vccnz .LBB448_738
; %bb.737:
	v_xor_b32_e32 v5, v0, v1
	v_ffbh_i32_e32 v4, v1
	v_ashrrev_i32_e32 v5, 31, v5
	v_add_u32_e32 v4, -1, v4
	v_add_u32_e32 v5, 32, v5
	v_min_u32_e32 v6, v4, v5
	v_lshlrev_b64 v[4:5], v6, v[0:1]
	v_min_u32_e32 v4, 1, v4
	v_or_b32_e32 v4, v5, v4
	v_cvt_f32_i32_e32 v4, v4
	v_sub_u32_e32 v5, 32, v6
	v_ldexp_f32 v4, v4, v5
	v_cvt_f16_f32_e32 v4, v4
	global_store_short v[2:3], v4, off
.LBB448_738:
	s_mov_b64 s[30:31], 0
.LBB448_739:
	s_andn2_b64 vcc, exec, s[30:31]
	s_cbranch_vccnz .LBB448_755
; %bb.740:
	s_cmp_lt_i32 s34, 2
	s_mov_b64 s[30:31], -1
	s_cbranch_scc1 .LBB448_750
; %bb.741:
	s_cmp_lt_i32 s34, 3
	s_cbranch_scc1 .LBB448_747
; %bb.742:
	s_cmp_gt_i32 s34, 3
	s_cbranch_scc0 .LBB448_744
; %bb.743:
	s_mov_b64 s[30:31], 0
	global_store_dwordx2 v[2:3], v[0:1], off
.LBB448_744:
	s_andn2_b64 vcc, exec, s[30:31]
	s_cbranch_vccnz .LBB448_746
; %bb.745:
	global_store_dword v[2:3], v0, off
.LBB448_746:
	s_mov_b64 s[30:31], 0
.LBB448_747:
	s_andn2_b64 vcc, exec, s[30:31]
	s_cbranch_vccnz .LBB448_749
; %bb.748:
	global_store_short v[2:3], v0, off
.LBB448_749:
	s_mov_b64 s[30:31], 0
.LBB448_750:
	s_andn2_b64 vcc, exec, s[30:31]
	s_cbranch_vccnz .LBB448_755
; %bb.751:
	s_cmp_gt_i32 s34, 0
	s_mov_b64 s[30:31], -1
	s_cbranch_scc0 .LBB448_753
; %bb.752:
	s_mov_b64 s[30:31], 0
	global_store_byte v[2:3], v0, off
.LBB448_753:
	s_andn2_b64 vcc, exec, s[30:31]
	s_cbranch_vccnz .LBB448_755
; %bb.754:
	global_store_byte v[2:3], v0, off
.LBB448_755:
	s_mov_b64 s[30:31], -1
.LBB448_756:
	s_andn2_b64 vcc, exec, s[30:31]
	s_cbranch_vccnz .LBB448_758
; %bb.757:
	v_add_u32_e32 v10, 0x80, v10
	s_mov_b64 s[34:35], -1
	s_branch .LBB448_759
.LBB448_758:
	s_mov_b64 s[34:35], 0
                                        ; implicit-def: $vgpr10
.LBB448_759:
	s_andn2_b64 s[30:31], s[22:23], exec
	s_and_b64 s[0:1], s[0:1], exec
	s_or_b64 s[30:31], s[30:31], s[0:1]
	s_andn2_b64 s[0:1], s[20:21], exec
	s_and_b64 s[28:29], s[28:29], exec
	s_or_b64 s[0:1], s[0:1], s[28:29]
	s_orn2_b64 s[36:37], s[34:35], exec
.LBB448_760:
	s_or_b64 exec, exec, s[26:27]
	s_mov_b64 s[34:35], 0
	s_mov_b64 s[28:29], 0
	;; [unrolled: 1-line block ×3, first 2 shown]
                                        ; implicit-def: $vgpr0_vgpr1
                                        ; implicit-def: $vgpr4_vgpr5
	s_and_saveexec_b64 s[26:27], s[36:37]
	s_cbranch_execz .LBB448_841
; %bb.761:
	v_cmp_gt_i32_e32 vcc, s40, v10
	s_mov_b64 s[36:37], 0
	s_mov_b64 s[40:41], s[0:1]
	;; [unrolled: 1-line block ×3, first 2 shown]
                                        ; implicit-def: $vgpr0_vgpr1
                                        ; implicit-def: $vgpr4_vgpr5
	s_and_saveexec_b64 s[28:29], vcc
	s_cbranch_execz .LBB448_840
; %bb.762:
	v_mul_lo_u32 v0, v10, s9
	v_ashrrev_i32_e32 v1, 31, v0
	s_and_b32 s42, 0xffff, s44
	s_cmp_lt_i32 s42, 11
	v_lshl_add_u64 v[0:1], s[6:7], 0, v[0:1]
	s_cbranch_scc1 .LBB448_769
; %bb.763:
	s_cmp_gt_i32 s42, 25
	s_cbranch_scc0 .LBB448_770
; %bb.764:
	s_cmp_gt_i32 s42, 28
	s_cbranch_scc0 .LBB448_771
	;; [unrolled: 3-line block ×4, first 2 shown]
; %bb.767:
	s_cmp_eq_u32 s42, 46
	s_mov_b64 s[40:41], 0
	s_cbranch_scc0 .LBB448_778
; %bb.768:
	global_load_dword v2, v[0:1], off
	s_mov_b32 s34, 0x2f800000
	s_mov_b32 s35, 0xcf800000
	s_mov_b64 s[38:39], -1
	s_waitcnt vmcnt(0)
	v_lshlrev_b32_e32 v2, 16, v2
	v_trunc_f32_e32 v2, v2
	v_mul_f32_e64 v3, |v2|, s34
	v_floor_f32_e32 v3, v3
	v_fma_f32 v4, v3, s35, |v2|
	v_cvt_u32_f32_e32 v4, v4
	v_cvt_u32_f32_e32 v3, v3
	v_ashrrev_i32_e32 v2, 31, v2
	s_mov_b64 s[34:35], 0
	v_xor_b32_e32 v4, v4, v2
	v_xor_b32_e32 v3, v3, v2
	v_sub_co_u32_e32 v4, vcc, v4, v2
	s_nop 1
	v_subb_co_u32_e32 v5, vcc, v3, v2, vcc
	s_branch .LBB448_780
.LBB448_769:
	s_mov_b64 s[40:41], -1
                                        ; implicit-def: $vgpr4_vgpr5
	s_mov_b64 s[34:35], s[0:1]
	s_branch .LBB448_839
.LBB448_770:
	s_mov_b64 s[40:41], -1
	s_mov_b64 s[34:35], s[0:1]
                                        ; implicit-def: $vgpr4_vgpr5
	s_branch .LBB448_807
.LBB448_771:
	s_mov_b64 s[40:41], -1
	s_mov_b64 s[34:35], s[0:1]
                                        ; implicit-def: $vgpr4_vgpr5
	s_branch .LBB448_790
.LBB448_772:
	s_mov_b64 s[40:41], -1
	s_mov_b64 s[34:35], s[0:1]
                                        ; implicit-def: $vgpr4_vgpr5
	s_branch .LBB448_785
.LBB448_773:
	s_andn2_saveexec_b64 s[36:37], s[36:37]
	s_cbranch_execz .LBB448_669
.LBB448_774:
	s_mov_b32 s41, 0x46000000
	v_add_f32_e64 v5, |v4|, s41
	v_and_b32_e32 v5, 0xff, v5
	v_cmp_ne_u32_e32 vcc, 0, v5
	s_andn2_b64 s[34:35], s[34:35], exec
	s_and_b64 s[42:43], vcc, exec
	s_or_b64 s[34:35], s[34:35], s[42:43]
	s_or_b64 exec, exec, s[36:37]
	v_mov_b32_e32 v6, 0
	s_and_saveexec_b64 s[36:37], s[34:35]
	s_cbranch_execnz .LBB448_670
	s_branch .LBB448_671
.LBB448_775:
	s_mov_b64 s[40:41], -1
	s_mov_b64 s[34:35], s[0:1]
	s_branch .LBB448_779
.LBB448_776:
	s_andn2_saveexec_b64 s[36:37], s[36:37]
	s_cbranch_execz .LBB448_682
.LBB448_777:
	s_mov_b32 s41, 0x42800000
	v_add_f32_e64 v5, |v4|, s41
	v_and_b32_e32 v5, 0xff, v5
	v_cmp_ne_u32_e32 vcc, 0, v5
	s_andn2_b64 s[34:35], s[34:35], exec
	s_and_b64 s[42:43], vcc, exec
	s_or_b64 s[34:35], s[34:35], s[42:43]
	s_or_b64 exec, exec, s[36:37]
	v_mov_b32_e32 v6, 0
	s_and_saveexec_b64 s[36:37], s[34:35]
	s_cbranch_execnz .LBB448_683
	s_branch .LBB448_684
.LBB448_778:
	s_mov_b64 s[34:35], -1
.LBB448_779:
                                        ; implicit-def: $vgpr4_vgpr5
.LBB448_780:
	s_and_b64 vcc, exec, s[40:41]
	s_cbranch_vccz .LBB448_784
; %bb.781:
	s_cmp_eq_u32 s42, 44
	s_cbranch_scc0 .LBB448_783
; %bb.782:
	global_load_ubyte v2, v[0:1], off
	s_mov_b32 s34, 0x2f800000
	s_mov_b32 s35, 0xcf800000
	s_mov_b64 s[38:39], -1
	s_waitcnt vmcnt(0)
	v_lshlrev_b32_e32 v3, 23, v2
	v_trunc_f32_e32 v3, v3
	v_mul_f32_e64 v4, |v3|, s34
	v_floor_f32_e32 v4, v4
	v_fma_f32 v5, v4, s35, |v3|
	v_cvt_u32_f32_e32 v5, v5
	v_cvt_u32_f32_e32 v4, v4
	v_ashrrev_i32_e32 v3, 31, v3
	s_mov_b64 s[34:35], 0
	v_xor_b32_e32 v5, v5, v3
	v_xor_b32_e32 v4, v4, v3
	v_sub_co_u32_e32 v6, vcc, v5, v3
	s_nop 1
	v_subb_co_u32_e32 v3, vcc, v4, v3, vcc
	v_cmp_ne_u32_e32 vcc, 0, v2
	s_nop 1
	v_cndmask_b32_e32 v5, 0, v3, vcc
	v_cndmask_b32_e32 v4, 0, v6, vcc
	s_branch .LBB448_784
.LBB448_783:
	s_mov_b64 s[34:35], -1
                                        ; implicit-def: $vgpr4_vgpr5
.LBB448_784:
	s_mov_b64 s[40:41], 0
.LBB448_785:
	s_and_b64 vcc, exec, s[40:41]
	s_cbranch_vccz .LBB448_789
; %bb.786:
	s_cmp_eq_u32 s42, 29
	s_cbranch_scc0 .LBB448_788
; %bb.787:
	global_load_dwordx2 v[4:5], v[0:1], off
	s_mov_b64 s[34:35], 0
	s_mov_b64 s[38:39], -1
	s_branch .LBB448_789
.LBB448_788:
	s_mov_b64 s[34:35], -1
                                        ; implicit-def: $vgpr4_vgpr5
.LBB448_789:
	s_mov_b64 s[40:41], 0
.LBB448_790:
	s_and_b64 vcc, exec, s[40:41]
	s_cbranch_vccz .LBB448_806
; %bb.791:
	s_cmp_lt_i32 s42, 27
	s_cbranch_scc1 .LBB448_794
; %bb.792:
	s_cmp_gt_i32 s42, 27
	s_cbranch_scc0 .LBB448_795
; %bb.793:
	global_load_dword v4, v[0:1], off
	s_waitcnt vmcnt(1)
	v_mov_b32_e32 v5, 0
	s_mov_b64 s[38:39], 0
	s_branch .LBB448_796
.LBB448_794:
	s_mov_b64 s[38:39], -1
                                        ; implicit-def: $vgpr4_vgpr5
	s_branch .LBB448_799
.LBB448_795:
	s_mov_b64 s[38:39], -1
                                        ; implicit-def: $vgpr4_vgpr5
.LBB448_796:
	s_andn2_b64 vcc, exec, s[38:39]
	s_cbranch_vccnz .LBB448_798
; %bb.797:
	global_load_ushort v2, v[0:1], off
	s_mov_b32 s38, 0
	s_waitcnt vmcnt(1)
	v_mov_b32_e32 v5, s38
	s_waitcnt vmcnt(0)
	v_and_b32_e32 v4, 0xffff, v2
.LBB448_798:
	s_mov_b64 s[38:39], 0
.LBB448_799:
	s_andn2_b64 vcc, exec, s[38:39]
	s_cbranch_vccnz .LBB448_805
; %bb.800:
	global_load_ubyte v2, v[0:1], off
	s_movk_i32 s38, 0x7f
	s_mov_b64 s[40:41], 0
	s_waitcnt vmcnt(0)
	v_cmp_lt_i16_e32 vcc, s38, v2
	s_and_saveexec_b64 s[38:39], vcc
	s_xor_b64 s[38:39], exec, s[38:39]
	s_cbranch_execz .LBB448_817
; %bb.801:
	s_movk_i32 s40, 0x80
	v_cmp_ne_u16_e32 vcc, s40, v2
	s_and_b64 s[40:41], vcc, exec
	s_andn2_saveexec_b64 s[38:39], s[38:39]
	s_cbranch_execnz .LBB448_818
.LBB448_802:
	s_or_b64 exec, exec, s[38:39]
	v_mov_b64_e32 v[4:5], 0
	s_and_saveexec_b64 s[38:39], s[40:41]
	s_cbranch_execz .LBB448_804
.LBB448_803:
	v_lshlrev_b32_e32 v3, 24, v2
	v_and_b32_e32 v2, 0xffff, v2
	v_and_b32_e32 v4, 7, v2
	v_ffbh_u32_e32 v6, v4
	v_min_u32_e32 v6, 32, v6
	v_subrev_u32_e32 v7, 28, v6
	v_bfe_u32 v5, v2, 3, 4
	v_lshlrev_b32_e32 v2, v7, v2
	v_sub_u32_e32 v6, 29, v6
	v_and_b32_e32 v2, 7, v2
	v_cmp_eq_u32_e32 vcc, 0, v5
	v_and_b32_e32 v3, 0x80000000, v3
	s_mov_b32 s40, 0x2f800000
	v_cndmask_b32_e32 v5, v5, v6, vcc
	v_cndmask_b32_e32 v2, v4, v2, vcc
	v_mov_b32_e32 v4, 0x3b800000
	v_lshlrev_b32_e32 v2, 20, v2
	v_lshl_add_u32 v4, v5, 23, v4
	v_or3_b32 v2, v3, v4, v2
	v_trunc_f32_e32 v2, v2
	v_mul_f32_e64 v3, |v2|, s40
	v_floor_f32_e32 v3, v3
	s_mov_b32 s40, 0xcf800000
	v_fma_f32 v4, v3, s40, |v2|
	v_cvt_u32_f32_e32 v4, v4
	v_cvt_u32_f32_e32 v3, v3
	v_ashrrev_i32_e32 v2, 31, v2
	v_xor_b32_e32 v4, v4, v2
	v_xor_b32_e32 v3, v3, v2
	v_sub_co_u32_e32 v4, vcc, v4, v2
	s_nop 1
	v_subb_co_u32_e32 v5, vcc, v3, v2, vcc
.LBB448_804:
	s_or_b64 exec, exec, s[38:39]
.LBB448_805:
	s_mov_b64 s[38:39], -1
.LBB448_806:
	s_mov_b64 s[40:41], 0
.LBB448_807:
	s_and_b64 vcc, exec, s[40:41]
	s_cbranch_vccz .LBB448_838
; %bb.808:
	s_cmp_gt_i32 s42, 22
	s_cbranch_scc0 .LBB448_816
; %bb.809:
	s_cmp_lt_i32 s42, 24
	s_cbranch_scc1 .LBB448_819
; %bb.810:
	s_cmp_gt_i32 s42, 24
	s_cbranch_scc0 .LBB448_820
; %bb.811:
	global_load_ubyte v2, v[0:1], off
	s_movk_i32 s36, 0x7f
	s_mov_b64 s[38:39], 0
	s_waitcnt vmcnt(0)
	v_cmp_lt_i16_e32 vcc, s36, v2
	s_and_saveexec_b64 s[36:37], vcc
	s_xor_b64 s[36:37], exec, s[36:37]
	s_cbranch_execz .LBB448_832
; %bb.812:
	s_movk_i32 s38, 0x80
	v_cmp_ne_u16_e32 vcc, s38, v2
	s_and_b64 s[38:39], vcc, exec
	s_andn2_saveexec_b64 s[36:37], s[36:37]
	s_cbranch_execnz .LBB448_833
.LBB448_813:
	s_or_b64 exec, exec, s[36:37]
	v_mov_b64_e32 v[4:5], 0
	s_and_saveexec_b64 s[36:37], s[38:39]
	s_cbranch_execz .LBB448_815
.LBB448_814:
	v_lshlrev_b32_e32 v3, 24, v2
	v_and_b32_e32 v2, 0xffff, v2
	v_and_b32_e32 v4, 3, v2
	v_ffbh_u32_e32 v6, v4
	v_min_u32_e32 v6, 32, v6
	v_subrev_u32_e32 v7, 29, v6
	v_bfe_u32 v5, v2, 2, 5
	v_lshlrev_b32_e32 v2, v7, v2
	v_sub_u32_e32 v6, 30, v6
	v_and_b32_e32 v2, 3, v2
	v_cmp_eq_u32_e32 vcc, 0, v5
	v_and_b32_e32 v3, 0x80000000, v3
	s_mov_b32 s38, 0x2f800000
	v_cndmask_b32_e32 v5, v5, v6, vcc
	v_cndmask_b32_e32 v2, v4, v2, vcc
	v_mov_b32_e32 v4, 0x37800000
	v_lshlrev_b32_e32 v2, 21, v2
	v_lshl_add_u32 v4, v5, 23, v4
	v_or3_b32 v2, v3, v4, v2
	v_trunc_f32_e32 v2, v2
	v_mul_f32_e64 v3, |v2|, s38
	v_floor_f32_e32 v3, v3
	s_mov_b32 s38, 0xcf800000
	v_fma_f32 v4, v3, s38, |v2|
	v_cvt_u32_f32_e32 v4, v4
	v_cvt_u32_f32_e32 v3, v3
	v_ashrrev_i32_e32 v2, 31, v2
	v_xor_b32_e32 v4, v4, v2
	v_xor_b32_e32 v3, v3, v2
	v_sub_co_u32_e32 v4, vcc, v4, v2
	s_nop 1
	v_subb_co_u32_e32 v5, vcc, v3, v2, vcc
.LBB448_815:
	s_or_b64 exec, exec, s[36:37]
	s_mov_b64 s[36:37], 0
	s_branch .LBB448_821
.LBB448_816:
	s_mov_b64 s[36:37], -1
                                        ; implicit-def: $vgpr4_vgpr5
	s_branch .LBB448_827
.LBB448_817:
	s_andn2_saveexec_b64 s[38:39], s[38:39]
	s_cbranch_execz .LBB448_802
.LBB448_818:
	v_cmp_ne_u16_e32 vcc, 0, v2
	s_andn2_b64 s[40:41], s[40:41], exec
	s_and_b64 s[46:47], vcc, exec
	s_or_b64 s[40:41], s[40:41], s[46:47]
	s_or_b64 exec, exec, s[38:39]
	v_mov_b64_e32 v[4:5], 0
	s_and_saveexec_b64 s[38:39], s[40:41]
	s_cbranch_execnz .LBB448_803
	s_branch .LBB448_804
.LBB448_819:
	s_mov_b64 s[36:37], -1
                                        ; implicit-def: $vgpr4_vgpr5
	s_branch .LBB448_824
.LBB448_820:
	s_mov_b64 s[36:37], -1
                                        ; implicit-def: $vgpr4_vgpr5
.LBB448_821:
	s_and_b64 vcc, exec, s[36:37]
	s_cbranch_vccz .LBB448_823
; %bb.822:
	global_load_ubyte v2, v[0:1], off
	s_mov_b32 s36, 0x7f800000
	s_brev_b32 s37, 1
	s_mov_b32 s38, 0x2f800000
	s_mov_b32 s39, 0xcf800000
	s_waitcnt vmcnt(0)
	v_lshlrev_b32_e32 v2, 24, v2
	v_and_b32_e32 v3, 0x7f000000, v2
	v_ffbh_u32_e32 v4, v3
	v_min_u32_e32 v4, 32, v4
	v_sub_u32_e64 v4, v4, 4 clamp
	v_lshlrev_b32_e32 v6, v4, v3
	v_lshlrev_b32_e32 v4, 23, v4
	v_lshrrev_b32_e32 v6, 4, v6
	v_add_u32_e32 v5, 0x1000000, v3
	v_sub_u32_e32 v4, v6, v4
	v_ashrrev_i32_e32 v5, 8, v5
	v_add_u32_e32 v4, 0x3c000000, v4
	v_and_or_b32 v4, v5, s36, v4
	v_cmp_ne_u32_e32 vcc, 0, v3
	s_nop 1
	v_cndmask_b32_e32 v3, 0, v4, vcc
	v_and_or_b32 v2, v2, s37, v3
	v_trunc_f32_e32 v2, v2
	v_mul_f32_e64 v3, |v2|, s38
	v_floor_f32_e32 v3, v3
	v_fma_f32 v4, v3, s39, |v2|
	v_cvt_u32_f32_e32 v4, v4
	v_cvt_u32_f32_e32 v3, v3
	v_ashrrev_i32_e32 v2, 31, v2
	v_xor_b32_e32 v4, v4, v2
	v_xor_b32_e32 v3, v3, v2
	v_sub_co_u32_e32 v4, vcc, v4, v2
	s_nop 1
	v_subb_co_u32_e32 v5, vcc, v3, v2, vcc
.LBB448_823:
	s_mov_b64 s[36:37], 0
.LBB448_824:
	s_andn2_b64 vcc, exec, s[36:37]
	s_cbranch_vccnz .LBB448_826
; %bb.825:
	global_load_ubyte v2, v[0:1], off
	s_movk_i32 s36, 0x7f00
	s_brev_b32 s37, 16
	s_brev_b32 s38, 1
	s_mov_b32 s39, 0x2f800000
	s_mov_b32 s40, 0xcf800000
	s_waitcnt vmcnt(0)
	v_lshlrev_b16_e32 v3, 8, v2
	v_lshlrev_b32_e32 v2, 25, v2
	v_lshrrev_b32_e32 v4, 4, v2
	v_and_or_b32 v5, v3, s36, 0.5
	v_or_b32_e32 v4, 0x70000000, v4
	v_add_f32_e32 v5, -0.5, v5
	v_mul_f32_e32 v4, 0x7800000, v4
	v_cmp_gt_u32_e32 vcc, s37, v2
	v_bfe_i32 v3, v3, 0, 16
	s_nop 0
	v_cndmask_b32_e32 v2, v4, v5, vcc
	v_and_or_b32 v2, v3, s38, v2
	v_trunc_f32_e32 v2, v2
	v_mul_f32_e64 v3, |v2|, s39
	v_floor_f32_e32 v3, v3
	v_fma_f32 v4, v3, s40, |v2|
	v_cvt_u32_f32_e32 v4, v4
	v_cvt_u32_f32_e32 v3, v3
	v_ashrrev_i32_e32 v2, 31, v2
	v_xor_b32_e32 v4, v4, v2
	v_xor_b32_e32 v3, v3, v2
	v_sub_co_u32_e32 v4, vcc, v4, v2
	s_nop 1
	v_subb_co_u32_e32 v5, vcc, v3, v2, vcc
.LBB448_826:
	s_mov_b64 s[36:37], 0
	s_mov_b64 s[38:39], -1
.LBB448_827:
	s_andn2_b64 vcc, exec, s[36:37]
	s_mov_b64 s[36:37], 0
	s_cbranch_vccnz .LBB448_838
; %bb.828:
	s_cmp_gt_i32 s42, 14
	s_cbranch_scc0 .LBB448_831
; %bb.829:
	s_cmp_eq_u32 s42, 15
	s_cbranch_scc0 .LBB448_834
; %bb.830:
	global_load_ushort v2, v[0:1], off
	s_mov_b32 s34, 0x2f800000
	s_mov_b32 s35, 0xcf800000
	s_mov_b64 s[38:39], -1
	s_waitcnt vmcnt(0)
	v_lshlrev_b32_e32 v2, 16, v2
	v_trunc_f32_e32 v2, v2
	v_mul_f32_e64 v3, |v2|, s34
	v_floor_f32_e32 v3, v3
	v_fma_f32 v4, v3, s35, |v2|
	v_cvt_u32_f32_e32 v4, v4
	v_cvt_u32_f32_e32 v3, v3
	v_ashrrev_i32_e32 v2, 31, v2
	s_mov_b64 s[34:35], 0
	v_xor_b32_e32 v4, v4, v2
	v_xor_b32_e32 v3, v3, v2
	v_sub_co_u32_e32 v4, vcc, v4, v2
	s_nop 1
	v_subb_co_u32_e32 v5, vcc, v3, v2, vcc
	s_branch .LBB448_835
.LBB448_831:
	s_mov_b64 s[40:41], -1
                                        ; implicit-def: $vgpr4_vgpr5
	s_branch .LBB448_836
.LBB448_832:
	s_andn2_saveexec_b64 s[36:37], s[36:37]
	s_cbranch_execz .LBB448_813
.LBB448_833:
	v_cmp_ne_u16_e32 vcc, 0, v2
	s_andn2_b64 s[38:39], s[38:39], exec
	s_and_b64 s[40:41], vcc, exec
	s_or_b64 s[38:39], s[38:39], s[40:41]
	s_or_b64 exec, exec, s[36:37]
	v_mov_b64_e32 v[4:5], 0
	s_and_saveexec_b64 s[36:37], s[38:39]
	s_cbranch_execnz .LBB448_814
	s_branch .LBB448_815
.LBB448_834:
	s_mov_b64 s[34:35], -1
                                        ; implicit-def: $vgpr4_vgpr5
.LBB448_835:
	s_mov_b64 s[40:41], 0
.LBB448_836:
	s_and_b64 vcc, exec, s[40:41]
	s_cbranch_vccz .LBB448_838
; %bb.837:
	s_cmp_lg_u32 s42, 11
	s_cselect_b64 s[40:41], -1, 0
	s_andn2_b64 s[34:35], s[34:35], exec
	s_and_b64 s[40:41], s[40:41], exec
	s_mov_b64 s[36:37], -1
	s_or_b64 s[34:35], s[34:35], s[40:41]
.LBB448_838:
	s_mov_b64 s[40:41], 0
.LBB448_839:
	s_and_b64 s[42:43], s[40:41], exec
	s_andn2_b64 s[40:41], s[0:1], exec
	s_and_b64 s[34:35], s[34:35], exec
	s_and_b64 s[38:39], s[38:39], exec
	;; [unrolled: 1-line block ×3, first 2 shown]
	s_or_b64 s[40:41], s[40:41], s[34:35]
.LBB448_840:
	s_or_b64 exec, exec, s[28:29]
	s_and_b64 s[34:35], s[36:37], exec
	s_andn2_b64 s[0:1], s[0:1], exec
	s_and_b64 s[36:37], s[40:41], exec
	s_and_b64 s[38:39], s[38:39], exec
	;; [unrolled: 1-line block ×3, first 2 shown]
	s_or_b64 s[0:1], s[0:1], s[36:37]
.LBB448_841:
	s_or_b64 exec, exec, s[26:27]
	s_andn2_b64 s[22:23], s[22:23], exec
	s_and_b64 s[26:27], s[30:31], exec
	s_andn2_b64 s[20:21], s[20:21], exec
	s_and_b64 s[0:1], s[0:1], exec
	s_or_b64 s[22:23], s[22:23], s[26:27]
	s_and_b64 s[30:31], s[38:39], exec
	s_and_b64 s[28:29], s[28:29], exec
	;; [unrolled: 1-line block ×3, first 2 shown]
	s_or_b64 s[20:21], s[20:21], s[0:1]
.LBB448_842:
	s_or_b64 exec, exec, s[24:25]
	s_andn2_b64 s[0:1], s[14:15], exec
	s_and_b64 s[14:15], s[22:23], exec
	s_andn2_b64 s[16:17], s[16:17], exec
	s_and_b64 s[20:21], s[20:21], exec
	s_or_b64 s[14:15], s[0:1], s[14:15]
	s_and_b64 s[0:1], s[30:31], exec
	s_and_b64 s[24:25], s[28:29], exec
	;; [unrolled: 1-line block ×3, first 2 shown]
	s_or_b64 s[16:17], s[16:17], s[20:21]
	s_or_b64 exec, exec, s[18:19]
	s_mov_b64 s[18:19], 0
	s_and_saveexec_b64 s[20:21], s[16:17]
	s_cbranch_execz .LBB448_258
.LBB448_843:
	s_mov_b64 s[18:19], exec
	s_andn2_b64 s[22:23], s[22:23], exec
	s_trap 2
	s_or_b64 exec, exec, s[20:21]
	s_and_saveexec_b64 s[16:17], s[22:23]
	s_xor_b64 s[16:17], exec, s[16:17]
	s_cbranch_execnz .LBB448_259
.LBB448_844:
	s_or_b64 exec, exec, s[16:17]
	s_and_saveexec_b64 s[16:17], s[24:25]
	s_cbranch_execz .LBB448_890
.LBB448_845:
	s_sext_i32_i16 s20, s44
	s_cmp_lt_i32 s20, 5
	s_cbranch_scc1 .LBB448_850
; %bb.846:
	s_cmp_lt_i32 s20, 8
	s_cbranch_scc1 .LBB448_851
; %bb.847:
	;; [unrolled: 3-line block ×3, first 2 shown]
	s_cmp_gt_i32 s20, 9
	s_cbranch_scc0 .LBB448_853
; %bb.849:
	global_load_dwordx2 v[2:3], v[0:1], off
	s_movk_i32 s20, 0xffe0
	s_waitcnt vmcnt(0)
	v_trunc_f64_e32 v[2:3], v[2:3]
	v_ldexp_f64 v[4:5], v[2:3], s20
	v_floor_f64_e32 v[6:7], v[4:5]
	v_fmac_f64_e32 v[2:3], 0xc1f00000, v[6:7]
	v_cvt_i32_f64_e32 v5, v[6:7]
	v_cvt_u32_f64_e32 v4, v[2:3]
	s_mov_b64 s[20:21], 0
	s_branch .LBB448_854
.LBB448_850:
                                        ; implicit-def: $vgpr4_vgpr5
	s_branch .LBB448_871
.LBB448_851:
                                        ; implicit-def: $vgpr4_vgpr5
	s_branch .LBB448_860
.LBB448_852:
	s_mov_b64 s[20:21], -1
                                        ; implicit-def: $vgpr4_vgpr5
	s_branch .LBB448_857
.LBB448_853:
	s_mov_b64 s[20:21], -1
                                        ; implicit-def: $vgpr4_vgpr5
.LBB448_854:
	s_andn2_b64 vcc, exec, s[20:21]
	s_cbranch_vccnz .LBB448_856
; %bb.855:
	global_load_dword v2, v[0:1], off
	s_mov_b32 s20, 0x2f800000
	s_mov_b32 s21, 0xcf800000
	s_waitcnt vmcnt(0)
	v_trunc_f32_e32 v2, v2
	v_mul_f32_e64 v3, |v2|, s20
	v_floor_f32_e32 v3, v3
	v_cvt_u32_f32_e32 v4, v3
	v_fma_f32 v3, v3, s21, |v2|
	v_cvt_u32_f32_e32 v3, v3
	v_ashrrev_i32_e32 v2, 31, v2
	v_xor_b32_e32 v5, v4, v2
	v_xor_b32_e32 v3, v3, v2
	v_sub_co_u32_e32 v4, vcc, v3, v2
	s_nop 1
	v_subb_co_u32_e32 v5, vcc, v5, v2, vcc
.LBB448_856:
	s_mov_b64 s[20:21], 0
.LBB448_857:
	s_andn2_b64 vcc, exec, s[20:21]
	s_cbranch_vccnz .LBB448_859
; %bb.858:
	global_load_dword v2, v[0:1], off
	s_waitcnt vmcnt(0)
	v_cvt_f32_f16_e32 v2, v2
	v_cvt_i32_f32_e32 v4, v2
	v_ashrrev_i32_e32 v5, 31, v4
.LBB448_859:
	s_cbranch_execnz .LBB448_870
.LBB448_860:
	s_sext_i32_i16 s20, s44
	s_cmp_lt_i32 s20, 6
	s_cbranch_scc1 .LBB448_863
; %bb.861:
	s_cmp_gt_i32 s20, 6
	s_cbranch_scc0 .LBB448_864
; %bb.862:
	global_load_dwordx2 v[2:3], v[0:1], off
	s_movk_i32 s20, 0xffe0
	s_waitcnt vmcnt(0)
	v_trunc_f64_e32 v[2:3], v[2:3]
	v_ldexp_f64 v[4:5], v[2:3], s20
	v_floor_f64_e32 v[6:7], v[4:5]
	v_fmac_f64_e32 v[2:3], 0xc1f00000, v[6:7]
	v_cvt_i32_f64_e32 v5, v[6:7]
	v_cvt_u32_f64_e32 v4, v[2:3]
	s_mov_b64 s[20:21], 0
	s_branch .LBB448_865
.LBB448_863:
	s_mov_b64 s[20:21], -1
                                        ; implicit-def: $vgpr4_vgpr5
	s_branch .LBB448_868
.LBB448_864:
	s_mov_b64 s[20:21], -1
                                        ; implicit-def: $vgpr4_vgpr5
.LBB448_865:
	s_andn2_b64 vcc, exec, s[20:21]
	s_cbranch_vccnz .LBB448_867
; %bb.866:
	global_load_dword v2, v[0:1], off
	s_mov_b32 s20, 0x2f800000
	s_mov_b32 s21, 0xcf800000
	s_waitcnt vmcnt(0)
	v_trunc_f32_e32 v2, v2
	v_mul_f32_e64 v3, |v2|, s20
	v_floor_f32_e32 v3, v3
	v_cvt_u32_f32_e32 v4, v3
	v_fma_f32 v3, v3, s21, |v2|
	v_cvt_u32_f32_e32 v3, v3
	v_ashrrev_i32_e32 v2, 31, v2
	v_xor_b32_e32 v5, v4, v2
	v_xor_b32_e32 v3, v3, v2
	v_sub_co_u32_e32 v4, vcc, v3, v2
	s_nop 1
	v_subb_co_u32_e32 v5, vcc, v5, v2, vcc
.LBB448_867:
	s_mov_b64 s[20:21], 0
.LBB448_868:
	s_andn2_b64 vcc, exec, s[20:21]
	s_cbranch_vccnz .LBB448_870
; %bb.869:
	global_load_ushort v2, v[0:1], off
	s_waitcnt vmcnt(0)
	v_cvt_f32_f16_e32 v2, v2
	v_cvt_i32_f32_e32 v4, v2
	v_ashrrev_i32_e32 v5, 31, v4
.LBB448_870:
	s_cbranch_execnz .LBB448_889
.LBB448_871:
	s_sext_i32_i16 s20, s44
	s_cmp_lt_i32 s20, 2
	s_cbranch_scc1 .LBB448_875
; %bb.872:
	s_cmp_lt_i32 s20, 3
	s_cbranch_scc1 .LBB448_876
; %bb.873:
	s_cmp_gt_i32 s20, 3
	s_cbranch_scc0 .LBB448_877
; %bb.874:
	global_load_dwordx2 v[4:5], v[0:1], off
	s_mov_b64 s[20:21], 0
	s_branch .LBB448_878
.LBB448_875:
                                        ; implicit-def: $vgpr4_vgpr5
	s_branch .LBB448_884
.LBB448_876:
	s_mov_b64 s[20:21], -1
                                        ; implicit-def: $vgpr4_vgpr5
	s_branch .LBB448_881
.LBB448_877:
	s_mov_b64 s[20:21], -1
                                        ; implicit-def: $vgpr4_vgpr5
.LBB448_878:
	s_andn2_b64 vcc, exec, s[20:21]
	s_cbranch_vccnz .LBB448_880
; %bb.879:
	global_load_dword v4, v[0:1], off
	s_waitcnt vmcnt(0)
	v_ashrrev_i32_e32 v5, 31, v4
.LBB448_880:
	s_mov_b64 s[20:21], 0
.LBB448_881:
	s_andn2_b64 vcc, exec, s[20:21]
	s_cbranch_vccnz .LBB448_883
; %bb.882:
	global_load_ushort v2, v[0:1], off
	s_waitcnt vmcnt(0)
	v_bfe_i32 v4, v2, 0, 16
	v_ashrrev_i32_e32 v5, 31, v4
.LBB448_883:
	s_cbranch_execnz .LBB448_889
.LBB448_884:
	s_sext_i32_i16 s20, s44
	s_cmp_gt_i32 s20, 0
	s_cbranch_scc0 .LBB448_886
; %bb.885:
	global_load_sbyte v2, v[0:1], off
	s_mov_b64 s[20:21], 0
	s_waitcnt vmcnt(0)
	v_bfe_i32 v4, v2, 0, 16
	v_ashrrev_i32_e32 v5, 31, v4
	s_branch .LBB448_887
.LBB448_886:
	s_mov_b64 s[20:21], -1
                                        ; implicit-def: $vgpr4_vgpr5
.LBB448_887:
	s_andn2_b64 vcc, exec, s[20:21]
	s_cbranch_vccnz .LBB448_889
; %bb.888:
	global_load_ubyte v0, v[0:1], off
	s_mov_b32 s20, 0
	s_waitcnt vmcnt(1)
	v_mov_b32_e32 v5, s20
	s_waitcnt vmcnt(0)
	v_and_b32_e32 v4, 0xffff, v0
.LBB448_889:
	s_or_b64 s[0:1], s[0:1], exec
.LBB448_890:
	s_or_b64 exec, exec, s[16:17]
	s_mov_b64 s[22:23], 0
	s_mov_b64 s[20:21], 0
                                        ; implicit-def: $sgpr28
                                        ; implicit-def: $vgpr2_vgpr3
                                        ; implicit-def: $vgpr0_vgpr1
	s_and_saveexec_b64 s[16:17], s[0:1]
	s_cbranch_execz .LBB448_898
; %bb.891:
	v_mov_b32_e32 v0, s11
	s_waitcnt vmcnt(0)
	v_cmp_gt_i64_e32 vcc, s[10:11], v[4:5]
	v_mul_lo_u32 v2, v10, s8
	v_ashrrev_i32_e32 v3, 31, v2
	v_cndmask_b32_e32 v1, v0, v5, vcc
	v_mov_b32_e32 v0, s10
	s_and_b32 s28, s33, 0xff
	v_cndmask_b32_e32 v0, v0, v4, vcc
	s_cmp_lt_i32 s28, 11
	v_lshl_add_u64 v[2:3], s[4:5], 0, v[2:3]
	s_cbranch_scc1 .LBB448_901
; %bb.892:
	s_and_b32 s29, 0xffff, s28
	s_mov_b64 s[22:23], -1
	s_cmp_gt_i32 s29, 25
	s_mov_b64 s[0:1], s[14:15]
	s_cbranch_scc0 .LBB448_929
; %bb.893:
	s_mov_b64 s[20:21], -1
	s_cmp_gt_i32 s29, 28
	s_mov_b64 s[0:1], s[14:15]
	s_cbranch_scc0 .LBB448_913
; %bb.894:
	s_cmp_gt_i32 s29, 43
	s_mov_b64 s[0:1], s[14:15]
	s_cbranch_scc0 .LBB448_909
; %bb.895:
	;; [unrolled: 4-line block ×3, first 2 shown]
	s_cmp_eq_u32 s29, 46
	s_mov_b64 s[0:1], -1
	s_cbranch_scc0 .LBB448_902
; %bb.897:
	v_xor_b32_e32 v5, v0, v1
	v_ffbh_i32_e32 v4, v1
	v_ashrrev_i32_e32 v5, 31, v5
	v_add_u32_e32 v4, -1, v4
	v_add_u32_e32 v5, 32, v5
	v_min_u32_e32 v6, v4, v5
	v_lshlrev_b64 v[4:5], v6, v[0:1]
	v_min_u32_e32 v4, 1, v4
	v_or_b32_e32 v4, v5, v4
	v_cvt_f32_i32_e32 v4, v4
	v_sub_u32_e32 v5, 32, v6
	s_movk_i32 s0, 0x7fff
	s_mov_b64 s[20:21], 0
	v_ldexp_f32 v4, v4, v5
	v_bfe_u32 v5, v4, 16, 1
	v_add3_u32 v4, v4, v5, s0
	v_lshrrev_b32_e32 v4, 16, v4
	global_store_dword v[2:3], v4, off
	s_mov_b64 s[0:1], 0
	s_branch .LBB448_903
.LBB448_898:
	s_or_b64 exec, exec, s[16:17]
	s_and_saveexec_b64 s[0:1], s[14:15]
	s_cbranch_execnz .LBB448_971
.LBB448_899:
	s_or_b64 exec, exec, s[0:1]
	s_and_saveexec_b64 s[0:1], s[22:23]
	s_xor_b64 s[0:1], exec, s[0:1]
	s_cbranch_execz .LBB448_972
.LBB448_900:
	v_cmp_ne_u64_e32 vcc, 0, v[0:1]
	s_waitcnt vmcnt(0)
	s_nop 0
	v_cndmask_b32_e64 v4, 0, 1, vcc
	global_store_byte v[2:3], v4, off
	s_or_b64 exec, exec, s[0:1]
	s_and_saveexec_b64 s[0:1], s[20:21]
	s_xor_b64 s[0:1], exec, s[0:1]
	s_cbranch_execz .LBB448_1010
	s_branch .LBB448_973
.LBB448_901:
	s_mov_b64 s[20:21], -1
	s_mov_b64 s[0:1], s[14:15]
	s_branch .LBB448_970
.LBB448_902:
	s_mov_b64 s[20:21], 0
.LBB448_903:
	s_and_b64 vcc, exec, s[20:21]
	s_cbranch_vccz .LBB448_908
; %bb.904:
	s_cmp_eq_u32 s29, 44
	s_mov_b64 s[0:1], -1
	s_cbranch_scc0 .LBB448_908
; %bb.905:
	v_xor_b32_e32 v5, v0, v1
	v_ffbh_i32_e32 v4, v1
	v_ashrrev_i32_e32 v5, 31, v5
	v_add_u32_e32 v4, -1, v4
	v_add_u32_e32 v5, 32, v5
	v_min_u32_e32 v6, v4, v5
	v_lshlrev_b64 v[4:5], v6, v[0:1]
	v_min_u32_e32 v4, 1, v4
	v_or_b32_e32 v4, v5, v4
	v_cvt_f32_i32_e32 v4, v4
	v_sub_u32_e32 v5, 32, v6
	s_movk_i32 s0, 0xff
	v_mov_b32_e32 v6, 0xff
	v_ldexp_f32 v4, v4, v5
	v_bfe_u32 v5, v4, 23, 8
	v_cmp_ne_u32_e32 vcc, s0, v5
	s_and_saveexec_b64 s[20:21], vcc
; %bb.906:
	s_mov_b32 s0, 0x3fffff
	v_lshrrev_b32_e32 v6, 23, v4
	v_and_b32_e32 v7, 0x400000, v4
	v_and_or_b32 v4, v4, s0, v5
	v_cmp_ne_u32_e32 vcc, 0, v7
	v_cmp_ne_u32_e64 s[0:1], 0, v4
	s_and_b64 s[0:1], vcc, s[0:1]
	s_nop 0
	v_cndmask_b32_e64 v4, 0, 1, s[0:1]
	v_add_u32_e32 v6, v6, v4
; %bb.907:
	s_or_b64 exec, exec, s[20:21]
	s_mov_b64 s[0:1], 0
	global_store_byte v[2:3], v6, off
.LBB448_908:
	s_mov_b64 s[20:21], 0
.LBB448_909:
	s_and_b64 vcc, exec, s[20:21]
	s_cbranch_vccz .LBB448_912
; %bb.910:
	s_cmp_eq_u32 s29, 29
	s_mov_b64 s[0:1], -1
	s_cbranch_scc0 .LBB448_912
; %bb.911:
	global_store_dwordx2 v[2:3], v[0:1], off
	s_mov_b64 s[0:1], 0
.LBB448_912:
	s_mov_b64 s[20:21], 0
.LBB448_913:
	s_and_b64 vcc, exec, s[20:21]
	s_cbranch_vccz .LBB448_928
; %bb.914:
	s_cmp_lt_i32 s29, 27
	s_mov_b64 s[20:21], -1
	s_cbranch_scc1 .LBB448_920
; %bb.915:
	s_cmp_gt_i32 s29, 27
	s_cbranch_scc0 .LBB448_917
; %bb.916:
	s_mov_b64 s[20:21], 0
	global_store_dword v[2:3], v0, off
.LBB448_917:
	s_andn2_b64 vcc, exec, s[20:21]
	s_cbranch_vccnz .LBB448_919
; %bb.918:
	global_store_short v[2:3], v0, off
.LBB448_919:
	s_mov_b64 s[20:21], 0
.LBB448_920:
	s_andn2_b64 vcc, exec, s[20:21]
	s_cbranch_vccnz .LBB448_928
; %bb.921:
	v_xor_b32_e32 v5, v0, v1
	v_ffbh_i32_e32 v4, v1
	v_ashrrev_i32_e32 v5, 31, v5
	v_add_u32_e32 v4, -1, v4
	v_add_u32_e32 v5, 32, v5
	v_min_u32_e32 v6, v4, v5
	v_lshlrev_b64 v[4:5], v6, v[0:1]
	v_min_u32_e32 v4, 1, v4
	v_or_b32_e32 v4, v5, v4
	v_cvt_f32_i32_e32 v4, v4
	v_sub_u32_e32 v5, 32, v6
	s_mov_b32 s20, 0x43800000
	v_mov_b32_e32 v6, 0x80
	v_ldexp_f32 v4, v4, v5
	v_and_b32_e32 v5, 0x7fffffff, v4
	v_cmp_gt_u32_e32 vcc, s20, v5
	s_and_saveexec_b64 s[20:21], vcc
	s_cbranch_execz .LBB448_927
; %bb.922:
	s_mov_b32 s22, 0x3bffffff
	v_cmp_lt_u32_e32 vcc, s22, v5
	s_mov_b64 s[22:23], 0
                                        ; implicit-def: $vgpr5
	s_and_saveexec_b64 s[24:25], vcc
	s_xor_b64 s[24:25], exec, s[24:25]
	s_cbranch_execz .LBB448_1025
; %bb.923:
	v_bfe_u32 v5, v4, 20, 1
	s_mov_b32 s26, 0x487ffff
	v_add3_u32 v5, v4, v5, s26
	s_mov_b64 s[22:23], exec
	v_lshrrev_b32_e32 v5, 20, v5
	s_andn2_saveexec_b64 s[24:25], s[24:25]
	s_cbranch_execnz .LBB448_1026
.LBB448_924:
	s_or_b64 exec, exec, s[24:25]
	v_mov_b32_e32 v6, 0
	s_and_saveexec_b64 s[24:25], s[22:23]
.LBB448_925:
	v_lshrrev_b32_e32 v4, 24, v4
	s_movk_i32 s22, 0x80
	v_and_or_b32 v6, v4, s22, v5
.LBB448_926:
	s_or_b64 exec, exec, s[24:25]
.LBB448_927:
	s_or_b64 exec, exec, s[20:21]
	global_store_byte v[2:3], v6, off
.LBB448_928:
	s_mov_b64 s[22:23], 0
.LBB448_929:
	s_mov_b64 s[20:21], 0
	s_and_b64 vcc, exec, s[22:23]
	s_cbranch_vccz .LBB448_969
; %bb.930:
	s_cmp_gt_i32 s29, 22
	s_mov_b64 s[22:23], -1
	s_cbranch_scc0 .LBB448_962
; %bb.931:
	s_cmp_lt_i32 s29, 24
	s_cbranch_scc1 .LBB448_951
; %bb.932:
	s_cmp_gt_i32 s29, 24
	s_cbranch_scc0 .LBB448_940
; %bb.933:
	v_xor_b32_e32 v5, v0, v1
	v_ffbh_i32_e32 v4, v1
	v_ashrrev_i32_e32 v5, 31, v5
	v_add_u32_e32 v4, -1, v4
	v_add_u32_e32 v5, 32, v5
	v_min_u32_e32 v6, v4, v5
	v_lshlrev_b64 v[4:5], v6, v[0:1]
	v_min_u32_e32 v4, 1, v4
	v_or_b32_e32 v4, v5, v4
	v_cvt_f32_i32_e32 v4, v4
	v_sub_u32_e32 v5, 32, v6
	s_mov_b32 s22, 0x47800000
	v_mov_b32_e32 v6, 0x80
	v_ldexp_f32 v4, v4, v5
	v_and_b32_e32 v5, 0x7fffffff, v4
	v_cmp_gt_u32_e32 vcc, s22, v5
	s_and_saveexec_b64 s[22:23], vcc
	s_cbranch_execz .LBB448_939
; %bb.934:
	s_mov_b32 s24, 0x37ffffff
	v_cmp_lt_u32_e32 vcc, s24, v5
	s_mov_b64 s[24:25], 0
                                        ; implicit-def: $vgpr5
	s_and_saveexec_b64 s[26:27], vcc
	s_xor_b64 s[26:27], exec, s[26:27]
	s_cbranch_execz .LBB448_1145
; %bb.935:
	v_bfe_u32 v5, v4, 21, 1
	s_mov_b32 s30, 0x88fffff
	v_add3_u32 v5, v4, v5, s30
	s_mov_b64 s[24:25], exec
	v_lshrrev_b32_e32 v5, 21, v5
	s_andn2_saveexec_b64 s[26:27], s[26:27]
	s_cbranch_execnz .LBB448_1146
.LBB448_936:
	s_or_b64 exec, exec, s[26:27]
	v_mov_b32_e32 v6, 0
	s_and_saveexec_b64 s[26:27], s[24:25]
.LBB448_937:
	v_lshrrev_b32_e32 v4, 24, v4
	s_movk_i32 s24, 0x80
	v_and_or_b32 v6, v4, s24, v5
.LBB448_938:
	s_or_b64 exec, exec, s[26:27]
.LBB448_939:
	s_or_b64 exec, exec, s[22:23]
	s_mov_b64 s[22:23], 0
	global_store_byte v[2:3], v6, off
.LBB448_940:
	s_and_b64 vcc, exec, s[22:23]
	s_cbranch_vccz .LBB448_950
; %bb.941:
	v_xor_b32_e32 v5, v0, v1
	v_ffbh_i32_e32 v4, v1
	v_ashrrev_i32_e32 v5, 31, v5
	v_add_u32_e32 v4, -1, v4
	v_add_u32_e32 v5, 32, v5
	v_min_u32_e32 v6, v4, v5
	v_lshlrev_b64 v[4:5], v6, v[0:1]
	v_min_u32_e32 v4, 1, v4
	v_or_b32_e32 v4, v5, v4
	v_cvt_f32_i32_e32 v4, v4
	v_sub_u32_e32 v5, 32, v6
	s_mov_b32 s22, 0x43f00000
	v_ldexp_f32 v4, v4, v5
	v_and_b32_e32 v6, 0x7fffffff, v4
	v_cmp_gt_u32_e32 vcc, s22, v6
                                        ; implicit-def: $vgpr5
	s_and_saveexec_b64 s[22:23], vcc
	s_xor_b64 s[22:23], exec, s[22:23]
	s_cbranch_execz .LBB448_947
; %bb.942:
	s_mov_b32 s24, 0x3c7fffff
	v_cmp_lt_u32_e32 vcc, s24, v6
                                        ; implicit-def: $vgpr5
	s_and_saveexec_b64 s[24:25], vcc
	s_xor_b64 s[24:25], exec, s[24:25]
; %bb.943:
	v_bfe_u32 v5, v4, 20, 1
	s_mov_b32 s26, 0x407ffff
	v_add3_u32 v5, v4, v5, s26
	v_lshrrev_b32_e32 v6, 20, v5
	v_and_b32_e32 v5, 0xff00000, v5
	s_mov_b32 s26, 0x7f00000
	v_mov_b32_e32 v7, 0x7e
	v_cmp_ne_u32_e32 vcc, s26, v5
	s_nop 1
	v_cndmask_b32_e32 v5, v7, v6, vcc
; %bb.944:
	s_andn2_saveexec_b64 s[24:25], s[24:25]
; %bb.945:
	s_mov_b32 s26, 0x46800000
	v_add_f32_e64 v5, |v4|, s26
; %bb.946:
	s_or_b64 exec, exec, s[24:25]
                                        ; implicit-def: $vgpr6
.LBB448_947:
	s_andn2_saveexec_b64 s[22:23], s[22:23]
; %bb.948:
	s_mov_b32 s24, 0x7f800000
	v_mov_b32_e32 v5, 0x7e
	v_mov_b32_e32 v7, 0x7f
	v_cmp_lt_u32_e32 vcc, s24, v6
	s_nop 1
	v_cndmask_b32_e32 v5, v5, v7, vcc
; %bb.949:
	s_or_b64 exec, exec, s[22:23]
	v_lshrrev_b32_e32 v4, 24, v4
	s_movk_i32 s22, 0x80
	v_and_or_b32 v4, v4, s22, v5
	global_store_byte v[2:3], v4, off
.LBB448_950:
	s_mov_b64 s[22:23], 0
.LBB448_951:
	s_andn2_b64 vcc, exec, s[22:23]
	s_cbranch_vccnz .LBB448_961
; %bb.952:
	v_xor_b32_e32 v5, v0, v1
	v_ffbh_i32_e32 v4, v1
	v_ashrrev_i32_e32 v5, 31, v5
	v_add_u32_e32 v4, -1, v4
	v_add_u32_e32 v5, 32, v5
	v_min_u32_e32 v6, v4, v5
	v_lshlrev_b64 v[4:5], v6, v[0:1]
	v_min_u32_e32 v4, 1, v4
	v_or_b32_e32 v4, v5, v4
	v_cvt_f32_i32_e32 v4, v4
	v_sub_u32_e32 v5, 32, v6
	s_mov_b32 s22, 0x47800000
	v_ldexp_f32 v4, v4, v5
	v_and_b32_e32 v6, 0x7fffffff, v4
	v_cmp_gt_u32_e32 vcc, s22, v6
                                        ; implicit-def: $vgpr5
	s_and_saveexec_b64 s[22:23], vcc
	s_xor_b64 s[22:23], exec, s[22:23]
	s_cbranch_execz .LBB448_958
; %bb.953:
	s_mov_b32 s24, 0x387fffff
	v_cmp_lt_u32_e32 vcc, s24, v6
                                        ; implicit-def: $vgpr5
	s_and_saveexec_b64 s[24:25], vcc
	s_xor_b64 s[24:25], exec, s[24:25]
; %bb.954:
	v_bfe_u32 v5, v4, 21, 1
	s_mov_b32 s26, 0x80fffff
	v_add3_u32 v5, v4, v5, s26
	v_lshrrev_b32_e32 v5, 21, v5
; %bb.955:
	s_andn2_saveexec_b64 s[24:25], s[24:25]
; %bb.956:
	s_mov_b32 s26, 0x43000000
	v_add_f32_e64 v5, |v4|, s26
; %bb.957:
	s_or_b64 exec, exec, s[24:25]
                                        ; implicit-def: $vgpr6
.LBB448_958:
	s_andn2_saveexec_b64 s[22:23], s[22:23]
; %bb.959:
	s_mov_b32 s24, 0x7f800000
	v_mov_b32_e32 v5, 0x7c
	v_mov_b32_e32 v7, 0x7f
	v_cmp_lt_u32_e32 vcc, s24, v6
	s_nop 1
	v_cndmask_b32_e32 v5, v5, v7, vcc
; %bb.960:
	s_or_b64 exec, exec, s[22:23]
	v_lshrrev_b32_e32 v4, 24, v4
	s_movk_i32 s22, 0x80
	v_and_or_b32 v4, v4, s22, v5
	global_store_byte v[2:3], v4, off
.LBB448_961:
	s_mov_b64 s[22:23], 0
.LBB448_962:
	s_andn2_b64 vcc, exec, s[22:23]
	s_mov_b64 s[22:23], 0
	s_cbranch_vccnz .LBB448_970
; %bb.963:
	s_cmp_gt_i32 s29, 14
	s_mov_b64 s[24:25], -1
	s_cbranch_scc0 .LBB448_967
; %bb.964:
	s_cmp_eq_u32 s29, 15
	s_mov_b64 s[0:1], -1
	s_cbranch_scc0 .LBB448_966
; %bb.965:
	v_xor_b32_e32 v5, v0, v1
	v_ffbh_i32_e32 v4, v1
	v_ashrrev_i32_e32 v5, 31, v5
	v_add_u32_e32 v4, -1, v4
	v_add_u32_e32 v5, 32, v5
	v_min_u32_e32 v6, v4, v5
	v_lshlrev_b64 v[4:5], v6, v[0:1]
	v_min_u32_e32 v4, 1, v4
	v_or_b32_e32 v4, v5, v4
	v_cvt_f32_i32_e32 v4, v4
	v_sub_u32_e32 v5, 32, v6
	s_movk_i32 s0, 0x7fff
	v_ldexp_f32 v4, v4, v5
	v_bfe_u32 v5, v4, 16, 1
	v_add3_u32 v4, v4, v5, s0
	global_store_short_d16_hi v[2:3], v4, off
	s_mov_b64 s[0:1], 0
.LBB448_966:
	s_mov_b64 s[24:25], 0
.LBB448_967:
	s_and_b64 vcc, exec, s[24:25]
	s_cbranch_vccz .LBB448_970
; %bb.968:
	s_cmp_lg_u32 s29, 11
	s_cselect_b64 s[24:25], -1, 0
	s_andn2_b64 s[0:1], s[0:1], exec
	s_and_b64 s[24:25], s[24:25], exec
	s_mov_b64 s[22:23], -1
	s_or_b64 s[0:1], s[0:1], s[24:25]
	s_branch .LBB448_970
.LBB448_969:
	s_mov_b64 s[22:23], 0
.LBB448_970:
	s_andn2_b64 s[14:15], s[14:15], exec
	s_and_b64 s[0:1], s[0:1], exec
	s_and_b64 s[20:21], s[20:21], exec
	;; [unrolled: 1-line block ×3, first 2 shown]
	s_or_b64 s[14:15], s[14:15], s[0:1]
	s_or_b64 exec, exec, s[16:17]
	s_and_saveexec_b64 s[0:1], s[14:15]
	s_cbranch_execz .LBB448_899
.LBB448_971:
	s_or_b64 s[18:19], s[18:19], exec
	s_andn2_b64 s[22:23], s[22:23], exec
	s_trap 2
	s_or_b64 exec, exec, s[0:1]
	s_and_saveexec_b64 s[0:1], s[22:23]
	s_xor_b64 s[0:1], exec, s[0:1]
	s_cbranch_execnz .LBB448_900
.LBB448_972:
	s_or_b64 exec, exec, s[0:1]
	s_and_saveexec_b64 s[0:1], s[20:21]
	s_xor_b64 s[0:1], exec, s[0:1]
	s_cbranch_execz .LBB448_1010
.LBB448_973:
	s_sext_i32_i16 s16, s28
	s_cmp_lt_i32 s16, 5
	s_mov_b64 s[14:15], -1
	s_cbranch_scc1 .LBB448_994
; %bb.974:
	s_cmp_lt_i32 s16, 8
	s_cbranch_scc1 .LBB448_984
; %bb.975:
	s_cmp_lt_i32 s16, 9
	s_cbranch_scc1 .LBB448_981
; %bb.976:
	s_cmp_gt_i32 s16, 9
	s_cbranch_scc0 .LBB448_978
; %bb.977:
	s_waitcnt vmcnt(0)
	v_cvt_f64_i32_e32 v[4:5], v1
	v_ldexp_f64 v[4:5], v[4:5], 32
	v_cvt_f64_u32_e32 v[6:7], v0
	v_add_f64 v[4:5], v[4:5], v[6:7]
	v_mov_b32_e32 v6, 0
	v_mov_b32_e32 v7, v6
	s_mov_b64 s[14:15], 0
	global_store_dwordx4 v[2:3], v[4:7], off
.LBB448_978:
	s_andn2_b64 vcc, exec, s[14:15]
	s_cbranch_vccnz .LBB448_980
; %bb.979:
	s_waitcnt vmcnt(0)
	v_xor_b32_e32 v5, v0, v1
	v_ffbh_i32_e32 v4, v1
	v_ashrrev_i32_e32 v5, 31, v5
	v_add_u32_e32 v4, -1, v4
	v_add_u32_e32 v5, 32, v5
	v_min_u32_e32 v6, v4, v5
	v_lshlrev_b64 v[4:5], v6, v[0:1]
	v_min_u32_e32 v4, 1, v4
	v_or_b32_e32 v4, v5, v4
	v_cvt_f32_i32_e32 v4, v4
	v_sub_u32_e32 v5, 32, v6
	v_ldexp_f32 v4, v4, v5
	v_mov_b32_e32 v5, 0
	global_store_dwordx2 v[2:3], v[4:5], off
.LBB448_980:
	s_mov_b64 s[14:15], 0
.LBB448_981:
	s_andn2_b64 vcc, exec, s[14:15]
	s_cbranch_vccnz .LBB448_983
; %bb.982:
	s_waitcnt vmcnt(0)
	v_xor_b32_e32 v5, v0, v1
	v_ffbh_i32_e32 v4, v1
	v_ashrrev_i32_e32 v5, 31, v5
	v_add_u32_e32 v4, -1, v4
	v_add_u32_e32 v5, 32, v5
	v_min_u32_e32 v6, v4, v5
	v_lshlrev_b64 v[4:5], v6, v[0:1]
	v_min_u32_e32 v4, 1, v4
	v_or_b32_e32 v4, v5, v4
	v_cvt_f32_i32_e32 v4, v4
	v_sub_u32_e32 v5, 32, v6
	v_ldexp_f32 v4, v4, v5
	v_cvt_f16_f32_e32 v4, v4
	global_store_dword v[2:3], v4, off
.LBB448_983:
	s_mov_b64 s[14:15], 0
.LBB448_984:
	s_andn2_b64 vcc, exec, s[14:15]
	s_cbranch_vccnz .LBB448_993
; %bb.985:
	s_sext_i32_i16 s16, s28
	s_cmp_lt_i32 s16, 6
	s_mov_b64 s[14:15], -1
	s_cbranch_scc1 .LBB448_991
; %bb.986:
	s_cmp_gt_i32 s16, 6
	s_cbranch_scc0 .LBB448_988
; %bb.987:
	s_waitcnt vmcnt(0)
	v_cvt_f64_i32_e32 v[4:5], v1
	v_ldexp_f64 v[4:5], v[4:5], 32
	v_cvt_f64_u32_e32 v[6:7], v0
	v_add_f64 v[4:5], v[4:5], v[6:7]
	s_mov_b64 s[14:15], 0
	global_store_dwordx2 v[2:3], v[4:5], off
.LBB448_988:
	s_andn2_b64 vcc, exec, s[14:15]
	s_cbranch_vccnz .LBB448_990
; %bb.989:
	s_waitcnt vmcnt(0)
	v_xor_b32_e32 v5, v0, v1
	v_ffbh_i32_e32 v4, v1
	v_ashrrev_i32_e32 v5, 31, v5
	v_add_u32_e32 v4, -1, v4
	v_add_u32_e32 v5, 32, v5
	v_min_u32_e32 v6, v4, v5
	v_lshlrev_b64 v[4:5], v6, v[0:1]
	v_min_u32_e32 v4, 1, v4
	v_or_b32_e32 v4, v5, v4
	v_cvt_f32_i32_e32 v4, v4
	v_sub_u32_e32 v5, 32, v6
	v_ldexp_f32 v4, v4, v5
	global_store_dword v[2:3], v4, off
.LBB448_990:
	s_mov_b64 s[14:15], 0
.LBB448_991:
	s_andn2_b64 vcc, exec, s[14:15]
	s_cbranch_vccnz .LBB448_993
; %bb.992:
	s_waitcnt vmcnt(0)
	v_xor_b32_e32 v5, v0, v1
	v_ffbh_i32_e32 v4, v1
	v_ashrrev_i32_e32 v5, 31, v5
	v_add_u32_e32 v4, -1, v4
	v_add_u32_e32 v5, 32, v5
	v_min_u32_e32 v6, v4, v5
	v_lshlrev_b64 v[4:5], v6, v[0:1]
	v_min_u32_e32 v4, 1, v4
	v_or_b32_e32 v4, v5, v4
	v_cvt_f32_i32_e32 v4, v4
	v_sub_u32_e32 v5, 32, v6
	v_ldexp_f32 v4, v4, v5
	v_cvt_f16_f32_e32 v4, v4
	global_store_short v[2:3], v4, off
.LBB448_993:
	s_mov_b64 s[14:15], 0
.LBB448_994:
	s_andn2_b64 vcc, exec, s[14:15]
	s_cbranch_vccnz .LBB448_1010
; %bb.995:
	s_sext_i32_i16 s16, s28
	s_cmp_lt_i32 s16, 2
	s_mov_b64 s[14:15], -1
	s_cbranch_scc1 .LBB448_1005
; %bb.996:
	s_cmp_lt_i32 s16, 3
	s_cbranch_scc1 .LBB448_1002
; %bb.997:
	s_cmp_gt_i32 s16, 3
	s_cbranch_scc0 .LBB448_999
; %bb.998:
	s_mov_b64 s[14:15], 0
	s_waitcnt vmcnt(0)
	global_store_dwordx2 v[2:3], v[0:1], off
.LBB448_999:
	s_andn2_b64 vcc, exec, s[14:15]
	s_cbranch_vccnz .LBB448_1001
; %bb.1000:
	s_waitcnt vmcnt(0)
	global_store_dword v[2:3], v0, off
.LBB448_1001:
	s_mov_b64 s[14:15], 0
.LBB448_1002:
	s_andn2_b64 vcc, exec, s[14:15]
	s_cbranch_vccnz .LBB448_1004
; %bb.1003:
	s_waitcnt vmcnt(0)
	global_store_short v[2:3], v0, off
.LBB448_1004:
	s_mov_b64 s[14:15], 0
.LBB448_1005:
	s_andn2_b64 vcc, exec, s[14:15]
	s_cbranch_vccnz .LBB448_1010
; %bb.1006:
	s_sext_i32_i16 s14, s28
	s_cmp_gt_i32 s14, 0
	s_mov_b64 s[14:15], -1
	s_cbranch_scc0 .LBB448_1008
; %bb.1007:
	s_mov_b64 s[14:15], 0
	s_waitcnt vmcnt(0)
	global_store_byte v[2:3], v0, off
.LBB448_1008:
	s_andn2_b64 vcc, exec, s[14:15]
	s_cbranch_vccnz .LBB448_1010
; %bb.1009:
	s_waitcnt vmcnt(0)
	global_store_byte v[2:3], v0, off
.LBB448_1010:
	s_or_b64 exec, exec, s[0:1]
	s_and_b64 s[14:15], s[18:19], exec
                                        ; implicit-def: $vgpr10
.LBB448_1011:
	s_or_saveexec_b64 s[12:13], s[12:13]
	s_mov_b64 s[0:1], 0
                                        ; implicit-def: $sgpr22
                                        ; implicit-def: $vgpr2_vgpr3
                                        ; implicit-def: $vgpr0_vgpr1
	s_xor_b64 exec, exec, s[12:13]
	s_cbranch_execz .LBB448_1942
; %bb.1012:
	s_waitcnt vmcnt(0)
	v_mul_lo_u32 v2, s9, v10
	v_ashrrev_i32_e32 v3, 31, v2
	s_and_b32 s22, 0xffff, s44
	s_cmp_lt_i32 s22, 11
	v_lshl_add_u64 v[4:5], s[6:7], 0, v[2:3]
	s_cbranch_scc1 .LBB448_1019
; %bb.1013:
	s_cmp_gt_i32 s22, 25
	s_cbranch_scc0 .LBB448_1021
; %bb.1014:
	s_cmp_gt_i32 s22, 28
	s_cbranch_scc0 .LBB448_1022
	;; [unrolled: 3-line block ×4, first 2 shown]
; %bb.1017:
	s_cmp_eq_u32 s22, 46
	s_mov_b64 s[16:17], 0
	s_cbranch_scc0 .LBB448_1027
; %bb.1018:
	global_load_dword v0, v[4:5], off
	s_mov_b32 s0, 0x2f800000
	s_mov_b32 s1, 0xcf800000
	s_mov_b64 s[18:19], -1
	s_waitcnt vmcnt(0)
	v_lshlrev_b32_e32 v0, 16, v0
	v_trunc_f32_e32 v0, v0
	v_mul_f32_e64 v1, |v0|, s0
	v_floor_f32_e32 v1, v1
	v_fma_f32 v3, v1, s1, |v0|
	v_cvt_u32_f32_e32 v3, v3
	v_cvt_u32_f32_e32 v1, v1
	v_ashrrev_i32_e32 v6, 31, v0
	s_mov_b64 s[0:1], 0
	v_xor_b32_e32 v0, v3, v6
	v_xor_b32_e32 v1, v1, v6
	v_sub_co_u32_e32 v0, vcc, v0, v6
	s_nop 1
	v_subb_co_u32_e32 v1, vcc, v1, v6, vcc
	s_branch .LBB448_1028
.LBB448_1019:
	s_mov_b64 s[18:19], 0
                                        ; implicit-def: $vgpr0_vgpr1
	s_mov_b64 s[16:17], s[14:15]
	s_cbranch_execnz .LBB448_1086
.LBB448_1020:
	s_andn2_b64 vcc, exec, s[18:19]
	s_cbranch_vccz .LBB448_1131
	s_branch .LBB448_1940
.LBB448_1021:
	s_mov_b64 s[18:19], 0
                                        ; implicit-def: $vgpr0_vgpr1
	s_cbranch_execnz .LBB448_1053
	s_branch .LBB448_1082
.LBB448_1022:
	s_mov_b64 s[18:19], 0
                                        ; implicit-def: $vgpr0_vgpr1
	s_cbranch_execz .LBB448_1052
	s_branch .LBB448_1037
.LBB448_1023:
	s_mov_b64 s[18:19], 0
                                        ; implicit-def: $vgpr0_vgpr1
	s_cbranch_execnz .LBB448_1033
	s_branch .LBB448_1036
.LBB448_1024:
	s_mov_b64 s[16:17], -1
	s_mov_b64 s[18:19], 0
                                        ; implicit-def: $vgpr0_vgpr1
	s_branch .LBB448_1028
.LBB448_1025:
	s_andn2_saveexec_b64 s[24:25], s[24:25]
	s_cbranch_execz .LBB448_924
.LBB448_1026:
	s_mov_b32 s26, 0x46000000
	v_add_f32_e64 v5, |v4|, s26
	v_and_b32_e32 v5, 0xff, v5
	v_cmp_ne_u32_e32 vcc, 0, v5
	s_andn2_b64 s[22:23], s[22:23], exec
	s_and_b64 s[26:27], vcc, exec
	s_or_b64 s[22:23], s[22:23], s[26:27]
	s_or_b64 exec, exec, s[24:25]
	v_mov_b32_e32 v6, 0
	s_and_saveexec_b64 s[24:25], s[22:23]
	s_cbranch_execnz .LBB448_925
	s_branch .LBB448_926
.LBB448_1027:
	s_mov_b64 s[0:1], -1
                                        ; implicit-def: $vgpr0_vgpr1
	s_mov_b64 s[18:19], 0
.LBB448_1028:
	s_and_b64 vcc, exec, s[16:17]
	s_cbranch_vccz .LBB448_1031
; %bb.1029:
	s_cmp_eq_u32 s22, 44
	s_cbranch_scc0 .LBB448_1032
; %bb.1030:
	global_load_ubyte v0, v[4:5], off
	s_mov_b32 s0, 0x2f800000
	s_mov_b32 s1, 0xcf800000
	s_mov_b64 s[18:19], -1
	s_waitcnt vmcnt(0)
	v_lshlrev_b32_e32 v1, 23, v0
	v_trunc_f32_e32 v1, v1
	v_mul_f32_e64 v3, |v1|, s0
	v_floor_f32_e32 v3, v3
	v_fma_f32 v6, v3, s1, |v1|
	v_cvt_u32_f32_e32 v6, v6
	v_cvt_u32_f32_e32 v3, v3
	v_ashrrev_i32_e32 v1, 31, v1
	s_mov_b64 s[0:1], 0
	v_xor_b32_e32 v6, v6, v1
	v_xor_b32_e32 v3, v3, v1
	v_sub_co_u32_e32 v6, vcc, v6, v1
	s_nop 1
	v_subb_co_u32_e32 v1, vcc, v3, v1, vcc
	v_cmp_ne_u32_e32 vcc, 0, v0
	s_nop 1
	v_cndmask_b32_e32 v1, 0, v1, vcc
	v_cndmask_b32_e32 v0, 0, v6, vcc
.LBB448_1031:
	s_branch .LBB448_1036
.LBB448_1032:
	s_mov_b64 s[0:1], -1
                                        ; implicit-def: $vgpr0_vgpr1
	s_branch .LBB448_1036
.LBB448_1033:
	s_cmp_eq_u32 s22, 29
	s_cbranch_scc0 .LBB448_1035
; %bb.1034:
	global_load_dwordx2 v[0:1], v[4:5], off
	s_mov_b64 s[0:1], 0
	s_mov_b64 s[18:19], -1
	s_branch .LBB448_1036
.LBB448_1035:
	s_mov_b64 s[0:1], -1
                                        ; implicit-def: $vgpr0_vgpr1
.LBB448_1036:
	s_branch .LBB448_1052
.LBB448_1037:
	s_cmp_lt_i32 s22, 27
	s_cbranch_scc1 .LBB448_1040
; %bb.1038:
	s_cmp_gt_i32 s22, 27
	s_cbranch_scc0 .LBB448_1041
; %bb.1039:
	global_load_dword v0, v[4:5], off
	s_waitcnt vmcnt(1)
	v_mov_b32_e32 v1, 0
	s_mov_b64 s[16:17], 0
	s_branch .LBB448_1042
.LBB448_1040:
	s_mov_b64 s[16:17], -1
                                        ; implicit-def: $vgpr0_vgpr1
	s_branch .LBB448_1045
.LBB448_1041:
	s_mov_b64 s[16:17], -1
                                        ; implicit-def: $vgpr0_vgpr1
.LBB448_1042:
	s_andn2_b64 vcc, exec, s[16:17]
	s_cbranch_vccnz .LBB448_1044
; %bb.1043:
	global_load_ushort v0, v[4:5], off
	s_mov_b32 s16, 0
	s_waitcnt vmcnt(1)
	v_mov_b32_e32 v1, s16
	s_waitcnt vmcnt(0)
	v_and_b32_e32 v0, 0xffff, v0
.LBB448_1044:
	s_mov_b64 s[16:17], 0
.LBB448_1045:
	s_andn2_b64 vcc, exec, s[16:17]
	s_cbranch_vccnz .LBB448_1051
; %bb.1046:
	global_load_ubyte v3, v[4:5], off
	s_movk_i32 s16, 0x7f
	s_mov_b64 s[18:19], 0
	s_waitcnt vmcnt(0)
	v_cmp_lt_i16_e32 vcc, s16, v3
	s_and_saveexec_b64 s[16:17], vcc
	s_xor_b64 s[16:17], exec, s[16:17]
	s_cbranch_execz .LBB448_1062
; %bb.1047:
	s_movk_i32 s18, 0x80
	v_cmp_ne_u16_e32 vcc, s18, v3
	s_and_b64 s[18:19], vcc, exec
	s_andn2_saveexec_b64 s[16:17], s[16:17]
	s_cbranch_execnz .LBB448_1063
.LBB448_1048:
	s_or_b64 exec, exec, s[16:17]
	v_mov_b64_e32 v[0:1], 0
	s_and_saveexec_b64 s[16:17], s[18:19]
	s_cbranch_execz .LBB448_1050
.LBB448_1049:
	v_and_b32_e32 v1, 0xffff, v3
	v_lshlrev_b32_e32 v0, 24, v3
	v_and_b32_e32 v3, 7, v1
	v_ffbh_u32_e32 v7, v3
	v_min_u32_e32 v7, 32, v7
	v_subrev_u32_e32 v8, 28, v7
	v_bfe_u32 v6, v1, 3, 4
	v_lshlrev_b32_e32 v1, v8, v1
	v_sub_u32_e32 v7, 29, v7
	v_and_b32_e32 v1, 7, v1
	v_cmp_eq_u32_e32 vcc, 0, v6
	v_and_b32_e32 v0, 0x80000000, v0
	s_mov_b32 s18, 0x2f800000
	v_cndmask_b32_e32 v6, v6, v7, vcc
	v_cndmask_b32_e32 v1, v3, v1, vcc
	v_mov_b32_e32 v3, 0x3b800000
	v_lshlrev_b32_e32 v1, 20, v1
	v_lshl_add_u32 v3, v6, 23, v3
	v_or3_b32 v0, v0, v3, v1
	v_trunc_f32_e32 v0, v0
	v_mul_f32_e64 v1, |v0|, s18
	v_floor_f32_e32 v1, v1
	s_mov_b32 s18, 0xcf800000
	v_fma_f32 v3, v1, s18, |v0|
	v_cvt_u32_f32_e32 v3, v3
	v_cvt_u32_f32_e32 v1, v1
	v_ashrrev_i32_e32 v6, 31, v0
	v_xor_b32_e32 v0, v3, v6
	v_xor_b32_e32 v1, v1, v6
	v_sub_co_u32_e32 v0, vcc, v0, v6
	s_nop 1
	v_subb_co_u32_e32 v1, vcc, v1, v6, vcc
.LBB448_1050:
	s_or_b64 exec, exec, s[16:17]
.LBB448_1051:
	s_mov_b64 s[18:19], -1
.LBB448_1052:
	s_branch .LBB448_1082
.LBB448_1053:
	s_cmp_gt_i32 s22, 22
	s_cbranch_scc0 .LBB448_1061
; %bb.1054:
	s_cmp_lt_i32 s22, 24
	s_cbranch_scc1 .LBB448_1064
; %bb.1055:
	s_cmp_gt_i32 s22, 24
	s_cbranch_scc0 .LBB448_1065
; %bb.1056:
	global_load_ubyte v3, v[4:5], off
	s_movk_i32 s2, 0x7f
	s_mov_b64 s[16:17], 0
	s_waitcnt vmcnt(0)
	v_cmp_lt_i16_e32 vcc, s2, v3
	s_and_saveexec_b64 s[2:3], vcc
	s_xor_b64 s[2:3], exec, s[2:3]
	s_cbranch_execz .LBB448_1076
; %bb.1057:
	s_movk_i32 s16, 0x80
	v_cmp_ne_u16_e32 vcc, s16, v3
	s_and_b64 s[16:17], vcc, exec
	s_andn2_saveexec_b64 s[2:3], s[2:3]
	s_cbranch_execnz .LBB448_1077
.LBB448_1058:
	s_or_b64 exec, exec, s[2:3]
	v_mov_b64_e32 v[0:1], 0
	s_and_saveexec_b64 s[2:3], s[16:17]
	s_cbranch_execz .LBB448_1060
.LBB448_1059:
	v_and_b32_e32 v1, 0xffff, v3
	v_lshlrev_b32_e32 v0, 24, v3
	v_and_b32_e32 v3, 3, v1
	v_ffbh_u32_e32 v7, v3
	v_min_u32_e32 v7, 32, v7
	v_subrev_u32_e32 v8, 29, v7
	v_bfe_u32 v6, v1, 2, 5
	v_lshlrev_b32_e32 v1, v8, v1
	v_sub_u32_e32 v7, 30, v7
	v_and_b32_e32 v1, 3, v1
	v_cmp_eq_u32_e32 vcc, 0, v6
	v_and_b32_e32 v0, 0x80000000, v0
	s_mov_b32 s16, 0x2f800000
	v_cndmask_b32_e32 v6, v6, v7, vcc
	v_cndmask_b32_e32 v1, v3, v1, vcc
	v_mov_b32_e32 v3, 0x37800000
	v_lshlrev_b32_e32 v1, 21, v1
	v_lshl_add_u32 v3, v6, 23, v3
	v_or3_b32 v0, v0, v3, v1
	v_trunc_f32_e32 v0, v0
	v_mul_f32_e64 v1, |v0|, s16
	v_floor_f32_e32 v1, v1
	s_mov_b32 s16, 0xcf800000
	v_fma_f32 v3, v1, s16, |v0|
	v_cvt_u32_f32_e32 v3, v3
	v_cvt_u32_f32_e32 v1, v1
	v_ashrrev_i32_e32 v6, 31, v0
	v_xor_b32_e32 v0, v3, v6
	v_xor_b32_e32 v1, v1, v6
	v_sub_co_u32_e32 v0, vcc, v0, v6
	s_nop 1
	v_subb_co_u32_e32 v1, vcc, v1, v6, vcc
.LBB448_1060:
	s_or_b64 exec, exec, s[2:3]
	s_mov_b64 s[2:3], 0
	s_branch .LBB448_1066
.LBB448_1061:
                                        ; implicit-def: $vgpr0_vgpr1
	s_mov_b64 s[2:3], 0
	s_branch .LBB448_1072
.LBB448_1062:
	s_andn2_saveexec_b64 s[16:17], s[16:17]
	s_cbranch_execz .LBB448_1048
.LBB448_1063:
	v_cmp_ne_u16_e32 vcc, 0, v3
	s_andn2_b64 s[18:19], s[18:19], exec
	s_and_b64 s[20:21], vcc, exec
	s_or_b64 s[18:19], s[18:19], s[20:21]
	s_or_b64 exec, exec, s[16:17]
	v_mov_b64_e32 v[0:1], 0
	s_and_saveexec_b64 s[16:17], s[18:19]
	s_cbranch_execnz .LBB448_1049
	s_branch .LBB448_1050
.LBB448_1064:
	s_mov_b64 s[2:3], -1
                                        ; implicit-def: $vgpr0_vgpr1
	s_branch .LBB448_1069
.LBB448_1065:
	s_mov_b64 s[2:3], -1
                                        ; implicit-def: $vgpr0_vgpr1
.LBB448_1066:
	s_and_b64 vcc, exec, s[2:3]
	s_cbranch_vccz .LBB448_1068
; %bb.1067:
	global_load_ubyte v0, v[4:5], off
	s_mov_b32 s2, 0x7f800000
	s_brev_b32 s3, 1
	s_mov_b32 s16, 0x2f800000
	s_mov_b32 s17, 0xcf800000
	s_waitcnt vmcnt(0)
	v_lshlrev_b32_e32 v0, 24, v0
	v_and_b32_e32 v1, 0x7f000000, v0
	v_ffbh_u32_e32 v3, v1
	v_min_u32_e32 v3, 32, v3
	v_sub_u32_e64 v3, v3, 4 clamp
	v_lshlrev_b32_e32 v7, v3, v1
	v_lshlrev_b32_e32 v3, 23, v3
	v_lshrrev_b32_e32 v7, 4, v7
	v_add_u32_e32 v6, 0x1000000, v1
	v_sub_u32_e32 v3, v7, v3
	v_ashrrev_i32_e32 v6, 8, v6
	v_add_u32_e32 v3, 0x3c000000, v3
	v_and_or_b32 v3, v6, s2, v3
	v_cmp_ne_u32_e32 vcc, 0, v1
	s_nop 1
	v_cndmask_b32_e32 v1, 0, v3, vcc
	v_and_or_b32 v0, v0, s3, v1
	v_trunc_f32_e32 v0, v0
	v_mul_f32_e64 v1, |v0|, s16
	v_floor_f32_e32 v1, v1
	v_fma_f32 v3, v1, s17, |v0|
	v_cvt_u32_f32_e32 v3, v3
	v_cvt_u32_f32_e32 v1, v1
	v_ashrrev_i32_e32 v6, 31, v0
	v_xor_b32_e32 v0, v3, v6
	v_xor_b32_e32 v1, v1, v6
	v_sub_co_u32_e32 v0, vcc, v0, v6
	s_nop 1
	v_subb_co_u32_e32 v1, vcc, v1, v6, vcc
.LBB448_1068:
	s_mov_b64 s[2:3], 0
.LBB448_1069:
	s_andn2_b64 vcc, exec, s[2:3]
	s_cbranch_vccnz .LBB448_1071
; %bb.1070:
	global_load_ubyte v0, v[4:5], off
	s_movk_i32 s2, 0x7f00
	s_brev_b32 s3, 16
	s_brev_b32 s16, 1
	s_mov_b32 s17, 0x2f800000
	s_mov_b32 s18, 0xcf800000
	s_waitcnt vmcnt(0)
	v_lshlrev_b16_e32 v1, 8, v0
	v_lshlrev_b32_e32 v0, 25, v0
	v_lshrrev_b32_e32 v3, 4, v0
	v_and_or_b32 v6, v1, s2, 0.5
	v_or_b32_e32 v3, 0x70000000, v3
	v_add_f32_e32 v6, -0.5, v6
	v_mul_f32_e32 v3, 0x7800000, v3
	v_cmp_gt_u32_e32 vcc, s3, v0
	v_bfe_i32 v1, v1, 0, 16
	s_nop 0
	v_cndmask_b32_e32 v0, v3, v6, vcc
	v_and_or_b32 v0, v1, s16, v0
	v_trunc_f32_e32 v0, v0
	v_mul_f32_e64 v1, |v0|, s17
	v_floor_f32_e32 v1, v1
	v_fma_f32 v3, v1, s18, |v0|
	v_cvt_u32_f32_e32 v3, v3
	v_cvt_u32_f32_e32 v1, v1
	v_ashrrev_i32_e32 v6, 31, v0
	v_xor_b32_e32 v0, v3, v6
	v_xor_b32_e32 v1, v1, v6
	v_sub_co_u32_e32 v0, vcc, v0, v6
	s_nop 1
	v_subb_co_u32_e32 v1, vcc, v1, v6, vcc
.LBB448_1071:
	s_mov_b64 s[18:19], -1
	s_mov_b64 s[2:3], 0
	s_cbranch_execnz .LBB448_1082
.LBB448_1072:
	s_cmp_gt_i32 s22, 14
	s_cbranch_scc0 .LBB448_1075
; %bb.1073:
	s_cmp_eq_u32 s22, 15
	s_cbranch_scc0 .LBB448_1078
; %bb.1074:
	global_load_ushort v0, v[4:5], off
	s_mov_b32 s0, 0x2f800000
	s_mov_b32 s1, 0xcf800000
	s_mov_b64 s[18:19], -1
	s_waitcnt vmcnt(0)
	v_lshlrev_b32_e32 v0, 16, v0
	v_trunc_f32_e32 v0, v0
	v_mul_f32_e64 v1, |v0|, s0
	v_floor_f32_e32 v1, v1
	v_fma_f32 v3, v1, s1, |v0|
	v_cvt_u32_f32_e32 v3, v3
	v_cvt_u32_f32_e32 v1, v1
	v_ashrrev_i32_e32 v6, 31, v0
	s_mov_b64 s[0:1], 0
	v_xor_b32_e32 v0, v3, v6
	v_xor_b32_e32 v1, v1, v6
	v_sub_co_u32_e32 v0, vcc, v0, v6
	s_nop 1
	v_subb_co_u32_e32 v1, vcc, v1, v6, vcc
	s_branch .LBB448_1079
.LBB448_1075:
	s_mov_b64 s[16:17], -1
                                        ; implicit-def: $vgpr0_vgpr1
	s_branch .LBB448_1080
.LBB448_1076:
	s_andn2_saveexec_b64 s[2:3], s[2:3]
	s_cbranch_execz .LBB448_1058
.LBB448_1077:
	v_cmp_ne_u16_e32 vcc, 0, v3
	s_andn2_b64 s[16:17], s[16:17], exec
	s_and_b64 s[18:19], vcc, exec
	s_or_b64 s[16:17], s[16:17], s[18:19]
	s_or_b64 exec, exec, s[2:3]
	v_mov_b64_e32 v[0:1], 0
	s_and_saveexec_b64 s[2:3], s[16:17]
	s_cbranch_execnz .LBB448_1059
	s_branch .LBB448_1060
.LBB448_1078:
	s_mov_b64 s[0:1], -1
                                        ; implicit-def: $vgpr0_vgpr1
.LBB448_1079:
	s_mov_b64 s[16:17], 0
.LBB448_1080:
	s_and_b64 vcc, exec, s[16:17]
	s_cbranch_vccz .LBB448_1082
; %bb.1081:
	s_cmp_lg_u32 s22, 11
	s_mov_b64 s[2:3], -1
	s_cselect_b64 s[0:1], -1, 0
.LBB448_1082:
	s_and_b64 vcc, exec, s[0:1]
	s_mov_b64 s[16:17], s[14:15]
	s_cbranch_vccnz .LBB448_1143
; %bb.1083:
	s_andn2_b64 vcc, exec, s[2:3]
	s_cbranch_vccnz .LBB448_1085
.LBB448_1084:
	global_load_ubyte v0, v[4:5], off
	s_mov_b32 s0, 0
	s_waitcnt vmcnt(1)
	v_mov_b32_e32 v1, s0
	s_mov_b64 s[18:19], -1
	s_waitcnt vmcnt(0)
	v_cmp_ne_u16_e32 vcc, 0, v0
	s_nop 1
	v_cndmask_b32_e64 v0, 0, 1, vcc
.LBB448_1085:
	s_branch .LBB448_1020
.LBB448_1086:
	s_cmp_lt_i32 s22, 5
	s_cbranch_scc1 .LBB448_1091
; %bb.1087:
	s_cmp_lt_i32 s22, 8
	s_cbranch_scc1 .LBB448_1092
; %bb.1088:
	;; [unrolled: 3-line block ×3, first 2 shown]
	s_cmp_gt_i32 s22, 9
	s_cbranch_scc0 .LBB448_1094
; %bb.1090:
	global_load_dwordx2 v[0:1], v[4:5], off
	s_movk_i32 s0, 0xffe0
	s_waitcnt vmcnt(0)
	v_trunc_f64_e32 v[6:7], v[0:1]
	v_ldexp_f64 v[0:1], v[6:7], s0
	v_floor_f64_e32 v[8:9], v[0:1]
	v_fmac_f64_e32 v[6:7], 0xc1f00000, v[8:9]
	v_cvt_i32_f64_e32 v1, v[8:9]
	v_cvt_u32_f64_e32 v0, v[6:7]
	s_mov_b64 s[0:1], 0
	s_branch .LBB448_1095
.LBB448_1091:
                                        ; implicit-def: $vgpr0_vgpr1
	s_branch .LBB448_1112
.LBB448_1092:
                                        ; implicit-def: $vgpr0_vgpr1
	s_branch .LBB448_1101
.LBB448_1093:
	s_mov_b64 s[0:1], -1
                                        ; implicit-def: $vgpr0_vgpr1
	s_branch .LBB448_1098
.LBB448_1094:
	s_mov_b64 s[0:1], -1
                                        ; implicit-def: $vgpr0_vgpr1
.LBB448_1095:
	s_andn2_b64 vcc, exec, s[0:1]
	s_cbranch_vccnz .LBB448_1097
; %bb.1096:
	global_load_dword v0, v[4:5], off
	s_mov_b32 s0, 0x2f800000
	s_mov_b32 s1, 0xcf800000
	s_waitcnt vmcnt(0)
	v_trunc_f32_e32 v0, v0
	v_mul_f32_e64 v1, |v0|, s0
	v_floor_f32_e32 v1, v1
	v_cvt_u32_f32_e32 v3, v1
	v_fma_f32 v1, v1, s1, |v0|
	v_cvt_u32_f32_e32 v1, v1
	v_ashrrev_i32_e32 v6, 31, v0
	v_xor_b32_e32 v3, v3, v6
	v_xor_b32_e32 v0, v1, v6
	v_sub_co_u32_e32 v0, vcc, v0, v6
	s_nop 1
	v_subb_co_u32_e32 v1, vcc, v3, v6, vcc
.LBB448_1097:
	s_mov_b64 s[0:1], 0
.LBB448_1098:
	s_andn2_b64 vcc, exec, s[0:1]
	s_cbranch_vccnz .LBB448_1100
; %bb.1099:
	global_load_dword v0, v[4:5], off
	s_waitcnt vmcnt(0)
	v_cvt_f32_f16_e32 v0, v0
	v_cvt_i32_f32_e32 v0, v0
	v_ashrrev_i32_e32 v1, 31, v0
.LBB448_1100:
	s_cbranch_execnz .LBB448_1111
.LBB448_1101:
	s_cmp_lt_i32 s22, 6
	s_cbranch_scc1 .LBB448_1104
; %bb.1102:
	s_cmp_gt_i32 s22, 6
	s_cbranch_scc0 .LBB448_1105
; %bb.1103:
	global_load_dwordx2 v[0:1], v[4:5], off
	s_movk_i32 s0, 0xffe0
	s_waitcnt vmcnt(0)
	v_trunc_f64_e32 v[6:7], v[0:1]
	v_ldexp_f64 v[0:1], v[6:7], s0
	v_floor_f64_e32 v[8:9], v[0:1]
	v_fmac_f64_e32 v[6:7], 0xc1f00000, v[8:9]
	v_cvt_i32_f64_e32 v1, v[8:9]
	v_cvt_u32_f64_e32 v0, v[6:7]
	s_mov_b64 s[0:1], 0
	s_branch .LBB448_1106
.LBB448_1104:
	s_mov_b64 s[0:1], -1
                                        ; implicit-def: $vgpr0_vgpr1
	s_branch .LBB448_1109
.LBB448_1105:
	s_mov_b64 s[0:1], -1
                                        ; implicit-def: $vgpr0_vgpr1
.LBB448_1106:
	s_andn2_b64 vcc, exec, s[0:1]
	s_cbranch_vccnz .LBB448_1108
; %bb.1107:
	global_load_dword v0, v[4:5], off
	s_mov_b32 s0, 0x2f800000
	s_mov_b32 s1, 0xcf800000
	s_waitcnt vmcnt(0)
	v_trunc_f32_e32 v0, v0
	v_mul_f32_e64 v1, |v0|, s0
	v_floor_f32_e32 v1, v1
	v_cvt_u32_f32_e32 v3, v1
	v_fma_f32 v1, v1, s1, |v0|
	v_cvt_u32_f32_e32 v1, v1
	v_ashrrev_i32_e32 v6, 31, v0
	v_xor_b32_e32 v3, v3, v6
	v_xor_b32_e32 v0, v1, v6
	v_sub_co_u32_e32 v0, vcc, v0, v6
	s_nop 1
	v_subb_co_u32_e32 v1, vcc, v3, v6, vcc
.LBB448_1108:
	s_mov_b64 s[0:1], 0
.LBB448_1109:
	s_andn2_b64 vcc, exec, s[0:1]
	s_cbranch_vccnz .LBB448_1111
; %bb.1110:
	global_load_ushort v0, v[4:5], off
	s_waitcnt vmcnt(0)
	v_cvt_f32_f16_e32 v0, v0
	v_cvt_i32_f32_e32 v0, v0
	v_ashrrev_i32_e32 v1, 31, v0
.LBB448_1111:
	s_cbranch_execnz .LBB448_1130
.LBB448_1112:
	s_cmp_lt_i32 s22, 2
	s_cbranch_scc1 .LBB448_1116
; %bb.1113:
	s_cmp_lt_i32 s22, 3
	s_cbranch_scc1 .LBB448_1117
; %bb.1114:
	s_cmp_gt_i32 s22, 3
	s_cbranch_scc0 .LBB448_1118
; %bb.1115:
	global_load_dwordx2 v[0:1], v[4:5], off
	s_mov_b64 s[0:1], 0
	s_branch .LBB448_1119
.LBB448_1116:
                                        ; implicit-def: $vgpr0_vgpr1
	s_branch .LBB448_1125
.LBB448_1117:
	s_mov_b64 s[0:1], -1
                                        ; implicit-def: $vgpr0_vgpr1
	s_branch .LBB448_1122
.LBB448_1118:
	s_mov_b64 s[0:1], -1
                                        ; implicit-def: $vgpr0_vgpr1
.LBB448_1119:
	s_andn2_b64 vcc, exec, s[0:1]
	s_cbranch_vccnz .LBB448_1121
; %bb.1120:
	global_load_dword v0, v[4:5], off
	s_waitcnt vmcnt(0)
	v_ashrrev_i32_e32 v1, 31, v0
.LBB448_1121:
	s_mov_b64 s[0:1], 0
.LBB448_1122:
	s_andn2_b64 vcc, exec, s[0:1]
	s_cbranch_vccnz .LBB448_1124
; %bb.1123:
	global_load_ushort v0, v[4:5], off
	s_waitcnt vmcnt(0)
	v_bfe_i32 v0, v0, 0, 16
	v_ashrrev_i32_e32 v1, 31, v0
.LBB448_1124:
	s_cbranch_execnz .LBB448_1130
.LBB448_1125:
	s_cmp_gt_i32 s22, 0
	s_cbranch_scc0 .LBB448_1127
; %bb.1126:
	global_load_sbyte v0, v[4:5], off
	s_mov_b64 s[0:1], 0
	s_waitcnt vmcnt(0)
	v_bfe_i32 v0, v0, 0, 16
	v_ashrrev_i32_e32 v1, 31, v0
	s_branch .LBB448_1128
.LBB448_1127:
	s_mov_b64 s[0:1], -1
                                        ; implicit-def: $vgpr0_vgpr1
.LBB448_1128:
	s_andn2_b64 vcc, exec, s[0:1]
	s_cbranch_vccnz .LBB448_1130
; %bb.1129:
	global_load_ubyte v0, v[4:5], off
	s_mov_b32 s0, 0
	s_waitcnt vmcnt(1)
	v_mov_b32_e32 v1, s0
	s_waitcnt vmcnt(0)
	v_and_b32_e32 v0, 0xffff, v0
.LBB448_1130:
.LBB448_1131:
	s_lshl_b32 s9, s9, 7
	v_add_u32_e32 v4, s9, v2
	v_ashrrev_i32_e32 v5, 31, v4
	s_cmp_lt_i32 s22, 11
	v_lshl_add_u64 v[6:7], s[6:7], 0, v[4:5]
	s_cbranch_scc1 .LBB448_1138
; %bb.1132:
	s_cmp_gt_i32 s22, 25
	s_mov_b64 s[2:3], 0
	s_cbranch_scc0 .LBB448_1140
; %bb.1133:
	s_cmp_gt_i32 s22, 28
	s_cbranch_scc0 .LBB448_1141
; %bb.1134:
	s_cmp_gt_i32 s22, 43
	;; [unrolled: 3-line block ×3, first 2 shown]
	s_cbranch_scc0 .LBB448_1144
; %bb.1136:
	s_cmp_eq_u32 s22, 46
	s_mov_b64 s[20:21], 0
	s_cbranch_scc0 .LBB448_1147
; %bb.1137:
	global_load_dword v2, v[6:7], off
	s_mov_b32 s0, 0x2f800000
	s_mov_b32 s1, 0xcf800000
	s_mov_b64 s[18:19], -1
	s_waitcnt vmcnt(0)
	v_lshlrev_b32_e32 v2, 16, v2
	v_trunc_f32_e32 v2, v2
	v_mul_f32_e64 v3, |v2|, s0
	v_floor_f32_e32 v3, v3
	v_fma_f32 v5, v3, s1, |v2|
	v_cvt_u32_f32_e32 v5, v5
	v_cvt_u32_f32_e32 v3, v3
	v_ashrrev_i32_e32 v8, 31, v2
	s_mov_b64 s[0:1], 0
	v_xor_b32_e32 v2, v5, v8
	v_xor_b32_e32 v3, v3, v8
	v_sub_co_u32_e32 v2, vcc, v2, v8
	s_nop 1
	v_subb_co_u32_e32 v3, vcc, v3, v8, vcc
	s_branch .LBB448_1148
.LBB448_1138:
	s_mov_b64 s[18:19], 0
                                        ; implicit-def: $vgpr2_vgpr3
	s_cbranch_execnz .LBB448_1209
.LBB448_1139:
	s_andn2_b64 vcc, exec, s[18:19]
	s_cbranch_vccnz .LBB448_1940
	s_branch .LBB448_1256
.LBB448_1140:
	s_mov_b64 s[18:19], 0
	s_mov_b64 s[0:1], 0
                                        ; implicit-def: $vgpr2_vgpr3
	s_cbranch_execnz .LBB448_1175
	s_branch .LBB448_1205
.LBB448_1141:
	s_mov_b64 s[20:21], -1
	s_mov_b64 s[18:19], 0
	s_mov_b64 s[0:1], 0
                                        ; implicit-def: $vgpr2_vgpr3
	s_branch .LBB448_1158
.LBB448_1142:
	s_mov_b64 s[20:21], -1
	s_mov_b64 s[18:19], 0
	s_mov_b64 s[0:1], 0
                                        ; implicit-def: $vgpr2_vgpr3
	s_branch .LBB448_1153
.LBB448_1143:
	s_or_b64 s[16:17], s[14:15], exec
	s_trap 2
	s_cbranch_execz .LBB448_1084
	s_branch .LBB448_1085
.LBB448_1144:
	s_mov_b64 s[20:21], -1
	s_mov_b64 s[18:19], 0
	s_mov_b64 s[0:1], 0
                                        ; implicit-def: $vgpr2_vgpr3
	s_branch .LBB448_1148
.LBB448_1145:
	s_andn2_saveexec_b64 s[26:27], s[26:27]
	s_cbranch_execz .LBB448_936
.LBB448_1146:
	s_mov_b32 s30, 0x42800000
	v_add_f32_e64 v5, |v4|, s30
	v_and_b32_e32 v5, 0xff, v5
	v_cmp_ne_u32_e32 vcc, 0, v5
	s_andn2_b64 s[24:25], s[24:25], exec
	s_and_b64 s[30:31], vcc, exec
	s_or_b64 s[24:25], s[24:25], s[30:31]
	s_or_b64 exec, exec, s[26:27]
	v_mov_b32_e32 v6, 0
	s_and_saveexec_b64 s[26:27], s[24:25]
	s_cbranch_execnz .LBB448_937
	s_branch .LBB448_938
.LBB448_1147:
	s_mov_b64 s[0:1], -1
                                        ; implicit-def: $vgpr2_vgpr3
	s_mov_b64 s[18:19], 0
.LBB448_1148:
	s_and_b64 vcc, exec, s[20:21]
	s_cbranch_vccz .LBB448_1152
; %bb.1149:
	s_cmp_eq_u32 s22, 44
	s_cbranch_scc0 .LBB448_1151
; %bb.1150:
	global_load_ubyte v2, v[6:7], off
	s_mov_b32 s0, 0x2f800000
	s_mov_b32 s1, 0xcf800000
	s_mov_b64 s[18:19], -1
	s_waitcnt vmcnt(0)
	v_lshlrev_b32_e32 v3, 23, v2
	v_trunc_f32_e32 v3, v3
	v_mul_f32_e64 v5, |v3|, s0
	v_floor_f32_e32 v5, v5
	v_fma_f32 v8, v5, s1, |v3|
	v_cvt_u32_f32_e32 v8, v8
	v_cvt_u32_f32_e32 v5, v5
	v_ashrrev_i32_e32 v3, 31, v3
	s_mov_b64 s[0:1], 0
	v_xor_b32_e32 v8, v8, v3
	v_xor_b32_e32 v5, v5, v3
	v_sub_co_u32_e32 v8, vcc, v8, v3
	s_nop 1
	v_subb_co_u32_e32 v3, vcc, v5, v3, vcc
	v_cmp_ne_u32_e32 vcc, 0, v2
	s_nop 1
	v_cndmask_b32_e32 v3, 0, v3, vcc
	v_cndmask_b32_e32 v2, 0, v8, vcc
	s_branch .LBB448_1152
.LBB448_1151:
	s_mov_b64 s[0:1], -1
                                        ; implicit-def: $vgpr2_vgpr3
.LBB448_1152:
	s_mov_b64 s[20:21], 0
.LBB448_1153:
	s_and_b64 vcc, exec, s[20:21]
	s_cbranch_vccz .LBB448_1157
; %bb.1154:
	s_cmp_eq_u32 s22, 29
	s_cbranch_scc0 .LBB448_1156
; %bb.1155:
	global_load_dwordx2 v[2:3], v[6:7], off
	s_mov_b64 s[0:1], 0
	s_mov_b64 s[18:19], -1
	s_branch .LBB448_1157
.LBB448_1156:
	s_mov_b64 s[0:1], -1
                                        ; implicit-def: $vgpr2_vgpr3
.LBB448_1157:
	s_mov_b64 s[20:21], 0
.LBB448_1158:
	s_and_b64 vcc, exec, s[20:21]
	s_cbranch_vccz .LBB448_1174
; %bb.1159:
	s_cmp_lt_i32 s22, 27
	s_cbranch_scc1 .LBB448_1162
; %bb.1160:
	s_cmp_gt_i32 s22, 27
	s_cbranch_scc0 .LBB448_1163
; %bb.1161:
	global_load_dword v2, v[6:7], off
	s_waitcnt vmcnt(1)
	v_mov_b32_e32 v3, 0
	s_mov_b64 s[18:19], 0
	s_branch .LBB448_1164
.LBB448_1162:
	s_mov_b64 s[18:19], -1
                                        ; implicit-def: $vgpr2_vgpr3
	s_branch .LBB448_1167
.LBB448_1163:
	s_mov_b64 s[18:19], -1
                                        ; implicit-def: $vgpr2_vgpr3
.LBB448_1164:
	s_andn2_b64 vcc, exec, s[18:19]
	s_cbranch_vccnz .LBB448_1166
; %bb.1165:
	global_load_ushort v2, v[6:7], off
	s_mov_b32 s18, 0
	s_waitcnt vmcnt(1)
	v_mov_b32_e32 v3, s18
	s_waitcnt vmcnt(0)
	v_and_b32_e32 v2, 0xffff, v2
.LBB448_1166:
	s_mov_b64 s[18:19], 0
.LBB448_1167:
	s_andn2_b64 vcc, exec, s[18:19]
	s_cbranch_vccnz .LBB448_1173
; %bb.1168:
	global_load_ubyte v5, v[6:7], off
	s_movk_i32 s18, 0x7f
	s_mov_b64 s[20:21], 0
	s_waitcnt vmcnt(0)
	v_cmp_lt_i16_e32 vcc, s18, v5
	s_and_saveexec_b64 s[18:19], vcc
	s_xor_b64 s[18:19], exec, s[18:19]
	s_cbranch_execz .LBB448_1184
; %bb.1169:
	s_movk_i32 s20, 0x80
	v_cmp_ne_u16_e32 vcc, s20, v5
	s_and_b64 s[20:21], vcc, exec
	s_andn2_saveexec_b64 s[18:19], s[18:19]
	s_cbranch_execnz .LBB448_1185
.LBB448_1170:
	s_or_b64 exec, exec, s[18:19]
	v_mov_b64_e32 v[2:3], 0
	s_and_saveexec_b64 s[18:19], s[20:21]
	s_cbranch_execz .LBB448_1172
.LBB448_1171:
	v_and_b32_e32 v3, 0xffff, v5
	v_lshlrev_b32_e32 v2, 24, v5
	v_and_b32_e32 v5, 7, v3
	v_ffbh_u32_e32 v9, v5
	v_min_u32_e32 v9, 32, v9
	v_subrev_u32_e32 v11, 28, v9
	v_bfe_u32 v8, v3, 3, 4
	v_lshlrev_b32_e32 v3, v11, v3
	v_sub_u32_e32 v9, 29, v9
	v_and_b32_e32 v3, 7, v3
	v_cmp_eq_u32_e32 vcc, 0, v8
	v_and_b32_e32 v2, 0x80000000, v2
	s_mov_b32 s20, 0x2f800000
	v_cndmask_b32_e32 v8, v8, v9, vcc
	v_cndmask_b32_e32 v3, v5, v3, vcc
	v_mov_b32_e32 v5, 0x3b800000
	v_lshlrev_b32_e32 v3, 20, v3
	v_lshl_add_u32 v5, v8, 23, v5
	v_or3_b32 v2, v2, v5, v3
	v_trunc_f32_e32 v2, v2
	v_mul_f32_e64 v3, |v2|, s20
	v_floor_f32_e32 v3, v3
	s_mov_b32 s20, 0xcf800000
	v_fma_f32 v5, v3, s20, |v2|
	v_cvt_u32_f32_e32 v5, v5
	v_cvt_u32_f32_e32 v3, v3
	v_ashrrev_i32_e32 v8, 31, v2
	v_xor_b32_e32 v2, v5, v8
	v_xor_b32_e32 v3, v3, v8
	v_sub_co_u32_e32 v2, vcc, v2, v8
	s_nop 1
	v_subb_co_u32_e32 v3, vcc, v3, v8, vcc
.LBB448_1172:
	s_or_b64 exec, exec, s[18:19]
.LBB448_1173:
	s_mov_b64 s[18:19], -1
.LBB448_1174:
	s_branch .LBB448_1205
.LBB448_1175:
	s_cmp_gt_i32 s22, 22
	s_cbranch_scc0 .LBB448_1183
; %bb.1176:
	s_cmp_lt_i32 s22, 24
	s_cbranch_scc1 .LBB448_1186
; %bb.1177:
	s_cmp_gt_i32 s22, 24
	s_cbranch_scc0 .LBB448_1187
; %bb.1178:
	global_load_ubyte v5, v[6:7], off
	s_movk_i32 s2, 0x7f
	s_mov_b64 s[18:19], 0
	s_waitcnt vmcnt(0)
	v_cmp_lt_i16_e32 vcc, s2, v5
	s_and_saveexec_b64 s[2:3], vcc
	s_xor_b64 s[2:3], exec, s[2:3]
	s_cbranch_execz .LBB448_1199
; %bb.1179:
	s_movk_i32 s18, 0x80
	v_cmp_ne_u16_e32 vcc, s18, v5
	s_and_b64 s[18:19], vcc, exec
	s_andn2_saveexec_b64 s[2:3], s[2:3]
	s_cbranch_execnz .LBB448_1200
.LBB448_1180:
	s_or_b64 exec, exec, s[2:3]
	v_mov_b64_e32 v[2:3], 0
	s_and_saveexec_b64 s[2:3], s[18:19]
	s_cbranch_execz .LBB448_1182
.LBB448_1181:
	v_and_b32_e32 v3, 0xffff, v5
	v_lshlrev_b32_e32 v2, 24, v5
	v_and_b32_e32 v5, 3, v3
	v_ffbh_u32_e32 v9, v5
	v_min_u32_e32 v9, 32, v9
	v_subrev_u32_e32 v11, 29, v9
	v_bfe_u32 v8, v3, 2, 5
	v_lshlrev_b32_e32 v3, v11, v3
	v_sub_u32_e32 v9, 30, v9
	v_and_b32_e32 v3, 3, v3
	v_cmp_eq_u32_e32 vcc, 0, v8
	v_and_b32_e32 v2, 0x80000000, v2
	s_mov_b32 s18, 0x2f800000
	v_cndmask_b32_e32 v8, v8, v9, vcc
	v_cndmask_b32_e32 v3, v5, v3, vcc
	v_mov_b32_e32 v5, 0x37800000
	v_lshlrev_b32_e32 v3, 21, v3
	v_lshl_add_u32 v5, v8, 23, v5
	v_or3_b32 v2, v2, v5, v3
	v_trunc_f32_e32 v2, v2
	v_mul_f32_e64 v3, |v2|, s18
	v_floor_f32_e32 v3, v3
	s_mov_b32 s18, 0xcf800000
	v_fma_f32 v5, v3, s18, |v2|
	v_cvt_u32_f32_e32 v5, v5
	v_cvt_u32_f32_e32 v3, v3
	v_ashrrev_i32_e32 v8, 31, v2
	v_xor_b32_e32 v2, v5, v8
	v_xor_b32_e32 v3, v3, v8
	v_sub_co_u32_e32 v2, vcc, v2, v8
	s_nop 1
	v_subb_co_u32_e32 v3, vcc, v3, v8, vcc
.LBB448_1182:
	s_or_b64 exec, exec, s[2:3]
	s_mov_b64 s[2:3], 0
	s_branch .LBB448_1188
.LBB448_1183:
	s_mov_b64 s[2:3], -1
                                        ; implicit-def: $vgpr2_vgpr3
	s_branch .LBB448_1194
.LBB448_1184:
	s_andn2_saveexec_b64 s[18:19], s[18:19]
	s_cbranch_execz .LBB448_1170
.LBB448_1185:
	v_cmp_ne_u16_e32 vcc, 0, v5
	s_andn2_b64 s[20:21], s[20:21], exec
	s_and_b64 s[24:25], vcc, exec
	s_or_b64 s[20:21], s[20:21], s[24:25]
	s_or_b64 exec, exec, s[18:19]
	v_mov_b64_e32 v[2:3], 0
	s_and_saveexec_b64 s[18:19], s[20:21]
	s_cbranch_execnz .LBB448_1171
	s_branch .LBB448_1172
.LBB448_1186:
	s_mov_b64 s[2:3], -1
                                        ; implicit-def: $vgpr2_vgpr3
	s_branch .LBB448_1191
.LBB448_1187:
	s_mov_b64 s[2:3], -1
                                        ; implicit-def: $vgpr2_vgpr3
.LBB448_1188:
	s_and_b64 vcc, exec, s[2:3]
	s_cbranch_vccz .LBB448_1190
; %bb.1189:
	global_load_ubyte v2, v[6:7], off
	s_mov_b32 s2, 0x7f800000
	s_brev_b32 s3, 1
	s_mov_b32 s18, 0x2f800000
	s_mov_b32 s19, 0xcf800000
	s_waitcnt vmcnt(0)
	v_lshlrev_b32_e32 v2, 24, v2
	v_and_b32_e32 v3, 0x7f000000, v2
	v_ffbh_u32_e32 v5, v3
	v_min_u32_e32 v5, 32, v5
	v_sub_u32_e64 v5, v5, 4 clamp
	v_lshlrev_b32_e32 v9, v5, v3
	v_lshlrev_b32_e32 v5, 23, v5
	v_lshrrev_b32_e32 v9, 4, v9
	v_add_u32_e32 v8, 0x1000000, v3
	v_sub_u32_e32 v5, v9, v5
	v_ashrrev_i32_e32 v8, 8, v8
	v_add_u32_e32 v5, 0x3c000000, v5
	v_and_or_b32 v5, v8, s2, v5
	v_cmp_ne_u32_e32 vcc, 0, v3
	s_nop 1
	v_cndmask_b32_e32 v3, 0, v5, vcc
	v_and_or_b32 v2, v2, s3, v3
	v_trunc_f32_e32 v2, v2
	v_mul_f32_e64 v3, |v2|, s18
	v_floor_f32_e32 v3, v3
	v_fma_f32 v5, v3, s19, |v2|
	v_cvt_u32_f32_e32 v5, v5
	v_cvt_u32_f32_e32 v3, v3
	v_ashrrev_i32_e32 v8, 31, v2
	v_xor_b32_e32 v2, v5, v8
	v_xor_b32_e32 v3, v3, v8
	v_sub_co_u32_e32 v2, vcc, v2, v8
	s_nop 1
	v_subb_co_u32_e32 v3, vcc, v3, v8, vcc
.LBB448_1190:
	s_mov_b64 s[2:3], 0
.LBB448_1191:
	s_andn2_b64 vcc, exec, s[2:3]
	s_cbranch_vccnz .LBB448_1193
; %bb.1192:
	global_load_ubyte v2, v[6:7], off
	s_movk_i32 s2, 0x7f00
	s_brev_b32 s3, 16
	s_brev_b32 s18, 1
	s_mov_b32 s19, 0x2f800000
	s_mov_b32 s20, 0xcf800000
	s_waitcnt vmcnt(0)
	v_lshlrev_b16_e32 v3, 8, v2
	v_lshlrev_b32_e32 v2, 25, v2
	v_lshrrev_b32_e32 v5, 4, v2
	v_and_or_b32 v8, v3, s2, 0.5
	v_or_b32_e32 v5, 0x70000000, v5
	v_add_f32_e32 v8, -0.5, v8
	v_mul_f32_e32 v5, 0x7800000, v5
	v_cmp_gt_u32_e32 vcc, s3, v2
	v_bfe_i32 v3, v3, 0, 16
	s_nop 0
	v_cndmask_b32_e32 v2, v5, v8, vcc
	v_and_or_b32 v2, v3, s18, v2
	v_trunc_f32_e32 v2, v2
	v_mul_f32_e64 v3, |v2|, s19
	v_floor_f32_e32 v3, v3
	v_fma_f32 v5, v3, s20, |v2|
	v_cvt_u32_f32_e32 v5, v5
	v_cvt_u32_f32_e32 v3, v3
	v_ashrrev_i32_e32 v8, 31, v2
	v_xor_b32_e32 v2, v5, v8
	v_xor_b32_e32 v3, v3, v8
	v_sub_co_u32_e32 v2, vcc, v2, v8
	s_nop 1
	v_subb_co_u32_e32 v3, vcc, v3, v8, vcc
.LBB448_1193:
	s_mov_b64 s[2:3], 0
	s_mov_b64 s[18:19], -1
.LBB448_1194:
	s_andn2_b64 vcc, exec, s[2:3]
	s_mov_b64 s[2:3], 0
	s_cbranch_vccnz .LBB448_1205
; %bb.1195:
	s_cmp_gt_i32 s22, 14
	s_cbranch_scc0 .LBB448_1198
; %bb.1196:
	s_cmp_eq_u32 s22, 15
	s_cbranch_scc0 .LBB448_1201
; %bb.1197:
	global_load_ushort v2, v[6:7], off
	s_mov_b32 s0, 0x2f800000
	s_mov_b32 s1, 0xcf800000
	s_mov_b64 s[18:19], -1
	s_waitcnt vmcnt(0)
	v_lshlrev_b32_e32 v2, 16, v2
	v_trunc_f32_e32 v2, v2
	v_mul_f32_e64 v3, |v2|, s0
	v_floor_f32_e32 v3, v3
	v_fma_f32 v5, v3, s1, |v2|
	v_cvt_u32_f32_e32 v5, v5
	v_cvt_u32_f32_e32 v3, v3
	v_ashrrev_i32_e32 v8, 31, v2
	s_mov_b64 s[0:1], 0
	v_xor_b32_e32 v2, v5, v8
	v_xor_b32_e32 v3, v3, v8
	v_sub_co_u32_e32 v2, vcc, v2, v8
	s_nop 1
	v_subb_co_u32_e32 v3, vcc, v3, v8, vcc
	s_branch .LBB448_1202
.LBB448_1198:
	s_mov_b64 s[20:21], -1
                                        ; implicit-def: $vgpr2_vgpr3
	s_branch .LBB448_1203
.LBB448_1199:
	s_andn2_saveexec_b64 s[2:3], s[2:3]
	s_cbranch_execz .LBB448_1180
.LBB448_1200:
	v_cmp_ne_u16_e32 vcc, 0, v5
	s_andn2_b64 s[18:19], s[18:19], exec
	s_and_b64 s[20:21], vcc, exec
	s_or_b64 s[18:19], s[18:19], s[20:21]
	s_or_b64 exec, exec, s[2:3]
	v_mov_b64_e32 v[2:3], 0
	s_and_saveexec_b64 s[2:3], s[18:19]
	s_cbranch_execnz .LBB448_1181
	s_branch .LBB448_1182
.LBB448_1201:
	s_mov_b64 s[0:1], -1
                                        ; implicit-def: $vgpr2_vgpr3
.LBB448_1202:
	s_mov_b64 s[20:21], 0
.LBB448_1203:
	s_and_b64 vcc, exec, s[20:21]
	s_cbranch_vccz .LBB448_1205
; %bb.1204:
	s_cmp_lg_u32 s22, 11
	s_mov_b64 s[2:3], -1
	s_cselect_b64 s[0:1], -1, 0
.LBB448_1205:
	s_and_b64 vcc, exec, s[0:1]
	s_cbranch_vccnz .LBB448_1268
; %bb.1206:
	s_andn2_b64 vcc, exec, s[2:3]
	s_cbranch_vccnz .LBB448_1208
.LBB448_1207:
	global_load_ubyte v2, v[6:7], off
	s_mov_b32 s0, 0
	s_waitcnt vmcnt(1)
	v_mov_b32_e32 v3, s0
	s_mov_b64 s[18:19], -1
	s_waitcnt vmcnt(0)
	v_cmp_ne_u16_e32 vcc, 0, v2
	s_nop 1
	v_cndmask_b32_e64 v2, 0, 1, vcc
.LBB448_1208:
	s_branch .LBB448_1139
.LBB448_1209:
	s_cmp_lt_i32 s22, 5
	s_cbranch_scc1 .LBB448_1214
; %bb.1210:
	s_cmp_lt_i32 s22, 8
	s_cbranch_scc1 .LBB448_1215
; %bb.1211:
	;; [unrolled: 3-line block ×3, first 2 shown]
	s_cmp_gt_i32 s22, 9
	s_cbranch_scc0 .LBB448_1217
; %bb.1213:
	global_load_dwordx2 v[2:3], v[6:7], off
	s_movk_i32 s0, 0xffe0
	s_waitcnt vmcnt(0)
	v_trunc_f64_e32 v[8:9], v[2:3]
	v_ldexp_f64 v[2:3], v[8:9], s0
	v_floor_f64_e32 v[12:13], v[2:3]
	v_fmac_f64_e32 v[8:9], 0xc1f00000, v[12:13]
	v_cvt_i32_f64_e32 v3, v[12:13]
	v_cvt_u32_f64_e32 v2, v[8:9]
	s_mov_b64 s[0:1], 0
	s_branch .LBB448_1218
.LBB448_1214:
                                        ; implicit-def: $vgpr2_vgpr3
	s_branch .LBB448_1236
.LBB448_1215:
	s_mov_b64 s[0:1], -1
                                        ; implicit-def: $vgpr2_vgpr3
	s_branch .LBB448_1224
.LBB448_1216:
	s_mov_b64 s[0:1], -1
                                        ; implicit-def: $vgpr2_vgpr3
	s_branch .LBB448_1221
.LBB448_1217:
	s_mov_b64 s[0:1], -1
                                        ; implicit-def: $vgpr2_vgpr3
.LBB448_1218:
	s_andn2_b64 vcc, exec, s[0:1]
	s_cbranch_vccnz .LBB448_1220
; %bb.1219:
	global_load_dword v2, v[6:7], off
	s_mov_b32 s0, 0x2f800000
	s_mov_b32 s1, 0xcf800000
	s_waitcnt vmcnt(0)
	v_trunc_f32_e32 v2, v2
	v_mul_f32_e64 v3, |v2|, s0
	v_floor_f32_e32 v3, v3
	v_cvt_u32_f32_e32 v5, v3
	v_fma_f32 v3, v3, s1, |v2|
	v_cvt_u32_f32_e32 v3, v3
	v_ashrrev_i32_e32 v8, 31, v2
	v_xor_b32_e32 v5, v5, v8
	v_xor_b32_e32 v2, v3, v8
	v_sub_co_u32_e32 v2, vcc, v2, v8
	s_nop 1
	v_subb_co_u32_e32 v3, vcc, v5, v8, vcc
.LBB448_1220:
	s_mov_b64 s[0:1], 0
.LBB448_1221:
	s_andn2_b64 vcc, exec, s[0:1]
	s_cbranch_vccnz .LBB448_1223
; %bb.1222:
	global_load_dword v2, v[6:7], off
	s_waitcnt vmcnt(0)
	v_cvt_f32_f16_e32 v2, v2
	v_cvt_i32_f32_e32 v2, v2
	v_ashrrev_i32_e32 v3, 31, v2
.LBB448_1223:
	s_mov_b64 s[0:1], 0
.LBB448_1224:
	s_andn2_b64 vcc, exec, s[0:1]
	s_cbranch_vccnz .LBB448_1235
; %bb.1225:
	s_cmp_lt_i32 s22, 6
	s_cbranch_scc1 .LBB448_1228
; %bb.1226:
	s_cmp_gt_i32 s22, 6
	s_cbranch_scc0 .LBB448_1229
; %bb.1227:
	global_load_dwordx2 v[2:3], v[6:7], off
	s_movk_i32 s0, 0xffe0
	s_waitcnt vmcnt(0)
	v_trunc_f64_e32 v[8:9], v[2:3]
	v_ldexp_f64 v[2:3], v[8:9], s0
	v_floor_f64_e32 v[12:13], v[2:3]
	v_fmac_f64_e32 v[8:9], 0xc1f00000, v[12:13]
	v_cvt_i32_f64_e32 v3, v[12:13]
	v_cvt_u32_f64_e32 v2, v[8:9]
	s_mov_b64 s[0:1], 0
	s_branch .LBB448_1230
.LBB448_1228:
	s_mov_b64 s[0:1], -1
                                        ; implicit-def: $vgpr2_vgpr3
	s_branch .LBB448_1233
.LBB448_1229:
	s_mov_b64 s[0:1], -1
                                        ; implicit-def: $vgpr2_vgpr3
.LBB448_1230:
	s_andn2_b64 vcc, exec, s[0:1]
	s_cbranch_vccnz .LBB448_1232
; %bb.1231:
	global_load_dword v2, v[6:7], off
	s_mov_b32 s0, 0x2f800000
	s_mov_b32 s1, 0xcf800000
	s_waitcnt vmcnt(0)
	v_trunc_f32_e32 v2, v2
	v_mul_f32_e64 v3, |v2|, s0
	v_floor_f32_e32 v3, v3
	v_cvt_u32_f32_e32 v5, v3
	v_fma_f32 v3, v3, s1, |v2|
	v_cvt_u32_f32_e32 v3, v3
	v_ashrrev_i32_e32 v8, 31, v2
	v_xor_b32_e32 v5, v5, v8
	v_xor_b32_e32 v2, v3, v8
	v_sub_co_u32_e32 v2, vcc, v2, v8
	s_nop 1
	v_subb_co_u32_e32 v3, vcc, v5, v8, vcc
.LBB448_1232:
	s_mov_b64 s[0:1], 0
.LBB448_1233:
	s_andn2_b64 vcc, exec, s[0:1]
	s_cbranch_vccnz .LBB448_1235
; %bb.1234:
	global_load_ushort v2, v[6:7], off
	s_waitcnt vmcnt(0)
	v_cvt_f32_f16_e32 v2, v2
	v_cvt_i32_f32_e32 v2, v2
	v_ashrrev_i32_e32 v3, 31, v2
.LBB448_1235:
	s_cbranch_execnz .LBB448_1255
.LBB448_1236:
	s_cmp_lt_i32 s22, 2
	s_cbranch_scc1 .LBB448_1240
; %bb.1237:
	s_cmp_lt_i32 s22, 3
	s_cbranch_scc1 .LBB448_1241
; %bb.1238:
	s_cmp_gt_i32 s22, 3
	s_cbranch_scc0 .LBB448_1242
; %bb.1239:
	global_load_dwordx2 v[2:3], v[6:7], off
	s_mov_b64 s[0:1], 0
	s_branch .LBB448_1243
.LBB448_1240:
	s_mov_b64 s[0:1], -1
                                        ; implicit-def: $vgpr2_vgpr3
	s_branch .LBB448_1249
.LBB448_1241:
	s_mov_b64 s[0:1], -1
                                        ; implicit-def: $vgpr2_vgpr3
	s_branch .LBB448_1246
.LBB448_1242:
	s_mov_b64 s[0:1], -1
                                        ; implicit-def: $vgpr2_vgpr3
.LBB448_1243:
	s_andn2_b64 vcc, exec, s[0:1]
	s_cbranch_vccnz .LBB448_1245
; %bb.1244:
	global_load_dword v2, v[6:7], off
	s_waitcnt vmcnt(0)
	v_ashrrev_i32_e32 v3, 31, v2
.LBB448_1245:
	s_mov_b64 s[0:1], 0
.LBB448_1246:
	s_andn2_b64 vcc, exec, s[0:1]
	s_cbranch_vccnz .LBB448_1248
; %bb.1247:
	global_load_ushort v2, v[6:7], off
	s_waitcnt vmcnt(0)
	v_bfe_i32 v2, v2, 0, 16
	v_ashrrev_i32_e32 v3, 31, v2
.LBB448_1248:
	s_mov_b64 s[0:1], 0
.LBB448_1249:
	s_andn2_b64 vcc, exec, s[0:1]
	s_cbranch_vccnz .LBB448_1255
; %bb.1250:
	s_cmp_gt_i32 s22, 0
	s_cbranch_scc0 .LBB448_1252
; %bb.1251:
	global_load_sbyte v2, v[6:7], off
	s_mov_b64 s[0:1], 0
	s_waitcnt vmcnt(0)
	v_bfe_i32 v2, v2, 0, 16
	v_ashrrev_i32_e32 v3, 31, v2
	s_branch .LBB448_1253
.LBB448_1252:
	s_mov_b64 s[0:1], -1
                                        ; implicit-def: $vgpr2_vgpr3
.LBB448_1253:
	s_andn2_b64 vcc, exec, s[0:1]
	s_cbranch_vccnz .LBB448_1255
; %bb.1254:
	global_load_ubyte v2, v[6:7], off
	s_mov_b32 s0, 0
	s_waitcnt vmcnt(1)
	v_mov_b32_e32 v3, s0
	s_waitcnt vmcnt(0)
	v_and_b32_e32 v2, 0xffff, v2
.LBB448_1255:
.LBB448_1256:
	v_add_u32_e32 v6, s9, v4
	v_ashrrev_i32_e32 v7, 31, v6
	s_cmp_lt_i32 s22, 11
	v_lshl_add_u64 v[8:9], s[6:7], 0, v[6:7]
	s_cbranch_scc1 .LBB448_1263
; %bb.1257:
	s_cmp_gt_i32 s22, 25
	s_mov_b64 s[2:3], 0
	s_cbranch_scc0 .LBB448_1265
; %bb.1258:
	s_cmp_gt_i32 s22, 28
	s_cbranch_scc0 .LBB448_1266
; %bb.1259:
	s_cmp_gt_i32 s22, 43
	;; [unrolled: 3-line block ×3, first 2 shown]
	s_cbranch_scc0 .LBB448_1269
; %bb.1261:
	s_cmp_eq_u32 s22, 46
	s_mov_b64 s[20:21], 0
	s_cbranch_scc0 .LBB448_1270
; %bb.1262:
	global_load_dword v4, v[8:9], off
	s_mov_b32 s0, 0x2f800000
	s_mov_b32 s1, 0xcf800000
	s_mov_b64 s[18:19], -1
	s_waitcnt vmcnt(0)
	v_lshlrev_b32_e32 v4, 16, v4
	v_trunc_f32_e32 v4, v4
	v_mul_f32_e64 v5, |v4|, s0
	v_floor_f32_e32 v5, v5
	v_fma_f32 v7, v5, s1, |v4|
	v_cvt_u32_f32_e32 v7, v7
	v_cvt_u32_f32_e32 v5, v5
	v_ashrrev_i32_e32 v11, 31, v4
	s_mov_b64 s[0:1], 0
	v_xor_b32_e32 v4, v7, v11
	v_xor_b32_e32 v5, v5, v11
	v_sub_co_u32_e32 v4, vcc, v4, v11
	s_nop 1
	v_subb_co_u32_e32 v5, vcc, v5, v11, vcc
	s_branch .LBB448_1271
.LBB448_1263:
	s_mov_b64 s[18:19], 0
                                        ; implicit-def: $vgpr4_vgpr5
	s_cbranch_execnz .LBB448_1333
.LBB448_1264:
	s_andn2_b64 vcc, exec, s[18:19]
	s_cbranch_vccnz .LBB448_1940
	s_branch .LBB448_1381
.LBB448_1265:
	s_mov_b64 s[20:21], -1
	s_mov_b64 s[18:19], 0
	s_mov_b64 s[0:1], 0
                                        ; implicit-def: $vgpr4_vgpr5
	s_branch .LBB448_1298
.LBB448_1266:
	s_mov_b64 s[20:21], -1
	s_mov_b64 s[18:19], 0
	s_mov_b64 s[0:1], 0
                                        ; implicit-def: $vgpr4_vgpr5
	s_branch .LBB448_1281
.LBB448_1267:
	s_mov_b64 s[20:21], -1
	s_mov_b64 s[18:19], 0
	s_mov_b64 s[0:1], 0
                                        ; implicit-def: $vgpr4_vgpr5
	s_branch .LBB448_1276
.LBB448_1268:
	s_trap 2
	s_or_b64 s[16:17], s[16:17], exec
	s_cbranch_execz .LBB448_1207
	s_branch .LBB448_1208
.LBB448_1269:
	s_mov_b64 s[20:21], -1
	s_mov_b64 s[18:19], 0
	s_mov_b64 s[0:1], 0
                                        ; implicit-def: $vgpr4_vgpr5
	s_branch .LBB448_1271
.LBB448_1270:
	s_mov_b64 s[0:1], -1
                                        ; implicit-def: $vgpr4_vgpr5
	s_mov_b64 s[18:19], 0
.LBB448_1271:
	s_and_b64 vcc, exec, s[20:21]
	s_cbranch_vccz .LBB448_1275
; %bb.1272:
	s_cmp_eq_u32 s22, 44
	s_cbranch_scc0 .LBB448_1274
; %bb.1273:
	global_load_ubyte v4, v[8:9], off
	s_mov_b32 s0, 0x2f800000
	s_mov_b32 s1, 0xcf800000
	s_mov_b64 s[18:19], -1
	s_waitcnt vmcnt(0)
	v_lshlrev_b32_e32 v5, 23, v4
	v_trunc_f32_e32 v5, v5
	v_mul_f32_e64 v7, |v5|, s0
	v_floor_f32_e32 v7, v7
	v_fma_f32 v11, v7, s1, |v5|
	v_cvt_u32_f32_e32 v11, v11
	v_cvt_u32_f32_e32 v7, v7
	v_ashrrev_i32_e32 v5, 31, v5
	s_mov_b64 s[0:1], 0
	v_xor_b32_e32 v11, v11, v5
	v_xor_b32_e32 v7, v7, v5
	v_sub_co_u32_e32 v11, vcc, v11, v5
	s_nop 1
	v_subb_co_u32_e32 v5, vcc, v7, v5, vcc
	v_cmp_ne_u32_e32 vcc, 0, v4
	s_nop 1
	v_cndmask_b32_e32 v5, 0, v5, vcc
	v_cndmask_b32_e32 v4, 0, v11, vcc
	s_branch .LBB448_1275
.LBB448_1274:
	s_mov_b64 s[0:1], -1
                                        ; implicit-def: $vgpr4_vgpr5
.LBB448_1275:
	s_mov_b64 s[20:21], 0
.LBB448_1276:
	s_and_b64 vcc, exec, s[20:21]
	s_cbranch_vccz .LBB448_1280
; %bb.1277:
	s_cmp_eq_u32 s22, 29
	s_cbranch_scc0 .LBB448_1279
; %bb.1278:
	global_load_dwordx2 v[4:5], v[8:9], off
	s_mov_b64 s[0:1], 0
	s_mov_b64 s[18:19], -1
	s_branch .LBB448_1280
.LBB448_1279:
	s_mov_b64 s[0:1], -1
                                        ; implicit-def: $vgpr4_vgpr5
.LBB448_1280:
	s_mov_b64 s[20:21], 0
.LBB448_1281:
	s_and_b64 vcc, exec, s[20:21]
	s_cbranch_vccz .LBB448_1297
; %bb.1282:
	s_cmp_lt_i32 s22, 27
	s_cbranch_scc1 .LBB448_1285
; %bb.1283:
	s_cmp_gt_i32 s22, 27
	s_cbranch_scc0 .LBB448_1286
; %bb.1284:
	global_load_dword v4, v[8:9], off
	s_waitcnt vmcnt(1)
	v_mov_b32_e32 v5, 0
	s_mov_b64 s[18:19], 0
	s_branch .LBB448_1287
.LBB448_1285:
	s_mov_b64 s[18:19], -1
                                        ; implicit-def: $vgpr4_vgpr5
	s_branch .LBB448_1290
.LBB448_1286:
	s_mov_b64 s[18:19], -1
                                        ; implicit-def: $vgpr4_vgpr5
.LBB448_1287:
	s_andn2_b64 vcc, exec, s[18:19]
	s_cbranch_vccnz .LBB448_1289
; %bb.1288:
	global_load_ushort v4, v[8:9], off
	s_mov_b32 s18, 0
	s_waitcnt vmcnt(1)
	v_mov_b32_e32 v5, s18
	s_waitcnt vmcnt(0)
	v_and_b32_e32 v4, 0xffff, v4
.LBB448_1289:
	s_mov_b64 s[18:19], 0
.LBB448_1290:
	s_andn2_b64 vcc, exec, s[18:19]
	s_cbranch_vccnz .LBB448_1296
; %bb.1291:
	global_load_ubyte v7, v[8:9], off
	s_movk_i32 s18, 0x7f
	s_mov_b64 s[20:21], 0
	s_waitcnt vmcnt(0)
	v_cmp_lt_i16_e32 vcc, s18, v7
	s_and_saveexec_b64 s[18:19], vcc
	s_xor_b64 s[18:19], exec, s[18:19]
	s_cbranch_execz .LBB448_1308
; %bb.1292:
	s_movk_i32 s20, 0x80
	v_cmp_ne_u16_e32 vcc, s20, v7
	s_and_b64 s[20:21], vcc, exec
	s_andn2_saveexec_b64 s[18:19], s[18:19]
	s_cbranch_execnz .LBB448_1309
.LBB448_1293:
	s_or_b64 exec, exec, s[18:19]
	v_mov_b64_e32 v[4:5], 0
	s_and_saveexec_b64 s[18:19], s[20:21]
	s_cbranch_execz .LBB448_1295
.LBB448_1294:
	v_and_b32_e32 v5, 0xffff, v7
	v_lshlrev_b32_e32 v4, 24, v7
	v_and_b32_e32 v7, 7, v5
	v_ffbh_u32_e32 v12, v7
	v_min_u32_e32 v12, 32, v12
	v_subrev_u32_e32 v13, 28, v12
	v_bfe_u32 v11, v5, 3, 4
	v_lshlrev_b32_e32 v5, v13, v5
	v_sub_u32_e32 v12, 29, v12
	v_and_b32_e32 v5, 7, v5
	v_cmp_eq_u32_e32 vcc, 0, v11
	v_and_b32_e32 v4, 0x80000000, v4
	s_mov_b32 s20, 0x2f800000
	v_cndmask_b32_e32 v11, v11, v12, vcc
	v_cndmask_b32_e32 v5, v7, v5, vcc
	v_mov_b32_e32 v7, 0x3b800000
	v_lshlrev_b32_e32 v5, 20, v5
	v_lshl_add_u32 v7, v11, 23, v7
	v_or3_b32 v4, v4, v7, v5
	v_trunc_f32_e32 v4, v4
	v_mul_f32_e64 v5, |v4|, s20
	v_floor_f32_e32 v5, v5
	s_mov_b32 s20, 0xcf800000
	v_fma_f32 v7, v5, s20, |v4|
	v_cvt_u32_f32_e32 v7, v7
	v_cvt_u32_f32_e32 v5, v5
	v_ashrrev_i32_e32 v11, 31, v4
	v_xor_b32_e32 v4, v7, v11
	v_xor_b32_e32 v5, v5, v11
	v_sub_co_u32_e32 v4, vcc, v4, v11
	s_nop 1
	v_subb_co_u32_e32 v5, vcc, v5, v11, vcc
.LBB448_1295:
	s_or_b64 exec, exec, s[18:19]
.LBB448_1296:
	s_mov_b64 s[18:19], -1
.LBB448_1297:
	s_mov_b64 s[20:21], 0
.LBB448_1298:
	s_and_b64 vcc, exec, s[20:21]
	s_cbranch_vccz .LBB448_1329
; %bb.1299:
	s_cmp_gt_i32 s22, 22
	s_cbranch_scc0 .LBB448_1307
; %bb.1300:
	s_cmp_lt_i32 s22, 24
	s_cbranch_scc1 .LBB448_1310
; %bb.1301:
	s_cmp_gt_i32 s22, 24
	s_cbranch_scc0 .LBB448_1311
; %bb.1302:
	global_load_ubyte v7, v[8:9], off
	s_movk_i32 s2, 0x7f
	s_mov_b64 s[18:19], 0
	s_waitcnt vmcnt(0)
	v_cmp_lt_i16_e32 vcc, s2, v7
	s_and_saveexec_b64 s[2:3], vcc
	s_xor_b64 s[2:3], exec, s[2:3]
	s_cbranch_execz .LBB448_1323
; %bb.1303:
	s_movk_i32 s18, 0x80
	v_cmp_ne_u16_e32 vcc, s18, v7
	s_and_b64 s[18:19], vcc, exec
	s_andn2_saveexec_b64 s[2:3], s[2:3]
	s_cbranch_execnz .LBB448_1324
.LBB448_1304:
	s_or_b64 exec, exec, s[2:3]
	v_mov_b64_e32 v[4:5], 0
	s_and_saveexec_b64 s[2:3], s[18:19]
	s_cbranch_execz .LBB448_1306
.LBB448_1305:
	v_and_b32_e32 v5, 0xffff, v7
	v_lshlrev_b32_e32 v4, 24, v7
	v_and_b32_e32 v7, 3, v5
	v_ffbh_u32_e32 v12, v7
	v_min_u32_e32 v12, 32, v12
	v_subrev_u32_e32 v13, 29, v12
	v_bfe_u32 v11, v5, 2, 5
	v_lshlrev_b32_e32 v5, v13, v5
	v_sub_u32_e32 v12, 30, v12
	v_and_b32_e32 v5, 3, v5
	v_cmp_eq_u32_e32 vcc, 0, v11
	v_and_b32_e32 v4, 0x80000000, v4
	s_mov_b32 s18, 0x2f800000
	v_cndmask_b32_e32 v11, v11, v12, vcc
	v_cndmask_b32_e32 v5, v7, v5, vcc
	v_mov_b32_e32 v7, 0x37800000
	v_lshlrev_b32_e32 v5, 21, v5
	v_lshl_add_u32 v7, v11, 23, v7
	v_or3_b32 v4, v4, v7, v5
	v_trunc_f32_e32 v4, v4
	v_mul_f32_e64 v5, |v4|, s18
	v_floor_f32_e32 v5, v5
	s_mov_b32 s18, 0xcf800000
	v_fma_f32 v7, v5, s18, |v4|
	v_cvt_u32_f32_e32 v7, v7
	v_cvt_u32_f32_e32 v5, v5
	v_ashrrev_i32_e32 v11, 31, v4
	v_xor_b32_e32 v4, v7, v11
	v_xor_b32_e32 v5, v5, v11
	v_sub_co_u32_e32 v4, vcc, v4, v11
	s_nop 1
	v_subb_co_u32_e32 v5, vcc, v5, v11, vcc
.LBB448_1306:
	s_or_b64 exec, exec, s[2:3]
	s_mov_b64 s[2:3], 0
	s_branch .LBB448_1312
.LBB448_1307:
	s_mov_b64 s[2:3], -1
                                        ; implicit-def: $vgpr4_vgpr5
	s_branch .LBB448_1318
.LBB448_1308:
	s_andn2_saveexec_b64 s[18:19], s[18:19]
	s_cbranch_execz .LBB448_1293
.LBB448_1309:
	v_cmp_ne_u16_e32 vcc, 0, v7
	s_andn2_b64 s[20:21], s[20:21], exec
	s_and_b64 s[24:25], vcc, exec
	s_or_b64 s[20:21], s[20:21], s[24:25]
	s_or_b64 exec, exec, s[18:19]
	v_mov_b64_e32 v[4:5], 0
	s_and_saveexec_b64 s[18:19], s[20:21]
	s_cbranch_execnz .LBB448_1294
	s_branch .LBB448_1295
.LBB448_1310:
	s_mov_b64 s[2:3], -1
                                        ; implicit-def: $vgpr4_vgpr5
	s_branch .LBB448_1315
.LBB448_1311:
	s_mov_b64 s[2:3], -1
                                        ; implicit-def: $vgpr4_vgpr5
.LBB448_1312:
	s_and_b64 vcc, exec, s[2:3]
	s_cbranch_vccz .LBB448_1314
; %bb.1313:
	global_load_ubyte v4, v[8:9], off
	s_mov_b32 s2, 0x7f800000
	s_brev_b32 s3, 1
	s_mov_b32 s18, 0x2f800000
	s_mov_b32 s19, 0xcf800000
	s_waitcnt vmcnt(0)
	v_lshlrev_b32_e32 v4, 24, v4
	v_and_b32_e32 v5, 0x7f000000, v4
	v_ffbh_u32_e32 v7, v5
	v_min_u32_e32 v7, 32, v7
	v_sub_u32_e64 v7, v7, 4 clamp
	v_lshlrev_b32_e32 v12, v7, v5
	v_lshlrev_b32_e32 v7, 23, v7
	v_lshrrev_b32_e32 v12, 4, v12
	v_add_u32_e32 v11, 0x1000000, v5
	v_sub_u32_e32 v7, v12, v7
	v_ashrrev_i32_e32 v11, 8, v11
	v_add_u32_e32 v7, 0x3c000000, v7
	v_and_or_b32 v7, v11, s2, v7
	v_cmp_ne_u32_e32 vcc, 0, v5
	s_nop 1
	v_cndmask_b32_e32 v5, 0, v7, vcc
	v_and_or_b32 v4, v4, s3, v5
	v_trunc_f32_e32 v4, v4
	v_mul_f32_e64 v5, |v4|, s18
	v_floor_f32_e32 v5, v5
	v_fma_f32 v7, v5, s19, |v4|
	v_cvt_u32_f32_e32 v7, v7
	v_cvt_u32_f32_e32 v5, v5
	v_ashrrev_i32_e32 v11, 31, v4
	v_xor_b32_e32 v4, v7, v11
	v_xor_b32_e32 v5, v5, v11
	v_sub_co_u32_e32 v4, vcc, v4, v11
	s_nop 1
	v_subb_co_u32_e32 v5, vcc, v5, v11, vcc
.LBB448_1314:
	s_mov_b64 s[2:3], 0
.LBB448_1315:
	s_andn2_b64 vcc, exec, s[2:3]
	s_cbranch_vccnz .LBB448_1317
; %bb.1316:
	global_load_ubyte v4, v[8:9], off
	s_movk_i32 s2, 0x7f00
	s_brev_b32 s3, 16
	s_brev_b32 s18, 1
	s_mov_b32 s19, 0x2f800000
	s_mov_b32 s20, 0xcf800000
	s_waitcnt vmcnt(0)
	v_lshlrev_b16_e32 v5, 8, v4
	v_lshlrev_b32_e32 v4, 25, v4
	v_lshrrev_b32_e32 v7, 4, v4
	v_and_or_b32 v11, v5, s2, 0.5
	v_or_b32_e32 v7, 0x70000000, v7
	v_add_f32_e32 v11, -0.5, v11
	v_mul_f32_e32 v7, 0x7800000, v7
	v_cmp_gt_u32_e32 vcc, s3, v4
	v_bfe_i32 v5, v5, 0, 16
	s_nop 0
	v_cndmask_b32_e32 v4, v7, v11, vcc
	v_and_or_b32 v4, v5, s18, v4
	v_trunc_f32_e32 v4, v4
	v_mul_f32_e64 v5, |v4|, s19
	v_floor_f32_e32 v5, v5
	v_fma_f32 v7, v5, s20, |v4|
	v_cvt_u32_f32_e32 v7, v7
	v_cvt_u32_f32_e32 v5, v5
	v_ashrrev_i32_e32 v11, 31, v4
	v_xor_b32_e32 v4, v7, v11
	v_xor_b32_e32 v5, v5, v11
	v_sub_co_u32_e32 v4, vcc, v4, v11
	s_nop 1
	v_subb_co_u32_e32 v5, vcc, v5, v11, vcc
.LBB448_1317:
	s_mov_b64 s[2:3], 0
	s_mov_b64 s[18:19], -1
.LBB448_1318:
	s_andn2_b64 vcc, exec, s[2:3]
	s_mov_b64 s[2:3], 0
	s_cbranch_vccnz .LBB448_1329
; %bb.1319:
	s_cmp_gt_i32 s22, 14
	s_cbranch_scc0 .LBB448_1322
; %bb.1320:
	s_cmp_eq_u32 s22, 15
	s_cbranch_scc0 .LBB448_1325
; %bb.1321:
	global_load_ushort v4, v[8:9], off
	s_mov_b32 s0, 0x2f800000
	s_mov_b32 s1, 0xcf800000
	s_mov_b64 s[18:19], -1
	s_waitcnt vmcnt(0)
	v_lshlrev_b32_e32 v4, 16, v4
	v_trunc_f32_e32 v4, v4
	v_mul_f32_e64 v5, |v4|, s0
	v_floor_f32_e32 v5, v5
	v_fma_f32 v7, v5, s1, |v4|
	v_cvt_u32_f32_e32 v7, v7
	v_cvt_u32_f32_e32 v5, v5
	v_ashrrev_i32_e32 v11, 31, v4
	s_mov_b64 s[0:1], 0
	v_xor_b32_e32 v4, v7, v11
	v_xor_b32_e32 v5, v5, v11
	v_sub_co_u32_e32 v4, vcc, v4, v11
	s_nop 1
	v_subb_co_u32_e32 v5, vcc, v5, v11, vcc
	s_branch .LBB448_1326
.LBB448_1322:
	s_mov_b64 s[20:21], -1
                                        ; implicit-def: $vgpr4_vgpr5
	s_branch .LBB448_1327
.LBB448_1323:
	s_andn2_saveexec_b64 s[2:3], s[2:3]
	s_cbranch_execz .LBB448_1304
.LBB448_1324:
	v_cmp_ne_u16_e32 vcc, 0, v7
	s_andn2_b64 s[18:19], s[18:19], exec
	s_and_b64 s[20:21], vcc, exec
	s_or_b64 s[18:19], s[18:19], s[20:21]
	s_or_b64 exec, exec, s[2:3]
	v_mov_b64_e32 v[4:5], 0
	s_and_saveexec_b64 s[2:3], s[18:19]
	s_cbranch_execnz .LBB448_1305
	s_branch .LBB448_1306
.LBB448_1325:
	s_mov_b64 s[0:1], -1
                                        ; implicit-def: $vgpr4_vgpr5
.LBB448_1326:
	s_mov_b64 s[20:21], 0
.LBB448_1327:
	s_and_b64 vcc, exec, s[20:21]
	s_cbranch_vccz .LBB448_1329
; %bb.1328:
	s_cmp_lg_u32 s22, 11
	s_mov_b64 s[2:3], -1
	s_cselect_b64 s[0:1], -1, 0
.LBB448_1329:
	s_and_b64 vcc, exec, s[0:1]
	s_cbranch_vccnz .LBB448_1392
; %bb.1330:
	s_andn2_b64 vcc, exec, s[2:3]
	s_cbranch_vccnz .LBB448_1332
.LBB448_1331:
	global_load_ubyte v4, v[8:9], off
	s_mov_b32 s0, 0
	s_waitcnt vmcnt(1)
	v_mov_b32_e32 v5, s0
	s_mov_b64 s[18:19], -1
	s_waitcnt vmcnt(0)
	v_cmp_ne_u16_e32 vcc, 0, v4
	s_nop 1
	v_cndmask_b32_e64 v4, 0, 1, vcc
.LBB448_1332:
	s_branch .LBB448_1264
.LBB448_1333:
	s_cmp_lt_i32 s22, 5
	s_cbranch_scc1 .LBB448_1338
; %bb.1334:
	s_cmp_lt_i32 s22, 8
	s_cbranch_scc1 .LBB448_1339
; %bb.1335:
	;; [unrolled: 3-line block ×3, first 2 shown]
	s_cmp_gt_i32 s22, 9
	s_cbranch_scc0 .LBB448_1341
; %bb.1337:
	global_load_dwordx2 v[4:5], v[8:9], off
	s_movk_i32 s0, 0xffe0
	s_waitcnt vmcnt(0)
	v_trunc_f64_e32 v[12:13], v[4:5]
	v_ldexp_f64 v[4:5], v[12:13], s0
	v_floor_f64_e32 v[14:15], v[4:5]
	v_fmac_f64_e32 v[12:13], 0xc1f00000, v[14:15]
	v_cvt_i32_f64_e32 v5, v[14:15]
	v_cvt_u32_f64_e32 v4, v[12:13]
	s_mov_b64 s[0:1], 0
	s_branch .LBB448_1342
.LBB448_1338:
	s_mov_b64 s[0:1], -1
                                        ; implicit-def: $vgpr4_vgpr5
	s_branch .LBB448_1360
.LBB448_1339:
	s_mov_b64 s[0:1], -1
                                        ; implicit-def: $vgpr4_vgpr5
	s_branch .LBB448_1348
.LBB448_1340:
	s_mov_b64 s[0:1], -1
                                        ; implicit-def: $vgpr4_vgpr5
	s_branch .LBB448_1345
.LBB448_1341:
	s_mov_b64 s[0:1], -1
                                        ; implicit-def: $vgpr4_vgpr5
.LBB448_1342:
	s_andn2_b64 vcc, exec, s[0:1]
	s_cbranch_vccnz .LBB448_1344
; %bb.1343:
	global_load_dword v4, v[8:9], off
	s_mov_b32 s0, 0x2f800000
	s_mov_b32 s1, 0xcf800000
	s_waitcnt vmcnt(0)
	v_trunc_f32_e32 v4, v4
	v_mul_f32_e64 v5, |v4|, s0
	v_floor_f32_e32 v5, v5
	v_cvt_u32_f32_e32 v7, v5
	v_fma_f32 v5, v5, s1, |v4|
	v_cvt_u32_f32_e32 v5, v5
	v_ashrrev_i32_e32 v11, 31, v4
	v_xor_b32_e32 v7, v7, v11
	v_xor_b32_e32 v4, v5, v11
	v_sub_co_u32_e32 v4, vcc, v4, v11
	s_nop 1
	v_subb_co_u32_e32 v5, vcc, v7, v11, vcc
.LBB448_1344:
	s_mov_b64 s[0:1], 0
.LBB448_1345:
	s_andn2_b64 vcc, exec, s[0:1]
	s_cbranch_vccnz .LBB448_1347
; %bb.1346:
	global_load_dword v4, v[8:9], off
	s_waitcnt vmcnt(0)
	v_cvt_f32_f16_e32 v4, v4
	v_cvt_i32_f32_e32 v4, v4
	v_ashrrev_i32_e32 v5, 31, v4
.LBB448_1347:
	s_mov_b64 s[0:1], 0
.LBB448_1348:
	s_andn2_b64 vcc, exec, s[0:1]
	s_cbranch_vccnz .LBB448_1359
; %bb.1349:
	s_cmp_lt_i32 s22, 6
	s_cbranch_scc1 .LBB448_1352
; %bb.1350:
	s_cmp_gt_i32 s22, 6
	s_cbranch_scc0 .LBB448_1353
; %bb.1351:
	global_load_dwordx2 v[4:5], v[8:9], off
	s_movk_i32 s0, 0xffe0
	s_waitcnt vmcnt(0)
	v_trunc_f64_e32 v[12:13], v[4:5]
	v_ldexp_f64 v[4:5], v[12:13], s0
	v_floor_f64_e32 v[14:15], v[4:5]
	v_fmac_f64_e32 v[12:13], 0xc1f00000, v[14:15]
	v_cvt_i32_f64_e32 v5, v[14:15]
	v_cvt_u32_f64_e32 v4, v[12:13]
	s_mov_b64 s[0:1], 0
	s_branch .LBB448_1354
.LBB448_1352:
	s_mov_b64 s[0:1], -1
                                        ; implicit-def: $vgpr4_vgpr5
	s_branch .LBB448_1357
.LBB448_1353:
	s_mov_b64 s[0:1], -1
                                        ; implicit-def: $vgpr4_vgpr5
.LBB448_1354:
	s_andn2_b64 vcc, exec, s[0:1]
	s_cbranch_vccnz .LBB448_1356
; %bb.1355:
	global_load_dword v4, v[8:9], off
	s_mov_b32 s0, 0x2f800000
	s_mov_b32 s1, 0xcf800000
	s_waitcnt vmcnt(0)
	v_trunc_f32_e32 v4, v4
	v_mul_f32_e64 v5, |v4|, s0
	v_floor_f32_e32 v5, v5
	v_cvt_u32_f32_e32 v7, v5
	v_fma_f32 v5, v5, s1, |v4|
	v_cvt_u32_f32_e32 v5, v5
	v_ashrrev_i32_e32 v11, 31, v4
	v_xor_b32_e32 v7, v7, v11
	v_xor_b32_e32 v4, v5, v11
	v_sub_co_u32_e32 v4, vcc, v4, v11
	s_nop 1
	v_subb_co_u32_e32 v5, vcc, v7, v11, vcc
.LBB448_1356:
	s_mov_b64 s[0:1], 0
.LBB448_1357:
	s_andn2_b64 vcc, exec, s[0:1]
	s_cbranch_vccnz .LBB448_1359
; %bb.1358:
	global_load_ushort v4, v[8:9], off
	s_waitcnt vmcnt(0)
	v_cvt_f32_f16_e32 v4, v4
	v_cvt_i32_f32_e32 v4, v4
	v_ashrrev_i32_e32 v5, 31, v4
.LBB448_1359:
	s_mov_b64 s[0:1], 0
.LBB448_1360:
	s_andn2_b64 vcc, exec, s[0:1]
	s_cbranch_vccnz .LBB448_1380
; %bb.1361:
	s_cmp_lt_i32 s22, 2
	s_cbranch_scc1 .LBB448_1365
; %bb.1362:
	s_cmp_lt_i32 s22, 3
	s_cbranch_scc1 .LBB448_1366
; %bb.1363:
	s_cmp_gt_i32 s22, 3
	s_cbranch_scc0 .LBB448_1367
; %bb.1364:
	global_load_dwordx2 v[4:5], v[8:9], off
	s_mov_b64 s[0:1], 0
	s_branch .LBB448_1368
.LBB448_1365:
	s_mov_b64 s[0:1], -1
                                        ; implicit-def: $vgpr4_vgpr5
	s_branch .LBB448_1374
.LBB448_1366:
	s_mov_b64 s[0:1], -1
                                        ; implicit-def: $vgpr4_vgpr5
	s_branch .LBB448_1371
.LBB448_1367:
	s_mov_b64 s[0:1], -1
                                        ; implicit-def: $vgpr4_vgpr5
.LBB448_1368:
	s_andn2_b64 vcc, exec, s[0:1]
	s_cbranch_vccnz .LBB448_1370
; %bb.1369:
	global_load_dword v4, v[8:9], off
	s_waitcnt vmcnt(0)
	v_ashrrev_i32_e32 v5, 31, v4
.LBB448_1370:
	s_mov_b64 s[0:1], 0
.LBB448_1371:
	s_andn2_b64 vcc, exec, s[0:1]
	s_cbranch_vccnz .LBB448_1373
; %bb.1372:
	global_load_ushort v4, v[8:9], off
	s_waitcnt vmcnt(0)
	v_bfe_i32 v4, v4, 0, 16
	v_ashrrev_i32_e32 v5, 31, v4
.LBB448_1373:
	s_mov_b64 s[0:1], 0
.LBB448_1374:
	s_andn2_b64 vcc, exec, s[0:1]
	s_cbranch_vccnz .LBB448_1380
; %bb.1375:
	s_cmp_gt_i32 s22, 0
	s_cbranch_scc0 .LBB448_1377
; %bb.1376:
	global_load_sbyte v4, v[8:9], off
	s_mov_b64 s[0:1], 0
	s_waitcnt vmcnt(0)
	v_bfe_i32 v4, v4, 0, 16
	v_ashrrev_i32_e32 v5, 31, v4
	s_branch .LBB448_1378
.LBB448_1377:
	s_mov_b64 s[0:1], -1
                                        ; implicit-def: $vgpr4_vgpr5
.LBB448_1378:
	s_andn2_b64 vcc, exec, s[0:1]
	s_cbranch_vccnz .LBB448_1380
; %bb.1379:
	global_load_ubyte v4, v[8:9], off
	s_mov_b32 s0, 0
	s_waitcnt vmcnt(1)
	v_mov_b32_e32 v5, s0
	s_waitcnt vmcnt(0)
	v_and_b32_e32 v4, 0xffff, v4
.LBB448_1380:
.LBB448_1381:
	v_add_u32_e32 v6, s9, v6
	v_ashrrev_i32_e32 v7, 31, v6
	s_cmp_lt_i32 s22, 11
	v_lshl_add_u64 v[8:9], s[6:7], 0, v[6:7]
	s_cbranch_scc1 .LBB448_1388
; %bb.1382:
	s_cmp_gt_i32 s22, 25
	s_mov_b64 s[2:3], 0
	s_cbranch_scc0 .LBB448_1389
; %bb.1383:
	s_cmp_gt_i32 s22, 28
	s_cbranch_scc0 .LBB448_1390
; %bb.1384:
	s_cmp_gt_i32 s22, 43
	;; [unrolled: 3-line block ×3, first 2 shown]
	s_cbranch_scc0 .LBB448_1393
; %bb.1386:
	s_cmp_eq_u32 s22, 46
	s_mov_b64 s[18:19], 0
	s_cbranch_scc0 .LBB448_1394
; %bb.1387:
	global_load_dword v6, v[8:9], off
	s_mov_b32 s0, 0x2f800000
	s_mov_b32 s1, 0xcf800000
	s_mov_b64 s[6:7], -1
	s_waitcnt vmcnt(0)
	v_lshlrev_b32_e32 v6, 16, v6
	v_trunc_f32_e32 v6, v6
	v_mul_f32_e64 v7, |v6|, s0
	v_floor_f32_e32 v7, v7
	v_fma_f32 v11, v7, s1, |v6|
	v_cvt_u32_f32_e32 v11, v11
	v_cvt_u32_f32_e32 v7, v7
	v_ashrrev_i32_e32 v12, 31, v6
	s_mov_b64 s[0:1], 0
	v_xor_b32_e32 v6, v11, v12
	v_xor_b32_e32 v7, v7, v12
	v_sub_co_u32_e32 v6, vcc, v6, v12
	s_nop 1
	v_subb_co_u32_e32 v7, vcc, v7, v12, vcc
	s_branch .LBB448_1395
.LBB448_1388:
	s_mov_b64 s[0:1], -1
	s_mov_b64 s[6:7], 0
                                        ; implicit-def: $vgpr6_vgpr7
	s_branch .LBB448_1457
.LBB448_1389:
	s_mov_b64 s[18:19], -1
	s_mov_b64 s[6:7], 0
	s_mov_b64 s[0:1], 0
                                        ; implicit-def: $vgpr6_vgpr7
	s_branch .LBB448_1422
.LBB448_1390:
	s_mov_b64 s[18:19], -1
	s_mov_b64 s[6:7], 0
	s_mov_b64 s[0:1], 0
                                        ; implicit-def: $vgpr6_vgpr7
	s_branch .LBB448_1405
.LBB448_1391:
	s_mov_b64 s[18:19], -1
	s_mov_b64 s[6:7], 0
	s_mov_b64 s[0:1], 0
                                        ; implicit-def: $vgpr6_vgpr7
	s_branch .LBB448_1400
.LBB448_1392:
	s_trap 2
	s_or_b64 s[16:17], s[16:17], exec
	s_cbranch_execz .LBB448_1331
	s_branch .LBB448_1332
.LBB448_1393:
	s_mov_b64 s[18:19], -1
	s_mov_b64 s[6:7], 0
	s_mov_b64 s[0:1], 0
                                        ; implicit-def: $vgpr6_vgpr7
	s_branch .LBB448_1395
.LBB448_1394:
	s_mov_b64 s[0:1], -1
                                        ; implicit-def: $vgpr6_vgpr7
	s_mov_b64 s[6:7], 0
.LBB448_1395:
	s_and_b64 vcc, exec, s[18:19]
	s_cbranch_vccz .LBB448_1399
; %bb.1396:
	s_cmp_eq_u32 s22, 44
	s_cbranch_scc0 .LBB448_1398
; %bb.1397:
	global_load_ubyte v6, v[8:9], off
	s_mov_b32 s0, 0x2f800000
	s_mov_b32 s1, 0xcf800000
	s_mov_b64 s[6:7], -1
	s_waitcnt vmcnt(0)
	v_lshlrev_b32_e32 v7, 23, v6
	v_trunc_f32_e32 v7, v7
	v_mul_f32_e64 v11, |v7|, s0
	v_floor_f32_e32 v11, v11
	v_fma_f32 v12, v11, s1, |v7|
	v_cvt_u32_f32_e32 v12, v12
	v_cvt_u32_f32_e32 v11, v11
	v_ashrrev_i32_e32 v7, 31, v7
	s_mov_b64 s[0:1], 0
	v_xor_b32_e32 v12, v12, v7
	v_xor_b32_e32 v11, v11, v7
	v_sub_co_u32_e32 v12, vcc, v12, v7
	s_nop 1
	v_subb_co_u32_e32 v7, vcc, v11, v7, vcc
	v_cmp_ne_u32_e32 vcc, 0, v6
	s_nop 1
	v_cndmask_b32_e32 v7, 0, v7, vcc
	v_cndmask_b32_e32 v6, 0, v12, vcc
	s_branch .LBB448_1399
.LBB448_1398:
	s_mov_b64 s[0:1], -1
                                        ; implicit-def: $vgpr6_vgpr7
.LBB448_1399:
	s_mov_b64 s[18:19], 0
.LBB448_1400:
	s_and_b64 vcc, exec, s[18:19]
	s_cbranch_vccz .LBB448_1404
; %bb.1401:
	s_cmp_eq_u32 s22, 29
	s_cbranch_scc0 .LBB448_1403
; %bb.1402:
	global_load_dwordx2 v[6:7], v[8:9], off
	s_mov_b64 s[0:1], 0
	s_mov_b64 s[6:7], -1
	s_branch .LBB448_1404
.LBB448_1403:
	s_mov_b64 s[0:1], -1
                                        ; implicit-def: $vgpr6_vgpr7
.LBB448_1404:
	s_mov_b64 s[18:19], 0
.LBB448_1405:
	s_and_b64 vcc, exec, s[18:19]
	s_cbranch_vccz .LBB448_1421
; %bb.1406:
	s_cmp_lt_i32 s22, 27
	s_cbranch_scc1 .LBB448_1409
; %bb.1407:
	s_cmp_gt_i32 s22, 27
	s_cbranch_scc0 .LBB448_1410
; %bb.1408:
	global_load_dword v6, v[8:9], off
	s_waitcnt vmcnt(1)
	v_mov_b32_e32 v7, 0
	s_mov_b64 s[6:7], 0
	s_branch .LBB448_1411
.LBB448_1409:
	s_mov_b64 s[6:7], -1
                                        ; implicit-def: $vgpr6_vgpr7
	s_branch .LBB448_1414
.LBB448_1410:
	s_mov_b64 s[6:7], -1
                                        ; implicit-def: $vgpr6_vgpr7
.LBB448_1411:
	s_andn2_b64 vcc, exec, s[6:7]
	s_cbranch_vccnz .LBB448_1413
; %bb.1412:
	global_load_ushort v6, v[8:9], off
	s_mov_b32 s6, 0
	s_waitcnt vmcnt(1)
	v_mov_b32_e32 v7, s6
	s_waitcnt vmcnt(0)
	v_and_b32_e32 v6, 0xffff, v6
.LBB448_1413:
	s_mov_b64 s[6:7], 0
.LBB448_1414:
	s_andn2_b64 vcc, exec, s[6:7]
	s_cbranch_vccnz .LBB448_1420
; %bb.1415:
	global_load_ubyte v11, v[8:9], off
	s_movk_i32 s6, 0x7f
	s_mov_b64 s[18:19], 0
	s_waitcnt vmcnt(0)
	v_cmp_lt_i16_e32 vcc, s6, v11
	s_and_saveexec_b64 s[6:7], vcc
	s_xor_b64 s[6:7], exec, s[6:7]
	s_cbranch_execz .LBB448_1432
; %bb.1416:
	s_movk_i32 s9, 0x80
	v_cmp_ne_u16_e32 vcc, s9, v11
	s_and_b64 s[18:19], vcc, exec
	s_andn2_saveexec_b64 s[6:7], s[6:7]
	s_cbranch_execnz .LBB448_1433
.LBB448_1417:
	s_or_b64 exec, exec, s[6:7]
	v_mov_b64_e32 v[6:7], 0
	s_and_saveexec_b64 s[6:7], s[18:19]
	s_cbranch_execz .LBB448_1419
.LBB448_1418:
	v_and_b32_e32 v7, 0xffff, v11
	v_lshlrev_b32_e32 v6, 24, v11
	v_and_b32_e32 v11, 7, v7
	v_ffbh_u32_e32 v13, v11
	v_min_u32_e32 v13, 32, v13
	v_subrev_u32_e32 v14, 28, v13
	v_bfe_u32 v12, v7, 3, 4
	v_lshlrev_b32_e32 v7, v14, v7
	v_sub_u32_e32 v13, 29, v13
	v_and_b32_e32 v7, 7, v7
	v_cmp_eq_u32_e32 vcc, 0, v12
	v_and_b32_e32 v6, 0x80000000, v6
	s_mov_b32 s9, 0x2f800000
	v_cndmask_b32_e32 v12, v12, v13, vcc
	v_cndmask_b32_e32 v7, v11, v7, vcc
	v_mov_b32_e32 v11, 0x3b800000
	v_lshlrev_b32_e32 v7, 20, v7
	v_lshl_add_u32 v11, v12, 23, v11
	v_or3_b32 v6, v6, v11, v7
	v_trunc_f32_e32 v6, v6
	v_mul_f32_e64 v7, |v6|, s9
	v_floor_f32_e32 v7, v7
	s_mov_b32 s9, 0xcf800000
	v_fma_f32 v11, v7, s9, |v6|
	v_cvt_u32_f32_e32 v11, v11
	v_cvt_u32_f32_e32 v7, v7
	v_ashrrev_i32_e32 v12, 31, v6
	v_xor_b32_e32 v6, v11, v12
	v_xor_b32_e32 v7, v7, v12
	v_sub_co_u32_e32 v6, vcc, v6, v12
	s_nop 1
	v_subb_co_u32_e32 v7, vcc, v7, v12, vcc
.LBB448_1419:
	s_or_b64 exec, exec, s[6:7]
.LBB448_1420:
	s_mov_b64 s[6:7], -1
.LBB448_1421:
	s_mov_b64 s[18:19], 0
.LBB448_1422:
	s_and_b64 vcc, exec, s[18:19]
	s_cbranch_vccz .LBB448_1453
; %bb.1423:
	s_cmp_gt_i32 s22, 22
	s_cbranch_scc0 .LBB448_1431
; %bb.1424:
	s_cmp_lt_i32 s22, 24
	s_cbranch_scc1 .LBB448_1434
; %bb.1425:
	s_cmp_gt_i32 s22, 24
	s_cbranch_scc0 .LBB448_1435
; %bb.1426:
	global_load_ubyte v11, v[8:9], off
	s_movk_i32 s2, 0x7f
	s_mov_b64 s[6:7], 0
	s_waitcnt vmcnt(0)
	v_cmp_lt_i16_e32 vcc, s2, v11
	s_and_saveexec_b64 s[2:3], vcc
	s_xor_b64 s[2:3], exec, s[2:3]
	s_cbranch_execz .LBB448_1447
; %bb.1427:
	s_movk_i32 s6, 0x80
	v_cmp_ne_u16_e32 vcc, s6, v11
	s_and_b64 s[6:7], vcc, exec
	s_andn2_saveexec_b64 s[2:3], s[2:3]
	s_cbranch_execnz .LBB448_1448
.LBB448_1428:
	s_or_b64 exec, exec, s[2:3]
	v_mov_b64_e32 v[6:7], 0
	s_and_saveexec_b64 s[2:3], s[6:7]
	s_cbranch_execz .LBB448_1430
.LBB448_1429:
	v_and_b32_e32 v7, 0xffff, v11
	v_lshlrev_b32_e32 v6, 24, v11
	v_and_b32_e32 v11, 3, v7
	v_ffbh_u32_e32 v13, v11
	v_min_u32_e32 v13, 32, v13
	v_subrev_u32_e32 v14, 29, v13
	v_bfe_u32 v12, v7, 2, 5
	v_lshlrev_b32_e32 v7, v14, v7
	v_sub_u32_e32 v13, 30, v13
	v_and_b32_e32 v7, 3, v7
	v_cmp_eq_u32_e32 vcc, 0, v12
	v_and_b32_e32 v6, 0x80000000, v6
	s_mov_b32 s6, 0x2f800000
	v_cndmask_b32_e32 v12, v12, v13, vcc
	v_cndmask_b32_e32 v7, v11, v7, vcc
	v_mov_b32_e32 v11, 0x37800000
	v_lshlrev_b32_e32 v7, 21, v7
	v_lshl_add_u32 v11, v12, 23, v11
	v_or3_b32 v6, v6, v11, v7
	v_trunc_f32_e32 v6, v6
	v_mul_f32_e64 v7, |v6|, s6
	v_floor_f32_e32 v7, v7
	s_mov_b32 s6, 0xcf800000
	v_fma_f32 v11, v7, s6, |v6|
	v_cvt_u32_f32_e32 v11, v11
	v_cvt_u32_f32_e32 v7, v7
	v_ashrrev_i32_e32 v12, 31, v6
	v_xor_b32_e32 v6, v11, v12
	v_xor_b32_e32 v7, v7, v12
	v_sub_co_u32_e32 v6, vcc, v6, v12
	s_nop 1
	v_subb_co_u32_e32 v7, vcc, v7, v12, vcc
.LBB448_1430:
	s_or_b64 exec, exec, s[2:3]
	s_mov_b64 s[2:3], 0
	s_branch .LBB448_1436
.LBB448_1431:
	s_mov_b64 s[2:3], -1
                                        ; implicit-def: $vgpr6_vgpr7
	s_branch .LBB448_1442
.LBB448_1432:
	s_andn2_saveexec_b64 s[6:7], s[6:7]
	s_cbranch_execz .LBB448_1417
.LBB448_1433:
	v_cmp_ne_u16_e32 vcc, 0, v11
	s_andn2_b64 s[18:19], s[18:19], exec
	s_and_b64 s[20:21], vcc, exec
	s_or_b64 s[18:19], s[18:19], s[20:21]
	s_or_b64 exec, exec, s[6:7]
	v_mov_b64_e32 v[6:7], 0
	s_and_saveexec_b64 s[6:7], s[18:19]
	s_cbranch_execnz .LBB448_1418
	s_branch .LBB448_1419
.LBB448_1434:
	s_mov_b64 s[2:3], -1
                                        ; implicit-def: $vgpr6_vgpr7
	s_branch .LBB448_1439
.LBB448_1435:
	s_mov_b64 s[2:3], -1
                                        ; implicit-def: $vgpr6_vgpr7
.LBB448_1436:
	s_and_b64 vcc, exec, s[2:3]
	s_cbranch_vccz .LBB448_1438
; %bb.1437:
	global_load_ubyte v6, v[8:9], off
	s_mov_b32 s2, 0x7f800000
	s_brev_b32 s3, 1
	s_mov_b32 s6, 0x2f800000
	s_mov_b32 s7, 0xcf800000
	s_waitcnt vmcnt(0)
	v_lshlrev_b32_e32 v6, 24, v6
	v_and_b32_e32 v7, 0x7f000000, v6
	v_ffbh_u32_e32 v11, v7
	v_min_u32_e32 v11, 32, v11
	v_sub_u32_e64 v11, v11, 4 clamp
	v_lshlrev_b32_e32 v13, v11, v7
	v_lshlrev_b32_e32 v11, 23, v11
	v_lshrrev_b32_e32 v13, 4, v13
	v_add_u32_e32 v12, 0x1000000, v7
	v_sub_u32_e32 v11, v13, v11
	v_ashrrev_i32_e32 v12, 8, v12
	v_add_u32_e32 v11, 0x3c000000, v11
	v_and_or_b32 v11, v12, s2, v11
	v_cmp_ne_u32_e32 vcc, 0, v7
	s_nop 1
	v_cndmask_b32_e32 v7, 0, v11, vcc
	v_and_or_b32 v6, v6, s3, v7
	v_trunc_f32_e32 v6, v6
	v_mul_f32_e64 v7, |v6|, s6
	v_floor_f32_e32 v7, v7
	v_fma_f32 v11, v7, s7, |v6|
	v_cvt_u32_f32_e32 v11, v11
	v_cvt_u32_f32_e32 v7, v7
	v_ashrrev_i32_e32 v12, 31, v6
	v_xor_b32_e32 v6, v11, v12
	v_xor_b32_e32 v7, v7, v12
	v_sub_co_u32_e32 v6, vcc, v6, v12
	s_nop 1
	v_subb_co_u32_e32 v7, vcc, v7, v12, vcc
.LBB448_1438:
	s_mov_b64 s[2:3], 0
.LBB448_1439:
	s_andn2_b64 vcc, exec, s[2:3]
	s_cbranch_vccnz .LBB448_1441
; %bb.1440:
	global_load_ubyte v6, v[8:9], off
	s_movk_i32 s2, 0x7f00
	s_brev_b32 s3, 16
	s_brev_b32 s6, 1
	s_mov_b32 s7, 0x2f800000
	s_mov_b32 s9, 0xcf800000
	s_waitcnt vmcnt(0)
	v_lshlrev_b16_e32 v7, 8, v6
	v_lshlrev_b32_e32 v6, 25, v6
	v_lshrrev_b32_e32 v11, 4, v6
	v_and_or_b32 v12, v7, s2, 0.5
	v_or_b32_e32 v11, 0x70000000, v11
	v_add_f32_e32 v12, -0.5, v12
	v_mul_f32_e32 v11, 0x7800000, v11
	v_cmp_gt_u32_e32 vcc, s3, v6
	v_bfe_i32 v7, v7, 0, 16
	s_nop 0
	v_cndmask_b32_e32 v6, v11, v12, vcc
	v_and_or_b32 v6, v7, s6, v6
	v_trunc_f32_e32 v6, v6
	v_mul_f32_e64 v7, |v6|, s7
	v_floor_f32_e32 v7, v7
	v_fma_f32 v11, v7, s9, |v6|
	v_cvt_u32_f32_e32 v11, v11
	v_cvt_u32_f32_e32 v7, v7
	v_ashrrev_i32_e32 v12, 31, v6
	v_xor_b32_e32 v6, v11, v12
	v_xor_b32_e32 v7, v7, v12
	v_sub_co_u32_e32 v6, vcc, v6, v12
	s_nop 1
	v_subb_co_u32_e32 v7, vcc, v7, v12, vcc
.LBB448_1441:
	s_mov_b64 s[2:3], 0
	s_mov_b64 s[6:7], -1
.LBB448_1442:
	s_andn2_b64 vcc, exec, s[2:3]
	s_mov_b64 s[2:3], 0
	s_cbranch_vccnz .LBB448_1453
; %bb.1443:
	s_cmp_gt_i32 s22, 14
	s_cbranch_scc0 .LBB448_1446
; %bb.1444:
	s_cmp_eq_u32 s22, 15
	s_cbranch_scc0 .LBB448_1449
; %bb.1445:
	global_load_ushort v6, v[8:9], off
	s_mov_b32 s0, 0x2f800000
	s_mov_b32 s1, 0xcf800000
	s_mov_b64 s[6:7], -1
	s_waitcnt vmcnt(0)
	v_lshlrev_b32_e32 v6, 16, v6
	v_trunc_f32_e32 v6, v6
	v_mul_f32_e64 v7, |v6|, s0
	v_floor_f32_e32 v7, v7
	v_fma_f32 v11, v7, s1, |v6|
	v_cvt_u32_f32_e32 v11, v11
	v_cvt_u32_f32_e32 v7, v7
	v_ashrrev_i32_e32 v12, 31, v6
	s_mov_b64 s[0:1], 0
	v_xor_b32_e32 v6, v11, v12
	v_xor_b32_e32 v7, v7, v12
	v_sub_co_u32_e32 v6, vcc, v6, v12
	s_nop 1
	v_subb_co_u32_e32 v7, vcc, v7, v12, vcc
	s_branch .LBB448_1450
.LBB448_1446:
	s_mov_b64 s[18:19], -1
                                        ; implicit-def: $vgpr6_vgpr7
	s_branch .LBB448_1451
.LBB448_1447:
	s_andn2_saveexec_b64 s[2:3], s[2:3]
	s_cbranch_execz .LBB448_1428
.LBB448_1448:
	v_cmp_ne_u16_e32 vcc, 0, v11
	s_andn2_b64 s[6:7], s[6:7], exec
	s_and_b64 s[18:19], vcc, exec
	s_or_b64 s[6:7], s[6:7], s[18:19]
	s_or_b64 exec, exec, s[2:3]
	v_mov_b64_e32 v[6:7], 0
	s_and_saveexec_b64 s[2:3], s[6:7]
	s_cbranch_execnz .LBB448_1429
	s_branch .LBB448_1430
.LBB448_1449:
	s_mov_b64 s[0:1], -1
                                        ; implicit-def: $vgpr6_vgpr7
.LBB448_1450:
	s_mov_b64 s[18:19], 0
.LBB448_1451:
	s_and_b64 vcc, exec, s[18:19]
	s_cbranch_vccz .LBB448_1453
; %bb.1452:
	s_cmp_lg_u32 s22, 11
	s_mov_b64 s[2:3], -1
	s_cselect_b64 s[0:1], -1, 0
.LBB448_1453:
	s_and_b64 vcc, exec, s[0:1]
	s_cbranch_vccnz .LBB448_1986
; %bb.1454:
	s_andn2_b64 vcc, exec, s[2:3]
	s_cbranch_vccnz .LBB448_1456
.LBB448_1455:
	global_load_ubyte v6, v[8:9], off
	s_mov_b32 s0, 0
	s_waitcnt vmcnt(1)
	v_mov_b32_e32 v7, s0
	s_mov_b64 s[6:7], -1
	s_waitcnt vmcnt(0)
	v_cmp_ne_u16_e32 vcc, 0, v6
	s_nop 1
	v_cndmask_b32_e64 v6, 0, 1, vcc
.LBB448_1456:
	s_mov_b64 s[0:1], 0
.LBB448_1457:
	s_and_b64 vcc, exec, s[0:1]
	s_cbranch_vccz .LBB448_1506
; %bb.1458:
	s_cmp_lt_i32 s22, 5
	s_cbranch_scc1 .LBB448_1463
; %bb.1459:
	s_cmp_lt_i32 s22, 8
	s_cbranch_scc1 .LBB448_1464
	;; [unrolled: 3-line block ×3, first 2 shown]
; %bb.1461:
	s_cmp_gt_i32 s22, 9
	s_cbranch_scc0 .LBB448_1466
; %bb.1462:
	global_load_dwordx2 v[6:7], v[8:9], off
	s_movk_i32 s0, 0xffe0
	s_waitcnt vmcnt(0)
	v_trunc_f64_e32 v[12:13], v[6:7]
	v_ldexp_f64 v[6:7], v[12:13], s0
	v_floor_f64_e32 v[14:15], v[6:7]
	v_fmac_f64_e32 v[12:13], 0xc1f00000, v[14:15]
	v_cvt_i32_f64_e32 v7, v[14:15]
	v_cvt_u32_f64_e32 v6, v[12:13]
	s_mov_b64 s[0:1], 0
	s_branch .LBB448_1467
.LBB448_1463:
	s_mov_b64 s[0:1], -1
                                        ; implicit-def: $vgpr6_vgpr7
	s_branch .LBB448_1485
.LBB448_1464:
	s_mov_b64 s[0:1], -1
                                        ; implicit-def: $vgpr6_vgpr7
	s_branch .LBB448_1473
.LBB448_1465:
	s_mov_b64 s[0:1], -1
                                        ; implicit-def: $vgpr6_vgpr7
	s_branch .LBB448_1470
.LBB448_1466:
	s_mov_b64 s[0:1], -1
                                        ; implicit-def: $vgpr6_vgpr7
.LBB448_1467:
	s_andn2_b64 vcc, exec, s[0:1]
	s_cbranch_vccnz .LBB448_1469
; %bb.1468:
	global_load_dword v6, v[8:9], off
	s_mov_b32 s0, 0x2f800000
	s_mov_b32 s1, 0xcf800000
	s_waitcnt vmcnt(0)
	v_trunc_f32_e32 v6, v6
	v_mul_f32_e64 v7, |v6|, s0
	v_floor_f32_e32 v7, v7
	v_cvt_u32_f32_e32 v11, v7
	v_fma_f32 v7, v7, s1, |v6|
	v_cvt_u32_f32_e32 v7, v7
	v_ashrrev_i32_e32 v12, 31, v6
	v_xor_b32_e32 v11, v11, v12
	v_xor_b32_e32 v6, v7, v12
	v_sub_co_u32_e32 v6, vcc, v6, v12
	s_nop 1
	v_subb_co_u32_e32 v7, vcc, v11, v12, vcc
.LBB448_1469:
	s_mov_b64 s[0:1], 0
.LBB448_1470:
	s_andn2_b64 vcc, exec, s[0:1]
	s_cbranch_vccnz .LBB448_1472
; %bb.1471:
	global_load_dword v6, v[8:9], off
	s_waitcnt vmcnt(0)
	v_cvt_f32_f16_e32 v6, v6
	v_cvt_i32_f32_e32 v6, v6
	v_ashrrev_i32_e32 v7, 31, v6
.LBB448_1472:
	s_mov_b64 s[0:1], 0
.LBB448_1473:
	s_andn2_b64 vcc, exec, s[0:1]
	s_cbranch_vccnz .LBB448_1484
; %bb.1474:
	s_cmp_lt_i32 s22, 6
	s_cbranch_scc1 .LBB448_1477
; %bb.1475:
	s_cmp_gt_i32 s22, 6
	s_cbranch_scc0 .LBB448_1478
; %bb.1476:
	global_load_dwordx2 v[6:7], v[8:9], off
	s_movk_i32 s0, 0xffe0
	s_waitcnt vmcnt(0)
	v_trunc_f64_e32 v[12:13], v[6:7]
	v_ldexp_f64 v[6:7], v[12:13], s0
	v_floor_f64_e32 v[14:15], v[6:7]
	v_fmac_f64_e32 v[12:13], 0xc1f00000, v[14:15]
	v_cvt_i32_f64_e32 v7, v[14:15]
	v_cvt_u32_f64_e32 v6, v[12:13]
	s_mov_b64 s[0:1], 0
	s_branch .LBB448_1479
.LBB448_1477:
	s_mov_b64 s[0:1], -1
                                        ; implicit-def: $vgpr6_vgpr7
	s_branch .LBB448_1482
.LBB448_1478:
	s_mov_b64 s[0:1], -1
                                        ; implicit-def: $vgpr6_vgpr7
.LBB448_1479:
	s_andn2_b64 vcc, exec, s[0:1]
	s_cbranch_vccnz .LBB448_1481
; %bb.1480:
	global_load_dword v6, v[8:9], off
	s_mov_b32 s0, 0x2f800000
	s_mov_b32 s1, 0xcf800000
	s_waitcnt vmcnt(0)
	v_trunc_f32_e32 v6, v6
	v_mul_f32_e64 v7, |v6|, s0
	v_floor_f32_e32 v7, v7
	v_cvt_u32_f32_e32 v11, v7
	v_fma_f32 v7, v7, s1, |v6|
	v_cvt_u32_f32_e32 v7, v7
	v_ashrrev_i32_e32 v12, 31, v6
	v_xor_b32_e32 v11, v11, v12
	v_xor_b32_e32 v6, v7, v12
	v_sub_co_u32_e32 v6, vcc, v6, v12
	s_nop 1
	v_subb_co_u32_e32 v7, vcc, v11, v12, vcc
.LBB448_1481:
	s_mov_b64 s[0:1], 0
.LBB448_1482:
	s_andn2_b64 vcc, exec, s[0:1]
	s_cbranch_vccnz .LBB448_1484
; %bb.1483:
	global_load_ushort v6, v[8:9], off
	s_waitcnt vmcnt(0)
	v_cvt_f32_f16_e32 v6, v6
	v_cvt_i32_f32_e32 v6, v6
	v_ashrrev_i32_e32 v7, 31, v6
.LBB448_1484:
	s_mov_b64 s[0:1], 0
.LBB448_1485:
	s_andn2_b64 vcc, exec, s[0:1]
	s_cbranch_vccnz .LBB448_1505
; %bb.1486:
	s_cmp_lt_i32 s22, 2
	s_cbranch_scc1 .LBB448_1490
; %bb.1487:
	s_cmp_lt_i32 s22, 3
	s_cbranch_scc1 .LBB448_1491
; %bb.1488:
	s_cmp_gt_i32 s22, 3
	s_cbranch_scc0 .LBB448_1492
; %bb.1489:
	global_load_dwordx2 v[6:7], v[8:9], off
	s_mov_b64 s[0:1], 0
	s_branch .LBB448_1493
.LBB448_1490:
	s_mov_b64 s[0:1], -1
                                        ; implicit-def: $vgpr6_vgpr7
	s_branch .LBB448_1499
.LBB448_1491:
	s_mov_b64 s[0:1], -1
                                        ; implicit-def: $vgpr6_vgpr7
	s_branch .LBB448_1496
.LBB448_1492:
	s_mov_b64 s[0:1], -1
                                        ; implicit-def: $vgpr6_vgpr7
.LBB448_1493:
	s_andn2_b64 vcc, exec, s[0:1]
	s_cbranch_vccnz .LBB448_1495
; %bb.1494:
	global_load_dword v6, v[8:9], off
	s_waitcnt vmcnt(0)
	v_ashrrev_i32_e32 v7, 31, v6
.LBB448_1495:
	s_mov_b64 s[0:1], 0
.LBB448_1496:
	s_andn2_b64 vcc, exec, s[0:1]
	s_cbranch_vccnz .LBB448_1498
; %bb.1497:
	global_load_ushort v6, v[8:9], off
	s_waitcnt vmcnt(0)
	v_bfe_i32 v6, v6, 0, 16
	v_ashrrev_i32_e32 v7, 31, v6
.LBB448_1498:
	s_mov_b64 s[0:1], 0
.LBB448_1499:
	s_andn2_b64 vcc, exec, s[0:1]
	s_cbranch_vccnz .LBB448_1505
; %bb.1500:
	s_cmp_gt_i32 s22, 0
	s_cbranch_scc0 .LBB448_1502
; %bb.1501:
	global_load_sbyte v6, v[8:9], off
	s_mov_b64 s[0:1], 0
	s_waitcnt vmcnt(0)
	v_bfe_i32 v6, v6, 0, 16
	v_ashrrev_i32_e32 v7, 31, v6
	s_branch .LBB448_1503
.LBB448_1502:
	s_mov_b64 s[0:1], -1
                                        ; implicit-def: $vgpr6_vgpr7
.LBB448_1503:
	s_andn2_b64 vcc, exec, s[0:1]
	s_cbranch_vccnz .LBB448_1505
; %bb.1504:
	global_load_ubyte v6, v[8:9], off
	s_mov_b32 s0, 0
	s_waitcnt vmcnt(1)
	v_mov_b32_e32 v7, s0
	s_waitcnt vmcnt(0)
	v_and_b32_e32 v6, 0xffff, v6
.LBB448_1505:
	s_mov_b64 s[6:7], -1
.LBB448_1506:
	s_andn2_b64 vcc, exec, s[6:7]
	s_cbranch_vccnz .LBB448_1940
; %bb.1507:
	v_mov_b32_e32 v8, s11
	s_waitcnt vmcnt(0)
	v_cmp_gt_i64_e32 vcc, s[10:11], v[0:1]
	s_and_b32 s22, s33, 0xff
	s_cmp_lt_i32 s22, 11
	v_cndmask_b32_e32 v9, v8, v1, vcc
	v_mov_b32_e32 v1, s10
	v_cndmask_b32_e32 v8, v1, v0, vcc
	v_mul_lo_u32 v0, s8, v10
	v_ashrrev_i32_e32 v1, 31, v0
	v_lshl_add_u64 v[10:11], s[4:5], 0, v[0:1]
	s_cbranch_scc1 .LBB448_1585
; %bb.1508:
	s_and_b32 s9, 0xffff, s22
	s_mov_b64 s[18:19], -1
	s_mov_b64 s[2:3], 0
	s_cmp_gt_i32 s9, 25
	s_mov_b64 s[6:7], 0
	s_mov_b64 s[0:1], 0
	s_cbranch_scc0 .LBB448_1541
; %bb.1509:
	s_cmp_gt_i32 s9, 28
	s_cbranch_scc0 .LBB448_1524
; %bb.1510:
	s_cmp_gt_i32 s9, 43
	s_cbranch_scc0 .LBB448_1520
; %bb.1511:
	s_cmp_gt_i32 s9, 45
	s_cbranch_scc0 .LBB448_1514
; %bb.1512:
	s_mov_b64 s[0:1], -1
	s_mov_b64 s[18:19], 0
	s_cmp_eq_u32 s9, 46
	s_cbranch_scc0 .LBB448_1514
; %bb.1513:
	v_xor_b32_e32 v12, v8, v9
	v_ffbh_i32_e32 v1, v9
	v_ashrrev_i32_e32 v12, 31, v12
	v_add_u32_e32 v1, -1, v1
	v_add_u32_e32 v12, 32, v12
	v_min_u32_e32 v1, v1, v12
	v_lshlrev_b64 v[12:13], v1, v[8:9]
	v_min_u32_e32 v12, 1, v12
	v_or_b32_e32 v12, v13, v12
	v_cvt_f32_i32_e32 v12, v12
	v_sub_u32_e32 v1, 32, v1
	s_movk_i32 s0, 0x7fff
	s_mov_b64 s[6:7], -1
	v_ldexp_f32 v1, v12, v1
	v_bfe_u32 v12, v1, 16, 1
	v_add3_u32 v1, v1, v12, s0
	v_lshrrev_b32_e32 v1, 16, v1
	global_store_dword v[10:11], v1, off
	s_mov_b64 s[0:1], 0
.LBB448_1514:
	s_and_b64 vcc, exec, s[18:19]
	s_cbranch_vccz .LBB448_1519
; %bb.1515:
	s_cmp_eq_u32 s9, 44
	s_mov_b64 s[0:1], -1
	s_cbranch_scc0 .LBB448_1519
; %bb.1516:
	v_xor_b32_e32 v12, v8, v9
	v_ffbh_i32_e32 v1, v9
	v_ashrrev_i32_e32 v12, 31, v12
	v_add_u32_e32 v1, -1, v1
	v_add_u32_e32 v12, 32, v12
	v_min_u32_e32 v1, v1, v12
	v_lshlrev_b64 v[12:13], v1, v[8:9]
	v_min_u32_e32 v12, 1, v12
	v_or_b32_e32 v12, v13, v12
	v_cvt_f32_i32_e32 v12, v12
	v_sub_u32_e32 v1, 32, v1
	s_movk_i32 s0, 0xff
	v_mov_b32_e32 v13, 0xff
	v_ldexp_f32 v1, v12, v1
	v_bfe_u32 v12, v1, 23, 8
	v_cmp_ne_u32_e32 vcc, s0, v12
	s_and_saveexec_b64 s[6:7], vcc
; %bb.1517:
	s_mov_b32 s0, 0x3fffff
	v_lshrrev_b32_e32 v13, 23, v1
	v_and_b32_e32 v14, 0x400000, v1
	v_and_or_b32 v1, v1, s0, v12
	v_cmp_ne_u32_e32 vcc, 0, v14
	v_cmp_ne_u32_e64 s[0:1], 0, v1
	s_and_b64 s[0:1], vcc, s[0:1]
	s_nop 0
	v_cndmask_b32_e64 v1, 0, 1, s[0:1]
	v_add_u32_e32 v13, v13, v1
; %bb.1518:
	s_or_b64 exec, exec, s[6:7]
	s_mov_b64 s[0:1], 0
	s_mov_b64 s[6:7], -1
	global_store_byte v[10:11], v13, off
.LBB448_1519:
	s_mov_b64 s[18:19], 0
.LBB448_1520:
	s_and_b64 vcc, exec, s[18:19]
	s_cbranch_vccz .LBB448_1523
; %bb.1521:
	s_cmp_eq_u32 s9, 29
	s_mov_b64 s[0:1], -1
	s_cbranch_scc0 .LBB448_1523
; %bb.1522:
	global_store_dwordx2 v[10:11], v[8:9], off
	s_mov_b64 s[0:1], 0
	s_mov_b64 s[6:7], -1
.LBB448_1523:
	s_mov_b64 s[18:19], 0
.LBB448_1524:
	s_and_b64 vcc, exec, s[18:19]
	s_cbranch_vccz .LBB448_1540
; %bb.1525:
	s_cmp_lt_i32 s9, 27
	s_mov_b64 s[6:7], -1
	s_cbranch_scc1 .LBB448_1531
; %bb.1526:
	s_cmp_gt_i32 s9, 27
	s_cbranch_scc0 .LBB448_1528
; %bb.1527:
	s_mov_b64 s[6:7], 0
	global_store_dword v[10:11], v8, off
.LBB448_1528:
	s_andn2_b64 vcc, exec, s[6:7]
	s_cbranch_vccnz .LBB448_1530
; %bb.1529:
	global_store_short v[10:11], v8, off
.LBB448_1530:
	s_mov_b64 s[6:7], 0
.LBB448_1531:
	s_andn2_b64 vcc, exec, s[6:7]
	s_cbranch_vccnz .LBB448_1539
; %bb.1532:
	v_xor_b32_e32 v12, v8, v9
	v_ffbh_i32_e32 v1, v9
	v_ashrrev_i32_e32 v12, 31, v12
	v_add_u32_e32 v1, -1, v1
	v_add_u32_e32 v12, 32, v12
	v_min_u32_e32 v1, v1, v12
	v_lshlrev_b64 v[12:13], v1, v[8:9]
	v_min_u32_e32 v12, 1, v12
	v_or_b32_e32 v12, v13, v12
	v_cvt_f32_i32_e32 v12, v12
	v_sub_u32_e32 v1, 32, v1
	s_mov_b32 s6, 0x43800000
	v_mov_b32_e32 v13, 0x80
	v_ldexp_f32 v1, v12, v1
	v_and_b32_e32 v12, 0x7fffffff, v1
	v_cmp_gt_u32_e32 vcc, s6, v12
	s_and_saveexec_b64 s[6:7], vcc
	s_cbranch_execz .LBB448_1538
; %bb.1533:
	s_mov_b32 s18, 0x3bffffff
	v_cmp_lt_u32_e32 vcc, s18, v12
	s_mov_b64 s[18:19], 0
                                        ; implicit-def: $vgpr12
	s_and_saveexec_b64 s[20:21], vcc
	s_xor_b64 s[20:21], exec, s[20:21]
	s_cbranch_execz .LBB448_1987
; %bb.1534:
	v_bfe_u32 v12, v1, 20, 1
	s_mov_b32 s23, 0x487ffff
	v_add3_u32 v12, v1, v12, s23
	s_mov_b64 s[18:19], exec
	v_lshrrev_b32_e32 v12, 20, v12
	s_andn2_saveexec_b64 s[20:21], s[20:21]
	s_cbranch_execnz .LBB448_1988
.LBB448_1535:
	s_or_b64 exec, exec, s[20:21]
	v_mov_b32_e32 v13, 0
	s_and_saveexec_b64 s[20:21], s[18:19]
.LBB448_1536:
	v_lshrrev_b32_e32 v1, 24, v1
	s_movk_i32 s18, 0x80
	v_and_or_b32 v13, v1, s18, v12
.LBB448_1537:
	s_or_b64 exec, exec, s[20:21]
.LBB448_1538:
	s_or_b64 exec, exec, s[6:7]
	global_store_byte v[10:11], v13, off
.LBB448_1539:
	s_mov_b64 s[6:7], -1
.LBB448_1540:
	s_mov_b64 s[18:19], 0
.LBB448_1541:
	s_and_b64 vcc, exec, s[18:19]
	s_cbranch_vccz .LBB448_1581
; %bb.1542:
	s_cmp_gt_i32 s9, 22
	s_mov_b64 s[2:3], -1
	s_cbranch_scc0 .LBB448_1574
; %bb.1543:
	s_cmp_lt_i32 s9, 24
	s_cbranch_scc1 .LBB448_1563
; %bb.1544:
	s_cmp_gt_i32 s9, 24
	s_cbranch_scc0 .LBB448_1552
; %bb.1545:
	v_xor_b32_e32 v12, v8, v9
	v_ffbh_i32_e32 v1, v9
	v_ashrrev_i32_e32 v12, 31, v12
	v_add_u32_e32 v1, -1, v1
	v_add_u32_e32 v12, 32, v12
	v_min_u32_e32 v1, v1, v12
	v_lshlrev_b64 v[12:13], v1, v[8:9]
	v_min_u32_e32 v12, 1, v12
	v_or_b32_e32 v12, v13, v12
	v_cvt_f32_i32_e32 v12, v12
	v_sub_u32_e32 v1, 32, v1
	s_mov_b32 s2, 0x47800000
	v_mov_b32_e32 v13, 0x80
	v_ldexp_f32 v1, v12, v1
	v_and_b32_e32 v12, 0x7fffffff, v1
	v_cmp_gt_u32_e32 vcc, s2, v12
	s_and_saveexec_b64 s[2:3], vcc
	s_cbranch_execz .LBB448_1551
; %bb.1546:
	s_mov_b32 s6, 0x37ffffff
	v_cmp_lt_u32_e32 vcc, s6, v12
	s_mov_b64 s[6:7], 0
                                        ; implicit-def: $vgpr12
	s_and_saveexec_b64 s[18:19], vcc
	s_xor_b64 s[18:19], exec, s[18:19]
	s_cbranch_execz .LBB448_1990
; %bb.1547:
	v_bfe_u32 v12, v1, 21, 1
	s_mov_b32 s20, 0x88fffff
	v_add3_u32 v12, v1, v12, s20
	s_mov_b64 s[6:7], exec
	v_lshrrev_b32_e32 v12, 21, v12
	s_andn2_saveexec_b64 s[18:19], s[18:19]
	s_cbranch_execnz .LBB448_1991
.LBB448_1548:
	s_or_b64 exec, exec, s[18:19]
	v_mov_b32_e32 v13, 0
	s_and_saveexec_b64 s[18:19], s[6:7]
.LBB448_1549:
	v_lshrrev_b32_e32 v1, 24, v1
	s_movk_i32 s6, 0x80
	v_and_or_b32 v13, v1, s6, v12
.LBB448_1550:
	s_or_b64 exec, exec, s[18:19]
.LBB448_1551:
	s_or_b64 exec, exec, s[2:3]
	s_mov_b64 s[2:3], 0
	global_store_byte v[10:11], v13, off
.LBB448_1552:
	s_and_b64 vcc, exec, s[2:3]
	s_cbranch_vccz .LBB448_1562
; %bb.1553:
	v_xor_b32_e32 v12, v8, v9
	v_ffbh_i32_e32 v1, v9
	v_ashrrev_i32_e32 v12, 31, v12
	v_add_u32_e32 v1, -1, v1
	v_add_u32_e32 v12, 32, v12
	v_min_u32_e32 v1, v1, v12
	v_lshlrev_b64 v[12:13], v1, v[8:9]
	v_min_u32_e32 v12, 1, v12
	v_or_b32_e32 v12, v13, v12
	v_cvt_f32_i32_e32 v12, v12
	v_sub_u32_e32 v1, 32, v1
	s_mov_b32 s2, 0x43f00000
	v_ldexp_f32 v1, v12, v1
	v_and_b32_e32 v13, 0x7fffffff, v1
	v_cmp_gt_u32_e32 vcc, s2, v13
                                        ; implicit-def: $vgpr12
	s_and_saveexec_b64 s[2:3], vcc
	s_xor_b64 s[2:3], exec, s[2:3]
	s_cbranch_execz .LBB448_1559
; %bb.1554:
	s_mov_b32 s6, 0x3c7fffff
	v_cmp_lt_u32_e32 vcc, s6, v13
                                        ; implicit-def: $vgpr12
	s_and_saveexec_b64 s[6:7], vcc
	s_xor_b64 s[6:7], exec, s[6:7]
; %bb.1555:
	v_bfe_u32 v12, v1, 20, 1
	s_mov_b32 s18, 0x407ffff
	v_add3_u32 v12, v1, v12, s18
	v_lshrrev_b32_e32 v13, 20, v12
	v_and_b32_e32 v12, 0xff00000, v12
	s_mov_b32 s18, 0x7f00000
	v_mov_b32_e32 v14, 0x7e
	v_cmp_ne_u32_e32 vcc, s18, v12
	s_nop 1
	v_cndmask_b32_e32 v12, v14, v13, vcc
; %bb.1556:
	s_andn2_saveexec_b64 s[6:7], s[6:7]
; %bb.1557:
	s_mov_b32 s18, 0x46800000
	v_add_f32_e64 v12, |v1|, s18
; %bb.1558:
	s_or_b64 exec, exec, s[6:7]
                                        ; implicit-def: $vgpr13
.LBB448_1559:
	s_andn2_saveexec_b64 s[2:3], s[2:3]
; %bb.1560:
	s_mov_b32 s6, 0x7f800000
	v_mov_b32_e32 v12, 0x7e
	v_mov_b32_e32 v14, 0x7f
	v_cmp_lt_u32_e32 vcc, s6, v13
	s_nop 1
	v_cndmask_b32_e32 v12, v12, v14, vcc
; %bb.1561:
	s_or_b64 exec, exec, s[2:3]
	v_lshrrev_b32_e32 v1, 24, v1
	s_movk_i32 s2, 0x80
	v_and_or_b32 v1, v1, s2, v12
	global_store_byte v[10:11], v1, off
.LBB448_1562:
	s_mov_b64 s[2:3], 0
.LBB448_1563:
	s_andn2_b64 vcc, exec, s[2:3]
	s_cbranch_vccnz .LBB448_1573
; %bb.1564:
	v_xor_b32_e32 v12, v8, v9
	v_ffbh_i32_e32 v1, v9
	v_ashrrev_i32_e32 v12, 31, v12
	v_add_u32_e32 v1, -1, v1
	v_add_u32_e32 v12, 32, v12
	v_min_u32_e32 v1, v1, v12
	v_lshlrev_b64 v[12:13], v1, v[8:9]
	v_min_u32_e32 v12, 1, v12
	v_or_b32_e32 v12, v13, v12
	v_cvt_f32_i32_e32 v12, v12
	v_sub_u32_e32 v1, 32, v1
	s_mov_b32 s2, 0x47800000
	v_ldexp_f32 v1, v12, v1
	v_and_b32_e32 v13, 0x7fffffff, v1
	v_cmp_gt_u32_e32 vcc, s2, v13
                                        ; implicit-def: $vgpr12
	s_and_saveexec_b64 s[2:3], vcc
	s_xor_b64 s[2:3], exec, s[2:3]
	s_cbranch_execz .LBB448_1570
; %bb.1565:
	s_mov_b32 s6, 0x387fffff
	v_cmp_lt_u32_e32 vcc, s6, v13
                                        ; implicit-def: $vgpr12
	s_and_saveexec_b64 s[6:7], vcc
	s_xor_b64 s[6:7], exec, s[6:7]
; %bb.1566:
	v_bfe_u32 v12, v1, 21, 1
	s_mov_b32 s18, 0x80fffff
	v_add3_u32 v12, v1, v12, s18
	v_lshrrev_b32_e32 v12, 21, v12
; %bb.1567:
	s_andn2_saveexec_b64 s[6:7], s[6:7]
; %bb.1568:
	s_mov_b32 s18, 0x43000000
	v_add_f32_e64 v12, |v1|, s18
; %bb.1569:
	s_or_b64 exec, exec, s[6:7]
                                        ; implicit-def: $vgpr13
.LBB448_1570:
	s_andn2_saveexec_b64 s[2:3], s[2:3]
; %bb.1571:
	s_mov_b32 s6, 0x7f800000
	v_mov_b32_e32 v12, 0x7c
	v_mov_b32_e32 v14, 0x7f
	v_cmp_lt_u32_e32 vcc, s6, v13
	s_nop 1
	v_cndmask_b32_e32 v12, v12, v14, vcc
; %bb.1572:
	s_or_b64 exec, exec, s[2:3]
	v_lshrrev_b32_e32 v1, 24, v1
	s_movk_i32 s2, 0x80
	v_and_or_b32 v1, v1, s2, v12
	global_store_byte v[10:11], v1, off
.LBB448_1573:
	s_mov_b64 s[2:3], 0
	s_mov_b64 s[6:7], -1
.LBB448_1574:
	s_andn2_b64 vcc, exec, s[2:3]
	s_mov_b64 s[2:3], 0
	s_cbranch_vccnz .LBB448_1581
; %bb.1575:
	s_cmp_gt_i32 s9, 14
	s_mov_b64 s[18:19], -1
	s_cbranch_scc0 .LBB448_1579
; %bb.1576:
	s_cmp_eq_u32 s9, 15
	s_mov_b64 s[0:1], -1
	s_cbranch_scc0 .LBB448_1578
; %bb.1577:
	v_xor_b32_e32 v12, v8, v9
	v_ffbh_i32_e32 v1, v9
	v_ashrrev_i32_e32 v12, 31, v12
	v_add_u32_e32 v1, -1, v1
	v_add_u32_e32 v12, 32, v12
	v_min_u32_e32 v1, v1, v12
	v_lshlrev_b64 v[12:13], v1, v[8:9]
	v_min_u32_e32 v12, 1, v12
	v_or_b32_e32 v12, v13, v12
	v_cvt_f32_i32_e32 v12, v12
	v_sub_u32_e32 v1, 32, v1
	s_movk_i32 s0, 0x7fff
	s_mov_b64 s[6:7], -1
	v_ldexp_f32 v1, v12, v1
	v_bfe_u32 v12, v1, 16, 1
	v_add3_u32 v1, v1, v12, s0
	global_store_short_d16_hi v[10:11], v1, off
	s_mov_b64 s[0:1], 0
.LBB448_1578:
	s_mov_b64 s[18:19], 0
.LBB448_1579:
	s_and_b64 vcc, exec, s[18:19]
	s_cbranch_vccz .LBB448_1581
; %bb.1580:
	s_cmp_lg_u32 s9, 11
	s_mov_b64 s[2:3], -1
	s_cselect_b64 s[0:1], -1, 0
.LBB448_1581:
	s_and_b64 vcc, exec, s[0:1]
	s_cbranch_vccnz .LBB448_1989
; %bb.1582:
	s_andn2_b64 vcc, exec, s[2:3]
	s_cbranch_vccnz .LBB448_1584
.LBB448_1583:
	v_cmp_ne_u64_e32 vcc, 0, v[8:9]
	s_mov_b64 s[6:7], -1
	s_nop 0
	v_cndmask_b32_e64 v1, 0, 1, vcc
	global_store_byte v[10:11], v1, off
.LBB448_1584:
	s_mov_b64 s[0:1], 0
	s_branch .LBB448_1586
.LBB448_1585:
	s_mov_b64 s[0:1], -1
	s_mov_b64 s[6:7], 0
.LBB448_1586:
	s_and_b64 vcc, exec, s[0:1]
	s_cbranch_vccz .LBB448_1625
; %bb.1587:
	s_and_b32 s2, 0xffff, s22
	s_cmp_lt_i32 s2, 5
	s_mov_b64 s[0:1], -1
	s_cbranch_scc1 .LBB448_1608
; %bb.1588:
	s_cmp_lt_i32 s2, 8
	s_cbranch_scc1 .LBB448_1598
; %bb.1589:
	s_cmp_lt_i32 s2, 9
	s_cbranch_scc1 .LBB448_1595
; %bb.1590:
	s_cmp_gt_i32 s2, 9
	s_cbranch_scc0 .LBB448_1592
; %bb.1591:
	v_cvt_f64_i32_e32 v[12:13], v9
	v_ldexp_f64 v[12:13], v[12:13], 32
	v_cvt_f64_u32_e32 v[14:15], v8
	v_add_f64 v[12:13], v[12:13], v[14:15]
	v_mov_b32_e32 v14, 0
	v_mov_b32_e32 v15, v14
	global_store_dwordx4 v[10:11], v[12:15], off
	s_mov_b64 s[0:1], 0
.LBB448_1592:
	s_andn2_b64 vcc, exec, s[0:1]
	s_cbranch_vccnz .LBB448_1594
; %bb.1593:
	v_xor_b32_e32 v12, v8, v9
	v_ffbh_i32_e32 v1, v9
	v_ashrrev_i32_e32 v12, 31, v12
	v_add_u32_e32 v1, -1, v1
	v_add_u32_e32 v12, 32, v12
	v_min_u32_e32 v1, v1, v12
	v_lshlrev_b64 v[12:13], v1, v[8:9]
	v_min_u32_e32 v12, 1, v12
	v_or_b32_e32 v12, v13, v12
	v_cvt_f32_i32_e32 v12, v12
	v_sub_u32_e32 v1, 32, v1
	v_mov_b32_e32 v13, 0
	v_ldexp_f32 v12, v12, v1
	global_store_dwordx2 v[10:11], v[12:13], off
.LBB448_1594:
	s_mov_b64 s[0:1], 0
.LBB448_1595:
	s_andn2_b64 vcc, exec, s[0:1]
	s_cbranch_vccnz .LBB448_1597
; %bb.1596:
	v_xor_b32_e32 v12, v8, v9
	v_ffbh_i32_e32 v1, v9
	v_ashrrev_i32_e32 v12, 31, v12
	v_add_u32_e32 v1, -1, v1
	v_add_u32_e32 v12, 32, v12
	v_min_u32_e32 v1, v1, v12
	v_lshlrev_b64 v[12:13], v1, v[8:9]
	v_min_u32_e32 v12, 1, v12
	v_or_b32_e32 v12, v13, v12
	v_cvt_f32_i32_e32 v12, v12
	v_sub_u32_e32 v1, 32, v1
	v_ldexp_f32 v1, v12, v1
	v_cvt_f16_f32_e32 v1, v1
	global_store_dword v[10:11], v1, off
.LBB448_1597:
	s_mov_b64 s[0:1], 0
.LBB448_1598:
	s_andn2_b64 vcc, exec, s[0:1]
	s_cbranch_vccnz .LBB448_1607
; %bb.1599:
	s_cmp_lt_i32 s2, 6
	s_mov_b64 s[0:1], -1
	s_cbranch_scc1 .LBB448_1605
; %bb.1600:
	s_cmp_gt_i32 s2, 6
	s_cbranch_scc0 .LBB448_1602
; %bb.1601:
	v_cvt_f64_i32_e32 v[12:13], v9
	v_ldexp_f64 v[12:13], v[12:13], 32
	v_cvt_f64_u32_e32 v[14:15], v8
	v_add_f64 v[12:13], v[12:13], v[14:15]
	global_store_dwordx2 v[10:11], v[12:13], off
	s_mov_b64 s[0:1], 0
.LBB448_1602:
	s_andn2_b64 vcc, exec, s[0:1]
	s_cbranch_vccnz .LBB448_1604
; %bb.1603:
	v_xor_b32_e32 v12, v8, v9
	v_ffbh_i32_e32 v1, v9
	v_ashrrev_i32_e32 v12, 31, v12
	v_add_u32_e32 v1, -1, v1
	v_add_u32_e32 v12, 32, v12
	v_min_u32_e32 v1, v1, v12
	v_lshlrev_b64 v[12:13], v1, v[8:9]
	v_min_u32_e32 v12, 1, v12
	v_or_b32_e32 v12, v13, v12
	v_cvt_f32_i32_e32 v12, v12
	v_sub_u32_e32 v1, 32, v1
	v_ldexp_f32 v1, v12, v1
	global_store_dword v[10:11], v1, off
.LBB448_1604:
	s_mov_b64 s[0:1], 0
.LBB448_1605:
	s_andn2_b64 vcc, exec, s[0:1]
	s_cbranch_vccnz .LBB448_1607
; %bb.1606:
	v_xor_b32_e32 v12, v8, v9
	v_ffbh_i32_e32 v1, v9
	v_ashrrev_i32_e32 v12, 31, v12
	v_add_u32_e32 v1, -1, v1
	v_add_u32_e32 v12, 32, v12
	v_min_u32_e32 v1, v1, v12
	v_lshlrev_b64 v[12:13], v1, v[8:9]
	v_min_u32_e32 v12, 1, v12
	v_or_b32_e32 v12, v13, v12
	v_cvt_f32_i32_e32 v12, v12
	v_sub_u32_e32 v1, 32, v1
	v_ldexp_f32 v1, v12, v1
	v_cvt_f16_f32_e32 v1, v1
	global_store_short v[10:11], v1, off
.LBB448_1607:
	s_mov_b64 s[0:1], 0
.LBB448_1608:
	s_andn2_b64 vcc, exec, s[0:1]
	s_cbranch_vccnz .LBB448_1624
; %bb.1609:
	s_cmp_lt_i32 s2, 2
	s_mov_b64 s[0:1], -1
	s_cbranch_scc1 .LBB448_1619
; %bb.1610:
	s_cmp_lt_i32 s2, 3
	s_cbranch_scc1 .LBB448_1616
; %bb.1611:
	s_cmp_gt_i32 s2, 3
	s_cbranch_scc0 .LBB448_1613
; %bb.1612:
	global_store_dwordx2 v[10:11], v[8:9], off
	s_mov_b64 s[0:1], 0
.LBB448_1613:
	s_andn2_b64 vcc, exec, s[0:1]
	s_cbranch_vccnz .LBB448_1615
; %bb.1614:
	global_store_dword v[10:11], v8, off
.LBB448_1615:
	s_mov_b64 s[0:1], 0
.LBB448_1616:
	s_andn2_b64 vcc, exec, s[0:1]
	s_cbranch_vccnz .LBB448_1618
; %bb.1617:
	global_store_short v[10:11], v8, off
.LBB448_1618:
	s_mov_b64 s[0:1], 0
.LBB448_1619:
	s_andn2_b64 vcc, exec, s[0:1]
	s_cbranch_vccnz .LBB448_1624
; %bb.1620:
	s_cmp_gt_i32 s2, 0
	s_mov_b64 s[0:1], -1
	s_cbranch_scc0 .LBB448_1622
; %bb.1621:
	global_store_byte v[10:11], v8, off
	s_mov_b64 s[0:1], 0
.LBB448_1622:
	s_andn2_b64 vcc, exec, s[0:1]
	s_cbranch_vccnz .LBB448_1624
; %bb.1623:
	global_store_byte v[10:11], v8, off
.LBB448_1624:
	s_mov_b64 s[6:7], -1
.LBB448_1625:
	s_andn2_b64 vcc, exec, s[6:7]
	s_cbranch_vccnz .LBB448_1940
; %bb.1626:
	v_mov_b32_e32 v1, s11
	v_cmp_gt_i64_e32 vcc, s[10:11], v[2:3]
	s_lshl_b32 s20, s8, 7
	v_add_u32_e32 v0, s20, v0
	v_cndmask_b32_e32 v3, v1, v3, vcc
	v_mov_b32_e32 v1, s10
	v_cndmask_b32_e32 v2, v1, v2, vcc
	v_ashrrev_i32_e32 v1, 31, v0
	s_cmp_lt_i32 s22, 11
	v_lshl_add_u64 v[8:9], s[4:5], 0, v[0:1]
	s_cbranch_scc1 .LBB448_1704
; %bb.1627:
	s_and_b32 s21, 0xffff, s22
	s_mov_b64 s[8:9], -1
	s_mov_b64 s[2:3], 0
	s_cmp_gt_i32 s21, 25
	s_mov_b64 s[6:7], 0
	s_mov_b64 s[0:1], 0
	s_cbranch_scc0 .LBB448_1660
; %bb.1628:
	s_cmp_gt_i32 s21, 28
	s_cbranch_scc0 .LBB448_1643
; %bb.1629:
	s_cmp_gt_i32 s21, 43
	;; [unrolled: 3-line block ×3, first 2 shown]
	s_cbranch_scc0 .LBB448_1633
; %bb.1631:
	s_mov_b64 s[0:1], -1
	s_mov_b64 s[8:9], 0
	s_cmp_eq_u32 s21, 46
	s_cbranch_scc0 .LBB448_1633
; %bb.1632:
	v_xor_b32_e32 v10, v2, v3
	v_ffbh_i32_e32 v1, v3
	v_ashrrev_i32_e32 v10, 31, v10
	v_add_u32_e32 v1, -1, v1
	v_add_u32_e32 v10, 32, v10
	v_min_u32_e32 v1, v1, v10
	v_lshlrev_b64 v[10:11], v1, v[2:3]
	v_min_u32_e32 v10, 1, v10
	v_or_b32_e32 v10, v11, v10
	v_cvt_f32_i32_e32 v10, v10
	v_sub_u32_e32 v1, 32, v1
	s_movk_i32 s0, 0x7fff
	s_mov_b64 s[6:7], -1
	v_ldexp_f32 v1, v10, v1
	v_bfe_u32 v10, v1, 16, 1
	v_add3_u32 v1, v1, v10, s0
	v_lshrrev_b32_e32 v1, 16, v1
	global_store_dword v[8:9], v1, off
	s_mov_b64 s[0:1], 0
.LBB448_1633:
	s_and_b64 vcc, exec, s[8:9]
	s_cbranch_vccz .LBB448_1638
; %bb.1634:
	s_cmp_eq_u32 s21, 44
	s_mov_b64 s[0:1], -1
	s_cbranch_scc0 .LBB448_1638
; %bb.1635:
	v_xor_b32_e32 v10, v2, v3
	v_ffbh_i32_e32 v1, v3
	v_ashrrev_i32_e32 v10, 31, v10
	v_add_u32_e32 v1, -1, v1
	v_add_u32_e32 v10, 32, v10
	v_min_u32_e32 v1, v1, v10
	v_lshlrev_b64 v[10:11], v1, v[2:3]
	v_min_u32_e32 v10, 1, v10
	v_or_b32_e32 v10, v11, v10
	v_cvt_f32_i32_e32 v10, v10
	v_sub_u32_e32 v1, 32, v1
	s_movk_i32 s0, 0xff
	v_mov_b32_e32 v11, 0xff
	v_ldexp_f32 v1, v10, v1
	v_bfe_u32 v10, v1, 23, 8
	v_cmp_ne_u32_e32 vcc, s0, v10
	s_and_saveexec_b64 s[6:7], vcc
; %bb.1636:
	s_mov_b32 s0, 0x3fffff
	v_lshrrev_b32_e32 v11, 23, v1
	v_and_b32_e32 v12, 0x400000, v1
	v_and_or_b32 v1, v1, s0, v10
	v_cmp_ne_u32_e32 vcc, 0, v12
	v_cmp_ne_u32_e64 s[0:1], 0, v1
	s_and_b64 s[0:1], vcc, s[0:1]
	s_nop 0
	v_cndmask_b32_e64 v1, 0, 1, s[0:1]
	v_add_u32_e32 v11, v11, v1
; %bb.1637:
	s_or_b64 exec, exec, s[6:7]
	s_mov_b64 s[0:1], 0
	s_mov_b64 s[6:7], -1
	global_store_byte v[8:9], v11, off
.LBB448_1638:
	s_mov_b64 s[8:9], 0
.LBB448_1639:
	s_and_b64 vcc, exec, s[8:9]
	s_cbranch_vccz .LBB448_1642
; %bb.1640:
	s_cmp_eq_u32 s21, 29
	s_mov_b64 s[0:1], -1
	s_cbranch_scc0 .LBB448_1642
; %bb.1641:
	global_store_dwordx2 v[8:9], v[2:3], off
	s_mov_b64 s[0:1], 0
	s_mov_b64 s[6:7], -1
.LBB448_1642:
	s_mov_b64 s[8:9], 0
.LBB448_1643:
	s_and_b64 vcc, exec, s[8:9]
	s_cbranch_vccz .LBB448_1659
; %bb.1644:
	s_cmp_lt_i32 s21, 27
	s_mov_b64 s[6:7], -1
	s_cbranch_scc1 .LBB448_1650
; %bb.1645:
	s_cmp_gt_i32 s21, 27
	s_cbranch_scc0 .LBB448_1647
; %bb.1646:
	s_mov_b64 s[6:7], 0
	global_store_dword v[8:9], v2, off
.LBB448_1647:
	s_andn2_b64 vcc, exec, s[6:7]
	s_cbranch_vccnz .LBB448_1649
; %bb.1648:
	global_store_short v[8:9], v2, off
.LBB448_1649:
	s_mov_b64 s[6:7], 0
.LBB448_1650:
	s_andn2_b64 vcc, exec, s[6:7]
	s_cbranch_vccnz .LBB448_1658
; %bb.1651:
	v_xor_b32_e32 v10, v2, v3
	v_ffbh_i32_e32 v1, v3
	v_ashrrev_i32_e32 v10, 31, v10
	v_add_u32_e32 v1, -1, v1
	v_add_u32_e32 v10, 32, v10
	v_min_u32_e32 v1, v1, v10
	v_lshlrev_b64 v[10:11], v1, v[2:3]
	v_min_u32_e32 v10, 1, v10
	v_or_b32_e32 v10, v11, v10
	v_cvt_f32_i32_e32 v10, v10
	v_sub_u32_e32 v1, 32, v1
	s_mov_b32 s6, 0x43800000
	v_mov_b32_e32 v11, 0x80
	v_ldexp_f32 v1, v10, v1
	v_and_b32_e32 v10, 0x7fffffff, v1
	v_cmp_gt_u32_e32 vcc, s6, v10
	s_and_saveexec_b64 s[6:7], vcc
	s_cbranch_execz .LBB448_1657
; %bb.1652:
	s_mov_b32 s8, 0x3bffffff
	v_cmp_lt_u32_e32 vcc, s8, v10
	s_mov_b64 s[8:9], 0
                                        ; implicit-def: $vgpr10
	s_and_saveexec_b64 s[18:19], vcc
	s_xor_b64 s[18:19], exec, s[18:19]
	s_cbranch_execz .LBB448_1992
; %bb.1653:
	v_bfe_u32 v10, v1, 20, 1
	s_mov_b32 s23, 0x487ffff
	v_add3_u32 v10, v1, v10, s23
	s_mov_b64 s[8:9], exec
	v_lshrrev_b32_e32 v10, 20, v10
	s_andn2_saveexec_b64 s[18:19], s[18:19]
	s_cbranch_execnz .LBB448_1993
.LBB448_1654:
	s_or_b64 exec, exec, s[18:19]
	v_mov_b32_e32 v11, 0
	s_and_saveexec_b64 s[18:19], s[8:9]
.LBB448_1655:
	v_lshrrev_b32_e32 v1, 24, v1
	s_movk_i32 s8, 0x80
	v_and_or_b32 v11, v1, s8, v10
.LBB448_1656:
	s_or_b64 exec, exec, s[18:19]
.LBB448_1657:
	s_or_b64 exec, exec, s[6:7]
	global_store_byte v[8:9], v11, off
.LBB448_1658:
	s_mov_b64 s[6:7], -1
.LBB448_1659:
	s_mov_b64 s[8:9], 0
.LBB448_1660:
	s_and_b64 vcc, exec, s[8:9]
	s_cbranch_vccz .LBB448_1700
; %bb.1661:
	s_cmp_gt_i32 s21, 22
	s_mov_b64 s[2:3], -1
	s_cbranch_scc0 .LBB448_1693
; %bb.1662:
	s_cmp_lt_i32 s21, 24
	s_cbranch_scc1 .LBB448_1682
; %bb.1663:
	s_cmp_gt_i32 s21, 24
	s_cbranch_scc0 .LBB448_1671
; %bb.1664:
	v_xor_b32_e32 v10, v2, v3
	v_ffbh_i32_e32 v1, v3
	v_ashrrev_i32_e32 v10, 31, v10
	v_add_u32_e32 v1, -1, v1
	v_add_u32_e32 v10, 32, v10
	v_min_u32_e32 v1, v1, v10
	v_lshlrev_b64 v[10:11], v1, v[2:3]
	v_min_u32_e32 v10, 1, v10
	v_or_b32_e32 v10, v11, v10
	v_cvt_f32_i32_e32 v10, v10
	v_sub_u32_e32 v1, 32, v1
	s_mov_b32 s2, 0x47800000
	v_mov_b32_e32 v11, 0x80
	v_ldexp_f32 v1, v10, v1
	v_and_b32_e32 v10, 0x7fffffff, v1
	v_cmp_gt_u32_e32 vcc, s2, v10
	s_and_saveexec_b64 s[2:3], vcc
	s_cbranch_execz .LBB448_1670
; %bb.1665:
	s_mov_b32 s6, 0x37ffffff
	v_cmp_lt_u32_e32 vcc, s6, v10
	s_mov_b64 s[6:7], 0
                                        ; implicit-def: $vgpr10
	s_and_saveexec_b64 s[8:9], vcc
	s_xor_b64 s[8:9], exec, s[8:9]
	s_cbranch_execz .LBB448_1995
; %bb.1666:
	v_bfe_u32 v10, v1, 21, 1
	s_mov_b32 s18, 0x88fffff
	v_add3_u32 v10, v1, v10, s18
	s_mov_b64 s[6:7], exec
	v_lshrrev_b32_e32 v10, 21, v10
	s_andn2_saveexec_b64 s[8:9], s[8:9]
	s_cbranch_execnz .LBB448_1996
.LBB448_1667:
	s_or_b64 exec, exec, s[8:9]
	v_mov_b32_e32 v11, 0
	s_and_saveexec_b64 s[8:9], s[6:7]
.LBB448_1668:
	v_lshrrev_b32_e32 v1, 24, v1
	s_movk_i32 s6, 0x80
	v_and_or_b32 v11, v1, s6, v10
.LBB448_1669:
	s_or_b64 exec, exec, s[8:9]
.LBB448_1670:
	s_or_b64 exec, exec, s[2:3]
	s_mov_b64 s[2:3], 0
	global_store_byte v[8:9], v11, off
.LBB448_1671:
	s_and_b64 vcc, exec, s[2:3]
	s_cbranch_vccz .LBB448_1681
; %bb.1672:
	v_xor_b32_e32 v10, v2, v3
	v_ffbh_i32_e32 v1, v3
	v_ashrrev_i32_e32 v10, 31, v10
	v_add_u32_e32 v1, -1, v1
	v_add_u32_e32 v10, 32, v10
	v_min_u32_e32 v1, v1, v10
	v_lshlrev_b64 v[10:11], v1, v[2:3]
	v_min_u32_e32 v10, 1, v10
	v_or_b32_e32 v10, v11, v10
	v_cvt_f32_i32_e32 v10, v10
	v_sub_u32_e32 v1, 32, v1
	s_mov_b32 s2, 0x43f00000
	v_ldexp_f32 v1, v10, v1
	v_and_b32_e32 v11, 0x7fffffff, v1
	v_cmp_gt_u32_e32 vcc, s2, v11
                                        ; implicit-def: $vgpr10
	s_and_saveexec_b64 s[2:3], vcc
	s_xor_b64 s[2:3], exec, s[2:3]
	s_cbranch_execz .LBB448_1678
; %bb.1673:
	s_mov_b32 s6, 0x3c7fffff
	v_cmp_lt_u32_e32 vcc, s6, v11
                                        ; implicit-def: $vgpr10
	s_and_saveexec_b64 s[6:7], vcc
	s_xor_b64 s[6:7], exec, s[6:7]
; %bb.1674:
	v_bfe_u32 v10, v1, 20, 1
	s_mov_b32 s8, 0x407ffff
	v_add3_u32 v10, v1, v10, s8
	v_lshrrev_b32_e32 v11, 20, v10
	v_and_b32_e32 v10, 0xff00000, v10
	s_mov_b32 s8, 0x7f00000
	v_mov_b32_e32 v12, 0x7e
	v_cmp_ne_u32_e32 vcc, s8, v10
	s_nop 1
	v_cndmask_b32_e32 v10, v12, v11, vcc
; %bb.1675:
	s_andn2_saveexec_b64 s[6:7], s[6:7]
; %bb.1676:
	s_mov_b32 s8, 0x46800000
	v_add_f32_e64 v10, |v1|, s8
; %bb.1677:
	s_or_b64 exec, exec, s[6:7]
                                        ; implicit-def: $vgpr11
.LBB448_1678:
	s_andn2_saveexec_b64 s[2:3], s[2:3]
; %bb.1679:
	s_mov_b32 s6, 0x7f800000
	v_mov_b32_e32 v10, 0x7e
	v_mov_b32_e32 v12, 0x7f
	v_cmp_lt_u32_e32 vcc, s6, v11
	s_nop 1
	v_cndmask_b32_e32 v10, v10, v12, vcc
; %bb.1680:
	s_or_b64 exec, exec, s[2:3]
	v_lshrrev_b32_e32 v1, 24, v1
	s_movk_i32 s2, 0x80
	v_and_or_b32 v1, v1, s2, v10
	global_store_byte v[8:9], v1, off
.LBB448_1681:
	s_mov_b64 s[2:3], 0
.LBB448_1682:
	s_andn2_b64 vcc, exec, s[2:3]
	s_cbranch_vccnz .LBB448_1692
; %bb.1683:
	v_xor_b32_e32 v10, v2, v3
	v_ffbh_i32_e32 v1, v3
	v_ashrrev_i32_e32 v10, 31, v10
	v_add_u32_e32 v1, -1, v1
	v_add_u32_e32 v10, 32, v10
	v_min_u32_e32 v1, v1, v10
	v_lshlrev_b64 v[10:11], v1, v[2:3]
	v_min_u32_e32 v10, 1, v10
	v_or_b32_e32 v10, v11, v10
	v_cvt_f32_i32_e32 v10, v10
	v_sub_u32_e32 v1, 32, v1
	s_mov_b32 s2, 0x47800000
	v_ldexp_f32 v1, v10, v1
	v_and_b32_e32 v11, 0x7fffffff, v1
	v_cmp_gt_u32_e32 vcc, s2, v11
                                        ; implicit-def: $vgpr10
	s_and_saveexec_b64 s[2:3], vcc
	s_xor_b64 s[2:3], exec, s[2:3]
	s_cbranch_execz .LBB448_1689
; %bb.1684:
	s_mov_b32 s6, 0x387fffff
	v_cmp_lt_u32_e32 vcc, s6, v11
                                        ; implicit-def: $vgpr10
	s_and_saveexec_b64 s[6:7], vcc
	s_xor_b64 s[6:7], exec, s[6:7]
; %bb.1685:
	v_bfe_u32 v10, v1, 21, 1
	s_mov_b32 s8, 0x80fffff
	v_add3_u32 v10, v1, v10, s8
	v_lshrrev_b32_e32 v10, 21, v10
; %bb.1686:
	s_andn2_saveexec_b64 s[6:7], s[6:7]
; %bb.1687:
	s_mov_b32 s8, 0x43000000
	v_add_f32_e64 v10, |v1|, s8
; %bb.1688:
	s_or_b64 exec, exec, s[6:7]
                                        ; implicit-def: $vgpr11
.LBB448_1689:
	s_andn2_saveexec_b64 s[2:3], s[2:3]
; %bb.1690:
	s_mov_b32 s6, 0x7f800000
	v_mov_b32_e32 v10, 0x7c
	v_mov_b32_e32 v12, 0x7f
	v_cmp_lt_u32_e32 vcc, s6, v11
	s_nop 1
	v_cndmask_b32_e32 v10, v10, v12, vcc
; %bb.1691:
	s_or_b64 exec, exec, s[2:3]
	v_lshrrev_b32_e32 v1, 24, v1
	s_movk_i32 s2, 0x80
	v_and_or_b32 v1, v1, s2, v10
	global_store_byte v[8:9], v1, off
.LBB448_1692:
	s_mov_b64 s[2:3], 0
	s_mov_b64 s[6:7], -1
.LBB448_1693:
	s_andn2_b64 vcc, exec, s[2:3]
	s_mov_b64 s[2:3], 0
	s_cbranch_vccnz .LBB448_1700
; %bb.1694:
	s_cmp_gt_i32 s21, 14
	s_mov_b64 s[8:9], -1
	s_cbranch_scc0 .LBB448_1698
; %bb.1695:
	s_cmp_eq_u32 s21, 15
	s_mov_b64 s[0:1], -1
	s_cbranch_scc0 .LBB448_1697
; %bb.1696:
	v_xor_b32_e32 v10, v2, v3
	v_ffbh_i32_e32 v1, v3
	v_ashrrev_i32_e32 v10, 31, v10
	v_add_u32_e32 v1, -1, v1
	v_add_u32_e32 v10, 32, v10
	v_min_u32_e32 v1, v1, v10
	v_lshlrev_b64 v[10:11], v1, v[2:3]
	v_min_u32_e32 v10, 1, v10
	v_or_b32_e32 v10, v11, v10
	v_cvt_f32_i32_e32 v10, v10
	v_sub_u32_e32 v1, 32, v1
	s_movk_i32 s0, 0x7fff
	s_mov_b64 s[6:7], -1
	v_ldexp_f32 v1, v10, v1
	v_bfe_u32 v10, v1, 16, 1
	v_add3_u32 v1, v1, v10, s0
	global_store_short_d16_hi v[8:9], v1, off
	s_mov_b64 s[0:1], 0
.LBB448_1697:
	s_mov_b64 s[8:9], 0
.LBB448_1698:
	s_and_b64 vcc, exec, s[8:9]
	s_cbranch_vccz .LBB448_1700
; %bb.1699:
	s_cmp_lg_u32 s21, 11
	s_mov_b64 s[2:3], -1
	s_cselect_b64 s[0:1], -1, 0
.LBB448_1700:
	s_and_b64 vcc, exec, s[0:1]
	s_cbranch_vccnz .LBB448_1994
; %bb.1701:
	s_andn2_b64 vcc, exec, s[2:3]
	s_cbranch_vccnz .LBB448_1703
.LBB448_1702:
	v_cmp_ne_u64_e32 vcc, 0, v[2:3]
	s_mov_b64 s[6:7], -1
	s_nop 0
	v_cndmask_b32_e64 v1, 0, 1, vcc
	global_store_byte v[8:9], v1, off
.LBB448_1703:
	s_mov_b64 s[0:1], 0
	s_branch .LBB448_1705
.LBB448_1704:
	s_mov_b64 s[0:1], -1
	s_mov_b64 s[6:7], 0
.LBB448_1705:
	s_and_b64 vcc, exec, s[0:1]
	s_cbranch_vccz .LBB448_1744
; %bb.1706:
	s_and_b32 s2, 0xffff, s22
	s_cmp_lt_i32 s2, 5
	s_mov_b64 s[0:1], -1
	s_cbranch_scc1 .LBB448_1727
; %bb.1707:
	s_cmp_lt_i32 s2, 8
	s_cbranch_scc1 .LBB448_1717
; %bb.1708:
	s_cmp_lt_i32 s2, 9
	s_cbranch_scc1 .LBB448_1714
; %bb.1709:
	s_cmp_gt_i32 s2, 9
	s_cbranch_scc0 .LBB448_1711
; %bb.1710:
	v_cvt_f64_i32_e32 v[10:11], v3
	v_ldexp_f64 v[10:11], v[10:11], 32
	v_cvt_f64_u32_e32 v[12:13], v2
	v_add_f64 v[10:11], v[10:11], v[12:13]
	v_mov_b32_e32 v12, 0
	v_mov_b32_e32 v13, v12
	global_store_dwordx4 v[8:9], v[10:13], off
	s_mov_b64 s[0:1], 0
.LBB448_1711:
	s_andn2_b64 vcc, exec, s[0:1]
	s_cbranch_vccnz .LBB448_1713
; %bb.1712:
	v_xor_b32_e32 v10, v2, v3
	v_ffbh_i32_e32 v1, v3
	v_ashrrev_i32_e32 v10, 31, v10
	v_add_u32_e32 v1, -1, v1
	v_add_u32_e32 v10, 32, v10
	v_min_u32_e32 v1, v1, v10
	v_lshlrev_b64 v[10:11], v1, v[2:3]
	v_min_u32_e32 v10, 1, v10
	v_or_b32_e32 v10, v11, v10
	v_cvt_f32_i32_e32 v10, v10
	v_sub_u32_e32 v1, 32, v1
	v_mov_b32_e32 v11, 0
	v_ldexp_f32 v10, v10, v1
	global_store_dwordx2 v[8:9], v[10:11], off
.LBB448_1713:
	s_mov_b64 s[0:1], 0
.LBB448_1714:
	s_andn2_b64 vcc, exec, s[0:1]
	s_cbranch_vccnz .LBB448_1716
; %bb.1715:
	v_xor_b32_e32 v10, v2, v3
	v_ffbh_i32_e32 v1, v3
	v_ashrrev_i32_e32 v10, 31, v10
	v_add_u32_e32 v1, -1, v1
	v_add_u32_e32 v10, 32, v10
	v_min_u32_e32 v1, v1, v10
	v_lshlrev_b64 v[10:11], v1, v[2:3]
	v_min_u32_e32 v10, 1, v10
	v_or_b32_e32 v10, v11, v10
	v_cvt_f32_i32_e32 v10, v10
	v_sub_u32_e32 v1, 32, v1
	v_ldexp_f32 v1, v10, v1
	v_cvt_f16_f32_e32 v1, v1
	global_store_dword v[8:9], v1, off
.LBB448_1716:
	s_mov_b64 s[0:1], 0
.LBB448_1717:
	s_andn2_b64 vcc, exec, s[0:1]
	s_cbranch_vccnz .LBB448_1726
; %bb.1718:
	s_cmp_lt_i32 s2, 6
	s_mov_b64 s[0:1], -1
	s_cbranch_scc1 .LBB448_1724
; %bb.1719:
	s_cmp_gt_i32 s2, 6
	s_cbranch_scc0 .LBB448_1721
; %bb.1720:
	v_cvt_f64_i32_e32 v[10:11], v3
	v_ldexp_f64 v[10:11], v[10:11], 32
	v_cvt_f64_u32_e32 v[12:13], v2
	v_add_f64 v[10:11], v[10:11], v[12:13]
	global_store_dwordx2 v[8:9], v[10:11], off
	s_mov_b64 s[0:1], 0
.LBB448_1721:
	s_andn2_b64 vcc, exec, s[0:1]
	s_cbranch_vccnz .LBB448_1723
; %bb.1722:
	v_xor_b32_e32 v10, v2, v3
	v_ffbh_i32_e32 v1, v3
	v_ashrrev_i32_e32 v10, 31, v10
	v_add_u32_e32 v1, -1, v1
	v_add_u32_e32 v10, 32, v10
	v_min_u32_e32 v1, v1, v10
	v_lshlrev_b64 v[10:11], v1, v[2:3]
	v_min_u32_e32 v10, 1, v10
	v_or_b32_e32 v10, v11, v10
	v_cvt_f32_i32_e32 v10, v10
	v_sub_u32_e32 v1, 32, v1
	v_ldexp_f32 v1, v10, v1
	global_store_dword v[8:9], v1, off
.LBB448_1723:
	s_mov_b64 s[0:1], 0
.LBB448_1724:
	s_andn2_b64 vcc, exec, s[0:1]
	s_cbranch_vccnz .LBB448_1726
; %bb.1725:
	v_xor_b32_e32 v10, v2, v3
	v_ffbh_i32_e32 v1, v3
	v_ashrrev_i32_e32 v10, 31, v10
	v_add_u32_e32 v1, -1, v1
	v_add_u32_e32 v10, 32, v10
	v_min_u32_e32 v1, v1, v10
	v_lshlrev_b64 v[10:11], v1, v[2:3]
	v_min_u32_e32 v10, 1, v10
	v_or_b32_e32 v10, v11, v10
	v_cvt_f32_i32_e32 v10, v10
	v_sub_u32_e32 v1, 32, v1
	v_ldexp_f32 v1, v10, v1
	v_cvt_f16_f32_e32 v1, v1
	global_store_short v[8:9], v1, off
.LBB448_1726:
	s_mov_b64 s[0:1], 0
.LBB448_1727:
	s_andn2_b64 vcc, exec, s[0:1]
	s_cbranch_vccnz .LBB448_1743
; %bb.1728:
	s_cmp_lt_i32 s2, 2
	s_mov_b64 s[0:1], -1
	s_cbranch_scc1 .LBB448_1738
; %bb.1729:
	s_cmp_lt_i32 s2, 3
	s_cbranch_scc1 .LBB448_1735
; %bb.1730:
	s_cmp_gt_i32 s2, 3
	s_cbranch_scc0 .LBB448_1732
; %bb.1731:
	global_store_dwordx2 v[8:9], v[2:3], off
	s_mov_b64 s[0:1], 0
.LBB448_1732:
	s_andn2_b64 vcc, exec, s[0:1]
	s_cbranch_vccnz .LBB448_1734
; %bb.1733:
	global_store_dword v[8:9], v2, off
.LBB448_1734:
	s_mov_b64 s[0:1], 0
.LBB448_1735:
	s_andn2_b64 vcc, exec, s[0:1]
	s_cbranch_vccnz .LBB448_1737
; %bb.1736:
	global_store_short v[8:9], v2, off
.LBB448_1737:
	s_mov_b64 s[0:1], 0
.LBB448_1738:
	s_andn2_b64 vcc, exec, s[0:1]
	s_cbranch_vccnz .LBB448_1743
; %bb.1739:
	s_cmp_gt_i32 s2, 0
	s_mov_b64 s[0:1], -1
	s_cbranch_scc0 .LBB448_1741
; %bb.1740:
	global_store_byte v[8:9], v2, off
	s_mov_b64 s[0:1], 0
.LBB448_1741:
	s_andn2_b64 vcc, exec, s[0:1]
	s_cbranch_vccnz .LBB448_1743
; %bb.1742:
	global_store_byte v[8:9], v2, off
.LBB448_1743:
	s_mov_b64 s[6:7], -1
.LBB448_1744:
	s_andn2_b64 vcc, exec, s[6:7]
	s_cbranch_vccnz .LBB448_1940
; %bb.1745:
	v_mov_b32_e32 v1, s11
	v_cmp_gt_i64_e32 vcc, s[10:11], v[4:5]
	v_add_u32_e32 v2, s20, v0
	v_ashrrev_i32_e32 v3, 31, v2
	v_cndmask_b32_e32 v5, v1, v5, vcc
	v_mov_b32_e32 v1, s10
	v_cndmask_b32_e32 v4, v1, v4, vcc
	s_cmp_lt_i32 s22, 11
	v_lshl_add_u64 v[0:1], s[4:5], 0, v[2:3]
	s_cbranch_scc1 .LBB448_1823
; %bb.1746:
	s_and_b32 s21, 0xffff, s22
	s_mov_b64 s[8:9], -1
	s_mov_b64 s[2:3], 0
	s_cmp_gt_i32 s21, 25
	s_mov_b64 s[6:7], 0
	s_mov_b64 s[0:1], 0
	s_cbranch_scc0 .LBB448_1779
; %bb.1747:
	s_cmp_gt_i32 s21, 28
	s_cbranch_scc0 .LBB448_1762
; %bb.1748:
	s_cmp_gt_i32 s21, 43
	;; [unrolled: 3-line block ×3, first 2 shown]
	s_cbranch_scc0 .LBB448_1752
; %bb.1750:
	s_mov_b64 s[0:1], -1
	s_mov_b64 s[8:9], 0
	s_cmp_eq_u32 s21, 46
	s_cbranch_scc0 .LBB448_1752
; %bb.1751:
	v_xor_b32_e32 v8, v4, v5
	v_ffbh_i32_e32 v3, v5
	v_ashrrev_i32_e32 v8, 31, v8
	v_add_u32_e32 v3, -1, v3
	v_add_u32_e32 v8, 32, v8
	v_min_u32_e32 v3, v3, v8
	v_lshlrev_b64 v[8:9], v3, v[4:5]
	v_min_u32_e32 v8, 1, v8
	v_or_b32_e32 v8, v9, v8
	v_cvt_f32_i32_e32 v8, v8
	v_sub_u32_e32 v3, 32, v3
	s_movk_i32 s0, 0x7fff
	s_mov_b64 s[6:7], -1
	v_ldexp_f32 v3, v8, v3
	v_bfe_u32 v8, v3, 16, 1
	v_add3_u32 v3, v3, v8, s0
	v_lshrrev_b32_e32 v3, 16, v3
	global_store_dword v[0:1], v3, off
	s_mov_b64 s[0:1], 0
.LBB448_1752:
	s_and_b64 vcc, exec, s[8:9]
	s_cbranch_vccz .LBB448_1757
; %bb.1753:
	s_cmp_eq_u32 s21, 44
	s_mov_b64 s[0:1], -1
	s_cbranch_scc0 .LBB448_1757
; %bb.1754:
	v_xor_b32_e32 v8, v4, v5
	v_ffbh_i32_e32 v3, v5
	v_ashrrev_i32_e32 v8, 31, v8
	v_add_u32_e32 v3, -1, v3
	v_add_u32_e32 v8, 32, v8
	v_min_u32_e32 v3, v3, v8
	v_lshlrev_b64 v[8:9], v3, v[4:5]
	v_min_u32_e32 v8, 1, v8
	v_or_b32_e32 v8, v9, v8
	v_cvt_f32_i32_e32 v8, v8
	v_sub_u32_e32 v3, 32, v3
	s_movk_i32 s0, 0xff
	v_mov_b32_e32 v9, 0xff
	v_ldexp_f32 v3, v8, v3
	v_bfe_u32 v8, v3, 23, 8
	v_cmp_ne_u32_e32 vcc, s0, v8
	s_and_saveexec_b64 s[6:7], vcc
; %bb.1755:
	s_mov_b32 s0, 0x3fffff
	v_lshrrev_b32_e32 v9, 23, v3
	v_and_b32_e32 v10, 0x400000, v3
	v_and_or_b32 v3, v3, s0, v8
	v_cmp_ne_u32_e32 vcc, 0, v10
	v_cmp_ne_u32_e64 s[0:1], 0, v3
	s_and_b64 s[0:1], vcc, s[0:1]
	s_nop 0
	v_cndmask_b32_e64 v3, 0, 1, s[0:1]
	v_add_u32_e32 v9, v9, v3
; %bb.1756:
	s_or_b64 exec, exec, s[6:7]
	s_mov_b64 s[0:1], 0
	s_mov_b64 s[6:7], -1
	global_store_byte v[0:1], v9, off
.LBB448_1757:
	s_mov_b64 s[8:9], 0
.LBB448_1758:
	s_and_b64 vcc, exec, s[8:9]
	s_cbranch_vccz .LBB448_1761
; %bb.1759:
	s_cmp_eq_u32 s21, 29
	s_mov_b64 s[0:1], -1
	s_cbranch_scc0 .LBB448_1761
; %bb.1760:
	global_store_dwordx2 v[0:1], v[4:5], off
	s_mov_b64 s[0:1], 0
	s_mov_b64 s[6:7], -1
.LBB448_1761:
	s_mov_b64 s[8:9], 0
.LBB448_1762:
	s_and_b64 vcc, exec, s[8:9]
	s_cbranch_vccz .LBB448_1778
; %bb.1763:
	s_cmp_lt_i32 s21, 27
	s_mov_b64 s[6:7], -1
	s_cbranch_scc1 .LBB448_1769
; %bb.1764:
	s_cmp_gt_i32 s21, 27
	s_cbranch_scc0 .LBB448_1766
; %bb.1765:
	s_mov_b64 s[6:7], 0
	global_store_dword v[0:1], v4, off
.LBB448_1766:
	s_andn2_b64 vcc, exec, s[6:7]
	s_cbranch_vccnz .LBB448_1768
; %bb.1767:
	global_store_short v[0:1], v4, off
.LBB448_1768:
	s_mov_b64 s[6:7], 0
.LBB448_1769:
	s_andn2_b64 vcc, exec, s[6:7]
	s_cbranch_vccnz .LBB448_1777
; %bb.1770:
	v_xor_b32_e32 v8, v4, v5
	v_ffbh_i32_e32 v3, v5
	v_ashrrev_i32_e32 v8, 31, v8
	v_add_u32_e32 v3, -1, v3
	v_add_u32_e32 v8, 32, v8
	v_min_u32_e32 v3, v3, v8
	v_lshlrev_b64 v[8:9], v3, v[4:5]
	v_min_u32_e32 v8, 1, v8
	v_or_b32_e32 v8, v9, v8
	v_cvt_f32_i32_e32 v8, v8
	v_sub_u32_e32 v3, 32, v3
	s_mov_b32 s6, 0x43800000
	v_mov_b32_e32 v9, 0x80
	v_ldexp_f32 v3, v8, v3
	v_and_b32_e32 v8, 0x7fffffff, v3
	v_cmp_gt_u32_e32 vcc, s6, v8
	s_and_saveexec_b64 s[6:7], vcc
	s_cbranch_execz .LBB448_1776
; %bb.1771:
	s_mov_b32 s8, 0x3bffffff
	v_cmp_lt_u32_e32 vcc, s8, v8
	s_mov_b64 s[8:9], 0
                                        ; implicit-def: $vgpr8
	s_and_saveexec_b64 s[18:19], vcc
	s_xor_b64 s[18:19], exec, s[18:19]
	s_cbranch_execz .LBB448_1997
; %bb.1772:
	v_bfe_u32 v8, v3, 20, 1
	s_mov_b32 s23, 0x487ffff
	v_add3_u32 v8, v3, v8, s23
	s_mov_b64 s[8:9], exec
	v_lshrrev_b32_e32 v8, 20, v8
	s_andn2_saveexec_b64 s[18:19], s[18:19]
	s_cbranch_execnz .LBB448_1998
.LBB448_1773:
	s_or_b64 exec, exec, s[18:19]
	v_mov_b32_e32 v9, 0
	s_and_saveexec_b64 s[18:19], s[8:9]
.LBB448_1774:
	v_lshrrev_b32_e32 v3, 24, v3
	s_movk_i32 s8, 0x80
	v_and_or_b32 v9, v3, s8, v8
.LBB448_1775:
	s_or_b64 exec, exec, s[18:19]
.LBB448_1776:
	s_or_b64 exec, exec, s[6:7]
	global_store_byte v[0:1], v9, off
.LBB448_1777:
	s_mov_b64 s[6:7], -1
.LBB448_1778:
	s_mov_b64 s[8:9], 0
.LBB448_1779:
	s_and_b64 vcc, exec, s[8:9]
	s_cbranch_vccz .LBB448_1819
; %bb.1780:
	s_cmp_gt_i32 s21, 22
	s_mov_b64 s[2:3], -1
	s_cbranch_scc0 .LBB448_1812
; %bb.1781:
	s_cmp_lt_i32 s21, 24
	s_cbranch_scc1 .LBB448_1801
; %bb.1782:
	s_cmp_gt_i32 s21, 24
	s_cbranch_scc0 .LBB448_1790
; %bb.1783:
	v_xor_b32_e32 v8, v4, v5
	v_ffbh_i32_e32 v3, v5
	v_ashrrev_i32_e32 v8, 31, v8
	v_add_u32_e32 v3, -1, v3
	v_add_u32_e32 v8, 32, v8
	v_min_u32_e32 v3, v3, v8
	v_lshlrev_b64 v[8:9], v3, v[4:5]
	v_min_u32_e32 v8, 1, v8
	v_or_b32_e32 v8, v9, v8
	v_cvt_f32_i32_e32 v8, v8
	v_sub_u32_e32 v3, 32, v3
	s_mov_b32 s2, 0x47800000
	v_mov_b32_e32 v9, 0x80
	v_ldexp_f32 v3, v8, v3
	v_and_b32_e32 v8, 0x7fffffff, v3
	v_cmp_gt_u32_e32 vcc, s2, v8
	s_and_saveexec_b64 s[2:3], vcc
	s_cbranch_execz .LBB448_1789
; %bb.1784:
	s_mov_b32 s6, 0x37ffffff
	v_cmp_lt_u32_e32 vcc, s6, v8
	s_mov_b64 s[6:7], 0
                                        ; implicit-def: $vgpr8
	s_and_saveexec_b64 s[8:9], vcc
	s_xor_b64 s[8:9], exec, s[8:9]
	s_cbranch_execz .LBB448_2000
; %bb.1785:
	v_bfe_u32 v8, v3, 21, 1
	s_mov_b32 s18, 0x88fffff
	v_add3_u32 v8, v3, v8, s18
	s_mov_b64 s[6:7], exec
	v_lshrrev_b32_e32 v8, 21, v8
	s_andn2_saveexec_b64 s[8:9], s[8:9]
	s_cbranch_execnz .LBB448_2001
.LBB448_1786:
	s_or_b64 exec, exec, s[8:9]
	v_mov_b32_e32 v9, 0
	s_and_saveexec_b64 s[8:9], s[6:7]
.LBB448_1787:
	v_lshrrev_b32_e32 v3, 24, v3
	s_movk_i32 s6, 0x80
	v_and_or_b32 v9, v3, s6, v8
.LBB448_1788:
	s_or_b64 exec, exec, s[8:9]
.LBB448_1789:
	s_or_b64 exec, exec, s[2:3]
	s_mov_b64 s[2:3], 0
	global_store_byte v[0:1], v9, off
.LBB448_1790:
	s_and_b64 vcc, exec, s[2:3]
	s_cbranch_vccz .LBB448_1800
; %bb.1791:
	v_xor_b32_e32 v8, v4, v5
	v_ffbh_i32_e32 v3, v5
	v_ashrrev_i32_e32 v8, 31, v8
	v_add_u32_e32 v3, -1, v3
	v_add_u32_e32 v8, 32, v8
	v_min_u32_e32 v3, v3, v8
	v_lshlrev_b64 v[8:9], v3, v[4:5]
	v_min_u32_e32 v8, 1, v8
	v_or_b32_e32 v8, v9, v8
	v_cvt_f32_i32_e32 v8, v8
	v_sub_u32_e32 v3, 32, v3
	s_mov_b32 s2, 0x43f00000
	v_ldexp_f32 v3, v8, v3
	v_and_b32_e32 v9, 0x7fffffff, v3
	v_cmp_gt_u32_e32 vcc, s2, v9
                                        ; implicit-def: $vgpr8
	s_and_saveexec_b64 s[2:3], vcc
	s_xor_b64 s[2:3], exec, s[2:3]
	s_cbranch_execz .LBB448_1797
; %bb.1792:
	s_mov_b32 s6, 0x3c7fffff
	v_cmp_lt_u32_e32 vcc, s6, v9
                                        ; implicit-def: $vgpr8
	s_and_saveexec_b64 s[6:7], vcc
	s_xor_b64 s[6:7], exec, s[6:7]
; %bb.1793:
	v_bfe_u32 v8, v3, 20, 1
	s_mov_b32 s8, 0x407ffff
	v_add3_u32 v8, v3, v8, s8
	v_lshrrev_b32_e32 v9, 20, v8
	v_and_b32_e32 v8, 0xff00000, v8
	s_mov_b32 s8, 0x7f00000
	v_mov_b32_e32 v10, 0x7e
	v_cmp_ne_u32_e32 vcc, s8, v8
	s_nop 1
	v_cndmask_b32_e32 v8, v10, v9, vcc
; %bb.1794:
	s_andn2_saveexec_b64 s[6:7], s[6:7]
; %bb.1795:
	s_mov_b32 s8, 0x46800000
	v_add_f32_e64 v8, |v3|, s8
; %bb.1796:
	s_or_b64 exec, exec, s[6:7]
                                        ; implicit-def: $vgpr9
.LBB448_1797:
	s_andn2_saveexec_b64 s[2:3], s[2:3]
; %bb.1798:
	s_mov_b32 s6, 0x7f800000
	v_mov_b32_e32 v8, 0x7e
	v_mov_b32_e32 v10, 0x7f
	v_cmp_lt_u32_e32 vcc, s6, v9
	s_nop 1
	v_cndmask_b32_e32 v8, v8, v10, vcc
; %bb.1799:
	s_or_b64 exec, exec, s[2:3]
	v_lshrrev_b32_e32 v3, 24, v3
	s_movk_i32 s2, 0x80
	v_and_or_b32 v3, v3, s2, v8
	global_store_byte v[0:1], v3, off
.LBB448_1800:
	s_mov_b64 s[2:3], 0
.LBB448_1801:
	s_andn2_b64 vcc, exec, s[2:3]
	s_cbranch_vccnz .LBB448_1811
; %bb.1802:
	v_xor_b32_e32 v8, v4, v5
	v_ffbh_i32_e32 v3, v5
	v_ashrrev_i32_e32 v8, 31, v8
	v_add_u32_e32 v3, -1, v3
	v_add_u32_e32 v8, 32, v8
	v_min_u32_e32 v3, v3, v8
	v_lshlrev_b64 v[8:9], v3, v[4:5]
	v_min_u32_e32 v8, 1, v8
	v_or_b32_e32 v8, v9, v8
	v_cvt_f32_i32_e32 v8, v8
	v_sub_u32_e32 v3, 32, v3
	s_mov_b32 s2, 0x47800000
	v_ldexp_f32 v3, v8, v3
	v_and_b32_e32 v9, 0x7fffffff, v3
	v_cmp_gt_u32_e32 vcc, s2, v9
                                        ; implicit-def: $vgpr8
	s_and_saveexec_b64 s[2:3], vcc
	s_xor_b64 s[2:3], exec, s[2:3]
	s_cbranch_execz .LBB448_1808
; %bb.1803:
	s_mov_b32 s6, 0x387fffff
	v_cmp_lt_u32_e32 vcc, s6, v9
                                        ; implicit-def: $vgpr8
	s_and_saveexec_b64 s[6:7], vcc
	s_xor_b64 s[6:7], exec, s[6:7]
; %bb.1804:
	v_bfe_u32 v8, v3, 21, 1
	s_mov_b32 s8, 0x80fffff
	v_add3_u32 v8, v3, v8, s8
	v_lshrrev_b32_e32 v8, 21, v8
; %bb.1805:
	s_andn2_saveexec_b64 s[6:7], s[6:7]
; %bb.1806:
	s_mov_b32 s8, 0x43000000
	v_add_f32_e64 v8, |v3|, s8
; %bb.1807:
	s_or_b64 exec, exec, s[6:7]
                                        ; implicit-def: $vgpr9
.LBB448_1808:
	s_andn2_saveexec_b64 s[2:3], s[2:3]
; %bb.1809:
	s_mov_b32 s6, 0x7f800000
	v_mov_b32_e32 v8, 0x7c
	v_mov_b32_e32 v10, 0x7f
	v_cmp_lt_u32_e32 vcc, s6, v9
	s_nop 1
	v_cndmask_b32_e32 v8, v8, v10, vcc
; %bb.1810:
	s_or_b64 exec, exec, s[2:3]
	v_lshrrev_b32_e32 v3, 24, v3
	s_movk_i32 s2, 0x80
	v_and_or_b32 v3, v3, s2, v8
	global_store_byte v[0:1], v3, off
.LBB448_1811:
	s_mov_b64 s[2:3], 0
	s_mov_b64 s[6:7], -1
.LBB448_1812:
	s_andn2_b64 vcc, exec, s[2:3]
	s_mov_b64 s[2:3], 0
	s_cbranch_vccnz .LBB448_1819
; %bb.1813:
	s_cmp_gt_i32 s21, 14
	s_mov_b64 s[8:9], -1
	s_cbranch_scc0 .LBB448_1817
; %bb.1814:
	s_cmp_eq_u32 s21, 15
	s_mov_b64 s[0:1], -1
	s_cbranch_scc0 .LBB448_1816
; %bb.1815:
	v_xor_b32_e32 v8, v4, v5
	v_ffbh_i32_e32 v3, v5
	v_ashrrev_i32_e32 v8, 31, v8
	v_add_u32_e32 v3, -1, v3
	v_add_u32_e32 v8, 32, v8
	v_min_u32_e32 v3, v3, v8
	v_lshlrev_b64 v[8:9], v3, v[4:5]
	v_min_u32_e32 v8, 1, v8
	v_or_b32_e32 v8, v9, v8
	v_cvt_f32_i32_e32 v8, v8
	v_sub_u32_e32 v3, 32, v3
	s_movk_i32 s0, 0x7fff
	s_mov_b64 s[6:7], -1
	v_ldexp_f32 v3, v8, v3
	v_bfe_u32 v8, v3, 16, 1
	v_add3_u32 v3, v3, v8, s0
	global_store_short_d16_hi v[0:1], v3, off
	s_mov_b64 s[0:1], 0
.LBB448_1816:
	s_mov_b64 s[8:9], 0
.LBB448_1817:
	s_and_b64 vcc, exec, s[8:9]
	s_cbranch_vccz .LBB448_1819
; %bb.1818:
	s_cmp_lg_u32 s21, 11
	s_mov_b64 s[2:3], -1
	s_cselect_b64 s[0:1], -1, 0
.LBB448_1819:
	s_and_b64 vcc, exec, s[0:1]
	s_cbranch_vccnz .LBB448_1999
; %bb.1820:
	s_andn2_b64 vcc, exec, s[2:3]
	s_cbranch_vccnz .LBB448_1822
.LBB448_1821:
	v_cmp_ne_u64_e32 vcc, 0, v[4:5]
	s_mov_b64 s[6:7], -1
	s_nop 0
	v_cndmask_b32_e64 v3, 0, 1, vcc
	global_store_byte v[0:1], v3, off
.LBB448_1822:
	s_mov_b64 s[0:1], 0
	s_branch .LBB448_1824
.LBB448_1823:
	s_mov_b64 s[0:1], -1
	s_mov_b64 s[6:7], 0
.LBB448_1824:
	s_and_b64 vcc, exec, s[0:1]
	s_cbranch_vccz .LBB448_1863
; %bb.1825:
	s_and_b32 s2, 0xffff, s22
	s_cmp_lt_i32 s2, 5
	s_mov_b64 s[0:1], -1
	s_cbranch_scc1 .LBB448_1846
; %bb.1826:
	s_cmp_lt_i32 s2, 8
	s_cbranch_scc1 .LBB448_1836
; %bb.1827:
	s_cmp_lt_i32 s2, 9
	s_cbranch_scc1 .LBB448_1833
; %bb.1828:
	s_cmp_gt_i32 s2, 9
	s_cbranch_scc0 .LBB448_1830
; %bb.1829:
	v_cvt_f64_i32_e32 v[8:9], v5
	v_ldexp_f64 v[8:9], v[8:9], 32
	v_cvt_f64_u32_e32 v[10:11], v4
	v_add_f64 v[8:9], v[8:9], v[10:11]
	v_mov_b32_e32 v10, 0
	v_mov_b32_e32 v11, v10
	global_store_dwordx4 v[0:1], v[8:11], off
	s_mov_b64 s[0:1], 0
.LBB448_1830:
	s_andn2_b64 vcc, exec, s[0:1]
	s_cbranch_vccnz .LBB448_1832
; %bb.1831:
	v_xor_b32_e32 v8, v4, v5
	v_ffbh_i32_e32 v3, v5
	v_ashrrev_i32_e32 v8, 31, v8
	v_add_u32_e32 v3, -1, v3
	v_add_u32_e32 v8, 32, v8
	v_min_u32_e32 v3, v3, v8
	v_lshlrev_b64 v[8:9], v3, v[4:5]
	v_min_u32_e32 v8, 1, v8
	v_or_b32_e32 v8, v9, v8
	v_cvt_f32_i32_e32 v8, v8
	v_sub_u32_e32 v3, 32, v3
	v_mov_b32_e32 v9, 0
	v_ldexp_f32 v8, v8, v3
	global_store_dwordx2 v[0:1], v[8:9], off
.LBB448_1832:
	s_mov_b64 s[0:1], 0
.LBB448_1833:
	s_andn2_b64 vcc, exec, s[0:1]
	s_cbranch_vccnz .LBB448_1835
; %bb.1834:
	v_xor_b32_e32 v8, v4, v5
	v_ffbh_i32_e32 v3, v5
	v_ashrrev_i32_e32 v8, 31, v8
	v_add_u32_e32 v3, -1, v3
	v_add_u32_e32 v8, 32, v8
	v_min_u32_e32 v3, v3, v8
	v_lshlrev_b64 v[8:9], v3, v[4:5]
	v_min_u32_e32 v8, 1, v8
	v_or_b32_e32 v8, v9, v8
	v_cvt_f32_i32_e32 v8, v8
	v_sub_u32_e32 v3, 32, v3
	v_ldexp_f32 v3, v8, v3
	v_cvt_f16_f32_e32 v3, v3
	global_store_dword v[0:1], v3, off
.LBB448_1835:
	s_mov_b64 s[0:1], 0
.LBB448_1836:
	s_andn2_b64 vcc, exec, s[0:1]
	s_cbranch_vccnz .LBB448_1845
; %bb.1837:
	s_cmp_lt_i32 s2, 6
	s_mov_b64 s[0:1], -1
	s_cbranch_scc1 .LBB448_1843
; %bb.1838:
	s_cmp_gt_i32 s2, 6
	s_cbranch_scc0 .LBB448_1840
; %bb.1839:
	v_cvt_f64_i32_e32 v[8:9], v5
	v_ldexp_f64 v[8:9], v[8:9], 32
	v_cvt_f64_u32_e32 v[10:11], v4
	v_add_f64 v[8:9], v[8:9], v[10:11]
	global_store_dwordx2 v[0:1], v[8:9], off
	s_mov_b64 s[0:1], 0
.LBB448_1840:
	s_andn2_b64 vcc, exec, s[0:1]
	s_cbranch_vccnz .LBB448_1842
; %bb.1841:
	v_xor_b32_e32 v8, v4, v5
	v_ffbh_i32_e32 v3, v5
	v_ashrrev_i32_e32 v8, 31, v8
	v_add_u32_e32 v3, -1, v3
	v_add_u32_e32 v8, 32, v8
	v_min_u32_e32 v3, v3, v8
	v_lshlrev_b64 v[8:9], v3, v[4:5]
	v_min_u32_e32 v8, 1, v8
	v_or_b32_e32 v8, v9, v8
	v_cvt_f32_i32_e32 v8, v8
	v_sub_u32_e32 v3, 32, v3
	v_ldexp_f32 v3, v8, v3
	global_store_dword v[0:1], v3, off
.LBB448_1842:
	s_mov_b64 s[0:1], 0
.LBB448_1843:
	s_andn2_b64 vcc, exec, s[0:1]
	s_cbranch_vccnz .LBB448_1845
; %bb.1844:
	v_xor_b32_e32 v8, v4, v5
	v_ffbh_i32_e32 v3, v5
	v_ashrrev_i32_e32 v8, 31, v8
	v_add_u32_e32 v3, -1, v3
	v_add_u32_e32 v8, 32, v8
	v_min_u32_e32 v3, v3, v8
	v_lshlrev_b64 v[8:9], v3, v[4:5]
	v_min_u32_e32 v8, 1, v8
	v_or_b32_e32 v8, v9, v8
	v_cvt_f32_i32_e32 v8, v8
	v_sub_u32_e32 v3, 32, v3
	v_ldexp_f32 v3, v8, v3
	v_cvt_f16_f32_e32 v3, v3
	global_store_short v[0:1], v3, off
.LBB448_1845:
	s_mov_b64 s[0:1], 0
.LBB448_1846:
	s_andn2_b64 vcc, exec, s[0:1]
	s_cbranch_vccnz .LBB448_1862
; %bb.1847:
	s_cmp_lt_i32 s2, 2
	s_mov_b64 s[0:1], -1
	s_cbranch_scc1 .LBB448_1857
; %bb.1848:
	s_cmp_lt_i32 s2, 3
	s_cbranch_scc1 .LBB448_1854
; %bb.1849:
	s_cmp_gt_i32 s2, 3
	s_cbranch_scc0 .LBB448_1851
; %bb.1850:
	global_store_dwordx2 v[0:1], v[4:5], off
	s_mov_b64 s[0:1], 0
.LBB448_1851:
	s_andn2_b64 vcc, exec, s[0:1]
	s_cbranch_vccnz .LBB448_1853
; %bb.1852:
	global_store_dword v[0:1], v4, off
.LBB448_1853:
	s_mov_b64 s[0:1], 0
.LBB448_1854:
	s_andn2_b64 vcc, exec, s[0:1]
	s_cbranch_vccnz .LBB448_1856
; %bb.1855:
	global_store_short v[0:1], v4, off
.LBB448_1856:
	s_mov_b64 s[0:1], 0
.LBB448_1857:
	s_andn2_b64 vcc, exec, s[0:1]
	s_cbranch_vccnz .LBB448_1862
; %bb.1858:
	s_cmp_gt_i32 s2, 0
	s_mov_b64 s[0:1], -1
	s_cbranch_scc0 .LBB448_1860
; %bb.1859:
	global_store_byte v[0:1], v4, off
	s_mov_b64 s[0:1], 0
.LBB448_1860:
	s_andn2_b64 vcc, exec, s[0:1]
	s_cbranch_vccnz .LBB448_1862
; %bb.1861:
	global_store_byte v[0:1], v4, off
.LBB448_1862:
	s_mov_b64 s[6:7], -1
.LBB448_1863:
	s_andn2_b64 vcc, exec, s[6:7]
	s_cbranch_vccnz .LBB448_1940
; %bb.1864:
	v_mov_b32_e32 v0, s11
	v_cmp_gt_i64_e32 vcc, s[10:11], v[6:7]
	v_add_u32_e32 v2, s20, v2
	v_ashrrev_i32_e32 v3, 31, v2
	v_cndmask_b32_e32 v1, v0, v7, vcc
	v_mov_b32_e32 v0, s10
	v_cndmask_b32_e32 v0, v0, v6, vcc
	s_cmp_lt_i32 s22, 11
	v_lshl_add_u64 v[2:3], s[4:5], 0, v[2:3]
	s_cbranch_scc1 .LBB448_1985
; %bb.1865:
	s_and_b32 s10, 0xffff, s22
	s_mov_b64 s[4:5], -1
	s_mov_b64 s[2:3], 0
	s_cmp_gt_i32 s10, 25
	s_mov_b64 s[0:1], 0
	s_cbranch_scc0 .LBB448_1898
; %bb.1866:
	s_cmp_gt_i32 s10, 28
	s_cbranch_scc0 .LBB448_1882
; %bb.1867:
	s_cmp_gt_i32 s10, 43
	;; [unrolled: 3-line block ×3, first 2 shown]
	s_cbranch_scc0 .LBB448_1872
; %bb.1869:
	s_cmp_eq_u32 s10, 46
	s_mov_b64 s[0:1], -1
	s_cbranch_scc0 .LBB448_1871
; %bb.1870:
	v_xor_b32_e32 v5, v0, v1
	v_ffbh_i32_e32 v4, v1
	v_ashrrev_i32_e32 v5, 31, v5
	v_add_u32_e32 v4, -1, v4
	v_add_u32_e32 v5, 32, v5
	v_min_u32_e32 v6, v4, v5
	v_lshlrev_b64 v[4:5], v6, v[0:1]
	v_min_u32_e32 v4, 1, v4
	v_or_b32_e32 v4, v5, v4
	v_cvt_f32_i32_e32 v4, v4
	v_sub_u32_e32 v5, 32, v6
	s_movk_i32 s0, 0x7fff
	v_ldexp_f32 v4, v4, v5
	v_bfe_u32 v5, v4, 16, 1
	v_add3_u32 v4, v4, v5, s0
	v_lshrrev_b32_e32 v4, 16, v4
	global_store_dword v[2:3], v4, off
	s_mov_b64 s[0:1], 0
.LBB448_1871:
	s_mov_b64 s[4:5], 0
.LBB448_1872:
	s_and_b64 vcc, exec, s[4:5]
	s_cbranch_vccz .LBB448_1877
; %bb.1873:
	s_cmp_eq_u32 s10, 44
	s_mov_b64 s[0:1], -1
	s_cbranch_scc0 .LBB448_1877
; %bb.1874:
	v_xor_b32_e32 v5, v0, v1
	v_ffbh_i32_e32 v4, v1
	v_ashrrev_i32_e32 v5, 31, v5
	v_add_u32_e32 v4, -1, v4
	v_add_u32_e32 v5, 32, v5
	v_min_u32_e32 v6, v4, v5
	v_lshlrev_b64 v[4:5], v6, v[0:1]
	v_min_u32_e32 v4, 1, v4
	v_or_b32_e32 v4, v5, v4
	v_cvt_f32_i32_e32 v4, v4
	v_sub_u32_e32 v5, 32, v6
	s_movk_i32 s0, 0xff
	v_mov_b32_e32 v6, 0xff
	v_ldexp_f32 v4, v4, v5
	v_bfe_u32 v5, v4, 23, 8
	v_cmp_ne_u32_e32 vcc, s0, v5
	s_and_saveexec_b64 s[4:5], vcc
; %bb.1875:
	s_mov_b32 s0, 0x3fffff
	v_lshrrev_b32_e32 v6, 23, v4
	v_and_b32_e32 v7, 0x400000, v4
	v_and_or_b32 v4, v4, s0, v5
	v_cmp_ne_u32_e32 vcc, 0, v7
	v_cmp_ne_u32_e64 s[0:1], 0, v4
	s_and_b64 s[0:1], vcc, s[0:1]
	s_nop 0
	v_cndmask_b32_e64 v4, 0, 1, s[0:1]
	v_add_u32_e32 v6, v6, v4
; %bb.1876:
	s_or_b64 exec, exec, s[4:5]
	s_mov_b64 s[0:1], 0
	global_store_byte v[2:3], v6, off
.LBB448_1877:
	s_mov_b64 s[4:5], 0
.LBB448_1878:
	s_and_b64 vcc, exec, s[4:5]
	s_cbranch_vccz .LBB448_1881
; %bb.1879:
	s_cmp_eq_u32 s10, 29
	s_mov_b64 s[0:1], -1
	s_cbranch_scc0 .LBB448_1881
; %bb.1880:
	global_store_dwordx2 v[2:3], v[0:1], off
	s_mov_b64 s[0:1], 0
.LBB448_1881:
	s_mov_b64 s[4:5], 0
.LBB448_1882:
	s_and_b64 vcc, exec, s[4:5]
	s_cbranch_vccz .LBB448_1897
; %bb.1883:
	s_cmp_lt_i32 s10, 27
	s_mov_b64 s[4:5], -1
	s_cbranch_scc1 .LBB448_1889
; %bb.1884:
	s_cmp_gt_i32 s10, 27
	s_cbranch_scc0 .LBB448_1886
; %bb.1885:
	global_store_dword v[2:3], v0, off
	s_mov_b64 s[4:5], 0
.LBB448_1886:
	s_andn2_b64 vcc, exec, s[4:5]
	s_cbranch_vccnz .LBB448_1888
; %bb.1887:
	global_store_short v[2:3], v0, off
.LBB448_1888:
	s_mov_b64 s[4:5], 0
.LBB448_1889:
	s_andn2_b64 vcc, exec, s[4:5]
	s_cbranch_vccnz .LBB448_1897
; %bb.1890:
	v_xor_b32_e32 v5, v0, v1
	v_ffbh_i32_e32 v4, v1
	v_ashrrev_i32_e32 v5, 31, v5
	v_add_u32_e32 v4, -1, v4
	v_add_u32_e32 v5, 32, v5
	v_min_u32_e32 v6, v4, v5
	v_lshlrev_b64 v[4:5], v6, v[0:1]
	v_min_u32_e32 v4, 1, v4
	v_or_b32_e32 v4, v5, v4
	v_cvt_f32_i32_e32 v4, v4
	v_sub_u32_e32 v5, 32, v6
	s_mov_b32 s4, 0x43800000
	v_mov_b32_e32 v6, 0x80
	v_ldexp_f32 v4, v4, v5
	v_and_b32_e32 v5, 0x7fffffff, v4
	v_cmp_gt_u32_e32 vcc, s4, v5
	s_and_saveexec_b64 s[4:5], vcc
	s_cbranch_execz .LBB448_1896
; %bb.1891:
	s_mov_b32 s6, 0x3bffffff
	v_cmp_lt_u32_e32 vcc, s6, v5
	s_mov_b64 s[6:7], 0
                                        ; implicit-def: $vgpr5
	s_and_saveexec_b64 s[8:9], vcc
	s_xor_b64 s[8:9], exec, s[8:9]
	s_cbranch_execz .LBB448_2002
; %bb.1892:
	v_bfe_u32 v5, v4, 20, 1
	s_mov_b32 s11, 0x487ffff
	v_add3_u32 v5, v4, v5, s11
	s_mov_b64 s[6:7], exec
	v_lshrrev_b32_e32 v5, 20, v5
	s_andn2_saveexec_b64 s[8:9], s[8:9]
	s_cbranch_execnz .LBB448_2003
.LBB448_1893:
	s_or_b64 exec, exec, s[8:9]
	v_mov_b32_e32 v6, 0
	s_and_saveexec_b64 s[8:9], s[6:7]
.LBB448_1894:
	v_lshrrev_b32_e32 v4, 24, v4
	s_movk_i32 s6, 0x80
	v_and_or_b32 v6, v4, s6, v5
.LBB448_1895:
	s_or_b64 exec, exec, s[8:9]
.LBB448_1896:
	s_or_b64 exec, exec, s[4:5]
	global_store_byte v[2:3], v6, off
.LBB448_1897:
	s_mov_b64 s[4:5], 0
.LBB448_1898:
	s_and_b64 vcc, exec, s[4:5]
	s_cbranch_vccz .LBB448_1938
; %bb.1899:
	s_cmp_gt_i32 s10, 22
	s_mov_b64 s[2:3], -1
	s_cbranch_scc0 .LBB448_1931
; %bb.1900:
	s_cmp_lt_i32 s10, 24
	s_cbranch_scc1 .LBB448_1920
; %bb.1901:
	s_cmp_gt_i32 s10, 24
	s_cbranch_scc0 .LBB448_1909
; %bb.1902:
	v_xor_b32_e32 v5, v0, v1
	v_ffbh_i32_e32 v4, v1
	v_ashrrev_i32_e32 v5, 31, v5
	v_add_u32_e32 v4, -1, v4
	v_add_u32_e32 v5, 32, v5
	v_min_u32_e32 v6, v4, v5
	v_lshlrev_b64 v[4:5], v6, v[0:1]
	v_min_u32_e32 v4, 1, v4
	v_or_b32_e32 v4, v5, v4
	v_cvt_f32_i32_e32 v4, v4
	v_sub_u32_e32 v5, 32, v6
	s_mov_b32 s2, 0x47800000
	v_mov_b32_e32 v6, 0x80
	v_ldexp_f32 v4, v4, v5
	v_and_b32_e32 v5, 0x7fffffff, v4
	v_cmp_gt_u32_e32 vcc, s2, v5
	s_and_saveexec_b64 s[2:3], vcc
	s_cbranch_execz .LBB448_1908
; %bb.1903:
	s_mov_b32 s4, 0x37ffffff
	v_cmp_lt_u32_e32 vcc, s4, v5
	s_mov_b64 s[4:5], 0
                                        ; implicit-def: $vgpr5
	s_and_saveexec_b64 s[6:7], vcc
	s_xor_b64 s[6:7], exec, s[6:7]
	s_cbranch_execz .LBB448_2005
; %bb.1904:
	v_bfe_u32 v5, v4, 21, 1
	s_mov_b32 s8, 0x88fffff
	v_add3_u32 v5, v4, v5, s8
	s_mov_b64 s[4:5], exec
	v_lshrrev_b32_e32 v5, 21, v5
	s_andn2_saveexec_b64 s[6:7], s[6:7]
	s_cbranch_execnz .LBB448_2006
.LBB448_1905:
	s_or_b64 exec, exec, s[6:7]
	v_mov_b32_e32 v6, 0
	s_and_saveexec_b64 s[6:7], s[4:5]
.LBB448_1906:
	v_lshrrev_b32_e32 v4, 24, v4
	s_movk_i32 s4, 0x80
	v_and_or_b32 v6, v4, s4, v5
.LBB448_1907:
	s_or_b64 exec, exec, s[6:7]
.LBB448_1908:
	s_or_b64 exec, exec, s[2:3]
	s_mov_b64 s[2:3], 0
	global_store_byte v[2:3], v6, off
.LBB448_1909:
	s_and_b64 vcc, exec, s[2:3]
	s_cbranch_vccz .LBB448_1919
; %bb.1910:
	v_xor_b32_e32 v5, v0, v1
	v_ffbh_i32_e32 v4, v1
	v_ashrrev_i32_e32 v5, 31, v5
	v_add_u32_e32 v4, -1, v4
	v_add_u32_e32 v5, 32, v5
	v_min_u32_e32 v6, v4, v5
	v_lshlrev_b64 v[4:5], v6, v[0:1]
	v_min_u32_e32 v4, 1, v4
	v_or_b32_e32 v4, v5, v4
	v_cvt_f32_i32_e32 v4, v4
	v_sub_u32_e32 v5, 32, v6
	s_mov_b32 s2, 0x43f00000
	v_ldexp_f32 v4, v4, v5
	v_and_b32_e32 v6, 0x7fffffff, v4
	v_cmp_gt_u32_e32 vcc, s2, v6
                                        ; implicit-def: $vgpr5
	s_and_saveexec_b64 s[2:3], vcc
	s_xor_b64 s[2:3], exec, s[2:3]
	s_cbranch_execz .LBB448_1916
; %bb.1911:
	s_mov_b32 s4, 0x3c7fffff
	v_cmp_lt_u32_e32 vcc, s4, v6
                                        ; implicit-def: $vgpr5
	s_and_saveexec_b64 s[4:5], vcc
	s_xor_b64 s[4:5], exec, s[4:5]
; %bb.1912:
	v_bfe_u32 v5, v4, 20, 1
	s_mov_b32 s6, 0x407ffff
	v_add3_u32 v5, v4, v5, s6
	v_lshrrev_b32_e32 v6, 20, v5
	v_and_b32_e32 v5, 0xff00000, v5
	s_mov_b32 s6, 0x7f00000
	v_mov_b32_e32 v7, 0x7e
	v_cmp_ne_u32_e32 vcc, s6, v5
	s_nop 1
	v_cndmask_b32_e32 v5, v7, v6, vcc
; %bb.1913:
	s_andn2_saveexec_b64 s[4:5], s[4:5]
; %bb.1914:
	s_mov_b32 s6, 0x46800000
	v_add_f32_e64 v5, |v4|, s6
; %bb.1915:
	s_or_b64 exec, exec, s[4:5]
                                        ; implicit-def: $vgpr6
.LBB448_1916:
	s_andn2_saveexec_b64 s[2:3], s[2:3]
; %bb.1917:
	s_mov_b32 s4, 0x7f800000
	v_mov_b32_e32 v5, 0x7e
	v_mov_b32_e32 v7, 0x7f
	v_cmp_lt_u32_e32 vcc, s4, v6
	s_nop 1
	v_cndmask_b32_e32 v5, v5, v7, vcc
; %bb.1918:
	s_or_b64 exec, exec, s[2:3]
	v_lshrrev_b32_e32 v4, 24, v4
	s_movk_i32 s2, 0x80
	v_and_or_b32 v4, v4, s2, v5
	global_store_byte v[2:3], v4, off
.LBB448_1919:
	s_mov_b64 s[2:3], 0
.LBB448_1920:
	s_andn2_b64 vcc, exec, s[2:3]
	s_cbranch_vccnz .LBB448_1930
; %bb.1921:
	v_xor_b32_e32 v5, v0, v1
	v_ffbh_i32_e32 v4, v1
	v_ashrrev_i32_e32 v5, 31, v5
	v_add_u32_e32 v4, -1, v4
	v_add_u32_e32 v5, 32, v5
	v_min_u32_e32 v6, v4, v5
	v_lshlrev_b64 v[4:5], v6, v[0:1]
	v_min_u32_e32 v4, 1, v4
	v_or_b32_e32 v4, v5, v4
	v_cvt_f32_i32_e32 v4, v4
	v_sub_u32_e32 v5, 32, v6
	s_mov_b32 s2, 0x47800000
	v_ldexp_f32 v4, v4, v5
	v_and_b32_e32 v6, 0x7fffffff, v4
	v_cmp_gt_u32_e32 vcc, s2, v6
                                        ; implicit-def: $vgpr5
	s_and_saveexec_b64 s[2:3], vcc
	s_xor_b64 s[2:3], exec, s[2:3]
	s_cbranch_execz .LBB448_1927
; %bb.1922:
	s_mov_b32 s4, 0x387fffff
	v_cmp_lt_u32_e32 vcc, s4, v6
                                        ; implicit-def: $vgpr5
	s_and_saveexec_b64 s[4:5], vcc
	s_xor_b64 s[4:5], exec, s[4:5]
; %bb.1923:
	v_bfe_u32 v5, v4, 21, 1
	s_mov_b32 s6, 0x80fffff
	v_add3_u32 v5, v4, v5, s6
	v_lshrrev_b32_e32 v5, 21, v5
; %bb.1924:
	s_andn2_saveexec_b64 s[4:5], s[4:5]
; %bb.1925:
	s_mov_b32 s6, 0x43000000
	v_add_f32_e64 v5, |v4|, s6
; %bb.1926:
	s_or_b64 exec, exec, s[4:5]
                                        ; implicit-def: $vgpr6
.LBB448_1927:
	s_andn2_saveexec_b64 s[2:3], s[2:3]
; %bb.1928:
	s_mov_b32 s4, 0x7f800000
	v_mov_b32_e32 v5, 0x7c
	v_mov_b32_e32 v7, 0x7f
	v_cmp_lt_u32_e32 vcc, s4, v6
	s_nop 1
	v_cndmask_b32_e32 v5, v5, v7, vcc
; %bb.1929:
	s_or_b64 exec, exec, s[2:3]
	v_lshrrev_b32_e32 v4, 24, v4
	s_movk_i32 s2, 0x80
	v_and_or_b32 v4, v4, s2, v5
	global_store_byte v[2:3], v4, off
.LBB448_1930:
	s_mov_b64 s[2:3], 0
.LBB448_1931:
	s_andn2_b64 vcc, exec, s[2:3]
	s_mov_b64 s[2:3], 0
	s_cbranch_vccnz .LBB448_1938
; %bb.1932:
	s_cmp_gt_i32 s10, 14
	s_mov_b64 s[4:5], -1
	s_cbranch_scc0 .LBB448_1936
; %bb.1933:
	s_cmp_eq_u32 s10, 15
	s_mov_b64 s[0:1], -1
	s_cbranch_scc0 .LBB448_1935
; %bb.1934:
	v_xor_b32_e32 v5, v0, v1
	v_ffbh_i32_e32 v4, v1
	v_ashrrev_i32_e32 v5, 31, v5
	v_add_u32_e32 v4, -1, v4
	v_add_u32_e32 v5, 32, v5
	v_min_u32_e32 v6, v4, v5
	v_lshlrev_b64 v[4:5], v6, v[0:1]
	v_min_u32_e32 v4, 1, v4
	v_or_b32_e32 v4, v5, v4
	v_cvt_f32_i32_e32 v4, v4
	v_sub_u32_e32 v5, 32, v6
	s_movk_i32 s0, 0x7fff
	v_ldexp_f32 v4, v4, v5
	v_bfe_u32 v5, v4, 16, 1
	v_add3_u32 v4, v4, v5, s0
	global_store_short_d16_hi v[2:3], v4, off
	s_mov_b64 s[0:1], 0
.LBB448_1935:
	s_mov_b64 s[4:5], 0
.LBB448_1936:
	s_and_b64 vcc, exec, s[4:5]
	s_cbranch_vccz .LBB448_1938
; %bb.1937:
	s_cmp_lg_u32 s10, 11
	s_mov_b64 s[2:3], -1
	s_cselect_b64 s[0:1], -1, 0
.LBB448_1938:
	s_and_b64 vcc, exec, s[0:1]
	s_cbranch_vccnz .LBB448_2004
.LBB448_1939:
	s_mov_b64 s[0:1], 0
	s_branch .LBB448_1941
.LBB448_1940:
	s_mov_b64 s[0:1], 0
	s_mov_b64 s[2:3], 0
                                        ; implicit-def: $sgpr22
                                        ; implicit-def: $vgpr2_vgpr3
                                        ; implicit-def: $vgpr0_vgpr1
.LBB448_1941:
	s_andn2_b64 s[4:5], s[14:15], exec
	s_and_b64 s[6:7], s[16:17], exec
	s_and_b64 s[0:1], s[0:1], exec
	;; [unrolled: 1-line block ×3, first 2 shown]
	s_or_b64 s[14:15], s[4:5], s[6:7]
.LBB448_1942:
	s_or_b64 exec, exec, s[12:13]
	s_and_saveexec_b64 s[4:5], s[14:15]
	s_cbranch_execz .LBB448_1945
; %bb.1943:
	; divergent unreachable
	s_or_b64 exec, exec, s[4:5]
	s_and_saveexec_b64 s[4:5], s[2:3]
	s_xor_b64 s[2:3], exec, s[4:5]
	s_cbranch_execnz .LBB448_1946
.LBB448_1944:
	s_or_b64 exec, exec, s[2:3]
	s_and_saveexec_b64 s[2:3], s[0:1]
	s_cbranch_execnz .LBB448_1947
	s_branch .LBB448_1984
.LBB448_1945:
	s_or_b64 exec, exec, s[4:5]
	s_and_saveexec_b64 s[4:5], s[2:3]
	s_xor_b64 s[2:3], exec, s[4:5]
	s_cbranch_execz .LBB448_1944
.LBB448_1946:
	s_waitcnt vmcnt(0)
	v_cmp_ne_u64_e32 vcc, 0, v[0:1]
	s_nop 1
	v_cndmask_b32_e64 v4, 0, 1, vcc
	global_store_byte v[2:3], v4, off
	s_or_b64 exec, exec, s[2:3]
	s_and_saveexec_b64 s[2:3], s[0:1]
	s_cbranch_execz .LBB448_1984
.LBB448_1947:
	s_sext_i32_i16 s2, s22
	s_cmp_lt_i32 s2, 5
	s_mov_b64 s[0:1], -1
	s_cbranch_scc1 .LBB448_1968
; %bb.1948:
	s_cmp_lt_i32 s2, 8
	s_cbranch_scc1 .LBB448_1958
; %bb.1949:
	s_cmp_lt_i32 s2, 9
	s_cbranch_scc1 .LBB448_1955
; %bb.1950:
	s_cmp_gt_i32 s2, 9
	s_cbranch_scc0 .LBB448_1952
; %bb.1951:
	s_waitcnt vmcnt(0)
	v_cvt_f64_i32_e32 v[4:5], v1
	v_ldexp_f64 v[4:5], v[4:5], 32
	v_cvt_f64_u32_e32 v[6:7], v0
	v_add_f64 v[4:5], v[4:5], v[6:7]
	v_mov_b32_e32 v6, 0
	v_mov_b32_e32 v7, v6
	global_store_dwordx4 v[2:3], v[4:7], off
	s_mov_b64 s[0:1], 0
.LBB448_1952:
	s_andn2_b64 vcc, exec, s[0:1]
	s_cbranch_vccnz .LBB448_1954
; %bb.1953:
	s_waitcnt vmcnt(0)
	v_xor_b32_e32 v5, v0, v1
	v_ffbh_i32_e32 v4, v1
	v_ashrrev_i32_e32 v5, 31, v5
	v_add_u32_e32 v4, -1, v4
	v_add_u32_e32 v5, 32, v5
	v_min_u32_e32 v6, v4, v5
	v_lshlrev_b64 v[4:5], v6, v[0:1]
	v_min_u32_e32 v4, 1, v4
	v_or_b32_e32 v4, v5, v4
	v_cvt_f32_i32_e32 v4, v4
	v_sub_u32_e32 v5, 32, v6
	v_ldexp_f32 v4, v4, v5
	v_mov_b32_e32 v5, 0
	global_store_dwordx2 v[2:3], v[4:5], off
.LBB448_1954:
	s_mov_b64 s[0:1], 0
.LBB448_1955:
	s_andn2_b64 vcc, exec, s[0:1]
	s_cbranch_vccnz .LBB448_1957
; %bb.1956:
	s_waitcnt vmcnt(0)
	v_xor_b32_e32 v5, v0, v1
	v_ffbh_i32_e32 v4, v1
	v_ashrrev_i32_e32 v5, 31, v5
	v_add_u32_e32 v4, -1, v4
	v_add_u32_e32 v5, 32, v5
	v_min_u32_e32 v6, v4, v5
	v_lshlrev_b64 v[4:5], v6, v[0:1]
	v_min_u32_e32 v4, 1, v4
	v_or_b32_e32 v4, v5, v4
	v_cvt_f32_i32_e32 v4, v4
	v_sub_u32_e32 v5, 32, v6
	v_ldexp_f32 v4, v4, v5
	v_cvt_f16_f32_e32 v4, v4
	global_store_dword v[2:3], v4, off
.LBB448_1957:
	s_mov_b64 s[0:1], 0
.LBB448_1958:
	s_andn2_b64 vcc, exec, s[0:1]
	s_cbranch_vccnz .LBB448_1967
; %bb.1959:
	s_sext_i32_i16 s2, s22
	s_cmp_lt_i32 s2, 6
	s_mov_b64 s[0:1], -1
	s_cbranch_scc1 .LBB448_1965
; %bb.1960:
	s_cmp_gt_i32 s2, 6
	s_cbranch_scc0 .LBB448_1962
; %bb.1961:
	s_waitcnt vmcnt(0)
	v_cvt_f64_i32_e32 v[4:5], v1
	v_ldexp_f64 v[4:5], v[4:5], 32
	v_cvt_f64_u32_e32 v[6:7], v0
	v_add_f64 v[4:5], v[4:5], v[6:7]
	global_store_dwordx2 v[2:3], v[4:5], off
	s_mov_b64 s[0:1], 0
.LBB448_1962:
	s_andn2_b64 vcc, exec, s[0:1]
	s_cbranch_vccnz .LBB448_1964
; %bb.1963:
	s_waitcnt vmcnt(0)
	v_xor_b32_e32 v5, v0, v1
	v_ffbh_i32_e32 v4, v1
	v_ashrrev_i32_e32 v5, 31, v5
	v_add_u32_e32 v4, -1, v4
	v_add_u32_e32 v5, 32, v5
	v_min_u32_e32 v6, v4, v5
	v_lshlrev_b64 v[4:5], v6, v[0:1]
	v_min_u32_e32 v4, 1, v4
	v_or_b32_e32 v4, v5, v4
	v_cvt_f32_i32_e32 v4, v4
	v_sub_u32_e32 v5, 32, v6
	v_ldexp_f32 v4, v4, v5
	global_store_dword v[2:3], v4, off
.LBB448_1964:
	s_mov_b64 s[0:1], 0
.LBB448_1965:
	s_andn2_b64 vcc, exec, s[0:1]
	s_cbranch_vccnz .LBB448_1967
; %bb.1966:
	s_waitcnt vmcnt(0)
	v_xor_b32_e32 v5, v0, v1
	v_ffbh_i32_e32 v4, v1
	v_ashrrev_i32_e32 v5, 31, v5
	v_add_u32_e32 v4, -1, v4
	v_add_u32_e32 v5, 32, v5
	v_min_u32_e32 v6, v4, v5
	v_lshlrev_b64 v[4:5], v6, v[0:1]
	v_min_u32_e32 v4, 1, v4
	v_or_b32_e32 v4, v5, v4
	v_cvt_f32_i32_e32 v4, v4
	v_sub_u32_e32 v5, 32, v6
	v_ldexp_f32 v4, v4, v5
	v_cvt_f16_f32_e32 v4, v4
	global_store_short v[2:3], v4, off
.LBB448_1967:
	s_mov_b64 s[0:1], 0
.LBB448_1968:
	s_andn2_b64 vcc, exec, s[0:1]
	s_cbranch_vccnz .LBB448_1984
; %bb.1969:
	s_sext_i32_i16 s2, s22
	s_cmp_lt_i32 s2, 2
	s_mov_b64 s[0:1], -1
	s_cbranch_scc1 .LBB448_1979
; %bb.1970:
	s_cmp_lt_i32 s2, 3
	s_cbranch_scc1 .LBB448_1976
; %bb.1971:
	s_cmp_gt_i32 s2, 3
	s_cbranch_scc0 .LBB448_1973
; %bb.1972:
	s_waitcnt vmcnt(0)
	global_store_dwordx2 v[2:3], v[0:1], off
	s_mov_b64 s[0:1], 0
.LBB448_1973:
	s_andn2_b64 vcc, exec, s[0:1]
	s_cbranch_vccnz .LBB448_1975
; %bb.1974:
	s_waitcnt vmcnt(0)
	global_store_dword v[2:3], v0, off
.LBB448_1975:
	s_mov_b64 s[0:1], 0
.LBB448_1976:
	s_andn2_b64 vcc, exec, s[0:1]
	s_cbranch_vccnz .LBB448_1978
; %bb.1977:
	s_waitcnt vmcnt(0)
	global_store_short v[2:3], v0, off
.LBB448_1978:
	s_mov_b64 s[0:1], 0
.LBB448_1979:
	s_andn2_b64 vcc, exec, s[0:1]
	s_cbranch_vccnz .LBB448_1984
; %bb.1980:
	s_sext_i32_i16 s0, s22
	s_cmp_gt_i32 s0, 0
	s_mov_b64 s[0:1], -1
	s_cbranch_scc0 .LBB448_1982
; %bb.1981:
	s_waitcnt vmcnt(0)
	global_store_byte v[2:3], v0, off
	s_mov_b64 s[0:1], 0
.LBB448_1982:
	s_andn2_b64 vcc, exec, s[0:1]
	s_cbranch_vccnz .LBB448_1984
; %bb.1983:
	s_waitcnt vmcnt(0)
	global_store_byte v[2:3], v0, off
	s_endpgm
.LBB448_1984:
	s_endpgm
.LBB448_1985:
	s_mov_b64 s[2:3], 0
	s_mov_b64 s[0:1], -1
	s_branch .LBB448_1941
.LBB448_1986:
	s_trap 2
	s_or_b64 s[16:17], s[16:17], exec
	s_cbranch_execz .LBB448_1455
	s_branch .LBB448_1456
.LBB448_1987:
	s_andn2_saveexec_b64 s[20:21], s[20:21]
	s_cbranch_execz .LBB448_1535
.LBB448_1988:
	s_mov_b32 s23, 0x46000000
	v_add_f32_e64 v12, |v1|, s23
	v_and_b32_e32 v12, 0xff, v12
	v_cmp_ne_u32_e32 vcc, 0, v12
	s_andn2_b64 s[18:19], s[18:19], exec
	s_and_b64 s[24:25], vcc, exec
	s_or_b64 s[18:19], s[18:19], s[24:25]
	s_or_b64 exec, exec, s[20:21]
	v_mov_b32_e32 v13, 0
	s_and_saveexec_b64 s[20:21], s[18:19]
	s_cbranch_execnz .LBB448_1536
	s_branch .LBB448_1537
.LBB448_1989:
	s_trap 2
	s_or_b64 s[16:17], s[16:17], exec
	s_cbranch_execz .LBB448_1583
	s_branch .LBB448_1584
.LBB448_1990:
	s_andn2_saveexec_b64 s[18:19], s[18:19]
	s_cbranch_execz .LBB448_1548
.LBB448_1991:
	s_mov_b32 s20, 0x42800000
	v_add_f32_e64 v12, |v1|, s20
	v_and_b32_e32 v12, 0xff, v12
	v_cmp_ne_u32_e32 vcc, 0, v12
	s_andn2_b64 s[6:7], s[6:7], exec
	s_and_b64 s[20:21], vcc, exec
	s_or_b64 s[6:7], s[6:7], s[20:21]
	s_or_b64 exec, exec, s[18:19]
	v_mov_b32_e32 v13, 0
	s_and_saveexec_b64 s[18:19], s[6:7]
	s_cbranch_execnz .LBB448_1549
	s_branch .LBB448_1550
.LBB448_1992:
	s_andn2_saveexec_b64 s[18:19], s[18:19]
	s_cbranch_execz .LBB448_1654
.LBB448_1993:
	s_mov_b32 s23, 0x46000000
	v_add_f32_e64 v10, |v1|, s23
	v_and_b32_e32 v10, 0xff, v10
	v_cmp_ne_u32_e32 vcc, 0, v10
	s_andn2_b64 s[8:9], s[8:9], exec
	s_and_b64 s[24:25], vcc, exec
	s_or_b64 s[8:9], s[8:9], s[24:25]
	s_or_b64 exec, exec, s[18:19]
	v_mov_b32_e32 v11, 0
	s_and_saveexec_b64 s[18:19], s[8:9]
	s_cbranch_execnz .LBB448_1655
	s_branch .LBB448_1656
.LBB448_1994:
	s_trap 2
	s_or_b64 s[16:17], s[16:17], exec
	s_cbranch_execz .LBB448_1702
	s_branch .LBB448_1703
.LBB448_1995:
	s_andn2_saveexec_b64 s[8:9], s[8:9]
	s_cbranch_execz .LBB448_1667
.LBB448_1996:
	s_mov_b32 s18, 0x42800000
	v_add_f32_e64 v10, |v1|, s18
	v_and_b32_e32 v10, 0xff, v10
	v_cmp_ne_u32_e32 vcc, 0, v10
	s_andn2_b64 s[6:7], s[6:7], exec
	s_and_b64 s[18:19], vcc, exec
	s_or_b64 s[6:7], s[6:7], s[18:19]
	s_or_b64 exec, exec, s[8:9]
	v_mov_b32_e32 v11, 0
	s_and_saveexec_b64 s[8:9], s[6:7]
	s_cbranch_execnz .LBB448_1668
	s_branch .LBB448_1669
.LBB448_1997:
	s_andn2_saveexec_b64 s[18:19], s[18:19]
	s_cbranch_execz .LBB448_1773
.LBB448_1998:
	s_mov_b32 s23, 0x46000000
	v_add_f32_e64 v8, |v3|, s23
	v_and_b32_e32 v8, 0xff, v8
	v_cmp_ne_u32_e32 vcc, 0, v8
	s_andn2_b64 s[8:9], s[8:9], exec
	s_and_b64 s[24:25], vcc, exec
	s_or_b64 s[8:9], s[8:9], s[24:25]
	s_or_b64 exec, exec, s[18:19]
	v_mov_b32_e32 v9, 0
	s_and_saveexec_b64 s[18:19], s[8:9]
	s_cbranch_execnz .LBB448_1774
	s_branch .LBB448_1775
.LBB448_1999:
	s_trap 2
	s_or_b64 s[16:17], s[16:17], exec
	s_cbranch_execz .LBB448_1821
	s_branch .LBB448_1822
.LBB448_2000:
	s_andn2_saveexec_b64 s[8:9], s[8:9]
	s_cbranch_execz .LBB448_1786
.LBB448_2001:
	s_mov_b32 s18, 0x42800000
	v_add_f32_e64 v8, |v3|, s18
	v_and_b32_e32 v8, 0xff, v8
	v_cmp_ne_u32_e32 vcc, 0, v8
	s_andn2_b64 s[6:7], s[6:7], exec
	s_and_b64 s[18:19], vcc, exec
	s_or_b64 s[6:7], s[6:7], s[18:19]
	s_or_b64 exec, exec, s[8:9]
	v_mov_b32_e32 v9, 0
	s_and_saveexec_b64 s[8:9], s[6:7]
	s_cbranch_execnz .LBB448_1787
	s_branch .LBB448_1788
.LBB448_2002:
	s_andn2_saveexec_b64 s[8:9], s[8:9]
	s_cbranch_execz .LBB448_1893
.LBB448_2003:
	s_mov_b32 s11, 0x46000000
	v_add_f32_e64 v5, |v4|, s11
	v_and_b32_e32 v5, 0xff, v5
	v_cmp_ne_u32_e32 vcc, 0, v5
	s_andn2_b64 s[6:7], s[6:7], exec
	s_and_b64 s[18:19], vcc, exec
	s_or_b64 s[6:7], s[6:7], s[18:19]
	s_or_b64 exec, exec, s[8:9]
	v_mov_b32_e32 v6, 0
	s_and_saveexec_b64 s[8:9], s[6:7]
	s_cbranch_execnz .LBB448_1894
	s_branch .LBB448_1895
.LBB448_2004:
	s_mov_b64 s[2:3], 0
	s_or_b64 s[16:17], s[16:17], exec
	s_trap 2
	s_branch .LBB448_1939
.LBB448_2005:
	s_andn2_saveexec_b64 s[6:7], s[6:7]
	s_cbranch_execz .LBB448_1905
.LBB448_2006:
	s_mov_b32 s8, 0x42800000
	v_add_f32_e64 v5, |v4|, s8
	v_and_b32_e32 v5, 0xff, v5
	v_cmp_ne_u32_e32 vcc, 0, v5
	s_andn2_b64 s[4:5], s[4:5], exec
	s_and_b64 s[8:9], vcc, exec
	s_or_b64 s[4:5], s[4:5], s[8:9]
	s_or_b64 exec, exec, s[6:7]
	v_mov_b32_e32 v6, 0
	s_and_saveexec_b64 s[6:7], s[4:5]
	s_cbranch_execnz .LBB448_1906
	s_branch .LBB448_1907
	.section	.rodata,"a",@progbits
	.p2align	6, 0x0
	.amdhsa_kernel _ZN2at6native32elementwise_kernel_manual_unrollILi128ELi4EZNS0_15gpu_kernel_implIZZZNS0_21clamp_max_kernel_cudaERNS_18TensorIteratorBaseERKN3c106ScalarEENKUlvE_clEvENKUlvE2_clEvEUllE_EEvS4_RKT_EUlibE_EEviT1_
		.amdhsa_group_segment_fixed_size 0
		.amdhsa_private_segment_fixed_size 0
		.amdhsa_kernarg_size 48
		.amdhsa_user_sgpr_count 2
		.amdhsa_user_sgpr_dispatch_ptr 0
		.amdhsa_user_sgpr_queue_ptr 0
		.amdhsa_user_sgpr_kernarg_segment_ptr 1
		.amdhsa_user_sgpr_dispatch_id 0
		.amdhsa_user_sgpr_kernarg_preload_length 0
		.amdhsa_user_sgpr_kernarg_preload_offset 0
		.amdhsa_user_sgpr_private_segment_size 0
		.amdhsa_uses_dynamic_stack 0
		.amdhsa_enable_private_segment 0
		.amdhsa_system_sgpr_workgroup_id_x 1
		.amdhsa_system_sgpr_workgroup_id_y 0
		.amdhsa_system_sgpr_workgroup_id_z 0
		.amdhsa_system_sgpr_workgroup_info 0
		.amdhsa_system_vgpr_workitem_id 0
		.amdhsa_next_free_vgpr 16
		.amdhsa_next_free_sgpr 48
		.amdhsa_accum_offset 16
		.amdhsa_reserve_vcc 1
		.amdhsa_float_round_mode_32 0
		.amdhsa_float_round_mode_16_64 0
		.amdhsa_float_denorm_mode_32 3
		.amdhsa_float_denorm_mode_16_64 3
		.amdhsa_dx10_clamp 1
		.amdhsa_ieee_mode 1
		.amdhsa_fp16_overflow 0
		.amdhsa_tg_split 0
		.amdhsa_exception_fp_ieee_invalid_op 0
		.amdhsa_exception_fp_denorm_src 0
		.amdhsa_exception_fp_ieee_div_zero 0
		.amdhsa_exception_fp_ieee_overflow 0
		.amdhsa_exception_fp_ieee_underflow 0
		.amdhsa_exception_fp_ieee_inexact 0
		.amdhsa_exception_int_div_zero 0
	.end_amdhsa_kernel
	.section	.text._ZN2at6native32elementwise_kernel_manual_unrollILi128ELi4EZNS0_15gpu_kernel_implIZZZNS0_21clamp_max_kernel_cudaERNS_18TensorIteratorBaseERKN3c106ScalarEENKUlvE_clEvENKUlvE2_clEvEUllE_EEvS4_RKT_EUlibE_EEviT1_,"axG",@progbits,_ZN2at6native32elementwise_kernel_manual_unrollILi128ELi4EZNS0_15gpu_kernel_implIZZZNS0_21clamp_max_kernel_cudaERNS_18TensorIteratorBaseERKN3c106ScalarEENKUlvE_clEvENKUlvE2_clEvEUllE_EEvS4_RKT_EUlibE_EEviT1_,comdat
.Lfunc_end448:
	.size	_ZN2at6native32elementwise_kernel_manual_unrollILi128ELi4EZNS0_15gpu_kernel_implIZZZNS0_21clamp_max_kernel_cudaERNS_18TensorIteratorBaseERKN3c106ScalarEENKUlvE_clEvENKUlvE2_clEvEUllE_EEvS4_RKT_EUlibE_EEviT1_, .Lfunc_end448-_ZN2at6native32elementwise_kernel_manual_unrollILi128ELi4EZNS0_15gpu_kernel_implIZZZNS0_21clamp_max_kernel_cudaERNS_18TensorIteratorBaseERKN3c106ScalarEENKUlvE_clEvENKUlvE2_clEvEUllE_EEvS4_RKT_EUlibE_EEviT1_
                                        ; -- End function
	.set _ZN2at6native32elementwise_kernel_manual_unrollILi128ELi4EZNS0_15gpu_kernel_implIZZZNS0_21clamp_max_kernel_cudaERNS_18TensorIteratorBaseERKN3c106ScalarEENKUlvE_clEvENKUlvE2_clEvEUllE_EEvS4_RKT_EUlibE_EEviT1_.num_vgpr, 16
	.set _ZN2at6native32elementwise_kernel_manual_unrollILi128ELi4EZNS0_15gpu_kernel_implIZZZNS0_21clamp_max_kernel_cudaERNS_18TensorIteratorBaseERKN3c106ScalarEENKUlvE_clEvENKUlvE2_clEvEUllE_EEvS4_RKT_EUlibE_EEviT1_.num_agpr, 0
	.set _ZN2at6native32elementwise_kernel_manual_unrollILi128ELi4EZNS0_15gpu_kernel_implIZZZNS0_21clamp_max_kernel_cudaERNS_18TensorIteratorBaseERKN3c106ScalarEENKUlvE_clEvENKUlvE2_clEvEUllE_EEvS4_RKT_EUlibE_EEviT1_.numbered_sgpr, 48
	.set _ZN2at6native32elementwise_kernel_manual_unrollILi128ELi4EZNS0_15gpu_kernel_implIZZZNS0_21clamp_max_kernel_cudaERNS_18TensorIteratorBaseERKN3c106ScalarEENKUlvE_clEvENKUlvE2_clEvEUllE_EEvS4_RKT_EUlibE_EEviT1_.num_named_barrier, 0
	.set _ZN2at6native32elementwise_kernel_manual_unrollILi128ELi4EZNS0_15gpu_kernel_implIZZZNS0_21clamp_max_kernel_cudaERNS_18TensorIteratorBaseERKN3c106ScalarEENKUlvE_clEvENKUlvE2_clEvEUllE_EEvS4_RKT_EUlibE_EEviT1_.private_seg_size, 0
	.set _ZN2at6native32elementwise_kernel_manual_unrollILi128ELi4EZNS0_15gpu_kernel_implIZZZNS0_21clamp_max_kernel_cudaERNS_18TensorIteratorBaseERKN3c106ScalarEENKUlvE_clEvENKUlvE2_clEvEUllE_EEvS4_RKT_EUlibE_EEviT1_.uses_vcc, 1
	.set _ZN2at6native32elementwise_kernel_manual_unrollILi128ELi4EZNS0_15gpu_kernel_implIZZZNS0_21clamp_max_kernel_cudaERNS_18TensorIteratorBaseERKN3c106ScalarEENKUlvE_clEvENKUlvE2_clEvEUllE_EEvS4_RKT_EUlibE_EEviT1_.uses_flat_scratch, 0
	.set _ZN2at6native32elementwise_kernel_manual_unrollILi128ELi4EZNS0_15gpu_kernel_implIZZZNS0_21clamp_max_kernel_cudaERNS_18TensorIteratorBaseERKN3c106ScalarEENKUlvE_clEvENKUlvE2_clEvEUllE_EEvS4_RKT_EUlibE_EEviT1_.has_dyn_sized_stack, 0
	.set _ZN2at6native32elementwise_kernel_manual_unrollILi128ELi4EZNS0_15gpu_kernel_implIZZZNS0_21clamp_max_kernel_cudaERNS_18TensorIteratorBaseERKN3c106ScalarEENKUlvE_clEvENKUlvE2_clEvEUllE_EEvS4_RKT_EUlibE_EEviT1_.has_recursion, 0
	.set _ZN2at6native32elementwise_kernel_manual_unrollILi128ELi4EZNS0_15gpu_kernel_implIZZZNS0_21clamp_max_kernel_cudaERNS_18TensorIteratorBaseERKN3c106ScalarEENKUlvE_clEvENKUlvE2_clEvEUllE_EEvS4_RKT_EUlibE_EEviT1_.has_indirect_call, 0
	.section	.AMDGPU.csdata,"",@progbits
; Kernel info:
; codeLenInByte = 40824
; TotalNumSgprs: 54
; NumVgprs: 16
; NumAgprs: 0
; TotalNumVgprs: 16
; ScratchSize: 0
; MemoryBound: 1
; FloatMode: 240
; IeeeMode: 1
; LDSByteSize: 0 bytes/workgroup (compile time only)
; SGPRBlocks: 6
; VGPRBlocks: 1
; NumSGPRsForWavesPerEU: 54
; NumVGPRsForWavesPerEU: 16
; AccumOffset: 16
; Occupancy: 8
; WaveLimiterHint : 0
; COMPUTE_PGM_RSRC2:SCRATCH_EN: 0
; COMPUTE_PGM_RSRC2:USER_SGPR: 2
; COMPUTE_PGM_RSRC2:TRAP_HANDLER: 0
; COMPUTE_PGM_RSRC2:TGID_X_EN: 1
; COMPUTE_PGM_RSRC2:TGID_Y_EN: 0
; COMPUTE_PGM_RSRC2:TGID_Z_EN: 0
; COMPUTE_PGM_RSRC2:TIDIG_COMP_CNT: 0
; COMPUTE_PGM_RSRC3_GFX90A:ACCUM_OFFSET: 3
; COMPUTE_PGM_RSRC3_GFX90A:TG_SPLIT: 0
	.section	.text._ZN2at6native32elementwise_kernel_manual_unrollILi128ELi4EZNS0_15gpu_kernel_implIZZZNS0_21clamp_max_kernel_cudaERNS_18TensorIteratorBaseERKN3c106ScalarEENKUlvE_clEvENKUlvE2_clEvEUllE_EEvS4_RKT_EUlibE0_EEviT1_,"axG",@progbits,_ZN2at6native32elementwise_kernel_manual_unrollILi128ELi4EZNS0_15gpu_kernel_implIZZZNS0_21clamp_max_kernel_cudaERNS_18TensorIteratorBaseERKN3c106ScalarEENKUlvE_clEvENKUlvE2_clEvEUllE_EEvS4_RKT_EUlibE0_EEviT1_,comdat
	.globl	_ZN2at6native32elementwise_kernel_manual_unrollILi128ELi4EZNS0_15gpu_kernel_implIZZZNS0_21clamp_max_kernel_cudaERNS_18TensorIteratorBaseERKN3c106ScalarEENKUlvE_clEvENKUlvE2_clEvEUllE_EEvS4_RKT_EUlibE0_EEviT1_ ; -- Begin function _ZN2at6native32elementwise_kernel_manual_unrollILi128ELi4EZNS0_15gpu_kernel_implIZZZNS0_21clamp_max_kernel_cudaERNS_18TensorIteratorBaseERKN3c106ScalarEENKUlvE_clEvENKUlvE2_clEvEUllE_EEvS4_RKT_EUlibE0_EEviT1_
	.p2align	8
	.type	_ZN2at6native32elementwise_kernel_manual_unrollILi128ELi4EZNS0_15gpu_kernel_implIZZZNS0_21clamp_max_kernel_cudaERNS_18TensorIteratorBaseERKN3c106ScalarEENKUlvE_clEvENKUlvE2_clEvEUllE_EEvS4_RKT_EUlibE0_EEviT1_,@function
_ZN2at6native32elementwise_kernel_manual_unrollILi128ELi4EZNS0_15gpu_kernel_implIZZZNS0_21clamp_max_kernel_cudaERNS_18TensorIteratorBaseERKN3c106ScalarEENKUlvE_clEvENKUlvE2_clEvEUllE_EEvS4_RKT_EUlibE0_EEviT1_: ; @_ZN2at6native32elementwise_kernel_manual_unrollILi128ELi4EZNS0_15gpu_kernel_implIZZZNS0_21clamp_max_kernel_cudaERNS_18TensorIteratorBaseERKN3c106ScalarEENKUlvE_clEvENKUlvE2_clEvEUllE_EEvS4_RKT_EUlibE0_EEviT1_
; %bb.0:
	s_load_dword s72, s[0:1], 0x0
	s_load_dword s33, s[0:1], 0x8
	s_add_u32 s34, s0, 8
	s_addc_u32 s35, s1, 0
	v_lshl_or_b32 v12, s2, 9, v0
	v_or_b32_e32 v16, 0x180, v12
	s_waitcnt lgkmcnt(0)
	s_add_i32 s74, s33, -1
	s_cmp_gt_u32 s74, 1
	v_cmp_le_i32_e32 vcc, s72, v16
	s_cselect_b64 s[42:43], -1, 0
	s_mov_b64 s[40:41], 0
	s_mov_b64 s[24:25], 0
	s_and_saveexec_b64 s[2:3], vcc
	s_xor_b64 s[44:45], exec, s[2:3]
	s_cbranch_execz .LBB449_1074
; %bb.1:
	s_load_dwordx4 s[24:27], s[34:35], 0x4
	s_load_dwordx2 s[48:49], s[34:35], 0x14
	s_load_dwordx2 s[46:47], s[34:35], 0x158
	s_load_dword s75, s[34:35], 0x160
	s_cmp_lg_u32 s33, 0
	s_load_dwordx4 s[28:31], s[34:35], 0xc4
	s_load_dwordx4 s[20:23], s[34:35], 0x148
	s_cselect_b64 s[54:55], -1, 0
	s_add_u32 s52, s34, 0xc4
	s_addc_u32 s53, s35, 0
	s_min_u32 s77, s74, 15
	s_cmp_gt_u32 s33, 1
	s_cselect_b64 s[50:51], -1, 0
	s_waitcnt lgkmcnt(0)
	s_bfe_u32 s76, s75, 0x80008
	v_cmp_gt_i32_e32 vcc, s72, v12
	s_mov_b64 s[4:5], -1
	s_mov_b64 s[64:65], 0
	s_mov_b64 s[58:59], 0
	;; [unrolled: 1-line block ×3, first 2 shown]
	s_and_saveexec_b64 s[60:61], vcc
	s_cbranch_execz .LBB449_263
; %bb.2:
	s_andn2_b64 vcc, exec, s[42:43]
	s_cbranch_vccnz .LBB449_8
; %bb.3:
	s_andn2_b64 vcc, exec, s[54:55]
	s_cbranch_vccnz .LBB449_9
; %bb.4:
	s_add_i32 s59, s77, 1
	s_cmp_eq_u32 s74, 2
	s_cbranch_scc1 .LBB449_10
; %bb.5:
	s_and_b32 s58, s59, 28
	s_mov_b32 s62, 0
	v_mov_b32_e32 v0, 0
	v_mov_b32_e32 v2, 0
	s_mov_b64 s[2:3], s[34:35]
	s_mov_b64 s[56:57], s[52:53]
	v_mov_b32_e32 v4, v12
.LBB449_6:                              ; =>This Inner Loop Header: Depth=1
	s_load_dwordx8 s[12:19], s[2:3], 0x4
	s_load_dwordx4 s[36:39], s[2:3], 0x24
	s_load_dwordx8 s[4:11], s[56:57], 0x0
	s_add_u32 s2, s2, 48
	s_addc_u32 s3, s3, 0
	s_waitcnt lgkmcnt(0)
	v_mul_hi_u32 v1, s13, v4
	v_add_u32_e32 v1, v4, v1
	v_lshrrev_b32_e32 v1, s14, v1
	v_mul_lo_u32 v3, v1, s12
	v_mul_hi_u32 v5, s16, v1
	v_sub_u32_e32 v3, v4, v3
	v_add_u32_e32 v4, v1, v5
	v_lshrrev_b32_e32 v4, s17, v4
	v_mul_lo_u32 v6, v4, s15
	v_mul_hi_u32 v7, s19, v4
	v_sub_u32_e32 v1, v1, v6
	v_add_u32_e32 v6, v4, v7
	v_mul_lo_u32 v5, v3, s5
	v_mul_lo_u32 v3, v3, s4
	;; [unrolled: 1-line block ×4, first 2 shown]
	v_lshrrev_b32_e32 v6, s36, v6
	v_add3_u32 v0, v3, v0, v1
	v_mul_hi_u32 v3, s38, v6
	v_add3_u32 v1, v5, v2, v7
	v_mul_lo_u32 v2, v6, s18
	v_add_u32_e32 v3, v6, v3
	v_sub_u32_e32 v2, v4, v2
	v_lshrrev_b32_e32 v4, s39, v3
	s_add_i32 s62, s62, 4
	v_mul_lo_u32 v3, v4, s37
	s_add_u32 s56, s56, 32
	v_sub_u32_e32 v3, v6, v3
	s_addc_u32 s57, s57, 0
	v_mul_lo_u32 v5, v2, s8
	v_mul_lo_u32 v2, v2, s9
	;; [unrolled: 1-line block ×4, first 2 shown]
	s_cmp_lg_u32 s58, s62
	v_add3_u32 v2, v2, v1, v3
	v_add3_u32 v0, v5, v0, v6
	s_cbranch_scc1 .LBB449_6
; %bb.7:
	v_mov_b32_e32 v1, v2
	s_branch .LBB449_11
.LBB449_8:
                                        ; implicit-def: $vgpr2
                                        ; implicit-def: $vgpr0
	s_branch .LBB449_15
.LBB449_9:
	v_mov_b32_e32 v2, 0
	v_mov_b32_e32 v0, 0
	s_branch .LBB449_14
.LBB449_10:
	v_mov_b32_e32 v0, 0
	s_mov_b32 s58, 0
	v_mov_b32_e32 v1, v0
                                        ; implicit-def: $vgpr2
	v_mov_b32_e32 v4, v12
.LBB449_11:
	s_and_b32 s6, s59, 3
	s_cmp_eq_u32 s6, 0
	s_cbranch_scc1 .LBB449_14
; %bb.12:
	s_lshl_b32 s2, s58, 3
	s_add_u32 s2, s34, s2
	s_addc_u32 s3, s35, 0
	s_add_u32 s2, s2, 0xc4
	s_addc_u32 s3, s3, 0
	s_mul_i32 s4, s58, 12
	s_add_u32 s4, s34, s4
	s_addc_u32 s5, s35, 0
.LBB449_13:                             ; =>This Inner Loop Header: Depth=1
	s_load_dwordx2 s[8:9], s[4:5], 0x4
	s_load_dword s7, s[4:5], 0xc
	s_load_dwordx2 s[10:11], s[2:3], 0x0
	v_mov_b32_e32 v2, v1
	s_add_u32 s4, s4, 12
	s_waitcnt lgkmcnt(0)
	v_mul_hi_u32 v1, s9, v4
	v_add_u32_e32 v1, v4, v1
	v_lshrrev_b32_e32 v1, s7, v1
	s_addc_u32 s5, s5, 0
	v_mul_lo_u32 v3, v1, s8
	s_add_u32 s2, s2, 8
	v_sub_u32_e32 v5, v4, v3
	s_addc_u32 s3, s3, 0
	s_add_i32 s6, s6, -1
	v_mov_b32_e32 v4, v1
	v_mad_u64_u32 v[2:3], s[8:9], v5, s11, v[2:3]
	v_mad_u64_u32 v[0:1], s[8:9], v5, s10, v[0:1]
	s_cmp_lg_u32 s6, 0
	v_mov_b32_e32 v1, v2
	s_cbranch_scc1 .LBB449_13
.LBB449_14:
	s_cbranch_execnz .LBB449_17
.LBB449_15:
	v_mul_hi_u32 v0, s25, v12
	v_add_u32_e32 v0, v12, v0
	v_lshrrev_b32_e32 v1, s26, v0
	v_mul_lo_u32 v0, v1, s24
	v_sub_u32_e32 v0, v12, v0
	v_mul_lo_u32 v2, v0, s29
	s_andn2_b64 vcc, exec, s[50:51]
	v_mul_lo_u32 v0, v0, s28
	s_cbranch_vccnz .LBB449_17
; %bb.16:
	v_mul_hi_u32 v3, s48, v1
	v_add_u32_e32 v3, v1, v3
	v_lshrrev_b32_e32 v3, s49, v3
	v_mul_lo_u32 v3, v3, s27
	v_sub_u32_e32 v3, v1, v3
	v_mad_u64_u32 v[0:1], s[2:3], v3, s30, v[0:1]
	v_mad_u64_u32 v[2:3], s[2:3], v3, s31, v[2:3]
.LBB449_17:
	v_mov_b32_e32 v3, 0
	s_and_b32 s8, 0xffff, s76
	s_cmp_lt_i32 s8, 11
	v_lshl_add_u64 v[2:3], s[22:23], 0, v[2:3]
	s_cbranch_scc1 .LBB449_24
; %bb.18:
	s_cmp_gt_i32 s8, 25
	s_cbranch_scc0 .LBB449_33
; %bb.19:
	s_cmp_gt_i32 s8, 28
	s_cbranch_scc0 .LBB449_36
	;; [unrolled: 3-line block ×4, first 2 shown]
; %bb.22:
	s_cmp_eq_u32 s8, 46
	s_mov_b64 s[6:7], 0
	s_cbranch_scc0 .LBB449_42
; %bb.23:
	global_load_dword v1, v[2:3], off
	s_mov_b32 s2, 0x2f800000
	s_mov_b32 s3, 0xcf800000
	s_mov_b64 s[4:5], 0
	s_waitcnt vmcnt(0)
	v_lshlrev_b32_e32 v1, 16, v1
	v_trunc_f32_e32 v1, v1
	v_mul_f32_e64 v4, |v1|, s2
	v_floor_f32_e32 v4, v4
	v_fma_f32 v5, v4, s3, |v1|
	v_cvt_u32_f32_e32 v4, v4
	v_cvt_u32_f32_e32 v5, v5
	v_ashrrev_i32_e32 v1, 31, v1
	s_mov_b64 s[2:3], -1
	v_xor_b32_e32 v6, v4, v1
	v_xor_b32_e32 v4, v5, v1
	v_sub_co_u32_e32 v4, vcc, v4, v1
	s_nop 1
	v_subb_co_u32_e32 v5, vcc, v6, v1, vcc
	s_branch .LBB449_44
.LBB449_24:
	s_mov_b64 s[4:5], 0
                                        ; implicit-def: $vgpr4_vgpr5
	s_mov_b64 s[2:3], 0
	s_cbranch_execnz .LBB449_213
.LBB449_25:
	s_andn2_b64 vcc, exec, s[2:3]
	s_cbranch_vccnz .LBB449_260
.LBB449_26:
	v_mov_b32_e32 v1, s47
	s_waitcnt vmcnt(0)
	v_cmp_gt_i64_e32 vcc, s[46:47], v[4:5]
	s_and_b32 s12, s75, 0xff
	s_cmp_lt_i32 s12, 11
	v_cndmask_b32_e32 v3, v1, v5, vcc
	v_mov_b32_e32 v1, s46
	v_cndmask_b32_e32 v2, v1, v4, vcc
	v_mov_b32_e32 v1, 0
	v_lshl_add_u64 v[0:1], s[20:21], 0, v[0:1]
	s_cbranch_scc1 .LBB449_34
; %bb.27:
	s_and_b32 s13, 0xffff, s12
	s_cmp_gt_i32 s13, 25
	s_cbranch_scc0 .LBB449_37
; %bb.28:
	s_cmp_gt_i32 s13, 28
	s_cbranch_scc0 .LBB449_39
; %bb.29:
	;; [unrolled: 3-line block ×4, first 2 shown]
	s_mov_b64 s[8:9], 0
	s_mov_b64 s[2:3], -1
	s_cmp_eq_u32 s13, 46
	s_mov_b64 s[6:7], 0
	s_cbranch_scc0 .LBB449_48
; %bb.32:
	v_xor_b32_e32 v5, v2, v3
	v_ffbh_i32_e32 v4, v3
	v_ashrrev_i32_e32 v5, 31, v5
	v_add_u32_e32 v4, -1, v4
	v_add_u32_e32 v5, 32, v5
	v_min_u32_e32 v6, v4, v5
	v_lshlrev_b64 v[4:5], v6, v[2:3]
	v_min_u32_e32 v4, 1, v4
	v_or_b32_e32 v4, v5, v4
	v_cvt_f32_i32_e32 v4, v4
	v_sub_u32_e32 v5, 32, v6
	s_movk_i32 s2, 0x7fff
	s_mov_b64 s[6:7], -1
	v_ldexp_f32 v4, v4, v5
	v_bfe_u32 v5, v4, 16, 1
	v_add3_u32 v4, v4, v5, s2
	v_lshrrev_b32_e32 v4, 16, v4
	global_store_dword v[0:1], v4, off
	s_mov_b64 s[2:3], 0
	s_branch .LBB449_48
.LBB449_33:
	s_mov_b64 s[4:5], 0
	s_mov_b64 s[2:3], 0
                                        ; implicit-def: $vgpr4_vgpr5
	s_cbranch_execnz .LBB449_180
	s_branch .LBB449_212
.LBB449_34:
	s_mov_b64 s[2:3], 0
	s_mov_b64 s[6:7], 0
	s_cbranch_execnz .LBB449_117
.LBB449_35:
	s_andn2_b64 vcc, exec, s[6:7]
	s_cbranch_vccnz .LBB449_261
	s_branch .LBB449_155
.LBB449_36:
	s_mov_b64 s[6:7], -1
	s_mov_b64 s[4:5], 0
	s_mov_b64 s[2:3], 0
                                        ; implicit-def: $vgpr4_vgpr5
	s_branch .LBB449_163
.LBB449_37:
	s_mov_b64 s[8:9], -1
	s_mov_b64 s[2:3], 0
	s_mov_b64 s[6:7], 0
	s_branch .LBB449_75
.LBB449_38:
	s_mov_b64 s[6:7], -1
	s_mov_b64 s[4:5], 0
	s_mov_b64 s[2:3], 0
                                        ; implicit-def: $vgpr4_vgpr5
	s_branch .LBB449_158
.LBB449_39:
	s_mov_b64 s[8:9], -1
	s_mov_b64 s[2:3], 0
	s_mov_b64 s[6:7], 0
	s_branch .LBB449_58
.LBB449_40:
	s_mov_b64 s[6:7], -1
	s_mov_b64 s[4:5], 0
	s_branch .LBB449_43
.LBB449_41:
	s_mov_b64 s[8:9], -1
	s_mov_b64 s[2:3], 0
	s_mov_b64 s[6:7], 0
	s_branch .LBB449_54
.LBB449_42:
	s_mov_b64 s[4:5], -1
.LBB449_43:
	s_mov_b64 s[2:3], 0
                                        ; implicit-def: $vgpr4_vgpr5
.LBB449_44:
	s_and_b64 vcc, exec, s[6:7]
	s_cbranch_vccz .LBB449_157
; %bb.45:
	s_cmp_eq_u32 s8, 44
	s_cbranch_scc0 .LBB449_156
; %bb.46:
	global_load_ubyte v1, v[2:3], off
	s_mov_b32 s2, 0x2f800000
	s_mov_b32 s3, 0xcf800000
	s_mov_b64 s[4:5], 0
	s_waitcnt vmcnt(0)
	v_lshlrev_b32_e32 v4, 23, v1
	v_trunc_f32_e32 v4, v4
	v_mul_f32_e64 v5, |v4|, s2
	v_floor_f32_e32 v5, v5
	v_fma_f32 v6, v5, s3, |v4|
	v_cvt_u32_f32_e32 v6, v6
	v_cvt_u32_f32_e32 v5, v5
	v_ashrrev_i32_e32 v4, 31, v4
	s_mov_b64 s[2:3], -1
	v_xor_b32_e32 v6, v6, v4
	v_xor_b32_e32 v5, v5, v4
	v_sub_co_u32_e32 v6, vcc, v6, v4
	s_nop 1
	v_subb_co_u32_e32 v4, vcc, v5, v4, vcc
	v_cmp_ne_u32_e32 vcc, 0, v1
	s_nop 1
	v_cndmask_b32_e32 v5, 0, v4, vcc
	v_cndmask_b32_e32 v4, 0, v6, vcc
	s_branch .LBB449_157
.LBB449_47:
	s_mov_b64 s[8:9], -1
	s_mov_b64 s[2:3], 0
	s_mov_b64 s[6:7], 0
.LBB449_48:
	s_and_b64 vcc, exec, s[8:9]
	s_cbranch_vccz .LBB449_53
; %bb.49:
	s_cmp_eq_u32 s13, 44
	s_mov_b64 s[2:3], -1
	s_cbranch_scc0 .LBB449_53
; %bb.50:
	v_xor_b32_e32 v5, v2, v3
	v_ffbh_i32_e32 v4, v3
	v_ashrrev_i32_e32 v5, 31, v5
	v_add_u32_e32 v4, -1, v4
	v_add_u32_e32 v5, 32, v5
	v_min_u32_e32 v6, v4, v5
	v_lshlrev_b64 v[4:5], v6, v[2:3]
	v_min_u32_e32 v4, 1, v4
	v_or_b32_e32 v4, v5, v4
	v_cvt_f32_i32_e32 v4, v4
	v_sub_u32_e32 v5, 32, v6
	s_movk_i32 s2, 0xff
	v_mov_b32_e32 v6, 0xff
	v_ldexp_f32 v4, v4, v5
	v_bfe_u32 v5, v4, 23, 8
	v_cmp_ne_u32_e32 vcc, s2, v5
	s_and_saveexec_b64 s[6:7], vcc
; %bb.51:
	s_mov_b32 s2, 0x3fffff
	v_lshrrev_b32_e32 v6, 23, v4
	v_and_b32_e32 v7, 0x400000, v4
	v_and_or_b32 v4, v4, s2, v5
	v_cmp_ne_u32_e32 vcc, 0, v7
	v_cmp_ne_u32_e64 s[2:3], 0, v4
	s_and_b64 s[2:3], vcc, s[2:3]
	s_nop 0
	v_cndmask_b32_e64 v4, 0, 1, s[2:3]
	v_add_u32_e32 v6, v6, v4
; %bb.52:
	s_or_b64 exec, exec, s[6:7]
	s_mov_b64 s[6:7], -1
	s_mov_b64 s[2:3], 0
	global_store_byte v[0:1], v6, off
.LBB449_53:
	s_mov_b64 s[8:9], 0
.LBB449_54:
	s_and_b64 vcc, exec, s[8:9]
	s_cbranch_vccz .LBB449_57
; %bb.55:
	s_cmp_eq_u32 s13, 29
	s_mov_b64 s[2:3], -1
	s_cbranch_scc0 .LBB449_57
; %bb.56:
	global_store_dwordx2 v[0:1], v[2:3], off
	s_mov_b64 s[6:7], -1
	s_mov_b64 s[2:3], 0
.LBB449_57:
	s_mov_b64 s[8:9], 0
.LBB449_58:
	s_and_b64 vcc, exec, s[8:9]
	s_cbranch_vccz .LBB449_74
; %bb.59:
	s_cmp_lt_i32 s13, 27
	s_mov_b64 s[6:7], -1
	s_cbranch_scc1 .LBB449_65
; %bb.60:
	s_cmp_gt_i32 s13, 27
	s_cbranch_scc0 .LBB449_62
; %bb.61:
	s_mov_b64 s[6:7], 0
	global_store_dword v[0:1], v2, off
.LBB449_62:
	s_andn2_b64 vcc, exec, s[6:7]
	s_cbranch_vccnz .LBB449_64
; %bb.63:
	global_store_short v[0:1], v2, off
.LBB449_64:
	s_mov_b64 s[6:7], 0
.LBB449_65:
	s_andn2_b64 vcc, exec, s[6:7]
	s_cbranch_vccnz .LBB449_73
; %bb.66:
	v_xor_b32_e32 v5, v2, v3
	v_ffbh_i32_e32 v4, v3
	v_ashrrev_i32_e32 v5, 31, v5
	v_add_u32_e32 v4, -1, v4
	v_add_u32_e32 v5, 32, v5
	v_min_u32_e32 v6, v4, v5
	v_lshlrev_b64 v[4:5], v6, v[2:3]
	v_min_u32_e32 v4, 1, v4
	v_or_b32_e32 v4, v5, v4
	v_cvt_f32_i32_e32 v4, v4
	v_sub_u32_e32 v5, 32, v6
	s_mov_b32 s6, 0x43800000
	v_mov_b32_e32 v6, 0x80
	v_ldexp_f32 v4, v4, v5
	v_and_b32_e32 v5, 0x7fffffff, v4
	v_cmp_gt_u32_e32 vcc, s6, v5
	s_and_saveexec_b64 s[6:7], vcc
	s_cbranch_execz .LBB449_72
; %bb.67:
	s_mov_b32 s8, 0x3bffffff
	v_cmp_lt_u32_e32 vcc, s8, v5
	s_mov_b64 s[8:9], 0
                                        ; implicit-def: $vgpr5
	s_and_saveexec_b64 s[10:11], vcc
	s_xor_b64 s[10:11], exec, s[10:11]
	s_cbranch_execz .LBB449_305
; %bb.68:
	v_bfe_u32 v5, v4, 20, 1
	s_mov_b32 s14, 0x487ffff
	v_add3_u32 v5, v4, v5, s14
	s_mov_b64 s[8:9], exec
	v_lshrrev_b32_e32 v5, 20, v5
	s_andn2_saveexec_b64 s[10:11], s[10:11]
	s_cbranch_execnz .LBB449_306
.LBB449_69:
	s_or_b64 exec, exec, s[10:11]
	v_mov_b32_e32 v6, 0
	s_and_saveexec_b64 s[10:11], s[8:9]
.LBB449_70:
	v_lshrrev_b32_e32 v4, 24, v4
	s_movk_i32 s8, 0x80
	v_and_or_b32 v6, v4, s8, v5
.LBB449_71:
	s_or_b64 exec, exec, s[10:11]
.LBB449_72:
	s_or_b64 exec, exec, s[6:7]
	global_store_byte v[0:1], v6, off
.LBB449_73:
	s_mov_b64 s[6:7], -1
.LBB449_74:
	s_mov_b64 s[8:9], 0
.LBB449_75:
	s_and_b64 vcc, exec, s[8:9]
	s_cbranch_vccz .LBB449_116
; %bb.76:
	s_cmp_gt_i32 s13, 22
	s_mov_b64 s[8:9], -1
	s_cbranch_scc0 .LBB449_108
; %bb.77:
	s_cmp_lt_i32 s13, 24
	s_mov_b64 s[6:7], -1
	s_cbranch_scc1 .LBB449_97
; %bb.78:
	s_cmp_gt_i32 s13, 24
	s_cbranch_scc0 .LBB449_86
; %bb.79:
	v_xor_b32_e32 v5, v2, v3
	v_ffbh_i32_e32 v4, v3
	v_ashrrev_i32_e32 v5, 31, v5
	v_add_u32_e32 v4, -1, v4
	v_add_u32_e32 v5, 32, v5
	v_min_u32_e32 v6, v4, v5
	v_lshlrev_b64 v[4:5], v6, v[2:3]
	v_min_u32_e32 v4, 1, v4
	v_or_b32_e32 v4, v5, v4
	v_cvt_f32_i32_e32 v4, v4
	v_sub_u32_e32 v5, 32, v6
	s_mov_b32 s6, 0x47800000
	v_mov_b32_e32 v6, 0x80
	v_ldexp_f32 v4, v4, v5
	v_and_b32_e32 v5, 0x7fffffff, v4
	v_cmp_gt_u32_e32 vcc, s6, v5
	s_and_saveexec_b64 s[6:7], vcc
	s_cbranch_execz .LBB449_85
; %bb.80:
	s_mov_b32 s8, 0x37ffffff
	v_cmp_lt_u32_e32 vcc, s8, v5
	s_mov_b64 s[8:9], 0
                                        ; implicit-def: $vgpr5
	s_and_saveexec_b64 s[10:11], vcc
	s_xor_b64 s[10:11], exec, s[10:11]
	s_cbranch_execz .LBB449_309
; %bb.81:
	v_bfe_u32 v5, v4, 21, 1
	s_mov_b32 s14, 0x88fffff
	v_add3_u32 v5, v4, v5, s14
	s_mov_b64 s[8:9], exec
	v_lshrrev_b32_e32 v5, 21, v5
	s_andn2_saveexec_b64 s[10:11], s[10:11]
	s_cbranch_execnz .LBB449_310
.LBB449_82:
	s_or_b64 exec, exec, s[10:11]
	v_mov_b32_e32 v6, 0
	s_and_saveexec_b64 s[10:11], s[8:9]
.LBB449_83:
	v_lshrrev_b32_e32 v4, 24, v4
	s_movk_i32 s8, 0x80
	v_and_or_b32 v6, v4, s8, v5
.LBB449_84:
	s_or_b64 exec, exec, s[10:11]
.LBB449_85:
	s_or_b64 exec, exec, s[6:7]
	s_mov_b64 s[6:7], 0
	global_store_byte v[0:1], v6, off
.LBB449_86:
	s_and_b64 vcc, exec, s[6:7]
	s_cbranch_vccz .LBB449_96
; %bb.87:
	v_xor_b32_e32 v5, v2, v3
	v_ffbh_i32_e32 v4, v3
	v_ashrrev_i32_e32 v5, 31, v5
	v_add_u32_e32 v4, -1, v4
	v_add_u32_e32 v5, 32, v5
	v_min_u32_e32 v6, v4, v5
	v_lshlrev_b64 v[4:5], v6, v[2:3]
	v_min_u32_e32 v4, 1, v4
	v_or_b32_e32 v4, v5, v4
	v_cvt_f32_i32_e32 v4, v4
	v_sub_u32_e32 v5, 32, v6
	s_mov_b32 s6, 0x43f00000
	v_ldexp_f32 v4, v4, v5
	v_and_b32_e32 v6, 0x7fffffff, v4
	v_cmp_gt_u32_e32 vcc, s6, v6
                                        ; implicit-def: $vgpr5
	s_and_saveexec_b64 s[6:7], vcc
	s_xor_b64 s[6:7], exec, s[6:7]
	s_cbranch_execz .LBB449_93
; %bb.88:
	s_mov_b32 s8, 0x3c7fffff
	v_cmp_lt_u32_e32 vcc, s8, v6
                                        ; implicit-def: $vgpr5
	s_and_saveexec_b64 s[8:9], vcc
	s_xor_b64 s[8:9], exec, s[8:9]
; %bb.89:
	v_bfe_u32 v5, v4, 20, 1
	s_mov_b32 s10, 0x407ffff
	v_add3_u32 v5, v4, v5, s10
	v_lshrrev_b32_e32 v6, 20, v5
	v_and_b32_e32 v5, 0xff00000, v5
	s_mov_b32 s10, 0x7f00000
	v_mov_b32_e32 v7, 0x7e
	v_cmp_ne_u32_e32 vcc, s10, v5
	s_nop 1
	v_cndmask_b32_e32 v5, v7, v6, vcc
; %bb.90:
	s_andn2_saveexec_b64 s[8:9], s[8:9]
; %bb.91:
	s_mov_b32 s10, 0x46800000
	v_add_f32_e64 v5, |v4|, s10
; %bb.92:
	s_or_b64 exec, exec, s[8:9]
                                        ; implicit-def: $vgpr6
.LBB449_93:
	s_andn2_saveexec_b64 s[6:7], s[6:7]
; %bb.94:
	s_mov_b32 s8, 0x7f800000
	v_mov_b32_e32 v5, 0x7e
	v_mov_b32_e32 v7, 0x7f
	v_cmp_lt_u32_e32 vcc, s8, v6
	s_nop 1
	v_cndmask_b32_e32 v5, v5, v7, vcc
; %bb.95:
	s_or_b64 exec, exec, s[6:7]
	v_lshrrev_b32_e32 v4, 24, v4
	s_movk_i32 s6, 0x80
	v_and_or_b32 v4, v4, s6, v5
	global_store_byte v[0:1], v4, off
.LBB449_96:
	s_mov_b64 s[6:7], 0
.LBB449_97:
	s_andn2_b64 vcc, exec, s[6:7]
	s_cbranch_vccnz .LBB449_107
; %bb.98:
	v_xor_b32_e32 v5, v2, v3
	v_ffbh_i32_e32 v4, v3
	v_ashrrev_i32_e32 v5, 31, v5
	v_add_u32_e32 v4, -1, v4
	v_add_u32_e32 v5, 32, v5
	v_min_u32_e32 v6, v4, v5
	v_lshlrev_b64 v[4:5], v6, v[2:3]
	v_min_u32_e32 v4, 1, v4
	v_or_b32_e32 v4, v5, v4
	v_cvt_f32_i32_e32 v4, v4
	v_sub_u32_e32 v5, 32, v6
	s_mov_b32 s6, 0x47800000
	v_ldexp_f32 v4, v4, v5
	v_and_b32_e32 v6, 0x7fffffff, v4
	v_cmp_gt_u32_e32 vcc, s6, v6
                                        ; implicit-def: $vgpr5
	s_and_saveexec_b64 s[6:7], vcc
	s_xor_b64 s[6:7], exec, s[6:7]
	s_cbranch_execz .LBB449_104
; %bb.99:
	s_mov_b32 s8, 0x387fffff
	v_cmp_lt_u32_e32 vcc, s8, v6
                                        ; implicit-def: $vgpr5
	s_and_saveexec_b64 s[8:9], vcc
	s_xor_b64 s[8:9], exec, s[8:9]
; %bb.100:
	v_bfe_u32 v5, v4, 21, 1
	s_mov_b32 s10, 0x80fffff
	v_add3_u32 v5, v4, v5, s10
	v_lshrrev_b32_e32 v5, 21, v5
; %bb.101:
	s_andn2_saveexec_b64 s[8:9], s[8:9]
; %bb.102:
	s_mov_b32 s10, 0x43000000
	v_add_f32_e64 v5, |v4|, s10
; %bb.103:
	s_or_b64 exec, exec, s[8:9]
                                        ; implicit-def: $vgpr6
.LBB449_104:
	s_andn2_saveexec_b64 s[6:7], s[6:7]
; %bb.105:
	s_mov_b32 s8, 0x7f800000
	v_mov_b32_e32 v5, 0x7c
	v_mov_b32_e32 v7, 0x7f
	v_cmp_lt_u32_e32 vcc, s8, v6
	s_nop 1
	v_cndmask_b32_e32 v5, v5, v7, vcc
; %bb.106:
	s_or_b64 exec, exec, s[6:7]
	v_lshrrev_b32_e32 v4, 24, v4
	s_movk_i32 s6, 0x80
	v_and_or_b32 v4, v4, s6, v5
	global_store_byte v[0:1], v4, off
.LBB449_107:
	s_mov_b64 s[8:9], 0
	s_mov_b64 s[6:7], -1
.LBB449_108:
	s_andn2_b64 vcc, exec, s[8:9]
	s_cbranch_vccnz .LBB449_116
; %bb.109:
	s_cmp_gt_i32 s13, 14
	s_mov_b64 s[8:9], -1
	s_cbranch_scc0 .LBB449_113
; %bb.110:
	s_cmp_eq_u32 s13, 15
	s_mov_b64 s[2:3], -1
	s_cbranch_scc0 .LBB449_112
; %bb.111:
	v_xor_b32_e32 v5, v2, v3
	v_ffbh_i32_e32 v4, v3
	v_ashrrev_i32_e32 v5, 31, v5
	v_add_u32_e32 v4, -1, v4
	v_add_u32_e32 v5, 32, v5
	v_min_u32_e32 v6, v4, v5
	v_lshlrev_b64 v[4:5], v6, v[2:3]
	v_min_u32_e32 v4, 1, v4
	v_or_b32_e32 v4, v5, v4
	v_cvt_f32_i32_e32 v4, v4
	v_sub_u32_e32 v5, 32, v6
	s_movk_i32 s2, 0x7fff
	s_mov_b64 s[6:7], -1
	v_ldexp_f32 v4, v4, v5
	v_bfe_u32 v5, v4, 16, 1
	v_add3_u32 v4, v4, v5, s2
	global_store_short_d16_hi v[0:1], v4, off
	s_mov_b64 s[2:3], 0
.LBB449_112:
	s_mov_b64 s[8:9], 0
.LBB449_113:
	s_and_b64 vcc, exec, s[8:9]
	s_cbranch_vccz .LBB449_116
; %bb.114:
	s_cmp_eq_u32 s13, 11
	s_mov_b64 s[2:3], -1
	s_cbranch_scc0 .LBB449_116
; %bb.115:
	v_cmp_ne_u64_e32 vcc, 0, v[2:3]
	s_mov_b64 s[2:3], 0
	s_mov_b64 s[6:7], -1
	v_cndmask_b32_e64 v4, 0, 1, vcc
	global_store_byte v[0:1], v4, off
.LBB449_116:
	s_branch .LBB449_35
.LBB449_117:
	s_and_b32 s8, 0xffff, s12
	s_cmp_lt_i32 s8, 5
	s_mov_b64 s[6:7], -1
	s_cbranch_scc1 .LBB449_138
; %bb.118:
	s_cmp_lt_i32 s8, 8
	s_cbranch_scc1 .LBB449_128
; %bb.119:
	s_cmp_lt_i32 s8, 9
	s_cbranch_scc1 .LBB449_125
; %bb.120:
	s_cmp_gt_i32 s8, 9
	s_cbranch_scc0 .LBB449_122
; %bb.121:
	v_cvt_f64_i32_e32 v[4:5], v3
	v_ldexp_f64 v[4:5], v[4:5], 32
	v_cvt_f64_u32_e32 v[6:7], v2
	v_add_f64 v[4:5], v[4:5], v[6:7]
	v_mov_b32_e32 v6, 0
	v_mov_b32_e32 v7, v6
	global_store_dwordx4 v[0:1], v[4:7], off
	s_mov_b64 s[6:7], 0
.LBB449_122:
	s_andn2_b64 vcc, exec, s[6:7]
	s_cbranch_vccnz .LBB449_124
; %bb.123:
	v_xor_b32_e32 v5, v2, v3
	v_ffbh_i32_e32 v4, v3
	v_ashrrev_i32_e32 v5, 31, v5
	v_add_u32_e32 v4, -1, v4
	v_add_u32_e32 v5, 32, v5
	v_min_u32_e32 v6, v4, v5
	v_lshlrev_b64 v[4:5], v6, v[2:3]
	v_min_u32_e32 v4, 1, v4
	v_or_b32_e32 v4, v5, v4
	v_cvt_f32_i32_e32 v4, v4
	v_sub_u32_e32 v5, 32, v6
	v_ldexp_f32 v4, v4, v5
	v_mov_b32_e32 v5, 0
	global_store_dwordx2 v[0:1], v[4:5], off
.LBB449_124:
	s_mov_b64 s[6:7], 0
.LBB449_125:
	s_andn2_b64 vcc, exec, s[6:7]
	s_cbranch_vccnz .LBB449_127
; %bb.126:
	v_xor_b32_e32 v5, v2, v3
	v_ffbh_i32_e32 v4, v3
	v_ashrrev_i32_e32 v5, 31, v5
	v_add_u32_e32 v4, -1, v4
	v_add_u32_e32 v5, 32, v5
	v_min_u32_e32 v6, v4, v5
	v_lshlrev_b64 v[4:5], v6, v[2:3]
	v_min_u32_e32 v4, 1, v4
	v_or_b32_e32 v4, v5, v4
	v_cvt_f32_i32_e32 v4, v4
	v_sub_u32_e32 v5, 32, v6
	v_ldexp_f32 v4, v4, v5
	v_cvt_f16_f32_e32 v4, v4
	global_store_dword v[0:1], v4, off
.LBB449_127:
	s_mov_b64 s[6:7], 0
.LBB449_128:
	s_andn2_b64 vcc, exec, s[6:7]
	s_cbranch_vccnz .LBB449_137
; %bb.129:
	s_cmp_lt_i32 s8, 6
	s_mov_b64 s[6:7], -1
	s_cbranch_scc1 .LBB449_135
; %bb.130:
	s_cmp_gt_i32 s8, 6
	s_cbranch_scc0 .LBB449_132
; %bb.131:
	v_cvt_f64_i32_e32 v[4:5], v3
	v_ldexp_f64 v[4:5], v[4:5], 32
	v_cvt_f64_u32_e32 v[6:7], v2
	v_add_f64 v[4:5], v[4:5], v[6:7]
	global_store_dwordx2 v[0:1], v[4:5], off
	s_mov_b64 s[6:7], 0
.LBB449_132:
	s_andn2_b64 vcc, exec, s[6:7]
	s_cbranch_vccnz .LBB449_134
; %bb.133:
	v_xor_b32_e32 v5, v2, v3
	v_ffbh_i32_e32 v4, v3
	v_ashrrev_i32_e32 v5, 31, v5
	v_add_u32_e32 v4, -1, v4
	v_add_u32_e32 v5, 32, v5
	v_min_u32_e32 v6, v4, v5
	v_lshlrev_b64 v[4:5], v6, v[2:3]
	v_min_u32_e32 v4, 1, v4
	v_or_b32_e32 v4, v5, v4
	v_cvt_f32_i32_e32 v4, v4
	v_sub_u32_e32 v5, 32, v6
	v_ldexp_f32 v4, v4, v5
	global_store_dword v[0:1], v4, off
.LBB449_134:
	s_mov_b64 s[6:7], 0
.LBB449_135:
	s_andn2_b64 vcc, exec, s[6:7]
	s_cbranch_vccnz .LBB449_137
; %bb.136:
	v_xor_b32_e32 v5, v2, v3
	v_ffbh_i32_e32 v4, v3
	v_ashrrev_i32_e32 v5, 31, v5
	v_add_u32_e32 v4, -1, v4
	v_add_u32_e32 v5, 32, v5
	v_min_u32_e32 v6, v4, v5
	v_lshlrev_b64 v[4:5], v6, v[2:3]
	v_min_u32_e32 v4, 1, v4
	v_or_b32_e32 v4, v5, v4
	v_cvt_f32_i32_e32 v4, v4
	v_sub_u32_e32 v5, 32, v6
	v_ldexp_f32 v4, v4, v5
	v_cvt_f16_f32_e32 v4, v4
	global_store_short v[0:1], v4, off
.LBB449_137:
	s_mov_b64 s[6:7], 0
.LBB449_138:
	s_andn2_b64 vcc, exec, s[6:7]
	s_cbranch_vccnz .LBB449_154
; %bb.139:
	s_cmp_lt_i32 s8, 2
	s_mov_b64 s[6:7], -1
	s_cbranch_scc1 .LBB449_149
; %bb.140:
	s_cmp_lt_i32 s8, 3
	s_cbranch_scc1 .LBB449_146
; %bb.141:
	s_cmp_gt_i32 s8, 3
	s_cbranch_scc0 .LBB449_143
; %bb.142:
	global_store_dwordx2 v[0:1], v[2:3], off
	s_mov_b64 s[6:7], 0
.LBB449_143:
	s_andn2_b64 vcc, exec, s[6:7]
	s_cbranch_vccnz .LBB449_145
; %bb.144:
	global_store_dword v[0:1], v2, off
.LBB449_145:
	s_mov_b64 s[6:7], 0
.LBB449_146:
	s_andn2_b64 vcc, exec, s[6:7]
	s_cbranch_vccnz .LBB449_148
; %bb.147:
	global_store_short v[0:1], v2, off
.LBB449_148:
	s_mov_b64 s[6:7], 0
.LBB449_149:
	s_andn2_b64 vcc, exec, s[6:7]
	s_cbranch_vccnz .LBB449_154
; %bb.150:
	s_cmp_gt_i32 s8, 0
	s_mov_b64 s[6:7], -1
	s_cbranch_scc0 .LBB449_152
; %bb.151:
	global_store_byte v[0:1], v2, off
	s_mov_b64 s[6:7], 0
.LBB449_152:
	s_andn2_b64 vcc, exec, s[6:7]
	s_cbranch_vccnz .LBB449_154
; %bb.153:
	global_store_byte v[0:1], v2, off
.LBB449_154:
.LBB449_155:
	v_add_u32_e32 v12, 0x80, v12
	s_mov_b64 s[6:7], -1
	s_branch .LBB449_262
.LBB449_156:
	s_mov_b64 s[4:5], -1
                                        ; implicit-def: $vgpr4_vgpr5
.LBB449_157:
	s_mov_b64 s[6:7], 0
.LBB449_158:
	s_and_b64 vcc, exec, s[6:7]
	s_cbranch_vccz .LBB449_162
; %bb.159:
	s_cmp_eq_u32 s8, 29
	s_cbranch_scc0 .LBB449_161
; %bb.160:
	global_load_dwordx2 v[4:5], v[2:3], off
	s_mov_b64 s[2:3], -1
	s_mov_b64 s[4:5], 0
	s_branch .LBB449_162
.LBB449_161:
	s_mov_b64 s[4:5], -1
                                        ; implicit-def: $vgpr4_vgpr5
.LBB449_162:
	s_mov_b64 s[6:7], 0
.LBB449_163:
	s_and_b64 vcc, exec, s[6:7]
	s_cbranch_vccz .LBB449_179
; %bb.164:
	s_cmp_lt_i32 s8, 27
	s_cbranch_scc1 .LBB449_167
; %bb.165:
	s_cmp_gt_i32 s8, 27
	s_cbranch_scc0 .LBB449_168
; %bb.166:
	global_load_dword v4, v[2:3], off
	s_waitcnt vmcnt(1)
	v_mov_b32_e32 v5, 0
	s_mov_b64 s[2:3], 0
	s_branch .LBB449_169
.LBB449_167:
	s_mov_b64 s[2:3], -1
                                        ; implicit-def: $vgpr4_vgpr5
	s_branch .LBB449_172
.LBB449_168:
	s_mov_b64 s[2:3], -1
                                        ; implicit-def: $vgpr4_vgpr5
.LBB449_169:
	s_andn2_b64 vcc, exec, s[2:3]
	s_cbranch_vccnz .LBB449_171
; %bb.170:
	global_load_ushort v1, v[2:3], off
	s_mov_b32 s2, 0
	s_waitcnt vmcnt(1)
	v_mov_b32_e32 v5, s2
	s_waitcnt vmcnt(0)
	v_and_b32_e32 v4, 0xffff, v1
.LBB449_171:
	s_mov_b64 s[2:3], 0
.LBB449_172:
	s_andn2_b64 vcc, exec, s[2:3]
	s_cbranch_vccnz .LBB449_178
; %bb.173:
	global_load_ubyte v1, v[2:3], off
	s_movk_i32 s2, 0x7f
	s_mov_b64 s[6:7], 0
	s_waitcnt vmcnt(0)
	v_cmp_lt_i16_e32 vcc, s2, v1
	s_and_saveexec_b64 s[2:3], vcc
	s_xor_b64 s[2:3], exec, s[2:3]
	s_cbranch_execz .LBB449_189
; %bb.174:
	s_movk_i32 s6, 0x80
	v_cmp_ne_u16_e32 vcc, s6, v1
	s_and_b64 s[6:7], vcc, exec
	s_andn2_saveexec_b64 s[2:3], s[2:3]
	s_cbranch_execnz .LBB449_190
.LBB449_175:
	s_or_b64 exec, exec, s[2:3]
	v_mov_b64_e32 v[4:5], 0
	s_and_saveexec_b64 s[2:3], s[6:7]
	s_cbranch_execz .LBB449_177
.LBB449_176:
	v_lshlrev_b32_e32 v4, 24, v1
	v_and_b32_e32 v1, 0xffff, v1
	v_and_b32_e32 v5, 7, v1
	v_ffbh_u32_e32 v7, v5
	v_min_u32_e32 v7, 32, v7
	v_subrev_u32_e32 v8, 28, v7
	v_bfe_u32 v6, v1, 3, 4
	v_lshlrev_b32_e32 v1, v8, v1
	v_sub_u32_e32 v7, 29, v7
	v_and_b32_e32 v1, 7, v1
	v_cmp_eq_u32_e32 vcc, 0, v6
	v_and_b32_e32 v4, 0x80000000, v4
	s_mov_b32 s6, 0x2f800000
	v_cndmask_b32_e32 v6, v6, v7, vcc
	v_cndmask_b32_e32 v1, v5, v1, vcc
	v_mov_b32_e32 v5, 0x3b800000
	v_lshlrev_b32_e32 v1, 20, v1
	v_lshl_add_u32 v5, v6, 23, v5
	v_or3_b32 v1, v4, v5, v1
	v_trunc_f32_e32 v1, v1
	v_mul_f32_e64 v4, |v1|, s6
	v_floor_f32_e32 v4, v4
	s_mov_b32 s6, 0xcf800000
	v_fma_f32 v5, v4, s6, |v1|
	v_cvt_u32_f32_e32 v4, v4
	v_cvt_u32_f32_e32 v5, v5
	v_ashrrev_i32_e32 v1, 31, v1
	v_xor_b32_e32 v6, v4, v1
	v_xor_b32_e32 v4, v5, v1
	v_sub_co_u32_e32 v4, vcc, v4, v1
	s_nop 1
	v_subb_co_u32_e32 v5, vcc, v6, v1, vcc
.LBB449_177:
	s_or_b64 exec, exec, s[2:3]
.LBB449_178:
	s_mov_b64 s[2:3], -1
.LBB449_179:
	s_branch .LBB449_212
.LBB449_180:
	s_cmp_gt_i32 s8, 22
	s_cbranch_scc0 .LBB449_188
; %bb.181:
	s_cmp_lt_i32 s8, 24
	s_cbranch_scc1 .LBB449_191
; %bb.182:
	s_cmp_gt_i32 s8, 24
	s_cbranch_scc0 .LBB449_192
; %bb.183:
	global_load_ubyte v1, v[2:3], off
	s_movk_i32 s2, 0x7f
	s_mov_b64 s[6:7], 0
	s_waitcnt vmcnt(0)
	v_cmp_lt_i16_e32 vcc, s2, v1
	s_and_saveexec_b64 s[2:3], vcc
	s_xor_b64 s[2:3], exec, s[2:3]
	s_cbranch_execz .LBB449_204
; %bb.184:
	s_movk_i32 s6, 0x80
	v_cmp_ne_u16_e32 vcc, s6, v1
	s_and_b64 s[6:7], vcc, exec
	s_andn2_saveexec_b64 s[2:3], s[2:3]
	s_cbranch_execnz .LBB449_205
.LBB449_185:
	s_or_b64 exec, exec, s[2:3]
	v_mov_b64_e32 v[4:5], 0
	s_and_saveexec_b64 s[2:3], s[6:7]
	s_cbranch_execz .LBB449_187
.LBB449_186:
	v_lshlrev_b32_e32 v4, 24, v1
	v_and_b32_e32 v1, 0xffff, v1
	v_and_b32_e32 v5, 3, v1
	v_ffbh_u32_e32 v7, v5
	v_min_u32_e32 v7, 32, v7
	v_subrev_u32_e32 v8, 29, v7
	v_bfe_u32 v6, v1, 2, 5
	v_lshlrev_b32_e32 v1, v8, v1
	v_sub_u32_e32 v7, 30, v7
	v_and_b32_e32 v1, 3, v1
	v_cmp_eq_u32_e32 vcc, 0, v6
	v_and_b32_e32 v4, 0x80000000, v4
	s_mov_b32 s6, 0x2f800000
	v_cndmask_b32_e32 v6, v6, v7, vcc
	v_cndmask_b32_e32 v1, v5, v1, vcc
	v_mov_b32_e32 v5, 0x37800000
	v_lshlrev_b32_e32 v1, 21, v1
	v_lshl_add_u32 v5, v6, 23, v5
	v_or3_b32 v1, v4, v5, v1
	v_trunc_f32_e32 v1, v1
	v_mul_f32_e64 v4, |v1|, s6
	v_floor_f32_e32 v4, v4
	s_mov_b32 s6, 0xcf800000
	v_fma_f32 v5, v4, s6, |v1|
	v_cvt_u32_f32_e32 v4, v4
	v_cvt_u32_f32_e32 v5, v5
	v_ashrrev_i32_e32 v1, 31, v1
	v_xor_b32_e32 v6, v4, v1
	v_xor_b32_e32 v4, v5, v1
	v_sub_co_u32_e32 v4, vcc, v4, v1
	s_nop 1
	v_subb_co_u32_e32 v5, vcc, v6, v1, vcc
.LBB449_187:
	s_or_b64 exec, exec, s[2:3]
	s_mov_b64 s[2:3], 0
	s_branch .LBB449_193
.LBB449_188:
	s_mov_b64 s[6:7], -1
                                        ; implicit-def: $vgpr4_vgpr5
	s_branch .LBB449_199
.LBB449_189:
	s_andn2_saveexec_b64 s[2:3], s[2:3]
	s_cbranch_execz .LBB449_175
.LBB449_190:
	v_cmp_ne_u16_e32 vcc, 0, v1
	s_andn2_b64 s[6:7], s[6:7], exec
	s_and_b64 s[10:11], vcc, exec
	s_or_b64 s[6:7], s[6:7], s[10:11]
	s_or_b64 exec, exec, s[2:3]
	v_mov_b64_e32 v[4:5], 0
	s_and_saveexec_b64 s[2:3], s[6:7]
	s_cbranch_execnz .LBB449_176
	s_branch .LBB449_177
.LBB449_191:
	s_mov_b64 s[2:3], -1
                                        ; implicit-def: $vgpr4_vgpr5
	s_branch .LBB449_196
.LBB449_192:
	s_mov_b64 s[2:3], -1
                                        ; implicit-def: $vgpr4_vgpr5
.LBB449_193:
	s_and_b64 vcc, exec, s[2:3]
	s_cbranch_vccz .LBB449_195
; %bb.194:
	global_load_ubyte v1, v[2:3], off
	s_mov_b32 s2, 0x7f800000
	s_brev_b32 s3, 1
	s_mov_b32 s6, 0x2f800000
	s_mov_b32 s7, 0xcf800000
	s_waitcnt vmcnt(0)
	v_lshlrev_b32_e32 v1, 24, v1
	v_and_b32_e32 v4, 0x7f000000, v1
	v_ffbh_u32_e32 v5, v4
	v_min_u32_e32 v5, 32, v5
	v_sub_u32_e64 v5, v5, 4 clamp
	v_lshlrev_b32_e32 v7, v5, v4
	v_lshlrev_b32_e32 v5, 23, v5
	v_lshrrev_b32_e32 v7, 4, v7
	v_add_u32_e32 v6, 0x1000000, v4
	v_sub_u32_e32 v5, v7, v5
	v_ashrrev_i32_e32 v6, 8, v6
	v_add_u32_e32 v5, 0x3c000000, v5
	v_and_or_b32 v5, v6, s2, v5
	v_cmp_ne_u32_e32 vcc, 0, v4
	s_nop 1
	v_cndmask_b32_e32 v4, 0, v5, vcc
	v_and_or_b32 v1, v1, s3, v4
	v_trunc_f32_e32 v1, v1
	v_mul_f32_e64 v4, |v1|, s6
	v_floor_f32_e32 v4, v4
	v_fma_f32 v5, v4, s7, |v1|
	v_cvt_u32_f32_e32 v4, v4
	v_cvt_u32_f32_e32 v5, v5
	v_ashrrev_i32_e32 v1, 31, v1
	v_xor_b32_e32 v6, v4, v1
	v_xor_b32_e32 v4, v5, v1
	v_sub_co_u32_e32 v4, vcc, v4, v1
	s_nop 1
	v_subb_co_u32_e32 v5, vcc, v6, v1, vcc
.LBB449_195:
	s_mov_b64 s[2:3], 0
.LBB449_196:
	s_andn2_b64 vcc, exec, s[2:3]
	s_cbranch_vccnz .LBB449_198
; %bb.197:
	global_load_ubyte v1, v[2:3], off
	s_movk_i32 s2, 0x7f00
	s_brev_b32 s3, 16
	s_brev_b32 s6, 1
	s_mov_b32 s7, 0x2f800000
	s_mov_b32 s9, 0xcf800000
	s_waitcnt vmcnt(0)
	v_lshlrev_b16_e32 v4, 8, v1
	v_lshlrev_b32_e32 v1, 25, v1
	v_lshrrev_b32_e32 v5, 4, v1
	v_and_or_b32 v6, v4, s2, 0.5
	v_or_b32_e32 v5, 0x70000000, v5
	v_add_f32_e32 v6, -0.5, v6
	v_mul_f32_e32 v5, 0x7800000, v5
	v_cmp_gt_u32_e32 vcc, s3, v1
	v_bfe_i32 v4, v4, 0, 16
	s_nop 0
	v_cndmask_b32_e32 v1, v5, v6, vcc
	v_and_or_b32 v1, v4, s6, v1
	v_trunc_f32_e32 v1, v1
	v_mul_f32_e64 v4, |v1|, s7
	v_floor_f32_e32 v4, v4
	v_fma_f32 v5, v4, s9, |v1|
	v_cvt_u32_f32_e32 v4, v4
	v_cvt_u32_f32_e32 v5, v5
	v_ashrrev_i32_e32 v1, 31, v1
	v_xor_b32_e32 v6, v4, v1
	v_xor_b32_e32 v4, v5, v1
	v_sub_co_u32_e32 v4, vcc, v4, v1
	s_nop 1
	v_subb_co_u32_e32 v5, vcc, v6, v1, vcc
.LBB449_198:
	s_mov_b64 s[6:7], 0
	s_mov_b64 s[2:3], -1
.LBB449_199:
	s_andn2_b64 vcc, exec, s[6:7]
	s_cbranch_vccnz .LBB449_212
; %bb.200:
	s_cmp_gt_i32 s8, 14
	s_cbranch_scc0 .LBB449_203
; %bb.201:
	s_cmp_eq_u32 s8, 15
	s_cbranch_scc0 .LBB449_206
; %bb.202:
	global_load_ushort v1, v[2:3], off
	s_mov_b32 s2, 0x2f800000
	s_mov_b32 s3, 0xcf800000
	s_mov_b64 s[4:5], 0
	s_waitcnt vmcnt(0)
	v_lshlrev_b32_e32 v1, 16, v1
	v_trunc_f32_e32 v1, v1
	v_mul_f32_e64 v4, |v1|, s2
	v_floor_f32_e32 v4, v4
	v_fma_f32 v5, v4, s3, |v1|
	v_cvt_u32_f32_e32 v4, v4
	v_cvt_u32_f32_e32 v5, v5
	v_ashrrev_i32_e32 v1, 31, v1
	s_mov_b64 s[2:3], -1
	v_xor_b32_e32 v6, v4, v1
	v_xor_b32_e32 v4, v5, v1
	v_sub_co_u32_e32 v4, vcc, v4, v1
	s_nop 1
	v_subb_co_u32_e32 v5, vcc, v6, v1, vcc
	s_branch .LBB449_207
.LBB449_203:
	s_mov_b64 s[6:7], -1
                                        ; implicit-def: $vgpr4_vgpr5
	s_branch .LBB449_208
.LBB449_204:
	s_andn2_saveexec_b64 s[2:3], s[2:3]
	s_cbranch_execz .LBB449_185
.LBB449_205:
	v_cmp_ne_u16_e32 vcc, 0, v1
	s_andn2_b64 s[6:7], s[6:7], exec
	s_and_b64 s[10:11], vcc, exec
	s_or_b64 s[6:7], s[6:7], s[10:11]
	s_or_b64 exec, exec, s[2:3]
	v_mov_b64_e32 v[4:5], 0
	s_and_saveexec_b64 s[2:3], s[6:7]
	s_cbranch_execnz .LBB449_186
	s_branch .LBB449_187
.LBB449_206:
	s_mov_b64 s[4:5], -1
                                        ; implicit-def: $vgpr4_vgpr5
.LBB449_207:
	s_mov_b64 s[6:7], 0
.LBB449_208:
	s_and_b64 vcc, exec, s[6:7]
	s_cbranch_vccz .LBB449_212
; %bb.209:
	s_cmp_eq_u32 s8, 11
	s_cbranch_scc0 .LBB449_211
; %bb.210:
	global_load_ubyte v1, v[2:3], off
	s_mov_b32 s4, 0
	s_mov_b64 s[2:3], -1
	s_waitcnt vmcnt(1)
	v_mov_b32_e32 v5, s4
	s_mov_b64 s[4:5], 0
	s_waitcnt vmcnt(0)
	v_cmp_ne_u16_e32 vcc, 0, v1
	s_nop 1
	v_cndmask_b32_e64 v4, 0, 1, vcc
	s_branch .LBB449_212
.LBB449_211:
	s_mov_b64 s[4:5], -1
                                        ; implicit-def: $vgpr4_vgpr5
.LBB449_212:
	s_branch .LBB449_25
.LBB449_213:
	s_cmp_lt_i32 s8, 5
	s_cbranch_scc1 .LBB449_218
; %bb.214:
	s_cmp_lt_i32 s8, 8
	s_cbranch_scc1 .LBB449_219
; %bb.215:
	s_cmp_lt_i32 s8, 9
	s_cbranch_scc1 .LBB449_220
; %bb.216:
	s_cmp_gt_i32 s8, 9
	s_cbranch_scc0 .LBB449_221
; %bb.217:
	global_load_dwordx2 v[4:5], v[2:3], off
	s_movk_i32 s2, 0xffe0
	s_waitcnt vmcnt(0)
	v_trunc_f64_e32 v[6:7], v[4:5]
	v_ldexp_f64 v[4:5], v[6:7], s2
	v_floor_f64_e32 v[8:9], v[4:5]
	v_fmac_f64_e32 v[6:7], 0xc1f00000, v[8:9]
	v_cvt_i32_f64_e32 v5, v[8:9]
	v_cvt_u32_f64_e32 v4, v[6:7]
	s_mov_b64 s[2:3], 0
	s_branch .LBB449_222
.LBB449_218:
                                        ; implicit-def: $vgpr4_vgpr5
	s_branch .LBB449_240
.LBB449_219:
	s_mov_b64 s[2:3], -1
                                        ; implicit-def: $vgpr4_vgpr5
	s_branch .LBB449_228
.LBB449_220:
	s_mov_b64 s[2:3], -1
                                        ; implicit-def: $vgpr4_vgpr5
	s_branch .LBB449_225
.LBB449_221:
	s_mov_b64 s[2:3], -1
                                        ; implicit-def: $vgpr4_vgpr5
.LBB449_222:
	s_andn2_b64 vcc, exec, s[2:3]
	s_cbranch_vccnz .LBB449_224
; %bb.223:
	global_load_dword v1, v[2:3], off
	s_mov_b32 s2, 0x2f800000
	s_mov_b32 s3, 0xcf800000
	s_waitcnt vmcnt(0)
	v_trunc_f32_e32 v1, v1
	v_mul_f32_e64 v4, |v1|, s2
	v_floor_f32_e32 v4, v4
	v_cvt_u32_f32_e32 v5, v4
	v_fma_f32 v4, v4, s3, |v1|
	v_cvt_u32_f32_e32 v4, v4
	v_ashrrev_i32_e32 v1, 31, v1
	v_xor_b32_e32 v5, v5, v1
	v_xor_b32_e32 v4, v4, v1
	v_sub_co_u32_e32 v4, vcc, v4, v1
	s_nop 1
	v_subb_co_u32_e32 v5, vcc, v5, v1, vcc
.LBB449_224:
	s_mov_b64 s[2:3], 0
.LBB449_225:
	s_andn2_b64 vcc, exec, s[2:3]
	s_cbranch_vccnz .LBB449_227
; %bb.226:
	global_load_dword v1, v[2:3], off
	s_waitcnt vmcnt(0)
	v_cvt_f32_f16_e32 v1, v1
	v_cvt_i32_f32_e32 v4, v1
	v_ashrrev_i32_e32 v5, 31, v4
.LBB449_227:
	s_mov_b64 s[2:3], 0
.LBB449_228:
	s_andn2_b64 vcc, exec, s[2:3]
	s_cbranch_vccnz .LBB449_239
; %bb.229:
	s_cmp_lt_i32 s8, 6
	s_cbranch_scc1 .LBB449_232
; %bb.230:
	s_cmp_gt_i32 s8, 6
	s_cbranch_scc0 .LBB449_233
; %bb.231:
	global_load_dwordx2 v[4:5], v[2:3], off
	s_movk_i32 s2, 0xffe0
	s_waitcnt vmcnt(0)
	v_trunc_f64_e32 v[6:7], v[4:5]
	v_ldexp_f64 v[4:5], v[6:7], s2
	v_floor_f64_e32 v[8:9], v[4:5]
	v_fmac_f64_e32 v[6:7], 0xc1f00000, v[8:9]
	v_cvt_i32_f64_e32 v5, v[8:9]
	v_cvt_u32_f64_e32 v4, v[6:7]
	s_mov_b64 s[2:3], 0
	s_branch .LBB449_234
.LBB449_232:
	s_mov_b64 s[2:3], -1
                                        ; implicit-def: $vgpr4_vgpr5
	s_branch .LBB449_237
.LBB449_233:
	s_mov_b64 s[2:3], -1
                                        ; implicit-def: $vgpr4_vgpr5
.LBB449_234:
	s_andn2_b64 vcc, exec, s[2:3]
	s_cbranch_vccnz .LBB449_236
; %bb.235:
	global_load_dword v1, v[2:3], off
	s_mov_b32 s2, 0x2f800000
	s_mov_b32 s3, 0xcf800000
	s_waitcnt vmcnt(0)
	v_trunc_f32_e32 v1, v1
	v_mul_f32_e64 v4, |v1|, s2
	v_floor_f32_e32 v4, v4
	v_cvt_u32_f32_e32 v5, v4
	v_fma_f32 v4, v4, s3, |v1|
	v_cvt_u32_f32_e32 v4, v4
	v_ashrrev_i32_e32 v1, 31, v1
	v_xor_b32_e32 v5, v5, v1
	v_xor_b32_e32 v4, v4, v1
	v_sub_co_u32_e32 v4, vcc, v4, v1
	s_nop 1
	v_subb_co_u32_e32 v5, vcc, v5, v1, vcc
.LBB449_236:
	s_mov_b64 s[2:3], 0
.LBB449_237:
	s_andn2_b64 vcc, exec, s[2:3]
	s_cbranch_vccnz .LBB449_239
; %bb.238:
	global_load_ushort v1, v[2:3], off
	s_waitcnt vmcnt(0)
	v_cvt_f32_f16_e32 v1, v1
	v_cvt_i32_f32_e32 v4, v1
	v_ashrrev_i32_e32 v5, 31, v4
.LBB449_239:
	s_cbranch_execnz .LBB449_259
.LBB449_240:
	s_cmp_lt_i32 s8, 2
	s_cbranch_scc1 .LBB449_244
; %bb.241:
	s_cmp_lt_i32 s8, 3
	s_cbranch_scc1 .LBB449_245
; %bb.242:
	s_cmp_gt_i32 s8, 3
	s_cbranch_scc0 .LBB449_246
; %bb.243:
	global_load_dwordx2 v[4:5], v[2:3], off
	s_mov_b64 s[2:3], 0
	s_branch .LBB449_247
.LBB449_244:
	s_mov_b64 s[2:3], -1
                                        ; implicit-def: $vgpr4_vgpr5
	s_branch .LBB449_253
.LBB449_245:
	s_mov_b64 s[2:3], -1
                                        ; implicit-def: $vgpr4_vgpr5
	s_branch .LBB449_250
.LBB449_246:
	s_mov_b64 s[2:3], -1
                                        ; implicit-def: $vgpr4_vgpr5
.LBB449_247:
	s_andn2_b64 vcc, exec, s[2:3]
	s_cbranch_vccnz .LBB449_249
; %bb.248:
	global_load_dword v4, v[2:3], off
	s_waitcnt vmcnt(0)
	v_ashrrev_i32_e32 v5, 31, v4
.LBB449_249:
	s_mov_b64 s[2:3], 0
.LBB449_250:
	s_andn2_b64 vcc, exec, s[2:3]
	s_cbranch_vccnz .LBB449_252
; %bb.251:
	global_load_ushort v1, v[2:3], off
	s_waitcnt vmcnt(0)
	v_bfe_i32 v4, v1, 0, 16
	v_ashrrev_i32_e32 v5, 31, v4
.LBB449_252:
	s_mov_b64 s[2:3], 0
.LBB449_253:
	s_andn2_b64 vcc, exec, s[2:3]
	s_cbranch_vccnz .LBB449_259
; %bb.254:
	s_cmp_gt_i32 s8, 0
	s_cbranch_scc0 .LBB449_256
; %bb.255:
	global_load_sbyte v1, v[2:3], off
	s_mov_b64 s[2:3], 0
	s_waitcnt vmcnt(0)
	v_bfe_i32 v4, v1, 0, 16
	v_ashrrev_i32_e32 v5, 31, v4
	s_branch .LBB449_257
.LBB449_256:
	s_mov_b64 s[2:3], -1
                                        ; implicit-def: $vgpr4_vgpr5
.LBB449_257:
	s_andn2_b64 vcc, exec, s[2:3]
	s_cbranch_vccnz .LBB449_259
; %bb.258:
	global_load_ubyte v1, v[2:3], off
	s_mov_b32 s2, 0
	s_waitcnt vmcnt(1)
	v_mov_b32_e32 v5, s2
	s_waitcnt vmcnt(0)
	v_and_b32_e32 v4, 0xffff, v1
.LBB449_259:
	s_branch .LBB449_26
.LBB449_260:
	s_mov_b64 s[2:3], 0
.LBB449_261:
	s_mov_b64 s[6:7], 0
                                        ; implicit-def: $vgpr12
.LBB449_262:
	s_and_b64 s[56:57], s[2:3], exec
	s_and_b64 s[58:59], s[4:5], exec
	s_orn2_b64 s[4:5], s[6:7], exec
.LBB449_263:
	s_or_b64 exec, exec, s[60:61]
	s_mov_b64 s[8:9], 0
	s_mov_b64 s[2:3], 0
                                        ; implicit-def: $vgpr2_vgpr3
                                        ; implicit-def: $vgpr0
                                        ; implicit-def: $vgpr6_vgpr7
	s_and_saveexec_b64 s[60:61], s[4:5]
	s_cbranch_execz .LBB449_271
; %bb.264:
	v_cmp_gt_i32_e32 vcc, s72, v12
	s_mov_b64 s[2:3], -1
	s_mov_b64 s[62:63], s[58:59]
	s_mov_b64 s[64:65], s[56:57]
	s_and_saveexec_b64 s[66:67], vcc
	s_cbranch_execz .LBB449_536
; %bb.265:
	s_andn2_b64 vcc, exec, s[42:43]
	s_cbranch_vccnz .LBB449_274
; %bb.266:
	s_andn2_b64 vcc, exec, s[54:55]
	s_cbranch_vccnz .LBB449_275
; %bb.267:
	s_add_i32 s65, s77, 1
	s_cmp_eq_u32 s74, 2
	s_cbranch_scc1 .LBB449_276
; %bb.268:
	s_and_b32 s64, s65, 28
	s_mov_b32 s68, 0
	v_mov_b32_e32 v0, 0
	v_mov_b32_e32 v2, 0
	s_mov_b64 s[2:3], s[34:35]
	s_mov_b64 s[62:63], s[52:53]
	s_waitcnt vmcnt(0)
	v_mov_b32_e32 v4, v12
.LBB449_269:                            ; =>This Inner Loop Header: Depth=1
	s_load_dwordx8 s[12:19], s[2:3], 0x4
	s_load_dwordx4 s[36:39], s[2:3], 0x24
	s_load_dwordx8 s[4:11], s[62:63], 0x0
	s_add_u32 s2, s2, 48
	s_addc_u32 s3, s3, 0
	s_waitcnt lgkmcnt(0)
	v_mul_hi_u32 v1, s13, v4
	v_add_u32_e32 v1, v4, v1
	v_lshrrev_b32_e32 v1, s14, v1
	v_mul_lo_u32 v3, v1, s12
	v_mul_hi_u32 v5, s16, v1
	v_sub_u32_e32 v3, v4, v3
	v_add_u32_e32 v4, v1, v5
	v_lshrrev_b32_e32 v4, s17, v4
	v_mul_lo_u32 v6, v4, s15
	v_mul_hi_u32 v7, s19, v4
	v_sub_u32_e32 v1, v1, v6
	v_add_u32_e32 v6, v4, v7
	v_mul_lo_u32 v5, v3, s5
	v_mul_lo_u32 v3, v3, s4
	;; [unrolled: 1-line block ×4, first 2 shown]
	v_lshrrev_b32_e32 v6, s36, v6
	v_add3_u32 v0, v3, v0, v1
	v_mul_hi_u32 v3, s38, v6
	v_add3_u32 v1, v5, v2, v7
	v_mul_lo_u32 v2, v6, s18
	v_add_u32_e32 v3, v6, v3
	v_sub_u32_e32 v2, v4, v2
	v_lshrrev_b32_e32 v4, s39, v3
	s_add_i32 s68, s68, 4
	v_mul_lo_u32 v3, v4, s37
	s_add_u32 s62, s62, 32
	v_sub_u32_e32 v3, v6, v3
	s_addc_u32 s63, s63, 0
	v_mul_lo_u32 v5, v2, s8
	v_mul_lo_u32 v2, v2, s9
	v_mul_lo_u32 v6, v3, s10
	v_mul_lo_u32 v3, v3, s11
	s_cmp_eq_u32 s64, s68
	v_add3_u32 v2, v2, v1, v3
	v_add3_u32 v0, v5, v0, v6
	s_cbranch_scc0 .LBB449_269
; %bb.270:
	v_mov_b32_e32 v1, v2
	s_branch .LBB449_277
.LBB449_271:
	s_or_b64 exec, exec, s[60:61]
	s_mov_b64 s[4:5], 0
	s_and_saveexec_b64 s[6:7], s[58:59]
	s_cbranch_execnz .LBB449_906
.LBB449_272:
	s_or_b64 exec, exec, s[6:7]
	s_and_saveexec_b64 s[6:7], s[64:65]
	s_xor_b64 s[6:7], exec, s[6:7]
	s_cbranch_execz .LBB449_907
.LBB449_273:
	global_load_ubyte v1, v[2:3], off
	s_mov_b32 s10, 0
	s_waitcnt vmcnt(1)
	v_mov_b32_e32 v7, s10
	s_or_b64 s[2:3], s[2:3], exec
	s_waitcnt vmcnt(0)
	v_cmp_ne_u16_e32 vcc, 0, v1
	s_nop 1
	v_cndmask_b32_e64 v6, 0, 1, vcc
	s_or_b64 exec, exec, s[6:7]
	s_and_saveexec_b64 s[6:7], s[8:9]
	s_cbranch_execz .LBB449_953
	s_branch .LBB449_908
.LBB449_274:
                                        ; implicit-def: $vgpr2
                                        ; implicit-def: $vgpr0
	s_andn2_b64 vcc, exec, s[2:3]
	s_cbranch_vccz .LBB449_281
	s_branch .LBB449_283
.LBB449_275:
	v_mov_b32_e32 v2, 0
	v_mov_b32_e32 v0, 0
	s_branch .LBB449_280
.LBB449_276:
	v_mov_b32_e32 v0, 0
	s_mov_b32 s64, 0
	v_mov_b32_e32 v1, v0
                                        ; implicit-def: $vgpr2
	s_waitcnt vmcnt(0)
	v_mov_b32_e32 v4, v12
.LBB449_277:
	s_and_b32 s6, s65, 3
	s_cmp_eq_u32 s6, 0
	s_cbranch_scc1 .LBB449_280
; %bb.278:
	s_lshl_b32 s2, s64, 3
	s_add_u32 s2, s34, s2
	s_addc_u32 s3, s35, 0
	s_add_u32 s2, s2, 0xc4
	s_addc_u32 s3, s3, 0
	s_mul_i32 s4, s64, 12
	s_add_u32 s4, s34, s4
	s_addc_u32 s5, s35, 0
.LBB449_279:                            ; =>This Inner Loop Header: Depth=1
	s_load_dwordx2 s[8:9], s[4:5], 0x4
	s_load_dword s7, s[4:5], 0xc
	s_load_dwordx2 s[10:11], s[2:3], 0x0
	v_mov_b32_e32 v2, v1
	s_add_u32 s4, s4, 12
	s_waitcnt lgkmcnt(0)
	v_mul_hi_u32 v1, s9, v4
	v_add_u32_e32 v1, v4, v1
	v_lshrrev_b32_e32 v1, s7, v1
	s_addc_u32 s5, s5, 0
	v_mul_lo_u32 v3, v1, s8
	s_add_u32 s2, s2, 8
	v_sub_u32_e32 v5, v4, v3
	s_addc_u32 s3, s3, 0
	s_add_i32 s6, s6, -1
	v_mov_b32_e32 v4, v1
	v_mad_u64_u32 v[2:3], s[8:9], v5, s11, v[2:3]
	v_mad_u64_u32 v[0:1], s[8:9], v5, s10, v[0:1]
	s_cmp_lg_u32 s6, 0
	v_mov_b32_e32 v1, v2
	s_cbranch_scc1 .LBB449_279
.LBB449_280:
	s_cbranch_execnz .LBB449_283
.LBB449_281:
	v_mul_hi_u32 v0, s25, v12
	v_add_u32_e32 v0, v12, v0
	v_lshrrev_b32_e32 v1, s26, v0
	v_mul_lo_u32 v0, v1, s24
	v_sub_u32_e32 v0, v12, v0
	v_mul_lo_u32 v2, v0, s29
	s_andn2_b64 vcc, exec, s[50:51]
	v_mul_lo_u32 v0, v0, s28
	s_cbranch_vccnz .LBB449_283
; %bb.282:
	v_mul_hi_u32 v3, s48, v1
	v_add_u32_e32 v3, v1, v3
	v_lshrrev_b32_e32 v3, s49, v3
	v_mul_lo_u32 v3, v3, s27
	v_sub_u32_e32 v3, v1, v3
	v_mad_u64_u32 v[0:1], s[2:3], v3, s30, v[0:1]
	v_mad_u64_u32 v[2:3], s[2:3], v3, s31, v[2:3]
.LBB449_283:
	v_mov_b32_e32 v3, 0
	s_and_b32 s8, 0xffff, s76
	s_cmp_lt_i32 s8, 11
	v_lshl_add_u64 v[2:3], s[22:23], 0, v[2:3]
	s_cbranch_scc1 .LBB449_290
; %bb.284:
	s_cmp_gt_i32 s8, 25
	s_cbranch_scc0 .LBB449_299
; %bb.285:
	s_cmp_gt_i32 s8, 28
	s_cbranch_scc0 .LBB449_301
	;; [unrolled: 3-line block ×4, first 2 shown]
; %bb.288:
	s_cmp_eq_u32 s8, 46
	s_mov_b64 s[6:7], 0
	s_cbranch_scc0 .LBB449_311
; %bb.289:
	global_load_dword v1, v[2:3], off
	s_mov_b32 s2, 0x2f800000
	s_mov_b32 s3, 0xcf800000
	s_mov_b64 s[4:5], 0
	s_waitcnt vmcnt(0)
	v_lshlrev_b32_e32 v1, 16, v1
	v_trunc_f32_e32 v1, v1
	v_mul_f32_e64 v4, |v1|, s2
	v_floor_f32_e32 v4, v4
	v_fma_f32 v5, v4, s3, |v1|
	v_cvt_u32_f32_e32 v4, v4
	v_cvt_u32_f32_e32 v5, v5
	v_ashrrev_i32_e32 v1, 31, v1
	s_mov_b64 s[2:3], -1
	v_xor_b32_e32 v6, v4, v1
	v_xor_b32_e32 v4, v5, v1
	v_sub_co_u32_e32 v4, vcc, v4, v1
	s_nop 1
	v_subb_co_u32_e32 v5, vcc, v6, v1, vcc
	s_branch .LBB449_312
.LBB449_290:
	s_mov_b64 s[2:3], 0
                                        ; implicit-def: $vgpr4_vgpr5
	s_mov_b64 s[4:5], s[58:59]
	s_cbranch_execnz .LBB449_485
.LBB449_291:
	s_andn2_b64 vcc, exec, s[2:3]
	s_cbranch_vccnz .LBB449_533
.LBB449_292:
	v_mov_b32_e32 v1, s47
	s_waitcnt vmcnt(0)
	v_cmp_gt_i64_e32 vcc, s[46:47], v[4:5]
	s_and_b32 s12, s75, 0xff
	s_cmp_lt_i32 s12, 11
	v_cndmask_b32_e32 v3, v1, v5, vcc
	v_mov_b32_e32 v1, s46
	v_cndmask_b32_e32 v2, v1, v4, vcc
	v_mov_b32_e32 v1, 0
	v_lshl_add_u64 v[0:1], s[20:21], 0, v[0:1]
	s_cbranch_scc1 .LBB449_300
; %bb.293:
	s_and_b32 s13, 0xffff, s12
	s_cmp_gt_i32 s13, 25
	s_cbranch_scc0 .LBB449_302
; %bb.294:
	s_cmp_gt_i32 s13, 28
	s_cbranch_scc0 .LBB449_304
; %bb.295:
	;; [unrolled: 3-line block ×4, first 2 shown]
	s_mov_b64 s[8:9], 0
	s_mov_b64 s[2:3], -1
	s_cmp_eq_u32 s13, 46
	s_mov_b64 s[6:7], 0
	s_cbranch_scc0 .LBB449_316
; %bb.298:
	v_xor_b32_e32 v5, v2, v3
	v_ffbh_i32_e32 v4, v3
	v_ashrrev_i32_e32 v5, 31, v5
	v_add_u32_e32 v4, -1, v4
	v_add_u32_e32 v5, 32, v5
	v_min_u32_e32 v6, v4, v5
	v_lshlrev_b64 v[4:5], v6, v[2:3]
	v_min_u32_e32 v4, 1, v4
	v_or_b32_e32 v4, v5, v4
	v_cvt_f32_i32_e32 v4, v4
	v_sub_u32_e32 v5, 32, v6
	s_movk_i32 s2, 0x7fff
	s_mov_b64 s[6:7], -1
	v_ldexp_f32 v4, v4, v5
	v_bfe_u32 v5, v4, 16, 1
	v_add3_u32 v4, v4, v5, s2
	v_lshrrev_b32_e32 v4, 16, v4
	global_store_dword v[0:1], v4, off
	s_mov_b64 s[2:3], 0
	s_branch .LBB449_316
.LBB449_299:
	s_mov_b64 s[6:7], -1
	s_mov_b64 s[2:3], 0
	s_mov_b64 s[4:5], s[58:59]
                                        ; implicit-def: $vgpr4_vgpr5
	s_branch .LBB449_451
.LBB449_300:
	s_mov_b64 s[8:9], -1
	s_mov_b64 s[6:7], 0
	s_mov_b64 s[2:3], s[56:57]
	s_branch .LBB449_385
.LBB449_301:
	s_mov_b64 s[6:7], -1
	s_mov_b64 s[2:3], 0
	s_mov_b64 s[4:5], s[58:59]
                                        ; implicit-def: $vgpr4_vgpr5
	s_branch .LBB449_434
.LBB449_302:
	s_mov_b64 s[8:9], -1
	s_mov_b64 s[6:7], 0
	s_mov_b64 s[2:3], s[56:57]
	s_branch .LBB449_343
.LBB449_303:
	s_mov_b64 s[6:7], -1
	s_mov_b64 s[2:3], 0
	s_mov_b64 s[4:5], s[58:59]
                                        ; implicit-def: $vgpr4_vgpr5
	s_branch .LBB449_429
.LBB449_304:
	s_mov_b64 s[8:9], -1
	s_mov_b64 s[6:7], 0
	s_mov_b64 s[2:3], s[56:57]
	s_branch .LBB449_326
.LBB449_305:
	s_andn2_saveexec_b64 s[10:11], s[10:11]
	s_cbranch_execz .LBB449_69
.LBB449_306:
	s_mov_b32 s14, 0x46000000
	v_add_f32_e64 v5, |v4|, s14
	v_and_b32_e32 v5, 0xff, v5
	v_cmp_ne_u32_e32 vcc, 0, v5
	s_andn2_b64 s[8:9], s[8:9], exec
	s_and_b64 s[14:15], vcc, exec
	s_or_b64 s[8:9], s[8:9], s[14:15]
	s_or_b64 exec, exec, s[10:11]
	v_mov_b32_e32 v6, 0
	s_and_saveexec_b64 s[10:11], s[8:9]
	s_cbranch_execnz .LBB449_70
	s_branch .LBB449_71
.LBB449_307:
	s_mov_b64 s[6:7], -1
	s_mov_b64 s[2:3], 0
	s_mov_b64 s[4:5], s[58:59]
                                        ; implicit-def: $vgpr4_vgpr5
	s_branch .LBB449_312
.LBB449_308:
	s_mov_b64 s[8:9], -1
	s_mov_b64 s[6:7], 0
	s_mov_b64 s[2:3], s[56:57]
	s_branch .LBB449_322
.LBB449_309:
	s_andn2_saveexec_b64 s[10:11], s[10:11]
	s_cbranch_execz .LBB449_82
.LBB449_310:
	s_mov_b32 s14, 0x42800000
	v_add_f32_e64 v5, |v4|, s14
	v_and_b32_e32 v5, 0xff, v5
	v_cmp_ne_u32_e32 vcc, 0, v5
	s_andn2_b64 s[8:9], s[8:9], exec
	s_and_b64 s[14:15], vcc, exec
	s_or_b64 s[8:9], s[8:9], s[14:15]
	s_or_b64 exec, exec, s[10:11]
	v_mov_b32_e32 v6, 0
	s_and_saveexec_b64 s[10:11], s[8:9]
	s_cbranch_execnz .LBB449_83
	s_branch .LBB449_84
.LBB449_311:
	s_mov_b64 s[4:5], -1
                                        ; implicit-def: $vgpr4_vgpr5
	s_mov_b64 s[2:3], 0
.LBB449_312:
	s_and_b64 vcc, exec, s[6:7]
	s_cbranch_vccz .LBB449_428
; %bb.313:
	s_cmp_eq_u32 s8, 44
	s_cbranch_scc0 .LBB449_427
; %bb.314:
	global_load_ubyte v1, v[2:3], off
	s_mov_b32 s2, 0x2f800000
	s_mov_b32 s3, 0xcf800000
	s_mov_b64 s[4:5], 0
	s_waitcnt vmcnt(0)
	v_lshlrev_b32_e32 v4, 23, v1
	v_trunc_f32_e32 v4, v4
	v_mul_f32_e64 v5, |v4|, s2
	v_floor_f32_e32 v5, v5
	v_fma_f32 v6, v5, s3, |v4|
	v_cvt_u32_f32_e32 v6, v6
	v_cvt_u32_f32_e32 v5, v5
	v_ashrrev_i32_e32 v4, 31, v4
	s_mov_b64 s[2:3], -1
	v_xor_b32_e32 v6, v6, v4
	v_xor_b32_e32 v5, v5, v4
	v_sub_co_u32_e32 v6, vcc, v6, v4
	s_nop 1
	v_subb_co_u32_e32 v4, vcc, v5, v4, vcc
	v_cmp_ne_u32_e32 vcc, 0, v1
	s_nop 1
	v_cndmask_b32_e32 v5, 0, v4, vcc
	v_cndmask_b32_e32 v4, 0, v6, vcc
	s_branch .LBB449_428
.LBB449_315:
	s_mov_b64 s[8:9], -1
	s_mov_b64 s[6:7], 0
	s_mov_b64 s[2:3], s[56:57]
.LBB449_316:
	s_and_b64 vcc, exec, s[8:9]
	s_cbranch_vccz .LBB449_321
; %bb.317:
	s_cmp_eq_u32 s13, 44
	s_mov_b64 s[2:3], -1
	s_cbranch_scc0 .LBB449_321
; %bb.318:
	v_xor_b32_e32 v5, v2, v3
	v_ffbh_i32_e32 v4, v3
	v_ashrrev_i32_e32 v5, 31, v5
	v_add_u32_e32 v4, -1, v4
	v_add_u32_e32 v5, 32, v5
	v_min_u32_e32 v6, v4, v5
	v_lshlrev_b64 v[4:5], v6, v[2:3]
	v_min_u32_e32 v4, 1, v4
	v_or_b32_e32 v4, v5, v4
	v_cvt_f32_i32_e32 v4, v4
	v_sub_u32_e32 v5, 32, v6
	s_movk_i32 s2, 0xff
	v_mov_b32_e32 v6, 0xff
	v_ldexp_f32 v4, v4, v5
	v_bfe_u32 v5, v4, 23, 8
	v_cmp_ne_u32_e32 vcc, s2, v5
	s_and_saveexec_b64 s[6:7], vcc
; %bb.319:
	s_mov_b32 s2, 0x3fffff
	v_lshrrev_b32_e32 v6, 23, v4
	v_and_b32_e32 v7, 0x400000, v4
	v_and_or_b32 v4, v4, s2, v5
	v_cmp_ne_u32_e32 vcc, 0, v7
	v_cmp_ne_u32_e64 s[2:3], 0, v4
	s_and_b64 s[2:3], vcc, s[2:3]
	s_nop 0
	v_cndmask_b32_e64 v4, 0, 1, s[2:3]
	v_add_u32_e32 v6, v6, v4
; %bb.320:
	s_or_b64 exec, exec, s[6:7]
	s_mov_b64 s[6:7], -1
	s_mov_b64 s[2:3], 0
	global_store_byte v[0:1], v6, off
.LBB449_321:
	s_mov_b64 s[8:9], 0
.LBB449_322:
	s_and_b64 vcc, exec, s[8:9]
	s_cbranch_vccz .LBB449_325
; %bb.323:
	s_cmp_eq_u32 s13, 29
	s_mov_b64 s[2:3], -1
	s_cbranch_scc0 .LBB449_325
; %bb.324:
	global_store_dwordx2 v[0:1], v[2:3], off
	s_mov_b64 s[6:7], -1
	s_mov_b64 s[2:3], 0
.LBB449_325:
	s_mov_b64 s[8:9], 0
.LBB449_326:
	s_and_b64 vcc, exec, s[8:9]
	s_cbranch_vccz .LBB449_342
; %bb.327:
	s_cmp_lt_i32 s13, 27
	s_mov_b64 s[6:7], -1
	s_cbranch_scc1 .LBB449_333
; %bb.328:
	s_cmp_gt_i32 s13, 27
	s_cbranch_scc0 .LBB449_330
; %bb.329:
	s_mov_b64 s[6:7], 0
	global_store_dword v[0:1], v2, off
.LBB449_330:
	s_andn2_b64 vcc, exec, s[6:7]
	s_cbranch_vccnz .LBB449_332
; %bb.331:
	global_store_short v[0:1], v2, off
.LBB449_332:
	s_mov_b64 s[6:7], 0
.LBB449_333:
	s_andn2_b64 vcc, exec, s[6:7]
	s_cbranch_vccnz .LBB449_341
; %bb.334:
	v_xor_b32_e32 v5, v2, v3
	v_ffbh_i32_e32 v4, v3
	v_ashrrev_i32_e32 v5, 31, v5
	v_add_u32_e32 v4, -1, v4
	v_add_u32_e32 v5, 32, v5
	v_min_u32_e32 v6, v4, v5
	v_lshlrev_b64 v[4:5], v6, v[2:3]
	v_min_u32_e32 v4, 1, v4
	v_or_b32_e32 v4, v5, v4
	v_cvt_f32_i32_e32 v4, v4
	v_sub_u32_e32 v5, 32, v6
	s_mov_b32 s6, 0x43800000
	v_mov_b32_e32 v6, 0x80
	v_ldexp_f32 v4, v4, v5
	v_and_b32_e32 v5, 0x7fffffff, v4
	v_cmp_gt_u32_e32 vcc, s6, v5
	s_and_saveexec_b64 s[6:7], vcc
	s_cbranch_execz .LBB449_340
; %bb.335:
	s_mov_b32 s8, 0x3bffffff
	v_cmp_lt_u32_e32 vcc, s8, v5
	s_mov_b64 s[8:9], 0
                                        ; implicit-def: $vgpr5
	s_and_saveexec_b64 s[10:11], vcc
	s_xor_b64 s[10:11], exec, s[10:11]
	s_cbranch_execz .LBB449_565
; %bb.336:
	v_bfe_u32 v5, v4, 20, 1
	s_mov_b32 s14, 0x487ffff
	v_add3_u32 v5, v4, v5, s14
	s_mov_b64 s[8:9], exec
	v_lshrrev_b32_e32 v5, 20, v5
	s_andn2_saveexec_b64 s[10:11], s[10:11]
	s_cbranch_execnz .LBB449_566
.LBB449_337:
	s_or_b64 exec, exec, s[10:11]
	v_mov_b32_e32 v6, 0
	s_and_saveexec_b64 s[10:11], s[8:9]
.LBB449_338:
	v_lshrrev_b32_e32 v4, 24, v4
	s_movk_i32 s8, 0x80
	v_and_or_b32 v6, v4, s8, v5
.LBB449_339:
	s_or_b64 exec, exec, s[10:11]
.LBB449_340:
	s_or_b64 exec, exec, s[6:7]
	global_store_byte v[0:1], v6, off
.LBB449_341:
	s_mov_b64 s[6:7], -1
.LBB449_342:
	s_mov_b64 s[8:9], 0
.LBB449_343:
	s_and_b64 vcc, exec, s[8:9]
	s_cbranch_vccz .LBB449_384
; %bb.344:
	s_cmp_gt_i32 s13, 22
	s_mov_b64 s[8:9], -1
	s_cbranch_scc0 .LBB449_376
; %bb.345:
	s_cmp_lt_i32 s13, 24
	s_mov_b64 s[6:7], -1
	s_cbranch_scc1 .LBB449_365
; %bb.346:
	s_cmp_gt_i32 s13, 24
	s_cbranch_scc0 .LBB449_354
; %bb.347:
	v_xor_b32_e32 v5, v2, v3
	v_ffbh_i32_e32 v4, v3
	v_ashrrev_i32_e32 v5, 31, v5
	v_add_u32_e32 v4, -1, v4
	v_add_u32_e32 v5, 32, v5
	v_min_u32_e32 v6, v4, v5
	v_lshlrev_b64 v[4:5], v6, v[2:3]
	v_min_u32_e32 v4, 1, v4
	v_or_b32_e32 v4, v5, v4
	v_cvt_f32_i32_e32 v4, v4
	v_sub_u32_e32 v5, 32, v6
	s_mov_b32 s6, 0x47800000
	v_mov_b32_e32 v6, 0x80
	v_ldexp_f32 v4, v4, v5
	v_and_b32_e32 v5, 0x7fffffff, v4
	v_cmp_gt_u32_e32 vcc, s6, v5
	s_and_saveexec_b64 s[6:7], vcc
	s_cbranch_execz .LBB449_353
; %bb.348:
	s_mov_b32 s8, 0x37ffffff
	v_cmp_lt_u32_e32 vcc, s8, v5
	s_mov_b64 s[8:9], 0
                                        ; implicit-def: $vgpr5
	s_and_saveexec_b64 s[10:11], vcc
	s_xor_b64 s[10:11], exec, s[10:11]
	s_cbranch_execz .LBB449_568
; %bb.349:
	v_bfe_u32 v5, v4, 21, 1
	s_mov_b32 s14, 0x88fffff
	v_add3_u32 v5, v4, v5, s14
	s_mov_b64 s[8:9], exec
	v_lshrrev_b32_e32 v5, 21, v5
	s_andn2_saveexec_b64 s[10:11], s[10:11]
	s_cbranch_execnz .LBB449_569
.LBB449_350:
	s_or_b64 exec, exec, s[10:11]
	v_mov_b32_e32 v6, 0
	s_and_saveexec_b64 s[10:11], s[8:9]
.LBB449_351:
	v_lshrrev_b32_e32 v4, 24, v4
	s_movk_i32 s8, 0x80
	v_and_or_b32 v6, v4, s8, v5
.LBB449_352:
	s_or_b64 exec, exec, s[10:11]
.LBB449_353:
	s_or_b64 exec, exec, s[6:7]
	s_mov_b64 s[6:7], 0
	global_store_byte v[0:1], v6, off
.LBB449_354:
	s_and_b64 vcc, exec, s[6:7]
	s_cbranch_vccz .LBB449_364
; %bb.355:
	v_xor_b32_e32 v5, v2, v3
	v_ffbh_i32_e32 v4, v3
	v_ashrrev_i32_e32 v5, 31, v5
	v_add_u32_e32 v4, -1, v4
	v_add_u32_e32 v5, 32, v5
	v_min_u32_e32 v6, v4, v5
	v_lshlrev_b64 v[4:5], v6, v[2:3]
	v_min_u32_e32 v4, 1, v4
	v_or_b32_e32 v4, v5, v4
	v_cvt_f32_i32_e32 v4, v4
	v_sub_u32_e32 v5, 32, v6
	s_mov_b32 s6, 0x43f00000
	v_ldexp_f32 v4, v4, v5
	v_and_b32_e32 v6, 0x7fffffff, v4
	v_cmp_gt_u32_e32 vcc, s6, v6
                                        ; implicit-def: $vgpr5
	s_and_saveexec_b64 s[6:7], vcc
	s_xor_b64 s[6:7], exec, s[6:7]
	s_cbranch_execz .LBB449_361
; %bb.356:
	s_mov_b32 s8, 0x3c7fffff
	v_cmp_lt_u32_e32 vcc, s8, v6
                                        ; implicit-def: $vgpr5
	s_and_saveexec_b64 s[8:9], vcc
	s_xor_b64 s[8:9], exec, s[8:9]
; %bb.357:
	v_bfe_u32 v5, v4, 20, 1
	s_mov_b32 s10, 0x407ffff
	v_add3_u32 v5, v4, v5, s10
	v_lshrrev_b32_e32 v6, 20, v5
	v_and_b32_e32 v5, 0xff00000, v5
	s_mov_b32 s10, 0x7f00000
	v_mov_b32_e32 v7, 0x7e
	v_cmp_ne_u32_e32 vcc, s10, v5
	s_nop 1
	v_cndmask_b32_e32 v5, v7, v6, vcc
; %bb.358:
	s_andn2_saveexec_b64 s[8:9], s[8:9]
; %bb.359:
	s_mov_b32 s10, 0x46800000
	v_add_f32_e64 v5, |v4|, s10
; %bb.360:
	s_or_b64 exec, exec, s[8:9]
                                        ; implicit-def: $vgpr6
.LBB449_361:
	s_andn2_saveexec_b64 s[6:7], s[6:7]
; %bb.362:
	s_mov_b32 s8, 0x7f800000
	v_mov_b32_e32 v5, 0x7e
	v_mov_b32_e32 v7, 0x7f
	v_cmp_lt_u32_e32 vcc, s8, v6
	s_nop 1
	v_cndmask_b32_e32 v5, v5, v7, vcc
; %bb.363:
	s_or_b64 exec, exec, s[6:7]
	v_lshrrev_b32_e32 v4, 24, v4
	s_movk_i32 s6, 0x80
	v_and_or_b32 v4, v4, s6, v5
	global_store_byte v[0:1], v4, off
.LBB449_364:
	s_mov_b64 s[6:7], 0
.LBB449_365:
	s_andn2_b64 vcc, exec, s[6:7]
	s_cbranch_vccnz .LBB449_375
; %bb.366:
	v_xor_b32_e32 v5, v2, v3
	v_ffbh_i32_e32 v4, v3
	v_ashrrev_i32_e32 v5, 31, v5
	v_add_u32_e32 v4, -1, v4
	v_add_u32_e32 v5, 32, v5
	v_min_u32_e32 v6, v4, v5
	v_lshlrev_b64 v[4:5], v6, v[2:3]
	v_min_u32_e32 v4, 1, v4
	v_or_b32_e32 v4, v5, v4
	v_cvt_f32_i32_e32 v4, v4
	v_sub_u32_e32 v5, 32, v6
	s_mov_b32 s6, 0x47800000
	v_ldexp_f32 v4, v4, v5
	v_and_b32_e32 v6, 0x7fffffff, v4
	v_cmp_gt_u32_e32 vcc, s6, v6
                                        ; implicit-def: $vgpr5
	s_and_saveexec_b64 s[6:7], vcc
	s_xor_b64 s[6:7], exec, s[6:7]
	s_cbranch_execz .LBB449_372
; %bb.367:
	s_mov_b32 s8, 0x387fffff
	v_cmp_lt_u32_e32 vcc, s8, v6
                                        ; implicit-def: $vgpr5
	s_and_saveexec_b64 s[8:9], vcc
	s_xor_b64 s[8:9], exec, s[8:9]
; %bb.368:
	v_bfe_u32 v5, v4, 21, 1
	s_mov_b32 s10, 0x80fffff
	v_add3_u32 v5, v4, v5, s10
	v_lshrrev_b32_e32 v5, 21, v5
; %bb.369:
	s_andn2_saveexec_b64 s[8:9], s[8:9]
; %bb.370:
	s_mov_b32 s10, 0x43000000
	v_add_f32_e64 v5, |v4|, s10
; %bb.371:
	s_or_b64 exec, exec, s[8:9]
                                        ; implicit-def: $vgpr6
.LBB449_372:
	s_andn2_saveexec_b64 s[6:7], s[6:7]
; %bb.373:
	s_mov_b32 s8, 0x7f800000
	v_mov_b32_e32 v5, 0x7c
	v_mov_b32_e32 v7, 0x7f
	v_cmp_lt_u32_e32 vcc, s8, v6
	s_nop 1
	v_cndmask_b32_e32 v5, v5, v7, vcc
; %bb.374:
	s_or_b64 exec, exec, s[6:7]
	v_lshrrev_b32_e32 v4, 24, v4
	s_movk_i32 s6, 0x80
	v_and_or_b32 v4, v4, s6, v5
	global_store_byte v[0:1], v4, off
.LBB449_375:
	s_mov_b64 s[8:9], 0
	s_mov_b64 s[6:7], -1
.LBB449_376:
	s_andn2_b64 vcc, exec, s[8:9]
	s_cbranch_vccnz .LBB449_384
; %bb.377:
	s_cmp_gt_i32 s13, 14
	s_mov_b64 s[8:9], -1
	s_cbranch_scc0 .LBB449_381
; %bb.378:
	s_cmp_eq_u32 s13, 15
	s_mov_b64 s[2:3], -1
	s_cbranch_scc0 .LBB449_380
; %bb.379:
	v_xor_b32_e32 v5, v2, v3
	v_ffbh_i32_e32 v4, v3
	v_ashrrev_i32_e32 v5, 31, v5
	v_add_u32_e32 v4, -1, v4
	v_add_u32_e32 v5, 32, v5
	v_min_u32_e32 v6, v4, v5
	v_lshlrev_b64 v[4:5], v6, v[2:3]
	v_min_u32_e32 v4, 1, v4
	v_or_b32_e32 v4, v5, v4
	v_cvt_f32_i32_e32 v4, v4
	v_sub_u32_e32 v5, 32, v6
	s_movk_i32 s2, 0x7fff
	s_mov_b64 s[6:7], -1
	v_ldexp_f32 v4, v4, v5
	v_bfe_u32 v5, v4, 16, 1
	v_add3_u32 v4, v4, v5, s2
	global_store_short_d16_hi v[0:1], v4, off
	s_mov_b64 s[2:3], 0
.LBB449_380:
	s_mov_b64 s[8:9], 0
.LBB449_381:
	s_and_b64 vcc, exec, s[8:9]
	s_cbranch_vccz .LBB449_384
; %bb.382:
	s_cmp_eq_u32 s13, 11
	s_mov_b64 s[2:3], -1
	s_cbranch_scc0 .LBB449_384
; %bb.383:
	v_cmp_ne_u64_e32 vcc, 0, v[2:3]
	s_mov_b64 s[2:3], 0
	s_mov_b64 s[6:7], -1
	v_cndmask_b32_e64 v4, 0, 1, vcc
	global_store_byte v[0:1], v4, off
.LBB449_384:
	s_mov_b64 s[8:9], 0
.LBB449_385:
	s_and_b64 vcc, exec, s[8:9]
	s_cbranch_vccz .LBB449_424
; %bb.386:
	s_and_b32 s8, 0xffff, s12
	s_cmp_lt_i32 s8, 5
	s_mov_b64 s[6:7], -1
	s_cbranch_scc1 .LBB449_407
; %bb.387:
	s_cmp_lt_i32 s8, 8
	s_cbranch_scc1 .LBB449_397
; %bb.388:
	s_cmp_lt_i32 s8, 9
	s_cbranch_scc1 .LBB449_394
; %bb.389:
	s_cmp_gt_i32 s8, 9
	s_cbranch_scc0 .LBB449_391
; %bb.390:
	v_cvt_f64_i32_e32 v[4:5], v3
	v_ldexp_f64 v[4:5], v[4:5], 32
	v_cvt_f64_u32_e32 v[6:7], v2
	v_add_f64 v[4:5], v[4:5], v[6:7]
	v_mov_b32_e32 v6, 0
	v_mov_b32_e32 v7, v6
	s_mov_b64 s[6:7], 0
	global_store_dwordx4 v[0:1], v[4:7], off
.LBB449_391:
	s_andn2_b64 vcc, exec, s[6:7]
	s_cbranch_vccnz .LBB449_393
; %bb.392:
	v_xor_b32_e32 v5, v2, v3
	v_ffbh_i32_e32 v4, v3
	v_ashrrev_i32_e32 v5, 31, v5
	v_add_u32_e32 v4, -1, v4
	v_add_u32_e32 v5, 32, v5
	v_min_u32_e32 v6, v4, v5
	v_lshlrev_b64 v[4:5], v6, v[2:3]
	v_min_u32_e32 v4, 1, v4
	v_or_b32_e32 v4, v5, v4
	v_cvt_f32_i32_e32 v4, v4
	v_sub_u32_e32 v5, 32, v6
	v_ldexp_f32 v4, v4, v5
	v_mov_b32_e32 v5, 0
	global_store_dwordx2 v[0:1], v[4:5], off
.LBB449_393:
	s_mov_b64 s[6:7], 0
.LBB449_394:
	s_andn2_b64 vcc, exec, s[6:7]
	s_cbranch_vccnz .LBB449_396
; %bb.395:
	v_xor_b32_e32 v5, v2, v3
	v_ffbh_i32_e32 v4, v3
	v_ashrrev_i32_e32 v5, 31, v5
	v_add_u32_e32 v4, -1, v4
	v_add_u32_e32 v5, 32, v5
	v_min_u32_e32 v6, v4, v5
	v_lshlrev_b64 v[4:5], v6, v[2:3]
	v_min_u32_e32 v4, 1, v4
	v_or_b32_e32 v4, v5, v4
	v_cvt_f32_i32_e32 v4, v4
	v_sub_u32_e32 v5, 32, v6
	v_ldexp_f32 v4, v4, v5
	v_cvt_f16_f32_e32 v4, v4
	global_store_dword v[0:1], v4, off
.LBB449_396:
	s_mov_b64 s[6:7], 0
.LBB449_397:
	s_andn2_b64 vcc, exec, s[6:7]
	s_cbranch_vccnz .LBB449_406
; %bb.398:
	s_cmp_lt_i32 s8, 6
	s_mov_b64 s[6:7], -1
	s_cbranch_scc1 .LBB449_404
; %bb.399:
	s_cmp_gt_i32 s8, 6
	s_cbranch_scc0 .LBB449_401
; %bb.400:
	v_cvt_f64_i32_e32 v[4:5], v3
	v_ldexp_f64 v[4:5], v[4:5], 32
	v_cvt_f64_u32_e32 v[6:7], v2
	v_add_f64 v[4:5], v[4:5], v[6:7]
	s_mov_b64 s[6:7], 0
	global_store_dwordx2 v[0:1], v[4:5], off
.LBB449_401:
	s_andn2_b64 vcc, exec, s[6:7]
	s_cbranch_vccnz .LBB449_403
; %bb.402:
	v_xor_b32_e32 v5, v2, v3
	v_ffbh_i32_e32 v4, v3
	v_ashrrev_i32_e32 v5, 31, v5
	v_add_u32_e32 v4, -1, v4
	v_add_u32_e32 v5, 32, v5
	v_min_u32_e32 v6, v4, v5
	v_lshlrev_b64 v[4:5], v6, v[2:3]
	v_min_u32_e32 v4, 1, v4
	v_or_b32_e32 v4, v5, v4
	v_cvt_f32_i32_e32 v4, v4
	v_sub_u32_e32 v5, 32, v6
	v_ldexp_f32 v4, v4, v5
	global_store_dword v[0:1], v4, off
.LBB449_403:
	s_mov_b64 s[6:7], 0
.LBB449_404:
	s_andn2_b64 vcc, exec, s[6:7]
	s_cbranch_vccnz .LBB449_406
; %bb.405:
	v_xor_b32_e32 v5, v2, v3
	v_ffbh_i32_e32 v4, v3
	v_ashrrev_i32_e32 v5, 31, v5
	v_add_u32_e32 v4, -1, v4
	v_add_u32_e32 v5, 32, v5
	v_min_u32_e32 v6, v4, v5
	v_lshlrev_b64 v[4:5], v6, v[2:3]
	v_min_u32_e32 v4, 1, v4
	v_or_b32_e32 v4, v5, v4
	v_cvt_f32_i32_e32 v4, v4
	v_sub_u32_e32 v5, 32, v6
	v_ldexp_f32 v4, v4, v5
	v_cvt_f16_f32_e32 v4, v4
	global_store_short v[0:1], v4, off
.LBB449_406:
	s_mov_b64 s[6:7], 0
.LBB449_407:
	s_andn2_b64 vcc, exec, s[6:7]
	s_cbranch_vccnz .LBB449_423
; %bb.408:
	s_cmp_lt_i32 s8, 2
	s_mov_b64 s[6:7], -1
	s_cbranch_scc1 .LBB449_418
; %bb.409:
	s_cmp_lt_i32 s8, 3
	s_cbranch_scc1 .LBB449_415
; %bb.410:
	s_cmp_gt_i32 s8, 3
	s_cbranch_scc0 .LBB449_412
; %bb.411:
	s_mov_b64 s[6:7], 0
	global_store_dwordx2 v[0:1], v[2:3], off
.LBB449_412:
	s_andn2_b64 vcc, exec, s[6:7]
	s_cbranch_vccnz .LBB449_414
; %bb.413:
	global_store_dword v[0:1], v2, off
.LBB449_414:
	s_mov_b64 s[6:7], 0
.LBB449_415:
	s_andn2_b64 vcc, exec, s[6:7]
	s_cbranch_vccnz .LBB449_417
; %bb.416:
	global_store_short v[0:1], v2, off
.LBB449_417:
	s_mov_b64 s[6:7], 0
.LBB449_418:
	s_andn2_b64 vcc, exec, s[6:7]
	s_cbranch_vccnz .LBB449_423
; %bb.419:
	s_cmp_gt_i32 s8, 0
	s_mov_b64 s[6:7], -1
	s_cbranch_scc0 .LBB449_421
; %bb.420:
	s_mov_b64 s[6:7], 0
	global_store_byte v[0:1], v2, off
.LBB449_421:
	s_andn2_b64 vcc, exec, s[6:7]
	s_cbranch_vccnz .LBB449_423
; %bb.422:
	global_store_byte v[0:1], v2, off
.LBB449_423:
	s_mov_b64 s[6:7], -1
.LBB449_424:
	s_andn2_b64 vcc, exec, s[6:7]
	s_cbranch_vccnz .LBB449_426
; %bb.425:
	v_add_u32_e32 v12, 0x80, v12
	s_mov_b64 s[6:7], -1
	s_branch .LBB449_535
.LBB449_426:
	s_mov_b64 s[6:7], 0
	s_branch .LBB449_534
.LBB449_427:
	s_mov_b64 s[4:5], -1
                                        ; implicit-def: $vgpr4_vgpr5
.LBB449_428:
	s_mov_b64 s[6:7], 0
.LBB449_429:
	s_and_b64 vcc, exec, s[6:7]
	s_cbranch_vccz .LBB449_433
; %bb.430:
	s_cmp_eq_u32 s8, 29
	s_cbranch_scc0 .LBB449_432
; %bb.431:
	global_load_dwordx2 v[4:5], v[2:3], off
	s_mov_b64 s[2:3], -1
	s_mov_b64 s[4:5], 0
	s_branch .LBB449_433
.LBB449_432:
	s_mov_b64 s[4:5], -1
                                        ; implicit-def: $vgpr4_vgpr5
.LBB449_433:
	s_mov_b64 s[6:7], 0
.LBB449_434:
	s_and_b64 vcc, exec, s[6:7]
	s_cbranch_vccz .LBB449_450
; %bb.435:
	s_cmp_lt_i32 s8, 27
	s_cbranch_scc1 .LBB449_438
; %bb.436:
	s_cmp_gt_i32 s8, 27
	s_cbranch_scc0 .LBB449_439
; %bb.437:
	global_load_dword v4, v[2:3], off
	s_waitcnt vmcnt(1)
	v_mov_b32_e32 v5, 0
	s_mov_b64 s[2:3], 0
	s_branch .LBB449_440
.LBB449_438:
	s_mov_b64 s[2:3], -1
                                        ; implicit-def: $vgpr4_vgpr5
	s_branch .LBB449_443
.LBB449_439:
	s_mov_b64 s[2:3], -1
                                        ; implicit-def: $vgpr4_vgpr5
.LBB449_440:
	s_andn2_b64 vcc, exec, s[2:3]
	s_cbranch_vccnz .LBB449_442
; %bb.441:
	global_load_ushort v1, v[2:3], off
	s_mov_b32 s2, 0
	s_waitcnt vmcnt(1)
	v_mov_b32_e32 v5, s2
	s_waitcnt vmcnt(0)
	v_and_b32_e32 v4, 0xffff, v1
.LBB449_442:
	s_mov_b64 s[2:3], 0
.LBB449_443:
	s_andn2_b64 vcc, exec, s[2:3]
	s_cbranch_vccnz .LBB449_449
; %bb.444:
	global_load_ubyte v1, v[2:3], off
	s_movk_i32 s2, 0x7f
	s_mov_b64 s[6:7], 0
	s_waitcnt vmcnt(0)
	v_cmp_lt_i16_e32 vcc, s2, v1
	s_and_saveexec_b64 s[2:3], vcc
	s_xor_b64 s[2:3], exec, s[2:3]
	s_cbranch_execz .LBB449_461
; %bb.445:
	s_movk_i32 s6, 0x80
	v_cmp_ne_u16_e32 vcc, s6, v1
	s_and_b64 s[6:7], vcc, exec
	s_andn2_saveexec_b64 s[2:3], s[2:3]
	s_cbranch_execnz .LBB449_462
.LBB449_446:
	s_or_b64 exec, exec, s[2:3]
	v_mov_b64_e32 v[4:5], 0
	s_and_saveexec_b64 s[2:3], s[6:7]
	s_cbranch_execz .LBB449_448
.LBB449_447:
	v_lshlrev_b32_e32 v4, 24, v1
	v_and_b32_e32 v1, 0xffff, v1
	v_and_b32_e32 v5, 7, v1
	v_ffbh_u32_e32 v7, v5
	v_min_u32_e32 v7, 32, v7
	v_subrev_u32_e32 v8, 28, v7
	v_bfe_u32 v6, v1, 3, 4
	v_lshlrev_b32_e32 v1, v8, v1
	v_sub_u32_e32 v7, 29, v7
	v_and_b32_e32 v1, 7, v1
	v_cmp_eq_u32_e32 vcc, 0, v6
	v_and_b32_e32 v4, 0x80000000, v4
	s_mov_b32 s6, 0x2f800000
	v_cndmask_b32_e32 v6, v6, v7, vcc
	v_cndmask_b32_e32 v1, v5, v1, vcc
	v_mov_b32_e32 v5, 0x3b800000
	v_lshlrev_b32_e32 v1, 20, v1
	v_lshl_add_u32 v5, v6, 23, v5
	v_or3_b32 v1, v4, v5, v1
	v_trunc_f32_e32 v1, v1
	v_mul_f32_e64 v4, |v1|, s6
	v_floor_f32_e32 v4, v4
	s_mov_b32 s6, 0xcf800000
	v_fma_f32 v5, v4, s6, |v1|
	v_cvt_u32_f32_e32 v4, v4
	v_cvt_u32_f32_e32 v5, v5
	v_ashrrev_i32_e32 v1, 31, v1
	v_xor_b32_e32 v6, v4, v1
	v_xor_b32_e32 v4, v5, v1
	v_sub_co_u32_e32 v4, vcc, v4, v1
	s_nop 1
	v_subb_co_u32_e32 v5, vcc, v6, v1, vcc
.LBB449_448:
	s_or_b64 exec, exec, s[2:3]
.LBB449_449:
	s_mov_b64 s[2:3], -1
.LBB449_450:
	s_mov_b64 s[6:7], 0
.LBB449_451:
	s_and_b64 vcc, exec, s[6:7]
	s_cbranch_vccz .LBB449_484
; %bb.452:
	s_cmp_gt_i32 s8, 22
	s_cbranch_scc0 .LBB449_460
; %bb.453:
	s_cmp_lt_i32 s8, 24
	s_cbranch_scc1 .LBB449_463
; %bb.454:
	s_cmp_gt_i32 s8, 24
	s_cbranch_scc0 .LBB449_464
; %bb.455:
	global_load_ubyte v1, v[2:3], off
	s_movk_i32 s2, 0x7f
	s_mov_b64 s[6:7], 0
	s_waitcnt vmcnt(0)
	v_cmp_lt_i16_e32 vcc, s2, v1
	s_and_saveexec_b64 s[2:3], vcc
	s_xor_b64 s[2:3], exec, s[2:3]
	s_cbranch_execz .LBB449_476
; %bb.456:
	s_movk_i32 s6, 0x80
	v_cmp_ne_u16_e32 vcc, s6, v1
	s_and_b64 s[6:7], vcc, exec
	s_andn2_saveexec_b64 s[2:3], s[2:3]
	s_cbranch_execnz .LBB449_477
.LBB449_457:
	s_or_b64 exec, exec, s[2:3]
	v_mov_b64_e32 v[4:5], 0
	s_and_saveexec_b64 s[2:3], s[6:7]
	s_cbranch_execz .LBB449_459
.LBB449_458:
	v_lshlrev_b32_e32 v4, 24, v1
	v_and_b32_e32 v1, 0xffff, v1
	v_and_b32_e32 v5, 3, v1
	v_ffbh_u32_e32 v7, v5
	v_min_u32_e32 v7, 32, v7
	v_subrev_u32_e32 v8, 29, v7
	v_bfe_u32 v6, v1, 2, 5
	v_lshlrev_b32_e32 v1, v8, v1
	v_sub_u32_e32 v7, 30, v7
	v_and_b32_e32 v1, 3, v1
	v_cmp_eq_u32_e32 vcc, 0, v6
	v_and_b32_e32 v4, 0x80000000, v4
	s_mov_b32 s6, 0x2f800000
	v_cndmask_b32_e32 v6, v6, v7, vcc
	v_cndmask_b32_e32 v1, v5, v1, vcc
	v_mov_b32_e32 v5, 0x37800000
	v_lshlrev_b32_e32 v1, 21, v1
	v_lshl_add_u32 v5, v6, 23, v5
	v_or3_b32 v1, v4, v5, v1
	v_trunc_f32_e32 v1, v1
	v_mul_f32_e64 v4, |v1|, s6
	v_floor_f32_e32 v4, v4
	s_mov_b32 s6, 0xcf800000
	v_fma_f32 v5, v4, s6, |v1|
	v_cvt_u32_f32_e32 v4, v4
	v_cvt_u32_f32_e32 v5, v5
	v_ashrrev_i32_e32 v1, 31, v1
	v_xor_b32_e32 v6, v4, v1
	v_xor_b32_e32 v4, v5, v1
	v_sub_co_u32_e32 v4, vcc, v4, v1
	s_nop 1
	v_subb_co_u32_e32 v5, vcc, v6, v1, vcc
.LBB449_459:
	s_or_b64 exec, exec, s[2:3]
	s_mov_b64 s[2:3], 0
	s_branch .LBB449_465
.LBB449_460:
	s_mov_b64 s[6:7], -1
                                        ; implicit-def: $vgpr4_vgpr5
	s_branch .LBB449_471
.LBB449_461:
	s_andn2_saveexec_b64 s[2:3], s[2:3]
	s_cbranch_execz .LBB449_446
.LBB449_462:
	v_cmp_ne_u16_e32 vcc, 0, v1
	s_andn2_b64 s[6:7], s[6:7], exec
	s_and_b64 s[10:11], vcc, exec
	s_or_b64 s[6:7], s[6:7], s[10:11]
	s_or_b64 exec, exec, s[2:3]
	v_mov_b64_e32 v[4:5], 0
	s_and_saveexec_b64 s[2:3], s[6:7]
	s_cbranch_execnz .LBB449_447
	s_branch .LBB449_448
.LBB449_463:
	s_mov_b64 s[2:3], -1
                                        ; implicit-def: $vgpr4_vgpr5
	s_branch .LBB449_468
.LBB449_464:
	s_mov_b64 s[2:3], -1
                                        ; implicit-def: $vgpr4_vgpr5
.LBB449_465:
	s_and_b64 vcc, exec, s[2:3]
	s_cbranch_vccz .LBB449_467
; %bb.466:
	global_load_ubyte v1, v[2:3], off
	s_mov_b32 s2, 0x7f800000
	s_brev_b32 s3, 1
	s_mov_b32 s6, 0x2f800000
	s_mov_b32 s7, 0xcf800000
	s_waitcnt vmcnt(0)
	v_lshlrev_b32_e32 v1, 24, v1
	v_and_b32_e32 v4, 0x7f000000, v1
	v_ffbh_u32_e32 v5, v4
	v_min_u32_e32 v5, 32, v5
	v_sub_u32_e64 v5, v5, 4 clamp
	v_lshlrev_b32_e32 v7, v5, v4
	v_lshlrev_b32_e32 v5, 23, v5
	v_lshrrev_b32_e32 v7, 4, v7
	v_add_u32_e32 v6, 0x1000000, v4
	v_sub_u32_e32 v5, v7, v5
	v_ashrrev_i32_e32 v6, 8, v6
	v_add_u32_e32 v5, 0x3c000000, v5
	v_and_or_b32 v5, v6, s2, v5
	v_cmp_ne_u32_e32 vcc, 0, v4
	s_nop 1
	v_cndmask_b32_e32 v4, 0, v5, vcc
	v_and_or_b32 v1, v1, s3, v4
	v_trunc_f32_e32 v1, v1
	v_mul_f32_e64 v4, |v1|, s6
	v_floor_f32_e32 v4, v4
	v_fma_f32 v5, v4, s7, |v1|
	v_cvt_u32_f32_e32 v4, v4
	v_cvt_u32_f32_e32 v5, v5
	v_ashrrev_i32_e32 v1, 31, v1
	v_xor_b32_e32 v6, v4, v1
	v_xor_b32_e32 v4, v5, v1
	v_sub_co_u32_e32 v4, vcc, v4, v1
	s_nop 1
	v_subb_co_u32_e32 v5, vcc, v6, v1, vcc
.LBB449_467:
	s_mov_b64 s[2:3], 0
.LBB449_468:
	s_andn2_b64 vcc, exec, s[2:3]
	s_cbranch_vccnz .LBB449_470
; %bb.469:
	global_load_ubyte v1, v[2:3], off
	s_movk_i32 s2, 0x7f00
	s_brev_b32 s3, 16
	s_brev_b32 s6, 1
	s_mov_b32 s7, 0x2f800000
	s_mov_b32 s9, 0xcf800000
	s_waitcnt vmcnt(0)
	v_lshlrev_b16_e32 v4, 8, v1
	v_lshlrev_b32_e32 v1, 25, v1
	v_lshrrev_b32_e32 v5, 4, v1
	v_and_or_b32 v6, v4, s2, 0.5
	v_or_b32_e32 v5, 0x70000000, v5
	v_add_f32_e32 v6, -0.5, v6
	v_mul_f32_e32 v5, 0x7800000, v5
	v_cmp_gt_u32_e32 vcc, s3, v1
	v_bfe_i32 v4, v4, 0, 16
	s_nop 0
	v_cndmask_b32_e32 v1, v5, v6, vcc
	v_and_or_b32 v1, v4, s6, v1
	v_trunc_f32_e32 v1, v1
	v_mul_f32_e64 v4, |v1|, s7
	v_floor_f32_e32 v4, v4
	v_fma_f32 v5, v4, s9, |v1|
	v_cvt_u32_f32_e32 v4, v4
	v_cvt_u32_f32_e32 v5, v5
	v_ashrrev_i32_e32 v1, 31, v1
	v_xor_b32_e32 v6, v4, v1
	v_xor_b32_e32 v4, v5, v1
	v_sub_co_u32_e32 v4, vcc, v4, v1
	s_nop 1
	v_subb_co_u32_e32 v5, vcc, v6, v1, vcc
.LBB449_470:
	s_mov_b64 s[6:7], 0
	s_mov_b64 s[2:3], -1
.LBB449_471:
	s_andn2_b64 vcc, exec, s[6:7]
	s_cbranch_vccnz .LBB449_484
; %bb.472:
	s_cmp_gt_i32 s8, 14
	s_cbranch_scc0 .LBB449_475
; %bb.473:
	s_cmp_eq_u32 s8, 15
	s_cbranch_scc0 .LBB449_478
; %bb.474:
	global_load_ushort v1, v[2:3], off
	s_mov_b32 s2, 0x2f800000
	s_mov_b32 s3, 0xcf800000
	s_mov_b64 s[4:5], 0
	s_waitcnt vmcnt(0)
	v_lshlrev_b32_e32 v1, 16, v1
	v_trunc_f32_e32 v1, v1
	v_mul_f32_e64 v4, |v1|, s2
	v_floor_f32_e32 v4, v4
	v_fma_f32 v5, v4, s3, |v1|
	v_cvt_u32_f32_e32 v4, v4
	v_cvt_u32_f32_e32 v5, v5
	v_ashrrev_i32_e32 v1, 31, v1
	s_mov_b64 s[2:3], -1
	v_xor_b32_e32 v6, v4, v1
	v_xor_b32_e32 v4, v5, v1
	v_sub_co_u32_e32 v4, vcc, v4, v1
	s_nop 1
	v_subb_co_u32_e32 v5, vcc, v6, v1, vcc
	s_branch .LBB449_479
.LBB449_475:
	s_mov_b64 s[6:7], -1
                                        ; implicit-def: $vgpr4_vgpr5
	s_branch .LBB449_480
.LBB449_476:
	s_andn2_saveexec_b64 s[2:3], s[2:3]
	s_cbranch_execz .LBB449_457
.LBB449_477:
	v_cmp_ne_u16_e32 vcc, 0, v1
	s_andn2_b64 s[6:7], s[6:7], exec
	s_and_b64 s[10:11], vcc, exec
	s_or_b64 s[6:7], s[6:7], s[10:11]
	s_or_b64 exec, exec, s[2:3]
	v_mov_b64_e32 v[4:5], 0
	s_and_saveexec_b64 s[2:3], s[6:7]
	s_cbranch_execnz .LBB449_458
	s_branch .LBB449_459
.LBB449_478:
	s_mov_b64 s[4:5], -1
                                        ; implicit-def: $vgpr4_vgpr5
.LBB449_479:
	s_mov_b64 s[6:7], 0
.LBB449_480:
	s_and_b64 vcc, exec, s[6:7]
	s_cbranch_vccz .LBB449_484
; %bb.481:
	s_cmp_eq_u32 s8, 11
	s_cbranch_scc0 .LBB449_483
; %bb.482:
	global_load_ubyte v1, v[2:3], off
	s_mov_b32 s4, 0
	s_mov_b64 s[2:3], -1
	s_waitcnt vmcnt(1)
	v_mov_b32_e32 v5, s4
	s_mov_b64 s[4:5], 0
	s_waitcnt vmcnt(0)
	v_cmp_ne_u16_e32 vcc, 0, v1
	s_nop 1
	v_cndmask_b32_e64 v4, 0, 1, vcc
	s_branch .LBB449_484
.LBB449_483:
	s_mov_b64 s[4:5], -1
                                        ; implicit-def: $vgpr4_vgpr5
.LBB449_484:
	s_branch .LBB449_291
.LBB449_485:
	s_cmp_lt_i32 s8, 5
	s_cbranch_scc1 .LBB449_490
; %bb.486:
	s_cmp_lt_i32 s8, 8
	s_cbranch_scc1 .LBB449_491
; %bb.487:
	;; [unrolled: 3-line block ×3, first 2 shown]
	s_cmp_gt_i32 s8, 9
	s_cbranch_scc0 .LBB449_493
; %bb.489:
	global_load_dwordx2 v[4:5], v[2:3], off
	s_movk_i32 s2, 0xffe0
	s_waitcnt vmcnt(0)
	v_trunc_f64_e32 v[6:7], v[4:5]
	v_ldexp_f64 v[4:5], v[6:7], s2
	v_floor_f64_e32 v[8:9], v[4:5]
	v_fmac_f64_e32 v[6:7], 0xc1f00000, v[8:9]
	v_cvt_i32_f64_e32 v5, v[8:9]
	v_cvt_u32_f64_e32 v4, v[6:7]
	s_mov_b64 s[2:3], 0
	s_branch .LBB449_494
.LBB449_490:
	s_mov_b64 s[2:3], -1
                                        ; implicit-def: $vgpr4_vgpr5
	s_branch .LBB449_512
.LBB449_491:
	s_mov_b64 s[2:3], -1
                                        ; implicit-def: $vgpr4_vgpr5
	s_branch .LBB449_500
.LBB449_492:
	s_mov_b64 s[2:3], -1
                                        ; implicit-def: $vgpr4_vgpr5
	s_branch .LBB449_497
.LBB449_493:
	s_mov_b64 s[2:3], -1
                                        ; implicit-def: $vgpr4_vgpr5
.LBB449_494:
	s_andn2_b64 vcc, exec, s[2:3]
	s_cbranch_vccnz .LBB449_496
; %bb.495:
	global_load_dword v1, v[2:3], off
	s_mov_b32 s2, 0x2f800000
	s_mov_b32 s3, 0xcf800000
	s_waitcnt vmcnt(0)
	v_trunc_f32_e32 v1, v1
	v_mul_f32_e64 v4, |v1|, s2
	v_floor_f32_e32 v4, v4
	v_cvt_u32_f32_e32 v5, v4
	v_fma_f32 v4, v4, s3, |v1|
	v_cvt_u32_f32_e32 v4, v4
	v_ashrrev_i32_e32 v1, 31, v1
	v_xor_b32_e32 v5, v5, v1
	v_xor_b32_e32 v4, v4, v1
	v_sub_co_u32_e32 v4, vcc, v4, v1
	s_nop 1
	v_subb_co_u32_e32 v5, vcc, v5, v1, vcc
.LBB449_496:
	s_mov_b64 s[2:3], 0
.LBB449_497:
	s_andn2_b64 vcc, exec, s[2:3]
	s_cbranch_vccnz .LBB449_499
; %bb.498:
	global_load_dword v1, v[2:3], off
	s_waitcnt vmcnt(0)
	v_cvt_f32_f16_e32 v1, v1
	v_cvt_i32_f32_e32 v4, v1
	v_ashrrev_i32_e32 v5, 31, v4
.LBB449_499:
	s_mov_b64 s[2:3], 0
.LBB449_500:
	s_andn2_b64 vcc, exec, s[2:3]
	s_cbranch_vccnz .LBB449_511
; %bb.501:
	s_cmp_lt_i32 s8, 6
	s_cbranch_scc1 .LBB449_504
; %bb.502:
	s_cmp_gt_i32 s8, 6
	s_cbranch_scc0 .LBB449_505
; %bb.503:
	global_load_dwordx2 v[4:5], v[2:3], off
	s_movk_i32 s2, 0xffe0
	s_waitcnt vmcnt(0)
	v_trunc_f64_e32 v[6:7], v[4:5]
	v_ldexp_f64 v[4:5], v[6:7], s2
	v_floor_f64_e32 v[8:9], v[4:5]
	v_fmac_f64_e32 v[6:7], 0xc1f00000, v[8:9]
	v_cvt_i32_f64_e32 v5, v[8:9]
	v_cvt_u32_f64_e32 v4, v[6:7]
	s_mov_b64 s[2:3], 0
	s_branch .LBB449_506
.LBB449_504:
	s_mov_b64 s[2:3], -1
                                        ; implicit-def: $vgpr4_vgpr5
	s_branch .LBB449_509
.LBB449_505:
	s_mov_b64 s[2:3], -1
                                        ; implicit-def: $vgpr4_vgpr5
.LBB449_506:
	s_andn2_b64 vcc, exec, s[2:3]
	s_cbranch_vccnz .LBB449_508
; %bb.507:
	global_load_dword v1, v[2:3], off
	s_mov_b32 s2, 0x2f800000
	s_mov_b32 s3, 0xcf800000
	s_waitcnt vmcnt(0)
	v_trunc_f32_e32 v1, v1
	v_mul_f32_e64 v4, |v1|, s2
	v_floor_f32_e32 v4, v4
	v_cvt_u32_f32_e32 v5, v4
	v_fma_f32 v4, v4, s3, |v1|
	v_cvt_u32_f32_e32 v4, v4
	v_ashrrev_i32_e32 v1, 31, v1
	v_xor_b32_e32 v5, v5, v1
	v_xor_b32_e32 v4, v4, v1
	v_sub_co_u32_e32 v4, vcc, v4, v1
	s_nop 1
	v_subb_co_u32_e32 v5, vcc, v5, v1, vcc
.LBB449_508:
	s_mov_b64 s[2:3], 0
.LBB449_509:
	s_andn2_b64 vcc, exec, s[2:3]
	s_cbranch_vccnz .LBB449_511
; %bb.510:
	global_load_ushort v1, v[2:3], off
	s_waitcnt vmcnt(0)
	v_cvt_f32_f16_e32 v1, v1
	v_cvt_i32_f32_e32 v4, v1
	v_ashrrev_i32_e32 v5, 31, v4
.LBB449_511:
	s_mov_b64 s[2:3], 0
.LBB449_512:
	s_andn2_b64 vcc, exec, s[2:3]
	s_cbranch_vccnz .LBB449_532
; %bb.513:
	s_cmp_lt_i32 s8, 2
	s_cbranch_scc1 .LBB449_517
; %bb.514:
	s_cmp_lt_i32 s8, 3
	s_cbranch_scc1 .LBB449_518
; %bb.515:
	s_cmp_gt_i32 s8, 3
	s_cbranch_scc0 .LBB449_519
; %bb.516:
	global_load_dwordx2 v[4:5], v[2:3], off
	s_mov_b64 s[2:3], 0
	s_branch .LBB449_520
.LBB449_517:
	s_mov_b64 s[2:3], -1
                                        ; implicit-def: $vgpr4_vgpr5
	s_branch .LBB449_526
.LBB449_518:
	s_mov_b64 s[2:3], -1
                                        ; implicit-def: $vgpr4_vgpr5
	s_branch .LBB449_523
.LBB449_519:
	s_mov_b64 s[2:3], -1
                                        ; implicit-def: $vgpr4_vgpr5
.LBB449_520:
	s_andn2_b64 vcc, exec, s[2:3]
	s_cbranch_vccnz .LBB449_522
; %bb.521:
	global_load_dword v4, v[2:3], off
	s_waitcnt vmcnt(0)
	v_ashrrev_i32_e32 v5, 31, v4
.LBB449_522:
	s_mov_b64 s[2:3], 0
.LBB449_523:
	s_andn2_b64 vcc, exec, s[2:3]
	s_cbranch_vccnz .LBB449_525
; %bb.524:
	global_load_ushort v1, v[2:3], off
	s_waitcnt vmcnt(0)
	v_bfe_i32 v4, v1, 0, 16
	v_ashrrev_i32_e32 v5, 31, v4
.LBB449_525:
	s_mov_b64 s[2:3], 0
.LBB449_526:
	s_andn2_b64 vcc, exec, s[2:3]
	s_cbranch_vccnz .LBB449_532
; %bb.527:
	s_cmp_gt_i32 s8, 0
	s_cbranch_scc0 .LBB449_529
; %bb.528:
	global_load_sbyte v1, v[2:3], off
	s_mov_b64 s[2:3], 0
	s_waitcnt vmcnt(0)
	v_bfe_i32 v4, v1, 0, 16
	v_ashrrev_i32_e32 v5, 31, v4
	s_branch .LBB449_530
.LBB449_529:
	s_mov_b64 s[2:3], -1
                                        ; implicit-def: $vgpr4_vgpr5
.LBB449_530:
	s_andn2_b64 vcc, exec, s[2:3]
	s_cbranch_vccnz .LBB449_532
; %bb.531:
	global_load_ubyte v1, v[2:3], off
	s_mov_b32 s2, 0
	s_waitcnt vmcnt(1)
	v_mov_b32_e32 v5, s2
	s_waitcnt vmcnt(0)
	v_and_b32_e32 v4, 0xffff, v1
.LBB449_532:
	s_branch .LBB449_292
.LBB449_533:
	s_mov_b64 s[6:7], 0
	s_mov_b64 s[2:3], s[56:57]
.LBB449_534:
                                        ; implicit-def: $vgpr12
.LBB449_535:
	s_andn2_b64 s[8:9], s[56:57], exec
	s_and_b64 s[2:3], s[2:3], exec
	s_or_b64 s[64:65], s[8:9], s[2:3]
	s_andn2_b64 s[2:3], s[58:59], exec
	s_and_b64 s[4:5], s[4:5], exec
	s_or_b64 s[62:63], s[2:3], s[4:5]
	s_orn2_b64 s[2:3], s[6:7], exec
.LBB449_536:
	s_or_b64 exec, exec, s[66:67]
	s_mov_b64 s[4:5], 0
	s_mov_b64 s[6:7], 0
	s_mov_b64 s[8:9], 0
                                        ; implicit-def: $vgpr2_vgpr3
                                        ; implicit-def: $vgpr0
                                        ; implicit-def: $vgpr6_vgpr7
	s_and_saveexec_b64 s[66:67], s[2:3]
	s_cbranch_execz .LBB449_905
; %bb.537:
	v_cmp_gt_i32_e32 vcc, s72, v12
	s_mov_b64 s[6:7], -1
	s_mov_b64 s[2:3], s[62:63]
	s_mov_b64 s[70:71], s[64:65]
	s_and_saveexec_b64 s[68:69], vcc
	s_cbranch_execz .LBB449_808
; %bb.538:
	s_andn2_b64 vcc, exec, s[42:43]
	s_cbranch_vccnz .LBB449_544
; %bb.539:
	s_andn2_b64 vcc, exec, s[54:55]
	s_cbranch_vccnz .LBB449_545
; %bb.540:
	s_add_i32 s78, s77, 1
	s_cmp_eq_u32 s74, 2
	s_cbranch_scc1 .LBB449_546
; %bb.541:
	s_and_b32 s73, s78, 28
	s_mov_b32 s79, 0
	v_mov_b32_e32 v0, 0
	v_mov_b32_e32 v2, 0
	s_mov_b64 s[2:3], s[34:35]
	s_mov_b64 s[70:71], s[52:53]
	s_waitcnt vmcnt(0)
	v_mov_b32_e32 v4, v12
.LBB449_542:                            ; =>This Inner Loop Header: Depth=1
	s_load_dwordx8 s[12:19], s[2:3], 0x4
	s_load_dwordx4 s[36:39], s[2:3], 0x24
	s_load_dwordx8 s[4:11], s[70:71], 0x0
	s_add_u32 s2, s2, 48
	s_addc_u32 s3, s3, 0
	s_waitcnt lgkmcnt(0)
	v_mul_hi_u32 v1, s13, v4
	v_add_u32_e32 v1, v4, v1
	v_lshrrev_b32_e32 v1, s14, v1
	v_mul_lo_u32 v3, v1, s12
	v_mul_hi_u32 v5, s16, v1
	v_sub_u32_e32 v3, v4, v3
	v_add_u32_e32 v4, v1, v5
	v_lshrrev_b32_e32 v4, s17, v4
	v_mul_lo_u32 v6, v4, s15
	v_mul_hi_u32 v7, s19, v4
	v_sub_u32_e32 v1, v1, v6
	v_add_u32_e32 v6, v4, v7
	v_mul_lo_u32 v5, v3, s5
	v_mul_lo_u32 v3, v3, s4
	;; [unrolled: 1-line block ×4, first 2 shown]
	v_lshrrev_b32_e32 v6, s36, v6
	v_add3_u32 v0, v3, v0, v1
	v_mul_hi_u32 v3, s38, v6
	v_add3_u32 v1, v5, v2, v7
	v_mul_lo_u32 v2, v6, s18
	v_add_u32_e32 v3, v6, v3
	v_sub_u32_e32 v2, v4, v2
	v_lshrrev_b32_e32 v4, s39, v3
	s_add_i32 s79, s79, 4
	v_mul_lo_u32 v3, v4, s37
	s_add_u32 s70, s70, 32
	v_sub_u32_e32 v3, v6, v3
	s_addc_u32 s71, s71, 0
	v_mul_lo_u32 v5, v2, s8
	v_mul_lo_u32 v2, v2, s9
	;; [unrolled: 1-line block ×4, first 2 shown]
	s_cmp_eq_u32 s73, s79
	v_add3_u32 v2, v2, v1, v3
	v_add3_u32 v0, v5, v0, v6
	s_cbranch_scc0 .LBB449_542
; %bb.543:
	v_mov_b32_e32 v1, v2
	s_branch .LBB449_547
.LBB449_544:
	s_mov_b64 s[2:3], -1
                                        ; implicit-def: $vgpr2
                                        ; implicit-def: $vgpr0
	s_branch .LBB449_551
.LBB449_545:
	v_mov_b32_e32 v2, 0
	v_mov_b32_e32 v0, 0
	s_branch .LBB449_550
.LBB449_546:
	v_mov_b32_e32 v0, 0
	s_mov_b32 s73, 0
	v_mov_b32_e32 v1, v0
                                        ; implicit-def: $vgpr2
	s_waitcnt vmcnt(0)
	v_mov_b32_e32 v4, v12
.LBB449_547:
	s_and_b32 s6, s78, 3
	s_cmp_eq_u32 s6, 0
	s_cbranch_scc1 .LBB449_550
; %bb.548:
	s_lshl_b32 s2, s73, 3
	s_add_u32 s2, s34, s2
	s_addc_u32 s3, s35, 0
	s_add_u32 s2, s2, 0xc4
	s_addc_u32 s3, s3, 0
	s_mul_i32 s4, s73, 12
	s_add_u32 s4, s34, s4
	s_addc_u32 s5, s35, 0
.LBB449_549:                            ; =>This Inner Loop Header: Depth=1
	s_load_dwordx2 s[8:9], s[4:5], 0x4
	s_load_dword s7, s[4:5], 0xc
	s_load_dwordx2 s[10:11], s[2:3], 0x0
	v_mov_b32_e32 v2, v1
	s_add_u32 s4, s4, 12
	s_waitcnt lgkmcnt(0)
	v_mul_hi_u32 v1, s9, v4
	v_add_u32_e32 v1, v4, v1
	v_lshrrev_b32_e32 v1, s7, v1
	s_addc_u32 s5, s5, 0
	v_mul_lo_u32 v3, v1, s8
	s_add_u32 s2, s2, 8
	v_sub_u32_e32 v5, v4, v3
	s_addc_u32 s3, s3, 0
	s_add_i32 s6, s6, -1
	v_mov_b32_e32 v4, v1
	v_mad_u64_u32 v[2:3], s[8:9], v5, s11, v[2:3]
	v_mad_u64_u32 v[0:1], s[8:9], v5, s10, v[0:1]
	s_cmp_lg_u32 s6, 0
	v_mov_b32_e32 v1, v2
	s_cbranch_scc1 .LBB449_549
.LBB449_550:
	s_mov_b64 s[2:3], 0
.LBB449_551:
	s_andn2_b64 vcc, exec, s[2:3]
	s_cbranch_vccnz .LBB449_554
; %bb.552:
	v_mul_hi_u32 v0, s25, v12
	v_add_u32_e32 v0, v12, v0
	v_lshrrev_b32_e32 v1, s26, v0
	v_mul_lo_u32 v0, v1, s24
	v_sub_u32_e32 v0, v12, v0
	v_mul_lo_u32 v2, v0, s29
	s_andn2_b64 vcc, exec, s[50:51]
	v_mul_lo_u32 v0, v0, s28
	s_cbranch_vccnz .LBB449_554
; %bb.553:
	v_mul_hi_u32 v3, s48, v1
	v_add_u32_e32 v3, v1, v3
	v_lshrrev_b32_e32 v3, s49, v3
	v_mul_lo_u32 v3, v3, s27
	v_sub_u32_e32 v3, v1, v3
	v_mad_u64_u32 v[0:1], s[2:3], v3, s30, v[0:1]
	v_mad_u64_u32 v[2:3], s[2:3], v3, s31, v[2:3]
.LBB449_554:
	v_mov_b32_e32 v3, 0
	s_and_b32 s8, 0xffff, s76
	s_cmp_lt_i32 s8, 11
	v_lshl_add_u64 v[2:3], s[22:23], 0, v[2:3]
	s_cbranch_scc1 .LBB449_561
; %bb.555:
	s_cmp_gt_i32 s8, 25
	s_cbranch_scc0 .LBB449_562
; %bb.556:
	s_cmp_gt_i32 s8, 28
	s_cbranch_scc0 .LBB449_563
	;; [unrolled: 3-line block ×4, first 2 shown]
; %bb.559:
	s_cmp_eq_u32 s8, 46
	s_mov_b64 s[6:7], 0
	s_cbranch_scc0 .LBB449_570
; %bb.560:
	global_load_dword v1, v[2:3], off
	s_mov_b32 s2, 0x2f800000
	s_mov_b32 s3, 0xcf800000
	s_mov_b64 s[4:5], 0
	s_waitcnt vmcnt(0)
	v_lshlrev_b32_e32 v1, 16, v1
	v_trunc_f32_e32 v1, v1
	v_mul_f32_e64 v4, |v1|, s2
	v_floor_f32_e32 v4, v4
	v_fma_f32 v5, v4, s3, |v1|
	v_cvt_u32_f32_e32 v4, v4
	v_cvt_u32_f32_e32 v5, v5
	v_ashrrev_i32_e32 v1, 31, v1
	s_mov_b64 s[2:3], -1
	v_xor_b32_e32 v6, v4, v1
	v_xor_b32_e32 v4, v5, v1
	v_sub_co_u32_e32 v4, vcc, v4, v1
	s_nop 1
	v_subb_co_u32_e32 v5, vcc, v6, v1, vcc
	s_branch .LBB449_571
.LBB449_561:
	s_mov_b64 s[6:7], -1
	s_mov_b64 s[2:3], 0
                                        ; implicit-def: $vgpr4_vgpr5
	s_mov_b64 s[4:5], s[62:63]
	s_branch .LBB449_632
.LBB449_562:
	s_mov_b64 s[6:7], -1
	s_mov_b64 s[2:3], 0
	s_mov_b64 s[4:5], s[62:63]
                                        ; implicit-def: $vgpr4_vgpr5
	s_branch .LBB449_598
.LBB449_563:
	s_mov_b64 s[6:7], -1
	s_mov_b64 s[2:3], 0
	s_mov_b64 s[4:5], s[62:63]
                                        ; implicit-def: $vgpr4_vgpr5
	s_branch .LBB449_581
.LBB449_564:
	s_mov_b64 s[6:7], -1
	s_mov_b64 s[2:3], 0
	s_mov_b64 s[4:5], s[62:63]
                                        ; implicit-def: $vgpr4_vgpr5
	s_branch .LBB449_576
.LBB449_565:
	s_andn2_saveexec_b64 s[10:11], s[10:11]
	s_cbranch_execz .LBB449_337
.LBB449_566:
	s_mov_b32 s14, 0x46000000
	v_add_f32_e64 v5, |v4|, s14
	v_and_b32_e32 v5, 0xff, v5
	v_cmp_ne_u32_e32 vcc, 0, v5
	s_andn2_b64 s[8:9], s[8:9], exec
	s_and_b64 s[14:15], vcc, exec
	s_or_b64 s[8:9], s[8:9], s[14:15]
	s_or_b64 exec, exec, s[10:11]
	v_mov_b32_e32 v6, 0
	s_and_saveexec_b64 s[10:11], s[8:9]
	s_cbranch_execnz .LBB449_338
	s_branch .LBB449_339
.LBB449_567:
	s_mov_b64 s[6:7], -1
	s_mov_b64 s[2:3], 0
	s_mov_b64 s[4:5], s[62:63]
                                        ; implicit-def: $vgpr4_vgpr5
	s_branch .LBB449_571
.LBB449_568:
	s_andn2_saveexec_b64 s[10:11], s[10:11]
	s_cbranch_execz .LBB449_350
.LBB449_569:
	s_mov_b32 s14, 0x42800000
	v_add_f32_e64 v5, |v4|, s14
	v_and_b32_e32 v5, 0xff, v5
	v_cmp_ne_u32_e32 vcc, 0, v5
	s_andn2_b64 s[8:9], s[8:9], exec
	s_and_b64 s[14:15], vcc, exec
	s_or_b64 s[8:9], s[8:9], s[14:15]
	s_or_b64 exec, exec, s[10:11]
	v_mov_b32_e32 v6, 0
	s_and_saveexec_b64 s[10:11], s[8:9]
	s_cbranch_execnz .LBB449_351
	s_branch .LBB449_352
.LBB449_570:
	s_mov_b64 s[4:5], -1
                                        ; implicit-def: $vgpr4_vgpr5
	s_mov_b64 s[2:3], 0
.LBB449_571:
	s_and_b64 vcc, exec, s[6:7]
	s_cbranch_vccz .LBB449_575
; %bb.572:
	s_cmp_eq_u32 s8, 44
	s_cbranch_scc0 .LBB449_574
; %bb.573:
	global_load_ubyte v1, v[2:3], off
	s_mov_b32 s2, 0x2f800000
	s_mov_b32 s3, 0xcf800000
	s_mov_b64 s[4:5], 0
	s_waitcnt vmcnt(0)
	v_lshlrev_b32_e32 v4, 23, v1
	v_trunc_f32_e32 v4, v4
	v_mul_f32_e64 v5, |v4|, s2
	v_floor_f32_e32 v5, v5
	v_fma_f32 v6, v5, s3, |v4|
	v_cvt_u32_f32_e32 v6, v6
	v_cvt_u32_f32_e32 v5, v5
	v_ashrrev_i32_e32 v4, 31, v4
	s_mov_b64 s[2:3], -1
	v_xor_b32_e32 v6, v6, v4
	v_xor_b32_e32 v5, v5, v4
	v_sub_co_u32_e32 v6, vcc, v6, v4
	s_nop 1
	v_subb_co_u32_e32 v4, vcc, v5, v4, vcc
	v_cmp_ne_u32_e32 vcc, 0, v1
	s_nop 1
	v_cndmask_b32_e32 v5, 0, v4, vcc
	v_cndmask_b32_e32 v4, 0, v6, vcc
	s_branch .LBB449_575
.LBB449_574:
	s_mov_b64 s[4:5], -1
                                        ; implicit-def: $vgpr4_vgpr5
.LBB449_575:
	s_mov_b64 s[6:7], 0
.LBB449_576:
	s_and_b64 vcc, exec, s[6:7]
	s_cbranch_vccz .LBB449_580
; %bb.577:
	s_cmp_eq_u32 s8, 29
	s_cbranch_scc0 .LBB449_579
; %bb.578:
	global_load_dwordx2 v[4:5], v[2:3], off
	s_mov_b64 s[2:3], -1
	s_mov_b64 s[4:5], 0
	s_branch .LBB449_580
.LBB449_579:
	s_mov_b64 s[4:5], -1
                                        ; implicit-def: $vgpr4_vgpr5
.LBB449_580:
	s_mov_b64 s[6:7], 0
.LBB449_581:
	s_and_b64 vcc, exec, s[6:7]
	s_cbranch_vccz .LBB449_597
; %bb.582:
	s_cmp_lt_i32 s8, 27
	s_cbranch_scc1 .LBB449_585
; %bb.583:
	s_cmp_gt_i32 s8, 27
	s_cbranch_scc0 .LBB449_586
; %bb.584:
	global_load_dword v4, v[2:3], off
	s_waitcnt vmcnt(1)
	v_mov_b32_e32 v5, 0
	s_mov_b64 s[2:3], 0
	s_branch .LBB449_587
.LBB449_585:
	s_mov_b64 s[2:3], -1
                                        ; implicit-def: $vgpr4_vgpr5
	s_branch .LBB449_590
.LBB449_586:
	s_mov_b64 s[2:3], -1
                                        ; implicit-def: $vgpr4_vgpr5
.LBB449_587:
	s_andn2_b64 vcc, exec, s[2:3]
	s_cbranch_vccnz .LBB449_589
; %bb.588:
	global_load_ushort v1, v[2:3], off
	s_mov_b32 s2, 0
	s_waitcnt vmcnt(1)
	v_mov_b32_e32 v5, s2
	s_waitcnt vmcnt(0)
	v_and_b32_e32 v4, 0xffff, v1
.LBB449_589:
	s_mov_b64 s[2:3], 0
.LBB449_590:
	s_andn2_b64 vcc, exec, s[2:3]
	s_cbranch_vccnz .LBB449_596
; %bb.591:
	global_load_ubyte v1, v[2:3], off
	s_movk_i32 s2, 0x7f
	s_mov_b64 s[6:7], 0
	s_waitcnt vmcnt(0)
	v_cmp_lt_i16_e32 vcc, s2, v1
	s_and_saveexec_b64 s[2:3], vcc
	s_xor_b64 s[2:3], exec, s[2:3]
	s_cbranch_execz .LBB449_608
; %bb.592:
	s_movk_i32 s6, 0x80
	v_cmp_ne_u16_e32 vcc, s6, v1
	s_and_b64 s[6:7], vcc, exec
	s_andn2_saveexec_b64 s[2:3], s[2:3]
	s_cbranch_execnz .LBB449_609
.LBB449_593:
	s_or_b64 exec, exec, s[2:3]
	v_mov_b64_e32 v[4:5], 0
	s_and_saveexec_b64 s[2:3], s[6:7]
	s_cbranch_execz .LBB449_595
.LBB449_594:
	v_lshlrev_b32_e32 v4, 24, v1
	v_and_b32_e32 v1, 0xffff, v1
	v_and_b32_e32 v5, 7, v1
	v_ffbh_u32_e32 v7, v5
	v_min_u32_e32 v7, 32, v7
	v_subrev_u32_e32 v8, 28, v7
	v_bfe_u32 v6, v1, 3, 4
	v_lshlrev_b32_e32 v1, v8, v1
	v_sub_u32_e32 v7, 29, v7
	v_and_b32_e32 v1, 7, v1
	v_cmp_eq_u32_e32 vcc, 0, v6
	v_and_b32_e32 v4, 0x80000000, v4
	s_mov_b32 s6, 0x2f800000
	v_cndmask_b32_e32 v6, v6, v7, vcc
	v_cndmask_b32_e32 v1, v5, v1, vcc
	v_mov_b32_e32 v5, 0x3b800000
	v_lshlrev_b32_e32 v1, 20, v1
	v_lshl_add_u32 v5, v6, 23, v5
	v_or3_b32 v1, v4, v5, v1
	v_trunc_f32_e32 v1, v1
	v_mul_f32_e64 v4, |v1|, s6
	v_floor_f32_e32 v4, v4
	s_mov_b32 s6, 0xcf800000
	v_fma_f32 v5, v4, s6, |v1|
	v_cvt_u32_f32_e32 v4, v4
	v_cvt_u32_f32_e32 v5, v5
	v_ashrrev_i32_e32 v1, 31, v1
	v_xor_b32_e32 v6, v4, v1
	v_xor_b32_e32 v4, v5, v1
	v_sub_co_u32_e32 v4, vcc, v4, v1
	s_nop 1
	v_subb_co_u32_e32 v5, vcc, v6, v1, vcc
.LBB449_595:
	s_or_b64 exec, exec, s[2:3]
.LBB449_596:
	s_mov_b64 s[2:3], -1
.LBB449_597:
	s_mov_b64 s[6:7], 0
.LBB449_598:
	s_and_b64 vcc, exec, s[6:7]
	s_cbranch_vccz .LBB449_631
; %bb.599:
	s_cmp_gt_i32 s8, 22
	s_cbranch_scc0 .LBB449_607
; %bb.600:
	s_cmp_lt_i32 s8, 24
	s_cbranch_scc1 .LBB449_610
; %bb.601:
	s_cmp_gt_i32 s8, 24
	s_cbranch_scc0 .LBB449_611
; %bb.602:
	global_load_ubyte v1, v[2:3], off
	s_movk_i32 s2, 0x7f
	s_mov_b64 s[6:7], 0
	s_waitcnt vmcnt(0)
	v_cmp_lt_i16_e32 vcc, s2, v1
	s_and_saveexec_b64 s[2:3], vcc
	s_xor_b64 s[2:3], exec, s[2:3]
	s_cbranch_execz .LBB449_623
; %bb.603:
	s_movk_i32 s6, 0x80
	v_cmp_ne_u16_e32 vcc, s6, v1
	s_and_b64 s[6:7], vcc, exec
	s_andn2_saveexec_b64 s[2:3], s[2:3]
	s_cbranch_execnz .LBB449_624
.LBB449_604:
	s_or_b64 exec, exec, s[2:3]
	v_mov_b64_e32 v[4:5], 0
	s_and_saveexec_b64 s[2:3], s[6:7]
	s_cbranch_execz .LBB449_606
.LBB449_605:
	v_lshlrev_b32_e32 v4, 24, v1
	v_and_b32_e32 v1, 0xffff, v1
	v_and_b32_e32 v5, 3, v1
	v_ffbh_u32_e32 v7, v5
	v_min_u32_e32 v7, 32, v7
	v_subrev_u32_e32 v8, 29, v7
	v_bfe_u32 v6, v1, 2, 5
	v_lshlrev_b32_e32 v1, v8, v1
	v_sub_u32_e32 v7, 30, v7
	v_and_b32_e32 v1, 3, v1
	v_cmp_eq_u32_e32 vcc, 0, v6
	v_and_b32_e32 v4, 0x80000000, v4
	s_mov_b32 s6, 0x2f800000
	v_cndmask_b32_e32 v6, v6, v7, vcc
	v_cndmask_b32_e32 v1, v5, v1, vcc
	v_mov_b32_e32 v5, 0x37800000
	v_lshlrev_b32_e32 v1, 21, v1
	v_lshl_add_u32 v5, v6, 23, v5
	v_or3_b32 v1, v4, v5, v1
	v_trunc_f32_e32 v1, v1
	v_mul_f32_e64 v4, |v1|, s6
	v_floor_f32_e32 v4, v4
	s_mov_b32 s6, 0xcf800000
	v_fma_f32 v5, v4, s6, |v1|
	v_cvt_u32_f32_e32 v4, v4
	v_cvt_u32_f32_e32 v5, v5
	v_ashrrev_i32_e32 v1, 31, v1
	v_xor_b32_e32 v6, v4, v1
	v_xor_b32_e32 v4, v5, v1
	v_sub_co_u32_e32 v4, vcc, v4, v1
	s_nop 1
	v_subb_co_u32_e32 v5, vcc, v6, v1, vcc
.LBB449_606:
	s_or_b64 exec, exec, s[2:3]
	s_mov_b64 s[2:3], 0
	s_branch .LBB449_612
.LBB449_607:
	s_mov_b64 s[6:7], -1
                                        ; implicit-def: $vgpr4_vgpr5
	s_branch .LBB449_618
.LBB449_608:
	s_andn2_saveexec_b64 s[2:3], s[2:3]
	s_cbranch_execz .LBB449_593
.LBB449_609:
	v_cmp_ne_u16_e32 vcc, 0, v1
	s_andn2_b64 s[6:7], s[6:7], exec
	s_and_b64 s[10:11], vcc, exec
	s_or_b64 s[6:7], s[6:7], s[10:11]
	s_or_b64 exec, exec, s[2:3]
	v_mov_b64_e32 v[4:5], 0
	s_and_saveexec_b64 s[2:3], s[6:7]
	s_cbranch_execnz .LBB449_594
	s_branch .LBB449_595
.LBB449_610:
	s_mov_b64 s[2:3], -1
                                        ; implicit-def: $vgpr4_vgpr5
	s_branch .LBB449_615
.LBB449_611:
	s_mov_b64 s[2:3], -1
                                        ; implicit-def: $vgpr4_vgpr5
.LBB449_612:
	s_and_b64 vcc, exec, s[2:3]
	s_cbranch_vccz .LBB449_614
; %bb.613:
	global_load_ubyte v1, v[2:3], off
	s_mov_b32 s2, 0x7f800000
	s_brev_b32 s3, 1
	s_mov_b32 s6, 0x2f800000
	s_mov_b32 s7, 0xcf800000
	s_waitcnt vmcnt(0)
	v_lshlrev_b32_e32 v1, 24, v1
	v_and_b32_e32 v4, 0x7f000000, v1
	v_ffbh_u32_e32 v5, v4
	v_min_u32_e32 v5, 32, v5
	v_sub_u32_e64 v5, v5, 4 clamp
	v_lshlrev_b32_e32 v7, v5, v4
	v_lshlrev_b32_e32 v5, 23, v5
	v_lshrrev_b32_e32 v7, 4, v7
	v_add_u32_e32 v6, 0x1000000, v4
	v_sub_u32_e32 v5, v7, v5
	v_ashrrev_i32_e32 v6, 8, v6
	v_add_u32_e32 v5, 0x3c000000, v5
	v_and_or_b32 v5, v6, s2, v5
	v_cmp_ne_u32_e32 vcc, 0, v4
	s_nop 1
	v_cndmask_b32_e32 v4, 0, v5, vcc
	v_and_or_b32 v1, v1, s3, v4
	v_trunc_f32_e32 v1, v1
	v_mul_f32_e64 v4, |v1|, s6
	v_floor_f32_e32 v4, v4
	v_fma_f32 v5, v4, s7, |v1|
	v_cvt_u32_f32_e32 v4, v4
	v_cvt_u32_f32_e32 v5, v5
	v_ashrrev_i32_e32 v1, 31, v1
	v_xor_b32_e32 v6, v4, v1
	v_xor_b32_e32 v4, v5, v1
	v_sub_co_u32_e32 v4, vcc, v4, v1
	s_nop 1
	v_subb_co_u32_e32 v5, vcc, v6, v1, vcc
.LBB449_614:
	s_mov_b64 s[2:3], 0
.LBB449_615:
	s_andn2_b64 vcc, exec, s[2:3]
	s_cbranch_vccnz .LBB449_617
; %bb.616:
	global_load_ubyte v1, v[2:3], off
	s_movk_i32 s2, 0x7f00
	s_brev_b32 s3, 16
	s_brev_b32 s6, 1
	s_mov_b32 s7, 0x2f800000
	s_mov_b32 s9, 0xcf800000
	s_waitcnt vmcnt(0)
	v_lshlrev_b16_e32 v4, 8, v1
	v_lshlrev_b32_e32 v1, 25, v1
	v_lshrrev_b32_e32 v5, 4, v1
	v_and_or_b32 v6, v4, s2, 0.5
	v_or_b32_e32 v5, 0x70000000, v5
	v_add_f32_e32 v6, -0.5, v6
	v_mul_f32_e32 v5, 0x7800000, v5
	v_cmp_gt_u32_e32 vcc, s3, v1
	v_bfe_i32 v4, v4, 0, 16
	s_nop 0
	v_cndmask_b32_e32 v1, v5, v6, vcc
	v_and_or_b32 v1, v4, s6, v1
	v_trunc_f32_e32 v1, v1
	v_mul_f32_e64 v4, |v1|, s7
	v_floor_f32_e32 v4, v4
	v_fma_f32 v5, v4, s9, |v1|
	v_cvt_u32_f32_e32 v4, v4
	v_cvt_u32_f32_e32 v5, v5
	v_ashrrev_i32_e32 v1, 31, v1
	v_xor_b32_e32 v6, v4, v1
	v_xor_b32_e32 v4, v5, v1
	v_sub_co_u32_e32 v4, vcc, v4, v1
	s_nop 1
	v_subb_co_u32_e32 v5, vcc, v6, v1, vcc
.LBB449_617:
	s_mov_b64 s[6:7], 0
	s_mov_b64 s[2:3], -1
.LBB449_618:
	s_andn2_b64 vcc, exec, s[6:7]
	s_cbranch_vccnz .LBB449_631
; %bb.619:
	s_cmp_gt_i32 s8, 14
	s_cbranch_scc0 .LBB449_622
; %bb.620:
	s_cmp_eq_u32 s8, 15
	s_cbranch_scc0 .LBB449_625
; %bb.621:
	global_load_ushort v1, v[2:3], off
	s_mov_b32 s2, 0x2f800000
	s_mov_b32 s3, 0xcf800000
	s_mov_b64 s[4:5], 0
	s_waitcnt vmcnt(0)
	v_lshlrev_b32_e32 v1, 16, v1
	v_trunc_f32_e32 v1, v1
	v_mul_f32_e64 v4, |v1|, s2
	v_floor_f32_e32 v4, v4
	v_fma_f32 v5, v4, s3, |v1|
	v_cvt_u32_f32_e32 v4, v4
	v_cvt_u32_f32_e32 v5, v5
	v_ashrrev_i32_e32 v1, 31, v1
	s_mov_b64 s[2:3], -1
	v_xor_b32_e32 v6, v4, v1
	v_xor_b32_e32 v4, v5, v1
	v_sub_co_u32_e32 v4, vcc, v4, v1
	s_nop 1
	v_subb_co_u32_e32 v5, vcc, v6, v1, vcc
	s_branch .LBB449_626
.LBB449_622:
	s_mov_b64 s[6:7], -1
                                        ; implicit-def: $vgpr4_vgpr5
	s_branch .LBB449_627
.LBB449_623:
	s_andn2_saveexec_b64 s[2:3], s[2:3]
	s_cbranch_execz .LBB449_604
.LBB449_624:
	v_cmp_ne_u16_e32 vcc, 0, v1
	s_andn2_b64 s[6:7], s[6:7], exec
	s_and_b64 s[10:11], vcc, exec
	s_or_b64 s[6:7], s[6:7], s[10:11]
	s_or_b64 exec, exec, s[2:3]
	v_mov_b64_e32 v[4:5], 0
	s_and_saveexec_b64 s[2:3], s[6:7]
	s_cbranch_execnz .LBB449_605
	s_branch .LBB449_606
.LBB449_625:
	s_mov_b64 s[4:5], -1
                                        ; implicit-def: $vgpr4_vgpr5
.LBB449_626:
	s_mov_b64 s[6:7], 0
.LBB449_627:
	s_and_b64 vcc, exec, s[6:7]
	s_cbranch_vccz .LBB449_631
; %bb.628:
	s_cmp_eq_u32 s8, 11
	s_cbranch_scc0 .LBB449_630
; %bb.629:
	global_load_ubyte v1, v[2:3], off
	s_mov_b32 s4, 0
	s_mov_b64 s[2:3], -1
	s_waitcnt vmcnt(1)
	v_mov_b32_e32 v5, s4
	s_mov_b64 s[4:5], 0
	s_waitcnt vmcnt(0)
	v_cmp_ne_u16_e32 vcc, 0, v1
	s_nop 1
	v_cndmask_b32_e64 v4, 0, 1, vcc
	s_branch .LBB449_631
.LBB449_630:
	s_mov_b64 s[4:5], -1
                                        ; implicit-def: $vgpr4_vgpr5
.LBB449_631:
	s_mov_b64 s[6:7], 0
.LBB449_632:
	s_and_b64 vcc, exec, s[6:7]
	s_cbranch_vccz .LBB449_681
; %bb.633:
	s_cmp_lt_i32 s8, 5
	s_cbranch_scc1 .LBB449_638
; %bb.634:
	s_cmp_lt_i32 s8, 8
	s_cbranch_scc1 .LBB449_639
	;; [unrolled: 3-line block ×3, first 2 shown]
; %bb.636:
	s_cmp_gt_i32 s8, 9
	s_cbranch_scc0 .LBB449_641
; %bb.637:
	global_load_dwordx2 v[4:5], v[2:3], off
	s_movk_i32 s2, 0xffe0
	s_waitcnt vmcnt(0)
	v_trunc_f64_e32 v[6:7], v[4:5]
	v_ldexp_f64 v[4:5], v[6:7], s2
	v_floor_f64_e32 v[8:9], v[4:5]
	v_fmac_f64_e32 v[6:7], 0xc1f00000, v[8:9]
	v_cvt_i32_f64_e32 v5, v[8:9]
	v_cvt_u32_f64_e32 v4, v[6:7]
	s_mov_b64 s[2:3], 0
	s_branch .LBB449_642
.LBB449_638:
	s_mov_b64 s[2:3], -1
                                        ; implicit-def: $vgpr4_vgpr5
	s_branch .LBB449_660
.LBB449_639:
	s_mov_b64 s[2:3], -1
                                        ; implicit-def: $vgpr4_vgpr5
	s_branch .LBB449_648
.LBB449_640:
	s_mov_b64 s[2:3], -1
                                        ; implicit-def: $vgpr4_vgpr5
	s_branch .LBB449_645
.LBB449_641:
	s_mov_b64 s[2:3], -1
                                        ; implicit-def: $vgpr4_vgpr5
.LBB449_642:
	s_andn2_b64 vcc, exec, s[2:3]
	s_cbranch_vccnz .LBB449_644
; %bb.643:
	global_load_dword v1, v[2:3], off
	s_mov_b32 s2, 0x2f800000
	s_mov_b32 s3, 0xcf800000
	s_waitcnt vmcnt(0)
	v_trunc_f32_e32 v1, v1
	v_mul_f32_e64 v4, |v1|, s2
	v_floor_f32_e32 v4, v4
	v_cvt_u32_f32_e32 v5, v4
	v_fma_f32 v4, v4, s3, |v1|
	v_cvt_u32_f32_e32 v4, v4
	v_ashrrev_i32_e32 v1, 31, v1
	v_xor_b32_e32 v5, v5, v1
	v_xor_b32_e32 v4, v4, v1
	v_sub_co_u32_e32 v4, vcc, v4, v1
	s_nop 1
	v_subb_co_u32_e32 v5, vcc, v5, v1, vcc
.LBB449_644:
	s_mov_b64 s[2:3], 0
.LBB449_645:
	s_andn2_b64 vcc, exec, s[2:3]
	s_cbranch_vccnz .LBB449_647
; %bb.646:
	global_load_dword v1, v[2:3], off
	s_waitcnt vmcnt(0)
	v_cvt_f32_f16_e32 v1, v1
	v_cvt_i32_f32_e32 v4, v1
	v_ashrrev_i32_e32 v5, 31, v4
.LBB449_647:
	s_mov_b64 s[2:3], 0
.LBB449_648:
	s_andn2_b64 vcc, exec, s[2:3]
	s_cbranch_vccnz .LBB449_659
; %bb.649:
	s_cmp_lt_i32 s8, 6
	s_cbranch_scc1 .LBB449_652
; %bb.650:
	s_cmp_gt_i32 s8, 6
	s_cbranch_scc0 .LBB449_653
; %bb.651:
	global_load_dwordx2 v[4:5], v[2:3], off
	s_movk_i32 s2, 0xffe0
	s_waitcnt vmcnt(0)
	v_trunc_f64_e32 v[6:7], v[4:5]
	v_ldexp_f64 v[4:5], v[6:7], s2
	v_floor_f64_e32 v[8:9], v[4:5]
	v_fmac_f64_e32 v[6:7], 0xc1f00000, v[8:9]
	v_cvt_i32_f64_e32 v5, v[8:9]
	v_cvt_u32_f64_e32 v4, v[6:7]
	s_mov_b64 s[2:3], 0
	s_branch .LBB449_654
.LBB449_652:
	s_mov_b64 s[2:3], -1
                                        ; implicit-def: $vgpr4_vgpr5
	s_branch .LBB449_657
.LBB449_653:
	s_mov_b64 s[2:3], -1
                                        ; implicit-def: $vgpr4_vgpr5
.LBB449_654:
	s_andn2_b64 vcc, exec, s[2:3]
	s_cbranch_vccnz .LBB449_656
; %bb.655:
	global_load_dword v1, v[2:3], off
	s_mov_b32 s2, 0x2f800000
	s_mov_b32 s3, 0xcf800000
	s_waitcnt vmcnt(0)
	v_trunc_f32_e32 v1, v1
	v_mul_f32_e64 v4, |v1|, s2
	v_floor_f32_e32 v4, v4
	v_cvt_u32_f32_e32 v5, v4
	v_fma_f32 v4, v4, s3, |v1|
	v_cvt_u32_f32_e32 v4, v4
	v_ashrrev_i32_e32 v1, 31, v1
	v_xor_b32_e32 v5, v5, v1
	v_xor_b32_e32 v4, v4, v1
	v_sub_co_u32_e32 v4, vcc, v4, v1
	s_nop 1
	v_subb_co_u32_e32 v5, vcc, v5, v1, vcc
.LBB449_656:
	s_mov_b64 s[2:3], 0
.LBB449_657:
	s_andn2_b64 vcc, exec, s[2:3]
	s_cbranch_vccnz .LBB449_659
; %bb.658:
	global_load_ushort v1, v[2:3], off
	s_waitcnt vmcnt(0)
	v_cvt_f32_f16_e32 v1, v1
	v_cvt_i32_f32_e32 v4, v1
	v_ashrrev_i32_e32 v5, 31, v4
.LBB449_659:
	s_mov_b64 s[2:3], 0
.LBB449_660:
	s_andn2_b64 vcc, exec, s[2:3]
	s_cbranch_vccnz .LBB449_680
; %bb.661:
	s_cmp_lt_i32 s8, 2
	s_cbranch_scc1 .LBB449_665
; %bb.662:
	s_cmp_lt_i32 s8, 3
	s_cbranch_scc1 .LBB449_666
; %bb.663:
	s_cmp_gt_i32 s8, 3
	s_cbranch_scc0 .LBB449_667
; %bb.664:
	global_load_dwordx2 v[4:5], v[2:3], off
	s_mov_b64 s[2:3], 0
	s_branch .LBB449_668
.LBB449_665:
	s_mov_b64 s[2:3], -1
                                        ; implicit-def: $vgpr4_vgpr5
	s_branch .LBB449_674
.LBB449_666:
	s_mov_b64 s[2:3], -1
                                        ; implicit-def: $vgpr4_vgpr5
	s_branch .LBB449_671
.LBB449_667:
	s_mov_b64 s[2:3], -1
                                        ; implicit-def: $vgpr4_vgpr5
.LBB449_668:
	s_andn2_b64 vcc, exec, s[2:3]
	s_cbranch_vccnz .LBB449_670
; %bb.669:
	global_load_dword v4, v[2:3], off
	s_waitcnt vmcnt(0)
	v_ashrrev_i32_e32 v5, 31, v4
.LBB449_670:
	s_mov_b64 s[2:3], 0
.LBB449_671:
	s_andn2_b64 vcc, exec, s[2:3]
	s_cbranch_vccnz .LBB449_673
; %bb.672:
	global_load_ushort v1, v[2:3], off
	s_waitcnt vmcnt(0)
	v_bfe_i32 v4, v1, 0, 16
	v_ashrrev_i32_e32 v5, 31, v4
.LBB449_673:
	s_mov_b64 s[2:3], 0
.LBB449_674:
	s_andn2_b64 vcc, exec, s[2:3]
	s_cbranch_vccnz .LBB449_680
; %bb.675:
	s_cmp_gt_i32 s8, 0
	s_cbranch_scc0 .LBB449_677
; %bb.676:
	global_load_sbyte v1, v[2:3], off
	s_mov_b64 s[2:3], 0
	s_waitcnt vmcnt(0)
	v_bfe_i32 v4, v1, 0, 16
	v_ashrrev_i32_e32 v5, 31, v4
	s_branch .LBB449_678
.LBB449_677:
	s_mov_b64 s[2:3], -1
                                        ; implicit-def: $vgpr4_vgpr5
.LBB449_678:
	s_andn2_b64 vcc, exec, s[2:3]
	s_cbranch_vccnz .LBB449_680
; %bb.679:
	global_load_ubyte v1, v[2:3], off
	s_mov_b32 s2, 0
	s_waitcnt vmcnt(1)
	v_mov_b32_e32 v5, s2
	s_waitcnt vmcnt(0)
	v_and_b32_e32 v4, 0xffff, v1
.LBB449_680:
	s_mov_b64 s[2:3], -1
.LBB449_681:
	s_andn2_b64 vcc, exec, s[2:3]
	s_cbranch_vccnz .LBB449_689
; %bb.682:
	v_mov_b32_e32 v1, s47
	s_waitcnt vmcnt(0)
	v_cmp_gt_i64_e32 vcc, s[46:47], v[4:5]
	s_and_b32 s12, s75, 0xff
	s_cmp_lt_i32 s12, 11
	v_cndmask_b32_e32 v3, v1, v5, vcc
	v_mov_b32_e32 v1, s46
	v_cndmask_b32_e32 v2, v1, v4, vcc
	v_mov_b32_e32 v1, 0
	v_lshl_add_u64 v[0:1], s[20:21], 0, v[0:1]
	s_cbranch_scc1 .LBB449_690
; %bb.683:
	s_and_b32 s13, 0xffff, s12
	s_cmp_gt_i32 s13, 25
	s_cbranch_scc0 .LBB449_691
; %bb.684:
	s_cmp_gt_i32 s13, 28
	s_cbranch_scc0 .LBB449_692
; %bb.685:
	;; [unrolled: 3-line block ×4, first 2 shown]
	s_mov_b64 s[8:9], 0
	s_mov_b64 s[2:3], -1
	s_cmp_eq_u32 s13, 46
	s_mov_b64 s[6:7], 0
	s_cbranch_scc0 .LBB449_695
; %bb.688:
	v_xor_b32_e32 v5, v2, v3
	v_ffbh_i32_e32 v4, v3
	v_ashrrev_i32_e32 v5, 31, v5
	v_add_u32_e32 v4, -1, v4
	v_add_u32_e32 v5, 32, v5
	v_min_u32_e32 v6, v4, v5
	v_lshlrev_b64 v[4:5], v6, v[2:3]
	v_min_u32_e32 v4, 1, v4
	v_or_b32_e32 v4, v5, v4
	v_cvt_f32_i32_e32 v4, v4
	v_sub_u32_e32 v5, 32, v6
	s_movk_i32 s2, 0x7fff
	s_mov_b64 s[6:7], -1
	v_ldexp_f32 v4, v4, v5
	v_bfe_u32 v5, v4, 16, 1
	v_add3_u32 v4, v4, v5, s2
	v_lshrrev_b32_e32 v4, 16, v4
	global_store_dword v[0:1], v4, off
	s_mov_b64 s[2:3], 0
	s_branch .LBB449_695
.LBB449_689:
	s_mov_b64 s[6:7], 0
	s_mov_b64 s[2:3], s[64:65]
	s_branch .LBB449_806
.LBB449_690:
	s_mov_b64 s[8:9], -1
	s_mov_b64 s[6:7], 0
	s_mov_b64 s[2:3], s[64:65]
	s_branch .LBB449_764
.LBB449_691:
	s_mov_b64 s[8:9], -1
	s_mov_b64 s[6:7], 0
	s_mov_b64 s[2:3], s[64:65]
	s_branch .LBB449_722
.LBB449_692:
	s_mov_b64 s[8:9], -1
	s_mov_b64 s[6:7], 0
	s_mov_b64 s[2:3], s[64:65]
	s_branch .LBB449_705
.LBB449_693:
	s_mov_b64 s[8:9], -1
	s_mov_b64 s[6:7], 0
	s_mov_b64 s[2:3], s[64:65]
	s_branch .LBB449_701
.LBB449_694:
	s_mov_b64 s[8:9], -1
	s_mov_b64 s[6:7], 0
	s_mov_b64 s[2:3], s[64:65]
.LBB449_695:
	s_and_b64 vcc, exec, s[8:9]
	s_cbranch_vccz .LBB449_700
; %bb.696:
	s_cmp_eq_u32 s13, 44
	s_mov_b64 s[2:3], -1
	s_cbranch_scc0 .LBB449_700
; %bb.697:
	v_xor_b32_e32 v5, v2, v3
	v_ffbh_i32_e32 v4, v3
	v_ashrrev_i32_e32 v5, 31, v5
	v_add_u32_e32 v4, -1, v4
	v_add_u32_e32 v5, 32, v5
	v_min_u32_e32 v6, v4, v5
	v_lshlrev_b64 v[4:5], v6, v[2:3]
	v_min_u32_e32 v4, 1, v4
	v_or_b32_e32 v4, v5, v4
	v_cvt_f32_i32_e32 v4, v4
	v_sub_u32_e32 v5, 32, v6
	s_movk_i32 s2, 0xff
	v_mov_b32_e32 v6, 0xff
	v_ldexp_f32 v4, v4, v5
	v_bfe_u32 v5, v4, 23, 8
	v_cmp_ne_u32_e32 vcc, s2, v5
	s_and_saveexec_b64 s[6:7], vcc
; %bb.698:
	s_mov_b32 s2, 0x3fffff
	v_lshrrev_b32_e32 v6, 23, v4
	v_and_b32_e32 v7, 0x400000, v4
	v_and_or_b32 v4, v4, s2, v5
	v_cmp_ne_u32_e32 vcc, 0, v7
	v_cmp_ne_u32_e64 s[2:3], 0, v4
	s_and_b64 s[2:3], vcc, s[2:3]
	s_nop 0
	v_cndmask_b32_e64 v4, 0, 1, s[2:3]
	v_add_u32_e32 v6, v6, v4
; %bb.699:
	s_or_b64 exec, exec, s[6:7]
	s_mov_b64 s[6:7], -1
	s_mov_b64 s[2:3], 0
	global_store_byte v[0:1], v6, off
.LBB449_700:
	s_mov_b64 s[8:9], 0
.LBB449_701:
	s_and_b64 vcc, exec, s[8:9]
	s_cbranch_vccz .LBB449_704
; %bb.702:
	s_cmp_eq_u32 s13, 29
	s_mov_b64 s[2:3], -1
	s_cbranch_scc0 .LBB449_704
; %bb.703:
	global_store_dwordx2 v[0:1], v[2:3], off
	s_mov_b64 s[6:7], -1
	s_mov_b64 s[2:3], 0
.LBB449_704:
	s_mov_b64 s[8:9], 0
.LBB449_705:
	s_and_b64 vcc, exec, s[8:9]
	s_cbranch_vccz .LBB449_721
; %bb.706:
	s_cmp_lt_i32 s13, 27
	s_mov_b64 s[6:7], -1
	s_cbranch_scc1 .LBB449_712
; %bb.707:
	s_cmp_gt_i32 s13, 27
	s_cbranch_scc0 .LBB449_709
; %bb.708:
	s_mov_b64 s[6:7], 0
	global_store_dword v[0:1], v2, off
.LBB449_709:
	s_andn2_b64 vcc, exec, s[6:7]
	s_cbranch_vccnz .LBB449_711
; %bb.710:
	global_store_short v[0:1], v2, off
.LBB449_711:
	s_mov_b64 s[6:7], 0
.LBB449_712:
	s_andn2_b64 vcc, exec, s[6:7]
	s_cbranch_vccnz .LBB449_720
; %bb.713:
	v_xor_b32_e32 v5, v2, v3
	v_ffbh_i32_e32 v4, v3
	v_ashrrev_i32_e32 v5, 31, v5
	v_add_u32_e32 v4, -1, v4
	v_add_u32_e32 v5, 32, v5
	v_min_u32_e32 v6, v4, v5
	v_lshlrev_b64 v[4:5], v6, v[2:3]
	v_min_u32_e32 v4, 1, v4
	v_or_b32_e32 v4, v5, v4
	v_cvt_f32_i32_e32 v4, v4
	v_sub_u32_e32 v5, 32, v6
	s_mov_b32 s6, 0x43800000
	v_mov_b32_e32 v6, 0x80
	v_ldexp_f32 v4, v4, v5
	v_and_b32_e32 v5, 0x7fffffff, v4
	v_cmp_gt_u32_e32 vcc, s6, v5
	s_and_saveexec_b64 s[6:7], vcc
	s_cbranch_execz .LBB449_719
; %bb.714:
	s_mov_b32 s8, 0x3bffffff
	v_cmp_lt_u32_e32 vcc, s8, v5
	s_mov_b64 s[8:9], 0
                                        ; implicit-def: $vgpr5
	s_and_saveexec_b64 s[10:11], vcc
	s_xor_b64 s[10:11], exec, s[10:11]
	s_cbranch_execz .LBB449_837
; %bb.715:
	v_bfe_u32 v5, v4, 20, 1
	s_mov_b32 s14, 0x487ffff
	v_add3_u32 v5, v4, v5, s14
	s_mov_b64 s[8:9], exec
	v_lshrrev_b32_e32 v5, 20, v5
	s_andn2_saveexec_b64 s[10:11], s[10:11]
	s_cbranch_execnz .LBB449_838
.LBB449_716:
	s_or_b64 exec, exec, s[10:11]
	v_mov_b32_e32 v6, 0
	s_and_saveexec_b64 s[10:11], s[8:9]
.LBB449_717:
	v_lshrrev_b32_e32 v4, 24, v4
	s_movk_i32 s8, 0x80
	v_and_or_b32 v6, v4, s8, v5
.LBB449_718:
	s_or_b64 exec, exec, s[10:11]
.LBB449_719:
	s_or_b64 exec, exec, s[6:7]
	global_store_byte v[0:1], v6, off
.LBB449_720:
	s_mov_b64 s[6:7], -1
.LBB449_721:
	s_mov_b64 s[8:9], 0
.LBB449_722:
	s_and_b64 vcc, exec, s[8:9]
	s_cbranch_vccz .LBB449_763
; %bb.723:
	s_cmp_gt_i32 s13, 22
	s_mov_b64 s[8:9], -1
	s_cbranch_scc0 .LBB449_755
; %bb.724:
	s_cmp_lt_i32 s13, 24
	s_mov_b64 s[6:7], -1
	s_cbranch_scc1 .LBB449_744
; %bb.725:
	s_cmp_gt_i32 s13, 24
	s_cbranch_scc0 .LBB449_733
; %bb.726:
	v_xor_b32_e32 v5, v2, v3
	v_ffbh_i32_e32 v4, v3
	v_ashrrev_i32_e32 v5, 31, v5
	v_add_u32_e32 v4, -1, v4
	v_add_u32_e32 v5, 32, v5
	v_min_u32_e32 v6, v4, v5
	v_lshlrev_b64 v[4:5], v6, v[2:3]
	v_min_u32_e32 v4, 1, v4
	v_or_b32_e32 v4, v5, v4
	v_cvt_f32_i32_e32 v4, v4
	v_sub_u32_e32 v5, 32, v6
	s_mov_b32 s6, 0x47800000
	v_mov_b32_e32 v6, 0x80
	v_ldexp_f32 v4, v4, v5
	v_and_b32_e32 v5, 0x7fffffff, v4
	v_cmp_gt_u32_e32 vcc, s6, v5
	s_and_saveexec_b64 s[6:7], vcc
	s_cbranch_execz .LBB449_732
; %bb.727:
	s_mov_b32 s8, 0x37ffffff
	v_cmp_lt_u32_e32 vcc, s8, v5
	s_mov_b64 s[8:9], 0
                                        ; implicit-def: $vgpr5
	s_and_saveexec_b64 s[10:11], vcc
	s_xor_b64 s[10:11], exec, s[10:11]
	s_cbranch_execz .LBB449_840
; %bb.728:
	v_bfe_u32 v5, v4, 21, 1
	s_mov_b32 s14, 0x88fffff
	v_add3_u32 v5, v4, v5, s14
	s_mov_b64 s[8:9], exec
	v_lshrrev_b32_e32 v5, 21, v5
	s_andn2_saveexec_b64 s[10:11], s[10:11]
	s_cbranch_execnz .LBB449_841
.LBB449_729:
	s_or_b64 exec, exec, s[10:11]
	v_mov_b32_e32 v6, 0
	s_and_saveexec_b64 s[10:11], s[8:9]
.LBB449_730:
	v_lshrrev_b32_e32 v4, 24, v4
	s_movk_i32 s8, 0x80
	v_and_or_b32 v6, v4, s8, v5
.LBB449_731:
	s_or_b64 exec, exec, s[10:11]
.LBB449_732:
	s_or_b64 exec, exec, s[6:7]
	s_mov_b64 s[6:7], 0
	global_store_byte v[0:1], v6, off
.LBB449_733:
	s_and_b64 vcc, exec, s[6:7]
	s_cbranch_vccz .LBB449_743
; %bb.734:
	v_xor_b32_e32 v5, v2, v3
	v_ffbh_i32_e32 v4, v3
	v_ashrrev_i32_e32 v5, 31, v5
	v_add_u32_e32 v4, -1, v4
	v_add_u32_e32 v5, 32, v5
	v_min_u32_e32 v6, v4, v5
	v_lshlrev_b64 v[4:5], v6, v[2:3]
	v_min_u32_e32 v4, 1, v4
	v_or_b32_e32 v4, v5, v4
	v_cvt_f32_i32_e32 v4, v4
	v_sub_u32_e32 v5, 32, v6
	s_mov_b32 s6, 0x43f00000
	v_ldexp_f32 v4, v4, v5
	v_and_b32_e32 v6, 0x7fffffff, v4
	v_cmp_gt_u32_e32 vcc, s6, v6
                                        ; implicit-def: $vgpr5
	s_and_saveexec_b64 s[6:7], vcc
	s_xor_b64 s[6:7], exec, s[6:7]
	s_cbranch_execz .LBB449_740
; %bb.735:
	s_mov_b32 s8, 0x3c7fffff
	v_cmp_lt_u32_e32 vcc, s8, v6
                                        ; implicit-def: $vgpr5
	s_and_saveexec_b64 s[8:9], vcc
	s_xor_b64 s[8:9], exec, s[8:9]
; %bb.736:
	v_bfe_u32 v5, v4, 20, 1
	s_mov_b32 s10, 0x407ffff
	v_add3_u32 v5, v4, v5, s10
	v_lshrrev_b32_e32 v6, 20, v5
	v_and_b32_e32 v5, 0xff00000, v5
	s_mov_b32 s10, 0x7f00000
	v_mov_b32_e32 v7, 0x7e
	v_cmp_ne_u32_e32 vcc, s10, v5
	s_nop 1
	v_cndmask_b32_e32 v5, v7, v6, vcc
; %bb.737:
	s_andn2_saveexec_b64 s[8:9], s[8:9]
; %bb.738:
	s_mov_b32 s10, 0x46800000
	v_add_f32_e64 v5, |v4|, s10
; %bb.739:
	s_or_b64 exec, exec, s[8:9]
                                        ; implicit-def: $vgpr6
.LBB449_740:
	s_andn2_saveexec_b64 s[6:7], s[6:7]
; %bb.741:
	s_mov_b32 s8, 0x7f800000
	v_mov_b32_e32 v5, 0x7e
	v_mov_b32_e32 v7, 0x7f
	v_cmp_lt_u32_e32 vcc, s8, v6
	s_nop 1
	v_cndmask_b32_e32 v5, v5, v7, vcc
; %bb.742:
	s_or_b64 exec, exec, s[6:7]
	v_lshrrev_b32_e32 v4, 24, v4
	s_movk_i32 s6, 0x80
	v_and_or_b32 v4, v4, s6, v5
	global_store_byte v[0:1], v4, off
.LBB449_743:
	s_mov_b64 s[6:7], 0
.LBB449_744:
	s_andn2_b64 vcc, exec, s[6:7]
	s_cbranch_vccnz .LBB449_754
; %bb.745:
	v_xor_b32_e32 v5, v2, v3
	v_ffbh_i32_e32 v4, v3
	v_ashrrev_i32_e32 v5, 31, v5
	v_add_u32_e32 v4, -1, v4
	v_add_u32_e32 v5, 32, v5
	v_min_u32_e32 v6, v4, v5
	v_lshlrev_b64 v[4:5], v6, v[2:3]
	v_min_u32_e32 v4, 1, v4
	v_or_b32_e32 v4, v5, v4
	v_cvt_f32_i32_e32 v4, v4
	v_sub_u32_e32 v5, 32, v6
	s_mov_b32 s6, 0x47800000
	v_ldexp_f32 v4, v4, v5
	v_and_b32_e32 v6, 0x7fffffff, v4
	v_cmp_gt_u32_e32 vcc, s6, v6
                                        ; implicit-def: $vgpr5
	s_and_saveexec_b64 s[6:7], vcc
	s_xor_b64 s[6:7], exec, s[6:7]
	s_cbranch_execz .LBB449_751
; %bb.746:
	s_mov_b32 s8, 0x387fffff
	v_cmp_lt_u32_e32 vcc, s8, v6
                                        ; implicit-def: $vgpr5
	s_and_saveexec_b64 s[8:9], vcc
	s_xor_b64 s[8:9], exec, s[8:9]
; %bb.747:
	v_bfe_u32 v5, v4, 21, 1
	s_mov_b32 s10, 0x80fffff
	v_add3_u32 v5, v4, v5, s10
	v_lshrrev_b32_e32 v5, 21, v5
; %bb.748:
	s_andn2_saveexec_b64 s[8:9], s[8:9]
; %bb.749:
	s_mov_b32 s10, 0x43000000
	v_add_f32_e64 v5, |v4|, s10
; %bb.750:
	s_or_b64 exec, exec, s[8:9]
                                        ; implicit-def: $vgpr6
.LBB449_751:
	s_andn2_saveexec_b64 s[6:7], s[6:7]
; %bb.752:
	s_mov_b32 s8, 0x7f800000
	v_mov_b32_e32 v5, 0x7c
	v_mov_b32_e32 v7, 0x7f
	v_cmp_lt_u32_e32 vcc, s8, v6
	s_nop 1
	v_cndmask_b32_e32 v5, v5, v7, vcc
; %bb.753:
	s_or_b64 exec, exec, s[6:7]
	v_lshrrev_b32_e32 v4, 24, v4
	s_movk_i32 s6, 0x80
	v_and_or_b32 v4, v4, s6, v5
	global_store_byte v[0:1], v4, off
.LBB449_754:
	s_mov_b64 s[8:9], 0
	s_mov_b64 s[6:7], -1
.LBB449_755:
	s_andn2_b64 vcc, exec, s[8:9]
	s_cbranch_vccnz .LBB449_763
; %bb.756:
	s_cmp_gt_i32 s13, 14
	s_mov_b64 s[8:9], -1
	s_cbranch_scc0 .LBB449_760
; %bb.757:
	s_cmp_eq_u32 s13, 15
	s_mov_b64 s[2:3], -1
	s_cbranch_scc0 .LBB449_759
; %bb.758:
	v_xor_b32_e32 v5, v2, v3
	v_ffbh_i32_e32 v4, v3
	v_ashrrev_i32_e32 v5, 31, v5
	v_add_u32_e32 v4, -1, v4
	v_add_u32_e32 v5, 32, v5
	v_min_u32_e32 v6, v4, v5
	v_lshlrev_b64 v[4:5], v6, v[2:3]
	v_min_u32_e32 v4, 1, v4
	v_or_b32_e32 v4, v5, v4
	v_cvt_f32_i32_e32 v4, v4
	v_sub_u32_e32 v5, 32, v6
	s_movk_i32 s2, 0x7fff
	s_mov_b64 s[6:7], -1
	v_ldexp_f32 v4, v4, v5
	v_bfe_u32 v5, v4, 16, 1
	v_add3_u32 v4, v4, v5, s2
	global_store_short_d16_hi v[0:1], v4, off
	s_mov_b64 s[2:3], 0
.LBB449_759:
	s_mov_b64 s[8:9], 0
.LBB449_760:
	s_and_b64 vcc, exec, s[8:9]
	s_cbranch_vccz .LBB449_763
; %bb.761:
	s_cmp_eq_u32 s13, 11
	s_mov_b64 s[2:3], -1
	s_cbranch_scc0 .LBB449_763
; %bb.762:
	v_cmp_ne_u64_e32 vcc, 0, v[2:3]
	s_mov_b64 s[2:3], 0
	s_mov_b64 s[6:7], -1
	v_cndmask_b32_e64 v4, 0, 1, vcc
	global_store_byte v[0:1], v4, off
.LBB449_763:
	s_mov_b64 s[8:9], 0
.LBB449_764:
	s_and_b64 vcc, exec, s[8:9]
	s_cbranch_vccz .LBB449_803
; %bb.765:
	s_and_b32 s8, 0xffff, s12
	s_cmp_lt_i32 s8, 5
	s_mov_b64 s[6:7], -1
	s_cbranch_scc1 .LBB449_786
; %bb.766:
	s_cmp_lt_i32 s8, 8
	s_cbranch_scc1 .LBB449_776
; %bb.767:
	s_cmp_lt_i32 s8, 9
	s_cbranch_scc1 .LBB449_773
; %bb.768:
	s_cmp_gt_i32 s8, 9
	s_cbranch_scc0 .LBB449_770
; %bb.769:
	v_cvt_f64_i32_e32 v[4:5], v3
	v_ldexp_f64 v[4:5], v[4:5], 32
	v_cvt_f64_u32_e32 v[6:7], v2
	v_add_f64 v[4:5], v[4:5], v[6:7]
	v_mov_b32_e32 v6, 0
	v_mov_b32_e32 v7, v6
	s_mov_b64 s[6:7], 0
	global_store_dwordx4 v[0:1], v[4:7], off
.LBB449_770:
	s_andn2_b64 vcc, exec, s[6:7]
	s_cbranch_vccnz .LBB449_772
; %bb.771:
	v_xor_b32_e32 v5, v2, v3
	v_ffbh_i32_e32 v4, v3
	v_ashrrev_i32_e32 v5, 31, v5
	v_add_u32_e32 v4, -1, v4
	v_add_u32_e32 v5, 32, v5
	v_min_u32_e32 v6, v4, v5
	v_lshlrev_b64 v[4:5], v6, v[2:3]
	v_min_u32_e32 v4, 1, v4
	v_or_b32_e32 v4, v5, v4
	v_cvt_f32_i32_e32 v4, v4
	v_sub_u32_e32 v5, 32, v6
	v_ldexp_f32 v4, v4, v5
	v_mov_b32_e32 v5, 0
	global_store_dwordx2 v[0:1], v[4:5], off
.LBB449_772:
	s_mov_b64 s[6:7], 0
.LBB449_773:
	s_andn2_b64 vcc, exec, s[6:7]
	s_cbranch_vccnz .LBB449_775
; %bb.774:
	v_xor_b32_e32 v5, v2, v3
	v_ffbh_i32_e32 v4, v3
	v_ashrrev_i32_e32 v5, 31, v5
	v_add_u32_e32 v4, -1, v4
	v_add_u32_e32 v5, 32, v5
	v_min_u32_e32 v6, v4, v5
	v_lshlrev_b64 v[4:5], v6, v[2:3]
	v_min_u32_e32 v4, 1, v4
	v_or_b32_e32 v4, v5, v4
	v_cvt_f32_i32_e32 v4, v4
	v_sub_u32_e32 v5, 32, v6
	v_ldexp_f32 v4, v4, v5
	v_cvt_f16_f32_e32 v4, v4
	global_store_dword v[0:1], v4, off
.LBB449_775:
	s_mov_b64 s[6:7], 0
.LBB449_776:
	s_andn2_b64 vcc, exec, s[6:7]
	s_cbranch_vccnz .LBB449_785
; %bb.777:
	s_cmp_lt_i32 s8, 6
	s_mov_b64 s[6:7], -1
	s_cbranch_scc1 .LBB449_783
; %bb.778:
	s_cmp_gt_i32 s8, 6
	s_cbranch_scc0 .LBB449_780
; %bb.779:
	v_cvt_f64_i32_e32 v[4:5], v3
	v_ldexp_f64 v[4:5], v[4:5], 32
	v_cvt_f64_u32_e32 v[6:7], v2
	v_add_f64 v[4:5], v[4:5], v[6:7]
	s_mov_b64 s[6:7], 0
	global_store_dwordx2 v[0:1], v[4:5], off
.LBB449_780:
	s_andn2_b64 vcc, exec, s[6:7]
	s_cbranch_vccnz .LBB449_782
; %bb.781:
	v_xor_b32_e32 v5, v2, v3
	v_ffbh_i32_e32 v4, v3
	v_ashrrev_i32_e32 v5, 31, v5
	v_add_u32_e32 v4, -1, v4
	v_add_u32_e32 v5, 32, v5
	v_min_u32_e32 v6, v4, v5
	v_lshlrev_b64 v[4:5], v6, v[2:3]
	v_min_u32_e32 v4, 1, v4
	v_or_b32_e32 v4, v5, v4
	v_cvt_f32_i32_e32 v4, v4
	v_sub_u32_e32 v5, 32, v6
	v_ldexp_f32 v4, v4, v5
	global_store_dword v[0:1], v4, off
.LBB449_782:
	s_mov_b64 s[6:7], 0
.LBB449_783:
	s_andn2_b64 vcc, exec, s[6:7]
	s_cbranch_vccnz .LBB449_785
; %bb.784:
	v_xor_b32_e32 v5, v2, v3
	v_ffbh_i32_e32 v4, v3
	v_ashrrev_i32_e32 v5, 31, v5
	v_add_u32_e32 v4, -1, v4
	v_add_u32_e32 v5, 32, v5
	v_min_u32_e32 v6, v4, v5
	v_lshlrev_b64 v[4:5], v6, v[2:3]
	v_min_u32_e32 v4, 1, v4
	v_or_b32_e32 v4, v5, v4
	v_cvt_f32_i32_e32 v4, v4
	v_sub_u32_e32 v5, 32, v6
	v_ldexp_f32 v4, v4, v5
	v_cvt_f16_f32_e32 v4, v4
	global_store_short v[0:1], v4, off
.LBB449_785:
	s_mov_b64 s[6:7], 0
.LBB449_786:
	s_andn2_b64 vcc, exec, s[6:7]
	s_cbranch_vccnz .LBB449_802
; %bb.787:
	s_cmp_lt_i32 s8, 2
	s_mov_b64 s[6:7], -1
	s_cbranch_scc1 .LBB449_797
; %bb.788:
	s_cmp_lt_i32 s8, 3
	s_cbranch_scc1 .LBB449_794
; %bb.789:
	s_cmp_gt_i32 s8, 3
	s_cbranch_scc0 .LBB449_791
; %bb.790:
	s_mov_b64 s[6:7], 0
	global_store_dwordx2 v[0:1], v[2:3], off
.LBB449_791:
	s_andn2_b64 vcc, exec, s[6:7]
	s_cbranch_vccnz .LBB449_793
; %bb.792:
	global_store_dword v[0:1], v2, off
.LBB449_793:
	s_mov_b64 s[6:7], 0
.LBB449_794:
	s_andn2_b64 vcc, exec, s[6:7]
	s_cbranch_vccnz .LBB449_796
; %bb.795:
	global_store_short v[0:1], v2, off
.LBB449_796:
	s_mov_b64 s[6:7], 0
.LBB449_797:
	s_andn2_b64 vcc, exec, s[6:7]
	s_cbranch_vccnz .LBB449_802
; %bb.798:
	s_cmp_gt_i32 s8, 0
	s_mov_b64 s[6:7], -1
	s_cbranch_scc0 .LBB449_800
; %bb.799:
	s_mov_b64 s[6:7], 0
	global_store_byte v[0:1], v2, off
.LBB449_800:
	s_andn2_b64 vcc, exec, s[6:7]
	s_cbranch_vccnz .LBB449_802
; %bb.801:
	global_store_byte v[0:1], v2, off
.LBB449_802:
	s_mov_b64 s[6:7], -1
.LBB449_803:
	s_andn2_b64 vcc, exec, s[6:7]
	s_cbranch_vccnz .LBB449_805
; %bb.804:
	v_add_u32_e32 v12, 0x80, v12
	s_mov_b64 s[6:7], -1
	s_branch .LBB449_807
.LBB449_805:
	s_mov_b64 s[6:7], 0
.LBB449_806:
                                        ; implicit-def: $vgpr12
.LBB449_807:
	s_andn2_b64 s[8:9], s[64:65], exec
	s_and_b64 s[2:3], s[2:3], exec
	s_or_b64 s[70:71], s[8:9], s[2:3]
	s_andn2_b64 s[2:3], s[62:63], exec
	s_and_b64 s[4:5], s[4:5], exec
	s_or_b64 s[2:3], s[2:3], s[4:5]
	s_orn2_b64 s[6:7], s[6:7], exec
.LBB449_808:
	s_or_b64 exec, exec, s[68:69]
	s_mov_b64 s[4:5], 0
	s_mov_b64 s[10:11], 0
	;; [unrolled: 1-line block ×3, first 2 shown]
                                        ; implicit-def: $vgpr2_vgpr3
                                        ; implicit-def: $vgpr0
                                        ; implicit-def: $vgpr6_vgpr7
	s_and_saveexec_b64 s[68:69], s[6:7]
	s_cbranch_execz .LBB449_904
; %bb.809:
	v_cmp_gt_i32_e32 vcc, s72, v12
	s_mov_b64 s[6:7], 0
	s_mov_b64 s[12:13], s[2:3]
                                        ; implicit-def: $vgpr2_vgpr3
                                        ; implicit-def: $vgpr0
                                        ; implicit-def: $vgpr6_vgpr7
	s_and_saveexec_b64 s[72:73], vcc
	s_cbranch_execz .LBB449_903
; %bb.810:
	s_andn2_b64 vcc, exec, s[42:43]
	s_cbranch_vccnz .LBB449_816
; %bb.811:
	s_andn2_b64 vcc, exec, s[54:55]
	s_cbranch_vccnz .LBB449_817
; %bb.812:
	s_add_i32 s78, s77, 1
	s_cmp_eq_u32 s74, 2
	s_cbranch_scc1 .LBB449_818
; %bb.813:
	s_and_b32 s77, s78, 28
	s_mov_b32 s79, 0
	v_mov_b32_e32 v0, 0
	v_mov_b32_e32 v2, 0
	s_mov_b64 s[54:55], s[34:35]
	s_waitcnt vmcnt(0)
	v_mov_b32_e32 v4, v12
.LBB449_814:                            ; =>This Inner Loop Header: Depth=1
	s_load_dwordx8 s[12:19], s[54:55], 0x4
	s_load_dwordx4 s[36:39], s[54:55], 0x24
	s_load_dwordx8 s[4:11], s[52:53], 0x0
	s_add_u32 s54, s54, 48
	s_addc_u32 s55, s55, 0
	s_waitcnt lgkmcnt(0)
	v_mul_hi_u32 v1, s13, v4
	v_add_u32_e32 v1, v4, v1
	v_lshrrev_b32_e32 v1, s14, v1
	v_mul_lo_u32 v3, v1, s12
	v_mul_hi_u32 v5, s16, v1
	v_sub_u32_e32 v3, v4, v3
	v_add_u32_e32 v4, v1, v5
	v_lshrrev_b32_e32 v4, s17, v4
	v_mul_lo_u32 v6, v4, s15
	v_mul_hi_u32 v7, s19, v4
	v_sub_u32_e32 v1, v1, v6
	v_add_u32_e32 v6, v4, v7
	v_mul_lo_u32 v5, v3, s5
	v_mul_lo_u32 v3, v3, s4
	;; [unrolled: 1-line block ×4, first 2 shown]
	v_lshrrev_b32_e32 v6, s36, v6
	v_add3_u32 v0, v3, v0, v1
	v_mul_hi_u32 v3, s38, v6
	v_add3_u32 v1, v5, v2, v7
	v_mul_lo_u32 v2, v6, s18
	v_add_u32_e32 v3, v6, v3
	v_sub_u32_e32 v2, v4, v2
	v_lshrrev_b32_e32 v4, s39, v3
	s_add_i32 s79, s79, 4
	v_mul_lo_u32 v3, v4, s37
	s_add_u32 s52, s52, 32
	v_sub_u32_e32 v3, v6, v3
	s_addc_u32 s53, s53, 0
	v_mul_lo_u32 v5, v2, s8
	v_mul_lo_u32 v2, v2, s9
	;; [unrolled: 1-line block ×4, first 2 shown]
	s_cmp_eq_u32 s77, s79
	v_add3_u32 v2, v2, v1, v3
	v_add3_u32 v0, v5, v0, v6
	s_cbranch_scc0 .LBB449_814
; %bb.815:
	v_mov_b32_e32 v1, v2
	s_branch .LBB449_819
.LBB449_816:
	s_mov_b64 s[4:5], -1
                                        ; implicit-def: $vgpr2
                                        ; implicit-def: $vgpr0
	s_branch .LBB449_823
.LBB449_817:
	v_mov_b32_e32 v2, 0
	v_mov_b32_e32 v0, 0
	s_branch .LBB449_822
.LBB449_818:
	v_mov_b32_e32 v0, 0
	s_mov_b32 s77, 0
	v_mov_b32_e32 v1, v0
                                        ; implicit-def: $vgpr2
	s_waitcnt vmcnt(0)
	v_mov_b32_e32 v4, v12
.LBB449_819:
	s_and_b32 s8, s78, 3
	s_cmp_eq_u32 s8, 0
	s_cbranch_scc1 .LBB449_822
; %bb.820:
	s_lshl_b32 s4, s77, 3
	s_add_u32 s4, s34, s4
	s_addc_u32 s5, s35, 0
	s_add_u32 s4, s4, 0xc4
	s_addc_u32 s5, s5, 0
	s_mul_i32 s6, s77, 12
	s_add_u32 s6, s34, s6
	s_addc_u32 s7, s35, 0
.LBB449_821:                            ; =>This Inner Loop Header: Depth=1
	s_load_dwordx2 s[10:11], s[6:7], 0x4
	s_load_dword s9, s[6:7], 0xc
	s_load_dwordx2 s[12:13], s[4:5], 0x0
	v_mov_b32_e32 v2, v1
	s_add_u32 s6, s6, 12
	s_waitcnt lgkmcnt(0)
	v_mul_hi_u32 v1, s11, v4
	v_add_u32_e32 v1, v4, v1
	v_lshrrev_b32_e32 v1, s9, v1
	s_addc_u32 s7, s7, 0
	v_mul_lo_u32 v3, v1, s10
	s_add_u32 s4, s4, 8
	v_sub_u32_e32 v5, v4, v3
	s_addc_u32 s5, s5, 0
	s_add_i32 s8, s8, -1
	v_mov_b32_e32 v4, v1
	v_mad_u64_u32 v[2:3], s[10:11], v5, s13, v[2:3]
	v_mad_u64_u32 v[0:1], s[10:11], v5, s12, v[0:1]
	s_cmp_lg_u32 s8, 0
	v_mov_b32_e32 v1, v2
	s_cbranch_scc1 .LBB449_821
.LBB449_822:
	s_mov_b64 s[4:5], 0
.LBB449_823:
	s_andn2_b64 vcc, exec, s[4:5]
	s_cbranch_vccnz .LBB449_826
; %bb.824:
	v_mul_hi_u32 v0, s25, v12
	v_add_u32_e32 v0, v12, v0
	v_lshrrev_b32_e32 v1, s26, v0
	v_mul_lo_u32 v0, v1, s24
	v_sub_u32_e32 v0, v12, v0
	v_mul_lo_u32 v2, v0, s29
	s_andn2_b64 vcc, exec, s[50:51]
	v_mul_lo_u32 v0, v0, s28
	s_cbranch_vccnz .LBB449_826
; %bb.825:
	v_mul_hi_u32 v3, s48, v1
	v_add_u32_e32 v3, v1, v3
	v_lshrrev_b32_e32 v3, s49, v3
	v_mul_lo_u32 v3, v3, s27
	v_sub_u32_e32 v3, v1, v3
	v_mad_u64_u32 v[0:1], s[4:5], v3, s30, v[0:1]
	v_mad_u64_u32 v[2:3], s[4:5], v3, s31, v[2:3]
.LBB449_826:
	v_mov_b32_e32 v3, 0
	s_and_b32 s12, 0xffff, s76
	s_cmp_lt_i32 s12, 11
	v_lshl_add_u64 v[2:3], s[22:23], 0, v[2:3]
	s_cbranch_scc1 .LBB449_833
; %bb.827:
	s_cmp_gt_i32 s12, 25
	s_mov_b64 s[6:7], 0
	s_cbranch_scc0 .LBB449_834
; %bb.828:
	s_cmp_gt_i32 s12, 28
	s_cbranch_scc0 .LBB449_835
; %bb.829:
	s_cmp_gt_i32 s12, 43
	;; [unrolled: 3-line block ×3, first 2 shown]
	s_cbranch_scc0 .LBB449_839
; %bb.831:
	s_cmp_eq_u32 s12, 46
	s_mov_b64 s[10:11], 0
	s_cbranch_scc0 .LBB449_842
; %bb.832:
	global_load_dword v1, v[2:3], off
	s_mov_b32 s4, 0x2f800000
	s_mov_b32 s5, 0xcf800000
	s_mov_b64 s[8:9], -1
	s_waitcnt vmcnt(0)
	v_lshlrev_b32_e32 v1, 16, v1
	v_trunc_f32_e32 v1, v1
	v_mul_f32_e64 v4, |v1|, s4
	v_floor_f32_e32 v4, v4
	v_fma_f32 v5, v4, s5, |v1|
	v_cvt_u32_f32_e32 v5, v5
	v_cvt_u32_f32_e32 v4, v4
	v_ashrrev_i32_e32 v1, 31, v1
	s_mov_b64 s[4:5], 0
	v_xor_b32_e32 v5, v5, v1
	v_xor_b32_e32 v4, v4, v1
	v_sub_co_u32_e32 v6, vcc, v5, v1
	s_nop 1
	v_subb_co_u32_e32 v7, vcc, v4, v1, vcc
	s_branch .LBB449_843
.LBB449_833:
	s_mov_b64 s[10:11], -1
	s_mov_b64 s[8:9], 0
	s_mov_b64 s[6:7], 0
	;; [unrolled: 1-line block ×3, first 2 shown]
                                        ; implicit-def: $vgpr6_vgpr7
	s_branch .LBB449_902
.LBB449_834:
	s_mov_b64 s[10:11], -1
	s_mov_b64 s[8:9], 0
	s_mov_b64 s[4:5], s[2:3]
                                        ; implicit-def: $vgpr6_vgpr7
	s_branch .LBB449_870
.LBB449_835:
	s_mov_b64 s[10:11], -1
	s_mov_b64 s[8:9], 0
	s_mov_b64 s[4:5], s[2:3]
                                        ; implicit-def: $vgpr6_vgpr7
	s_branch .LBB449_853
.LBB449_836:
	s_mov_b64 s[10:11], -1
	s_mov_b64 s[8:9], 0
	s_mov_b64 s[4:5], s[2:3]
                                        ; implicit-def: $vgpr6_vgpr7
	s_branch .LBB449_848
.LBB449_837:
	s_andn2_saveexec_b64 s[10:11], s[10:11]
	s_cbranch_execz .LBB449_716
.LBB449_838:
	s_mov_b32 s14, 0x46000000
	v_add_f32_e64 v5, |v4|, s14
	v_and_b32_e32 v5, 0xff, v5
	v_cmp_ne_u32_e32 vcc, 0, v5
	s_andn2_b64 s[8:9], s[8:9], exec
	s_and_b64 s[14:15], vcc, exec
	s_or_b64 s[8:9], s[8:9], s[14:15]
	s_or_b64 exec, exec, s[10:11]
	v_mov_b32_e32 v6, 0
	s_and_saveexec_b64 s[10:11], s[8:9]
	s_cbranch_execnz .LBB449_717
	s_branch .LBB449_718
.LBB449_839:
	s_mov_b64 s[10:11], -1
	s_mov_b64 s[8:9], 0
	s_mov_b64 s[4:5], s[2:3]
                                        ; implicit-def: $vgpr6_vgpr7
	s_branch .LBB449_843
.LBB449_840:
	s_andn2_saveexec_b64 s[10:11], s[10:11]
	s_cbranch_execz .LBB449_729
.LBB449_841:
	s_mov_b32 s14, 0x42800000
	v_add_f32_e64 v5, |v4|, s14
	v_and_b32_e32 v5, 0xff, v5
	v_cmp_ne_u32_e32 vcc, 0, v5
	s_andn2_b64 s[8:9], s[8:9], exec
	s_and_b64 s[14:15], vcc, exec
	s_or_b64 s[8:9], s[8:9], s[14:15]
	s_or_b64 exec, exec, s[10:11]
	v_mov_b32_e32 v6, 0
	s_and_saveexec_b64 s[10:11], s[8:9]
	s_cbranch_execnz .LBB449_730
	s_branch .LBB449_731
.LBB449_842:
	s_mov_b64 s[4:5], -1
                                        ; implicit-def: $vgpr6_vgpr7
	s_mov_b64 s[8:9], 0
.LBB449_843:
	s_and_b64 vcc, exec, s[10:11]
	s_cbranch_vccz .LBB449_847
; %bb.844:
	s_cmp_eq_u32 s12, 44
	s_cbranch_scc0 .LBB449_846
; %bb.845:
	global_load_ubyte v1, v[2:3], off
	s_mov_b32 s4, 0x2f800000
	s_mov_b32 s5, 0xcf800000
	s_mov_b64 s[8:9], -1
	s_waitcnt vmcnt(0)
	v_lshlrev_b32_e32 v4, 23, v1
	v_trunc_f32_e32 v4, v4
	v_mul_f32_e64 v5, |v4|, s4
	v_floor_f32_e32 v5, v5
	v_fma_f32 v6, v5, s5, |v4|
	v_cvt_u32_f32_e32 v6, v6
	v_cvt_u32_f32_e32 v5, v5
	v_ashrrev_i32_e32 v4, 31, v4
	s_mov_b64 s[4:5], 0
	v_xor_b32_e32 v6, v6, v4
	v_xor_b32_e32 v5, v5, v4
	v_sub_co_u32_e32 v6, vcc, v6, v4
	s_nop 1
	v_subb_co_u32_e32 v4, vcc, v5, v4, vcc
	v_cmp_ne_u32_e32 vcc, 0, v1
	s_nop 1
	v_cndmask_b32_e32 v7, 0, v4, vcc
	v_cndmask_b32_e32 v6, 0, v6, vcc
	s_branch .LBB449_847
.LBB449_846:
	s_mov_b64 s[4:5], -1
                                        ; implicit-def: $vgpr6_vgpr7
.LBB449_847:
	s_mov_b64 s[10:11], 0
.LBB449_848:
	s_and_b64 vcc, exec, s[10:11]
	s_cbranch_vccz .LBB449_852
; %bb.849:
	s_cmp_eq_u32 s12, 29
	s_cbranch_scc0 .LBB449_851
; %bb.850:
	global_load_dwordx2 v[6:7], v[2:3], off
	s_mov_b64 s[4:5], 0
	s_mov_b64 s[8:9], -1
	s_branch .LBB449_852
.LBB449_851:
	s_mov_b64 s[4:5], -1
                                        ; implicit-def: $vgpr6_vgpr7
.LBB449_852:
	s_mov_b64 s[10:11], 0
.LBB449_853:
	s_and_b64 vcc, exec, s[10:11]
	s_cbranch_vccz .LBB449_869
; %bb.854:
	s_cmp_lt_i32 s12, 27
	s_cbranch_scc1 .LBB449_857
; %bb.855:
	s_cmp_gt_i32 s12, 27
	s_cbranch_scc0 .LBB449_858
; %bb.856:
	global_load_dword v6, v[2:3], off
	s_waitcnt vmcnt(1)
	v_mov_b32_e32 v7, 0
	s_mov_b64 s[8:9], 0
	s_branch .LBB449_859
.LBB449_857:
	s_mov_b64 s[8:9], -1
                                        ; implicit-def: $vgpr6_vgpr7
	s_branch .LBB449_862
.LBB449_858:
	s_mov_b64 s[8:9], -1
                                        ; implicit-def: $vgpr6_vgpr7
.LBB449_859:
	s_andn2_b64 vcc, exec, s[8:9]
	s_cbranch_vccnz .LBB449_861
; %bb.860:
	global_load_ushort v1, v[2:3], off
	s_mov_b32 s8, 0
	s_waitcnt vmcnt(1)
	v_mov_b32_e32 v7, s8
	s_waitcnt vmcnt(0)
	v_and_b32_e32 v6, 0xffff, v1
.LBB449_861:
	s_mov_b64 s[8:9], 0
.LBB449_862:
	s_andn2_b64 vcc, exec, s[8:9]
	s_cbranch_vccnz .LBB449_868
; %bb.863:
	global_load_ubyte v1, v[2:3], off
	s_movk_i32 s8, 0x7f
	s_mov_b64 s[10:11], 0
	s_waitcnt vmcnt(0)
	v_cmp_lt_i16_e32 vcc, s8, v1
	s_and_saveexec_b64 s[8:9], vcc
	s_xor_b64 s[8:9], exec, s[8:9]
	s_cbranch_execz .LBB449_880
; %bb.864:
	s_movk_i32 s10, 0x80
	v_cmp_ne_u16_e32 vcc, s10, v1
	s_and_b64 s[10:11], vcc, exec
	s_andn2_saveexec_b64 s[8:9], s[8:9]
	s_cbranch_execnz .LBB449_881
.LBB449_865:
	s_or_b64 exec, exec, s[8:9]
	v_mov_b64_e32 v[6:7], 0
	s_and_saveexec_b64 s[8:9], s[10:11]
	s_cbranch_execz .LBB449_867
.LBB449_866:
	v_lshlrev_b32_e32 v4, 24, v1
	v_and_b32_e32 v1, 0xffff, v1
	v_and_b32_e32 v5, 7, v1
	v_ffbh_u32_e32 v7, v5
	v_min_u32_e32 v7, 32, v7
	v_subrev_u32_e32 v8, 28, v7
	v_bfe_u32 v6, v1, 3, 4
	v_lshlrev_b32_e32 v1, v8, v1
	v_sub_u32_e32 v7, 29, v7
	v_and_b32_e32 v1, 7, v1
	v_cmp_eq_u32_e32 vcc, 0, v6
	v_and_b32_e32 v4, 0x80000000, v4
	s_mov_b32 s10, 0x2f800000
	v_cndmask_b32_e32 v6, v6, v7, vcc
	v_cndmask_b32_e32 v1, v5, v1, vcc
	v_mov_b32_e32 v5, 0x3b800000
	v_lshlrev_b32_e32 v1, 20, v1
	v_lshl_add_u32 v5, v6, 23, v5
	v_or3_b32 v1, v4, v5, v1
	v_trunc_f32_e32 v1, v1
	v_mul_f32_e64 v4, |v1|, s10
	v_floor_f32_e32 v4, v4
	s_mov_b32 s10, 0xcf800000
	v_fma_f32 v5, v4, s10, |v1|
	v_cvt_u32_f32_e32 v5, v5
	v_cvt_u32_f32_e32 v4, v4
	v_ashrrev_i32_e32 v1, 31, v1
	v_xor_b32_e32 v5, v5, v1
	v_xor_b32_e32 v4, v4, v1
	v_sub_co_u32_e32 v6, vcc, v5, v1
	s_nop 1
	v_subb_co_u32_e32 v7, vcc, v4, v1, vcc
.LBB449_867:
	s_or_b64 exec, exec, s[8:9]
.LBB449_868:
	s_mov_b64 s[8:9], -1
.LBB449_869:
	s_mov_b64 s[10:11], 0
.LBB449_870:
	s_and_b64 vcc, exec, s[10:11]
	s_cbranch_vccz .LBB449_901
; %bb.871:
	s_cmp_gt_i32 s12, 22
	s_cbranch_scc0 .LBB449_879
; %bb.872:
	s_cmp_lt_i32 s12, 24
	s_cbranch_scc1 .LBB449_882
; %bb.873:
	s_cmp_gt_i32 s12, 24
	s_cbranch_scc0 .LBB449_883
; %bb.874:
	global_load_ubyte v1, v[2:3], off
	s_movk_i32 s6, 0x7f
	s_mov_b64 s[8:9], 0
	s_waitcnt vmcnt(0)
	v_cmp_lt_i16_e32 vcc, s6, v1
	s_and_saveexec_b64 s[6:7], vcc
	s_xor_b64 s[6:7], exec, s[6:7]
	s_cbranch_execz .LBB449_895
; %bb.875:
	s_movk_i32 s8, 0x80
	v_cmp_ne_u16_e32 vcc, s8, v1
	s_and_b64 s[8:9], vcc, exec
	s_andn2_saveexec_b64 s[6:7], s[6:7]
	s_cbranch_execnz .LBB449_896
.LBB449_876:
	s_or_b64 exec, exec, s[6:7]
	v_mov_b64_e32 v[6:7], 0
	s_and_saveexec_b64 s[6:7], s[8:9]
	s_cbranch_execz .LBB449_878
.LBB449_877:
	v_lshlrev_b32_e32 v4, 24, v1
	v_and_b32_e32 v1, 0xffff, v1
	v_and_b32_e32 v5, 3, v1
	v_ffbh_u32_e32 v7, v5
	v_min_u32_e32 v7, 32, v7
	v_subrev_u32_e32 v8, 29, v7
	v_bfe_u32 v6, v1, 2, 5
	v_lshlrev_b32_e32 v1, v8, v1
	v_sub_u32_e32 v7, 30, v7
	v_and_b32_e32 v1, 3, v1
	v_cmp_eq_u32_e32 vcc, 0, v6
	v_and_b32_e32 v4, 0x80000000, v4
	s_mov_b32 s8, 0x2f800000
	v_cndmask_b32_e32 v6, v6, v7, vcc
	v_cndmask_b32_e32 v1, v5, v1, vcc
	v_mov_b32_e32 v5, 0x37800000
	v_lshlrev_b32_e32 v1, 21, v1
	v_lshl_add_u32 v5, v6, 23, v5
	v_or3_b32 v1, v4, v5, v1
	v_trunc_f32_e32 v1, v1
	v_mul_f32_e64 v4, |v1|, s8
	v_floor_f32_e32 v4, v4
	s_mov_b32 s8, 0xcf800000
	v_fma_f32 v5, v4, s8, |v1|
	v_cvt_u32_f32_e32 v5, v5
	v_cvt_u32_f32_e32 v4, v4
	v_ashrrev_i32_e32 v1, 31, v1
	v_xor_b32_e32 v5, v5, v1
	v_xor_b32_e32 v4, v4, v1
	v_sub_co_u32_e32 v6, vcc, v5, v1
	s_nop 1
	v_subb_co_u32_e32 v7, vcc, v4, v1, vcc
.LBB449_878:
	s_or_b64 exec, exec, s[6:7]
	s_mov_b64 s[6:7], 0
	s_branch .LBB449_884
.LBB449_879:
	s_mov_b64 s[6:7], -1
                                        ; implicit-def: $vgpr6_vgpr7
	s_branch .LBB449_890
.LBB449_880:
	s_andn2_saveexec_b64 s[8:9], s[8:9]
	s_cbranch_execz .LBB449_865
.LBB449_881:
	v_cmp_ne_u16_e32 vcc, 0, v1
	s_andn2_b64 s[10:11], s[10:11], exec
	s_and_b64 s[14:15], vcc, exec
	s_or_b64 s[10:11], s[10:11], s[14:15]
	s_or_b64 exec, exec, s[8:9]
	v_mov_b64_e32 v[6:7], 0
	s_and_saveexec_b64 s[8:9], s[10:11]
	s_cbranch_execnz .LBB449_866
	s_branch .LBB449_867
.LBB449_882:
	s_mov_b64 s[6:7], -1
                                        ; implicit-def: $vgpr6_vgpr7
	s_branch .LBB449_887
.LBB449_883:
	s_mov_b64 s[6:7], -1
                                        ; implicit-def: $vgpr6_vgpr7
.LBB449_884:
	s_and_b64 vcc, exec, s[6:7]
	s_cbranch_vccz .LBB449_886
; %bb.885:
	global_load_ubyte v1, v[2:3], off
	s_mov_b32 s6, 0x7f800000
	s_brev_b32 s7, 1
	s_mov_b32 s8, 0x2f800000
	s_mov_b32 s9, 0xcf800000
	s_waitcnt vmcnt(0)
	v_lshlrev_b32_e32 v1, 24, v1
	v_and_b32_e32 v4, 0x7f000000, v1
	v_ffbh_u32_e32 v5, v4
	v_min_u32_e32 v5, 32, v5
	v_sub_u32_e64 v5, v5, 4 clamp
	v_lshlrev_b32_e32 v7, v5, v4
	v_lshlrev_b32_e32 v5, 23, v5
	v_lshrrev_b32_e32 v7, 4, v7
	v_add_u32_e32 v6, 0x1000000, v4
	v_sub_u32_e32 v5, v7, v5
	v_ashrrev_i32_e32 v6, 8, v6
	v_add_u32_e32 v5, 0x3c000000, v5
	v_and_or_b32 v5, v6, s6, v5
	v_cmp_ne_u32_e32 vcc, 0, v4
	s_nop 1
	v_cndmask_b32_e32 v4, 0, v5, vcc
	v_and_or_b32 v1, v1, s7, v4
	v_trunc_f32_e32 v1, v1
	v_mul_f32_e64 v4, |v1|, s8
	v_floor_f32_e32 v4, v4
	v_fma_f32 v5, v4, s9, |v1|
	v_cvt_u32_f32_e32 v5, v5
	v_cvt_u32_f32_e32 v4, v4
	v_ashrrev_i32_e32 v1, 31, v1
	v_xor_b32_e32 v5, v5, v1
	v_xor_b32_e32 v4, v4, v1
	v_sub_co_u32_e32 v6, vcc, v5, v1
	s_nop 1
	v_subb_co_u32_e32 v7, vcc, v4, v1, vcc
.LBB449_886:
	s_mov_b64 s[6:7], 0
.LBB449_887:
	s_andn2_b64 vcc, exec, s[6:7]
	s_cbranch_vccnz .LBB449_889
; %bb.888:
	global_load_ubyte v1, v[2:3], off
	s_movk_i32 s6, 0x7f00
	s_brev_b32 s7, 16
	s_brev_b32 s8, 1
	s_mov_b32 s9, 0x2f800000
	s_mov_b32 s10, 0xcf800000
	s_waitcnt vmcnt(0)
	v_lshlrev_b16_e32 v4, 8, v1
	v_lshlrev_b32_e32 v1, 25, v1
	v_lshrrev_b32_e32 v5, 4, v1
	v_and_or_b32 v6, v4, s6, 0.5
	v_or_b32_e32 v5, 0x70000000, v5
	v_add_f32_e32 v6, -0.5, v6
	v_mul_f32_e32 v5, 0x7800000, v5
	v_cmp_gt_u32_e32 vcc, s7, v1
	v_bfe_i32 v4, v4, 0, 16
	s_nop 0
	v_cndmask_b32_e32 v1, v5, v6, vcc
	v_and_or_b32 v1, v4, s8, v1
	v_trunc_f32_e32 v1, v1
	v_mul_f32_e64 v4, |v1|, s9
	v_floor_f32_e32 v4, v4
	v_fma_f32 v5, v4, s10, |v1|
	v_cvt_u32_f32_e32 v5, v5
	v_cvt_u32_f32_e32 v4, v4
	v_ashrrev_i32_e32 v1, 31, v1
	v_xor_b32_e32 v5, v5, v1
	v_xor_b32_e32 v4, v4, v1
	v_sub_co_u32_e32 v6, vcc, v5, v1
	s_nop 1
	v_subb_co_u32_e32 v7, vcc, v4, v1, vcc
.LBB449_889:
	s_mov_b64 s[6:7], 0
	s_mov_b64 s[8:9], -1
.LBB449_890:
	s_andn2_b64 vcc, exec, s[6:7]
	s_mov_b64 s[6:7], 0
	s_cbranch_vccnz .LBB449_901
; %bb.891:
	s_cmp_gt_i32 s12, 14
	s_cbranch_scc0 .LBB449_894
; %bb.892:
	s_cmp_eq_u32 s12, 15
	s_cbranch_scc0 .LBB449_897
; %bb.893:
	global_load_ushort v1, v[2:3], off
	s_mov_b32 s4, 0x2f800000
	s_mov_b32 s5, 0xcf800000
	s_mov_b64 s[8:9], -1
	s_waitcnt vmcnt(0)
	v_lshlrev_b32_e32 v1, 16, v1
	v_trunc_f32_e32 v1, v1
	v_mul_f32_e64 v4, |v1|, s4
	v_floor_f32_e32 v4, v4
	v_fma_f32 v5, v4, s5, |v1|
	v_cvt_u32_f32_e32 v5, v5
	v_cvt_u32_f32_e32 v4, v4
	v_ashrrev_i32_e32 v1, 31, v1
	s_mov_b64 s[4:5], 0
	v_xor_b32_e32 v5, v5, v1
	v_xor_b32_e32 v4, v4, v1
	v_sub_co_u32_e32 v6, vcc, v5, v1
	s_nop 1
	v_subb_co_u32_e32 v7, vcc, v4, v1, vcc
	s_branch .LBB449_898
.LBB449_894:
	s_mov_b64 s[10:11], -1
                                        ; implicit-def: $vgpr6_vgpr7
	s_branch .LBB449_899
.LBB449_895:
	s_andn2_saveexec_b64 s[6:7], s[6:7]
	s_cbranch_execz .LBB449_876
.LBB449_896:
	v_cmp_ne_u16_e32 vcc, 0, v1
	s_andn2_b64 s[8:9], s[8:9], exec
	s_and_b64 s[10:11], vcc, exec
	s_or_b64 s[8:9], s[8:9], s[10:11]
	s_or_b64 exec, exec, s[6:7]
	v_mov_b64_e32 v[6:7], 0
	s_and_saveexec_b64 s[6:7], s[8:9]
	s_cbranch_execnz .LBB449_877
	s_branch .LBB449_878
.LBB449_897:
	s_mov_b64 s[4:5], -1
                                        ; implicit-def: $vgpr6_vgpr7
.LBB449_898:
	s_mov_b64 s[10:11], 0
.LBB449_899:
	s_and_b64 vcc, exec, s[10:11]
	s_cbranch_vccz .LBB449_901
; %bb.900:
	s_cmp_lg_u32 s12, 11
	s_cselect_b64 s[10:11], -1, 0
	s_andn2_b64 s[4:5], s[4:5], exec
	s_and_b64 s[10:11], s[10:11], exec
	s_mov_b64 s[6:7], -1
	s_or_b64 s[4:5], s[4:5], s[10:11]
.LBB449_901:
	s_mov_b64 s[10:11], 0
.LBB449_902:
	s_andn2_b64 s[12:13], s[2:3], exec
	s_and_b64 s[4:5], s[4:5], exec
	s_and_b64 s[8:9], s[8:9], exec
	;; [unrolled: 1-line block ×4, first 2 shown]
	s_or_b64 s[12:13], s[12:13], s[4:5]
.LBB449_903:
	s_or_b64 exec, exec, s[72:73]
	s_and_b64 s[4:5], s[6:7], exec
	s_andn2_b64 s[2:3], s[2:3], exec
	s_and_b64 s[6:7], s[12:13], exec
	s_and_b64 s[8:9], s[8:9], exec
	;; [unrolled: 1-line block ×3, first 2 shown]
	s_or_b64 s[2:3], s[2:3], s[6:7]
.LBB449_904:
	s_or_b64 exec, exec, s[68:69]
	s_andn2_b64 s[6:7], s[64:65], exec
	s_and_b64 s[12:13], s[70:71], exec
	s_or_b64 s[64:65], s[6:7], s[12:13]
	s_and_b64 s[6:7], s[10:11], exec
	s_andn2_b64 s[10:11], s[62:63], exec
	s_and_b64 s[2:3], s[2:3], exec
	s_and_b64 s[8:9], s[8:9], exec
	;; [unrolled: 1-line block ×3, first 2 shown]
	s_or_b64 s[62:63], s[10:11], s[2:3]
.LBB449_905:
	s_or_b64 exec, exec, s[66:67]
	s_andn2_b64 s[2:3], s[56:57], exec
	s_and_b64 s[10:11], s[64:65], exec
	s_or_b64 s[56:57], s[2:3], s[10:11]
	s_and_b64 s[2:3], s[8:9], exec
	s_and_b64 s[8:9], s[6:7], exec
	;; [unrolled: 1-line block ×3, first 2 shown]
	s_andn2_b64 s[4:5], s[58:59], exec
	s_and_b64 s[6:7], s[62:63], exec
	s_or_b64 s[58:59], s[4:5], s[6:7]
	s_or_b64 exec, exec, s[60:61]
	s_mov_b64 s[4:5], 0
	s_and_saveexec_b64 s[6:7], s[58:59]
	s_cbranch_execz .LBB449_272
.LBB449_906:
	s_mov_b64 s[4:5], exec
	s_andn2_b64 s[64:65], s[64:65], exec
	s_trap 2
	s_or_b64 exec, exec, s[6:7]
	s_and_saveexec_b64 s[6:7], s[64:65]
	s_xor_b64 s[6:7], exec, s[6:7]
	s_cbranch_execnz .LBB449_273
.LBB449_907:
	s_or_b64 exec, exec, s[6:7]
	s_and_saveexec_b64 s[6:7], s[8:9]
	s_cbranch_execz .LBB449_953
.LBB449_908:
	s_sext_i32_i16 s8, s76
	s_cmp_lt_i32 s8, 5
	s_cbranch_scc1 .LBB449_913
; %bb.909:
	s_cmp_lt_i32 s8, 8
	s_cbranch_scc1 .LBB449_914
; %bb.910:
	s_cmp_lt_i32 s8, 9
	s_cbranch_scc1 .LBB449_915
; %bb.911:
	s_cmp_gt_i32 s8, 9
	s_cbranch_scc0 .LBB449_916
; %bb.912:
	global_load_dwordx2 v[4:5], v[2:3], off
	s_movk_i32 s8, 0xffe0
	s_waitcnt vmcnt(0)
	v_trunc_f64_e32 v[4:5], v[4:5]
	v_ldexp_f64 v[6:7], v[4:5], s8
	v_floor_f64_e32 v[8:9], v[6:7]
	v_fmac_f64_e32 v[4:5], 0xc1f00000, v[8:9]
	v_cvt_i32_f64_e32 v7, v[8:9]
	v_cvt_u32_f64_e32 v6, v[4:5]
	s_mov_b64 s[8:9], 0
	s_branch .LBB449_917
.LBB449_913:
                                        ; implicit-def: $vgpr6_vgpr7
	s_branch .LBB449_934
.LBB449_914:
                                        ; implicit-def: $vgpr6_vgpr7
	s_branch .LBB449_923
.LBB449_915:
	s_mov_b64 s[8:9], -1
                                        ; implicit-def: $vgpr6_vgpr7
	s_branch .LBB449_920
.LBB449_916:
	s_mov_b64 s[8:9], -1
                                        ; implicit-def: $vgpr6_vgpr7
.LBB449_917:
	s_andn2_b64 vcc, exec, s[8:9]
	s_cbranch_vccnz .LBB449_919
; %bb.918:
	global_load_dword v1, v[2:3], off
	s_mov_b32 s8, 0x2f800000
	s_mov_b32 s9, 0xcf800000
	s_waitcnt vmcnt(0)
	v_trunc_f32_e32 v1, v1
	v_mul_f32_e64 v4, |v1|, s8
	v_floor_f32_e32 v4, v4
	v_cvt_u32_f32_e32 v5, v4
	v_fma_f32 v4, v4, s9, |v1|
	v_cvt_u32_f32_e32 v4, v4
	v_ashrrev_i32_e32 v1, 31, v1
	v_xor_b32_e32 v5, v5, v1
	v_xor_b32_e32 v4, v4, v1
	v_sub_co_u32_e32 v6, vcc, v4, v1
	s_nop 1
	v_subb_co_u32_e32 v7, vcc, v5, v1, vcc
.LBB449_919:
	s_mov_b64 s[8:9], 0
.LBB449_920:
	s_andn2_b64 vcc, exec, s[8:9]
	s_cbranch_vccnz .LBB449_922
; %bb.921:
	global_load_dword v1, v[2:3], off
	s_waitcnt vmcnt(0)
	v_cvt_f32_f16_e32 v1, v1
	v_cvt_i32_f32_e32 v6, v1
	v_ashrrev_i32_e32 v7, 31, v6
.LBB449_922:
	s_cbranch_execnz .LBB449_933
.LBB449_923:
	s_sext_i32_i16 s8, s76
	s_cmp_lt_i32 s8, 6
	s_cbranch_scc1 .LBB449_926
; %bb.924:
	s_cmp_gt_i32 s8, 6
	s_cbranch_scc0 .LBB449_927
; %bb.925:
	global_load_dwordx2 v[4:5], v[2:3], off
	s_movk_i32 s8, 0xffe0
	s_waitcnt vmcnt(0)
	v_trunc_f64_e32 v[4:5], v[4:5]
	v_ldexp_f64 v[6:7], v[4:5], s8
	v_floor_f64_e32 v[8:9], v[6:7]
	v_fmac_f64_e32 v[4:5], 0xc1f00000, v[8:9]
	v_cvt_i32_f64_e32 v7, v[8:9]
	v_cvt_u32_f64_e32 v6, v[4:5]
	s_mov_b64 s[8:9], 0
	s_branch .LBB449_928
.LBB449_926:
	s_mov_b64 s[8:9], -1
                                        ; implicit-def: $vgpr6_vgpr7
	s_branch .LBB449_931
.LBB449_927:
	s_mov_b64 s[8:9], -1
                                        ; implicit-def: $vgpr6_vgpr7
.LBB449_928:
	s_andn2_b64 vcc, exec, s[8:9]
	s_cbranch_vccnz .LBB449_930
; %bb.929:
	global_load_dword v1, v[2:3], off
	s_mov_b32 s8, 0x2f800000
	s_mov_b32 s9, 0xcf800000
	s_waitcnt vmcnt(0)
	v_trunc_f32_e32 v1, v1
	v_mul_f32_e64 v4, |v1|, s8
	v_floor_f32_e32 v4, v4
	v_cvt_u32_f32_e32 v5, v4
	v_fma_f32 v4, v4, s9, |v1|
	v_cvt_u32_f32_e32 v4, v4
	v_ashrrev_i32_e32 v1, 31, v1
	v_xor_b32_e32 v5, v5, v1
	v_xor_b32_e32 v4, v4, v1
	v_sub_co_u32_e32 v6, vcc, v4, v1
	s_nop 1
	v_subb_co_u32_e32 v7, vcc, v5, v1, vcc
.LBB449_930:
	s_mov_b64 s[8:9], 0
.LBB449_931:
	s_andn2_b64 vcc, exec, s[8:9]
	s_cbranch_vccnz .LBB449_933
; %bb.932:
	global_load_ushort v1, v[2:3], off
	s_waitcnt vmcnt(0)
	v_cvt_f32_f16_e32 v1, v1
	v_cvt_i32_f32_e32 v6, v1
	v_ashrrev_i32_e32 v7, 31, v6
.LBB449_933:
	s_cbranch_execnz .LBB449_952
.LBB449_934:
	s_sext_i32_i16 s8, s76
	s_cmp_lt_i32 s8, 2
	s_cbranch_scc1 .LBB449_938
; %bb.935:
	s_cmp_lt_i32 s8, 3
	s_cbranch_scc1 .LBB449_939
; %bb.936:
	s_cmp_gt_i32 s8, 3
	s_cbranch_scc0 .LBB449_940
; %bb.937:
	global_load_dwordx2 v[6:7], v[2:3], off
	s_mov_b64 s[8:9], 0
	s_branch .LBB449_941
.LBB449_938:
                                        ; implicit-def: $vgpr6_vgpr7
	s_branch .LBB449_947
.LBB449_939:
	s_mov_b64 s[8:9], -1
                                        ; implicit-def: $vgpr6_vgpr7
	s_branch .LBB449_944
.LBB449_940:
	s_mov_b64 s[8:9], -1
                                        ; implicit-def: $vgpr6_vgpr7
.LBB449_941:
	s_andn2_b64 vcc, exec, s[8:9]
	s_cbranch_vccnz .LBB449_943
; %bb.942:
	global_load_dword v6, v[2:3], off
	s_waitcnt vmcnt(0)
	v_ashrrev_i32_e32 v7, 31, v6
.LBB449_943:
	s_mov_b64 s[8:9], 0
.LBB449_944:
	s_andn2_b64 vcc, exec, s[8:9]
	s_cbranch_vccnz .LBB449_946
; %bb.945:
	global_load_ushort v1, v[2:3], off
	s_waitcnt vmcnt(0)
	v_bfe_i32 v6, v1, 0, 16
	v_ashrrev_i32_e32 v7, 31, v6
.LBB449_946:
	s_cbranch_execnz .LBB449_952
.LBB449_947:
	s_sext_i32_i16 s8, s76
	s_cmp_gt_i32 s8, 0
	s_cbranch_scc0 .LBB449_949
; %bb.948:
	global_load_sbyte v1, v[2:3], off
	s_mov_b64 s[8:9], 0
	s_waitcnt vmcnt(0)
	v_bfe_i32 v6, v1, 0, 16
	v_ashrrev_i32_e32 v7, 31, v6
	s_branch .LBB449_950
.LBB449_949:
	s_mov_b64 s[8:9], -1
                                        ; implicit-def: $vgpr6_vgpr7
.LBB449_950:
	s_andn2_b64 vcc, exec, s[8:9]
	s_cbranch_vccnz .LBB449_952
; %bb.951:
	global_load_ubyte v1, v[2:3], off
	s_mov_b32 s8, 0
	s_waitcnt vmcnt(1)
	v_mov_b32_e32 v7, s8
	s_waitcnt vmcnt(0)
	v_and_b32_e32 v6, 0xffff, v1
.LBB449_952:
	s_or_b64 s[2:3], s[2:3], exec
.LBB449_953:
	s_or_b64 exec, exec, s[6:7]
	s_mov_b64 s[10:11], 0
	s_mov_b64 s[8:9], 0
                                        ; implicit-def: $sgpr16
                                        ; implicit-def: $vgpr4_vgpr5
                                        ; implicit-def: $vgpr2_vgpr3
	s_and_saveexec_b64 s[6:7], s[2:3]
	s_cbranch_execz .LBB449_961
; %bb.954:
	v_mov_b32_e32 v1, s47
	s_waitcnt vmcnt(0)
	v_cmp_gt_i64_e32 vcc, s[46:47], v[6:7]
	s_and_b32 s16, s75, 0xff
	s_cmp_lt_i32 s16, 11
	v_cndmask_b32_e32 v3, v1, v7, vcc
	v_mov_b32_e32 v1, s46
	v_cndmask_b32_e32 v2, v1, v6, vcc
	v_mov_b32_e32 v1, 0
	v_lshl_add_u64 v[4:5], s[20:21], 0, v[0:1]
	s_cbranch_scc1 .LBB449_964
; %bb.955:
	s_and_b32 s17, 0xffff, s16
	s_mov_b64 s[10:11], -1
	s_cmp_gt_i32 s17, 25
	s_mov_b64 s[2:3], s[56:57]
	s_cbranch_scc0 .LBB449_992
; %bb.956:
	s_mov_b64 s[8:9], -1
	s_cmp_gt_i32 s17, 28
	s_mov_b64 s[2:3], s[56:57]
	s_cbranch_scc0 .LBB449_976
; %bb.957:
	s_cmp_gt_i32 s17, 43
	s_mov_b64 s[2:3], s[56:57]
	s_cbranch_scc0 .LBB449_972
; %bb.958:
	;; [unrolled: 4-line block ×3, first 2 shown]
	s_cmp_eq_u32 s17, 46
	s_mov_b64 s[2:3], -1
	s_cbranch_scc0 .LBB449_965
; %bb.960:
	v_xor_b32_e32 v1, v2, v3
	v_ffbh_i32_e32 v0, v3
	v_ashrrev_i32_e32 v1, 31, v1
	v_add_u32_e32 v0, -1, v0
	v_add_u32_e32 v1, 32, v1
	v_min_u32_e32 v6, v0, v1
	v_lshlrev_b64 v[0:1], v6, v[2:3]
	v_min_u32_e32 v0, 1, v0
	v_or_b32_e32 v0, v1, v0
	v_cvt_f32_i32_e32 v0, v0
	v_sub_u32_e32 v1, 32, v6
	s_movk_i32 s2, 0x7fff
	s_mov_b64 s[8:9], 0
	v_ldexp_f32 v0, v0, v1
	v_bfe_u32 v1, v0, 16, 1
	v_add3_u32 v0, v0, v1, s2
	v_lshrrev_b32_e32 v0, 16, v0
	global_store_dword v[4:5], v0, off
	s_mov_b64 s[2:3], 0
	s_branch .LBB449_966
.LBB449_961:
	s_or_b64 exec, exec, s[6:7]
	s_and_saveexec_b64 s[2:3], s[56:57]
	s_cbranch_execnz .LBB449_1034
.LBB449_962:
	s_or_b64 exec, exec, s[2:3]
	s_and_saveexec_b64 s[2:3], s[10:11]
	s_xor_b64 s[2:3], exec, s[2:3]
	s_cbranch_execz .LBB449_1035
.LBB449_963:
	v_cmp_ne_u64_e32 vcc, 0, v[2:3]
	s_nop 1
	v_cndmask_b32_e64 v0, 0, 1, vcc
	s_waitcnt vmcnt(0)
	global_store_byte v[4:5], v0, off
	s_or_b64 exec, exec, s[2:3]
	s_and_saveexec_b64 s[2:3], s[8:9]
	s_xor_b64 s[2:3], exec, s[2:3]
	s_cbranch_execz .LBB449_1073
	s_branch .LBB449_1036
.LBB449_964:
	s_mov_b64 s[8:9], -1
	s_mov_b64 s[2:3], s[56:57]
	s_branch .LBB449_1033
.LBB449_965:
	s_mov_b64 s[8:9], 0
.LBB449_966:
	s_and_b64 vcc, exec, s[8:9]
	s_cbranch_vccz .LBB449_971
; %bb.967:
	s_cmp_eq_u32 s17, 44
	s_mov_b64 s[2:3], -1
	s_cbranch_scc0 .LBB449_971
; %bb.968:
	v_xor_b32_e32 v1, v2, v3
	v_ffbh_i32_e32 v0, v3
	v_ashrrev_i32_e32 v1, 31, v1
	v_add_u32_e32 v0, -1, v0
	v_add_u32_e32 v1, 32, v1
	v_min_u32_e32 v6, v0, v1
	v_lshlrev_b64 v[0:1], v6, v[2:3]
	v_min_u32_e32 v0, 1, v0
	v_or_b32_e32 v0, v1, v0
	v_cvt_f32_i32_e32 v0, v0
	v_sub_u32_e32 v1, 32, v6
	s_movk_i32 s2, 0xff
	v_mov_b32_e32 v6, 0xff
	v_ldexp_f32 v0, v0, v1
	v_bfe_u32 v1, v0, 23, 8
	v_cmp_ne_u32_e32 vcc, s2, v1
	s_and_saveexec_b64 s[8:9], vcc
; %bb.969:
	s_mov_b32 s2, 0x3fffff
	v_lshrrev_b32_e32 v6, 23, v0
	v_and_b32_e32 v7, 0x400000, v0
	v_and_or_b32 v0, v0, s2, v1
	v_cmp_ne_u32_e32 vcc, 0, v7
	v_cmp_ne_u32_e64 s[2:3], 0, v0
	s_and_b64 s[2:3], vcc, s[2:3]
	s_nop 0
	v_cndmask_b32_e64 v0, 0, 1, s[2:3]
	v_add_u32_e32 v6, v6, v0
; %bb.970:
	s_or_b64 exec, exec, s[8:9]
	s_mov_b64 s[2:3], 0
	global_store_byte v[4:5], v6, off
.LBB449_971:
	s_mov_b64 s[8:9], 0
.LBB449_972:
	s_and_b64 vcc, exec, s[8:9]
	s_cbranch_vccz .LBB449_975
; %bb.973:
	s_cmp_eq_u32 s17, 29
	s_mov_b64 s[2:3], -1
	s_cbranch_scc0 .LBB449_975
; %bb.974:
	global_store_dwordx2 v[4:5], v[2:3], off
	s_mov_b64 s[2:3], 0
.LBB449_975:
	s_mov_b64 s[8:9], 0
.LBB449_976:
	s_and_b64 vcc, exec, s[8:9]
	s_cbranch_vccz .LBB449_991
; %bb.977:
	s_cmp_lt_i32 s17, 27
	s_mov_b64 s[8:9], -1
	s_cbranch_scc1 .LBB449_983
; %bb.978:
	s_cmp_gt_i32 s17, 27
	s_cbranch_scc0 .LBB449_980
; %bb.979:
	s_mov_b64 s[8:9], 0
	global_store_dword v[4:5], v2, off
.LBB449_980:
	s_andn2_b64 vcc, exec, s[8:9]
	s_cbranch_vccnz .LBB449_982
; %bb.981:
	global_store_short v[4:5], v2, off
.LBB449_982:
	s_mov_b64 s[8:9], 0
.LBB449_983:
	s_andn2_b64 vcc, exec, s[8:9]
	s_cbranch_vccnz .LBB449_991
; %bb.984:
	v_xor_b32_e32 v1, v2, v3
	v_ffbh_i32_e32 v0, v3
	v_ashrrev_i32_e32 v1, 31, v1
	v_add_u32_e32 v0, -1, v0
	v_add_u32_e32 v1, 32, v1
	v_min_u32_e32 v6, v0, v1
	v_lshlrev_b64 v[0:1], v6, v[2:3]
	v_min_u32_e32 v0, 1, v0
	v_or_b32_e32 v0, v1, v0
	v_cvt_f32_i32_e32 v0, v0
	v_sub_u32_e32 v1, 32, v6
	s_mov_b32 s8, 0x43800000
	v_mov_b32_e32 v6, 0x80
	v_ldexp_f32 v0, v0, v1
	v_and_b32_e32 v1, 0x7fffffff, v0
	v_cmp_gt_u32_e32 vcc, s8, v1
	s_and_saveexec_b64 s[8:9], vcc
	s_cbranch_execz .LBB449_990
; %bb.985:
	s_mov_b32 s10, 0x3bffffff
	v_cmp_lt_u32_e32 vcc, s10, v1
	s_mov_b64 s[10:11], 0
                                        ; implicit-def: $vgpr1
	s_and_saveexec_b64 s[12:13], vcc
	s_xor_b64 s[12:13], exec, s[12:13]
	s_cbranch_execz .LBB449_1144
; %bb.986:
	v_bfe_u32 v1, v0, 20, 1
	s_mov_b32 s14, 0x487ffff
	v_add3_u32 v1, v0, v1, s14
	s_mov_b64 s[10:11], exec
	v_lshrrev_b32_e32 v1, 20, v1
	s_andn2_saveexec_b64 s[12:13], s[12:13]
	s_cbranch_execnz .LBB449_1145
.LBB449_987:
	s_or_b64 exec, exec, s[12:13]
	v_mov_b32_e32 v6, 0
	s_and_saveexec_b64 s[12:13], s[10:11]
.LBB449_988:
	v_lshrrev_b32_e32 v0, 24, v0
	s_movk_i32 s10, 0x80
	v_and_or_b32 v6, v0, s10, v1
.LBB449_989:
	s_or_b64 exec, exec, s[12:13]
.LBB449_990:
	s_or_b64 exec, exec, s[8:9]
	global_store_byte v[4:5], v6, off
.LBB449_991:
	s_mov_b64 s[10:11], 0
.LBB449_992:
	s_mov_b64 s[8:9], 0
	s_and_b64 vcc, exec, s[10:11]
	s_cbranch_vccz .LBB449_1032
; %bb.993:
	s_cmp_gt_i32 s17, 22
	s_mov_b64 s[10:11], -1
	s_cbranch_scc0 .LBB449_1025
; %bb.994:
	s_cmp_lt_i32 s17, 24
	s_cbranch_scc1 .LBB449_1014
; %bb.995:
	s_cmp_gt_i32 s17, 24
	s_cbranch_scc0 .LBB449_1003
; %bb.996:
	v_xor_b32_e32 v1, v2, v3
	v_ffbh_i32_e32 v0, v3
	v_ashrrev_i32_e32 v1, 31, v1
	v_add_u32_e32 v0, -1, v0
	v_add_u32_e32 v1, 32, v1
	v_min_u32_e32 v6, v0, v1
	v_lshlrev_b64 v[0:1], v6, v[2:3]
	v_min_u32_e32 v0, 1, v0
	v_or_b32_e32 v0, v1, v0
	v_cvt_f32_i32_e32 v0, v0
	v_sub_u32_e32 v1, 32, v6
	s_mov_b32 s10, 0x47800000
	v_mov_b32_e32 v6, 0x80
	v_ldexp_f32 v0, v0, v1
	v_and_b32_e32 v1, 0x7fffffff, v0
	v_cmp_gt_u32_e32 vcc, s10, v1
	s_and_saveexec_b64 s[10:11], vcc
	s_cbranch_execz .LBB449_1002
; %bb.997:
	s_mov_b32 s12, 0x37ffffff
	v_cmp_lt_u32_e32 vcc, s12, v1
	s_mov_b64 s[12:13], 0
                                        ; implicit-def: $vgpr1
	s_and_saveexec_b64 s[14:15], vcc
	s_xor_b64 s[14:15], exec, s[14:15]
	s_cbranch_execz .LBB449_1264
; %bb.998:
	v_bfe_u32 v1, v0, 21, 1
	s_mov_b32 s18, 0x88fffff
	v_add3_u32 v1, v0, v1, s18
	s_mov_b64 s[12:13], exec
	v_lshrrev_b32_e32 v1, 21, v1
	s_andn2_saveexec_b64 s[14:15], s[14:15]
	s_cbranch_execnz .LBB449_1265
.LBB449_999:
	s_or_b64 exec, exec, s[14:15]
	v_mov_b32_e32 v6, 0
	s_and_saveexec_b64 s[14:15], s[12:13]
.LBB449_1000:
	v_lshrrev_b32_e32 v0, 24, v0
	s_movk_i32 s12, 0x80
	v_and_or_b32 v6, v0, s12, v1
.LBB449_1001:
	s_or_b64 exec, exec, s[14:15]
.LBB449_1002:
	s_or_b64 exec, exec, s[10:11]
	s_mov_b64 s[10:11], 0
	global_store_byte v[4:5], v6, off
.LBB449_1003:
	s_and_b64 vcc, exec, s[10:11]
	s_cbranch_vccz .LBB449_1013
; %bb.1004:
	v_xor_b32_e32 v1, v2, v3
	v_ffbh_i32_e32 v0, v3
	v_ashrrev_i32_e32 v1, 31, v1
	v_add_u32_e32 v0, -1, v0
	v_add_u32_e32 v1, 32, v1
	v_min_u32_e32 v6, v0, v1
	v_lshlrev_b64 v[0:1], v6, v[2:3]
	v_min_u32_e32 v0, 1, v0
	v_or_b32_e32 v0, v1, v0
	v_cvt_f32_i32_e32 v0, v0
	v_sub_u32_e32 v1, 32, v6
	s_mov_b32 s10, 0x43f00000
	v_ldexp_f32 v0, v0, v1
	v_and_b32_e32 v6, 0x7fffffff, v0
	v_cmp_gt_u32_e32 vcc, s10, v6
                                        ; implicit-def: $vgpr1
	s_and_saveexec_b64 s[10:11], vcc
	s_xor_b64 s[10:11], exec, s[10:11]
	s_cbranch_execz .LBB449_1010
; %bb.1005:
	s_mov_b32 s12, 0x3c7fffff
	v_cmp_lt_u32_e32 vcc, s12, v6
                                        ; implicit-def: $vgpr1
	s_and_saveexec_b64 s[12:13], vcc
	s_xor_b64 s[12:13], exec, s[12:13]
; %bb.1006:
	v_bfe_u32 v1, v0, 20, 1
	s_mov_b32 s14, 0x407ffff
	v_add3_u32 v1, v0, v1, s14
	v_lshrrev_b32_e32 v6, 20, v1
	v_and_b32_e32 v1, 0xff00000, v1
	s_mov_b32 s14, 0x7f00000
	v_mov_b32_e32 v7, 0x7e
	v_cmp_ne_u32_e32 vcc, s14, v1
	s_nop 1
	v_cndmask_b32_e32 v1, v7, v6, vcc
; %bb.1007:
	s_andn2_saveexec_b64 s[12:13], s[12:13]
; %bb.1008:
	s_mov_b32 s14, 0x46800000
	v_add_f32_e64 v1, |v0|, s14
; %bb.1009:
	s_or_b64 exec, exec, s[12:13]
                                        ; implicit-def: $vgpr6
.LBB449_1010:
	s_andn2_saveexec_b64 s[10:11], s[10:11]
; %bb.1011:
	s_mov_b32 s12, 0x7f800000
	v_mov_b32_e32 v1, 0x7e
	v_mov_b32_e32 v7, 0x7f
	v_cmp_lt_u32_e32 vcc, s12, v6
	s_nop 1
	v_cndmask_b32_e32 v1, v1, v7, vcc
; %bb.1012:
	s_or_b64 exec, exec, s[10:11]
	v_lshrrev_b32_e32 v0, 24, v0
	s_movk_i32 s10, 0x80
	v_and_or_b32 v0, v0, s10, v1
	global_store_byte v[4:5], v0, off
.LBB449_1013:
	s_mov_b64 s[10:11], 0
.LBB449_1014:
	s_andn2_b64 vcc, exec, s[10:11]
	s_cbranch_vccnz .LBB449_1024
; %bb.1015:
	v_xor_b32_e32 v1, v2, v3
	v_ffbh_i32_e32 v0, v3
	v_ashrrev_i32_e32 v1, 31, v1
	v_add_u32_e32 v0, -1, v0
	v_add_u32_e32 v1, 32, v1
	v_min_u32_e32 v6, v0, v1
	v_lshlrev_b64 v[0:1], v6, v[2:3]
	v_min_u32_e32 v0, 1, v0
	v_or_b32_e32 v0, v1, v0
	v_cvt_f32_i32_e32 v0, v0
	v_sub_u32_e32 v1, 32, v6
	s_mov_b32 s10, 0x47800000
	v_ldexp_f32 v0, v0, v1
	v_and_b32_e32 v6, 0x7fffffff, v0
	v_cmp_gt_u32_e32 vcc, s10, v6
                                        ; implicit-def: $vgpr1
	s_and_saveexec_b64 s[10:11], vcc
	s_xor_b64 s[10:11], exec, s[10:11]
	s_cbranch_execz .LBB449_1021
; %bb.1016:
	s_mov_b32 s12, 0x387fffff
	v_cmp_lt_u32_e32 vcc, s12, v6
                                        ; implicit-def: $vgpr1
	s_and_saveexec_b64 s[12:13], vcc
	s_xor_b64 s[12:13], exec, s[12:13]
; %bb.1017:
	v_bfe_u32 v1, v0, 21, 1
	s_mov_b32 s14, 0x80fffff
	v_add3_u32 v1, v0, v1, s14
	v_lshrrev_b32_e32 v1, 21, v1
; %bb.1018:
	s_andn2_saveexec_b64 s[12:13], s[12:13]
; %bb.1019:
	s_mov_b32 s14, 0x43000000
	v_add_f32_e64 v1, |v0|, s14
; %bb.1020:
	s_or_b64 exec, exec, s[12:13]
                                        ; implicit-def: $vgpr6
.LBB449_1021:
	s_andn2_saveexec_b64 s[10:11], s[10:11]
; %bb.1022:
	s_mov_b32 s12, 0x7f800000
	v_mov_b32_e32 v1, 0x7c
	v_mov_b32_e32 v7, 0x7f
	v_cmp_lt_u32_e32 vcc, s12, v6
	s_nop 1
	v_cndmask_b32_e32 v1, v1, v7, vcc
; %bb.1023:
	s_or_b64 exec, exec, s[10:11]
	v_lshrrev_b32_e32 v0, 24, v0
	s_movk_i32 s10, 0x80
	v_and_or_b32 v0, v0, s10, v1
	global_store_byte v[4:5], v0, off
.LBB449_1024:
	s_mov_b64 s[10:11], 0
.LBB449_1025:
	s_andn2_b64 vcc, exec, s[10:11]
	s_mov_b64 s[10:11], 0
	s_cbranch_vccnz .LBB449_1033
; %bb.1026:
	s_cmp_gt_i32 s17, 14
	s_mov_b64 s[12:13], -1
	s_cbranch_scc0 .LBB449_1030
; %bb.1027:
	s_cmp_eq_u32 s17, 15
	s_mov_b64 s[2:3], -1
	s_cbranch_scc0 .LBB449_1029
; %bb.1028:
	v_xor_b32_e32 v1, v2, v3
	v_ffbh_i32_e32 v0, v3
	v_ashrrev_i32_e32 v1, 31, v1
	v_add_u32_e32 v0, -1, v0
	v_add_u32_e32 v1, 32, v1
	v_min_u32_e32 v6, v0, v1
	v_lshlrev_b64 v[0:1], v6, v[2:3]
	v_min_u32_e32 v0, 1, v0
	v_or_b32_e32 v0, v1, v0
	v_cvt_f32_i32_e32 v0, v0
	v_sub_u32_e32 v1, 32, v6
	s_movk_i32 s2, 0x7fff
	v_ldexp_f32 v0, v0, v1
	v_bfe_u32 v1, v0, 16, 1
	v_add3_u32 v0, v0, v1, s2
	global_store_short_d16_hi v[4:5], v0, off
	s_mov_b64 s[2:3], 0
.LBB449_1029:
	s_mov_b64 s[12:13], 0
.LBB449_1030:
	s_and_b64 vcc, exec, s[12:13]
	s_cbranch_vccz .LBB449_1033
; %bb.1031:
	s_cmp_lg_u32 s17, 11
	s_cselect_b64 s[12:13], -1, 0
	s_andn2_b64 s[2:3], s[2:3], exec
	s_and_b64 s[12:13], s[12:13], exec
	s_mov_b64 s[10:11], -1
	s_or_b64 s[2:3], s[2:3], s[12:13]
	s_branch .LBB449_1033
.LBB449_1032:
	s_mov_b64 s[10:11], 0
.LBB449_1033:
	s_andn2_b64 s[12:13], s[56:57], exec
	s_and_b64 s[2:3], s[2:3], exec
	s_and_b64 s[8:9], s[8:9], exec
	;; [unrolled: 1-line block ×3, first 2 shown]
	s_or_b64 s[56:57], s[12:13], s[2:3]
	s_or_b64 exec, exec, s[6:7]
	s_and_saveexec_b64 s[2:3], s[56:57]
	s_cbranch_execz .LBB449_962
.LBB449_1034:
	s_or_b64 s[4:5], s[4:5], exec
	s_andn2_b64 s[10:11], s[10:11], exec
	s_trap 2
	s_or_b64 exec, exec, s[2:3]
	s_and_saveexec_b64 s[2:3], s[10:11]
	s_xor_b64 s[2:3], exec, s[2:3]
	s_cbranch_execnz .LBB449_963
.LBB449_1035:
	s_or_b64 exec, exec, s[2:3]
	s_and_saveexec_b64 s[2:3], s[8:9]
	s_xor_b64 s[2:3], exec, s[2:3]
	s_cbranch_execz .LBB449_1073
.LBB449_1036:
	s_sext_i32_i16 s8, s16
	s_cmp_lt_i32 s8, 5
	s_mov_b64 s[6:7], -1
	s_cbranch_scc1 .LBB449_1057
; %bb.1037:
	s_cmp_lt_i32 s8, 8
	s_cbranch_scc1 .LBB449_1047
; %bb.1038:
	s_cmp_lt_i32 s8, 9
	s_cbranch_scc1 .LBB449_1044
; %bb.1039:
	s_cmp_gt_i32 s8, 9
	s_cbranch_scc0 .LBB449_1041
; %bb.1040:
	v_cvt_f64_i32_e32 v[0:1], v3
	v_ldexp_f64 v[0:1], v[0:1], 32
	s_waitcnt vmcnt(0)
	v_cvt_f64_u32_e32 v[6:7], v2
	v_mov_b32_e32 v8, 0
	v_add_f64 v[6:7], v[0:1], v[6:7]
	v_mov_b32_e32 v9, v8
	s_mov_b64 s[6:7], 0
	global_store_dwordx4 v[4:5], v[6:9], off
.LBB449_1041:
	s_andn2_b64 vcc, exec, s[6:7]
	s_cbranch_vccnz .LBB449_1043
; %bb.1042:
	v_xor_b32_e32 v1, v2, v3
	v_ffbh_i32_e32 v0, v3
	v_ashrrev_i32_e32 v1, 31, v1
	v_add_u32_e32 v0, -1, v0
	v_add_u32_e32 v1, 32, v1
	s_waitcnt vmcnt(0)
	v_min_u32_e32 v6, v0, v1
	v_lshlrev_b64 v[0:1], v6, v[2:3]
	v_min_u32_e32 v0, 1, v0
	v_or_b32_e32 v0, v1, v0
	v_cvt_f32_i32_e32 v0, v0
	v_sub_u32_e32 v1, 32, v6
	v_ldexp_f32 v0, v0, v1
	v_mov_b32_e32 v1, 0
	global_store_dwordx2 v[4:5], v[0:1], off
.LBB449_1043:
	s_mov_b64 s[6:7], 0
.LBB449_1044:
	s_andn2_b64 vcc, exec, s[6:7]
	s_cbranch_vccnz .LBB449_1046
; %bb.1045:
	v_xor_b32_e32 v1, v2, v3
	v_ffbh_i32_e32 v0, v3
	v_ashrrev_i32_e32 v1, 31, v1
	v_add_u32_e32 v0, -1, v0
	v_add_u32_e32 v1, 32, v1
	s_waitcnt vmcnt(0)
	v_min_u32_e32 v6, v0, v1
	v_lshlrev_b64 v[0:1], v6, v[2:3]
	v_min_u32_e32 v0, 1, v0
	v_or_b32_e32 v0, v1, v0
	v_cvt_f32_i32_e32 v0, v0
	v_sub_u32_e32 v1, 32, v6
	v_ldexp_f32 v0, v0, v1
	v_cvt_f16_f32_e32 v0, v0
	global_store_dword v[4:5], v0, off
.LBB449_1046:
	s_mov_b64 s[6:7], 0
.LBB449_1047:
	s_andn2_b64 vcc, exec, s[6:7]
	s_cbranch_vccnz .LBB449_1056
; %bb.1048:
	s_sext_i32_i16 s8, s16
	s_cmp_lt_i32 s8, 6
	s_mov_b64 s[6:7], -1
	s_cbranch_scc1 .LBB449_1054
; %bb.1049:
	s_cmp_gt_i32 s8, 6
	s_cbranch_scc0 .LBB449_1051
; %bb.1050:
	v_cvt_f64_i32_e32 v[0:1], v3
	v_ldexp_f64 v[0:1], v[0:1], 32
	s_waitcnt vmcnt(0)
	v_cvt_f64_u32_e32 v[6:7], v2
	v_add_f64 v[0:1], v[0:1], v[6:7]
	s_mov_b64 s[6:7], 0
	global_store_dwordx2 v[4:5], v[0:1], off
.LBB449_1051:
	s_andn2_b64 vcc, exec, s[6:7]
	s_cbranch_vccnz .LBB449_1053
; %bb.1052:
	v_xor_b32_e32 v1, v2, v3
	v_ffbh_i32_e32 v0, v3
	v_ashrrev_i32_e32 v1, 31, v1
	v_add_u32_e32 v0, -1, v0
	v_add_u32_e32 v1, 32, v1
	s_waitcnt vmcnt(0)
	v_min_u32_e32 v6, v0, v1
	v_lshlrev_b64 v[0:1], v6, v[2:3]
	v_min_u32_e32 v0, 1, v0
	v_or_b32_e32 v0, v1, v0
	v_cvt_f32_i32_e32 v0, v0
	v_sub_u32_e32 v1, 32, v6
	v_ldexp_f32 v0, v0, v1
	global_store_dword v[4:5], v0, off
.LBB449_1053:
	s_mov_b64 s[6:7], 0
.LBB449_1054:
	s_andn2_b64 vcc, exec, s[6:7]
	s_cbranch_vccnz .LBB449_1056
; %bb.1055:
	v_xor_b32_e32 v1, v2, v3
	v_ffbh_i32_e32 v0, v3
	v_ashrrev_i32_e32 v1, 31, v1
	v_add_u32_e32 v0, -1, v0
	v_add_u32_e32 v1, 32, v1
	s_waitcnt vmcnt(0)
	v_min_u32_e32 v6, v0, v1
	v_lshlrev_b64 v[0:1], v6, v[2:3]
	v_min_u32_e32 v0, 1, v0
	v_or_b32_e32 v0, v1, v0
	v_cvt_f32_i32_e32 v0, v0
	v_sub_u32_e32 v1, 32, v6
	v_ldexp_f32 v0, v0, v1
	v_cvt_f16_f32_e32 v0, v0
	global_store_short v[4:5], v0, off
.LBB449_1056:
	s_mov_b64 s[6:7], 0
.LBB449_1057:
	s_andn2_b64 vcc, exec, s[6:7]
	s_cbranch_vccnz .LBB449_1073
; %bb.1058:
	s_sext_i32_i16 s8, s16
	s_cmp_lt_i32 s8, 2
	s_mov_b64 s[6:7], -1
	s_cbranch_scc1 .LBB449_1068
; %bb.1059:
	s_cmp_lt_i32 s8, 3
	s_cbranch_scc1 .LBB449_1065
; %bb.1060:
	s_cmp_gt_i32 s8, 3
	s_cbranch_scc0 .LBB449_1062
; %bb.1061:
	s_mov_b64 s[6:7], 0
	s_waitcnt vmcnt(0)
	global_store_dwordx2 v[4:5], v[2:3], off
.LBB449_1062:
	s_andn2_b64 vcc, exec, s[6:7]
	s_cbranch_vccnz .LBB449_1064
; %bb.1063:
	s_waitcnt vmcnt(0)
	global_store_dword v[4:5], v2, off
.LBB449_1064:
	s_mov_b64 s[6:7], 0
.LBB449_1065:
	s_andn2_b64 vcc, exec, s[6:7]
	s_cbranch_vccnz .LBB449_1067
; %bb.1066:
	s_waitcnt vmcnt(0)
	global_store_short v[4:5], v2, off
.LBB449_1067:
	s_mov_b64 s[6:7], 0
.LBB449_1068:
	s_andn2_b64 vcc, exec, s[6:7]
	s_cbranch_vccnz .LBB449_1073
; %bb.1069:
	s_sext_i32_i16 s6, s16
	s_cmp_gt_i32 s6, 0
	s_mov_b64 s[6:7], -1
	s_cbranch_scc0 .LBB449_1071
; %bb.1070:
	s_mov_b64 s[6:7], 0
	s_waitcnt vmcnt(0)
	global_store_byte v[4:5], v2, off
.LBB449_1071:
	s_andn2_b64 vcc, exec, s[6:7]
	s_cbranch_vccnz .LBB449_1073
; %bb.1072:
	s_waitcnt vmcnt(0)
	global_store_byte v[4:5], v2, off
.LBB449_1073:
	s_or_b64 exec, exec, s[2:3]
	s_and_b64 s[24:25], s[4:5], exec
                                        ; implicit-def: $vgpr16
                                        ; implicit-def: $vgpr12
.LBB449_1074:
	s_or_saveexec_b64 s[26:27], s[44:45]
	s_mov_b64 s[6:7], 0
                                        ; implicit-def: $vgpr0_vgpr1
                                        ; implicit-def: $sgpr16
                                        ; implicit-def: $vgpr2_vgpr3
	s_xor_b64 exec, exec, s[26:27]
	s_cbranch_execz .LBB449_2061
; %bb.1075:
	v_cndmask_b32_e64 v0, 0, 1, s[42:43]
	v_cmp_ne_u32_e64 s[2:3], 1, v0
	s_andn2_b64 vcc, exec, s[42:43]
	s_cbranch_vccnz .LBB449_1081
; %bb.1076:
	s_cmp_lg_u32 s33, 0
	s_mov_b32 s36, 0
	s_cbranch_scc0 .LBB449_1082
; %bb.1077:
	s_min_u32 s37, s74, 15
	s_add_i32 s37, s37, 1
	s_cmp_eq_u32 s74, 2
	s_cbranch_scc1 .LBB449_1083
; %bb.1078:
	s_and_b32 s36, s37, 28
	s_add_u32 s28, s34, 0xc4
	s_addc_u32 s29, s35, 0
	s_mov_b32 s38, 0
	s_waitcnt vmcnt(0)
	v_mov_b32_e32 v6, 0
	v_mov_b32_e32 v8, 0
	s_mov_b64 s[30:31], s[34:35]
	v_mov_b32_e32 v0, v12
.LBB449_1079:                           ; =>This Inner Loop Header: Depth=1
	s_load_dwordx8 s[12:19], s[30:31], 0x4
	s_load_dwordx4 s[20:23], s[30:31], 0x24
	s_load_dwordx8 s[4:11], s[28:29], 0x0
	s_add_u32 s30, s30, 48
	s_addc_u32 s31, s31, 0
	s_waitcnt lgkmcnt(0)
	v_mul_hi_u32 v1, s13, v0
	v_add_u32_e32 v1, v0, v1
	v_lshrrev_b32_e32 v1, s14, v1
	v_mul_lo_u32 v2, v1, s12
	v_mul_hi_u32 v3, s16, v1
	v_sub_u32_e32 v0, v0, v2
	v_add_u32_e32 v2, v1, v3
	v_lshrrev_b32_e32 v2, s17, v2
	v_mul_lo_u32 v4, v2, s15
	v_mul_hi_u32 v5, s19, v2
	v_sub_u32_e32 v1, v1, v4
	v_add_u32_e32 v4, v2, v5
	v_mul_lo_u32 v3, v0, s5
	v_mul_lo_u32 v0, v0, s4
	;; [unrolled: 1-line block ×4, first 2 shown]
	v_lshrrev_b32_e32 v4, s20, v4
	v_add3_u32 v1, v0, v6, v1
	v_add3_u32 v3, v3, v8, v5
	v_mul_lo_u32 v0, v4, s18
	v_mul_hi_u32 v5, s22, v4
	v_sub_u32_e32 v0, v2, v0
	v_add_u32_e32 v2, v4, v5
	v_mul_lo_u32 v5, v0, s8
	v_mul_lo_u32 v6, v0, s9
	v_lshrrev_b32_e32 v0, s23, v2
	s_add_i32 s38, s38, 4
	v_mul_lo_u32 v2, v0, s21
	s_add_u32 s28, s28, 32
	v_sub_u32_e32 v2, v4, v2
	s_addc_u32 s29, s29, 0
	v_mul_lo_u32 v4, v2, s10
	v_mul_lo_u32 v2, v2, s11
	s_cmp_lg_u32 s36, s38
	v_add3_u32 v8, v6, v3, v2
	v_add3_u32 v6, v5, v1, v4
	s_cbranch_scc1 .LBB449_1079
; %bb.1080:
	v_mov_b32_e32 v1, v8
	s_and_b32 s8, s37, 3
	s_cmp_eq_u32 s8, 0
	s_cbranch_scc0 .LBB449_1084
	s_branch .LBB449_1086
.LBB449_1081:
                                        ; implicit-def: $vgpr8
                                        ; implicit-def: $vgpr6
	s_branch .LBB449_1087
.LBB449_1082:
	v_mov_b32_e32 v8, 0
	s_waitcnt vmcnt(0)
	v_mov_b32_e32 v6, 0
	s_branch .LBB449_1086
.LBB449_1083:
	s_waitcnt vmcnt(0)
	v_mov_b32_e32 v6, 0
                                        ; implicit-def: $vgpr8
	v_mov_b32_e32 v1, v6
	v_mov_b32_e32 v0, v12
	s_and_b32 s8, s37, 3
	s_cmp_eq_u32 s8, 0
	s_cbranch_scc1 .LBB449_1086
.LBB449_1084:
	s_lshl_b32 s4, s36, 3
	s_add_u32 s4, s34, s4
	s_addc_u32 s5, s35, 0
	s_add_u32 s4, s4, 0xc4
	s_addc_u32 s5, s5, 0
	s_mul_i32 s6, s36, 12
	s_add_u32 s6, s34, s6
	s_addc_u32 s7, s35, 0
.LBB449_1085:                           ; =>This Inner Loop Header: Depth=1
	s_load_dwordx2 s[10:11], s[6:7], 0x4
	s_load_dword s9, s[6:7], 0xc
	s_load_dwordx2 s[12:13], s[4:5], 0x0
	v_mov_b32_e32 v2, v1
	s_add_u32 s6, s6, 12
	s_waitcnt lgkmcnt(0)
	v_mul_hi_u32 v1, s11, v0
	v_add_u32_e32 v1, v0, v1
	v_lshrrev_b32_e32 v1, s9, v1
	s_addc_u32 s7, s7, 0
	v_mul_lo_u32 v3, v1, s10
	s_add_u32 s4, s4, 8
	v_sub_u32_e32 v3, v0, v3
	s_addc_u32 s5, s5, 0
	s_add_i32 s8, s8, -1
	v_mad_u64_u32 v[8:9], s[10:11], v3, s13, v[2:3]
	s_cmp_lg_u32 s8, 0
	v_mov_b32_e32 v0, v1
	v_mad_u64_u32 v[6:7], s[10:11], v3, s12, v[6:7]
	v_mov_b32_e32 v1, v8
	s_cbranch_scc1 .LBB449_1085
.LBB449_1086:
	s_cbranch_execnz .LBB449_1089
.LBB449_1087:
	s_load_dwordx4 s[4:7], s[34:35], 0x4
	s_load_dwordx2 s[8:9], s[34:35], 0xc4
	s_cmp_lt_u32 s33, 2
	s_waitcnt lgkmcnt(0)
	v_mul_hi_u32 v0, s5, v12
	v_add_u32_e32 v0, v12, v0
	v_lshrrev_b32_e32 v0, s6, v0
	v_mul_lo_u32 v1, v0, s4
	v_sub_u32_e32 v1, v12, v1
	v_mul_lo_u32 v8, v1, s9
	s_waitcnt vmcnt(0)
	v_mul_lo_u32 v6, v1, s8
	s_cbranch_scc1 .LBB449_1089
; %bb.1088:
	s_load_dwordx4 s[4:7], s[34:35], 0x10
	s_load_dwordx2 s[8:9], s[34:35], 0xcc
	s_waitcnt lgkmcnt(0)
	v_mul_hi_u32 v1, s5, v0
	v_add_u32_e32 v1, v0, v1
	v_lshrrev_b32_e32 v1, s6, v1
	v_mul_lo_u32 v1, v1, s4
	v_sub_u32_e32 v0, v0, v1
	v_mad_u64_u32 v[6:7], s[4:5], v0, s8, v[6:7]
	v_mad_u64_u32 v[8:9], s[4:5], v0, s9, v[8:9]
.LBB449_1089:
	s_and_b64 vcc, exec, s[2:3]
	v_add_u32_e32 v0, 0x80, v12
	s_cbranch_vccnz .LBB449_1095
; %bb.1090:
	s_cmp_lg_u32 s33, 0
	s_mov_b32 s36, 0
	s_cbranch_scc0 .LBB449_1096
; %bb.1091:
	s_min_u32 s37, s74, 15
	s_add_i32 s37, s37, 1
	s_cmp_eq_u32 s74, 2
	s_cbranch_scc1 .LBB449_1097
; %bb.1092:
	s_and_b32 s36, s37, 28
	s_add_u32 s28, s34, 0xc4
	s_addc_u32 s29, s35, 0
	s_mov_b32 s38, 0
	s_waitcnt vmcnt(0)
	v_mov_b32_e32 v4, 0
	v_mov_b32_e32 v10, 0
	s_mov_b64 s[30:31], s[34:35]
	v_mov_b32_e32 v2, v0
.LBB449_1093:                           ; =>This Inner Loop Header: Depth=1
	s_load_dwordx8 s[12:19], s[30:31], 0x4
	s_load_dwordx4 s[20:23], s[30:31], 0x24
	s_load_dwordx8 s[4:11], s[28:29], 0x0
	s_add_u32 s30, s30, 48
	s_addc_u32 s31, s31, 0
	s_waitcnt lgkmcnt(0)
	v_mul_hi_u32 v1, s13, v2
	v_add_u32_e32 v1, v2, v1
	v_lshrrev_b32_e32 v1, s14, v1
	v_mul_lo_u32 v3, v1, s12
	v_mul_hi_u32 v5, s16, v1
	v_sub_u32_e32 v2, v2, v3
	v_add_u32_e32 v3, v1, v5
	v_lshrrev_b32_e32 v3, s17, v3
	v_mul_lo_u32 v7, v3, s15
	v_mul_hi_u32 v9, s19, v3
	v_sub_u32_e32 v1, v1, v7
	v_add_u32_e32 v7, v3, v9
	v_mul_lo_u32 v5, v2, s5
	v_mul_lo_u32 v2, v2, s4
	;; [unrolled: 1-line block ×4, first 2 shown]
	v_lshrrev_b32_e32 v7, s20, v7
	v_add3_u32 v1, v2, v4, v1
	v_add3_u32 v4, v5, v10, v9
	v_mul_lo_u32 v2, v7, s18
	v_mul_hi_u32 v5, s22, v7
	v_sub_u32_e32 v2, v3, v2
	v_add_u32_e32 v3, v7, v5
	v_mul_lo_u32 v5, v2, s8
	v_mul_lo_u32 v9, v2, s9
	v_lshrrev_b32_e32 v2, s23, v3
	s_add_i32 s38, s38, 4
	v_mul_lo_u32 v3, v2, s21
	s_add_u32 s28, s28, 32
	v_sub_u32_e32 v3, v7, v3
	s_addc_u32 s29, s29, 0
	v_mul_lo_u32 v7, v3, s10
	v_mul_lo_u32 v3, v3, s11
	s_cmp_lg_u32 s36, s38
	v_add3_u32 v10, v9, v4, v3
	v_add3_u32 v4, v5, v1, v7
	s_cbranch_scc1 .LBB449_1093
; %bb.1094:
	v_mov_b32_e32 v1, v10
	s_and_b32 s8, s37, 3
	s_cmp_eq_u32 s8, 0
	s_cbranch_scc0 .LBB449_1098
	s_branch .LBB449_1100
.LBB449_1095:
                                        ; implicit-def: $vgpr10
                                        ; implicit-def: $vgpr4
	s_branch .LBB449_1101
.LBB449_1096:
	v_mov_b32_e32 v10, 0
	s_waitcnt vmcnt(0)
	v_mov_b32_e32 v4, 0
	s_branch .LBB449_1100
.LBB449_1097:
	s_waitcnt vmcnt(0)
	v_mov_b32_e32 v4, 0
                                        ; implicit-def: $vgpr10
	v_mov_b32_e32 v1, v4
	v_mov_b32_e32 v2, v0
	s_and_b32 s8, s37, 3
	s_cmp_eq_u32 s8, 0
	s_cbranch_scc1 .LBB449_1100
.LBB449_1098:
	s_lshl_b32 s4, s36, 3
	s_add_u32 s4, s34, s4
	s_addc_u32 s5, s35, 0
	s_add_u32 s4, s4, 0xc4
	s_addc_u32 s5, s5, 0
	s_mul_i32 s6, s36, 12
	s_add_u32 s6, s34, s6
	s_addc_u32 s7, s35, 0
.LBB449_1099:                           ; =>This Inner Loop Header: Depth=1
	s_load_dwordx2 s[10:11], s[6:7], 0x4
	s_load_dword s9, s[6:7], 0xc
	s_load_dwordx2 s[12:13], s[4:5], 0x0
	v_mov_b32_e32 v10, v1
	s_add_u32 s6, s6, 12
	s_waitcnt lgkmcnt(0)
	v_mul_hi_u32 v1, s11, v2
	v_add_u32_e32 v1, v2, v1
	v_lshrrev_b32_e32 v1, s9, v1
	s_addc_u32 s7, s7, 0
	v_mul_lo_u32 v3, v1, s10
	s_add_u32 s4, s4, 8
	v_sub_u32_e32 v3, v2, v3
	s_addc_u32 s5, s5, 0
	s_add_i32 s8, s8, -1
	v_mad_u64_u32 v[10:11], s[10:11], v3, s13, v[10:11]
	s_cmp_lg_u32 s8, 0
	v_mov_b32_e32 v2, v1
	v_mad_u64_u32 v[4:5], s[10:11], v3, s12, v[4:5]
	v_mov_b32_e32 v1, v10
	s_cbranch_scc1 .LBB449_1099
.LBB449_1100:
	s_cbranch_execnz .LBB449_1103
.LBB449_1101:
	s_load_dwordx4 s[4:7], s[34:35], 0x4
	s_load_dwordx2 s[8:9], s[34:35], 0xc4
	s_cmp_lt_u32 s33, 2
	s_waitcnt lgkmcnt(0)
	v_mul_hi_u32 v1, s5, v0
	v_add_u32_e32 v1, v0, v1
	v_lshrrev_b32_e32 v1, s6, v1
	v_mul_lo_u32 v2, v1, s4
	v_sub_u32_e32 v0, v0, v2
	v_mul_lo_u32 v10, v0, s9
	s_waitcnt vmcnt(0)
	v_mul_lo_u32 v4, v0, s8
	s_cbranch_scc1 .LBB449_1103
; %bb.1102:
	s_load_dwordx4 s[4:7], s[34:35], 0x10
	s_load_dwordx2 s[8:9], s[34:35], 0xcc
	s_waitcnt lgkmcnt(0)
	v_mul_hi_u32 v0, s5, v1
	v_add_u32_e32 v0, v1, v0
	v_lshrrev_b32_e32 v0, s6, v0
	v_mul_lo_u32 v0, v0, s4
	v_sub_u32_e32 v0, v1, v0
	v_mad_u64_u32 v[4:5], s[4:5], v0, s8, v[4:5]
	v_mad_u64_u32 v[10:11], s[4:5], v0, s9, v[10:11]
.LBB449_1103:
	s_and_b64 vcc, exec, s[2:3]
	v_add_u32_e32 v0, 0x100, v12
	s_cbranch_vccnz .LBB449_1109
; %bb.1104:
	s_cmp_lg_u32 s33, 0
	s_mov_b32 s36, 0
	s_cbranch_scc0 .LBB449_1110
; %bb.1105:
	s_min_u32 s37, s74, 15
	s_add_i32 s37, s37, 1
	s_cmp_eq_u32 s74, 2
	s_cbranch_scc1 .LBB449_1111
; %bb.1106:
	s_and_b32 s36, s37, 28
	s_add_u32 s28, s34, 0xc4
	s_addc_u32 s29, s35, 0
	s_mov_b32 s38, 0
	v_mov_b32_e32 v2, 0
	v_mov_b32_e32 v12, 0
	s_mov_b64 s[30:31], s[34:35]
	s_waitcnt vmcnt(0)
	v_mov_b32_e32 v5, v0
.LBB449_1107:                           ; =>This Inner Loop Header: Depth=1
	s_load_dwordx8 s[12:19], s[30:31], 0x4
	s_load_dwordx4 s[20:23], s[30:31], 0x24
	s_load_dwordx8 s[4:11], s[28:29], 0x0
	s_add_u32 s30, s30, 48
	s_addc_u32 s31, s31, 0
	s_waitcnt lgkmcnt(0)
	v_mul_hi_u32 v1, s13, v5
	v_add_u32_e32 v1, v5, v1
	v_lshrrev_b32_e32 v1, s14, v1
	v_mul_lo_u32 v3, v1, s12
	v_mul_hi_u32 v7, s16, v1
	v_sub_u32_e32 v3, v5, v3
	v_add_u32_e32 v5, v1, v7
	v_lshrrev_b32_e32 v5, s17, v5
	v_mul_lo_u32 v9, v5, s15
	v_mul_hi_u32 v11, s19, v5
	v_sub_u32_e32 v1, v1, v9
	v_add_u32_e32 v9, v5, v11
	v_mul_lo_u32 v7, v3, s5
	v_mul_lo_u32 v3, v3, s4
	;; [unrolled: 1-line block ×4, first 2 shown]
	v_lshrrev_b32_e32 v9, s20, v9
	v_add3_u32 v1, v3, v2, v1
	v_add3_u32 v2, v7, v12, v11
	v_mul_lo_u32 v3, v9, s18
	v_mul_hi_u32 v7, s22, v9
	v_sub_u32_e32 v3, v5, v3
	v_add_u32_e32 v5, v9, v7
	v_lshrrev_b32_e32 v5, s23, v5
	s_add_i32 s38, s38, 4
	v_mul_lo_u32 v11, v5, s21
	s_add_u32 s28, s28, 32
	v_sub_u32_e32 v9, v9, v11
	s_addc_u32 s29, s29, 0
	v_mul_lo_u32 v7, v3, s8
	v_mul_lo_u32 v3, v3, s9
	v_mul_lo_u32 v11, v9, s10
	v_mul_lo_u32 v9, v9, s11
	s_cmp_lg_u32 s36, s38
	v_add3_u32 v12, v3, v2, v9
	v_add3_u32 v2, v7, v1, v11
	s_cbranch_scc1 .LBB449_1107
; %bb.1108:
	v_mov_b32_e32 v1, v12
	s_and_b32 s8, s37, 3
	s_cmp_eq_u32 s8, 0
	s_cbranch_scc0 .LBB449_1112
	s_branch .LBB449_1114
.LBB449_1109:
                                        ; implicit-def: $vgpr12
                                        ; implicit-def: $vgpr2
	s_branch .LBB449_1115
.LBB449_1110:
	v_mov_b32_e32 v12, 0
	v_mov_b32_e32 v2, 0
	s_branch .LBB449_1114
.LBB449_1111:
	v_mov_b32_e32 v2, 0
                                        ; implicit-def: $vgpr12
	v_mov_b32_e32 v1, v2
	s_waitcnt vmcnt(0)
	v_mov_b32_e32 v5, v0
	s_and_b32 s8, s37, 3
	s_cmp_eq_u32 s8, 0
	s_cbranch_scc1 .LBB449_1114
.LBB449_1112:
	s_lshl_b32 s4, s36, 3
	s_add_u32 s4, s34, s4
	s_addc_u32 s5, s35, 0
	s_add_u32 s4, s4, 0xc4
	s_addc_u32 s5, s5, 0
	s_mul_i32 s6, s36, 12
	s_add_u32 s6, s34, s6
	s_addc_u32 s7, s35, 0
.LBB449_1113:                           ; =>This Inner Loop Header: Depth=1
	s_load_dwordx2 s[10:11], s[6:7], 0x4
	s_load_dword s9, s[6:7], 0xc
	s_load_dwordx2 s[12:13], s[4:5], 0x0
	v_mov_b32_e32 v12, v1
	s_add_u32 s6, s6, 12
	s_waitcnt lgkmcnt(0)
	v_mul_hi_u32 v1, s11, v5
	v_add_u32_e32 v1, v5, v1
	v_lshrrev_b32_e32 v1, s9, v1
	s_addc_u32 s7, s7, 0
	v_mul_lo_u32 v3, v1, s10
	s_add_u32 s4, s4, 8
	v_sub_u32_e32 v3, v5, v3
	s_addc_u32 s5, s5, 0
	s_add_i32 s8, s8, -1
	v_mad_u64_u32 v[12:13], s[10:11], v3, s13, v[12:13]
	s_cmp_lg_u32 s8, 0
	v_mov_b32_e32 v5, v1
	v_mad_u64_u32 v[2:3], s[10:11], v3, s12, v[2:3]
	v_mov_b32_e32 v1, v12
	s_cbranch_scc1 .LBB449_1113
.LBB449_1114:
	s_cbranch_execnz .LBB449_1117
.LBB449_1115:
	s_load_dwordx4 s[4:7], s[34:35], 0x4
	s_load_dwordx2 s[8:9], s[34:35], 0xc4
	s_cmp_lt_u32 s33, 2
	s_waitcnt lgkmcnt(0)
	v_mul_hi_u32 v1, s5, v0
	v_add_u32_e32 v1, v0, v1
	v_lshrrev_b32_e32 v1, s6, v1
	v_mul_lo_u32 v2, v1, s4
	v_sub_u32_e32 v0, v0, v2
	v_mul_lo_u32 v12, v0, s9
	v_mul_lo_u32 v2, v0, s8
	s_cbranch_scc1 .LBB449_1117
; %bb.1116:
	s_load_dwordx4 s[4:7], s[34:35], 0x10
	s_load_dwordx2 s[8:9], s[34:35], 0xcc
	s_waitcnt lgkmcnt(0)
	v_mul_hi_u32 v0, s5, v1
	v_add_u32_e32 v0, v1, v0
	v_lshrrev_b32_e32 v0, s6, v0
	v_mul_lo_u32 v0, v0, s4
	v_sub_u32_e32 v0, v1, v0
	v_mad_u64_u32 v[2:3], s[4:5], v0, s8, v[2:3]
	v_mad_u64_u32 v[12:13], s[4:5], v0, s9, v[12:13]
.LBB449_1117:
	s_and_b64 vcc, exec, s[2:3]
	s_cbranch_vccnz .LBB449_1123
; %bb.1118:
	s_cmp_lg_u32 s33, 0
	s_mov_b32 s30, 0
	s_cbranch_scc0 .LBB449_1124
; %bb.1119:
	s_min_u32 s31, s74, 15
	s_add_i32 s31, s31, 1
	s_cmp_eq_u32 s74, 2
	s_cbranch_scc1 .LBB449_1125
; %bb.1120:
	s_and_b32 s30, s31, 28
	s_add_u32 s2, s34, 0xc4
	s_addc_u32 s3, s35, 0
	s_mov_b32 s36, 0
	v_mov_b32_e32 v0, 0
	v_mov_b32_e32 v14, 0
	s_mov_b64 s[28:29], s[34:35]
	v_mov_b32_e32 v3, v16
.LBB449_1121:                           ; =>This Inner Loop Header: Depth=1
	s_load_dwordx8 s[12:19], s[28:29], 0x4
	s_load_dwordx4 s[20:23], s[28:29], 0x24
	s_load_dwordx8 s[4:11], s[2:3], 0x0
	s_add_u32 s28, s28, 48
	s_addc_u32 s29, s29, 0
	s_waitcnt lgkmcnt(0)
	v_mul_hi_u32 v1, s13, v3
	v_add_u32_e32 v1, v3, v1
	v_lshrrev_b32_e32 v1, s14, v1
	s_waitcnt vmcnt(0)
	v_mul_lo_u32 v5, v1, s12
	v_mul_hi_u32 v7, s16, v1
	v_sub_u32_e32 v3, v3, v5
	v_add_u32_e32 v5, v1, v7
	v_lshrrev_b32_e32 v5, s17, v5
	v_mul_lo_u32 v9, v5, s15
	v_mul_hi_u32 v11, s19, v5
	v_sub_u32_e32 v1, v1, v9
	v_add_u32_e32 v9, v5, v11
	v_mul_lo_u32 v7, v3, s5
	v_mul_lo_u32 v3, v3, s4
	;; [unrolled: 1-line block ×4, first 2 shown]
	v_lshrrev_b32_e32 v9, s20, v9
	v_add3_u32 v0, v3, v0, v1
	v_add3_u32 v1, v7, v14, v11
	v_mul_lo_u32 v3, v9, s18
	v_mul_hi_u32 v7, s22, v9
	v_sub_u32_e32 v3, v5, v3
	v_add_u32_e32 v5, v9, v7
	v_mul_lo_u32 v7, v3, s8
	v_mul_lo_u32 v11, v3, s9
	v_lshrrev_b32_e32 v3, s23, v5
	s_add_i32 s36, s36, 4
	v_mul_lo_u32 v5, v3, s21
	s_add_u32 s2, s2, 32
	v_sub_u32_e32 v5, v9, v5
	s_addc_u32 s3, s3, 0
	v_mul_lo_u32 v9, v5, s10
	v_mul_lo_u32 v5, v5, s11
	s_cmp_lg_u32 s30, s36
	v_add3_u32 v14, v11, v1, v5
	v_add3_u32 v0, v7, v0, v9
	s_cbranch_scc1 .LBB449_1121
; %bb.1122:
	v_mov_b32_e32 v1, v14
	s_and_b32 s6, s31, 3
	s_cmp_eq_u32 s6, 0
	s_cbranch_scc0 .LBB449_1126
	s_branch .LBB449_1128
.LBB449_1123:
                                        ; implicit-def: $vgpr14
                                        ; implicit-def: $vgpr0
	s_branch .LBB449_1129
.LBB449_1124:
	v_mov_b32_e32 v14, 0
	v_mov_b32_e32 v0, 0
	s_branch .LBB449_1128
.LBB449_1125:
	v_mov_b32_e32 v0, 0
                                        ; implicit-def: $vgpr14
	v_mov_b32_e32 v1, v0
	v_mov_b32_e32 v3, v16
	s_and_b32 s6, s31, 3
	s_cmp_eq_u32 s6, 0
	s_cbranch_scc1 .LBB449_1128
.LBB449_1126:
	s_lshl_b32 s2, s30, 3
	s_add_u32 s2, s34, s2
	s_addc_u32 s3, s35, 0
	s_add_u32 s2, s2, 0xc4
	s_addc_u32 s3, s3, 0
	s_mul_i32 s4, s30, 12
	s_add_u32 s4, s34, s4
	s_addc_u32 s5, s35, 0
.LBB449_1127:                           ; =>This Inner Loop Header: Depth=1
	s_load_dwordx2 s[8:9], s[4:5], 0x4
	s_load_dword s7, s[4:5], 0xc
	s_load_dwordx2 s[10:11], s[2:3], 0x0
	v_mov_b32_e32 v14, v1
	s_add_u32 s4, s4, 12
	s_waitcnt lgkmcnt(0)
	v_mul_hi_u32 v1, s9, v3
	v_add_u32_e32 v1, v3, v1
	v_lshrrev_b32_e32 v1, s7, v1
	s_addc_u32 s5, s5, 0
	s_waitcnt vmcnt(0)
	v_mul_lo_u32 v5, v1, s8
	s_add_u32 s2, s2, 8
	v_sub_u32_e32 v5, v3, v5
	s_addc_u32 s3, s3, 0
	s_add_i32 s6, s6, -1
	v_mov_b32_e32 v3, v1
	v_mad_u64_u32 v[14:15], s[8:9], v5, s11, v[14:15]
	v_mad_u64_u32 v[0:1], s[8:9], v5, s10, v[0:1]
	s_cmp_lg_u32 s6, 0
	v_mov_b32_e32 v1, v14
	s_cbranch_scc1 .LBB449_1127
.LBB449_1128:
	s_cbranch_execnz .LBB449_1131
.LBB449_1129:
	s_load_dwordx4 s[4:7], s[34:35], 0x4
	s_load_dwordx2 s[2:3], s[34:35], 0xc4
	s_cmp_lt_u32 s33, 2
	s_waitcnt lgkmcnt(0)
	v_mul_hi_u32 v0, s5, v16
	v_add_u32_e32 v0, v16, v0
	v_lshrrev_b32_e32 v1, s6, v0
	v_mul_lo_u32 v0, v1, s4
	v_sub_u32_e32 v0, v16, v0
	v_mul_lo_u32 v14, v0, s3
	v_mul_lo_u32 v0, v0, s2
	s_cbranch_scc1 .LBB449_1131
; %bb.1130:
	s_load_dwordx4 s[4:7], s[34:35], 0x10
	s_load_dwordx2 s[2:3], s[34:35], 0xcc
	s_waitcnt lgkmcnt(0)
	v_mul_hi_u32 v3, s5, v1
	v_add_u32_e32 v3, v1, v3
	v_lshrrev_b32_e32 v3, s6, v3
	v_mul_lo_u32 v3, v3, s4
	v_sub_u32_e32 v3, v1, v3
	v_mad_u64_u32 v[0:1], s[4:5], v3, s2, v[0:1]
	v_mad_u64_u32 v[14:15], s[2:3], v3, s3, v[14:15]
.LBB449_1131:
	s_load_dword s12, s[0:1], 0x168
	s_load_dwordx4 s[4:7], s[34:35], 0x148
	v_mov_b32_e32 v9, 0
	s_waitcnt lgkmcnt(0)
	s_bfe_u32 s13, s12, 0x80008
	s_cmp_lt_i32 s13, 11
	v_lshl_add_u64 v[16:17], s[6:7], 0, v[8:9]
	s_cbranch_scc1 .LBB449_1138
; %bb.1132:
	s_and_b32 s14, 0xffff, s13
	s_cmp_gt_i32 s14, 25
	s_mov_b64 s[8:9], 0
	s_cbranch_scc0 .LBB449_1140
; %bb.1133:
	s_cmp_gt_i32 s14, 28
	s_cbranch_scc0 .LBB449_1141
; %bb.1134:
	s_cmp_gt_i32 s14, 43
	;; [unrolled: 3-line block ×3, first 2 shown]
	s_cbranch_scc0 .LBB449_1143
; %bb.1136:
	s_cmp_eq_u32 s14, 46
	s_mov_b64 s[2:3], 0
	s_cbranch_scc0 .LBB449_1146
; %bb.1137:
	global_load_dword v1, v[16:17], off
	s_mov_b32 s0, 0x2f800000
	s_mov_b32 s1, 0xcf800000
	s_mov_b64 s[10:11], -1
	s_waitcnt vmcnt(0)
	v_lshlrev_b32_e32 v1, 16, v1
	v_trunc_f32_e32 v1, v1
	v_mul_f32_e64 v3, |v1|, s0
	v_floor_f32_e32 v3, v3
	v_fma_f32 v5, v3, s1, |v1|
	v_cvt_u32_f32_e32 v5, v5
	v_cvt_u32_f32_e32 v3, v3
	v_ashrrev_i32_e32 v1, 31, v1
	s_mov_b64 s[0:1], 0
	v_xor_b32_e32 v5, v5, v1
	v_xor_b32_e32 v3, v3, v1
	v_sub_co_u32_e32 v8, vcc, v5, v1
	s_nop 1
	v_subb_co_u32_e32 v9, vcc, v3, v1, vcc
	s_branch .LBB449_1147
.LBB449_1138:
	s_mov_b64 s[10:11], 0
                                        ; implicit-def: $vgpr8_vgpr9
	s_mov_b64 s[2:3], s[24:25]
	s_cbranch_execnz .LBB449_1205
.LBB449_1139:
	s_andn2_b64 vcc, exec, s[10:11]
	s_cbranch_vccz .LBB449_1250
	s_branch .LBB449_2059
.LBB449_1140:
	s_mov_b64 s[10:11], 0
	s_mov_b64 s[0:1], 0
                                        ; implicit-def: $vgpr8_vgpr9
	s_cbranch_execnz .LBB449_1172
	s_branch .LBB449_1201
.LBB449_1141:
	s_mov_b64 s[10:11], 0
	s_mov_b64 s[0:1], 0
                                        ; implicit-def: $vgpr8_vgpr9
	s_cbranch_execz .LBB449_1171
	s_branch .LBB449_1156
.LBB449_1142:
	s_mov_b64 s[10:11], 0
	s_mov_b64 s[0:1], 0
                                        ; implicit-def: $vgpr8_vgpr9
	s_cbranch_execnz .LBB449_1152
	s_branch .LBB449_1155
.LBB449_1143:
	s_mov_b64 s[2:3], -1
	s_mov_b64 s[10:11], 0
	s_mov_b64 s[0:1], 0
                                        ; implicit-def: $vgpr8_vgpr9
	s_branch .LBB449_1147
.LBB449_1144:
	s_andn2_saveexec_b64 s[12:13], s[12:13]
	s_cbranch_execz .LBB449_987
.LBB449_1145:
	s_mov_b32 s14, 0x46000000
	v_add_f32_e64 v1, |v0|, s14
	v_and_b32_e32 v1, 0xff, v1
	v_cmp_ne_u32_e32 vcc, 0, v1
	s_andn2_b64 s[10:11], s[10:11], exec
	s_and_b64 s[14:15], vcc, exec
	s_or_b64 s[10:11], s[10:11], s[14:15]
	s_or_b64 exec, exec, s[12:13]
	v_mov_b32_e32 v6, 0
	s_and_saveexec_b64 s[12:13], s[10:11]
	s_cbranch_execnz .LBB449_988
	s_branch .LBB449_989
.LBB449_1146:
	s_mov_b64 s[0:1], -1
                                        ; implicit-def: $vgpr8_vgpr9
	s_mov_b64 s[10:11], 0
.LBB449_1147:
	s_and_b64 vcc, exec, s[2:3]
	s_cbranch_vccz .LBB449_1150
; %bb.1148:
	s_cmp_eq_u32 s14, 44
	s_cbranch_scc0 .LBB449_1151
; %bb.1149:
	global_load_ubyte v1, v[16:17], off
	s_mov_b32 s0, 0x2f800000
	s_mov_b32 s1, 0xcf800000
	s_mov_b64 s[10:11], -1
	s_waitcnt vmcnt(0)
	v_lshlrev_b32_e32 v3, 23, v1
	v_trunc_f32_e32 v3, v3
	v_mul_f32_e64 v5, |v3|, s0
	v_floor_f32_e32 v5, v5
	v_fma_f32 v7, v5, s1, |v3|
	v_cvt_u32_f32_e32 v7, v7
	v_cvt_u32_f32_e32 v5, v5
	v_ashrrev_i32_e32 v3, 31, v3
	s_mov_b64 s[0:1], 0
	v_xor_b32_e32 v7, v7, v3
	v_xor_b32_e32 v5, v5, v3
	v_sub_co_u32_e32 v7, vcc, v7, v3
	s_nop 1
	v_subb_co_u32_e32 v3, vcc, v5, v3, vcc
	v_cmp_ne_u32_e32 vcc, 0, v1
	s_nop 1
	v_cndmask_b32_e32 v9, 0, v3, vcc
	v_cndmask_b32_e32 v8, 0, v7, vcc
.LBB449_1150:
	s_branch .LBB449_1155
.LBB449_1151:
	s_mov_b64 s[0:1], -1
                                        ; implicit-def: $vgpr8_vgpr9
	s_branch .LBB449_1155
.LBB449_1152:
	s_cmp_eq_u32 s14, 29
	s_cbranch_scc0 .LBB449_1154
; %bb.1153:
	global_load_dwordx2 v[8:9], v[16:17], off
	s_mov_b64 s[0:1], 0
	s_mov_b64 s[10:11], -1
	s_branch .LBB449_1155
.LBB449_1154:
	s_mov_b64 s[0:1], -1
                                        ; implicit-def: $vgpr8_vgpr9
.LBB449_1155:
	s_branch .LBB449_1171
.LBB449_1156:
	s_cmp_lt_i32 s14, 27
	s_cbranch_scc1 .LBB449_1159
; %bb.1157:
	s_cmp_gt_i32 s14, 27
	s_cbranch_scc0 .LBB449_1160
; %bb.1158:
	global_load_dword v8, v[16:17], off
	s_waitcnt vmcnt(1)
	v_mov_b32_e32 v9, 0
	s_mov_b64 s[2:3], 0
	s_branch .LBB449_1161
.LBB449_1159:
	s_mov_b64 s[2:3], -1
                                        ; implicit-def: $vgpr8_vgpr9
	s_branch .LBB449_1164
.LBB449_1160:
	s_mov_b64 s[2:3], -1
                                        ; implicit-def: $vgpr8_vgpr9
.LBB449_1161:
	s_andn2_b64 vcc, exec, s[2:3]
	s_cbranch_vccnz .LBB449_1163
; %bb.1162:
	global_load_ushort v1, v[16:17], off
	s_mov_b32 s2, 0
	s_waitcnt vmcnt(1)
	v_mov_b32_e32 v9, s2
	s_waitcnt vmcnt(0)
	v_and_b32_e32 v8, 0xffff, v1
.LBB449_1163:
	s_mov_b64 s[2:3], 0
.LBB449_1164:
	s_andn2_b64 vcc, exec, s[2:3]
	s_cbranch_vccnz .LBB449_1170
; %bb.1165:
	global_load_ubyte v1, v[16:17], off
	s_movk_i32 s2, 0x7f
	s_mov_b64 s[10:11], 0
	s_waitcnt vmcnt(0)
	v_cmp_lt_i16_e32 vcc, s2, v1
	s_and_saveexec_b64 s[2:3], vcc
	s_xor_b64 s[2:3], exec, s[2:3]
	s_cbranch_execz .LBB449_1181
; %bb.1166:
	s_movk_i32 s10, 0x80
	v_cmp_ne_u16_e32 vcc, s10, v1
	s_and_b64 s[10:11], vcc, exec
	s_andn2_saveexec_b64 s[2:3], s[2:3]
	s_cbranch_execnz .LBB449_1182
.LBB449_1167:
	s_or_b64 exec, exec, s[2:3]
	v_mov_b64_e32 v[8:9], 0
	s_and_saveexec_b64 s[2:3], s[10:11]
	s_cbranch_execz .LBB449_1169
.LBB449_1168:
	v_lshlrev_b32_e32 v3, 24, v1
	v_and_b32_e32 v1, 0xffff, v1
	v_and_b32_e32 v5, 7, v1
	v_ffbh_u32_e32 v8, v5
	v_min_u32_e32 v8, 32, v8
	v_subrev_u32_e32 v9, 28, v8
	v_bfe_u32 v7, v1, 3, 4
	v_lshlrev_b32_e32 v1, v9, v1
	v_sub_u32_e32 v8, 29, v8
	v_and_b32_e32 v1, 7, v1
	v_cmp_eq_u32_e32 vcc, 0, v7
	v_and_b32_e32 v3, 0x80000000, v3
	s_mov_b32 s10, 0x2f800000
	v_cndmask_b32_e32 v7, v7, v8, vcc
	v_cndmask_b32_e32 v1, v5, v1, vcc
	v_mov_b32_e32 v5, 0x3b800000
	v_lshlrev_b32_e32 v1, 20, v1
	v_lshl_add_u32 v5, v7, 23, v5
	v_or3_b32 v1, v3, v5, v1
	v_trunc_f32_e32 v1, v1
	v_mul_f32_e64 v3, |v1|, s10
	v_floor_f32_e32 v3, v3
	s_mov_b32 s10, 0xcf800000
	v_fma_f32 v5, v3, s10, |v1|
	v_cvt_u32_f32_e32 v5, v5
	v_cvt_u32_f32_e32 v3, v3
	v_ashrrev_i32_e32 v1, 31, v1
	v_xor_b32_e32 v5, v5, v1
	v_xor_b32_e32 v3, v3, v1
	v_sub_co_u32_e32 v8, vcc, v5, v1
	s_nop 1
	v_subb_co_u32_e32 v9, vcc, v3, v1, vcc
.LBB449_1169:
	s_or_b64 exec, exec, s[2:3]
.LBB449_1170:
	s_mov_b64 s[10:11], -1
.LBB449_1171:
	s_branch .LBB449_1201
.LBB449_1172:
	s_cmp_gt_i32 s14, 22
	s_cbranch_scc0 .LBB449_1180
; %bb.1173:
	s_cmp_lt_i32 s14, 24
	s_cbranch_scc1 .LBB449_1183
; %bb.1174:
	s_cmp_gt_i32 s14, 24
	s_cbranch_scc0 .LBB449_1184
; %bb.1175:
	global_load_ubyte v1, v[16:17], off
	s_movk_i32 s2, 0x7f
	s_waitcnt vmcnt(0)
	v_cmp_lt_i16_e32 vcc, s2, v1
	s_and_saveexec_b64 s[2:3], vcc
	s_xor_b64 s[2:3], exec, s[2:3]
	s_cbranch_execz .LBB449_1195
; %bb.1176:
	s_movk_i32 s8, 0x80
	v_cmp_ne_u16_e32 vcc, s8, v1
	s_and_b64 s[8:9], vcc, exec
	s_andn2_saveexec_b64 s[2:3], s[2:3]
	s_cbranch_execnz .LBB449_1196
.LBB449_1177:
	s_or_b64 exec, exec, s[2:3]
	v_mov_b64_e32 v[8:9], 0
	s_and_saveexec_b64 s[2:3], s[8:9]
	s_cbranch_execz .LBB449_1179
.LBB449_1178:
	v_lshlrev_b32_e32 v3, 24, v1
	v_and_b32_e32 v1, 0xffff, v1
	v_and_b32_e32 v5, 3, v1
	v_ffbh_u32_e32 v8, v5
	v_min_u32_e32 v8, 32, v8
	v_subrev_u32_e32 v9, 29, v8
	v_bfe_u32 v7, v1, 2, 5
	v_lshlrev_b32_e32 v1, v9, v1
	v_sub_u32_e32 v8, 30, v8
	v_and_b32_e32 v1, 3, v1
	v_cmp_eq_u32_e32 vcc, 0, v7
	v_and_b32_e32 v3, 0x80000000, v3
	s_mov_b32 s8, 0x2f800000
	v_cndmask_b32_e32 v7, v7, v8, vcc
	v_cndmask_b32_e32 v1, v5, v1, vcc
	v_mov_b32_e32 v5, 0x37800000
	v_lshlrev_b32_e32 v1, 21, v1
	v_lshl_add_u32 v5, v7, 23, v5
	v_or3_b32 v1, v3, v5, v1
	v_trunc_f32_e32 v1, v1
	v_mul_f32_e64 v3, |v1|, s8
	v_floor_f32_e32 v3, v3
	s_mov_b32 s8, 0xcf800000
	v_fma_f32 v5, v3, s8, |v1|
	v_cvt_u32_f32_e32 v5, v5
	v_cvt_u32_f32_e32 v3, v3
	v_ashrrev_i32_e32 v1, 31, v1
	v_xor_b32_e32 v5, v5, v1
	v_xor_b32_e32 v3, v3, v1
	v_sub_co_u32_e32 v8, vcc, v5, v1
	s_nop 1
	v_subb_co_u32_e32 v9, vcc, v3, v1, vcc
.LBB449_1179:
	s_or_b64 exec, exec, s[2:3]
	s_mov_b64 s[2:3], 0
	s_branch .LBB449_1185
.LBB449_1180:
                                        ; implicit-def: $vgpr8_vgpr9
	s_mov_b64 s[8:9], 0
	s_branch .LBB449_1191
.LBB449_1181:
	s_andn2_saveexec_b64 s[2:3], s[2:3]
	s_cbranch_execz .LBB449_1167
.LBB449_1182:
	v_cmp_ne_u16_e32 vcc, 0, v1
	s_andn2_b64 s[10:11], s[10:11], exec
	s_and_b64 s[16:17], vcc, exec
	s_or_b64 s[10:11], s[10:11], s[16:17]
	s_or_b64 exec, exec, s[2:3]
	v_mov_b64_e32 v[8:9], 0
	s_and_saveexec_b64 s[2:3], s[10:11]
	s_cbranch_execnz .LBB449_1168
	s_branch .LBB449_1169
.LBB449_1183:
	s_mov_b64 s[2:3], -1
                                        ; implicit-def: $vgpr8_vgpr9
	s_branch .LBB449_1188
.LBB449_1184:
	s_mov_b64 s[2:3], -1
                                        ; implicit-def: $vgpr8_vgpr9
.LBB449_1185:
	s_and_b64 vcc, exec, s[2:3]
	s_cbranch_vccz .LBB449_1187
; %bb.1186:
	global_load_ubyte v1, v[16:17], off
	s_mov_b32 s2, 0x7f800000
	s_brev_b32 s3, 1
	s_mov_b32 s8, 0x2f800000
	s_mov_b32 s9, 0xcf800000
	s_waitcnt vmcnt(0)
	v_lshlrev_b32_e32 v1, 24, v1
	v_and_b32_e32 v3, 0x7f000000, v1
	v_ffbh_u32_e32 v5, v3
	v_min_u32_e32 v5, 32, v5
	v_sub_u32_e64 v5, v5, 4 clamp
	v_lshlrev_b32_e32 v8, v5, v3
	v_lshlrev_b32_e32 v5, 23, v5
	v_lshrrev_b32_e32 v8, 4, v8
	v_add_u32_e32 v7, 0x1000000, v3
	v_sub_u32_e32 v5, v8, v5
	v_ashrrev_i32_e32 v7, 8, v7
	v_add_u32_e32 v5, 0x3c000000, v5
	v_and_or_b32 v5, v7, s2, v5
	v_cmp_ne_u32_e32 vcc, 0, v3
	s_nop 1
	v_cndmask_b32_e32 v3, 0, v5, vcc
	v_and_or_b32 v1, v1, s3, v3
	v_trunc_f32_e32 v1, v1
	v_mul_f32_e64 v3, |v1|, s8
	v_floor_f32_e32 v3, v3
	v_fma_f32 v5, v3, s9, |v1|
	v_cvt_u32_f32_e32 v5, v5
	v_cvt_u32_f32_e32 v3, v3
	v_ashrrev_i32_e32 v1, 31, v1
	v_xor_b32_e32 v5, v5, v1
	v_xor_b32_e32 v3, v3, v1
	v_sub_co_u32_e32 v8, vcc, v5, v1
	s_nop 1
	v_subb_co_u32_e32 v9, vcc, v3, v1, vcc
.LBB449_1187:
	s_mov_b64 s[2:3], 0
.LBB449_1188:
	s_andn2_b64 vcc, exec, s[2:3]
	s_cbranch_vccnz .LBB449_1190
; %bb.1189:
	global_load_ubyte v1, v[16:17], off
	s_movk_i32 s2, 0x7f00
	s_brev_b32 s3, 16
	s_brev_b32 s8, 1
	s_mov_b32 s9, 0x2f800000
	s_mov_b32 s10, 0xcf800000
	s_waitcnt vmcnt(0)
	v_lshlrev_b16_e32 v3, 8, v1
	v_lshlrev_b32_e32 v1, 25, v1
	v_lshrrev_b32_e32 v5, 4, v1
	v_and_or_b32 v7, v3, s2, 0.5
	v_or_b32_e32 v5, 0x70000000, v5
	v_add_f32_e32 v7, -0.5, v7
	v_mul_f32_e32 v5, 0x7800000, v5
	v_cmp_gt_u32_e32 vcc, s3, v1
	v_bfe_i32 v3, v3, 0, 16
	s_nop 0
	v_cndmask_b32_e32 v1, v5, v7, vcc
	v_and_or_b32 v1, v3, s8, v1
	v_trunc_f32_e32 v1, v1
	v_mul_f32_e64 v3, |v1|, s9
	v_floor_f32_e32 v3, v3
	v_fma_f32 v5, v3, s10, |v1|
	v_cvt_u32_f32_e32 v5, v5
	v_cvt_u32_f32_e32 v3, v3
	v_ashrrev_i32_e32 v1, 31, v1
	v_xor_b32_e32 v5, v5, v1
	v_xor_b32_e32 v3, v3, v1
	v_sub_co_u32_e32 v8, vcc, v5, v1
	s_nop 1
	v_subb_co_u32_e32 v9, vcc, v3, v1, vcc
.LBB449_1190:
	s_mov_b64 s[10:11], -1
	s_mov_b64 s[8:9], 0
	s_cbranch_execnz .LBB449_1201
.LBB449_1191:
	s_cmp_gt_i32 s14, 14
	s_cbranch_scc0 .LBB449_1194
; %bb.1192:
	s_cmp_eq_u32 s14, 15
	s_cbranch_scc0 .LBB449_1197
; %bb.1193:
	global_load_ushort v1, v[16:17], off
	s_mov_b32 s0, 0x2f800000
	s_mov_b32 s1, 0xcf800000
	s_mov_b64 s[10:11], -1
	s_waitcnt vmcnt(0)
	v_lshlrev_b32_e32 v1, 16, v1
	v_trunc_f32_e32 v1, v1
	v_mul_f32_e64 v3, |v1|, s0
	v_floor_f32_e32 v3, v3
	v_fma_f32 v5, v3, s1, |v1|
	v_cvt_u32_f32_e32 v5, v5
	v_cvt_u32_f32_e32 v3, v3
	v_ashrrev_i32_e32 v1, 31, v1
	s_mov_b64 s[0:1], 0
	v_xor_b32_e32 v5, v5, v1
	v_xor_b32_e32 v3, v3, v1
	v_sub_co_u32_e32 v8, vcc, v5, v1
	s_nop 1
	v_subb_co_u32_e32 v9, vcc, v3, v1, vcc
	s_branch .LBB449_1198
.LBB449_1194:
	s_mov_b64 s[2:3], -1
                                        ; implicit-def: $vgpr8_vgpr9
	s_branch .LBB449_1199
.LBB449_1195:
	s_andn2_saveexec_b64 s[2:3], s[2:3]
	s_cbranch_execz .LBB449_1177
.LBB449_1196:
	v_cmp_ne_u16_e32 vcc, 0, v1
	s_andn2_b64 s[8:9], s[8:9], exec
	s_and_b64 s[10:11], vcc, exec
	s_or_b64 s[8:9], s[8:9], s[10:11]
	s_or_b64 exec, exec, s[2:3]
	v_mov_b64_e32 v[8:9], 0
	s_and_saveexec_b64 s[2:3], s[8:9]
	s_cbranch_execnz .LBB449_1178
	s_branch .LBB449_1179
.LBB449_1197:
	s_mov_b64 s[0:1], -1
                                        ; implicit-def: $vgpr8_vgpr9
.LBB449_1198:
	s_mov_b64 s[2:3], 0
.LBB449_1199:
	s_and_b64 vcc, exec, s[2:3]
	s_cbranch_vccz .LBB449_1201
; %bb.1200:
	s_cmp_lg_u32 s14, 11
	s_mov_b64 s[8:9], -1
	s_cselect_b64 s[0:1], -1, 0
.LBB449_1201:
	s_and_b64 vcc, exec, s[0:1]
	s_mov_b64 s[2:3], s[24:25]
	s_cbranch_vccnz .LBB449_1262
; %bb.1202:
	s_andn2_b64 vcc, exec, s[8:9]
	s_cbranch_vccnz .LBB449_1204
.LBB449_1203:
	global_load_ubyte v1, v[16:17], off
	s_mov_b32 s0, 0
	s_waitcnt vmcnt(1)
	v_mov_b32_e32 v9, s0
	s_mov_b64 s[10:11], -1
	s_waitcnt vmcnt(0)
	v_cmp_ne_u16_e32 vcc, 0, v1
	s_nop 1
	v_cndmask_b32_e64 v8, 0, 1, vcc
.LBB449_1204:
	s_branch .LBB449_1139
.LBB449_1205:
	s_and_b32 s8, 0xffff, s13
	s_cmp_lt_i32 s8, 5
	s_cbranch_scc1 .LBB449_1210
; %bb.1206:
	s_cmp_lt_i32 s8, 8
	s_cbranch_scc1 .LBB449_1211
; %bb.1207:
	;; [unrolled: 3-line block ×3, first 2 shown]
	s_cmp_gt_i32 s8, 9
	s_cbranch_scc0 .LBB449_1213
; %bb.1209:
	global_load_dwordx2 v[8:9], v[16:17], off
	s_movk_i32 s0, 0xffe0
	s_waitcnt vmcnt(0)
	v_trunc_f64_e32 v[18:19], v[8:9]
	v_ldexp_f64 v[8:9], v[18:19], s0
	v_floor_f64_e32 v[20:21], v[8:9]
	v_fmac_f64_e32 v[18:19], 0xc1f00000, v[20:21]
	v_cvt_i32_f64_e32 v9, v[20:21]
	v_cvt_u32_f64_e32 v8, v[18:19]
	s_mov_b64 s[0:1], 0
	s_branch .LBB449_1214
.LBB449_1210:
                                        ; implicit-def: $vgpr8_vgpr9
	s_branch .LBB449_1231
.LBB449_1211:
                                        ; implicit-def: $vgpr8_vgpr9
	s_branch .LBB449_1220
.LBB449_1212:
	s_mov_b64 s[0:1], -1
                                        ; implicit-def: $vgpr8_vgpr9
	s_branch .LBB449_1217
.LBB449_1213:
	s_mov_b64 s[0:1], -1
                                        ; implicit-def: $vgpr8_vgpr9
.LBB449_1214:
	s_andn2_b64 vcc, exec, s[0:1]
	s_cbranch_vccnz .LBB449_1216
; %bb.1215:
	global_load_dword v1, v[16:17], off
	s_mov_b32 s0, 0x2f800000
	s_mov_b32 s1, 0xcf800000
	s_waitcnt vmcnt(0)
	v_trunc_f32_e32 v1, v1
	v_mul_f32_e64 v3, |v1|, s0
	v_floor_f32_e32 v3, v3
	v_cvt_u32_f32_e32 v5, v3
	v_fma_f32 v3, v3, s1, |v1|
	v_cvt_u32_f32_e32 v3, v3
	v_ashrrev_i32_e32 v1, 31, v1
	v_xor_b32_e32 v5, v5, v1
	v_xor_b32_e32 v3, v3, v1
	v_sub_co_u32_e32 v8, vcc, v3, v1
	s_nop 1
	v_subb_co_u32_e32 v9, vcc, v5, v1, vcc
.LBB449_1216:
	s_mov_b64 s[0:1], 0
.LBB449_1217:
	s_andn2_b64 vcc, exec, s[0:1]
	s_cbranch_vccnz .LBB449_1219
; %bb.1218:
	global_load_dword v1, v[16:17], off
	s_waitcnt vmcnt(0)
	v_cvt_f32_f16_e32 v1, v1
	v_cvt_i32_f32_e32 v8, v1
	v_ashrrev_i32_e32 v9, 31, v8
.LBB449_1219:
	s_cbranch_execnz .LBB449_1230
.LBB449_1220:
	s_cmp_lt_i32 s8, 6
	s_cbranch_scc1 .LBB449_1223
; %bb.1221:
	s_cmp_gt_i32 s8, 6
	s_cbranch_scc0 .LBB449_1224
; %bb.1222:
	global_load_dwordx2 v[8:9], v[16:17], off
	s_movk_i32 s0, 0xffe0
	s_waitcnt vmcnt(0)
	v_trunc_f64_e32 v[18:19], v[8:9]
	v_ldexp_f64 v[8:9], v[18:19], s0
	v_floor_f64_e32 v[20:21], v[8:9]
	v_fmac_f64_e32 v[18:19], 0xc1f00000, v[20:21]
	v_cvt_i32_f64_e32 v9, v[20:21]
	v_cvt_u32_f64_e32 v8, v[18:19]
	s_mov_b64 s[0:1], 0
	s_branch .LBB449_1225
.LBB449_1223:
	s_mov_b64 s[0:1], -1
                                        ; implicit-def: $vgpr8_vgpr9
	s_branch .LBB449_1228
.LBB449_1224:
	s_mov_b64 s[0:1], -1
                                        ; implicit-def: $vgpr8_vgpr9
.LBB449_1225:
	s_andn2_b64 vcc, exec, s[0:1]
	s_cbranch_vccnz .LBB449_1227
; %bb.1226:
	global_load_dword v1, v[16:17], off
	s_mov_b32 s0, 0x2f800000
	s_mov_b32 s1, 0xcf800000
	s_waitcnt vmcnt(0)
	v_trunc_f32_e32 v1, v1
	v_mul_f32_e64 v3, |v1|, s0
	v_floor_f32_e32 v3, v3
	v_cvt_u32_f32_e32 v5, v3
	v_fma_f32 v3, v3, s1, |v1|
	v_cvt_u32_f32_e32 v3, v3
	v_ashrrev_i32_e32 v1, 31, v1
	v_xor_b32_e32 v5, v5, v1
	v_xor_b32_e32 v3, v3, v1
	v_sub_co_u32_e32 v8, vcc, v3, v1
	s_nop 1
	v_subb_co_u32_e32 v9, vcc, v5, v1, vcc
.LBB449_1227:
	s_mov_b64 s[0:1], 0
.LBB449_1228:
	s_andn2_b64 vcc, exec, s[0:1]
	s_cbranch_vccnz .LBB449_1230
; %bb.1229:
	global_load_ushort v1, v[16:17], off
	s_waitcnt vmcnt(0)
	v_cvt_f32_f16_e32 v1, v1
	v_cvt_i32_f32_e32 v8, v1
	v_ashrrev_i32_e32 v9, 31, v8
.LBB449_1230:
	s_cbranch_execnz .LBB449_1249
.LBB449_1231:
	s_cmp_lt_i32 s8, 2
	s_cbranch_scc1 .LBB449_1235
; %bb.1232:
	s_cmp_lt_i32 s8, 3
	s_cbranch_scc1 .LBB449_1236
; %bb.1233:
	s_cmp_gt_i32 s8, 3
	s_cbranch_scc0 .LBB449_1237
; %bb.1234:
	global_load_dwordx2 v[8:9], v[16:17], off
	s_mov_b64 s[0:1], 0
	s_branch .LBB449_1238
.LBB449_1235:
                                        ; implicit-def: $vgpr8_vgpr9
	s_branch .LBB449_1244
.LBB449_1236:
	s_mov_b64 s[0:1], -1
                                        ; implicit-def: $vgpr8_vgpr9
	s_branch .LBB449_1241
.LBB449_1237:
	s_mov_b64 s[0:1], -1
                                        ; implicit-def: $vgpr8_vgpr9
.LBB449_1238:
	s_andn2_b64 vcc, exec, s[0:1]
	s_cbranch_vccnz .LBB449_1240
; %bb.1239:
	global_load_dword v8, v[16:17], off
	s_waitcnt vmcnt(0)
	v_ashrrev_i32_e32 v9, 31, v8
.LBB449_1240:
	s_mov_b64 s[0:1], 0
.LBB449_1241:
	s_andn2_b64 vcc, exec, s[0:1]
	s_cbranch_vccnz .LBB449_1243
; %bb.1242:
	global_load_ushort v1, v[16:17], off
	s_waitcnt vmcnt(0)
	v_bfe_i32 v8, v1, 0, 16
	v_ashrrev_i32_e32 v9, 31, v8
.LBB449_1243:
	s_cbranch_execnz .LBB449_1249
.LBB449_1244:
	s_cmp_gt_i32 s8, 0
	s_cbranch_scc0 .LBB449_1246
; %bb.1245:
	global_load_sbyte v1, v[16:17], off
	s_mov_b64 s[0:1], 0
	s_waitcnt vmcnt(0)
	v_bfe_i32 v8, v1, 0, 16
	v_ashrrev_i32_e32 v9, 31, v8
	s_branch .LBB449_1247
.LBB449_1246:
	s_mov_b64 s[0:1], -1
                                        ; implicit-def: $vgpr8_vgpr9
.LBB449_1247:
	s_andn2_b64 vcc, exec, s[0:1]
	s_cbranch_vccnz .LBB449_1249
; %bb.1248:
	global_load_ubyte v1, v[16:17], off
	s_mov_b32 s0, 0
	s_waitcnt vmcnt(1)
	v_mov_b32_e32 v9, s0
	s_waitcnt vmcnt(0)
	v_and_b32_e32 v8, 0xffff, v1
.LBB449_1249:
.LBB449_1250:
	s_lshr_b32 s0, s12, 8
	v_mov_b32_e32 v11, 0
	s_and_b32 s14, s0, 0xff
	s_cmp_lt_i32 s14, 11
	v_lshl_add_u64 v[16:17], s[6:7], 0, v[10:11]
	s_cbranch_scc1 .LBB449_1257
; %bb.1251:
	s_and_b32 s15, 0xffff, s14
	s_cmp_gt_i32 s15, 25
	s_mov_b64 s[8:9], 0
	s_cbranch_scc0 .LBB449_1259
; %bb.1252:
	s_cmp_gt_i32 s15, 28
	s_cbranch_scc0 .LBB449_1260
; %bb.1253:
	s_cmp_gt_i32 s15, 43
	;; [unrolled: 3-line block ×3, first 2 shown]
	s_cbranch_scc0 .LBB449_1263
; %bb.1255:
	s_cmp_eq_u32 s15, 46
	s_mov_b64 s[12:13], 0
	s_cbranch_scc0 .LBB449_1266
; %bb.1256:
	global_load_dword v1, v[16:17], off
	s_mov_b32 s0, 0x2f800000
	s_mov_b32 s1, 0xcf800000
	s_mov_b64 s[10:11], -1
	s_waitcnt vmcnt(0)
	v_lshlrev_b32_e32 v1, 16, v1
	v_trunc_f32_e32 v1, v1
	v_mul_f32_e64 v3, |v1|, s0
	v_floor_f32_e32 v3, v3
	v_fma_f32 v5, v3, s1, |v1|
	v_cvt_u32_f32_e32 v5, v5
	v_cvt_u32_f32_e32 v3, v3
	v_ashrrev_i32_e32 v1, 31, v1
	s_mov_b64 s[0:1], 0
	v_xor_b32_e32 v5, v5, v1
	v_xor_b32_e32 v3, v3, v1
	v_sub_co_u32_e32 v10, vcc, v5, v1
	s_nop 1
	v_subb_co_u32_e32 v11, vcc, v3, v1, vcc
	s_branch .LBB449_1267
.LBB449_1257:
	s_mov_b64 s[10:11], 0
                                        ; implicit-def: $vgpr10_vgpr11
	s_cbranch_execnz .LBB449_1328
.LBB449_1258:
	s_andn2_b64 vcc, exec, s[10:11]
	s_cbranch_vccnz .LBB449_2059
	s_branch .LBB449_1375
.LBB449_1259:
	s_mov_b64 s[10:11], 0
	s_mov_b64 s[0:1], 0
                                        ; implicit-def: $vgpr10_vgpr11
	s_cbranch_execnz .LBB449_1294
	s_branch .LBB449_1324
.LBB449_1260:
	s_mov_b64 s[12:13], -1
	s_mov_b64 s[10:11], 0
	s_mov_b64 s[0:1], 0
                                        ; implicit-def: $vgpr10_vgpr11
	s_branch .LBB449_1277
.LBB449_1261:
	s_mov_b64 s[12:13], -1
	s_mov_b64 s[10:11], 0
	s_mov_b64 s[0:1], 0
                                        ; implicit-def: $vgpr10_vgpr11
	s_branch .LBB449_1272
.LBB449_1262:
	s_or_b64 s[2:3], s[24:25], exec
	s_trap 2
	s_cbranch_execz .LBB449_1203
	s_branch .LBB449_1204
.LBB449_1263:
	s_mov_b64 s[12:13], -1
	s_mov_b64 s[10:11], 0
	s_mov_b64 s[0:1], 0
                                        ; implicit-def: $vgpr10_vgpr11
	s_branch .LBB449_1267
.LBB449_1264:
	s_andn2_saveexec_b64 s[14:15], s[14:15]
	s_cbranch_execz .LBB449_999
.LBB449_1265:
	s_mov_b32 s18, 0x42800000
	v_add_f32_e64 v1, |v0|, s18
	v_and_b32_e32 v1, 0xff, v1
	v_cmp_ne_u32_e32 vcc, 0, v1
	s_andn2_b64 s[12:13], s[12:13], exec
	s_and_b64 s[18:19], vcc, exec
	s_or_b64 s[12:13], s[12:13], s[18:19]
	s_or_b64 exec, exec, s[14:15]
	v_mov_b32_e32 v6, 0
	s_and_saveexec_b64 s[14:15], s[12:13]
	s_cbranch_execnz .LBB449_1000
	s_branch .LBB449_1001
.LBB449_1266:
	s_mov_b64 s[0:1], -1
                                        ; implicit-def: $vgpr10_vgpr11
	s_mov_b64 s[10:11], 0
.LBB449_1267:
	s_and_b64 vcc, exec, s[12:13]
	s_cbranch_vccz .LBB449_1271
; %bb.1268:
	s_cmp_eq_u32 s15, 44
	s_cbranch_scc0 .LBB449_1270
; %bb.1269:
	global_load_ubyte v1, v[16:17], off
	s_mov_b32 s0, 0x2f800000
	s_mov_b32 s1, 0xcf800000
	s_mov_b64 s[10:11], -1
	s_waitcnt vmcnt(0)
	v_lshlrev_b32_e32 v3, 23, v1
	v_trunc_f32_e32 v3, v3
	v_mul_f32_e64 v5, |v3|, s0
	v_floor_f32_e32 v5, v5
	v_fma_f32 v7, v5, s1, |v3|
	v_cvt_u32_f32_e32 v7, v7
	v_cvt_u32_f32_e32 v5, v5
	v_ashrrev_i32_e32 v3, 31, v3
	s_mov_b64 s[0:1], 0
	v_xor_b32_e32 v7, v7, v3
	v_xor_b32_e32 v5, v5, v3
	v_sub_co_u32_e32 v7, vcc, v7, v3
	s_nop 1
	v_subb_co_u32_e32 v3, vcc, v5, v3, vcc
	v_cmp_ne_u32_e32 vcc, 0, v1
	s_nop 1
	v_cndmask_b32_e32 v11, 0, v3, vcc
	v_cndmask_b32_e32 v10, 0, v7, vcc
	s_branch .LBB449_1271
.LBB449_1270:
	s_mov_b64 s[0:1], -1
                                        ; implicit-def: $vgpr10_vgpr11
.LBB449_1271:
	s_mov_b64 s[12:13], 0
.LBB449_1272:
	s_and_b64 vcc, exec, s[12:13]
	s_cbranch_vccz .LBB449_1276
; %bb.1273:
	s_cmp_eq_u32 s15, 29
	s_cbranch_scc0 .LBB449_1275
; %bb.1274:
	global_load_dwordx2 v[10:11], v[16:17], off
	s_mov_b64 s[0:1], 0
	s_mov_b64 s[10:11], -1
	s_branch .LBB449_1276
.LBB449_1275:
	s_mov_b64 s[0:1], -1
                                        ; implicit-def: $vgpr10_vgpr11
.LBB449_1276:
	s_mov_b64 s[12:13], 0
.LBB449_1277:
	s_and_b64 vcc, exec, s[12:13]
	s_cbranch_vccz .LBB449_1293
; %bb.1278:
	s_cmp_lt_i32 s15, 27
	s_cbranch_scc1 .LBB449_1281
; %bb.1279:
	s_cmp_gt_i32 s15, 27
	s_cbranch_scc0 .LBB449_1282
; %bb.1280:
	global_load_dword v10, v[16:17], off
	s_waitcnt vmcnt(1)
	v_mov_b32_e32 v11, 0
	s_mov_b64 s[10:11], 0
	s_branch .LBB449_1283
.LBB449_1281:
	s_mov_b64 s[10:11], -1
                                        ; implicit-def: $vgpr10_vgpr11
	s_branch .LBB449_1286
.LBB449_1282:
	s_mov_b64 s[10:11], -1
                                        ; implicit-def: $vgpr10_vgpr11
.LBB449_1283:
	s_andn2_b64 vcc, exec, s[10:11]
	s_cbranch_vccnz .LBB449_1285
; %bb.1284:
	global_load_ushort v1, v[16:17], off
	s_mov_b32 s10, 0
	s_waitcnt vmcnt(1)
	v_mov_b32_e32 v11, s10
	s_waitcnt vmcnt(0)
	v_and_b32_e32 v10, 0xffff, v1
.LBB449_1285:
	s_mov_b64 s[10:11], 0
.LBB449_1286:
	s_andn2_b64 vcc, exec, s[10:11]
	s_cbranch_vccnz .LBB449_1292
; %bb.1287:
	global_load_ubyte v1, v[16:17], off
	s_movk_i32 s10, 0x7f
	s_mov_b64 s[12:13], 0
	s_waitcnt vmcnt(0)
	v_cmp_lt_i16_e32 vcc, s10, v1
	s_and_saveexec_b64 s[10:11], vcc
	s_xor_b64 s[10:11], exec, s[10:11]
	s_cbranch_execz .LBB449_1303
; %bb.1288:
	s_movk_i32 s12, 0x80
	v_cmp_ne_u16_e32 vcc, s12, v1
	s_and_b64 s[12:13], vcc, exec
	s_andn2_saveexec_b64 s[10:11], s[10:11]
	s_cbranch_execnz .LBB449_1304
.LBB449_1289:
	s_or_b64 exec, exec, s[10:11]
	v_mov_b64_e32 v[10:11], 0
	s_and_saveexec_b64 s[10:11], s[12:13]
	s_cbranch_execz .LBB449_1291
.LBB449_1290:
	v_lshlrev_b32_e32 v3, 24, v1
	v_and_b32_e32 v1, 0xffff, v1
	v_and_b32_e32 v5, 7, v1
	v_ffbh_u32_e32 v10, v5
	v_min_u32_e32 v10, 32, v10
	v_subrev_u32_e32 v11, 28, v10
	v_bfe_u32 v7, v1, 3, 4
	v_lshlrev_b32_e32 v1, v11, v1
	v_sub_u32_e32 v10, 29, v10
	v_and_b32_e32 v1, 7, v1
	v_cmp_eq_u32_e32 vcc, 0, v7
	v_and_b32_e32 v3, 0x80000000, v3
	s_mov_b32 s12, 0x2f800000
	v_cndmask_b32_e32 v7, v7, v10, vcc
	v_cndmask_b32_e32 v1, v5, v1, vcc
	v_mov_b32_e32 v5, 0x3b800000
	v_lshlrev_b32_e32 v1, 20, v1
	v_lshl_add_u32 v5, v7, 23, v5
	v_or3_b32 v1, v3, v5, v1
	v_trunc_f32_e32 v1, v1
	v_mul_f32_e64 v3, |v1|, s12
	v_floor_f32_e32 v3, v3
	s_mov_b32 s12, 0xcf800000
	v_fma_f32 v5, v3, s12, |v1|
	v_cvt_u32_f32_e32 v5, v5
	v_cvt_u32_f32_e32 v3, v3
	v_ashrrev_i32_e32 v1, 31, v1
	v_xor_b32_e32 v5, v5, v1
	v_xor_b32_e32 v3, v3, v1
	v_sub_co_u32_e32 v10, vcc, v5, v1
	s_nop 1
	v_subb_co_u32_e32 v11, vcc, v3, v1, vcc
.LBB449_1291:
	s_or_b64 exec, exec, s[10:11]
.LBB449_1292:
	s_mov_b64 s[10:11], -1
.LBB449_1293:
	s_branch .LBB449_1324
.LBB449_1294:
	s_cmp_gt_i32 s15, 22
	s_cbranch_scc0 .LBB449_1302
; %bb.1295:
	s_cmp_lt_i32 s15, 24
	s_cbranch_scc1 .LBB449_1305
; %bb.1296:
	s_cmp_gt_i32 s15, 24
	s_cbranch_scc0 .LBB449_1306
; %bb.1297:
	global_load_ubyte v1, v[16:17], off
	s_movk_i32 s8, 0x7f
	s_mov_b64 s[10:11], 0
	s_waitcnt vmcnt(0)
	v_cmp_lt_i16_e32 vcc, s8, v1
	s_and_saveexec_b64 s[8:9], vcc
	s_xor_b64 s[8:9], exec, s[8:9]
	s_cbranch_execz .LBB449_1318
; %bb.1298:
	s_movk_i32 s10, 0x80
	v_cmp_ne_u16_e32 vcc, s10, v1
	s_and_b64 s[10:11], vcc, exec
	s_andn2_saveexec_b64 s[8:9], s[8:9]
	s_cbranch_execnz .LBB449_1319
.LBB449_1299:
	s_or_b64 exec, exec, s[8:9]
	v_mov_b64_e32 v[10:11], 0
	s_and_saveexec_b64 s[8:9], s[10:11]
	s_cbranch_execz .LBB449_1301
.LBB449_1300:
	v_lshlrev_b32_e32 v3, 24, v1
	v_and_b32_e32 v1, 0xffff, v1
	v_and_b32_e32 v5, 3, v1
	v_ffbh_u32_e32 v10, v5
	v_min_u32_e32 v10, 32, v10
	v_subrev_u32_e32 v11, 29, v10
	v_bfe_u32 v7, v1, 2, 5
	v_lshlrev_b32_e32 v1, v11, v1
	v_sub_u32_e32 v10, 30, v10
	v_and_b32_e32 v1, 3, v1
	v_cmp_eq_u32_e32 vcc, 0, v7
	v_and_b32_e32 v3, 0x80000000, v3
	s_mov_b32 s10, 0x2f800000
	v_cndmask_b32_e32 v7, v7, v10, vcc
	v_cndmask_b32_e32 v1, v5, v1, vcc
	v_mov_b32_e32 v5, 0x37800000
	v_lshlrev_b32_e32 v1, 21, v1
	v_lshl_add_u32 v5, v7, 23, v5
	v_or3_b32 v1, v3, v5, v1
	v_trunc_f32_e32 v1, v1
	v_mul_f32_e64 v3, |v1|, s10
	v_floor_f32_e32 v3, v3
	s_mov_b32 s10, 0xcf800000
	v_fma_f32 v5, v3, s10, |v1|
	v_cvt_u32_f32_e32 v5, v5
	v_cvt_u32_f32_e32 v3, v3
	v_ashrrev_i32_e32 v1, 31, v1
	v_xor_b32_e32 v5, v5, v1
	v_xor_b32_e32 v3, v3, v1
	v_sub_co_u32_e32 v10, vcc, v5, v1
	s_nop 1
	v_subb_co_u32_e32 v11, vcc, v3, v1, vcc
.LBB449_1301:
	s_or_b64 exec, exec, s[8:9]
	s_mov_b64 s[8:9], 0
	s_branch .LBB449_1307
.LBB449_1302:
	s_mov_b64 s[8:9], -1
                                        ; implicit-def: $vgpr10_vgpr11
	s_branch .LBB449_1313
.LBB449_1303:
	s_andn2_saveexec_b64 s[10:11], s[10:11]
	s_cbranch_execz .LBB449_1289
.LBB449_1304:
	v_cmp_ne_u16_e32 vcc, 0, v1
	s_andn2_b64 s[12:13], s[12:13], exec
	s_and_b64 s[16:17], vcc, exec
	s_or_b64 s[12:13], s[12:13], s[16:17]
	s_or_b64 exec, exec, s[10:11]
	v_mov_b64_e32 v[10:11], 0
	s_and_saveexec_b64 s[10:11], s[12:13]
	s_cbranch_execnz .LBB449_1290
	s_branch .LBB449_1291
.LBB449_1305:
	s_mov_b64 s[8:9], -1
                                        ; implicit-def: $vgpr10_vgpr11
	s_branch .LBB449_1310
.LBB449_1306:
	s_mov_b64 s[8:9], -1
                                        ; implicit-def: $vgpr10_vgpr11
.LBB449_1307:
	s_and_b64 vcc, exec, s[8:9]
	s_cbranch_vccz .LBB449_1309
; %bb.1308:
	global_load_ubyte v1, v[16:17], off
	s_mov_b32 s8, 0x7f800000
	s_brev_b32 s9, 1
	s_mov_b32 s10, 0x2f800000
	s_mov_b32 s11, 0xcf800000
	s_waitcnt vmcnt(0)
	v_lshlrev_b32_e32 v1, 24, v1
	v_and_b32_e32 v3, 0x7f000000, v1
	v_ffbh_u32_e32 v5, v3
	v_min_u32_e32 v5, 32, v5
	v_sub_u32_e64 v5, v5, 4 clamp
	v_lshlrev_b32_e32 v10, v5, v3
	v_lshlrev_b32_e32 v5, 23, v5
	v_lshrrev_b32_e32 v10, 4, v10
	v_add_u32_e32 v7, 0x1000000, v3
	v_sub_u32_e32 v5, v10, v5
	v_ashrrev_i32_e32 v7, 8, v7
	v_add_u32_e32 v5, 0x3c000000, v5
	v_and_or_b32 v5, v7, s8, v5
	v_cmp_ne_u32_e32 vcc, 0, v3
	s_nop 1
	v_cndmask_b32_e32 v3, 0, v5, vcc
	v_and_or_b32 v1, v1, s9, v3
	v_trunc_f32_e32 v1, v1
	v_mul_f32_e64 v3, |v1|, s10
	v_floor_f32_e32 v3, v3
	v_fma_f32 v5, v3, s11, |v1|
	v_cvt_u32_f32_e32 v5, v5
	v_cvt_u32_f32_e32 v3, v3
	v_ashrrev_i32_e32 v1, 31, v1
	v_xor_b32_e32 v5, v5, v1
	v_xor_b32_e32 v3, v3, v1
	v_sub_co_u32_e32 v10, vcc, v5, v1
	s_nop 1
	v_subb_co_u32_e32 v11, vcc, v3, v1, vcc
.LBB449_1309:
	s_mov_b64 s[8:9], 0
.LBB449_1310:
	s_andn2_b64 vcc, exec, s[8:9]
	s_cbranch_vccnz .LBB449_1312
; %bb.1311:
	global_load_ubyte v1, v[16:17], off
	s_movk_i32 s8, 0x7f00
	s_brev_b32 s9, 16
	s_brev_b32 s10, 1
	s_mov_b32 s11, 0x2f800000
	s_mov_b32 s12, 0xcf800000
	s_waitcnt vmcnt(0)
	v_lshlrev_b16_e32 v3, 8, v1
	v_lshlrev_b32_e32 v1, 25, v1
	v_lshrrev_b32_e32 v5, 4, v1
	v_and_or_b32 v7, v3, s8, 0.5
	v_or_b32_e32 v5, 0x70000000, v5
	v_add_f32_e32 v7, -0.5, v7
	v_mul_f32_e32 v5, 0x7800000, v5
	v_cmp_gt_u32_e32 vcc, s9, v1
	v_bfe_i32 v3, v3, 0, 16
	s_nop 0
	v_cndmask_b32_e32 v1, v5, v7, vcc
	v_and_or_b32 v1, v3, s10, v1
	v_trunc_f32_e32 v1, v1
	v_mul_f32_e64 v3, |v1|, s11
	v_floor_f32_e32 v3, v3
	v_fma_f32 v5, v3, s12, |v1|
	v_cvt_u32_f32_e32 v5, v5
	v_cvt_u32_f32_e32 v3, v3
	v_ashrrev_i32_e32 v1, 31, v1
	v_xor_b32_e32 v5, v5, v1
	v_xor_b32_e32 v3, v3, v1
	v_sub_co_u32_e32 v10, vcc, v5, v1
	s_nop 1
	v_subb_co_u32_e32 v11, vcc, v3, v1, vcc
.LBB449_1312:
	s_mov_b64 s[8:9], 0
	s_mov_b64 s[10:11], -1
.LBB449_1313:
	s_andn2_b64 vcc, exec, s[8:9]
	s_mov_b64 s[8:9], 0
	s_cbranch_vccnz .LBB449_1324
; %bb.1314:
	s_cmp_gt_i32 s15, 14
	s_cbranch_scc0 .LBB449_1317
; %bb.1315:
	s_cmp_eq_u32 s15, 15
	s_cbranch_scc0 .LBB449_1320
; %bb.1316:
	global_load_ushort v1, v[16:17], off
	s_mov_b32 s0, 0x2f800000
	s_mov_b32 s1, 0xcf800000
	s_mov_b64 s[10:11], -1
	s_waitcnt vmcnt(0)
	v_lshlrev_b32_e32 v1, 16, v1
	v_trunc_f32_e32 v1, v1
	v_mul_f32_e64 v3, |v1|, s0
	v_floor_f32_e32 v3, v3
	v_fma_f32 v5, v3, s1, |v1|
	v_cvt_u32_f32_e32 v5, v5
	v_cvt_u32_f32_e32 v3, v3
	v_ashrrev_i32_e32 v1, 31, v1
	s_mov_b64 s[0:1], 0
	v_xor_b32_e32 v5, v5, v1
	v_xor_b32_e32 v3, v3, v1
	v_sub_co_u32_e32 v10, vcc, v5, v1
	s_nop 1
	v_subb_co_u32_e32 v11, vcc, v3, v1, vcc
	s_branch .LBB449_1321
.LBB449_1317:
	s_mov_b64 s[12:13], -1
                                        ; implicit-def: $vgpr10_vgpr11
	s_branch .LBB449_1322
.LBB449_1318:
	s_andn2_saveexec_b64 s[8:9], s[8:9]
	s_cbranch_execz .LBB449_1299
.LBB449_1319:
	v_cmp_ne_u16_e32 vcc, 0, v1
	s_andn2_b64 s[10:11], s[10:11], exec
	s_and_b64 s[12:13], vcc, exec
	s_or_b64 s[10:11], s[10:11], s[12:13]
	s_or_b64 exec, exec, s[8:9]
	v_mov_b64_e32 v[10:11], 0
	s_and_saveexec_b64 s[8:9], s[10:11]
	s_cbranch_execnz .LBB449_1300
	s_branch .LBB449_1301
.LBB449_1320:
	s_mov_b64 s[0:1], -1
                                        ; implicit-def: $vgpr10_vgpr11
.LBB449_1321:
	s_mov_b64 s[12:13], 0
.LBB449_1322:
	s_and_b64 vcc, exec, s[12:13]
	s_cbranch_vccz .LBB449_1324
; %bb.1323:
	s_cmp_lg_u32 s15, 11
	s_mov_b64 s[8:9], -1
	s_cselect_b64 s[0:1], -1, 0
.LBB449_1324:
	s_and_b64 vcc, exec, s[0:1]
	s_cbranch_vccnz .LBB449_1387
; %bb.1325:
	s_andn2_b64 vcc, exec, s[8:9]
	s_cbranch_vccnz .LBB449_1327
.LBB449_1326:
	global_load_ubyte v1, v[16:17], off
	s_mov_b32 s0, 0
	s_waitcnt vmcnt(1)
	v_mov_b32_e32 v11, s0
	s_mov_b64 s[10:11], -1
	s_waitcnt vmcnt(0)
	v_cmp_ne_u16_e32 vcc, 0, v1
	s_nop 1
	v_cndmask_b32_e64 v10, 0, 1, vcc
.LBB449_1327:
	s_branch .LBB449_1258
.LBB449_1328:
	s_and_b32 s8, 0xffff, s14
	s_cmp_lt_i32 s8, 5
	s_cbranch_scc1 .LBB449_1333
; %bb.1329:
	s_cmp_lt_i32 s8, 8
	s_cbranch_scc1 .LBB449_1334
; %bb.1330:
	;; [unrolled: 3-line block ×3, first 2 shown]
	s_cmp_gt_i32 s8, 9
	s_cbranch_scc0 .LBB449_1336
; %bb.1332:
	global_load_dwordx2 v[10:11], v[16:17], off
	s_movk_i32 s0, 0xffe0
	s_waitcnt vmcnt(0)
	v_trunc_f64_e32 v[18:19], v[10:11]
	v_ldexp_f64 v[10:11], v[18:19], s0
	v_floor_f64_e32 v[20:21], v[10:11]
	v_fmac_f64_e32 v[18:19], 0xc1f00000, v[20:21]
	v_cvt_i32_f64_e32 v11, v[20:21]
	v_cvt_u32_f64_e32 v10, v[18:19]
	s_mov_b64 s[0:1], 0
	s_branch .LBB449_1337
.LBB449_1333:
                                        ; implicit-def: $vgpr10_vgpr11
	s_branch .LBB449_1355
.LBB449_1334:
	s_mov_b64 s[0:1], -1
                                        ; implicit-def: $vgpr10_vgpr11
	s_branch .LBB449_1343
.LBB449_1335:
	s_mov_b64 s[0:1], -1
                                        ; implicit-def: $vgpr10_vgpr11
	s_branch .LBB449_1340
.LBB449_1336:
	s_mov_b64 s[0:1], -1
                                        ; implicit-def: $vgpr10_vgpr11
.LBB449_1337:
	s_andn2_b64 vcc, exec, s[0:1]
	s_cbranch_vccnz .LBB449_1339
; %bb.1338:
	global_load_dword v1, v[16:17], off
	s_mov_b32 s0, 0x2f800000
	s_mov_b32 s1, 0xcf800000
	s_waitcnt vmcnt(0)
	v_trunc_f32_e32 v1, v1
	v_mul_f32_e64 v3, |v1|, s0
	v_floor_f32_e32 v3, v3
	v_cvt_u32_f32_e32 v5, v3
	v_fma_f32 v3, v3, s1, |v1|
	v_cvt_u32_f32_e32 v3, v3
	v_ashrrev_i32_e32 v1, 31, v1
	v_xor_b32_e32 v5, v5, v1
	v_xor_b32_e32 v3, v3, v1
	v_sub_co_u32_e32 v10, vcc, v3, v1
	s_nop 1
	v_subb_co_u32_e32 v11, vcc, v5, v1, vcc
.LBB449_1339:
	s_mov_b64 s[0:1], 0
.LBB449_1340:
	s_andn2_b64 vcc, exec, s[0:1]
	s_cbranch_vccnz .LBB449_1342
; %bb.1341:
	global_load_dword v1, v[16:17], off
	s_waitcnt vmcnt(0)
	v_cvt_f32_f16_e32 v1, v1
	v_cvt_i32_f32_e32 v10, v1
	v_ashrrev_i32_e32 v11, 31, v10
.LBB449_1342:
	s_mov_b64 s[0:1], 0
.LBB449_1343:
	s_andn2_b64 vcc, exec, s[0:1]
	s_cbranch_vccnz .LBB449_1354
; %bb.1344:
	s_cmp_lt_i32 s8, 6
	s_cbranch_scc1 .LBB449_1347
; %bb.1345:
	s_cmp_gt_i32 s8, 6
	s_cbranch_scc0 .LBB449_1348
; %bb.1346:
	global_load_dwordx2 v[10:11], v[16:17], off
	s_movk_i32 s0, 0xffe0
	s_waitcnt vmcnt(0)
	v_trunc_f64_e32 v[18:19], v[10:11]
	v_ldexp_f64 v[10:11], v[18:19], s0
	v_floor_f64_e32 v[20:21], v[10:11]
	v_fmac_f64_e32 v[18:19], 0xc1f00000, v[20:21]
	v_cvt_i32_f64_e32 v11, v[20:21]
	v_cvt_u32_f64_e32 v10, v[18:19]
	s_mov_b64 s[0:1], 0
	s_branch .LBB449_1349
.LBB449_1347:
	s_mov_b64 s[0:1], -1
                                        ; implicit-def: $vgpr10_vgpr11
	s_branch .LBB449_1352
.LBB449_1348:
	s_mov_b64 s[0:1], -1
                                        ; implicit-def: $vgpr10_vgpr11
.LBB449_1349:
	s_andn2_b64 vcc, exec, s[0:1]
	s_cbranch_vccnz .LBB449_1351
; %bb.1350:
	global_load_dword v1, v[16:17], off
	s_mov_b32 s0, 0x2f800000
	s_mov_b32 s1, 0xcf800000
	s_waitcnt vmcnt(0)
	v_trunc_f32_e32 v1, v1
	v_mul_f32_e64 v3, |v1|, s0
	v_floor_f32_e32 v3, v3
	v_cvt_u32_f32_e32 v5, v3
	v_fma_f32 v3, v3, s1, |v1|
	v_cvt_u32_f32_e32 v3, v3
	v_ashrrev_i32_e32 v1, 31, v1
	v_xor_b32_e32 v5, v5, v1
	v_xor_b32_e32 v3, v3, v1
	v_sub_co_u32_e32 v10, vcc, v3, v1
	s_nop 1
	v_subb_co_u32_e32 v11, vcc, v5, v1, vcc
.LBB449_1351:
	s_mov_b64 s[0:1], 0
.LBB449_1352:
	s_andn2_b64 vcc, exec, s[0:1]
	s_cbranch_vccnz .LBB449_1354
; %bb.1353:
	global_load_ushort v1, v[16:17], off
	s_waitcnt vmcnt(0)
	v_cvt_f32_f16_e32 v1, v1
	v_cvt_i32_f32_e32 v10, v1
	v_ashrrev_i32_e32 v11, 31, v10
.LBB449_1354:
	s_cbranch_execnz .LBB449_1374
.LBB449_1355:
	s_cmp_lt_i32 s8, 2
	s_cbranch_scc1 .LBB449_1359
; %bb.1356:
	s_cmp_lt_i32 s8, 3
	s_cbranch_scc1 .LBB449_1360
; %bb.1357:
	s_cmp_gt_i32 s8, 3
	s_cbranch_scc0 .LBB449_1361
; %bb.1358:
	global_load_dwordx2 v[10:11], v[16:17], off
	s_mov_b64 s[0:1], 0
	s_branch .LBB449_1362
.LBB449_1359:
	s_mov_b64 s[0:1], -1
                                        ; implicit-def: $vgpr10_vgpr11
	s_branch .LBB449_1368
.LBB449_1360:
	s_mov_b64 s[0:1], -1
                                        ; implicit-def: $vgpr10_vgpr11
	s_branch .LBB449_1365
.LBB449_1361:
	s_mov_b64 s[0:1], -1
                                        ; implicit-def: $vgpr10_vgpr11
.LBB449_1362:
	s_andn2_b64 vcc, exec, s[0:1]
	s_cbranch_vccnz .LBB449_1364
; %bb.1363:
	global_load_dword v10, v[16:17], off
	s_waitcnt vmcnt(0)
	v_ashrrev_i32_e32 v11, 31, v10
.LBB449_1364:
	s_mov_b64 s[0:1], 0
.LBB449_1365:
	s_andn2_b64 vcc, exec, s[0:1]
	s_cbranch_vccnz .LBB449_1367
; %bb.1366:
	global_load_ushort v1, v[16:17], off
	s_waitcnt vmcnt(0)
	v_bfe_i32 v10, v1, 0, 16
	v_ashrrev_i32_e32 v11, 31, v10
.LBB449_1367:
	s_mov_b64 s[0:1], 0
.LBB449_1368:
	s_andn2_b64 vcc, exec, s[0:1]
	s_cbranch_vccnz .LBB449_1374
; %bb.1369:
	s_cmp_gt_i32 s8, 0
	s_cbranch_scc0 .LBB449_1371
; %bb.1370:
	global_load_sbyte v1, v[16:17], off
	s_mov_b64 s[0:1], 0
	s_waitcnt vmcnt(0)
	v_bfe_i32 v10, v1, 0, 16
	v_ashrrev_i32_e32 v11, 31, v10
	s_branch .LBB449_1372
.LBB449_1371:
	s_mov_b64 s[0:1], -1
                                        ; implicit-def: $vgpr10_vgpr11
.LBB449_1372:
	s_andn2_b64 vcc, exec, s[0:1]
	s_cbranch_vccnz .LBB449_1374
; %bb.1373:
	global_load_ubyte v1, v[16:17], off
	s_mov_b32 s0, 0
	s_waitcnt vmcnt(1)
	v_mov_b32_e32 v11, s0
	s_waitcnt vmcnt(0)
	v_and_b32_e32 v10, 0xffff, v1
.LBB449_1374:
.LBB449_1375:
	v_mov_b32_e32 v13, 0
	s_cmp_lt_i32 s14, 11
	v_lshl_add_u64 v[16:17], s[6:7], 0, v[12:13]
	s_cbranch_scc1 .LBB449_1382
; %bb.1376:
	s_and_b32 s15, 0xffff, s14
	s_cmp_gt_i32 s15, 25
	s_mov_b64 s[8:9], 0
	s_cbranch_scc0 .LBB449_1384
; %bb.1377:
	s_cmp_gt_i32 s15, 28
	s_cbranch_scc0 .LBB449_1385
; %bb.1378:
	s_cmp_gt_i32 s15, 43
	;; [unrolled: 3-line block ×3, first 2 shown]
	s_cbranch_scc0 .LBB449_1388
; %bb.1380:
	s_cmp_eq_u32 s15, 46
	s_mov_b64 s[12:13], 0
	s_cbranch_scc0 .LBB449_1389
; %bb.1381:
	global_load_dword v1, v[16:17], off
	s_mov_b32 s0, 0x2f800000
	s_mov_b32 s1, 0xcf800000
	s_mov_b64 s[10:11], -1
	s_waitcnt vmcnt(0)
	v_lshlrev_b32_e32 v1, 16, v1
	v_trunc_f32_e32 v1, v1
	v_mul_f32_e64 v3, |v1|, s0
	v_floor_f32_e32 v3, v3
	v_fma_f32 v5, v3, s1, |v1|
	v_cvt_u32_f32_e32 v5, v5
	v_cvt_u32_f32_e32 v3, v3
	v_ashrrev_i32_e32 v1, 31, v1
	s_mov_b64 s[0:1], 0
	v_xor_b32_e32 v5, v5, v1
	v_xor_b32_e32 v3, v3, v1
	v_sub_co_u32_e32 v12, vcc, v5, v1
	s_nop 1
	v_subb_co_u32_e32 v13, vcc, v3, v1, vcc
	s_branch .LBB449_1390
.LBB449_1382:
	s_mov_b64 s[10:11], 0
                                        ; implicit-def: $vgpr12_vgpr13
	s_cbranch_execnz .LBB449_1452
.LBB449_1383:
	s_andn2_b64 vcc, exec, s[10:11]
	s_cbranch_vccnz .LBB449_2059
	s_branch .LBB449_1500
.LBB449_1384:
	s_mov_b64 s[12:13], -1
	s_mov_b64 s[10:11], 0
	s_mov_b64 s[0:1], 0
                                        ; implicit-def: $vgpr12_vgpr13
	s_branch .LBB449_1417
.LBB449_1385:
	s_mov_b64 s[12:13], -1
	s_mov_b64 s[10:11], 0
	s_mov_b64 s[0:1], 0
                                        ; implicit-def: $vgpr12_vgpr13
	s_branch .LBB449_1400
.LBB449_1386:
	s_mov_b64 s[12:13], -1
	s_mov_b64 s[10:11], 0
	s_mov_b64 s[0:1], 0
                                        ; implicit-def: $vgpr12_vgpr13
	s_branch .LBB449_1395
.LBB449_1387:
	s_trap 2
	s_or_b64 s[2:3], s[2:3], exec
	s_cbranch_execz .LBB449_1326
	s_branch .LBB449_1327
.LBB449_1388:
	s_mov_b64 s[12:13], -1
	s_mov_b64 s[10:11], 0
	s_mov_b64 s[0:1], 0
                                        ; implicit-def: $vgpr12_vgpr13
	s_branch .LBB449_1390
.LBB449_1389:
	s_mov_b64 s[0:1], -1
                                        ; implicit-def: $vgpr12_vgpr13
	s_mov_b64 s[10:11], 0
.LBB449_1390:
	s_and_b64 vcc, exec, s[12:13]
	s_cbranch_vccz .LBB449_1394
; %bb.1391:
	s_cmp_eq_u32 s15, 44
	s_cbranch_scc0 .LBB449_1393
; %bb.1392:
	global_load_ubyte v1, v[16:17], off
	s_mov_b32 s0, 0x2f800000
	s_mov_b32 s1, 0xcf800000
	s_mov_b64 s[10:11], -1
	s_waitcnt vmcnt(0)
	v_lshlrev_b32_e32 v3, 23, v1
	v_trunc_f32_e32 v3, v3
	v_mul_f32_e64 v5, |v3|, s0
	v_floor_f32_e32 v5, v5
	v_fma_f32 v7, v5, s1, |v3|
	v_cvt_u32_f32_e32 v7, v7
	v_cvt_u32_f32_e32 v5, v5
	v_ashrrev_i32_e32 v3, 31, v3
	s_mov_b64 s[0:1], 0
	v_xor_b32_e32 v7, v7, v3
	v_xor_b32_e32 v5, v5, v3
	v_sub_co_u32_e32 v7, vcc, v7, v3
	s_nop 1
	v_subb_co_u32_e32 v3, vcc, v5, v3, vcc
	v_cmp_ne_u32_e32 vcc, 0, v1
	s_nop 1
	v_cndmask_b32_e32 v13, 0, v3, vcc
	v_cndmask_b32_e32 v12, 0, v7, vcc
	s_branch .LBB449_1394
.LBB449_1393:
	s_mov_b64 s[0:1], -1
                                        ; implicit-def: $vgpr12_vgpr13
.LBB449_1394:
	s_mov_b64 s[12:13], 0
.LBB449_1395:
	s_and_b64 vcc, exec, s[12:13]
	s_cbranch_vccz .LBB449_1399
; %bb.1396:
	s_cmp_eq_u32 s15, 29
	s_cbranch_scc0 .LBB449_1398
; %bb.1397:
	global_load_dwordx2 v[12:13], v[16:17], off
	s_mov_b64 s[0:1], 0
	s_mov_b64 s[10:11], -1
	s_branch .LBB449_1399
.LBB449_1398:
	s_mov_b64 s[0:1], -1
                                        ; implicit-def: $vgpr12_vgpr13
.LBB449_1399:
	s_mov_b64 s[12:13], 0
.LBB449_1400:
	s_and_b64 vcc, exec, s[12:13]
	s_cbranch_vccz .LBB449_1416
; %bb.1401:
	s_cmp_lt_i32 s15, 27
	s_cbranch_scc1 .LBB449_1404
; %bb.1402:
	s_cmp_gt_i32 s15, 27
	s_cbranch_scc0 .LBB449_1405
; %bb.1403:
	global_load_dword v12, v[16:17], off
	s_waitcnt vmcnt(1)
	v_mov_b32_e32 v13, 0
	s_mov_b64 s[10:11], 0
	s_branch .LBB449_1406
.LBB449_1404:
	s_mov_b64 s[10:11], -1
                                        ; implicit-def: $vgpr12_vgpr13
	s_branch .LBB449_1409
.LBB449_1405:
	s_mov_b64 s[10:11], -1
                                        ; implicit-def: $vgpr12_vgpr13
.LBB449_1406:
	s_andn2_b64 vcc, exec, s[10:11]
	s_cbranch_vccnz .LBB449_1408
; %bb.1407:
	global_load_ushort v1, v[16:17], off
	s_mov_b32 s10, 0
	s_waitcnt vmcnt(1)
	v_mov_b32_e32 v13, s10
	s_waitcnt vmcnt(0)
	v_and_b32_e32 v12, 0xffff, v1
.LBB449_1408:
	s_mov_b64 s[10:11], 0
.LBB449_1409:
	s_andn2_b64 vcc, exec, s[10:11]
	s_cbranch_vccnz .LBB449_1415
; %bb.1410:
	global_load_ubyte v1, v[16:17], off
	s_movk_i32 s10, 0x7f
	s_mov_b64 s[12:13], 0
	s_waitcnt vmcnt(0)
	v_cmp_lt_i16_e32 vcc, s10, v1
	s_and_saveexec_b64 s[10:11], vcc
	s_xor_b64 s[10:11], exec, s[10:11]
	s_cbranch_execz .LBB449_1427
; %bb.1411:
	s_movk_i32 s12, 0x80
	v_cmp_ne_u16_e32 vcc, s12, v1
	s_and_b64 s[12:13], vcc, exec
	s_andn2_saveexec_b64 s[10:11], s[10:11]
	s_cbranch_execnz .LBB449_1428
.LBB449_1412:
	s_or_b64 exec, exec, s[10:11]
	v_mov_b64_e32 v[12:13], 0
	s_and_saveexec_b64 s[10:11], s[12:13]
	s_cbranch_execz .LBB449_1414
.LBB449_1413:
	v_lshlrev_b32_e32 v3, 24, v1
	v_and_b32_e32 v1, 0xffff, v1
	v_and_b32_e32 v5, 7, v1
	v_ffbh_u32_e32 v12, v5
	v_min_u32_e32 v12, 32, v12
	v_subrev_u32_e32 v13, 28, v12
	v_bfe_u32 v7, v1, 3, 4
	v_lshlrev_b32_e32 v1, v13, v1
	v_sub_u32_e32 v12, 29, v12
	v_and_b32_e32 v1, 7, v1
	v_cmp_eq_u32_e32 vcc, 0, v7
	v_and_b32_e32 v3, 0x80000000, v3
	s_mov_b32 s12, 0x2f800000
	v_cndmask_b32_e32 v7, v7, v12, vcc
	v_cndmask_b32_e32 v1, v5, v1, vcc
	v_mov_b32_e32 v5, 0x3b800000
	v_lshlrev_b32_e32 v1, 20, v1
	v_lshl_add_u32 v5, v7, 23, v5
	v_or3_b32 v1, v3, v5, v1
	v_trunc_f32_e32 v1, v1
	v_mul_f32_e64 v3, |v1|, s12
	v_floor_f32_e32 v3, v3
	s_mov_b32 s12, 0xcf800000
	v_fma_f32 v5, v3, s12, |v1|
	v_cvt_u32_f32_e32 v5, v5
	v_cvt_u32_f32_e32 v3, v3
	v_ashrrev_i32_e32 v1, 31, v1
	v_xor_b32_e32 v5, v5, v1
	v_xor_b32_e32 v3, v3, v1
	v_sub_co_u32_e32 v12, vcc, v5, v1
	s_nop 1
	v_subb_co_u32_e32 v13, vcc, v3, v1, vcc
.LBB449_1414:
	s_or_b64 exec, exec, s[10:11]
.LBB449_1415:
	s_mov_b64 s[10:11], -1
.LBB449_1416:
	s_mov_b64 s[12:13], 0
.LBB449_1417:
	s_and_b64 vcc, exec, s[12:13]
	s_cbranch_vccz .LBB449_1448
; %bb.1418:
	s_cmp_gt_i32 s15, 22
	s_cbranch_scc0 .LBB449_1426
; %bb.1419:
	s_cmp_lt_i32 s15, 24
	s_cbranch_scc1 .LBB449_1429
; %bb.1420:
	s_cmp_gt_i32 s15, 24
	s_cbranch_scc0 .LBB449_1430
; %bb.1421:
	global_load_ubyte v1, v[16:17], off
	s_movk_i32 s8, 0x7f
	s_mov_b64 s[10:11], 0
	s_waitcnt vmcnt(0)
	v_cmp_lt_i16_e32 vcc, s8, v1
	s_and_saveexec_b64 s[8:9], vcc
	s_xor_b64 s[8:9], exec, s[8:9]
	s_cbranch_execz .LBB449_1442
; %bb.1422:
	s_movk_i32 s10, 0x80
	v_cmp_ne_u16_e32 vcc, s10, v1
	s_and_b64 s[10:11], vcc, exec
	s_andn2_saveexec_b64 s[8:9], s[8:9]
	s_cbranch_execnz .LBB449_1443
.LBB449_1423:
	s_or_b64 exec, exec, s[8:9]
	v_mov_b64_e32 v[12:13], 0
	s_and_saveexec_b64 s[8:9], s[10:11]
	s_cbranch_execz .LBB449_1425
.LBB449_1424:
	v_lshlrev_b32_e32 v3, 24, v1
	v_and_b32_e32 v1, 0xffff, v1
	v_and_b32_e32 v5, 3, v1
	v_ffbh_u32_e32 v12, v5
	v_min_u32_e32 v12, 32, v12
	v_subrev_u32_e32 v13, 29, v12
	v_bfe_u32 v7, v1, 2, 5
	v_lshlrev_b32_e32 v1, v13, v1
	v_sub_u32_e32 v12, 30, v12
	v_and_b32_e32 v1, 3, v1
	v_cmp_eq_u32_e32 vcc, 0, v7
	v_and_b32_e32 v3, 0x80000000, v3
	s_mov_b32 s10, 0x2f800000
	v_cndmask_b32_e32 v7, v7, v12, vcc
	v_cndmask_b32_e32 v1, v5, v1, vcc
	v_mov_b32_e32 v5, 0x37800000
	v_lshlrev_b32_e32 v1, 21, v1
	v_lshl_add_u32 v5, v7, 23, v5
	v_or3_b32 v1, v3, v5, v1
	v_trunc_f32_e32 v1, v1
	v_mul_f32_e64 v3, |v1|, s10
	v_floor_f32_e32 v3, v3
	s_mov_b32 s10, 0xcf800000
	v_fma_f32 v5, v3, s10, |v1|
	v_cvt_u32_f32_e32 v5, v5
	v_cvt_u32_f32_e32 v3, v3
	v_ashrrev_i32_e32 v1, 31, v1
	v_xor_b32_e32 v5, v5, v1
	v_xor_b32_e32 v3, v3, v1
	v_sub_co_u32_e32 v12, vcc, v5, v1
	s_nop 1
	v_subb_co_u32_e32 v13, vcc, v3, v1, vcc
.LBB449_1425:
	s_or_b64 exec, exec, s[8:9]
	s_mov_b64 s[8:9], 0
	s_branch .LBB449_1431
.LBB449_1426:
	s_mov_b64 s[8:9], -1
                                        ; implicit-def: $vgpr12_vgpr13
	s_branch .LBB449_1437
.LBB449_1427:
	s_andn2_saveexec_b64 s[10:11], s[10:11]
	s_cbranch_execz .LBB449_1412
.LBB449_1428:
	v_cmp_ne_u16_e32 vcc, 0, v1
	s_andn2_b64 s[12:13], s[12:13], exec
	s_and_b64 s[16:17], vcc, exec
	s_or_b64 s[12:13], s[12:13], s[16:17]
	s_or_b64 exec, exec, s[10:11]
	v_mov_b64_e32 v[12:13], 0
	s_and_saveexec_b64 s[10:11], s[12:13]
	s_cbranch_execnz .LBB449_1413
	s_branch .LBB449_1414
.LBB449_1429:
	s_mov_b64 s[8:9], -1
                                        ; implicit-def: $vgpr12_vgpr13
	s_branch .LBB449_1434
.LBB449_1430:
	s_mov_b64 s[8:9], -1
                                        ; implicit-def: $vgpr12_vgpr13
.LBB449_1431:
	s_and_b64 vcc, exec, s[8:9]
	s_cbranch_vccz .LBB449_1433
; %bb.1432:
	global_load_ubyte v1, v[16:17], off
	s_mov_b32 s8, 0x7f800000
	s_brev_b32 s9, 1
	s_mov_b32 s10, 0x2f800000
	s_mov_b32 s11, 0xcf800000
	s_waitcnt vmcnt(0)
	v_lshlrev_b32_e32 v1, 24, v1
	v_and_b32_e32 v3, 0x7f000000, v1
	v_ffbh_u32_e32 v5, v3
	v_min_u32_e32 v5, 32, v5
	v_sub_u32_e64 v5, v5, 4 clamp
	v_lshlrev_b32_e32 v12, v5, v3
	v_lshlrev_b32_e32 v5, 23, v5
	v_lshrrev_b32_e32 v12, 4, v12
	v_add_u32_e32 v7, 0x1000000, v3
	v_sub_u32_e32 v5, v12, v5
	v_ashrrev_i32_e32 v7, 8, v7
	v_add_u32_e32 v5, 0x3c000000, v5
	v_and_or_b32 v5, v7, s8, v5
	v_cmp_ne_u32_e32 vcc, 0, v3
	s_nop 1
	v_cndmask_b32_e32 v3, 0, v5, vcc
	v_and_or_b32 v1, v1, s9, v3
	v_trunc_f32_e32 v1, v1
	v_mul_f32_e64 v3, |v1|, s10
	v_floor_f32_e32 v3, v3
	v_fma_f32 v5, v3, s11, |v1|
	v_cvt_u32_f32_e32 v5, v5
	v_cvt_u32_f32_e32 v3, v3
	v_ashrrev_i32_e32 v1, 31, v1
	v_xor_b32_e32 v5, v5, v1
	v_xor_b32_e32 v3, v3, v1
	v_sub_co_u32_e32 v12, vcc, v5, v1
	s_nop 1
	v_subb_co_u32_e32 v13, vcc, v3, v1, vcc
.LBB449_1433:
	s_mov_b64 s[8:9], 0
.LBB449_1434:
	s_andn2_b64 vcc, exec, s[8:9]
	s_cbranch_vccnz .LBB449_1436
; %bb.1435:
	global_load_ubyte v1, v[16:17], off
	s_movk_i32 s8, 0x7f00
	s_brev_b32 s9, 16
	s_brev_b32 s10, 1
	s_mov_b32 s11, 0x2f800000
	s_mov_b32 s12, 0xcf800000
	s_waitcnt vmcnt(0)
	v_lshlrev_b16_e32 v3, 8, v1
	v_lshlrev_b32_e32 v1, 25, v1
	v_lshrrev_b32_e32 v5, 4, v1
	v_and_or_b32 v7, v3, s8, 0.5
	v_or_b32_e32 v5, 0x70000000, v5
	v_add_f32_e32 v7, -0.5, v7
	v_mul_f32_e32 v5, 0x7800000, v5
	v_cmp_gt_u32_e32 vcc, s9, v1
	v_bfe_i32 v3, v3, 0, 16
	s_nop 0
	v_cndmask_b32_e32 v1, v5, v7, vcc
	v_and_or_b32 v1, v3, s10, v1
	v_trunc_f32_e32 v1, v1
	v_mul_f32_e64 v3, |v1|, s11
	v_floor_f32_e32 v3, v3
	v_fma_f32 v5, v3, s12, |v1|
	v_cvt_u32_f32_e32 v5, v5
	v_cvt_u32_f32_e32 v3, v3
	v_ashrrev_i32_e32 v1, 31, v1
	v_xor_b32_e32 v5, v5, v1
	v_xor_b32_e32 v3, v3, v1
	v_sub_co_u32_e32 v12, vcc, v5, v1
	s_nop 1
	v_subb_co_u32_e32 v13, vcc, v3, v1, vcc
.LBB449_1436:
	s_mov_b64 s[8:9], 0
	s_mov_b64 s[10:11], -1
.LBB449_1437:
	s_andn2_b64 vcc, exec, s[8:9]
	s_mov_b64 s[8:9], 0
	s_cbranch_vccnz .LBB449_1448
; %bb.1438:
	s_cmp_gt_i32 s15, 14
	s_cbranch_scc0 .LBB449_1441
; %bb.1439:
	s_cmp_eq_u32 s15, 15
	s_cbranch_scc0 .LBB449_1444
; %bb.1440:
	global_load_ushort v1, v[16:17], off
	s_mov_b32 s0, 0x2f800000
	s_mov_b32 s1, 0xcf800000
	s_mov_b64 s[10:11], -1
	s_waitcnt vmcnt(0)
	v_lshlrev_b32_e32 v1, 16, v1
	v_trunc_f32_e32 v1, v1
	v_mul_f32_e64 v3, |v1|, s0
	v_floor_f32_e32 v3, v3
	v_fma_f32 v5, v3, s1, |v1|
	v_cvt_u32_f32_e32 v5, v5
	v_cvt_u32_f32_e32 v3, v3
	v_ashrrev_i32_e32 v1, 31, v1
	s_mov_b64 s[0:1], 0
	v_xor_b32_e32 v5, v5, v1
	v_xor_b32_e32 v3, v3, v1
	v_sub_co_u32_e32 v12, vcc, v5, v1
	s_nop 1
	v_subb_co_u32_e32 v13, vcc, v3, v1, vcc
	s_branch .LBB449_1445
.LBB449_1441:
	s_mov_b64 s[12:13], -1
                                        ; implicit-def: $vgpr12_vgpr13
	s_branch .LBB449_1446
.LBB449_1442:
	s_andn2_saveexec_b64 s[8:9], s[8:9]
	s_cbranch_execz .LBB449_1423
.LBB449_1443:
	v_cmp_ne_u16_e32 vcc, 0, v1
	s_andn2_b64 s[10:11], s[10:11], exec
	s_and_b64 s[12:13], vcc, exec
	s_or_b64 s[10:11], s[10:11], s[12:13]
	s_or_b64 exec, exec, s[8:9]
	v_mov_b64_e32 v[12:13], 0
	s_and_saveexec_b64 s[8:9], s[10:11]
	s_cbranch_execnz .LBB449_1424
	s_branch .LBB449_1425
.LBB449_1444:
	s_mov_b64 s[0:1], -1
                                        ; implicit-def: $vgpr12_vgpr13
.LBB449_1445:
	s_mov_b64 s[12:13], 0
.LBB449_1446:
	s_and_b64 vcc, exec, s[12:13]
	s_cbranch_vccz .LBB449_1448
; %bb.1447:
	s_cmp_lg_u32 s15, 11
	s_mov_b64 s[8:9], -1
	s_cselect_b64 s[0:1], -1, 0
.LBB449_1448:
	s_and_b64 vcc, exec, s[0:1]
	s_cbranch_vccnz .LBB449_1511
; %bb.1449:
	s_andn2_b64 vcc, exec, s[8:9]
	s_cbranch_vccnz .LBB449_1451
.LBB449_1450:
	global_load_ubyte v1, v[16:17], off
	s_mov_b32 s0, 0
	s_waitcnt vmcnt(1)
	v_mov_b32_e32 v13, s0
	s_mov_b64 s[10:11], -1
	s_waitcnt vmcnt(0)
	v_cmp_ne_u16_e32 vcc, 0, v1
	s_nop 1
	v_cndmask_b32_e64 v12, 0, 1, vcc
.LBB449_1451:
	s_branch .LBB449_1383
.LBB449_1452:
	s_and_b32 s8, 0xffff, s14
	s_cmp_lt_i32 s8, 5
	s_cbranch_scc1 .LBB449_1457
; %bb.1453:
	s_cmp_lt_i32 s8, 8
	s_cbranch_scc1 .LBB449_1458
; %bb.1454:
	;; [unrolled: 3-line block ×3, first 2 shown]
	s_cmp_gt_i32 s8, 9
	s_cbranch_scc0 .LBB449_1460
; %bb.1456:
	global_load_dwordx2 v[12:13], v[16:17], off
	s_movk_i32 s0, 0xffe0
	s_waitcnt vmcnt(0)
	v_trunc_f64_e32 v[18:19], v[12:13]
	v_ldexp_f64 v[12:13], v[18:19], s0
	v_floor_f64_e32 v[20:21], v[12:13]
	v_fmac_f64_e32 v[18:19], 0xc1f00000, v[20:21]
	v_cvt_i32_f64_e32 v13, v[20:21]
	v_cvt_u32_f64_e32 v12, v[18:19]
	s_mov_b64 s[0:1], 0
	s_branch .LBB449_1461
.LBB449_1457:
	s_mov_b64 s[0:1], -1
                                        ; implicit-def: $vgpr12_vgpr13
	s_branch .LBB449_1479
.LBB449_1458:
	s_mov_b64 s[0:1], -1
                                        ; implicit-def: $vgpr12_vgpr13
	s_branch .LBB449_1467
.LBB449_1459:
	s_mov_b64 s[0:1], -1
                                        ; implicit-def: $vgpr12_vgpr13
	s_branch .LBB449_1464
.LBB449_1460:
	s_mov_b64 s[0:1], -1
                                        ; implicit-def: $vgpr12_vgpr13
.LBB449_1461:
	s_andn2_b64 vcc, exec, s[0:1]
	s_cbranch_vccnz .LBB449_1463
; %bb.1462:
	global_load_dword v1, v[16:17], off
	s_mov_b32 s0, 0x2f800000
	s_mov_b32 s1, 0xcf800000
	s_waitcnt vmcnt(0)
	v_trunc_f32_e32 v1, v1
	v_mul_f32_e64 v3, |v1|, s0
	v_floor_f32_e32 v3, v3
	v_cvt_u32_f32_e32 v5, v3
	v_fma_f32 v3, v3, s1, |v1|
	v_cvt_u32_f32_e32 v3, v3
	v_ashrrev_i32_e32 v1, 31, v1
	v_xor_b32_e32 v5, v5, v1
	v_xor_b32_e32 v3, v3, v1
	v_sub_co_u32_e32 v12, vcc, v3, v1
	s_nop 1
	v_subb_co_u32_e32 v13, vcc, v5, v1, vcc
.LBB449_1463:
	s_mov_b64 s[0:1], 0
.LBB449_1464:
	s_andn2_b64 vcc, exec, s[0:1]
	s_cbranch_vccnz .LBB449_1466
; %bb.1465:
	global_load_dword v1, v[16:17], off
	s_waitcnt vmcnt(0)
	v_cvt_f32_f16_e32 v1, v1
	v_cvt_i32_f32_e32 v12, v1
	v_ashrrev_i32_e32 v13, 31, v12
.LBB449_1466:
	s_mov_b64 s[0:1], 0
.LBB449_1467:
	s_andn2_b64 vcc, exec, s[0:1]
	s_cbranch_vccnz .LBB449_1478
; %bb.1468:
	s_cmp_lt_i32 s8, 6
	s_cbranch_scc1 .LBB449_1471
; %bb.1469:
	s_cmp_gt_i32 s8, 6
	s_cbranch_scc0 .LBB449_1472
; %bb.1470:
	global_load_dwordx2 v[12:13], v[16:17], off
	s_movk_i32 s0, 0xffe0
	s_waitcnt vmcnt(0)
	v_trunc_f64_e32 v[18:19], v[12:13]
	v_ldexp_f64 v[12:13], v[18:19], s0
	v_floor_f64_e32 v[20:21], v[12:13]
	v_fmac_f64_e32 v[18:19], 0xc1f00000, v[20:21]
	v_cvt_i32_f64_e32 v13, v[20:21]
	v_cvt_u32_f64_e32 v12, v[18:19]
	s_mov_b64 s[0:1], 0
	s_branch .LBB449_1473
.LBB449_1471:
	s_mov_b64 s[0:1], -1
                                        ; implicit-def: $vgpr12_vgpr13
	s_branch .LBB449_1476
.LBB449_1472:
	s_mov_b64 s[0:1], -1
                                        ; implicit-def: $vgpr12_vgpr13
.LBB449_1473:
	s_andn2_b64 vcc, exec, s[0:1]
	s_cbranch_vccnz .LBB449_1475
; %bb.1474:
	global_load_dword v1, v[16:17], off
	s_mov_b32 s0, 0x2f800000
	s_mov_b32 s1, 0xcf800000
	s_waitcnt vmcnt(0)
	v_trunc_f32_e32 v1, v1
	v_mul_f32_e64 v3, |v1|, s0
	v_floor_f32_e32 v3, v3
	v_cvt_u32_f32_e32 v5, v3
	v_fma_f32 v3, v3, s1, |v1|
	v_cvt_u32_f32_e32 v3, v3
	v_ashrrev_i32_e32 v1, 31, v1
	v_xor_b32_e32 v5, v5, v1
	v_xor_b32_e32 v3, v3, v1
	v_sub_co_u32_e32 v12, vcc, v3, v1
	s_nop 1
	v_subb_co_u32_e32 v13, vcc, v5, v1, vcc
.LBB449_1475:
	s_mov_b64 s[0:1], 0
.LBB449_1476:
	s_andn2_b64 vcc, exec, s[0:1]
	s_cbranch_vccnz .LBB449_1478
; %bb.1477:
	global_load_ushort v1, v[16:17], off
	s_waitcnt vmcnt(0)
	v_cvt_f32_f16_e32 v1, v1
	v_cvt_i32_f32_e32 v12, v1
	v_ashrrev_i32_e32 v13, 31, v12
.LBB449_1478:
	s_mov_b64 s[0:1], 0
.LBB449_1479:
	s_andn2_b64 vcc, exec, s[0:1]
	s_cbranch_vccnz .LBB449_1499
; %bb.1480:
	s_cmp_lt_i32 s8, 2
	s_cbranch_scc1 .LBB449_1484
; %bb.1481:
	s_cmp_lt_i32 s8, 3
	s_cbranch_scc1 .LBB449_1485
; %bb.1482:
	s_cmp_gt_i32 s8, 3
	s_cbranch_scc0 .LBB449_1486
; %bb.1483:
	global_load_dwordx2 v[12:13], v[16:17], off
	s_mov_b64 s[0:1], 0
	s_branch .LBB449_1487
.LBB449_1484:
	s_mov_b64 s[0:1], -1
                                        ; implicit-def: $vgpr12_vgpr13
	s_branch .LBB449_1493
.LBB449_1485:
	s_mov_b64 s[0:1], -1
                                        ; implicit-def: $vgpr12_vgpr13
	s_branch .LBB449_1490
.LBB449_1486:
	s_mov_b64 s[0:1], -1
                                        ; implicit-def: $vgpr12_vgpr13
.LBB449_1487:
	s_andn2_b64 vcc, exec, s[0:1]
	s_cbranch_vccnz .LBB449_1489
; %bb.1488:
	global_load_dword v12, v[16:17], off
	s_waitcnt vmcnt(0)
	v_ashrrev_i32_e32 v13, 31, v12
.LBB449_1489:
	s_mov_b64 s[0:1], 0
.LBB449_1490:
	s_andn2_b64 vcc, exec, s[0:1]
	s_cbranch_vccnz .LBB449_1492
; %bb.1491:
	global_load_ushort v1, v[16:17], off
	s_waitcnt vmcnt(0)
	v_bfe_i32 v12, v1, 0, 16
	v_ashrrev_i32_e32 v13, 31, v12
.LBB449_1492:
	s_mov_b64 s[0:1], 0
.LBB449_1493:
	s_andn2_b64 vcc, exec, s[0:1]
	s_cbranch_vccnz .LBB449_1499
; %bb.1494:
	s_cmp_gt_i32 s8, 0
	s_cbranch_scc0 .LBB449_1496
; %bb.1495:
	global_load_sbyte v1, v[16:17], off
	s_mov_b64 s[0:1], 0
	s_waitcnt vmcnt(0)
	v_bfe_i32 v12, v1, 0, 16
	v_ashrrev_i32_e32 v13, 31, v12
	s_branch .LBB449_1497
.LBB449_1496:
	s_mov_b64 s[0:1], -1
                                        ; implicit-def: $vgpr12_vgpr13
.LBB449_1497:
	s_andn2_b64 vcc, exec, s[0:1]
	s_cbranch_vccnz .LBB449_1499
; %bb.1498:
	global_load_ubyte v1, v[16:17], off
	s_mov_b32 s0, 0
	s_waitcnt vmcnt(1)
	v_mov_b32_e32 v13, s0
	s_waitcnt vmcnt(0)
	v_and_b32_e32 v12, 0xffff, v1
.LBB449_1499:
.LBB449_1500:
	v_mov_b32_e32 v15, 0
	s_cmp_lt_i32 s14, 11
	v_lshl_add_u64 v[16:17], s[6:7], 0, v[14:15]
	s_cbranch_scc1 .LBB449_1507
; %bb.1501:
	s_and_b32 s12, 0xffff, s14
	s_cmp_gt_i32 s12, 25
	s_mov_b64 s[6:7], 0
	s_cbranch_scc0 .LBB449_1508
; %bb.1502:
	s_cmp_gt_i32 s12, 28
	s_cbranch_scc0 .LBB449_1509
; %bb.1503:
	s_cmp_gt_i32 s12, 43
	;; [unrolled: 3-line block ×3, first 2 shown]
	s_cbranch_scc0 .LBB449_1512
; %bb.1505:
	s_cmp_eq_u32 s12, 46
	s_mov_b64 s[10:11], 0
	s_cbranch_scc0 .LBB449_1513
; %bb.1506:
	global_load_dword v1, v[16:17], off
	s_mov_b32 s0, 0x2f800000
	s_mov_b32 s1, 0xcf800000
	s_mov_b64 s[8:9], -1
	s_waitcnt vmcnt(0)
	v_lshlrev_b32_e32 v1, 16, v1
	v_trunc_f32_e32 v1, v1
	v_mul_f32_e64 v3, |v1|, s0
	v_floor_f32_e32 v3, v3
	v_fma_f32 v5, v3, s1, |v1|
	v_cvt_u32_f32_e32 v5, v5
	v_cvt_u32_f32_e32 v3, v3
	v_ashrrev_i32_e32 v1, 31, v1
	s_mov_b64 s[0:1], 0
	v_xor_b32_e32 v5, v5, v1
	v_xor_b32_e32 v3, v3, v1
	v_sub_co_u32_e32 v14, vcc, v5, v1
	s_nop 1
	v_subb_co_u32_e32 v15, vcc, v3, v1, vcc
	s_branch .LBB449_1514
.LBB449_1507:
	s_mov_b64 s[0:1], -1
	s_mov_b64 s[8:9], 0
                                        ; implicit-def: $vgpr14_vgpr15
	s_branch .LBB449_1576
.LBB449_1508:
	s_mov_b64 s[10:11], -1
	s_mov_b64 s[8:9], 0
	s_mov_b64 s[0:1], 0
                                        ; implicit-def: $vgpr14_vgpr15
	s_branch .LBB449_1541
.LBB449_1509:
	s_mov_b64 s[10:11], -1
	s_mov_b64 s[8:9], 0
	s_mov_b64 s[0:1], 0
                                        ; implicit-def: $vgpr14_vgpr15
	s_branch .LBB449_1524
.LBB449_1510:
	s_mov_b64 s[10:11], -1
	s_mov_b64 s[8:9], 0
	s_mov_b64 s[0:1], 0
                                        ; implicit-def: $vgpr14_vgpr15
	s_branch .LBB449_1519
.LBB449_1511:
	s_trap 2
	s_or_b64 s[2:3], s[2:3], exec
	s_cbranch_execz .LBB449_1450
	s_branch .LBB449_1451
.LBB449_1512:
	s_mov_b64 s[10:11], -1
	s_mov_b64 s[8:9], 0
	s_mov_b64 s[0:1], 0
                                        ; implicit-def: $vgpr14_vgpr15
	s_branch .LBB449_1514
.LBB449_1513:
	s_mov_b64 s[0:1], -1
                                        ; implicit-def: $vgpr14_vgpr15
	s_mov_b64 s[8:9], 0
.LBB449_1514:
	s_and_b64 vcc, exec, s[10:11]
	s_cbranch_vccz .LBB449_1518
; %bb.1515:
	s_cmp_eq_u32 s12, 44
	s_cbranch_scc0 .LBB449_1517
; %bb.1516:
	global_load_ubyte v1, v[16:17], off
	s_mov_b32 s0, 0x2f800000
	s_mov_b32 s1, 0xcf800000
	s_mov_b64 s[8:9], -1
	s_waitcnt vmcnt(0)
	v_lshlrev_b32_e32 v3, 23, v1
	v_trunc_f32_e32 v3, v3
	v_mul_f32_e64 v5, |v3|, s0
	v_floor_f32_e32 v5, v5
	v_fma_f32 v7, v5, s1, |v3|
	v_cvt_u32_f32_e32 v7, v7
	v_cvt_u32_f32_e32 v5, v5
	v_ashrrev_i32_e32 v3, 31, v3
	s_mov_b64 s[0:1], 0
	v_xor_b32_e32 v7, v7, v3
	v_xor_b32_e32 v5, v5, v3
	v_sub_co_u32_e32 v7, vcc, v7, v3
	s_nop 1
	v_subb_co_u32_e32 v3, vcc, v5, v3, vcc
	v_cmp_ne_u32_e32 vcc, 0, v1
	s_nop 1
	v_cndmask_b32_e32 v15, 0, v3, vcc
	v_cndmask_b32_e32 v14, 0, v7, vcc
	s_branch .LBB449_1518
.LBB449_1517:
	s_mov_b64 s[0:1], -1
                                        ; implicit-def: $vgpr14_vgpr15
.LBB449_1518:
	s_mov_b64 s[10:11], 0
.LBB449_1519:
	s_and_b64 vcc, exec, s[10:11]
	s_cbranch_vccz .LBB449_1523
; %bb.1520:
	s_cmp_eq_u32 s12, 29
	s_cbranch_scc0 .LBB449_1522
; %bb.1521:
	global_load_dwordx2 v[14:15], v[16:17], off
	s_mov_b64 s[0:1], 0
	s_mov_b64 s[8:9], -1
	s_branch .LBB449_1523
.LBB449_1522:
	s_mov_b64 s[0:1], -1
                                        ; implicit-def: $vgpr14_vgpr15
.LBB449_1523:
	s_mov_b64 s[10:11], 0
.LBB449_1524:
	s_and_b64 vcc, exec, s[10:11]
	s_cbranch_vccz .LBB449_1540
; %bb.1525:
	s_cmp_lt_i32 s12, 27
	s_cbranch_scc1 .LBB449_1528
; %bb.1526:
	s_cmp_gt_i32 s12, 27
	s_cbranch_scc0 .LBB449_1529
; %bb.1527:
	global_load_dword v14, v[16:17], off
	s_waitcnt vmcnt(1)
	v_mov_b32_e32 v15, 0
	s_mov_b64 s[8:9], 0
	s_branch .LBB449_1530
.LBB449_1528:
	s_mov_b64 s[8:9], -1
                                        ; implicit-def: $vgpr14_vgpr15
	s_branch .LBB449_1533
.LBB449_1529:
	s_mov_b64 s[8:9], -1
                                        ; implicit-def: $vgpr14_vgpr15
.LBB449_1530:
	s_andn2_b64 vcc, exec, s[8:9]
	s_cbranch_vccnz .LBB449_1532
; %bb.1531:
	global_load_ushort v1, v[16:17], off
	s_mov_b32 s8, 0
	s_waitcnt vmcnt(1)
	v_mov_b32_e32 v15, s8
	s_waitcnt vmcnt(0)
	v_and_b32_e32 v14, 0xffff, v1
.LBB449_1532:
	s_mov_b64 s[8:9], 0
.LBB449_1533:
	s_andn2_b64 vcc, exec, s[8:9]
	s_cbranch_vccnz .LBB449_1539
; %bb.1534:
	global_load_ubyte v1, v[16:17], off
	s_movk_i32 s8, 0x7f
	s_mov_b64 s[10:11], 0
	s_waitcnt vmcnt(0)
	v_cmp_lt_i16_e32 vcc, s8, v1
	s_and_saveexec_b64 s[8:9], vcc
	s_xor_b64 s[8:9], exec, s[8:9]
	s_cbranch_execz .LBB449_1551
; %bb.1535:
	s_movk_i32 s10, 0x80
	v_cmp_ne_u16_e32 vcc, s10, v1
	s_and_b64 s[10:11], vcc, exec
	s_andn2_saveexec_b64 s[8:9], s[8:9]
	s_cbranch_execnz .LBB449_1552
.LBB449_1536:
	s_or_b64 exec, exec, s[8:9]
	v_mov_b64_e32 v[14:15], 0
	s_and_saveexec_b64 s[8:9], s[10:11]
	s_cbranch_execz .LBB449_1538
.LBB449_1537:
	v_lshlrev_b32_e32 v3, 24, v1
	v_and_b32_e32 v1, 0xffff, v1
	v_and_b32_e32 v5, 7, v1
	v_ffbh_u32_e32 v14, v5
	v_min_u32_e32 v14, 32, v14
	v_subrev_u32_e32 v15, 28, v14
	v_bfe_u32 v7, v1, 3, 4
	v_lshlrev_b32_e32 v1, v15, v1
	v_sub_u32_e32 v14, 29, v14
	v_and_b32_e32 v1, 7, v1
	v_cmp_eq_u32_e32 vcc, 0, v7
	v_and_b32_e32 v3, 0x80000000, v3
	s_mov_b32 s10, 0x2f800000
	v_cndmask_b32_e32 v7, v7, v14, vcc
	v_cndmask_b32_e32 v1, v5, v1, vcc
	v_mov_b32_e32 v5, 0x3b800000
	v_lshlrev_b32_e32 v1, 20, v1
	v_lshl_add_u32 v5, v7, 23, v5
	v_or3_b32 v1, v3, v5, v1
	v_trunc_f32_e32 v1, v1
	v_mul_f32_e64 v3, |v1|, s10
	v_floor_f32_e32 v3, v3
	s_mov_b32 s10, 0xcf800000
	v_fma_f32 v5, v3, s10, |v1|
	v_cvt_u32_f32_e32 v5, v5
	v_cvt_u32_f32_e32 v3, v3
	v_ashrrev_i32_e32 v1, 31, v1
	v_xor_b32_e32 v5, v5, v1
	v_xor_b32_e32 v3, v3, v1
	v_sub_co_u32_e32 v14, vcc, v5, v1
	s_nop 1
	v_subb_co_u32_e32 v15, vcc, v3, v1, vcc
.LBB449_1538:
	s_or_b64 exec, exec, s[8:9]
.LBB449_1539:
	s_mov_b64 s[8:9], -1
.LBB449_1540:
	s_mov_b64 s[10:11], 0
.LBB449_1541:
	s_and_b64 vcc, exec, s[10:11]
	s_cbranch_vccz .LBB449_1572
; %bb.1542:
	s_cmp_gt_i32 s12, 22
	s_cbranch_scc0 .LBB449_1550
; %bb.1543:
	s_cmp_lt_i32 s12, 24
	s_cbranch_scc1 .LBB449_1553
; %bb.1544:
	s_cmp_gt_i32 s12, 24
	s_cbranch_scc0 .LBB449_1554
; %bb.1545:
	global_load_ubyte v1, v[16:17], off
	s_movk_i32 s6, 0x7f
	s_mov_b64 s[8:9], 0
	s_waitcnt vmcnt(0)
	v_cmp_lt_i16_e32 vcc, s6, v1
	s_and_saveexec_b64 s[6:7], vcc
	s_xor_b64 s[6:7], exec, s[6:7]
	s_cbranch_execz .LBB449_1566
; %bb.1546:
	s_movk_i32 s8, 0x80
	v_cmp_ne_u16_e32 vcc, s8, v1
	s_and_b64 s[8:9], vcc, exec
	s_andn2_saveexec_b64 s[6:7], s[6:7]
	s_cbranch_execnz .LBB449_1567
.LBB449_1547:
	s_or_b64 exec, exec, s[6:7]
	v_mov_b64_e32 v[14:15], 0
	s_and_saveexec_b64 s[6:7], s[8:9]
	s_cbranch_execz .LBB449_1549
.LBB449_1548:
	v_lshlrev_b32_e32 v3, 24, v1
	v_and_b32_e32 v1, 0xffff, v1
	v_and_b32_e32 v5, 3, v1
	v_ffbh_u32_e32 v14, v5
	v_min_u32_e32 v14, 32, v14
	v_subrev_u32_e32 v15, 29, v14
	v_bfe_u32 v7, v1, 2, 5
	v_lshlrev_b32_e32 v1, v15, v1
	v_sub_u32_e32 v14, 30, v14
	v_and_b32_e32 v1, 3, v1
	v_cmp_eq_u32_e32 vcc, 0, v7
	v_and_b32_e32 v3, 0x80000000, v3
	s_mov_b32 s8, 0x2f800000
	v_cndmask_b32_e32 v7, v7, v14, vcc
	v_cndmask_b32_e32 v1, v5, v1, vcc
	v_mov_b32_e32 v5, 0x37800000
	v_lshlrev_b32_e32 v1, 21, v1
	v_lshl_add_u32 v5, v7, 23, v5
	v_or3_b32 v1, v3, v5, v1
	v_trunc_f32_e32 v1, v1
	v_mul_f32_e64 v3, |v1|, s8
	v_floor_f32_e32 v3, v3
	s_mov_b32 s8, 0xcf800000
	v_fma_f32 v5, v3, s8, |v1|
	v_cvt_u32_f32_e32 v5, v5
	v_cvt_u32_f32_e32 v3, v3
	v_ashrrev_i32_e32 v1, 31, v1
	v_xor_b32_e32 v5, v5, v1
	v_xor_b32_e32 v3, v3, v1
	v_sub_co_u32_e32 v14, vcc, v5, v1
	s_nop 1
	v_subb_co_u32_e32 v15, vcc, v3, v1, vcc
.LBB449_1549:
	s_or_b64 exec, exec, s[6:7]
	s_mov_b64 s[6:7], 0
	s_branch .LBB449_1555
.LBB449_1550:
	s_mov_b64 s[6:7], -1
                                        ; implicit-def: $vgpr14_vgpr15
	s_branch .LBB449_1561
.LBB449_1551:
	s_andn2_saveexec_b64 s[8:9], s[8:9]
	s_cbranch_execz .LBB449_1536
.LBB449_1552:
	v_cmp_ne_u16_e32 vcc, 0, v1
	s_andn2_b64 s[10:11], s[10:11], exec
	s_and_b64 s[16:17], vcc, exec
	s_or_b64 s[10:11], s[10:11], s[16:17]
	s_or_b64 exec, exec, s[8:9]
	v_mov_b64_e32 v[14:15], 0
	s_and_saveexec_b64 s[8:9], s[10:11]
	s_cbranch_execnz .LBB449_1537
	s_branch .LBB449_1538
.LBB449_1553:
	s_mov_b64 s[6:7], -1
                                        ; implicit-def: $vgpr14_vgpr15
	s_branch .LBB449_1558
.LBB449_1554:
	s_mov_b64 s[6:7], -1
                                        ; implicit-def: $vgpr14_vgpr15
.LBB449_1555:
	s_and_b64 vcc, exec, s[6:7]
	s_cbranch_vccz .LBB449_1557
; %bb.1556:
	global_load_ubyte v1, v[16:17], off
	s_mov_b32 s6, 0x7f800000
	s_brev_b32 s7, 1
	s_mov_b32 s8, 0x2f800000
	s_mov_b32 s9, 0xcf800000
	s_waitcnt vmcnt(0)
	v_lshlrev_b32_e32 v1, 24, v1
	v_and_b32_e32 v3, 0x7f000000, v1
	v_ffbh_u32_e32 v5, v3
	v_min_u32_e32 v5, 32, v5
	v_sub_u32_e64 v5, v5, 4 clamp
	v_lshlrev_b32_e32 v14, v5, v3
	v_lshlrev_b32_e32 v5, 23, v5
	v_lshrrev_b32_e32 v14, 4, v14
	v_add_u32_e32 v7, 0x1000000, v3
	v_sub_u32_e32 v5, v14, v5
	v_ashrrev_i32_e32 v7, 8, v7
	v_add_u32_e32 v5, 0x3c000000, v5
	v_and_or_b32 v5, v7, s6, v5
	v_cmp_ne_u32_e32 vcc, 0, v3
	s_nop 1
	v_cndmask_b32_e32 v3, 0, v5, vcc
	v_and_or_b32 v1, v1, s7, v3
	v_trunc_f32_e32 v1, v1
	v_mul_f32_e64 v3, |v1|, s8
	v_floor_f32_e32 v3, v3
	v_fma_f32 v5, v3, s9, |v1|
	v_cvt_u32_f32_e32 v5, v5
	v_cvt_u32_f32_e32 v3, v3
	v_ashrrev_i32_e32 v1, 31, v1
	v_xor_b32_e32 v5, v5, v1
	v_xor_b32_e32 v3, v3, v1
	v_sub_co_u32_e32 v14, vcc, v5, v1
	s_nop 1
	v_subb_co_u32_e32 v15, vcc, v3, v1, vcc
.LBB449_1557:
	s_mov_b64 s[6:7], 0
.LBB449_1558:
	s_andn2_b64 vcc, exec, s[6:7]
	s_cbranch_vccnz .LBB449_1560
; %bb.1559:
	global_load_ubyte v1, v[16:17], off
	s_movk_i32 s6, 0x7f00
	s_brev_b32 s7, 16
	s_brev_b32 s8, 1
	s_mov_b32 s9, 0x2f800000
	s_mov_b32 s10, 0xcf800000
	s_waitcnt vmcnt(0)
	v_lshlrev_b16_e32 v3, 8, v1
	v_lshlrev_b32_e32 v1, 25, v1
	v_lshrrev_b32_e32 v5, 4, v1
	v_and_or_b32 v7, v3, s6, 0.5
	v_or_b32_e32 v5, 0x70000000, v5
	v_add_f32_e32 v7, -0.5, v7
	v_mul_f32_e32 v5, 0x7800000, v5
	v_cmp_gt_u32_e32 vcc, s7, v1
	v_bfe_i32 v3, v3, 0, 16
	s_nop 0
	v_cndmask_b32_e32 v1, v5, v7, vcc
	v_and_or_b32 v1, v3, s8, v1
	v_trunc_f32_e32 v1, v1
	v_mul_f32_e64 v3, |v1|, s9
	v_floor_f32_e32 v3, v3
	v_fma_f32 v5, v3, s10, |v1|
	v_cvt_u32_f32_e32 v5, v5
	v_cvt_u32_f32_e32 v3, v3
	v_ashrrev_i32_e32 v1, 31, v1
	v_xor_b32_e32 v5, v5, v1
	v_xor_b32_e32 v3, v3, v1
	v_sub_co_u32_e32 v14, vcc, v5, v1
	s_nop 1
	v_subb_co_u32_e32 v15, vcc, v3, v1, vcc
.LBB449_1560:
	s_mov_b64 s[6:7], 0
	s_mov_b64 s[8:9], -1
.LBB449_1561:
	s_andn2_b64 vcc, exec, s[6:7]
	s_mov_b64 s[6:7], 0
	s_cbranch_vccnz .LBB449_1572
; %bb.1562:
	s_cmp_gt_i32 s12, 14
	s_cbranch_scc0 .LBB449_1565
; %bb.1563:
	s_cmp_eq_u32 s12, 15
	s_cbranch_scc0 .LBB449_1568
; %bb.1564:
	global_load_ushort v1, v[16:17], off
	s_mov_b32 s0, 0x2f800000
	s_mov_b32 s1, 0xcf800000
	s_mov_b64 s[8:9], -1
	s_waitcnt vmcnt(0)
	v_lshlrev_b32_e32 v1, 16, v1
	v_trunc_f32_e32 v1, v1
	v_mul_f32_e64 v3, |v1|, s0
	v_floor_f32_e32 v3, v3
	v_fma_f32 v5, v3, s1, |v1|
	v_cvt_u32_f32_e32 v5, v5
	v_cvt_u32_f32_e32 v3, v3
	v_ashrrev_i32_e32 v1, 31, v1
	s_mov_b64 s[0:1], 0
	v_xor_b32_e32 v5, v5, v1
	v_xor_b32_e32 v3, v3, v1
	v_sub_co_u32_e32 v14, vcc, v5, v1
	s_nop 1
	v_subb_co_u32_e32 v15, vcc, v3, v1, vcc
	s_branch .LBB449_1569
.LBB449_1565:
	s_mov_b64 s[10:11], -1
                                        ; implicit-def: $vgpr14_vgpr15
	s_branch .LBB449_1570
.LBB449_1566:
	s_andn2_saveexec_b64 s[6:7], s[6:7]
	s_cbranch_execz .LBB449_1547
.LBB449_1567:
	v_cmp_ne_u16_e32 vcc, 0, v1
	s_andn2_b64 s[8:9], s[8:9], exec
	s_and_b64 s[10:11], vcc, exec
	s_or_b64 s[8:9], s[8:9], s[10:11]
	s_or_b64 exec, exec, s[6:7]
	v_mov_b64_e32 v[14:15], 0
	s_and_saveexec_b64 s[6:7], s[8:9]
	s_cbranch_execnz .LBB449_1548
	s_branch .LBB449_1549
.LBB449_1568:
	s_mov_b64 s[0:1], -1
                                        ; implicit-def: $vgpr14_vgpr15
.LBB449_1569:
	s_mov_b64 s[10:11], 0
.LBB449_1570:
	s_and_b64 vcc, exec, s[10:11]
	s_cbranch_vccz .LBB449_1572
; %bb.1571:
	s_cmp_lg_u32 s12, 11
	s_mov_b64 s[6:7], -1
	s_cselect_b64 s[0:1], -1, 0
.LBB449_1572:
	s_and_b64 vcc, exec, s[0:1]
	s_cbranch_vccnz .LBB449_2105
; %bb.1573:
	s_andn2_b64 vcc, exec, s[6:7]
	s_cbranch_vccnz .LBB449_1575
.LBB449_1574:
	global_load_ubyte v1, v[16:17], off
	s_mov_b32 s0, 0
	s_waitcnt vmcnt(1)
	v_mov_b32_e32 v15, s0
	s_mov_b64 s[8:9], -1
	s_waitcnt vmcnt(0)
	v_cmp_ne_u16_e32 vcc, 0, v1
	s_nop 1
	v_cndmask_b32_e64 v14, 0, 1, vcc
.LBB449_1575:
	s_mov_b64 s[0:1], 0
.LBB449_1576:
	s_and_b64 vcc, exec, s[0:1]
	s_cbranch_vccz .LBB449_1625
; %bb.1577:
	s_and_b32 s6, 0xffff, s14
	s_cmp_lt_i32 s6, 5
	s_cbranch_scc1 .LBB449_1582
; %bb.1578:
	s_cmp_lt_i32 s6, 8
	s_cbranch_scc1 .LBB449_1583
; %bb.1579:
	;; [unrolled: 3-line block ×3, first 2 shown]
	s_cmp_gt_i32 s6, 9
	s_cbranch_scc0 .LBB449_1585
; %bb.1581:
	global_load_dwordx2 v[14:15], v[16:17], off
	s_movk_i32 s0, 0xffe0
	s_waitcnt vmcnt(0)
	v_trunc_f64_e32 v[18:19], v[14:15]
	v_ldexp_f64 v[14:15], v[18:19], s0
	v_floor_f64_e32 v[20:21], v[14:15]
	v_fmac_f64_e32 v[18:19], 0xc1f00000, v[20:21]
	v_cvt_i32_f64_e32 v15, v[20:21]
	v_cvt_u32_f64_e32 v14, v[18:19]
	s_mov_b64 s[0:1], 0
	s_branch .LBB449_1586
.LBB449_1582:
	s_mov_b64 s[0:1], -1
                                        ; implicit-def: $vgpr14_vgpr15
	s_branch .LBB449_1604
.LBB449_1583:
	s_mov_b64 s[0:1], -1
                                        ; implicit-def: $vgpr14_vgpr15
	s_branch .LBB449_1592
.LBB449_1584:
	s_mov_b64 s[0:1], -1
                                        ; implicit-def: $vgpr14_vgpr15
	s_branch .LBB449_1589
.LBB449_1585:
	s_mov_b64 s[0:1], -1
                                        ; implicit-def: $vgpr14_vgpr15
.LBB449_1586:
	s_andn2_b64 vcc, exec, s[0:1]
	s_cbranch_vccnz .LBB449_1588
; %bb.1587:
	global_load_dword v1, v[16:17], off
	s_mov_b32 s0, 0x2f800000
	s_mov_b32 s1, 0xcf800000
	s_waitcnt vmcnt(0)
	v_trunc_f32_e32 v1, v1
	v_mul_f32_e64 v3, |v1|, s0
	v_floor_f32_e32 v3, v3
	v_cvt_u32_f32_e32 v5, v3
	v_fma_f32 v3, v3, s1, |v1|
	v_cvt_u32_f32_e32 v3, v3
	v_ashrrev_i32_e32 v1, 31, v1
	v_xor_b32_e32 v5, v5, v1
	v_xor_b32_e32 v3, v3, v1
	v_sub_co_u32_e32 v14, vcc, v3, v1
	s_nop 1
	v_subb_co_u32_e32 v15, vcc, v5, v1, vcc
.LBB449_1588:
	s_mov_b64 s[0:1], 0
.LBB449_1589:
	s_andn2_b64 vcc, exec, s[0:1]
	s_cbranch_vccnz .LBB449_1591
; %bb.1590:
	global_load_dword v1, v[16:17], off
	s_waitcnt vmcnt(0)
	v_cvt_f32_f16_e32 v1, v1
	v_cvt_i32_f32_e32 v14, v1
	v_ashrrev_i32_e32 v15, 31, v14
.LBB449_1591:
	s_mov_b64 s[0:1], 0
.LBB449_1592:
	s_andn2_b64 vcc, exec, s[0:1]
	s_cbranch_vccnz .LBB449_1603
; %bb.1593:
	s_cmp_lt_i32 s6, 6
	s_cbranch_scc1 .LBB449_1596
; %bb.1594:
	s_cmp_gt_i32 s6, 6
	s_cbranch_scc0 .LBB449_1597
; %bb.1595:
	global_load_dwordx2 v[14:15], v[16:17], off
	s_movk_i32 s0, 0xffe0
	s_waitcnt vmcnt(0)
	v_trunc_f64_e32 v[18:19], v[14:15]
	v_ldexp_f64 v[14:15], v[18:19], s0
	v_floor_f64_e32 v[20:21], v[14:15]
	v_fmac_f64_e32 v[18:19], 0xc1f00000, v[20:21]
	v_cvt_i32_f64_e32 v15, v[20:21]
	v_cvt_u32_f64_e32 v14, v[18:19]
	s_mov_b64 s[0:1], 0
	s_branch .LBB449_1598
.LBB449_1596:
	s_mov_b64 s[0:1], -1
                                        ; implicit-def: $vgpr14_vgpr15
	s_branch .LBB449_1601
.LBB449_1597:
	s_mov_b64 s[0:1], -1
                                        ; implicit-def: $vgpr14_vgpr15
.LBB449_1598:
	s_andn2_b64 vcc, exec, s[0:1]
	s_cbranch_vccnz .LBB449_1600
; %bb.1599:
	global_load_dword v1, v[16:17], off
	s_mov_b32 s0, 0x2f800000
	s_mov_b32 s1, 0xcf800000
	s_waitcnt vmcnt(0)
	v_trunc_f32_e32 v1, v1
	v_mul_f32_e64 v3, |v1|, s0
	v_floor_f32_e32 v3, v3
	v_cvt_u32_f32_e32 v5, v3
	v_fma_f32 v3, v3, s1, |v1|
	v_cvt_u32_f32_e32 v3, v3
	v_ashrrev_i32_e32 v1, 31, v1
	v_xor_b32_e32 v5, v5, v1
	v_xor_b32_e32 v3, v3, v1
	v_sub_co_u32_e32 v14, vcc, v3, v1
	s_nop 1
	v_subb_co_u32_e32 v15, vcc, v5, v1, vcc
.LBB449_1600:
	s_mov_b64 s[0:1], 0
.LBB449_1601:
	s_andn2_b64 vcc, exec, s[0:1]
	s_cbranch_vccnz .LBB449_1603
; %bb.1602:
	global_load_ushort v1, v[16:17], off
	s_waitcnt vmcnt(0)
	v_cvt_f32_f16_e32 v1, v1
	v_cvt_i32_f32_e32 v14, v1
	v_ashrrev_i32_e32 v15, 31, v14
.LBB449_1603:
	s_mov_b64 s[0:1], 0
.LBB449_1604:
	s_andn2_b64 vcc, exec, s[0:1]
	s_cbranch_vccnz .LBB449_1624
; %bb.1605:
	s_cmp_lt_i32 s6, 2
	s_cbranch_scc1 .LBB449_1609
; %bb.1606:
	s_cmp_lt_i32 s6, 3
	s_cbranch_scc1 .LBB449_1610
; %bb.1607:
	s_cmp_gt_i32 s6, 3
	s_cbranch_scc0 .LBB449_1611
; %bb.1608:
	global_load_dwordx2 v[14:15], v[16:17], off
	s_mov_b64 s[0:1], 0
	s_branch .LBB449_1612
.LBB449_1609:
	s_mov_b64 s[0:1], -1
                                        ; implicit-def: $vgpr14_vgpr15
	s_branch .LBB449_1618
.LBB449_1610:
	s_mov_b64 s[0:1], -1
                                        ; implicit-def: $vgpr14_vgpr15
	s_branch .LBB449_1615
.LBB449_1611:
	s_mov_b64 s[0:1], -1
                                        ; implicit-def: $vgpr14_vgpr15
.LBB449_1612:
	s_andn2_b64 vcc, exec, s[0:1]
	s_cbranch_vccnz .LBB449_1614
; %bb.1613:
	global_load_dword v14, v[16:17], off
	s_waitcnt vmcnt(0)
	v_ashrrev_i32_e32 v15, 31, v14
.LBB449_1614:
	s_mov_b64 s[0:1], 0
.LBB449_1615:
	s_andn2_b64 vcc, exec, s[0:1]
	s_cbranch_vccnz .LBB449_1617
; %bb.1616:
	global_load_ushort v1, v[16:17], off
	s_waitcnt vmcnt(0)
	v_bfe_i32 v14, v1, 0, 16
	v_ashrrev_i32_e32 v15, 31, v14
.LBB449_1617:
	s_mov_b64 s[0:1], 0
.LBB449_1618:
	s_andn2_b64 vcc, exec, s[0:1]
	s_cbranch_vccnz .LBB449_1624
; %bb.1619:
	s_cmp_gt_i32 s6, 0
	s_cbranch_scc0 .LBB449_1621
; %bb.1620:
	global_load_sbyte v1, v[16:17], off
	s_mov_b64 s[0:1], 0
	s_waitcnt vmcnt(0)
	v_bfe_i32 v14, v1, 0, 16
	v_ashrrev_i32_e32 v15, 31, v14
	s_branch .LBB449_1622
.LBB449_1621:
	s_mov_b64 s[0:1], -1
                                        ; implicit-def: $vgpr14_vgpr15
.LBB449_1622:
	s_andn2_b64 vcc, exec, s[0:1]
	s_cbranch_vccnz .LBB449_1624
; %bb.1623:
	global_load_ubyte v1, v[16:17], off
	s_mov_b32 s0, 0
	s_waitcnt vmcnt(1)
	v_mov_b32_e32 v15, s0
	s_waitcnt vmcnt(0)
	v_and_b32_e32 v14, 0xffff, v1
.LBB449_1624:
	s_mov_b64 s[8:9], -1
.LBB449_1625:
	s_andn2_b64 vcc, exec, s[8:9]
	s_cbranch_vccnz .LBB449_2059
; %bb.1626:
	s_load_dword s0, s[34:35], 0x160
	s_load_dwordx2 s[6:7], s[34:35], 0x158
	s_waitcnt vmcnt(0)
	v_mov_b32_e32 v7, 0
	v_lshl_add_u64 v[6:7], s[4:5], 0, v[6:7]
	s_waitcnt lgkmcnt(0)
	s_and_b32 s16, s0, 0xff
	v_mov_b32_e32 v1, s7
	v_mov_b32_e32 v3, s6
	v_cmp_gt_i64_e32 vcc, s[6:7], v[8:9]
	s_cmp_lt_i32 s16, 11
	s_nop 0
	v_cndmask_b32_e32 v9, v1, v9, vcc
	v_cndmask_b32_e32 v8, v3, v8, vcc
	s_cbranch_scc1 .LBB449_1704
; %bb.1627:
	s_and_b32 s17, 0xffff, s16
	s_mov_b64 s[12:13], -1
	s_mov_b64 s[8:9], 0
	s_cmp_gt_i32 s17, 25
	s_mov_b64 s[10:11], 0
	s_mov_b64 s[0:1], 0
	s_cbranch_scc0 .LBB449_1660
; %bb.1628:
	s_cmp_gt_i32 s17, 28
	s_cbranch_scc0 .LBB449_1643
; %bb.1629:
	s_cmp_gt_i32 s17, 43
	;; [unrolled: 3-line block ×3, first 2 shown]
	s_cbranch_scc0 .LBB449_1633
; %bb.1631:
	s_mov_b64 s[0:1], -1
	s_mov_b64 s[12:13], 0
	s_cmp_eq_u32 s17, 46
	s_cbranch_scc0 .LBB449_1633
; %bb.1632:
	v_xor_b32_e32 v3, v8, v9
	v_ffbh_i32_e32 v1, v9
	v_ashrrev_i32_e32 v3, 31, v3
	v_add_u32_e32 v1, -1, v1
	v_add_u32_e32 v3, 32, v3
	v_min_u32_e32 v1, v1, v3
	v_lshlrev_b64 v[16:17], v1, v[8:9]
	v_min_u32_e32 v3, 1, v16
	v_or_b32_e32 v3, v17, v3
	v_cvt_f32_i32_e32 v3, v3
	v_sub_u32_e32 v1, 32, v1
	s_movk_i32 s0, 0x7fff
	s_mov_b64 s[10:11], -1
	v_ldexp_f32 v1, v3, v1
	v_bfe_u32 v3, v1, 16, 1
	v_add3_u32 v1, v1, v3, s0
	v_lshrrev_b32_e32 v1, 16, v1
	global_store_dword v[6:7], v1, off
	s_mov_b64 s[0:1], 0
.LBB449_1633:
	s_and_b64 vcc, exec, s[12:13]
	s_cbranch_vccz .LBB449_1638
; %bb.1634:
	s_cmp_eq_u32 s17, 44
	s_mov_b64 s[0:1], -1
	s_cbranch_scc0 .LBB449_1638
; %bb.1635:
	v_xor_b32_e32 v3, v8, v9
	v_ffbh_i32_e32 v1, v9
	v_ashrrev_i32_e32 v3, 31, v3
	v_add_u32_e32 v1, -1, v1
	v_add_u32_e32 v3, 32, v3
	v_min_u32_e32 v1, v1, v3
	v_lshlrev_b64 v[16:17], v1, v[8:9]
	v_min_u32_e32 v3, 1, v16
	v_or_b32_e32 v3, v17, v3
	v_cvt_f32_i32_e32 v3, v3
	v_sub_u32_e32 v1, 32, v1
	s_movk_i32 s0, 0xff
	v_mov_b32_e32 v5, 0xff
	v_ldexp_f32 v1, v3, v1
	v_bfe_u32 v3, v1, 23, 8
	v_cmp_ne_u32_e32 vcc, s0, v3
	s_and_saveexec_b64 s[10:11], vcc
; %bb.1636:
	s_mov_b32 s0, 0x3fffff
	v_lshrrev_b32_e32 v5, 23, v1
	v_and_b32_e32 v16, 0x400000, v1
	v_and_or_b32 v1, v1, s0, v3
	v_cmp_ne_u32_e32 vcc, 0, v16
	v_cmp_ne_u32_e64 s[0:1], 0, v1
	s_and_b64 s[0:1], vcc, s[0:1]
	s_nop 0
	v_cndmask_b32_e64 v1, 0, 1, s[0:1]
	v_add_u32_e32 v5, v5, v1
; %bb.1637:
	s_or_b64 exec, exec, s[10:11]
	s_mov_b64 s[0:1], 0
	s_mov_b64 s[10:11], -1
	global_store_byte v[6:7], v5, off
.LBB449_1638:
	s_mov_b64 s[12:13], 0
.LBB449_1639:
	s_and_b64 vcc, exec, s[12:13]
	s_cbranch_vccz .LBB449_1642
; %bb.1640:
	s_cmp_eq_u32 s17, 29
	s_mov_b64 s[0:1], -1
	s_cbranch_scc0 .LBB449_1642
; %bb.1641:
	global_store_dwordx2 v[6:7], v[8:9], off
	s_mov_b64 s[0:1], 0
	s_mov_b64 s[10:11], -1
.LBB449_1642:
	s_mov_b64 s[12:13], 0
.LBB449_1643:
	s_and_b64 vcc, exec, s[12:13]
	s_cbranch_vccz .LBB449_1659
; %bb.1644:
	s_cmp_lt_i32 s17, 27
	s_mov_b64 s[10:11], -1
	s_cbranch_scc1 .LBB449_1650
; %bb.1645:
	s_cmp_gt_i32 s17, 27
	s_cbranch_scc0 .LBB449_1647
; %bb.1646:
	s_mov_b64 s[10:11], 0
	global_store_dword v[6:7], v8, off
.LBB449_1647:
	s_andn2_b64 vcc, exec, s[10:11]
	s_cbranch_vccnz .LBB449_1649
; %bb.1648:
	global_store_short v[6:7], v8, off
.LBB449_1649:
	s_mov_b64 s[10:11], 0
.LBB449_1650:
	s_andn2_b64 vcc, exec, s[10:11]
	s_cbranch_vccnz .LBB449_1658
; %bb.1651:
	v_xor_b32_e32 v3, v8, v9
	v_ffbh_i32_e32 v1, v9
	v_ashrrev_i32_e32 v3, 31, v3
	v_add_u32_e32 v1, -1, v1
	v_add_u32_e32 v3, 32, v3
	v_min_u32_e32 v1, v1, v3
	v_lshlrev_b64 v[16:17], v1, v[8:9]
	v_min_u32_e32 v3, 1, v16
	v_or_b32_e32 v3, v17, v3
	v_cvt_f32_i32_e32 v3, v3
	v_sub_u32_e32 v1, 32, v1
	s_mov_b32 s10, 0x43800000
	v_mov_b32_e32 v5, 0x80
	v_ldexp_f32 v1, v3, v1
	v_and_b32_e32 v3, 0x7fffffff, v1
	v_cmp_gt_u32_e32 vcc, s10, v3
	s_and_saveexec_b64 s[10:11], vcc
	s_cbranch_execz .LBB449_1657
; %bb.1652:
	s_mov_b32 s12, 0x3bffffff
	v_cmp_lt_u32_e32 vcc, s12, v3
	s_mov_b64 s[12:13], 0
                                        ; implicit-def: $vgpr3
	s_and_saveexec_b64 s[14:15], vcc
	s_xor_b64 s[14:15], exec, s[14:15]
	s_cbranch_execz .LBB449_2106
; %bb.1653:
	v_bfe_u32 v3, v1, 20, 1
	s_mov_b32 s18, 0x487ffff
	v_add3_u32 v3, v1, v3, s18
	s_mov_b64 s[12:13], exec
	v_lshrrev_b32_e32 v3, 20, v3
	s_andn2_saveexec_b64 s[14:15], s[14:15]
	s_cbranch_execnz .LBB449_2107
.LBB449_1654:
	s_or_b64 exec, exec, s[14:15]
	v_mov_b32_e32 v5, 0
	s_and_saveexec_b64 s[14:15], s[12:13]
.LBB449_1655:
	v_lshrrev_b32_e32 v1, 24, v1
	s_movk_i32 s12, 0x80
	v_and_or_b32 v5, v1, s12, v3
.LBB449_1656:
	s_or_b64 exec, exec, s[14:15]
.LBB449_1657:
	s_or_b64 exec, exec, s[10:11]
	global_store_byte v[6:7], v5, off
.LBB449_1658:
	s_mov_b64 s[10:11], -1
.LBB449_1659:
	s_mov_b64 s[12:13], 0
.LBB449_1660:
	s_and_b64 vcc, exec, s[12:13]
	s_cbranch_vccz .LBB449_1700
; %bb.1661:
	s_cmp_gt_i32 s17, 22
	s_mov_b64 s[8:9], -1
	s_cbranch_scc0 .LBB449_1693
; %bb.1662:
	s_cmp_lt_i32 s17, 24
	s_cbranch_scc1 .LBB449_1682
; %bb.1663:
	s_cmp_gt_i32 s17, 24
	s_cbranch_scc0 .LBB449_1671
; %bb.1664:
	v_xor_b32_e32 v3, v8, v9
	v_ffbh_i32_e32 v1, v9
	v_ashrrev_i32_e32 v3, 31, v3
	v_add_u32_e32 v1, -1, v1
	v_add_u32_e32 v3, 32, v3
	v_min_u32_e32 v1, v1, v3
	v_lshlrev_b64 v[16:17], v1, v[8:9]
	v_min_u32_e32 v3, 1, v16
	v_or_b32_e32 v3, v17, v3
	v_cvt_f32_i32_e32 v3, v3
	v_sub_u32_e32 v1, 32, v1
	s_mov_b32 s8, 0x47800000
	v_mov_b32_e32 v5, 0x80
	v_ldexp_f32 v1, v3, v1
	v_and_b32_e32 v3, 0x7fffffff, v1
	v_cmp_gt_u32_e32 vcc, s8, v3
	s_and_saveexec_b64 s[8:9], vcc
	s_cbranch_execz .LBB449_1670
; %bb.1665:
	s_mov_b32 s10, 0x37ffffff
	v_cmp_lt_u32_e32 vcc, s10, v3
	s_mov_b64 s[10:11], 0
                                        ; implicit-def: $vgpr3
	s_and_saveexec_b64 s[12:13], vcc
	s_xor_b64 s[12:13], exec, s[12:13]
	s_cbranch_execz .LBB449_2109
; %bb.1666:
	v_bfe_u32 v3, v1, 21, 1
	s_mov_b32 s14, 0x88fffff
	v_add3_u32 v3, v1, v3, s14
	s_mov_b64 s[10:11], exec
	v_lshrrev_b32_e32 v3, 21, v3
	s_andn2_saveexec_b64 s[12:13], s[12:13]
	s_cbranch_execnz .LBB449_2110
.LBB449_1667:
	s_or_b64 exec, exec, s[12:13]
	v_mov_b32_e32 v5, 0
	s_and_saveexec_b64 s[12:13], s[10:11]
.LBB449_1668:
	v_lshrrev_b32_e32 v1, 24, v1
	s_movk_i32 s10, 0x80
	v_and_or_b32 v5, v1, s10, v3
.LBB449_1669:
	s_or_b64 exec, exec, s[12:13]
.LBB449_1670:
	s_or_b64 exec, exec, s[8:9]
	s_mov_b64 s[8:9], 0
	global_store_byte v[6:7], v5, off
.LBB449_1671:
	s_and_b64 vcc, exec, s[8:9]
	s_cbranch_vccz .LBB449_1681
; %bb.1672:
	v_xor_b32_e32 v3, v8, v9
	v_ffbh_i32_e32 v1, v9
	v_ashrrev_i32_e32 v3, 31, v3
	v_add_u32_e32 v1, -1, v1
	v_add_u32_e32 v3, 32, v3
	v_min_u32_e32 v1, v1, v3
	v_lshlrev_b64 v[16:17], v1, v[8:9]
	v_min_u32_e32 v3, 1, v16
	v_or_b32_e32 v3, v17, v3
	v_cvt_f32_i32_e32 v3, v3
	v_sub_u32_e32 v1, 32, v1
	s_mov_b32 s8, 0x43f00000
	v_ldexp_f32 v1, v3, v1
	v_and_b32_e32 v5, 0x7fffffff, v1
	v_cmp_gt_u32_e32 vcc, s8, v5
                                        ; implicit-def: $vgpr3
	s_and_saveexec_b64 s[8:9], vcc
	s_xor_b64 s[8:9], exec, s[8:9]
	s_cbranch_execz .LBB449_1678
; %bb.1673:
	s_mov_b32 s10, 0x3c7fffff
	v_cmp_lt_u32_e32 vcc, s10, v5
                                        ; implicit-def: $vgpr3
	s_and_saveexec_b64 s[10:11], vcc
	s_xor_b64 s[10:11], exec, s[10:11]
; %bb.1674:
	v_bfe_u32 v3, v1, 20, 1
	s_mov_b32 s12, 0x407ffff
	v_add3_u32 v3, v1, v3, s12
	v_lshrrev_b32_e32 v5, 20, v3
	v_and_b32_e32 v3, 0xff00000, v3
	s_mov_b32 s12, 0x7f00000
	v_mov_b32_e32 v16, 0x7e
	v_cmp_ne_u32_e32 vcc, s12, v3
	s_nop 1
	v_cndmask_b32_e32 v3, v16, v5, vcc
; %bb.1675:
	s_andn2_saveexec_b64 s[10:11], s[10:11]
; %bb.1676:
	s_mov_b32 s12, 0x46800000
	v_add_f32_e64 v3, |v1|, s12
; %bb.1677:
	s_or_b64 exec, exec, s[10:11]
                                        ; implicit-def: $vgpr5
.LBB449_1678:
	s_andn2_saveexec_b64 s[8:9], s[8:9]
; %bb.1679:
	s_mov_b32 s10, 0x7f800000
	v_mov_b32_e32 v3, 0x7e
	v_mov_b32_e32 v16, 0x7f
	v_cmp_lt_u32_e32 vcc, s10, v5
	s_nop 1
	v_cndmask_b32_e32 v3, v3, v16, vcc
; %bb.1680:
	s_or_b64 exec, exec, s[8:9]
	v_lshrrev_b32_e32 v1, 24, v1
	s_movk_i32 s8, 0x80
	v_and_or_b32 v1, v1, s8, v3
	global_store_byte v[6:7], v1, off
.LBB449_1681:
	s_mov_b64 s[8:9], 0
.LBB449_1682:
	s_andn2_b64 vcc, exec, s[8:9]
	s_cbranch_vccnz .LBB449_1692
; %bb.1683:
	v_xor_b32_e32 v3, v8, v9
	v_ffbh_i32_e32 v1, v9
	v_ashrrev_i32_e32 v3, 31, v3
	v_add_u32_e32 v1, -1, v1
	v_add_u32_e32 v3, 32, v3
	v_min_u32_e32 v1, v1, v3
	v_lshlrev_b64 v[16:17], v1, v[8:9]
	v_min_u32_e32 v3, 1, v16
	v_or_b32_e32 v3, v17, v3
	v_cvt_f32_i32_e32 v3, v3
	v_sub_u32_e32 v1, 32, v1
	s_mov_b32 s8, 0x47800000
	v_ldexp_f32 v1, v3, v1
	v_and_b32_e32 v5, 0x7fffffff, v1
	v_cmp_gt_u32_e32 vcc, s8, v5
                                        ; implicit-def: $vgpr3
	s_and_saveexec_b64 s[8:9], vcc
	s_xor_b64 s[8:9], exec, s[8:9]
	s_cbranch_execz .LBB449_1689
; %bb.1684:
	s_mov_b32 s10, 0x387fffff
	v_cmp_lt_u32_e32 vcc, s10, v5
                                        ; implicit-def: $vgpr3
	s_and_saveexec_b64 s[10:11], vcc
	s_xor_b64 s[10:11], exec, s[10:11]
; %bb.1685:
	v_bfe_u32 v3, v1, 21, 1
	s_mov_b32 s12, 0x80fffff
	v_add3_u32 v3, v1, v3, s12
	v_lshrrev_b32_e32 v3, 21, v3
; %bb.1686:
	s_andn2_saveexec_b64 s[10:11], s[10:11]
; %bb.1687:
	s_mov_b32 s12, 0x43000000
	v_add_f32_e64 v3, |v1|, s12
; %bb.1688:
	s_or_b64 exec, exec, s[10:11]
                                        ; implicit-def: $vgpr5
.LBB449_1689:
	s_andn2_saveexec_b64 s[8:9], s[8:9]
; %bb.1690:
	s_mov_b32 s10, 0x7f800000
	v_mov_b32_e32 v3, 0x7c
	v_mov_b32_e32 v16, 0x7f
	v_cmp_lt_u32_e32 vcc, s10, v5
	s_nop 1
	v_cndmask_b32_e32 v3, v3, v16, vcc
; %bb.1691:
	s_or_b64 exec, exec, s[8:9]
	v_lshrrev_b32_e32 v1, 24, v1
	s_movk_i32 s8, 0x80
	v_and_or_b32 v1, v1, s8, v3
	global_store_byte v[6:7], v1, off
.LBB449_1692:
	s_mov_b64 s[8:9], 0
	s_mov_b64 s[10:11], -1
.LBB449_1693:
	s_andn2_b64 vcc, exec, s[8:9]
	s_mov_b64 s[8:9], 0
	s_cbranch_vccnz .LBB449_1700
; %bb.1694:
	s_cmp_gt_i32 s17, 14
	s_mov_b64 s[12:13], -1
	s_cbranch_scc0 .LBB449_1698
; %bb.1695:
	s_cmp_eq_u32 s17, 15
	s_mov_b64 s[0:1], -1
	s_cbranch_scc0 .LBB449_1697
; %bb.1696:
	v_xor_b32_e32 v3, v8, v9
	v_ffbh_i32_e32 v1, v9
	v_ashrrev_i32_e32 v3, 31, v3
	v_add_u32_e32 v1, -1, v1
	v_add_u32_e32 v3, 32, v3
	v_min_u32_e32 v1, v1, v3
	v_lshlrev_b64 v[16:17], v1, v[8:9]
	v_min_u32_e32 v3, 1, v16
	v_or_b32_e32 v3, v17, v3
	v_cvt_f32_i32_e32 v3, v3
	v_sub_u32_e32 v1, 32, v1
	s_movk_i32 s0, 0x7fff
	s_mov_b64 s[10:11], -1
	v_ldexp_f32 v1, v3, v1
	v_bfe_u32 v3, v1, 16, 1
	v_add3_u32 v1, v1, v3, s0
	global_store_short_d16_hi v[6:7], v1, off
	s_mov_b64 s[0:1], 0
.LBB449_1697:
	s_mov_b64 s[12:13], 0
.LBB449_1698:
	s_and_b64 vcc, exec, s[12:13]
	s_cbranch_vccz .LBB449_1700
; %bb.1699:
	s_cmp_lg_u32 s17, 11
	s_mov_b64 s[8:9], -1
	s_cselect_b64 s[0:1], -1, 0
.LBB449_1700:
	s_and_b64 vcc, exec, s[0:1]
	s_cbranch_vccnz .LBB449_2108
; %bb.1701:
	s_andn2_b64 vcc, exec, s[8:9]
	s_cbranch_vccnz .LBB449_1703
.LBB449_1702:
	v_cmp_ne_u64_e32 vcc, 0, v[8:9]
	s_mov_b64 s[10:11], -1
	s_nop 0
	v_cndmask_b32_e64 v1, 0, 1, vcc
	global_store_byte v[6:7], v1, off
.LBB449_1703:
	s_mov_b64 s[0:1], 0
	s_branch .LBB449_1705
.LBB449_1704:
	s_mov_b64 s[0:1], -1
	s_mov_b64 s[10:11], 0
.LBB449_1705:
	s_and_b64 vcc, exec, s[0:1]
	s_cbranch_vccz .LBB449_1744
; %bb.1706:
	s_and_b32 s8, 0xffff, s16
	s_cmp_lt_i32 s8, 5
	s_mov_b64 s[0:1], -1
	s_cbranch_scc1 .LBB449_1727
; %bb.1707:
	s_cmp_lt_i32 s8, 8
	s_cbranch_scc1 .LBB449_1717
; %bb.1708:
	s_cmp_lt_i32 s8, 9
	s_cbranch_scc1 .LBB449_1714
; %bb.1709:
	s_cmp_gt_i32 s8, 9
	s_cbranch_scc0 .LBB449_1711
; %bb.1710:
	v_cvt_f64_i32_e32 v[16:17], v9
	v_ldexp_f64 v[16:17], v[16:17], 32
	v_cvt_f64_u32_e32 v[18:19], v8
	v_add_f64 v[16:17], v[16:17], v[18:19]
	v_mov_b32_e32 v18, 0
	v_mov_b32_e32 v19, v18
	global_store_dwordx4 v[6:7], v[16:19], off
	s_mov_b64 s[0:1], 0
.LBB449_1711:
	s_andn2_b64 vcc, exec, s[0:1]
	s_cbranch_vccnz .LBB449_1713
; %bb.1712:
	v_xor_b32_e32 v3, v8, v9
	v_ffbh_i32_e32 v1, v9
	v_ashrrev_i32_e32 v3, 31, v3
	v_add_u32_e32 v1, -1, v1
	v_add_u32_e32 v3, 32, v3
	v_min_u32_e32 v1, v1, v3
	v_lshlrev_b64 v[16:17], v1, v[8:9]
	v_min_u32_e32 v3, 1, v16
	v_or_b32_e32 v3, v17, v3
	v_cvt_f32_i32_e32 v3, v3
	v_sub_u32_e32 v1, 32, v1
	v_mov_b32_e32 v17, 0
	v_ldexp_f32 v16, v3, v1
	global_store_dwordx2 v[6:7], v[16:17], off
.LBB449_1713:
	s_mov_b64 s[0:1], 0
.LBB449_1714:
	s_andn2_b64 vcc, exec, s[0:1]
	s_cbranch_vccnz .LBB449_1716
; %bb.1715:
	v_xor_b32_e32 v3, v8, v9
	v_ffbh_i32_e32 v1, v9
	v_ashrrev_i32_e32 v3, 31, v3
	v_add_u32_e32 v1, -1, v1
	v_add_u32_e32 v3, 32, v3
	v_min_u32_e32 v1, v1, v3
	v_lshlrev_b64 v[16:17], v1, v[8:9]
	v_min_u32_e32 v3, 1, v16
	v_or_b32_e32 v3, v17, v3
	v_cvt_f32_i32_e32 v3, v3
	v_sub_u32_e32 v1, 32, v1
	v_ldexp_f32 v1, v3, v1
	v_cvt_f16_f32_e32 v1, v1
	global_store_dword v[6:7], v1, off
.LBB449_1716:
	s_mov_b64 s[0:1], 0
.LBB449_1717:
	s_andn2_b64 vcc, exec, s[0:1]
	s_cbranch_vccnz .LBB449_1726
; %bb.1718:
	s_cmp_lt_i32 s8, 6
	s_mov_b64 s[0:1], -1
	s_cbranch_scc1 .LBB449_1724
; %bb.1719:
	s_cmp_gt_i32 s8, 6
	s_cbranch_scc0 .LBB449_1721
; %bb.1720:
	v_cvt_f64_i32_e32 v[16:17], v9
	v_ldexp_f64 v[16:17], v[16:17], 32
	v_cvt_f64_u32_e32 v[18:19], v8
	v_add_f64 v[16:17], v[16:17], v[18:19]
	global_store_dwordx2 v[6:7], v[16:17], off
	s_mov_b64 s[0:1], 0
.LBB449_1721:
	s_andn2_b64 vcc, exec, s[0:1]
	s_cbranch_vccnz .LBB449_1723
; %bb.1722:
	v_xor_b32_e32 v3, v8, v9
	v_ffbh_i32_e32 v1, v9
	v_ashrrev_i32_e32 v3, 31, v3
	v_add_u32_e32 v1, -1, v1
	v_add_u32_e32 v3, 32, v3
	v_min_u32_e32 v1, v1, v3
	v_lshlrev_b64 v[16:17], v1, v[8:9]
	v_min_u32_e32 v3, 1, v16
	v_or_b32_e32 v3, v17, v3
	v_cvt_f32_i32_e32 v3, v3
	v_sub_u32_e32 v1, 32, v1
	v_ldexp_f32 v1, v3, v1
	global_store_dword v[6:7], v1, off
.LBB449_1723:
	s_mov_b64 s[0:1], 0
.LBB449_1724:
	s_andn2_b64 vcc, exec, s[0:1]
	s_cbranch_vccnz .LBB449_1726
; %bb.1725:
	v_xor_b32_e32 v3, v8, v9
	v_ffbh_i32_e32 v1, v9
	v_ashrrev_i32_e32 v3, 31, v3
	v_add_u32_e32 v1, -1, v1
	v_add_u32_e32 v3, 32, v3
	v_min_u32_e32 v1, v1, v3
	v_lshlrev_b64 v[16:17], v1, v[8:9]
	v_min_u32_e32 v3, 1, v16
	v_or_b32_e32 v3, v17, v3
	v_cvt_f32_i32_e32 v3, v3
	v_sub_u32_e32 v1, 32, v1
	v_ldexp_f32 v1, v3, v1
	v_cvt_f16_f32_e32 v1, v1
	global_store_short v[6:7], v1, off
.LBB449_1726:
	s_mov_b64 s[0:1], 0
.LBB449_1727:
	s_andn2_b64 vcc, exec, s[0:1]
	s_cbranch_vccnz .LBB449_1743
; %bb.1728:
	s_cmp_lt_i32 s8, 2
	s_mov_b64 s[0:1], -1
	s_cbranch_scc1 .LBB449_1738
; %bb.1729:
	s_cmp_lt_i32 s8, 3
	s_cbranch_scc1 .LBB449_1735
; %bb.1730:
	s_cmp_gt_i32 s8, 3
	s_cbranch_scc0 .LBB449_1732
; %bb.1731:
	global_store_dwordx2 v[6:7], v[8:9], off
	s_mov_b64 s[0:1], 0
.LBB449_1732:
	s_andn2_b64 vcc, exec, s[0:1]
	s_cbranch_vccnz .LBB449_1734
; %bb.1733:
	global_store_dword v[6:7], v8, off
.LBB449_1734:
	s_mov_b64 s[0:1], 0
.LBB449_1735:
	s_andn2_b64 vcc, exec, s[0:1]
	s_cbranch_vccnz .LBB449_1737
; %bb.1736:
	global_store_short v[6:7], v8, off
.LBB449_1737:
	s_mov_b64 s[0:1], 0
.LBB449_1738:
	s_andn2_b64 vcc, exec, s[0:1]
	s_cbranch_vccnz .LBB449_1743
; %bb.1739:
	s_cmp_gt_i32 s8, 0
	s_mov_b64 s[0:1], -1
	s_cbranch_scc0 .LBB449_1741
; %bb.1740:
	global_store_byte v[6:7], v8, off
	s_mov_b64 s[0:1], 0
.LBB449_1741:
	s_andn2_b64 vcc, exec, s[0:1]
	s_cbranch_vccnz .LBB449_1743
; %bb.1742:
	global_store_byte v[6:7], v8, off
.LBB449_1743:
	s_mov_b64 s[10:11], -1
.LBB449_1744:
	s_andn2_b64 vcc, exec, s[10:11]
	s_cbranch_vccnz .LBB449_2059
; %bb.1745:
	v_mov_b32_e32 v1, s7
	v_cmp_gt_i64_e32 vcc, s[6:7], v[10:11]
	v_mov_b32_e32 v5, 0
	s_and_b32 s17, 0xffff, s16
	v_cndmask_b32_e32 v7, v1, v11, vcc
	v_mov_b32_e32 v1, s6
	v_cndmask_b32_e32 v6, v1, v10, vcc
	s_cmp_lt_i32 s17, 11
	v_lshl_add_u64 v[4:5], s[4:5], 0, v[4:5]
	s_cbranch_scc1 .LBB449_1823
; %bb.1746:
	s_mov_b64 s[12:13], -1
	s_mov_b64 s[8:9], 0
	s_cmp_gt_i32 s17, 25
	s_mov_b64 s[10:11], 0
	s_mov_b64 s[0:1], 0
	s_cbranch_scc0 .LBB449_1779
; %bb.1747:
	s_cmp_gt_i32 s17, 28
	s_cbranch_scc0 .LBB449_1762
; %bb.1748:
	s_cmp_gt_i32 s17, 43
	;; [unrolled: 3-line block ×3, first 2 shown]
	s_cbranch_scc0 .LBB449_1752
; %bb.1750:
	s_mov_b64 s[0:1], -1
	s_mov_b64 s[12:13], 0
	s_cmp_eq_u32 s17, 46
	s_cbranch_scc0 .LBB449_1752
; %bb.1751:
	v_xor_b32_e32 v3, v6, v7
	v_ffbh_i32_e32 v1, v7
	v_ashrrev_i32_e32 v3, 31, v3
	v_add_u32_e32 v1, -1, v1
	v_add_u32_e32 v3, 32, v3
	v_min_u32_e32 v1, v1, v3
	v_lshlrev_b64 v[8:9], v1, v[6:7]
	v_min_u32_e32 v3, 1, v8
	v_or_b32_e32 v3, v9, v3
	v_cvt_f32_i32_e32 v3, v3
	v_sub_u32_e32 v1, 32, v1
	s_movk_i32 s0, 0x7fff
	s_mov_b64 s[10:11], -1
	v_ldexp_f32 v1, v3, v1
	v_bfe_u32 v3, v1, 16, 1
	v_add3_u32 v1, v1, v3, s0
	v_lshrrev_b32_e32 v1, 16, v1
	global_store_dword v[4:5], v1, off
	s_mov_b64 s[0:1], 0
.LBB449_1752:
	s_and_b64 vcc, exec, s[12:13]
	s_cbranch_vccz .LBB449_1757
; %bb.1753:
	s_cmp_eq_u32 s17, 44
	s_mov_b64 s[0:1], -1
	s_cbranch_scc0 .LBB449_1757
; %bb.1754:
	v_xor_b32_e32 v3, v6, v7
	v_ffbh_i32_e32 v1, v7
	v_ashrrev_i32_e32 v3, 31, v3
	v_add_u32_e32 v1, -1, v1
	v_add_u32_e32 v3, 32, v3
	v_min_u32_e32 v1, v1, v3
	v_lshlrev_b64 v[8:9], v1, v[6:7]
	v_min_u32_e32 v3, 1, v8
	v_or_b32_e32 v3, v9, v3
	v_cvt_f32_i32_e32 v3, v3
	v_sub_u32_e32 v1, 32, v1
	s_movk_i32 s0, 0xff
	v_mov_b32_e32 v8, 0xff
	v_ldexp_f32 v1, v3, v1
	v_bfe_u32 v3, v1, 23, 8
	v_cmp_ne_u32_e32 vcc, s0, v3
	s_and_saveexec_b64 s[10:11], vcc
; %bb.1755:
	s_mov_b32 s0, 0x3fffff
	v_lshrrev_b32_e32 v8, 23, v1
	v_and_b32_e32 v9, 0x400000, v1
	v_and_or_b32 v1, v1, s0, v3
	v_cmp_ne_u32_e32 vcc, 0, v9
	v_cmp_ne_u32_e64 s[0:1], 0, v1
	s_and_b64 s[0:1], vcc, s[0:1]
	s_nop 0
	v_cndmask_b32_e64 v1, 0, 1, s[0:1]
	v_add_u32_e32 v8, v8, v1
; %bb.1756:
	s_or_b64 exec, exec, s[10:11]
	s_mov_b64 s[0:1], 0
	s_mov_b64 s[10:11], -1
	global_store_byte v[4:5], v8, off
.LBB449_1757:
	s_mov_b64 s[12:13], 0
.LBB449_1758:
	s_and_b64 vcc, exec, s[12:13]
	s_cbranch_vccz .LBB449_1761
; %bb.1759:
	s_cmp_eq_u32 s17, 29
	s_mov_b64 s[0:1], -1
	s_cbranch_scc0 .LBB449_1761
; %bb.1760:
	global_store_dwordx2 v[4:5], v[6:7], off
	s_mov_b64 s[0:1], 0
	s_mov_b64 s[10:11], -1
.LBB449_1761:
	s_mov_b64 s[12:13], 0
.LBB449_1762:
	s_and_b64 vcc, exec, s[12:13]
	s_cbranch_vccz .LBB449_1778
; %bb.1763:
	s_cmp_lt_i32 s17, 27
	s_mov_b64 s[10:11], -1
	s_cbranch_scc1 .LBB449_1769
; %bb.1764:
	s_cmp_gt_i32 s17, 27
	s_cbranch_scc0 .LBB449_1766
; %bb.1765:
	s_mov_b64 s[10:11], 0
	global_store_dword v[4:5], v6, off
.LBB449_1766:
	s_andn2_b64 vcc, exec, s[10:11]
	s_cbranch_vccnz .LBB449_1768
; %bb.1767:
	global_store_short v[4:5], v6, off
.LBB449_1768:
	s_mov_b64 s[10:11], 0
.LBB449_1769:
	s_andn2_b64 vcc, exec, s[10:11]
	s_cbranch_vccnz .LBB449_1777
; %bb.1770:
	v_xor_b32_e32 v3, v6, v7
	v_ffbh_i32_e32 v1, v7
	v_ashrrev_i32_e32 v3, 31, v3
	v_add_u32_e32 v1, -1, v1
	v_add_u32_e32 v3, 32, v3
	v_min_u32_e32 v1, v1, v3
	v_lshlrev_b64 v[8:9], v1, v[6:7]
	v_min_u32_e32 v3, 1, v8
	v_or_b32_e32 v3, v9, v3
	v_cvt_f32_i32_e32 v3, v3
	v_sub_u32_e32 v1, 32, v1
	s_mov_b32 s10, 0x43800000
	v_mov_b32_e32 v8, 0x80
	v_ldexp_f32 v1, v3, v1
	v_and_b32_e32 v3, 0x7fffffff, v1
	v_cmp_gt_u32_e32 vcc, s10, v3
	s_and_saveexec_b64 s[10:11], vcc
	s_cbranch_execz .LBB449_1776
; %bb.1771:
	s_mov_b32 s12, 0x3bffffff
	v_cmp_lt_u32_e32 vcc, s12, v3
	s_mov_b64 s[12:13], 0
                                        ; implicit-def: $vgpr3
	s_and_saveexec_b64 s[14:15], vcc
	s_xor_b64 s[14:15], exec, s[14:15]
	s_cbranch_execz .LBB449_2111
; %bb.1772:
	v_bfe_u32 v3, v1, 20, 1
	s_mov_b32 s18, 0x487ffff
	v_add3_u32 v3, v1, v3, s18
	s_mov_b64 s[12:13], exec
	v_lshrrev_b32_e32 v3, 20, v3
	s_andn2_saveexec_b64 s[14:15], s[14:15]
	s_cbranch_execnz .LBB449_2112
.LBB449_1773:
	s_or_b64 exec, exec, s[14:15]
	v_mov_b32_e32 v8, 0
	s_and_saveexec_b64 s[14:15], s[12:13]
.LBB449_1774:
	v_lshrrev_b32_e32 v1, 24, v1
	s_movk_i32 s12, 0x80
	v_and_or_b32 v8, v1, s12, v3
.LBB449_1775:
	s_or_b64 exec, exec, s[14:15]
.LBB449_1776:
	s_or_b64 exec, exec, s[10:11]
	global_store_byte v[4:5], v8, off
.LBB449_1777:
	s_mov_b64 s[10:11], -1
.LBB449_1778:
	s_mov_b64 s[12:13], 0
.LBB449_1779:
	s_and_b64 vcc, exec, s[12:13]
	s_cbranch_vccz .LBB449_1819
; %bb.1780:
	s_cmp_gt_i32 s17, 22
	s_mov_b64 s[8:9], -1
	s_cbranch_scc0 .LBB449_1812
; %bb.1781:
	s_cmp_lt_i32 s17, 24
	s_cbranch_scc1 .LBB449_1801
; %bb.1782:
	s_cmp_gt_i32 s17, 24
	s_cbranch_scc0 .LBB449_1790
; %bb.1783:
	v_xor_b32_e32 v3, v6, v7
	v_ffbh_i32_e32 v1, v7
	v_ashrrev_i32_e32 v3, 31, v3
	v_add_u32_e32 v1, -1, v1
	v_add_u32_e32 v3, 32, v3
	v_min_u32_e32 v1, v1, v3
	v_lshlrev_b64 v[8:9], v1, v[6:7]
	v_min_u32_e32 v3, 1, v8
	v_or_b32_e32 v3, v9, v3
	v_cvt_f32_i32_e32 v3, v3
	v_sub_u32_e32 v1, 32, v1
	s_mov_b32 s8, 0x47800000
	v_mov_b32_e32 v8, 0x80
	v_ldexp_f32 v1, v3, v1
	v_and_b32_e32 v3, 0x7fffffff, v1
	v_cmp_gt_u32_e32 vcc, s8, v3
	s_and_saveexec_b64 s[8:9], vcc
	s_cbranch_execz .LBB449_1789
; %bb.1784:
	s_mov_b32 s10, 0x37ffffff
	v_cmp_lt_u32_e32 vcc, s10, v3
	s_mov_b64 s[10:11], 0
                                        ; implicit-def: $vgpr3
	s_and_saveexec_b64 s[12:13], vcc
	s_xor_b64 s[12:13], exec, s[12:13]
	s_cbranch_execz .LBB449_2114
; %bb.1785:
	v_bfe_u32 v3, v1, 21, 1
	s_mov_b32 s14, 0x88fffff
	v_add3_u32 v3, v1, v3, s14
	s_mov_b64 s[10:11], exec
	v_lshrrev_b32_e32 v3, 21, v3
	s_andn2_saveexec_b64 s[12:13], s[12:13]
	s_cbranch_execnz .LBB449_2115
.LBB449_1786:
	s_or_b64 exec, exec, s[12:13]
	v_mov_b32_e32 v8, 0
	s_and_saveexec_b64 s[12:13], s[10:11]
.LBB449_1787:
	v_lshrrev_b32_e32 v1, 24, v1
	s_movk_i32 s10, 0x80
	v_and_or_b32 v8, v1, s10, v3
.LBB449_1788:
	s_or_b64 exec, exec, s[12:13]
.LBB449_1789:
	s_or_b64 exec, exec, s[8:9]
	s_mov_b64 s[8:9], 0
	global_store_byte v[4:5], v8, off
.LBB449_1790:
	s_and_b64 vcc, exec, s[8:9]
	s_cbranch_vccz .LBB449_1800
; %bb.1791:
	v_xor_b32_e32 v3, v6, v7
	v_ffbh_i32_e32 v1, v7
	v_ashrrev_i32_e32 v3, 31, v3
	v_add_u32_e32 v1, -1, v1
	v_add_u32_e32 v3, 32, v3
	v_min_u32_e32 v1, v1, v3
	v_lshlrev_b64 v[8:9], v1, v[6:7]
	v_min_u32_e32 v3, 1, v8
	v_or_b32_e32 v3, v9, v3
	v_cvt_f32_i32_e32 v3, v3
	v_sub_u32_e32 v1, 32, v1
	s_mov_b32 s8, 0x43f00000
	v_ldexp_f32 v1, v3, v1
	v_and_b32_e32 v8, 0x7fffffff, v1
	v_cmp_gt_u32_e32 vcc, s8, v8
                                        ; implicit-def: $vgpr3
	s_and_saveexec_b64 s[8:9], vcc
	s_xor_b64 s[8:9], exec, s[8:9]
	s_cbranch_execz .LBB449_1797
; %bb.1792:
	s_mov_b32 s10, 0x3c7fffff
	v_cmp_lt_u32_e32 vcc, s10, v8
                                        ; implicit-def: $vgpr3
	s_and_saveexec_b64 s[10:11], vcc
	s_xor_b64 s[10:11], exec, s[10:11]
; %bb.1793:
	v_bfe_u32 v3, v1, 20, 1
	s_mov_b32 s12, 0x407ffff
	v_add3_u32 v3, v1, v3, s12
	v_lshrrev_b32_e32 v8, 20, v3
	v_and_b32_e32 v3, 0xff00000, v3
	s_mov_b32 s12, 0x7f00000
	v_mov_b32_e32 v9, 0x7e
	v_cmp_ne_u32_e32 vcc, s12, v3
	s_nop 1
	v_cndmask_b32_e32 v3, v9, v8, vcc
; %bb.1794:
	s_andn2_saveexec_b64 s[10:11], s[10:11]
; %bb.1795:
	s_mov_b32 s12, 0x46800000
	v_add_f32_e64 v3, |v1|, s12
; %bb.1796:
	s_or_b64 exec, exec, s[10:11]
                                        ; implicit-def: $vgpr8
.LBB449_1797:
	s_andn2_saveexec_b64 s[8:9], s[8:9]
; %bb.1798:
	s_mov_b32 s10, 0x7f800000
	v_mov_b32_e32 v3, 0x7e
	v_mov_b32_e32 v9, 0x7f
	v_cmp_lt_u32_e32 vcc, s10, v8
	s_nop 1
	v_cndmask_b32_e32 v3, v3, v9, vcc
; %bb.1799:
	s_or_b64 exec, exec, s[8:9]
	v_lshrrev_b32_e32 v1, 24, v1
	s_movk_i32 s8, 0x80
	v_and_or_b32 v1, v1, s8, v3
	global_store_byte v[4:5], v1, off
.LBB449_1800:
	s_mov_b64 s[8:9], 0
.LBB449_1801:
	s_andn2_b64 vcc, exec, s[8:9]
	s_cbranch_vccnz .LBB449_1811
; %bb.1802:
	v_xor_b32_e32 v3, v6, v7
	v_ffbh_i32_e32 v1, v7
	v_ashrrev_i32_e32 v3, 31, v3
	v_add_u32_e32 v1, -1, v1
	v_add_u32_e32 v3, 32, v3
	v_min_u32_e32 v1, v1, v3
	v_lshlrev_b64 v[8:9], v1, v[6:7]
	v_min_u32_e32 v3, 1, v8
	v_or_b32_e32 v3, v9, v3
	v_cvt_f32_i32_e32 v3, v3
	v_sub_u32_e32 v1, 32, v1
	s_mov_b32 s8, 0x47800000
	v_ldexp_f32 v1, v3, v1
	v_and_b32_e32 v8, 0x7fffffff, v1
	v_cmp_gt_u32_e32 vcc, s8, v8
                                        ; implicit-def: $vgpr3
	s_and_saveexec_b64 s[8:9], vcc
	s_xor_b64 s[8:9], exec, s[8:9]
	s_cbranch_execz .LBB449_1808
; %bb.1803:
	s_mov_b32 s10, 0x387fffff
	v_cmp_lt_u32_e32 vcc, s10, v8
                                        ; implicit-def: $vgpr3
	s_and_saveexec_b64 s[10:11], vcc
	s_xor_b64 s[10:11], exec, s[10:11]
; %bb.1804:
	v_bfe_u32 v3, v1, 21, 1
	s_mov_b32 s12, 0x80fffff
	v_add3_u32 v3, v1, v3, s12
	v_lshrrev_b32_e32 v3, 21, v3
; %bb.1805:
	s_andn2_saveexec_b64 s[10:11], s[10:11]
; %bb.1806:
	s_mov_b32 s12, 0x43000000
	v_add_f32_e64 v3, |v1|, s12
; %bb.1807:
	s_or_b64 exec, exec, s[10:11]
                                        ; implicit-def: $vgpr8
.LBB449_1808:
	s_andn2_saveexec_b64 s[8:9], s[8:9]
; %bb.1809:
	s_mov_b32 s10, 0x7f800000
	v_mov_b32_e32 v3, 0x7c
	v_mov_b32_e32 v9, 0x7f
	v_cmp_lt_u32_e32 vcc, s10, v8
	s_nop 1
	v_cndmask_b32_e32 v3, v3, v9, vcc
; %bb.1810:
	s_or_b64 exec, exec, s[8:9]
	v_lshrrev_b32_e32 v1, 24, v1
	s_movk_i32 s8, 0x80
	v_and_or_b32 v1, v1, s8, v3
	global_store_byte v[4:5], v1, off
.LBB449_1811:
	s_mov_b64 s[8:9], 0
	s_mov_b64 s[10:11], -1
.LBB449_1812:
	s_andn2_b64 vcc, exec, s[8:9]
	s_mov_b64 s[8:9], 0
	s_cbranch_vccnz .LBB449_1819
; %bb.1813:
	s_cmp_gt_i32 s17, 14
	s_mov_b64 s[12:13], -1
	s_cbranch_scc0 .LBB449_1817
; %bb.1814:
	s_cmp_eq_u32 s17, 15
	s_mov_b64 s[0:1], -1
	s_cbranch_scc0 .LBB449_1816
; %bb.1815:
	v_xor_b32_e32 v3, v6, v7
	v_ffbh_i32_e32 v1, v7
	v_ashrrev_i32_e32 v3, 31, v3
	v_add_u32_e32 v1, -1, v1
	v_add_u32_e32 v3, 32, v3
	v_min_u32_e32 v1, v1, v3
	v_lshlrev_b64 v[8:9], v1, v[6:7]
	v_min_u32_e32 v3, 1, v8
	v_or_b32_e32 v3, v9, v3
	v_cvt_f32_i32_e32 v3, v3
	v_sub_u32_e32 v1, 32, v1
	s_movk_i32 s0, 0x7fff
	s_mov_b64 s[10:11], -1
	v_ldexp_f32 v1, v3, v1
	v_bfe_u32 v3, v1, 16, 1
	v_add3_u32 v1, v1, v3, s0
	global_store_short_d16_hi v[4:5], v1, off
	s_mov_b64 s[0:1], 0
.LBB449_1816:
	s_mov_b64 s[12:13], 0
.LBB449_1817:
	s_and_b64 vcc, exec, s[12:13]
	s_cbranch_vccz .LBB449_1819
; %bb.1818:
	s_cmp_lg_u32 s17, 11
	s_mov_b64 s[8:9], -1
	s_cselect_b64 s[0:1], -1, 0
.LBB449_1819:
	s_and_b64 vcc, exec, s[0:1]
	s_cbranch_vccnz .LBB449_2113
; %bb.1820:
	s_andn2_b64 vcc, exec, s[8:9]
	s_cbranch_vccnz .LBB449_1822
.LBB449_1821:
	v_cmp_ne_u64_e32 vcc, 0, v[6:7]
	s_mov_b64 s[10:11], -1
	s_nop 0
	v_cndmask_b32_e64 v1, 0, 1, vcc
	global_store_byte v[4:5], v1, off
.LBB449_1822:
	s_mov_b64 s[0:1], 0
	s_branch .LBB449_1824
.LBB449_1823:
	s_mov_b64 s[0:1], -1
	s_mov_b64 s[10:11], 0
.LBB449_1824:
	s_and_b64 vcc, exec, s[0:1]
	s_cbranch_vccz .LBB449_1863
; %bb.1825:
	s_cmp_lt_i32 s17, 5
	s_mov_b64 s[0:1], -1
	s_cbranch_scc1 .LBB449_1846
; %bb.1826:
	s_cmp_lt_i32 s17, 8
	s_cbranch_scc1 .LBB449_1836
; %bb.1827:
	s_cmp_lt_i32 s17, 9
	s_cbranch_scc1 .LBB449_1833
; %bb.1828:
	s_cmp_gt_i32 s17, 9
	s_cbranch_scc0 .LBB449_1830
; %bb.1829:
	v_cvt_f64_i32_e32 v[8:9], v7
	v_ldexp_f64 v[8:9], v[8:9], 32
	v_cvt_f64_u32_e32 v[10:11], v6
	v_add_f64 v[8:9], v[8:9], v[10:11]
	v_mov_b32_e32 v10, 0
	v_mov_b32_e32 v11, v10
	global_store_dwordx4 v[4:5], v[8:11], off
	s_mov_b64 s[0:1], 0
.LBB449_1830:
	s_andn2_b64 vcc, exec, s[0:1]
	s_cbranch_vccnz .LBB449_1832
; %bb.1831:
	v_xor_b32_e32 v3, v6, v7
	v_ffbh_i32_e32 v1, v7
	v_ashrrev_i32_e32 v3, 31, v3
	v_add_u32_e32 v1, -1, v1
	v_add_u32_e32 v3, 32, v3
	v_min_u32_e32 v1, v1, v3
	v_lshlrev_b64 v[8:9], v1, v[6:7]
	v_min_u32_e32 v3, 1, v8
	v_or_b32_e32 v3, v9, v3
	v_cvt_f32_i32_e32 v3, v3
	v_sub_u32_e32 v1, 32, v1
	v_mov_b32_e32 v9, 0
	v_ldexp_f32 v8, v3, v1
	global_store_dwordx2 v[4:5], v[8:9], off
.LBB449_1832:
	s_mov_b64 s[0:1], 0
.LBB449_1833:
	s_andn2_b64 vcc, exec, s[0:1]
	s_cbranch_vccnz .LBB449_1835
; %bb.1834:
	v_xor_b32_e32 v3, v6, v7
	v_ffbh_i32_e32 v1, v7
	v_ashrrev_i32_e32 v3, 31, v3
	v_add_u32_e32 v1, -1, v1
	v_add_u32_e32 v3, 32, v3
	v_min_u32_e32 v1, v1, v3
	v_lshlrev_b64 v[8:9], v1, v[6:7]
	v_min_u32_e32 v3, 1, v8
	v_or_b32_e32 v3, v9, v3
	v_cvt_f32_i32_e32 v3, v3
	v_sub_u32_e32 v1, 32, v1
	v_ldexp_f32 v1, v3, v1
	v_cvt_f16_f32_e32 v1, v1
	global_store_dword v[4:5], v1, off
.LBB449_1835:
	s_mov_b64 s[0:1], 0
.LBB449_1836:
	s_andn2_b64 vcc, exec, s[0:1]
	s_cbranch_vccnz .LBB449_1845
; %bb.1837:
	s_cmp_lt_i32 s17, 6
	s_mov_b64 s[0:1], -1
	s_cbranch_scc1 .LBB449_1843
; %bb.1838:
	s_cmp_gt_i32 s17, 6
	s_cbranch_scc0 .LBB449_1840
; %bb.1839:
	v_cvt_f64_i32_e32 v[8:9], v7
	v_ldexp_f64 v[8:9], v[8:9], 32
	v_cvt_f64_u32_e32 v[10:11], v6
	v_add_f64 v[8:9], v[8:9], v[10:11]
	global_store_dwordx2 v[4:5], v[8:9], off
	s_mov_b64 s[0:1], 0
.LBB449_1840:
	s_andn2_b64 vcc, exec, s[0:1]
	s_cbranch_vccnz .LBB449_1842
; %bb.1841:
	v_xor_b32_e32 v3, v6, v7
	v_ffbh_i32_e32 v1, v7
	v_ashrrev_i32_e32 v3, 31, v3
	v_add_u32_e32 v1, -1, v1
	v_add_u32_e32 v3, 32, v3
	v_min_u32_e32 v1, v1, v3
	v_lshlrev_b64 v[8:9], v1, v[6:7]
	v_min_u32_e32 v3, 1, v8
	v_or_b32_e32 v3, v9, v3
	v_cvt_f32_i32_e32 v3, v3
	v_sub_u32_e32 v1, 32, v1
	v_ldexp_f32 v1, v3, v1
	global_store_dword v[4:5], v1, off
.LBB449_1842:
	s_mov_b64 s[0:1], 0
.LBB449_1843:
	s_andn2_b64 vcc, exec, s[0:1]
	s_cbranch_vccnz .LBB449_1845
; %bb.1844:
	v_xor_b32_e32 v3, v6, v7
	v_ffbh_i32_e32 v1, v7
	v_ashrrev_i32_e32 v3, 31, v3
	v_add_u32_e32 v1, -1, v1
	v_add_u32_e32 v3, 32, v3
	v_min_u32_e32 v1, v1, v3
	v_lshlrev_b64 v[8:9], v1, v[6:7]
	v_min_u32_e32 v3, 1, v8
	v_or_b32_e32 v3, v9, v3
	v_cvt_f32_i32_e32 v3, v3
	v_sub_u32_e32 v1, 32, v1
	v_ldexp_f32 v1, v3, v1
	v_cvt_f16_f32_e32 v1, v1
	global_store_short v[4:5], v1, off
.LBB449_1845:
	s_mov_b64 s[0:1], 0
.LBB449_1846:
	s_andn2_b64 vcc, exec, s[0:1]
	s_cbranch_vccnz .LBB449_1862
; %bb.1847:
	s_cmp_lt_i32 s17, 2
	s_mov_b64 s[0:1], -1
	s_cbranch_scc1 .LBB449_1857
; %bb.1848:
	s_cmp_lt_i32 s17, 3
	s_cbranch_scc1 .LBB449_1854
; %bb.1849:
	s_cmp_gt_i32 s17, 3
	s_cbranch_scc0 .LBB449_1851
; %bb.1850:
	global_store_dwordx2 v[4:5], v[6:7], off
	s_mov_b64 s[0:1], 0
.LBB449_1851:
	s_andn2_b64 vcc, exec, s[0:1]
	s_cbranch_vccnz .LBB449_1853
; %bb.1852:
	global_store_dword v[4:5], v6, off
.LBB449_1853:
	s_mov_b64 s[0:1], 0
.LBB449_1854:
	s_andn2_b64 vcc, exec, s[0:1]
	s_cbranch_vccnz .LBB449_1856
; %bb.1855:
	global_store_short v[4:5], v6, off
.LBB449_1856:
	s_mov_b64 s[0:1], 0
.LBB449_1857:
	s_andn2_b64 vcc, exec, s[0:1]
	s_cbranch_vccnz .LBB449_1862
; %bb.1858:
	s_cmp_gt_i32 s17, 0
	s_mov_b64 s[0:1], -1
	s_cbranch_scc0 .LBB449_1860
; %bb.1859:
	global_store_byte v[4:5], v6, off
	s_mov_b64 s[0:1], 0
.LBB449_1860:
	s_andn2_b64 vcc, exec, s[0:1]
	s_cbranch_vccnz .LBB449_1862
; %bb.1861:
	global_store_byte v[4:5], v6, off
.LBB449_1862:
	s_mov_b64 s[10:11], -1
.LBB449_1863:
	s_andn2_b64 vcc, exec, s[10:11]
	s_cbranch_vccnz .LBB449_2059
; %bb.1864:
	v_mov_b32_e32 v1, s7
	v_cmp_gt_i64_e32 vcc, s[6:7], v[12:13]
	v_mov_b32_e32 v3, 0
	s_cmp_lt_i32 s17, 11
	v_cndmask_b32_e32 v5, v1, v13, vcc
	v_mov_b32_e32 v1, s6
	v_cndmask_b32_e32 v4, v1, v12, vcc
	v_lshl_add_u64 v[2:3], s[4:5], 0, v[2:3]
	s_cbranch_scc1 .LBB449_1942
; %bb.1865:
	s_mov_b64 s[12:13], -1
	s_mov_b64 s[8:9], 0
	s_cmp_gt_i32 s17, 25
	s_mov_b64 s[10:11], 0
	s_mov_b64 s[0:1], 0
	s_cbranch_scc0 .LBB449_1898
; %bb.1866:
	s_cmp_gt_i32 s17, 28
	s_cbranch_scc0 .LBB449_1881
; %bb.1867:
	s_cmp_gt_i32 s17, 43
	;; [unrolled: 3-line block ×3, first 2 shown]
	s_cbranch_scc0 .LBB449_1871
; %bb.1869:
	s_mov_b64 s[0:1], -1
	s_mov_b64 s[12:13], 0
	s_cmp_eq_u32 s17, 46
	s_cbranch_scc0 .LBB449_1871
; %bb.1870:
	v_xor_b32_e32 v6, v4, v5
	v_ffbh_i32_e32 v1, v5
	v_ashrrev_i32_e32 v6, 31, v6
	v_add_u32_e32 v1, -1, v1
	v_add_u32_e32 v6, 32, v6
	v_min_u32_e32 v1, v1, v6
	v_lshlrev_b64 v[6:7], v1, v[4:5]
	v_min_u32_e32 v6, 1, v6
	v_or_b32_e32 v6, v7, v6
	v_cvt_f32_i32_e32 v6, v6
	v_sub_u32_e32 v1, 32, v1
	s_movk_i32 s0, 0x7fff
	s_mov_b64 s[10:11], -1
	v_ldexp_f32 v1, v6, v1
	v_bfe_u32 v6, v1, 16, 1
	v_add3_u32 v1, v1, v6, s0
	v_lshrrev_b32_e32 v1, 16, v1
	global_store_dword v[2:3], v1, off
	s_mov_b64 s[0:1], 0
.LBB449_1871:
	s_and_b64 vcc, exec, s[12:13]
	s_cbranch_vccz .LBB449_1876
; %bb.1872:
	s_cmp_eq_u32 s17, 44
	s_mov_b64 s[0:1], -1
	s_cbranch_scc0 .LBB449_1876
; %bb.1873:
	v_xor_b32_e32 v6, v4, v5
	v_ffbh_i32_e32 v1, v5
	v_ashrrev_i32_e32 v6, 31, v6
	v_add_u32_e32 v1, -1, v1
	v_add_u32_e32 v6, 32, v6
	v_min_u32_e32 v1, v1, v6
	v_lshlrev_b64 v[6:7], v1, v[4:5]
	v_min_u32_e32 v6, 1, v6
	v_or_b32_e32 v6, v7, v6
	v_cvt_f32_i32_e32 v6, v6
	v_sub_u32_e32 v1, 32, v1
	s_movk_i32 s0, 0xff
	v_mov_b32_e32 v7, 0xff
	v_ldexp_f32 v1, v6, v1
	v_bfe_u32 v6, v1, 23, 8
	v_cmp_ne_u32_e32 vcc, s0, v6
	s_and_saveexec_b64 s[10:11], vcc
; %bb.1874:
	s_mov_b32 s0, 0x3fffff
	v_lshrrev_b32_e32 v7, 23, v1
	v_and_b32_e32 v8, 0x400000, v1
	v_and_or_b32 v1, v1, s0, v6
	v_cmp_ne_u32_e32 vcc, 0, v8
	v_cmp_ne_u32_e64 s[0:1], 0, v1
	s_and_b64 s[0:1], vcc, s[0:1]
	s_nop 0
	v_cndmask_b32_e64 v1, 0, 1, s[0:1]
	v_add_u32_e32 v7, v7, v1
; %bb.1875:
	s_or_b64 exec, exec, s[10:11]
	s_mov_b64 s[0:1], 0
	s_mov_b64 s[10:11], -1
	global_store_byte v[2:3], v7, off
.LBB449_1876:
	s_mov_b64 s[12:13], 0
.LBB449_1877:
	s_and_b64 vcc, exec, s[12:13]
	s_cbranch_vccz .LBB449_1880
; %bb.1878:
	s_cmp_eq_u32 s17, 29
	s_mov_b64 s[0:1], -1
	s_cbranch_scc0 .LBB449_1880
; %bb.1879:
	global_store_dwordx2 v[2:3], v[4:5], off
	s_mov_b64 s[0:1], 0
	s_mov_b64 s[10:11], -1
.LBB449_1880:
	s_mov_b64 s[12:13], 0
.LBB449_1881:
	s_and_b64 vcc, exec, s[12:13]
	s_cbranch_vccz .LBB449_1897
; %bb.1882:
	s_cmp_lt_i32 s17, 27
	s_mov_b64 s[10:11], -1
	s_cbranch_scc1 .LBB449_1888
; %bb.1883:
	s_cmp_gt_i32 s17, 27
	s_cbranch_scc0 .LBB449_1885
; %bb.1884:
	s_mov_b64 s[10:11], 0
	global_store_dword v[2:3], v4, off
.LBB449_1885:
	s_andn2_b64 vcc, exec, s[10:11]
	s_cbranch_vccnz .LBB449_1887
; %bb.1886:
	global_store_short v[2:3], v4, off
.LBB449_1887:
	s_mov_b64 s[10:11], 0
.LBB449_1888:
	s_andn2_b64 vcc, exec, s[10:11]
	s_cbranch_vccnz .LBB449_1896
; %bb.1889:
	v_xor_b32_e32 v6, v4, v5
	v_ffbh_i32_e32 v1, v5
	v_ashrrev_i32_e32 v6, 31, v6
	v_add_u32_e32 v1, -1, v1
	v_add_u32_e32 v6, 32, v6
	v_min_u32_e32 v1, v1, v6
	v_lshlrev_b64 v[6:7], v1, v[4:5]
	v_min_u32_e32 v6, 1, v6
	v_or_b32_e32 v6, v7, v6
	v_cvt_f32_i32_e32 v6, v6
	v_sub_u32_e32 v1, 32, v1
	s_mov_b32 s10, 0x43800000
	v_mov_b32_e32 v7, 0x80
	v_ldexp_f32 v1, v6, v1
	v_and_b32_e32 v6, 0x7fffffff, v1
	v_cmp_gt_u32_e32 vcc, s10, v6
	s_and_saveexec_b64 s[10:11], vcc
	s_cbranch_execz .LBB449_1895
; %bb.1890:
	s_mov_b32 s12, 0x3bffffff
	v_cmp_lt_u32_e32 vcc, s12, v6
	s_mov_b64 s[12:13], 0
                                        ; implicit-def: $vgpr6
	s_and_saveexec_b64 s[14:15], vcc
	s_xor_b64 s[14:15], exec, s[14:15]
	s_cbranch_execz .LBB449_2116
; %bb.1891:
	v_bfe_u32 v6, v1, 20, 1
	s_mov_b32 s18, 0x487ffff
	v_add3_u32 v6, v1, v6, s18
	s_mov_b64 s[12:13], exec
	v_lshrrev_b32_e32 v6, 20, v6
	s_andn2_saveexec_b64 s[14:15], s[14:15]
	s_cbranch_execnz .LBB449_2117
.LBB449_1892:
	s_or_b64 exec, exec, s[14:15]
	v_mov_b32_e32 v7, 0
	s_and_saveexec_b64 s[14:15], s[12:13]
.LBB449_1893:
	v_lshrrev_b32_e32 v1, 24, v1
	s_movk_i32 s12, 0x80
	v_and_or_b32 v7, v1, s12, v6
.LBB449_1894:
	s_or_b64 exec, exec, s[14:15]
.LBB449_1895:
	s_or_b64 exec, exec, s[10:11]
	global_store_byte v[2:3], v7, off
.LBB449_1896:
	s_mov_b64 s[10:11], -1
.LBB449_1897:
	s_mov_b64 s[12:13], 0
.LBB449_1898:
	s_and_b64 vcc, exec, s[12:13]
	s_cbranch_vccz .LBB449_1938
; %bb.1899:
	s_cmp_gt_i32 s17, 22
	s_mov_b64 s[8:9], -1
	s_cbranch_scc0 .LBB449_1931
; %bb.1900:
	s_cmp_lt_i32 s17, 24
	s_cbranch_scc1 .LBB449_1920
; %bb.1901:
	s_cmp_gt_i32 s17, 24
	s_cbranch_scc0 .LBB449_1909
; %bb.1902:
	v_xor_b32_e32 v6, v4, v5
	v_ffbh_i32_e32 v1, v5
	v_ashrrev_i32_e32 v6, 31, v6
	v_add_u32_e32 v1, -1, v1
	v_add_u32_e32 v6, 32, v6
	v_min_u32_e32 v1, v1, v6
	v_lshlrev_b64 v[6:7], v1, v[4:5]
	v_min_u32_e32 v6, 1, v6
	v_or_b32_e32 v6, v7, v6
	v_cvt_f32_i32_e32 v6, v6
	v_sub_u32_e32 v1, 32, v1
	s_mov_b32 s8, 0x47800000
	v_mov_b32_e32 v7, 0x80
	v_ldexp_f32 v1, v6, v1
	v_and_b32_e32 v6, 0x7fffffff, v1
	v_cmp_gt_u32_e32 vcc, s8, v6
	s_and_saveexec_b64 s[8:9], vcc
	s_cbranch_execz .LBB449_1908
; %bb.1903:
	s_mov_b32 s10, 0x37ffffff
	v_cmp_lt_u32_e32 vcc, s10, v6
	s_mov_b64 s[10:11], 0
                                        ; implicit-def: $vgpr6
	s_and_saveexec_b64 s[12:13], vcc
	s_xor_b64 s[12:13], exec, s[12:13]
	s_cbranch_execz .LBB449_2119
; %bb.1904:
	v_bfe_u32 v6, v1, 21, 1
	s_mov_b32 s14, 0x88fffff
	v_add3_u32 v6, v1, v6, s14
	s_mov_b64 s[10:11], exec
	v_lshrrev_b32_e32 v6, 21, v6
	s_andn2_saveexec_b64 s[12:13], s[12:13]
	s_cbranch_execnz .LBB449_2120
.LBB449_1905:
	s_or_b64 exec, exec, s[12:13]
	v_mov_b32_e32 v7, 0
	s_and_saveexec_b64 s[12:13], s[10:11]
.LBB449_1906:
	v_lshrrev_b32_e32 v1, 24, v1
	s_movk_i32 s10, 0x80
	v_and_or_b32 v7, v1, s10, v6
.LBB449_1907:
	s_or_b64 exec, exec, s[12:13]
.LBB449_1908:
	s_or_b64 exec, exec, s[8:9]
	s_mov_b64 s[8:9], 0
	global_store_byte v[2:3], v7, off
.LBB449_1909:
	s_and_b64 vcc, exec, s[8:9]
	s_cbranch_vccz .LBB449_1919
; %bb.1910:
	v_xor_b32_e32 v6, v4, v5
	v_ffbh_i32_e32 v1, v5
	v_ashrrev_i32_e32 v6, 31, v6
	v_add_u32_e32 v1, -1, v1
	v_add_u32_e32 v6, 32, v6
	v_min_u32_e32 v1, v1, v6
	v_lshlrev_b64 v[6:7], v1, v[4:5]
	v_min_u32_e32 v6, 1, v6
	v_or_b32_e32 v6, v7, v6
	v_cvt_f32_i32_e32 v6, v6
	v_sub_u32_e32 v1, 32, v1
	s_mov_b32 s8, 0x43f00000
	v_ldexp_f32 v1, v6, v1
	v_and_b32_e32 v7, 0x7fffffff, v1
	v_cmp_gt_u32_e32 vcc, s8, v7
                                        ; implicit-def: $vgpr6
	s_and_saveexec_b64 s[8:9], vcc
	s_xor_b64 s[8:9], exec, s[8:9]
	s_cbranch_execz .LBB449_1916
; %bb.1911:
	s_mov_b32 s10, 0x3c7fffff
	v_cmp_lt_u32_e32 vcc, s10, v7
                                        ; implicit-def: $vgpr6
	s_and_saveexec_b64 s[10:11], vcc
	s_xor_b64 s[10:11], exec, s[10:11]
; %bb.1912:
	v_bfe_u32 v6, v1, 20, 1
	s_mov_b32 s12, 0x407ffff
	v_add3_u32 v6, v1, v6, s12
	v_lshrrev_b32_e32 v7, 20, v6
	v_and_b32_e32 v6, 0xff00000, v6
	s_mov_b32 s12, 0x7f00000
	v_mov_b32_e32 v8, 0x7e
	v_cmp_ne_u32_e32 vcc, s12, v6
	s_nop 1
	v_cndmask_b32_e32 v6, v8, v7, vcc
; %bb.1913:
	s_andn2_saveexec_b64 s[10:11], s[10:11]
; %bb.1914:
	s_mov_b32 s12, 0x46800000
	v_add_f32_e64 v6, |v1|, s12
; %bb.1915:
	s_or_b64 exec, exec, s[10:11]
                                        ; implicit-def: $vgpr7
.LBB449_1916:
	s_andn2_saveexec_b64 s[8:9], s[8:9]
; %bb.1917:
	s_mov_b32 s10, 0x7f800000
	v_mov_b32_e32 v6, 0x7e
	v_mov_b32_e32 v8, 0x7f
	v_cmp_lt_u32_e32 vcc, s10, v7
	s_nop 1
	v_cndmask_b32_e32 v6, v6, v8, vcc
; %bb.1918:
	s_or_b64 exec, exec, s[8:9]
	v_lshrrev_b32_e32 v1, 24, v1
	s_movk_i32 s8, 0x80
	v_and_or_b32 v1, v1, s8, v6
	global_store_byte v[2:3], v1, off
.LBB449_1919:
	s_mov_b64 s[8:9], 0
.LBB449_1920:
	s_andn2_b64 vcc, exec, s[8:9]
	s_cbranch_vccnz .LBB449_1930
; %bb.1921:
	v_xor_b32_e32 v6, v4, v5
	v_ffbh_i32_e32 v1, v5
	v_ashrrev_i32_e32 v6, 31, v6
	v_add_u32_e32 v1, -1, v1
	v_add_u32_e32 v6, 32, v6
	v_min_u32_e32 v1, v1, v6
	v_lshlrev_b64 v[6:7], v1, v[4:5]
	v_min_u32_e32 v6, 1, v6
	v_or_b32_e32 v6, v7, v6
	v_cvt_f32_i32_e32 v6, v6
	v_sub_u32_e32 v1, 32, v1
	s_mov_b32 s8, 0x47800000
	v_ldexp_f32 v1, v6, v1
	v_and_b32_e32 v7, 0x7fffffff, v1
	v_cmp_gt_u32_e32 vcc, s8, v7
                                        ; implicit-def: $vgpr6
	s_and_saveexec_b64 s[8:9], vcc
	s_xor_b64 s[8:9], exec, s[8:9]
	s_cbranch_execz .LBB449_1927
; %bb.1922:
	s_mov_b32 s10, 0x387fffff
	v_cmp_lt_u32_e32 vcc, s10, v7
                                        ; implicit-def: $vgpr6
	s_and_saveexec_b64 s[10:11], vcc
	s_xor_b64 s[10:11], exec, s[10:11]
; %bb.1923:
	v_bfe_u32 v6, v1, 21, 1
	s_mov_b32 s12, 0x80fffff
	v_add3_u32 v6, v1, v6, s12
	v_lshrrev_b32_e32 v6, 21, v6
; %bb.1924:
	s_andn2_saveexec_b64 s[10:11], s[10:11]
; %bb.1925:
	s_mov_b32 s12, 0x43000000
	v_add_f32_e64 v6, |v1|, s12
; %bb.1926:
	s_or_b64 exec, exec, s[10:11]
                                        ; implicit-def: $vgpr7
.LBB449_1927:
	s_andn2_saveexec_b64 s[8:9], s[8:9]
; %bb.1928:
	s_mov_b32 s10, 0x7f800000
	v_mov_b32_e32 v6, 0x7c
	v_mov_b32_e32 v8, 0x7f
	v_cmp_lt_u32_e32 vcc, s10, v7
	s_nop 1
	v_cndmask_b32_e32 v6, v6, v8, vcc
; %bb.1929:
	s_or_b64 exec, exec, s[8:9]
	v_lshrrev_b32_e32 v1, 24, v1
	s_movk_i32 s8, 0x80
	v_and_or_b32 v1, v1, s8, v6
	global_store_byte v[2:3], v1, off
.LBB449_1930:
	s_mov_b64 s[8:9], 0
	s_mov_b64 s[10:11], -1
.LBB449_1931:
	s_andn2_b64 vcc, exec, s[8:9]
	s_mov_b64 s[8:9], 0
	s_cbranch_vccnz .LBB449_1938
; %bb.1932:
	s_cmp_gt_i32 s17, 14
	s_mov_b64 s[12:13], -1
	s_cbranch_scc0 .LBB449_1936
; %bb.1933:
	s_cmp_eq_u32 s17, 15
	s_mov_b64 s[0:1], -1
	s_cbranch_scc0 .LBB449_1935
; %bb.1934:
	v_xor_b32_e32 v6, v4, v5
	v_ffbh_i32_e32 v1, v5
	v_ashrrev_i32_e32 v6, 31, v6
	v_add_u32_e32 v1, -1, v1
	v_add_u32_e32 v6, 32, v6
	v_min_u32_e32 v1, v1, v6
	v_lshlrev_b64 v[6:7], v1, v[4:5]
	v_min_u32_e32 v6, 1, v6
	v_or_b32_e32 v6, v7, v6
	v_cvt_f32_i32_e32 v6, v6
	v_sub_u32_e32 v1, 32, v1
	s_movk_i32 s0, 0x7fff
	s_mov_b64 s[10:11], -1
	v_ldexp_f32 v1, v6, v1
	v_bfe_u32 v6, v1, 16, 1
	v_add3_u32 v1, v1, v6, s0
	global_store_short_d16_hi v[2:3], v1, off
	s_mov_b64 s[0:1], 0
.LBB449_1935:
	s_mov_b64 s[12:13], 0
.LBB449_1936:
	s_and_b64 vcc, exec, s[12:13]
	s_cbranch_vccz .LBB449_1938
; %bb.1937:
	s_cmp_lg_u32 s17, 11
	s_mov_b64 s[8:9], -1
	s_cselect_b64 s[0:1], -1, 0
.LBB449_1938:
	s_and_b64 vcc, exec, s[0:1]
	s_cbranch_vccnz .LBB449_2118
; %bb.1939:
	s_andn2_b64 vcc, exec, s[8:9]
	s_cbranch_vccnz .LBB449_1941
.LBB449_1940:
	v_cmp_ne_u64_e32 vcc, 0, v[4:5]
	s_mov_b64 s[10:11], -1
	s_nop 0
	v_cndmask_b32_e64 v1, 0, 1, vcc
	global_store_byte v[2:3], v1, off
.LBB449_1941:
	s_mov_b64 s[0:1], 0
	s_branch .LBB449_1943
.LBB449_1942:
	s_mov_b64 s[0:1], -1
	s_mov_b64 s[10:11], 0
.LBB449_1943:
	s_and_b64 vcc, exec, s[0:1]
	s_cbranch_vccz .LBB449_1982
; %bb.1944:
	s_cmp_lt_i32 s17, 5
	s_mov_b64 s[0:1], -1
	s_cbranch_scc1 .LBB449_1965
; %bb.1945:
	s_cmp_lt_i32 s17, 8
	s_cbranch_scc1 .LBB449_1955
; %bb.1946:
	s_cmp_lt_i32 s17, 9
	s_cbranch_scc1 .LBB449_1952
; %bb.1947:
	s_cmp_gt_i32 s17, 9
	s_cbranch_scc0 .LBB449_1949
; %bb.1948:
	v_cvt_f64_i32_e32 v[6:7], v5
	v_ldexp_f64 v[6:7], v[6:7], 32
	v_cvt_f64_u32_e32 v[8:9], v4
	v_add_f64 v[6:7], v[6:7], v[8:9]
	v_mov_b32_e32 v8, 0
	v_mov_b32_e32 v9, v8
	global_store_dwordx4 v[2:3], v[6:9], off
	s_mov_b64 s[0:1], 0
.LBB449_1949:
	s_andn2_b64 vcc, exec, s[0:1]
	s_cbranch_vccnz .LBB449_1951
; %bb.1950:
	v_xor_b32_e32 v6, v4, v5
	v_ffbh_i32_e32 v1, v5
	v_ashrrev_i32_e32 v6, 31, v6
	v_add_u32_e32 v1, -1, v1
	v_add_u32_e32 v6, 32, v6
	v_min_u32_e32 v1, v1, v6
	v_lshlrev_b64 v[6:7], v1, v[4:5]
	v_min_u32_e32 v6, 1, v6
	v_or_b32_e32 v6, v7, v6
	v_cvt_f32_i32_e32 v6, v6
	v_sub_u32_e32 v1, 32, v1
	v_mov_b32_e32 v7, 0
	v_ldexp_f32 v6, v6, v1
	global_store_dwordx2 v[2:3], v[6:7], off
.LBB449_1951:
	s_mov_b64 s[0:1], 0
.LBB449_1952:
	s_andn2_b64 vcc, exec, s[0:1]
	s_cbranch_vccnz .LBB449_1954
; %bb.1953:
	v_xor_b32_e32 v6, v4, v5
	v_ffbh_i32_e32 v1, v5
	v_ashrrev_i32_e32 v6, 31, v6
	v_add_u32_e32 v1, -1, v1
	v_add_u32_e32 v6, 32, v6
	v_min_u32_e32 v1, v1, v6
	v_lshlrev_b64 v[6:7], v1, v[4:5]
	v_min_u32_e32 v6, 1, v6
	v_or_b32_e32 v6, v7, v6
	v_cvt_f32_i32_e32 v6, v6
	v_sub_u32_e32 v1, 32, v1
	v_ldexp_f32 v1, v6, v1
	v_cvt_f16_f32_e32 v1, v1
	global_store_dword v[2:3], v1, off
.LBB449_1954:
	s_mov_b64 s[0:1], 0
.LBB449_1955:
	s_andn2_b64 vcc, exec, s[0:1]
	s_cbranch_vccnz .LBB449_1964
; %bb.1956:
	s_cmp_lt_i32 s17, 6
	s_mov_b64 s[0:1], -1
	s_cbranch_scc1 .LBB449_1962
; %bb.1957:
	s_cmp_gt_i32 s17, 6
	s_cbranch_scc0 .LBB449_1959
; %bb.1958:
	v_cvt_f64_i32_e32 v[6:7], v5
	v_ldexp_f64 v[6:7], v[6:7], 32
	v_cvt_f64_u32_e32 v[8:9], v4
	v_add_f64 v[6:7], v[6:7], v[8:9]
	global_store_dwordx2 v[2:3], v[6:7], off
	s_mov_b64 s[0:1], 0
.LBB449_1959:
	s_andn2_b64 vcc, exec, s[0:1]
	s_cbranch_vccnz .LBB449_1961
; %bb.1960:
	v_xor_b32_e32 v6, v4, v5
	v_ffbh_i32_e32 v1, v5
	v_ashrrev_i32_e32 v6, 31, v6
	v_add_u32_e32 v1, -1, v1
	v_add_u32_e32 v6, 32, v6
	v_min_u32_e32 v1, v1, v6
	v_lshlrev_b64 v[6:7], v1, v[4:5]
	v_min_u32_e32 v6, 1, v6
	v_or_b32_e32 v6, v7, v6
	v_cvt_f32_i32_e32 v6, v6
	v_sub_u32_e32 v1, 32, v1
	v_ldexp_f32 v1, v6, v1
	global_store_dword v[2:3], v1, off
.LBB449_1961:
	s_mov_b64 s[0:1], 0
.LBB449_1962:
	s_andn2_b64 vcc, exec, s[0:1]
	s_cbranch_vccnz .LBB449_1964
; %bb.1963:
	v_xor_b32_e32 v6, v4, v5
	v_ffbh_i32_e32 v1, v5
	v_ashrrev_i32_e32 v6, 31, v6
	v_add_u32_e32 v1, -1, v1
	v_add_u32_e32 v6, 32, v6
	v_min_u32_e32 v1, v1, v6
	v_lshlrev_b64 v[6:7], v1, v[4:5]
	v_min_u32_e32 v6, 1, v6
	v_or_b32_e32 v6, v7, v6
	v_cvt_f32_i32_e32 v6, v6
	v_sub_u32_e32 v1, 32, v1
	v_ldexp_f32 v1, v6, v1
	v_cvt_f16_f32_e32 v1, v1
	global_store_short v[2:3], v1, off
.LBB449_1964:
	s_mov_b64 s[0:1], 0
.LBB449_1965:
	s_andn2_b64 vcc, exec, s[0:1]
	s_cbranch_vccnz .LBB449_1981
; %bb.1966:
	s_cmp_lt_i32 s17, 2
	s_mov_b64 s[0:1], -1
	s_cbranch_scc1 .LBB449_1976
; %bb.1967:
	s_cmp_lt_i32 s17, 3
	s_cbranch_scc1 .LBB449_1973
; %bb.1968:
	s_cmp_gt_i32 s17, 3
	s_cbranch_scc0 .LBB449_1970
; %bb.1969:
	global_store_dwordx2 v[2:3], v[4:5], off
	s_mov_b64 s[0:1], 0
.LBB449_1970:
	s_andn2_b64 vcc, exec, s[0:1]
	s_cbranch_vccnz .LBB449_1972
; %bb.1971:
	global_store_dword v[2:3], v4, off
.LBB449_1972:
	s_mov_b64 s[0:1], 0
.LBB449_1973:
	s_andn2_b64 vcc, exec, s[0:1]
	s_cbranch_vccnz .LBB449_1975
; %bb.1974:
	global_store_short v[2:3], v4, off
.LBB449_1975:
	s_mov_b64 s[0:1], 0
.LBB449_1976:
	s_andn2_b64 vcc, exec, s[0:1]
	s_cbranch_vccnz .LBB449_1981
; %bb.1977:
	s_cmp_gt_i32 s17, 0
	s_mov_b64 s[0:1], -1
	s_cbranch_scc0 .LBB449_1979
; %bb.1978:
	global_store_byte v[2:3], v4, off
	s_mov_b64 s[0:1], 0
.LBB449_1979:
	s_andn2_b64 vcc, exec, s[0:1]
	s_cbranch_vccnz .LBB449_1981
; %bb.1980:
	global_store_byte v[2:3], v4, off
.LBB449_1981:
	s_mov_b64 s[10:11], -1
.LBB449_1982:
	s_andn2_b64 vcc, exec, s[10:11]
	s_cbranch_vccnz .LBB449_2059
; %bb.1983:
	v_mov_b32_e32 v1, s7
	v_cmp_gt_i64_e32 vcc, s[6:7], v[14:15]
	s_cmp_lt_i32 s17, 11
	s_nop 0
	v_cndmask_b32_e32 v3, v1, v15, vcc
	v_mov_b32_e32 v1, s6
	v_cndmask_b32_e32 v2, v1, v14, vcc
	v_mov_b32_e32 v1, 0
	v_lshl_add_u64 v[0:1], s[4:5], 0, v[0:1]
	s_cbranch_scc1 .LBB449_2104
; %bb.1984:
	s_mov_b64 s[6:7], -1
	s_mov_b64 s[4:5], 0
	s_cmp_gt_i32 s17, 25
	s_mov_b64 s[0:1], 0
	s_cbranch_scc0 .LBB449_2017
; %bb.1985:
	s_cmp_gt_i32 s17, 28
	s_cbranch_scc0 .LBB449_2001
; %bb.1986:
	s_cmp_gt_i32 s17, 43
	;; [unrolled: 3-line block ×3, first 2 shown]
	s_cbranch_scc0 .LBB449_1991
; %bb.1988:
	s_cmp_eq_u32 s17, 46
	s_mov_b64 s[0:1], -1
	s_cbranch_scc0 .LBB449_1990
; %bb.1989:
	v_xor_b32_e32 v5, v2, v3
	v_ffbh_i32_e32 v4, v3
	v_ashrrev_i32_e32 v5, 31, v5
	v_add_u32_e32 v4, -1, v4
	v_add_u32_e32 v5, 32, v5
	v_min_u32_e32 v6, v4, v5
	v_lshlrev_b64 v[4:5], v6, v[2:3]
	v_min_u32_e32 v4, 1, v4
	v_or_b32_e32 v4, v5, v4
	v_cvt_f32_i32_e32 v4, v4
	v_sub_u32_e32 v5, 32, v6
	s_movk_i32 s0, 0x7fff
	v_ldexp_f32 v4, v4, v5
	v_bfe_u32 v5, v4, 16, 1
	v_add3_u32 v4, v4, v5, s0
	v_lshrrev_b32_e32 v4, 16, v4
	global_store_dword v[0:1], v4, off
	s_mov_b64 s[0:1], 0
.LBB449_1990:
	s_mov_b64 s[6:7], 0
.LBB449_1991:
	s_and_b64 vcc, exec, s[6:7]
	s_cbranch_vccz .LBB449_1996
; %bb.1992:
	s_cmp_eq_u32 s17, 44
	s_mov_b64 s[0:1], -1
	s_cbranch_scc0 .LBB449_1996
; %bb.1993:
	v_xor_b32_e32 v5, v2, v3
	v_ffbh_i32_e32 v4, v3
	v_ashrrev_i32_e32 v5, 31, v5
	v_add_u32_e32 v4, -1, v4
	v_add_u32_e32 v5, 32, v5
	v_min_u32_e32 v6, v4, v5
	v_lshlrev_b64 v[4:5], v6, v[2:3]
	v_min_u32_e32 v4, 1, v4
	v_or_b32_e32 v4, v5, v4
	v_cvt_f32_i32_e32 v4, v4
	v_sub_u32_e32 v5, 32, v6
	s_movk_i32 s0, 0xff
	v_mov_b32_e32 v6, 0xff
	v_ldexp_f32 v4, v4, v5
	v_bfe_u32 v5, v4, 23, 8
	v_cmp_ne_u32_e32 vcc, s0, v5
	s_and_saveexec_b64 s[6:7], vcc
; %bb.1994:
	s_mov_b32 s0, 0x3fffff
	v_lshrrev_b32_e32 v6, 23, v4
	v_and_b32_e32 v7, 0x400000, v4
	v_and_or_b32 v4, v4, s0, v5
	v_cmp_ne_u32_e32 vcc, 0, v7
	v_cmp_ne_u32_e64 s[0:1], 0, v4
	s_and_b64 s[0:1], vcc, s[0:1]
	s_nop 0
	v_cndmask_b32_e64 v4, 0, 1, s[0:1]
	v_add_u32_e32 v6, v6, v4
; %bb.1995:
	s_or_b64 exec, exec, s[6:7]
	s_mov_b64 s[0:1], 0
	global_store_byte v[0:1], v6, off
.LBB449_1996:
	s_mov_b64 s[6:7], 0
.LBB449_1997:
	s_and_b64 vcc, exec, s[6:7]
	s_cbranch_vccz .LBB449_2000
; %bb.1998:
	s_cmp_eq_u32 s17, 29
	s_mov_b64 s[0:1], -1
	s_cbranch_scc0 .LBB449_2000
; %bb.1999:
	global_store_dwordx2 v[0:1], v[2:3], off
	s_mov_b64 s[0:1], 0
.LBB449_2000:
	s_mov_b64 s[6:7], 0
.LBB449_2001:
	s_and_b64 vcc, exec, s[6:7]
	s_cbranch_vccz .LBB449_2016
; %bb.2002:
	s_cmp_lt_i32 s17, 27
	s_mov_b64 s[6:7], -1
	s_cbranch_scc1 .LBB449_2008
; %bb.2003:
	s_cmp_gt_i32 s17, 27
	s_cbranch_scc0 .LBB449_2005
; %bb.2004:
	global_store_dword v[0:1], v2, off
	s_mov_b64 s[6:7], 0
.LBB449_2005:
	s_andn2_b64 vcc, exec, s[6:7]
	s_cbranch_vccnz .LBB449_2007
; %bb.2006:
	global_store_short v[0:1], v2, off
.LBB449_2007:
	s_mov_b64 s[6:7], 0
.LBB449_2008:
	s_andn2_b64 vcc, exec, s[6:7]
	s_cbranch_vccnz .LBB449_2016
; %bb.2009:
	v_xor_b32_e32 v5, v2, v3
	v_ffbh_i32_e32 v4, v3
	v_ashrrev_i32_e32 v5, 31, v5
	v_add_u32_e32 v4, -1, v4
	v_add_u32_e32 v5, 32, v5
	v_min_u32_e32 v6, v4, v5
	v_lshlrev_b64 v[4:5], v6, v[2:3]
	v_min_u32_e32 v4, 1, v4
	v_or_b32_e32 v4, v5, v4
	v_cvt_f32_i32_e32 v4, v4
	v_sub_u32_e32 v5, 32, v6
	s_mov_b32 s6, 0x43800000
	v_mov_b32_e32 v6, 0x80
	v_ldexp_f32 v4, v4, v5
	v_and_b32_e32 v5, 0x7fffffff, v4
	v_cmp_gt_u32_e32 vcc, s6, v5
	s_and_saveexec_b64 s[6:7], vcc
	s_cbranch_execz .LBB449_2015
; %bb.2010:
	s_mov_b32 s8, 0x3bffffff
	v_cmp_lt_u32_e32 vcc, s8, v5
	s_mov_b64 s[8:9], 0
                                        ; implicit-def: $vgpr5
	s_and_saveexec_b64 s[10:11], vcc
	s_xor_b64 s[10:11], exec, s[10:11]
	s_cbranch_execz .LBB449_2121
; %bb.2011:
	v_bfe_u32 v5, v4, 20, 1
	s_mov_b32 s12, 0x487ffff
	v_add3_u32 v5, v4, v5, s12
	s_mov_b64 s[8:9], exec
	v_lshrrev_b32_e32 v5, 20, v5
	s_andn2_saveexec_b64 s[10:11], s[10:11]
	s_cbranch_execnz .LBB449_2122
.LBB449_2012:
	s_or_b64 exec, exec, s[10:11]
	v_mov_b32_e32 v6, 0
	s_and_saveexec_b64 s[10:11], s[8:9]
.LBB449_2013:
	v_lshrrev_b32_e32 v4, 24, v4
	s_movk_i32 s8, 0x80
	v_and_or_b32 v6, v4, s8, v5
.LBB449_2014:
	s_or_b64 exec, exec, s[10:11]
.LBB449_2015:
	s_or_b64 exec, exec, s[6:7]
	global_store_byte v[0:1], v6, off
.LBB449_2016:
	s_mov_b64 s[6:7], 0
.LBB449_2017:
	s_and_b64 vcc, exec, s[6:7]
	s_cbranch_vccz .LBB449_2057
; %bb.2018:
	s_cmp_gt_i32 s17, 22
	s_mov_b64 s[4:5], -1
	s_cbranch_scc0 .LBB449_2050
; %bb.2019:
	s_cmp_lt_i32 s17, 24
	s_cbranch_scc1 .LBB449_2039
; %bb.2020:
	s_cmp_gt_i32 s17, 24
	s_cbranch_scc0 .LBB449_2028
; %bb.2021:
	v_xor_b32_e32 v5, v2, v3
	v_ffbh_i32_e32 v4, v3
	v_ashrrev_i32_e32 v5, 31, v5
	v_add_u32_e32 v4, -1, v4
	v_add_u32_e32 v5, 32, v5
	v_min_u32_e32 v6, v4, v5
	v_lshlrev_b64 v[4:5], v6, v[2:3]
	v_min_u32_e32 v4, 1, v4
	v_or_b32_e32 v4, v5, v4
	v_cvt_f32_i32_e32 v4, v4
	v_sub_u32_e32 v5, 32, v6
	s_mov_b32 s4, 0x47800000
	v_mov_b32_e32 v6, 0x80
	v_ldexp_f32 v4, v4, v5
	v_and_b32_e32 v5, 0x7fffffff, v4
	v_cmp_gt_u32_e32 vcc, s4, v5
	s_and_saveexec_b64 s[4:5], vcc
	s_cbranch_execz .LBB449_2027
; %bb.2022:
	s_mov_b32 s6, 0x37ffffff
	v_cmp_lt_u32_e32 vcc, s6, v5
	s_mov_b64 s[6:7], 0
                                        ; implicit-def: $vgpr5
	s_and_saveexec_b64 s[8:9], vcc
	s_xor_b64 s[8:9], exec, s[8:9]
	s_cbranch_execz .LBB449_2124
; %bb.2023:
	v_bfe_u32 v5, v4, 21, 1
	s_mov_b32 s10, 0x88fffff
	v_add3_u32 v5, v4, v5, s10
	s_mov_b64 s[6:7], exec
	v_lshrrev_b32_e32 v5, 21, v5
	s_andn2_saveexec_b64 s[8:9], s[8:9]
	s_cbranch_execnz .LBB449_2125
.LBB449_2024:
	s_or_b64 exec, exec, s[8:9]
	v_mov_b32_e32 v6, 0
	s_and_saveexec_b64 s[8:9], s[6:7]
.LBB449_2025:
	v_lshrrev_b32_e32 v4, 24, v4
	s_movk_i32 s6, 0x80
	v_and_or_b32 v6, v4, s6, v5
.LBB449_2026:
	s_or_b64 exec, exec, s[8:9]
.LBB449_2027:
	s_or_b64 exec, exec, s[4:5]
	s_mov_b64 s[4:5], 0
	global_store_byte v[0:1], v6, off
.LBB449_2028:
	s_and_b64 vcc, exec, s[4:5]
	s_cbranch_vccz .LBB449_2038
; %bb.2029:
	v_xor_b32_e32 v5, v2, v3
	v_ffbh_i32_e32 v4, v3
	v_ashrrev_i32_e32 v5, 31, v5
	v_add_u32_e32 v4, -1, v4
	v_add_u32_e32 v5, 32, v5
	v_min_u32_e32 v6, v4, v5
	v_lshlrev_b64 v[4:5], v6, v[2:3]
	v_min_u32_e32 v4, 1, v4
	v_or_b32_e32 v4, v5, v4
	v_cvt_f32_i32_e32 v4, v4
	v_sub_u32_e32 v5, 32, v6
	s_mov_b32 s4, 0x43f00000
	v_ldexp_f32 v4, v4, v5
	v_and_b32_e32 v6, 0x7fffffff, v4
	v_cmp_gt_u32_e32 vcc, s4, v6
                                        ; implicit-def: $vgpr5
	s_and_saveexec_b64 s[4:5], vcc
	s_xor_b64 s[4:5], exec, s[4:5]
	s_cbranch_execz .LBB449_2035
; %bb.2030:
	s_mov_b32 s6, 0x3c7fffff
	v_cmp_lt_u32_e32 vcc, s6, v6
                                        ; implicit-def: $vgpr5
	s_and_saveexec_b64 s[6:7], vcc
	s_xor_b64 s[6:7], exec, s[6:7]
; %bb.2031:
	v_bfe_u32 v5, v4, 20, 1
	s_mov_b32 s8, 0x407ffff
	v_add3_u32 v5, v4, v5, s8
	v_lshrrev_b32_e32 v6, 20, v5
	v_and_b32_e32 v5, 0xff00000, v5
	s_mov_b32 s8, 0x7f00000
	v_mov_b32_e32 v7, 0x7e
	v_cmp_ne_u32_e32 vcc, s8, v5
	s_nop 1
	v_cndmask_b32_e32 v5, v7, v6, vcc
; %bb.2032:
	s_andn2_saveexec_b64 s[6:7], s[6:7]
; %bb.2033:
	s_mov_b32 s8, 0x46800000
	v_add_f32_e64 v5, |v4|, s8
; %bb.2034:
	s_or_b64 exec, exec, s[6:7]
                                        ; implicit-def: $vgpr6
.LBB449_2035:
	s_andn2_saveexec_b64 s[4:5], s[4:5]
; %bb.2036:
	s_mov_b32 s6, 0x7f800000
	v_mov_b32_e32 v5, 0x7e
	v_mov_b32_e32 v7, 0x7f
	v_cmp_lt_u32_e32 vcc, s6, v6
	s_nop 1
	v_cndmask_b32_e32 v5, v5, v7, vcc
; %bb.2037:
	s_or_b64 exec, exec, s[4:5]
	v_lshrrev_b32_e32 v4, 24, v4
	s_movk_i32 s4, 0x80
	v_and_or_b32 v4, v4, s4, v5
	global_store_byte v[0:1], v4, off
.LBB449_2038:
	s_mov_b64 s[4:5], 0
.LBB449_2039:
	s_andn2_b64 vcc, exec, s[4:5]
	s_cbranch_vccnz .LBB449_2049
; %bb.2040:
	v_xor_b32_e32 v5, v2, v3
	v_ffbh_i32_e32 v4, v3
	v_ashrrev_i32_e32 v5, 31, v5
	v_add_u32_e32 v4, -1, v4
	v_add_u32_e32 v5, 32, v5
	v_min_u32_e32 v6, v4, v5
	v_lshlrev_b64 v[4:5], v6, v[2:3]
	v_min_u32_e32 v4, 1, v4
	v_or_b32_e32 v4, v5, v4
	v_cvt_f32_i32_e32 v4, v4
	v_sub_u32_e32 v5, 32, v6
	s_mov_b32 s4, 0x47800000
	v_ldexp_f32 v4, v4, v5
	v_and_b32_e32 v6, 0x7fffffff, v4
	v_cmp_gt_u32_e32 vcc, s4, v6
                                        ; implicit-def: $vgpr5
	s_and_saveexec_b64 s[4:5], vcc
	s_xor_b64 s[4:5], exec, s[4:5]
	s_cbranch_execz .LBB449_2046
; %bb.2041:
	s_mov_b32 s6, 0x387fffff
	v_cmp_lt_u32_e32 vcc, s6, v6
                                        ; implicit-def: $vgpr5
	s_and_saveexec_b64 s[6:7], vcc
	s_xor_b64 s[6:7], exec, s[6:7]
; %bb.2042:
	v_bfe_u32 v5, v4, 21, 1
	s_mov_b32 s8, 0x80fffff
	v_add3_u32 v5, v4, v5, s8
	v_lshrrev_b32_e32 v5, 21, v5
; %bb.2043:
	s_andn2_saveexec_b64 s[6:7], s[6:7]
; %bb.2044:
	s_mov_b32 s8, 0x43000000
	v_add_f32_e64 v5, |v4|, s8
; %bb.2045:
	s_or_b64 exec, exec, s[6:7]
                                        ; implicit-def: $vgpr6
.LBB449_2046:
	s_andn2_saveexec_b64 s[4:5], s[4:5]
; %bb.2047:
	s_mov_b32 s6, 0x7f800000
	v_mov_b32_e32 v5, 0x7c
	v_mov_b32_e32 v7, 0x7f
	v_cmp_lt_u32_e32 vcc, s6, v6
	s_nop 1
	v_cndmask_b32_e32 v5, v5, v7, vcc
; %bb.2048:
	s_or_b64 exec, exec, s[4:5]
	v_lshrrev_b32_e32 v4, 24, v4
	s_movk_i32 s4, 0x80
	v_and_or_b32 v4, v4, s4, v5
	global_store_byte v[0:1], v4, off
.LBB449_2049:
	s_mov_b64 s[4:5], 0
.LBB449_2050:
	s_andn2_b64 vcc, exec, s[4:5]
	s_mov_b64 s[4:5], 0
	s_cbranch_vccnz .LBB449_2057
; %bb.2051:
	s_cmp_gt_i32 s17, 14
	s_mov_b64 s[6:7], -1
	s_cbranch_scc0 .LBB449_2055
; %bb.2052:
	s_cmp_eq_u32 s17, 15
	s_mov_b64 s[0:1], -1
	s_cbranch_scc0 .LBB449_2054
; %bb.2053:
	v_xor_b32_e32 v5, v2, v3
	v_ffbh_i32_e32 v4, v3
	v_ashrrev_i32_e32 v5, 31, v5
	v_add_u32_e32 v4, -1, v4
	v_add_u32_e32 v5, 32, v5
	v_min_u32_e32 v6, v4, v5
	v_lshlrev_b64 v[4:5], v6, v[2:3]
	v_min_u32_e32 v4, 1, v4
	v_or_b32_e32 v4, v5, v4
	v_cvt_f32_i32_e32 v4, v4
	v_sub_u32_e32 v5, 32, v6
	s_movk_i32 s0, 0x7fff
	v_ldexp_f32 v4, v4, v5
	v_bfe_u32 v5, v4, 16, 1
	v_add3_u32 v4, v4, v5, s0
	global_store_short_d16_hi v[0:1], v4, off
	s_mov_b64 s[0:1], 0
.LBB449_2054:
	s_mov_b64 s[6:7], 0
.LBB449_2055:
	s_and_b64 vcc, exec, s[6:7]
	s_cbranch_vccz .LBB449_2057
; %bb.2056:
	s_cmp_lg_u32 s17, 11
	s_mov_b64 s[4:5], -1
	s_cselect_b64 s[0:1], -1, 0
.LBB449_2057:
	s_and_b64 vcc, exec, s[0:1]
	s_cbranch_vccnz .LBB449_2123
.LBB449_2058:
	s_mov_b64 s[0:1], 0
	s_branch .LBB449_2060
.LBB449_2059:
	s_mov_b64 s[0:1], 0
	s_mov_b64 s[4:5], 0
                                        ; implicit-def: $vgpr0_vgpr1
                                        ; implicit-def: $sgpr16
                                        ; implicit-def: $vgpr2_vgpr3
.LBB449_2060:
	s_and_b64 s[6:7], s[0:1], exec
	s_andn2_b64 s[0:1], s[24:25], exec
	s_and_b64 s[2:3], s[2:3], exec
	s_and_b64 s[40:41], s[4:5], exec
	s_or_b64 s[24:25], s[0:1], s[2:3]
.LBB449_2061:
	s_or_b64 exec, exec, s[26:27]
	s_and_saveexec_b64 s[0:1], s[24:25]
	s_cbranch_execz .LBB449_2064
; %bb.2062:
	; divergent unreachable
	s_or_b64 exec, exec, s[0:1]
	s_and_saveexec_b64 s[0:1], s[40:41]
	s_xor_b64 s[0:1], exec, s[0:1]
	s_cbranch_execnz .LBB449_2065
.LBB449_2063:
	s_or_b64 exec, exec, s[0:1]
	s_and_saveexec_b64 s[0:1], s[6:7]
	s_cbranch_execnz .LBB449_2066
	s_branch .LBB449_2103
.LBB449_2064:
	s_or_b64 exec, exec, s[0:1]
	s_and_saveexec_b64 s[0:1], s[40:41]
	s_xor_b64 s[0:1], exec, s[0:1]
	s_cbranch_execz .LBB449_2063
.LBB449_2065:
	v_cmp_ne_u64_e32 vcc, 0, v[2:3]
	s_waitcnt vmcnt(0)
	s_nop 0
	v_cndmask_b32_e64 v4, 0, 1, vcc
	global_store_byte v[0:1], v4, off
	s_or_b64 exec, exec, s[0:1]
	s_and_saveexec_b64 s[0:1], s[6:7]
	s_cbranch_execz .LBB449_2103
.LBB449_2066:
	s_sext_i32_i16 s2, s16
	s_cmp_lt_i32 s2, 5
	s_mov_b64 s[0:1], -1
	s_cbranch_scc1 .LBB449_2087
; %bb.2067:
	s_cmp_lt_i32 s2, 8
	s_cbranch_scc1 .LBB449_2077
; %bb.2068:
	s_cmp_lt_i32 s2, 9
	s_cbranch_scc1 .LBB449_2074
; %bb.2069:
	s_cmp_gt_i32 s2, 9
	s_cbranch_scc0 .LBB449_2071
; %bb.2070:
	s_waitcnt vmcnt(0)
	v_cvt_f64_i32_e32 v[4:5], v3
	v_ldexp_f64 v[4:5], v[4:5], 32
	v_cvt_f64_u32_e32 v[6:7], v2
	v_add_f64 v[4:5], v[4:5], v[6:7]
	v_mov_b32_e32 v6, 0
	v_mov_b32_e32 v7, v6
	global_store_dwordx4 v[0:1], v[4:7], off
	s_mov_b64 s[0:1], 0
.LBB449_2071:
	s_andn2_b64 vcc, exec, s[0:1]
	s_cbranch_vccnz .LBB449_2073
; %bb.2072:
	s_waitcnt vmcnt(0)
	v_xor_b32_e32 v5, v2, v3
	v_ffbh_i32_e32 v4, v3
	v_ashrrev_i32_e32 v5, 31, v5
	v_add_u32_e32 v4, -1, v4
	v_add_u32_e32 v5, 32, v5
	v_min_u32_e32 v6, v4, v5
	v_lshlrev_b64 v[4:5], v6, v[2:3]
	v_min_u32_e32 v4, 1, v4
	v_or_b32_e32 v4, v5, v4
	v_cvt_f32_i32_e32 v4, v4
	v_sub_u32_e32 v5, 32, v6
	v_ldexp_f32 v4, v4, v5
	v_mov_b32_e32 v5, 0
	global_store_dwordx2 v[0:1], v[4:5], off
.LBB449_2073:
	s_mov_b64 s[0:1], 0
.LBB449_2074:
	s_andn2_b64 vcc, exec, s[0:1]
	s_cbranch_vccnz .LBB449_2076
; %bb.2075:
	s_waitcnt vmcnt(0)
	v_xor_b32_e32 v5, v2, v3
	v_ffbh_i32_e32 v4, v3
	v_ashrrev_i32_e32 v5, 31, v5
	v_add_u32_e32 v4, -1, v4
	v_add_u32_e32 v5, 32, v5
	v_min_u32_e32 v6, v4, v5
	v_lshlrev_b64 v[4:5], v6, v[2:3]
	v_min_u32_e32 v4, 1, v4
	v_or_b32_e32 v4, v5, v4
	v_cvt_f32_i32_e32 v4, v4
	v_sub_u32_e32 v5, 32, v6
	v_ldexp_f32 v4, v4, v5
	v_cvt_f16_f32_e32 v4, v4
	global_store_dword v[0:1], v4, off
.LBB449_2076:
	s_mov_b64 s[0:1], 0
.LBB449_2077:
	s_andn2_b64 vcc, exec, s[0:1]
	s_cbranch_vccnz .LBB449_2086
; %bb.2078:
	s_sext_i32_i16 s2, s16
	s_cmp_lt_i32 s2, 6
	s_mov_b64 s[0:1], -1
	s_cbranch_scc1 .LBB449_2084
; %bb.2079:
	s_cmp_gt_i32 s2, 6
	s_cbranch_scc0 .LBB449_2081
; %bb.2080:
	s_waitcnt vmcnt(0)
	v_cvt_f64_i32_e32 v[4:5], v3
	v_ldexp_f64 v[4:5], v[4:5], 32
	v_cvt_f64_u32_e32 v[6:7], v2
	v_add_f64 v[4:5], v[4:5], v[6:7]
	global_store_dwordx2 v[0:1], v[4:5], off
	s_mov_b64 s[0:1], 0
.LBB449_2081:
	s_andn2_b64 vcc, exec, s[0:1]
	s_cbranch_vccnz .LBB449_2083
; %bb.2082:
	s_waitcnt vmcnt(0)
	v_xor_b32_e32 v5, v2, v3
	v_ffbh_i32_e32 v4, v3
	v_ashrrev_i32_e32 v5, 31, v5
	v_add_u32_e32 v4, -1, v4
	v_add_u32_e32 v5, 32, v5
	v_min_u32_e32 v6, v4, v5
	v_lshlrev_b64 v[4:5], v6, v[2:3]
	v_min_u32_e32 v4, 1, v4
	v_or_b32_e32 v4, v5, v4
	v_cvt_f32_i32_e32 v4, v4
	v_sub_u32_e32 v5, 32, v6
	v_ldexp_f32 v4, v4, v5
	global_store_dword v[0:1], v4, off
.LBB449_2083:
	s_mov_b64 s[0:1], 0
.LBB449_2084:
	s_andn2_b64 vcc, exec, s[0:1]
	s_cbranch_vccnz .LBB449_2086
; %bb.2085:
	s_waitcnt vmcnt(0)
	v_xor_b32_e32 v5, v2, v3
	v_ffbh_i32_e32 v4, v3
	v_ashrrev_i32_e32 v5, 31, v5
	v_add_u32_e32 v4, -1, v4
	v_add_u32_e32 v5, 32, v5
	v_min_u32_e32 v6, v4, v5
	v_lshlrev_b64 v[4:5], v6, v[2:3]
	v_min_u32_e32 v4, 1, v4
	v_or_b32_e32 v4, v5, v4
	v_cvt_f32_i32_e32 v4, v4
	v_sub_u32_e32 v5, 32, v6
	v_ldexp_f32 v4, v4, v5
	v_cvt_f16_f32_e32 v4, v4
	global_store_short v[0:1], v4, off
.LBB449_2086:
	s_mov_b64 s[0:1], 0
.LBB449_2087:
	s_andn2_b64 vcc, exec, s[0:1]
	s_cbranch_vccnz .LBB449_2103
; %bb.2088:
	s_sext_i32_i16 s2, s16
	s_cmp_lt_i32 s2, 2
	s_mov_b64 s[0:1], -1
	s_cbranch_scc1 .LBB449_2098
; %bb.2089:
	s_cmp_lt_i32 s2, 3
	s_cbranch_scc1 .LBB449_2095
; %bb.2090:
	s_cmp_gt_i32 s2, 3
	s_cbranch_scc0 .LBB449_2092
; %bb.2091:
	global_store_dwordx2 v[0:1], v[2:3], off
	s_mov_b64 s[0:1], 0
.LBB449_2092:
	s_andn2_b64 vcc, exec, s[0:1]
	s_cbranch_vccnz .LBB449_2094
; %bb.2093:
	global_store_dword v[0:1], v2, off
.LBB449_2094:
	s_mov_b64 s[0:1], 0
.LBB449_2095:
	s_andn2_b64 vcc, exec, s[0:1]
	s_cbranch_vccnz .LBB449_2097
; %bb.2096:
	global_store_short v[0:1], v2, off
.LBB449_2097:
	s_mov_b64 s[0:1], 0
.LBB449_2098:
	s_andn2_b64 vcc, exec, s[0:1]
	s_cbranch_vccnz .LBB449_2103
; %bb.2099:
	s_sext_i32_i16 s0, s16
	s_cmp_gt_i32 s0, 0
	s_mov_b64 s[0:1], -1
	s_cbranch_scc0 .LBB449_2101
; %bb.2100:
	global_store_byte v[0:1], v2, off
	s_mov_b64 s[0:1], 0
.LBB449_2101:
	s_andn2_b64 vcc, exec, s[0:1]
	s_cbranch_vccnz .LBB449_2103
; %bb.2102:
	global_store_byte v[0:1], v2, off
	s_endpgm
.LBB449_2103:
	s_endpgm
.LBB449_2104:
	s_mov_b64 s[4:5], 0
	s_mov_b64 s[0:1], -1
	s_branch .LBB449_2060
.LBB449_2105:
	s_trap 2
	s_or_b64 s[2:3], s[2:3], exec
	s_cbranch_execz .LBB449_1574
	s_branch .LBB449_1575
.LBB449_2106:
	s_andn2_saveexec_b64 s[14:15], s[14:15]
	s_cbranch_execz .LBB449_1654
.LBB449_2107:
	s_mov_b32 s18, 0x46000000
	v_add_f32_e64 v3, |v1|, s18
	v_and_b32_e32 v3, 0xff, v3
	v_cmp_ne_u32_e32 vcc, 0, v3
	s_andn2_b64 s[12:13], s[12:13], exec
	s_and_b64 s[18:19], vcc, exec
	s_or_b64 s[12:13], s[12:13], s[18:19]
	s_or_b64 exec, exec, s[14:15]
	v_mov_b32_e32 v5, 0
	s_and_saveexec_b64 s[14:15], s[12:13]
	s_cbranch_execnz .LBB449_1655
	s_branch .LBB449_1656
.LBB449_2108:
	s_trap 2
	s_or_b64 s[2:3], s[2:3], exec
	s_cbranch_execz .LBB449_1702
	s_branch .LBB449_1703
.LBB449_2109:
	s_andn2_saveexec_b64 s[12:13], s[12:13]
	s_cbranch_execz .LBB449_1667
.LBB449_2110:
	s_mov_b32 s14, 0x42800000
	v_add_f32_e64 v3, |v1|, s14
	v_and_b32_e32 v3, 0xff, v3
	v_cmp_ne_u32_e32 vcc, 0, v3
	s_andn2_b64 s[10:11], s[10:11], exec
	s_and_b64 s[14:15], vcc, exec
	s_or_b64 s[10:11], s[10:11], s[14:15]
	s_or_b64 exec, exec, s[12:13]
	v_mov_b32_e32 v5, 0
	s_and_saveexec_b64 s[12:13], s[10:11]
	s_cbranch_execnz .LBB449_1668
	s_branch .LBB449_1669
.LBB449_2111:
	s_andn2_saveexec_b64 s[14:15], s[14:15]
	s_cbranch_execz .LBB449_1773
.LBB449_2112:
	s_mov_b32 s18, 0x46000000
	v_add_f32_e64 v3, |v1|, s18
	v_and_b32_e32 v3, 0xff, v3
	v_cmp_ne_u32_e32 vcc, 0, v3
	s_andn2_b64 s[12:13], s[12:13], exec
	s_and_b64 s[18:19], vcc, exec
	s_or_b64 s[12:13], s[12:13], s[18:19]
	s_or_b64 exec, exec, s[14:15]
	v_mov_b32_e32 v8, 0
	s_and_saveexec_b64 s[14:15], s[12:13]
	s_cbranch_execnz .LBB449_1774
	s_branch .LBB449_1775
.LBB449_2113:
	s_trap 2
	s_or_b64 s[2:3], s[2:3], exec
	s_cbranch_execz .LBB449_1821
	s_branch .LBB449_1822
.LBB449_2114:
	s_andn2_saveexec_b64 s[12:13], s[12:13]
	s_cbranch_execz .LBB449_1786
.LBB449_2115:
	s_mov_b32 s14, 0x42800000
	v_add_f32_e64 v3, |v1|, s14
	v_and_b32_e32 v3, 0xff, v3
	v_cmp_ne_u32_e32 vcc, 0, v3
	s_andn2_b64 s[10:11], s[10:11], exec
	s_and_b64 s[14:15], vcc, exec
	s_or_b64 s[10:11], s[10:11], s[14:15]
	s_or_b64 exec, exec, s[12:13]
	v_mov_b32_e32 v8, 0
	s_and_saveexec_b64 s[12:13], s[10:11]
	s_cbranch_execnz .LBB449_1787
	s_branch .LBB449_1788
.LBB449_2116:
	s_andn2_saveexec_b64 s[14:15], s[14:15]
	s_cbranch_execz .LBB449_1892
.LBB449_2117:
	s_mov_b32 s18, 0x46000000
	v_add_f32_e64 v6, |v1|, s18
	v_and_b32_e32 v6, 0xff, v6
	v_cmp_ne_u32_e32 vcc, 0, v6
	s_andn2_b64 s[12:13], s[12:13], exec
	s_and_b64 s[18:19], vcc, exec
	s_or_b64 s[12:13], s[12:13], s[18:19]
	s_or_b64 exec, exec, s[14:15]
	v_mov_b32_e32 v7, 0
	s_and_saveexec_b64 s[14:15], s[12:13]
	s_cbranch_execnz .LBB449_1893
	s_branch .LBB449_1894
.LBB449_2118:
	s_trap 2
	s_or_b64 s[2:3], s[2:3], exec
	s_cbranch_execz .LBB449_1940
	s_branch .LBB449_1941
.LBB449_2119:
	s_andn2_saveexec_b64 s[12:13], s[12:13]
	s_cbranch_execz .LBB449_1905
.LBB449_2120:
	s_mov_b32 s14, 0x42800000
	v_add_f32_e64 v6, |v1|, s14
	v_and_b32_e32 v6, 0xff, v6
	v_cmp_ne_u32_e32 vcc, 0, v6
	s_andn2_b64 s[10:11], s[10:11], exec
	s_and_b64 s[14:15], vcc, exec
	s_or_b64 s[10:11], s[10:11], s[14:15]
	s_or_b64 exec, exec, s[12:13]
	v_mov_b32_e32 v7, 0
	s_and_saveexec_b64 s[12:13], s[10:11]
	s_cbranch_execnz .LBB449_1906
	s_branch .LBB449_1907
.LBB449_2121:
	s_andn2_saveexec_b64 s[10:11], s[10:11]
	s_cbranch_execz .LBB449_2012
.LBB449_2122:
	s_mov_b32 s12, 0x46000000
	v_add_f32_e64 v5, |v4|, s12
	v_and_b32_e32 v5, 0xff, v5
	v_cmp_ne_u32_e32 vcc, 0, v5
	s_andn2_b64 s[8:9], s[8:9], exec
	s_and_b64 s[12:13], vcc, exec
	s_or_b64 s[8:9], s[8:9], s[12:13]
	s_or_b64 exec, exec, s[10:11]
	v_mov_b32_e32 v6, 0
	s_and_saveexec_b64 s[10:11], s[8:9]
	s_cbranch_execnz .LBB449_2013
	s_branch .LBB449_2014
.LBB449_2123:
	s_mov_b64 s[4:5], 0
	s_or_b64 s[2:3], s[2:3], exec
	s_trap 2
	s_branch .LBB449_2058
.LBB449_2124:
	s_andn2_saveexec_b64 s[8:9], s[8:9]
	s_cbranch_execz .LBB449_2024
.LBB449_2125:
	s_mov_b32 s10, 0x42800000
	v_add_f32_e64 v5, |v4|, s10
	v_and_b32_e32 v5, 0xff, v5
	v_cmp_ne_u32_e32 vcc, 0, v5
	s_andn2_b64 s[6:7], s[6:7], exec
	s_and_b64 s[10:11], vcc, exec
	s_or_b64 s[6:7], s[6:7], s[10:11]
	s_or_b64 exec, exec, s[8:9]
	v_mov_b32_e32 v6, 0
	s_and_saveexec_b64 s[8:9], s[6:7]
	s_cbranch_execnz .LBB449_2025
	s_branch .LBB449_2026
	.section	.rodata,"a",@progbits
	.p2align	6, 0x0
	.amdhsa_kernel _ZN2at6native32elementwise_kernel_manual_unrollILi128ELi4EZNS0_15gpu_kernel_implIZZZNS0_21clamp_max_kernel_cudaERNS_18TensorIteratorBaseERKN3c106ScalarEENKUlvE_clEvENKUlvE2_clEvEUllE_EEvS4_RKT_EUlibE0_EEviT1_
		.amdhsa_group_segment_fixed_size 0
		.amdhsa_private_segment_fixed_size 0
		.amdhsa_kernarg_size 368
		.amdhsa_user_sgpr_count 2
		.amdhsa_user_sgpr_dispatch_ptr 0
		.amdhsa_user_sgpr_queue_ptr 0
		.amdhsa_user_sgpr_kernarg_segment_ptr 1
		.amdhsa_user_sgpr_dispatch_id 0
		.amdhsa_user_sgpr_kernarg_preload_length 0
		.amdhsa_user_sgpr_kernarg_preload_offset 0
		.amdhsa_user_sgpr_private_segment_size 0
		.amdhsa_uses_dynamic_stack 0
		.amdhsa_enable_private_segment 0
		.amdhsa_system_sgpr_workgroup_id_x 1
		.amdhsa_system_sgpr_workgroup_id_y 0
		.amdhsa_system_sgpr_workgroup_id_z 0
		.amdhsa_system_sgpr_workgroup_info 0
		.amdhsa_system_vgpr_workitem_id 0
		.amdhsa_next_free_vgpr 22
		.amdhsa_next_free_sgpr 80
		.amdhsa_accum_offset 24
		.amdhsa_reserve_vcc 1
		.amdhsa_float_round_mode_32 0
		.amdhsa_float_round_mode_16_64 0
		.amdhsa_float_denorm_mode_32 3
		.amdhsa_float_denorm_mode_16_64 3
		.amdhsa_dx10_clamp 1
		.amdhsa_ieee_mode 1
		.amdhsa_fp16_overflow 0
		.amdhsa_tg_split 0
		.amdhsa_exception_fp_ieee_invalid_op 0
		.amdhsa_exception_fp_denorm_src 0
		.amdhsa_exception_fp_ieee_div_zero 0
		.amdhsa_exception_fp_ieee_overflow 0
		.amdhsa_exception_fp_ieee_underflow 0
		.amdhsa_exception_fp_ieee_inexact 0
		.amdhsa_exception_int_div_zero 0
	.end_amdhsa_kernel
	.section	.text._ZN2at6native32elementwise_kernel_manual_unrollILi128ELi4EZNS0_15gpu_kernel_implIZZZNS0_21clamp_max_kernel_cudaERNS_18TensorIteratorBaseERKN3c106ScalarEENKUlvE_clEvENKUlvE2_clEvEUllE_EEvS4_RKT_EUlibE0_EEviT1_,"axG",@progbits,_ZN2at6native32elementwise_kernel_manual_unrollILi128ELi4EZNS0_15gpu_kernel_implIZZZNS0_21clamp_max_kernel_cudaERNS_18TensorIteratorBaseERKN3c106ScalarEENKUlvE_clEvENKUlvE2_clEvEUllE_EEvS4_RKT_EUlibE0_EEviT1_,comdat
.Lfunc_end449:
	.size	_ZN2at6native32elementwise_kernel_manual_unrollILi128ELi4EZNS0_15gpu_kernel_implIZZZNS0_21clamp_max_kernel_cudaERNS_18TensorIteratorBaseERKN3c106ScalarEENKUlvE_clEvENKUlvE2_clEvEUllE_EEvS4_RKT_EUlibE0_EEviT1_, .Lfunc_end449-_ZN2at6native32elementwise_kernel_manual_unrollILi128ELi4EZNS0_15gpu_kernel_implIZZZNS0_21clamp_max_kernel_cudaERNS_18TensorIteratorBaseERKN3c106ScalarEENKUlvE_clEvENKUlvE2_clEvEUllE_EEvS4_RKT_EUlibE0_EEviT1_
                                        ; -- End function
	.set _ZN2at6native32elementwise_kernel_manual_unrollILi128ELi4EZNS0_15gpu_kernel_implIZZZNS0_21clamp_max_kernel_cudaERNS_18TensorIteratorBaseERKN3c106ScalarEENKUlvE_clEvENKUlvE2_clEvEUllE_EEvS4_RKT_EUlibE0_EEviT1_.num_vgpr, 22
	.set _ZN2at6native32elementwise_kernel_manual_unrollILi128ELi4EZNS0_15gpu_kernel_implIZZZNS0_21clamp_max_kernel_cudaERNS_18TensorIteratorBaseERKN3c106ScalarEENKUlvE_clEvENKUlvE2_clEvEUllE_EEvS4_RKT_EUlibE0_EEviT1_.num_agpr, 0
	.set _ZN2at6native32elementwise_kernel_manual_unrollILi128ELi4EZNS0_15gpu_kernel_implIZZZNS0_21clamp_max_kernel_cudaERNS_18TensorIteratorBaseERKN3c106ScalarEENKUlvE_clEvENKUlvE2_clEvEUllE_EEvS4_RKT_EUlibE0_EEviT1_.numbered_sgpr, 80
	.set _ZN2at6native32elementwise_kernel_manual_unrollILi128ELi4EZNS0_15gpu_kernel_implIZZZNS0_21clamp_max_kernel_cudaERNS_18TensorIteratorBaseERKN3c106ScalarEENKUlvE_clEvENKUlvE2_clEvEUllE_EEvS4_RKT_EUlibE0_EEviT1_.num_named_barrier, 0
	.set _ZN2at6native32elementwise_kernel_manual_unrollILi128ELi4EZNS0_15gpu_kernel_implIZZZNS0_21clamp_max_kernel_cudaERNS_18TensorIteratorBaseERKN3c106ScalarEENKUlvE_clEvENKUlvE2_clEvEUllE_EEvS4_RKT_EUlibE0_EEviT1_.private_seg_size, 0
	.set _ZN2at6native32elementwise_kernel_manual_unrollILi128ELi4EZNS0_15gpu_kernel_implIZZZNS0_21clamp_max_kernel_cudaERNS_18TensorIteratorBaseERKN3c106ScalarEENKUlvE_clEvENKUlvE2_clEvEUllE_EEvS4_RKT_EUlibE0_EEviT1_.uses_vcc, 1
	.set _ZN2at6native32elementwise_kernel_manual_unrollILi128ELi4EZNS0_15gpu_kernel_implIZZZNS0_21clamp_max_kernel_cudaERNS_18TensorIteratorBaseERKN3c106ScalarEENKUlvE_clEvENKUlvE2_clEvEUllE_EEvS4_RKT_EUlibE0_EEviT1_.uses_flat_scratch, 0
	.set _ZN2at6native32elementwise_kernel_manual_unrollILi128ELi4EZNS0_15gpu_kernel_implIZZZNS0_21clamp_max_kernel_cudaERNS_18TensorIteratorBaseERKN3c106ScalarEENKUlvE_clEvENKUlvE2_clEvEUllE_EEvS4_RKT_EUlibE0_EEviT1_.has_dyn_sized_stack, 0
	.set _ZN2at6native32elementwise_kernel_manual_unrollILi128ELi4EZNS0_15gpu_kernel_implIZZZNS0_21clamp_max_kernel_cudaERNS_18TensorIteratorBaseERKN3c106ScalarEENKUlvE_clEvENKUlvE2_clEvEUllE_EEvS4_RKT_EUlibE0_EEviT1_.has_recursion, 0
	.set _ZN2at6native32elementwise_kernel_manual_unrollILi128ELi4EZNS0_15gpu_kernel_implIZZZNS0_21clamp_max_kernel_cudaERNS_18TensorIteratorBaseERKN3c106ScalarEENKUlvE_clEvENKUlvE2_clEvEUllE_EEvS4_RKT_EUlibE0_EEviT1_.has_indirect_call, 0
	.section	.AMDGPU.csdata,"",@progbits
; Kernel info:
; codeLenInByte = 46296
; TotalNumSgprs: 86
; NumVgprs: 22
; NumAgprs: 0
; TotalNumVgprs: 22
; ScratchSize: 0
; MemoryBound: 1
; FloatMode: 240
; IeeeMode: 1
; LDSByteSize: 0 bytes/workgroup (compile time only)
; SGPRBlocks: 10
; VGPRBlocks: 2
; NumSGPRsForWavesPerEU: 86
; NumVGPRsForWavesPerEU: 22
; AccumOffset: 24
; Occupancy: 8
; WaveLimiterHint : 1
; COMPUTE_PGM_RSRC2:SCRATCH_EN: 0
; COMPUTE_PGM_RSRC2:USER_SGPR: 2
; COMPUTE_PGM_RSRC2:TRAP_HANDLER: 0
; COMPUTE_PGM_RSRC2:TGID_X_EN: 1
; COMPUTE_PGM_RSRC2:TGID_Y_EN: 0
; COMPUTE_PGM_RSRC2:TGID_Z_EN: 0
; COMPUTE_PGM_RSRC2:TIDIG_COMP_CNT: 0
; COMPUTE_PGM_RSRC3_GFX90A:ACCUM_OFFSET: 5
; COMPUTE_PGM_RSRC3_GFX90A:TG_SPLIT: 0
	.section	.text._ZN2at6native29vectorized_elementwise_kernelILi16EZZZNS0_21clamp_max_kernel_cudaERNS_18TensorIteratorBaseERKN3c106ScalarEENKUlvE_clEvENKUlvE3_clEvEUlsE_St5arrayIPcLm2EEEEviT0_T1_,"axG",@progbits,_ZN2at6native29vectorized_elementwise_kernelILi16EZZZNS0_21clamp_max_kernel_cudaERNS_18TensorIteratorBaseERKN3c106ScalarEENKUlvE_clEvENKUlvE3_clEvEUlsE_St5arrayIPcLm2EEEEviT0_T1_,comdat
	.globl	_ZN2at6native29vectorized_elementwise_kernelILi16EZZZNS0_21clamp_max_kernel_cudaERNS_18TensorIteratorBaseERKN3c106ScalarEENKUlvE_clEvENKUlvE3_clEvEUlsE_St5arrayIPcLm2EEEEviT0_T1_ ; -- Begin function _ZN2at6native29vectorized_elementwise_kernelILi16EZZZNS0_21clamp_max_kernel_cudaERNS_18TensorIteratorBaseERKN3c106ScalarEENKUlvE_clEvENKUlvE3_clEvEUlsE_St5arrayIPcLm2EEEEviT0_T1_
	.p2align	8
	.type	_ZN2at6native29vectorized_elementwise_kernelILi16EZZZNS0_21clamp_max_kernel_cudaERNS_18TensorIteratorBaseERKN3c106ScalarEENKUlvE_clEvENKUlvE3_clEvEUlsE_St5arrayIPcLm2EEEEviT0_T1_,@function
_ZN2at6native29vectorized_elementwise_kernelILi16EZZZNS0_21clamp_max_kernel_cudaERNS_18TensorIteratorBaseERKN3c106ScalarEENKUlvE_clEvENKUlvE3_clEvEUlsE_St5arrayIPcLm2EEEEviT0_T1_: ; @_ZN2at6native29vectorized_elementwise_kernelILi16EZZZNS0_21clamp_max_kernel_cudaERNS_18TensorIteratorBaseERKN3c106ScalarEENKUlvE_clEvENKUlvE3_clEvEUlsE_St5arrayIPcLm2EEEEviT0_T1_
; %bb.0:
	s_load_dwordx2 s[8:9], s[0:1], 0x0
	s_load_dwordx4 s[4:7], s[0:1], 0x8
	s_lshl_b32 s2, s2, 11
	s_mov_b64 s[0:1], -1
	s_waitcnt lgkmcnt(0)
	s_sub_i32 s8, s8, s2
	s_cmpk_gt_i32 s8, 0x7ff
	s_cbranch_scc0 .LBB450_2
; %bb.1:
	s_ashr_i32 s3, s2, 31
	s_lshl_b64 s[0:1], s[2:3], 1
	s_add_u32 s10, s6, s0
	s_addc_u32 s11, s7, s1
	v_lshlrev_b32_e32 v1, 4, v0
	global_load_dwordx4 v[2:5], v1, s[10:11]
	s_add_u32 s0, s4, s0
	s_addc_u32 s1, s5, s1
	s_waitcnt vmcnt(0)
	v_pk_min_i16 v3, v3, s9 op_sel_hi:[1,0]
	v_pk_min_i16 v2, v2, s9 op_sel_hi:[1,0]
	;; [unrolled: 1-line block ×4, first 2 shown]
	global_store_dwordx4 v1, v[2:5], s[0:1]
	s_mov_b64 s[0:1], 0
.LBB450_2:
	s_andn2_b64 vcc, exec, s[0:1]
	s_cbranch_vccnz .LBB450_28
; %bb.3:
	v_cmp_gt_i32_e32 vcc, s8, v0
	v_mov_b32_e32 v1, 0
	v_or_b32_e32 v2, s2, v0
	v_mov_b32_e32 v3, 0
	v_mov_b32_e32 v4, v0
	s_and_saveexec_b64 s[0:1], vcc
	s_cbranch_execz .LBB450_5
; %bb.4:
	v_mov_b32_e32 v3, 0
	v_lshl_add_u64 v[4:5], v[2:3], 1, s[6:7]
	global_load_ushort v3, v[4:5], off
	v_or_b32_e32 v4, 0x100, v0
.LBB450_5:
	s_or_b64 exec, exec, s[0:1]
	v_cmp_gt_i32_e64 s[0:1], s8, v4
	s_and_saveexec_b64 s[10:11], s[0:1]
	s_cbranch_execz .LBB450_7
; %bb.6:
	v_add_u32_e32 v6, s2, v4
	v_mov_b32_e32 v7, 0
	v_lshl_add_u64 v[6:7], v[6:7], 1, s[6:7]
	global_load_ushort v1, v[6:7], off
	v_add_u32_e32 v4, 0x100, v4
.LBB450_7:
	s_or_b64 exec, exec, s[10:11]
	v_cmp_gt_i32_e64 s[0:1], s8, v4
	v_mov_b32_e32 v5, 0
	v_mov_b32_e32 v6, 0
	s_and_saveexec_b64 s[10:11], s[0:1]
	s_cbranch_execz .LBB450_9
; %bb.8:
	v_add_u32_e32 v6, s2, v4
	v_mov_b32_e32 v7, 0
	v_lshl_add_u64 v[6:7], v[6:7], 1, s[6:7]
	global_load_ushort v6, v[6:7], off
	v_add_u32_e32 v4, 0x100, v4
.LBB450_9:
	s_or_b64 exec, exec, s[10:11]
	v_cmp_gt_i32_e64 s[0:1], s8, v4
	s_and_saveexec_b64 s[10:11], s[0:1]
	s_cbranch_execz .LBB450_11
; %bb.10:
	v_add_u32_e32 v8, s2, v4
	v_mov_b32_e32 v9, 0
	v_lshl_add_u64 v[8:9], v[8:9], 1, s[6:7]
	global_load_ushort v5, v[8:9], off
	v_add_u32_e32 v4, 0x100, v4
.LBB450_11:
	s_or_b64 exec, exec, s[10:11]
	v_cmp_gt_i32_e64 s[0:1], s8, v4
	v_mov_b32_e32 v7, 0
	v_mov_b32_e32 v8, 0
	s_and_saveexec_b64 s[10:11], s[0:1]
	s_cbranch_execz .LBB450_13
; %bb.12:
	v_add_u32_e32 v8, s2, v4
	v_mov_b32_e32 v9, 0
	v_lshl_add_u64 v[8:9], v[8:9], 1, s[6:7]
	global_load_ushort v8, v[8:9], off
	v_add_u32_e32 v4, 0x100, v4
.LBB450_13:
	;; [unrolled: 24-line block ×3, first 2 shown]
	s_or_b64 exec, exec, s[10:11]
	v_cmp_gt_i32_e64 s[0:1], s8, v4
	s_and_saveexec_b64 s[10:11], s[0:1]
	s_cbranch_execz .LBB450_19
; %bb.18:
	v_add_u32_e32 v12, s2, v4
	v_mov_b32_e32 v13, 0
	v_lshl_add_u64 v[12:13], v[12:13], 1, s[6:7]
	global_load_ushort v9, v[12:13], off
.LBB450_19:
	s_or_b64 exec, exec, s[10:11]
	s_waitcnt vmcnt(0)
	v_min_i16_e32 v3, s9, v3
	v_cndmask_b32_e32 v3, 0, v3, vcc
	v_or_b32_e32 v12, 0x100, v0
	v_min_i16_e32 v1, s9, v1
	s_mov_b32 s3, 0x5040100
	v_perm_b32 v1, v1, v3, s3
	v_cmp_gt_i32_e64 s[0:1], s8, v12
	v_min_i16_e32 v4, s9, v5
	s_nop 0
	v_cndmask_b32_e64 v11, v3, v1, s[0:1]
	v_or_b32_e32 v1, 0x200, v0
	v_min_i16_e32 v3, s9, v6
	v_cmp_gt_i32_e64 s[0:1], s8, v1
	v_min_i16_e32 v6, s9, v9
	s_nop 0
	v_cndmask_b32_e64 v1, 0, v3, s[0:1]
	v_or_b32_e32 v3, 0x300, v0
	v_perm_b32 v4, v4, v1, s3
	v_cmp_gt_i32_e64 s[0:1], s8, v3
	v_min_i16_e32 v3, s9, v8
	s_nop 0
	v_cndmask_b32_e64 v5, v1, v4, s[0:1]
	v_or_b32_e32 v1, 0x400, v0
	v_cmp_gt_i32_e64 s[0:1], s8, v1
	v_min_i16_e32 v4, s9, v7
	s_nop 0
	v_cndmask_b32_e64 v1, 0, v3, s[0:1]
	v_or_b32_e32 v3, 0x500, v0
	v_perm_b32 v4, v4, v1, s3
	v_cmp_gt_i32_e64 s[0:1], s8, v3
	v_min_i16_e32 v3, s9, v10
	s_nop 0
	v_cndmask_b32_e64 v4, v1, v4, s[0:1]
	v_or_b32_e32 v1, 0x600, v0
	v_cmp_gt_i32_e64 s[0:1], s8, v1
	s_nop 1
	v_cndmask_b32_e64 v1, 0, v3, s[0:1]
	v_or_b32_e32 v3, 0x700, v0
	v_perm_b32 v6, v6, v1, s3
	v_cmp_gt_i32_e64 s[0:1], s8, v3
	s_nop 1
	v_cndmask_b32_e64 v1, v1, v6, s[0:1]
	s_and_saveexec_b64 s[0:1], vcc
	s_cbranch_execnz .LBB450_29
; %bb.20:
	s_or_b64 exec, exec, s[0:1]
	v_cmp_gt_i32_e32 vcc, s8, v0
	s_and_saveexec_b64 s[0:1], vcc
	s_cbranch_execnz .LBB450_30
.LBB450_21:
	s_or_b64 exec, exec, s[0:1]
	v_cmp_gt_i32_e32 vcc, s8, v0
	s_and_saveexec_b64 s[0:1], vcc
	s_cbranch_execnz .LBB450_31
.LBB450_22:
	s_or_b64 exec, exec, s[0:1]
	v_cmp_gt_i32_e32 vcc, s8, v0
	s_and_saveexec_b64 s[0:1], vcc
	s_cbranch_execnz .LBB450_32
.LBB450_23:
	s_or_b64 exec, exec, s[0:1]
	v_cmp_gt_i32_e32 vcc, s8, v0
	s_and_saveexec_b64 s[0:1], vcc
	s_cbranch_execnz .LBB450_33
.LBB450_24:
	s_or_b64 exec, exec, s[0:1]
	v_cmp_gt_i32_e32 vcc, s8, v0
	s_and_saveexec_b64 s[0:1], vcc
	s_cbranch_execnz .LBB450_34
.LBB450_25:
	s_or_b64 exec, exec, s[0:1]
	v_cmp_gt_i32_e32 vcc, s8, v0
	s_and_saveexec_b64 s[0:1], vcc
	s_cbranch_execnz .LBB450_35
.LBB450_26:
	s_or_b64 exec, exec, s[0:1]
	v_cmp_gt_i32_e32 vcc, s8, v0
	s_and_saveexec_b64 s[0:1], vcc
	s_cbranch_execz .LBB450_28
.LBB450_27:
	v_add_u32_e32 v2, s2, v0
	v_mov_b32_e32 v3, 0
	v_lshl_add_u64 v[2:3], v[2:3], 1, s[4:5]
	global_store_short_d16_hi v[2:3], v1, off
.LBB450_28:
	s_endpgm
.LBB450_29:
	v_mov_b32_e32 v3, 0
	v_lshl_add_u64 v[2:3], v[2:3], 1, s[4:5]
	v_mov_b32_e32 v0, v12
	global_store_short v[2:3], v11, off
	s_or_b64 exec, exec, s[0:1]
	v_cmp_gt_i32_e32 vcc, s8, v0
	s_and_saveexec_b64 s[0:1], vcc
	s_cbranch_execz .LBB450_21
.LBB450_30:
	v_add_u32_e32 v2, s2, v0
	v_mov_b32_e32 v3, 0
	v_lshl_add_u64 v[2:3], v[2:3], 1, s[4:5]
	v_add_u32_e32 v0, 0x100, v0
	global_store_short_d16_hi v[2:3], v11, off
	s_or_b64 exec, exec, s[0:1]
	v_cmp_gt_i32_e32 vcc, s8, v0
	s_and_saveexec_b64 s[0:1], vcc
	s_cbranch_execz .LBB450_22
.LBB450_31:
	v_add_u32_e32 v2, s2, v0
	v_mov_b32_e32 v3, 0
	v_lshl_add_u64 v[2:3], v[2:3], 1, s[4:5]
	v_add_u32_e32 v0, 0x100, v0
	global_store_short v[2:3], v5, off
	s_or_b64 exec, exec, s[0:1]
	v_cmp_gt_i32_e32 vcc, s8, v0
	s_and_saveexec_b64 s[0:1], vcc
	s_cbranch_execz .LBB450_23
.LBB450_32:
	v_add_u32_e32 v2, s2, v0
	v_mov_b32_e32 v3, 0
	v_lshl_add_u64 v[2:3], v[2:3], 1, s[4:5]
	v_add_u32_e32 v0, 0x100, v0
	global_store_short_d16_hi v[2:3], v5, off
	s_or_b64 exec, exec, s[0:1]
	v_cmp_gt_i32_e32 vcc, s8, v0
	s_and_saveexec_b64 s[0:1], vcc
	s_cbranch_execz .LBB450_24
.LBB450_33:
	v_add_u32_e32 v2, s2, v0
	v_mov_b32_e32 v3, 0
	v_lshl_add_u64 v[2:3], v[2:3], 1, s[4:5]
	v_add_u32_e32 v0, 0x100, v0
	global_store_short v[2:3], v4, off
	s_or_b64 exec, exec, s[0:1]
	v_cmp_gt_i32_e32 vcc, s8, v0
	s_and_saveexec_b64 s[0:1], vcc
	s_cbranch_execz .LBB450_25
.LBB450_34:
	v_add_u32_e32 v2, s2, v0
	v_mov_b32_e32 v3, 0
	v_lshl_add_u64 v[2:3], v[2:3], 1, s[4:5]
	v_add_u32_e32 v0, 0x100, v0
	global_store_short_d16_hi v[2:3], v4, off
	s_or_b64 exec, exec, s[0:1]
	v_cmp_gt_i32_e32 vcc, s8, v0
	s_and_saveexec_b64 s[0:1], vcc
	s_cbranch_execz .LBB450_26
.LBB450_35:
	v_add_u32_e32 v2, s2, v0
	v_mov_b32_e32 v3, 0
	v_lshl_add_u64 v[2:3], v[2:3], 1, s[4:5]
	v_add_u32_e32 v0, 0x100, v0
	global_store_short v[2:3], v1, off
	s_or_b64 exec, exec, s[0:1]
	v_cmp_gt_i32_e32 vcc, s8, v0
	s_and_saveexec_b64 s[0:1], vcc
	s_cbranch_execnz .LBB450_27
	s_branch .LBB450_28
	.section	.rodata,"a",@progbits
	.p2align	6, 0x0
	.amdhsa_kernel _ZN2at6native29vectorized_elementwise_kernelILi16EZZZNS0_21clamp_max_kernel_cudaERNS_18TensorIteratorBaseERKN3c106ScalarEENKUlvE_clEvENKUlvE3_clEvEUlsE_St5arrayIPcLm2EEEEviT0_T1_
		.amdhsa_group_segment_fixed_size 0
		.amdhsa_private_segment_fixed_size 0
		.amdhsa_kernarg_size 24
		.amdhsa_user_sgpr_count 2
		.amdhsa_user_sgpr_dispatch_ptr 0
		.amdhsa_user_sgpr_queue_ptr 0
		.amdhsa_user_sgpr_kernarg_segment_ptr 1
		.amdhsa_user_sgpr_dispatch_id 0
		.amdhsa_user_sgpr_kernarg_preload_length 0
		.amdhsa_user_sgpr_kernarg_preload_offset 0
		.amdhsa_user_sgpr_private_segment_size 0
		.amdhsa_uses_dynamic_stack 0
		.amdhsa_enable_private_segment 0
		.amdhsa_system_sgpr_workgroup_id_x 1
		.amdhsa_system_sgpr_workgroup_id_y 0
		.amdhsa_system_sgpr_workgroup_id_z 0
		.amdhsa_system_sgpr_workgroup_info 0
		.amdhsa_system_vgpr_workitem_id 0
		.amdhsa_next_free_vgpr 14
		.amdhsa_next_free_sgpr 12
		.amdhsa_accum_offset 16
		.amdhsa_reserve_vcc 1
		.amdhsa_float_round_mode_32 0
		.amdhsa_float_round_mode_16_64 0
		.amdhsa_float_denorm_mode_32 3
		.amdhsa_float_denorm_mode_16_64 3
		.amdhsa_dx10_clamp 1
		.amdhsa_ieee_mode 1
		.amdhsa_fp16_overflow 0
		.amdhsa_tg_split 0
		.amdhsa_exception_fp_ieee_invalid_op 0
		.amdhsa_exception_fp_denorm_src 0
		.amdhsa_exception_fp_ieee_div_zero 0
		.amdhsa_exception_fp_ieee_overflow 0
		.amdhsa_exception_fp_ieee_underflow 0
		.amdhsa_exception_fp_ieee_inexact 0
		.amdhsa_exception_int_div_zero 0
	.end_amdhsa_kernel
	.section	.text._ZN2at6native29vectorized_elementwise_kernelILi16EZZZNS0_21clamp_max_kernel_cudaERNS_18TensorIteratorBaseERKN3c106ScalarEENKUlvE_clEvENKUlvE3_clEvEUlsE_St5arrayIPcLm2EEEEviT0_T1_,"axG",@progbits,_ZN2at6native29vectorized_elementwise_kernelILi16EZZZNS0_21clamp_max_kernel_cudaERNS_18TensorIteratorBaseERKN3c106ScalarEENKUlvE_clEvENKUlvE3_clEvEUlsE_St5arrayIPcLm2EEEEviT0_T1_,comdat
.Lfunc_end450:
	.size	_ZN2at6native29vectorized_elementwise_kernelILi16EZZZNS0_21clamp_max_kernel_cudaERNS_18TensorIteratorBaseERKN3c106ScalarEENKUlvE_clEvENKUlvE3_clEvEUlsE_St5arrayIPcLm2EEEEviT0_T1_, .Lfunc_end450-_ZN2at6native29vectorized_elementwise_kernelILi16EZZZNS0_21clamp_max_kernel_cudaERNS_18TensorIteratorBaseERKN3c106ScalarEENKUlvE_clEvENKUlvE3_clEvEUlsE_St5arrayIPcLm2EEEEviT0_T1_
                                        ; -- End function
	.set _ZN2at6native29vectorized_elementwise_kernelILi16EZZZNS0_21clamp_max_kernel_cudaERNS_18TensorIteratorBaseERKN3c106ScalarEENKUlvE_clEvENKUlvE3_clEvEUlsE_St5arrayIPcLm2EEEEviT0_T1_.num_vgpr, 14
	.set _ZN2at6native29vectorized_elementwise_kernelILi16EZZZNS0_21clamp_max_kernel_cudaERNS_18TensorIteratorBaseERKN3c106ScalarEENKUlvE_clEvENKUlvE3_clEvEUlsE_St5arrayIPcLm2EEEEviT0_T1_.num_agpr, 0
	.set _ZN2at6native29vectorized_elementwise_kernelILi16EZZZNS0_21clamp_max_kernel_cudaERNS_18TensorIteratorBaseERKN3c106ScalarEENKUlvE_clEvENKUlvE3_clEvEUlsE_St5arrayIPcLm2EEEEviT0_T1_.numbered_sgpr, 12
	.set _ZN2at6native29vectorized_elementwise_kernelILi16EZZZNS0_21clamp_max_kernel_cudaERNS_18TensorIteratorBaseERKN3c106ScalarEENKUlvE_clEvENKUlvE3_clEvEUlsE_St5arrayIPcLm2EEEEviT0_T1_.num_named_barrier, 0
	.set _ZN2at6native29vectorized_elementwise_kernelILi16EZZZNS0_21clamp_max_kernel_cudaERNS_18TensorIteratorBaseERKN3c106ScalarEENKUlvE_clEvENKUlvE3_clEvEUlsE_St5arrayIPcLm2EEEEviT0_T1_.private_seg_size, 0
	.set _ZN2at6native29vectorized_elementwise_kernelILi16EZZZNS0_21clamp_max_kernel_cudaERNS_18TensorIteratorBaseERKN3c106ScalarEENKUlvE_clEvENKUlvE3_clEvEUlsE_St5arrayIPcLm2EEEEviT0_T1_.uses_vcc, 1
	.set _ZN2at6native29vectorized_elementwise_kernelILi16EZZZNS0_21clamp_max_kernel_cudaERNS_18TensorIteratorBaseERKN3c106ScalarEENKUlvE_clEvENKUlvE3_clEvEUlsE_St5arrayIPcLm2EEEEviT0_T1_.uses_flat_scratch, 0
	.set _ZN2at6native29vectorized_elementwise_kernelILi16EZZZNS0_21clamp_max_kernel_cudaERNS_18TensorIteratorBaseERKN3c106ScalarEENKUlvE_clEvENKUlvE3_clEvEUlsE_St5arrayIPcLm2EEEEviT0_T1_.has_dyn_sized_stack, 0
	.set _ZN2at6native29vectorized_elementwise_kernelILi16EZZZNS0_21clamp_max_kernel_cudaERNS_18TensorIteratorBaseERKN3c106ScalarEENKUlvE_clEvENKUlvE3_clEvEUlsE_St5arrayIPcLm2EEEEviT0_T1_.has_recursion, 0
	.set _ZN2at6native29vectorized_elementwise_kernelILi16EZZZNS0_21clamp_max_kernel_cudaERNS_18TensorIteratorBaseERKN3c106ScalarEENKUlvE_clEvENKUlvE3_clEvEUlsE_St5arrayIPcLm2EEEEviT0_T1_.has_indirect_call, 0
	.section	.AMDGPU.csdata,"",@progbits
; Kernel info:
; codeLenInByte = 1328
; TotalNumSgprs: 18
; NumVgprs: 14
; NumAgprs: 0
; TotalNumVgprs: 14
; ScratchSize: 0
; MemoryBound: 0
; FloatMode: 240
; IeeeMode: 1
; LDSByteSize: 0 bytes/workgroup (compile time only)
; SGPRBlocks: 2
; VGPRBlocks: 1
; NumSGPRsForWavesPerEU: 18
; NumVGPRsForWavesPerEU: 14
; AccumOffset: 16
; Occupancy: 8
; WaveLimiterHint : 0
; COMPUTE_PGM_RSRC2:SCRATCH_EN: 0
; COMPUTE_PGM_RSRC2:USER_SGPR: 2
; COMPUTE_PGM_RSRC2:TRAP_HANDLER: 0
; COMPUTE_PGM_RSRC2:TGID_X_EN: 1
; COMPUTE_PGM_RSRC2:TGID_Y_EN: 0
; COMPUTE_PGM_RSRC2:TGID_Z_EN: 0
; COMPUTE_PGM_RSRC2:TIDIG_COMP_CNT: 0
; COMPUTE_PGM_RSRC3_GFX90A:ACCUM_OFFSET: 3
; COMPUTE_PGM_RSRC3_GFX90A:TG_SPLIT: 0
	.section	.text._ZN2at6native29vectorized_elementwise_kernelILi8EZZZNS0_21clamp_max_kernel_cudaERNS_18TensorIteratorBaseERKN3c106ScalarEENKUlvE_clEvENKUlvE3_clEvEUlsE_St5arrayIPcLm2EEEEviT0_T1_,"axG",@progbits,_ZN2at6native29vectorized_elementwise_kernelILi8EZZZNS0_21clamp_max_kernel_cudaERNS_18TensorIteratorBaseERKN3c106ScalarEENKUlvE_clEvENKUlvE3_clEvEUlsE_St5arrayIPcLm2EEEEviT0_T1_,comdat
	.globl	_ZN2at6native29vectorized_elementwise_kernelILi8EZZZNS0_21clamp_max_kernel_cudaERNS_18TensorIteratorBaseERKN3c106ScalarEENKUlvE_clEvENKUlvE3_clEvEUlsE_St5arrayIPcLm2EEEEviT0_T1_ ; -- Begin function _ZN2at6native29vectorized_elementwise_kernelILi8EZZZNS0_21clamp_max_kernel_cudaERNS_18TensorIteratorBaseERKN3c106ScalarEENKUlvE_clEvENKUlvE3_clEvEUlsE_St5arrayIPcLm2EEEEviT0_T1_
	.p2align	8
	.type	_ZN2at6native29vectorized_elementwise_kernelILi8EZZZNS0_21clamp_max_kernel_cudaERNS_18TensorIteratorBaseERKN3c106ScalarEENKUlvE_clEvENKUlvE3_clEvEUlsE_St5arrayIPcLm2EEEEviT0_T1_,@function
_ZN2at6native29vectorized_elementwise_kernelILi8EZZZNS0_21clamp_max_kernel_cudaERNS_18TensorIteratorBaseERKN3c106ScalarEENKUlvE_clEvENKUlvE3_clEvEUlsE_St5arrayIPcLm2EEEEviT0_T1_: ; @_ZN2at6native29vectorized_elementwise_kernelILi8EZZZNS0_21clamp_max_kernel_cudaERNS_18TensorIteratorBaseERKN3c106ScalarEENKUlvE_clEvENKUlvE3_clEvEUlsE_St5arrayIPcLm2EEEEviT0_T1_
; %bb.0:
	s_load_dwordx2 s[8:9], s[0:1], 0x0
	s_load_dwordx4 s[4:7], s[0:1], 0x8
	s_lshl_b32 s2, s2, 11
	s_mov_b64 s[0:1], -1
	s_waitcnt lgkmcnt(0)
	s_sub_i32 s8, s8, s2
	s_cmpk_gt_i32 s8, 0x7ff
	s_cbranch_scc0 .LBB451_2
; %bb.1:
	s_ashr_i32 s3, s2, 31
	s_lshl_b64 s[0:1], s[2:3], 1
	s_add_u32 s10, s6, s0
	s_addc_u32 s11, s7, s1
	v_lshlrev_b32_e32 v1, 4, v0
	global_load_dwordx4 v[2:5], v1, s[10:11]
	s_add_u32 s0, s4, s0
	s_addc_u32 s1, s5, s1
	s_waitcnt vmcnt(0)
	v_pk_min_i16 v3, v3, s9 op_sel_hi:[1,0]
	v_pk_min_i16 v2, v2, s9 op_sel_hi:[1,0]
	;; [unrolled: 1-line block ×4, first 2 shown]
	global_store_dwordx4 v1, v[2:5], s[0:1]
	s_mov_b64 s[0:1], 0
.LBB451_2:
	s_andn2_b64 vcc, exec, s[0:1]
	s_cbranch_vccnz .LBB451_28
; %bb.3:
	v_cmp_gt_i32_e32 vcc, s8, v0
	v_mov_b32_e32 v1, 0
	v_or_b32_e32 v2, s2, v0
	v_mov_b32_e32 v3, 0
	v_mov_b32_e32 v4, v0
	s_and_saveexec_b64 s[0:1], vcc
	s_cbranch_execz .LBB451_5
; %bb.4:
	v_mov_b32_e32 v3, 0
	v_lshl_add_u64 v[4:5], v[2:3], 1, s[6:7]
	global_load_ushort v3, v[4:5], off
	v_or_b32_e32 v4, 0x100, v0
.LBB451_5:
	s_or_b64 exec, exec, s[0:1]
	v_cmp_gt_i32_e64 s[0:1], s8, v4
	s_and_saveexec_b64 s[10:11], s[0:1]
	s_cbranch_execz .LBB451_7
; %bb.6:
	v_add_u32_e32 v6, s2, v4
	v_mov_b32_e32 v7, 0
	v_lshl_add_u64 v[6:7], v[6:7], 1, s[6:7]
	global_load_ushort v1, v[6:7], off
	v_add_u32_e32 v4, 0x100, v4
.LBB451_7:
	s_or_b64 exec, exec, s[10:11]
	v_cmp_gt_i32_e64 s[0:1], s8, v4
	v_mov_b32_e32 v5, 0
	v_mov_b32_e32 v6, 0
	s_and_saveexec_b64 s[10:11], s[0:1]
	s_cbranch_execz .LBB451_9
; %bb.8:
	v_add_u32_e32 v6, s2, v4
	v_mov_b32_e32 v7, 0
	v_lshl_add_u64 v[6:7], v[6:7], 1, s[6:7]
	global_load_ushort v6, v[6:7], off
	v_add_u32_e32 v4, 0x100, v4
.LBB451_9:
	s_or_b64 exec, exec, s[10:11]
	v_cmp_gt_i32_e64 s[0:1], s8, v4
	s_and_saveexec_b64 s[10:11], s[0:1]
	s_cbranch_execz .LBB451_11
; %bb.10:
	v_add_u32_e32 v8, s2, v4
	v_mov_b32_e32 v9, 0
	v_lshl_add_u64 v[8:9], v[8:9], 1, s[6:7]
	global_load_ushort v5, v[8:9], off
	v_add_u32_e32 v4, 0x100, v4
.LBB451_11:
	s_or_b64 exec, exec, s[10:11]
	v_cmp_gt_i32_e64 s[0:1], s8, v4
	v_mov_b32_e32 v7, 0
	v_mov_b32_e32 v8, 0
	s_and_saveexec_b64 s[10:11], s[0:1]
	s_cbranch_execz .LBB451_13
; %bb.12:
	v_add_u32_e32 v8, s2, v4
	v_mov_b32_e32 v9, 0
	v_lshl_add_u64 v[8:9], v[8:9], 1, s[6:7]
	global_load_ushort v8, v[8:9], off
	v_add_u32_e32 v4, 0x100, v4
.LBB451_13:
	;; [unrolled: 24-line block ×3, first 2 shown]
	s_or_b64 exec, exec, s[10:11]
	v_cmp_gt_i32_e64 s[0:1], s8, v4
	s_and_saveexec_b64 s[10:11], s[0:1]
	s_cbranch_execz .LBB451_19
; %bb.18:
	v_add_u32_e32 v12, s2, v4
	v_mov_b32_e32 v13, 0
	v_lshl_add_u64 v[12:13], v[12:13], 1, s[6:7]
	global_load_ushort v9, v[12:13], off
.LBB451_19:
	s_or_b64 exec, exec, s[10:11]
	s_waitcnt vmcnt(0)
	v_min_i16_e32 v3, s9, v3
	v_cndmask_b32_e32 v3, 0, v3, vcc
	v_or_b32_e32 v12, 0x100, v0
	v_min_i16_e32 v1, s9, v1
	s_mov_b32 s3, 0x5040100
	v_perm_b32 v1, v1, v3, s3
	v_cmp_gt_i32_e64 s[0:1], s8, v12
	v_min_i16_e32 v4, s9, v5
	s_nop 0
	v_cndmask_b32_e64 v11, v3, v1, s[0:1]
	v_or_b32_e32 v1, 0x200, v0
	v_min_i16_e32 v3, s9, v6
	v_cmp_gt_i32_e64 s[0:1], s8, v1
	v_min_i16_e32 v6, s9, v9
	s_nop 0
	v_cndmask_b32_e64 v1, 0, v3, s[0:1]
	v_or_b32_e32 v3, 0x300, v0
	v_perm_b32 v4, v4, v1, s3
	v_cmp_gt_i32_e64 s[0:1], s8, v3
	v_min_i16_e32 v3, s9, v8
	s_nop 0
	v_cndmask_b32_e64 v5, v1, v4, s[0:1]
	v_or_b32_e32 v1, 0x400, v0
	v_cmp_gt_i32_e64 s[0:1], s8, v1
	v_min_i16_e32 v4, s9, v7
	s_nop 0
	v_cndmask_b32_e64 v1, 0, v3, s[0:1]
	v_or_b32_e32 v3, 0x500, v0
	v_perm_b32 v4, v4, v1, s3
	v_cmp_gt_i32_e64 s[0:1], s8, v3
	v_min_i16_e32 v3, s9, v10
	s_nop 0
	v_cndmask_b32_e64 v4, v1, v4, s[0:1]
	v_or_b32_e32 v1, 0x600, v0
	v_cmp_gt_i32_e64 s[0:1], s8, v1
	s_nop 1
	v_cndmask_b32_e64 v1, 0, v3, s[0:1]
	v_or_b32_e32 v3, 0x700, v0
	v_perm_b32 v6, v6, v1, s3
	v_cmp_gt_i32_e64 s[0:1], s8, v3
	s_nop 1
	v_cndmask_b32_e64 v1, v1, v6, s[0:1]
	s_and_saveexec_b64 s[0:1], vcc
	s_cbranch_execnz .LBB451_29
; %bb.20:
	s_or_b64 exec, exec, s[0:1]
	v_cmp_gt_i32_e32 vcc, s8, v0
	s_and_saveexec_b64 s[0:1], vcc
	s_cbranch_execnz .LBB451_30
.LBB451_21:
	s_or_b64 exec, exec, s[0:1]
	v_cmp_gt_i32_e32 vcc, s8, v0
	s_and_saveexec_b64 s[0:1], vcc
	s_cbranch_execnz .LBB451_31
.LBB451_22:
	s_or_b64 exec, exec, s[0:1]
	v_cmp_gt_i32_e32 vcc, s8, v0
	s_and_saveexec_b64 s[0:1], vcc
	s_cbranch_execnz .LBB451_32
.LBB451_23:
	s_or_b64 exec, exec, s[0:1]
	v_cmp_gt_i32_e32 vcc, s8, v0
	s_and_saveexec_b64 s[0:1], vcc
	s_cbranch_execnz .LBB451_33
.LBB451_24:
	s_or_b64 exec, exec, s[0:1]
	v_cmp_gt_i32_e32 vcc, s8, v0
	s_and_saveexec_b64 s[0:1], vcc
	s_cbranch_execnz .LBB451_34
.LBB451_25:
	s_or_b64 exec, exec, s[0:1]
	v_cmp_gt_i32_e32 vcc, s8, v0
	s_and_saveexec_b64 s[0:1], vcc
	s_cbranch_execnz .LBB451_35
.LBB451_26:
	s_or_b64 exec, exec, s[0:1]
	v_cmp_gt_i32_e32 vcc, s8, v0
	s_and_saveexec_b64 s[0:1], vcc
	s_cbranch_execz .LBB451_28
.LBB451_27:
	v_add_u32_e32 v2, s2, v0
	v_mov_b32_e32 v3, 0
	v_lshl_add_u64 v[2:3], v[2:3], 1, s[4:5]
	global_store_short_d16_hi v[2:3], v1, off
.LBB451_28:
	s_endpgm
.LBB451_29:
	v_mov_b32_e32 v3, 0
	v_lshl_add_u64 v[2:3], v[2:3], 1, s[4:5]
	v_mov_b32_e32 v0, v12
	global_store_short v[2:3], v11, off
	s_or_b64 exec, exec, s[0:1]
	v_cmp_gt_i32_e32 vcc, s8, v0
	s_and_saveexec_b64 s[0:1], vcc
	s_cbranch_execz .LBB451_21
.LBB451_30:
	v_add_u32_e32 v2, s2, v0
	v_mov_b32_e32 v3, 0
	v_lshl_add_u64 v[2:3], v[2:3], 1, s[4:5]
	v_add_u32_e32 v0, 0x100, v0
	global_store_short_d16_hi v[2:3], v11, off
	s_or_b64 exec, exec, s[0:1]
	v_cmp_gt_i32_e32 vcc, s8, v0
	s_and_saveexec_b64 s[0:1], vcc
	s_cbranch_execz .LBB451_22
.LBB451_31:
	v_add_u32_e32 v2, s2, v0
	v_mov_b32_e32 v3, 0
	v_lshl_add_u64 v[2:3], v[2:3], 1, s[4:5]
	v_add_u32_e32 v0, 0x100, v0
	global_store_short v[2:3], v5, off
	s_or_b64 exec, exec, s[0:1]
	v_cmp_gt_i32_e32 vcc, s8, v0
	s_and_saveexec_b64 s[0:1], vcc
	s_cbranch_execz .LBB451_23
.LBB451_32:
	v_add_u32_e32 v2, s2, v0
	v_mov_b32_e32 v3, 0
	v_lshl_add_u64 v[2:3], v[2:3], 1, s[4:5]
	v_add_u32_e32 v0, 0x100, v0
	global_store_short_d16_hi v[2:3], v5, off
	s_or_b64 exec, exec, s[0:1]
	v_cmp_gt_i32_e32 vcc, s8, v0
	s_and_saveexec_b64 s[0:1], vcc
	s_cbranch_execz .LBB451_24
.LBB451_33:
	v_add_u32_e32 v2, s2, v0
	v_mov_b32_e32 v3, 0
	v_lshl_add_u64 v[2:3], v[2:3], 1, s[4:5]
	v_add_u32_e32 v0, 0x100, v0
	global_store_short v[2:3], v4, off
	s_or_b64 exec, exec, s[0:1]
	v_cmp_gt_i32_e32 vcc, s8, v0
	s_and_saveexec_b64 s[0:1], vcc
	s_cbranch_execz .LBB451_25
.LBB451_34:
	v_add_u32_e32 v2, s2, v0
	v_mov_b32_e32 v3, 0
	v_lshl_add_u64 v[2:3], v[2:3], 1, s[4:5]
	v_add_u32_e32 v0, 0x100, v0
	global_store_short_d16_hi v[2:3], v4, off
	s_or_b64 exec, exec, s[0:1]
	v_cmp_gt_i32_e32 vcc, s8, v0
	s_and_saveexec_b64 s[0:1], vcc
	s_cbranch_execz .LBB451_26
.LBB451_35:
	v_add_u32_e32 v2, s2, v0
	v_mov_b32_e32 v3, 0
	v_lshl_add_u64 v[2:3], v[2:3], 1, s[4:5]
	v_add_u32_e32 v0, 0x100, v0
	global_store_short v[2:3], v1, off
	s_or_b64 exec, exec, s[0:1]
	v_cmp_gt_i32_e32 vcc, s8, v0
	s_and_saveexec_b64 s[0:1], vcc
	s_cbranch_execnz .LBB451_27
	s_branch .LBB451_28
	.section	.rodata,"a",@progbits
	.p2align	6, 0x0
	.amdhsa_kernel _ZN2at6native29vectorized_elementwise_kernelILi8EZZZNS0_21clamp_max_kernel_cudaERNS_18TensorIteratorBaseERKN3c106ScalarEENKUlvE_clEvENKUlvE3_clEvEUlsE_St5arrayIPcLm2EEEEviT0_T1_
		.amdhsa_group_segment_fixed_size 0
		.amdhsa_private_segment_fixed_size 0
		.amdhsa_kernarg_size 24
		.amdhsa_user_sgpr_count 2
		.amdhsa_user_sgpr_dispatch_ptr 0
		.amdhsa_user_sgpr_queue_ptr 0
		.amdhsa_user_sgpr_kernarg_segment_ptr 1
		.amdhsa_user_sgpr_dispatch_id 0
		.amdhsa_user_sgpr_kernarg_preload_length 0
		.amdhsa_user_sgpr_kernarg_preload_offset 0
		.amdhsa_user_sgpr_private_segment_size 0
		.amdhsa_uses_dynamic_stack 0
		.amdhsa_enable_private_segment 0
		.amdhsa_system_sgpr_workgroup_id_x 1
		.amdhsa_system_sgpr_workgroup_id_y 0
		.amdhsa_system_sgpr_workgroup_id_z 0
		.amdhsa_system_sgpr_workgroup_info 0
		.amdhsa_system_vgpr_workitem_id 0
		.amdhsa_next_free_vgpr 14
		.amdhsa_next_free_sgpr 12
		.amdhsa_accum_offset 16
		.amdhsa_reserve_vcc 1
		.amdhsa_float_round_mode_32 0
		.amdhsa_float_round_mode_16_64 0
		.amdhsa_float_denorm_mode_32 3
		.amdhsa_float_denorm_mode_16_64 3
		.amdhsa_dx10_clamp 1
		.amdhsa_ieee_mode 1
		.amdhsa_fp16_overflow 0
		.amdhsa_tg_split 0
		.amdhsa_exception_fp_ieee_invalid_op 0
		.amdhsa_exception_fp_denorm_src 0
		.amdhsa_exception_fp_ieee_div_zero 0
		.amdhsa_exception_fp_ieee_overflow 0
		.amdhsa_exception_fp_ieee_underflow 0
		.amdhsa_exception_fp_ieee_inexact 0
		.amdhsa_exception_int_div_zero 0
	.end_amdhsa_kernel
	.section	.text._ZN2at6native29vectorized_elementwise_kernelILi8EZZZNS0_21clamp_max_kernel_cudaERNS_18TensorIteratorBaseERKN3c106ScalarEENKUlvE_clEvENKUlvE3_clEvEUlsE_St5arrayIPcLm2EEEEviT0_T1_,"axG",@progbits,_ZN2at6native29vectorized_elementwise_kernelILi8EZZZNS0_21clamp_max_kernel_cudaERNS_18TensorIteratorBaseERKN3c106ScalarEENKUlvE_clEvENKUlvE3_clEvEUlsE_St5arrayIPcLm2EEEEviT0_T1_,comdat
.Lfunc_end451:
	.size	_ZN2at6native29vectorized_elementwise_kernelILi8EZZZNS0_21clamp_max_kernel_cudaERNS_18TensorIteratorBaseERKN3c106ScalarEENKUlvE_clEvENKUlvE3_clEvEUlsE_St5arrayIPcLm2EEEEviT0_T1_, .Lfunc_end451-_ZN2at6native29vectorized_elementwise_kernelILi8EZZZNS0_21clamp_max_kernel_cudaERNS_18TensorIteratorBaseERKN3c106ScalarEENKUlvE_clEvENKUlvE3_clEvEUlsE_St5arrayIPcLm2EEEEviT0_T1_
                                        ; -- End function
	.set _ZN2at6native29vectorized_elementwise_kernelILi8EZZZNS0_21clamp_max_kernel_cudaERNS_18TensorIteratorBaseERKN3c106ScalarEENKUlvE_clEvENKUlvE3_clEvEUlsE_St5arrayIPcLm2EEEEviT0_T1_.num_vgpr, 14
	.set _ZN2at6native29vectorized_elementwise_kernelILi8EZZZNS0_21clamp_max_kernel_cudaERNS_18TensorIteratorBaseERKN3c106ScalarEENKUlvE_clEvENKUlvE3_clEvEUlsE_St5arrayIPcLm2EEEEviT0_T1_.num_agpr, 0
	.set _ZN2at6native29vectorized_elementwise_kernelILi8EZZZNS0_21clamp_max_kernel_cudaERNS_18TensorIteratorBaseERKN3c106ScalarEENKUlvE_clEvENKUlvE3_clEvEUlsE_St5arrayIPcLm2EEEEviT0_T1_.numbered_sgpr, 12
	.set _ZN2at6native29vectorized_elementwise_kernelILi8EZZZNS0_21clamp_max_kernel_cudaERNS_18TensorIteratorBaseERKN3c106ScalarEENKUlvE_clEvENKUlvE3_clEvEUlsE_St5arrayIPcLm2EEEEviT0_T1_.num_named_barrier, 0
	.set _ZN2at6native29vectorized_elementwise_kernelILi8EZZZNS0_21clamp_max_kernel_cudaERNS_18TensorIteratorBaseERKN3c106ScalarEENKUlvE_clEvENKUlvE3_clEvEUlsE_St5arrayIPcLm2EEEEviT0_T1_.private_seg_size, 0
	.set _ZN2at6native29vectorized_elementwise_kernelILi8EZZZNS0_21clamp_max_kernel_cudaERNS_18TensorIteratorBaseERKN3c106ScalarEENKUlvE_clEvENKUlvE3_clEvEUlsE_St5arrayIPcLm2EEEEviT0_T1_.uses_vcc, 1
	.set _ZN2at6native29vectorized_elementwise_kernelILi8EZZZNS0_21clamp_max_kernel_cudaERNS_18TensorIteratorBaseERKN3c106ScalarEENKUlvE_clEvENKUlvE3_clEvEUlsE_St5arrayIPcLm2EEEEviT0_T1_.uses_flat_scratch, 0
	.set _ZN2at6native29vectorized_elementwise_kernelILi8EZZZNS0_21clamp_max_kernel_cudaERNS_18TensorIteratorBaseERKN3c106ScalarEENKUlvE_clEvENKUlvE3_clEvEUlsE_St5arrayIPcLm2EEEEviT0_T1_.has_dyn_sized_stack, 0
	.set _ZN2at6native29vectorized_elementwise_kernelILi8EZZZNS0_21clamp_max_kernel_cudaERNS_18TensorIteratorBaseERKN3c106ScalarEENKUlvE_clEvENKUlvE3_clEvEUlsE_St5arrayIPcLm2EEEEviT0_T1_.has_recursion, 0
	.set _ZN2at6native29vectorized_elementwise_kernelILi8EZZZNS0_21clamp_max_kernel_cudaERNS_18TensorIteratorBaseERKN3c106ScalarEENKUlvE_clEvENKUlvE3_clEvEUlsE_St5arrayIPcLm2EEEEviT0_T1_.has_indirect_call, 0
	.section	.AMDGPU.csdata,"",@progbits
; Kernel info:
; codeLenInByte = 1328
; TotalNumSgprs: 18
; NumVgprs: 14
; NumAgprs: 0
; TotalNumVgprs: 14
; ScratchSize: 0
; MemoryBound: 0
; FloatMode: 240
; IeeeMode: 1
; LDSByteSize: 0 bytes/workgroup (compile time only)
; SGPRBlocks: 2
; VGPRBlocks: 1
; NumSGPRsForWavesPerEU: 18
; NumVGPRsForWavesPerEU: 14
; AccumOffset: 16
; Occupancy: 8
; WaveLimiterHint : 0
; COMPUTE_PGM_RSRC2:SCRATCH_EN: 0
; COMPUTE_PGM_RSRC2:USER_SGPR: 2
; COMPUTE_PGM_RSRC2:TRAP_HANDLER: 0
; COMPUTE_PGM_RSRC2:TGID_X_EN: 1
; COMPUTE_PGM_RSRC2:TGID_Y_EN: 0
; COMPUTE_PGM_RSRC2:TGID_Z_EN: 0
; COMPUTE_PGM_RSRC2:TIDIG_COMP_CNT: 0
; COMPUTE_PGM_RSRC3_GFX90A:ACCUM_OFFSET: 3
; COMPUTE_PGM_RSRC3_GFX90A:TG_SPLIT: 0
	.section	.text._ZN2at6native29vectorized_elementwise_kernelILi4EZZZNS0_21clamp_max_kernel_cudaERNS_18TensorIteratorBaseERKN3c106ScalarEENKUlvE_clEvENKUlvE3_clEvEUlsE_St5arrayIPcLm2EEEEviT0_T1_,"axG",@progbits,_ZN2at6native29vectorized_elementwise_kernelILi4EZZZNS0_21clamp_max_kernel_cudaERNS_18TensorIteratorBaseERKN3c106ScalarEENKUlvE_clEvENKUlvE3_clEvEUlsE_St5arrayIPcLm2EEEEviT0_T1_,comdat
	.globl	_ZN2at6native29vectorized_elementwise_kernelILi4EZZZNS0_21clamp_max_kernel_cudaERNS_18TensorIteratorBaseERKN3c106ScalarEENKUlvE_clEvENKUlvE3_clEvEUlsE_St5arrayIPcLm2EEEEviT0_T1_ ; -- Begin function _ZN2at6native29vectorized_elementwise_kernelILi4EZZZNS0_21clamp_max_kernel_cudaERNS_18TensorIteratorBaseERKN3c106ScalarEENKUlvE_clEvENKUlvE3_clEvEUlsE_St5arrayIPcLm2EEEEviT0_T1_
	.p2align	8
	.type	_ZN2at6native29vectorized_elementwise_kernelILi4EZZZNS0_21clamp_max_kernel_cudaERNS_18TensorIteratorBaseERKN3c106ScalarEENKUlvE_clEvENKUlvE3_clEvEUlsE_St5arrayIPcLm2EEEEviT0_T1_,@function
_ZN2at6native29vectorized_elementwise_kernelILi4EZZZNS0_21clamp_max_kernel_cudaERNS_18TensorIteratorBaseERKN3c106ScalarEENKUlvE_clEvENKUlvE3_clEvEUlsE_St5arrayIPcLm2EEEEviT0_T1_: ; @_ZN2at6native29vectorized_elementwise_kernelILi4EZZZNS0_21clamp_max_kernel_cudaERNS_18TensorIteratorBaseERKN3c106ScalarEENKUlvE_clEvENKUlvE3_clEvEUlsE_St5arrayIPcLm2EEEEviT0_T1_
; %bb.0:
	s_load_dwordx2 s[8:9], s[0:1], 0x0
	s_load_dwordx4 s[4:7], s[0:1], 0x8
	s_lshl_b32 s2, s2, 11
	s_mov_b64 s[0:1], -1
	s_waitcnt lgkmcnt(0)
	s_sub_i32 s8, s8, s2
	s_cmpk_gt_i32 s8, 0x7ff
	s_cbranch_scc0 .LBB452_2
; %bb.1:
	s_ashr_i32 s3, s2, 31
	s_lshl_b64 s[0:1], s[2:3], 1
	s_add_u32 s10, s6, s0
	s_addc_u32 s11, s7, s1
	v_lshlrev_b32_e32 v1, 3, v0
	global_load_dwordx2 v[2:3], v1, s[10:11] offset:2048
	global_load_dwordx2 v[4:5], v1, s[10:11]
	s_add_u32 s0, s4, s0
	s_addc_u32 s1, s5, s1
	s_waitcnt vmcnt(1)
	v_pk_min_i16 v3, v3, s9 op_sel_hi:[1,0]
	s_waitcnt vmcnt(0)
	v_pk_min_i16 v5, v5, s9 op_sel_hi:[1,0]
	v_pk_min_i16 v4, v4, s9 op_sel_hi:[1,0]
	;; [unrolled: 1-line block ×3, first 2 shown]
	global_store_dwordx2 v1, v[4:5], s[0:1]
	global_store_dwordx2 v1, v[2:3], s[0:1] offset:2048
	s_mov_b64 s[0:1], 0
.LBB452_2:
	s_andn2_b64 vcc, exec, s[0:1]
	s_cbranch_vccnz .LBB452_28
; %bb.3:
	v_cmp_gt_i32_e32 vcc, s8, v0
	v_mov_b32_e32 v1, 0
	v_or_b32_e32 v2, s2, v0
	v_mov_b32_e32 v3, 0
	v_mov_b32_e32 v4, v0
	s_and_saveexec_b64 s[0:1], vcc
	s_cbranch_execz .LBB452_5
; %bb.4:
	v_mov_b32_e32 v3, 0
	v_lshl_add_u64 v[4:5], v[2:3], 1, s[6:7]
	global_load_ushort v3, v[4:5], off
	v_or_b32_e32 v4, 0x100, v0
.LBB452_5:
	s_or_b64 exec, exec, s[0:1]
	v_cmp_gt_i32_e64 s[0:1], s8, v4
	s_and_saveexec_b64 s[10:11], s[0:1]
	s_cbranch_execz .LBB452_7
; %bb.6:
	v_add_u32_e32 v6, s2, v4
	v_mov_b32_e32 v7, 0
	v_lshl_add_u64 v[6:7], v[6:7], 1, s[6:7]
	global_load_ushort v1, v[6:7], off
	v_add_u32_e32 v4, 0x100, v4
.LBB452_7:
	s_or_b64 exec, exec, s[10:11]
	v_cmp_gt_i32_e64 s[0:1], s8, v4
	v_mov_b32_e32 v5, 0
	v_mov_b32_e32 v6, 0
	s_and_saveexec_b64 s[10:11], s[0:1]
	s_cbranch_execz .LBB452_9
; %bb.8:
	v_add_u32_e32 v6, s2, v4
	v_mov_b32_e32 v7, 0
	v_lshl_add_u64 v[6:7], v[6:7], 1, s[6:7]
	global_load_ushort v6, v[6:7], off
	v_add_u32_e32 v4, 0x100, v4
.LBB452_9:
	s_or_b64 exec, exec, s[10:11]
	v_cmp_gt_i32_e64 s[0:1], s8, v4
	s_and_saveexec_b64 s[10:11], s[0:1]
	s_cbranch_execz .LBB452_11
; %bb.10:
	v_add_u32_e32 v8, s2, v4
	v_mov_b32_e32 v9, 0
	v_lshl_add_u64 v[8:9], v[8:9], 1, s[6:7]
	global_load_ushort v5, v[8:9], off
	v_add_u32_e32 v4, 0x100, v4
.LBB452_11:
	s_or_b64 exec, exec, s[10:11]
	v_cmp_gt_i32_e64 s[0:1], s8, v4
	v_mov_b32_e32 v7, 0
	v_mov_b32_e32 v8, 0
	s_and_saveexec_b64 s[10:11], s[0:1]
	s_cbranch_execz .LBB452_13
; %bb.12:
	v_add_u32_e32 v8, s2, v4
	v_mov_b32_e32 v9, 0
	v_lshl_add_u64 v[8:9], v[8:9], 1, s[6:7]
	global_load_ushort v8, v[8:9], off
	v_add_u32_e32 v4, 0x100, v4
.LBB452_13:
	;; [unrolled: 24-line block ×3, first 2 shown]
	s_or_b64 exec, exec, s[10:11]
	v_cmp_gt_i32_e64 s[0:1], s8, v4
	s_and_saveexec_b64 s[10:11], s[0:1]
	s_cbranch_execz .LBB452_19
; %bb.18:
	v_add_u32_e32 v12, s2, v4
	v_mov_b32_e32 v13, 0
	v_lshl_add_u64 v[12:13], v[12:13], 1, s[6:7]
	global_load_ushort v9, v[12:13], off
.LBB452_19:
	s_or_b64 exec, exec, s[10:11]
	s_waitcnt vmcnt(0)
	v_min_i16_e32 v3, s9, v3
	v_cndmask_b32_e32 v3, 0, v3, vcc
	v_or_b32_e32 v12, 0x100, v0
	v_min_i16_e32 v1, s9, v1
	s_mov_b32 s3, 0x5040100
	v_perm_b32 v1, v1, v3, s3
	v_cmp_gt_i32_e64 s[0:1], s8, v12
	v_min_i16_e32 v4, s9, v5
	s_nop 0
	v_cndmask_b32_e64 v11, v3, v1, s[0:1]
	v_or_b32_e32 v1, 0x200, v0
	v_min_i16_e32 v3, s9, v6
	v_cmp_gt_i32_e64 s[0:1], s8, v1
	v_min_i16_e32 v6, s9, v9
	s_nop 0
	v_cndmask_b32_e64 v1, 0, v3, s[0:1]
	v_or_b32_e32 v3, 0x300, v0
	v_perm_b32 v4, v4, v1, s3
	v_cmp_gt_i32_e64 s[0:1], s8, v3
	v_min_i16_e32 v3, s9, v8
	s_nop 0
	v_cndmask_b32_e64 v5, v1, v4, s[0:1]
	v_or_b32_e32 v1, 0x400, v0
	v_cmp_gt_i32_e64 s[0:1], s8, v1
	v_min_i16_e32 v4, s9, v7
	s_nop 0
	v_cndmask_b32_e64 v1, 0, v3, s[0:1]
	v_or_b32_e32 v3, 0x500, v0
	v_perm_b32 v4, v4, v1, s3
	v_cmp_gt_i32_e64 s[0:1], s8, v3
	v_min_i16_e32 v3, s9, v10
	s_nop 0
	v_cndmask_b32_e64 v4, v1, v4, s[0:1]
	v_or_b32_e32 v1, 0x600, v0
	v_cmp_gt_i32_e64 s[0:1], s8, v1
	s_nop 1
	v_cndmask_b32_e64 v1, 0, v3, s[0:1]
	v_or_b32_e32 v3, 0x700, v0
	v_perm_b32 v6, v6, v1, s3
	v_cmp_gt_i32_e64 s[0:1], s8, v3
	s_nop 1
	v_cndmask_b32_e64 v1, v1, v6, s[0:1]
	s_and_saveexec_b64 s[0:1], vcc
	s_cbranch_execnz .LBB452_29
; %bb.20:
	s_or_b64 exec, exec, s[0:1]
	v_cmp_gt_i32_e32 vcc, s8, v0
	s_and_saveexec_b64 s[0:1], vcc
	s_cbranch_execnz .LBB452_30
.LBB452_21:
	s_or_b64 exec, exec, s[0:1]
	v_cmp_gt_i32_e32 vcc, s8, v0
	s_and_saveexec_b64 s[0:1], vcc
	s_cbranch_execnz .LBB452_31
.LBB452_22:
	s_or_b64 exec, exec, s[0:1]
	v_cmp_gt_i32_e32 vcc, s8, v0
	s_and_saveexec_b64 s[0:1], vcc
	s_cbranch_execnz .LBB452_32
.LBB452_23:
	s_or_b64 exec, exec, s[0:1]
	v_cmp_gt_i32_e32 vcc, s8, v0
	s_and_saveexec_b64 s[0:1], vcc
	s_cbranch_execnz .LBB452_33
.LBB452_24:
	s_or_b64 exec, exec, s[0:1]
	v_cmp_gt_i32_e32 vcc, s8, v0
	s_and_saveexec_b64 s[0:1], vcc
	s_cbranch_execnz .LBB452_34
.LBB452_25:
	s_or_b64 exec, exec, s[0:1]
	v_cmp_gt_i32_e32 vcc, s8, v0
	s_and_saveexec_b64 s[0:1], vcc
	s_cbranch_execnz .LBB452_35
.LBB452_26:
	s_or_b64 exec, exec, s[0:1]
	v_cmp_gt_i32_e32 vcc, s8, v0
	s_and_saveexec_b64 s[0:1], vcc
	s_cbranch_execz .LBB452_28
.LBB452_27:
	v_add_u32_e32 v2, s2, v0
	v_mov_b32_e32 v3, 0
	v_lshl_add_u64 v[2:3], v[2:3], 1, s[4:5]
	global_store_short_d16_hi v[2:3], v1, off
.LBB452_28:
	s_endpgm
.LBB452_29:
	v_mov_b32_e32 v3, 0
	v_lshl_add_u64 v[2:3], v[2:3], 1, s[4:5]
	v_mov_b32_e32 v0, v12
	global_store_short v[2:3], v11, off
	s_or_b64 exec, exec, s[0:1]
	v_cmp_gt_i32_e32 vcc, s8, v0
	s_and_saveexec_b64 s[0:1], vcc
	s_cbranch_execz .LBB452_21
.LBB452_30:
	v_add_u32_e32 v2, s2, v0
	v_mov_b32_e32 v3, 0
	v_lshl_add_u64 v[2:3], v[2:3], 1, s[4:5]
	v_add_u32_e32 v0, 0x100, v0
	global_store_short_d16_hi v[2:3], v11, off
	s_or_b64 exec, exec, s[0:1]
	v_cmp_gt_i32_e32 vcc, s8, v0
	s_and_saveexec_b64 s[0:1], vcc
	s_cbranch_execz .LBB452_22
.LBB452_31:
	v_add_u32_e32 v2, s2, v0
	v_mov_b32_e32 v3, 0
	v_lshl_add_u64 v[2:3], v[2:3], 1, s[4:5]
	v_add_u32_e32 v0, 0x100, v0
	global_store_short v[2:3], v5, off
	s_or_b64 exec, exec, s[0:1]
	v_cmp_gt_i32_e32 vcc, s8, v0
	s_and_saveexec_b64 s[0:1], vcc
	s_cbranch_execz .LBB452_23
.LBB452_32:
	v_add_u32_e32 v2, s2, v0
	v_mov_b32_e32 v3, 0
	v_lshl_add_u64 v[2:3], v[2:3], 1, s[4:5]
	v_add_u32_e32 v0, 0x100, v0
	global_store_short_d16_hi v[2:3], v5, off
	s_or_b64 exec, exec, s[0:1]
	v_cmp_gt_i32_e32 vcc, s8, v0
	s_and_saveexec_b64 s[0:1], vcc
	s_cbranch_execz .LBB452_24
.LBB452_33:
	v_add_u32_e32 v2, s2, v0
	v_mov_b32_e32 v3, 0
	v_lshl_add_u64 v[2:3], v[2:3], 1, s[4:5]
	v_add_u32_e32 v0, 0x100, v0
	global_store_short v[2:3], v4, off
	s_or_b64 exec, exec, s[0:1]
	v_cmp_gt_i32_e32 vcc, s8, v0
	s_and_saveexec_b64 s[0:1], vcc
	s_cbranch_execz .LBB452_25
.LBB452_34:
	v_add_u32_e32 v2, s2, v0
	v_mov_b32_e32 v3, 0
	v_lshl_add_u64 v[2:3], v[2:3], 1, s[4:5]
	v_add_u32_e32 v0, 0x100, v0
	global_store_short_d16_hi v[2:3], v4, off
	s_or_b64 exec, exec, s[0:1]
	v_cmp_gt_i32_e32 vcc, s8, v0
	s_and_saveexec_b64 s[0:1], vcc
	s_cbranch_execz .LBB452_26
.LBB452_35:
	v_add_u32_e32 v2, s2, v0
	v_mov_b32_e32 v3, 0
	v_lshl_add_u64 v[2:3], v[2:3], 1, s[4:5]
	v_add_u32_e32 v0, 0x100, v0
	global_store_short v[2:3], v1, off
	s_or_b64 exec, exec, s[0:1]
	v_cmp_gt_i32_e32 vcc, s8, v0
	s_and_saveexec_b64 s[0:1], vcc
	s_cbranch_execnz .LBB452_27
	s_branch .LBB452_28
	.section	.rodata,"a",@progbits
	.p2align	6, 0x0
	.amdhsa_kernel _ZN2at6native29vectorized_elementwise_kernelILi4EZZZNS0_21clamp_max_kernel_cudaERNS_18TensorIteratorBaseERKN3c106ScalarEENKUlvE_clEvENKUlvE3_clEvEUlsE_St5arrayIPcLm2EEEEviT0_T1_
		.amdhsa_group_segment_fixed_size 0
		.amdhsa_private_segment_fixed_size 0
		.amdhsa_kernarg_size 24
		.amdhsa_user_sgpr_count 2
		.amdhsa_user_sgpr_dispatch_ptr 0
		.amdhsa_user_sgpr_queue_ptr 0
		.amdhsa_user_sgpr_kernarg_segment_ptr 1
		.amdhsa_user_sgpr_dispatch_id 0
		.amdhsa_user_sgpr_kernarg_preload_length 0
		.amdhsa_user_sgpr_kernarg_preload_offset 0
		.amdhsa_user_sgpr_private_segment_size 0
		.amdhsa_uses_dynamic_stack 0
		.amdhsa_enable_private_segment 0
		.amdhsa_system_sgpr_workgroup_id_x 1
		.amdhsa_system_sgpr_workgroup_id_y 0
		.amdhsa_system_sgpr_workgroup_id_z 0
		.amdhsa_system_sgpr_workgroup_info 0
		.amdhsa_system_vgpr_workitem_id 0
		.amdhsa_next_free_vgpr 14
		.amdhsa_next_free_sgpr 12
		.amdhsa_accum_offset 16
		.amdhsa_reserve_vcc 1
		.amdhsa_float_round_mode_32 0
		.amdhsa_float_round_mode_16_64 0
		.amdhsa_float_denorm_mode_32 3
		.amdhsa_float_denorm_mode_16_64 3
		.amdhsa_dx10_clamp 1
		.amdhsa_ieee_mode 1
		.amdhsa_fp16_overflow 0
		.amdhsa_tg_split 0
		.amdhsa_exception_fp_ieee_invalid_op 0
		.amdhsa_exception_fp_denorm_src 0
		.amdhsa_exception_fp_ieee_div_zero 0
		.amdhsa_exception_fp_ieee_overflow 0
		.amdhsa_exception_fp_ieee_underflow 0
		.amdhsa_exception_fp_ieee_inexact 0
		.amdhsa_exception_int_div_zero 0
	.end_amdhsa_kernel
	.section	.text._ZN2at6native29vectorized_elementwise_kernelILi4EZZZNS0_21clamp_max_kernel_cudaERNS_18TensorIteratorBaseERKN3c106ScalarEENKUlvE_clEvENKUlvE3_clEvEUlsE_St5arrayIPcLm2EEEEviT0_T1_,"axG",@progbits,_ZN2at6native29vectorized_elementwise_kernelILi4EZZZNS0_21clamp_max_kernel_cudaERNS_18TensorIteratorBaseERKN3c106ScalarEENKUlvE_clEvENKUlvE3_clEvEUlsE_St5arrayIPcLm2EEEEviT0_T1_,comdat
.Lfunc_end452:
	.size	_ZN2at6native29vectorized_elementwise_kernelILi4EZZZNS0_21clamp_max_kernel_cudaERNS_18TensorIteratorBaseERKN3c106ScalarEENKUlvE_clEvENKUlvE3_clEvEUlsE_St5arrayIPcLm2EEEEviT0_T1_, .Lfunc_end452-_ZN2at6native29vectorized_elementwise_kernelILi4EZZZNS0_21clamp_max_kernel_cudaERNS_18TensorIteratorBaseERKN3c106ScalarEENKUlvE_clEvENKUlvE3_clEvEUlsE_St5arrayIPcLm2EEEEviT0_T1_
                                        ; -- End function
	.set _ZN2at6native29vectorized_elementwise_kernelILi4EZZZNS0_21clamp_max_kernel_cudaERNS_18TensorIteratorBaseERKN3c106ScalarEENKUlvE_clEvENKUlvE3_clEvEUlsE_St5arrayIPcLm2EEEEviT0_T1_.num_vgpr, 14
	.set _ZN2at6native29vectorized_elementwise_kernelILi4EZZZNS0_21clamp_max_kernel_cudaERNS_18TensorIteratorBaseERKN3c106ScalarEENKUlvE_clEvENKUlvE3_clEvEUlsE_St5arrayIPcLm2EEEEviT0_T1_.num_agpr, 0
	.set _ZN2at6native29vectorized_elementwise_kernelILi4EZZZNS0_21clamp_max_kernel_cudaERNS_18TensorIteratorBaseERKN3c106ScalarEENKUlvE_clEvENKUlvE3_clEvEUlsE_St5arrayIPcLm2EEEEviT0_T1_.numbered_sgpr, 12
	.set _ZN2at6native29vectorized_elementwise_kernelILi4EZZZNS0_21clamp_max_kernel_cudaERNS_18TensorIteratorBaseERKN3c106ScalarEENKUlvE_clEvENKUlvE3_clEvEUlsE_St5arrayIPcLm2EEEEviT0_T1_.num_named_barrier, 0
	.set _ZN2at6native29vectorized_elementwise_kernelILi4EZZZNS0_21clamp_max_kernel_cudaERNS_18TensorIteratorBaseERKN3c106ScalarEENKUlvE_clEvENKUlvE3_clEvEUlsE_St5arrayIPcLm2EEEEviT0_T1_.private_seg_size, 0
	.set _ZN2at6native29vectorized_elementwise_kernelILi4EZZZNS0_21clamp_max_kernel_cudaERNS_18TensorIteratorBaseERKN3c106ScalarEENKUlvE_clEvENKUlvE3_clEvEUlsE_St5arrayIPcLm2EEEEviT0_T1_.uses_vcc, 1
	.set _ZN2at6native29vectorized_elementwise_kernelILi4EZZZNS0_21clamp_max_kernel_cudaERNS_18TensorIteratorBaseERKN3c106ScalarEENKUlvE_clEvENKUlvE3_clEvEUlsE_St5arrayIPcLm2EEEEviT0_T1_.uses_flat_scratch, 0
	.set _ZN2at6native29vectorized_elementwise_kernelILi4EZZZNS0_21clamp_max_kernel_cudaERNS_18TensorIteratorBaseERKN3c106ScalarEENKUlvE_clEvENKUlvE3_clEvEUlsE_St5arrayIPcLm2EEEEviT0_T1_.has_dyn_sized_stack, 0
	.set _ZN2at6native29vectorized_elementwise_kernelILi4EZZZNS0_21clamp_max_kernel_cudaERNS_18TensorIteratorBaseERKN3c106ScalarEENKUlvE_clEvENKUlvE3_clEvEUlsE_St5arrayIPcLm2EEEEviT0_T1_.has_recursion, 0
	.set _ZN2at6native29vectorized_elementwise_kernelILi4EZZZNS0_21clamp_max_kernel_cudaERNS_18TensorIteratorBaseERKN3c106ScalarEENKUlvE_clEvENKUlvE3_clEvEUlsE_St5arrayIPcLm2EEEEviT0_T1_.has_indirect_call, 0
	.section	.AMDGPU.csdata,"",@progbits
; Kernel info:
; codeLenInByte = 1348
; TotalNumSgprs: 18
; NumVgprs: 14
; NumAgprs: 0
; TotalNumVgprs: 14
; ScratchSize: 0
; MemoryBound: 0
; FloatMode: 240
; IeeeMode: 1
; LDSByteSize: 0 bytes/workgroup (compile time only)
; SGPRBlocks: 2
; VGPRBlocks: 1
; NumSGPRsForWavesPerEU: 18
; NumVGPRsForWavesPerEU: 14
; AccumOffset: 16
; Occupancy: 8
; WaveLimiterHint : 1
; COMPUTE_PGM_RSRC2:SCRATCH_EN: 0
; COMPUTE_PGM_RSRC2:USER_SGPR: 2
; COMPUTE_PGM_RSRC2:TRAP_HANDLER: 0
; COMPUTE_PGM_RSRC2:TGID_X_EN: 1
; COMPUTE_PGM_RSRC2:TGID_Y_EN: 0
; COMPUTE_PGM_RSRC2:TGID_Z_EN: 0
; COMPUTE_PGM_RSRC2:TIDIG_COMP_CNT: 0
; COMPUTE_PGM_RSRC3_GFX90A:ACCUM_OFFSET: 3
; COMPUTE_PGM_RSRC3_GFX90A:TG_SPLIT: 0
	.section	.text._ZN2at6native29vectorized_elementwise_kernelILi2EZZZNS0_21clamp_max_kernel_cudaERNS_18TensorIteratorBaseERKN3c106ScalarEENKUlvE_clEvENKUlvE3_clEvEUlsE_St5arrayIPcLm2EEEEviT0_T1_,"axG",@progbits,_ZN2at6native29vectorized_elementwise_kernelILi2EZZZNS0_21clamp_max_kernel_cudaERNS_18TensorIteratorBaseERKN3c106ScalarEENKUlvE_clEvENKUlvE3_clEvEUlsE_St5arrayIPcLm2EEEEviT0_T1_,comdat
	.globl	_ZN2at6native29vectorized_elementwise_kernelILi2EZZZNS0_21clamp_max_kernel_cudaERNS_18TensorIteratorBaseERKN3c106ScalarEENKUlvE_clEvENKUlvE3_clEvEUlsE_St5arrayIPcLm2EEEEviT0_T1_ ; -- Begin function _ZN2at6native29vectorized_elementwise_kernelILi2EZZZNS0_21clamp_max_kernel_cudaERNS_18TensorIteratorBaseERKN3c106ScalarEENKUlvE_clEvENKUlvE3_clEvEUlsE_St5arrayIPcLm2EEEEviT0_T1_
	.p2align	8
	.type	_ZN2at6native29vectorized_elementwise_kernelILi2EZZZNS0_21clamp_max_kernel_cudaERNS_18TensorIteratorBaseERKN3c106ScalarEENKUlvE_clEvENKUlvE3_clEvEUlsE_St5arrayIPcLm2EEEEviT0_T1_,@function
_ZN2at6native29vectorized_elementwise_kernelILi2EZZZNS0_21clamp_max_kernel_cudaERNS_18TensorIteratorBaseERKN3c106ScalarEENKUlvE_clEvENKUlvE3_clEvEUlsE_St5arrayIPcLm2EEEEviT0_T1_: ; @_ZN2at6native29vectorized_elementwise_kernelILi2EZZZNS0_21clamp_max_kernel_cudaERNS_18TensorIteratorBaseERKN3c106ScalarEENKUlvE_clEvENKUlvE3_clEvEUlsE_St5arrayIPcLm2EEEEviT0_T1_
; %bb.0:
	s_load_dwordx2 s[8:9], s[0:1], 0x0
	s_load_dwordx4 s[4:7], s[0:1], 0x8
	s_lshl_b32 s2, s2, 11
	s_mov_b64 s[0:1], -1
	s_waitcnt lgkmcnt(0)
	s_sub_i32 s8, s8, s2
	s_cmpk_gt_i32 s8, 0x7ff
	s_cbranch_scc0 .LBB453_2
; %bb.1:
	s_ashr_i32 s3, s2, 31
	s_lshl_b64 s[0:1], s[2:3], 1
	s_add_u32 s10, s6, s0
	s_addc_u32 s11, s7, s1
	v_lshlrev_b32_e32 v1, 2, v0
	global_load_dword v2, v1, s[10:11] offset:3072
	global_load_dword v3, v1, s[10:11] offset:2048
	;; [unrolled: 1-line block ×3, first 2 shown]
	global_load_dword v5, v1, s[10:11]
	s_add_u32 s0, s4, s0
	s_addc_u32 s1, s5, s1
	s_waitcnt vmcnt(3)
	v_pk_min_i16 v2, v2, s9 op_sel_hi:[1,0]
	s_waitcnt vmcnt(2)
	v_pk_min_i16 v3, v3, s9 op_sel_hi:[1,0]
	;; [unrolled: 2-line block ×4, first 2 shown]
	global_store_dword v1, v5, s[0:1]
	global_store_dword v1, v4, s[0:1] offset:1024
	global_store_dword v1, v3, s[0:1] offset:2048
	;; [unrolled: 1-line block ×3, first 2 shown]
	s_mov_b64 s[0:1], 0
.LBB453_2:
	s_andn2_b64 vcc, exec, s[0:1]
	s_cbranch_vccnz .LBB453_28
; %bb.3:
	v_cmp_gt_i32_e32 vcc, s8, v0
	v_mov_b32_e32 v1, 0
	v_or_b32_e32 v2, s2, v0
	v_mov_b32_e32 v3, 0
	v_mov_b32_e32 v4, v0
	s_and_saveexec_b64 s[0:1], vcc
	s_cbranch_execz .LBB453_5
; %bb.4:
	v_mov_b32_e32 v3, 0
	v_lshl_add_u64 v[4:5], v[2:3], 1, s[6:7]
	global_load_ushort v3, v[4:5], off
	v_or_b32_e32 v4, 0x100, v0
.LBB453_5:
	s_or_b64 exec, exec, s[0:1]
	v_cmp_gt_i32_e64 s[0:1], s8, v4
	s_and_saveexec_b64 s[10:11], s[0:1]
	s_cbranch_execz .LBB453_7
; %bb.6:
	v_add_u32_e32 v6, s2, v4
	v_mov_b32_e32 v7, 0
	v_lshl_add_u64 v[6:7], v[6:7], 1, s[6:7]
	global_load_ushort v1, v[6:7], off
	v_add_u32_e32 v4, 0x100, v4
.LBB453_7:
	s_or_b64 exec, exec, s[10:11]
	v_cmp_gt_i32_e64 s[0:1], s8, v4
	v_mov_b32_e32 v5, 0
	v_mov_b32_e32 v6, 0
	s_and_saveexec_b64 s[10:11], s[0:1]
	s_cbranch_execz .LBB453_9
; %bb.8:
	v_add_u32_e32 v6, s2, v4
	v_mov_b32_e32 v7, 0
	v_lshl_add_u64 v[6:7], v[6:7], 1, s[6:7]
	global_load_ushort v6, v[6:7], off
	v_add_u32_e32 v4, 0x100, v4
.LBB453_9:
	s_or_b64 exec, exec, s[10:11]
	v_cmp_gt_i32_e64 s[0:1], s8, v4
	s_and_saveexec_b64 s[10:11], s[0:1]
	s_cbranch_execz .LBB453_11
; %bb.10:
	v_add_u32_e32 v8, s2, v4
	v_mov_b32_e32 v9, 0
	v_lshl_add_u64 v[8:9], v[8:9], 1, s[6:7]
	global_load_ushort v5, v[8:9], off
	v_add_u32_e32 v4, 0x100, v4
.LBB453_11:
	s_or_b64 exec, exec, s[10:11]
	v_cmp_gt_i32_e64 s[0:1], s8, v4
	v_mov_b32_e32 v7, 0
	v_mov_b32_e32 v8, 0
	s_and_saveexec_b64 s[10:11], s[0:1]
	s_cbranch_execz .LBB453_13
; %bb.12:
	v_add_u32_e32 v8, s2, v4
	v_mov_b32_e32 v9, 0
	v_lshl_add_u64 v[8:9], v[8:9], 1, s[6:7]
	global_load_ushort v8, v[8:9], off
	v_add_u32_e32 v4, 0x100, v4
.LBB453_13:
	;; [unrolled: 24-line block ×3, first 2 shown]
	s_or_b64 exec, exec, s[10:11]
	v_cmp_gt_i32_e64 s[0:1], s8, v4
	s_and_saveexec_b64 s[10:11], s[0:1]
	s_cbranch_execz .LBB453_19
; %bb.18:
	v_add_u32_e32 v12, s2, v4
	v_mov_b32_e32 v13, 0
	v_lshl_add_u64 v[12:13], v[12:13], 1, s[6:7]
	global_load_ushort v9, v[12:13], off
.LBB453_19:
	s_or_b64 exec, exec, s[10:11]
	s_waitcnt vmcnt(0)
	v_min_i16_e32 v3, s9, v3
	v_cndmask_b32_e32 v3, 0, v3, vcc
	v_or_b32_e32 v12, 0x100, v0
	v_min_i16_e32 v1, s9, v1
	s_mov_b32 s3, 0x5040100
	v_perm_b32 v1, v1, v3, s3
	v_cmp_gt_i32_e64 s[0:1], s8, v12
	v_min_i16_e32 v4, s9, v5
	s_nop 0
	v_cndmask_b32_e64 v11, v3, v1, s[0:1]
	v_or_b32_e32 v1, 0x200, v0
	v_min_i16_e32 v3, s9, v6
	v_cmp_gt_i32_e64 s[0:1], s8, v1
	v_min_i16_e32 v6, s9, v9
	s_nop 0
	v_cndmask_b32_e64 v1, 0, v3, s[0:1]
	v_or_b32_e32 v3, 0x300, v0
	v_perm_b32 v4, v4, v1, s3
	v_cmp_gt_i32_e64 s[0:1], s8, v3
	v_min_i16_e32 v3, s9, v8
	s_nop 0
	v_cndmask_b32_e64 v5, v1, v4, s[0:1]
	v_or_b32_e32 v1, 0x400, v0
	v_cmp_gt_i32_e64 s[0:1], s8, v1
	v_min_i16_e32 v4, s9, v7
	s_nop 0
	v_cndmask_b32_e64 v1, 0, v3, s[0:1]
	v_or_b32_e32 v3, 0x500, v0
	v_perm_b32 v4, v4, v1, s3
	v_cmp_gt_i32_e64 s[0:1], s8, v3
	v_min_i16_e32 v3, s9, v10
	s_nop 0
	v_cndmask_b32_e64 v4, v1, v4, s[0:1]
	v_or_b32_e32 v1, 0x600, v0
	v_cmp_gt_i32_e64 s[0:1], s8, v1
	s_nop 1
	v_cndmask_b32_e64 v1, 0, v3, s[0:1]
	v_or_b32_e32 v3, 0x700, v0
	v_perm_b32 v6, v6, v1, s3
	v_cmp_gt_i32_e64 s[0:1], s8, v3
	s_nop 1
	v_cndmask_b32_e64 v1, v1, v6, s[0:1]
	s_and_saveexec_b64 s[0:1], vcc
	s_cbranch_execnz .LBB453_29
; %bb.20:
	s_or_b64 exec, exec, s[0:1]
	v_cmp_gt_i32_e32 vcc, s8, v0
	s_and_saveexec_b64 s[0:1], vcc
	s_cbranch_execnz .LBB453_30
.LBB453_21:
	s_or_b64 exec, exec, s[0:1]
	v_cmp_gt_i32_e32 vcc, s8, v0
	s_and_saveexec_b64 s[0:1], vcc
	s_cbranch_execnz .LBB453_31
.LBB453_22:
	s_or_b64 exec, exec, s[0:1]
	v_cmp_gt_i32_e32 vcc, s8, v0
	s_and_saveexec_b64 s[0:1], vcc
	s_cbranch_execnz .LBB453_32
.LBB453_23:
	s_or_b64 exec, exec, s[0:1]
	v_cmp_gt_i32_e32 vcc, s8, v0
	s_and_saveexec_b64 s[0:1], vcc
	s_cbranch_execnz .LBB453_33
.LBB453_24:
	s_or_b64 exec, exec, s[0:1]
	v_cmp_gt_i32_e32 vcc, s8, v0
	s_and_saveexec_b64 s[0:1], vcc
	s_cbranch_execnz .LBB453_34
.LBB453_25:
	s_or_b64 exec, exec, s[0:1]
	v_cmp_gt_i32_e32 vcc, s8, v0
	s_and_saveexec_b64 s[0:1], vcc
	s_cbranch_execnz .LBB453_35
.LBB453_26:
	s_or_b64 exec, exec, s[0:1]
	v_cmp_gt_i32_e32 vcc, s8, v0
	s_and_saveexec_b64 s[0:1], vcc
	s_cbranch_execz .LBB453_28
.LBB453_27:
	v_add_u32_e32 v2, s2, v0
	v_mov_b32_e32 v3, 0
	v_lshl_add_u64 v[2:3], v[2:3], 1, s[4:5]
	global_store_short_d16_hi v[2:3], v1, off
.LBB453_28:
	s_endpgm
.LBB453_29:
	v_mov_b32_e32 v3, 0
	v_lshl_add_u64 v[2:3], v[2:3], 1, s[4:5]
	v_mov_b32_e32 v0, v12
	global_store_short v[2:3], v11, off
	s_or_b64 exec, exec, s[0:1]
	v_cmp_gt_i32_e32 vcc, s8, v0
	s_and_saveexec_b64 s[0:1], vcc
	s_cbranch_execz .LBB453_21
.LBB453_30:
	v_add_u32_e32 v2, s2, v0
	v_mov_b32_e32 v3, 0
	v_lshl_add_u64 v[2:3], v[2:3], 1, s[4:5]
	v_add_u32_e32 v0, 0x100, v0
	global_store_short_d16_hi v[2:3], v11, off
	s_or_b64 exec, exec, s[0:1]
	v_cmp_gt_i32_e32 vcc, s8, v0
	s_and_saveexec_b64 s[0:1], vcc
	s_cbranch_execz .LBB453_22
.LBB453_31:
	v_add_u32_e32 v2, s2, v0
	v_mov_b32_e32 v3, 0
	v_lshl_add_u64 v[2:3], v[2:3], 1, s[4:5]
	v_add_u32_e32 v0, 0x100, v0
	global_store_short v[2:3], v5, off
	s_or_b64 exec, exec, s[0:1]
	v_cmp_gt_i32_e32 vcc, s8, v0
	s_and_saveexec_b64 s[0:1], vcc
	s_cbranch_execz .LBB453_23
.LBB453_32:
	v_add_u32_e32 v2, s2, v0
	v_mov_b32_e32 v3, 0
	v_lshl_add_u64 v[2:3], v[2:3], 1, s[4:5]
	v_add_u32_e32 v0, 0x100, v0
	global_store_short_d16_hi v[2:3], v5, off
	s_or_b64 exec, exec, s[0:1]
	v_cmp_gt_i32_e32 vcc, s8, v0
	s_and_saveexec_b64 s[0:1], vcc
	s_cbranch_execz .LBB453_24
.LBB453_33:
	v_add_u32_e32 v2, s2, v0
	v_mov_b32_e32 v3, 0
	v_lshl_add_u64 v[2:3], v[2:3], 1, s[4:5]
	v_add_u32_e32 v0, 0x100, v0
	global_store_short v[2:3], v4, off
	s_or_b64 exec, exec, s[0:1]
	v_cmp_gt_i32_e32 vcc, s8, v0
	s_and_saveexec_b64 s[0:1], vcc
	s_cbranch_execz .LBB453_25
.LBB453_34:
	v_add_u32_e32 v2, s2, v0
	v_mov_b32_e32 v3, 0
	v_lshl_add_u64 v[2:3], v[2:3], 1, s[4:5]
	v_add_u32_e32 v0, 0x100, v0
	global_store_short_d16_hi v[2:3], v4, off
	s_or_b64 exec, exec, s[0:1]
	v_cmp_gt_i32_e32 vcc, s8, v0
	s_and_saveexec_b64 s[0:1], vcc
	s_cbranch_execz .LBB453_26
.LBB453_35:
	v_add_u32_e32 v2, s2, v0
	v_mov_b32_e32 v3, 0
	v_lshl_add_u64 v[2:3], v[2:3], 1, s[4:5]
	v_add_u32_e32 v0, 0x100, v0
	global_store_short v[2:3], v1, off
	s_or_b64 exec, exec, s[0:1]
	v_cmp_gt_i32_e32 vcc, s8, v0
	s_and_saveexec_b64 s[0:1], vcc
	s_cbranch_execnz .LBB453_27
	s_branch .LBB453_28
	.section	.rodata,"a",@progbits
	.p2align	6, 0x0
	.amdhsa_kernel _ZN2at6native29vectorized_elementwise_kernelILi2EZZZNS0_21clamp_max_kernel_cudaERNS_18TensorIteratorBaseERKN3c106ScalarEENKUlvE_clEvENKUlvE3_clEvEUlsE_St5arrayIPcLm2EEEEviT0_T1_
		.amdhsa_group_segment_fixed_size 0
		.amdhsa_private_segment_fixed_size 0
		.amdhsa_kernarg_size 24
		.amdhsa_user_sgpr_count 2
		.amdhsa_user_sgpr_dispatch_ptr 0
		.amdhsa_user_sgpr_queue_ptr 0
		.amdhsa_user_sgpr_kernarg_segment_ptr 1
		.amdhsa_user_sgpr_dispatch_id 0
		.amdhsa_user_sgpr_kernarg_preload_length 0
		.amdhsa_user_sgpr_kernarg_preload_offset 0
		.amdhsa_user_sgpr_private_segment_size 0
		.amdhsa_uses_dynamic_stack 0
		.amdhsa_enable_private_segment 0
		.amdhsa_system_sgpr_workgroup_id_x 1
		.amdhsa_system_sgpr_workgroup_id_y 0
		.amdhsa_system_sgpr_workgroup_id_z 0
		.amdhsa_system_sgpr_workgroup_info 0
		.amdhsa_system_vgpr_workitem_id 0
		.amdhsa_next_free_vgpr 14
		.amdhsa_next_free_sgpr 12
		.amdhsa_accum_offset 16
		.amdhsa_reserve_vcc 1
		.amdhsa_float_round_mode_32 0
		.amdhsa_float_round_mode_16_64 0
		.amdhsa_float_denorm_mode_32 3
		.amdhsa_float_denorm_mode_16_64 3
		.amdhsa_dx10_clamp 1
		.amdhsa_ieee_mode 1
		.amdhsa_fp16_overflow 0
		.amdhsa_tg_split 0
		.amdhsa_exception_fp_ieee_invalid_op 0
		.amdhsa_exception_fp_denorm_src 0
		.amdhsa_exception_fp_ieee_div_zero 0
		.amdhsa_exception_fp_ieee_overflow 0
		.amdhsa_exception_fp_ieee_underflow 0
		.amdhsa_exception_fp_ieee_inexact 0
		.amdhsa_exception_int_div_zero 0
	.end_amdhsa_kernel
	.section	.text._ZN2at6native29vectorized_elementwise_kernelILi2EZZZNS0_21clamp_max_kernel_cudaERNS_18TensorIteratorBaseERKN3c106ScalarEENKUlvE_clEvENKUlvE3_clEvEUlsE_St5arrayIPcLm2EEEEviT0_T1_,"axG",@progbits,_ZN2at6native29vectorized_elementwise_kernelILi2EZZZNS0_21clamp_max_kernel_cudaERNS_18TensorIteratorBaseERKN3c106ScalarEENKUlvE_clEvENKUlvE3_clEvEUlsE_St5arrayIPcLm2EEEEviT0_T1_,comdat
.Lfunc_end453:
	.size	_ZN2at6native29vectorized_elementwise_kernelILi2EZZZNS0_21clamp_max_kernel_cudaERNS_18TensorIteratorBaseERKN3c106ScalarEENKUlvE_clEvENKUlvE3_clEvEUlsE_St5arrayIPcLm2EEEEviT0_T1_, .Lfunc_end453-_ZN2at6native29vectorized_elementwise_kernelILi2EZZZNS0_21clamp_max_kernel_cudaERNS_18TensorIteratorBaseERKN3c106ScalarEENKUlvE_clEvENKUlvE3_clEvEUlsE_St5arrayIPcLm2EEEEviT0_T1_
                                        ; -- End function
	.set _ZN2at6native29vectorized_elementwise_kernelILi2EZZZNS0_21clamp_max_kernel_cudaERNS_18TensorIteratorBaseERKN3c106ScalarEENKUlvE_clEvENKUlvE3_clEvEUlsE_St5arrayIPcLm2EEEEviT0_T1_.num_vgpr, 14
	.set _ZN2at6native29vectorized_elementwise_kernelILi2EZZZNS0_21clamp_max_kernel_cudaERNS_18TensorIteratorBaseERKN3c106ScalarEENKUlvE_clEvENKUlvE3_clEvEUlsE_St5arrayIPcLm2EEEEviT0_T1_.num_agpr, 0
	.set _ZN2at6native29vectorized_elementwise_kernelILi2EZZZNS0_21clamp_max_kernel_cudaERNS_18TensorIteratorBaseERKN3c106ScalarEENKUlvE_clEvENKUlvE3_clEvEUlsE_St5arrayIPcLm2EEEEviT0_T1_.numbered_sgpr, 12
	.set _ZN2at6native29vectorized_elementwise_kernelILi2EZZZNS0_21clamp_max_kernel_cudaERNS_18TensorIteratorBaseERKN3c106ScalarEENKUlvE_clEvENKUlvE3_clEvEUlsE_St5arrayIPcLm2EEEEviT0_T1_.num_named_barrier, 0
	.set _ZN2at6native29vectorized_elementwise_kernelILi2EZZZNS0_21clamp_max_kernel_cudaERNS_18TensorIteratorBaseERKN3c106ScalarEENKUlvE_clEvENKUlvE3_clEvEUlsE_St5arrayIPcLm2EEEEviT0_T1_.private_seg_size, 0
	.set _ZN2at6native29vectorized_elementwise_kernelILi2EZZZNS0_21clamp_max_kernel_cudaERNS_18TensorIteratorBaseERKN3c106ScalarEENKUlvE_clEvENKUlvE3_clEvEUlsE_St5arrayIPcLm2EEEEviT0_T1_.uses_vcc, 1
	.set _ZN2at6native29vectorized_elementwise_kernelILi2EZZZNS0_21clamp_max_kernel_cudaERNS_18TensorIteratorBaseERKN3c106ScalarEENKUlvE_clEvENKUlvE3_clEvEUlsE_St5arrayIPcLm2EEEEviT0_T1_.uses_flat_scratch, 0
	.set _ZN2at6native29vectorized_elementwise_kernelILi2EZZZNS0_21clamp_max_kernel_cudaERNS_18TensorIteratorBaseERKN3c106ScalarEENKUlvE_clEvENKUlvE3_clEvEUlsE_St5arrayIPcLm2EEEEviT0_T1_.has_dyn_sized_stack, 0
	.set _ZN2at6native29vectorized_elementwise_kernelILi2EZZZNS0_21clamp_max_kernel_cudaERNS_18TensorIteratorBaseERKN3c106ScalarEENKUlvE_clEvENKUlvE3_clEvEUlsE_St5arrayIPcLm2EEEEviT0_T1_.has_recursion, 0
	.set _ZN2at6native29vectorized_elementwise_kernelILi2EZZZNS0_21clamp_max_kernel_cudaERNS_18TensorIteratorBaseERKN3c106ScalarEENKUlvE_clEvENKUlvE3_clEvEUlsE_St5arrayIPcLm2EEEEviT0_T1_.has_indirect_call, 0
	.section	.AMDGPU.csdata,"",@progbits
; Kernel info:
; codeLenInByte = 1388
; TotalNumSgprs: 18
; NumVgprs: 14
; NumAgprs: 0
; TotalNumVgprs: 14
; ScratchSize: 0
; MemoryBound: 0
; FloatMode: 240
; IeeeMode: 1
; LDSByteSize: 0 bytes/workgroup (compile time only)
; SGPRBlocks: 2
; VGPRBlocks: 1
; NumSGPRsForWavesPerEU: 18
; NumVGPRsForWavesPerEU: 14
; AccumOffset: 16
; Occupancy: 8
; WaveLimiterHint : 1
; COMPUTE_PGM_RSRC2:SCRATCH_EN: 0
; COMPUTE_PGM_RSRC2:USER_SGPR: 2
; COMPUTE_PGM_RSRC2:TRAP_HANDLER: 0
; COMPUTE_PGM_RSRC2:TGID_X_EN: 1
; COMPUTE_PGM_RSRC2:TGID_Y_EN: 0
; COMPUTE_PGM_RSRC2:TGID_Z_EN: 0
; COMPUTE_PGM_RSRC2:TIDIG_COMP_CNT: 0
; COMPUTE_PGM_RSRC3_GFX90A:ACCUM_OFFSET: 3
; COMPUTE_PGM_RSRC3_GFX90A:TG_SPLIT: 0
	.section	.text._ZN2at6native27unrolled_elementwise_kernelIZZZNS0_21clamp_max_kernel_cudaERNS_18TensorIteratorBaseERKN3c106ScalarEENKUlvE_clEvENKUlvE3_clEvEUlsE_St5arrayIPcLm2EELi4E23TrivialOffsetCalculatorILi1EjESF_NS0_6memory15LoadWithoutCastENSG_16StoreWithoutCastEEEviT_T0_T2_T3_T4_T5_,"axG",@progbits,_ZN2at6native27unrolled_elementwise_kernelIZZZNS0_21clamp_max_kernel_cudaERNS_18TensorIteratorBaseERKN3c106ScalarEENKUlvE_clEvENKUlvE3_clEvEUlsE_St5arrayIPcLm2EELi4E23TrivialOffsetCalculatorILi1EjESF_NS0_6memory15LoadWithoutCastENSG_16StoreWithoutCastEEEviT_T0_T2_T3_T4_T5_,comdat
	.globl	_ZN2at6native27unrolled_elementwise_kernelIZZZNS0_21clamp_max_kernel_cudaERNS_18TensorIteratorBaseERKN3c106ScalarEENKUlvE_clEvENKUlvE3_clEvEUlsE_St5arrayIPcLm2EELi4E23TrivialOffsetCalculatorILi1EjESF_NS0_6memory15LoadWithoutCastENSG_16StoreWithoutCastEEEviT_T0_T2_T3_T4_T5_ ; -- Begin function _ZN2at6native27unrolled_elementwise_kernelIZZZNS0_21clamp_max_kernel_cudaERNS_18TensorIteratorBaseERKN3c106ScalarEENKUlvE_clEvENKUlvE3_clEvEUlsE_St5arrayIPcLm2EELi4E23TrivialOffsetCalculatorILi1EjESF_NS0_6memory15LoadWithoutCastENSG_16StoreWithoutCastEEEviT_T0_T2_T3_T4_T5_
	.p2align	8
	.type	_ZN2at6native27unrolled_elementwise_kernelIZZZNS0_21clamp_max_kernel_cudaERNS_18TensorIteratorBaseERKN3c106ScalarEENKUlvE_clEvENKUlvE3_clEvEUlsE_St5arrayIPcLm2EELi4E23TrivialOffsetCalculatorILi1EjESF_NS0_6memory15LoadWithoutCastENSG_16StoreWithoutCastEEEviT_T0_T2_T3_T4_T5_,@function
_ZN2at6native27unrolled_elementwise_kernelIZZZNS0_21clamp_max_kernel_cudaERNS_18TensorIteratorBaseERKN3c106ScalarEENKUlvE_clEvENKUlvE3_clEvEUlsE_St5arrayIPcLm2EELi4E23TrivialOffsetCalculatorILi1EjESF_NS0_6memory15LoadWithoutCastENSG_16StoreWithoutCastEEEviT_T0_T2_T3_T4_T5_: ; @_ZN2at6native27unrolled_elementwise_kernelIZZZNS0_21clamp_max_kernel_cudaERNS_18TensorIteratorBaseERKN3c106ScalarEENKUlvE_clEvENKUlvE3_clEvEUlsE_St5arrayIPcLm2EELi4E23TrivialOffsetCalculatorILi1EjESF_NS0_6memory15LoadWithoutCastENSG_16StoreWithoutCastEEEviT_T0_T2_T3_T4_T5_
; %bb.0:
	s_load_dwordx2 s[8:9], s[0:1], 0x0
	s_load_dwordx4 s[4:7], s[0:1], 0x8
	s_lshl_b32 s10, s2, 10
	v_mov_b32_e32 v1, 0
	v_or_b32_e32 v2, s10, v0
	s_waitcnt lgkmcnt(0)
	s_sub_i32 s8, s8, s10
	v_cmp_gt_i32_e32 vcc, s8, v0
	v_mov_b32_e32 v3, 0
	v_mov_b32_e32 v4, v0
	s_and_saveexec_b64 s[0:1], vcc
	s_cbranch_execz .LBB454_2
; %bb.1:
	v_mov_b32_e32 v3, 0
	v_lshl_add_u64 v[4:5], v[2:3], 1, s[6:7]
	global_load_ushort v3, v[4:5], off
	v_or_b32_e32 v4, 0x100, v0
.LBB454_2:
	s_or_b64 exec, exec, s[0:1]
	v_cmp_gt_i32_e64 s[0:1], s8, v4
	s_and_saveexec_b64 s[2:3], s[0:1]
	s_cbranch_execz .LBB454_4
; %bb.3:
	v_add_u32_e32 v6, s10, v4
	v_mov_b32_e32 v7, 0
	v_lshl_add_u64 v[6:7], v[6:7], 1, s[6:7]
	global_load_ushort v1, v[6:7], off
	v_add_u32_e32 v4, 0x100, v4
.LBB454_4:
	s_or_b64 exec, exec, s[2:3]
	v_cmp_gt_i32_e64 s[0:1], s8, v4
	v_mov_b32_e32 v5, 0
	v_mov_b32_e32 v6, 0
	s_and_saveexec_b64 s[2:3], s[0:1]
	s_cbranch_execz .LBB454_6
; %bb.5:
	v_add_u32_e32 v6, s10, v4
	v_mov_b32_e32 v7, 0
	v_lshl_add_u64 v[6:7], v[6:7], 1, s[6:7]
	global_load_ushort v6, v[6:7], off
	v_add_u32_e32 v4, 0x100, v4
.LBB454_6:
	s_or_b64 exec, exec, s[2:3]
	v_cmp_gt_i32_e64 s[0:1], s8, v4
	s_and_saveexec_b64 s[2:3], s[0:1]
	s_cbranch_execz .LBB454_8
; %bb.7:
	v_add_u32_e32 v4, s10, v4
	v_mov_b32_e32 v5, 0
	v_lshl_add_u64 v[4:5], v[4:5], 1, s[6:7]
	global_load_ushort v5, v[4:5], off
.LBB454_8:
	s_or_b64 exec, exec, s[2:3]
	s_waitcnt vmcnt(0)
	v_min_i16_e32 v3, s9, v3
	v_cndmask_b32_e32 v3, 0, v3, vcc
	v_or_b32_e32 v7, 0x100, v0
	v_min_i16_e32 v1, s9, v1
	s_mov_b32 s2, 0x5040100
	v_perm_b32 v1, v1, v3, s2
	v_cmp_gt_i32_e64 s[0:1], s8, v7
	v_min_i16_e32 v5, s9, v5
	s_nop 0
	v_cndmask_b32_e64 v4, v3, v1, s[0:1]
	v_or_b32_e32 v1, 0x200, v0
	v_min_i16_e32 v3, s9, v6
	v_cmp_gt_i32_e64 s[0:1], s8, v1
	s_nop 1
	v_cndmask_b32_e64 v1, 0, v3, s[0:1]
	v_or_b32_e32 v3, 0x300, v0
	v_perm_b32 v5, v5, v1, s2
	v_cmp_gt_i32_e64 s[0:1], s8, v3
	s_nop 1
	v_cndmask_b32_e64 v1, v1, v5, s[0:1]
	s_and_saveexec_b64 s[0:1], vcc
	s_cbranch_execnz .LBB454_13
; %bb.9:
	s_or_b64 exec, exec, s[0:1]
	v_cmp_gt_i32_e32 vcc, s8, v0
	s_and_saveexec_b64 s[0:1], vcc
	s_cbranch_execnz .LBB454_14
.LBB454_10:
	s_or_b64 exec, exec, s[0:1]
	v_cmp_gt_i32_e32 vcc, s8, v0
	s_and_saveexec_b64 s[0:1], vcc
	s_cbranch_execnz .LBB454_15
.LBB454_11:
	s_or_b64 exec, exec, s[0:1]
	v_cmp_gt_i32_e32 vcc, s8, v0
	s_and_saveexec_b64 s[0:1], vcc
	s_cbranch_execnz .LBB454_16
.LBB454_12:
	s_endpgm
.LBB454_13:
	v_mov_b32_e32 v3, 0
	v_lshl_add_u64 v[2:3], v[2:3], 1, s[4:5]
	v_mov_b32_e32 v0, v7
	global_store_short v[2:3], v4, off
	s_or_b64 exec, exec, s[0:1]
	v_cmp_gt_i32_e32 vcc, s8, v0
	s_and_saveexec_b64 s[0:1], vcc
	s_cbranch_execz .LBB454_10
.LBB454_14:
	v_add_u32_e32 v5, 0x100, v0
	v_add_u32_e32 v2, s10, v0
	v_mov_b32_e32 v3, 0
	v_lshl_add_u64 v[2:3], v[2:3], 1, s[4:5]
	v_mov_b32_e32 v0, v5
	global_store_short_d16_hi v[2:3], v4, off
	s_or_b64 exec, exec, s[0:1]
	v_cmp_gt_i32_e32 vcc, s8, v0
	s_and_saveexec_b64 s[0:1], vcc
	s_cbranch_execz .LBB454_11
.LBB454_15:
	v_add_u32_e32 v4, 0x100, v0
	v_add_u32_e32 v2, s10, v0
	v_mov_b32_e32 v3, 0
	v_lshl_add_u64 v[2:3], v[2:3], 1, s[4:5]
	v_mov_b32_e32 v0, v4
	global_store_short v[2:3], v1, off
	s_or_b64 exec, exec, s[0:1]
	v_cmp_gt_i32_e32 vcc, s8, v0
	s_and_saveexec_b64 s[0:1], vcc
	s_cbranch_execz .LBB454_12
.LBB454_16:
	v_add_u32_e32 v2, s10, v0
	v_mov_b32_e32 v3, 0
	v_lshl_add_u64 v[2:3], v[2:3], 1, s[4:5]
	global_store_short_d16_hi v[2:3], v1, off
	s_endpgm
	.section	.rodata,"a",@progbits
	.p2align	6, 0x0
	.amdhsa_kernel _ZN2at6native27unrolled_elementwise_kernelIZZZNS0_21clamp_max_kernel_cudaERNS_18TensorIteratorBaseERKN3c106ScalarEENKUlvE_clEvENKUlvE3_clEvEUlsE_St5arrayIPcLm2EELi4E23TrivialOffsetCalculatorILi1EjESF_NS0_6memory15LoadWithoutCastENSG_16StoreWithoutCastEEEviT_T0_T2_T3_T4_T5_
		.amdhsa_group_segment_fixed_size 0
		.amdhsa_private_segment_fixed_size 0
		.amdhsa_kernarg_size 28
		.amdhsa_user_sgpr_count 2
		.amdhsa_user_sgpr_dispatch_ptr 0
		.amdhsa_user_sgpr_queue_ptr 0
		.amdhsa_user_sgpr_kernarg_segment_ptr 1
		.amdhsa_user_sgpr_dispatch_id 0
		.amdhsa_user_sgpr_kernarg_preload_length 0
		.amdhsa_user_sgpr_kernarg_preload_offset 0
		.amdhsa_user_sgpr_private_segment_size 0
		.amdhsa_uses_dynamic_stack 0
		.amdhsa_enable_private_segment 0
		.amdhsa_system_sgpr_workgroup_id_x 1
		.amdhsa_system_sgpr_workgroup_id_y 0
		.amdhsa_system_sgpr_workgroup_id_z 0
		.amdhsa_system_sgpr_workgroup_info 0
		.amdhsa_system_vgpr_workitem_id 0
		.amdhsa_next_free_vgpr 8
		.amdhsa_next_free_sgpr 11
		.amdhsa_accum_offset 8
		.amdhsa_reserve_vcc 1
		.amdhsa_float_round_mode_32 0
		.amdhsa_float_round_mode_16_64 0
		.amdhsa_float_denorm_mode_32 3
		.amdhsa_float_denorm_mode_16_64 3
		.amdhsa_dx10_clamp 1
		.amdhsa_ieee_mode 1
		.amdhsa_fp16_overflow 0
		.amdhsa_tg_split 0
		.amdhsa_exception_fp_ieee_invalid_op 0
		.amdhsa_exception_fp_denorm_src 0
		.amdhsa_exception_fp_ieee_div_zero 0
		.amdhsa_exception_fp_ieee_overflow 0
		.amdhsa_exception_fp_ieee_underflow 0
		.amdhsa_exception_fp_ieee_inexact 0
		.amdhsa_exception_int_div_zero 0
	.end_amdhsa_kernel
	.section	.text._ZN2at6native27unrolled_elementwise_kernelIZZZNS0_21clamp_max_kernel_cudaERNS_18TensorIteratorBaseERKN3c106ScalarEENKUlvE_clEvENKUlvE3_clEvEUlsE_St5arrayIPcLm2EELi4E23TrivialOffsetCalculatorILi1EjESF_NS0_6memory15LoadWithoutCastENSG_16StoreWithoutCastEEEviT_T0_T2_T3_T4_T5_,"axG",@progbits,_ZN2at6native27unrolled_elementwise_kernelIZZZNS0_21clamp_max_kernel_cudaERNS_18TensorIteratorBaseERKN3c106ScalarEENKUlvE_clEvENKUlvE3_clEvEUlsE_St5arrayIPcLm2EELi4E23TrivialOffsetCalculatorILi1EjESF_NS0_6memory15LoadWithoutCastENSG_16StoreWithoutCastEEEviT_T0_T2_T3_T4_T5_,comdat
.Lfunc_end454:
	.size	_ZN2at6native27unrolled_elementwise_kernelIZZZNS0_21clamp_max_kernel_cudaERNS_18TensorIteratorBaseERKN3c106ScalarEENKUlvE_clEvENKUlvE3_clEvEUlsE_St5arrayIPcLm2EELi4E23TrivialOffsetCalculatorILi1EjESF_NS0_6memory15LoadWithoutCastENSG_16StoreWithoutCastEEEviT_T0_T2_T3_T4_T5_, .Lfunc_end454-_ZN2at6native27unrolled_elementwise_kernelIZZZNS0_21clamp_max_kernel_cudaERNS_18TensorIteratorBaseERKN3c106ScalarEENKUlvE_clEvENKUlvE3_clEvEUlsE_St5arrayIPcLm2EELi4E23TrivialOffsetCalculatorILi1EjESF_NS0_6memory15LoadWithoutCastENSG_16StoreWithoutCastEEEviT_T0_T2_T3_T4_T5_
                                        ; -- End function
	.set _ZN2at6native27unrolled_elementwise_kernelIZZZNS0_21clamp_max_kernel_cudaERNS_18TensorIteratorBaseERKN3c106ScalarEENKUlvE_clEvENKUlvE3_clEvEUlsE_St5arrayIPcLm2EELi4E23TrivialOffsetCalculatorILi1EjESF_NS0_6memory15LoadWithoutCastENSG_16StoreWithoutCastEEEviT_T0_T2_T3_T4_T5_.num_vgpr, 8
	.set _ZN2at6native27unrolled_elementwise_kernelIZZZNS0_21clamp_max_kernel_cudaERNS_18TensorIteratorBaseERKN3c106ScalarEENKUlvE_clEvENKUlvE3_clEvEUlsE_St5arrayIPcLm2EELi4E23TrivialOffsetCalculatorILi1EjESF_NS0_6memory15LoadWithoutCastENSG_16StoreWithoutCastEEEviT_T0_T2_T3_T4_T5_.num_agpr, 0
	.set _ZN2at6native27unrolled_elementwise_kernelIZZZNS0_21clamp_max_kernel_cudaERNS_18TensorIteratorBaseERKN3c106ScalarEENKUlvE_clEvENKUlvE3_clEvEUlsE_St5arrayIPcLm2EELi4E23TrivialOffsetCalculatorILi1EjESF_NS0_6memory15LoadWithoutCastENSG_16StoreWithoutCastEEEviT_T0_T2_T3_T4_T5_.numbered_sgpr, 11
	.set _ZN2at6native27unrolled_elementwise_kernelIZZZNS0_21clamp_max_kernel_cudaERNS_18TensorIteratorBaseERKN3c106ScalarEENKUlvE_clEvENKUlvE3_clEvEUlsE_St5arrayIPcLm2EELi4E23TrivialOffsetCalculatorILi1EjESF_NS0_6memory15LoadWithoutCastENSG_16StoreWithoutCastEEEviT_T0_T2_T3_T4_T5_.num_named_barrier, 0
	.set _ZN2at6native27unrolled_elementwise_kernelIZZZNS0_21clamp_max_kernel_cudaERNS_18TensorIteratorBaseERKN3c106ScalarEENKUlvE_clEvENKUlvE3_clEvEUlsE_St5arrayIPcLm2EELi4E23TrivialOffsetCalculatorILi1EjESF_NS0_6memory15LoadWithoutCastENSG_16StoreWithoutCastEEEviT_T0_T2_T3_T4_T5_.private_seg_size, 0
	.set _ZN2at6native27unrolled_elementwise_kernelIZZZNS0_21clamp_max_kernel_cudaERNS_18TensorIteratorBaseERKN3c106ScalarEENKUlvE_clEvENKUlvE3_clEvEUlsE_St5arrayIPcLm2EELi4E23TrivialOffsetCalculatorILi1EjESF_NS0_6memory15LoadWithoutCastENSG_16StoreWithoutCastEEEviT_T0_T2_T3_T4_T5_.uses_vcc, 1
	.set _ZN2at6native27unrolled_elementwise_kernelIZZZNS0_21clamp_max_kernel_cudaERNS_18TensorIteratorBaseERKN3c106ScalarEENKUlvE_clEvENKUlvE3_clEvEUlsE_St5arrayIPcLm2EELi4E23TrivialOffsetCalculatorILi1EjESF_NS0_6memory15LoadWithoutCastENSG_16StoreWithoutCastEEEviT_T0_T2_T3_T4_T5_.uses_flat_scratch, 0
	.set _ZN2at6native27unrolled_elementwise_kernelIZZZNS0_21clamp_max_kernel_cudaERNS_18TensorIteratorBaseERKN3c106ScalarEENKUlvE_clEvENKUlvE3_clEvEUlsE_St5arrayIPcLm2EELi4E23TrivialOffsetCalculatorILi1EjESF_NS0_6memory15LoadWithoutCastENSG_16StoreWithoutCastEEEviT_T0_T2_T3_T4_T5_.has_dyn_sized_stack, 0
	.set _ZN2at6native27unrolled_elementwise_kernelIZZZNS0_21clamp_max_kernel_cudaERNS_18TensorIteratorBaseERKN3c106ScalarEENKUlvE_clEvENKUlvE3_clEvEUlsE_St5arrayIPcLm2EELi4E23TrivialOffsetCalculatorILi1EjESF_NS0_6memory15LoadWithoutCastENSG_16StoreWithoutCastEEEviT_T0_T2_T3_T4_T5_.has_recursion, 0
	.set _ZN2at6native27unrolled_elementwise_kernelIZZZNS0_21clamp_max_kernel_cudaERNS_18TensorIteratorBaseERKN3c106ScalarEENKUlvE_clEvENKUlvE3_clEvEUlsE_St5arrayIPcLm2EELi4E23TrivialOffsetCalculatorILi1EjESF_NS0_6memory15LoadWithoutCastENSG_16StoreWithoutCastEEEviT_T0_T2_T3_T4_T5_.has_indirect_call, 0
	.section	.AMDGPU.csdata,"",@progbits
; Kernel info:
; codeLenInByte = 608
; TotalNumSgprs: 17
; NumVgprs: 8
; NumAgprs: 0
; TotalNumVgprs: 8
; ScratchSize: 0
; MemoryBound: 0
; FloatMode: 240
; IeeeMode: 1
; LDSByteSize: 0 bytes/workgroup (compile time only)
; SGPRBlocks: 2
; VGPRBlocks: 0
; NumSGPRsForWavesPerEU: 17
; NumVGPRsForWavesPerEU: 8
; AccumOffset: 8
; Occupancy: 8
; WaveLimiterHint : 0
; COMPUTE_PGM_RSRC2:SCRATCH_EN: 0
; COMPUTE_PGM_RSRC2:USER_SGPR: 2
; COMPUTE_PGM_RSRC2:TRAP_HANDLER: 0
; COMPUTE_PGM_RSRC2:TGID_X_EN: 1
; COMPUTE_PGM_RSRC2:TGID_Y_EN: 0
; COMPUTE_PGM_RSRC2:TGID_Z_EN: 0
; COMPUTE_PGM_RSRC2:TIDIG_COMP_CNT: 0
; COMPUTE_PGM_RSRC3_GFX90A:ACCUM_OFFSET: 1
; COMPUTE_PGM_RSRC3_GFX90A:TG_SPLIT: 0
	.section	.text._ZN2at6native32elementwise_kernel_manual_unrollILi128ELi8EZNS0_22gpu_kernel_impl_nocastIZZZNS0_21clamp_max_kernel_cudaERNS_18TensorIteratorBaseERKN3c106ScalarEENKUlvE_clEvENKUlvE3_clEvEUlsE_EEvS4_RKT_EUlibE_EEviT1_,"axG",@progbits,_ZN2at6native32elementwise_kernel_manual_unrollILi128ELi8EZNS0_22gpu_kernel_impl_nocastIZZZNS0_21clamp_max_kernel_cudaERNS_18TensorIteratorBaseERKN3c106ScalarEENKUlvE_clEvENKUlvE3_clEvEUlsE_EEvS4_RKT_EUlibE_EEviT1_,comdat
	.globl	_ZN2at6native32elementwise_kernel_manual_unrollILi128ELi8EZNS0_22gpu_kernel_impl_nocastIZZZNS0_21clamp_max_kernel_cudaERNS_18TensorIteratorBaseERKN3c106ScalarEENKUlvE_clEvENKUlvE3_clEvEUlsE_EEvS4_RKT_EUlibE_EEviT1_ ; -- Begin function _ZN2at6native32elementwise_kernel_manual_unrollILi128ELi8EZNS0_22gpu_kernel_impl_nocastIZZZNS0_21clamp_max_kernel_cudaERNS_18TensorIteratorBaseERKN3c106ScalarEENKUlvE_clEvENKUlvE3_clEvEUlsE_EEvS4_RKT_EUlibE_EEviT1_
	.p2align	8
	.type	_ZN2at6native32elementwise_kernel_manual_unrollILi128ELi8EZNS0_22gpu_kernel_impl_nocastIZZZNS0_21clamp_max_kernel_cudaERNS_18TensorIteratorBaseERKN3c106ScalarEENKUlvE_clEvENKUlvE3_clEvEUlsE_EEvS4_RKT_EUlibE_EEviT1_,@function
_ZN2at6native32elementwise_kernel_manual_unrollILi128ELi8EZNS0_22gpu_kernel_impl_nocastIZZZNS0_21clamp_max_kernel_cudaERNS_18TensorIteratorBaseERKN3c106ScalarEENKUlvE_clEvENKUlvE3_clEvEUlsE_EEvS4_RKT_EUlibE_EEviT1_: ; @_ZN2at6native32elementwise_kernel_manual_unrollILi128ELi8EZNS0_22gpu_kernel_impl_nocastIZZZNS0_21clamp_max_kernel_cudaERNS_18TensorIteratorBaseERKN3c106ScalarEENKUlvE_clEvENKUlvE3_clEvEUlsE_EEvS4_RKT_EUlibE_EEviT1_
; %bb.0:
	s_load_dword s56, s[0:1], 0x0
	s_load_dword s33, s[0:1], 0x8
	s_add_u32 s34, s0, 8
	s_addc_u32 s35, s1, 0
	v_lshl_or_b32 v24, s2, 10, v0
	v_or_b32_e32 v32, 0x380, v24
	s_waitcnt lgkmcnt(0)
	s_add_i32 s54, s33, -1
	s_cmp_gt_u32 s54, 1
	v_cmp_le_i32_e32 vcc, s56, v32
	s_cselect_b64 s[36:37], -1, 0
	s_and_saveexec_b64 s[0:1], vcc
	s_xor_b64 s[38:39], exec, s[0:1]
	s_cbranch_execz .LBB455_8
; %bb.1:
	s_load_dwordx4 s[24:27], s[34:35], 0x4
	s_load_dwordx2 s[40:41], s[34:35], 0x14
	s_load_dwordx4 s[20:23], s[34:35], 0xc4
	s_load_dwordx4 s[16:19], s[34:35], 0x148
	s_load_dword s55, s[34:35], 0x158
	s_cmp_lg_u32 s33, 0
	s_cselect_b64 s[46:47], -1, 0
	s_add_u32 s44, s34, 0xc4
	s_addc_u32 s45, s35, 0
	s_min_u32 s57, s54, 15
	s_cmp_gt_u32 s33, 1
	s_cselect_b64 s[42:43], -1, 0
	v_cmp_gt_i32_e32 vcc, s56, v24
	s_and_saveexec_b64 s[48:49], vcc
	s_cbranch_execz .LBB455_15
; %bb.2:
	s_andn2_b64 vcc, exec, s[36:37]
	s_cbranch_vccnz .LBB455_23
; %bb.3:
	s_andn2_b64 vcc, exec, s[46:47]
	s_cbranch_vccnz .LBB455_131
; %bb.4:
	s_add_i32 s59, s57, 1
	s_cmp_eq_u32 s54, 2
	s_cbranch_scc1 .LBB455_133
; %bb.5:
	s_and_b32 s58, s59, 28
	s_mov_b32 s60, 0
	v_mov_b32_e32 v0, 0
	v_mov_b32_e32 v2, 0
	s_mov_b64 s[50:51], s[34:35]
	s_mov_b64 s[52:53], s[44:45]
	v_mov_b32_e32 v4, v24
.LBB455_6:                              ; =>This Inner Loop Header: Depth=1
	s_load_dwordx8 s[8:15], s[50:51], 0x4
	s_load_dwordx4 s[28:31], s[50:51], 0x24
	s_load_dwordx8 s[0:7], s[52:53], 0x0
	s_add_u32 s50, s50, 48
	s_addc_u32 s51, s51, 0
	s_waitcnt lgkmcnt(0)
	v_mul_hi_u32 v1, s9, v4
	v_add_u32_e32 v1, v4, v1
	v_lshrrev_b32_e32 v1, s10, v1
	v_mul_lo_u32 v3, v1, s8
	v_mul_hi_u32 v5, s12, v1
	v_sub_u32_e32 v3, v4, v3
	v_add_u32_e32 v4, v1, v5
	v_lshrrev_b32_e32 v4, s13, v4
	v_mul_lo_u32 v6, v4, s11
	v_mul_hi_u32 v7, s15, v4
	v_sub_u32_e32 v1, v1, v6
	v_add_u32_e32 v6, v4, v7
	v_mul_lo_u32 v5, v3, s1
	v_mul_lo_u32 v3, v3, s0
	;; [unrolled: 1-line block ×4, first 2 shown]
	v_lshrrev_b32_e32 v6, s28, v6
	v_add3_u32 v0, v3, v0, v1
	v_mul_hi_u32 v3, s30, v6
	v_add3_u32 v1, v5, v2, v7
	v_mul_lo_u32 v2, v6, s14
	v_add_u32_e32 v3, v6, v3
	v_sub_u32_e32 v2, v4, v2
	v_lshrrev_b32_e32 v4, s31, v3
	s_add_i32 s60, s60, 4
	v_mul_lo_u32 v3, v4, s29
	s_add_u32 s52, s52, 32
	v_sub_u32_e32 v3, v6, v3
	s_addc_u32 s53, s53, 0
	v_mul_lo_u32 v5, v2, s4
	v_mul_lo_u32 v2, v2, s5
	;; [unrolled: 1-line block ×4, first 2 shown]
	s_cmp_lg_u32 s58, s60
	v_add3_u32 v2, v2, v1, v3
	v_add3_u32 v0, v5, v0, v6
	s_cbranch_scc1 .LBB455_6
; %bb.7:
	v_mov_b32_e32 v1, v2
	s_branch .LBB455_134
.LBB455_8:
	s_andn2_saveexec_b64 s[0:1], s[38:39]
	s_cbranch_execz .LBB455_228
.LBB455_9:
	v_cndmask_b32_e64 v0, 0, 1, s[36:37]
	v_cmp_ne_u32_e64 s[0:1], 1, v0
	s_andn2_b64 vcc, exec, s[36:37]
	s_cbranch_vccnz .LBB455_22
; %bb.10:
	s_cmp_lg_u32 s33, 0
	s_waitcnt lgkmcnt(0)
	s_mov_b32 s26, 0
	s_cbranch_scc0 .LBB455_25
; %bb.11:
	s_min_u32 s27, s54, 15
	s_add_i32 s27, s27, 1
	s_cmp_eq_u32 s54, 2
	s_cbranch_scc1 .LBB455_26
; %bb.12:
	s_and_b32 s26, s27, 28
	s_add_u32 s2, s34, 0xc4
	s_addc_u32 s3, s35, 0
	s_mov_b32 s28, 0
	v_mov_b32_e32 v0, 0
	v_mov_b32_e32 v2, 0
	s_mov_b64 s[24:25], s[34:35]
	v_mov_b32_e32 v4, v24
.LBB455_13:                             ; =>This Inner Loop Header: Depth=1
	s_load_dwordx8 s[12:19], s[24:25], 0x4
	s_load_dwordx4 s[20:23], s[24:25], 0x24
	s_load_dwordx8 s[4:11], s[2:3], 0x0
	s_add_u32 s24, s24, 48
	s_addc_u32 s25, s25, 0
	s_waitcnt lgkmcnt(0)
	v_mul_hi_u32 v1, s13, v4
	v_add_u32_e32 v1, v4, v1
	v_lshrrev_b32_e32 v1, s14, v1
	v_mul_lo_u32 v3, v1, s12
	v_mul_hi_u32 v5, s16, v1
	v_sub_u32_e32 v3, v4, v3
	v_add_u32_e32 v4, v1, v5
	v_lshrrev_b32_e32 v4, s17, v4
	v_mul_lo_u32 v6, v4, s15
	v_mul_hi_u32 v7, s19, v4
	v_sub_u32_e32 v1, v1, v6
	v_add_u32_e32 v6, v4, v7
	v_mul_lo_u32 v5, v3, s5
	v_mul_lo_u32 v3, v3, s4
	;; [unrolled: 1-line block ×4, first 2 shown]
	v_lshrrev_b32_e32 v6, s20, v6
	v_add3_u32 v0, v3, v0, v1
	v_mul_hi_u32 v3, s22, v6
	v_add3_u32 v1, v5, v2, v7
	v_mul_lo_u32 v2, v6, s18
	v_add_u32_e32 v3, v6, v3
	v_sub_u32_e32 v2, v4, v2
	v_lshrrev_b32_e32 v4, s23, v3
	s_add_i32 s28, s28, 4
	v_mul_lo_u32 v3, v4, s21
	s_add_u32 s2, s2, 32
	v_sub_u32_e32 v3, v6, v3
	s_addc_u32 s3, s3, 0
	v_mul_lo_u32 v5, v2, s8
	v_mul_lo_u32 v2, v2, s9
	;; [unrolled: 1-line block ×4, first 2 shown]
	s_cmp_lg_u32 s26, s28
	v_add3_u32 v2, v2, v1, v3
	v_add3_u32 v0, v5, v0, v6
	s_cbranch_scc1 .LBB455_13
; %bb.14:
	v_mov_b32_e32 v1, v2
	s_and_b32 s6, s27, 3
	s_cmp_eq_u32 s6, 0
	s_cbranch_scc0 .LBB455_27
	s_branch .LBB455_29
.LBB455_15:
	s_or_b64 exec, exec, s[48:49]
	v_cmp_gt_i32_e32 vcc, s56, v24
	s_and_saveexec_b64 s[48:49], vcc
	s_cbranch_execz .LBB455_141
.LBB455_16:
	s_andn2_b64 vcc, exec, s[36:37]
	s_cbranch_vccnz .LBB455_24
; %bb.17:
	s_andn2_b64 vcc, exec, s[46:47]
	s_cbranch_vccnz .LBB455_132
; %bb.18:
	s_add_i32 s59, s57, 1
	s_cmp_eq_u32 s54, 2
	s_cbranch_scc1 .LBB455_150
; %bb.19:
	s_and_b32 s58, s59, 28
	s_mov_b32 s60, 0
	v_mov_b32_e32 v0, 0
	v_mov_b32_e32 v2, 0
	s_mov_b64 s[50:51], s[34:35]
	s_mov_b64 s[52:53], s[44:45]
	v_mov_b32_e32 v4, v24
.LBB455_20:                             ; =>This Inner Loop Header: Depth=1
	s_load_dwordx8 s[8:15], s[50:51], 0x4
	s_load_dwordx4 s[28:31], s[50:51], 0x24
	s_load_dwordx8 s[0:7], s[52:53], 0x0
	s_add_u32 s50, s50, 48
	s_addc_u32 s51, s51, 0
	s_waitcnt lgkmcnt(0)
	v_mul_hi_u32 v1, s9, v4
	v_add_u32_e32 v1, v4, v1
	v_lshrrev_b32_e32 v1, s10, v1
	v_mul_lo_u32 v3, v1, s8
	v_mul_hi_u32 v5, s12, v1
	v_sub_u32_e32 v3, v4, v3
	v_add_u32_e32 v4, v1, v5
	v_lshrrev_b32_e32 v4, s13, v4
	v_mul_lo_u32 v6, v4, s11
	v_mul_hi_u32 v7, s15, v4
	v_sub_u32_e32 v1, v1, v6
	v_add_u32_e32 v6, v4, v7
	v_mul_lo_u32 v5, v3, s1
	v_mul_lo_u32 v3, v3, s0
	;; [unrolled: 1-line block ×4, first 2 shown]
	v_lshrrev_b32_e32 v6, s28, v6
	v_add3_u32 v0, v3, v0, v1
	v_mul_hi_u32 v3, s30, v6
	v_add3_u32 v1, v5, v2, v7
	v_mul_lo_u32 v2, v6, s14
	v_add_u32_e32 v3, v6, v3
	v_sub_u32_e32 v2, v4, v2
	v_lshrrev_b32_e32 v4, s31, v3
	s_add_i32 s60, s60, 4
	v_mul_lo_u32 v3, v4, s29
	s_add_u32 s52, s52, 32
	v_sub_u32_e32 v3, v6, v3
	s_addc_u32 s53, s53, 0
	v_mul_lo_u32 v5, v2, s4
	v_mul_lo_u32 v2, v2, s5
	;; [unrolled: 1-line block ×4, first 2 shown]
	s_cmp_eq_u32 s58, s60
	v_add3_u32 v2, v2, v1, v3
	v_add3_u32 v0, v5, v0, v6
	s_cbranch_scc0 .LBB455_20
; %bb.21:
	v_mov_b32_e32 v1, v2
	s_branch .LBB455_151
.LBB455_22:
                                        ; implicit-def: $vgpr2
                                        ; implicit-def: $vgpr0
	s_branch .LBB455_30
.LBB455_23:
                                        ; implicit-def: $vgpr2
                                        ; implicit-def: $vgpr0
	s_branch .LBB455_138
.LBB455_24:
                                        ; implicit-def: $vgpr2
                                        ; implicit-def: $vgpr0
	s_branch .LBB455_155
.LBB455_25:
	v_mov_b32_e32 v2, 0
	v_mov_b32_e32 v0, 0
	s_branch .LBB455_29
.LBB455_26:
	v_mov_b32_e32 v0, 0
                                        ; implicit-def: $vgpr2
	v_mov_b32_e32 v1, v0
	v_mov_b32_e32 v4, v24
	s_and_b32 s6, s27, 3
	s_cmp_eq_u32 s6, 0
	s_cbranch_scc1 .LBB455_29
.LBB455_27:
	s_lshl_b32 s2, s26, 3
	s_add_u32 s2, s34, s2
	s_addc_u32 s3, s35, 0
	s_add_u32 s2, s2, 0xc4
	s_addc_u32 s3, s3, 0
	s_mul_i32 s4, s26, 12
	s_add_u32 s4, s34, s4
	s_addc_u32 s5, s35, 0
.LBB455_28:                             ; =>This Inner Loop Header: Depth=1
	s_load_dwordx2 s[8:9], s[4:5], 0x4
	s_load_dword s7, s[4:5], 0xc
	s_load_dwordx2 s[10:11], s[2:3], 0x0
	v_mov_b32_e32 v2, v1
	s_add_u32 s4, s4, 12
	s_waitcnt lgkmcnt(0)
	v_mul_hi_u32 v1, s9, v4
	v_add_u32_e32 v1, v4, v1
	v_lshrrev_b32_e32 v1, s7, v1
	s_addc_u32 s5, s5, 0
	v_mul_lo_u32 v3, v1, s8
	s_add_u32 s2, s2, 8
	v_sub_u32_e32 v5, v4, v3
	s_addc_u32 s3, s3, 0
	s_add_i32 s6, s6, -1
	v_mov_b32_e32 v4, v1
	v_mad_u64_u32 v[2:3], s[8:9], v5, s11, v[2:3]
	v_mad_u64_u32 v[0:1], s[8:9], v5, s10, v[0:1]
	s_cmp_lg_u32 s6, 0
	v_mov_b32_e32 v1, v2
	s_cbranch_scc1 .LBB455_28
.LBB455_29:
	s_cbranch_execnz .LBB455_32
.LBB455_30:
	s_load_dwordx4 s[4:7], s[34:35], 0x4
	s_load_dwordx2 s[2:3], s[34:35], 0xc4
	s_cmp_lt_u32 s33, 2
	s_waitcnt lgkmcnt(0)
	v_mul_hi_u32 v0, s5, v24
	v_add_u32_e32 v0, v24, v0
	v_lshrrev_b32_e32 v1, s6, v0
	v_mul_lo_u32 v0, v1, s4
	v_sub_u32_e32 v0, v24, v0
	v_mul_lo_u32 v2, v0, s3
	v_mul_lo_u32 v0, v0, s2
	s_cbranch_scc1 .LBB455_32
; %bb.31:
	s_load_dwordx4 s[4:7], s[34:35], 0x10
	s_load_dwordx2 s[2:3], s[34:35], 0xcc
	s_waitcnt lgkmcnt(0)
	v_mul_hi_u32 v3, s5, v1
	v_add_u32_e32 v3, v1, v3
	v_lshrrev_b32_e32 v3, s6, v3
	v_mul_lo_u32 v3, v3, s4
	v_sub_u32_e32 v3, v1, v3
	v_mad_u64_u32 v[0:1], s[4:5], v3, s2, v[0:1]
	v_mad_u64_u32 v[2:3], s[2:3], v3, s3, v[2:3]
.LBB455_32:
	s_and_b64 vcc, exec, s[0:1]
	v_add_u32_e32 v3, 0x80, v24
	s_cbranch_vccnz .LBB455_38
; %bb.33:
	s_cmp_lg_u32 s33, 0
	s_waitcnt lgkmcnt(0)
	s_mov_b32 s26, 0
	s_cbranch_scc0 .LBB455_39
; %bb.34:
	s_min_u32 s27, s54, 15
	s_add_i32 s27, s27, 1
	s_cmp_eq_u32 s54, 2
	s_cbranch_scc1 .LBB455_40
; %bb.35:
	s_and_b32 s26, s27, 28
	s_add_u32 s2, s34, 0xc4
	s_addc_u32 s3, s35, 0
	s_mov_b32 s28, 0
	v_mov_b32_e32 v4, 0
	v_mov_b32_e32 v6, 0
	s_mov_b64 s[24:25], s[34:35]
	v_mov_b32_e32 v8, v3
.LBB455_36:                             ; =>This Inner Loop Header: Depth=1
	s_load_dwordx8 s[12:19], s[24:25], 0x4
	s_load_dwordx4 s[20:23], s[24:25], 0x24
	s_load_dwordx8 s[4:11], s[2:3], 0x0
	s_add_u32 s24, s24, 48
	s_addc_u32 s25, s25, 0
	s_waitcnt lgkmcnt(0)
	v_mul_hi_u32 v1, s13, v8
	v_add_u32_e32 v1, v8, v1
	v_lshrrev_b32_e32 v1, s14, v1
	v_mul_hi_u32 v7, s16, v1
	v_add_u32_e32 v7, v1, v7
	v_lshrrev_b32_e32 v7, s17, v7
	v_mul_lo_u32 v5, v1, s12
	v_mul_lo_u32 v9, v7, s15
	v_mul_hi_u32 v10, s19, v7
	v_sub_u32_e32 v5, v8, v5
	v_sub_u32_e32 v1, v1, v9
	v_add_u32_e32 v9, v7, v10
	v_mul_lo_u32 v8, v5, s5
	v_mul_lo_u32 v5, v5, s4
	;; [unrolled: 1-line block ×4, first 2 shown]
	v_lshrrev_b32_e32 v9, s20, v9
	v_add3_u32 v1, v5, v4, v1
	v_add3_u32 v4, v8, v6, v10
	v_mul_hi_u32 v6, s22, v9
	v_add_u32_e32 v6, v9, v6
	v_lshrrev_b32_e32 v8, s23, v6
	s_add_i32 s28, s28, 4
	v_mul_lo_u32 v5, v9, s18
	v_mul_lo_u32 v6, v8, s21
	s_add_u32 s2, s2, 32
	v_sub_u32_e32 v5, v7, v5
	v_sub_u32_e32 v6, v9, v6
	s_addc_u32 s3, s3, 0
	v_mul_lo_u32 v7, v5, s8
	v_mul_lo_u32 v5, v5, s9
	;; [unrolled: 1-line block ×4, first 2 shown]
	s_cmp_lg_u32 s26, s28
	v_add3_u32 v6, v5, v4, v6
	v_add3_u32 v4, v7, v1, v9
	s_cbranch_scc1 .LBB455_36
; %bb.37:
	v_mov_b32_e32 v1, v6
	s_and_b32 s6, s27, 3
	s_cmp_eq_u32 s6, 0
	s_cbranch_scc0 .LBB455_41
	s_branch .LBB455_43
.LBB455_38:
                                        ; implicit-def: $vgpr6
                                        ; implicit-def: $vgpr4
	s_branch .LBB455_44
.LBB455_39:
	v_mov_b32_e32 v6, 0
	v_mov_b32_e32 v4, 0
	s_branch .LBB455_43
.LBB455_40:
	v_mov_b32_e32 v4, 0
                                        ; implicit-def: $vgpr6
	v_mov_b32_e32 v1, v4
	v_mov_b32_e32 v8, v3
	s_and_b32 s6, s27, 3
	s_cmp_eq_u32 s6, 0
	s_cbranch_scc1 .LBB455_43
.LBB455_41:
	s_lshl_b32 s2, s26, 3
	s_add_u32 s2, s34, s2
	s_addc_u32 s3, s35, 0
	s_add_u32 s2, s2, 0xc4
	s_addc_u32 s3, s3, 0
	s_mul_i32 s4, s26, 12
	s_add_u32 s4, s34, s4
	s_addc_u32 s5, s35, 0
.LBB455_42:                             ; =>This Inner Loop Header: Depth=1
	s_load_dwordx2 s[8:9], s[4:5], 0x4
	s_load_dword s7, s[4:5], 0xc
	s_load_dwordx2 s[10:11], s[2:3], 0x0
	v_mov_b32_e32 v6, v1
	s_add_u32 s4, s4, 12
	s_waitcnt lgkmcnt(0)
	v_mul_hi_u32 v1, s9, v8
	v_add_u32_e32 v1, v8, v1
	v_lshrrev_b32_e32 v1, s7, v1
	s_addc_u32 s5, s5, 0
	v_mul_lo_u32 v5, v1, s8
	s_add_u32 s2, s2, 8
	v_sub_u32_e32 v5, v8, v5
	s_addc_u32 s3, s3, 0
	s_add_i32 s6, s6, -1
	v_mad_u64_u32 v[6:7], s[8:9], v5, s11, v[6:7]
	s_cmp_lg_u32 s6, 0
	v_mov_b32_e32 v8, v1
	v_mad_u64_u32 v[4:5], s[8:9], v5, s10, v[4:5]
	v_mov_b32_e32 v1, v6
	s_cbranch_scc1 .LBB455_42
.LBB455_43:
	s_cbranch_execnz .LBB455_46
.LBB455_44:
	s_load_dwordx4 s[4:7], s[34:35], 0x4
	s_load_dwordx2 s[2:3], s[34:35], 0xc4
	s_cmp_lt_u32 s33, 2
	s_waitcnt lgkmcnt(0)
	v_mul_hi_u32 v1, s5, v3
	v_add_u32_e32 v1, v3, v1
	v_lshrrev_b32_e32 v1, s6, v1
	v_mul_lo_u32 v4, v1, s4
	v_sub_u32_e32 v3, v3, v4
	v_mul_lo_u32 v6, v3, s3
	v_mul_lo_u32 v4, v3, s2
	s_cbranch_scc1 .LBB455_46
; %bb.45:
	s_load_dwordx4 s[4:7], s[34:35], 0x10
	s_load_dwordx2 s[2:3], s[34:35], 0xcc
	s_waitcnt lgkmcnt(0)
	v_mul_hi_u32 v3, s5, v1
	v_add_u32_e32 v3, v1, v3
	v_lshrrev_b32_e32 v3, s6, v3
	v_mul_lo_u32 v3, v3, s4
	v_sub_u32_e32 v1, v1, v3
	v_mad_u64_u32 v[4:5], s[4:5], v1, s2, v[4:5]
	v_mad_u64_u32 v[6:7], s[2:3], v1, s3, v[6:7]
.LBB455_46:
	s_and_b64 vcc, exec, s[0:1]
	v_add_u32_e32 v3, 0x100, v24
	s_cbranch_vccnz .LBB455_52
; %bb.47:
	s_cmp_lg_u32 s33, 0
	s_waitcnt lgkmcnt(0)
	s_mov_b32 s26, 0
	s_cbranch_scc0 .LBB455_53
; %bb.48:
	s_min_u32 s27, s54, 15
	s_add_i32 s27, s27, 1
	s_cmp_eq_u32 s54, 2
	s_cbranch_scc1 .LBB455_54
; %bb.49:
	s_and_b32 s26, s27, 28
	s_add_u32 s2, s34, 0xc4
	s_addc_u32 s3, s35, 0
	s_mov_b32 s28, 0
	v_mov_b32_e32 v8, 0
	v_mov_b32_e32 v10, 0
	s_mov_b64 s[24:25], s[34:35]
	v_mov_b32_e32 v5, v3
.LBB455_50:                             ; =>This Inner Loop Header: Depth=1
	s_load_dwordx8 s[12:19], s[24:25], 0x4
	s_load_dwordx4 s[20:23], s[24:25], 0x24
	s_load_dwordx8 s[4:11], s[2:3], 0x0
	s_add_u32 s24, s24, 48
	s_addc_u32 s25, s25, 0
	s_waitcnt lgkmcnt(0)
	v_mul_hi_u32 v1, s13, v5
	v_add_u32_e32 v1, v5, v1
	v_lshrrev_b32_e32 v1, s14, v1
	v_mul_lo_u32 v7, v1, s12
	v_mul_hi_u32 v9, s16, v1
	v_sub_u32_e32 v5, v5, v7
	v_add_u32_e32 v7, v1, v9
	v_lshrrev_b32_e32 v7, s17, v7
	v_mul_lo_u32 v11, v7, s15
	v_mul_hi_u32 v12, s19, v7
	v_sub_u32_e32 v1, v1, v11
	v_add_u32_e32 v11, v7, v12
	v_mul_lo_u32 v9, v5, s5
	v_mul_lo_u32 v5, v5, s4
	;; [unrolled: 1-line block ×4, first 2 shown]
	v_lshrrev_b32_e32 v11, s20, v11
	v_add3_u32 v1, v5, v8, v1
	v_add3_u32 v8, v9, v10, v12
	v_mul_lo_u32 v5, v11, s18
	v_mul_hi_u32 v9, s22, v11
	v_sub_u32_e32 v5, v7, v5
	v_add_u32_e32 v7, v11, v9
	v_mul_lo_u32 v9, v5, s8
	v_mul_lo_u32 v10, v5, s9
	v_lshrrev_b32_e32 v5, s23, v7
	s_add_i32 s28, s28, 4
	v_mul_lo_u32 v7, v5, s21
	s_add_u32 s2, s2, 32
	v_sub_u32_e32 v7, v11, v7
	s_addc_u32 s3, s3, 0
	v_mul_lo_u32 v11, v7, s10
	v_mul_lo_u32 v7, v7, s11
	s_cmp_lg_u32 s26, s28
	v_add3_u32 v10, v10, v8, v7
	v_add3_u32 v8, v9, v1, v11
	s_cbranch_scc1 .LBB455_50
; %bb.51:
	v_mov_b32_e32 v1, v10
	s_and_b32 s6, s27, 3
	s_cmp_eq_u32 s6, 0
	s_cbranch_scc0 .LBB455_55
	s_branch .LBB455_57
.LBB455_52:
                                        ; implicit-def: $vgpr10
                                        ; implicit-def: $vgpr8
	s_branch .LBB455_58
.LBB455_53:
	v_mov_b32_e32 v10, 0
	v_mov_b32_e32 v8, 0
	s_branch .LBB455_57
.LBB455_54:
	v_mov_b32_e32 v8, 0
                                        ; implicit-def: $vgpr10
	v_mov_b32_e32 v1, v8
	v_mov_b32_e32 v5, v3
	s_and_b32 s6, s27, 3
	s_cmp_eq_u32 s6, 0
	s_cbranch_scc1 .LBB455_57
.LBB455_55:
	s_lshl_b32 s2, s26, 3
	s_add_u32 s2, s34, s2
	s_addc_u32 s3, s35, 0
	s_add_u32 s2, s2, 0xc4
	s_addc_u32 s3, s3, 0
	s_mul_i32 s4, s26, 12
	s_add_u32 s4, s34, s4
	s_addc_u32 s5, s35, 0
.LBB455_56:                             ; =>This Inner Loop Header: Depth=1
	s_load_dwordx2 s[8:9], s[4:5], 0x4
	s_load_dword s7, s[4:5], 0xc
	s_load_dwordx2 s[10:11], s[2:3], 0x0
	v_mov_b32_e32 v10, v1
	s_add_u32 s4, s4, 12
	s_waitcnt lgkmcnt(0)
	v_mul_hi_u32 v1, s9, v5
	v_add_u32_e32 v1, v5, v1
	v_lshrrev_b32_e32 v1, s7, v1
	s_addc_u32 s5, s5, 0
	v_mul_lo_u32 v7, v1, s8
	s_add_u32 s2, s2, 8
	v_sub_u32_e32 v7, v5, v7
	s_addc_u32 s3, s3, 0
	s_add_i32 s6, s6, -1
	v_mad_u64_u32 v[10:11], s[8:9], v7, s11, v[10:11]
	s_cmp_lg_u32 s6, 0
	v_mov_b32_e32 v5, v1
	v_mad_u64_u32 v[8:9], s[8:9], v7, s10, v[8:9]
	v_mov_b32_e32 v1, v10
	s_cbranch_scc1 .LBB455_56
.LBB455_57:
	s_cbranch_execnz .LBB455_60
.LBB455_58:
	s_load_dwordx4 s[4:7], s[34:35], 0x4
	s_load_dwordx2 s[2:3], s[34:35], 0xc4
	s_cmp_lt_u32 s33, 2
	s_waitcnt lgkmcnt(0)
	v_mul_hi_u32 v1, s5, v3
	v_add_u32_e32 v1, v3, v1
	v_lshrrev_b32_e32 v1, s6, v1
	v_mul_lo_u32 v5, v1, s4
	v_sub_u32_e32 v3, v3, v5
	v_mul_lo_u32 v10, v3, s3
	v_mul_lo_u32 v8, v3, s2
	s_cbranch_scc1 .LBB455_60
; %bb.59:
	s_load_dwordx4 s[4:7], s[34:35], 0x10
	s_load_dwordx2 s[2:3], s[34:35], 0xcc
	s_waitcnt lgkmcnt(0)
	v_mul_hi_u32 v3, s5, v1
	v_add_u32_e32 v3, v1, v3
	v_lshrrev_b32_e32 v3, s6, v3
	v_mul_lo_u32 v3, v3, s4
	v_sub_u32_e32 v1, v1, v3
	v_mad_u64_u32 v[8:9], s[4:5], v1, s2, v[8:9]
	v_mad_u64_u32 v[10:11], s[2:3], v1, s3, v[10:11]
.LBB455_60:
	s_and_b64 vcc, exec, s[0:1]
	v_add_u32_e32 v3, 0x180, v24
	s_cbranch_vccnz .LBB455_66
; %bb.61:
	s_cmp_lg_u32 s33, 0
	s_waitcnt lgkmcnt(0)
	s_mov_b32 s26, 0
	s_cbranch_scc0 .LBB455_67
; %bb.62:
	s_min_u32 s27, s54, 15
	s_add_i32 s27, s27, 1
	s_cmp_eq_u32 s54, 2
	s_cbranch_scc1 .LBB455_68
; %bb.63:
	s_and_b32 s26, s27, 28
	s_add_u32 s2, s34, 0xc4
	s_addc_u32 s3, s35, 0
	s_mov_b32 s28, 0
	v_mov_b32_e32 v12, 0
	v_mov_b32_e32 v14, 0
	s_mov_b64 s[24:25], s[34:35]
	v_mov_b32_e32 v5, v3
.LBB455_64:                             ; =>This Inner Loop Header: Depth=1
	s_load_dwordx8 s[12:19], s[24:25], 0x4
	s_load_dwordx4 s[20:23], s[24:25], 0x24
	s_load_dwordx8 s[4:11], s[2:3], 0x0
	s_add_u32 s24, s24, 48
	s_addc_u32 s25, s25, 0
	s_waitcnt lgkmcnt(0)
	v_mul_hi_u32 v1, s13, v5
	v_add_u32_e32 v1, v5, v1
	v_lshrrev_b32_e32 v1, s14, v1
	v_mul_lo_u32 v7, v1, s12
	v_mul_hi_u32 v9, s16, v1
	v_sub_u32_e32 v5, v5, v7
	v_add_u32_e32 v7, v1, v9
	v_lshrrev_b32_e32 v7, s17, v7
	v_mul_lo_u32 v11, v7, s15
	v_mul_hi_u32 v13, s19, v7
	v_sub_u32_e32 v1, v1, v11
	v_add_u32_e32 v11, v7, v13
	v_mul_lo_u32 v9, v5, s5
	v_mul_lo_u32 v5, v5, s4
	;; [unrolled: 1-line block ×4, first 2 shown]
	v_lshrrev_b32_e32 v11, s20, v11
	v_add3_u32 v1, v5, v12, v1
	v_mul_lo_u32 v5, v11, s18
	v_mul_hi_u32 v12, s22, v11
	v_sub_u32_e32 v5, v7, v5
	v_add_u32_e32 v7, v11, v12
	v_add3_u32 v9, v9, v14, v13
	v_mul_lo_u32 v12, v5, s8
	v_mul_lo_u32 v13, v5, s9
	v_lshrrev_b32_e32 v5, s23, v7
	s_add_i32 s28, s28, 4
	v_mul_lo_u32 v7, v5, s21
	s_add_u32 s2, s2, 32
	v_sub_u32_e32 v7, v11, v7
	s_addc_u32 s3, s3, 0
	v_mul_lo_u32 v11, v7, s10
	v_mul_lo_u32 v7, v7, s11
	s_cmp_lg_u32 s26, s28
	v_add3_u32 v14, v13, v9, v7
	v_add3_u32 v12, v12, v1, v11
	s_cbranch_scc1 .LBB455_64
; %bb.65:
	v_mov_b32_e32 v1, v14
	s_and_b32 s6, s27, 3
	s_cmp_eq_u32 s6, 0
	s_cbranch_scc0 .LBB455_69
	s_branch .LBB455_71
.LBB455_66:
                                        ; implicit-def: $vgpr14
                                        ; implicit-def: $vgpr12
	s_branch .LBB455_72
.LBB455_67:
	v_mov_b32_e32 v14, 0
	v_mov_b32_e32 v12, 0
	s_branch .LBB455_71
.LBB455_68:
	v_mov_b32_e32 v12, 0
                                        ; implicit-def: $vgpr14
	v_mov_b32_e32 v1, v12
	v_mov_b32_e32 v5, v3
	s_and_b32 s6, s27, 3
	s_cmp_eq_u32 s6, 0
	s_cbranch_scc1 .LBB455_71
.LBB455_69:
	s_lshl_b32 s2, s26, 3
	s_add_u32 s2, s34, s2
	s_addc_u32 s3, s35, 0
	s_add_u32 s2, s2, 0xc4
	s_addc_u32 s3, s3, 0
	s_mul_i32 s4, s26, 12
	s_add_u32 s4, s34, s4
	s_addc_u32 s5, s35, 0
.LBB455_70:                             ; =>This Inner Loop Header: Depth=1
	s_load_dwordx2 s[8:9], s[4:5], 0x4
	s_load_dword s7, s[4:5], 0xc
	s_load_dwordx2 s[10:11], s[2:3], 0x0
	v_mov_b32_e32 v14, v1
	s_add_u32 s4, s4, 12
	s_waitcnt lgkmcnt(0)
	v_mul_hi_u32 v1, s9, v5
	v_add_u32_e32 v1, v5, v1
	v_lshrrev_b32_e32 v1, s7, v1
	s_addc_u32 s5, s5, 0
	v_mul_lo_u32 v7, v1, s8
	s_add_u32 s2, s2, 8
	v_sub_u32_e32 v7, v5, v7
	s_addc_u32 s3, s3, 0
	s_add_i32 s6, s6, -1
	v_mad_u64_u32 v[14:15], s[8:9], v7, s11, v[14:15]
	s_cmp_lg_u32 s6, 0
	v_mov_b32_e32 v5, v1
	v_mad_u64_u32 v[12:13], s[8:9], v7, s10, v[12:13]
	v_mov_b32_e32 v1, v14
	s_cbranch_scc1 .LBB455_70
.LBB455_71:
	s_cbranch_execnz .LBB455_74
.LBB455_72:
	s_load_dwordx4 s[4:7], s[34:35], 0x4
	s_load_dwordx2 s[2:3], s[34:35], 0xc4
	s_cmp_lt_u32 s33, 2
	s_waitcnt lgkmcnt(0)
	v_mul_hi_u32 v1, s5, v3
	v_add_u32_e32 v1, v3, v1
	v_lshrrev_b32_e32 v1, s6, v1
	v_mul_lo_u32 v5, v1, s4
	v_sub_u32_e32 v3, v3, v5
	v_mul_lo_u32 v14, v3, s3
	v_mul_lo_u32 v12, v3, s2
	s_cbranch_scc1 .LBB455_74
; %bb.73:
	s_load_dwordx4 s[4:7], s[34:35], 0x10
	s_load_dwordx2 s[2:3], s[34:35], 0xcc
	s_waitcnt lgkmcnt(0)
	v_mul_hi_u32 v3, s5, v1
	v_add_u32_e32 v3, v1, v3
	v_lshrrev_b32_e32 v3, s6, v3
	v_mul_lo_u32 v3, v3, s4
	v_sub_u32_e32 v1, v1, v3
	v_mad_u64_u32 v[12:13], s[4:5], v1, s2, v[12:13]
	v_mad_u64_u32 v[14:15], s[2:3], v1, s3, v[14:15]
.LBB455_74:
	s_and_b64 vcc, exec, s[0:1]
	v_add_u32_e32 v3, 0x200, v24
	s_cbranch_vccnz .LBB455_80
; %bb.75:
	s_cmp_lg_u32 s33, 0
	s_waitcnt lgkmcnt(0)
	s_mov_b32 s26, 0
	s_cbranch_scc0 .LBB455_81
; %bb.76:
	s_min_u32 s27, s54, 15
	s_add_i32 s27, s27, 1
	s_cmp_eq_u32 s54, 2
	s_cbranch_scc1 .LBB455_82
; %bb.77:
	s_and_b32 s26, s27, 28
	s_add_u32 s2, s34, 0xc4
	s_addc_u32 s3, s35, 0
	s_mov_b32 s28, 0
	v_mov_b32_e32 v16, 0
	v_mov_b32_e32 v18, 0
	s_mov_b64 s[24:25], s[34:35]
	v_mov_b32_e32 v5, v3
.LBB455_78:                             ; =>This Inner Loop Header: Depth=1
	s_load_dwordx8 s[12:19], s[24:25], 0x4
	s_load_dwordx4 s[20:23], s[24:25], 0x24
	s_load_dwordx8 s[4:11], s[2:3], 0x0
	s_add_u32 s24, s24, 48
	s_addc_u32 s25, s25, 0
	s_waitcnt lgkmcnt(0)
	v_mul_hi_u32 v1, s13, v5
	v_add_u32_e32 v1, v5, v1
	v_lshrrev_b32_e32 v1, s14, v1
	v_mul_lo_u32 v7, v1, s12
	v_mul_hi_u32 v9, s16, v1
	v_sub_u32_e32 v5, v5, v7
	v_add_u32_e32 v7, v1, v9
	v_lshrrev_b32_e32 v7, s17, v7
	v_mul_lo_u32 v11, v7, s15
	v_mul_hi_u32 v13, s19, v7
	v_sub_u32_e32 v1, v1, v11
	v_add_u32_e32 v11, v7, v13
	v_mul_lo_u32 v9, v5, s5
	v_mul_lo_u32 v5, v5, s4
	;; [unrolled: 1-line block ×4, first 2 shown]
	v_lshrrev_b32_e32 v11, s20, v11
	v_add3_u32 v1, v5, v16, v1
	v_add3_u32 v9, v9, v18, v13
	v_mul_lo_u32 v5, v11, s18
	v_mul_hi_u32 v13, s22, v11
	v_sub_u32_e32 v5, v7, v5
	v_add_u32_e32 v7, v11, v13
	v_mul_lo_u32 v13, v5, s8
	v_mul_lo_u32 v15, v5, s9
	v_lshrrev_b32_e32 v5, s23, v7
	s_add_i32 s28, s28, 4
	v_mul_lo_u32 v7, v5, s21
	s_add_u32 s2, s2, 32
	v_sub_u32_e32 v7, v11, v7
	s_addc_u32 s3, s3, 0
	v_mul_lo_u32 v11, v7, s10
	v_mul_lo_u32 v7, v7, s11
	s_cmp_lg_u32 s26, s28
	v_add3_u32 v18, v15, v9, v7
	v_add3_u32 v16, v13, v1, v11
	s_cbranch_scc1 .LBB455_78
; %bb.79:
	v_mov_b32_e32 v1, v18
	s_and_b32 s6, s27, 3
	s_cmp_eq_u32 s6, 0
	s_cbranch_scc0 .LBB455_83
	s_branch .LBB455_85
.LBB455_80:
                                        ; implicit-def: $vgpr18
                                        ; implicit-def: $vgpr16
	s_branch .LBB455_86
.LBB455_81:
	v_mov_b32_e32 v18, 0
	v_mov_b32_e32 v16, 0
	s_branch .LBB455_85
.LBB455_82:
	v_mov_b32_e32 v16, 0
                                        ; implicit-def: $vgpr18
	v_mov_b32_e32 v1, v16
	v_mov_b32_e32 v5, v3
	s_and_b32 s6, s27, 3
	s_cmp_eq_u32 s6, 0
	s_cbranch_scc1 .LBB455_85
.LBB455_83:
	s_lshl_b32 s2, s26, 3
	s_add_u32 s2, s34, s2
	s_addc_u32 s3, s35, 0
	s_add_u32 s2, s2, 0xc4
	s_addc_u32 s3, s3, 0
	s_mul_i32 s4, s26, 12
	s_add_u32 s4, s34, s4
	s_addc_u32 s5, s35, 0
.LBB455_84:                             ; =>This Inner Loop Header: Depth=1
	s_load_dwordx2 s[8:9], s[4:5], 0x4
	s_load_dword s7, s[4:5], 0xc
	s_load_dwordx2 s[10:11], s[2:3], 0x0
	v_mov_b32_e32 v18, v1
	s_add_u32 s4, s4, 12
	s_waitcnt lgkmcnt(0)
	v_mul_hi_u32 v1, s9, v5
	v_add_u32_e32 v1, v5, v1
	v_lshrrev_b32_e32 v1, s7, v1
	s_addc_u32 s5, s5, 0
	v_mul_lo_u32 v7, v1, s8
	s_add_u32 s2, s2, 8
	v_sub_u32_e32 v7, v5, v7
	s_addc_u32 s3, s3, 0
	s_add_i32 s6, s6, -1
	v_mad_u64_u32 v[18:19], s[8:9], v7, s11, v[18:19]
	s_cmp_lg_u32 s6, 0
	v_mov_b32_e32 v5, v1
	v_mad_u64_u32 v[16:17], s[8:9], v7, s10, v[16:17]
	v_mov_b32_e32 v1, v18
	s_cbranch_scc1 .LBB455_84
.LBB455_85:
	s_cbranch_execnz .LBB455_88
.LBB455_86:
	s_load_dwordx4 s[4:7], s[34:35], 0x4
	s_load_dwordx2 s[2:3], s[34:35], 0xc4
	s_cmp_lt_u32 s33, 2
	s_waitcnt lgkmcnt(0)
	v_mul_hi_u32 v1, s5, v3
	v_add_u32_e32 v1, v3, v1
	v_lshrrev_b32_e32 v1, s6, v1
	v_mul_lo_u32 v5, v1, s4
	v_sub_u32_e32 v3, v3, v5
	v_mul_lo_u32 v18, v3, s3
	v_mul_lo_u32 v16, v3, s2
	s_cbranch_scc1 .LBB455_88
; %bb.87:
	s_load_dwordx4 s[4:7], s[34:35], 0x10
	s_load_dwordx2 s[2:3], s[34:35], 0xcc
	s_waitcnt lgkmcnt(0)
	v_mul_hi_u32 v3, s5, v1
	v_add_u32_e32 v3, v1, v3
	v_lshrrev_b32_e32 v3, s6, v3
	v_mul_lo_u32 v3, v3, s4
	v_sub_u32_e32 v1, v1, v3
	v_mad_u64_u32 v[16:17], s[4:5], v1, s2, v[16:17]
	v_mad_u64_u32 v[18:19], s[2:3], v1, s3, v[18:19]
.LBB455_88:
	s_and_b64 vcc, exec, s[0:1]
	v_add_u32_e32 v3, 0x280, v24
	s_cbranch_vccnz .LBB455_94
; %bb.89:
	s_cmp_lg_u32 s33, 0
	s_waitcnt lgkmcnt(0)
	s_mov_b32 s26, 0
	s_cbranch_scc0 .LBB455_95
; %bb.90:
	s_min_u32 s27, s54, 15
	s_add_i32 s27, s27, 1
	s_cmp_eq_u32 s54, 2
	s_cbranch_scc1 .LBB455_96
; %bb.91:
	s_and_b32 s26, s27, 28
	s_add_u32 s2, s34, 0xc4
	s_addc_u32 s3, s35, 0
	s_mov_b32 s28, 0
	v_mov_b32_e32 v20, 0
	v_mov_b32_e32 v22, 0
	s_mov_b64 s[24:25], s[34:35]
	v_mov_b32_e32 v5, v3
.LBB455_92:                             ; =>This Inner Loop Header: Depth=1
	s_load_dwordx8 s[12:19], s[24:25], 0x4
	s_load_dwordx4 s[20:23], s[24:25], 0x24
	s_load_dwordx8 s[4:11], s[2:3], 0x0
	s_add_u32 s24, s24, 48
	s_addc_u32 s25, s25, 0
	s_waitcnt lgkmcnt(0)
	v_mul_hi_u32 v1, s13, v5
	v_add_u32_e32 v1, v5, v1
	v_lshrrev_b32_e32 v1, s14, v1
	v_mul_lo_u32 v7, v1, s12
	v_mul_hi_u32 v9, s16, v1
	v_sub_u32_e32 v5, v5, v7
	v_add_u32_e32 v7, v1, v9
	v_lshrrev_b32_e32 v7, s17, v7
	v_mul_lo_u32 v11, v7, s15
	v_mul_hi_u32 v13, s19, v7
	v_sub_u32_e32 v1, v1, v11
	v_add_u32_e32 v11, v7, v13
	v_mul_lo_u32 v9, v5, s5
	v_mul_lo_u32 v5, v5, s4
	;; [unrolled: 1-line block ×4, first 2 shown]
	v_lshrrev_b32_e32 v11, s20, v11
	v_add3_u32 v1, v5, v20, v1
	v_add3_u32 v9, v9, v22, v13
	v_mul_lo_u32 v5, v11, s18
	v_mul_hi_u32 v13, s22, v11
	v_sub_u32_e32 v5, v7, v5
	v_add_u32_e32 v7, v11, v13
	v_mul_lo_u32 v13, v5, s8
	v_mul_lo_u32 v15, v5, s9
	v_lshrrev_b32_e32 v5, s23, v7
	s_add_i32 s28, s28, 4
	v_mul_lo_u32 v7, v5, s21
	s_add_u32 s2, s2, 32
	v_sub_u32_e32 v7, v11, v7
	s_addc_u32 s3, s3, 0
	v_mul_lo_u32 v11, v7, s10
	v_mul_lo_u32 v7, v7, s11
	s_cmp_lg_u32 s26, s28
	v_add3_u32 v22, v15, v9, v7
	v_add3_u32 v20, v13, v1, v11
	s_cbranch_scc1 .LBB455_92
; %bb.93:
	v_mov_b32_e32 v1, v22
	s_and_b32 s6, s27, 3
	s_cmp_eq_u32 s6, 0
	s_cbranch_scc0 .LBB455_97
	s_branch .LBB455_99
.LBB455_94:
                                        ; implicit-def: $vgpr22
                                        ; implicit-def: $vgpr20
	s_branch .LBB455_100
.LBB455_95:
	v_mov_b32_e32 v22, 0
	v_mov_b32_e32 v20, 0
	s_branch .LBB455_99
.LBB455_96:
	v_mov_b32_e32 v20, 0
                                        ; implicit-def: $vgpr22
	v_mov_b32_e32 v1, v20
	v_mov_b32_e32 v5, v3
	s_and_b32 s6, s27, 3
	s_cmp_eq_u32 s6, 0
	s_cbranch_scc1 .LBB455_99
.LBB455_97:
	s_lshl_b32 s2, s26, 3
	s_add_u32 s2, s34, s2
	s_addc_u32 s3, s35, 0
	s_add_u32 s2, s2, 0xc4
	s_addc_u32 s3, s3, 0
	s_mul_i32 s4, s26, 12
	s_add_u32 s4, s34, s4
	s_addc_u32 s5, s35, 0
.LBB455_98:                             ; =>This Inner Loop Header: Depth=1
	s_load_dwordx2 s[8:9], s[4:5], 0x4
	s_load_dword s7, s[4:5], 0xc
	s_load_dwordx2 s[10:11], s[2:3], 0x0
	v_mov_b32_e32 v22, v1
	s_add_u32 s4, s4, 12
	s_waitcnt lgkmcnt(0)
	v_mul_hi_u32 v1, s9, v5
	v_add_u32_e32 v1, v5, v1
	v_lshrrev_b32_e32 v1, s7, v1
	s_addc_u32 s5, s5, 0
	v_mul_lo_u32 v7, v1, s8
	s_add_u32 s2, s2, 8
	v_sub_u32_e32 v7, v5, v7
	s_addc_u32 s3, s3, 0
	s_add_i32 s6, s6, -1
	v_mad_u64_u32 v[22:23], s[8:9], v7, s11, v[22:23]
	s_cmp_lg_u32 s6, 0
	v_mov_b32_e32 v5, v1
	v_mad_u64_u32 v[20:21], s[8:9], v7, s10, v[20:21]
	v_mov_b32_e32 v1, v22
	s_cbranch_scc1 .LBB455_98
.LBB455_99:
	s_cbranch_execnz .LBB455_102
.LBB455_100:
	s_load_dwordx4 s[4:7], s[34:35], 0x4
	s_load_dwordx2 s[2:3], s[34:35], 0xc4
	s_cmp_lt_u32 s33, 2
	s_waitcnt lgkmcnt(0)
	v_mul_hi_u32 v1, s5, v3
	v_add_u32_e32 v1, v3, v1
	v_lshrrev_b32_e32 v1, s6, v1
	v_mul_lo_u32 v5, v1, s4
	v_sub_u32_e32 v3, v3, v5
	v_mul_lo_u32 v22, v3, s3
	v_mul_lo_u32 v20, v3, s2
	s_cbranch_scc1 .LBB455_102
; %bb.101:
	s_load_dwordx4 s[4:7], s[34:35], 0x10
	s_load_dwordx2 s[2:3], s[34:35], 0xcc
	s_waitcnt lgkmcnt(0)
	v_mul_hi_u32 v3, s5, v1
	v_add_u32_e32 v3, v1, v3
	v_lshrrev_b32_e32 v3, s6, v3
	v_mul_lo_u32 v3, v3, s4
	v_sub_u32_e32 v1, v1, v3
	v_mad_u64_u32 v[20:21], s[4:5], v1, s2, v[20:21]
	v_mad_u64_u32 v[22:23], s[2:3], v1, s3, v[22:23]
.LBB455_102:
	s_and_b64 vcc, exec, s[0:1]
	v_add_u32_e32 v3, 0x300, v24
	s_cbranch_vccnz .LBB455_108
; %bb.103:
	s_cmp_lg_u32 s33, 0
	s_waitcnt lgkmcnt(0)
	s_mov_b32 s26, 0
	s_cbranch_scc0 .LBB455_109
; %bb.104:
	s_min_u32 s27, s54, 15
	s_add_i32 s27, s27, 1
	s_cmp_eq_u32 s54, 2
	s_cbranch_scc1 .LBB455_110
; %bb.105:
	s_and_b32 s26, s27, 28
	s_add_u32 s2, s34, 0xc4
	s_addc_u32 s3, s35, 0
	s_mov_b32 s28, 0
	v_mov_b32_e32 v24, 0
	v_mov_b32_e32 v26, 0
	s_mov_b64 s[24:25], s[34:35]
	v_mov_b32_e32 v5, v3
.LBB455_106:                            ; =>This Inner Loop Header: Depth=1
	s_load_dwordx8 s[12:19], s[24:25], 0x4
	s_load_dwordx4 s[20:23], s[24:25], 0x24
	s_load_dwordx8 s[4:11], s[2:3], 0x0
	s_add_u32 s24, s24, 48
	s_addc_u32 s25, s25, 0
	s_waitcnt lgkmcnt(0)
	v_mul_hi_u32 v1, s13, v5
	v_add_u32_e32 v1, v5, v1
	v_lshrrev_b32_e32 v1, s14, v1
	v_mul_lo_u32 v7, v1, s12
	v_mul_hi_u32 v9, s16, v1
	v_sub_u32_e32 v5, v5, v7
	v_add_u32_e32 v7, v1, v9
	v_lshrrev_b32_e32 v7, s17, v7
	v_mul_lo_u32 v11, v7, s15
	v_mul_hi_u32 v13, s19, v7
	v_sub_u32_e32 v1, v1, v11
	v_add_u32_e32 v11, v7, v13
	v_mul_lo_u32 v9, v5, s5
	v_mul_lo_u32 v5, v5, s4
	;; [unrolled: 1-line block ×4, first 2 shown]
	v_lshrrev_b32_e32 v11, s20, v11
	v_add3_u32 v1, v5, v24, v1
	v_add3_u32 v9, v9, v26, v13
	v_mul_lo_u32 v5, v11, s18
	v_mul_hi_u32 v13, s22, v11
	v_sub_u32_e32 v5, v7, v5
	v_add_u32_e32 v7, v11, v13
	v_mul_lo_u32 v13, v5, s8
	v_mul_lo_u32 v15, v5, s9
	v_lshrrev_b32_e32 v5, s23, v7
	s_add_i32 s28, s28, 4
	v_mul_lo_u32 v7, v5, s21
	s_add_u32 s2, s2, 32
	v_sub_u32_e32 v7, v11, v7
	s_addc_u32 s3, s3, 0
	v_mul_lo_u32 v11, v7, s10
	v_mul_lo_u32 v7, v7, s11
	s_cmp_lg_u32 s26, s28
	v_add3_u32 v26, v15, v9, v7
	v_add3_u32 v24, v13, v1, v11
	s_cbranch_scc1 .LBB455_106
; %bb.107:
	v_mov_b32_e32 v1, v26
	s_and_b32 s6, s27, 3
	s_cmp_eq_u32 s6, 0
	s_cbranch_scc0 .LBB455_111
	s_branch .LBB455_113
.LBB455_108:
                                        ; implicit-def: $vgpr26
                                        ; implicit-def: $vgpr24
	s_branch .LBB455_114
.LBB455_109:
	v_mov_b32_e32 v26, 0
	v_mov_b32_e32 v24, 0
	s_branch .LBB455_113
.LBB455_110:
	v_mov_b32_e32 v24, 0
                                        ; implicit-def: $vgpr26
	v_mov_b32_e32 v1, v24
	v_mov_b32_e32 v5, v3
	s_and_b32 s6, s27, 3
	s_cmp_eq_u32 s6, 0
	s_cbranch_scc1 .LBB455_113
.LBB455_111:
	s_lshl_b32 s2, s26, 3
	s_add_u32 s2, s34, s2
	s_addc_u32 s3, s35, 0
	s_add_u32 s2, s2, 0xc4
	s_addc_u32 s3, s3, 0
	s_mul_i32 s4, s26, 12
	s_add_u32 s4, s34, s4
	s_addc_u32 s5, s35, 0
.LBB455_112:                            ; =>This Inner Loop Header: Depth=1
	s_load_dwordx2 s[8:9], s[4:5], 0x4
	s_load_dword s7, s[4:5], 0xc
	s_load_dwordx2 s[10:11], s[2:3], 0x0
	v_mov_b32_e32 v26, v1
	s_add_u32 s4, s4, 12
	s_waitcnt lgkmcnt(0)
	v_mul_hi_u32 v1, s9, v5
	v_add_u32_e32 v1, v5, v1
	v_lshrrev_b32_e32 v1, s7, v1
	s_addc_u32 s5, s5, 0
	v_mul_lo_u32 v7, v1, s8
	s_add_u32 s2, s2, 8
	v_sub_u32_e32 v7, v5, v7
	s_addc_u32 s3, s3, 0
	s_add_i32 s6, s6, -1
	v_mad_u64_u32 v[26:27], s[8:9], v7, s11, v[26:27]
	s_cmp_lg_u32 s6, 0
	v_mov_b32_e32 v5, v1
	v_mad_u64_u32 v[24:25], s[8:9], v7, s10, v[24:25]
	v_mov_b32_e32 v1, v26
	s_cbranch_scc1 .LBB455_112
.LBB455_113:
	s_cbranch_execnz .LBB455_116
.LBB455_114:
	s_load_dwordx4 s[4:7], s[34:35], 0x4
	s_load_dwordx2 s[2:3], s[34:35], 0xc4
	s_cmp_lt_u32 s33, 2
	s_waitcnt lgkmcnt(0)
	v_mul_hi_u32 v1, s5, v3
	v_add_u32_e32 v1, v3, v1
	v_lshrrev_b32_e32 v1, s6, v1
	v_mul_lo_u32 v5, v1, s4
	v_sub_u32_e32 v3, v3, v5
	v_mul_lo_u32 v26, v3, s3
	v_mul_lo_u32 v24, v3, s2
	s_cbranch_scc1 .LBB455_116
; %bb.115:
	s_load_dwordx4 s[4:7], s[34:35], 0x10
	s_load_dwordx2 s[2:3], s[34:35], 0xcc
	s_waitcnt lgkmcnt(0)
	v_mul_hi_u32 v3, s5, v1
	v_add_u32_e32 v3, v1, v3
	v_lshrrev_b32_e32 v3, s6, v3
	v_mul_lo_u32 v3, v3, s4
	v_sub_u32_e32 v1, v1, v3
	v_mad_u64_u32 v[24:25], s[4:5], v1, s2, v[24:25]
	v_mad_u64_u32 v[26:27], s[2:3], v1, s3, v[26:27]
.LBB455_116:
	s_and_b64 vcc, exec, s[0:1]
	s_cbranch_vccnz .LBB455_122
; %bb.117:
	s_cmp_lg_u32 s33, 0
	s_waitcnt lgkmcnt(0)
	s_mov_b32 s24, 0
	s_cbranch_scc0 .LBB455_123
; %bb.118:
	s_min_u32 s25, s54, 15
	s_add_i32 s25, s25, 1
	s_cmp_eq_u32 s54, 2
	s_cbranch_scc1 .LBB455_124
; %bb.119:
	s_and_b32 s24, s25, 28
	s_add_u32 s20, s34, 0xc4
	s_addc_u32 s21, s35, 0
	s_mov_b32 s26, 0
	v_mov_b32_e32 v28, 0
	v_mov_b32_e32 v30, 0
	s_mov_b64 s[22:23], s[34:35]
	v_mov_b32_e32 v3, v32
.LBB455_120:                            ; =>This Inner Loop Header: Depth=1
	s_load_dwordx8 s[8:15], s[22:23], 0x4
	s_load_dwordx4 s[16:19], s[22:23], 0x24
	s_load_dwordx8 s[0:7], s[20:21], 0x0
	s_add_u32 s22, s22, 48
	s_addc_u32 s23, s23, 0
	s_waitcnt lgkmcnt(0)
	v_mul_hi_u32 v1, s9, v3
	v_add_u32_e32 v1, v3, v1
	v_lshrrev_b32_e32 v1, s10, v1
	v_mul_lo_u32 v5, v1, s8
	v_mul_hi_u32 v7, s12, v1
	v_sub_u32_e32 v3, v3, v5
	v_add_u32_e32 v5, v1, v7
	v_lshrrev_b32_e32 v5, s13, v5
	v_mul_lo_u32 v9, v5, s11
	v_mul_hi_u32 v11, s15, v5
	v_sub_u32_e32 v1, v1, v9
	v_add_u32_e32 v9, v5, v11
	v_mul_lo_u32 v7, v3, s1
	v_mul_lo_u32 v3, v3, s0
	;; [unrolled: 1-line block ×4, first 2 shown]
	v_lshrrev_b32_e32 v9, s16, v9
	v_add3_u32 v1, v3, v28, v1
	v_add3_u32 v7, v7, v30, v11
	v_mul_lo_u32 v3, v9, s14
	v_mul_hi_u32 v11, s18, v9
	v_sub_u32_e32 v3, v5, v3
	v_add_u32_e32 v5, v9, v11
	v_mul_lo_u32 v11, v3, s4
	v_mul_lo_u32 v13, v3, s5
	v_lshrrev_b32_e32 v3, s19, v5
	s_add_i32 s26, s26, 4
	v_mul_lo_u32 v5, v3, s17
	s_add_u32 s20, s20, 32
	v_sub_u32_e32 v5, v9, v5
	s_addc_u32 s21, s21, 0
	v_mul_lo_u32 v9, v5, s6
	v_mul_lo_u32 v5, v5, s7
	s_cmp_lg_u32 s24, s26
	v_add3_u32 v30, v13, v7, v5
	v_add3_u32 v28, v11, v1, v9
	s_cbranch_scc1 .LBB455_120
; %bb.121:
	v_mov_b32_e32 v1, v30
	s_and_b32 s4, s25, 3
	s_cmp_eq_u32 s4, 0
	s_cbranch_scc0 .LBB455_125
	s_branch .LBB455_127
.LBB455_122:
                                        ; implicit-def: $vgpr30
                                        ; implicit-def: $vgpr28
	s_branch .LBB455_128
.LBB455_123:
	v_mov_b32_e32 v30, 0
	v_mov_b32_e32 v28, 0
	s_branch .LBB455_127
.LBB455_124:
	v_mov_b32_e32 v28, 0
                                        ; implicit-def: $vgpr30
	v_mov_b32_e32 v1, v28
	v_mov_b32_e32 v3, v32
	s_and_b32 s4, s25, 3
	s_cmp_eq_u32 s4, 0
	s_cbranch_scc1 .LBB455_127
.LBB455_125:
	s_lshl_b32 s0, s24, 3
	s_add_u32 s0, s34, s0
	s_addc_u32 s1, s35, 0
	s_add_u32 s0, s0, 0xc4
	s_addc_u32 s1, s1, 0
	s_mul_i32 s2, s24, 12
	s_add_u32 s2, s34, s2
	s_addc_u32 s3, s35, 0
.LBB455_126:                            ; =>This Inner Loop Header: Depth=1
	s_load_dwordx2 s[6:7], s[2:3], 0x4
	s_load_dword s5, s[2:3], 0xc
	s_load_dwordx2 s[8:9], s[0:1], 0x0
	v_mov_b32_e32 v30, v1
	s_add_u32 s2, s2, 12
	s_waitcnt lgkmcnt(0)
	v_mul_hi_u32 v1, s7, v3
	v_add_u32_e32 v1, v3, v1
	v_lshrrev_b32_e32 v1, s5, v1
	s_addc_u32 s3, s3, 0
	v_mul_lo_u32 v5, v1, s6
	s_add_u32 s0, s0, 8
	v_sub_u32_e32 v5, v3, v5
	s_addc_u32 s1, s1, 0
	s_add_i32 s4, s4, -1
	v_mad_u64_u32 v[30:31], s[6:7], v5, s9, v[30:31]
	s_cmp_lg_u32 s4, 0
	v_mov_b32_e32 v3, v1
	v_mad_u64_u32 v[28:29], s[6:7], v5, s8, v[28:29]
	v_mov_b32_e32 v1, v30
	s_cbranch_scc1 .LBB455_126
.LBB455_127:
	s_cbranch_execnz .LBB455_130
.LBB455_128:
	s_load_dwordx4 s[0:3], s[34:35], 0x4
	s_load_dwordx2 s[4:5], s[34:35], 0xc4
	s_cmp_lt_u32 s33, 2
	s_waitcnt lgkmcnt(0)
	v_mul_hi_u32 v1, s1, v32
	v_add_u32_e32 v1, v32, v1
	v_lshrrev_b32_e32 v1, s2, v1
	v_mul_lo_u32 v3, v1, s0
	v_sub_u32_e32 v3, v32, v3
	v_mul_lo_u32 v30, v3, s5
	v_mul_lo_u32 v28, v3, s4
	s_cbranch_scc1 .LBB455_130
; %bb.129:
	s_load_dwordx4 s[0:3], s[34:35], 0x10
	s_load_dwordx2 s[4:5], s[34:35], 0xcc
	s_waitcnt lgkmcnt(0)
	v_mul_hi_u32 v3, s1, v1
	v_add_u32_e32 v3, v1, v3
	v_lshrrev_b32_e32 v3, s2, v3
	v_mul_lo_u32 v3, v3, s0
	v_sub_u32_e32 v1, v1, v3
	v_mad_u64_u32 v[28:29], s[0:1], v1, s4, v[28:29]
	v_mad_u64_u32 v[30:31], s[0:1], v1, s5, v[30:31]
.LBB455_130:
	s_load_dwordx4 s[0:3], s[34:35], 0x148
	s_load_dword s4, s[34:35], 0x158
	s_waitcnt lgkmcnt(0)
	global_load_ushort v1, v2, s[2:3]
	global_load_ushort v3, v6, s[2:3]
	;; [unrolled: 1-line block ×8, first 2 shown]
	s_waitcnt vmcnt(7)
	v_min_i16_e32 v1, s4, v1
	s_waitcnt vmcnt(6)
	v_min_i16_e32 v2, s4, v3
	;; [unrolled: 2-line block ×8, first 2 shown]
	global_store_short v0, v1, s[0:1]
	global_store_short v4, v2, s[0:1]
	global_store_short v8, v3, s[0:1]
	global_store_short v12, v5, s[0:1]
	global_store_short v16, v6, s[0:1]
	global_store_short v20, v7, s[0:1]
	global_store_short v24, v9, s[0:1]
	global_store_short v28, v10, s[0:1]
	s_endpgm
.LBB455_131:
	v_mov_b32_e32 v2, 0
	v_mov_b32_e32 v0, 0
	s_branch .LBB455_137
.LBB455_132:
	v_mov_b32_e32 v2, 0
	v_mov_b32_e32 v0, 0
	s_branch .LBB455_154
.LBB455_133:
	v_mov_b32_e32 v0, 0
	s_mov_b32 s58, 0
	v_mov_b32_e32 v1, v0
                                        ; implicit-def: $vgpr2
	v_mov_b32_e32 v4, v24
.LBB455_134:
	s_and_b32 s4, s59, 3
	s_cmp_eq_u32 s4, 0
	s_cbranch_scc1 .LBB455_137
; %bb.135:
	s_lshl_b32 s0, s58, 3
	s_add_u32 s0, s34, s0
	s_addc_u32 s1, s35, 0
	s_add_u32 s0, s0, 0xc4
	s_addc_u32 s1, s1, 0
	s_mul_i32 s2, s58, 12
	s_add_u32 s2, s34, s2
	s_addc_u32 s3, s35, 0
.LBB455_136:                            ; =>This Inner Loop Header: Depth=1
	s_load_dwordx2 s[6:7], s[2:3], 0x4
	s_load_dword s5, s[2:3], 0xc
	s_load_dwordx2 s[8:9], s[0:1], 0x0
	v_mov_b32_e32 v2, v1
	s_add_u32 s2, s2, 12
	s_waitcnt lgkmcnt(0)
	v_mul_hi_u32 v1, s7, v4
	v_add_u32_e32 v1, v4, v1
	v_lshrrev_b32_e32 v1, s5, v1
	s_addc_u32 s3, s3, 0
	v_mul_lo_u32 v3, v1, s6
	s_add_u32 s0, s0, 8
	v_sub_u32_e32 v5, v4, v3
	s_addc_u32 s1, s1, 0
	s_add_i32 s4, s4, -1
	v_mov_b32_e32 v4, v1
	v_mad_u64_u32 v[2:3], s[6:7], v5, s9, v[2:3]
	v_mad_u64_u32 v[0:1], s[6:7], v5, s8, v[0:1]
	s_cmp_lg_u32 s4, 0
	v_mov_b32_e32 v1, v2
	s_cbranch_scc1 .LBB455_136
.LBB455_137:
	s_cbranch_execnz .LBB455_140
.LBB455_138:
	s_waitcnt lgkmcnt(0)
	v_mul_hi_u32 v0, s25, v24
	v_add_u32_e32 v0, v24, v0
	v_lshrrev_b32_e32 v1, s26, v0
	v_mul_lo_u32 v0, v1, s24
	v_sub_u32_e32 v0, v24, v0
	v_mul_lo_u32 v2, v0, s21
	s_andn2_b64 vcc, exec, s[42:43]
	v_mul_lo_u32 v0, v0, s20
	s_cbranch_vccnz .LBB455_140
; %bb.139:
	v_mul_hi_u32 v3, s40, v1
	v_add_u32_e32 v3, v1, v3
	v_lshrrev_b32_e32 v3, s41, v3
	v_mul_lo_u32 v3, v3, s27
	v_sub_u32_e32 v3, v1, v3
	v_mad_u64_u32 v[0:1], s[0:1], v3, s22, v[0:1]
	v_mad_u64_u32 v[2:3], s[0:1], v3, s23, v[2:3]
.LBB455_140:
	s_waitcnt lgkmcnt(0)
	global_load_ushort v1, v2, s[18:19]
	v_add_u32_e32 v24, 0x80, v24
	s_waitcnt vmcnt(0)
	v_min_i16_e32 v1, s55, v1
	global_store_short v0, v1, s[16:17]
	s_or_b64 exec, exec, s[48:49]
	v_cmp_gt_i32_e32 vcc, s56, v24
	s_and_saveexec_b64 s[48:49], vcc
	s_cbranch_execnz .LBB455_16
.LBB455_141:
	s_or_b64 exec, exec, s[48:49]
	v_cmp_gt_i32_e32 vcc, s56, v24
	s_and_saveexec_b64 s[48:49], vcc
	s_cbranch_execz .LBB455_158
.LBB455_142:
	s_andn2_b64 vcc, exec, s[36:37]
	s_cbranch_vccnz .LBB455_148
; %bb.143:
	s_andn2_b64 vcc, exec, s[46:47]
	s_cbranch_vccnz .LBB455_149
; %bb.144:
	s_add_i32 s59, s57, 1
	s_cmp_eq_u32 s54, 2
	s_cbranch_scc1 .LBB455_167
; %bb.145:
	s_and_b32 s58, s59, 28
	s_mov_b32 s60, 0
	v_mov_b32_e32 v0, 0
	v_mov_b32_e32 v2, 0
	s_mov_b64 s[50:51], s[34:35]
	s_mov_b64 s[52:53], s[44:45]
	v_mov_b32_e32 v4, v24
.LBB455_146:                            ; =>This Inner Loop Header: Depth=1
	s_load_dwordx8 s[8:15], s[50:51], 0x4
	s_load_dwordx4 s[28:31], s[50:51], 0x24
	s_load_dwordx8 s[0:7], s[52:53], 0x0
	s_add_u32 s50, s50, 48
	s_addc_u32 s51, s51, 0
	s_waitcnt lgkmcnt(0)
	v_mul_hi_u32 v1, s9, v4
	v_add_u32_e32 v1, v4, v1
	v_lshrrev_b32_e32 v1, s10, v1
	v_mul_lo_u32 v3, v1, s8
	v_mul_hi_u32 v5, s12, v1
	v_sub_u32_e32 v3, v4, v3
	v_add_u32_e32 v4, v1, v5
	v_lshrrev_b32_e32 v4, s13, v4
	v_mul_lo_u32 v6, v4, s11
	v_mul_hi_u32 v7, s15, v4
	v_sub_u32_e32 v1, v1, v6
	v_add_u32_e32 v6, v4, v7
	v_mul_lo_u32 v5, v3, s1
	v_mul_lo_u32 v3, v3, s0
	;; [unrolled: 1-line block ×4, first 2 shown]
	v_lshrrev_b32_e32 v6, s28, v6
	v_add3_u32 v0, v3, v0, v1
	v_mul_hi_u32 v3, s30, v6
	v_add3_u32 v1, v5, v2, v7
	v_mul_lo_u32 v2, v6, s14
	v_add_u32_e32 v3, v6, v3
	v_sub_u32_e32 v2, v4, v2
	v_lshrrev_b32_e32 v4, s31, v3
	s_add_i32 s60, s60, 4
	v_mul_lo_u32 v3, v4, s29
	s_add_u32 s52, s52, 32
	v_sub_u32_e32 v3, v6, v3
	s_addc_u32 s53, s53, 0
	v_mul_lo_u32 v5, v2, s4
	v_mul_lo_u32 v2, v2, s5
	;; [unrolled: 1-line block ×4, first 2 shown]
	s_cmp_eq_u32 s58, s60
	v_add3_u32 v2, v2, v1, v3
	v_add3_u32 v0, v5, v0, v6
	s_cbranch_scc0 .LBB455_146
; %bb.147:
	v_mov_b32_e32 v1, v2
	s_branch .LBB455_168
.LBB455_148:
                                        ; implicit-def: $vgpr2
                                        ; implicit-def: $vgpr0
	s_branch .LBB455_172
.LBB455_149:
	v_mov_b32_e32 v2, 0
	v_mov_b32_e32 v0, 0
	s_branch .LBB455_171
.LBB455_150:
	v_mov_b32_e32 v0, 0
	s_mov_b32 s58, 0
	v_mov_b32_e32 v1, v0
                                        ; implicit-def: $vgpr2
	v_mov_b32_e32 v4, v24
.LBB455_151:
	s_and_b32 s4, s59, 3
	s_cmp_eq_u32 s4, 0
	s_cbranch_scc1 .LBB455_154
; %bb.152:
	s_lshl_b32 s0, s58, 3
	s_add_u32 s0, s34, s0
	s_addc_u32 s1, s35, 0
	s_add_u32 s0, s0, 0xc4
	s_addc_u32 s1, s1, 0
	s_mul_i32 s2, s58, 12
	s_add_u32 s2, s34, s2
	s_addc_u32 s3, s35, 0
.LBB455_153:                            ; =>This Inner Loop Header: Depth=1
	s_load_dwordx2 s[6:7], s[2:3], 0x4
	s_load_dword s5, s[2:3], 0xc
	s_load_dwordx2 s[8:9], s[0:1], 0x0
	v_mov_b32_e32 v2, v1
	s_add_u32 s2, s2, 12
	s_waitcnt lgkmcnt(0)
	v_mul_hi_u32 v1, s7, v4
	v_add_u32_e32 v1, v4, v1
	v_lshrrev_b32_e32 v1, s5, v1
	s_addc_u32 s3, s3, 0
	v_mul_lo_u32 v3, v1, s6
	s_add_u32 s0, s0, 8
	v_sub_u32_e32 v5, v4, v3
	s_addc_u32 s1, s1, 0
	s_add_i32 s4, s4, -1
	v_mov_b32_e32 v4, v1
	v_mad_u64_u32 v[2:3], s[6:7], v5, s9, v[2:3]
	v_mad_u64_u32 v[0:1], s[6:7], v5, s8, v[0:1]
	s_cmp_lg_u32 s4, 0
	v_mov_b32_e32 v1, v2
	s_cbranch_scc1 .LBB455_153
.LBB455_154:
	s_cbranch_execnz .LBB455_157
.LBB455_155:
	s_waitcnt lgkmcnt(0)
	v_mul_hi_u32 v0, s25, v24
	v_add_u32_e32 v0, v24, v0
	v_lshrrev_b32_e32 v1, s26, v0
	v_mul_lo_u32 v0, v1, s24
	v_sub_u32_e32 v0, v24, v0
	v_mul_lo_u32 v2, v0, s21
	s_andn2_b64 vcc, exec, s[42:43]
	v_mul_lo_u32 v0, v0, s20
	s_cbranch_vccnz .LBB455_157
; %bb.156:
	v_mul_hi_u32 v3, s40, v1
	v_add_u32_e32 v3, v1, v3
	v_lshrrev_b32_e32 v3, s41, v3
	v_mul_lo_u32 v3, v3, s27
	v_sub_u32_e32 v3, v1, v3
	v_mad_u64_u32 v[0:1], s[0:1], v3, s22, v[0:1]
	v_mad_u64_u32 v[2:3], s[0:1], v3, s23, v[2:3]
.LBB455_157:
	s_waitcnt lgkmcnt(0)
	global_load_ushort v1, v2, s[18:19]
	v_add_u32_e32 v24, 0x80, v24
	s_waitcnt vmcnt(0)
	v_min_i16_e32 v1, s55, v1
	global_store_short v0, v1, s[16:17]
	s_or_b64 exec, exec, s[48:49]
	v_cmp_gt_i32_e32 vcc, s56, v24
	s_and_saveexec_b64 s[48:49], vcc
	s_cbranch_execnz .LBB455_142
.LBB455_158:
	s_or_b64 exec, exec, s[48:49]
	v_cmp_gt_i32_e32 vcc, s56, v24
	s_and_saveexec_b64 s[48:49], vcc
	s_cbranch_execz .LBB455_175
.LBB455_159:
	s_andn2_b64 vcc, exec, s[36:37]
	s_cbranch_vccnz .LBB455_165
; %bb.160:
	s_andn2_b64 vcc, exec, s[46:47]
	s_cbranch_vccnz .LBB455_166
; %bb.161:
	s_add_i32 s59, s57, 1
	s_cmp_eq_u32 s54, 2
	s_cbranch_scc1 .LBB455_184
; %bb.162:
	s_and_b32 s58, s59, 28
	s_mov_b32 s60, 0
	v_mov_b32_e32 v0, 0
	v_mov_b32_e32 v2, 0
	s_mov_b64 s[50:51], s[34:35]
	s_mov_b64 s[52:53], s[44:45]
	v_mov_b32_e32 v4, v24
.LBB455_163:                            ; =>This Inner Loop Header: Depth=1
	s_load_dwordx8 s[8:15], s[50:51], 0x4
	s_load_dwordx4 s[28:31], s[50:51], 0x24
	s_load_dwordx8 s[0:7], s[52:53], 0x0
	s_add_u32 s50, s50, 48
	s_addc_u32 s51, s51, 0
	s_waitcnt lgkmcnt(0)
	v_mul_hi_u32 v1, s9, v4
	v_add_u32_e32 v1, v4, v1
	v_lshrrev_b32_e32 v1, s10, v1
	v_mul_lo_u32 v3, v1, s8
	v_mul_hi_u32 v5, s12, v1
	v_sub_u32_e32 v3, v4, v3
	v_add_u32_e32 v4, v1, v5
	v_lshrrev_b32_e32 v4, s13, v4
	v_mul_lo_u32 v6, v4, s11
	v_mul_hi_u32 v7, s15, v4
	v_sub_u32_e32 v1, v1, v6
	v_add_u32_e32 v6, v4, v7
	v_mul_lo_u32 v5, v3, s1
	v_mul_lo_u32 v3, v3, s0
	;; [unrolled: 1-line block ×4, first 2 shown]
	v_lshrrev_b32_e32 v6, s28, v6
	v_add3_u32 v0, v3, v0, v1
	v_mul_hi_u32 v3, s30, v6
	v_add3_u32 v1, v5, v2, v7
	v_mul_lo_u32 v2, v6, s14
	v_add_u32_e32 v3, v6, v3
	v_sub_u32_e32 v2, v4, v2
	v_lshrrev_b32_e32 v4, s31, v3
	s_add_i32 s60, s60, 4
	v_mul_lo_u32 v3, v4, s29
	s_add_u32 s52, s52, 32
	v_sub_u32_e32 v3, v6, v3
	s_addc_u32 s53, s53, 0
	v_mul_lo_u32 v5, v2, s4
	v_mul_lo_u32 v2, v2, s5
	;; [unrolled: 1-line block ×4, first 2 shown]
	s_cmp_eq_u32 s58, s60
	v_add3_u32 v2, v2, v1, v3
	v_add3_u32 v0, v5, v0, v6
	s_cbranch_scc0 .LBB455_163
; %bb.164:
	v_mov_b32_e32 v1, v2
	s_branch .LBB455_185
.LBB455_165:
                                        ; implicit-def: $vgpr2
                                        ; implicit-def: $vgpr0
	s_branch .LBB455_189
.LBB455_166:
	v_mov_b32_e32 v2, 0
	v_mov_b32_e32 v0, 0
	s_branch .LBB455_188
.LBB455_167:
	v_mov_b32_e32 v0, 0
	s_mov_b32 s58, 0
	v_mov_b32_e32 v1, v0
                                        ; implicit-def: $vgpr2
	v_mov_b32_e32 v4, v24
.LBB455_168:
	s_and_b32 s4, s59, 3
	s_cmp_eq_u32 s4, 0
	s_cbranch_scc1 .LBB455_171
; %bb.169:
	s_lshl_b32 s0, s58, 3
	s_add_u32 s0, s34, s0
	s_addc_u32 s1, s35, 0
	s_add_u32 s0, s0, 0xc4
	s_addc_u32 s1, s1, 0
	s_mul_i32 s2, s58, 12
	s_add_u32 s2, s34, s2
	s_addc_u32 s3, s35, 0
.LBB455_170:                            ; =>This Inner Loop Header: Depth=1
	s_load_dwordx2 s[6:7], s[2:3], 0x4
	s_load_dword s5, s[2:3], 0xc
	s_load_dwordx2 s[8:9], s[0:1], 0x0
	v_mov_b32_e32 v2, v1
	s_add_u32 s2, s2, 12
	s_waitcnt lgkmcnt(0)
	v_mul_hi_u32 v1, s7, v4
	v_add_u32_e32 v1, v4, v1
	v_lshrrev_b32_e32 v1, s5, v1
	s_addc_u32 s3, s3, 0
	v_mul_lo_u32 v3, v1, s6
	s_add_u32 s0, s0, 8
	v_sub_u32_e32 v5, v4, v3
	s_addc_u32 s1, s1, 0
	s_add_i32 s4, s4, -1
	v_mov_b32_e32 v4, v1
	v_mad_u64_u32 v[2:3], s[6:7], v5, s9, v[2:3]
	v_mad_u64_u32 v[0:1], s[6:7], v5, s8, v[0:1]
	s_cmp_lg_u32 s4, 0
	v_mov_b32_e32 v1, v2
	s_cbranch_scc1 .LBB455_170
.LBB455_171:
	s_cbranch_execnz .LBB455_174
.LBB455_172:
	s_waitcnt lgkmcnt(0)
	v_mul_hi_u32 v0, s25, v24
	v_add_u32_e32 v0, v24, v0
	v_lshrrev_b32_e32 v1, s26, v0
	v_mul_lo_u32 v0, v1, s24
	v_sub_u32_e32 v0, v24, v0
	v_mul_lo_u32 v2, v0, s21
	s_andn2_b64 vcc, exec, s[42:43]
	v_mul_lo_u32 v0, v0, s20
	s_cbranch_vccnz .LBB455_174
; %bb.173:
	v_mul_hi_u32 v3, s40, v1
	v_add_u32_e32 v3, v1, v3
	v_lshrrev_b32_e32 v3, s41, v3
	v_mul_lo_u32 v3, v3, s27
	v_sub_u32_e32 v3, v1, v3
	v_mad_u64_u32 v[0:1], s[0:1], v3, s22, v[0:1]
	v_mad_u64_u32 v[2:3], s[0:1], v3, s23, v[2:3]
.LBB455_174:
	s_waitcnt lgkmcnt(0)
	global_load_ushort v1, v2, s[18:19]
	v_add_u32_e32 v24, 0x80, v24
	s_waitcnt vmcnt(0)
	v_min_i16_e32 v1, s55, v1
	global_store_short v0, v1, s[16:17]
	s_or_b64 exec, exec, s[48:49]
	v_cmp_gt_i32_e32 vcc, s56, v24
	s_and_saveexec_b64 s[48:49], vcc
	s_cbranch_execnz .LBB455_159
.LBB455_175:
	s_or_b64 exec, exec, s[48:49]
	v_cmp_gt_i32_e32 vcc, s56, v24
	s_and_saveexec_b64 s[48:49], vcc
	s_cbranch_execz .LBB455_192
.LBB455_176:
	s_andn2_b64 vcc, exec, s[36:37]
	s_cbranch_vccnz .LBB455_182
; %bb.177:
	s_andn2_b64 vcc, exec, s[46:47]
	s_cbranch_vccnz .LBB455_183
; %bb.178:
	s_add_i32 s59, s57, 1
	s_cmp_eq_u32 s54, 2
	s_cbranch_scc1 .LBB455_201
; %bb.179:
	s_and_b32 s58, s59, 28
	s_mov_b32 s60, 0
	v_mov_b32_e32 v0, 0
	v_mov_b32_e32 v2, 0
	s_mov_b64 s[50:51], s[34:35]
	s_mov_b64 s[52:53], s[44:45]
	v_mov_b32_e32 v4, v24
.LBB455_180:                            ; =>This Inner Loop Header: Depth=1
	s_load_dwordx8 s[8:15], s[50:51], 0x4
	s_load_dwordx4 s[28:31], s[50:51], 0x24
	s_load_dwordx8 s[0:7], s[52:53], 0x0
	s_add_u32 s50, s50, 48
	s_addc_u32 s51, s51, 0
	s_waitcnt lgkmcnt(0)
	v_mul_hi_u32 v1, s9, v4
	v_add_u32_e32 v1, v4, v1
	v_lshrrev_b32_e32 v1, s10, v1
	v_mul_lo_u32 v3, v1, s8
	v_mul_hi_u32 v5, s12, v1
	v_sub_u32_e32 v3, v4, v3
	v_add_u32_e32 v4, v1, v5
	v_lshrrev_b32_e32 v4, s13, v4
	v_mul_lo_u32 v6, v4, s11
	v_mul_hi_u32 v7, s15, v4
	v_sub_u32_e32 v1, v1, v6
	v_add_u32_e32 v6, v4, v7
	v_mul_lo_u32 v5, v3, s1
	v_mul_lo_u32 v3, v3, s0
	;; [unrolled: 1-line block ×4, first 2 shown]
	v_lshrrev_b32_e32 v6, s28, v6
	v_add3_u32 v0, v3, v0, v1
	v_mul_hi_u32 v3, s30, v6
	v_add3_u32 v1, v5, v2, v7
	v_mul_lo_u32 v2, v6, s14
	v_add_u32_e32 v3, v6, v3
	v_sub_u32_e32 v2, v4, v2
	v_lshrrev_b32_e32 v4, s31, v3
	s_add_i32 s60, s60, 4
	v_mul_lo_u32 v3, v4, s29
	s_add_u32 s52, s52, 32
	v_sub_u32_e32 v3, v6, v3
	s_addc_u32 s53, s53, 0
	v_mul_lo_u32 v5, v2, s4
	v_mul_lo_u32 v2, v2, s5
	;; [unrolled: 1-line block ×4, first 2 shown]
	s_cmp_eq_u32 s58, s60
	v_add3_u32 v2, v2, v1, v3
	v_add3_u32 v0, v5, v0, v6
	s_cbranch_scc0 .LBB455_180
; %bb.181:
	v_mov_b32_e32 v1, v2
	s_branch .LBB455_202
.LBB455_182:
                                        ; implicit-def: $vgpr2
                                        ; implicit-def: $vgpr0
	s_branch .LBB455_206
.LBB455_183:
	v_mov_b32_e32 v2, 0
	v_mov_b32_e32 v0, 0
	s_branch .LBB455_205
.LBB455_184:
	v_mov_b32_e32 v0, 0
	s_mov_b32 s58, 0
	v_mov_b32_e32 v1, v0
                                        ; implicit-def: $vgpr2
	v_mov_b32_e32 v4, v24
.LBB455_185:
	s_and_b32 s4, s59, 3
	s_cmp_eq_u32 s4, 0
	s_cbranch_scc1 .LBB455_188
; %bb.186:
	s_lshl_b32 s0, s58, 3
	s_add_u32 s0, s34, s0
	s_addc_u32 s1, s35, 0
	s_add_u32 s0, s0, 0xc4
	s_addc_u32 s1, s1, 0
	s_mul_i32 s2, s58, 12
	s_add_u32 s2, s34, s2
	s_addc_u32 s3, s35, 0
.LBB455_187:                            ; =>This Inner Loop Header: Depth=1
	s_load_dwordx2 s[6:7], s[2:3], 0x4
	s_load_dword s5, s[2:3], 0xc
	s_load_dwordx2 s[8:9], s[0:1], 0x0
	v_mov_b32_e32 v2, v1
	s_add_u32 s2, s2, 12
	s_waitcnt lgkmcnt(0)
	v_mul_hi_u32 v1, s7, v4
	v_add_u32_e32 v1, v4, v1
	v_lshrrev_b32_e32 v1, s5, v1
	s_addc_u32 s3, s3, 0
	v_mul_lo_u32 v3, v1, s6
	s_add_u32 s0, s0, 8
	v_sub_u32_e32 v5, v4, v3
	s_addc_u32 s1, s1, 0
	s_add_i32 s4, s4, -1
	v_mov_b32_e32 v4, v1
	v_mad_u64_u32 v[2:3], s[6:7], v5, s9, v[2:3]
	v_mad_u64_u32 v[0:1], s[6:7], v5, s8, v[0:1]
	s_cmp_lg_u32 s4, 0
	v_mov_b32_e32 v1, v2
	s_cbranch_scc1 .LBB455_187
.LBB455_188:
	s_cbranch_execnz .LBB455_191
.LBB455_189:
	s_waitcnt lgkmcnt(0)
	v_mul_hi_u32 v0, s25, v24
	v_add_u32_e32 v0, v24, v0
	v_lshrrev_b32_e32 v1, s26, v0
	v_mul_lo_u32 v0, v1, s24
	v_sub_u32_e32 v0, v24, v0
	v_mul_lo_u32 v2, v0, s21
	s_andn2_b64 vcc, exec, s[42:43]
	v_mul_lo_u32 v0, v0, s20
	s_cbranch_vccnz .LBB455_191
; %bb.190:
	v_mul_hi_u32 v3, s40, v1
	v_add_u32_e32 v3, v1, v3
	v_lshrrev_b32_e32 v3, s41, v3
	v_mul_lo_u32 v3, v3, s27
	v_sub_u32_e32 v3, v1, v3
	v_mad_u64_u32 v[0:1], s[0:1], v3, s22, v[0:1]
	v_mad_u64_u32 v[2:3], s[0:1], v3, s23, v[2:3]
.LBB455_191:
	s_waitcnt lgkmcnt(0)
	global_load_ushort v1, v2, s[18:19]
	v_add_u32_e32 v24, 0x80, v24
	s_waitcnt vmcnt(0)
	v_min_i16_e32 v1, s55, v1
	global_store_short v0, v1, s[16:17]
	s_or_b64 exec, exec, s[48:49]
	v_cmp_gt_i32_e32 vcc, s56, v24
	s_and_saveexec_b64 s[48:49], vcc
	s_cbranch_execnz .LBB455_176
.LBB455_192:
	s_or_b64 exec, exec, s[48:49]
	v_cmp_gt_i32_e32 vcc, s56, v24
	s_and_saveexec_b64 s[48:49], vcc
	s_cbranch_execz .LBB455_209
.LBB455_193:
	s_andn2_b64 vcc, exec, s[36:37]
	s_cbranch_vccnz .LBB455_199
; %bb.194:
	s_andn2_b64 vcc, exec, s[46:47]
	s_cbranch_vccnz .LBB455_200
; %bb.195:
	s_add_i32 s59, s57, 1
	s_cmp_eq_u32 s54, 2
	s_cbranch_scc1 .LBB455_218
; %bb.196:
	s_and_b32 s58, s59, 28
	s_mov_b32 s60, 0
	v_mov_b32_e32 v0, 0
	v_mov_b32_e32 v2, 0
	s_mov_b64 s[50:51], s[34:35]
	s_mov_b64 s[52:53], s[44:45]
	v_mov_b32_e32 v4, v24
.LBB455_197:                            ; =>This Inner Loop Header: Depth=1
	s_load_dwordx8 s[8:15], s[50:51], 0x4
	s_load_dwordx4 s[28:31], s[50:51], 0x24
	s_load_dwordx8 s[0:7], s[52:53], 0x0
	s_add_u32 s50, s50, 48
	s_addc_u32 s51, s51, 0
	s_waitcnt lgkmcnt(0)
	v_mul_hi_u32 v1, s9, v4
	v_add_u32_e32 v1, v4, v1
	v_lshrrev_b32_e32 v1, s10, v1
	v_mul_lo_u32 v3, v1, s8
	v_mul_hi_u32 v5, s12, v1
	v_sub_u32_e32 v3, v4, v3
	v_add_u32_e32 v4, v1, v5
	v_lshrrev_b32_e32 v4, s13, v4
	v_mul_lo_u32 v6, v4, s11
	v_mul_hi_u32 v7, s15, v4
	v_sub_u32_e32 v1, v1, v6
	v_add_u32_e32 v6, v4, v7
	v_mul_lo_u32 v5, v3, s1
	v_mul_lo_u32 v3, v3, s0
	;; [unrolled: 1-line block ×4, first 2 shown]
	v_lshrrev_b32_e32 v6, s28, v6
	v_add3_u32 v0, v3, v0, v1
	v_mul_hi_u32 v3, s30, v6
	v_add3_u32 v1, v5, v2, v7
	v_mul_lo_u32 v2, v6, s14
	v_add_u32_e32 v3, v6, v3
	v_sub_u32_e32 v2, v4, v2
	v_lshrrev_b32_e32 v4, s31, v3
	s_add_i32 s60, s60, 4
	v_mul_lo_u32 v3, v4, s29
	s_add_u32 s52, s52, 32
	v_sub_u32_e32 v3, v6, v3
	s_addc_u32 s53, s53, 0
	v_mul_lo_u32 v5, v2, s4
	v_mul_lo_u32 v2, v2, s5
	;; [unrolled: 1-line block ×4, first 2 shown]
	s_cmp_eq_u32 s58, s60
	v_add3_u32 v2, v2, v1, v3
	v_add3_u32 v0, v5, v0, v6
	s_cbranch_scc0 .LBB455_197
; %bb.198:
	v_mov_b32_e32 v1, v2
	s_branch .LBB455_219
.LBB455_199:
                                        ; implicit-def: $vgpr2
                                        ; implicit-def: $vgpr0
	s_branch .LBB455_223
.LBB455_200:
	v_mov_b32_e32 v2, 0
	v_mov_b32_e32 v0, 0
	s_branch .LBB455_222
.LBB455_201:
	v_mov_b32_e32 v0, 0
	s_mov_b32 s58, 0
	v_mov_b32_e32 v1, v0
                                        ; implicit-def: $vgpr2
	v_mov_b32_e32 v4, v24
.LBB455_202:
	s_and_b32 s4, s59, 3
	s_cmp_eq_u32 s4, 0
	s_cbranch_scc1 .LBB455_205
; %bb.203:
	s_lshl_b32 s0, s58, 3
	s_add_u32 s0, s34, s0
	s_addc_u32 s1, s35, 0
	s_add_u32 s0, s0, 0xc4
	s_addc_u32 s1, s1, 0
	s_mul_i32 s2, s58, 12
	s_add_u32 s2, s34, s2
	s_addc_u32 s3, s35, 0
.LBB455_204:                            ; =>This Inner Loop Header: Depth=1
	s_load_dwordx2 s[6:7], s[2:3], 0x4
	s_load_dword s5, s[2:3], 0xc
	s_load_dwordx2 s[8:9], s[0:1], 0x0
	v_mov_b32_e32 v2, v1
	s_add_u32 s2, s2, 12
	s_waitcnt lgkmcnt(0)
	v_mul_hi_u32 v1, s7, v4
	v_add_u32_e32 v1, v4, v1
	v_lshrrev_b32_e32 v1, s5, v1
	s_addc_u32 s3, s3, 0
	v_mul_lo_u32 v3, v1, s6
	s_add_u32 s0, s0, 8
	v_sub_u32_e32 v5, v4, v3
	s_addc_u32 s1, s1, 0
	s_add_i32 s4, s4, -1
	v_mov_b32_e32 v4, v1
	v_mad_u64_u32 v[2:3], s[6:7], v5, s9, v[2:3]
	v_mad_u64_u32 v[0:1], s[6:7], v5, s8, v[0:1]
	s_cmp_lg_u32 s4, 0
	v_mov_b32_e32 v1, v2
	s_cbranch_scc1 .LBB455_204
.LBB455_205:
	s_cbranch_execnz .LBB455_208
.LBB455_206:
	s_waitcnt lgkmcnt(0)
	v_mul_hi_u32 v0, s25, v24
	v_add_u32_e32 v0, v24, v0
	v_lshrrev_b32_e32 v1, s26, v0
	v_mul_lo_u32 v0, v1, s24
	v_sub_u32_e32 v0, v24, v0
	v_mul_lo_u32 v2, v0, s21
	s_andn2_b64 vcc, exec, s[42:43]
	v_mul_lo_u32 v0, v0, s20
	s_cbranch_vccnz .LBB455_208
; %bb.207:
	v_mul_hi_u32 v3, s40, v1
	v_add_u32_e32 v3, v1, v3
	v_lshrrev_b32_e32 v3, s41, v3
	v_mul_lo_u32 v3, v3, s27
	v_sub_u32_e32 v3, v1, v3
	v_mad_u64_u32 v[0:1], s[0:1], v3, s22, v[0:1]
	v_mad_u64_u32 v[2:3], s[0:1], v3, s23, v[2:3]
.LBB455_208:
	s_waitcnt lgkmcnt(0)
	global_load_ushort v1, v2, s[18:19]
	v_add_u32_e32 v24, 0x80, v24
	s_waitcnt vmcnt(0)
	v_min_i16_e32 v1, s55, v1
	global_store_short v0, v1, s[16:17]
	s_or_b64 exec, exec, s[48:49]
	v_cmp_gt_i32_e32 vcc, s56, v24
	s_and_saveexec_b64 s[48:49], vcc
	s_cbranch_execnz .LBB455_193
.LBB455_209:
	s_or_b64 exec, exec, s[48:49]
	v_cmp_gt_i32_e32 vcc, s56, v24
	s_and_saveexec_b64 s[48:49], vcc
	s_cbranch_execz .LBB455_226
.LBB455_210:
	s_andn2_b64 vcc, exec, s[36:37]
	s_cbranch_vccnz .LBB455_216
; %bb.211:
	s_andn2_b64 vcc, exec, s[46:47]
	s_cbranch_vccnz .LBB455_217
; %bb.212:
	s_add_i32 s59, s57, 1
	s_cmp_eq_u32 s54, 2
	s_cbranch_scc1 .LBB455_229
; %bb.213:
	s_and_b32 s58, s59, 28
	s_mov_b32 s60, 0
	v_mov_b32_e32 v0, 0
	v_mov_b32_e32 v2, 0
	s_mov_b64 s[50:51], s[34:35]
	s_mov_b64 s[52:53], s[44:45]
	v_mov_b32_e32 v4, v24
.LBB455_214:                            ; =>This Inner Loop Header: Depth=1
	s_load_dwordx8 s[8:15], s[50:51], 0x4
	s_load_dwordx4 s[28:31], s[50:51], 0x24
	s_load_dwordx8 s[0:7], s[52:53], 0x0
	s_add_u32 s50, s50, 48
	s_addc_u32 s51, s51, 0
	s_waitcnt lgkmcnt(0)
	v_mul_hi_u32 v1, s9, v4
	v_add_u32_e32 v1, v4, v1
	v_lshrrev_b32_e32 v1, s10, v1
	v_mul_lo_u32 v3, v1, s8
	v_mul_hi_u32 v5, s12, v1
	v_sub_u32_e32 v3, v4, v3
	v_add_u32_e32 v4, v1, v5
	v_lshrrev_b32_e32 v4, s13, v4
	v_mul_lo_u32 v6, v4, s11
	v_mul_hi_u32 v7, s15, v4
	v_sub_u32_e32 v1, v1, v6
	v_add_u32_e32 v6, v4, v7
	v_mul_lo_u32 v5, v3, s1
	v_mul_lo_u32 v3, v3, s0
	;; [unrolled: 1-line block ×4, first 2 shown]
	v_lshrrev_b32_e32 v6, s28, v6
	v_add3_u32 v0, v3, v0, v1
	v_mul_hi_u32 v3, s30, v6
	v_add3_u32 v1, v5, v2, v7
	v_mul_lo_u32 v2, v6, s14
	v_add_u32_e32 v3, v6, v3
	v_sub_u32_e32 v2, v4, v2
	v_lshrrev_b32_e32 v4, s31, v3
	s_add_i32 s60, s60, 4
	v_mul_lo_u32 v3, v4, s29
	s_add_u32 s52, s52, 32
	v_sub_u32_e32 v3, v6, v3
	s_addc_u32 s53, s53, 0
	v_mul_lo_u32 v5, v2, s4
	v_mul_lo_u32 v2, v2, s5
	;; [unrolled: 1-line block ×4, first 2 shown]
	s_cmp_eq_u32 s58, s60
	v_add3_u32 v2, v2, v1, v3
	v_add3_u32 v0, v5, v0, v6
	s_cbranch_scc0 .LBB455_214
; %bb.215:
	v_mov_b32_e32 v1, v2
	s_branch .LBB455_230
.LBB455_216:
                                        ; implicit-def: $vgpr2
                                        ; implicit-def: $vgpr0
	s_branch .LBB455_234
.LBB455_217:
	v_mov_b32_e32 v2, 0
	v_mov_b32_e32 v0, 0
	s_branch .LBB455_233
.LBB455_218:
	v_mov_b32_e32 v0, 0
	s_mov_b32 s58, 0
	v_mov_b32_e32 v1, v0
                                        ; implicit-def: $vgpr2
	v_mov_b32_e32 v4, v24
.LBB455_219:
	s_and_b32 s4, s59, 3
	s_cmp_eq_u32 s4, 0
	s_cbranch_scc1 .LBB455_222
; %bb.220:
	s_lshl_b32 s0, s58, 3
	s_add_u32 s0, s34, s0
	s_addc_u32 s1, s35, 0
	s_add_u32 s0, s0, 0xc4
	s_addc_u32 s1, s1, 0
	s_mul_i32 s2, s58, 12
	s_add_u32 s2, s34, s2
	s_addc_u32 s3, s35, 0
.LBB455_221:                            ; =>This Inner Loop Header: Depth=1
	s_load_dwordx2 s[6:7], s[2:3], 0x4
	s_load_dword s5, s[2:3], 0xc
	s_load_dwordx2 s[8:9], s[0:1], 0x0
	v_mov_b32_e32 v2, v1
	s_add_u32 s2, s2, 12
	s_waitcnt lgkmcnt(0)
	v_mul_hi_u32 v1, s7, v4
	v_add_u32_e32 v1, v4, v1
	v_lshrrev_b32_e32 v1, s5, v1
	s_addc_u32 s3, s3, 0
	v_mul_lo_u32 v3, v1, s6
	s_add_u32 s0, s0, 8
	v_sub_u32_e32 v5, v4, v3
	s_addc_u32 s1, s1, 0
	s_add_i32 s4, s4, -1
	v_mov_b32_e32 v4, v1
	v_mad_u64_u32 v[2:3], s[6:7], v5, s9, v[2:3]
	v_mad_u64_u32 v[0:1], s[6:7], v5, s8, v[0:1]
	s_cmp_lg_u32 s4, 0
	v_mov_b32_e32 v1, v2
	s_cbranch_scc1 .LBB455_221
.LBB455_222:
	s_cbranch_execnz .LBB455_225
.LBB455_223:
	s_waitcnt lgkmcnt(0)
	v_mul_hi_u32 v0, s25, v24
	v_add_u32_e32 v0, v24, v0
	v_lshrrev_b32_e32 v1, s26, v0
	v_mul_lo_u32 v0, v1, s24
	v_sub_u32_e32 v0, v24, v0
	v_mul_lo_u32 v2, v0, s21
	s_andn2_b64 vcc, exec, s[42:43]
	v_mul_lo_u32 v0, v0, s20
	s_cbranch_vccnz .LBB455_225
; %bb.224:
	v_mul_hi_u32 v3, s40, v1
	v_add_u32_e32 v3, v1, v3
	v_lshrrev_b32_e32 v3, s41, v3
	v_mul_lo_u32 v3, v3, s27
	v_sub_u32_e32 v3, v1, v3
	v_mad_u64_u32 v[0:1], s[0:1], v3, s22, v[0:1]
	v_mad_u64_u32 v[2:3], s[0:1], v3, s23, v[2:3]
.LBB455_225:
	s_waitcnt lgkmcnt(0)
	global_load_ushort v1, v2, s[18:19]
	v_add_u32_e32 v24, 0x80, v24
	s_waitcnt vmcnt(0)
	v_min_i16_e32 v1, s55, v1
	global_store_short v0, v1, s[16:17]
	s_or_b64 exec, exec, s[48:49]
	v_cmp_gt_i32_e32 vcc, s56, v24
	s_and_saveexec_b64 s[48:49], vcc
	s_cbranch_execnz .LBB455_210
.LBB455_226:
	s_or_b64 exec, exec, s[48:49]
	v_cmp_gt_i32_e32 vcc, s56, v24
	s_and_saveexec_b64 s[48:49], vcc
	s_cbranch_execnz .LBB455_237
.LBB455_227:
	s_or_b64 exec, exec, s[48:49]
                                        ; implicit-def: $vgpr32
                                        ; implicit-def: $vgpr24
	s_andn2_saveexec_b64 s[0:1], s[38:39]
	s_cbranch_execnz .LBB455_9
.LBB455_228:
	s_endpgm
.LBB455_229:
	v_mov_b32_e32 v0, 0
	s_mov_b32 s58, 0
	v_mov_b32_e32 v1, v0
                                        ; implicit-def: $vgpr2
	v_mov_b32_e32 v4, v24
.LBB455_230:
	s_and_b32 s4, s59, 3
	s_cmp_eq_u32 s4, 0
	s_cbranch_scc1 .LBB455_233
; %bb.231:
	s_lshl_b32 s0, s58, 3
	s_add_u32 s0, s34, s0
	s_addc_u32 s1, s35, 0
	s_add_u32 s0, s0, 0xc4
	s_addc_u32 s1, s1, 0
	s_mul_i32 s2, s58, 12
	s_add_u32 s2, s34, s2
	s_addc_u32 s3, s35, 0
.LBB455_232:                            ; =>This Inner Loop Header: Depth=1
	s_load_dwordx2 s[6:7], s[2:3], 0x4
	s_load_dword s5, s[2:3], 0xc
	s_load_dwordx2 s[8:9], s[0:1], 0x0
	v_mov_b32_e32 v2, v1
	s_add_u32 s2, s2, 12
	s_waitcnt lgkmcnt(0)
	v_mul_hi_u32 v1, s7, v4
	v_add_u32_e32 v1, v4, v1
	v_lshrrev_b32_e32 v1, s5, v1
	s_addc_u32 s3, s3, 0
	v_mul_lo_u32 v3, v1, s6
	s_add_u32 s0, s0, 8
	v_sub_u32_e32 v5, v4, v3
	s_addc_u32 s1, s1, 0
	s_add_i32 s4, s4, -1
	v_mov_b32_e32 v4, v1
	v_mad_u64_u32 v[2:3], s[6:7], v5, s9, v[2:3]
	v_mad_u64_u32 v[0:1], s[6:7], v5, s8, v[0:1]
	s_cmp_lg_u32 s4, 0
	v_mov_b32_e32 v1, v2
	s_cbranch_scc1 .LBB455_232
.LBB455_233:
	s_cbranch_execnz .LBB455_236
.LBB455_234:
	s_waitcnt lgkmcnt(0)
	v_mul_hi_u32 v0, s25, v24
	v_add_u32_e32 v0, v24, v0
	v_lshrrev_b32_e32 v1, s26, v0
	v_mul_lo_u32 v0, v1, s24
	v_sub_u32_e32 v0, v24, v0
	v_mul_lo_u32 v2, v0, s21
	s_andn2_b64 vcc, exec, s[42:43]
	v_mul_lo_u32 v0, v0, s20
	s_cbranch_vccnz .LBB455_236
; %bb.235:
	v_mul_hi_u32 v3, s40, v1
	v_add_u32_e32 v3, v1, v3
	v_lshrrev_b32_e32 v3, s41, v3
	v_mul_lo_u32 v3, v3, s27
	v_sub_u32_e32 v3, v1, v3
	v_mad_u64_u32 v[0:1], s[0:1], v3, s22, v[0:1]
	v_mad_u64_u32 v[2:3], s[0:1], v3, s23, v[2:3]
.LBB455_236:
	s_waitcnt lgkmcnt(0)
	global_load_ushort v1, v2, s[18:19]
	v_add_u32_e32 v24, 0x80, v24
	s_waitcnt vmcnt(0)
	v_min_i16_e32 v1, s55, v1
	global_store_short v0, v1, s[16:17]
	s_or_b64 exec, exec, s[48:49]
	v_cmp_gt_i32_e32 vcc, s56, v24
	s_and_saveexec_b64 s[48:49], vcc
	s_cbranch_execz .LBB455_227
.LBB455_237:
	s_andn2_b64 vcc, exec, s[36:37]
	s_cbranch_vccnz .LBB455_243
; %bb.238:
	s_andn2_b64 vcc, exec, s[46:47]
	s_cbranch_vccnz .LBB455_244
; %bb.239:
	s_add_i32 s57, s57, 1
	s_cmp_eq_u32 s54, 2
	s_cbranch_scc1 .LBB455_245
; %bb.240:
	s_and_b32 s50, s57, 28
	s_mov_b32 s51, 0
	v_mov_b32_e32 v0, 0
	v_mov_b32_e32 v2, 0
	s_mov_b64 s[46:47], s[34:35]
	v_mov_b32_e32 v4, v24
.LBB455_241:                            ; =>This Inner Loop Header: Depth=1
	s_load_dwordx8 s[8:15], s[46:47], 0x4
	s_load_dwordx4 s[28:31], s[46:47], 0x24
	s_load_dwordx8 s[0:7], s[44:45], 0x0
	s_add_u32 s46, s46, 48
	s_addc_u32 s47, s47, 0
	s_waitcnt lgkmcnt(0)
	v_mul_hi_u32 v1, s9, v4
	v_add_u32_e32 v1, v4, v1
	v_lshrrev_b32_e32 v1, s10, v1
	v_mul_lo_u32 v3, v1, s8
	v_mul_hi_u32 v5, s12, v1
	v_sub_u32_e32 v3, v4, v3
	v_add_u32_e32 v4, v1, v5
	v_lshrrev_b32_e32 v4, s13, v4
	v_mul_lo_u32 v6, v4, s11
	v_mul_hi_u32 v7, s15, v4
	v_sub_u32_e32 v1, v1, v6
	v_add_u32_e32 v6, v4, v7
	v_mul_lo_u32 v5, v3, s1
	v_mul_lo_u32 v3, v3, s0
	;; [unrolled: 1-line block ×4, first 2 shown]
	v_lshrrev_b32_e32 v6, s28, v6
	v_add3_u32 v0, v3, v0, v1
	v_mul_hi_u32 v3, s30, v6
	v_add3_u32 v1, v5, v2, v7
	v_mul_lo_u32 v2, v6, s14
	v_add_u32_e32 v3, v6, v3
	v_sub_u32_e32 v2, v4, v2
	v_lshrrev_b32_e32 v4, s31, v3
	s_add_i32 s51, s51, 4
	v_mul_lo_u32 v3, v4, s29
	s_add_u32 s44, s44, 32
	v_sub_u32_e32 v3, v6, v3
	s_addc_u32 s45, s45, 0
	v_mul_lo_u32 v5, v2, s4
	v_mul_lo_u32 v2, v2, s5
	;; [unrolled: 1-line block ×4, first 2 shown]
	s_cmp_eq_u32 s50, s51
	v_add3_u32 v2, v2, v1, v3
	v_add3_u32 v0, v5, v0, v6
	s_cbranch_scc0 .LBB455_241
; %bb.242:
	v_mov_b32_e32 v1, v2
	s_branch .LBB455_246
.LBB455_243:
                                        ; implicit-def: $vgpr2
                                        ; implicit-def: $vgpr0
	s_branch .LBB455_250
.LBB455_244:
	v_mov_b32_e32 v2, 0
	v_mov_b32_e32 v0, 0
	s_branch .LBB455_249
.LBB455_245:
	v_mov_b32_e32 v0, 0
	s_mov_b32 s50, 0
	v_mov_b32_e32 v1, v0
                                        ; implicit-def: $vgpr2
	v_mov_b32_e32 v4, v24
.LBB455_246:
	s_and_b32 s4, s57, 3
	s_cmp_eq_u32 s4, 0
	s_cbranch_scc1 .LBB455_249
; %bb.247:
	s_lshl_b32 s0, s50, 3
	s_add_u32 s0, s34, s0
	s_addc_u32 s1, s35, 0
	s_add_u32 s0, s0, 0xc4
	s_addc_u32 s1, s1, 0
	s_mul_i32 s2, s50, 12
	s_add_u32 s2, s34, s2
	s_addc_u32 s3, s35, 0
.LBB455_248:                            ; =>This Inner Loop Header: Depth=1
	s_load_dwordx2 s[6:7], s[2:3], 0x4
	s_load_dword s5, s[2:3], 0xc
	s_load_dwordx2 s[8:9], s[0:1], 0x0
	v_mov_b32_e32 v2, v1
	s_add_u32 s2, s2, 12
	s_waitcnt lgkmcnt(0)
	v_mul_hi_u32 v1, s7, v4
	v_add_u32_e32 v1, v4, v1
	v_lshrrev_b32_e32 v1, s5, v1
	s_addc_u32 s3, s3, 0
	v_mul_lo_u32 v3, v1, s6
	s_add_u32 s0, s0, 8
	v_sub_u32_e32 v5, v4, v3
	s_addc_u32 s1, s1, 0
	s_add_i32 s4, s4, -1
	v_mov_b32_e32 v4, v1
	v_mad_u64_u32 v[2:3], s[6:7], v5, s9, v[2:3]
	v_mad_u64_u32 v[0:1], s[6:7], v5, s8, v[0:1]
	s_cmp_lg_u32 s4, 0
	v_mov_b32_e32 v1, v2
	s_cbranch_scc1 .LBB455_248
.LBB455_249:
	s_cbranch_execnz .LBB455_252
.LBB455_250:
	s_waitcnt lgkmcnt(0)
	v_mul_hi_u32 v0, s25, v24
	v_add_u32_e32 v0, v24, v0
	v_lshrrev_b32_e32 v1, s26, v0
	v_mul_lo_u32 v0, v1, s24
	v_sub_u32_e32 v0, v24, v0
	v_mul_lo_u32 v2, v0, s21
	s_andn2_b64 vcc, exec, s[42:43]
	v_mul_lo_u32 v0, v0, s20
	s_cbranch_vccnz .LBB455_252
; %bb.251:
	v_mul_hi_u32 v3, s40, v1
	v_add_u32_e32 v3, v1, v3
	v_lshrrev_b32_e32 v3, s41, v3
	v_mul_lo_u32 v3, v3, s27
	v_sub_u32_e32 v3, v1, v3
	v_mad_u64_u32 v[0:1], s[0:1], v3, s22, v[0:1]
	v_mad_u64_u32 v[2:3], s[0:1], v3, s23, v[2:3]
.LBB455_252:
	s_waitcnt lgkmcnt(0)
	global_load_ushort v1, v2, s[18:19]
	s_waitcnt vmcnt(0)
	v_min_i16_e32 v1, s55, v1
	global_store_short v0, v1, s[16:17]
	s_or_b64 exec, exec, s[48:49]
                                        ; implicit-def: $vgpr32
                                        ; implicit-def: $vgpr24
	s_andn2_saveexec_b64 s[0:1], s[38:39]
	s_cbranch_execz .LBB455_228
	s_branch .LBB455_9
	.section	.rodata,"a",@progbits
	.p2align	6, 0x0
	.amdhsa_kernel _ZN2at6native32elementwise_kernel_manual_unrollILi128ELi8EZNS0_22gpu_kernel_impl_nocastIZZZNS0_21clamp_max_kernel_cudaERNS_18TensorIteratorBaseERKN3c106ScalarEENKUlvE_clEvENKUlvE3_clEvEUlsE_EEvS4_RKT_EUlibE_EEviT1_
		.amdhsa_group_segment_fixed_size 0
		.amdhsa_private_segment_fixed_size 0
		.amdhsa_kernarg_size 360
		.amdhsa_user_sgpr_count 2
		.amdhsa_user_sgpr_dispatch_ptr 0
		.amdhsa_user_sgpr_queue_ptr 0
		.amdhsa_user_sgpr_kernarg_segment_ptr 1
		.amdhsa_user_sgpr_dispatch_id 0
		.amdhsa_user_sgpr_kernarg_preload_length 0
		.amdhsa_user_sgpr_kernarg_preload_offset 0
		.amdhsa_user_sgpr_private_segment_size 0
		.amdhsa_uses_dynamic_stack 0
		.amdhsa_enable_private_segment 0
		.amdhsa_system_sgpr_workgroup_id_x 1
		.amdhsa_system_sgpr_workgroup_id_y 0
		.amdhsa_system_sgpr_workgroup_id_z 0
		.amdhsa_system_sgpr_workgroup_info 0
		.amdhsa_system_vgpr_workitem_id 0
		.amdhsa_next_free_vgpr 33
		.amdhsa_next_free_sgpr 61
		.amdhsa_accum_offset 36
		.amdhsa_reserve_vcc 1
		.amdhsa_float_round_mode_32 0
		.amdhsa_float_round_mode_16_64 0
		.amdhsa_float_denorm_mode_32 3
		.amdhsa_float_denorm_mode_16_64 3
		.amdhsa_dx10_clamp 1
		.amdhsa_ieee_mode 1
		.amdhsa_fp16_overflow 0
		.amdhsa_tg_split 0
		.amdhsa_exception_fp_ieee_invalid_op 0
		.amdhsa_exception_fp_denorm_src 0
		.amdhsa_exception_fp_ieee_div_zero 0
		.amdhsa_exception_fp_ieee_overflow 0
		.amdhsa_exception_fp_ieee_underflow 0
		.amdhsa_exception_fp_ieee_inexact 0
		.amdhsa_exception_int_div_zero 0
	.end_amdhsa_kernel
	.section	.text._ZN2at6native32elementwise_kernel_manual_unrollILi128ELi8EZNS0_22gpu_kernel_impl_nocastIZZZNS0_21clamp_max_kernel_cudaERNS_18TensorIteratorBaseERKN3c106ScalarEENKUlvE_clEvENKUlvE3_clEvEUlsE_EEvS4_RKT_EUlibE_EEviT1_,"axG",@progbits,_ZN2at6native32elementwise_kernel_manual_unrollILi128ELi8EZNS0_22gpu_kernel_impl_nocastIZZZNS0_21clamp_max_kernel_cudaERNS_18TensorIteratorBaseERKN3c106ScalarEENKUlvE_clEvENKUlvE3_clEvEUlsE_EEvS4_RKT_EUlibE_EEviT1_,comdat
.Lfunc_end455:
	.size	_ZN2at6native32elementwise_kernel_manual_unrollILi128ELi8EZNS0_22gpu_kernel_impl_nocastIZZZNS0_21clamp_max_kernel_cudaERNS_18TensorIteratorBaseERKN3c106ScalarEENKUlvE_clEvENKUlvE3_clEvEUlsE_EEvS4_RKT_EUlibE_EEviT1_, .Lfunc_end455-_ZN2at6native32elementwise_kernel_manual_unrollILi128ELi8EZNS0_22gpu_kernel_impl_nocastIZZZNS0_21clamp_max_kernel_cudaERNS_18TensorIteratorBaseERKN3c106ScalarEENKUlvE_clEvENKUlvE3_clEvEUlsE_EEvS4_RKT_EUlibE_EEviT1_
                                        ; -- End function
	.set _ZN2at6native32elementwise_kernel_manual_unrollILi128ELi8EZNS0_22gpu_kernel_impl_nocastIZZZNS0_21clamp_max_kernel_cudaERNS_18TensorIteratorBaseERKN3c106ScalarEENKUlvE_clEvENKUlvE3_clEvEUlsE_EEvS4_RKT_EUlibE_EEviT1_.num_vgpr, 33
	.set _ZN2at6native32elementwise_kernel_manual_unrollILi128ELi8EZNS0_22gpu_kernel_impl_nocastIZZZNS0_21clamp_max_kernel_cudaERNS_18TensorIteratorBaseERKN3c106ScalarEENKUlvE_clEvENKUlvE3_clEvEUlsE_EEvS4_RKT_EUlibE_EEviT1_.num_agpr, 0
	.set _ZN2at6native32elementwise_kernel_manual_unrollILi128ELi8EZNS0_22gpu_kernel_impl_nocastIZZZNS0_21clamp_max_kernel_cudaERNS_18TensorIteratorBaseERKN3c106ScalarEENKUlvE_clEvENKUlvE3_clEvEUlsE_EEvS4_RKT_EUlibE_EEviT1_.numbered_sgpr, 61
	.set _ZN2at6native32elementwise_kernel_manual_unrollILi128ELi8EZNS0_22gpu_kernel_impl_nocastIZZZNS0_21clamp_max_kernel_cudaERNS_18TensorIteratorBaseERKN3c106ScalarEENKUlvE_clEvENKUlvE3_clEvEUlsE_EEvS4_RKT_EUlibE_EEviT1_.num_named_barrier, 0
	.set _ZN2at6native32elementwise_kernel_manual_unrollILi128ELi8EZNS0_22gpu_kernel_impl_nocastIZZZNS0_21clamp_max_kernel_cudaERNS_18TensorIteratorBaseERKN3c106ScalarEENKUlvE_clEvENKUlvE3_clEvEUlsE_EEvS4_RKT_EUlibE_EEviT1_.private_seg_size, 0
	.set _ZN2at6native32elementwise_kernel_manual_unrollILi128ELi8EZNS0_22gpu_kernel_impl_nocastIZZZNS0_21clamp_max_kernel_cudaERNS_18TensorIteratorBaseERKN3c106ScalarEENKUlvE_clEvENKUlvE3_clEvEUlsE_EEvS4_RKT_EUlibE_EEviT1_.uses_vcc, 1
	.set _ZN2at6native32elementwise_kernel_manual_unrollILi128ELi8EZNS0_22gpu_kernel_impl_nocastIZZZNS0_21clamp_max_kernel_cudaERNS_18TensorIteratorBaseERKN3c106ScalarEENKUlvE_clEvENKUlvE3_clEvEUlsE_EEvS4_RKT_EUlibE_EEviT1_.uses_flat_scratch, 0
	.set _ZN2at6native32elementwise_kernel_manual_unrollILi128ELi8EZNS0_22gpu_kernel_impl_nocastIZZZNS0_21clamp_max_kernel_cudaERNS_18TensorIteratorBaseERKN3c106ScalarEENKUlvE_clEvENKUlvE3_clEvEUlsE_EEvS4_RKT_EUlibE_EEviT1_.has_dyn_sized_stack, 0
	.set _ZN2at6native32elementwise_kernel_manual_unrollILi128ELi8EZNS0_22gpu_kernel_impl_nocastIZZZNS0_21clamp_max_kernel_cudaERNS_18TensorIteratorBaseERKN3c106ScalarEENKUlvE_clEvENKUlvE3_clEvEUlsE_EEvS4_RKT_EUlibE_EEviT1_.has_recursion, 0
	.set _ZN2at6native32elementwise_kernel_manual_unrollILi128ELi8EZNS0_22gpu_kernel_impl_nocastIZZZNS0_21clamp_max_kernel_cudaERNS_18TensorIteratorBaseERKN3c106ScalarEENKUlvE_clEvENKUlvE3_clEvEUlsE_EEvS4_RKT_EUlibE_EEviT1_.has_indirect_call, 0
	.section	.AMDGPU.csdata,"",@progbits
; Kernel info:
; codeLenInByte = 11472
; TotalNumSgprs: 67
; NumVgprs: 33
; NumAgprs: 0
; TotalNumVgprs: 33
; ScratchSize: 0
; MemoryBound: 0
; FloatMode: 240
; IeeeMode: 1
; LDSByteSize: 0 bytes/workgroup (compile time only)
; SGPRBlocks: 8
; VGPRBlocks: 4
; NumSGPRsForWavesPerEU: 67
; NumVGPRsForWavesPerEU: 33
; AccumOffset: 36
; Occupancy: 8
; WaveLimiterHint : 1
; COMPUTE_PGM_RSRC2:SCRATCH_EN: 0
; COMPUTE_PGM_RSRC2:USER_SGPR: 2
; COMPUTE_PGM_RSRC2:TRAP_HANDLER: 0
; COMPUTE_PGM_RSRC2:TGID_X_EN: 1
; COMPUTE_PGM_RSRC2:TGID_Y_EN: 0
; COMPUTE_PGM_RSRC2:TGID_Z_EN: 0
; COMPUTE_PGM_RSRC2:TIDIG_COMP_CNT: 0
; COMPUTE_PGM_RSRC3_GFX90A:ACCUM_OFFSET: 8
; COMPUTE_PGM_RSRC3_GFX90A:TG_SPLIT: 0
	.section	.text._ZN2at6native32elementwise_kernel_manual_unrollILi128ELi4EZNS0_15gpu_kernel_implIZZZNS0_21clamp_max_kernel_cudaERNS_18TensorIteratorBaseERKN3c106ScalarEENKUlvE_clEvENKUlvE3_clEvEUlsE_EEvS4_RKT_EUlibE_EEviT1_,"axG",@progbits,_ZN2at6native32elementwise_kernel_manual_unrollILi128ELi4EZNS0_15gpu_kernel_implIZZZNS0_21clamp_max_kernel_cudaERNS_18TensorIteratorBaseERKN3c106ScalarEENKUlvE_clEvENKUlvE3_clEvEUlsE_EEvS4_RKT_EUlibE_EEviT1_,comdat
	.globl	_ZN2at6native32elementwise_kernel_manual_unrollILi128ELi4EZNS0_15gpu_kernel_implIZZZNS0_21clamp_max_kernel_cudaERNS_18TensorIteratorBaseERKN3c106ScalarEENKUlvE_clEvENKUlvE3_clEvEUlsE_EEvS4_RKT_EUlibE_EEviT1_ ; -- Begin function _ZN2at6native32elementwise_kernel_manual_unrollILi128ELi4EZNS0_15gpu_kernel_implIZZZNS0_21clamp_max_kernel_cudaERNS_18TensorIteratorBaseERKN3c106ScalarEENKUlvE_clEvENKUlvE3_clEvEUlsE_EEvS4_RKT_EUlibE_EEviT1_
	.p2align	8
	.type	_ZN2at6native32elementwise_kernel_manual_unrollILi128ELi4EZNS0_15gpu_kernel_implIZZZNS0_21clamp_max_kernel_cudaERNS_18TensorIteratorBaseERKN3c106ScalarEENKUlvE_clEvENKUlvE3_clEvEUlsE_EEvS4_RKT_EUlibE_EEviT1_,@function
_ZN2at6native32elementwise_kernel_manual_unrollILi128ELi4EZNS0_15gpu_kernel_implIZZZNS0_21clamp_max_kernel_cudaERNS_18TensorIteratorBaseERKN3c106ScalarEENKUlvE_clEvENKUlvE3_clEvEUlsE_EEvS4_RKT_EUlibE_EEviT1_: ; @_ZN2at6native32elementwise_kernel_manual_unrollILi128ELi4EZNS0_15gpu_kernel_implIZZZNS0_21clamp_max_kernel_cudaERNS_18TensorIteratorBaseERKN3c106ScalarEENKUlvE_clEvENKUlvE3_clEvEUlsE_EEvS4_RKT_EUlibE_EEviT1_
; %bb.0:
	s_load_dword s33, s[0:1], 0x20
	s_load_dwordx2 s[8:9], s[0:1], 0x18
	s_load_dword s38, s[0:1], 0x0
	s_load_dwordx4 s[4:7], s[0:1], 0x8
	v_lshl_or_b32 v10, s2, 9, v0
	v_or_b32_e32 v0, 0x180, v10
	s_waitcnt lgkmcnt(0)
	s_lshr_b32 s42, s33, 16
	s_lshr_b32 s43, s33, 24
	v_cmp_le_i32_e32 vcc, s38, v0
	s_mov_b64 s[2:3], 0
	s_mov_b64 s[12:13], 0
	s_and_saveexec_b64 s[0:1], vcc
	s_xor_b64 s[10:11], exec, s[0:1]
	s_cbranch_execz .LBB456_1011
; %bb.1:
	v_cmp_gt_i32_e32 vcc, s38, v10
	s_mov_b64 s[18:19], -1
	s_mov_b64 s[20:21], 0
	s_mov_b64 s[14:15], 0
	s_and_saveexec_b64 s[16:17], vcc
	s_cbranch_execz .LBB456_248
; %bb.2:
	v_mul_lo_u32 v0, v10, s9
	v_ashrrev_i32_e32 v1, 31, v0
	s_and_b32 s18, 0xffff, s43
	s_cmp_lt_i32 s18, 11
	v_lshl_add_u64 v[0:1], s[6:7], 0, v[0:1]
	s_cbranch_scc1 .LBB456_9
; %bb.3:
	s_cmp_gt_i32 s18, 25
	s_cbranch_scc0 .LBB456_18
; %bb.4:
	s_cmp_gt_i32 s18, 28
	s_cbranch_scc0 .LBB456_22
	;; [unrolled: 3-line block ×4, first 2 shown]
; %bb.7:
	s_cmp_eq_u32 s18, 46
	s_cbranch_scc0 .LBB456_28
; %bb.8:
	global_load_dword v2, v[0:1], off
	s_mov_b64 s[0:1], -1
	s_waitcnt vmcnt(0)
	v_lshlrev_b32_e32 v2, 16, v2
	v_cvt_i32_f32_e32 v2, v2
	s_branch .LBB456_30
.LBB456_9:
                                        ; implicit-def: $vgpr2
	s_mov_b64 s[0:1], 0
	s_cbranch_execnz .LBB456_199
.LBB456_10:
	s_andn2_b64 vcc, exec, s[0:1]
	s_cbranch_vccnz .LBB456_246
.LBB456_11:
	v_mul_lo_u32 v0, v10, s8
	v_ashrrev_i32_e32 v1, 31, v0
	s_and_b32 s24, s42, 0xff
	s_waitcnt vmcnt(0)
	v_min_i16_e32 v4, s33, v2
	s_cmp_lt_i32 s24, 11
	v_lshl_add_u64 v[0:1], s[4:5], 0, v[0:1]
	s_cbranch_scc1 .LBB456_19
; %bb.12:
	s_and_b32 s25, 0xffff, s24
	s_cmp_gt_i32 s25, 25
	s_cbranch_scc0 .LBB456_23
; %bb.13:
	s_cmp_gt_i32 s25, 28
	s_cbranch_scc0 .LBB456_25
; %bb.14:
	;; [unrolled: 3-line block ×4, first 2 shown]
	s_mov_b64 s[18:19], 0
	s_mov_b64 s[0:1], -1
	s_cmp_eq_u32 s25, 46
	s_mov_b64 s[12:13], 0
	s_cbranch_scc0 .LBB456_34
; %bb.17:
	v_cvt_f32_i32_sdwa v2, sext(v4) dst_sel:DWORD dst_unused:UNUSED_PAD src0_sel:WORD_0
	s_movk_i32 s0, 0x7fff
	s_mov_b64 s[12:13], -1
	v_bfe_u32 v3, v2, 16, 1
	v_add3_u32 v2, v2, v3, s0
	v_lshrrev_b32_e32 v2, 16, v2
	global_store_dword v[0:1], v2, off
	s_mov_b64 s[0:1], 0
	s_branch .LBB456_34
.LBB456_18:
	s_mov_b64 s[0:1], 0
                                        ; implicit-def: $vgpr2
	s_cbranch_execnz .LBB456_166
	s_branch .LBB456_198
.LBB456_19:
	s_mov_b64 s[0:1], 0
	s_mov_b64 s[12:13], 0
	s_cbranch_execnz .LBB456_103
.LBB456_20:
	s_andn2_b64 vcc, exec, s[12:13]
	s_cbranch_vccnz .LBB456_141
.LBB456_21:
	v_add_u32_e32 v10, 0x80, v10
	s_mov_b64 s[18:19], -1
	s_branch .LBB456_247
.LBB456_22:
	s_mov_b64 s[12:13], -1
	s_mov_b64 s[0:1], 0
                                        ; implicit-def: $vgpr2
	s_branch .LBB456_149
.LBB456_23:
	s_mov_b64 s[18:19], -1
	s_mov_b64 s[0:1], 0
	s_mov_b64 s[12:13], 0
	s_branch .LBB456_61
.LBB456_24:
	s_mov_b64 s[12:13], -1
	s_mov_b64 s[0:1], 0
                                        ; implicit-def: $vgpr2
	s_branch .LBB456_144
.LBB456_25:
	s_mov_b64 s[18:19], -1
	s_mov_b64 s[0:1], 0
	s_mov_b64 s[12:13], 0
	s_branch .LBB456_44
.LBB456_26:
	s_mov_b64 s[12:13], -1
	s_branch .LBB456_29
.LBB456_27:
	s_mov_b64 s[18:19], -1
	s_mov_b64 s[0:1], 0
	s_mov_b64 s[12:13], 0
	s_branch .LBB456_40
.LBB456_28:
	s_mov_b64 s[14:15], -1
.LBB456_29:
	s_mov_b64 s[0:1], 0
                                        ; implicit-def: $vgpr2
.LBB456_30:
	s_and_b64 vcc, exec, s[12:13]
	s_cbranch_vccz .LBB456_143
; %bb.31:
	s_cmp_eq_u32 s18, 44
	s_cbranch_scc0 .LBB456_142
; %bb.32:
	global_load_ubyte v2, v[0:1], off
	s_mov_b64 s[0:1], -1
	s_mov_b64 s[14:15], 0
	s_waitcnt vmcnt(0)
	v_lshlrev_b32_e32 v3, 23, v2
	v_cvt_i32_f32_e32 v3, v3
	v_cmp_ne_u32_e32 vcc, 0, v2
	s_nop 1
	v_cndmask_b32_e32 v2, 0, v3, vcc
	s_branch .LBB456_143
.LBB456_33:
	s_mov_b64 s[18:19], -1
	s_mov_b64 s[0:1], 0
	s_mov_b64 s[12:13], 0
.LBB456_34:
	s_and_b64 vcc, exec, s[18:19]
	s_cbranch_vccz .LBB456_39
; %bb.35:
	s_cmp_eq_u32 s25, 44
	s_mov_b64 s[0:1], -1
	s_cbranch_scc0 .LBB456_39
; %bb.36:
	v_cvt_f32_i32_sdwa v2, sext(v4) dst_sel:DWORD dst_unused:UNUSED_PAD src0_sel:WORD_0
	s_movk_i32 s0, 0xff
	v_mov_b32_e32 v5, 0xff
	v_bfe_u32 v3, v2, 23, 8
	v_cmp_ne_u32_e32 vcc, s0, v3
	s_and_saveexec_b64 s[12:13], vcc
; %bb.37:
	s_mov_b32 s0, 0x3fffff
	v_lshrrev_b32_e32 v5, 23, v2
	v_and_b32_e32 v6, 0x400000, v2
	v_and_or_b32 v2, v2, s0, v3
	v_cmp_ne_u32_e32 vcc, 0, v6
	v_cmp_ne_u32_e64 s[0:1], 0, v2
	s_and_b64 s[0:1], vcc, s[0:1]
	s_nop 0
	v_cndmask_b32_e64 v2, 0, 1, s[0:1]
	v_add_u32_e32 v5, v5, v2
; %bb.38:
	s_or_b64 exec, exec, s[12:13]
	s_mov_b64 s[12:13], -1
	s_mov_b64 s[0:1], 0
	global_store_byte v[0:1], v5, off
.LBB456_39:
	s_mov_b64 s[18:19], 0
.LBB456_40:
	s_and_b64 vcc, exec, s[18:19]
	s_cbranch_vccz .LBB456_43
; %bb.41:
	s_cmp_eq_u32 s25, 29
	s_mov_b64 s[0:1], -1
	s_cbranch_scc0 .LBB456_43
; %bb.42:
	v_bfe_i32 v2, v4, 0, 16
	v_ashrrev_i32_e32 v3, 31, v2
	global_store_dwordx2 v[0:1], v[2:3], off
	s_mov_b64 s[12:13], -1
	s_mov_b64 s[0:1], 0
.LBB456_43:
	s_mov_b64 s[18:19], 0
.LBB456_44:
	s_and_b64 vcc, exec, s[18:19]
	s_cbranch_vccz .LBB456_60
; %bb.45:
	s_cmp_lt_i32 s25, 27
	s_mov_b64 s[12:13], -1
	s_cbranch_scc1 .LBB456_51
; %bb.46:
	s_cmp_gt_i32 s25, 27
	s_cbranch_scc0 .LBB456_48
; %bb.47:
	v_bfe_i32 v2, v4, 0, 16
	s_mov_b64 s[12:13], 0
	global_store_dword v[0:1], v2, off
.LBB456_48:
	s_andn2_b64 vcc, exec, s[12:13]
	s_cbranch_vccnz .LBB456_50
; %bb.49:
	global_store_short v[0:1], v4, off
.LBB456_50:
	s_mov_b64 s[12:13], 0
.LBB456_51:
	s_andn2_b64 vcc, exec, s[12:13]
	s_cbranch_vccnz .LBB456_59
; %bb.52:
	v_cvt_f32_i32_sdwa v2, sext(v4) dst_sel:DWORD dst_unused:UNUSED_PAD src0_sel:WORD_0
	s_mov_b32 s12, 0x43800000
	v_mov_b32_e32 v5, 0x80
	v_and_b32_e32 v3, 0x7fffffff, v2
	v_cmp_gt_u32_e32 vcc, s12, v3
	s_and_saveexec_b64 s[12:13], vcc
	s_cbranch_execz .LBB456_58
; %bb.53:
	s_mov_b32 s18, 0x3bffffff
	v_cmp_lt_u32_e32 vcc, s18, v3
	s_mov_b64 s[18:19], 0
                                        ; implicit-def: $vgpr3
	s_and_saveexec_b64 s[22:23], vcc
	s_xor_b64 s[22:23], exec, s[22:23]
	s_cbranch_execz .LBB456_275
; %bb.54:
	v_bfe_u32 v3, v2, 20, 1
	s_mov_b32 s26, 0x487ffff
	v_add3_u32 v3, v2, v3, s26
	s_mov_b64 s[18:19], exec
	v_lshrrev_b32_e32 v3, 20, v3
	s_andn2_saveexec_b64 s[22:23], s[22:23]
	s_cbranch_execnz .LBB456_276
.LBB456_55:
	s_or_b64 exec, exec, s[22:23]
	v_mov_b32_e32 v5, 0
	s_and_saveexec_b64 s[22:23], s[18:19]
.LBB456_56:
	v_lshrrev_b32_e32 v2, 24, v2
	s_movk_i32 s18, 0x80
	v_and_or_b32 v5, v2, s18, v3
.LBB456_57:
	s_or_b64 exec, exec, s[22:23]
.LBB456_58:
	s_or_b64 exec, exec, s[12:13]
	global_store_byte v[0:1], v5, off
.LBB456_59:
	s_mov_b64 s[12:13], -1
.LBB456_60:
	s_mov_b64 s[18:19], 0
.LBB456_61:
	s_and_b64 vcc, exec, s[18:19]
	s_cbranch_vccz .LBB456_102
; %bb.62:
	s_cmp_gt_i32 s25, 22
	s_mov_b64 s[18:19], -1
	s_cbranch_scc0 .LBB456_94
; %bb.63:
	s_cmp_lt_i32 s25, 24
	s_mov_b64 s[12:13], -1
	s_cbranch_scc1 .LBB456_83
; %bb.64:
	s_cmp_gt_i32 s25, 24
	s_cbranch_scc0 .LBB456_72
; %bb.65:
	v_cvt_f32_i32_sdwa v2, sext(v4) dst_sel:DWORD dst_unused:UNUSED_PAD src0_sel:WORD_0
	s_mov_b32 s12, 0x47800000
	v_mov_b32_e32 v5, 0x80
	v_and_b32_e32 v3, 0x7fffffff, v2
	v_cmp_gt_u32_e32 vcc, s12, v3
	s_and_saveexec_b64 s[12:13], vcc
	s_cbranch_execz .LBB456_71
; %bb.66:
	s_mov_b32 s18, 0x37ffffff
	v_cmp_lt_u32_e32 vcc, s18, v3
	s_mov_b64 s[18:19], 0
                                        ; implicit-def: $vgpr3
	s_and_saveexec_b64 s[22:23], vcc
	s_xor_b64 s[22:23], exec, s[22:23]
	s_cbranch_execz .LBB456_279
; %bb.67:
	v_bfe_u32 v3, v2, 21, 1
	s_mov_b32 s26, 0x88fffff
	v_add3_u32 v3, v2, v3, s26
	s_mov_b64 s[18:19], exec
	v_lshrrev_b32_e32 v3, 21, v3
	s_andn2_saveexec_b64 s[22:23], s[22:23]
	s_cbranch_execnz .LBB456_280
.LBB456_68:
	s_or_b64 exec, exec, s[22:23]
	v_mov_b32_e32 v5, 0
	s_and_saveexec_b64 s[22:23], s[18:19]
.LBB456_69:
	v_lshrrev_b32_e32 v2, 24, v2
	s_movk_i32 s18, 0x80
	v_and_or_b32 v5, v2, s18, v3
.LBB456_70:
	s_or_b64 exec, exec, s[22:23]
.LBB456_71:
	s_or_b64 exec, exec, s[12:13]
	s_mov_b64 s[12:13], 0
	global_store_byte v[0:1], v5, off
.LBB456_72:
	s_and_b64 vcc, exec, s[12:13]
	s_cbranch_vccz .LBB456_82
; %bb.73:
	v_cvt_f32_i32_sdwa v2, sext(v4) dst_sel:DWORD dst_unused:UNUSED_PAD src0_sel:WORD_0
	s_mov_b32 s12, 0x43f00000
                                        ; implicit-def: $vgpr3
	v_and_b32_e32 v5, 0x7fffffff, v2
	v_cmp_gt_u32_e32 vcc, s12, v5
	s_and_saveexec_b64 s[12:13], vcc
	s_xor_b64 s[12:13], exec, s[12:13]
	s_cbranch_execz .LBB456_79
; %bb.74:
	s_mov_b32 s18, 0x3c7fffff
	v_cmp_lt_u32_e32 vcc, s18, v5
                                        ; implicit-def: $vgpr3
	s_and_saveexec_b64 s[18:19], vcc
	s_xor_b64 s[18:19], exec, s[18:19]
; %bb.75:
	v_bfe_u32 v3, v2, 20, 1
	s_mov_b32 s22, 0x407ffff
	v_add3_u32 v3, v2, v3, s22
	v_lshrrev_b32_e32 v5, 20, v3
	v_and_b32_e32 v3, 0xff00000, v3
	s_mov_b32 s22, 0x7f00000
	v_mov_b32_e32 v6, 0x7e
	v_cmp_ne_u32_e32 vcc, s22, v3
	s_nop 1
	v_cndmask_b32_e32 v3, v6, v5, vcc
; %bb.76:
	s_andn2_saveexec_b64 s[18:19], s[18:19]
; %bb.77:
	s_mov_b32 s22, 0x46800000
	v_add_f32_e64 v3, |v2|, s22
; %bb.78:
	s_or_b64 exec, exec, s[18:19]
                                        ; implicit-def: $vgpr5
.LBB456_79:
	s_andn2_saveexec_b64 s[12:13], s[12:13]
; %bb.80:
	s_mov_b32 s18, 0x7f800000
	v_mov_b32_e32 v3, 0x7e
	v_mov_b32_e32 v6, 0x7f
	v_cmp_lt_u32_e32 vcc, s18, v5
	s_nop 1
	v_cndmask_b32_e32 v3, v3, v6, vcc
; %bb.81:
	s_or_b64 exec, exec, s[12:13]
	v_lshrrev_b32_e32 v2, 24, v2
	s_movk_i32 s12, 0x80
	v_and_or_b32 v2, v2, s12, v3
	global_store_byte v[0:1], v2, off
.LBB456_82:
	s_mov_b64 s[12:13], 0
.LBB456_83:
	s_andn2_b64 vcc, exec, s[12:13]
	s_cbranch_vccnz .LBB456_93
; %bb.84:
	v_cvt_f32_i32_sdwa v2, sext(v4) dst_sel:DWORD dst_unused:UNUSED_PAD src0_sel:WORD_0
	s_mov_b32 s12, 0x47800000
                                        ; implicit-def: $vgpr3
	v_and_b32_e32 v5, 0x7fffffff, v2
	v_cmp_gt_u32_e32 vcc, s12, v5
	s_and_saveexec_b64 s[12:13], vcc
	s_xor_b64 s[12:13], exec, s[12:13]
	s_cbranch_execz .LBB456_90
; %bb.85:
	s_mov_b32 s18, 0x387fffff
	v_cmp_lt_u32_e32 vcc, s18, v5
                                        ; implicit-def: $vgpr3
	s_and_saveexec_b64 s[18:19], vcc
	s_xor_b64 s[18:19], exec, s[18:19]
; %bb.86:
	v_bfe_u32 v3, v2, 21, 1
	s_mov_b32 s22, 0x80fffff
	v_add3_u32 v3, v2, v3, s22
	v_lshrrev_b32_e32 v3, 21, v3
; %bb.87:
	s_andn2_saveexec_b64 s[18:19], s[18:19]
; %bb.88:
	s_mov_b32 s22, 0x43000000
	v_add_f32_e64 v3, |v2|, s22
; %bb.89:
	s_or_b64 exec, exec, s[18:19]
                                        ; implicit-def: $vgpr5
.LBB456_90:
	s_andn2_saveexec_b64 s[12:13], s[12:13]
; %bb.91:
	s_mov_b32 s18, 0x7f800000
	v_mov_b32_e32 v3, 0x7c
	v_mov_b32_e32 v6, 0x7f
	v_cmp_lt_u32_e32 vcc, s18, v5
	s_nop 1
	v_cndmask_b32_e32 v3, v3, v6, vcc
; %bb.92:
	s_or_b64 exec, exec, s[12:13]
	v_lshrrev_b32_e32 v2, 24, v2
	s_movk_i32 s12, 0x80
	v_and_or_b32 v2, v2, s12, v3
	global_store_byte v[0:1], v2, off
.LBB456_93:
	s_mov_b64 s[18:19], 0
	s_mov_b64 s[12:13], -1
.LBB456_94:
	s_andn2_b64 vcc, exec, s[18:19]
	s_cbranch_vccnz .LBB456_102
; %bb.95:
	s_cmp_gt_i32 s25, 14
	s_mov_b64 s[18:19], -1
	s_cbranch_scc0 .LBB456_99
; %bb.96:
	s_cmp_eq_u32 s25, 15
	s_mov_b64 s[0:1], -1
	s_cbranch_scc0 .LBB456_98
; %bb.97:
	v_cvt_f32_i32_sdwa v2, sext(v4) dst_sel:DWORD dst_unused:UNUSED_PAD src0_sel:WORD_0
	s_movk_i32 s0, 0x7fff
	s_mov_b64 s[12:13], -1
	v_bfe_u32 v3, v2, 16, 1
	v_add3_u32 v2, v2, v3, s0
	global_store_short_d16_hi v[0:1], v2, off
	s_mov_b64 s[0:1], 0
.LBB456_98:
	s_mov_b64 s[18:19], 0
.LBB456_99:
	s_and_b64 vcc, exec, s[18:19]
	s_cbranch_vccz .LBB456_102
; %bb.100:
	s_cmp_eq_u32 s25, 11
	s_mov_b64 s[0:1], -1
	s_cbranch_scc0 .LBB456_102
; %bb.101:
	v_cmp_ne_u16_e32 vcc, 0, v4
	s_mov_b64 s[12:13], -1
	s_mov_b64 s[0:1], 0
	v_cndmask_b32_e64 v2, 0, 1, vcc
	global_store_byte v[0:1], v2, off
.LBB456_102:
	s_branch .LBB456_20
.LBB456_103:
	s_and_b32 s18, 0xffff, s24
	s_cmp_lt_i32 s18, 5
	s_mov_b64 s[12:13], -1
	s_cbranch_scc1 .LBB456_124
; %bb.104:
	s_cmp_lt_i32 s18, 8
	s_cbranch_scc1 .LBB456_114
; %bb.105:
	s_cmp_lt_i32 s18, 9
	s_cbranch_scc1 .LBB456_111
; %bb.106:
	s_cmp_gt_i32 s18, 9
	s_cbranch_scc0 .LBB456_108
; %bb.107:
	v_bfe_i32 v2, v4, 0, 16
	v_mov_b32_e32 v8, 0
	v_cvt_f64_i32_e32 v[6:7], v2
	v_mov_b32_e32 v9, v8
	global_store_dwordx4 v[0:1], v[6:9], off
	s_mov_b64 s[12:13], 0
.LBB456_108:
	s_andn2_b64 vcc, exec, s[12:13]
	s_cbranch_vccnz .LBB456_110
; %bb.109:
	v_cvt_f32_i32_sdwa v2, sext(v4) dst_sel:DWORD dst_unused:UNUSED_PAD src0_sel:WORD_0
	v_mov_b32_e32 v3, 0
	global_store_dwordx2 v[0:1], v[2:3], off
.LBB456_110:
	s_mov_b64 s[12:13], 0
.LBB456_111:
	s_andn2_b64 vcc, exec, s[12:13]
	s_cbranch_vccnz .LBB456_113
; %bb.112:
	v_cvt_f16_i16_e32 v2, v4
	global_store_dword v[0:1], v2, off
.LBB456_113:
	s_mov_b64 s[12:13], 0
.LBB456_114:
	s_andn2_b64 vcc, exec, s[12:13]
	s_cbranch_vccnz .LBB456_123
; %bb.115:
	s_cmp_lt_i32 s18, 6
	s_mov_b64 s[12:13], -1
	s_cbranch_scc1 .LBB456_121
; %bb.116:
	s_cmp_gt_i32 s18, 6
	s_cbranch_scc0 .LBB456_118
; %bb.117:
	v_bfe_i32 v2, v4, 0, 16
	v_cvt_f64_i32_e32 v[2:3], v2
	global_store_dwordx2 v[0:1], v[2:3], off
	s_mov_b64 s[12:13], 0
.LBB456_118:
	s_andn2_b64 vcc, exec, s[12:13]
	s_cbranch_vccnz .LBB456_120
; %bb.119:
	v_cvt_f32_i32_sdwa v2, sext(v4) dst_sel:DWORD dst_unused:UNUSED_PAD src0_sel:WORD_0
	global_store_dword v[0:1], v2, off
.LBB456_120:
	s_mov_b64 s[12:13], 0
.LBB456_121:
	s_andn2_b64 vcc, exec, s[12:13]
	s_cbranch_vccnz .LBB456_123
; %bb.122:
	v_cvt_f16_i16_e32 v2, v4
	global_store_short v[0:1], v2, off
.LBB456_123:
	s_mov_b64 s[12:13], 0
.LBB456_124:
	s_andn2_b64 vcc, exec, s[12:13]
	s_cbranch_vccnz .LBB456_140
; %bb.125:
	s_cmp_lt_i32 s18, 2
	s_mov_b64 s[12:13], -1
	s_cbranch_scc1 .LBB456_135
; %bb.126:
	s_cmp_lt_i32 s18, 3
	s_cbranch_scc1 .LBB456_132
; %bb.127:
	s_cmp_gt_i32 s18, 3
	v_bfe_i32 v2, v4, 0, 16
	s_cbranch_scc0 .LBB456_129
; %bb.128:
	v_ashrrev_i32_e32 v3, 31, v2
	global_store_dwordx2 v[0:1], v[2:3], off
	s_mov_b64 s[12:13], 0
.LBB456_129:
	s_andn2_b64 vcc, exec, s[12:13]
	s_cbranch_vccnz .LBB456_131
; %bb.130:
	global_store_dword v[0:1], v2, off
.LBB456_131:
	s_mov_b64 s[12:13], 0
.LBB456_132:
	s_andn2_b64 vcc, exec, s[12:13]
	s_cbranch_vccnz .LBB456_134
; %bb.133:
	global_store_short v[0:1], v4, off
.LBB456_134:
	s_mov_b64 s[12:13], 0
.LBB456_135:
	s_andn2_b64 vcc, exec, s[12:13]
	s_cbranch_vccnz .LBB456_140
; %bb.136:
	s_cmp_gt_i32 s18, 0
	s_mov_b64 s[12:13], -1
	s_cbranch_scc0 .LBB456_138
; %bb.137:
	global_store_byte v[0:1], v4, off
	s_mov_b64 s[12:13], 0
.LBB456_138:
	s_andn2_b64 vcc, exec, s[12:13]
	s_cbranch_vccnz .LBB456_140
; %bb.139:
	global_store_byte v[0:1], v4, off
.LBB456_140:
	s_branch .LBB456_21
.LBB456_141:
	s_mov_b64 s[18:19], 0
                                        ; implicit-def: $vgpr10
	s_branch .LBB456_247
.LBB456_142:
	s_mov_b64 s[14:15], -1
                                        ; implicit-def: $vgpr2
.LBB456_143:
	s_mov_b64 s[12:13], 0
.LBB456_144:
	s_and_b64 vcc, exec, s[12:13]
	s_cbranch_vccz .LBB456_148
; %bb.145:
	s_cmp_eq_u32 s18, 29
	s_cbranch_scc0 .LBB456_147
; %bb.146:
	global_load_dwordx2 v[2:3], v[0:1], off
	s_mov_b64 s[0:1], -1
	s_mov_b64 s[14:15], 0
	s_branch .LBB456_148
.LBB456_147:
	s_mov_b64 s[14:15], -1
                                        ; implicit-def: $vgpr2
.LBB456_148:
	s_mov_b64 s[12:13], 0
.LBB456_149:
	s_and_b64 vcc, exec, s[12:13]
	s_cbranch_vccz .LBB456_165
; %bb.150:
	s_cmp_lt_i32 s18, 27
	s_cbranch_scc1 .LBB456_153
; %bb.151:
	s_cmp_gt_i32 s18, 27
	s_cbranch_scc0 .LBB456_154
; %bb.152:
	global_load_dword v2, v[0:1], off
	s_mov_b64 s[0:1], 0
	s_branch .LBB456_155
.LBB456_153:
	s_mov_b64 s[0:1], -1
                                        ; implicit-def: $vgpr2
	s_branch .LBB456_158
.LBB456_154:
	s_mov_b64 s[0:1], -1
                                        ; implicit-def: $vgpr2
.LBB456_155:
	s_andn2_b64 vcc, exec, s[0:1]
	s_cbranch_vccnz .LBB456_157
; %bb.156:
	global_load_ushort v2, v[0:1], off
.LBB456_157:
	s_mov_b64 s[0:1], 0
.LBB456_158:
	s_andn2_b64 vcc, exec, s[0:1]
	s_cbranch_vccnz .LBB456_164
; %bb.159:
	global_load_ubyte v3, v[0:1], off
	s_movk_i32 s0, 0x7f
	s_mov_b64 s[12:13], 0
	s_waitcnt vmcnt(0)
	v_cmp_lt_i16_e32 vcc, s0, v3
	s_and_saveexec_b64 s[0:1], vcc
	s_xor_b64 s[0:1], exec, s[0:1]
	s_cbranch_execz .LBB456_175
; %bb.160:
	s_movk_i32 s12, 0x80
	v_cmp_ne_u16_e32 vcc, s12, v3
	s_and_b64 s[12:13], vcc, exec
	s_andn2_saveexec_b64 s[0:1], s[0:1]
	s_cbranch_execnz .LBB456_176
.LBB456_161:
	s_or_b64 exec, exec, s[0:1]
	v_mov_b32_e32 v2, 0
	s_and_saveexec_b64 s[0:1], s[12:13]
	s_cbranch_execz .LBB456_163
.LBB456_162:
	v_lshlrev_b32_e32 v2, 24, v3
	v_and_b32_e32 v3, 0xffff, v3
	v_and_b32_e32 v4, 7, v3
	v_ffbh_u32_e32 v6, v4
	v_min_u32_e32 v6, 32, v6
	v_subrev_u32_e32 v7, 28, v6
	v_bfe_u32 v5, v3, 3, 4
	v_lshlrev_b32_e32 v3, v7, v3
	v_sub_u32_e32 v6, 29, v6
	v_and_b32_e32 v3, 7, v3
	v_cmp_eq_u32_e32 vcc, 0, v5
	v_and_b32_e32 v2, 0x80000000, v2
	s_nop 0
	v_cndmask_b32_e32 v5, v5, v6, vcc
	v_cndmask_b32_e32 v3, v4, v3, vcc
	v_mov_b32_e32 v4, 0x3b800000
	v_lshlrev_b32_e32 v3, 20, v3
	v_lshl_add_u32 v4, v5, 23, v4
	v_or3_b32 v2, v2, v4, v3
	v_cvt_i32_f32_e32 v2, v2
.LBB456_163:
	s_or_b64 exec, exec, s[0:1]
.LBB456_164:
	s_mov_b64 s[0:1], -1
.LBB456_165:
	s_branch .LBB456_198
.LBB456_166:
	s_cmp_gt_i32 s18, 22
	s_cbranch_scc0 .LBB456_174
; %bb.167:
	s_cmp_lt_i32 s18, 24
	s_cbranch_scc1 .LBB456_177
; %bb.168:
	s_cmp_gt_i32 s18, 24
	s_cbranch_scc0 .LBB456_178
; %bb.169:
	global_load_ubyte v3, v[0:1], off
	s_movk_i32 s0, 0x7f
	s_mov_b64 s[12:13], 0
	s_waitcnt vmcnt(0)
	v_cmp_lt_i16_e32 vcc, s0, v3
	s_and_saveexec_b64 s[0:1], vcc
	s_xor_b64 s[0:1], exec, s[0:1]
	s_cbranch_execz .LBB456_190
; %bb.170:
	s_movk_i32 s12, 0x80
	v_cmp_ne_u16_e32 vcc, s12, v3
	s_and_b64 s[12:13], vcc, exec
	s_andn2_saveexec_b64 s[0:1], s[0:1]
	s_cbranch_execnz .LBB456_191
.LBB456_171:
	s_or_b64 exec, exec, s[0:1]
	v_mov_b32_e32 v2, 0
	s_and_saveexec_b64 s[0:1], s[12:13]
	s_cbranch_execz .LBB456_173
.LBB456_172:
	v_lshlrev_b32_e32 v2, 24, v3
	v_and_b32_e32 v3, 0xffff, v3
	v_and_b32_e32 v4, 3, v3
	v_ffbh_u32_e32 v6, v4
	v_min_u32_e32 v6, 32, v6
	v_subrev_u32_e32 v7, 29, v6
	v_bfe_u32 v5, v3, 2, 5
	v_lshlrev_b32_e32 v3, v7, v3
	v_sub_u32_e32 v6, 30, v6
	v_and_b32_e32 v3, 3, v3
	v_cmp_eq_u32_e32 vcc, 0, v5
	v_and_b32_e32 v2, 0x80000000, v2
	s_nop 0
	v_cndmask_b32_e32 v5, v5, v6, vcc
	v_cndmask_b32_e32 v3, v4, v3, vcc
	v_mov_b32_e32 v4, 0x37800000
	v_lshlrev_b32_e32 v3, 21, v3
	v_lshl_add_u32 v4, v5, 23, v4
	v_or3_b32 v2, v2, v4, v3
	v_cvt_i32_f32_e32 v2, v2
.LBB456_173:
	s_or_b64 exec, exec, s[0:1]
	s_mov_b64 s[0:1], 0
	s_branch .LBB456_179
.LBB456_174:
	s_mov_b64 s[12:13], -1
                                        ; implicit-def: $vgpr2
	s_branch .LBB456_185
.LBB456_175:
	s_andn2_saveexec_b64 s[0:1], s[0:1]
	s_cbranch_execz .LBB456_161
.LBB456_176:
	v_cmp_ne_u16_e32 vcc, 0, v3
	s_andn2_b64 s[12:13], s[12:13], exec
	s_and_b64 s[22:23], vcc, exec
	s_or_b64 s[12:13], s[12:13], s[22:23]
	s_or_b64 exec, exec, s[0:1]
	v_mov_b32_e32 v2, 0
	s_and_saveexec_b64 s[0:1], s[12:13]
	s_cbranch_execnz .LBB456_162
	s_branch .LBB456_163
.LBB456_177:
	s_mov_b64 s[0:1], -1
                                        ; implicit-def: $vgpr2
	s_branch .LBB456_182
.LBB456_178:
	s_mov_b64 s[0:1], -1
                                        ; implicit-def: $vgpr2
.LBB456_179:
	s_and_b64 vcc, exec, s[0:1]
	s_cbranch_vccz .LBB456_181
; %bb.180:
	global_load_ubyte v2, v[0:1], off
	s_mov_b32 s0, 0x7f800000
	s_waitcnt vmcnt(0)
	v_lshlrev_b32_e32 v2, 24, v2
	v_and_b32_e32 v3, 0x7f000000, v2
	v_ffbh_u32_e32 v4, v3
	v_min_u32_e32 v4, 32, v4
	v_sub_u32_e64 v4, v4, 4 clamp
	v_lshlrev_b32_e32 v6, v4, v3
	v_lshlrev_b32_e32 v4, 23, v4
	v_lshrrev_b32_e32 v6, 4, v6
	v_add_u32_e32 v5, 0x1000000, v3
	v_sub_u32_e32 v4, v6, v4
	v_ashrrev_i32_e32 v5, 8, v5
	v_add_u32_e32 v4, 0x3c000000, v4
	v_and_or_b32 v4, v5, s0, v4
	v_cmp_ne_u32_e32 vcc, 0, v3
	s_brev_b32 s0, 1
	s_nop 0
	v_cndmask_b32_e32 v3, 0, v4, vcc
	v_and_or_b32 v2, v2, s0, v3
	v_cvt_i32_f32_e32 v2, v2
.LBB456_181:
	s_mov_b64 s[0:1], 0
.LBB456_182:
	s_andn2_b64 vcc, exec, s[0:1]
	s_cbranch_vccnz .LBB456_184
; %bb.183:
	global_load_ubyte v2, v[0:1], off
	s_movk_i32 s0, 0x7f00
	s_brev_b32 s1, 16
	s_waitcnt vmcnt(0)
	v_lshlrev_b16_e32 v3, 8, v2
	v_lshlrev_b32_e32 v2, 25, v2
	v_lshrrev_b32_e32 v4, 4, v2
	v_and_or_b32 v5, v3, s0, 0.5
	v_or_b32_e32 v4, 0x70000000, v4
	v_add_f32_e32 v5, -0.5, v5
	v_mul_f32_e32 v4, 0x7800000, v4
	v_cmp_gt_u32_e32 vcc, s1, v2
	v_bfe_i32 v3, v3, 0, 16
	s_brev_b32 s0, 1
	v_cndmask_b32_e32 v2, v4, v5, vcc
	v_and_or_b32 v2, v3, s0, v2
	v_cvt_i32_f32_e32 v2, v2
.LBB456_184:
	s_mov_b64 s[12:13], 0
	s_mov_b64 s[0:1], -1
.LBB456_185:
	s_andn2_b64 vcc, exec, s[12:13]
	s_cbranch_vccnz .LBB456_198
; %bb.186:
	s_cmp_gt_i32 s18, 14
	s_cbranch_scc0 .LBB456_189
; %bb.187:
	s_cmp_eq_u32 s18, 15
	s_cbranch_scc0 .LBB456_192
; %bb.188:
	global_load_ushort v2, v[0:1], off
	s_mov_b64 s[0:1], -1
	s_mov_b64 s[14:15], 0
	s_waitcnt vmcnt(0)
	v_lshlrev_b32_e32 v2, 16, v2
	v_cvt_i32_f32_e32 v2, v2
	s_branch .LBB456_193
.LBB456_189:
	s_mov_b64 s[12:13], -1
                                        ; implicit-def: $vgpr2
	s_branch .LBB456_194
.LBB456_190:
	s_andn2_saveexec_b64 s[0:1], s[0:1]
	s_cbranch_execz .LBB456_171
.LBB456_191:
	v_cmp_ne_u16_e32 vcc, 0, v3
	s_andn2_b64 s[12:13], s[12:13], exec
	s_and_b64 s[22:23], vcc, exec
	s_or_b64 s[12:13], s[12:13], s[22:23]
	s_or_b64 exec, exec, s[0:1]
	v_mov_b32_e32 v2, 0
	s_and_saveexec_b64 s[0:1], s[12:13]
	s_cbranch_execnz .LBB456_172
	s_branch .LBB456_173
.LBB456_192:
	s_mov_b64 s[14:15], -1
                                        ; implicit-def: $vgpr2
.LBB456_193:
	s_mov_b64 s[12:13], 0
.LBB456_194:
	s_and_b64 vcc, exec, s[12:13]
	s_cbranch_vccz .LBB456_198
; %bb.195:
	s_cmp_eq_u32 s18, 11
	s_cbranch_scc0 .LBB456_197
; %bb.196:
	global_load_ubyte v2, v[0:1], off
	s_mov_b64 s[0:1], -1
	s_mov_b64 s[14:15], 0
	s_waitcnt vmcnt(0)
	v_cmp_ne_u16_e32 vcc, 0, v2
	s_nop 1
	v_cndmask_b32_e64 v2, 0, 1, vcc
	s_branch .LBB456_198
.LBB456_197:
	s_mov_b64 s[14:15], -1
                                        ; implicit-def: $vgpr2
.LBB456_198:
	s_branch .LBB456_10
.LBB456_199:
	s_cmp_lt_i32 s18, 5
	s_cbranch_scc1 .LBB456_204
; %bb.200:
	s_cmp_lt_i32 s18, 8
	s_cbranch_scc1 .LBB456_205
; %bb.201:
	;; [unrolled: 3-line block ×3, first 2 shown]
	s_cmp_gt_i32 s18, 9
	s_cbranch_scc0 .LBB456_207
; %bb.203:
	global_load_dwordx2 v[2:3], v[0:1], off
	s_mov_b64 s[0:1], 0
	s_waitcnt vmcnt(0)
	v_cvt_i32_f64_e32 v2, v[2:3]
	s_branch .LBB456_208
.LBB456_204:
                                        ; implicit-def: $vgpr2
	s_branch .LBB456_226
.LBB456_205:
	s_mov_b64 s[0:1], -1
                                        ; implicit-def: $vgpr2
	s_branch .LBB456_214
.LBB456_206:
	s_mov_b64 s[0:1], -1
                                        ; implicit-def: $vgpr2
	s_branch .LBB456_211
.LBB456_207:
	s_mov_b64 s[0:1], -1
                                        ; implicit-def: $vgpr2
.LBB456_208:
	s_andn2_b64 vcc, exec, s[0:1]
	s_cbranch_vccnz .LBB456_210
; %bb.209:
	global_load_dword v2, v[0:1], off
	s_waitcnt vmcnt(0)
	v_cvt_i32_f32_e32 v2, v2
.LBB456_210:
	s_mov_b64 s[0:1], 0
.LBB456_211:
	s_andn2_b64 vcc, exec, s[0:1]
	s_cbranch_vccnz .LBB456_213
; %bb.212:
	global_load_dword v2, v[0:1], off
	s_waitcnt vmcnt(0)
	v_cvt_i16_f16_e32 v2, v2
.LBB456_213:
	s_mov_b64 s[0:1], 0
.LBB456_214:
	s_andn2_b64 vcc, exec, s[0:1]
	s_cbranch_vccnz .LBB456_225
; %bb.215:
	s_cmp_lt_i32 s18, 6
	s_cbranch_scc1 .LBB456_218
; %bb.216:
	s_cmp_gt_i32 s18, 6
	s_cbranch_scc0 .LBB456_219
; %bb.217:
	global_load_dwordx2 v[2:3], v[0:1], off
	s_mov_b64 s[0:1], 0
	s_waitcnt vmcnt(0)
	v_cvt_i32_f64_e32 v2, v[2:3]
	s_branch .LBB456_220
.LBB456_218:
	s_mov_b64 s[0:1], -1
                                        ; implicit-def: $vgpr2
	s_branch .LBB456_223
.LBB456_219:
	s_mov_b64 s[0:1], -1
                                        ; implicit-def: $vgpr2
.LBB456_220:
	s_andn2_b64 vcc, exec, s[0:1]
	s_cbranch_vccnz .LBB456_222
; %bb.221:
	global_load_dword v2, v[0:1], off
	s_waitcnt vmcnt(0)
	v_cvt_i32_f32_e32 v2, v2
.LBB456_222:
	s_mov_b64 s[0:1], 0
.LBB456_223:
	s_andn2_b64 vcc, exec, s[0:1]
	s_cbranch_vccnz .LBB456_225
; %bb.224:
	global_load_ushort v2, v[0:1], off
	s_waitcnt vmcnt(0)
	v_cvt_i16_f16_e32 v2, v2
.LBB456_225:
	s_cbranch_execnz .LBB456_245
.LBB456_226:
	s_cmp_lt_i32 s18, 2
	s_cbranch_scc1 .LBB456_230
; %bb.227:
	s_cmp_lt_i32 s18, 3
	s_cbranch_scc1 .LBB456_231
; %bb.228:
	s_cmp_gt_i32 s18, 3
	s_cbranch_scc0 .LBB456_232
; %bb.229:
	global_load_dwordx2 v[2:3], v[0:1], off
	s_mov_b64 s[0:1], 0
	s_branch .LBB456_233
.LBB456_230:
	s_mov_b64 s[0:1], -1
                                        ; implicit-def: $vgpr2
	s_branch .LBB456_239
.LBB456_231:
	s_mov_b64 s[0:1], -1
                                        ; implicit-def: $vgpr2
	s_branch .LBB456_236
.LBB456_232:
	s_mov_b64 s[0:1], -1
                                        ; implicit-def: $vgpr2
.LBB456_233:
	s_andn2_b64 vcc, exec, s[0:1]
	s_cbranch_vccnz .LBB456_235
; %bb.234:
	global_load_dword v2, v[0:1], off
.LBB456_235:
	s_mov_b64 s[0:1], 0
.LBB456_236:
	s_andn2_b64 vcc, exec, s[0:1]
	s_cbranch_vccnz .LBB456_238
; %bb.237:
	global_load_ushort v2, v[0:1], off
.LBB456_238:
	s_mov_b64 s[0:1], 0
.LBB456_239:
	s_andn2_b64 vcc, exec, s[0:1]
	s_cbranch_vccnz .LBB456_245
; %bb.240:
	s_cmp_gt_i32 s18, 0
	s_cbranch_scc0 .LBB456_242
; %bb.241:
	global_load_sbyte v2, v[0:1], off
	s_mov_b64 s[0:1], 0
	s_branch .LBB456_243
.LBB456_242:
	s_mov_b64 s[0:1], -1
                                        ; implicit-def: $vgpr2
.LBB456_243:
	s_andn2_b64 vcc, exec, s[0:1]
	s_cbranch_vccnz .LBB456_245
; %bb.244:
	global_load_ubyte v2, v[0:1], off
.LBB456_245:
	s_branch .LBB456_11
.LBB456_246:
	s_mov_b64 s[0:1], 0
                                        ; implicit-def: $vgpr10
	s_mov_b64 s[18:19], 0
.LBB456_247:
	s_and_b64 s[12:13], s[0:1], exec
	s_and_b64 s[14:15], s[14:15], exec
	s_orn2_b64 s[18:19], s[18:19], exec
.LBB456_248:
	s_or_b64 exec, exec, s[16:17]
	s_mov_b64 s[22:23], 0
	s_mov_b64 s[0:1], 0
                                        ; implicit-def: $vgpr0_vgpr1
                                        ; implicit-def: $vgpr2
	s_and_saveexec_b64 s[16:17], s[18:19]
	s_cbranch_execz .LBB456_257
; %bb.249:
	v_cmp_gt_i32_e32 vcc, s38, v10
	s_mov_b64 s[0:1], -1
	s_mov_b64 s[18:19], s[14:15]
	s_mov_b64 s[20:21], s[12:13]
	s_and_saveexec_b64 s[22:23], vcc
	s_cbranch_execz .LBB456_505
; %bb.250:
	v_mul_lo_u32 v0, v10, s9
	v_ashrrev_i32_e32 v1, 31, v0
	s_and_b32 s24, 0xffff, s43
	s_cmp_lt_i32 s24, 11
	v_lshl_add_u64 v[0:1], s[6:7], 0, v[0:1]
	s_cbranch_scc1 .LBB456_260
; %bb.251:
	s_cmp_gt_i32 s24, 25
	s_cbranch_scc0 .LBB456_269
; %bb.252:
	s_cmp_gt_i32 s24, 28
	s_cbranch_scc0 .LBB456_271
	;; [unrolled: 3-line block ×4, first 2 shown]
; %bb.255:
	s_cmp_eq_u32 s24, 46
	s_mov_b64 s[20:21], 0
	s_cbranch_scc0 .LBB456_281
; %bb.256:
	global_load_dword v2, v[0:1], off
	s_mov_b64 s[18:19], 0
	s_waitcnt vmcnt(0)
	v_lshlrev_b32_e32 v2, 16, v2
	v_cvt_i32_f32_e32 v2, v2
	s_branch .LBB456_282
.LBB456_257:
	s_or_b64 exec, exec, s[16:17]
	s_mov_b64 s[16:17], 0
	s_and_saveexec_b64 s[18:19], s[14:15]
	s_cbranch_execnz .LBB456_843
.LBB456_258:
	s_or_b64 exec, exec, s[18:19]
	s_and_saveexec_b64 s[14:15], s[20:21]
	s_xor_b64 s[14:15], exec, s[14:15]
	s_cbranch_execz .LBB456_844
.LBB456_259:
	global_load_ubyte v2, v[0:1], off
	s_or_b64 s[0:1], s[0:1], exec
	s_waitcnt vmcnt(0)
	v_cmp_ne_u16_e32 vcc, 0, v2
	s_nop 1
	v_cndmask_b32_e64 v2, 0, 1, vcc
	s_or_b64 exec, exec, s[14:15]
	s_and_saveexec_b64 s[14:15], s[22:23]
	s_cbranch_execz .LBB456_890
	s_branch .LBB456_845
.LBB456_260:
	s_mov_b64 s[0:1], 0
                                        ; implicit-def: $vgpr2
	s_mov_b64 s[18:19], s[14:15]
	s_cbranch_execnz .LBB456_455
.LBB456_261:
	s_andn2_b64 vcc, exec, s[0:1]
	s_cbranch_vccnz .LBB456_503
.LBB456_262:
	v_mul_lo_u32 v0, v10, s8
	v_ashrrev_i32_e32 v1, 31, v0
	s_and_b32 s28, s42, 0xff
	s_waitcnt vmcnt(0)
	v_min_i16_e32 v4, s33, v2
	s_cmp_lt_i32 s28, 11
	v_lshl_add_u64 v[0:1], s[4:5], 0, v[0:1]
	s_cbranch_scc1 .LBB456_270
; %bb.263:
	s_and_b32 s29, 0xffff, s28
	s_cmp_gt_i32 s29, 25
	s_cbranch_scc0 .LBB456_272
; %bb.264:
	s_cmp_gt_i32 s29, 28
	s_cbranch_scc0 .LBB456_274
; %bb.265:
	;; [unrolled: 3-line block ×4, first 2 shown]
	s_mov_b64 s[24:25], 0
	s_mov_b64 s[0:1], -1
	s_cmp_eq_u32 s29, 46
	s_mov_b64 s[20:21], 0
	s_cbranch_scc0 .LBB456_286
; %bb.268:
	v_cvt_f32_i32_sdwa v2, sext(v4) dst_sel:DWORD dst_unused:UNUSED_PAD src0_sel:WORD_0
	s_movk_i32 s0, 0x7fff
	s_mov_b64 s[20:21], -1
	v_bfe_u32 v3, v2, 16, 1
	v_add3_u32 v2, v2, v3, s0
	v_lshrrev_b32_e32 v2, 16, v2
	global_store_dword v[0:1], v2, off
	s_mov_b64 s[0:1], 0
	s_branch .LBB456_286
.LBB456_269:
	s_mov_b64 s[20:21], -1
	s_mov_b64 s[0:1], 0
	s_mov_b64 s[18:19], s[14:15]
                                        ; implicit-def: $vgpr2
	s_branch .LBB456_421
.LBB456_270:
	s_mov_b64 s[24:25], -1
	s_mov_b64 s[20:21], 0
	s_mov_b64 s[0:1], s[12:13]
	s_branch .LBB456_355
.LBB456_271:
	s_mov_b64 s[20:21], -1
	s_mov_b64 s[0:1], 0
	s_mov_b64 s[18:19], s[14:15]
                                        ; implicit-def: $vgpr2
	s_branch .LBB456_404
.LBB456_272:
	s_mov_b64 s[24:25], -1
	s_mov_b64 s[20:21], 0
	s_mov_b64 s[0:1], s[12:13]
	s_branch .LBB456_313
.LBB456_273:
	s_mov_b64 s[20:21], -1
	s_mov_b64 s[0:1], 0
	s_mov_b64 s[18:19], s[14:15]
                                        ; implicit-def: $vgpr2
	s_branch .LBB456_399
.LBB456_274:
	s_mov_b64 s[24:25], -1
	s_mov_b64 s[20:21], 0
	s_mov_b64 s[0:1], s[12:13]
	s_branch .LBB456_296
.LBB456_275:
	s_andn2_saveexec_b64 s[22:23], s[22:23]
	s_cbranch_execz .LBB456_55
.LBB456_276:
	s_mov_b32 s26, 0x46000000
	v_add_f32_e64 v3, |v2|, s26
	v_and_b32_e32 v3, 0xff, v3
	v_cmp_ne_u32_e32 vcc, 0, v3
	s_andn2_b64 s[18:19], s[18:19], exec
	s_and_b64 s[26:27], vcc, exec
	s_or_b64 s[18:19], s[18:19], s[26:27]
	s_or_b64 exec, exec, s[22:23]
	v_mov_b32_e32 v5, 0
	s_and_saveexec_b64 s[22:23], s[18:19]
	s_cbranch_execnz .LBB456_56
	s_branch .LBB456_57
.LBB456_277:
	s_mov_b64 s[20:21], -1
	s_mov_b64 s[0:1], 0
	s_mov_b64 s[18:19], s[14:15]
                                        ; implicit-def: $vgpr2
	s_branch .LBB456_282
.LBB456_278:
	s_mov_b64 s[24:25], -1
	s_mov_b64 s[20:21], 0
	s_mov_b64 s[0:1], s[12:13]
	s_branch .LBB456_292
.LBB456_279:
	s_andn2_saveexec_b64 s[22:23], s[22:23]
	s_cbranch_execz .LBB456_68
.LBB456_280:
	s_mov_b32 s26, 0x42800000
	v_add_f32_e64 v3, |v2|, s26
	v_and_b32_e32 v3, 0xff, v3
	v_cmp_ne_u32_e32 vcc, 0, v3
	s_andn2_b64 s[18:19], s[18:19], exec
	s_and_b64 s[26:27], vcc, exec
	s_or_b64 s[18:19], s[18:19], s[26:27]
	s_or_b64 exec, exec, s[22:23]
	v_mov_b32_e32 v5, 0
	s_and_saveexec_b64 s[22:23], s[18:19]
	s_cbranch_execnz .LBB456_69
	s_branch .LBB456_70
.LBB456_281:
	s_mov_b64 s[18:19], -1
                                        ; implicit-def: $vgpr2
	s_mov_b64 s[0:1], 0
.LBB456_282:
	s_and_b64 vcc, exec, s[20:21]
	s_cbranch_vccz .LBB456_398
; %bb.283:
	s_cmp_eq_u32 s24, 44
	s_cbranch_scc0 .LBB456_397
; %bb.284:
	global_load_ubyte v2, v[0:1], off
	s_mov_b64 s[0:1], -1
	s_mov_b64 s[18:19], 0
	s_waitcnt vmcnt(0)
	v_lshlrev_b32_e32 v3, 23, v2
	v_cvt_i32_f32_e32 v3, v3
	v_cmp_ne_u32_e32 vcc, 0, v2
	s_nop 1
	v_cndmask_b32_e32 v2, 0, v3, vcc
	s_branch .LBB456_398
.LBB456_285:
	s_mov_b64 s[24:25], -1
	s_mov_b64 s[20:21], 0
	s_mov_b64 s[0:1], s[12:13]
.LBB456_286:
	s_and_b64 vcc, exec, s[24:25]
	s_cbranch_vccz .LBB456_291
; %bb.287:
	s_cmp_eq_u32 s29, 44
	s_mov_b64 s[0:1], -1
	s_cbranch_scc0 .LBB456_291
; %bb.288:
	v_cvt_f32_i32_sdwa v2, sext(v4) dst_sel:DWORD dst_unused:UNUSED_PAD src0_sel:WORD_0
	s_movk_i32 s0, 0xff
	v_mov_b32_e32 v5, 0xff
	v_bfe_u32 v3, v2, 23, 8
	v_cmp_ne_u32_e32 vcc, s0, v3
	s_and_saveexec_b64 s[20:21], vcc
; %bb.289:
	s_mov_b32 s0, 0x3fffff
	v_lshrrev_b32_e32 v5, 23, v2
	v_and_b32_e32 v6, 0x400000, v2
	v_and_or_b32 v2, v2, s0, v3
	v_cmp_ne_u32_e32 vcc, 0, v6
	v_cmp_ne_u32_e64 s[0:1], 0, v2
	s_and_b64 s[0:1], vcc, s[0:1]
	s_nop 0
	v_cndmask_b32_e64 v2, 0, 1, s[0:1]
	v_add_u32_e32 v5, v5, v2
; %bb.290:
	s_or_b64 exec, exec, s[20:21]
	s_mov_b64 s[20:21], -1
	s_mov_b64 s[0:1], 0
	global_store_byte v[0:1], v5, off
.LBB456_291:
	s_mov_b64 s[24:25], 0
.LBB456_292:
	s_and_b64 vcc, exec, s[24:25]
	s_cbranch_vccz .LBB456_295
; %bb.293:
	s_cmp_eq_u32 s29, 29
	s_mov_b64 s[0:1], -1
	s_cbranch_scc0 .LBB456_295
; %bb.294:
	v_bfe_i32 v2, v4, 0, 16
	v_ashrrev_i32_e32 v3, 31, v2
	global_store_dwordx2 v[0:1], v[2:3], off
	s_mov_b64 s[20:21], -1
	s_mov_b64 s[0:1], 0
.LBB456_295:
	s_mov_b64 s[24:25], 0
.LBB456_296:
	s_and_b64 vcc, exec, s[24:25]
	s_cbranch_vccz .LBB456_312
; %bb.297:
	s_cmp_lt_i32 s29, 27
	s_mov_b64 s[20:21], -1
	s_cbranch_scc1 .LBB456_303
; %bb.298:
	s_cmp_gt_i32 s29, 27
	s_cbranch_scc0 .LBB456_300
; %bb.299:
	v_bfe_i32 v2, v4, 0, 16
	s_mov_b64 s[20:21], 0
	global_store_dword v[0:1], v2, off
.LBB456_300:
	s_andn2_b64 vcc, exec, s[20:21]
	s_cbranch_vccnz .LBB456_302
; %bb.301:
	global_store_short v[0:1], v4, off
.LBB456_302:
	s_mov_b64 s[20:21], 0
.LBB456_303:
	s_andn2_b64 vcc, exec, s[20:21]
	s_cbranch_vccnz .LBB456_311
; %bb.304:
	v_cvt_f32_i32_sdwa v2, sext(v4) dst_sel:DWORD dst_unused:UNUSED_PAD src0_sel:WORD_0
	s_mov_b32 s20, 0x43800000
	v_mov_b32_e32 v5, 0x80
	v_and_b32_e32 v3, 0x7fffffff, v2
	v_cmp_gt_u32_e32 vcc, s20, v3
	s_and_saveexec_b64 s[20:21], vcc
	s_cbranch_execz .LBB456_310
; %bb.305:
	s_mov_b32 s24, 0x3bffffff
	v_cmp_lt_u32_e32 vcc, s24, v3
	s_mov_b64 s[24:25], 0
                                        ; implicit-def: $vgpr3
	s_and_saveexec_b64 s[26:27], vcc
	s_xor_b64 s[26:27], exec, s[26:27]
	s_cbranch_execz .LBB456_518
; %bb.306:
	v_bfe_u32 v3, v2, 20, 1
	s_mov_b32 s30, 0x487ffff
	v_add3_u32 v3, v2, v3, s30
	s_mov_b64 s[24:25], exec
	v_lshrrev_b32_e32 v3, 20, v3
	s_andn2_saveexec_b64 s[26:27], s[26:27]
	s_cbranch_execnz .LBB456_519
.LBB456_307:
	s_or_b64 exec, exec, s[26:27]
	v_mov_b32_e32 v5, 0
	s_and_saveexec_b64 s[26:27], s[24:25]
.LBB456_308:
	v_lshrrev_b32_e32 v2, 24, v2
	s_movk_i32 s24, 0x80
	v_and_or_b32 v5, v2, s24, v3
.LBB456_309:
	s_or_b64 exec, exec, s[26:27]
.LBB456_310:
	s_or_b64 exec, exec, s[20:21]
	global_store_byte v[0:1], v5, off
.LBB456_311:
	s_mov_b64 s[20:21], -1
.LBB456_312:
	s_mov_b64 s[24:25], 0
.LBB456_313:
	s_and_b64 vcc, exec, s[24:25]
	s_cbranch_vccz .LBB456_354
; %bb.314:
	s_cmp_gt_i32 s29, 22
	s_mov_b64 s[24:25], -1
	s_cbranch_scc0 .LBB456_346
; %bb.315:
	s_cmp_lt_i32 s29, 24
	s_mov_b64 s[20:21], -1
	s_cbranch_scc1 .LBB456_335
; %bb.316:
	s_cmp_gt_i32 s29, 24
	s_cbranch_scc0 .LBB456_324
; %bb.317:
	v_cvt_f32_i32_sdwa v2, sext(v4) dst_sel:DWORD dst_unused:UNUSED_PAD src0_sel:WORD_0
	s_mov_b32 s20, 0x47800000
	v_mov_b32_e32 v5, 0x80
	v_and_b32_e32 v3, 0x7fffffff, v2
	v_cmp_gt_u32_e32 vcc, s20, v3
	s_and_saveexec_b64 s[20:21], vcc
	s_cbranch_execz .LBB456_323
; %bb.318:
	s_mov_b32 s24, 0x37ffffff
	v_cmp_lt_u32_e32 vcc, s24, v3
	s_mov_b64 s[24:25], 0
                                        ; implicit-def: $vgpr3
	s_and_saveexec_b64 s[26:27], vcc
	s_xor_b64 s[26:27], exec, s[26:27]
	s_cbranch_execz .LBB456_521
; %bb.319:
	v_bfe_u32 v3, v2, 21, 1
	s_mov_b32 s30, 0x88fffff
	v_add3_u32 v3, v2, v3, s30
	s_mov_b64 s[24:25], exec
	v_lshrrev_b32_e32 v3, 21, v3
	s_andn2_saveexec_b64 s[26:27], s[26:27]
	s_cbranch_execnz .LBB456_522
.LBB456_320:
	s_or_b64 exec, exec, s[26:27]
	v_mov_b32_e32 v5, 0
	s_and_saveexec_b64 s[26:27], s[24:25]
.LBB456_321:
	v_lshrrev_b32_e32 v2, 24, v2
	s_movk_i32 s24, 0x80
	v_and_or_b32 v5, v2, s24, v3
.LBB456_322:
	s_or_b64 exec, exec, s[26:27]
.LBB456_323:
	s_or_b64 exec, exec, s[20:21]
	s_mov_b64 s[20:21], 0
	global_store_byte v[0:1], v5, off
.LBB456_324:
	s_and_b64 vcc, exec, s[20:21]
	s_cbranch_vccz .LBB456_334
; %bb.325:
	v_cvt_f32_i32_sdwa v2, sext(v4) dst_sel:DWORD dst_unused:UNUSED_PAD src0_sel:WORD_0
	s_mov_b32 s20, 0x43f00000
                                        ; implicit-def: $vgpr3
	v_and_b32_e32 v5, 0x7fffffff, v2
	v_cmp_gt_u32_e32 vcc, s20, v5
	s_and_saveexec_b64 s[20:21], vcc
	s_xor_b64 s[20:21], exec, s[20:21]
	s_cbranch_execz .LBB456_331
; %bb.326:
	s_mov_b32 s24, 0x3c7fffff
	v_cmp_lt_u32_e32 vcc, s24, v5
                                        ; implicit-def: $vgpr3
	s_and_saveexec_b64 s[24:25], vcc
	s_xor_b64 s[24:25], exec, s[24:25]
; %bb.327:
	v_bfe_u32 v3, v2, 20, 1
	s_mov_b32 s26, 0x407ffff
	v_add3_u32 v3, v2, v3, s26
	v_lshrrev_b32_e32 v5, 20, v3
	v_and_b32_e32 v3, 0xff00000, v3
	s_mov_b32 s26, 0x7f00000
	v_mov_b32_e32 v6, 0x7e
	v_cmp_ne_u32_e32 vcc, s26, v3
	s_nop 1
	v_cndmask_b32_e32 v3, v6, v5, vcc
; %bb.328:
	s_andn2_saveexec_b64 s[24:25], s[24:25]
; %bb.329:
	s_mov_b32 s26, 0x46800000
	v_add_f32_e64 v3, |v2|, s26
; %bb.330:
	s_or_b64 exec, exec, s[24:25]
                                        ; implicit-def: $vgpr5
.LBB456_331:
	s_andn2_saveexec_b64 s[20:21], s[20:21]
; %bb.332:
	s_mov_b32 s24, 0x7f800000
	v_mov_b32_e32 v3, 0x7e
	v_mov_b32_e32 v6, 0x7f
	v_cmp_lt_u32_e32 vcc, s24, v5
	s_nop 1
	v_cndmask_b32_e32 v3, v3, v6, vcc
; %bb.333:
	s_or_b64 exec, exec, s[20:21]
	v_lshrrev_b32_e32 v2, 24, v2
	s_movk_i32 s20, 0x80
	v_and_or_b32 v2, v2, s20, v3
	global_store_byte v[0:1], v2, off
.LBB456_334:
	s_mov_b64 s[20:21], 0
.LBB456_335:
	s_andn2_b64 vcc, exec, s[20:21]
	s_cbranch_vccnz .LBB456_345
; %bb.336:
	v_cvt_f32_i32_sdwa v2, sext(v4) dst_sel:DWORD dst_unused:UNUSED_PAD src0_sel:WORD_0
	s_mov_b32 s20, 0x47800000
                                        ; implicit-def: $vgpr3
	v_and_b32_e32 v5, 0x7fffffff, v2
	v_cmp_gt_u32_e32 vcc, s20, v5
	s_and_saveexec_b64 s[20:21], vcc
	s_xor_b64 s[20:21], exec, s[20:21]
	s_cbranch_execz .LBB456_342
; %bb.337:
	s_mov_b32 s24, 0x387fffff
	v_cmp_lt_u32_e32 vcc, s24, v5
                                        ; implicit-def: $vgpr3
	s_and_saveexec_b64 s[24:25], vcc
	s_xor_b64 s[24:25], exec, s[24:25]
; %bb.338:
	v_bfe_u32 v3, v2, 21, 1
	s_mov_b32 s26, 0x80fffff
	v_add3_u32 v3, v2, v3, s26
	v_lshrrev_b32_e32 v3, 21, v3
; %bb.339:
	s_andn2_saveexec_b64 s[24:25], s[24:25]
; %bb.340:
	s_mov_b32 s26, 0x43000000
	v_add_f32_e64 v3, |v2|, s26
; %bb.341:
	s_or_b64 exec, exec, s[24:25]
                                        ; implicit-def: $vgpr5
.LBB456_342:
	s_andn2_saveexec_b64 s[20:21], s[20:21]
; %bb.343:
	s_mov_b32 s24, 0x7f800000
	v_mov_b32_e32 v3, 0x7c
	v_mov_b32_e32 v6, 0x7f
	v_cmp_lt_u32_e32 vcc, s24, v5
	s_nop 1
	v_cndmask_b32_e32 v3, v3, v6, vcc
; %bb.344:
	s_or_b64 exec, exec, s[20:21]
	v_lshrrev_b32_e32 v2, 24, v2
	s_movk_i32 s20, 0x80
	v_and_or_b32 v2, v2, s20, v3
	global_store_byte v[0:1], v2, off
.LBB456_345:
	s_mov_b64 s[24:25], 0
	s_mov_b64 s[20:21], -1
.LBB456_346:
	s_andn2_b64 vcc, exec, s[24:25]
	s_cbranch_vccnz .LBB456_354
; %bb.347:
	s_cmp_gt_i32 s29, 14
	s_mov_b64 s[24:25], -1
	s_cbranch_scc0 .LBB456_351
; %bb.348:
	s_cmp_eq_u32 s29, 15
	s_mov_b64 s[0:1], -1
	s_cbranch_scc0 .LBB456_350
; %bb.349:
	v_cvt_f32_i32_sdwa v2, sext(v4) dst_sel:DWORD dst_unused:UNUSED_PAD src0_sel:WORD_0
	s_movk_i32 s0, 0x7fff
	s_mov_b64 s[20:21], -1
	v_bfe_u32 v3, v2, 16, 1
	v_add3_u32 v2, v2, v3, s0
	global_store_short_d16_hi v[0:1], v2, off
	s_mov_b64 s[0:1], 0
.LBB456_350:
	s_mov_b64 s[24:25], 0
.LBB456_351:
	s_and_b64 vcc, exec, s[24:25]
	s_cbranch_vccz .LBB456_354
; %bb.352:
	s_cmp_eq_u32 s29, 11
	s_mov_b64 s[0:1], -1
	s_cbranch_scc0 .LBB456_354
; %bb.353:
	v_cmp_ne_u16_e32 vcc, 0, v4
	s_mov_b64 s[20:21], -1
	s_mov_b64 s[0:1], 0
	v_cndmask_b32_e64 v2, 0, 1, vcc
	global_store_byte v[0:1], v2, off
.LBB456_354:
	s_mov_b64 s[24:25], 0
.LBB456_355:
	s_and_b64 vcc, exec, s[24:25]
	s_cbranch_vccz .LBB456_394
; %bb.356:
	s_and_b32 s24, 0xffff, s28
	s_cmp_lt_i32 s24, 5
	s_mov_b64 s[20:21], -1
	s_cbranch_scc1 .LBB456_377
; %bb.357:
	s_cmp_lt_i32 s24, 8
	s_cbranch_scc1 .LBB456_367
; %bb.358:
	s_cmp_lt_i32 s24, 9
	s_cbranch_scc1 .LBB456_364
; %bb.359:
	s_cmp_gt_i32 s24, 9
	s_cbranch_scc0 .LBB456_361
; %bb.360:
	v_bfe_i32 v2, v4, 0, 16
	v_mov_b32_e32 v8, 0
	v_cvt_f64_i32_e32 v[6:7], v2
	v_mov_b32_e32 v9, v8
	s_mov_b64 s[20:21], 0
	global_store_dwordx4 v[0:1], v[6:9], off
.LBB456_361:
	s_andn2_b64 vcc, exec, s[20:21]
	s_cbranch_vccnz .LBB456_363
; %bb.362:
	v_cvt_f32_i32_sdwa v2, sext(v4) dst_sel:DWORD dst_unused:UNUSED_PAD src0_sel:WORD_0
	v_mov_b32_e32 v3, 0
	global_store_dwordx2 v[0:1], v[2:3], off
.LBB456_363:
	s_mov_b64 s[20:21], 0
.LBB456_364:
	s_andn2_b64 vcc, exec, s[20:21]
	s_cbranch_vccnz .LBB456_366
; %bb.365:
	v_cvt_f16_i16_e32 v2, v4
	global_store_dword v[0:1], v2, off
.LBB456_366:
	s_mov_b64 s[20:21], 0
.LBB456_367:
	s_andn2_b64 vcc, exec, s[20:21]
	s_cbranch_vccnz .LBB456_376
; %bb.368:
	s_cmp_lt_i32 s24, 6
	s_mov_b64 s[20:21], -1
	s_cbranch_scc1 .LBB456_374
; %bb.369:
	s_cmp_gt_i32 s24, 6
	s_cbranch_scc0 .LBB456_371
; %bb.370:
	v_bfe_i32 v2, v4, 0, 16
	v_cvt_f64_i32_e32 v[2:3], v2
	s_mov_b64 s[20:21], 0
	global_store_dwordx2 v[0:1], v[2:3], off
.LBB456_371:
	s_andn2_b64 vcc, exec, s[20:21]
	s_cbranch_vccnz .LBB456_373
; %bb.372:
	v_cvt_f32_i32_sdwa v2, sext(v4) dst_sel:DWORD dst_unused:UNUSED_PAD src0_sel:WORD_0
	global_store_dword v[0:1], v2, off
.LBB456_373:
	s_mov_b64 s[20:21], 0
.LBB456_374:
	s_andn2_b64 vcc, exec, s[20:21]
	s_cbranch_vccnz .LBB456_376
; %bb.375:
	v_cvt_f16_i16_e32 v2, v4
	global_store_short v[0:1], v2, off
.LBB456_376:
	s_mov_b64 s[20:21], 0
.LBB456_377:
	s_andn2_b64 vcc, exec, s[20:21]
	s_cbranch_vccnz .LBB456_393
; %bb.378:
	s_cmp_lt_i32 s24, 2
	s_mov_b64 s[20:21], -1
	s_cbranch_scc1 .LBB456_388
; %bb.379:
	s_cmp_lt_i32 s24, 3
	s_cbranch_scc1 .LBB456_385
; %bb.380:
	s_cmp_gt_i32 s24, 3
	v_bfe_i32 v2, v4, 0, 16
	s_cbranch_scc0 .LBB456_382
; %bb.381:
	v_ashrrev_i32_e32 v3, 31, v2
	s_mov_b64 s[20:21], 0
	global_store_dwordx2 v[0:1], v[2:3], off
.LBB456_382:
	s_andn2_b64 vcc, exec, s[20:21]
	s_cbranch_vccnz .LBB456_384
; %bb.383:
	global_store_dword v[0:1], v2, off
.LBB456_384:
	s_mov_b64 s[20:21], 0
.LBB456_385:
	s_andn2_b64 vcc, exec, s[20:21]
	s_cbranch_vccnz .LBB456_387
; %bb.386:
	global_store_short v[0:1], v4, off
.LBB456_387:
	s_mov_b64 s[20:21], 0
.LBB456_388:
	s_andn2_b64 vcc, exec, s[20:21]
	s_cbranch_vccnz .LBB456_393
; %bb.389:
	s_cmp_gt_i32 s24, 0
	s_mov_b64 s[20:21], -1
	s_cbranch_scc0 .LBB456_391
; %bb.390:
	s_mov_b64 s[20:21], 0
	global_store_byte v[0:1], v4, off
.LBB456_391:
	s_andn2_b64 vcc, exec, s[20:21]
	s_cbranch_vccnz .LBB456_393
; %bb.392:
	global_store_byte v[0:1], v4, off
.LBB456_393:
	s_mov_b64 s[20:21], -1
.LBB456_394:
	s_andn2_b64 vcc, exec, s[20:21]
	s_cbranch_vccnz .LBB456_396
; %bb.395:
	v_add_u32_e32 v10, 0x80, v10
	s_mov_b64 s[24:25], -1
	s_branch .LBB456_504
.LBB456_396:
	s_mov_b64 s[24:25], 0
                                        ; implicit-def: $vgpr10
	s_branch .LBB456_504
.LBB456_397:
	s_mov_b64 s[18:19], -1
                                        ; implicit-def: $vgpr2
.LBB456_398:
	s_mov_b64 s[20:21], 0
.LBB456_399:
	s_and_b64 vcc, exec, s[20:21]
	s_cbranch_vccz .LBB456_403
; %bb.400:
	s_cmp_eq_u32 s24, 29
	s_cbranch_scc0 .LBB456_402
; %bb.401:
	global_load_dwordx2 v[2:3], v[0:1], off
	s_mov_b64 s[0:1], -1
	s_mov_b64 s[18:19], 0
	s_branch .LBB456_403
.LBB456_402:
	s_mov_b64 s[18:19], -1
                                        ; implicit-def: $vgpr2
.LBB456_403:
	s_mov_b64 s[20:21], 0
.LBB456_404:
	s_and_b64 vcc, exec, s[20:21]
	s_cbranch_vccz .LBB456_420
; %bb.405:
	s_cmp_lt_i32 s24, 27
	s_cbranch_scc1 .LBB456_408
; %bb.406:
	s_cmp_gt_i32 s24, 27
	s_cbranch_scc0 .LBB456_409
; %bb.407:
	global_load_dword v2, v[0:1], off
	s_mov_b64 s[0:1], 0
	s_branch .LBB456_410
.LBB456_408:
	s_mov_b64 s[0:1], -1
                                        ; implicit-def: $vgpr2
	s_branch .LBB456_413
.LBB456_409:
	s_mov_b64 s[0:1], -1
                                        ; implicit-def: $vgpr2
.LBB456_410:
	s_andn2_b64 vcc, exec, s[0:1]
	s_cbranch_vccnz .LBB456_412
; %bb.411:
	global_load_ushort v2, v[0:1], off
.LBB456_412:
	s_mov_b64 s[0:1], 0
.LBB456_413:
	s_andn2_b64 vcc, exec, s[0:1]
	s_cbranch_vccnz .LBB456_419
; %bb.414:
	global_load_ubyte v3, v[0:1], off
	s_movk_i32 s0, 0x7f
	s_mov_b64 s[20:21], 0
	s_waitcnt vmcnt(0)
	v_cmp_lt_i16_e32 vcc, s0, v3
	s_and_saveexec_b64 s[0:1], vcc
	s_xor_b64 s[0:1], exec, s[0:1]
	s_cbranch_execz .LBB456_431
; %bb.415:
	s_movk_i32 s20, 0x80
	v_cmp_ne_u16_e32 vcc, s20, v3
	s_and_b64 s[20:21], vcc, exec
	s_andn2_saveexec_b64 s[0:1], s[0:1]
	s_cbranch_execnz .LBB456_432
.LBB456_416:
	s_or_b64 exec, exec, s[0:1]
	v_mov_b32_e32 v2, 0
	s_and_saveexec_b64 s[0:1], s[20:21]
	s_cbranch_execz .LBB456_418
.LBB456_417:
	v_lshlrev_b32_e32 v2, 24, v3
	v_and_b32_e32 v3, 0xffff, v3
	v_and_b32_e32 v4, 7, v3
	v_ffbh_u32_e32 v6, v4
	v_min_u32_e32 v6, 32, v6
	v_subrev_u32_e32 v7, 28, v6
	v_bfe_u32 v5, v3, 3, 4
	v_lshlrev_b32_e32 v3, v7, v3
	v_sub_u32_e32 v6, 29, v6
	v_and_b32_e32 v3, 7, v3
	v_cmp_eq_u32_e32 vcc, 0, v5
	v_and_b32_e32 v2, 0x80000000, v2
	s_nop 0
	v_cndmask_b32_e32 v5, v5, v6, vcc
	v_cndmask_b32_e32 v3, v4, v3, vcc
	v_mov_b32_e32 v4, 0x3b800000
	v_lshlrev_b32_e32 v3, 20, v3
	v_lshl_add_u32 v4, v5, 23, v4
	v_or3_b32 v2, v2, v4, v3
	v_cvt_i32_f32_e32 v2, v2
.LBB456_418:
	s_or_b64 exec, exec, s[0:1]
.LBB456_419:
	s_mov_b64 s[0:1], -1
.LBB456_420:
	s_mov_b64 s[20:21], 0
.LBB456_421:
	s_and_b64 vcc, exec, s[20:21]
	s_cbranch_vccz .LBB456_454
; %bb.422:
	s_cmp_gt_i32 s24, 22
	s_cbranch_scc0 .LBB456_430
; %bb.423:
	s_cmp_lt_i32 s24, 24
	s_cbranch_scc1 .LBB456_433
; %bb.424:
	s_cmp_gt_i32 s24, 24
	s_cbranch_scc0 .LBB456_434
; %bb.425:
	global_load_ubyte v3, v[0:1], off
	s_movk_i32 s0, 0x7f
	s_mov_b64 s[20:21], 0
	s_waitcnt vmcnt(0)
	v_cmp_lt_i16_e32 vcc, s0, v3
	s_and_saveexec_b64 s[0:1], vcc
	s_xor_b64 s[0:1], exec, s[0:1]
	s_cbranch_execz .LBB456_446
; %bb.426:
	s_movk_i32 s20, 0x80
	v_cmp_ne_u16_e32 vcc, s20, v3
	s_and_b64 s[20:21], vcc, exec
	s_andn2_saveexec_b64 s[0:1], s[0:1]
	s_cbranch_execnz .LBB456_447
.LBB456_427:
	s_or_b64 exec, exec, s[0:1]
	v_mov_b32_e32 v2, 0
	s_and_saveexec_b64 s[0:1], s[20:21]
	s_cbranch_execz .LBB456_429
.LBB456_428:
	v_lshlrev_b32_e32 v2, 24, v3
	v_and_b32_e32 v3, 0xffff, v3
	v_and_b32_e32 v4, 3, v3
	v_ffbh_u32_e32 v6, v4
	v_min_u32_e32 v6, 32, v6
	v_subrev_u32_e32 v7, 29, v6
	v_bfe_u32 v5, v3, 2, 5
	v_lshlrev_b32_e32 v3, v7, v3
	v_sub_u32_e32 v6, 30, v6
	v_and_b32_e32 v3, 3, v3
	v_cmp_eq_u32_e32 vcc, 0, v5
	v_and_b32_e32 v2, 0x80000000, v2
	s_nop 0
	v_cndmask_b32_e32 v5, v5, v6, vcc
	v_cndmask_b32_e32 v3, v4, v3, vcc
	v_mov_b32_e32 v4, 0x37800000
	v_lshlrev_b32_e32 v3, 21, v3
	v_lshl_add_u32 v4, v5, 23, v4
	v_or3_b32 v2, v2, v4, v3
	v_cvt_i32_f32_e32 v2, v2
.LBB456_429:
	s_or_b64 exec, exec, s[0:1]
	s_mov_b64 s[0:1], 0
	s_branch .LBB456_435
.LBB456_430:
	s_mov_b64 s[20:21], -1
                                        ; implicit-def: $vgpr2
	s_branch .LBB456_441
.LBB456_431:
	s_andn2_saveexec_b64 s[0:1], s[0:1]
	s_cbranch_execz .LBB456_416
.LBB456_432:
	v_cmp_ne_u16_e32 vcc, 0, v3
	s_andn2_b64 s[20:21], s[20:21], exec
	s_and_b64 s[26:27], vcc, exec
	s_or_b64 s[20:21], s[20:21], s[26:27]
	s_or_b64 exec, exec, s[0:1]
	v_mov_b32_e32 v2, 0
	s_and_saveexec_b64 s[0:1], s[20:21]
	s_cbranch_execnz .LBB456_417
	s_branch .LBB456_418
.LBB456_433:
	s_mov_b64 s[0:1], -1
                                        ; implicit-def: $vgpr2
	s_branch .LBB456_438
.LBB456_434:
	s_mov_b64 s[0:1], -1
                                        ; implicit-def: $vgpr2
.LBB456_435:
	s_and_b64 vcc, exec, s[0:1]
	s_cbranch_vccz .LBB456_437
; %bb.436:
	global_load_ubyte v2, v[0:1], off
	s_mov_b32 s0, 0x7f800000
	s_waitcnt vmcnt(0)
	v_lshlrev_b32_e32 v2, 24, v2
	v_and_b32_e32 v3, 0x7f000000, v2
	v_ffbh_u32_e32 v4, v3
	v_min_u32_e32 v4, 32, v4
	v_sub_u32_e64 v4, v4, 4 clamp
	v_lshlrev_b32_e32 v6, v4, v3
	v_lshlrev_b32_e32 v4, 23, v4
	v_lshrrev_b32_e32 v6, 4, v6
	v_add_u32_e32 v5, 0x1000000, v3
	v_sub_u32_e32 v4, v6, v4
	v_ashrrev_i32_e32 v5, 8, v5
	v_add_u32_e32 v4, 0x3c000000, v4
	v_and_or_b32 v4, v5, s0, v4
	v_cmp_ne_u32_e32 vcc, 0, v3
	s_brev_b32 s0, 1
	s_nop 0
	v_cndmask_b32_e32 v3, 0, v4, vcc
	v_and_or_b32 v2, v2, s0, v3
	v_cvt_i32_f32_e32 v2, v2
.LBB456_437:
	s_mov_b64 s[0:1], 0
.LBB456_438:
	s_andn2_b64 vcc, exec, s[0:1]
	s_cbranch_vccnz .LBB456_440
; %bb.439:
	global_load_ubyte v2, v[0:1], off
	s_movk_i32 s0, 0x7f00
	s_brev_b32 s1, 16
	s_waitcnt vmcnt(0)
	v_lshlrev_b16_e32 v3, 8, v2
	v_lshlrev_b32_e32 v2, 25, v2
	v_lshrrev_b32_e32 v4, 4, v2
	v_and_or_b32 v5, v3, s0, 0.5
	v_or_b32_e32 v4, 0x70000000, v4
	v_add_f32_e32 v5, -0.5, v5
	v_mul_f32_e32 v4, 0x7800000, v4
	v_cmp_gt_u32_e32 vcc, s1, v2
	v_bfe_i32 v3, v3, 0, 16
	s_brev_b32 s0, 1
	v_cndmask_b32_e32 v2, v4, v5, vcc
	v_and_or_b32 v2, v3, s0, v2
	v_cvt_i32_f32_e32 v2, v2
.LBB456_440:
	s_mov_b64 s[20:21], 0
	s_mov_b64 s[0:1], -1
.LBB456_441:
	s_andn2_b64 vcc, exec, s[20:21]
	s_cbranch_vccnz .LBB456_454
; %bb.442:
	s_cmp_gt_i32 s24, 14
	s_cbranch_scc0 .LBB456_445
; %bb.443:
	s_cmp_eq_u32 s24, 15
	s_cbranch_scc0 .LBB456_448
; %bb.444:
	global_load_ushort v2, v[0:1], off
	s_mov_b64 s[0:1], -1
	s_mov_b64 s[18:19], 0
	s_waitcnt vmcnt(0)
	v_lshlrev_b32_e32 v2, 16, v2
	v_cvt_i32_f32_e32 v2, v2
	s_branch .LBB456_449
.LBB456_445:
	s_mov_b64 s[20:21], -1
                                        ; implicit-def: $vgpr2
	s_branch .LBB456_450
.LBB456_446:
	s_andn2_saveexec_b64 s[0:1], s[0:1]
	s_cbranch_execz .LBB456_427
.LBB456_447:
	v_cmp_ne_u16_e32 vcc, 0, v3
	s_andn2_b64 s[20:21], s[20:21], exec
	s_and_b64 s[26:27], vcc, exec
	s_or_b64 s[20:21], s[20:21], s[26:27]
	s_or_b64 exec, exec, s[0:1]
	v_mov_b32_e32 v2, 0
	s_and_saveexec_b64 s[0:1], s[20:21]
	s_cbranch_execnz .LBB456_428
	s_branch .LBB456_429
.LBB456_448:
	s_mov_b64 s[18:19], -1
                                        ; implicit-def: $vgpr2
.LBB456_449:
	s_mov_b64 s[20:21], 0
.LBB456_450:
	s_and_b64 vcc, exec, s[20:21]
	s_cbranch_vccz .LBB456_454
; %bb.451:
	s_cmp_eq_u32 s24, 11
	s_cbranch_scc0 .LBB456_453
; %bb.452:
	global_load_ubyte v2, v[0:1], off
	s_mov_b64 s[0:1], -1
	s_mov_b64 s[18:19], 0
	s_waitcnt vmcnt(0)
	v_cmp_ne_u16_e32 vcc, 0, v2
	s_nop 1
	v_cndmask_b32_e64 v2, 0, 1, vcc
	s_branch .LBB456_454
.LBB456_453:
	s_mov_b64 s[18:19], -1
                                        ; implicit-def: $vgpr2
.LBB456_454:
	s_branch .LBB456_261
.LBB456_455:
	s_cmp_lt_i32 s24, 5
	s_cbranch_scc1 .LBB456_460
; %bb.456:
	s_cmp_lt_i32 s24, 8
	s_cbranch_scc1 .LBB456_461
; %bb.457:
	;; [unrolled: 3-line block ×3, first 2 shown]
	s_cmp_gt_i32 s24, 9
	s_cbranch_scc0 .LBB456_463
; %bb.459:
	global_load_dwordx2 v[2:3], v[0:1], off
	s_mov_b64 s[0:1], 0
	s_waitcnt vmcnt(0)
	v_cvt_i32_f64_e32 v2, v[2:3]
	s_branch .LBB456_464
.LBB456_460:
	s_mov_b64 s[0:1], -1
                                        ; implicit-def: $vgpr2
	s_branch .LBB456_482
.LBB456_461:
	s_mov_b64 s[0:1], -1
                                        ; implicit-def: $vgpr2
	s_branch .LBB456_470
.LBB456_462:
	s_mov_b64 s[0:1], -1
                                        ; implicit-def: $vgpr2
	s_branch .LBB456_467
.LBB456_463:
	s_mov_b64 s[0:1], -1
                                        ; implicit-def: $vgpr2
.LBB456_464:
	s_andn2_b64 vcc, exec, s[0:1]
	s_cbranch_vccnz .LBB456_466
; %bb.465:
	global_load_dword v2, v[0:1], off
	s_waitcnt vmcnt(0)
	v_cvt_i32_f32_e32 v2, v2
.LBB456_466:
	s_mov_b64 s[0:1], 0
.LBB456_467:
	s_andn2_b64 vcc, exec, s[0:1]
	s_cbranch_vccnz .LBB456_469
; %bb.468:
	global_load_dword v2, v[0:1], off
	s_waitcnt vmcnt(0)
	v_cvt_i16_f16_e32 v2, v2
.LBB456_469:
	s_mov_b64 s[0:1], 0
.LBB456_470:
	s_andn2_b64 vcc, exec, s[0:1]
	s_cbranch_vccnz .LBB456_481
; %bb.471:
	s_cmp_lt_i32 s24, 6
	s_cbranch_scc1 .LBB456_474
; %bb.472:
	s_cmp_gt_i32 s24, 6
	s_cbranch_scc0 .LBB456_475
; %bb.473:
	global_load_dwordx2 v[2:3], v[0:1], off
	s_mov_b64 s[0:1], 0
	s_waitcnt vmcnt(0)
	v_cvt_i32_f64_e32 v2, v[2:3]
	s_branch .LBB456_476
.LBB456_474:
	s_mov_b64 s[0:1], -1
                                        ; implicit-def: $vgpr2
	s_branch .LBB456_479
.LBB456_475:
	s_mov_b64 s[0:1], -1
                                        ; implicit-def: $vgpr2
.LBB456_476:
	s_andn2_b64 vcc, exec, s[0:1]
	s_cbranch_vccnz .LBB456_478
; %bb.477:
	global_load_dword v2, v[0:1], off
	s_waitcnt vmcnt(0)
	v_cvt_i32_f32_e32 v2, v2
.LBB456_478:
	s_mov_b64 s[0:1], 0
.LBB456_479:
	s_andn2_b64 vcc, exec, s[0:1]
	s_cbranch_vccnz .LBB456_481
; %bb.480:
	global_load_ushort v2, v[0:1], off
	s_waitcnt vmcnt(0)
	v_cvt_i16_f16_e32 v2, v2
.LBB456_481:
	s_mov_b64 s[0:1], 0
.LBB456_482:
	s_andn2_b64 vcc, exec, s[0:1]
	s_cbranch_vccnz .LBB456_502
; %bb.483:
	s_cmp_lt_i32 s24, 2
	s_cbranch_scc1 .LBB456_487
; %bb.484:
	s_cmp_lt_i32 s24, 3
	s_cbranch_scc1 .LBB456_488
; %bb.485:
	s_cmp_gt_i32 s24, 3
	s_cbranch_scc0 .LBB456_489
; %bb.486:
	global_load_dwordx2 v[2:3], v[0:1], off
	s_mov_b64 s[0:1], 0
	s_branch .LBB456_490
.LBB456_487:
	s_mov_b64 s[0:1], -1
                                        ; implicit-def: $vgpr2
	s_branch .LBB456_496
.LBB456_488:
	s_mov_b64 s[0:1], -1
                                        ; implicit-def: $vgpr2
	s_branch .LBB456_493
.LBB456_489:
	s_mov_b64 s[0:1], -1
                                        ; implicit-def: $vgpr2
.LBB456_490:
	s_andn2_b64 vcc, exec, s[0:1]
	s_cbranch_vccnz .LBB456_492
; %bb.491:
	global_load_dword v2, v[0:1], off
.LBB456_492:
	s_mov_b64 s[0:1], 0
.LBB456_493:
	s_andn2_b64 vcc, exec, s[0:1]
	s_cbranch_vccnz .LBB456_495
; %bb.494:
	global_load_ushort v2, v[0:1], off
.LBB456_495:
	s_mov_b64 s[0:1], 0
.LBB456_496:
	s_andn2_b64 vcc, exec, s[0:1]
	s_cbranch_vccnz .LBB456_502
; %bb.497:
	s_cmp_gt_i32 s24, 0
	s_cbranch_scc0 .LBB456_499
; %bb.498:
	global_load_sbyte v2, v[0:1], off
	s_mov_b64 s[0:1], 0
	s_branch .LBB456_500
.LBB456_499:
	s_mov_b64 s[0:1], -1
                                        ; implicit-def: $vgpr2
.LBB456_500:
	s_andn2_b64 vcc, exec, s[0:1]
	s_cbranch_vccnz .LBB456_502
; %bb.501:
	global_load_ubyte v2, v[0:1], off
.LBB456_502:
	s_branch .LBB456_262
.LBB456_503:
	s_mov_b64 s[24:25], 0
                                        ; implicit-def: $vgpr10
	s_mov_b64 s[0:1], s[12:13]
.LBB456_504:
	s_andn2_b64 s[20:21], s[12:13], exec
	s_and_b64 s[0:1], s[0:1], exec
	s_or_b64 s[20:21], s[20:21], s[0:1]
	s_andn2_b64 s[0:1], s[14:15], exec
	s_and_b64 s[18:19], s[18:19], exec
	s_or_b64 s[18:19], s[0:1], s[18:19]
	s_orn2_b64 s[0:1], s[24:25], exec
.LBB456_505:
	s_or_b64 exec, exec, s[22:23]
	s_mov_b64 s[24:25], 0
	s_mov_b64 s[26:27], 0
	;; [unrolled: 1-line block ×3, first 2 shown]
                                        ; implicit-def: $vgpr0_vgpr1
                                        ; implicit-def: $vgpr2
	s_and_saveexec_b64 s[22:23], s[0:1]
	s_cbranch_execz .LBB456_842
; %bb.506:
	v_cmp_gt_i32_e32 vcc, s38, v10
	s_mov_b64 s[34:35], -1
	s_mov_b64 s[0:1], s[18:19]
	s_mov_b64 s[28:29], s[20:21]
	s_and_saveexec_b64 s[24:25], vcc
	s_cbranch_execz .LBB456_760
; %bb.507:
	v_mul_lo_u32 v0, v10, s9
	v_ashrrev_i32_e32 v1, 31, v0
	s_and_b32 s30, 0xffff, s43
	s_cmp_lt_i32 s30, 11
	v_lshl_add_u64 v[0:1], s[6:7], 0, v[0:1]
	s_cbranch_scc1 .LBB456_514
; %bb.508:
	s_cmp_gt_i32 s30, 25
	s_cbranch_scc0 .LBB456_515
; %bb.509:
	s_cmp_gt_i32 s30, 28
	s_cbranch_scc0 .LBB456_516
	;; [unrolled: 3-line block ×4, first 2 shown]
; %bb.512:
	s_cmp_eq_u32 s30, 46
	s_mov_b64 s[28:29], 0
	s_cbranch_scc0 .LBB456_523
; %bb.513:
	global_load_dword v2, v[0:1], off
	s_mov_b64 s[0:1], -1
	s_waitcnt vmcnt(0)
	v_lshlrev_b32_e32 v2, 16, v2
	v_cvt_i32_f32_e32 v2, v2
	s_branch .LBB456_524
.LBB456_514:
	s_mov_b64 s[28:29], -1
	s_mov_b64 s[0:1], 0
                                        ; implicit-def: $vgpr2
	s_mov_b64 s[26:27], s[18:19]
	s_branch .LBB456_585
.LBB456_515:
	s_mov_b64 s[28:29], -1
	s_mov_b64 s[0:1], 0
	s_mov_b64 s[26:27], s[18:19]
                                        ; implicit-def: $vgpr2
	s_branch .LBB456_551
.LBB456_516:
	s_mov_b64 s[28:29], -1
	s_mov_b64 s[0:1], 0
	s_mov_b64 s[26:27], s[18:19]
                                        ; implicit-def: $vgpr2
	s_branch .LBB456_534
.LBB456_517:
	s_mov_b64 s[28:29], -1
	s_mov_b64 s[0:1], 0
	s_mov_b64 s[26:27], s[18:19]
                                        ; implicit-def: $vgpr2
	s_branch .LBB456_529
.LBB456_518:
	s_andn2_saveexec_b64 s[26:27], s[26:27]
	s_cbranch_execz .LBB456_307
.LBB456_519:
	s_mov_b32 s30, 0x46000000
	v_add_f32_e64 v3, |v2|, s30
	v_and_b32_e32 v3, 0xff, v3
	v_cmp_ne_u32_e32 vcc, 0, v3
	s_andn2_b64 s[24:25], s[24:25], exec
	s_and_b64 s[30:31], vcc, exec
	s_or_b64 s[24:25], s[24:25], s[30:31]
	s_or_b64 exec, exec, s[26:27]
	v_mov_b32_e32 v5, 0
	s_and_saveexec_b64 s[26:27], s[24:25]
	s_cbranch_execnz .LBB456_308
	s_branch .LBB456_309
.LBB456_520:
	s_mov_b64 s[28:29], -1
	s_mov_b64 s[0:1], 0
	s_mov_b64 s[26:27], s[18:19]
                                        ; implicit-def: $vgpr2
	s_branch .LBB456_524
.LBB456_521:
	s_andn2_saveexec_b64 s[26:27], s[26:27]
	s_cbranch_execz .LBB456_320
.LBB456_522:
	s_mov_b32 s30, 0x42800000
	v_add_f32_e64 v3, |v2|, s30
	v_and_b32_e32 v3, 0xff, v3
	v_cmp_ne_u32_e32 vcc, 0, v3
	s_andn2_b64 s[24:25], s[24:25], exec
	s_and_b64 s[30:31], vcc, exec
	s_or_b64 s[24:25], s[24:25], s[30:31]
	s_or_b64 exec, exec, s[26:27]
	v_mov_b32_e32 v5, 0
	s_and_saveexec_b64 s[26:27], s[24:25]
	s_cbranch_execnz .LBB456_321
	s_branch .LBB456_322
.LBB456_523:
	s_mov_b64 s[26:27], -1
                                        ; implicit-def: $vgpr2
	s_mov_b64 s[0:1], 0
.LBB456_524:
	s_and_b64 vcc, exec, s[28:29]
	s_cbranch_vccz .LBB456_528
; %bb.525:
	s_cmp_eq_u32 s30, 44
	s_cbranch_scc0 .LBB456_527
; %bb.526:
	global_load_ubyte v2, v[0:1], off
	s_mov_b64 s[0:1], -1
	s_mov_b64 s[26:27], 0
	s_waitcnt vmcnt(0)
	v_lshlrev_b32_e32 v3, 23, v2
	v_cvt_i32_f32_e32 v3, v3
	v_cmp_ne_u32_e32 vcc, 0, v2
	s_nop 1
	v_cndmask_b32_e32 v2, 0, v3, vcc
	s_branch .LBB456_528
.LBB456_527:
	s_mov_b64 s[26:27], -1
                                        ; implicit-def: $vgpr2
.LBB456_528:
	s_mov_b64 s[28:29], 0
.LBB456_529:
	s_and_b64 vcc, exec, s[28:29]
	s_cbranch_vccz .LBB456_533
; %bb.530:
	s_cmp_eq_u32 s30, 29
	s_cbranch_scc0 .LBB456_532
; %bb.531:
	global_load_dwordx2 v[2:3], v[0:1], off
	s_mov_b64 s[0:1], -1
	s_mov_b64 s[26:27], 0
	s_branch .LBB456_533
.LBB456_532:
	s_mov_b64 s[26:27], -1
                                        ; implicit-def: $vgpr2
.LBB456_533:
	s_mov_b64 s[28:29], 0
.LBB456_534:
	s_and_b64 vcc, exec, s[28:29]
	s_cbranch_vccz .LBB456_550
; %bb.535:
	s_cmp_lt_i32 s30, 27
	s_cbranch_scc1 .LBB456_538
; %bb.536:
	s_cmp_gt_i32 s30, 27
	s_cbranch_scc0 .LBB456_539
; %bb.537:
	global_load_dword v2, v[0:1], off
	s_mov_b64 s[0:1], 0
	s_branch .LBB456_540
.LBB456_538:
	s_mov_b64 s[0:1], -1
                                        ; implicit-def: $vgpr2
	s_branch .LBB456_543
.LBB456_539:
	s_mov_b64 s[0:1], -1
                                        ; implicit-def: $vgpr2
.LBB456_540:
	s_andn2_b64 vcc, exec, s[0:1]
	s_cbranch_vccnz .LBB456_542
; %bb.541:
	global_load_ushort v2, v[0:1], off
.LBB456_542:
	s_mov_b64 s[0:1], 0
.LBB456_543:
	s_andn2_b64 vcc, exec, s[0:1]
	s_cbranch_vccnz .LBB456_549
; %bb.544:
	global_load_ubyte v3, v[0:1], off
	s_movk_i32 s0, 0x7f
	s_mov_b64 s[28:29], 0
	s_waitcnt vmcnt(0)
	v_cmp_lt_i16_e32 vcc, s0, v3
	s_and_saveexec_b64 s[0:1], vcc
	s_xor_b64 s[0:1], exec, s[0:1]
	s_cbranch_execz .LBB456_561
; %bb.545:
	s_movk_i32 s28, 0x80
	v_cmp_ne_u16_e32 vcc, s28, v3
	s_and_b64 s[28:29], vcc, exec
	s_andn2_saveexec_b64 s[0:1], s[0:1]
	s_cbranch_execnz .LBB456_562
.LBB456_546:
	s_or_b64 exec, exec, s[0:1]
	v_mov_b32_e32 v2, 0
	s_and_saveexec_b64 s[0:1], s[28:29]
	s_cbranch_execz .LBB456_548
.LBB456_547:
	v_lshlrev_b32_e32 v2, 24, v3
	v_and_b32_e32 v3, 0xffff, v3
	v_and_b32_e32 v4, 7, v3
	v_ffbh_u32_e32 v6, v4
	v_min_u32_e32 v6, 32, v6
	v_subrev_u32_e32 v7, 28, v6
	v_bfe_u32 v5, v3, 3, 4
	v_lshlrev_b32_e32 v3, v7, v3
	v_sub_u32_e32 v6, 29, v6
	v_and_b32_e32 v3, 7, v3
	v_cmp_eq_u32_e32 vcc, 0, v5
	v_and_b32_e32 v2, 0x80000000, v2
	s_nop 0
	v_cndmask_b32_e32 v5, v5, v6, vcc
	v_cndmask_b32_e32 v3, v4, v3, vcc
	v_mov_b32_e32 v4, 0x3b800000
	v_lshlrev_b32_e32 v3, 20, v3
	v_lshl_add_u32 v4, v5, 23, v4
	v_or3_b32 v2, v2, v4, v3
	v_cvt_i32_f32_e32 v2, v2
.LBB456_548:
	s_or_b64 exec, exec, s[0:1]
.LBB456_549:
	s_mov_b64 s[0:1], -1
.LBB456_550:
	s_mov_b64 s[28:29], 0
.LBB456_551:
	s_and_b64 vcc, exec, s[28:29]
	s_cbranch_vccz .LBB456_584
; %bb.552:
	s_cmp_gt_i32 s30, 22
	s_cbranch_scc0 .LBB456_560
; %bb.553:
	s_cmp_lt_i32 s30, 24
	s_cbranch_scc1 .LBB456_563
; %bb.554:
	s_cmp_gt_i32 s30, 24
	s_cbranch_scc0 .LBB456_564
; %bb.555:
	global_load_ubyte v3, v[0:1], off
	s_movk_i32 s0, 0x7f
	s_mov_b64 s[28:29], 0
	s_waitcnt vmcnt(0)
	v_cmp_lt_i16_e32 vcc, s0, v3
	s_and_saveexec_b64 s[0:1], vcc
	s_xor_b64 s[0:1], exec, s[0:1]
	s_cbranch_execz .LBB456_576
; %bb.556:
	s_movk_i32 s28, 0x80
	v_cmp_ne_u16_e32 vcc, s28, v3
	s_and_b64 s[28:29], vcc, exec
	s_andn2_saveexec_b64 s[0:1], s[0:1]
	s_cbranch_execnz .LBB456_577
.LBB456_557:
	s_or_b64 exec, exec, s[0:1]
	v_mov_b32_e32 v2, 0
	s_and_saveexec_b64 s[0:1], s[28:29]
	s_cbranch_execz .LBB456_559
.LBB456_558:
	v_lshlrev_b32_e32 v2, 24, v3
	v_and_b32_e32 v3, 0xffff, v3
	v_and_b32_e32 v4, 3, v3
	v_ffbh_u32_e32 v6, v4
	v_min_u32_e32 v6, 32, v6
	v_subrev_u32_e32 v7, 29, v6
	v_bfe_u32 v5, v3, 2, 5
	v_lshlrev_b32_e32 v3, v7, v3
	v_sub_u32_e32 v6, 30, v6
	v_and_b32_e32 v3, 3, v3
	v_cmp_eq_u32_e32 vcc, 0, v5
	v_and_b32_e32 v2, 0x80000000, v2
	s_nop 0
	v_cndmask_b32_e32 v5, v5, v6, vcc
	v_cndmask_b32_e32 v3, v4, v3, vcc
	v_mov_b32_e32 v4, 0x37800000
	v_lshlrev_b32_e32 v3, 21, v3
	v_lshl_add_u32 v4, v5, 23, v4
	v_or3_b32 v2, v2, v4, v3
	v_cvt_i32_f32_e32 v2, v2
.LBB456_559:
	s_or_b64 exec, exec, s[0:1]
	s_mov_b64 s[0:1], 0
	s_branch .LBB456_565
.LBB456_560:
	s_mov_b64 s[28:29], -1
                                        ; implicit-def: $vgpr2
	s_branch .LBB456_571
.LBB456_561:
	s_andn2_saveexec_b64 s[0:1], s[0:1]
	s_cbranch_execz .LBB456_546
.LBB456_562:
	v_cmp_ne_u16_e32 vcc, 0, v3
	s_andn2_b64 s[28:29], s[28:29], exec
	s_and_b64 s[34:35], vcc, exec
	s_or_b64 s[28:29], s[28:29], s[34:35]
	s_or_b64 exec, exec, s[0:1]
	v_mov_b32_e32 v2, 0
	s_and_saveexec_b64 s[0:1], s[28:29]
	s_cbranch_execnz .LBB456_547
	s_branch .LBB456_548
.LBB456_563:
	s_mov_b64 s[0:1], -1
                                        ; implicit-def: $vgpr2
	s_branch .LBB456_568
.LBB456_564:
	s_mov_b64 s[0:1], -1
                                        ; implicit-def: $vgpr2
.LBB456_565:
	s_and_b64 vcc, exec, s[0:1]
	s_cbranch_vccz .LBB456_567
; %bb.566:
	global_load_ubyte v2, v[0:1], off
	s_mov_b32 s0, 0x7f800000
	s_waitcnt vmcnt(0)
	v_lshlrev_b32_e32 v2, 24, v2
	v_and_b32_e32 v3, 0x7f000000, v2
	v_ffbh_u32_e32 v4, v3
	v_min_u32_e32 v4, 32, v4
	v_sub_u32_e64 v4, v4, 4 clamp
	v_lshlrev_b32_e32 v6, v4, v3
	v_lshlrev_b32_e32 v4, 23, v4
	v_lshrrev_b32_e32 v6, 4, v6
	v_add_u32_e32 v5, 0x1000000, v3
	v_sub_u32_e32 v4, v6, v4
	v_ashrrev_i32_e32 v5, 8, v5
	v_add_u32_e32 v4, 0x3c000000, v4
	v_and_or_b32 v4, v5, s0, v4
	v_cmp_ne_u32_e32 vcc, 0, v3
	s_brev_b32 s0, 1
	s_nop 0
	v_cndmask_b32_e32 v3, 0, v4, vcc
	v_and_or_b32 v2, v2, s0, v3
	v_cvt_i32_f32_e32 v2, v2
.LBB456_567:
	s_mov_b64 s[0:1], 0
.LBB456_568:
	s_andn2_b64 vcc, exec, s[0:1]
	s_cbranch_vccnz .LBB456_570
; %bb.569:
	global_load_ubyte v2, v[0:1], off
	s_movk_i32 s0, 0x7f00
	s_brev_b32 s1, 16
	s_waitcnt vmcnt(0)
	v_lshlrev_b16_e32 v3, 8, v2
	v_lshlrev_b32_e32 v2, 25, v2
	v_lshrrev_b32_e32 v4, 4, v2
	v_and_or_b32 v5, v3, s0, 0.5
	v_or_b32_e32 v4, 0x70000000, v4
	v_add_f32_e32 v5, -0.5, v5
	v_mul_f32_e32 v4, 0x7800000, v4
	v_cmp_gt_u32_e32 vcc, s1, v2
	v_bfe_i32 v3, v3, 0, 16
	s_brev_b32 s0, 1
	v_cndmask_b32_e32 v2, v4, v5, vcc
	v_and_or_b32 v2, v3, s0, v2
	v_cvt_i32_f32_e32 v2, v2
.LBB456_570:
	s_mov_b64 s[28:29], 0
	s_mov_b64 s[0:1], -1
.LBB456_571:
	s_andn2_b64 vcc, exec, s[28:29]
	s_cbranch_vccnz .LBB456_584
; %bb.572:
	s_cmp_gt_i32 s30, 14
	s_cbranch_scc0 .LBB456_575
; %bb.573:
	s_cmp_eq_u32 s30, 15
	s_cbranch_scc0 .LBB456_578
; %bb.574:
	global_load_ushort v2, v[0:1], off
	s_mov_b64 s[0:1], -1
	s_mov_b64 s[26:27], 0
	s_waitcnt vmcnt(0)
	v_lshlrev_b32_e32 v2, 16, v2
	v_cvt_i32_f32_e32 v2, v2
	s_branch .LBB456_579
.LBB456_575:
	s_mov_b64 s[28:29], -1
                                        ; implicit-def: $vgpr2
	s_branch .LBB456_580
.LBB456_576:
	s_andn2_saveexec_b64 s[0:1], s[0:1]
	s_cbranch_execz .LBB456_557
.LBB456_577:
	v_cmp_ne_u16_e32 vcc, 0, v3
	s_andn2_b64 s[28:29], s[28:29], exec
	s_and_b64 s[34:35], vcc, exec
	s_or_b64 s[28:29], s[28:29], s[34:35]
	s_or_b64 exec, exec, s[0:1]
	v_mov_b32_e32 v2, 0
	s_and_saveexec_b64 s[0:1], s[28:29]
	s_cbranch_execnz .LBB456_558
	s_branch .LBB456_559
.LBB456_578:
	s_mov_b64 s[26:27], -1
                                        ; implicit-def: $vgpr2
.LBB456_579:
	s_mov_b64 s[28:29], 0
.LBB456_580:
	s_and_b64 vcc, exec, s[28:29]
	s_cbranch_vccz .LBB456_584
; %bb.581:
	s_cmp_eq_u32 s30, 11
	s_cbranch_scc0 .LBB456_583
; %bb.582:
	global_load_ubyte v2, v[0:1], off
	s_mov_b64 s[0:1], -1
	s_mov_b64 s[26:27], 0
	s_waitcnt vmcnt(0)
	v_cmp_ne_u16_e32 vcc, 0, v2
	s_nop 1
	v_cndmask_b32_e64 v2, 0, 1, vcc
	s_branch .LBB456_584
.LBB456_583:
	s_mov_b64 s[26:27], -1
                                        ; implicit-def: $vgpr2
.LBB456_584:
	s_mov_b64 s[28:29], 0
.LBB456_585:
	s_and_b64 vcc, exec, s[28:29]
	s_cbranch_vccz .LBB456_634
; %bb.586:
	s_cmp_lt_i32 s30, 5
	s_cbranch_scc1 .LBB456_591
; %bb.587:
	s_cmp_lt_i32 s30, 8
	s_cbranch_scc1 .LBB456_592
	;; [unrolled: 3-line block ×3, first 2 shown]
; %bb.589:
	s_cmp_gt_i32 s30, 9
	s_cbranch_scc0 .LBB456_594
; %bb.590:
	global_load_dwordx2 v[2:3], v[0:1], off
	s_mov_b64 s[0:1], 0
	s_waitcnt vmcnt(0)
	v_cvt_i32_f64_e32 v2, v[2:3]
	s_branch .LBB456_595
.LBB456_591:
	s_mov_b64 s[0:1], -1
                                        ; implicit-def: $vgpr2
	s_branch .LBB456_613
.LBB456_592:
	s_mov_b64 s[0:1], -1
                                        ; implicit-def: $vgpr2
	s_branch .LBB456_601
.LBB456_593:
	s_mov_b64 s[0:1], -1
                                        ; implicit-def: $vgpr2
	s_branch .LBB456_598
.LBB456_594:
	s_mov_b64 s[0:1], -1
                                        ; implicit-def: $vgpr2
.LBB456_595:
	s_andn2_b64 vcc, exec, s[0:1]
	s_cbranch_vccnz .LBB456_597
; %bb.596:
	global_load_dword v2, v[0:1], off
	s_waitcnt vmcnt(0)
	v_cvt_i32_f32_e32 v2, v2
.LBB456_597:
	s_mov_b64 s[0:1], 0
.LBB456_598:
	s_andn2_b64 vcc, exec, s[0:1]
	s_cbranch_vccnz .LBB456_600
; %bb.599:
	global_load_dword v2, v[0:1], off
	s_waitcnt vmcnt(0)
	v_cvt_i16_f16_e32 v2, v2
.LBB456_600:
	s_mov_b64 s[0:1], 0
.LBB456_601:
	s_andn2_b64 vcc, exec, s[0:1]
	s_cbranch_vccnz .LBB456_612
; %bb.602:
	s_cmp_lt_i32 s30, 6
	s_cbranch_scc1 .LBB456_605
; %bb.603:
	s_cmp_gt_i32 s30, 6
	s_cbranch_scc0 .LBB456_606
; %bb.604:
	global_load_dwordx2 v[2:3], v[0:1], off
	s_mov_b64 s[0:1], 0
	s_waitcnt vmcnt(0)
	v_cvt_i32_f64_e32 v2, v[2:3]
	s_branch .LBB456_607
.LBB456_605:
	s_mov_b64 s[0:1], -1
                                        ; implicit-def: $vgpr2
	s_branch .LBB456_610
.LBB456_606:
	s_mov_b64 s[0:1], -1
                                        ; implicit-def: $vgpr2
.LBB456_607:
	s_andn2_b64 vcc, exec, s[0:1]
	s_cbranch_vccnz .LBB456_609
; %bb.608:
	global_load_dword v2, v[0:1], off
	s_waitcnt vmcnt(0)
	v_cvt_i32_f32_e32 v2, v2
.LBB456_609:
	s_mov_b64 s[0:1], 0
.LBB456_610:
	s_andn2_b64 vcc, exec, s[0:1]
	s_cbranch_vccnz .LBB456_612
; %bb.611:
	global_load_ushort v2, v[0:1], off
	s_waitcnt vmcnt(0)
	v_cvt_i16_f16_e32 v2, v2
.LBB456_612:
	s_mov_b64 s[0:1], 0
.LBB456_613:
	s_andn2_b64 vcc, exec, s[0:1]
	s_cbranch_vccnz .LBB456_633
; %bb.614:
	s_cmp_lt_i32 s30, 2
	s_cbranch_scc1 .LBB456_618
; %bb.615:
	s_cmp_lt_i32 s30, 3
	s_cbranch_scc1 .LBB456_619
; %bb.616:
	s_cmp_gt_i32 s30, 3
	s_cbranch_scc0 .LBB456_620
; %bb.617:
	global_load_dwordx2 v[2:3], v[0:1], off
	s_mov_b64 s[0:1], 0
	s_branch .LBB456_621
.LBB456_618:
	s_mov_b64 s[0:1], -1
                                        ; implicit-def: $vgpr2
	s_branch .LBB456_627
.LBB456_619:
	s_mov_b64 s[0:1], -1
                                        ; implicit-def: $vgpr2
	s_branch .LBB456_624
.LBB456_620:
	s_mov_b64 s[0:1], -1
                                        ; implicit-def: $vgpr2
.LBB456_621:
	s_andn2_b64 vcc, exec, s[0:1]
	s_cbranch_vccnz .LBB456_623
; %bb.622:
	global_load_dword v2, v[0:1], off
.LBB456_623:
	s_mov_b64 s[0:1], 0
.LBB456_624:
	s_andn2_b64 vcc, exec, s[0:1]
	s_cbranch_vccnz .LBB456_626
; %bb.625:
	global_load_ushort v2, v[0:1], off
.LBB456_626:
	s_mov_b64 s[0:1], 0
.LBB456_627:
	s_andn2_b64 vcc, exec, s[0:1]
	s_cbranch_vccnz .LBB456_633
; %bb.628:
	s_cmp_gt_i32 s30, 0
	s_cbranch_scc0 .LBB456_630
; %bb.629:
	global_load_sbyte v2, v[0:1], off
	s_mov_b64 s[0:1], 0
	s_branch .LBB456_631
.LBB456_630:
	s_mov_b64 s[0:1], -1
                                        ; implicit-def: $vgpr2
.LBB456_631:
	s_andn2_b64 vcc, exec, s[0:1]
	s_cbranch_vccnz .LBB456_633
; %bb.632:
	global_load_ubyte v2, v[0:1], off
.LBB456_633:
	s_mov_b64 s[0:1], -1
.LBB456_634:
	s_andn2_b64 vcc, exec, s[0:1]
	s_cbranch_vccnz .LBB456_642
; %bb.635:
	v_mul_lo_u32 v0, v10, s8
	v_ashrrev_i32_e32 v1, 31, v0
	s_and_b32 s36, s42, 0xff
	s_waitcnt vmcnt(0)
	v_min_i16_e32 v4, s33, v2
	s_cmp_lt_i32 s36, 11
	v_lshl_add_u64 v[0:1], s[4:5], 0, v[0:1]
	s_cbranch_scc1 .LBB456_643
; %bb.636:
	s_and_b32 s37, 0xffff, s36
	s_cmp_gt_i32 s37, 25
	s_cbranch_scc0 .LBB456_644
; %bb.637:
	s_cmp_gt_i32 s37, 28
	s_cbranch_scc0 .LBB456_645
; %bb.638:
	;; [unrolled: 3-line block ×4, first 2 shown]
	s_mov_b64 s[30:31], 0
	s_mov_b64 s[0:1], -1
	s_cmp_eq_u32 s37, 46
	s_mov_b64 s[28:29], 0
	s_cbranch_scc0 .LBB456_648
; %bb.641:
	v_cvt_f32_i32_sdwa v2, sext(v4) dst_sel:DWORD dst_unused:UNUSED_PAD src0_sel:WORD_0
	s_movk_i32 s0, 0x7fff
	s_mov_b64 s[28:29], -1
	v_bfe_u32 v3, v2, 16, 1
	v_add3_u32 v2, v2, v3, s0
	v_lshrrev_b32_e32 v2, 16, v2
	global_store_dword v[0:1], v2, off
	s_mov_b64 s[0:1], 0
	s_branch .LBB456_648
.LBB456_642:
	s_mov_b64 s[30:31], 0
                                        ; implicit-def: $vgpr10
	s_mov_b64 s[0:1], s[20:21]
	s_branch .LBB456_759
.LBB456_643:
	s_mov_b64 s[30:31], -1
	s_mov_b64 s[28:29], 0
	s_mov_b64 s[0:1], s[20:21]
	s_branch .LBB456_717
.LBB456_644:
	s_mov_b64 s[30:31], -1
	s_mov_b64 s[28:29], 0
	s_mov_b64 s[0:1], s[20:21]
	s_branch .LBB456_675
.LBB456_645:
	s_mov_b64 s[30:31], -1
	s_mov_b64 s[28:29], 0
	s_mov_b64 s[0:1], s[20:21]
	s_branch .LBB456_658
.LBB456_646:
	s_mov_b64 s[30:31], -1
	s_mov_b64 s[28:29], 0
	s_mov_b64 s[0:1], s[20:21]
	s_branch .LBB456_654
.LBB456_647:
	s_mov_b64 s[30:31], -1
	s_mov_b64 s[28:29], 0
	s_mov_b64 s[0:1], s[20:21]
.LBB456_648:
	s_and_b64 vcc, exec, s[30:31]
	s_cbranch_vccz .LBB456_653
; %bb.649:
	s_cmp_eq_u32 s37, 44
	s_mov_b64 s[0:1], -1
	s_cbranch_scc0 .LBB456_653
; %bb.650:
	v_cvt_f32_i32_sdwa v2, sext(v4) dst_sel:DWORD dst_unused:UNUSED_PAD src0_sel:WORD_0
	s_movk_i32 s0, 0xff
	v_mov_b32_e32 v5, 0xff
	v_bfe_u32 v3, v2, 23, 8
	v_cmp_ne_u32_e32 vcc, s0, v3
	s_and_saveexec_b64 s[28:29], vcc
; %bb.651:
	s_mov_b32 s0, 0x3fffff
	v_lshrrev_b32_e32 v5, 23, v2
	v_and_b32_e32 v6, 0x400000, v2
	v_and_or_b32 v2, v2, s0, v3
	v_cmp_ne_u32_e32 vcc, 0, v6
	v_cmp_ne_u32_e64 s[0:1], 0, v2
	s_and_b64 s[0:1], vcc, s[0:1]
	s_nop 0
	v_cndmask_b32_e64 v2, 0, 1, s[0:1]
	v_add_u32_e32 v5, v5, v2
; %bb.652:
	s_or_b64 exec, exec, s[28:29]
	s_mov_b64 s[28:29], -1
	s_mov_b64 s[0:1], 0
	global_store_byte v[0:1], v5, off
.LBB456_653:
	s_mov_b64 s[30:31], 0
.LBB456_654:
	s_and_b64 vcc, exec, s[30:31]
	s_cbranch_vccz .LBB456_657
; %bb.655:
	s_cmp_eq_u32 s37, 29
	s_mov_b64 s[0:1], -1
	s_cbranch_scc0 .LBB456_657
; %bb.656:
	v_bfe_i32 v2, v4, 0, 16
	v_ashrrev_i32_e32 v3, 31, v2
	global_store_dwordx2 v[0:1], v[2:3], off
	s_mov_b64 s[28:29], -1
	s_mov_b64 s[0:1], 0
.LBB456_657:
	s_mov_b64 s[30:31], 0
.LBB456_658:
	s_and_b64 vcc, exec, s[30:31]
	s_cbranch_vccz .LBB456_674
; %bb.659:
	s_cmp_lt_i32 s37, 27
	s_mov_b64 s[28:29], -1
	s_cbranch_scc1 .LBB456_665
; %bb.660:
	s_cmp_gt_i32 s37, 27
	s_cbranch_scc0 .LBB456_662
; %bb.661:
	v_bfe_i32 v2, v4, 0, 16
	s_mov_b64 s[28:29], 0
	global_store_dword v[0:1], v2, off
.LBB456_662:
	s_andn2_b64 vcc, exec, s[28:29]
	s_cbranch_vccnz .LBB456_664
; %bb.663:
	global_store_short v[0:1], v4, off
.LBB456_664:
	s_mov_b64 s[28:29], 0
.LBB456_665:
	s_andn2_b64 vcc, exec, s[28:29]
	s_cbranch_vccnz .LBB456_673
; %bb.666:
	v_cvt_f32_i32_sdwa v2, sext(v4) dst_sel:DWORD dst_unused:UNUSED_PAD src0_sel:WORD_0
	s_mov_b32 s28, 0x43800000
	v_mov_b32_e32 v5, 0x80
	v_and_b32_e32 v3, 0x7fffffff, v2
	v_cmp_gt_u32_e32 vcc, s28, v3
	s_and_saveexec_b64 s[28:29], vcc
	s_cbranch_execz .LBB456_672
; %bb.667:
	s_mov_b32 s30, 0x3bffffff
	v_cmp_lt_u32_e32 vcc, s30, v3
	s_mov_b64 s[30:31], 0
                                        ; implicit-def: $vgpr3
	s_and_saveexec_b64 s[34:35], vcc
	s_xor_b64 s[34:35], exec, s[34:35]
	s_cbranch_execz .LBB456_773
; %bb.668:
	v_bfe_u32 v3, v2, 20, 1
	s_mov_b32 s39, 0x487ffff
	v_add3_u32 v3, v2, v3, s39
	s_mov_b64 s[30:31], exec
	v_lshrrev_b32_e32 v3, 20, v3
	s_andn2_saveexec_b64 s[34:35], s[34:35]
	s_cbranch_execnz .LBB456_774
.LBB456_669:
	s_or_b64 exec, exec, s[34:35]
	v_mov_b32_e32 v5, 0
	s_and_saveexec_b64 s[34:35], s[30:31]
.LBB456_670:
	v_lshrrev_b32_e32 v2, 24, v2
	s_movk_i32 s30, 0x80
	v_and_or_b32 v5, v2, s30, v3
.LBB456_671:
	s_or_b64 exec, exec, s[34:35]
.LBB456_672:
	s_or_b64 exec, exec, s[28:29]
	global_store_byte v[0:1], v5, off
.LBB456_673:
	s_mov_b64 s[28:29], -1
.LBB456_674:
	s_mov_b64 s[30:31], 0
.LBB456_675:
	s_and_b64 vcc, exec, s[30:31]
	s_cbranch_vccz .LBB456_716
; %bb.676:
	s_cmp_gt_i32 s37, 22
	s_mov_b64 s[30:31], -1
	s_cbranch_scc0 .LBB456_708
; %bb.677:
	s_cmp_lt_i32 s37, 24
	s_mov_b64 s[28:29], -1
	s_cbranch_scc1 .LBB456_697
; %bb.678:
	s_cmp_gt_i32 s37, 24
	s_cbranch_scc0 .LBB456_686
; %bb.679:
	v_cvt_f32_i32_sdwa v2, sext(v4) dst_sel:DWORD dst_unused:UNUSED_PAD src0_sel:WORD_0
	s_mov_b32 s28, 0x47800000
	v_mov_b32_e32 v5, 0x80
	v_and_b32_e32 v3, 0x7fffffff, v2
	v_cmp_gt_u32_e32 vcc, s28, v3
	s_and_saveexec_b64 s[28:29], vcc
	s_cbranch_execz .LBB456_685
; %bb.680:
	s_mov_b32 s30, 0x37ffffff
	v_cmp_lt_u32_e32 vcc, s30, v3
	s_mov_b64 s[30:31], 0
                                        ; implicit-def: $vgpr3
	s_and_saveexec_b64 s[34:35], vcc
	s_xor_b64 s[34:35], exec, s[34:35]
	s_cbranch_execz .LBB456_776
; %bb.681:
	v_bfe_u32 v3, v2, 21, 1
	s_mov_b32 s39, 0x88fffff
	v_add3_u32 v3, v2, v3, s39
	s_mov_b64 s[30:31], exec
	v_lshrrev_b32_e32 v3, 21, v3
	s_andn2_saveexec_b64 s[34:35], s[34:35]
	s_cbranch_execnz .LBB456_777
.LBB456_682:
	s_or_b64 exec, exec, s[34:35]
	v_mov_b32_e32 v5, 0
	s_and_saveexec_b64 s[34:35], s[30:31]
.LBB456_683:
	v_lshrrev_b32_e32 v2, 24, v2
	s_movk_i32 s30, 0x80
	v_and_or_b32 v5, v2, s30, v3
.LBB456_684:
	s_or_b64 exec, exec, s[34:35]
.LBB456_685:
	s_or_b64 exec, exec, s[28:29]
	s_mov_b64 s[28:29], 0
	global_store_byte v[0:1], v5, off
.LBB456_686:
	s_and_b64 vcc, exec, s[28:29]
	s_cbranch_vccz .LBB456_696
; %bb.687:
	v_cvt_f32_i32_sdwa v2, sext(v4) dst_sel:DWORD dst_unused:UNUSED_PAD src0_sel:WORD_0
	s_mov_b32 s28, 0x43f00000
                                        ; implicit-def: $vgpr3
	v_and_b32_e32 v5, 0x7fffffff, v2
	v_cmp_gt_u32_e32 vcc, s28, v5
	s_and_saveexec_b64 s[28:29], vcc
	s_xor_b64 s[28:29], exec, s[28:29]
	s_cbranch_execz .LBB456_693
; %bb.688:
	s_mov_b32 s30, 0x3c7fffff
	v_cmp_lt_u32_e32 vcc, s30, v5
                                        ; implicit-def: $vgpr3
	s_and_saveexec_b64 s[30:31], vcc
	s_xor_b64 s[30:31], exec, s[30:31]
; %bb.689:
	v_bfe_u32 v3, v2, 20, 1
	s_mov_b32 s34, 0x407ffff
	v_add3_u32 v3, v2, v3, s34
	v_lshrrev_b32_e32 v5, 20, v3
	v_and_b32_e32 v3, 0xff00000, v3
	s_mov_b32 s34, 0x7f00000
	v_mov_b32_e32 v6, 0x7e
	v_cmp_ne_u32_e32 vcc, s34, v3
	s_nop 1
	v_cndmask_b32_e32 v3, v6, v5, vcc
; %bb.690:
	s_andn2_saveexec_b64 s[30:31], s[30:31]
; %bb.691:
	s_mov_b32 s34, 0x46800000
	v_add_f32_e64 v3, |v2|, s34
; %bb.692:
	s_or_b64 exec, exec, s[30:31]
                                        ; implicit-def: $vgpr5
.LBB456_693:
	s_andn2_saveexec_b64 s[28:29], s[28:29]
; %bb.694:
	s_mov_b32 s30, 0x7f800000
	v_mov_b32_e32 v3, 0x7e
	v_mov_b32_e32 v6, 0x7f
	v_cmp_lt_u32_e32 vcc, s30, v5
	s_nop 1
	v_cndmask_b32_e32 v3, v3, v6, vcc
; %bb.695:
	s_or_b64 exec, exec, s[28:29]
	v_lshrrev_b32_e32 v2, 24, v2
	s_movk_i32 s28, 0x80
	v_and_or_b32 v2, v2, s28, v3
	global_store_byte v[0:1], v2, off
.LBB456_696:
	s_mov_b64 s[28:29], 0
.LBB456_697:
	s_andn2_b64 vcc, exec, s[28:29]
	s_cbranch_vccnz .LBB456_707
; %bb.698:
	v_cvt_f32_i32_sdwa v2, sext(v4) dst_sel:DWORD dst_unused:UNUSED_PAD src0_sel:WORD_0
	s_mov_b32 s28, 0x47800000
                                        ; implicit-def: $vgpr3
	v_and_b32_e32 v5, 0x7fffffff, v2
	v_cmp_gt_u32_e32 vcc, s28, v5
	s_and_saveexec_b64 s[28:29], vcc
	s_xor_b64 s[28:29], exec, s[28:29]
	s_cbranch_execz .LBB456_704
; %bb.699:
	s_mov_b32 s30, 0x387fffff
	v_cmp_lt_u32_e32 vcc, s30, v5
                                        ; implicit-def: $vgpr3
	s_and_saveexec_b64 s[30:31], vcc
	s_xor_b64 s[30:31], exec, s[30:31]
; %bb.700:
	v_bfe_u32 v3, v2, 21, 1
	s_mov_b32 s34, 0x80fffff
	v_add3_u32 v3, v2, v3, s34
	v_lshrrev_b32_e32 v3, 21, v3
; %bb.701:
	s_andn2_saveexec_b64 s[30:31], s[30:31]
; %bb.702:
	s_mov_b32 s34, 0x43000000
	v_add_f32_e64 v3, |v2|, s34
; %bb.703:
	s_or_b64 exec, exec, s[30:31]
                                        ; implicit-def: $vgpr5
.LBB456_704:
	s_andn2_saveexec_b64 s[28:29], s[28:29]
; %bb.705:
	s_mov_b32 s30, 0x7f800000
	v_mov_b32_e32 v3, 0x7c
	v_mov_b32_e32 v6, 0x7f
	v_cmp_lt_u32_e32 vcc, s30, v5
	s_nop 1
	v_cndmask_b32_e32 v3, v3, v6, vcc
; %bb.706:
	s_or_b64 exec, exec, s[28:29]
	v_lshrrev_b32_e32 v2, 24, v2
	s_movk_i32 s28, 0x80
	v_and_or_b32 v2, v2, s28, v3
	global_store_byte v[0:1], v2, off
.LBB456_707:
	s_mov_b64 s[30:31], 0
	s_mov_b64 s[28:29], -1
.LBB456_708:
	s_andn2_b64 vcc, exec, s[30:31]
	s_cbranch_vccnz .LBB456_716
; %bb.709:
	s_cmp_gt_i32 s37, 14
	s_mov_b64 s[30:31], -1
	s_cbranch_scc0 .LBB456_713
; %bb.710:
	s_cmp_eq_u32 s37, 15
	s_mov_b64 s[0:1], -1
	s_cbranch_scc0 .LBB456_712
; %bb.711:
	v_cvt_f32_i32_sdwa v2, sext(v4) dst_sel:DWORD dst_unused:UNUSED_PAD src0_sel:WORD_0
	s_movk_i32 s0, 0x7fff
	s_mov_b64 s[28:29], -1
	v_bfe_u32 v3, v2, 16, 1
	v_add3_u32 v2, v2, v3, s0
	global_store_short_d16_hi v[0:1], v2, off
	s_mov_b64 s[0:1], 0
.LBB456_712:
	s_mov_b64 s[30:31], 0
.LBB456_713:
	s_and_b64 vcc, exec, s[30:31]
	s_cbranch_vccz .LBB456_716
; %bb.714:
	s_cmp_eq_u32 s37, 11
	s_mov_b64 s[0:1], -1
	s_cbranch_scc0 .LBB456_716
; %bb.715:
	v_cmp_ne_u16_e32 vcc, 0, v4
	s_mov_b64 s[28:29], -1
	s_mov_b64 s[0:1], 0
	v_cndmask_b32_e64 v2, 0, 1, vcc
	global_store_byte v[0:1], v2, off
.LBB456_716:
	s_mov_b64 s[30:31], 0
.LBB456_717:
	s_and_b64 vcc, exec, s[30:31]
	s_cbranch_vccz .LBB456_756
; %bb.718:
	s_and_b32 s30, 0xffff, s36
	s_cmp_lt_i32 s30, 5
	s_mov_b64 s[28:29], -1
	s_cbranch_scc1 .LBB456_739
; %bb.719:
	s_cmp_lt_i32 s30, 8
	s_cbranch_scc1 .LBB456_729
; %bb.720:
	s_cmp_lt_i32 s30, 9
	s_cbranch_scc1 .LBB456_726
; %bb.721:
	s_cmp_gt_i32 s30, 9
	s_cbranch_scc0 .LBB456_723
; %bb.722:
	v_bfe_i32 v2, v4, 0, 16
	v_mov_b32_e32 v8, 0
	v_cvt_f64_i32_e32 v[6:7], v2
	v_mov_b32_e32 v9, v8
	s_mov_b64 s[28:29], 0
	global_store_dwordx4 v[0:1], v[6:9], off
.LBB456_723:
	s_andn2_b64 vcc, exec, s[28:29]
	s_cbranch_vccnz .LBB456_725
; %bb.724:
	v_cvt_f32_i32_sdwa v2, sext(v4) dst_sel:DWORD dst_unused:UNUSED_PAD src0_sel:WORD_0
	v_mov_b32_e32 v3, 0
	global_store_dwordx2 v[0:1], v[2:3], off
.LBB456_725:
	s_mov_b64 s[28:29], 0
.LBB456_726:
	s_andn2_b64 vcc, exec, s[28:29]
	s_cbranch_vccnz .LBB456_728
; %bb.727:
	v_cvt_f16_i16_e32 v2, v4
	global_store_dword v[0:1], v2, off
.LBB456_728:
	s_mov_b64 s[28:29], 0
.LBB456_729:
	s_andn2_b64 vcc, exec, s[28:29]
	s_cbranch_vccnz .LBB456_738
; %bb.730:
	s_cmp_lt_i32 s30, 6
	s_mov_b64 s[28:29], -1
	s_cbranch_scc1 .LBB456_736
; %bb.731:
	s_cmp_gt_i32 s30, 6
	s_cbranch_scc0 .LBB456_733
; %bb.732:
	v_bfe_i32 v2, v4, 0, 16
	v_cvt_f64_i32_e32 v[2:3], v2
	s_mov_b64 s[28:29], 0
	global_store_dwordx2 v[0:1], v[2:3], off
.LBB456_733:
	s_andn2_b64 vcc, exec, s[28:29]
	s_cbranch_vccnz .LBB456_735
; %bb.734:
	v_cvt_f32_i32_sdwa v2, sext(v4) dst_sel:DWORD dst_unused:UNUSED_PAD src0_sel:WORD_0
	global_store_dword v[0:1], v2, off
.LBB456_735:
	s_mov_b64 s[28:29], 0
.LBB456_736:
	s_andn2_b64 vcc, exec, s[28:29]
	s_cbranch_vccnz .LBB456_738
; %bb.737:
	v_cvt_f16_i16_e32 v2, v4
	global_store_short v[0:1], v2, off
.LBB456_738:
	s_mov_b64 s[28:29], 0
.LBB456_739:
	s_andn2_b64 vcc, exec, s[28:29]
	s_cbranch_vccnz .LBB456_755
; %bb.740:
	s_cmp_lt_i32 s30, 2
	s_mov_b64 s[28:29], -1
	s_cbranch_scc1 .LBB456_750
; %bb.741:
	s_cmp_lt_i32 s30, 3
	s_cbranch_scc1 .LBB456_747
; %bb.742:
	s_cmp_gt_i32 s30, 3
	v_bfe_i32 v2, v4, 0, 16
	s_cbranch_scc0 .LBB456_744
; %bb.743:
	v_ashrrev_i32_e32 v3, 31, v2
	s_mov_b64 s[28:29], 0
	global_store_dwordx2 v[0:1], v[2:3], off
.LBB456_744:
	s_andn2_b64 vcc, exec, s[28:29]
	s_cbranch_vccnz .LBB456_746
; %bb.745:
	global_store_dword v[0:1], v2, off
.LBB456_746:
	s_mov_b64 s[28:29], 0
.LBB456_747:
	s_andn2_b64 vcc, exec, s[28:29]
	s_cbranch_vccnz .LBB456_749
; %bb.748:
	global_store_short v[0:1], v4, off
.LBB456_749:
	s_mov_b64 s[28:29], 0
.LBB456_750:
	s_andn2_b64 vcc, exec, s[28:29]
	s_cbranch_vccnz .LBB456_755
; %bb.751:
	s_cmp_gt_i32 s30, 0
	s_mov_b64 s[28:29], -1
	s_cbranch_scc0 .LBB456_753
; %bb.752:
	s_mov_b64 s[28:29], 0
	global_store_byte v[0:1], v4, off
.LBB456_753:
	s_andn2_b64 vcc, exec, s[28:29]
	s_cbranch_vccnz .LBB456_755
; %bb.754:
	global_store_byte v[0:1], v4, off
.LBB456_755:
	s_mov_b64 s[28:29], -1
.LBB456_756:
	s_andn2_b64 vcc, exec, s[28:29]
	s_cbranch_vccnz .LBB456_758
; %bb.757:
	v_add_u32_e32 v10, 0x80, v10
	s_mov_b64 s[30:31], -1
	s_branch .LBB456_759
.LBB456_758:
	s_mov_b64 s[30:31], 0
                                        ; implicit-def: $vgpr10
.LBB456_759:
	s_andn2_b64 s[28:29], s[20:21], exec
	s_and_b64 s[0:1], s[0:1], exec
	s_or_b64 s[28:29], s[28:29], s[0:1]
	s_andn2_b64 s[0:1], s[18:19], exec
	s_and_b64 s[26:27], s[26:27], exec
	s_or_b64 s[0:1], s[0:1], s[26:27]
	s_orn2_b64 s[34:35], s[30:31], exec
.LBB456_760:
	s_or_b64 exec, exec, s[24:25]
	s_mov_b64 s[30:31], 0
	s_mov_b64 s[26:27], 0
	;; [unrolled: 1-line block ×3, first 2 shown]
                                        ; implicit-def: $vgpr0_vgpr1
                                        ; implicit-def: $vgpr2
	s_and_saveexec_b64 s[24:25], s[34:35]
	s_cbranch_execz .LBB456_841
; %bb.761:
	v_cmp_gt_i32_e32 vcc, s38, v10
	s_mov_b64 s[34:35], 0
	s_mov_b64 s[38:39], s[0:1]
	;; [unrolled: 1-line block ×3, first 2 shown]
                                        ; implicit-def: $vgpr0_vgpr1
                                        ; implicit-def: $vgpr2
	s_and_saveexec_b64 s[26:27], vcc
	s_cbranch_execz .LBB456_840
; %bb.762:
	v_mul_lo_u32 v0, v10, s9
	v_ashrrev_i32_e32 v1, 31, v0
	s_and_b32 s40, 0xffff, s43
	s_cmp_lt_i32 s40, 11
	v_lshl_add_u64 v[0:1], s[6:7], 0, v[0:1]
	s_cbranch_scc1 .LBB456_769
; %bb.763:
	s_cmp_gt_i32 s40, 25
	s_cbranch_scc0 .LBB456_770
; %bb.764:
	s_cmp_gt_i32 s40, 28
	s_cbranch_scc0 .LBB456_771
	;; [unrolled: 3-line block ×4, first 2 shown]
; %bb.767:
	s_cmp_eq_u32 s40, 46
	s_mov_b64 s[38:39], 0
	s_cbranch_scc0 .LBB456_778
; %bb.768:
	global_load_dword v2, v[0:1], off
	s_mov_b64 s[36:37], -1
	s_waitcnt vmcnt(0)
	v_lshlrev_b32_e32 v2, 16, v2
	v_cvt_i32_f32_e32 v2, v2
	s_branch .LBB456_780
.LBB456_769:
	s_mov_b64 s[38:39], -1
                                        ; implicit-def: $vgpr2
	s_mov_b64 s[30:31], s[0:1]
	s_branch .LBB456_839
.LBB456_770:
	s_mov_b64 s[38:39], -1
	s_mov_b64 s[30:31], s[0:1]
                                        ; implicit-def: $vgpr2
	s_branch .LBB456_807
.LBB456_771:
	s_mov_b64 s[38:39], -1
	s_mov_b64 s[30:31], s[0:1]
                                        ; implicit-def: $vgpr2
	s_branch .LBB456_790
.LBB456_772:
	s_mov_b64 s[38:39], -1
	s_mov_b64 s[30:31], s[0:1]
                                        ; implicit-def: $vgpr2
	s_branch .LBB456_785
.LBB456_773:
	s_andn2_saveexec_b64 s[34:35], s[34:35]
	s_cbranch_execz .LBB456_669
.LBB456_774:
	s_mov_b32 s39, 0x46000000
	v_add_f32_e64 v3, |v2|, s39
	v_and_b32_e32 v3, 0xff, v3
	v_cmp_ne_u32_e32 vcc, 0, v3
	s_andn2_b64 s[30:31], s[30:31], exec
	s_and_b64 s[40:41], vcc, exec
	s_or_b64 s[30:31], s[30:31], s[40:41]
	s_or_b64 exec, exec, s[34:35]
	v_mov_b32_e32 v5, 0
	s_and_saveexec_b64 s[34:35], s[30:31]
	s_cbranch_execnz .LBB456_670
	s_branch .LBB456_671
.LBB456_775:
	s_mov_b64 s[38:39], -1
	s_mov_b64 s[30:31], s[0:1]
	s_branch .LBB456_779
.LBB456_776:
	s_andn2_saveexec_b64 s[34:35], s[34:35]
	s_cbranch_execz .LBB456_682
.LBB456_777:
	s_mov_b32 s39, 0x42800000
	v_add_f32_e64 v3, |v2|, s39
	v_and_b32_e32 v3, 0xff, v3
	v_cmp_ne_u32_e32 vcc, 0, v3
	s_andn2_b64 s[30:31], s[30:31], exec
	s_and_b64 s[40:41], vcc, exec
	s_or_b64 s[30:31], s[30:31], s[40:41]
	s_or_b64 exec, exec, s[34:35]
	v_mov_b32_e32 v5, 0
	s_and_saveexec_b64 s[34:35], s[30:31]
	s_cbranch_execnz .LBB456_683
	s_branch .LBB456_684
.LBB456_778:
	s_mov_b64 s[30:31], -1
.LBB456_779:
                                        ; implicit-def: $vgpr2
.LBB456_780:
	s_and_b64 vcc, exec, s[38:39]
	s_cbranch_vccz .LBB456_784
; %bb.781:
	s_cmp_eq_u32 s40, 44
	s_cbranch_scc0 .LBB456_783
; %bb.782:
	global_load_ubyte v2, v[0:1], off
	s_mov_b64 s[30:31], 0
	s_mov_b64 s[36:37], -1
	s_waitcnt vmcnt(0)
	v_lshlrev_b32_e32 v3, 23, v2
	v_cvt_i32_f32_e32 v3, v3
	v_cmp_ne_u32_e32 vcc, 0, v2
	s_nop 1
	v_cndmask_b32_e32 v2, 0, v3, vcc
	s_branch .LBB456_784
.LBB456_783:
	s_mov_b64 s[30:31], -1
                                        ; implicit-def: $vgpr2
.LBB456_784:
	s_mov_b64 s[38:39], 0
.LBB456_785:
	s_and_b64 vcc, exec, s[38:39]
	s_cbranch_vccz .LBB456_789
; %bb.786:
	s_cmp_eq_u32 s40, 29
	s_cbranch_scc0 .LBB456_788
; %bb.787:
	global_load_dwordx2 v[2:3], v[0:1], off
	s_mov_b64 s[30:31], 0
	s_mov_b64 s[36:37], -1
	s_branch .LBB456_789
.LBB456_788:
	s_mov_b64 s[30:31], -1
                                        ; implicit-def: $vgpr2
.LBB456_789:
	s_mov_b64 s[38:39], 0
.LBB456_790:
	s_and_b64 vcc, exec, s[38:39]
	s_cbranch_vccz .LBB456_806
; %bb.791:
	s_cmp_lt_i32 s40, 27
	s_cbranch_scc1 .LBB456_794
; %bb.792:
	s_cmp_gt_i32 s40, 27
	s_cbranch_scc0 .LBB456_795
; %bb.793:
	global_load_dword v2, v[0:1], off
	s_mov_b64 s[36:37], 0
	s_branch .LBB456_796
.LBB456_794:
	s_mov_b64 s[36:37], -1
                                        ; implicit-def: $vgpr2
	s_branch .LBB456_799
.LBB456_795:
	s_mov_b64 s[36:37], -1
                                        ; implicit-def: $vgpr2
.LBB456_796:
	s_andn2_b64 vcc, exec, s[36:37]
	s_cbranch_vccnz .LBB456_798
; %bb.797:
	global_load_ushort v2, v[0:1], off
.LBB456_798:
	s_mov_b64 s[36:37], 0
.LBB456_799:
	s_andn2_b64 vcc, exec, s[36:37]
	s_cbranch_vccnz .LBB456_805
; %bb.800:
	global_load_ubyte v3, v[0:1], off
	s_movk_i32 s36, 0x7f
	s_mov_b64 s[38:39], 0
	s_waitcnt vmcnt(0)
	v_cmp_lt_i16_e32 vcc, s36, v3
	s_and_saveexec_b64 s[36:37], vcc
	s_xor_b64 s[36:37], exec, s[36:37]
	s_cbranch_execz .LBB456_817
; %bb.801:
	s_movk_i32 s38, 0x80
	v_cmp_ne_u16_e32 vcc, s38, v3
	s_and_b64 s[38:39], vcc, exec
	s_andn2_saveexec_b64 s[36:37], s[36:37]
	s_cbranch_execnz .LBB456_818
.LBB456_802:
	s_or_b64 exec, exec, s[36:37]
	v_mov_b32_e32 v2, 0
	s_and_saveexec_b64 s[36:37], s[38:39]
	s_cbranch_execz .LBB456_804
.LBB456_803:
	v_lshlrev_b32_e32 v2, 24, v3
	v_and_b32_e32 v3, 0xffff, v3
	v_and_b32_e32 v4, 7, v3
	v_ffbh_u32_e32 v6, v4
	v_min_u32_e32 v6, 32, v6
	v_subrev_u32_e32 v7, 28, v6
	v_bfe_u32 v5, v3, 3, 4
	v_lshlrev_b32_e32 v3, v7, v3
	v_sub_u32_e32 v6, 29, v6
	v_and_b32_e32 v3, 7, v3
	v_cmp_eq_u32_e32 vcc, 0, v5
	v_and_b32_e32 v2, 0x80000000, v2
	s_nop 0
	v_cndmask_b32_e32 v5, v5, v6, vcc
	v_cndmask_b32_e32 v3, v4, v3, vcc
	v_mov_b32_e32 v4, 0x3b800000
	v_lshlrev_b32_e32 v3, 20, v3
	v_lshl_add_u32 v4, v5, 23, v4
	v_or3_b32 v2, v2, v4, v3
	v_cvt_i32_f32_e32 v2, v2
.LBB456_804:
	s_or_b64 exec, exec, s[36:37]
.LBB456_805:
	s_mov_b64 s[36:37], -1
.LBB456_806:
	s_mov_b64 s[38:39], 0
.LBB456_807:
	s_and_b64 vcc, exec, s[38:39]
	s_cbranch_vccz .LBB456_838
; %bb.808:
	s_cmp_gt_i32 s40, 22
	s_cbranch_scc0 .LBB456_816
; %bb.809:
	s_cmp_lt_i32 s40, 24
	s_cbranch_scc1 .LBB456_819
; %bb.810:
	s_cmp_gt_i32 s40, 24
	s_cbranch_scc0 .LBB456_820
; %bb.811:
	global_load_ubyte v3, v[0:1], off
	s_movk_i32 s34, 0x7f
	s_mov_b64 s[36:37], 0
	s_waitcnt vmcnt(0)
	v_cmp_lt_i16_e32 vcc, s34, v3
	s_and_saveexec_b64 s[34:35], vcc
	s_xor_b64 s[34:35], exec, s[34:35]
	s_cbranch_execz .LBB456_832
; %bb.812:
	s_movk_i32 s36, 0x80
	v_cmp_ne_u16_e32 vcc, s36, v3
	s_and_b64 s[36:37], vcc, exec
	s_andn2_saveexec_b64 s[34:35], s[34:35]
	s_cbranch_execnz .LBB456_833
.LBB456_813:
	s_or_b64 exec, exec, s[34:35]
	v_mov_b32_e32 v2, 0
	s_and_saveexec_b64 s[34:35], s[36:37]
	s_cbranch_execz .LBB456_815
.LBB456_814:
	v_lshlrev_b32_e32 v2, 24, v3
	v_and_b32_e32 v3, 0xffff, v3
	v_and_b32_e32 v4, 3, v3
	v_ffbh_u32_e32 v6, v4
	v_min_u32_e32 v6, 32, v6
	v_subrev_u32_e32 v7, 29, v6
	v_bfe_u32 v5, v3, 2, 5
	v_lshlrev_b32_e32 v3, v7, v3
	v_sub_u32_e32 v6, 30, v6
	v_and_b32_e32 v3, 3, v3
	v_cmp_eq_u32_e32 vcc, 0, v5
	v_and_b32_e32 v2, 0x80000000, v2
	s_nop 0
	v_cndmask_b32_e32 v5, v5, v6, vcc
	v_cndmask_b32_e32 v3, v4, v3, vcc
	v_mov_b32_e32 v4, 0x37800000
	v_lshlrev_b32_e32 v3, 21, v3
	v_lshl_add_u32 v4, v5, 23, v4
	v_or3_b32 v2, v2, v4, v3
	v_cvt_i32_f32_e32 v2, v2
.LBB456_815:
	s_or_b64 exec, exec, s[34:35]
	s_mov_b64 s[34:35], 0
	s_branch .LBB456_821
.LBB456_816:
	s_mov_b64 s[34:35], -1
                                        ; implicit-def: $vgpr2
	s_branch .LBB456_827
.LBB456_817:
	s_andn2_saveexec_b64 s[36:37], s[36:37]
	s_cbranch_execz .LBB456_802
.LBB456_818:
	v_cmp_ne_u16_e32 vcc, 0, v3
	s_andn2_b64 s[38:39], s[38:39], exec
	s_and_b64 s[44:45], vcc, exec
	s_or_b64 s[38:39], s[38:39], s[44:45]
	s_or_b64 exec, exec, s[36:37]
	v_mov_b32_e32 v2, 0
	s_and_saveexec_b64 s[36:37], s[38:39]
	s_cbranch_execnz .LBB456_803
	s_branch .LBB456_804
.LBB456_819:
	s_mov_b64 s[34:35], -1
                                        ; implicit-def: $vgpr2
	s_branch .LBB456_824
.LBB456_820:
	s_mov_b64 s[34:35], -1
                                        ; implicit-def: $vgpr2
.LBB456_821:
	s_and_b64 vcc, exec, s[34:35]
	s_cbranch_vccz .LBB456_823
; %bb.822:
	global_load_ubyte v2, v[0:1], off
	s_mov_b32 s34, 0x7f800000
	s_waitcnt vmcnt(0)
	v_lshlrev_b32_e32 v2, 24, v2
	v_and_b32_e32 v3, 0x7f000000, v2
	v_ffbh_u32_e32 v4, v3
	v_min_u32_e32 v4, 32, v4
	v_sub_u32_e64 v4, v4, 4 clamp
	v_lshlrev_b32_e32 v6, v4, v3
	v_lshlrev_b32_e32 v4, 23, v4
	v_lshrrev_b32_e32 v6, 4, v6
	v_add_u32_e32 v5, 0x1000000, v3
	v_sub_u32_e32 v4, v6, v4
	v_ashrrev_i32_e32 v5, 8, v5
	v_add_u32_e32 v4, 0x3c000000, v4
	v_and_or_b32 v4, v5, s34, v4
	v_cmp_ne_u32_e32 vcc, 0, v3
	s_brev_b32 s34, 1
	s_nop 0
	v_cndmask_b32_e32 v3, 0, v4, vcc
	v_and_or_b32 v2, v2, s34, v3
	v_cvt_i32_f32_e32 v2, v2
.LBB456_823:
	s_mov_b64 s[34:35], 0
.LBB456_824:
	s_andn2_b64 vcc, exec, s[34:35]
	s_cbranch_vccnz .LBB456_826
; %bb.825:
	global_load_ubyte v2, v[0:1], off
	s_movk_i32 s34, 0x7f00
	s_brev_b32 s35, 16
	s_waitcnt vmcnt(0)
	v_lshlrev_b16_e32 v3, 8, v2
	v_lshlrev_b32_e32 v2, 25, v2
	v_lshrrev_b32_e32 v4, 4, v2
	v_and_or_b32 v5, v3, s34, 0.5
	v_or_b32_e32 v4, 0x70000000, v4
	v_add_f32_e32 v5, -0.5, v5
	v_mul_f32_e32 v4, 0x7800000, v4
	v_cmp_gt_u32_e32 vcc, s35, v2
	v_bfe_i32 v3, v3, 0, 16
	s_brev_b32 s34, 1
	v_cndmask_b32_e32 v2, v4, v5, vcc
	v_and_or_b32 v2, v3, s34, v2
	v_cvt_i32_f32_e32 v2, v2
.LBB456_826:
	s_mov_b64 s[34:35], 0
	s_mov_b64 s[36:37], -1
.LBB456_827:
	s_andn2_b64 vcc, exec, s[34:35]
	s_mov_b64 s[34:35], 0
	s_cbranch_vccnz .LBB456_838
; %bb.828:
	s_cmp_gt_i32 s40, 14
	s_cbranch_scc0 .LBB456_831
; %bb.829:
	s_cmp_eq_u32 s40, 15
	s_cbranch_scc0 .LBB456_834
; %bb.830:
	global_load_ushort v2, v[0:1], off
	s_mov_b64 s[30:31], 0
	s_mov_b64 s[36:37], -1
	s_waitcnt vmcnt(0)
	v_lshlrev_b32_e32 v2, 16, v2
	v_cvt_i32_f32_e32 v2, v2
	s_branch .LBB456_835
.LBB456_831:
	s_mov_b64 s[38:39], -1
                                        ; implicit-def: $vgpr2
	s_branch .LBB456_836
.LBB456_832:
	s_andn2_saveexec_b64 s[34:35], s[34:35]
	s_cbranch_execz .LBB456_813
.LBB456_833:
	v_cmp_ne_u16_e32 vcc, 0, v3
	s_andn2_b64 s[36:37], s[36:37], exec
	s_and_b64 s[38:39], vcc, exec
	s_or_b64 s[36:37], s[36:37], s[38:39]
	s_or_b64 exec, exec, s[34:35]
	v_mov_b32_e32 v2, 0
	s_and_saveexec_b64 s[34:35], s[36:37]
	s_cbranch_execnz .LBB456_814
	s_branch .LBB456_815
.LBB456_834:
	s_mov_b64 s[30:31], -1
                                        ; implicit-def: $vgpr2
.LBB456_835:
	s_mov_b64 s[38:39], 0
.LBB456_836:
	s_and_b64 vcc, exec, s[38:39]
	s_cbranch_vccz .LBB456_838
; %bb.837:
	s_cmp_lg_u32 s40, 11
	s_cselect_b64 s[38:39], -1, 0
	s_andn2_b64 s[30:31], s[30:31], exec
	s_and_b64 s[38:39], s[38:39], exec
	s_mov_b64 s[34:35], -1
	s_or_b64 s[30:31], s[30:31], s[38:39]
.LBB456_838:
	s_mov_b64 s[38:39], 0
.LBB456_839:
	s_and_b64 s[40:41], s[38:39], exec
	s_andn2_b64 s[38:39], s[0:1], exec
	s_and_b64 s[30:31], s[30:31], exec
	s_and_b64 s[36:37], s[36:37], exec
	;; [unrolled: 1-line block ×3, first 2 shown]
	s_or_b64 s[38:39], s[38:39], s[30:31]
.LBB456_840:
	s_or_b64 exec, exec, s[26:27]
	s_and_b64 s[30:31], s[34:35], exec
	s_andn2_b64 s[0:1], s[0:1], exec
	s_and_b64 s[34:35], s[38:39], exec
	s_and_b64 s[36:37], s[36:37], exec
	s_and_b64 s[26:27], s[40:41], exec
	s_or_b64 s[0:1], s[0:1], s[34:35]
.LBB456_841:
	s_or_b64 exec, exec, s[24:25]
	s_andn2_b64 s[20:21], s[20:21], exec
	s_and_b64 s[24:25], s[28:29], exec
	s_andn2_b64 s[18:19], s[18:19], exec
	s_and_b64 s[0:1], s[0:1], exec
	s_or_b64 s[20:21], s[20:21], s[24:25]
	s_and_b64 s[28:29], s[36:37], exec
	s_and_b64 s[26:27], s[26:27], exec
	;; [unrolled: 1-line block ×3, first 2 shown]
	s_or_b64 s[18:19], s[18:19], s[0:1]
.LBB456_842:
	s_or_b64 exec, exec, s[22:23]
	s_andn2_b64 s[0:1], s[12:13], exec
	s_and_b64 s[12:13], s[20:21], exec
	s_andn2_b64 s[14:15], s[14:15], exec
	s_and_b64 s[18:19], s[18:19], exec
	s_or_b64 s[12:13], s[0:1], s[12:13]
	s_and_b64 s[0:1], s[28:29], exec
	s_and_b64 s[22:23], s[26:27], exec
	;; [unrolled: 1-line block ×3, first 2 shown]
	s_or_b64 s[14:15], s[14:15], s[18:19]
	s_or_b64 exec, exec, s[16:17]
	s_mov_b64 s[16:17], 0
	s_and_saveexec_b64 s[18:19], s[14:15]
	s_cbranch_execz .LBB456_258
.LBB456_843:
	s_mov_b64 s[16:17], exec
	s_andn2_b64 s[20:21], s[20:21], exec
	s_trap 2
	s_or_b64 exec, exec, s[18:19]
	s_and_saveexec_b64 s[14:15], s[20:21]
	s_xor_b64 s[14:15], exec, s[14:15]
	s_cbranch_execnz .LBB456_259
.LBB456_844:
	s_or_b64 exec, exec, s[14:15]
	s_and_saveexec_b64 s[14:15], s[22:23]
	s_cbranch_execz .LBB456_890
.LBB456_845:
	s_sext_i32_i16 s18, s43
	s_cmp_lt_i32 s18, 5
	s_cbranch_scc1 .LBB456_850
; %bb.846:
	s_cmp_lt_i32 s18, 8
	s_cbranch_scc1 .LBB456_851
; %bb.847:
	;; [unrolled: 3-line block ×3, first 2 shown]
	s_cmp_gt_i32 s18, 9
	s_cbranch_scc0 .LBB456_853
; %bb.849:
	global_load_dwordx2 v[2:3], v[0:1], off
	s_mov_b64 s[18:19], 0
	s_waitcnt vmcnt(0)
	v_cvt_i32_f64_e32 v2, v[2:3]
	s_branch .LBB456_854
.LBB456_850:
                                        ; implicit-def: $vgpr2
	s_branch .LBB456_871
.LBB456_851:
                                        ; implicit-def: $vgpr2
	s_branch .LBB456_860
.LBB456_852:
	s_mov_b64 s[18:19], -1
                                        ; implicit-def: $vgpr2
	s_branch .LBB456_857
.LBB456_853:
	s_mov_b64 s[18:19], -1
                                        ; implicit-def: $vgpr2
.LBB456_854:
	s_andn2_b64 vcc, exec, s[18:19]
	s_cbranch_vccnz .LBB456_856
; %bb.855:
	global_load_dword v2, v[0:1], off
	s_waitcnt vmcnt(0)
	v_cvt_i32_f32_e32 v2, v2
.LBB456_856:
	s_mov_b64 s[18:19], 0
.LBB456_857:
	s_andn2_b64 vcc, exec, s[18:19]
	s_cbranch_vccnz .LBB456_859
; %bb.858:
	global_load_dword v2, v[0:1], off
	s_waitcnt vmcnt(0)
	v_cvt_i16_f16_e32 v2, v2
.LBB456_859:
	s_cbranch_execnz .LBB456_870
.LBB456_860:
	s_sext_i32_i16 s18, s43
	s_cmp_lt_i32 s18, 6
	s_cbranch_scc1 .LBB456_863
; %bb.861:
	s_cmp_gt_i32 s18, 6
	s_cbranch_scc0 .LBB456_864
; %bb.862:
	global_load_dwordx2 v[2:3], v[0:1], off
	s_mov_b64 s[18:19], 0
	s_waitcnt vmcnt(0)
	v_cvt_i32_f64_e32 v2, v[2:3]
	s_branch .LBB456_865
.LBB456_863:
	s_mov_b64 s[18:19], -1
                                        ; implicit-def: $vgpr2
	s_branch .LBB456_868
.LBB456_864:
	s_mov_b64 s[18:19], -1
                                        ; implicit-def: $vgpr2
.LBB456_865:
	s_andn2_b64 vcc, exec, s[18:19]
	s_cbranch_vccnz .LBB456_867
; %bb.866:
	global_load_dword v2, v[0:1], off
	s_waitcnt vmcnt(0)
	v_cvt_i32_f32_e32 v2, v2
.LBB456_867:
	s_mov_b64 s[18:19], 0
.LBB456_868:
	s_andn2_b64 vcc, exec, s[18:19]
	s_cbranch_vccnz .LBB456_870
; %bb.869:
	global_load_ushort v2, v[0:1], off
	s_waitcnt vmcnt(0)
	v_cvt_i16_f16_e32 v2, v2
.LBB456_870:
	s_cbranch_execnz .LBB456_889
.LBB456_871:
	s_sext_i32_i16 s18, s43
	s_cmp_lt_i32 s18, 2
	s_cbranch_scc1 .LBB456_875
; %bb.872:
	s_cmp_lt_i32 s18, 3
	s_cbranch_scc1 .LBB456_876
; %bb.873:
	s_cmp_gt_i32 s18, 3
	s_cbranch_scc0 .LBB456_877
; %bb.874:
	global_load_dwordx2 v[2:3], v[0:1], off
	s_mov_b64 s[18:19], 0
	s_branch .LBB456_878
.LBB456_875:
                                        ; implicit-def: $vgpr2
	s_branch .LBB456_884
.LBB456_876:
	s_mov_b64 s[18:19], -1
                                        ; implicit-def: $vgpr2
	s_branch .LBB456_881
.LBB456_877:
	s_mov_b64 s[18:19], -1
                                        ; implicit-def: $vgpr2
.LBB456_878:
	s_andn2_b64 vcc, exec, s[18:19]
	s_cbranch_vccnz .LBB456_880
; %bb.879:
	global_load_dword v2, v[0:1], off
.LBB456_880:
	s_mov_b64 s[18:19], 0
.LBB456_881:
	s_andn2_b64 vcc, exec, s[18:19]
	s_cbranch_vccnz .LBB456_883
; %bb.882:
	global_load_ushort v2, v[0:1], off
.LBB456_883:
	s_cbranch_execnz .LBB456_889
.LBB456_884:
	s_sext_i32_i16 s18, s43
	s_cmp_gt_i32 s18, 0
	s_cbranch_scc0 .LBB456_886
; %bb.885:
	global_load_sbyte v2, v[0:1], off
	s_mov_b64 s[18:19], 0
	s_branch .LBB456_887
.LBB456_886:
	s_mov_b64 s[18:19], -1
                                        ; implicit-def: $vgpr2
.LBB456_887:
	s_andn2_b64 vcc, exec, s[18:19]
	s_cbranch_vccnz .LBB456_889
; %bb.888:
	global_load_ubyte v2, v[0:1], off
.LBB456_889:
	s_or_b64 s[0:1], s[0:1], exec
.LBB456_890:
	s_or_b64 exec, exec, s[14:15]
	s_mov_b64 s[20:21], 0
	s_mov_b64 s[18:19], 0
                                        ; implicit-def: $sgpr26
                                        ; implicit-def: $vgpr0_vgpr1
                                        ; implicit-def: $vgpr4
	s_and_saveexec_b64 s[14:15], s[0:1]
	s_cbranch_execz .LBB456_898
; %bb.891:
	v_mul_lo_u32 v0, v10, s8
	v_ashrrev_i32_e32 v1, 31, v0
	s_and_b32 s26, s42, 0xff
	s_waitcnt vmcnt(0)
	v_min_i16_e32 v4, s33, v2
	s_cmp_lt_i32 s26, 11
	v_lshl_add_u64 v[0:1], s[4:5], 0, v[0:1]
	s_cbranch_scc1 .LBB456_901
; %bb.892:
	s_and_b32 s27, 0xffff, s26
	s_mov_b64 s[20:21], -1
	s_cmp_gt_i32 s27, 25
	s_mov_b64 s[0:1], s[12:13]
	s_cbranch_scc0 .LBB456_929
; %bb.893:
	s_mov_b64 s[18:19], -1
	s_cmp_gt_i32 s27, 28
	s_mov_b64 s[0:1], s[12:13]
	s_cbranch_scc0 .LBB456_913
; %bb.894:
	s_cmp_gt_i32 s27, 43
	s_mov_b64 s[0:1], s[12:13]
	s_cbranch_scc0 .LBB456_909
; %bb.895:
	;; [unrolled: 4-line block ×3, first 2 shown]
	s_cmp_eq_u32 s27, 46
	s_mov_b64 s[0:1], -1
	s_cbranch_scc0 .LBB456_902
; %bb.897:
	v_cvt_f32_i32_sdwa v2, sext(v4) dst_sel:DWORD dst_unused:UNUSED_PAD src0_sel:WORD_0
	s_movk_i32 s0, 0x7fff
	s_mov_b64 s[18:19], 0
	v_bfe_u32 v3, v2, 16, 1
	v_add3_u32 v2, v2, v3, s0
	v_lshrrev_b32_e32 v2, 16, v2
	global_store_dword v[0:1], v2, off
	s_mov_b64 s[0:1], 0
	s_branch .LBB456_903
.LBB456_898:
	s_or_b64 exec, exec, s[14:15]
	s_and_saveexec_b64 s[0:1], s[12:13]
	s_cbranch_execnz .LBB456_971
.LBB456_899:
	s_or_b64 exec, exec, s[0:1]
	s_and_saveexec_b64 s[0:1], s[20:21]
	s_xor_b64 s[0:1], exec, s[0:1]
	s_cbranch_execz .LBB456_972
.LBB456_900:
	v_cmp_ne_u16_e32 vcc, 0, v4
	s_waitcnt vmcnt(0)
	s_nop 0
	v_cndmask_b32_e64 v2, 0, 1, vcc
	global_store_byte v[0:1], v2, off
	s_or_b64 exec, exec, s[0:1]
	s_and_saveexec_b64 s[0:1], s[18:19]
	s_xor_b64 s[0:1], exec, s[0:1]
	s_cbranch_execz .LBB456_1010
	s_branch .LBB456_973
.LBB456_901:
	s_mov_b64 s[18:19], -1
	s_mov_b64 s[0:1], s[12:13]
	s_branch .LBB456_970
.LBB456_902:
	s_mov_b64 s[18:19], 0
.LBB456_903:
	s_and_b64 vcc, exec, s[18:19]
	s_cbranch_vccz .LBB456_908
; %bb.904:
	s_cmp_eq_u32 s27, 44
	s_mov_b64 s[0:1], -1
	s_cbranch_scc0 .LBB456_908
; %bb.905:
	v_cvt_f32_i32_sdwa v2, sext(v4) dst_sel:DWORD dst_unused:UNUSED_PAD src0_sel:WORD_0
	s_movk_i32 s0, 0xff
	v_mov_b32_e32 v5, 0xff
	v_bfe_u32 v3, v2, 23, 8
	v_cmp_ne_u32_e32 vcc, s0, v3
	s_and_saveexec_b64 s[18:19], vcc
; %bb.906:
	s_mov_b32 s0, 0x3fffff
	v_lshrrev_b32_e32 v5, 23, v2
	v_and_b32_e32 v6, 0x400000, v2
	v_and_or_b32 v2, v2, s0, v3
	v_cmp_ne_u32_e32 vcc, 0, v6
	v_cmp_ne_u32_e64 s[0:1], 0, v2
	s_and_b64 s[0:1], vcc, s[0:1]
	s_nop 0
	v_cndmask_b32_e64 v2, 0, 1, s[0:1]
	v_add_u32_e32 v5, v5, v2
; %bb.907:
	s_or_b64 exec, exec, s[18:19]
	s_mov_b64 s[0:1], 0
	global_store_byte v[0:1], v5, off
.LBB456_908:
	s_mov_b64 s[18:19], 0
.LBB456_909:
	s_and_b64 vcc, exec, s[18:19]
	s_cbranch_vccz .LBB456_912
; %bb.910:
	s_cmp_eq_u32 s27, 29
	s_mov_b64 s[0:1], -1
	s_cbranch_scc0 .LBB456_912
; %bb.911:
	v_bfe_i32 v2, v4, 0, 16
	v_ashrrev_i32_e32 v3, 31, v2
	global_store_dwordx2 v[0:1], v[2:3], off
	s_mov_b64 s[0:1], 0
.LBB456_912:
	s_mov_b64 s[18:19], 0
.LBB456_913:
	s_and_b64 vcc, exec, s[18:19]
	s_cbranch_vccz .LBB456_928
; %bb.914:
	s_cmp_lt_i32 s27, 27
	s_mov_b64 s[18:19], -1
	s_cbranch_scc1 .LBB456_920
; %bb.915:
	s_cmp_gt_i32 s27, 27
	s_cbranch_scc0 .LBB456_917
; %bb.916:
	v_bfe_i32 v2, v4, 0, 16
	s_mov_b64 s[18:19], 0
	global_store_dword v[0:1], v2, off
.LBB456_917:
	s_andn2_b64 vcc, exec, s[18:19]
	s_cbranch_vccnz .LBB456_919
; %bb.918:
	global_store_short v[0:1], v4, off
.LBB456_919:
	s_mov_b64 s[18:19], 0
.LBB456_920:
	s_andn2_b64 vcc, exec, s[18:19]
	s_cbranch_vccnz .LBB456_928
; %bb.921:
	v_cvt_f32_i32_sdwa v2, sext(v4) dst_sel:DWORD dst_unused:UNUSED_PAD src0_sel:WORD_0
	s_mov_b32 s18, 0x43800000
	v_mov_b32_e32 v5, 0x80
	v_and_b32_e32 v3, 0x7fffffff, v2
	v_cmp_gt_u32_e32 vcc, s18, v3
	s_and_saveexec_b64 s[18:19], vcc
	s_cbranch_execz .LBB456_927
; %bb.922:
	s_mov_b32 s20, 0x3bffffff
	v_cmp_lt_u32_e32 vcc, s20, v3
	s_mov_b64 s[20:21], 0
                                        ; implicit-def: $vgpr3
	s_and_saveexec_b64 s[22:23], vcc
	s_xor_b64 s[22:23], exec, s[22:23]
	s_cbranch_execz .LBB456_1025
; %bb.923:
	v_bfe_u32 v3, v2, 20, 1
	s_mov_b32 s24, 0x487ffff
	v_add3_u32 v3, v2, v3, s24
	s_mov_b64 s[20:21], exec
	v_lshrrev_b32_e32 v3, 20, v3
	s_andn2_saveexec_b64 s[22:23], s[22:23]
	s_cbranch_execnz .LBB456_1026
.LBB456_924:
	s_or_b64 exec, exec, s[22:23]
	v_mov_b32_e32 v5, 0
	s_and_saveexec_b64 s[22:23], s[20:21]
.LBB456_925:
	v_lshrrev_b32_e32 v2, 24, v2
	s_movk_i32 s20, 0x80
	v_and_or_b32 v5, v2, s20, v3
.LBB456_926:
	s_or_b64 exec, exec, s[22:23]
.LBB456_927:
	s_or_b64 exec, exec, s[18:19]
	global_store_byte v[0:1], v5, off
.LBB456_928:
	s_mov_b64 s[20:21], 0
.LBB456_929:
	s_mov_b64 s[18:19], 0
	s_and_b64 vcc, exec, s[20:21]
	s_cbranch_vccz .LBB456_969
; %bb.930:
	s_cmp_gt_i32 s27, 22
	s_mov_b64 s[20:21], -1
	s_cbranch_scc0 .LBB456_962
; %bb.931:
	s_cmp_lt_i32 s27, 24
	s_cbranch_scc1 .LBB456_951
; %bb.932:
	s_cmp_gt_i32 s27, 24
	s_cbranch_scc0 .LBB456_940
; %bb.933:
	v_cvt_f32_i32_sdwa v2, sext(v4) dst_sel:DWORD dst_unused:UNUSED_PAD src0_sel:WORD_0
	s_mov_b32 s20, 0x47800000
	v_mov_b32_e32 v5, 0x80
	v_and_b32_e32 v3, 0x7fffffff, v2
	v_cmp_gt_u32_e32 vcc, s20, v3
	s_and_saveexec_b64 s[20:21], vcc
	s_cbranch_execz .LBB456_939
; %bb.934:
	s_mov_b32 s22, 0x37ffffff
	v_cmp_lt_u32_e32 vcc, s22, v3
	s_mov_b64 s[22:23], 0
                                        ; implicit-def: $vgpr3
	s_and_saveexec_b64 s[24:25], vcc
	s_xor_b64 s[24:25], exec, s[24:25]
	s_cbranch_execz .LBB456_1145
; %bb.935:
	v_bfe_u32 v3, v2, 21, 1
	s_mov_b32 s28, 0x88fffff
	v_add3_u32 v3, v2, v3, s28
	s_mov_b64 s[22:23], exec
	v_lshrrev_b32_e32 v3, 21, v3
	s_andn2_saveexec_b64 s[24:25], s[24:25]
	s_cbranch_execnz .LBB456_1146
.LBB456_936:
	s_or_b64 exec, exec, s[24:25]
	v_mov_b32_e32 v5, 0
	s_and_saveexec_b64 s[24:25], s[22:23]
.LBB456_937:
	v_lshrrev_b32_e32 v2, 24, v2
	s_movk_i32 s22, 0x80
	v_and_or_b32 v5, v2, s22, v3
.LBB456_938:
	s_or_b64 exec, exec, s[24:25]
.LBB456_939:
	s_or_b64 exec, exec, s[20:21]
	s_mov_b64 s[20:21], 0
	global_store_byte v[0:1], v5, off
.LBB456_940:
	s_and_b64 vcc, exec, s[20:21]
	s_cbranch_vccz .LBB456_950
; %bb.941:
	v_cvt_f32_i32_sdwa v2, sext(v4) dst_sel:DWORD dst_unused:UNUSED_PAD src0_sel:WORD_0
	s_mov_b32 s20, 0x43f00000
                                        ; implicit-def: $vgpr3
	v_and_b32_e32 v5, 0x7fffffff, v2
	v_cmp_gt_u32_e32 vcc, s20, v5
	s_and_saveexec_b64 s[20:21], vcc
	s_xor_b64 s[20:21], exec, s[20:21]
	s_cbranch_execz .LBB456_947
; %bb.942:
	s_mov_b32 s22, 0x3c7fffff
	v_cmp_lt_u32_e32 vcc, s22, v5
                                        ; implicit-def: $vgpr3
	s_and_saveexec_b64 s[22:23], vcc
	s_xor_b64 s[22:23], exec, s[22:23]
; %bb.943:
	v_bfe_u32 v3, v2, 20, 1
	s_mov_b32 s24, 0x407ffff
	v_add3_u32 v3, v2, v3, s24
	v_lshrrev_b32_e32 v5, 20, v3
	v_and_b32_e32 v3, 0xff00000, v3
	s_mov_b32 s24, 0x7f00000
	v_mov_b32_e32 v6, 0x7e
	v_cmp_ne_u32_e32 vcc, s24, v3
	s_nop 1
	v_cndmask_b32_e32 v3, v6, v5, vcc
; %bb.944:
	s_andn2_saveexec_b64 s[22:23], s[22:23]
; %bb.945:
	s_mov_b32 s24, 0x46800000
	v_add_f32_e64 v3, |v2|, s24
; %bb.946:
	s_or_b64 exec, exec, s[22:23]
                                        ; implicit-def: $vgpr5
.LBB456_947:
	s_andn2_saveexec_b64 s[20:21], s[20:21]
; %bb.948:
	s_mov_b32 s22, 0x7f800000
	v_mov_b32_e32 v3, 0x7e
	v_mov_b32_e32 v6, 0x7f
	v_cmp_lt_u32_e32 vcc, s22, v5
	s_nop 1
	v_cndmask_b32_e32 v3, v3, v6, vcc
; %bb.949:
	s_or_b64 exec, exec, s[20:21]
	v_lshrrev_b32_e32 v2, 24, v2
	s_movk_i32 s20, 0x80
	v_and_or_b32 v2, v2, s20, v3
	global_store_byte v[0:1], v2, off
.LBB456_950:
	s_mov_b64 s[20:21], 0
.LBB456_951:
	s_andn2_b64 vcc, exec, s[20:21]
	s_cbranch_vccnz .LBB456_961
; %bb.952:
	v_cvt_f32_i32_sdwa v2, sext(v4) dst_sel:DWORD dst_unused:UNUSED_PAD src0_sel:WORD_0
	s_mov_b32 s20, 0x47800000
                                        ; implicit-def: $vgpr3
	v_and_b32_e32 v5, 0x7fffffff, v2
	v_cmp_gt_u32_e32 vcc, s20, v5
	s_and_saveexec_b64 s[20:21], vcc
	s_xor_b64 s[20:21], exec, s[20:21]
	s_cbranch_execz .LBB456_958
; %bb.953:
	s_mov_b32 s22, 0x387fffff
	v_cmp_lt_u32_e32 vcc, s22, v5
                                        ; implicit-def: $vgpr3
	s_and_saveexec_b64 s[22:23], vcc
	s_xor_b64 s[22:23], exec, s[22:23]
; %bb.954:
	v_bfe_u32 v3, v2, 21, 1
	s_mov_b32 s24, 0x80fffff
	v_add3_u32 v3, v2, v3, s24
	v_lshrrev_b32_e32 v3, 21, v3
; %bb.955:
	s_andn2_saveexec_b64 s[22:23], s[22:23]
; %bb.956:
	s_mov_b32 s24, 0x43000000
	v_add_f32_e64 v3, |v2|, s24
; %bb.957:
	s_or_b64 exec, exec, s[22:23]
                                        ; implicit-def: $vgpr5
.LBB456_958:
	s_andn2_saveexec_b64 s[20:21], s[20:21]
; %bb.959:
	s_mov_b32 s22, 0x7f800000
	v_mov_b32_e32 v3, 0x7c
	v_mov_b32_e32 v6, 0x7f
	v_cmp_lt_u32_e32 vcc, s22, v5
	s_nop 1
	v_cndmask_b32_e32 v3, v3, v6, vcc
; %bb.960:
	s_or_b64 exec, exec, s[20:21]
	v_lshrrev_b32_e32 v2, 24, v2
	s_movk_i32 s20, 0x80
	v_and_or_b32 v2, v2, s20, v3
	global_store_byte v[0:1], v2, off
.LBB456_961:
	s_mov_b64 s[20:21], 0
.LBB456_962:
	s_andn2_b64 vcc, exec, s[20:21]
	s_mov_b64 s[20:21], 0
	s_cbranch_vccnz .LBB456_970
; %bb.963:
	s_cmp_gt_i32 s27, 14
	s_mov_b64 s[22:23], -1
	s_cbranch_scc0 .LBB456_967
; %bb.964:
	s_cmp_eq_u32 s27, 15
	s_mov_b64 s[0:1], -1
	s_cbranch_scc0 .LBB456_966
; %bb.965:
	v_cvt_f32_i32_sdwa v2, sext(v4) dst_sel:DWORD dst_unused:UNUSED_PAD src0_sel:WORD_0
	s_movk_i32 s0, 0x7fff
	v_bfe_u32 v3, v2, 16, 1
	v_add3_u32 v2, v2, v3, s0
	global_store_short_d16_hi v[0:1], v2, off
	s_mov_b64 s[0:1], 0
.LBB456_966:
	s_mov_b64 s[22:23], 0
.LBB456_967:
	s_and_b64 vcc, exec, s[22:23]
	s_cbranch_vccz .LBB456_970
; %bb.968:
	s_cmp_lg_u32 s27, 11
	s_cselect_b64 s[22:23], -1, 0
	s_andn2_b64 s[0:1], s[0:1], exec
	s_and_b64 s[22:23], s[22:23], exec
	s_mov_b64 s[20:21], -1
	s_or_b64 s[0:1], s[0:1], s[22:23]
	s_branch .LBB456_970
.LBB456_969:
	s_mov_b64 s[20:21], 0
.LBB456_970:
	s_andn2_b64 s[12:13], s[12:13], exec
	s_and_b64 s[0:1], s[0:1], exec
	s_and_b64 s[18:19], s[18:19], exec
	s_and_b64 s[20:21], s[20:21], exec
	s_or_b64 s[12:13], s[12:13], s[0:1]
	s_or_b64 exec, exec, s[14:15]
	s_and_saveexec_b64 s[0:1], s[12:13]
	s_cbranch_execz .LBB456_899
.LBB456_971:
	s_or_b64 s[16:17], s[16:17], exec
	s_andn2_b64 s[20:21], s[20:21], exec
	s_trap 2
	s_or_b64 exec, exec, s[0:1]
	s_and_saveexec_b64 s[0:1], s[20:21]
	s_xor_b64 s[0:1], exec, s[0:1]
	s_cbranch_execnz .LBB456_900
.LBB456_972:
	s_or_b64 exec, exec, s[0:1]
	s_and_saveexec_b64 s[0:1], s[18:19]
	s_xor_b64 s[0:1], exec, s[0:1]
	s_cbranch_execz .LBB456_1010
.LBB456_973:
	s_sext_i32_i16 s14, s26
	s_cmp_lt_i32 s14, 5
	s_mov_b64 s[12:13], -1
	s_cbranch_scc1 .LBB456_994
; %bb.974:
	s_cmp_lt_i32 s14, 8
	s_cbranch_scc1 .LBB456_984
; %bb.975:
	s_cmp_lt_i32 s14, 9
	s_cbranch_scc1 .LBB456_981
; %bb.976:
	s_cmp_gt_i32 s14, 9
	s_cbranch_scc0 .LBB456_978
; %bb.977:
	s_waitcnt vmcnt(0)
	v_bfe_i32 v2, v4, 0, 16
	v_mov_b32_e32 v8, 0
	v_cvt_f64_i32_e32 v[6:7], v2
	v_mov_b32_e32 v9, v8
	s_mov_b64 s[12:13], 0
	global_store_dwordx4 v[0:1], v[6:9], off
.LBB456_978:
	s_andn2_b64 vcc, exec, s[12:13]
	s_cbranch_vccnz .LBB456_980
; %bb.979:
	s_waitcnt vmcnt(0)
	v_cvt_f32_i32_sdwa v2, sext(v4) dst_sel:DWORD dst_unused:UNUSED_PAD src0_sel:WORD_0
	v_mov_b32_e32 v3, 0
	global_store_dwordx2 v[0:1], v[2:3], off
.LBB456_980:
	s_mov_b64 s[12:13], 0
.LBB456_981:
	s_andn2_b64 vcc, exec, s[12:13]
	s_cbranch_vccnz .LBB456_983
; %bb.982:
	s_waitcnt vmcnt(0)
	v_cvt_f16_i16_e32 v2, v4
	global_store_dword v[0:1], v2, off
.LBB456_983:
	s_mov_b64 s[12:13], 0
.LBB456_984:
	s_andn2_b64 vcc, exec, s[12:13]
	s_cbranch_vccnz .LBB456_993
; %bb.985:
	s_sext_i32_i16 s14, s26
	s_cmp_lt_i32 s14, 6
	s_mov_b64 s[12:13], -1
	s_cbranch_scc1 .LBB456_991
; %bb.986:
	s_cmp_gt_i32 s14, 6
	s_cbranch_scc0 .LBB456_988
; %bb.987:
	s_waitcnt vmcnt(0)
	v_bfe_i32 v2, v4, 0, 16
	v_cvt_f64_i32_e32 v[2:3], v2
	s_mov_b64 s[12:13], 0
	global_store_dwordx2 v[0:1], v[2:3], off
.LBB456_988:
	s_andn2_b64 vcc, exec, s[12:13]
	s_cbranch_vccnz .LBB456_990
; %bb.989:
	s_waitcnt vmcnt(0)
	v_cvt_f32_i32_sdwa v2, sext(v4) dst_sel:DWORD dst_unused:UNUSED_PAD src0_sel:WORD_0
	global_store_dword v[0:1], v2, off
.LBB456_990:
	s_mov_b64 s[12:13], 0
.LBB456_991:
	s_andn2_b64 vcc, exec, s[12:13]
	s_cbranch_vccnz .LBB456_993
; %bb.992:
	s_waitcnt vmcnt(0)
	v_cvt_f16_i16_e32 v2, v4
	global_store_short v[0:1], v2, off
.LBB456_993:
	s_mov_b64 s[12:13], 0
.LBB456_994:
	s_andn2_b64 vcc, exec, s[12:13]
	s_cbranch_vccnz .LBB456_1010
; %bb.995:
	s_sext_i32_i16 s14, s26
	s_cmp_lt_i32 s14, 2
	s_mov_b64 s[12:13], -1
	s_cbranch_scc1 .LBB456_1005
; %bb.996:
	s_cmp_lt_i32 s14, 3
	s_cbranch_scc1 .LBB456_1002
; %bb.997:
	s_cmp_gt_i32 s14, 3
	s_waitcnt vmcnt(0)
	v_bfe_i32 v2, v4, 0, 16
	s_cbranch_scc0 .LBB456_999
; %bb.998:
	v_ashrrev_i32_e32 v3, 31, v2
	s_mov_b64 s[12:13], 0
	global_store_dwordx2 v[0:1], v[2:3], off
.LBB456_999:
	s_andn2_b64 vcc, exec, s[12:13]
	s_cbranch_vccnz .LBB456_1001
; %bb.1000:
	global_store_dword v[0:1], v2, off
.LBB456_1001:
	s_mov_b64 s[12:13], 0
.LBB456_1002:
	s_andn2_b64 vcc, exec, s[12:13]
	s_cbranch_vccnz .LBB456_1004
; %bb.1003:
	global_store_short v[0:1], v4, off
.LBB456_1004:
	s_mov_b64 s[12:13], 0
.LBB456_1005:
	s_andn2_b64 vcc, exec, s[12:13]
	s_cbranch_vccnz .LBB456_1010
; %bb.1006:
	s_sext_i32_i16 s12, s26
	s_cmp_gt_i32 s12, 0
	s_mov_b64 s[12:13], -1
	s_cbranch_scc0 .LBB456_1008
; %bb.1007:
	s_mov_b64 s[12:13], 0
	global_store_byte v[0:1], v4, off
.LBB456_1008:
	s_andn2_b64 vcc, exec, s[12:13]
	s_cbranch_vccnz .LBB456_1010
; %bb.1009:
	global_store_byte v[0:1], v4, off
.LBB456_1010:
	s_or_b64 exec, exec, s[0:1]
	s_and_b64 s[12:13], s[16:17], exec
                                        ; implicit-def: $vgpr10
.LBB456_1011:
	s_or_saveexec_b64 s[10:11], s[10:11]
	s_mov_b64 s[0:1], 0
                                        ; implicit-def: $sgpr20
                                        ; implicit-def: $vgpr0_vgpr1
                                        ; implicit-def: $vgpr4
	s_xor_b64 exec, exec, s[10:11]
	s_cbranch_execz .LBB456_1942
; %bb.1012:
	v_mul_lo_u32 v0, s9, v10
	v_ashrrev_i32_e32 v1, 31, v0
	s_and_b32 s20, 0xffff, s43
	s_cmp_lt_i32 s20, 11
	s_waitcnt vmcnt(0)
	v_lshl_add_u64 v[2:3], s[6:7], 0, v[0:1]
	s_cbranch_scc1 .LBB456_1019
; %bb.1013:
	s_cmp_gt_i32 s20, 25
	s_cbranch_scc0 .LBB456_1021
; %bb.1014:
	s_cmp_gt_i32 s20, 28
	s_cbranch_scc0 .LBB456_1022
; %bb.1015:
	s_cmp_gt_i32 s20, 43
	s_cbranch_scc0 .LBB456_1023
; %bb.1016:
	s_cmp_gt_i32 s20, 45
	s_cbranch_scc0 .LBB456_1024
; %bb.1017:
	s_cmp_eq_u32 s20, 46
	s_mov_b64 s[14:15], 0
	s_cbranch_scc0 .LBB456_1027
; %bb.1018:
	global_load_dword v1, v[2:3], off
	s_mov_b64 s[16:17], -1
	s_waitcnt vmcnt(0)
	v_lshlrev_b32_e32 v1, 16, v1
	v_cvt_i32_f32_e32 v6, v1
	s_branch .LBB456_1028
.LBB456_1019:
	s_mov_b64 s[16:17], 0
                                        ; implicit-def: $vgpr6
	s_mov_b64 s[14:15], s[12:13]
	s_cbranch_execnz .LBB456_1086
.LBB456_1020:
	s_andn2_b64 vcc, exec, s[16:17]
	s_cbranch_vccz .LBB456_1131
	s_branch .LBB456_1940
.LBB456_1021:
	s_mov_b64 s[16:17], 0
                                        ; implicit-def: $vgpr6
	s_cbranch_execnz .LBB456_1053
	s_branch .LBB456_1082
.LBB456_1022:
	s_mov_b64 s[16:17], 0
                                        ; implicit-def: $vgpr6
	s_cbranch_execz .LBB456_1052
	s_branch .LBB456_1037
.LBB456_1023:
	s_mov_b64 s[16:17], 0
                                        ; implicit-def: $vgpr6
	s_cbranch_execnz .LBB456_1033
	s_branch .LBB456_1036
.LBB456_1024:
	s_mov_b64 s[14:15], -1
	s_mov_b64 s[16:17], 0
                                        ; implicit-def: $vgpr6
	s_branch .LBB456_1028
.LBB456_1025:
	s_andn2_saveexec_b64 s[22:23], s[22:23]
	s_cbranch_execz .LBB456_924
.LBB456_1026:
	s_mov_b32 s24, 0x46000000
	v_add_f32_e64 v3, |v2|, s24
	v_and_b32_e32 v3, 0xff, v3
	v_cmp_ne_u32_e32 vcc, 0, v3
	s_andn2_b64 s[20:21], s[20:21], exec
	s_and_b64 s[24:25], vcc, exec
	s_or_b64 s[20:21], s[20:21], s[24:25]
	s_or_b64 exec, exec, s[22:23]
	v_mov_b32_e32 v5, 0
	s_and_saveexec_b64 s[22:23], s[20:21]
	s_cbranch_execnz .LBB456_925
	s_branch .LBB456_926
.LBB456_1027:
	s_mov_b64 s[0:1], -1
                                        ; implicit-def: $vgpr6
	s_mov_b64 s[16:17], 0
.LBB456_1028:
	s_and_b64 vcc, exec, s[14:15]
	s_cbranch_vccz .LBB456_1031
; %bb.1029:
	s_cmp_eq_u32 s20, 44
	s_cbranch_scc0 .LBB456_1032
; %bb.1030:
	global_load_ubyte v1, v[2:3], off
	s_mov_b64 s[0:1], 0
	s_mov_b64 s[16:17], -1
	s_waitcnt vmcnt(0)
	v_lshlrev_b32_e32 v4, 23, v1
	v_cvt_i32_f32_e32 v4, v4
	v_cmp_ne_u32_e32 vcc, 0, v1
	s_nop 1
	v_cndmask_b32_e32 v6, 0, v4, vcc
.LBB456_1031:
	s_branch .LBB456_1036
.LBB456_1032:
	s_mov_b64 s[0:1], -1
                                        ; implicit-def: $vgpr6
	s_branch .LBB456_1036
.LBB456_1033:
	s_cmp_eq_u32 s20, 29
	s_cbranch_scc0 .LBB456_1035
; %bb.1034:
	global_load_dwordx2 v[6:7], v[2:3], off
	s_mov_b64 s[0:1], 0
	s_mov_b64 s[16:17], -1
	s_branch .LBB456_1036
.LBB456_1035:
	s_mov_b64 s[0:1], -1
                                        ; implicit-def: $vgpr6
.LBB456_1036:
	s_branch .LBB456_1052
.LBB456_1037:
	s_cmp_lt_i32 s20, 27
	s_cbranch_scc1 .LBB456_1040
; %bb.1038:
	s_cmp_gt_i32 s20, 27
	s_cbranch_scc0 .LBB456_1041
; %bb.1039:
	global_load_dword v6, v[2:3], off
	s_mov_b64 s[14:15], 0
	s_branch .LBB456_1042
.LBB456_1040:
	s_mov_b64 s[14:15], -1
                                        ; implicit-def: $vgpr6
	s_branch .LBB456_1045
.LBB456_1041:
	s_mov_b64 s[14:15], -1
                                        ; implicit-def: $vgpr6
.LBB456_1042:
	s_andn2_b64 vcc, exec, s[14:15]
	s_cbranch_vccnz .LBB456_1044
; %bb.1043:
	global_load_ushort v6, v[2:3], off
.LBB456_1044:
	s_mov_b64 s[14:15], 0
.LBB456_1045:
	s_andn2_b64 vcc, exec, s[14:15]
	s_cbranch_vccnz .LBB456_1051
; %bb.1046:
	global_load_ubyte v1, v[2:3], off
	s_movk_i32 s14, 0x7f
	s_mov_b64 s[16:17], 0
	s_waitcnt vmcnt(0)
	v_cmp_lt_i16_e32 vcc, s14, v1
	s_and_saveexec_b64 s[14:15], vcc
	s_xor_b64 s[14:15], exec, s[14:15]
	s_cbranch_execz .LBB456_1062
; %bb.1047:
	s_movk_i32 s16, 0x80
	v_cmp_ne_u16_e32 vcc, s16, v1
	s_and_b64 s[16:17], vcc, exec
	s_andn2_saveexec_b64 s[14:15], s[14:15]
	s_cbranch_execnz .LBB456_1063
.LBB456_1048:
	s_or_b64 exec, exec, s[14:15]
	v_mov_b32_e32 v6, 0
	s_and_saveexec_b64 s[14:15], s[16:17]
	s_cbranch_execz .LBB456_1050
.LBB456_1049:
	v_lshlrev_b32_e32 v4, 24, v1
	v_and_b32_e32 v1, 0xffff, v1
	v_and_b32_e32 v5, 7, v1
	v_ffbh_u32_e32 v7, v5
	v_min_u32_e32 v7, 32, v7
	v_subrev_u32_e32 v8, 28, v7
	v_bfe_u32 v6, v1, 3, 4
	v_lshlrev_b32_e32 v1, v8, v1
	v_sub_u32_e32 v7, 29, v7
	v_and_b32_e32 v1, 7, v1
	v_cmp_eq_u32_e32 vcc, 0, v6
	v_and_b32_e32 v4, 0x80000000, v4
	s_nop 0
	v_cndmask_b32_e32 v6, v6, v7, vcc
	v_cndmask_b32_e32 v1, v5, v1, vcc
	v_mov_b32_e32 v5, 0x3b800000
	v_lshlrev_b32_e32 v1, 20, v1
	v_lshl_add_u32 v5, v6, 23, v5
	v_or3_b32 v1, v4, v5, v1
	v_cvt_i32_f32_e32 v6, v1
.LBB456_1050:
	s_or_b64 exec, exec, s[14:15]
.LBB456_1051:
	s_mov_b64 s[16:17], -1
.LBB456_1052:
	s_branch .LBB456_1082
.LBB456_1053:
	s_cmp_gt_i32 s20, 22
	s_cbranch_scc0 .LBB456_1061
; %bb.1054:
	s_cmp_lt_i32 s20, 24
	s_cbranch_scc1 .LBB456_1064
; %bb.1055:
	s_cmp_gt_i32 s20, 24
	s_cbranch_scc0 .LBB456_1065
; %bb.1056:
	global_load_ubyte v1, v[2:3], off
	s_movk_i32 s2, 0x7f
	s_mov_b64 s[14:15], 0
	s_waitcnt vmcnt(0)
	v_cmp_lt_i16_e32 vcc, s2, v1
	s_and_saveexec_b64 s[2:3], vcc
	s_xor_b64 s[2:3], exec, s[2:3]
	s_cbranch_execz .LBB456_1076
; %bb.1057:
	s_movk_i32 s14, 0x80
	v_cmp_ne_u16_e32 vcc, s14, v1
	s_and_b64 s[14:15], vcc, exec
	s_andn2_saveexec_b64 s[2:3], s[2:3]
	s_cbranch_execnz .LBB456_1077
.LBB456_1058:
	s_or_b64 exec, exec, s[2:3]
	v_mov_b32_e32 v6, 0
	s_and_saveexec_b64 s[2:3], s[14:15]
	s_cbranch_execz .LBB456_1060
.LBB456_1059:
	v_lshlrev_b32_e32 v4, 24, v1
	v_and_b32_e32 v1, 0xffff, v1
	v_and_b32_e32 v5, 3, v1
	v_ffbh_u32_e32 v7, v5
	v_min_u32_e32 v7, 32, v7
	v_subrev_u32_e32 v8, 29, v7
	v_bfe_u32 v6, v1, 2, 5
	v_lshlrev_b32_e32 v1, v8, v1
	v_sub_u32_e32 v7, 30, v7
	v_and_b32_e32 v1, 3, v1
	v_cmp_eq_u32_e32 vcc, 0, v6
	v_and_b32_e32 v4, 0x80000000, v4
	s_nop 0
	v_cndmask_b32_e32 v6, v6, v7, vcc
	v_cndmask_b32_e32 v1, v5, v1, vcc
	v_mov_b32_e32 v5, 0x37800000
	v_lshlrev_b32_e32 v1, 21, v1
	v_lshl_add_u32 v5, v6, 23, v5
	v_or3_b32 v1, v4, v5, v1
	v_cvt_i32_f32_e32 v6, v1
.LBB456_1060:
	s_or_b64 exec, exec, s[2:3]
	s_mov_b64 s[2:3], 0
	s_branch .LBB456_1066
.LBB456_1061:
                                        ; implicit-def: $vgpr6
	s_mov_b64 s[2:3], 0
	s_branch .LBB456_1072
.LBB456_1062:
	s_andn2_saveexec_b64 s[14:15], s[14:15]
	s_cbranch_execz .LBB456_1048
.LBB456_1063:
	v_cmp_ne_u16_e32 vcc, 0, v1
	s_andn2_b64 s[16:17], s[16:17], exec
	s_and_b64 s[18:19], vcc, exec
	s_or_b64 s[16:17], s[16:17], s[18:19]
	s_or_b64 exec, exec, s[14:15]
	v_mov_b32_e32 v6, 0
	s_and_saveexec_b64 s[14:15], s[16:17]
	s_cbranch_execnz .LBB456_1049
	s_branch .LBB456_1050
.LBB456_1064:
	s_mov_b64 s[2:3], -1
                                        ; implicit-def: $vgpr6
	s_branch .LBB456_1069
.LBB456_1065:
	s_mov_b64 s[2:3], -1
                                        ; implicit-def: $vgpr6
.LBB456_1066:
	s_and_b64 vcc, exec, s[2:3]
	s_cbranch_vccz .LBB456_1068
; %bb.1067:
	global_load_ubyte v1, v[2:3], off
	s_mov_b32 s2, 0x7f800000
	s_waitcnt vmcnt(0)
	v_lshlrev_b32_e32 v1, 24, v1
	v_and_b32_e32 v4, 0x7f000000, v1
	v_ffbh_u32_e32 v5, v4
	v_min_u32_e32 v5, 32, v5
	v_sub_u32_e64 v5, v5, 4 clamp
	v_lshlrev_b32_e32 v7, v5, v4
	v_lshlrev_b32_e32 v5, 23, v5
	v_lshrrev_b32_e32 v7, 4, v7
	v_add_u32_e32 v6, 0x1000000, v4
	v_sub_u32_e32 v5, v7, v5
	v_ashrrev_i32_e32 v6, 8, v6
	v_add_u32_e32 v5, 0x3c000000, v5
	v_and_or_b32 v5, v6, s2, v5
	v_cmp_ne_u32_e32 vcc, 0, v4
	s_brev_b32 s2, 1
	s_nop 0
	v_cndmask_b32_e32 v4, 0, v5, vcc
	v_and_or_b32 v1, v1, s2, v4
	v_cvt_i32_f32_e32 v6, v1
.LBB456_1068:
	s_mov_b64 s[2:3], 0
.LBB456_1069:
	s_andn2_b64 vcc, exec, s[2:3]
	s_cbranch_vccnz .LBB456_1071
; %bb.1070:
	global_load_ubyte v1, v[2:3], off
	s_movk_i32 s2, 0x7f00
	s_brev_b32 s3, 16
	s_waitcnt vmcnt(0)
	v_lshlrev_b16_e32 v4, 8, v1
	v_lshlrev_b32_e32 v1, 25, v1
	v_lshrrev_b32_e32 v5, 4, v1
	v_and_or_b32 v6, v4, s2, 0.5
	v_or_b32_e32 v5, 0x70000000, v5
	v_add_f32_e32 v6, -0.5, v6
	v_mul_f32_e32 v5, 0x7800000, v5
	v_cmp_gt_u32_e32 vcc, s3, v1
	v_bfe_i32 v4, v4, 0, 16
	s_brev_b32 s2, 1
	v_cndmask_b32_e32 v1, v5, v6, vcc
	v_and_or_b32 v1, v4, s2, v1
	v_cvt_i32_f32_e32 v6, v1
.LBB456_1071:
	s_mov_b64 s[16:17], -1
	s_mov_b64 s[2:3], 0
	s_cbranch_execnz .LBB456_1082
.LBB456_1072:
	s_cmp_gt_i32 s20, 14
	s_cbranch_scc0 .LBB456_1075
; %bb.1073:
	s_cmp_eq_u32 s20, 15
	s_cbranch_scc0 .LBB456_1078
; %bb.1074:
	global_load_ushort v1, v[2:3], off
	s_mov_b64 s[0:1], 0
	s_mov_b64 s[16:17], -1
	s_waitcnt vmcnt(0)
	v_lshlrev_b32_e32 v1, 16, v1
	v_cvt_i32_f32_e32 v6, v1
	s_branch .LBB456_1079
.LBB456_1075:
	s_mov_b64 s[14:15], -1
                                        ; implicit-def: $vgpr6
	s_branch .LBB456_1080
.LBB456_1076:
	s_andn2_saveexec_b64 s[2:3], s[2:3]
	s_cbranch_execz .LBB456_1058
.LBB456_1077:
	v_cmp_ne_u16_e32 vcc, 0, v1
	s_andn2_b64 s[14:15], s[14:15], exec
	s_and_b64 s[16:17], vcc, exec
	s_or_b64 s[14:15], s[14:15], s[16:17]
	s_or_b64 exec, exec, s[2:3]
	v_mov_b32_e32 v6, 0
	s_and_saveexec_b64 s[2:3], s[14:15]
	s_cbranch_execnz .LBB456_1059
	s_branch .LBB456_1060
.LBB456_1078:
	s_mov_b64 s[0:1], -1
                                        ; implicit-def: $vgpr6
.LBB456_1079:
	s_mov_b64 s[14:15], 0
.LBB456_1080:
	s_and_b64 vcc, exec, s[14:15]
	s_cbranch_vccz .LBB456_1082
; %bb.1081:
	s_cmp_lg_u32 s20, 11
	s_mov_b64 s[2:3], -1
	s_cselect_b64 s[0:1], -1, 0
.LBB456_1082:
	s_and_b64 vcc, exec, s[0:1]
	s_mov_b64 s[14:15], s[12:13]
	s_cbranch_vccnz .LBB456_1143
; %bb.1083:
	s_andn2_b64 vcc, exec, s[2:3]
	s_cbranch_vccnz .LBB456_1085
.LBB456_1084:
	global_load_ubyte v1, v[2:3], off
	s_mov_b64 s[16:17], -1
	s_waitcnt vmcnt(0)
	v_cmp_ne_u16_e32 vcc, 0, v1
	s_nop 1
	v_cndmask_b32_e64 v6, 0, 1, vcc
.LBB456_1085:
	s_branch .LBB456_1020
.LBB456_1086:
	s_cmp_lt_i32 s20, 5
	s_cbranch_scc1 .LBB456_1091
; %bb.1087:
	s_cmp_lt_i32 s20, 8
	s_cbranch_scc1 .LBB456_1092
; %bb.1088:
	;; [unrolled: 3-line block ×3, first 2 shown]
	s_cmp_gt_i32 s20, 9
	s_cbranch_scc0 .LBB456_1094
; %bb.1090:
	global_load_dwordx2 v[4:5], v[2:3], off
	s_mov_b64 s[0:1], 0
	s_waitcnt vmcnt(0)
	v_cvt_i32_f64_e32 v6, v[4:5]
	s_branch .LBB456_1095
.LBB456_1091:
                                        ; implicit-def: $vgpr6
	s_branch .LBB456_1112
.LBB456_1092:
                                        ; implicit-def: $vgpr6
	s_branch .LBB456_1101
.LBB456_1093:
	s_mov_b64 s[0:1], -1
                                        ; implicit-def: $vgpr6
	s_branch .LBB456_1098
.LBB456_1094:
	s_mov_b64 s[0:1], -1
                                        ; implicit-def: $vgpr6
.LBB456_1095:
	s_andn2_b64 vcc, exec, s[0:1]
	s_cbranch_vccnz .LBB456_1097
; %bb.1096:
	global_load_dword v1, v[2:3], off
	s_waitcnt vmcnt(0)
	v_cvt_i32_f32_e32 v6, v1
.LBB456_1097:
	s_mov_b64 s[0:1], 0
.LBB456_1098:
	s_andn2_b64 vcc, exec, s[0:1]
	s_cbranch_vccnz .LBB456_1100
; %bb.1099:
	global_load_dword v1, v[2:3], off
	s_waitcnt vmcnt(0)
	v_cvt_i16_f16_e32 v6, v1
.LBB456_1100:
	s_cbranch_execnz .LBB456_1111
.LBB456_1101:
	s_cmp_lt_i32 s20, 6
	s_cbranch_scc1 .LBB456_1104
; %bb.1102:
	s_cmp_gt_i32 s20, 6
	s_cbranch_scc0 .LBB456_1105
; %bb.1103:
	global_load_dwordx2 v[4:5], v[2:3], off
	s_mov_b64 s[0:1], 0
	s_waitcnt vmcnt(0)
	v_cvt_i32_f64_e32 v6, v[4:5]
	s_branch .LBB456_1106
.LBB456_1104:
	s_mov_b64 s[0:1], -1
                                        ; implicit-def: $vgpr6
	s_branch .LBB456_1109
.LBB456_1105:
	s_mov_b64 s[0:1], -1
                                        ; implicit-def: $vgpr6
.LBB456_1106:
	s_andn2_b64 vcc, exec, s[0:1]
	s_cbranch_vccnz .LBB456_1108
; %bb.1107:
	global_load_dword v1, v[2:3], off
	s_waitcnt vmcnt(0)
	v_cvt_i32_f32_e32 v6, v1
.LBB456_1108:
	s_mov_b64 s[0:1], 0
.LBB456_1109:
	s_andn2_b64 vcc, exec, s[0:1]
	s_cbranch_vccnz .LBB456_1111
; %bb.1110:
	global_load_ushort v1, v[2:3], off
	s_waitcnt vmcnt(0)
	v_cvt_i16_f16_e32 v6, v1
.LBB456_1111:
	s_cbranch_execnz .LBB456_1130
.LBB456_1112:
	s_cmp_lt_i32 s20, 2
	s_cbranch_scc1 .LBB456_1116
; %bb.1113:
	s_cmp_lt_i32 s20, 3
	s_cbranch_scc1 .LBB456_1117
; %bb.1114:
	s_cmp_gt_i32 s20, 3
	s_cbranch_scc0 .LBB456_1118
; %bb.1115:
	global_load_dwordx2 v[6:7], v[2:3], off
	s_mov_b64 s[0:1], 0
	s_branch .LBB456_1119
.LBB456_1116:
                                        ; implicit-def: $vgpr6
	s_branch .LBB456_1125
.LBB456_1117:
	s_mov_b64 s[0:1], -1
                                        ; implicit-def: $vgpr6
	s_branch .LBB456_1122
.LBB456_1118:
	s_mov_b64 s[0:1], -1
                                        ; implicit-def: $vgpr6
.LBB456_1119:
	s_andn2_b64 vcc, exec, s[0:1]
	s_cbranch_vccnz .LBB456_1121
; %bb.1120:
	global_load_dword v6, v[2:3], off
.LBB456_1121:
	s_mov_b64 s[0:1], 0
.LBB456_1122:
	s_andn2_b64 vcc, exec, s[0:1]
	s_cbranch_vccnz .LBB456_1124
; %bb.1123:
	global_load_ushort v6, v[2:3], off
.LBB456_1124:
	s_cbranch_execnz .LBB456_1130
.LBB456_1125:
	s_cmp_gt_i32 s20, 0
	s_cbranch_scc0 .LBB456_1127
; %bb.1126:
	global_load_sbyte v6, v[2:3], off
	s_mov_b64 s[0:1], 0
	s_branch .LBB456_1128
.LBB456_1127:
	s_mov_b64 s[0:1], -1
                                        ; implicit-def: $vgpr6
.LBB456_1128:
	s_andn2_b64 vcc, exec, s[0:1]
	s_cbranch_vccnz .LBB456_1130
; %bb.1129:
	global_load_ubyte v6, v[2:3], off
.LBB456_1130:
.LBB456_1131:
	s_lshl_b32 s9, s9, 7
	v_add_u32_e32 v0, s9, v0
	v_ashrrev_i32_e32 v1, 31, v0
	s_cmp_lt_i32 s20, 11
	v_lshl_add_u64 v[2:3], s[6:7], 0, v[0:1]
	s_cbranch_scc1 .LBB456_1138
; %bb.1132:
	s_cmp_gt_i32 s20, 25
	s_mov_b64 s[2:3], 0
	s_cbranch_scc0 .LBB456_1140
; %bb.1133:
	s_cmp_gt_i32 s20, 28
	s_cbranch_scc0 .LBB456_1141
; %bb.1134:
	s_cmp_gt_i32 s20, 43
	s_cbranch_scc0 .LBB456_1142
; %bb.1135:
	s_cmp_gt_i32 s20, 45
	s_cbranch_scc0 .LBB456_1144
; %bb.1136:
	s_cmp_eq_u32 s20, 46
	s_mov_b64 s[18:19], 0
	s_cbranch_scc0 .LBB456_1147
; %bb.1137:
	global_load_dword v1, v[2:3], off
	s_mov_b64 s[0:1], 0
	s_mov_b64 s[16:17], -1
	s_waitcnt vmcnt(0)
	v_lshlrev_b32_e32 v1, 16, v1
	v_cvt_i32_f32_e32 v4, v1
	s_branch .LBB456_1148
.LBB456_1138:
	s_mov_b64 s[16:17], 0
                                        ; implicit-def: $vgpr4
	s_cbranch_execnz .LBB456_1209
.LBB456_1139:
	s_andn2_b64 vcc, exec, s[16:17]
	s_cbranch_vccnz .LBB456_1940
	s_branch .LBB456_1256
.LBB456_1140:
	s_mov_b64 s[16:17], 0
	s_mov_b64 s[0:1], 0
                                        ; implicit-def: $vgpr4
	s_cbranch_execnz .LBB456_1175
	s_branch .LBB456_1205
.LBB456_1141:
	s_mov_b64 s[18:19], -1
	s_mov_b64 s[16:17], 0
	s_mov_b64 s[0:1], 0
                                        ; implicit-def: $vgpr4
	s_branch .LBB456_1158
.LBB456_1142:
	s_mov_b64 s[18:19], -1
	s_mov_b64 s[16:17], 0
	s_mov_b64 s[0:1], 0
                                        ; implicit-def: $vgpr4
	s_branch .LBB456_1153
.LBB456_1143:
	s_or_b64 s[14:15], s[12:13], exec
	s_trap 2
	s_cbranch_execz .LBB456_1084
	s_branch .LBB456_1085
.LBB456_1144:
	s_mov_b64 s[18:19], -1
	s_mov_b64 s[16:17], 0
	s_mov_b64 s[0:1], 0
                                        ; implicit-def: $vgpr4
	s_branch .LBB456_1148
.LBB456_1145:
	s_andn2_saveexec_b64 s[24:25], s[24:25]
	s_cbranch_execz .LBB456_936
.LBB456_1146:
	s_mov_b32 s28, 0x42800000
	v_add_f32_e64 v3, |v2|, s28
	v_and_b32_e32 v3, 0xff, v3
	v_cmp_ne_u32_e32 vcc, 0, v3
	s_andn2_b64 s[22:23], s[22:23], exec
	s_and_b64 s[28:29], vcc, exec
	s_or_b64 s[22:23], s[22:23], s[28:29]
	s_or_b64 exec, exec, s[24:25]
	v_mov_b32_e32 v5, 0
	s_and_saveexec_b64 s[24:25], s[22:23]
	s_cbranch_execnz .LBB456_937
	s_branch .LBB456_938
.LBB456_1147:
	s_mov_b64 s[0:1], -1
                                        ; implicit-def: $vgpr4
	s_mov_b64 s[16:17], 0
.LBB456_1148:
	s_and_b64 vcc, exec, s[18:19]
	s_cbranch_vccz .LBB456_1152
; %bb.1149:
	s_cmp_eq_u32 s20, 44
	s_cbranch_scc0 .LBB456_1151
; %bb.1150:
	global_load_ubyte v1, v[2:3], off
	s_mov_b64 s[0:1], 0
	s_mov_b64 s[16:17], -1
	s_waitcnt vmcnt(0)
	v_lshlrev_b32_e32 v4, 23, v1
	v_cvt_i32_f32_e32 v4, v4
	v_cmp_ne_u32_e32 vcc, 0, v1
	s_nop 1
	v_cndmask_b32_e32 v4, 0, v4, vcc
	s_branch .LBB456_1152
.LBB456_1151:
	s_mov_b64 s[0:1], -1
                                        ; implicit-def: $vgpr4
.LBB456_1152:
	s_mov_b64 s[18:19], 0
.LBB456_1153:
	s_and_b64 vcc, exec, s[18:19]
	s_cbranch_vccz .LBB456_1157
; %bb.1154:
	s_cmp_eq_u32 s20, 29
	s_cbranch_scc0 .LBB456_1156
; %bb.1155:
	global_load_dwordx2 v[4:5], v[2:3], off
	s_mov_b64 s[0:1], 0
	s_mov_b64 s[16:17], -1
	s_branch .LBB456_1157
.LBB456_1156:
	s_mov_b64 s[0:1], -1
                                        ; implicit-def: $vgpr4
.LBB456_1157:
	s_mov_b64 s[18:19], 0
.LBB456_1158:
	s_and_b64 vcc, exec, s[18:19]
	s_cbranch_vccz .LBB456_1174
; %bb.1159:
	s_cmp_lt_i32 s20, 27
	s_cbranch_scc1 .LBB456_1162
; %bb.1160:
	s_cmp_gt_i32 s20, 27
	s_cbranch_scc0 .LBB456_1163
; %bb.1161:
	global_load_dword v4, v[2:3], off
	s_mov_b64 s[16:17], 0
	s_branch .LBB456_1164
.LBB456_1162:
	s_mov_b64 s[16:17], -1
                                        ; implicit-def: $vgpr4
	s_branch .LBB456_1167
.LBB456_1163:
	s_mov_b64 s[16:17], -1
                                        ; implicit-def: $vgpr4
.LBB456_1164:
	s_andn2_b64 vcc, exec, s[16:17]
	s_cbranch_vccnz .LBB456_1166
; %bb.1165:
	global_load_ushort v4, v[2:3], off
.LBB456_1166:
	s_mov_b64 s[16:17], 0
.LBB456_1167:
	s_andn2_b64 vcc, exec, s[16:17]
	s_cbranch_vccnz .LBB456_1173
; %bb.1168:
	global_load_ubyte v1, v[2:3], off
	s_movk_i32 s16, 0x7f
	s_mov_b64 s[18:19], 0
	s_waitcnt vmcnt(0)
	v_cmp_lt_i16_e32 vcc, s16, v1
	s_and_saveexec_b64 s[16:17], vcc
	s_xor_b64 s[16:17], exec, s[16:17]
	s_cbranch_execz .LBB456_1184
; %bb.1169:
	s_movk_i32 s18, 0x80
	v_cmp_ne_u16_e32 vcc, s18, v1
	s_and_b64 s[18:19], vcc, exec
	s_andn2_saveexec_b64 s[16:17], s[16:17]
	s_cbranch_execnz .LBB456_1185
.LBB456_1170:
	s_or_b64 exec, exec, s[16:17]
	v_mov_b32_e32 v4, 0
	s_and_saveexec_b64 s[16:17], s[18:19]
	s_cbranch_execz .LBB456_1172
.LBB456_1171:
	v_lshlrev_b32_e32 v4, 24, v1
	v_and_b32_e32 v1, 0xffff, v1
	v_and_b32_e32 v5, 7, v1
	v_ffbh_u32_e32 v8, v5
	v_min_u32_e32 v8, 32, v8
	v_subrev_u32_e32 v9, 28, v8
	v_bfe_u32 v7, v1, 3, 4
	v_lshlrev_b32_e32 v1, v9, v1
	v_sub_u32_e32 v8, 29, v8
	v_and_b32_e32 v1, 7, v1
	v_cmp_eq_u32_e32 vcc, 0, v7
	v_and_b32_e32 v4, 0x80000000, v4
	s_nop 0
	v_cndmask_b32_e32 v7, v7, v8, vcc
	v_cndmask_b32_e32 v1, v5, v1, vcc
	v_mov_b32_e32 v5, 0x3b800000
	v_lshlrev_b32_e32 v1, 20, v1
	v_lshl_add_u32 v5, v7, 23, v5
	v_or3_b32 v1, v4, v5, v1
	v_cvt_i32_f32_e32 v4, v1
.LBB456_1172:
	s_or_b64 exec, exec, s[16:17]
.LBB456_1173:
	s_mov_b64 s[16:17], -1
.LBB456_1174:
	s_branch .LBB456_1205
.LBB456_1175:
	s_cmp_gt_i32 s20, 22
	s_cbranch_scc0 .LBB456_1183
; %bb.1176:
	s_cmp_lt_i32 s20, 24
	s_cbranch_scc1 .LBB456_1186
; %bb.1177:
	s_cmp_gt_i32 s20, 24
	s_cbranch_scc0 .LBB456_1187
; %bb.1178:
	global_load_ubyte v1, v[2:3], off
	s_movk_i32 s2, 0x7f
	s_mov_b64 s[16:17], 0
	s_waitcnt vmcnt(0)
	v_cmp_lt_i16_e32 vcc, s2, v1
	s_and_saveexec_b64 s[2:3], vcc
	s_xor_b64 s[2:3], exec, s[2:3]
	s_cbranch_execz .LBB456_1199
; %bb.1179:
	s_movk_i32 s16, 0x80
	v_cmp_ne_u16_e32 vcc, s16, v1
	s_and_b64 s[16:17], vcc, exec
	s_andn2_saveexec_b64 s[2:3], s[2:3]
	s_cbranch_execnz .LBB456_1200
.LBB456_1180:
	s_or_b64 exec, exec, s[2:3]
	v_mov_b32_e32 v4, 0
	s_and_saveexec_b64 s[2:3], s[16:17]
	s_cbranch_execz .LBB456_1182
.LBB456_1181:
	v_lshlrev_b32_e32 v4, 24, v1
	v_and_b32_e32 v1, 0xffff, v1
	v_and_b32_e32 v5, 3, v1
	v_ffbh_u32_e32 v8, v5
	v_min_u32_e32 v8, 32, v8
	v_subrev_u32_e32 v9, 29, v8
	v_bfe_u32 v7, v1, 2, 5
	v_lshlrev_b32_e32 v1, v9, v1
	v_sub_u32_e32 v8, 30, v8
	v_and_b32_e32 v1, 3, v1
	v_cmp_eq_u32_e32 vcc, 0, v7
	v_and_b32_e32 v4, 0x80000000, v4
	s_nop 0
	v_cndmask_b32_e32 v7, v7, v8, vcc
	v_cndmask_b32_e32 v1, v5, v1, vcc
	v_mov_b32_e32 v5, 0x37800000
	v_lshlrev_b32_e32 v1, 21, v1
	v_lshl_add_u32 v5, v7, 23, v5
	v_or3_b32 v1, v4, v5, v1
	v_cvt_i32_f32_e32 v4, v1
.LBB456_1182:
	s_or_b64 exec, exec, s[2:3]
	s_mov_b64 s[2:3], 0
	s_branch .LBB456_1188
.LBB456_1183:
	s_mov_b64 s[2:3], -1
                                        ; implicit-def: $vgpr4
	s_branch .LBB456_1194
.LBB456_1184:
	s_andn2_saveexec_b64 s[16:17], s[16:17]
	s_cbranch_execz .LBB456_1170
.LBB456_1185:
	v_cmp_ne_u16_e32 vcc, 0, v1
	s_andn2_b64 s[18:19], s[18:19], exec
	s_and_b64 s[22:23], vcc, exec
	s_or_b64 s[18:19], s[18:19], s[22:23]
	s_or_b64 exec, exec, s[16:17]
	v_mov_b32_e32 v4, 0
	s_and_saveexec_b64 s[16:17], s[18:19]
	s_cbranch_execnz .LBB456_1171
	s_branch .LBB456_1172
.LBB456_1186:
	s_mov_b64 s[2:3], -1
                                        ; implicit-def: $vgpr4
	s_branch .LBB456_1191
.LBB456_1187:
	s_mov_b64 s[2:3], -1
                                        ; implicit-def: $vgpr4
.LBB456_1188:
	s_and_b64 vcc, exec, s[2:3]
	s_cbranch_vccz .LBB456_1190
; %bb.1189:
	global_load_ubyte v1, v[2:3], off
	s_mov_b32 s2, 0x7f800000
	s_waitcnt vmcnt(0)
	v_lshlrev_b32_e32 v1, 24, v1
	v_and_b32_e32 v4, 0x7f000000, v1
	v_ffbh_u32_e32 v5, v4
	v_min_u32_e32 v5, 32, v5
	v_sub_u32_e64 v5, v5, 4 clamp
	v_lshlrev_b32_e32 v8, v5, v4
	v_lshlrev_b32_e32 v5, 23, v5
	v_lshrrev_b32_e32 v8, 4, v8
	v_add_u32_e32 v7, 0x1000000, v4
	v_sub_u32_e32 v5, v8, v5
	v_ashrrev_i32_e32 v7, 8, v7
	v_add_u32_e32 v5, 0x3c000000, v5
	v_and_or_b32 v5, v7, s2, v5
	v_cmp_ne_u32_e32 vcc, 0, v4
	s_brev_b32 s2, 1
	s_nop 0
	v_cndmask_b32_e32 v4, 0, v5, vcc
	v_and_or_b32 v1, v1, s2, v4
	v_cvt_i32_f32_e32 v4, v1
.LBB456_1190:
	s_mov_b64 s[2:3], 0
.LBB456_1191:
	s_andn2_b64 vcc, exec, s[2:3]
	s_cbranch_vccnz .LBB456_1193
; %bb.1192:
	global_load_ubyte v1, v[2:3], off
	s_movk_i32 s2, 0x7f00
	s_brev_b32 s3, 16
	s_waitcnt vmcnt(0)
	v_lshlrev_b16_e32 v4, 8, v1
	v_lshlrev_b32_e32 v1, 25, v1
	v_lshrrev_b32_e32 v5, 4, v1
	v_and_or_b32 v7, v4, s2, 0.5
	v_or_b32_e32 v5, 0x70000000, v5
	v_add_f32_e32 v7, -0.5, v7
	v_mul_f32_e32 v5, 0x7800000, v5
	v_cmp_gt_u32_e32 vcc, s3, v1
	v_bfe_i32 v4, v4, 0, 16
	s_brev_b32 s2, 1
	v_cndmask_b32_e32 v1, v5, v7, vcc
	v_and_or_b32 v1, v4, s2, v1
	v_cvt_i32_f32_e32 v4, v1
.LBB456_1193:
	s_mov_b64 s[2:3], 0
	s_mov_b64 s[16:17], -1
.LBB456_1194:
	s_andn2_b64 vcc, exec, s[2:3]
	s_mov_b64 s[2:3], 0
	s_cbranch_vccnz .LBB456_1205
; %bb.1195:
	s_cmp_gt_i32 s20, 14
	s_cbranch_scc0 .LBB456_1198
; %bb.1196:
	s_cmp_eq_u32 s20, 15
	s_cbranch_scc0 .LBB456_1201
; %bb.1197:
	global_load_ushort v1, v[2:3], off
	s_mov_b64 s[0:1], 0
	s_mov_b64 s[16:17], -1
	s_waitcnt vmcnt(0)
	v_lshlrev_b32_e32 v1, 16, v1
	v_cvt_i32_f32_e32 v4, v1
	s_branch .LBB456_1202
.LBB456_1198:
	s_mov_b64 s[18:19], -1
                                        ; implicit-def: $vgpr4
	s_branch .LBB456_1203
.LBB456_1199:
	s_andn2_saveexec_b64 s[2:3], s[2:3]
	s_cbranch_execz .LBB456_1180
.LBB456_1200:
	v_cmp_ne_u16_e32 vcc, 0, v1
	s_andn2_b64 s[16:17], s[16:17], exec
	s_and_b64 s[18:19], vcc, exec
	s_or_b64 s[16:17], s[16:17], s[18:19]
	s_or_b64 exec, exec, s[2:3]
	v_mov_b32_e32 v4, 0
	s_and_saveexec_b64 s[2:3], s[16:17]
	s_cbranch_execnz .LBB456_1181
	s_branch .LBB456_1182
.LBB456_1201:
	s_mov_b64 s[0:1], -1
                                        ; implicit-def: $vgpr4
.LBB456_1202:
	s_mov_b64 s[18:19], 0
.LBB456_1203:
	s_and_b64 vcc, exec, s[18:19]
	s_cbranch_vccz .LBB456_1205
; %bb.1204:
	s_cmp_lg_u32 s20, 11
	s_mov_b64 s[2:3], -1
	s_cselect_b64 s[0:1], -1, 0
.LBB456_1205:
	s_and_b64 vcc, exec, s[0:1]
	s_cbranch_vccnz .LBB456_1268
; %bb.1206:
	s_andn2_b64 vcc, exec, s[2:3]
	s_cbranch_vccnz .LBB456_1208
.LBB456_1207:
	global_load_ubyte v1, v[2:3], off
	s_mov_b64 s[16:17], -1
	s_waitcnt vmcnt(0)
	v_cmp_ne_u16_e32 vcc, 0, v1
	s_nop 1
	v_cndmask_b32_e64 v4, 0, 1, vcc
.LBB456_1208:
	s_branch .LBB456_1139
.LBB456_1209:
	s_cmp_lt_i32 s20, 5
	s_cbranch_scc1 .LBB456_1214
; %bb.1210:
	s_cmp_lt_i32 s20, 8
	s_cbranch_scc1 .LBB456_1215
; %bb.1211:
	;; [unrolled: 3-line block ×3, first 2 shown]
	s_cmp_gt_i32 s20, 9
	s_cbranch_scc0 .LBB456_1217
; %bb.1213:
	global_load_dwordx2 v[4:5], v[2:3], off
	s_mov_b64 s[0:1], 0
	s_waitcnt vmcnt(0)
	v_cvt_i32_f64_e32 v4, v[4:5]
	s_branch .LBB456_1218
.LBB456_1214:
                                        ; implicit-def: $vgpr4
	s_branch .LBB456_1236
.LBB456_1215:
	s_mov_b64 s[0:1], -1
                                        ; implicit-def: $vgpr4
	s_branch .LBB456_1224
.LBB456_1216:
	s_mov_b64 s[0:1], -1
                                        ; implicit-def: $vgpr4
	s_branch .LBB456_1221
.LBB456_1217:
	s_mov_b64 s[0:1], -1
                                        ; implicit-def: $vgpr4
.LBB456_1218:
	s_andn2_b64 vcc, exec, s[0:1]
	s_cbranch_vccnz .LBB456_1220
; %bb.1219:
	global_load_dword v1, v[2:3], off
	s_waitcnt vmcnt(0)
	v_cvt_i32_f32_e32 v4, v1
.LBB456_1220:
	s_mov_b64 s[0:1], 0
.LBB456_1221:
	s_andn2_b64 vcc, exec, s[0:1]
	s_cbranch_vccnz .LBB456_1223
; %bb.1222:
	global_load_dword v1, v[2:3], off
	s_waitcnt vmcnt(0)
	v_cvt_i16_f16_e32 v4, v1
.LBB456_1223:
	s_mov_b64 s[0:1], 0
.LBB456_1224:
	s_andn2_b64 vcc, exec, s[0:1]
	s_cbranch_vccnz .LBB456_1235
; %bb.1225:
	s_cmp_lt_i32 s20, 6
	s_cbranch_scc1 .LBB456_1228
; %bb.1226:
	s_cmp_gt_i32 s20, 6
	s_cbranch_scc0 .LBB456_1229
; %bb.1227:
	global_load_dwordx2 v[4:5], v[2:3], off
	s_mov_b64 s[0:1], 0
	s_waitcnt vmcnt(0)
	v_cvt_i32_f64_e32 v4, v[4:5]
	s_branch .LBB456_1230
.LBB456_1228:
	s_mov_b64 s[0:1], -1
                                        ; implicit-def: $vgpr4
	s_branch .LBB456_1233
.LBB456_1229:
	s_mov_b64 s[0:1], -1
                                        ; implicit-def: $vgpr4
.LBB456_1230:
	s_andn2_b64 vcc, exec, s[0:1]
	s_cbranch_vccnz .LBB456_1232
; %bb.1231:
	global_load_dword v1, v[2:3], off
	s_waitcnt vmcnt(0)
	v_cvt_i32_f32_e32 v4, v1
.LBB456_1232:
	s_mov_b64 s[0:1], 0
.LBB456_1233:
	s_andn2_b64 vcc, exec, s[0:1]
	s_cbranch_vccnz .LBB456_1235
; %bb.1234:
	global_load_ushort v1, v[2:3], off
	s_waitcnt vmcnt(0)
	v_cvt_i16_f16_e32 v4, v1
.LBB456_1235:
	s_cbranch_execnz .LBB456_1255
.LBB456_1236:
	s_cmp_lt_i32 s20, 2
	s_cbranch_scc1 .LBB456_1240
; %bb.1237:
	s_cmp_lt_i32 s20, 3
	s_cbranch_scc1 .LBB456_1241
; %bb.1238:
	s_cmp_gt_i32 s20, 3
	s_cbranch_scc0 .LBB456_1242
; %bb.1239:
	global_load_dwordx2 v[4:5], v[2:3], off
	s_mov_b64 s[0:1], 0
	s_branch .LBB456_1243
.LBB456_1240:
	s_mov_b64 s[0:1], -1
                                        ; implicit-def: $vgpr4
	s_branch .LBB456_1249
.LBB456_1241:
	s_mov_b64 s[0:1], -1
                                        ; implicit-def: $vgpr4
	s_branch .LBB456_1246
.LBB456_1242:
	s_mov_b64 s[0:1], -1
                                        ; implicit-def: $vgpr4
.LBB456_1243:
	s_andn2_b64 vcc, exec, s[0:1]
	s_cbranch_vccnz .LBB456_1245
; %bb.1244:
	global_load_dword v4, v[2:3], off
.LBB456_1245:
	s_mov_b64 s[0:1], 0
.LBB456_1246:
	s_andn2_b64 vcc, exec, s[0:1]
	s_cbranch_vccnz .LBB456_1248
; %bb.1247:
	global_load_ushort v4, v[2:3], off
.LBB456_1248:
	s_mov_b64 s[0:1], 0
.LBB456_1249:
	s_andn2_b64 vcc, exec, s[0:1]
	s_cbranch_vccnz .LBB456_1255
; %bb.1250:
	s_cmp_gt_i32 s20, 0
	s_cbranch_scc0 .LBB456_1252
; %bb.1251:
	global_load_sbyte v4, v[2:3], off
	s_mov_b64 s[0:1], 0
	s_branch .LBB456_1253
.LBB456_1252:
	s_mov_b64 s[0:1], -1
                                        ; implicit-def: $vgpr4
.LBB456_1253:
	s_andn2_b64 vcc, exec, s[0:1]
	s_cbranch_vccnz .LBB456_1255
; %bb.1254:
	global_load_ubyte v4, v[2:3], off
.LBB456_1255:
.LBB456_1256:
	v_add_u32_e32 v0, s9, v0
	v_ashrrev_i32_e32 v1, 31, v0
	s_cmp_lt_i32 s20, 11
	v_lshl_add_u64 v[8:9], s[6:7], 0, v[0:1]
	s_cbranch_scc1 .LBB456_1263
; %bb.1257:
	s_cmp_gt_i32 s20, 25
	s_mov_b64 s[2:3], 0
	s_cbranch_scc0 .LBB456_1265
; %bb.1258:
	s_cmp_gt_i32 s20, 28
	s_cbranch_scc0 .LBB456_1266
; %bb.1259:
	s_cmp_gt_i32 s20, 43
	;; [unrolled: 3-line block ×3, first 2 shown]
	s_cbranch_scc0 .LBB456_1269
; %bb.1261:
	s_cmp_eq_u32 s20, 46
	s_mov_b64 s[18:19], 0
	s_cbranch_scc0 .LBB456_1270
; %bb.1262:
	global_load_dword v1, v[8:9], off
	s_mov_b64 s[0:1], 0
	s_mov_b64 s[16:17], -1
	s_waitcnt vmcnt(0)
	v_lshlrev_b32_e32 v1, 16, v1
	v_cvt_i32_f32_e32 v2, v1
	s_branch .LBB456_1271
.LBB456_1263:
	s_mov_b64 s[16:17], 0
                                        ; implicit-def: $vgpr2
	s_cbranch_execnz .LBB456_1333
.LBB456_1264:
	s_andn2_b64 vcc, exec, s[16:17]
	s_cbranch_vccnz .LBB456_1940
	s_branch .LBB456_1381
.LBB456_1265:
	s_mov_b64 s[18:19], -1
	s_mov_b64 s[16:17], 0
	s_mov_b64 s[0:1], 0
                                        ; implicit-def: $vgpr2
	s_branch .LBB456_1298
.LBB456_1266:
	s_mov_b64 s[18:19], -1
	s_mov_b64 s[16:17], 0
	s_mov_b64 s[0:1], 0
                                        ; implicit-def: $vgpr2
	s_branch .LBB456_1281
.LBB456_1267:
	s_mov_b64 s[18:19], -1
	s_mov_b64 s[16:17], 0
	s_mov_b64 s[0:1], 0
                                        ; implicit-def: $vgpr2
	s_branch .LBB456_1276
.LBB456_1268:
	s_trap 2
	s_or_b64 s[14:15], s[14:15], exec
	s_cbranch_execz .LBB456_1207
	s_branch .LBB456_1208
.LBB456_1269:
	s_mov_b64 s[18:19], -1
	s_mov_b64 s[16:17], 0
	s_mov_b64 s[0:1], 0
                                        ; implicit-def: $vgpr2
	s_branch .LBB456_1271
.LBB456_1270:
	s_mov_b64 s[0:1], -1
                                        ; implicit-def: $vgpr2
	s_mov_b64 s[16:17], 0
.LBB456_1271:
	s_and_b64 vcc, exec, s[18:19]
	s_cbranch_vccz .LBB456_1275
; %bb.1272:
	s_cmp_eq_u32 s20, 44
	s_cbranch_scc0 .LBB456_1274
; %bb.1273:
	global_load_ubyte v1, v[8:9], off
	s_mov_b64 s[0:1], 0
	s_mov_b64 s[16:17], -1
	s_waitcnt vmcnt(0)
	v_lshlrev_b32_e32 v2, 23, v1
	v_cvt_i32_f32_e32 v2, v2
	v_cmp_ne_u32_e32 vcc, 0, v1
	s_nop 1
	v_cndmask_b32_e32 v2, 0, v2, vcc
	s_branch .LBB456_1275
.LBB456_1274:
	s_mov_b64 s[0:1], -1
                                        ; implicit-def: $vgpr2
.LBB456_1275:
	s_mov_b64 s[18:19], 0
.LBB456_1276:
	s_and_b64 vcc, exec, s[18:19]
	s_cbranch_vccz .LBB456_1280
; %bb.1277:
	s_cmp_eq_u32 s20, 29
	s_cbranch_scc0 .LBB456_1279
; %bb.1278:
	global_load_dwordx2 v[2:3], v[8:9], off
	s_mov_b64 s[0:1], 0
	s_mov_b64 s[16:17], -1
	s_branch .LBB456_1280
.LBB456_1279:
	s_mov_b64 s[0:1], -1
                                        ; implicit-def: $vgpr2
.LBB456_1280:
	s_mov_b64 s[18:19], 0
.LBB456_1281:
	s_and_b64 vcc, exec, s[18:19]
	s_cbranch_vccz .LBB456_1297
; %bb.1282:
	s_cmp_lt_i32 s20, 27
	s_cbranch_scc1 .LBB456_1285
; %bb.1283:
	s_cmp_gt_i32 s20, 27
	s_cbranch_scc0 .LBB456_1286
; %bb.1284:
	global_load_dword v2, v[8:9], off
	s_mov_b64 s[16:17], 0
	s_branch .LBB456_1287
.LBB456_1285:
	s_mov_b64 s[16:17], -1
                                        ; implicit-def: $vgpr2
	s_branch .LBB456_1290
.LBB456_1286:
	s_mov_b64 s[16:17], -1
                                        ; implicit-def: $vgpr2
.LBB456_1287:
	s_andn2_b64 vcc, exec, s[16:17]
	s_cbranch_vccnz .LBB456_1289
; %bb.1288:
	global_load_ushort v2, v[8:9], off
.LBB456_1289:
	s_mov_b64 s[16:17], 0
.LBB456_1290:
	s_andn2_b64 vcc, exec, s[16:17]
	s_cbranch_vccnz .LBB456_1296
; %bb.1291:
	global_load_ubyte v1, v[8:9], off
	s_movk_i32 s16, 0x7f
	s_mov_b64 s[18:19], 0
	s_waitcnt vmcnt(0)
	v_cmp_lt_i16_e32 vcc, s16, v1
	s_and_saveexec_b64 s[16:17], vcc
	s_xor_b64 s[16:17], exec, s[16:17]
	s_cbranch_execz .LBB456_1308
; %bb.1292:
	s_movk_i32 s18, 0x80
	v_cmp_ne_u16_e32 vcc, s18, v1
	s_and_b64 s[18:19], vcc, exec
	s_andn2_saveexec_b64 s[16:17], s[16:17]
	s_cbranch_execnz .LBB456_1309
.LBB456_1293:
	s_or_b64 exec, exec, s[16:17]
	v_mov_b32_e32 v2, 0
	s_and_saveexec_b64 s[16:17], s[18:19]
	s_cbranch_execz .LBB456_1295
.LBB456_1294:
	v_lshlrev_b32_e32 v2, 24, v1
	v_and_b32_e32 v1, 0xffff, v1
	v_and_b32_e32 v3, 7, v1
	v_ffbh_u32_e32 v7, v3
	v_min_u32_e32 v7, 32, v7
	v_subrev_u32_e32 v11, 28, v7
	v_bfe_u32 v5, v1, 3, 4
	v_lshlrev_b32_e32 v1, v11, v1
	v_sub_u32_e32 v7, 29, v7
	v_and_b32_e32 v1, 7, v1
	v_cmp_eq_u32_e32 vcc, 0, v5
	v_and_b32_e32 v2, 0x80000000, v2
	s_nop 0
	v_cndmask_b32_e32 v5, v5, v7, vcc
	v_cndmask_b32_e32 v1, v3, v1, vcc
	v_mov_b32_e32 v3, 0x3b800000
	v_lshlrev_b32_e32 v1, 20, v1
	v_lshl_add_u32 v3, v5, 23, v3
	v_or3_b32 v1, v2, v3, v1
	v_cvt_i32_f32_e32 v2, v1
.LBB456_1295:
	s_or_b64 exec, exec, s[16:17]
.LBB456_1296:
	s_mov_b64 s[16:17], -1
.LBB456_1297:
	s_mov_b64 s[18:19], 0
.LBB456_1298:
	s_and_b64 vcc, exec, s[18:19]
	s_cbranch_vccz .LBB456_1329
; %bb.1299:
	s_cmp_gt_i32 s20, 22
	s_cbranch_scc0 .LBB456_1307
; %bb.1300:
	s_cmp_lt_i32 s20, 24
	s_cbranch_scc1 .LBB456_1310
; %bb.1301:
	s_cmp_gt_i32 s20, 24
	s_cbranch_scc0 .LBB456_1311
; %bb.1302:
	global_load_ubyte v1, v[8:9], off
	s_movk_i32 s2, 0x7f
	s_mov_b64 s[16:17], 0
	s_waitcnt vmcnt(0)
	v_cmp_lt_i16_e32 vcc, s2, v1
	s_and_saveexec_b64 s[2:3], vcc
	s_xor_b64 s[2:3], exec, s[2:3]
	s_cbranch_execz .LBB456_1323
; %bb.1303:
	s_movk_i32 s16, 0x80
	v_cmp_ne_u16_e32 vcc, s16, v1
	s_and_b64 s[16:17], vcc, exec
	s_andn2_saveexec_b64 s[2:3], s[2:3]
	s_cbranch_execnz .LBB456_1324
.LBB456_1304:
	s_or_b64 exec, exec, s[2:3]
	v_mov_b32_e32 v2, 0
	s_and_saveexec_b64 s[2:3], s[16:17]
	s_cbranch_execz .LBB456_1306
.LBB456_1305:
	v_lshlrev_b32_e32 v2, 24, v1
	v_and_b32_e32 v1, 0xffff, v1
	v_and_b32_e32 v3, 3, v1
	v_ffbh_u32_e32 v7, v3
	v_min_u32_e32 v7, 32, v7
	v_subrev_u32_e32 v11, 29, v7
	v_bfe_u32 v5, v1, 2, 5
	v_lshlrev_b32_e32 v1, v11, v1
	v_sub_u32_e32 v7, 30, v7
	v_and_b32_e32 v1, 3, v1
	v_cmp_eq_u32_e32 vcc, 0, v5
	v_and_b32_e32 v2, 0x80000000, v2
	s_nop 0
	v_cndmask_b32_e32 v5, v5, v7, vcc
	v_cndmask_b32_e32 v1, v3, v1, vcc
	v_mov_b32_e32 v3, 0x37800000
	v_lshlrev_b32_e32 v1, 21, v1
	v_lshl_add_u32 v3, v5, 23, v3
	v_or3_b32 v1, v2, v3, v1
	v_cvt_i32_f32_e32 v2, v1
.LBB456_1306:
	s_or_b64 exec, exec, s[2:3]
	s_mov_b64 s[2:3], 0
	s_branch .LBB456_1312
.LBB456_1307:
	s_mov_b64 s[2:3], -1
                                        ; implicit-def: $vgpr2
	s_branch .LBB456_1318
.LBB456_1308:
	s_andn2_saveexec_b64 s[16:17], s[16:17]
	s_cbranch_execz .LBB456_1293
.LBB456_1309:
	v_cmp_ne_u16_e32 vcc, 0, v1
	s_andn2_b64 s[18:19], s[18:19], exec
	s_and_b64 s[22:23], vcc, exec
	s_or_b64 s[18:19], s[18:19], s[22:23]
	s_or_b64 exec, exec, s[16:17]
	v_mov_b32_e32 v2, 0
	s_and_saveexec_b64 s[16:17], s[18:19]
	s_cbranch_execnz .LBB456_1294
	s_branch .LBB456_1295
.LBB456_1310:
	s_mov_b64 s[2:3], -1
                                        ; implicit-def: $vgpr2
	s_branch .LBB456_1315
.LBB456_1311:
	s_mov_b64 s[2:3], -1
                                        ; implicit-def: $vgpr2
.LBB456_1312:
	s_and_b64 vcc, exec, s[2:3]
	s_cbranch_vccz .LBB456_1314
; %bb.1313:
	global_load_ubyte v1, v[8:9], off
	s_mov_b32 s2, 0x7f800000
	s_waitcnt vmcnt(0)
	v_lshlrev_b32_e32 v1, 24, v1
	v_and_b32_e32 v2, 0x7f000000, v1
	v_ffbh_u32_e32 v3, v2
	v_min_u32_e32 v3, 32, v3
	v_sub_u32_e64 v3, v3, 4 clamp
	v_lshlrev_b32_e32 v7, v3, v2
	v_lshlrev_b32_e32 v3, 23, v3
	v_lshrrev_b32_e32 v7, 4, v7
	v_add_u32_e32 v5, 0x1000000, v2
	v_sub_u32_e32 v3, v7, v3
	v_ashrrev_i32_e32 v5, 8, v5
	v_add_u32_e32 v3, 0x3c000000, v3
	v_and_or_b32 v3, v5, s2, v3
	v_cmp_ne_u32_e32 vcc, 0, v2
	s_brev_b32 s2, 1
	s_nop 0
	v_cndmask_b32_e32 v2, 0, v3, vcc
	v_and_or_b32 v1, v1, s2, v2
	v_cvt_i32_f32_e32 v2, v1
.LBB456_1314:
	s_mov_b64 s[2:3], 0
.LBB456_1315:
	s_andn2_b64 vcc, exec, s[2:3]
	s_cbranch_vccnz .LBB456_1317
; %bb.1316:
	global_load_ubyte v1, v[8:9], off
	s_movk_i32 s2, 0x7f00
	s_brev_b32 s3, 16
	s_waitcnt vmcnt(0)
	v_lshlrev_b16_e32 v2, 8, v1
	v_lshlrev_b32_e32 v1, 25, v1
	v_lshrrev_b32_e32 v3, 4, v1
	v_and_or_b32 v5, v2, s2, 0.5
	v_or_b32_e32 v3, 0x70000000, v3
	v_add_f32_e32 v5, -0.5, v5
	v_mul_f32_e32 v3, 0x7800000, v3
	v_cmp_gt_u32_e32 vcc, s3, v1
	v_bfe_i32 v2, v2, 0, 16
	s_brev_b32 s2, 1
	v_cndmask_b32_e32 v1, v3, v5, vcc
	v_and_or_b32 v1, v2, s2, v1
	v_cvt_i32_f32_e32 v2, v1
.LBB456_1317:
	s_mov_b64 s[2:3], 0
	s_mov_b64 s[16:17], -1
.LBB456_1318:
	s_andn2_b64 vcc, exec, s[2:3]
	s_mov_b64 s[2:3], 0
	s_cbranch_vccnz .LBB456_1329
; %bb.1319:
	s_cmp_gt_i32 s20, 14
	s_cbranch_scc0 .LBB456_1322
; %bb.1320:
	s_cmp_eq_u32 s20, 15
	s_cbranch_scc0 .LBB456_1325
; %bb.1321:
	global_load_ushort v1, v[8:9], off
	s_mov_b64 s[0:1], 0
	s_mov_b64 s[16:17], -1
	s_waitcnt vmcnt(0)
	v_lshlrev_b32_e32 v1, 16, v1
	v_cvt_i32_f32_e32 v2, v1
	s_branch .LBB456_1326
.LBB456_1322:
	s_mov_b64 s[18:19], -1
                                        ; implicit-def: $vgpr2
	s_branch .LBB456_1327
.LBB456_1323:
	s_andn2_saveexec_b64 s[2:3], s[2:3]
	s_cbranch_execz .LBB456_1304
.LBB456_1324:
	v_cmp_ne_u16_e32 vcc, 0, v1
	s_andn2_b64 s[16:17], s[16:17], exec
	s_and_b64 s[18:19], vcc, exec
	s_or_b64 s[16:17], s[16:17], s[18:19]
	s_or_b64 exec, exec, s[2:3]
	v_mov_b32_e32 v2, 0
	s_and_saveexec_b64 s[2:3], s[16:17]
	s_cbranch_execnz .LBB456_1305
	s_branch .LBB456_1306
.LBB456_1325:
	s_mov_b64 s[0:1], -1
                                        ; implicit-def: $vgpr2
.LBB456_1326:
	s_mov_b64 s[18:19], 0
.LBB456_1327:
	s_and_b64 vcc, exec, s[18:19]
	s_cbranch_vccz .LBB456_1329
; %bb.1328:
	s_cmp_lg_u32 s20, 11
	s_mov_b64 s[2:3], -1
	s_cselect_b64 s[0:1], -1, 0
.LBB456_1329:
	s_and_b64 vcc, exec, s[0:1]
	s_cbranch_vccnz .LBB456_1392
; %bb.1330:
	s_andn2_b64 vcc, exec, s[2:3]
	s_cbranch_vccnz .LBB456_1332
.LBB456_1331:
	global_load_ubyte v1, v[8:9], off
	s_mov_b64 s[16:17], -1
	s_waitcnt vmcnt(0)
	v_cmp_ne_u16_e32 vcc, 0, v1
	s_nop 1
	v_cndmask_b32_e64 v2, 0, 1, vcc
.LBB456_1332:
	s_branch .LBB456_1264
.LBB456_1333:
	s_cmp_lt_i32 s20, 5
	s_cbranch_scc1 .LBB456_1338
; %bb.1334:
	s_cmp_lt_i32 s20, 8
	s_cbranch_scc1 .LBB456_1339
; %bb.1335:
	;; [unrolled: 3-line block ×3, first 2 shown]
	s_cmp_gt_i32 s20, 9
	s_cbranch_scc0 .LBB456_1341
; %bb.1337:
	global_load_dwordx2 v[2:3], v[8:9], off
	s_mov_b64 s[0:1], 0
	s_waitcnt vmcnt(0)
	v_cvt_i32_f64_e32 v2, v[2:3]
	s_branch .LBB456_1342
.LBB456_1338:
	s_mov_b64 s[0:1], -1
                                        ; implicit-def: $vgpr2
	s_branch .LBB456_1360
.LBB456_1339:
	s_mov_b64 s[0:1], -1
                                        ; implicit-def: $vgpr2
	s_branch .LBB456_1348
.LBB456_1340:
	s_mov_b64 s[0:1], -1
                                        ; implicit-def: $vgpr2
	s_branch .LBB456_1345
.LBB456_1341:
	s_mov_b64 s[0:1], -1
                                        ; implicit-def: $vgpr2
.LBB456_1342:
	s_andn2_b64 vcc, exec, s[0:1]
	s_cbranch_vccnz .LBB456_1344
; %bb.1343:
	global_load_dword v1, v[8:9], off
	s_waitcnt vmcnt(0)
	v_cvt_i32_f32_e32 v2, v1
.LBB456_1344:
	s_mov_b64 s[0:1], 0
.LBB456_1345:
	s_andn2_b64 vcc, exec, s[0:1]
	s_cbranch_vccnz .LBB456_1347
; %bb.1346:
	global_load_dword v1, v[8:9], off
	s_waitcnt vmcnt(0)
	v_cvt_i16_f16_e32 v2, v1
.LBB456_1347:
	s_mov_b64 s[0:1], 0
.LBB456_1348:
	s_andn2_b64 vcc, exec, s[0:1]
	s_cbranch_vccnz .LBB456_1359
; %bb.1349:
	s_cmp_lt_i32 s20, 6
	s_cbranch_scc1 .LBB456_1352
; %bb.1350:
	s_cmp_gt_i32 s20, 6
	s_cbranch_scc0 .LBB456_1353
; %bb.1351:
	global_load_dwordx2 v[2:3], v[8:9], off
	s_mov_b64 s[0:1], 0
	s_waitcnt vmcnt(0)
	v_cvt_i32_f64_e32 v2, v[2:3]
	s_branch .LBB456_1354
.LBB456_1352:
	s_mov_b64 s[0:1], -1
                                        ; implicit-def: $vgpr2
	s_branch .LBB456_1357
.LBB456_1353:
	s_mov_b64 s[0:1], -1
                                        ; implicit-def: $vgpr2
.LBB456_1354:
	s_andn2_b64 vcc, exec, s[0:1]
	s_cbranch_vccnz .LBB456_1356
; %bb.1355:
	global_load_dword v1, v[8:9], off
	s_waitcnt vmcnt(0)
	v_cvt_i32_f32_e32 v2, v1
.LBB456_1356:
	s_mov_b64 s[0:1], 0
.LBB456_1357:
	s_andn2_b64 vcc, exec, s[0:1]
	s_cbranch_vccnz .LBB456_1359
; %bb.1358:
	global_load_ushort v1, v[8:9], off
	s_waitcnt vmcnt(0)
	v_cvt_i16_f16_e32 v2, v1
.LBB456_1359:
	s_mov_b64 s[0:1], 0
.LBB456_1360:
	s_andn2_b64 vcc, exec, s[0:1]
	s_cbranch_vccnz .LBB456_1380
; %bb.1361:
	s_cmp_lt_i32 s20, 2
	s_cbranch_scc1 .LBB456_1365
; %bb.1362:
	s_cmp_lt_i32 s20, 3
	s_cbranch_scc1 .LBB456_1366
; %bb.1363:
	s_cmp_gt_i32 s20, 3
	s_cbranch_scc0 .LBB456_1367
; %bb.1364:
	global_load_dwordx2 v[2:3], v[8:9], off
	s_mov_b64 s[0:1], 0
	s_branch .LBB456_1368
.LBB456_1365:
	s_mov_b64 s[0:1], -1
                                        ; implicit-def: $vgpr2
	s_branch .LBB456_1374
.LBB456_1366:
	s_mov_b64 s[0:1], -1
                                        ; implicit-def: $vgpr2
	s_branch .LBB456_1371
.LBB456_1367:
	s_mov_b64 s[0:1], -1
                                        ; implicit-def: $vgpr2
.LBB456_1368:
	s_andn2_b64 vcc, exec, s[0:1]
	s_cbranch_vccnz .LBB456_1370
; %bb.1369:
	global_load_dword v2, v[8:9], off
.LBB456_1370:
	s_mov_b64 s[0:1], 0
.LBB456_1371:
	s_andn2_b64 vcc, exec, s[0:1]
	s_cbranch_vccnz .LBB456_1373
; %bb.1372:
	global_load_ushort v2, v[8:9], off
.LBB456_1373:
	s_mov_b64 s[0:1], 0
.LBB456_1374:
	s_andn2_b64 vcc, exec, s[0:1]
	s_cbranch_vccnz .LBB456_1380
; %bb.1375:
	s_cmp_gt_i32 s20, 0
	s_cbranch_scc0 .LBB456_1377
; %bb.1376:
	global_load_sbyte v2, v[8:9], off
	s_mov_b64 s[0:1], 0
	s_branch .LBB456_1378
.LBB456_1377:
	s_mov_b64 s[0:1], -1
                                        ; implicit-def: $vgpr2
.LBB456_1378:
	s_andn2_b64 vcc, exec, s[0:1]
	s_cbranch_vccnz .LBB456_1380
; %bb.1379:
	global_load_ubyte v2, v[8:9], off
.LBB456_1380:
.LBB456_1381:
	v_add_u32_e32 v0, s9, v0
	v_ashrrev_i32_e32 v1, 31, v0
	s_cmp_lt_i32 s20, 11
	v_lshl_add_u64 v[8:9], s[6:7], 0, v[0:1]
	s_cbranch_scc1 .LBB456_1388
; %bb.1382:
	s_cmp_gt_i32 s20, 25
	s_mov_b64 s[2:3], 0
	s_cbranch_scc0 .LBB456_1389
; %bb.1383:
	s_cmp_gt_i32 s20, 28
	s_cbranch_scc0 .LBB456_1390
; %bb.1384:
	s_cmp_gt_i32 s20, 43
	;; [unrolled: 3-line block ×3, first 2 shown]
	s_cbranch_scc0 .LBB456_1393
; %bb.1386:
	s_cmp_eq_u32 s20, 46
	s_mov_b64 s[16:17], 0
	s_cbranch_scc0 .LBB456_1394
; %bb.1387:
	global_load_dword v0, v[8:9], off
	s_mov_b64 s[0:1], 0
	s_mov_b64 s[6:7], -1
	s_waitcnt vmcnt(0)
	v_lshlrev_b32_e32 v0, 16, v0
	v_cvt_i32_f32_e32 v0, v0
	s_branch .LBB456_1395
.LBB456_1388:
	s_mov_b64 s[0:1], -1
	s_mov_b64 s[6:7], 0
                                        ; implicit-def: $vgpr0
	s_branch .LBB456_1457
.LBB456_1389:
	s_mov_b64 s[16:17], -1
	s_mov_b64 s[6:7], 0
	s_mov_b64 s[0:1], 0
                                        ; implicit-def: $vgpr0
	s_branch .LBB456_1422
.LBB456_1390:
	s_mov_b64 s[16:17], -1
	s_mov_b64 s[6:7], 0
	s_mov_b64 s[0:1], 0
                                        ; implicit-def: $vgpr0
	s_branch .LBB456_1405
.LBB456_1391:
	s_mov_b64 s[16:17], -1
	s_mov_b64 s[6:7], 0
	s_mov_b64 s[0:1], 0
                                        ; implicit-def: $vgpr0
	s_branch .LBB456_1400
.LBB456_1392:
	s_trap 2
	s_or_b64 s[14:15], s[14:15], exec
	s_cbranch_execz .LBB456_1331
	s_branch .LBB456_1332
.LBB456_1393:
	s_mov_b64 s[16:17], -1
	s_mov_b64 s[6:7], 0
	s_mov_b64 s[0:1], 0
                                        ; implicit-def: $vgpr0
	s_branch .LBB456_1395
.LBB456_1394:
	s_mov_b64 s[0:1], -1
                                        ; implicit-def: $vgpr0
	s_mov_b64 s[6:7], 0
.LBB456_1395:
	s_and_b64 vcc, exec, s[16:17]
	s_cbranch_vccz .LBB456_1399
; %bb.1396:
	s_cmp_eq_u32 s20, 44
	s_cbranch_scc0 .LBB456_1398
; %bb.1397:
	global_load_ubyte v0, v[8:9], off
	s_mov_b64 s[0:1], 0
	s_mov_b64 s[6:7], -1
	s_waitcnt vmcnt(0)
	v_lshlrev_b32_e32 v1, 23, v0
	v_cvt_i32_f32_e32 v1, v1
	v_cmp_ne_u32_e32 vcc, 0, v0
	s_nop 1
	v_cndmask_b32_e32 v0, 0, v1, vcc
	s_branch .LBB456_1399
.LBB456_1398:
	s_mov_b64 s[0:1], -1
                                        ; implicit-def: $vgpr0
.LBB456_1399:
	s_mov_b64 s[16:17], 0
.LBB456_1400:
	s_and_b64 vcc, exec, s[16:17]
	s_cbranch_vccz .LBB456_1404
; %bb.1401:
	s_cmp_eq_u32 s20, 29
	s_cbranch_scc0 .LBB456_1403
; %bb.1402:
	global_load_dwordx2 v[0:1], v[8:9], off
	s_mov_b64 s[0:1], 0
	s_mov_b64 s[6:7], -1
	s_branch .LBB456_1404
.LBB456_1403:
	s_mov_b64 s[0:1], -1
                                        ; implicit-def: $vgpr0
.LBB456_1404:
	s_mov_b64 s[16:17], 0
.LBB456_1405:
	s_and_b64 vcc, exec, s[16:17]
	s_cbranch_vccz .LBB456_1421
; %bb.1406:
	s_cmp_lt_i32 s20, 27
	s_cbranch_scc1 .LBB456_1409
; %bb.1407:
	s_cmp_gt_i32 s20, 27
	s_cbranch_scc0 .LBB456_1410
; %bb.1408:
	global_load_dword v0, v[8:9], off
	s_mov_b64 s[6:7], 0
	s_branch .LBB456_1411
.LBB456_1409:
	s_mov_b64 s[6:7], -1
                                        ; implicit-def: $vgpr0
	s_branch .LBB456_1414
.LBB456_1410:
	s_mov_b64 s[6:7], -1
                                        ; implicit-def: $vgpr0
.LBB456_1411:
	s_andn2_b64 vcc, exec, s[6:7]
	s_cbranch_vccnz .LBB456_1413
; %bb.1412:
	global_load_ushort v0, v[8:9], off
.LBB456_1413:
	s_mov_b64 s[6:7], 0
.LBB456_1414:
	s_andn2_b64 vcc, exec, s[6:7]
	s_cbranch_vccnz .LBB456_1420
; %bb.1415:
	global_load_ubyte v1, v[8:9], off
	s_movk_i32 s6, 0x7f
	s_mov_b64 s[16:17], 0
	s_waitcnt vmcnt(0)
	v_cmp_lt_i16_e32 vcc, s6, v1
	s_and_saveexec_b64 s[6:7], vcc
	s_xor_b64 s[6:7], exec, s[6:7]
	s_cbranch_execz .LBB456_1432
; %bb.1416:
	s_movk_i32 s9, 0x80
	v_cmp_ne_u16_e32 vcc, s9, v1
	s_and_b64 s[16:17], vcc, exec
	s_andn2_saveexec_b64 s[6:7], s[6:7]
	s_cbranch_execnz .LBB456_1433
.LBB456_1417:
	s_or_b64 exec, exec, s[6:7]
	v_mov_b32_e32 v0, 0
	s_and_saveexec_b64 s[6:7], s[16:17]
	s_cbranch_execz .LBB456_1419
.LBB456_1418:
	v_lshlrev_b32_e32 v0, 24, v1
	v_and_b32_e32 v1, 0xffff, v1
	v_and_b32_e32 v3, 7, v1
	v_ffbh_u32_e32 v7, v3
	v_min_u32_e32 v7, 32, v7
	v_subrev_u32_e32 v11, 28, v7
	v_bfe_u32 v5, v1, 3, 4
	v_lshlrev_b32_e32 v1, v11, v1
	v_sub_u32_e32 v7, 29, v7
	v_and_b32_e32 v1, 7, v1
	v_cmp_eq_u32_e32 vcc, 0, v5
	v_and_b32_e32 v0, 0x80000000, v0
	s_nop 0
	v_cndmask_b32_e32 v5, v5, v7, vcc
	v_cndmask_b32_e32 v1, v3, v1, vcc
	v_mov_b32_e32 v3, 0x3b800000
	v_lshlrev_b32_e32 v1, 20, v1
	v_lshl_add_u32 v3, v5, 23, v3
	v_or3_b32 v0, v0, v3, v1
	v_cvt_i32_f32_e32 v0, v0
.LBB456_1419:
	s_or_b64 exec, exec, s[6:7]
.LBB456_1420:
	s_mov_b64 s[6:7], -1
.LBB456_1421:
	s_mov_b64 s[16:17], 0
.LBB456_1422:
	s_and_b64 vcc, exec, s[16:17]
	s_cbranch_vccz .LBB456_1453
; %bb.1423:
	s_cmp_gt_i32 s20, 22
	s_cbranch_scc0 .LBB456_1431
; %bb.1424:
	s_cmp_lt_i32 s20, 24
	s_cbranch_scc1 .LBB456_1434
; %bb.1425:
	s_cmp_gt_i32 s20, 24
	s_cbranch_scc0 .LBB456_1435
; %bb.1426:
	global_load_ubyte v1, v[8:9], off
	s_movk_i32 s2, 0x7f
	s_mov_b64 s[6:7], 0
	s_waitcnt vmcnt(0)
	v_cmp_lt_i16_e32 vcc, s2, v1
	s_and_saveexec_b64 s[2:3], vcc
	s_xor_b64 s[2:3], exec, s[2:3]
	s_cbranch_execz .LBB456_1447
; %bb.1427:
	s_movk_i32 s6, 0x80
	v_cmp_ne_u16_e32 vcc, s6, v1
	s_and_b64 s[6:7], vcc, exec
	s_andn2_saveexec_b64 s[2:3], s[2:3]
	s_cbranch_execnz .LBB456_1448
.LBB456_1428:
	s_or_b64 exec, exec, s[2:3]
	v_mov_b32_e32 v0, 0
	s_and_saveexec_b64 s[2:3], s[6:7]
	s_cbranch_execz .LBB456_1430
.LBB456_1429:
	v_lshlrev_b32_e32 v0, 24, v1
	v_and_b32_e32 v1, 0xffff, v1
	v_and_b32_e32 v3, 3, v1
	v_ffbh_u32_e32 v7, v3
	v_min_u32_e32 v7, 32, v7
	v_subrev_u32_e32 v11, 29, v7
	v_bfe_u32 v5, v1, 2, 5
	v_lshlrev_b32_e32 v1, v11, v1
	v_sub_u32_e32 v7, 30, v7
	v_and_b32_e32 v1, 3, v1
	v_cmp_eq_u32_e32 vcc, 0, v5
	v_and_b32_e32 v0, 0x80000000, v0
	s_nop 0
	v_cndmask_b32_e32 v5, v5, v7, vcc
	v_cndmask_b32_e32 v1, v3, v1, vcc
	v_mov_b32_e32 v3, 0x37800000
	v_lshlrev_b32_e32 v1, 21, v1
	v_lshl_add_u32 v3, v5, 23, v3
	v_or3_b32 v0, v0, v3, v1
	v_cvt_i32_f32_e32 v0, v0
.LBB456_1430:
	s_or_b64 exec, exec, s[2:3]
	s_mov_b64 s[2:3], 0
	s_branch .LBB456_1436
.LBB456_1431:
	s_mov_b64 s[2:3], -1
                                        ; implicit-def: $vgpr0
	s_branch .LBB456_1442
.LBB456_1432:
	s_andn2_saveexec_b64 s[6:7], s[6:7]
	s_cbranch_execz .LBB456_1417
.LBB456_1433:
	v_cmp_ne_u16_e32 vcc, 0, v1
	s_andn2_b64 s[16:17], s[16:17], exec
	s_and_b64 s[18:19], vcc, exec
	s_or_b64 s[16:17], s[16:17], s[18:19]
	s_or_b64 exec, exec, s[6:7]
	v_mov_b32_e32 v0, 0
	s_and_saveexec_b64 s[6:7], s[16:17]
	s_cbranch_execnz .LBB456_1418
	s_branch .LBB456_1419
.LBB456_1434:
	s_mov_b64 s[2:3], -1
                                        ; implicit-def: $vgpr0
	s_branch .LBB456_1439
.LBB456_1435:
	s_mov_b64 s[2:3], -1
                                        ; implicit-def: $vgpr0
.LBB456_1436:
	s_and_b64 vcc, exec, s[2:3]
	s_cbranch_vccz .LBB456_1438
; %bb.1437:
	global_load_ubyte v0, v[8:9], off
	s_mov_b32 s2, 0x7f800000
	s_waitcnt vmcnt(0)
	v_lshlrev_b32_e32 v0, 24, v0
	v_and_b32_e32 v1, 0x7f000000, v0
	v_ffbh_u32_e32 v3, v1
	v_min_u32_e32 v3, 32, v3
	v_sub_u32_e64 v3, v3, 4 clamp
	v_lshlrev_b32_e32 v7, v3, v1
	v_lshlrev_b32_e32 v3, 23, v3
	v_lshrrev_b32_e32 v7, 4, v7
	v_add_u32_e32 v5, 0x1000000, v1
	v_sub_u32_e32 v3, v7, v3
	v_ashrrev_i32_e32 v5, 8, v5
	v_add_u32_e32 v3, 0x3c000000, v3
	v_and_or_b32 v3, v5, s2, v3
	v_cmp_ne_u32_e32 vcc, 0, v1
	s_brev_b32 s2, 1
	s_nop 0
	v_cndmask_b32_e32 v1, 0, v3, vcc
	v_and_or_b32 v0, v0, s2, v1
	v_cvt_i32_f32_e32 v0, v0
.LBB456_1438:
	s_mov_b64 s[2:3], 0
.LBB456_1439:
	s_andn2_b64 vcc, exec, s[2:3]
	s_cbranch_vccnz .LBB456_1441
; %bb.1440:
	global_load_ubyte v0, v[8:9], off
	s_movk_i32 s2, 0x7f00
	s_brev_b32 s3, 16
	s_waitcnt vmcnt(0)
	v_lshlrev_b16_e32 v1, 8, v0
	v_lshlrev_b32_e32 v0, 25, v0
	v_lshrrev_b32_e32 v3, 4, v0
	v_and_or_b32 v5, v1, s2, 0.5
	v_or_b32_e32 v3, 0x70000000, v3
	v_add_f32_e32 v5, -0.5, v5
	v_mul_f32_e32 v3, 0x7800000, v3
	v_cmp_gt_u32_e32 vcc, s3, v0
	v_bfe_i32 v1, v1, 0, 16
	s_brev_b32 s2, 1
	v_cndmask_b32_e32 v0, v3, v5, vcc
	v_and_or_b32 v0, v1, s2, v0
	v_cvt_i32_f32_e32 v0, v0
.LBB456_1441:
	s_mov_b64 s[2:3], 0
	s_mov_b64 s[6:7], -1
.LBB456_1442:
	s_andn2_b64 vcc, exec, s[2:3]
	s_mov_b64 s[2:3], 0
	s_cbranch_vccnz .LBB456_1453
; %bb.1443:
	s_cmp_gt_i32 s20, 14
	s_cbranch_scc0 .LBB456_1446
; %bb.1444:
	s_cmp_eq_u32 s20, 15
	s_cbranch_scc0 .LBB456_1449
; %bb.1445:
	global_load_ushort v0, v[8:9], off
	s_mov_b64 s[0:1], 0
	s_mov_b64 s[6:7], -1
	s_waitcnt vmcnt(0)
	v_lshlrev_b32_e32 v0, 16, v0
	v_cvt_i32_f32_e32 v0, v0
	s_branch .LBB456_1450
.LBB456_1446:
	s_mov_b64 s[16:17], -1
                                        ; implicit-def: $vgpr0
	s_branch .LBB456_1451
.LBB456_1447:
	s_andn2_saveexec_b64 s[2:3], s[2:3]
	s_cbranch_execz .LBB456_1428
.LBB456_1448:
	v_cmp_ne_u16_e32 vcc, 0, v1
	s_andn2_b64 s[6:7], s[6:7], exec
	s_and_b64 s[16:17], vcc, exec
	s_or_b64 s[6:7], s[6:7], s[16:17]
	s_or_b64 exec, exec, s[2:3]
	v_mov_b32_e32 v0, 0
	s_and_saveexec_b64 s[2:3], s[6:7]
	s_cbranch_execnz .LBB456_1429
	s_branch .LBB456_1430
.LBB456_1449:
	s_mov_b64 s[0:1], -1
                                        ; implicit-def: $vgpr0
.LBB456_1450:
	s_mov_b64 s[16:17], 0
.LBB456_1451:
	s_and_b64 vcc, exec, s[16:17]
	s_cbranch_vccz .LBB456_1453
; %bb.1452:
	s_cmp_lg_u32 s20, 11
	s_mov_b64 s[2:3], -1
	s_cselect_b64 s[0:1], -1, 0
.LBB456_1453:
	s_and_b64 vcc, exec, s[0:1]
	s_cbranch_vccnz .LBB456_1986
; %bb.1454:
	s_andn2_b64 vcc, exec, s[2:3]
	s_cbranch_vccnz .LBB456_1456
.LBB456_1455:
	global_load_ubyte v0, v[8:9], off
	s_mov_b64 s[6:7], -1
	s_waitcnt vmcnt(0)
	v_cmp_ne_u16_e32 vcc, 0, v0
	s_nop 1
	v_cndmask_b32_e64 v0, 0, 1, vcc
.LBB456_1456:
	s_mov_b64 s[0:1], 0
.LBB456_1457:
	s_and_b64 vcc, exec, s[0:1]
	s_cbranch_vccz .LBB456_1506
; %bb.1458:
	s_cmp_lt_i32 s20, 5
	s_cbranch_scc1 .LBB456_1463
; %bb.1459:
	s_cmp_lt_i32 s20, 8
	s_cbranch_scc1 .LBB456_1464
; %bb.1460:
	s_cmp_lt_i32 s20, 9
	s_cbranch_scc1 .LBB456_1465
; %bb.1461:
	s_cmp_gt_i32 s20, 9
	s_cbranch_scc0 .LBB456_1466
; %bb.1462:
	global_load_dwordx2 v[0:1], v[8:9], off
	s_mov_b64 s[0:1], 0
	s_waitcnt vmcnt(0)
	v_cvt_i32_f64_e32 v0, v[0:1]
	s_branch .LBB456_1467
.LBB456_1463:
	s_mov_b64 s[0:1], -1
                                        ; implicit-def: $vgpr0
	s_branch .LBB456_1485
.LBB456_1464:
	s_mov_b64 s[0:1], -1
                                        ; implicit-def: $vgpr0
	s_branch .LBB456_1473
.LBB456_1465:
	s_mov_b64 s[0:1], -1
                                        ; implicit-def: $vgpr0
	s_branch .LBB456_1470
.LBB456_1466:
	s_mov_b64 s[0:1], -1
                                        ; implicit-def: $vgpr0
.LBB456_1467:
	s_andn2_b64 vcc, exec, s[0:1]
	s_cbranch_vccnz .LBB456_1469
; %bb.1468:
	global_load_dword v0, v[8:9], off
	s_waitcnt vmcnt(0)
	v_cvt_i32_f32_e32 v0, v0
.LBB456_1469:
	s_mov_b64 s[0:1], 0
.LBB456_1470:
	s_andn2_b64 vcc, exec, s[0:1]
	s_cbranch_vccnz .LBB456_1472
; %bb.1471:
	global_load_dword v0, v[8:9], off
	s_waitcnt vmcnt(0)
	v_cvt_i16_f16_e32 v0, v0
.LBB456_1472:
	s_mov_b64 s[0:1], 0
.LBB456_1473:
	s_andn2_b64 vcc, exec, s[0:1]
	s_cbranch_vccnz .LBB456_1484
; %bb.1474:
	s_cmp_lt_i32 s20, 6
	s_cbranch_scc1 .LBB456_1477
; %bb.1475:
	s_cmp_gt_i32 s20, 6
	s_cbranch_scc0 .LBB456_1478
; %bb.1476:
	global_load_dwordx2 v[0:1], v[8:9], off
	s_mov_b64 s[0:1], 0
	s_waitcnt vmcnt(0)
	v_cvt_i32_f64_e32 v0, v[0:1]
	s_branch .LBB456_1479
.LBB456_1477:
	s_mov_b64 s[0:1], -1
                                        ; implicit-def: $vgpr0
	s_branch .LBB456_1482
.LBB456_1478:
	s_mov_b64 s[0:1], -1
                                        ; implicit-def: $vgpr0
.LBB456_1479:
	s_andn2_b64 vcc, exec, s[0:1]
	s_cbranch_vccnz .LBB456_1481
; %bb.1480:
	global_load_dword v0, v[8:9], off
	s_waitcnt vmcnt(0)
	v_cvt_i32_f32_e32 v0, v0
.LBB456_1481:
	s_mov_b64 s[0:1], 0
.LBB456_1482:
	s_andn2_b64 vcc, exec, s[0:1]
	s_cbranch_vccnz .LBB456_1484
; %bb.1483:
	global_load_ushort v0, v[8:9], off
	s_waitcnt vmcnt(0)
	v_cvt_i16_f16_e32 v0, v0
.LBB456_1484:
	s_mov_b64 s[0:1], 0
.LBB456_1485:
	s_andn2_b64 vcc, exec, s[0:1]
	s_cbranch_vccnz .LBB456_1505
; %bb.1486:
	s_cmp_lt_i32 s20, 2
	s_cbranch_scc1 .LBB456_1490
; %bb.1487:
	s_cmp_lt_i32 s20, 3
	s_cbranch_scc1 .LBB456_1491
; %bb.1488:
	s_cmp_gt_i32 s20, 3
	s_cbranch_scc0 .LBB456_1492
; %bb.1489:
	global_load_dwordx2 v[0:1], v[8:9], off
	s_mov_b64 s[0:1], 0
	s_branch .LBB456_1493
.LBB456_1490:
	s_mov_b64 s[0:1], -1
                                        ; implicit-def: $vgpr0
	s_branch .LBB456_1499
.LBB456_1491:
	s_mov_b64 s[0:1], -1
                                        ; implicit-def: $vgpr0
	s_branch .LBB456_1496
.LBB456_1492:
	s_mov_b64 s[0:1], -1
                                        ; implicit-def: $vgpr0
.LBB456_1493:
	s_andn2_b64 vcc, exec, s[0:1]
	s_cbranch_vccnz .LBB456_1495
; %bb.1494:
	global_load_dword v0, v[8:9], off
.LBB456_1495:
	s_mov_b64 s[0:1], 0
.LBB456_1496:
	s_andn2_b64 vcc, exec, s[0:1]
	s_cbranch_vccnz .LBB456_1498
; %bb.1497:
	global_load_ushort v0, v[8:9], off
.LBB456_1498:
	s_mov_b64 s[0:1], 0
.LBB456_1499:
	s_andn2_b64 vcc, exec, s[0:1]
	s_cbranch_vccnz .LBB456_1505
; %bb.1500:
	s_cmp_gt_i32 s20, 0
	s_cbranch_scc0 .LBB456_1502
; %bb.1501:
	global_load_sbyte v0, v[8:9], off
	s_mov_b64 s[0:1], 0
	s_branch .LBB456_1503
.LBB456_1502:
	s_mov_b64 s[0:1], -1
                                        ; implicit-def: $vgpr0
.LBB456_1503:
	s_andn2_b64 vcc, exec, s[0:1]
	s_cbranch_vccnz .LBB456_1505
; %bb.1504:
	global_load_ubyte v0, v[8:9], off
.LBB456_1505:
	s_mov_b64 s[6:7], -1
.LBB456_1506:
	s_andn2_b64 vcc, exec, s[6:7]
	s_cbranch_vccnz .LBB456_1940
; %bb.1507:
	s_waitcnt vmcnt(0)
	v_min_i16_e32 v1, s33, v6
	v_mul_lo_u32 v6, s8, v10
	v_ashrrev_i32_e32 v7, 31, v6
	s_and_b32 s20, s42, 0xff
	s_cmp_lt_i32 s20, 11
	v_lshl_add_u64 v[8:9], s[4:5], 0, v[6:7]
	s_cbranch_scc1 .LBB456_1585
; %bb.1508:
	s_and_b32 s9, 0xffff, s20
	s_mov_b64 s[16:17], -1
	s_mov_b64 s[2:3], 0
	s_cmp_gt_i32 s9, 25
	s_mov_b64 s[6:7], 0
	s_mov_b64 s[0:1], 0
	s_cbranch_scc0 .LBB456_1541
; %bb.1509:
	s_cmp_gt_i32 s9, 28
	s_cbranch_scc0 .LBB456_1524
; %bb.1510:
	s_cmp_gt_i32 s9, 43
	;; [unrolled: 3-line block ×3, first 2 shown]
	s_cbranch_scc0 .LBB456_1514
; %bb.1512:
	s_mov_b64 s[0:1], -1
	s_mov_b64 s[16:17], 0
	s_cmp_eq_u32 s9, 46
	s_cbranch_scc0 .LBB456_1514
; %bb.1513:
	v_cvt_f32_i32_sdwa v3, sext(v1) dst_sel:DWORD dst_unused:UNUSED_PAD src0_sel:WORD_0
	s_movk_i32 s6, 0x7fff
	s_mov_b64 s[0:1], 0
	v_bfe_u32 v5, v3, 16, 1
	v_add3_u32 v3, v3, v5, s6
	v_lshrrev_b32_e32 v3, 16, v3
	global_store_dword v[8:9], v3, off
	s_mov_b64 s[6:7], -1
.LBB456_1514:
	s_and_b64 vcc, exec, s[16:17]
	s_cbranch_vccz .LBB456_1519
; %bb.1515:
	s_cmp_eq_u32 s9, 44
	s_mov_b64 s[0:1], -1
	s_cbranch_scc0 .LBB456_1519
; %bb.1516:
	v_cvt_f32_i32_sdwa v3, sext(v1) dst_sel:DWORD dst_unused:UNUSED_PAD src0_sel:WORD_0
	s_movk_i32 s0, 0xff
	v_mov_b32_e32 v7, 0xff
	v_bfe_u32 v5, v3, 23, 8
	v_cmp_ne_u32_e32 vcc, s0, v5
	s_and_saveexec_b64 s[6:7], vcc
; %bb.1517:
	s_mov_b32 s0, 0x3fffff
	v_lshrrev_b32_e32 v7, 23, v3
	v_and_b32_e32 v10, 0x400000, v3
	v_and_or_b32 v3, v3, s0, v5
	v_cmp_ne_u32_e32 vcc, 0, v10
	v_cmp_ne_u32_e64 s[0:1], 0, v3
	s_and_b64 s[0:1], vcc, s[0:1]
	s_nop 0
	v_cndmask_b32_e64 v3, 0, 1, s[0:1]
	v_add_u32_e32 v7, v7, v3
; %bb.1518:
	s_or_b64 exec, exec, s[6:7]
	s_mov_b64 s[0:1], 0
	s_mov_b64 s[6:7], -1
	global_store_byte v[8:9], v7, off
.LBB456_1519:
	s_mov_b64 s[16:17], 0
.LBB456_1520:
	s_and_b64 vcc, exec, s[16:17]
	s_cbranch_vccz .LBB456_1523
; %bb.1521:
	s_cmp_eq_u32 s9, 29
	s_mov_b64 s[0:1], -1
	s_cbranch_scc0 .LBB456_1523
; %bb.1522:
	v_bfe_i32 v10, v1, 0, 16
	v_ashrrev_i32_e32 v11, 31, v10
	global_store_dwordx2 v[8:9], v[10:11], off
	s_mov_b64 s[0:1], 0
	s_mov_b64 s[6:7], -1
.LBB456_1523:
	s_mov_b64 s[16:17], 0
.LBB456_1524:
	s_and_b64 vcc, exec, s[16:17]
	s_cbranch_vccz .LBB456_1540
; %bb.1525:
	s_cmp_lt_i32 s9, 27
	s_mov_b64 s[6:7], -1
	s_cbranch_scc1 .LBB456_1531
; %bb.1526:
	s_cmp_gt_i32 s9, 27
	s_cbranch_scc0 .LBB456_1528
; %bb.1527:
	v_bfe_i32 v3, v1, 0, 16
	s_mov_b64 s[6:7], 0
	global_store_dword v[8:9], v3, off
.LBB456_1528:
	s_andn2_b64 vcc, exec, s[6:7]
	s_cbranch_vccnz .LBB456_1530
; %bb.1529:
	global_store_short v[8:9], v1, off
.LBB456_1530:
	s_mov_b64 s[6:7], 0
.LBB456_1531:
	s_andn2_b64 vcc, exec, s[6:7]
	s_cbranch_vccnz .LBB456_1539
; %bb.1532:
	v_cvt_f32_i32_sdwa v3, sext(v1) dst_sel:DWORD dst_unused:UNUSED_PAD src0_sel:WORD_0
	s_mov_b32 s6, 0x43800000
	v_mov_b32_e32 v7, 0x80
	v_and_b32_e32 v5, 0x7fffffff, v3
	v_cmp_gt_u32_e32 vcc, s6, v5
	s_and_saveexec_b64 s[6:7], vcc
	s_cbranch_execz .LBB456_1538
; %bb.1533:
	s_mov_b32 s16, 0x3bffffff
	v_cmp_lt_u32_e32 vcc, s16, v5
	s_mov_b64 s[16:17], 0
                                        ; implicit-def: $vgpr5
	s_and_saveexec_b64 s[18:19], vcc
	s_xor_b64 s[18:19], exec, s[18:19]
	s_cbranch_execz .LBB456_1987
; %bb.1534:
	v_bfe_u32 v5, v3, 20, 1
	s_mov_b32 s21, 0x487ffff
	v_add3_u32 v5, v3, v5, s21
	s_mov_b64 s[16:17], exec
	v_lshrrev_b32_e32 v5, 20, v5
	s_andn2_saveexec_b64 s[18:19], s[18:19]
	s_cbranch_execnz .LBB456_1988
.LBB456_1535:
	s_or_b64 exec, exec, s[18:19]
	v_mov_b32_e32 v7, 0
	s_and_saveexec_b64 s[18:19], s[16:17]
.LBB456_1536:
	v_lshrrev_b32_e32 v3, 24, v3
	s_movk_i32 s16, 0x80
	v_and_or_b32 v7, v3, s16, v5
.LBB456_1537:
	s_or_b64 exec, exec, s[18:19]
.LBB456_1538:
	s_or_b64 exec, exec, s[6:7]
	global_store_byte v[8:9], v7, off
.LBB456_1539:
	s_mov_b64 s[6:7], -1
.LBB456_1540:
	s_mov_b64 s[16:17], 0
.LBB456_1541:
	s_and_b64 vcc, exec, s[16:17]
	s_cbranch_vccz .LBB456_1581
; %bb.1542:
	s_cmp_gt_i32 s9, 22
	s_mov_b64 s[2:3], -1
	s_cbranch_scc0 .LBB456_1574
; %bb.1543:
	s_cmp_lt_i32 s9, 24
	s_cbranch_scc1 .LBB456_1563
; %bb.1544:
	s_cmp_gt_i32 s9, 24
	s_cbranch_scc0 .LBB456_1552
; %bb.1545:
	v_cvt_f32_i32_sdwa v3, sext(v1) dst_sel:DWORD dst_unused:UNUSED_PAD src0_sel:WORD_0
	s_mov_b32 s2, 0x47800000
	v_mov_b32_e32 v7, 0x80
	v_and_b32_e32 v5, 0x7fffffff, v3
	v_cmp_gt_u32_e32 vcc, s2, v5
	s_and_saveexec_b64 s[2:3], vcc
	s_cbranch_execz .LBB456_1551
; %bb.1546:
	s_mov_b32 s6, 0x37ffffff
	v_cmp_lt_u32_e32 vcc, s6, v5
	s_mov_b64 s[6:7], 0
                                        ; implicit-def: $vgpr5
	s_and_saveexec_b64 s[16:17], vcc
	s_xor_b64 s[16:17], exec, s[16:17]
	s_cbranch_execz .LBB456_1990
; %bb.1547:
	v_bfe_u32 v5, v3, 21, 1
	s_mov_b32 s18, 0x88fffff
	v_add3_u32 v5, v3, v5, s18
	s_mov_b64 s[6:7], exec
	v_lshrrev_b32_e32 v5, 21, v5
	s_andn2_saveexec_b64 s[16:17], s[16:17]
	s_cbranch_execnz .LBB456_1991
.LBB456_1548:
	s_or_b64 exec, exec, s[16:17]
	v_mov_b32_e32 v7, 0
	s_and_saveexec_b64 s[16:17], s[6:7]
.LBB456_1549:
	v_lshrrev_b32_e32 v3, 24, v3
	s_movk_i32 s6, 0x80
	v_and_or_b32 v7, v3, s6, v5
.LBB456_1550:
	s_or_b64 exec, exec, s[16:17]
.LBB456_1551:
	s_or_b64 exec, exec, s[2:3]
	s_mov_b64 s[2:3], 0
	global_store_byte v[8:9], v7, off
.LBB456_1552:
	s_and_b64 vcc, exec, s[2:3]
	s_cbranch_vccz .LBB456_1562
; %bb.1553:
	v_cvt_f32_i32_sdwa v3, sext(v1) dst_sel:DWORD dst_unused:UNUSED_PAD src0_sel:WORD_0
	s_mov_b32 s2, 0x43f00000
                                        ; implicit-def: $vgpr5
	v_and_b32_e32 v7, 0x7fffffff, v3
	v_cmp_gt_u32_e32 vcc, s2, v7
	s_and_saveexec_b64 s[2:3], vcc
	s_xor_b64 s[2:3], exec, s[2:3]
	s_cbranch_execz .LBB456_1559
; %bb.1554:
	s_mov_b32 s6, 0x3c7fffff
	v_cmp_lt_u32_e32 vcc, s6, v7
                                        ; implicit-def: $vgpr5
	s_and_saveexec_b64 s[6:7], vcc
	s_xor_b64 s[6:7], exec, s[6:7]
; %bb.1555:
	v_bfe_u32 v5, v3, 20, 1
	s_mov_b32 s16, 0x407ffff
	v_add3_u32 v5, v3, v5, s16
	v_lshrrev_b32_e32 v7, 20, v5
	v_and_b32_e32 v5, 0xff00000, v5
	s_mov_b32 s16, 0x7f00000
	v_mov_b32_e32 v10, 0x7e
	v_cmp_ne_u32_e32 vcc, s16, v5
	s_nop 1
	v_cndmask_b32_e32 v5, v10, v7, vcc
; %bb.1556:
	s_andn2_saveexec_b64 s[6:7], s[6:7]
; %bb.1557:
	s_mov_b32 s16, 0x46800000
	v_add_f32_e64 v5, |v3|, s16
; %bb.1558:
	s_or_b64 exec, exec, s[6:7]
                                        ; implicit-def: $vgpr7
.LBB456_1559:
	s_andn2_saveexec_b64 s[2:3], s[2:3]
; %bb.1560:
	s_mov_b32 s6, 0x7f800000
	v_mov_b32_e32 v5, 0x7e
	v_mov_b32_e32 v10, 0x7f
	v_cmp_lt_u32_e32 vcc, s6, v7
	s_nop 1
	v_cndmask_b32_e32 v5, v5, v10, vcc
; %bb.1561:
	s_or_b64 exec, exec, s[2:3]
	v_lshrrev_b32_e32 v3, 24, v3
	s_movk_i32 s2, 0x80
	v_and_or_b32 v3, v3, s2, v5
	global_store_byte v[8:9], v3, off
.LBB456_1562:
	s_mov_b64 s[2:3], 0
.LBB456_1563:
	s_andn2_b64 vcc, exec, s[2:3]
	s_cbranch_vccnz .LBB456_1573
; %bb.1564:
	v_cvt_f32_i32_sdwa v3, sext(v1) dst_sel:DWORD dst_unused:UNUSED_PAD src0_sel:WORD_0
	s_mov_b32 s2, 0x47800000
                                        ; implicit-def: $vgpr5
	v_and_b32_e32 v7, 0x7fffffff, v3
	v_cmp_gt_u32_e32 vcc, s2, v7
	s_and_saveexec_b64 s[2:3], vcc
	s_xor_b64 s[2:3], exec, s[2:3]
	s_cbranch_execz .LBB456_1570
; %bb.1565:
	s_mov_b32 s6, 0x387fffff
	v_cmp_lt_u32_e32 vcc, s6, v7
                                        ; implicit-def: $vgpr5
	s_and_saveexec_b64 s[6:7], vcc
	s_xor_b64 s[6:7], exec, s[6:7]
; %bb.1566:
	v_bfe_u32 v5, v3, 21, 1
	s_mov_b32 s16, 0x80fffff
	v_add3_u32 v5, v3, v5, s16
	v_lshrrev_b32_e32 v5, 21, v5
; %bb.1567:
	s_andn2_saveexec_b64 s[6:7], s[6:7]
; %bb.1568:
	s_mov_b32 s16, 0x43000000
	v_add_f32_e64 v5, |v3|, s16
; %bb.1569:
	s_or_b64 exec, exec, s[6:7]
                                        ; implicit-def: $vgpr7
.LBB456_1570:
	s_andn2_saveexec_b64 s[2:3], s[2:3]
; %bb.1571:
	s_mov_b32 s6, 0x7f800000
	v_mov_b32_e32 v5, 0x7c
	v_mov_b32_e32 v10, 0x7f
	v_cmp_lt_u32_e32 vcc, s6, v7
	s_nop 1
	v_cndmask_b32_e32 v5, v5, v10, vcc
; %bb.1572:
	s_or_b64 exec, exec, s[2:3]
	v_lshrrev_b32_e32 v3, 24, v3
	s_movk_i32 s2, 0x80
	v_and_or_b32 v3, v3, s2, v5
	global_store_byte v[8:9], v3, off
.LBB456_1573:
	s_mov_b64 s[2:3], 0
	s_mov_b64 s[6:7], -1
.LBB456_1574:
	s_andn2_b64 vcc, exec, s[2:3]
	s_mov_b64 s[2:3], 0
	s_cbranch_vccnz .LBB456_1581
; %bb.1575:
	s_cmp_gt_i32 s9, 14
	s_mov_b64 s[16:17], -1
	s_cbranch_scc0 .LBB456_1579
; %bb.1576:
	s_cmp_eq_u32 s9, 15
	s_mov_b64 s[0:1], -1
	s_cbranch_scc0 .LBB456_1578
; %bb.1577:
	v_cvt_f32_i32_sdwa v3, sext(v1) dst_sel:DWORD dst_unused:UNUSED_PAD src0_sel:WORD_0
	s_movk_i32 s2, 0x7fff
	s_mov_b64 s[0:1], 0
	s_mov_b64 s[6:7], -1
	v_bfe_u32 v5, v3, 16, 1
	v_add3_u32 v3, v3, v5, s2
	global_store_short_d16_hi v[8:9], v3, off
.LBB456_1578:
	s_mov_b64 s[16:17], 0
.LBB456_1579:
	s_mov_b64 s[2:3], 0
	s_and_b64 vcc, exec, s[16:17]
	s_cbranch_vccz .LBB456_1581
; %bb.1580:
	s_cmp_lg_u32 s9, 11
	s_mov_b64 s[2:3], -1
	s_cselect_b64 s[0:1], -1, 0
.LBB456_1581:
	s_and_b64 vcc, exec, s[0:1]
	s_cbranch_vccnz .LBB456_1989
; %bb.1582:
	s_andn2_b64 vcc, exec, s[2:3]
	s_cbranch_vccnz .LBB456_1584
.LBB456_1583:
	v_cmp_ne_u16_e32 vcc, 0, v1
	s_mov_b64 s[6:7], -1
	s_nop 0
	v_cndmask_b32_e64 v3, 0, 1, vcc
	global_store_byte v[8:9], v3, off
.LBB456_1584:
	s_mov_b64 s[0:1], 0
	s_branch .LBB456_1586
.LBB456_1585:
	s_mov_b64 s[0:1], -1
	s_mov_b64 s[6:7], 0
.LBB456_1586:
	s_and_b64 vcc, exec, s[0:1]
	s_cbranch_vccz .LBB456_1625
; %bb.1587:
	s_and_b32 s2, 0xffff, s20
	s_cmp_lt_i32 s2, 5
	s_mov_b64 s[0:1], -1
	s_cbranch_scc1 .LBB456_1608
; %bb.1588:
	s_cmp_lt_i32 s2, 8
	s_cbranch_scc1 .LBB456_1598
; %bb.1589:
	s_cmp_lt_i32 s2, 9
	s_cbranch_scc1 .LBB456_1595
; %bb.1590:
	s_cmp_gt_i32 s2, 9
	s_cbranch_scc0 .LBB456_1592
; %bb.1591:
	v_bfe_i32 v3, v1, 0, 16
	v_mov_b32_e32 v12, 0
	v_cvt_f64_i32_e32 v[10:11], v3
	v_mov_b32_e32 v13, v12
	global_store_dwordx4 v[8:9], v[10:13], off
	s_mov_b64 s[0:1], 0
.LBB456_1592:
	s_andn2_b64 vcc, exec, s[0:1]
	s_cbranch_vccnz .LBB456_1594
; %bb.1593:
	v_cvt_f32_i32_sdwa v10, sext(v1) dst_sel:DWORD dst_unused:UNUSED_PAD src0_sel:WORD_0
	v_mov_b32_e32 v11, 0
	global_store_dwordx2 v[8:9], v[10:11], off
.LBB456_1594:
	s_mov_b64 s[0:1], 0
.LBB456_1595:
	s_andn2_b64 vcc, exec, s[0:1]
	s_cbranch_vccnz .LBB456_1597
; %bb.1596:
	v_cvt_f16_i16_e32 v3, v1
	global_store_dword v[8:9], v3, off
.LBB456_1597:
	s_mov_b64 s[0:1], 0
.LBB456_1598:
	s_andn2_b64 vcc, exec, s[0:1]
	s_cbranch_vccnz .LBB456_1607
; %bb.1599:
	s_cmp_lt_i32 s2, 6
	s_mov_b64 s[0:1], -1
	s_cbranch_scc1 .LBB456_1605
; %bb.1600:
	s_cmp_gt_i32 s2, 6
	s_cbranch_scc0 .LBB456_1602
; %bb.1601:
	v_bfe_i32 v3, v1, 0, 16
	v_cvt_f64_i32_e32 v[10:11], v3
	global_store_dwordx2 v[8:9], v[10:11], off
	s_mov_b64 s[0:1], 0
.LBB456_1602:
	s_andn2_b64 vcc, exec, s[0:1]
	s_cbranch_vccnz .LBB456_1604
; %bb.1603:
	v_cvt_f32_i32_sdwa v3, sext(v1) dst_sel:DWORD dst_unused:UNUSED_PAD src0_sel:WORD_0
	global_store_dword v[8:9], v3, off
.LBB456_1604:
	s_mov_b64 s[0:1], 0
.LBB456_1605:
	s_andn2_b64 vcc, exec, s[0:1]
	s_cbranch_vccnz .LBB456_1607
; %bb.1606:
	v_cvt_f16_i16_e32 v3, v1
	global_store_short v[8:9], v3, off
.LBB456_1607:
	s_mov_b64 s[0:1], 0
.LBB456_1608:
	s_andn2_b64 vcc, exec, s[0:1]
	s_cbranch_vccnz .LBB456_1624
; %bb.1609:
	s_cmp_lt_i32 s2, 2
	s_mov_b64 s[0:1], -1
	s_cbranch_scc1 .LBB456_1619
; %bb.1610:
	s_cmp_lt_i32 s2, 3
	s_cbranch_scc1 .LBB456_1616
; %bb.1611:
	s_cmp_gt_i32 s2, 3
	v_bfe_i32 v10, v1, 0, 16
	s_cbranch_scc0 .LBB456_1613
; %bb.1612:
	v_ashrrev_i32_e32 v11, 31, v10
	global_store_dwordx2 v[8:9], v[10:11], off
	s_mov_b64 s[0:1], 0
.LBB456_1613:
	s_andn2_b64 vcc, exec, s[0:1]
	s_cbranch_vccnz .LBB456_1615
; %bb.1614:
	global_store_dword v[8:9], v10, off
.LBB456_1615:
	s_mov_b64 s[0:1], 0
.LBB456_1616:
	s_andn2_b64 vcc, exec, s[0:1]
	s_cbranch_vccnz .LBB456_1618
; %bb.1617:
	global_store_short v[8:9], v1, off
.LBB456_1618:
	s_mov_b64 s[0:1], 0
.LBB456_1619:
	s_andn2_b64 vcc, exec, s[0:1]
	s_cbranch_vccnz .LBB456_1624
; %bb.1620:
	s_cmp_gt_i32 s2, 0
	s_mov_b64 s[0:1], -1
	s_cbranch_scc0 .LBB456_1622
; %bb.1621:
	global_store_byte v[8:9], v1, off
	s_mov_b64 s[0:1], 0
.LBB456_1622:
	s_andn2_b64 vcc, exec, s[0:1]
	s_cbranch_vccnz .LBB456_1624
; %bb.1623:
	global_store_byte v[8:9], v1, off
.LBB456_1624:
	s_mov_b64 s[6:7], -1
.LBB456_1625:
	s_andn2_b64 vcc, exec, s[6:7]
	s_cbranch_vccnz .LBB456_1940
; %bb.1626:
	s_lshl_b32 s18, s8, 7
	v_min_i16_e32 v1, s33, v4
	v_add_u32_e32 v4, s18, v6
	v_ashrrev_i32_e32 v5, 31, v4
	s_cmp_lt_i32 s20, 11
	v_lshl_add_u64 v[6:7], s[4:5], 0, v[4:5]
	s_cbranch_scc1 .LBB456_1704
; %bb.1627:
	s_and_b32 s19, 0xffff, s20
	s_mov_b64 s[8:9], -1
	s_mov_b64 s[2:3], 0
	s_cmp_gt_i32 s19, 25
	s_mov_b64 s[6:7], 0
	s_mov_b64 s[0:1], 0
	s_cbranch_scc0 .LBB456_1660
; %bb.1628:
	s_cmp_gt_i32 s19, 28
	s_cbranch_scc0 .LBB456_1643
; %bb.1629:
	s_cmp_gt_i32 s19, 43
	;; [unrolled: 3-line block ×3, first 2 shown]
	s_cbranch_scc0 .LBB456_1633
; %bb.1631:
	s_mov_b64 s[0:1], -1
	s_mov_b64 s[8:9], 0
	s_cmp_eq_u32 s19, 46
	s_cbranch_scc0 .LBB456_1633
; %bb.1632:
	v_cvt_f32_i32_sdwa v3, sext(v1) dst_sel:DWORD dst_unused:UNUSED_PAD src0_sel:WORD_0
	s_movk_i32 s6, 0x7fff
	s_mov_b64 s[0:1], 0
	v_bfe_u32 v5, v3, 16, 1
	v_add3_u32 v3, v3, v5, s6
	v_lshrrev_b32_e32 v3, 16, v3
	global_store_dword v[6:7], v3, off
	s_mov_b64 s[6:7], -1
.LBB456_1633:
	s_and_b64 vcc, exec, s[8:9]
	s_cbranch_vccz .LBB456_1638
; %bb.1634:
	s_cmp_eq_u32 s19, 44
	s_mov_b64 s[0:1], -1
	s_cbranch_scc0 .LBB456_1638
; %bb.1635:
	v_cvt_f32_i32_sdwa v3, sext(v1) dst_sel:DWORD dst_unused:UNUSED_PAD src0_sel:WORD_0
	s_movk_i32 s0, 0xff
	v_mov_b32_e32 v8, 0xff
	v_bfe_u32 v5, v3, 23, 8
	v_cmp_ne_u32_e32 vcc, s0, v5
	s_and_saveexec_b64 s[6:7], vcc
; %bb.1636:
	s_mov_b32 s0, 0x3fffff
	v_lshrrev_b32_e32 v8, 23, v3
	v_and_b32_e32 v9, 0x400000, v3
	v_and_or_b32 v3, v3, s0, v5
	v_cmp_ne_u32_e32 vcc, 0, v9
	v_cmp_ne_u32_e64 s[0:1], 0, v3
	s_and_b64 s[0:1], vcc, s[0:1]
	s_nop 0
	v_cndmask_b32_e64 v3, 0, 1, s[0:1]
	v_add_u32_e32 v8, v8, v3
; %bb.1637:
	s_or_b64 exec, exec, s[6:7]
	s_mov_b64 s[0:1], 0
	s_mov_b64 s[6:7], -1
	global_store_byte v[6:7], v8, off
.LBB456_1638:
	s_mov_b64 s[8:9], 0
.LBB456_1639:
	s_and_b64 vcc, exec, s[8:9]
	s_cbranch_vccz .LBB456_1642
; %bb.1640:
	s_cmp_eq_u32 s19, 29
	s_mov_b64 s[0:1], -1
	s_cbranch_scc0 .LBB456_1642
; %bb.1641:
	v_bfe_i32 v8, v1, 0, 16
	v_ashrrev_i32_e32 v9, 31, v8
	global_store_dwordx2 v[6:7], v[8:9], off
	s_mov_b64 s[0:1], 0
	s_mov_b64 s[6:7], -1
.LBB456_1642:
	s_mov_b64 s[8:9], 0
.LBB456_1643:
	s_and_b64 vcc, exec, s[8:9]
	s_cbranch_vccz .LBB456_1659
; %bb.1644:
	s_cmp_lt_i32 s19, 27
	s_mov_b64 s[6:7], -1
	s_cbranch_scc1 .LBB456_1650
; %bb.1645:
	s_cmp_gt_i32 s19, 27
	s_cbranch_scc0 .LBB456_1647
; %bb.1646:
	v_bfe_i32 v3, v1, 0, 16
	s_mov_b64 s[6:7], 0
	global_store_dword v[6:7], v3, off
.LBB456_1647:
	s_andn2_b64 vcc, exec, s[6:7]
	s_cbranch_vccnz .LBB456_1649
; %bb.1648:
	global_store_short v[6:7], v1, off
.LBB456_1649:
	s_mov_b64 s[6:7], 0
.LBB456_1650:
	s_andn2_b64 vcc, exec, s[6:7]
	s_cbranch_vccnz .LBB456_1658
; %bb.1651:
	v_cvt_f32_i32_sdwa v3, sext(v1) dst_sel:DWORD dst_unused:UNUSED_PAD src0_sel:WORD_0
	s_mov_b32 s6, 0x43800000
	v_mov_b32_e32 v8, 0x80
	v_and_b32_e32 v5, 0x7fffffff, v3
	v_cmp_gt_u32_e32 vcc, s6, v5
	s_and_saveexec_b64 s[6:7], vcc
	s_cbranch_execz .LBB456_1657
; %bb.1652:
	s_mov_b32 s8, 0x3bffffff
	v_cmp_lt_u32_e32 vcc, s8, v5
	s_mov_b64 s[8:9], 0
                                        ; implicit-def: $vgpr5
	s_and_saveexec_b64 s[16:17], vcc
	s_xor_b64 s[16:17], exec, s[16:17]
	s_cbranch_execz .LBB456_1992
; %bb.1653:
	v_bfe_u32 v5, v3, 20, 1
	s_mov_b32 s21, 0x487ffff
	v_add3_u32 v5, v3, v5, s21
	s_mov_b64 s[8:9], exec
	v_lshrrev_b32_e32 v5, 20, v5
	s_andn2_saveexec_b64 s[16:17], s[16:17]
	s_cbranch_execnz .LBB456_1993
.LBB456_1654:
	s_or_b64 exec, exec, s[16:17]
	v_mov_b32_e32 v8, 0
	s_and_saveexec_b64 s[16:17], s[8:9]
.LBB456_1655:
	v_lshrrev_b32_e32 v3, 24, v3
	s_movk_i32 s8, 0x80
	v_and_or_b32 v8, v3, s8, v5
.LBB456_1656:
	s_or_b64 exec, exec, s[16:17]
.LBB456_1657:
	s_or_b64 exec, exec, s[6:7]
	global_store_byte v[6:7], v8, off
.LBB456_1658:
	s_mov_b64 s[6:7], -1
.LBB456_1659:
	s_mov_b64 s[8:9], 0
.LBB456_1660:
	s_and_b64 vcc, exec, s[8:9]
	s_cbranch_vccz .LBB456_1700
; %bb.1661:
	s_cmp_gt_i32 s19, 22
	s_mov_b64 s[2:3], -1
	s_cbranch_scc0 .LBB456_1693
; %bb.1662:
	s_cmp_lt_i32 s19, 24
	s_cbranch_scc1 .LBB456_1682
; %bb.1663:
	s_cmp_gt_i32 s19, 24
	s_cbranch_scc0 .LBB456_1671
; %bb.1664:
	v_cvt_f32_i32_sdwa v3, sext(v1) dst_sel:DWORD dst_unused:UNUSED_PAD src0_sel:WORD_0
	s_mov_b32 s2, 0x47800000
	v_mov_b32_e32 v8, 0x80
	v_and_b32_e32 v5, 0x7fffffff, v3
	v_cmp_gt_u32_e32 vcc, s2, v5
	s_and_saveexec_b64 s[2:3], vcc
	s_cbranch_execz .LBB456_1670
; %bb.1665:
	s_mov_b32 s6, 0x37ffffff
	v_cmp_lt_u32_e32 vcc, s6, v5
	s_mov_b64 s[6:7], 0
                                        ; implicit-def: $vgpr5
	s_and_saveexec_b64 s[8:9], vcc
	s_xor_b64 s[8:9], exec, s[8:9]
	s_cbranch_execz .LBB456_1995
; %bb.1666:
	v_bfe_u32 v5, v3, 21, 1
	s_mov_b32 s16, 0x88fffff
	v_add3_u32 v5, v3, v5, s16
	s_mov_b64 s[6:7], exec
	v_lshrrev_b32_e32 v5, 21, v5
	s_andn2_saveexec_b64 s[8:9], s[8:9]
	s_cbranch_execnz .LBB456_1996
.LBB456_1667:
	s_or_b64 exec, exec, s[8:9]
	v_mov_b32_e32 v8, 0
	s_and_saveexec_b64 s[8:9], s[6:7]
.LBB456_1668:
	v_lshrrev_b32_e32 v3, 24, v3
	s_movk_i32 s6, 0x80
	v_and_or_b32 v8, v3, s6, v5
.LBB456_1669:
	s_or_b64 exec, exec, s[8:9]
.LBB456_1670:
	s_or_b64 exec, exec, s[2:3]
	s_mov_b64 s[2:3], 0
	global_store_byte v[6:7], v8, off
.LBB456_1671:
	s_and_b64 vcc, exec, s[2:3]
	s_cbranch_vccz .LBB456_1681
; %bb.1672:
	v_cvt_f32_i32_sdwa v3, sext(v1) dst_sel:DWORD dst_unused:UNUSED_PAD src0_sel:WORD_0
	s_mov_b32 s2, 0x43f00000
                                        ; implicit-def: $vgpr5
	v_and_b32_e32 v8, 0x7fffffff, v3
	v_cmp_gt_u32_e32 vcc, s2, v8
	s_and_saveexec_b64 s[2:3], vcc
	s_xor_b64 s[2:3], exec, s[2:3]
	s_cbranch_execz .LBB456_1678
; %bb.1673:
	s_mov_b32 s6, 0x3c7fffff
	v_cmp_lt_u32_e32 vcc, s6, v8
                                        ; implicit-def: $vgpr5
	s_and_saveexec_b64 s[6:7], vcc
	s_xor_b64 s[6:7], exec, s[6:7]
; %bb.1674:
	v_bfe_u32 v5, v3, 20, 1
	s_mov_b32 s8, 0x407ffff
	v_add3_u32 v5, v3, v5, s8
	v_lshrrev_b32_e32 v8, 20, v5
	v_and_b32_e32 v5, 0xff00000, v5
	s_mov_b32 s8, 0x7f00000
	v_mov_b32_e32 v9, 0x7e
	v_cmp_ne_u32_e32 vcc, s8, v5
	s_nop 1
	v_cndmask_b32_e32 v5, v9, v8, vcc
; %bb.1675:
	s_andn2_saveexec_b64 s[6:7], s[6:7]
; %bb.1676:
	s_mov_b32 s8, 0x46800000
	v_add_f32_e64 v5, |v3|, s8
; %bb.1677:
	s_or_b64 exec, exec, s[6:7]
                                        ; implicit-def: $vgpr8
.LBB456_1678:
	s_andn2_saveexec_b64 s[2:3], s[2:3]
; %bb.1679:
	s_mov_b32 s6, 0x7f800000
	v_mov_b32_e32 v5, 0x7e
	v_mov_b32_e32 v9, 0x7f
	v_cmp_lt_u32_e32 vcc, s6, v8
	s_nop 1
	v_cndmask_b32_e32 v5, v5, v9, vcc
; %bb.1680:
	s_or_b64 exec, exec, s[2:3]
	v_lshrrev_b32_e32 v3, 24, v3
	s_movk_i32 s2, 0x80
	v_and_or_b32 v3, v3, s2, v5
	global_store_byte v[6:7], v3, off
.LBB456_1681:
	s_mov_b64 s[2:3], 0
.LBB456_1682:
	s_andn2_b64 vcc, exec, s[2:3]
	s_cbranch_vccnz .LBB456_1692
; %bb.1683:
	v_cvt_f32_i32_sdwa v3, sext(v1) dst_sel:DWORD dst_unused:UNUSED_PAD src0_sel:WORD_0
	s_mov_b32 s2, 0x47800000
                                        ; implicit-def: $vgpr5
	v_and_b32_e32 v8, 0x7fffffff, v3
	v_cmp_gt_u32_e32 vcc, s2, v8
	s_and_saveexec_b64 s[2:3], vcc
	s_xor_b64 s[2:3], exec, s[2:3]
	s_cbranch_execz .LBB456_1689
; %bb.1684:
	s_mov_b32 s6, 0x387fffff
	v_cmp_lt_u32_e32 vcc, s6, v8
                                        ; implicit-def: $vgpr5
	s_and_saveexec_b64 s[6:7], vcc
	s_xor_b64 s[6:7], exec, s[6:7]
; %bb.1685:
	v_bfe_u32 v5, v3, 21, 1
	s_mov_b32 s8, 0x80fffff
	v_add3_u32 v5, v3, v5, s8
	v_lshrrev_b32_e32 v5, 21, v5
; %bb.1686:
	s_andn2_saveexec_b64 s[6:7], s[6:7]
; %bb.1687:
	s_mov_b32 s8, 0x43000000
	v_add_f32_e64 v5, |v3|, s8
; %bb.1688:
	s_or_b64 exec, exec, s[6:7]
                                        ; implicit-def: $vgpr8
.LBB456_1689:
	s_andn2_saveexec_b64 s[2:3], s[2:3]
; %bb.1690:
	s_mov_b32 s6, 0x7f800000
	v_mov_b32_e32 v5, 0x7c
	v_mov_b32_e32 v9, 0x7f
	v_cmp_lt_u32_e32 vcc, s6, v8
	s_nop 1
	v_cndmask_b32_e32 v5, v5, v9, vcc
; %bb.1691:
	s_or_b64 exec, exec, s[2:3]
	v_lshrrev_b32_e32 v3, 24, v3
	s_movk_i32 s2, 0x80
	v_and_or_b32 v3, v3, s2, v5
	global_store_byte v[6:7], v3, off
.LBB456_1692:
	s_mov_b64 s[2:3], 0
	s_mov_b64 s[6:7], -1
.LBB456_1693:
	s_andn2_b64 vcc, exec, s[2:3]
	s_mov_b64 s[2:3], 0
	s_cbranch_vccnz .LBB456_1700
; %bb.1694:
	s_cmp_gt_i32 s19, 14
	s_mov_b64 s[8:9], -1
	s_cbranch_scc0 .LBB456_1698
; %bb.1695:
	s_cmp_eq_u32 s19, 15
	s_mov_b64 s[0:1], -1
	s_cbranch_scc0 .LBB456_1697
; %bb.1696:
	v_cvt_f32_i32_sdwa v3, sext(v1) dst_sel:DWORD dst_unused:UNUSED_PAD src0_sel:WORD_0
	s_movk_i32 s2, 0x7fff
	s_mov_b64 s[0:1], 0
	s_mov_b64 s[6:7], -1
	v_bfe_u32 v5, v3, 16, 1
	v_add3_u32 v3, v3, v5, s2
	global_store_short_d16_hi v[6:7], v3, off
.LBB456_1697:
	s_mov_b64 s[8:9], 0
.LBB456_1698:
	s_mov_b64 s[2:3], 0
	s_and_b64 vcc, exec, s[8:9]
	s_cbranch_vccz .LBB456_1700
; %bb.1699:
	s_cmp_lg_u32 s19, 11
	s_mov_b64 s[2:3], -1
	s_cselect_b64 s[0:1], -1, 0
.LBB456_1700:
	s_and_b64 vcc, exec, s[0:1]
	s_cbranch_vccnz .LBB456_1994
; %bb.1701:
	s_andn2_b64 vcc, exec, s[2:3]
	s_cbranch_vccnz .LBB456_1703
.LBB456_1702:
	v_cmp_ne_u16_e32 vcc, 0, v1
	s_mov_b64 s[6:7], -1
	s_nop 0
	v_cndmask_b32_e64 v3, 0, 1, vcc
	global_store_byte v[6:7], v3, off
.LBB456_1703:
	s_mov_b64 s[0:1], 0
	s_branch .LBB456_1705
.LBB456_1704:
	s_mov_b64 s[0:1], -1
	s_mov_b64 s[6:7], 0
.LBB456_1705:
	s_and_b64 vcc, exec, s[0:1]
	s_cbranch_vccz .LBB456_1744
; %bb.1706:
	s_and_b32 s2, 0xffff, s20
	s_cmp_lt_i32 s2, 5
	s_mov_b64 s[0:1], -1
	s_cbranch_scc1 .LBB456_1727
; %bb.1707:
	s_cmp_lt_i32 s2, 8
	s_cbranch_scc1 .LBB456_1717
; %bb.1708:
	s_cmp_lt_i32 s2, 9
	s_cbranch_scc1 .LBB456_1714
; %bb.1709:
	s_cmp_gt_i32 s2, 9
	s_cbranch_scc0 .LBB456_1711
; %bb.1710:
	v_bfe_i32 v3, v1, 0, 16
	v_mov_b32_e32 v10, 0
	v_cvt_f64_i32_e32 v[8:9], v3
	v_mov_b32_e32 v11, v10
	global_store_dwordx4 v[6:7], v[8:11], off
	s_mov_b64 s[0:1], 0
.LBB456_1711:
	s_andn2_b64 vcc, exec, s[0:1]
	s_cbranch_vccnz .LBB456_1713
; %bb.1712:
	v_cvt_f32_i32_sdwa v8, sext(v1) dst_sel:DWORD dst_unused:UNUSED_PAD src0_sel:WORD_0
	v_mov_b32_e32 v9, 0
	global_store_dwordx2 v[6:7], v[8:9], off
.LBB456_1713:
	s_mov_b64 s[0:1], 0
.LBB456_1714:
	s_andn2_b64 vcc, exec, s[0:1]
	s_cbranch_vccnz .LBB456_1716
; %bb.1715:
	v_cvt_f16_i16_e32 v3, v1
	global_store_dword v[6:7], v3, off
.LBB456_1716:
	s_mov_b64 s[0:1], 0
.LBB456_1717:
	s_andn2_b64 vcc, exec, s[0:1]
	s_cbranch_vccnz .LBB456_1726
; %bb.1718:
	s_cmp_lt_i32 s2, 6
	s_mov_b64 s[0:1], -1
	s_cbranch_scc1 .LBB456_1724
; %bb.1719:
	s_cmp_gt_i32 s2, 6
	s_cbranch_scc0 .LBB456_1721
; %bb.1720:
	v_bfe_i32 v3, v1, 0, 16
	v_cvt_f64_i32_e32 v[8:9], v3
	global_store_dwordx2 v[6:7], v[8:9], off
	s_mov_b64 s[0:1], 0
.LBB456_1721:
	s_andn2_b64 vcc, exec, s[0:1]
	s_cbranch_vccnz .LBB456_1723
; %bb.1722:
	v_cvt_f32_i32_sdwa v3, sext(v1) dst_sel:DWORD dst_unused:UNUSED_PAD src0_sel:WORD_0
	global_store_dword v[6:7], v3, off
.LBB456_1723:
	s_mov_b64 s[0:1], 0
.LBB456_1724:
	s_andn2_b64 vcc, exec, s[0:1]
	s_cbranch_vccnz .LBB456_1726
; %bb.1725:
	v_cvt_f16_i16_e32 v3, v1
	global_store_short v[6:7], v3, off
.LBB456_1726:
	s_mov_b64 s[0:1], 0
.LBB456_1727:
	s_andn2_b64 vcc, exec, s[0:1]
	s_cbranch_vccnz .LBB456_1743
; %bb.1728:
	s_cmp_lt_i32 s2, 2
	s_mov_b64 s[0:1], -1
	s_cbranch_scc1 .LBB456_1738
; %bb.1729:
	s_cmp_lt_i32 s2, 3
	s_cbranch_scc1 .LBB456_1735
; %bb.1730:
	s_cmp_gt_i32 s2, 3
	v_bfe_i32 v8, v1, 0, 16
	s_cbranch_scc0 .LBB456_1732
; %bb.1731:
	v_ashrrev_i32_e32 v9, 31, v8
	global_store_dwordx2 v[6:7], v[8:9], off
	s_mov_b64 s[0:1], 0
.LBB456_1732:
	s_andn2_b64 vcc, exec, s[0:1]
	s_cbranch_vccnz .LBB456_1734
; %bb.1733:
	global_store_dword v[6:7], v8, off
.LBB456_1734:
	s_mov_b64 s[0:1], 0
.LBB456_1735:
	s_andn2_b64 vcc, exec, s[0:1]
	s_cbranch_vccnz .LBB456_1737
; %bb.1736:
	global_store_short v[6:7], v1, off
.LBB456_1737:
	s_mov_b64 s[0:1], 0
.LBB456_1738:
	s_andn2_b64 vcc, exec, s[0:1]
	s_cbranch_vccnz .LBB456_1743
; %bb.1739:
	s_cmp_gt_i32 s2, 0
	s_mov_b64 s[0:1], -1
	s_cbranch_scc0 .LBB456_1741
; %bb.1740:
	global_store_byte v[6:7], v1, off
	s_mov_b64 s[0:1], 0
.LBB456_1741:
	s_andn2_b64 vcc, exec, s[0:1]
	s_cbranch_vccnz .LBB456_1743
; %bb.1742:
	global_store_byte v[6:7], v1, off
.LBB456_1743:
	s_mov_b64 s[6:7], -1
.LBB456_1744:
	s_andn2_b64 vcc, exec, s[6:7]
	s_cbranch_vccnz .LBB456_1940
; %bb.1745:
	v_min_i16_e32 v1, s33, v2
	v_add_u32_e32 v2, s18, v4
	v_ashrrev_i32_e32 v3, 31, v2
	s_cmp_lt_i32 s20, 11
	v_lshl_add_u64 v[4:5], s[4:5], 0, v[2:3]
	s_cbranch_scc1 .LBB456_1823
; %bb.1746:
	s_and_b32 s19, 0xffff, s20
	s_mov_b64 s[8:9], -1
	s_mov_b64 s[2:3], 0
	s_cmp_gt_i32 s19, 25
	s_mov_b64 s[6:7], 0
	s_mov_b64 s[0:1], 0
	s_cbranch_scc0 .LBB456_1779
; %bb.1747:
	s_cmp_gt_i32 s19, 28
	s_cbranch_scc0 .LBB456_1762
; %bb.1748:
	s_cmp_gt_i32 s19, 43
	;; [unrolled: 3-line block ×3, first 2 shown]
	s_cbranch_scc0 .LBB456_1752
; %bb.1750:
	s_mov_b64 s[0:1], -1
	s_mov_b64 s[8:9], 0
	s_cmp_eq_u32 s19, 46
	s_cbranch_scc0 .LBB456_1752
; %bb.1751:
	v_cvt_f32_i32_sdwa v3, sext(v1) dst_sel:DWORD dst_unused:UNUSED_PAD src0_sel:WORD_0
	s_movk_i32 s6, 0x7fff
	s_mov_b64 s[0:1], 0
	v_bfe_u32 v6, v3, 16, 1
	v_add3_u32 v3, v3, v6, s6
	v_lshrrev_b32_e32 v3, 16, v3
	global_store_dword v[4:5], v3, off
	s_mov_b64 s[6:7], -1
.LBB456_1752:
	s_and_b64 vcc, exec, s[8:9]
	s_cbranch_vccz .LBB456_1757
; %bb.1753:
	s_cmp_eq_u32 s19, 44
	s_mov_b64 s[0:1], -1
	s_cbranch_scc0 .LBB456_1757
; %bb.1754:
	v_cvt_f32_i32_sdwa v3, sext(v1) dst_sel:DWORD dst_unused:UNUSED_PAD src0_sel:WORD_0
	s_movk_i32 s0, 0xff
	v_mov_b32_e32 v7, 0xff
	v_bfe_u32 v6, v3, 23, 8
	v_cmp_ne_u32_e32 vcc, s0, v6
	s_and_saveexec_b64 s[6:7], vcc
; %bb.1755:
	s_mov_b32 s0, 0x3fffff
	v_lshrrev_b32_e32 v7, 23, v3
	v_and_b32_e32 v8, 0x400000, v3
	v_and_or_b32 v3, v3, s0, v6
	v_cmp_ne_u32_e32 vcc, 0, v8
	v_cmp_ne_u32_e64 s[0:1], 0, v3
	s_and_b64 s[0:1], vcc, s[0:1]
	s_nop 0
	v_cndmask_b32_e64 v3, 0, 1, s[0:1]
	v_add_u32_e32 v7, v7, v3
; %bb.1756:
	s_or_b64 exec, exec, s[6:7]
	s_mov_b64 s[0:1], 0
	s_mov_b64 s[6:7], -1
	global_store_byte v[4:5], v7, off
.LBB456_1757:
	s_mov_b64 s[8:9], 0
.LBB456_1758:
	s_and_b64 vcc, exec, s[8:9]
	s_cbranch_vccz .LBB456_1761
; %bb.1759:
	s_cmp_eq_u32 s19, 29
	s_mov_b64 s[0:1], -1
	s_cbranch_scc0 .LBB456_1761
; %bb.1760:
	v_bfe_i32 v6, v1, 0, 16
	v_ashrrev_i32_e32 v7, 31, v6
	global_store_dwordx2 v[4:5], v[6:7], off
	s_mov_b64 s[0:1], 0
	s_mov_b64 s[6:7], -1
.LBB456_1761:
	s_mov_b64 s[8:9], 0
.LBB456_1762:
	s_and_b64 vcc, exec, s[8:9]
	s_cbranch_vccz .LBB456_1778
; %bb.1763:
	s_cmp_lt_i32 s19, 27
	s_mov_b64 s[6:7], -1
	s_cbranch_scc1 .LBB456_1769
; %bb.1764:
	s_cmp_gt_i32 s19, 27
	s_cbranch_scc0 .LBB456_1766
; %bb.1765:
	v_bfe_i32 v3, v1, 0, 16
	s_mov_b64 s[6:7], 0
	global_store_dword v[4:5], v3, off
.LBB456_1766:
	s_andn2_b64 vcc, exec, s[6:7]
	s_cbranch_vccnz .LBB456_1768
; %bb.1767:
	global_store_short v[4:5], v1, off
.LBB456_1768:
	s_mov_b64 s[6:7], 0
.LBB456_1769:
	s_andn2_b64 vcc, exec, s[6:7]
	s_cbranch_vccnz .LBB456_1777
; %bb.1770:
	v_cvt_f32_i32_sdwa v3, sext(v1) dst_sel:DWORD dst_unused:UNUSED_PAD src0_sel:WORD_0
	s_mov_b32 s6, 0x43800000
	v_mov_b32_e32 v7, 0x80
	v_and_b32_e32 v6, 0x7fffffff, v3
	v_cmp_gt_u32_e32 vcc, s6, v6
	s_and_saveexec_b64 s[6:7], vcc
	s_cbranch_execz .LBB456_1776
; %bb.1771:
	s_mov_b32 s8, 0x3bffffff
	v_cmp_lt_u32_e32 vcc, s8, v6
	s_mov_b64 s[8:9], 0
                                        ; implicit-def: $vgpr6
	s_and_saveexec_b64 s[16:17], vcc
	s_xor_b64 s[16:17], exec, s[16:17]
	s_cbranch_execz .LBB456_1997
; %bb.1772:
	v_bfe_u32 v6, v3, 20, 1
	s_mov_b32 s21, 0x487ffff
	v_add3_u32 v6, v3, v6, s21
	s_mov_b64 s[8:9], exec
	v_lshrrev_b32_e32 v6, 20, v6
	s_andn2_saveexec_b64 s[16:17], s[16:17]
	s_cbranch_execnz .LBB456_1998
.LBB456_1773:
	s_or_b64 exec, exec, s[16:17]
	v_mov_b32_e32 v7, 0
	s_and_saveexec_b64 s[16:17], s[8:9]
.LBB456_1774:
	v_lshrrev_b32_e32 v3, 24, v3
	s_movk_i32 s8, 0x80
	v_and_or_b32 v7, v3, s8, v6
.LBB456_1775:
	s_or_b64 exec, exec, s[16:17]
.LBB456_1776:
	s_or_b64 exec, exec, s[6:7]
	global_store_byte v[4:5], v7, off
.LBB456_1777:
	s_mov_b64 s[6:7], -1
.LBB456_1778:
	s_mov_b64 s[8:9], 0
.LBB456_1779:
	s_and_b64 vcc, exec, s[8:9]
	s_cbranch_vccz .LBB456_1819
; %bb.1780:
	s_cmp_gt_i32 s19, 22
	s_mov_b64 s[2:3], -1
	s_cbranch_scc0 .LBB456_1812
; %bb.1781:
	s_cmp_lt_i32 s19, 24
	s_cbranch_scc1 .LBB456_1801
; %bb.1782:
	s_cmp_gt_i32 s19, 24
	s_cbranch_scc0 .LBB456_1790
; %bb.1783:
	v_cvt_f32_i32_sdwa v3, sext(v1) dst_sel:DWORD dst_unused:UNUSED_PAD src0_sel:WORD_0
	s_mov_b32 s2, 0x47800000
	v_mov_b32_e32 v7, 0x80
	v_and_b32_e32 v6, 0x7fffffff, v3
	v_cmp_gt_u32_e32 vcc, s2, v6
	s_and_saveexec_b64 s[2:3], vcc
	s_cbranch_execz .LBB456_1789
; %bb.1784:
	s_mov_b32 s6, 0x37ffffff
	v_cmp_lt_u32_e32 vcc, s6, v6
	s_mov_b64 s[6:7], 0
                                        ; implicit-def: $vgpr6
	s_and_saveexec_b64 s[8:9], vcc
	s_xor_b64 s[8:9], exec, s[8:9]
	s_cbranch_execz .LBB456_2000
; %bb.1785:
	v_bfe_u32 v6, v3, 21, 1
	s_mov_b32 s16, 0x88fffff
	v_add3_u32 v6, v3, v6, s16
	s_mov_b64 s[6:7], exec
	v_lshrrev_b32_e32 v6, 21, v6
	s_andn2_saveexec_b64 s[8:9], s[8:9]
	s_cbranch_execnz .LBB456_2001
.LBB456_1786:
	s_or_b64 exec, exec, s[8:9]
	v_mov_b32_e32 v7, 0
	s_and_saveexec_b64 s[8:9], s[6:7]
.LBB456_1787:
	v_lshrrev_b32_e32 v3, 24, v3
	s_movk_i32 s6, 0x80
	v_and_or_b32 v7, v3, s6, v6
.LBB456_1788:
	s_or_b64 exec, exec, s[8:9]
.LBB456_1789:
	s_or_b64 exec, exec, s[2:3]
	s_mov_b64 s[2:3], 0
	global_store_byte v[4:5], v7, off
.LBB456_1790:
	s_and_b64 vcc, exec, s[2:3]
	s_cbranch_vccz .LBB456_1800
; %bb.1791:
	v_cvt_f32_i32_sdwa v3, sext(v1) dst_sel:DWORD dst_unused:UNUSED_PAD src0_sel:WORD_0
	s_mov_b32 s2, 0x43f00000
                                        ; implicit-def: $vgpr6
	v_and_b32_e32 v7, 0x7fffffff, v3
	v_cmp_gt_u32_e32 vcc, s2, v7
	s_and_saveexec_b64 s[2:3], vcc
	s_xor_b64 s[2:3], exec, s[2:3]
	s_cbranch_execz .LBB456_1797
; %bb.1792:
	s_mov_b32 s6, 0x3c7fffff
	v_cmp_lt_u32_e32 vcc, s6, v7
                                        ; implicit-def: $vgpr6
	s_and_saveexec_b64 s[6:7], vcc
	s_xor_b64 s[6:7], exec, s[6:7]
; %bb.1793:
	v_bfe_u32 v6, v3, 20, 1
	s_mov_b32 s8, 0x407ffff
	v_add3_u32 v6, v3, v6, s8
	v_lshrrev_b32_e32 v7, 20, v6
	v_and_b32_e32 v6, 0xff00000, v6
	s_mov_b32 s8, 0x7f00000
	v_mov_b32_e32 v8, 0x7e
	v_cmp_ne_u32_e32 vcc, s8, v6
	s_nop 1
	v_cndmask_b32_e32 v6, v8, v7, vcc
; %bb.1794:
	s_andn2_saveexec_b64 s[6:7], s[6:7]
; %bb.1795:
	s_mov_b32 s8, 0x46800000
	v_add_f32_e64 v6, |v3|, s8
; %bb.1796:
	s_or_b64 exec, exec, s[6:7]
                                        ; implicit-def: $vgpr7
.LBB456_1797:
	s_andn2_saveexec_b64 s[2:3], s[2:3]
; %bb.1798:
	s_mov_b32 s6, 0x7f800000
	v_mov_b32_e32 v6, 0x7e
	v_mov_b32_e32 v8, 0x7f
	v_cmp_lt_u32_e32 vcc, s6, v7
	s_nop 1
	v_cndmask_b32_e32 v6, v6, v8, vcc
; %bb.1799:
	s_or_b64 exec, exec, s[2:3]
	v_lshrrev_b32_e32 v3, 24, v3
	s_movk_i32 s2, 0x80
	v_and_or_b32 v3, v3, s2, v6
	global_store_byte v[4:5], v3, off
.LBB456_1800:
	s_mov_b64 s[2:3], 0
.LBB456_1801:
	s_andn2_b64 vcc, exec, s[2:3]
	s_cbranch_vccnz .LBB456_1811
; %bb.1802:
	v_cvt_f32_i32_sdwa v3, sext(v1) dst_sel:DWORD dst_unused:UNUSED_PAD src0_sel:WORD_0
	s_mov_b32 s2, 0x47800000
                                        ; implicit-def: $vgpr6
	v_and_b32_e32 v7, 0x7fffffff, v3
	v_cmp_gt_u32_e32 vcc, s2, v7
	s_and_saveexec_b64 s[2:3], vcc
	s_xor_b64 s[2:3], exec, s[2:3]
	s_cbranch_execz .LBB456_1808
; %bb.1803:
	s_mov_b32 s6, 0x387fffff
	v_cmp_lt_u32_e32 vcc, s6, v7
                                        ; implicit-def: $vgpr6
	s_and_saveexec_b64 s[6:7], vcc
	s_xor_b64 s[6:7], exec, s[6:7]
; %bb.1804:
	v_bfe_u32 v6, v3, 21, 1
	s_mov_b32 s8, 0x80fffff
	v_add3_u32 v6, v3, v6, s8
	v_lshrrev_b32_e32 v6, 21, v6
; %bb.1805:
	s_andn2_saveexec_b64 s[6:7], s[6:7]
; %bb.1806:
	s_mov_b32 s8, 0x43000000
	v_add_f32_e64 v6, |v3|, s8
; %bb.1807:
	s_or_b64 exec, exec, s[6:7]
                                        ; implicit-def: $vgpr7
.LBB456_1808:
	s_andn2_saveexec_b64 s[2:3], s[2:3]
; %bb.1809:
	s_mov_b32 s6, 0x7f800000
	v_mov_b32_e32 v6, 0x7c
	v_mov_b32_e32 v8, 0x7f
	v_cmp_lt_u32_e32 vcc, s6, v7
	s_nop 1
	v_cndmask_b32_e32 v6, v6, v8, vcc
; %bb.1810:
	s_or_b64 exec, exec, s[2:3]
	v_lshrrev_b32_e32 v3, 24, v3
	s_movk_i32 s2, 0x80
	v_and_or_b32 v3, v3, s2, v6
	global_store_byte v[4:5], v3, off
.LBB456_1811:
	s_mov_b64 s[2:3], 0
	s_mov_b64 s[6:7], -1
.LBB456_1812:
	s_andn2_b64 vcc, exec, s[2:3]
	s_mov_b64 s[2:3], 0
	s_cbranch_vccnz .LBB456_1819
; %bb.1813:
	s_cmp_gt_i32 s19, 14
	s_mov_b64 s[8:9], -1
	s_cbranch_scc0 .LBB456_1817
; %bb.1814:
	s_cmp_eq_u32 s19, 15
	s_mov_b64 s[0:1], -1
	s_cbranch_scc0 .LBB456_1816
; %bb.1815:
	v_cvt_f32_i32_sdwa v3, sext(v1) dst_sel:DWORD dst_unused:UNUSED_PAD src0_sel:WORD_0
	s_movk_i32 s2, 0x7fff
	s_mov_b64 s[0:1], 0
	s_mov_b64 s[6:7], -1
	v_bfe_u32 v6, v3, 16, 1
	v_add3_u32 v3, v3, v6, s2
	global_store_short_d16_hi v[4:5], v3, off
.LBB456_1816:
	s_mov_b64 s[8:9], 0
.LBB456_1817:
	s_mov_b64 s[2:3], 0
	s_and_b64 vcc, exec, s[8:9]
	s_cbranch_vccz .LBB456_1819
; %bb.1818:
	s_cmp_lg_u32 s19, 11
	s_mov_b64 s[2:3], -1
	s_cselect_b64 s[0:1], -1, 0
.LBB456_1819:
	s_and_b64 vcc, exec, s[0:1]
	s_cbranch_vccnz .LBB456_1999
; %bb.1820:
	s_andn2_b64 vcc, exec, s[2:3]
	s_cbranch_vccnz .LBB456_1822
.LBB456_1821:
	v_cmp_ne_u16_e32 vcc, 0, v1
	s_mov_b64 s[6:7], -1
	s_nop 0
	v_cndmask_b32_e64 v3, 0, 1, vcc
	global_store_byte v[4:5], v3, off
.LBB456_1822:
	s_mov_b64 s[0:1], 0
	s_branch .LBB456_1824
.LBB456_1823:
	s_mov_b64 s[0:1], -1
	s_mov_b64 s[6:7], 0
.LBB456_1824:
	s_and_b64 vcc, exec, s[0:1]
	s_cbranch_vccz .LBB456_1863
; %bb.1825:
	s_and_b32 s2, 0xffff, s20
	s_cmp_lt_i32 s2, 5
	s_mov_b64 s[0:1], -1
	s_cbranch_scc1 .LBB456_1846
; %bb.1826:
	s_cmp_lt_i32 s2, 8
	s_cbranch_scc1 .LBB456_1836
; %bb.1827:
	s_cmp_lt_i32 s2, 9
	s_cbranch_scc1 .LBB456_1833
; %bb.1828:
	s_cmp_gt_i32 s2, 9
	s_cbranch_scc0 .LBB456_1830
; %bb.1829:
	v_bfe_i32 v3, v1, 0, 16
	v_mov_b32_e32 v8, 0
	v_cvt_f64_i32_e32 v[6:7], v3
	v_mov_b32_e32 v9, v8
	global_store_dwordx4 v[4:5], v[6:9], off
	s_mov_b64 s[0:1], 0
.LBB456_1830:
	s_andn2_b64 vcc, exec, s[0:1]
	s_cbranch_vccnz .LBB456_1832
; %bb.1831:
	v_cvt_f32_i32_sdwa v6, sext(v1) dst_sel:DWORD dst_unused:UNUSED_PAD src0_sel:WORD_0
	v_mov_b32_e32 v7, 0
	global_store_dwordx2 v[4:5], v[6:7], off
.LBB456_1832:
	s_mov_b64 s[0:1], 0
.LBB456_1833:
	s_andn2_b64 vcc, exec, s[0:1]
	s_cbranch_vccnz .LBB456_1835
; %bb.1834:
	v_cvt_f16_i16_e32 v3, v1
	global_store_dword v[4:5], v3, off
.LBB456_1835:
	s_mov_b64 s[0:1], 0
.LBB456_1836:
	s_andn2_b64 vcc, exec, s[0:1]
	s_cbranch_vccnz .LBB456_1845
; %bb.1837:
	s_cmp_lt_i32 s2, 6
	s_mov_b64 s[0:1], -1
	s_cbranch_scc1 .LBB456_1843
; %bb.1838:
	s_cmp_gt_i32 s2, 6
	s_cbranch_scc0 .LBB456_1840
; %bb.1839:
	v_bfe_i32 v3, v1, 0, 16
	v_cvt_f64_i32_e32 v[6:7], v3
	global_store_dwordx2 v[4:5], v[6:7], off
	s_mov_b64 s[0:1], 0
.LBB456_1840:
	s_andn2_b64 vcc, exec, s[0:1]
	s_cbranch_vccnz .LBB456_1842
; %bb.1841:
	v_cvt_f32_i32_sdwa v3, sext(v1) dst_sel:DWORD dst_unused:UNUSED_PAD src0_sel:WORD_0
	global_store_dword v[4:5], v3, off
.LBB456_1842:
	s_mov_b64 s[0:1], 0
.LBB456_1843:
	s_andn2_b64 vcc, exec, s[0:1]
	s_cbranch_vccnz .LBB456_1845
; %bb.1844:
	v_cvt_f16_i16_e32 v3, v1
	global_store_short v[4:5], v3, off
.LBB456_1845:
	s_mov_b64 s[0:1], 0
.LBB456_1846:
	s_andn2_b64 vcc, exec, s[0:1]
	s_cbranch_vccnz .LBB456_1862
; %bb.1847:
	s_cmp_lt_i32 s2, 2
	s_mov_b64 s[0:1], -1
	s_cbranch_scc1 .LBB456_1857
; %bb.1848:
	s_cmp_lt_i32 s2, 3
	s_cbranch_scc1 .LBB456_1854
; %bb.1849:
	s_cmp_gt_i32 s2, 3
	v_bfe_i32 v6, v1, 0, 16
	s_cbranch_scc0 .LBB456_1851
; %bb.1850:
	v_ashrrev_i32_e32 v7, 31, v6
	global_store_dwordx2 v[4:5], v[6:7], off
	s_mov_b64 s[0:1], 0
.LBB456_1851:
	s_andn2_b64 vcc, exec, s[0:1]
	s_cbranch_vccnz .LBB456_1853
; %bb.1852:
	global_store_dword v[4:5], v6, off
.LBB456_1853:
	s_mov_b64 s[0:1], 0
.LBB456_1854:
	s_andn2_b64 vcc, exec, s[0:1]
	s_cbranch_vccnz .LBB456_1856
; %bb.1855:
	global_store_short v[4:5], v1, off
.LBB456_1856:
	s_mov_b64 s[0:1], 0
.LBB456_1857:
	s_andn2_b64 vcc, exec, s[0:1]
	s_cbranch_vccnz .LBB456_1862
; %bb.1858:
	s_cmp_gt_i32 s2, 0
	s_mov_b64 s[0:1], -1
	s_cbranch_scc0 .LBB456_1860
; %bb.1859:
	global_store_byte v[4:5], v1, off
	s_mov_b64 s[0:1], 0
.LBB456_1860:
	s_andn2_b64 vcc, exec, s[0:1]
	s_cbranch_vccnz .LBB456_1862
; %bb.1861:
	global_store_byte v[4:5], v1, off
.LBB456_1862:
	s_mov_b64 s[6:7], -1
.LBB456_1863:
	s_andn2_b64 vcc, exec, s[6:7]
	s_cbranch_vccnz .LBB456_1940
; %bb.1864:
	v_min_i16_e32 v4, s33, v0
	v_add_u32_e32 v0, s18, v2
	v_ashrrev_i32_e32 v1, 31, v0
	s_cmp_lt_i32 s20, 11
	v_lshl_add_u64 v[0:1], s[4:5], 0, v[0:1]
	s_cbranch_scc1 .LBB456_1985
; %bb.1865:
	s_and_b32 s16, 0xffff, s20
	s_mov_b64 s[4:5], -1
	s_mov_b64 s[2:3], 0
	s_cmp_gt_i32 s16, 25
	s_mov_b64 s[0:1], 0
	s_cbranch_scc0 .LBB456_1898
; %bb.1866:
	s_cmp_gt_i32 s16, 28
	s_cbranch_scc0 .LBB456_1882
; %bb.1867:
	s_cmp_gt_i32 s16, 43
	;; [unrolled: 3-line block ×3, first 2 shown]
	s_cbranch_scc0 .LBB456_1872
; %bb.1869:
	s_cmp_eq_u32 s16, 46
	s_mov_b64 s[0:1], -1
	s_cbranch_scc0 .LBB456_1871
; %bb.1870:
	v_cvt_f32_i32_sdwa v2, sext(v4) dst_sel:DWORD dst_unused:UNUSED_PAD src0_sel:WORD_0
	s_movk_i32 s0, 0x7fff
	v_bfe_u32 v3, v2, 16, 1
	v_add3_u32 v2, v2, v3, s0
	v_lshrrev_b32_e32 v2, 16, v2
	global_store_dword v[0:1], v2, off
	s_mov_b64 s[0:1], 0
.LBB456_1871:
	s_mov_b64 s[4:5], 0
.LBB456_1872:
	s_and_b64 vcc, exec, s[4:5]
	s_cbranch_vccz .LBB456_1877
; %bb.1873:
	s_cmp_eq_u32 s16, 44
	s_mov_b64 s[0:1], -1
	s_cbranch_scc0 .LBB456_1877
; %bb.1874:
	v_cvt_f32_i32_sdwa v2, sext(v4) dst_sel:DWORD dst_unused:UNUSED_PAD src0_sel:WORD_0
	s_movk_i32 s0, 0xff
	v_mov_b32_e32 v5, 0xff
	v_bfe_u32 v3, v2, 23, 8
	v_cmp_ne_u32_e32 vcc, s0, v3
	s_and_saveexec_b64 s[4:5], vcc
; %bb.1875:
	s_mov_b32 s0, 0x3fffff
	v_lshrrev_b32_e32 v5, 23, v2
	v_and_b32_e32 v6, 0x400000, v2
	v_and_or_b32 v2, v2, s0, v3
	v_cmp_ne_u32_e32 vcc, 0, v6
	v_cmp_ne_u32_e64 s[0:1], 0, v2
	s_and_b64 s[0:1], vcc, s[0:1]
	s_nop 0
	v_cndmask_b32_e64 v2, 0, 1, s[0:1]
	v_add_u32_e32 v5, v5, v2
; %bb.1876:
	s_or_b64 exec, exec, s[4:5]
	s_mov_b64 s[0:1], 0
	global_store_byte v[0:1], v5, off
.LBB456_1877:
	s_mov_b64 s[4:5], 0
.LBB456_1878:
	s_and_b64 vcc, exec, s[4:5]
	s_cbranch_vccz .LBB456_1881
; %bb.1879:
	s_cmp_eq_u32 s16, 29
	s_mov_b64 s[0:1], -1
	s_cbranch_scc0 .LBB456_1881
; %bb.1880:
	v_bfe_i32 v2, v4, 0, 16
	v_ashrrev_i32_e32 v3, 31, v2
	global_store_dwordx2 v[0:1], v[2:3], off
	s_mov_b64 s[0:1], 0
.LBB456_1881:
	s_mov_b64 s[4:5], 0
.LBB456_1882:
	s_and_b64 vcc, exec, s[4:5]
	s_cbranch_vccz .LBB456_1897
; %bb.1883:
	s_cmp_lt_i32 s16, 27
	s_mov_b64 s[4:5], -1
	s_cbranch_scc1 .LBB456_1889
; %bb.1884:
	s_cmp_gt_i32 s16, 27
	s_cbranch_scc0 .LBB456_1886
; %bb.1885:
	v_bfe_i32 v2, v4, 0, 16
	global_store_dword v[0:1], v2, off
	s_mov_b64 s[4:5], 0
.LBB456_1886:
	s_andn2_b64 vcc, exec, s[4:5]
	s_cbranch_vccnz .LBB456_1888
; %bb.1887:
	global_store_short v[0:1], v4, off
.LBB456_1888:
	s_mov_b64 s[4:5], 0
.LBB456_1889:
	s_andn2_b64 vcc, exec, s[4:5]
	s_cbranch_vccnz .LBB456_1897
; %bb.1890:
	v_cvt_f32_i32_sdwa v2, sext(v4) dst_sel:DWORD dst_unused:UNUSED_PAD src0_sel:WORD_0
	s_mov_b32 s4, 0x43800000
	v_mov_b32_e32 v5, 0x80
	v_and_b32_e32 v3, 0x7fffffff, v2
	v_cmp_gt_u32_e32 vcc, s4, v3
	s_and_saveexec_b64 s[4:5], vcc
	s_cbranch_execz .LBB456_1896
; %bb.1891:
	s_mov_b32 s6, 0x3bffffff
	v_cmp_lt_u32_e32 vcc, s6, v3
	s_mov_b64 s[6:7], 0
                                        ; implicit-def: $vgpr3
	s_and_saveexec_b64 s[8:9], vcc
	s_xor_b64 s[8:9], exec, s[8:9]
	s_cbranch_execz .LBB456_2002
; %bb.1892:
	v_bfe_u32 v3, v2, 20, 1
	s_mov_b32 s17, 0x487ffff
	v_add3_u32 v3, v2, v3, s17
	s_mov_b64 s[6:7], exec
	v_lshrrev_b32_e32 v3, 20, v3
	s_andn2_saveexec_b64 s[8:9], s[8:9]
	s_cbranch_execnz .LBB456_2003
.LBB456_1893:
	s_or_b64 exec, exec, s[8:9]
	v_mov_b32_e32 v5, 0
	s_and_saveexec_b64 s[8:9], s[6:7]
.LBB456_1894:
	v_lshrrev_b32_e32 v2, 24, v2
	s_movk_i32 s6, 0x80
	v_and_or_b32 v5, v2, s6, v3
.LBB456_1895:
	s_or_b64 exec, exec, s[8:9]
.LBB456_1896:
	s_or_b64 exec, exec, s[4:5]
	global_store_byte v[0:1], v5, off
.LBB456_1897:
	s_mov_b64 s[4:5], 0
.LBB456_1898:
	s_and_b64 vcc, exec, s[4:5]
	s_cbranch_vccz .LBB456_1938
; %bb.1899:
	s_cmp_gt_i32 s16, 22
	s_mov_b64 s[2:3], -1
	s_cbranch_scc0 .LBB456_1931
; %bb.1900:
	s_cmp_lt_i32 s16, 24
	s_cbranch_scc1 .LBB456_1920
; %bb.1901:
	s_cmp_gt_i32 s16, 24
	s_cbranch_scc0 .LBB456_1909
; %bb.1902:
	v_cvt_f32_i32_sdwa v2, sext(v4) dst_sel:DWORD dst_unused:UNUSED_PAD src0_sel:WORD_0
	s_mov_b32 s2, 0x47800000
	v_mov_b32_e32 v5, 0x80
	v_and_b32_e32 v3, 0x7fffffff, v2
	v_cmp_gt_u32_e32 vcc, s2, v3
	s_and_saveexec_b64 s[2:3], vcc
	s_cbranch_execz .LBB456_1908
; %bb.1903:
	s_mov_b32 s4, 0x37ffffff
	v_cmp_lt_u32_e32 vcc, s4, v3
	s_mov_b64 s[4:5], 0
                                        ; implicit-def: $vgpr3
	s_and_saveexec_b64 s[6:7], vcc
	s_xor_b64 s[6:7], exec, s[6:7]
	s_cbranch_execz .LBB456_2005
; %bb.1904:
	v_bfe_u32 v3, v2, 21, 1
	s_mov_b32 s8, 0x88fffff
	v_add3_u32 v3, v2, v3, s8
	s_mov_b64 s[4:5], exec
	v_lshrrev_b32_e32 v3, 21, v3
	s_andn2_saveexec_b64 s[6:7], s[6:7]
	s_cbranch_execnz .LBB456_2006
.LBB456_1905:
	s_or_b64 exec, exec, s[6:7]
	v_mov_b32_e32 v5, 0
	s_and_saveexec_b64 s[6:7], s[4:5]
.LBB456_1906:
	v_lshrrev_b32_e32 v2, 24, v2
	s_movk_i32 s4, 0x80
	v_and_or_b32 v5, v2, s4, v3
.LBB456_1907:
	s_or_b64 exec, exec, s[6:7]
.LBB456_1908:
	s_or_b64 exec, exec, s[2:3]
	s_mov_b64 s[2:3], 0
	global_store_byte v[0:1], v5, off
.LBB456_1909:
	s_and_b64 vcc, exec, s[2:3]
	s_cbranch_vccz .LBB456_1919
; %bb.1910:
	v_cvt_f32_i32_sdwa v2, sext(v4) dst_sel:DWORD dst_unused:UNUSED_PAD src0_sel:WORD_0
	s_mov_b32 s2, 0x43f00000
                                        ; implicit-def: $vgpr3
	v_and_b32_e32 v5, 0x7fffffff, v2
	v_cmp_gt_u32_e32 vcc, s2, v5
	s_and_saveexec_b64 s[2:3], vcc
	s_xor_b64 s[2:3], exec, s[2:3]
	s_cbranch_execz .LBB456_1916
; %bb.1911:
	s_mov_b32 s4, 0x3c7fffff
	v_cmp_lt_u32_e32 vcc, s4, v5
                                        ; implicit-def: $vgpr3
	s_and_saveexec_b64 s[4:5], vcc
	s_xor_b64 s[4:5], exec, s[4:5]
; %bb.1912:
	v_bfe_u32 v3, v2, 20, 1
	s_mov_b32 s6, 0x407ffff
	v_add3_u32 v3, v2, v3, s6
	v_lshrrev_b32_e32 v5, 20, v3
	v_and_b32_e32 v3, 0xff00000, v3
	s_mov_b32 s6, 0x7f00000
	v_mov_b32_e32 v6, 0x7e
	v_cmp_ne_u32_e32 vcc, s6, v3
	s_nop 1
	v_cndmask_b32_e32 v3, v6, v5, vcc
; %bb.1913:
	s_andn2_saveexec_b64 s[4:5], s[4:5]
; %bb.1914:
	s_mov_b32 s6, 0x46800000
	v_add_f32_e64 v3, |v2|, s6
; %bb.1915:
	s_or_b64 exec, exec, s[4:5]
                                        ; implicit-def: $vgpr5
.LBB456_1916:
	s_andn2_saveexec_b64 s[2:3], s[2:3]
; %bb.1917:
	s_mov_b32 s4, 0x7f800000
	v_mov_b32_e32 v3, 0x7e
	v_mov_b32_e32 v6, 0x7f
	v_cmp_lt_u32_e32 vcc, s4, v5
	s_nop 1
	v_cndmask_b32_e32 v3, v3, v6, vcc
; %bb.1918:
	s_or_b64 exec, exec, s[2:3]
	v_lshrrev_b32_e32 v2, 24, v2
	s_movk_i32 s2, 0x80
	v_and_or_b32 v2, v2, s2, v3
	global_store_byte v[0:1], v2, off
.LBB456_1919:
	s_mov_b64 s[2:3], 0
.LBB456_1920:
	s_andn2_b64 vcc, exec, s[2:3]
	s_cbranch_vccnz .LBB456_1930
; %bb.1921:
	v_cvt_f32_i32_sdwa v2, sext(v4) dst_sel:DWORD dst_unused:UNUSED_PAD src0_sel:WORD_0
	s_mov_b32 s2, 0x47800000
                                        ; implicit-def: $vgpr3
	v_and_b32_e32 v5, 0x7fffffff, v2
	v_cmp_gt_u32_e32 vcc, s2, v5
	s_and_saveexec_b64 s[2:3], vcc
	s_xor_b64 s[2:3], exec, s[2:3]
	s_cbranch_execz .LBB456_1927
; %bb.1922:
	s_mov_b32 s4, 0x387fffff
	v_cmp_lt_u32_e32 vcc, s4, v5
                                        ; implicit-def: $vgpr3
	s_and_saveexec_b64 s[4:5], vcc
	s_xor_b64 s[4:5], exec, s[4:5]
; %bb.1923:
	v_bfe_u32 v3, v2, 21, 1
	s_mov_b32 s6, 0x80fffff
	v_add3_u32 v3, v2, v3, s6
	v_lshrrev_b32_e32 v3, 21, v3
; %bb.1924:
	s_andn2_saveexec_b64 s[4:5], s[4:5]
; %bb.1925:
	s_mov_b32 s6, 0x43000000
	v_add_f32_e64 v3, |v2|, s6
; %bb.1926:
	s_or_b64 exec, exec, s[4:5]
                                        ; implicit-def: $vgpr5
.LBB456_1927:
	s_andn2_saveexec_b64 s[2:3], s[2:3]
; %bb.1928:
	s_mov_b32 s4, 0x7f800000
	v_mov_b32_e32 v3, 0x7c
	v_mov_b32_e32 v6, 0x7f
	v_cmp_lt_u32_e32 vcc, s4, v5
	s_nop 1
	v_cndmask_b32_e32 v3, v3, v6, vcc
; %bb.1929:
	s_or_b64 exec, exec, s[2:3]
	v_lshrrev_b32_e32 v2, 24, v2
	s_movk_i32 s2, 0x80
	v_and_or_b32 v2, v2, s2, v3
	global_store_byte v[0:1], v2, off
.LBB456_1930:
	s_mov_b64 s[2:3], 0
.LBB456_1931:
	s_andn2_b64 vcc, exec, s[2:3]
	s_mov_b64 s[2:3], 0
	s_cbranch_vccnz .LBB456_1938
; %bb.1932:
	s_cmp_gt_i32 s16, 14
	s_mov_b64 s[4:5], -1
	s_cbranch_scc0 .LBB456_1936
; %bb.1933:
	s_cmp_eq_u32 s16, 15
	s_mov_b64 s[0:1], -1
	s_cbranch_scc0 .LBB456_1935
; %bb.1934:
	v_cvt_f32_i32_sdwa v2, sext(v4) dst_sel:DWORD dst_unused:UNUSED_PAD src0_sel:WORD_0
	s_movk_i32 s0, 0x7fff
	v_bfe_u32 v3, v2, 16, 1
	v_add3_u32 v2, v2, v3, s0
	global_store_short_d16_hi v[0:1], v2, off
	s_mov_b64 s[0:1], 0
.LBB456_1935:
	s_mov_b64 s[4:5], 0
.LBB456_1936:
	s_and_b64 vcc, exec, s[4:5]
	s_cbranch_vccz .LBB456_1938
; %bb.1937:
	s_cmp_lg_u32 s16, 11
	s_mov_b64 s[2:3], -1
	s_cselect_b64 s[0:1], -1, 0
.LBB456_1938:
	s_and_b64 vcc, exec, s[0:1]
	s_cbranch_vccnz .LBB456_2004
.LBB456_1939:
	s_mov_b64 s[0:1], 0
	s_branch .LBB456_1941
.LBB456_1940:
	s_mov_b64 s[0:1], 0
	s_mov_b64 s[2:3], 0
                                        ; implicit-def: $sgpr20
                                        ; implicit-def: $vgpr0_vgpr1
                                        ; implicit-def: $vgpr4
.LBB456_1941:
	s_andn2_b64 s[4:5], s[12:13], exec
	s_and_b64 s[6:7], s[14:15], exec
	s_and_b64 s[0:1], s[0:1], exec
	;; [unrolled: 1-line block ×3, first 2 shown]
	s_or_b64 s[12:13], s[4:5], s[6:7]
.LBB456_1942:
	s_or_b64 exec, exec, s[10:11]
	s_and_saveexec_b64 s[4:5], s[12:13]
	s_cbranch_execz .LBB456_1945
; %bb.1943:
	; divergent unreachable
	s_or_b64 exec, exec, s[4:5]
	s_and_saveexec_b64 s[4:5], s[2:3]
	s_xor_b64 s[2:3], exec, s[4:5]
	s_cbranch_execnz .LBB456_1946
.LBB456_1944:
	s_or_b64 exec, exec, s[2:3]
	s_and_saveexec_b64 s[2:3], s[0:1]
	s_cbranch_execnz .LBB456_1947
	s_branch .LBB456_1984
.LBB456_1945:
	s_or_b64 exec, exec, s[4:5]
	s_and_saveexec_b64 s[4:5], s[2:3]
	s_xor_b64 s[2:3], exec, s[4:5]
	s_cbranch_execz .LBB456_1944
.LBB456_1946:
	s_waitcnt vmcnt(0)
	v_cmp_ne_u16_e32 vcc, 0, v4
	s_nop 1
	v_cndmask_b32_e64 v2, 0, 1, vcc
	global_store_byte v[0:1], v2, off
	s_or_b64 exec, exec, s[2:3]
	s_and_saveexec_b64 s[2:3], s[0:1]
	s_cbranch_execz .LBB456_1984
.LBB456_1947:
	s_sext_i32_i16 s2, s20
	s_cmp_lt_i32 s2, 5
	s_mov_b64 s[0:1], -1
	s_cbranch_scc1 .LBB456_1968
; %bb.1948:
	s_cmp_lt_i32 s2, 8
	s_cbranch_scc1 .LBB456_1958
; %bb.1949:
	s_cmp_lt_i32 s2, 9
	s_cbranch_scc1 .LBB456_1955
; %bb.1950:
	s_cmp_gt_i32 s2, 9
	s_cbranch_scc0 .LBB456_1952
; %bb.1951:
	s_waitcnt vmcnt(0)
	v_bfe_i32 v2, v4, 0, 16
	v_mov_b32_e32 v8, 0
	v_cvt_f64_i32_e32 v[6:7], v2
	v_mov_b32_e32 v9, v8
	global_store_dwordx4 v[0:1], v[6:9], off
	s_mov_b64 s[0:1], 0
.LBB456_1952:
	s_andn2_b64 vcc, exec, s[0:1]
	s_cbranch_vccnz .LBB456_1954
; %bb.1953:
	s_waitcnt vmcnt(0)
	v_cvt_f32_i32_sdwa v2, sext(v4) dst_sel:DWORD dst_unused:UNUSED_PAD src0_sel:WORD_0
	v_mov_b32_e32 v3, 0
	global_store_dwordx2 v[0:1], v[2:3], off
.LBB456_1954:
	s_mov_b64 s[0:1], 0
.LBB456_1955:
	s_andn2_b64 vcc, exec, s[0:1]
	s_cbranch_vccnz .LBB456_1957
; %bb.1956:
	s_waitcnt vmcnt(0)
	v_cvt_f16_i16_e32 v2, v4
	global_store_dword v[0:1], v2, off
.LBB456_1957:
	s_mov_b64 s[0:1], 0
.LBB456_1958:
	s_andn2_b64 vcc, exec, s[0:1]
	s_cbranch_vccnz .LBB456_1967
; %bb.1959:
	s_sext_i32_i16 s2, s20
	s_cmp_lt_i32 s2, 6
	s_mov_b64 s[0:1], -1
	s_cbranch_scc1 .LBB456_1965
; %bb.1960:
	s_cmp_gt_i32 s2, 6
	s_cbranch_scc0 .LBB456_1962
; %bb.1961:
	s_waitcnt vmcnt(0)
	v_bfe_i32 v2, v4, 0, 16
	v_cvt_f64_i32_e32 v[2:3], v2
	global_store_dwordx2 v[0:1], v[2:3], off
	s_mov_b64 s[0:1], 0
.LBB456_1962:
	s_andn2_b64 vcc, exec, s[0:1]
	s_cbranch_vccnz .LBB456_1964
; %bb.1963:
	s_waitcnt vmcnt(0)
	v_cvt_f32_i32_sdwa v2, sext(v4) dst_sel:DWORD dst_unused:UNUSED_PAD src0_sel:WORD_0
	global_store_dword v[0:1], v2, off
.LBB456_1964:
	s_mov_b64 s[0:1], 0
.LBB456_1965:
	s_andn2_b64 vcc, exec, s[0:1]
	s_cbranch_vccnz .LBB456_1967
; %bb.1966:
	s_waitcnt vmcnt(0)
	v_cvt_f16_i16_e32 v2, v4
	global_store_short v[0:1], v2, off
.LBB456_1967:
	s_mov_b64 s[0:1], 0
.LBB456_1968:
	s_andn2_b64 vcc, exec, s[0:1]
	s_cbranch_vccnz .LBB456_1984
; %bb.1969:
	s_sext_i32_i16 s2, s20
	s_cmp_lt_i32 s2, 2
	s_mov_b64 s[0:1], -1
	s_cbranch_scc1 .LBB456_1979
; %bb.1970:
	s_cmp_lt_i32 s2, 3
	s_cbranch_scc1 .LBB456_1976
; %bb.1971:
	s_cmp_gt_i32 s2, 3
	s_waitcnt vmcnt(0)
	v_bfe_i32 v2, v4, 0, 16
	s_cbranch_scc0 .LBB456_1973
; %bb.1972:
	v_ashrrev_i32_e32 v3, 31, v2
	global_store_dwordx2 v[0:1], v[2:3], off
	s_mov_b64 s[0:1], 0
.LBB456_1973:
	s_andn2_b64 vcc, exec, s[0:1]
	s_cbranch_vccnz .LBB456_1975
; %bb.1974:
	global_store_dword v[0:1], v2, off
.LBB456_1975:
	s_mov_b64 s[0:1], 0
.LBB456_1976:
	s_andn2_b64 vcc, exec, s[0:1]
	s_cbranch_vccnz .LBB456_1978
; %bb.1977:
	s_waitcnt vmcnt(0)
	global_store_short v[0:1], v4, off
.LBB456_1978:
	s_mov_b64 s[0:1], 0
.LBB456_1979:
	s_andn2_b64 vcc, exec, s[0:1]
	s_cbranch_vccnz .LBB456_1984
; %bb.1980:
	s_sext_i32_i16 s0, s20
	s_cmp_gt_i32 s0, 0
	s_mov_b64 s[0:1], -1
	s_cbranch_scc0 .LBB456_1982
; %bb.1981:
	s_waitcnt vmcnt(0)
	global_store_byte v[0:1], v4, off
	s_mov_b64 s[0:1], 0
.LBB456_1982:
	s_andn2_b64 vcc, exec, s[0:1]
	s_cbranch_vccnz .LBB456_1984
; %bb.1983:
	s_waitcnt vmcnt(0)
	global_store_byte v[0:1], v4, off
	s_endpgm
.LBB456_1984:
	s_endpgm
.LBB456_1985:
	s_mov_b64 s[2:3], 0
	s_mov_b64 s[0:1], -1
	s_branch .LBB456_1941
.LBB456_1986:
	s_trap 2
	s_or_b64 s[14:15], s[14:15], exec
	s_cbranch_execz .LBB456_1455
	s_branch .LBB456_1456
.LBB456_1987:
	s_andn2_saveexec_b64 s[18:19], s[18:19]
	s_cbranch_execz .LBB456_1535
.LBB456_1988:
	s_mov_b32 s21, 0x46000000
	v_add_f32_e64 v5, |v3|, s21
	v_and_b32_e32 v5, 0xff, v5
	v_cmp_ne_u32_e32 vcc, 0, v5
	s_andn2_b64 s[16:17], s[16:17], exec
	s_and_b64 s[22:23], vcc, exec
	s_or_b64 s[16:17], s[16:17], s[22:23]
	s_or_b64 exec, exec, s[18:19]
	v_mov_b32_e32 v7, 0
	s_and_saveexec_b64 s[18:19], s[16:17]
	s_cbranch_execnz .LBB456_1536
	s_branch .LBB456_1537
.LBB456_1989:
	s_trap 2
	s_or_b64 s[14:15], s[14:15], exec
	s_cbranch_execz .LBB456_1583
	s_branch .LBB456_1584
.LBB456_1990:
	s_andn2_saveexec_b64 s[16:17], s[16:17]
	s_cbranch_execz .LBB456_1548
.LBB456_1991:
	s_mov_b32 s18, 0x42800000
	v_add_f32_e64 v5, |v3|, s18
	v_and_b32_e32 v5, 0xff, v5
	v_cmp_ne_u32_e32 vcc, 0, v5
	s_andn2_b64 s[6:7], s[6:7], exec
	s_and_b64 s[18:19], vcc, exec
	s_or_b64 s[6:7], s[6:7], s[18:19]
	s_or_b64 exec, exec, s[16:17]
	v_mov_b32_e32 v7, 0
	s_and_saveexec_b64 s[16:17], s[6:7]
	s_cbranch_execnz .LBB456_1549
	s_branch .LBB456_1550
.LBB456_1992:
	s_andn2_saveexec_b64 s[16:17], s[16:17]
	s_cbranch_execz .LBB456_1654
.LBB456_1993:
	s_mov_b32 s21, 0x46000000
	v_add_f32_e64 v5, |v3|, s21
	v_and_b32_e32 v5, 0xff, v5
	v_cmp_ne_u32_e32 vcc, 0, v5
	s_andn2_b64 s[8:9], s[8:9], exec
	s_and_b64 s[22:23], vcc, exec
	s_or_b64 s[8:9], s[8:9], s[22:23]
	s_or_b64 exec, exec, s[16:17]
	v_mov_b32_e32 v8, 0
	s_and_saveexec_b64 s[16:17], s[8:9]
	s_cbranch_execnz .LBB456_1655
	s_branch .LBB456_1656
.LBB456_1994:
	s_trap 2
	s_or_b64 s[14:15], s[14:15], exec
	s_cbranch_execz .LBB456_1702
	s_branch .LBB456_1703
.LBB456_1995:
	s_andn2_saveexec_b64 s[8:9], s[8:9]
	s_cbranch_execz .LBB456_1667
.LBB456_1996:
	s_mov_b32 s16, 0x42800000
	v_add_f32_e64 v5, |v3|, s16
	v_and_b32_e32 v5, 0xff, v5
	v_cmp_ne_u32_e32 vcc, 0, v5
	s_andn2_b64 s[6:7], s[6:7], exec
	s_and_b64 s[16:17], vcc, exec
	s_or_b64 s[6:7], s[6:7], s[16:17]
	s_or_b64 exec, exec, s[8:9]
	v_mov_b32_e32 v8, 0
	s_and_saveexec_b64 s[8:9], s[6:7]
	s_cbranch_execnz .LBB456_1668
	s_branch .LBB456_1669
.LBB456_1997:
	s_andn2_saveexec_b64 s[16:17], s[16:17]
	s_cbranch_execz .LBB456_1773
.LBB456_1998:
	s_mov_b32 s21, 0x46000000
	v_add_f32_e64 v6, |v3|, s21
	v_and_b32_e32 v6, 0xff, v6
	v_cmp_ne_u32_e32 vcc, 0, v6
	s_andn2_b64 s[8:9], s[8:9], exec
	s_and_b64 s[22:23], vcc, exec
	s_or_b64 s[8:9], s[8:9], s[22:23]
	s_or_b64 exec, exec, s[16:17]
	v_mov_b32_e32 v7, 0
	s_and_saveexec_b64 s[16:17], s[8:9]
	s_cbranch_execnz .LBB456_1774
	s_branch .LBB456_1775
.LBB456_1999:
	s_trap 2
	s_or_b64 s[14:15], s[14:15], exec
	s_cbranch_execz .LBB456_1821
	s_branch .LBB456_1822
.LBB456_2000:
	s_andn2_saveexec_b64 s[8:9], s[8:9]
	s_cbranch_execz .LBB456_1786
.LBB456_2001:
	s_mov_b32 s16, 0x42800000
	v_add_f32_e64 v6, |v3|, s16
	v_and_b32_e32 v6, 0xff, v6
	v_cmp_ne_u32_e32 vcc, 0, v6
	s_andn2_b64 s[6:7], s[6:7], exec
	s_and_b64 s[16:17], vcc, exec
	s_or_b64 s[6:7], s[6:7], s[16:17]
	s_or_b64 exec, exec, s[8:9]
	v_mov_b32_e32 v7, 0
	s_and_saveexec_b64 s[8:9], s[6:7]
	s_cbranch_execnz .LBB456_1787
	s_branch .LBB456_1788
.LBB456_2002:
	s_andn2_saveexec_b64 s[8:9], s[8:9]
	s_cbranch_execz .LBB456_1893
.LBB456_2003:
	s_mov_b32 s17, 0x46000000
	v_add_f32_e64 v3, |v2|, s17
	v_and_b32_e32 v3, 0xff, v3
	v_cmp_ne_u32_e32 vcc, 0, v3
	s_andn2_b64 s[6:7], s[6:7], exec
	s_and_b64 s[18:19], vcc, exec
	s_or_b64 s[6:7], s[6:7], s[18:19]
	s_or_b64 exec, exec, s[8:9]
	v_mov_b32_e32 v5, 0
	s_and_saveexec_b64 s[8:9], s[6:7]
	s_cbranch_execnz .LBB456_1894
	s_branch .LBB456_1895
.LBB456_2004:
	s_mov_b64 s[2:3], 0
	s_or_b64 s[14:15], s[14:15], exec
	s_trap 2
	s_branch .LBB456_1939
.LBB456_2005:
	s_andn2_saveexec_b64 s[6:7], s[6:7]
	s_cbranch_execz .LBB456_1905
.LBB456_2006:
	s_mov_b32 s8, 0x42800000
	v_add_f32_e64 v3, |v2|, s8
	v_and_b32_e32 v3, 0xff, v3
	v_cmp_ne_u32_e32 vcc, 0, v3
	s_andn2_b64 s[4:5], s[4:5], exec
	s_and_b64 s[8:9], vcc, exec
	s_or_b64 s[4:5], s[4:5], s[8:9]
	s_or_b64 exec, exec, s[6:7]
	v_mov_b32_e32 v5, 0
	s_and_saveexec_b64 s[6:7], s[4:5]
	s_cbranch_execnz .LBB456_1906
	s_branch .LBB456_1907
	.section	.rodata,"a",@progbits
	.p2align	6, 0x0
	.amdhsa_kernel _ZN2at6native32elementwise_kernel_manual_unrollILi128ELi4EZNS0_15gpu_kernel_implIZZZNS0_21clamp_max_kernel_cudaERNS_18TensorIteratorBaseERKN3c106ScalarEENKUlvE_clEvENKUlvE3_clEvEUlsE_EEvS4_RKT_EUlibE_EEviT1_
		.amdhsa_group_segment_fixed_size 0
		.amdhsa_private_segment_fixed_size 0
		.amdhsa_kernarg_size 40
		.amdhsa_user_sgpr_count 2
		.amdhsa_user_sgpr_dispatch_ptr 0
		.amdhsa_user_sgpr_queue_ptr 0
		.amdhsa_user_sgpr_kernarg_segment_ptr 1
		.amdhsa_user_sgpr_dispatch_id 0
		.amdhsa_user_sgpr_kernarg_preload_length 0
		.amdhsa_user_sgpr_kernarg_preload_offset 0
		.amdhsa_user_sgpr_private_segment_size 0
		.amdhsa_uses_dynamic_stack 0
		.amdhsa_enable_private_segment 0
		.amdhsa_system_sgpr_workgroup_id_x 1
		.amdhsa_system_sgpr_workgroup_id_y 0
		.amdhsa_system_sgpr_workgroup_id_z 0
		.amdhsa_system_sgpr_workgroup_info 0
		.amdhsa_system_vgpr_workitem_id 0
		.amdhsa_next_free_vgpr 14
		.amdhsa_next_free_sgpr 46
		.amdhsa_accum_offset 16
		.amdhsa_reserve_vcc 1
		.amdhsa_float_round_mode_32 0
		.amdhsa_float_round_mode_16_64 0
		.amdhsa_float_denorm_mode_32 3
		.amdhsa_float_denorm_mode_16_64 3
		.amdhsa_dx10_clamp 1
		.amdhsa_ieee_mode 1
		.amdhsa_fp16_overflow 0
		.amdhsa_tg_split 0
		.amdhsa_exception_fp_ieee_invalid_op 0
		.amdhsa_exception_fp_denorm_src 0
		.amdhsa_exception_fp_ieee_div_zero 0
		.amdhsa_exception_fp_ieee_overflow 0
		.amdhsa_exception_fp_ieee_underflow 0
		.amdhsa_exception_fp_ieee_inexact 0
		.amdhsa_exception_int_div_zero 0
	.end_amdhsa_kernel
	.section	.text._ZN2at6native32elementwise_kernel_manual_unrollILi128ELi4EZNS0_15gpu_kernel_implIZZZNS0_21clamp_max_kernel_cudaERNS_18TensorIteratorBaseERKN3c106ScalarEENKUlvE_clEvENKUlvE3_clEvEUlsE_EEvS4_RKT_EUlibE_EEviT1_,"axG",@progbits,_ZN2at6native32elementwise_kernel_manual_unrollILi128ELi4EZNS0_15gpu_kernel_implIZZZNS0_21clamp_max_kernel_cudaERNS_18TensorIteratorBaseERKN3c106ScalarEENKUlvE_clEvENKUlvE3_clEvEUlsE_EEvS4_RKT_EUlibE_EEviT1_,comdat
.Lfunc_end456:
	.size	_ZN2at6native32elementwise_kernel_manual_unrollILi128ELi4EZNS0_15gpu_kernel_implIZZZNS0_21clamp_max_kernel_cudaERNS_18TensorIteratorBaseERKN3c106ScalarEENKUlvE_clEvENKUlvE3_clEvEUlsE_EEvS4_RKT_EUlibE_EEviT1_, .Lfunc_end456-_ZN2at6native32elementwise_kernel_manual_unrollILi128ELi4EZNS0_15gpu_kernel_implIZZZNS0_21clamp_max_kernel_cudaERNS_18TensorIteratorBaseERKN3c106ScalarEENKUlvE_clEvENKUlvE3_clEvEUlsE_EEvS4_RKT_EUlibE_EEviT1_
                                        ; -- End function
	.set _ZN2at6native32elementwise_kernel_manual_unrollILi128ELi4EZNS0_15gpu_kernel_implIZZZNS0_21clamp_max_kernel_cudaERNS_18TensorIteratorBaseERKN3c106ScalarEENKUlvE_clEvENKUlvE3_clEvEUlsE_EEvS4_RKT_EUlibE_EEviT1_.num_vgpr, 14
	.set _ZN2at6native32elementwise_kernel_manual_unrollILi128ELi4EZNS0_15gpu_kernel_implIZZZNS0_21clamp_max_kernel_cudaERNS_18TensorIteratorBaseERKN3c106ScalarEENKUlvE_clEvENKUlvE3_clEvEUlsE_EEvS4_RKT_EUlibE_EEviT1_.num_agpr, 0
	.set _ZN2at6native32elementwise_kernel_manual_unrollILi128ELi4EZNS0_15gpu_kernel_implIZZZNS0_21clamp_max_kernel_cudaERNS_18TensorIteratorBaseERKN3c106ScalarEENKUlvE_clEvENKUlvE3_clEvEUlsE_EEvS4_RKT_EUlibE_EEviT1_.numbered_sgpr, 46
	.set _ZN2at6native32elementwise_kernel_manual_unrollILi128ELi4EZNS0_15gpu_kernel_implIZZZNS0_21clamp_max_kernel_cudaERNS_18TensorIteratorBaseERKN3c106ScalarEENKUlvE_clEvENKUlvE3_clEvEUlsE_EEvS4_RKT_EUlibE_EEviT1_.num_named_barrier, 0
	.set _ZN2at6native32elementwise_kernel_manual_unrollILi128ELi4EZNS0_15gpu_kernel_implIZZZNS0_21clamp_max_kernel_cudaERNS_18TensorIteratorBaseERKN3c106ScalarEENKUlvE_clEvENKUlvE3_clEvEUlsE_EEvS4_RKT_EUlibE_EEviT1_.private_seg_size, 0
	.set _ZN2at6native32elementwise_kernel_manual_unrollILi128ELi4EZNS0_15gpu_kernel_implIZZZNS0_21clamp_max_kernel_cudaERNS_18TensorIteratorBaseERKN3c106ScalarEENKUlvE_clEvENKUlvE3_clEvEUlsE_EEvS4_RKT_EUlibE_EEviT1_.uses_vcc, 1
	.set _ZN2at6native32elementwise_kernel_manual_unrollILi128ELi4EZNS0_15gpu_kernel_implIZZZNS0_21clamp_max_kernel_cudaERNS_18TensorIteratorBaseERKN3c106ScalarEENKUlvE_clEvENKUlvE3_clEvEUlsE_EEvS4_RKT_EUlibE_EEviT1_.uses_flat_scratch, 0
	.set _ZN2at6native32elementwise_kernel_manual_unrollILi128ELi4EZNS0_15gpu_kernel_implIZZZNS0_21clamp_max_kernel_cudaERNS_18TensorIteratorBaseERKN3c106ScalarEENKUlvE_clEvENKUlvE3_clEvEUlsE_EEvS4_RKT_EUlibE_EEviT1_.has_dyn_sized_stack, 0
	.set _ZN2at6native32elementwise_kernel_manual_unrollILi128ELi4EZNS0_15gpu_kernel_implIZZZNS0_21clamp_max_kernel_cudaERNS_18TensorIteratorBaseERKN3c106ScalarEENKUlvE_clEvENKUlvE3_clEvEUlsE_EEvS4_RKT_EUlibE_EEviT1_.has_recursion, 0
	.set _ZN2at6native32elementwise_kernel_manual_unrollILi128ELi4EZNS0_15gpu_kernel_implIZZZNS0_21clamp_max_kernel_cudaERNS_18TensorIteratorBaseERKN3c106ScalarEENKUlvE_clEvENKUlvE3_clEvEUlsE_EEvS4_RKT_EUlibE_EEviT1_.has_indirect_call, 0
	.section	.AMDGPU.csdata,"",@progbits
; Kernel info:
; codeLenInByte = 29996
; TotalNumSgprs: 52
; NumVgprs: 14
; NumAgprs: 0
; TotalNumVgprs: 14
; ScratchSize: 0
; MemoryBound: 1
; FloatMode: 240
; IeeeMode: 1
; LDSByteSize: 0 bytes/workgroup (compile time only)
; SGPRBlocks: 6
; VGPRBlocks: 1
; NumSGPRsForWavesPerEU: 52
; NumVGPRsForWavesPerEU: 14
; AccumOffset: 16
; Occupancy: 8
; WaveLimiterHint : 0
; COMPUTE_PGM_RSRC2:SCRATCH_EN: 0
; COMPUTE_PGM_RSRC2:USER_SGPR: 2
; COMPUTE_PGM_RSRC2:TRAP_HANDLER: 0
; COMPUTE_PGM_RSRC2:TGID_X_EN: 1
; COMPUTE_PGM_RSRC2:TGID_Y_EN: 0
; COMPUTE_PGM_RSRC2:TGID_Z_EN: 0
; COMPUTE_PGM_RSRC2:TIDIG_COMP_CNT: 0
; COMPUTE_PGM_RSRC3_GFX90A:ACCUM_OFFSET: 3
; COMPUTE_PGM_RSRC3_GFX90A:TG_SPLIT: 0
	.section	.text._ZN2at6native32elementwise_kernel_manual_unrollILi128ELi4EZNS0_15gpu_kernel_implIZZZNS0_21clamp_max_kernel_cudaERNS_18TensorIteratorBaseERKN3c106ScalarEENKUlvE_clEvENKUlvE3_clEvEUlsE_EEvS4_RKT_EUlibE0_EEviT1_,"axG",@progbits,_ZN2at6native32elementwise_kernel_manual_unrollILi128ELi4EZNS0_15gpu_kernel_implIZZZNS0_21clamp_max_kernel_cudaERNS_18TensorIteratorBaseERKN3c106ScalarEENKUlvE_clEvENKUlvE3_clEvEUlsE_EEvS4_RKT_EUlibE0_EEviT1_,comdat
	.globl	_ZN2at6native32elementwise_kernel_manual_unrollILi128ELi4EZNS0_15gpu_kernel_implIZZZNS0_21clamp_max_kernel_cudaERNS_18TensorIteratorBaseERKN3c106ScalarEENKUlvE_clEvENKUlvE3_clEvEUlsE_EEvS4_RKT_EUlibE0_EEviT1_ ; -- Begin function _ZN2at6native32elementwise_kernel_manual_unrollILi128ELi4EZNS0_15gpu_kernel_implIZZZNS0_21clamp_max_kernel_cudaERNS_18TensorIteratorBaseERKN3c106ScalarEENKUlvE_clEvENKUlvE3_clEvEUlsE_EEvS4_RKT_EUlibE0_EEviT1_
	.p2align	8
	.type	_ZN2at6native32elementwise_kernel_manual_unrollILi128ELi4EZNS0_15gpu_kernel_implIZZZNS0_21clamp_max_kernel_cudaERNS_18TensorIteratorBaseERKN3c106ScalarEENKUlvE_clEvENKUlvE3_clEvEUlsE_EEvS4_RKT_EUlibE0_EEviT1_,@function
_ZN2at6native32elementwise_kernel_manual_unrollILi128ELi4EZNS0_15gpu_kernel_implIZZZNS0_21clamp_max_kernel_cudaERNS_18TensorIteratorBaseERKN3c106ScalarEENKUlvE_clEvENKUlvE3_clEvEUlsE_EEvS4_RKT_EUlibE0_EEviT1_: ; @_ZN2at6native32elementwise_kernel_manual_unrollILi128ELi4EZNS0_15gpu_kernel_implIZZZNS0_21clamp_max_kernel_cudaERNS_18TensorIteratorBaseERKN3c106ScalarEENKUlvE_clEvENKUlvE3_clEvEUlsE_EEvS4_RKT_EUlibE0_EEviT1_
; %bb.0:
	s_load_dword s70, s[0:1], 0x0
	s_load_dword s33, s[0:1], 0x8
	s_add_u32 s34, s0, 8
	s_addc_u32 s35, s1, 0
	v_lshl_or_b32 v8, s2, 9, v0
	v_or_b32_e32 v16, 0x180, v8
	s_waitcnt lgkmcnt(0)
	s_add_i32 s72, s33, -1
	s_cmp_gt_u32 s72, 1
	v_cmp_le_i32_e32 vcc, s70, v16
	s_cselect_b64 s[42:43], -1, 0
	s_mov_b64 s[40:41], 0
	s_mov_b64 s[24:25], 0
	s_and_saveexec_b64 s[2:3], vcc
	s_xor_b64 s[44:45], exec, s[2:3]
	s_cbranch_execz .LBB457_1074
; %bb.1:
	s_load_dwordx4 s[24:27], s[34:35], 0x4
	s_load_dwordx2 s[46:47], s[34:35], 0x14
	s_load_dword s73, s[34:35], 0x158
	s_load_dword s2, s[0:1], 0x160
	s_cmp_lg_u32 s33, 0
	s_load_dwordx4 s[28:31], s[34:35], 0xc4
	s_load_dwordx4 s[20:23], s[34:35], 0x148
	s_cselect_b64 s[52:53], -1, 0
	s_add_u32 s50, s34, 0xc4
	s_addc_u32 s51, s35, 0
	s_min_u32 s76, s72, 15
	s_cmp_gt_u32 s33, 1
	s_cselect_b64 s[48:49], -1, 0
	s_waitcnt lgkmcnt(0)
	s_lshr_b32 s74, s2, 16
	s_lshr_b32 s75, s2, 24
	v_cmp_gt_i32_e32 vcc, s70, v8
	s_mov_b64 s[4:5], -1
	s_mov_b64 s[62:63], 0
	s_mov_b64 s[56:57], 0
	;; [unrolled: 1-line block ×3, first 2 shown]
	s_and_saveexec_b64 s[58:59], vcc
	s_cbranch_execz .LBB457_263
; %bb.2:
	s_andn2_b64 vcc, exec, s[42:43]
	s_cbranch_vccnz .LBB457_8
; %bb.3:
	s_andn2_b64 vcc, exec, s[52:53]
	s_cbranch_vccnz .LBB457_9
; %bb.4:
	s_add_i32 s57, s76, 1
	s_cmp_eq_u32 s72, 2
	s_cbranch_scc1 .LBB457_10
; %bb.5:
	s_and_b32 s56, s57, 28
	s_mov_b32 s60, 0
	v_mov_b32_e32 v0, 0
	v_mov_b32_e32 v2, 0
	s_mov_b64 s[2:3], s[34:35]
	s_mov_b64 s[54:55], s[50:51]
	v_mov_b32_e32 v4, v8
.LBB457_6:                              ; =>This Inner Loop Header: Depth=1
	s_load_dwordx8 s[12:19], s[2:3], 0x4
	s_load_dwordx4 s[36:39], s[2:3], 0x24
	s_load_dwordx8 s[4:11], s[54:55], 0x0
	s_add_u32 s2, s2, 48
	s_addc_u32 s3, s3, 0
	s_waitcnt lgkmcnt(0)
	v_mul_hi_u32 v1, s13, v4
	v_add_u32_e32 v1, v4, v1
	v_lshrrev_b32_e32 v1, s14, v1
	v_mul_lo_u32 v3, v1, s12
	v_mul_hi_u32 v5, s16, v1
	v_sub_u32_e32 v3, v4, v3
	v_add_u32_e32 v4, v1, v5
	v_lshrrev_b32_e32 v4, s17, v4
	v_mul_lo_u32 v6, v4, s15
	v_mul_hi_u32 v7, s19, v4
	v_sub_u32_e32 v1, v1, v6
	v_add_u32_e32 v6, v4, v7
	v_mul_lo_u32 v5, v3, s5
	v_mul_lo_u32 v3, v3, s4
	;; [unrolled: 1-line block ×4, first 2 shown]
	v_lshrrev_b32_e32 v6, s36, v6
	v_add3_u32 v0, v3, v0, v1
	v_mul_hi_u32 v3, s38, v6
	v_add3_u32 v1, v5, v2, v7
	v_mul_lo_u32 v2, v6, s18
	v_add_u32_e32 v3, v6, v3
	v_sub_u32_e32 v2, v4, v2
	v_lshrrev_b32_e32 v4, s39, v3
	s_add_i32 s60, s60, 4
	v_mul_lo_u32 v3, v4, s37
	s_add_u32 s54, s54, 32
	v_sub_u32_e32 v3, v6, v3
	s_addc_u32 s55, s55, 0
	v_mul_lo_u32 v5, v2, s8
	v_mul_lo_u32 v2, v2, s9
	;; [unrolled: 1-line block ×4, first 2 shown]
	s_cmp_lg_u32 s56, s60
	v_add3_u32 v2, v2, v1, v3
	v_add3_u32 v0, v5, v0, v6
	s_cbranch_scc1 .LBB457_6
; %bb.7:
	v_mov_b32_e32 v1, v2
	s_branch .LBB457_11
.LBB457_8:
                                        ; implicit-def: $vgpr2
                                        ; implicit-def: $vgpr0
	s_branch .LBB457_15
.LBB457_9:
	v_mov_b32_e32 v2, 0
	v_mov_b32_e32 v0, 0
	s_branch .LBB457_14
.LBB457_10:
	v_mov_b32_e32 v0, 0
	s_mov_b32 s56, 0
	v_mov_b32_e32 v1, v0
                                        ; implicit-def: $vgpr2
	v_mov_b32_e32 v4, v8
.LBB457_11:
	s_and_b32 s6, s57, 3
	s_cmp_eq_u32 s6, 0
	s_cbranch_scc1 .LBB457_14
; %bb.12:
	s_lshl_b32 s2, s56, 3
	s_add_u32 s2, s34, s2
	s_addc_u32 s3, s35, 0
	s_add_u32 s2, s2, 0xc4
	s_addc_u32 s3, s3, 0
	s_mul_i32 s4, s56, 12
	s_add_u32 s4, s34, s4
	s_addc_u32 s5, s35, 0
.LBB457_13:                             ; =>This Inner Loop Header: Depth=1
	s_load_dwordx2 s[8:9], s[4:5], 0x4
	s_load_dword s7, s[4:5], 0xc
	s_load_dwordx2 s[10:11], s[2:3], 0x0
	v_mov_b32_e32 v2, v1
	s_add_u32 s4, s4, 12
	s_waitcnt lgkmcnt(0)
	v_mul_hi_u32 v1, s9, v4
	v_add_u32_e32 v1, v4, v1
	v_lshrrev_b32_e32 v1, s7, v1
	s_addc_u32 s5, s5, 0
	v_mul_lo_u32 v3, v1, s8
	s_add_u32 s2, s2, 8
	v_sub_u32_e32 v5, v4, v3
	s_addc_u32 s3, s3, 0
	s_add_i32 s6, s6, -1
	v_mov_b32_e32 v4, v1
	v_mad_u64_u32 v[2:3], s[8:9], v5, s11, v[2:3]
	v_mad_u64_u32 v[0:1], s[8:9], v5, s10, v[0:1]
	s_cmp_lg_u32 s6, 0
	v_mov_b32_e32 v1, v2
	s_cbranch_scc1 .LBB457_13
.LBB457_14:
	s_cbranch_execnz .LBB457_17
.LBB457_15:
	v_mul_hi_u32 v0, s25, v8
	v_add_u32_e32 v0, v8, v0
	v_lshrrev_b32_e32 v1, s26, v0
	v_mul_lo_u32 v0, v1, s24
	v_sub_u32_e32 v0, v8, v0
	v_mul_lo_u32 v2, v0, s29
	s_andn2_b64 vcc, exec, s[48:49]
	v_mul_lo_u32 v0, v0, s28
	s_cbranch_vccnz .LBB457_17
; %bb.16:
	v_mul_hi_u32 v3, s46, v1
	v_add_u32_e32 v3, v1, v3
	v_lshrrev_b32_e32 v3, s47, v3
	v_mul_lo_u32 v3, v3, s27
	v_sub_u32_e32 v3, v1, v3
	v_mad_u64_u32 v[0:1], s[2:3], v3, s30, v[0:1]
	v_mad_u64_u32 v[2:3], s[2:3], v3, s31, v[2:3]
.LBB457_17:
	v_mov_b32_e32 v3, 0
	s_and_b32 s8, 0xffff, s75
	s_cmp_lt_i32 s8, 11
	v_lshl_add_u64 v[2:3], s[22:23], 0, v[2:3]
	s_cbranch_scc1 .LBB457_24
; %bb.18:
	s_cmp_gt_i32 s8, 25
	s_cbranch_scc0 .LBB457_33
; %bb.19:
	s_cmp_gt_i32 s8, 28
	s_cbranch_scc0 .LBB457_36
	;; [unrolled: 3-line block ×4, first 2 shown]
; %bb.22:
	s_cmp_eq_u32 s8, 46
	s_mov_b64 s[6:7], 0
	s_cbranch_scc0 .LBB457_42
; %bb.23:
	global_load_dword v1, v[2:3], off
	s_mov_b64 s[2:3], -1
	s_mov_b64 s[4:5], 0
	s_waitcnt vmcnt(0)
	v_lshlrev_b32_e32 v1, 16, v1
	v_cvt_i32_f32_e32 v4, v1
	s_branch .LBB457_44
.LBB457_24:
	s_mov_b64 s[4:5], 0
                                        ; implicit-def: $vgpr4
	s_mov_b64 s[2:3], 0
	s_cbranch_execnz .LBB457_213
.LBB457_25:
	s_andn2_b64 vcc, exec, s[2:3]
	s_cbranch_vccnz .LBB457_260
.LBB457_26:
	v_mov_b32_e32 v1, 0
	s_and_b32 s12, s74, 0xff
	s_waitcnt vmcnt(0)
	v_min_i16_e32 v4, s73, v4
	s_cmp_lt_i32 s12, 11
	v_lshl_add_u64 v[0:1], s[20:21], 0, v[0:1]
	s_cbranch_scc1 .LBB457_34
; %bb.27:
	s_and_b32 s13, 0xffff, s12
	s_cmp_gt_i32 s13, 25
	s_cbranch_scc0 .LBB457_37
; %bb.28:
	s_cmp_gt_i32 s13, 28
	s_cbranch_scc0 .LBB457_39
; %bb.29:
	;; [unrolled: 3-line block ×4, first 2 shown]
	s_mov_b64 s[8:9], 0
	s_mov_b64 s[2:3], -1
	s_cmp_eq_u32 s13, 46
	s_mov_b64 s[6:7], 0
	s_cbranch_scc0 .LBB457_48
; %bb.32:
	v_cvt_f32_i32_sdwa v2, sext(v4) dst_sel:DWORD dst_unused:UNUSED_PAD src0_sel:WORD_0
	s_movk_i32 s2, 0x7fff
	s_mov_b64 s[6:7], -1
	v_bfe_u32 v3, v2, 16, 1
	v_add3_u32 v2, v2, v3, s2
	v_lshrrev_b32_e32 v2, 16, v2
	global_store_dword v[0:1], v2, off
	s_mov_b64 s[2:3], 0
	s_branch .LBB457_48
.LBB457_33:
	s_mov_b64 s[4:5], 0
	s_mov_b64 s[2:3], 0
                                        ; implicit-def: $vgpr4
	s_cbranch_execnz .LBB457_180
	s_branch .LBB457_212
.LBB457_34:
	s_mov_b64 s[2:3], 0
	s_mov_b64 s[6:7], 0
	s_cbranch_execnz .LBB457_117
.LBB457_35:
	s_andn2_b64 vcc, exec, s[6:7]
	s_cbranch_vccnz .LBB457_261
	s_branch .LBB457_155
.LBB457_36:
	s_mov_b64 s[6:7], -1
	s_mov_b64 s[4:5], 0
	s_mov_b64 s[2:3], 0
                                        ; implicit-def: $vgpr4
	s_branch .LBB457_163
.LBB457_37:
	s_mov_b64 s[8:9], -1
	s_mov_b64 s[2:3], 0
	s_mov_b64 s[6:7], 0
	s_branch .LBB457_75
.LBB457_38:
	s_mov_b64 s[6:7], -1
	s_mov_b64 s[4:5], 0
	s_mov_b64 s[2:3], 0
                                        ; implicit-def: $vgpr4
	s_branch .LBB457_158
.LBB457_39:
	s_mov_b64 s[8:9], -1
	s_mov_b64 s[2:3], 0
	s_mov_b64 s[6:7], 0
	s_branch .LBB457_58
.LBB457_40:
	s_mov_b64 s[6:7], -1
	s_mov_b64 s[4:5], 0
	s_branch .LBB457_43
.LBB457_41:
	s_mov_b64 s[8:9], -1
	s_mov_b64 s[2:3], 0
	s_mov_b64 s[6:7], 0
	s_branch .LBB457_54
.LBB457_42:
	s_mov_b64 s[4:5], -1
.LBB457_43:
	s_mov_b64 s[2:3], 0
                                        ; implicit-def: $vgpr4
.LBB457_44:
	s_and_b64 vcc, exec, s[6:7]
	s_cbranch_vccz .LBB457_157
; %bb.45:
	s_cmp_eq_u32 s8, 44
	s_cbranch_scc0 .LBB457_156
; %bb.46:
	global_load_ubyte v1, v[2:3], off
	s_mov_b64 s[2:3], -1
	s_mov_b64 s[4:5], 0
	s_waitcnt vmcnt(0)
	v_lshlrev_b32_e32 v4, 23, v1
	v_cvt_i32_f32_e32 v4, v4
	v_cmp_ne_u32_e32 vcc, 0, v1
	s_nop 1
	v_cndmask_b32_e32 v4, 0, v4, vcc
	s_branch .LBB457_157
.LBB457_47:
	s_mov_b64 s[8:9], -1
	s_mov_b64 s[2:3], 0
	s_mov_b64 s[6:7], 0
.LBB457_48:
	s_and_b64 vcc, exec, s[8:9]
	s_cbranch_vccz .LBB457_53
; %bb.49:
	s_cmp_eq_u32 s13, 44
	s_mov_b64 s[2:3], -1
	s_cbranch_scc0 .LBB457_53
; %bb.50:
	v_cvt_f32_i32_sdwa v2, sext(v4) dst_sel:DWORD dst_unused:UNUSED_PAD src0_sel:WORD_0
	s_movk_i32 s2, 0xff
	v_mov_b32_e32 v5, 0xff
	v_bfe_u32 v3, v2, 23, 8
	v_cmp_ne_u32_e32 vcc, s2, v3
	s_and_saveexec_b64 s[6:7], vcc
; %bb.51:
	s_mov_b32 s2, 0x3fffff
	v_lshrrev_b32_e32 v5, 23, v2
	v_and_b32_e32 v6, 0x400000, v2
	v_and_or_b32 v2, v2, s2, v3
	v_cmp_ne_u32_e32 vcc, 0, v6
	v_cmp_ne_u32_e64 s[2:3], 0, v2
	s_and_b64 s[2:3], vcc, s[2:3]
	s_nop 0
	v_cndmask_b32_e64 v2, 0, 1, s[2:3]
	v_add_u32_e32 v5, v5, v2
; %bb.52:
	s_or_b64 exec, exec, s[6:7]
	s_mov_b64 s[6:7], -1
	s_mov_b64 s[2:3], 0
	global_store_byte v[0:1], v5, off
.LBB457_53:
	s_mov_b64 s[8:9], 0
.LBB457_54:
	s_and_b64 vcc, exec, s[8:9]
	s_cbranch_vccz .LBB457_57
; %bb.55:
	s_cmp_eq_u32 s13, 29
	s_mov_b64 s[2:3], -1
	s_cbranch_scc0 .LBB457_57
; %bb.56:
	v_bfe_i32 v2, v4, 0, 16
	v_ashrrev_i32_e32 v3, 31, v2
	global_store_dwordx2 v[0:1], v[2:3], off
	s_mov_b64 s[6:7], -1
	s_mov_b64 s[2:3], 0
.LBB457_57:
	s_mov_b64 s[8:9], 0
.LBB457_58:
	s_and_b64 vcc, exec, s[8:9]
	s_cbranch_vccz .LBB457_74
; %bb.59:
	s_cmp_lt_i32 s13, 27
	s_mov_b64 s[6:7], -1
	s_cbranch_scc1 .LBB457_65
; %bb.60:
	s_cmp_gt_i32 s13, 27
	s_cbranch_scc0 .LBB457_62
; %bb.61:
	v_bfe_i32 v2, v4, 0, 16
	s_mov_b64 s[6:7], 0
	global_store_dword v[0:1], v2, off
.LBB457_62:
	s_andn2_b64 vcc, exec, s[6:7]
	s_cbranch_vccnz .LBB457_64
; %bb.63:
	global_store_short v[0:1], v4, off
.LBB457_64:
	s_mov_b64 s[6:7], 0
.LBB457_65:
	s_andn2_b64 vcc, exec, s[6:7]
	s_cbranch_vccnz .LBB457_73
; %bb.66:
	v_cvt_f32_i32_sdwa v2, sext(v4) dst_sel:DWORD dst_unused:UNUSED_PAD src0_sel:WORD_0
	s_mov_b32 s6, 0x43800000
	v_mov_b32_e32 v5, 0x80
	v_and_b32_e32 v3, 0x7fffffff, v2
	v_cmp_gt_u32_e32 vcc, s6, v3
	s_and_saveexec_b64 s[6:7], vcc
	s_cbranch_execz .LBB457_72
; %bb.67:
	s_mov_b32 s8, 0x3bffffff
	v_cmp_lt_u32_e32 vcc, s8, v3
	s_mov_b64 s[8:9], 0
                                        ; implicit-def: $vgpr3
	s_and_saveexec_b64 s[10:11], vcc
	s_xor_b64 s[10:11], exec, s[10:11]
	s_cbranch_execz .LBB457_305
; %bb.68:
	v_bfe_u32 v3, v2, 20, 1
	s_mov_b32 s14, 0x487ffff
	v_add3_u32 v3, v2, v3, s14
	s_mov_b64 s[8:9], exec
	v_lshrrev_b32_e32 v3, 20, v3
	s_andn2_saveexec_b64 s[10:11], s[10:11]
	s_cbranch_execnz .LBB457_306
.LBB457_69:
	s_or_b64 exec, exec, s[10:11]
	v_mov_b32_e32 v5, 0
	s_and_saveexec_b64 s[10:11], s[8:9]
.LBB457_70:
	v_lshrrev_b32_e32 v2, 24, v2
	s_movk_i32 s8, 0x80
	v_and_or_b32 v5, v2, s8, v3
.LBB457_71:
	s_or_b64 exec, exec, s[10:11]
.LBB457_72:
	s_or_b64 exec, exec, s[6:7]
	global_store_byte v[0:1], v5, off
.LBB457_73:
	s_mov_b64 s[6:7], -1
.LBB457_74:
	s_mov_b64 s[8:9], 0
.LBB457_75:
	s_and_b64 vcc, exec, s[8:9]
	s_cbranch_vccz .LBB457_116
; %bb.76:
	s_cmp_gt_i32 s13, 22
	s_mov_b64 s[8:9], -1
	s_cbranch_scc0 .LBB457_108
; %bb.77:
	s_cmp_lt_i32 s13, 24
	s_mov_b64 s[6:7], -1
	s_cbranch_scc1 .LBB457_97
; %bb.78:
	s_cmp_gt_i32 s13, 24
	s_cbranch_scc0 .LBB457_86
; %bb.79:
	v_cvt_f32_i32_sdwa v2, sext(v4) dst_sel:DWORD dst_unused:UNUSED_PAD src0_sel:WORD_0
	s_mov_b32 s6, 0x47800000
	v_mov_b32_e32 v5, 0x80
	v_and_b32_e32 v3, 0x7fffffff, v2
	v_cmp_gt_u32_e32 vcc, s6, v3
	s_and_saveexec_b64 s[6:7], vcc
	s_cbranch_execz .LBB457_85
; %bb.80:
	s_mov_b32 s8, 0x37ffffff
	v_cmp_lt_u32_e32 vcc, s8, v3
	s_mov_b64 s[8:9], 0
                                        ; implicit-def: $vgpr3
	s_and_saveexec_b64 s[10:11], vcc
	s_xor_b64 s[10:11], exec, s[10:11]
	s_cbranch_execz .LBB457_309
; %bb.81:
	v_bfe_u32 v3, v2, 21, 1
	s_mov_b32 s14, 0x88fffff
	v_add3_u32 v3, v2, v3, s14
	s_mov_b64 s[8:9], exec
	v_lshrrev_b32_e32 v3, 21, v3
	s_andn2_saveexec_b64 s[10:11], s[10:11]
	s_cbranch_execnz .LBB457_310
.LBB457_82:
	s_or_b64 exec, exec, s[10:11]
	v_mov_b32_e32 v5, 0
	s_and_saveexec_b64 s[10:11], s[8:9]
.LBB457_83:
	v_lshrrev_b32_e32 v2, 24, v2
	s_movk_i32 s8, 0x80
	v_and_or_b32 v5, v2, s8, v3
.LBB457_84:
	s_or_b64 exec, exec, s[10:11]
.LBB457_85:
	s_or_b64 exec, exec, s[6:7]
	s_mov_b64 s[6:7], 0
	global_store_byte v[0:1], v5, off
.LBB457_86:
	s_and_b64 vcc, exec, s[6:7]
	s_cbranch_vccz .LBB457_96
; %bb.87:
	v_cvt_f32_i32_sdwa v2, sext(v4) dst_sel:DWORD dst_unused:UNUSED_PAD src0_sel:WORD_0
	s_mov_b32 s6, 0x43f00000
                                        ; implicit-def: $vgpr3
	v_and_b32_e32 v5, 0x7fffffff, v2
	v_cmp_gt_u32_e32 vcc, s6, v5
	s_and_saveexec_b64 s[6:7], vcc
	s_xor_b64 s[6:7], exec, s[6:7]
	s_cbranch_execz .LBB457_93
; %bb.88:
	s_mov_b32 s8, 0x3c7fffff
	v_cmp_lt_u32_e32 vcc, s8, v5
                                        ; implicit-def: $vgpr3
	s_and_saveexec_b64 s[8:9], vcc
	s_xor_b64 s[8:9], exec, s[8:9]
; %bb.89:
	v_bfe_u32 v3, v2, 20, 1
	s_mov_b32 s10, 0x407ffff
	v_add3_u32 v3, v2, v3, s10
	v_lshrrev_b32_e32 v5, 20, v3
	v_and_b32_e32 v3, 0xff00000, v3
	s_mov_b32 s10, 0x7f00000
	v_mov_b32_e32 v6, 0x7e
	v_cmp_ne_u32_e32 vcc, s10, v3
	s_nop 1
	v_cndmask_b32_e32 v3, v6, v5, vcc
; %bb.90:
	s_andn2_saveexec_b64 s[8:9], s[8:9]
; %bb.91:
	s_mov_b32 s10, 0x46800000
	v_add_f32_e64 v3, |v2|, s10
; %bb.92:
	s_or_b64 exec, exec, s[8:9]
                                        ; implicit-def: $vgpr5
.LBB457_93:
	s_andn2_saveexec_b64 s[6:7], s[6:7]
; %bb.94:
	s_mov_b32 s8, 0x7f800000
	v_mov_b32_e32 v3, 0x7e
	v_mov_b32_e32 v6, 0x7f
	v_cmp_lt_u32_e32 vcc, s8, v5
	s_nop 1
	v_cndmask_b32_e32 v3, v3, v6, vcc
; %bb.95:
	s_or_b64 exec, exec, s[6:7]
	v_lshrrev_b32_e32 v2, 24, v2
	s_movk_i32 s6, 0x80
	v_and_or_b32 v2, v2, s6, v3
	global_store_byte v[0:1], v2, off
.LBB457_96:
	s_mov_b64 s[6:7], 0
.LBB457_97:
	s_andn2_b64 vcc, exec, s[6:7]
	s_cbranch_vccnz .LBB457_107
; %bb.98:
	v_cvt_f32_i32_sdwa v2, sext(v4) dst_sel:DWORD dst_unused:UNUSED_PAD src0_sel:WORD_0
	s_mov_b32 s6, 0x47800000
                                        ; implicit-def: $vgpr3
	v_and_b32_e32 v5, 0x7fffffff, v2
	v_cmp_gt_u32_e32 vcc, s6, v5
	s_and_saveexec_b64 s[6:7], vcc
	s_xor_b64 s[6:7], exec, s[6:7]
	s_cbranch_execz .LBB457_104
; %bb.99:
	s_mov_b32 s8, 0x387fffff
	v_cmp_lt_u32_e32 vcc, s8, v5
                                        ; implicit-def: $vgpr3
	s_and_saveexec_b64 s[8:9], vcc
	s_xor_b64 s[8:9], exec, s[8:9]
; %bb.100:
	v_bfe_u32 v3, v2, 21, 1
	s_mov_b32 s10, 0x80fffff
	v_add3_u32 v3, v2, v3, s10
	v_lshrrev_b32_e32 v3, 21, v3
; %bb.101:
	s_andn2_saveexec_b64 s[8:9], s[8:9]
; %bb.102:
	s_mov_b32 s10, 0x43000000
	v_add_f32_e64 v3, |v2|, s10
; %bb.103:
	s_or_b64 exec, exec, s[8:9]
                                        ; implicit-def: $vgpr5
.LBB457_104:
	s_andn2_saveexec_b64 s[6:7], s[6:7]
; %bb.105:
	s_mov_b32 s8, 0x7f800000
	v_mov_b32_e32 v3, 0x7c
	v_mov_b32_e32 v6, 0x7f
	v_cmp_lt_u32_e32 vcc, s8, v5
	s_nop 1
	v_cndmask_b32_e32 v3, v3, v6, vcc
; %bb.106:
	s_or_b64 exec, exec, s[6:7]
	v_lshrrev_b32_e32 v2, 24, v2
	s_movk_i32 s6, 0x80
	v_and_or_b32 v2, v2, s6, v3
	global_store_byte v[0:1], v2, off
.LBB457_107:
	s_mov_b64 s[8:9], 0
	s_mov_b64 s[6:7], -1
.LBB457_108:
	s_andn2_b64 vcc, exec, s[8:9]
	s_cbranch_vccnz .LBB457_116
; %bb.109:
	s_cmp_gt_i32 s13, 14
	s_mov_b64 s[8:9], -1
	s_cbranch_scc0 .LBB457_113
; %bb.110:
	s_cmp_eq_u32 s13, 15
	s_mov_b64 s[2:3], -1
	s_cbranch_scc0 .LBB457_112
; %bb.111:
	v_cvt_f32_i32_sdwa v2, sext(v4) dst_sel:DWORD dst_unused:UNUSED_PAD src0_sel:WORD_0
	s_movk_i32 s2, 0x7fff
	s_mov_b64 s[6:7], -1
	v_bfe_u32 v3, v2, 16, 1
	v_add3_u32 v2, v2, v3, s2
	global_store_short_d16_hi v[0:1], v2, off
	s_mov_b64 s[2:3], 0
.LBB457_112:
	s_mov_b64 s[8:9], 0
.LBB457_113:
	s_and_b64 vcc, exec, s[8:9]
	s_cbranch_vccz .LBB457_116
; %bb.114:
	s_cmp_eq_u32 s13, 11
	s_mov_b64 s[2:3], -1
	s_cbranch_scc0 .LBB457_116
; %bb.115:
	v_cmp_ne_u16_e32 vcc, 0, v4
	s_mov_b64 s[6:7], -1
	s_mov_b64 s[2:3], 0
	v_cndmask_b32_e64 v2, 0, 1, vcc
	global_store_byte v[0:1], v2, off
.LBB457_116:
	s_branch .LBB457_35
.LBB457_117:
	s_and_b32 s8, 0xffff, s12
	s_cmp_lt_i32 s8, 5
	s_mov_b64 s[6:7], -1
	s_cbranch_scc1 .LBB457_138
; %bb.118:
	s_cmp_lt_i32 s8, 8
	s_cbranch_scc1 .LBB457_128
; %bb.119:
	s_cmp_lt_i32 s8, 9
	s_cbranch_scc1 .LBB457_125
; %bb.120:
	s_cmp_gt_i32 s8, 9
	s_cbranch_scc0 .LBB457_122
; %bb.121:
	v_bfe_i32 v2, v4, 0, 16
	v_mov_b32_e32 v12, 0
	v_cvt_f64_i32_e32 v[10:11], v2
	v_mov_b32_e32 v13, v12
	global_store_dwordx4 v[0:1], v[10:13], off
	s_mov_b64 s[6:7], 0
.LBB457_122:
	s_andn2_b64 vcc, exec, s[6:7]
	s_cbranch_vccnz .LBB457_124
; %bb.123:
	v_cvt_f32_i32_sdwa v2, sext(v4) dst_sel:DWORD dst_unused:UNUSED_PAD src0_sel:WORD_0
	v_mov_b32_e32 v3, 0
	global_store_dwordx2 v[0:1], v[2:3], off
.LBB457_124:
	s_mov_b64 s[6:7], 0
.LBB457_125:
	s_andn2_b64 vcc, exec, s[6:7]
	s_cbranch_vccnz .LBB457_127
; %bb.126:
	v_cvt_f16_i16_e32 v2, v4
	global_store_dword v[0:1], v2, off
.LBB457_127:
	s_mov_b64 s[6:7], 0
.LBB457_128:
	s_andn2_b64 vcc, exec, s[6:7]
	s_cbranch_vccnz .LBB457_137
; %bb.129:
	s_cmp_lt_i32 s8, 6
	s_mov_b64 s[6:7], -1
	s_cbranch_scc1 .LBB457_135
; %bb.130:
	s_cmp_gt_i32 s8, 6
	s_cbranch_scc0 .LBB457_132
; %bb.131:
	v_bfe_i32 v2, v4, 0, 16
	v_cvt_f64_i32_e32 v[2:3], v2
	global_store_dwordx2 v[0:1], v[2:3], off
	s_mov_b64 s[6:7], 0
.LBB457_132:
	s_andn2_b64 vcc, exec, s[6:7]
	s_cbranch_vccnz .LBB457_134
; %bb.133:
	v_cvt_f32_i32_sdwa v2, sext(v4) dst_sel:DWORD dst_unused:UNUSED_PAD src0_sel:WORD_0
	global_store_dword v[0:1], v2, off
.LBB457_134:
	s_mov_b64 s[6:7], 0
.LBB457_135:
	s_andn2_b64 vcc, exec, s[6:7]
	s_cbranch_vccnz .LBB457_137
; %bb.136:
	v_cvt_f16_i16_e32 v2, v4
	global_store_short v[0:1], v2, off
.LBB457_137:
	s_mov_b64 s[6:7], 0
.LBB457_138:
	s_andn2_b64 vcc, exec, s[6:7]
	s_cbranch_vccnz .LBB457_154
; %bb.139:
	s_cmp_lt_i32 s8, 2
	s_mov_b64 s[6:7], -1
	s_cbranch_scc1 .LBB457_149
; %bb.140:
	s_cmp_lt_i32 s8, 3
	s_cbranch_scc1 .LBB457_146
; %bb.141:
	s_cmp_gt_i32 s8, 3
	v_bfe_i32 v2, v4, 0, 16
	s_cbranch_scc0 .LBB457_143
; %bb.142:
	v_ashrrev_i32_e32 v3, 31, v2
	global_store_dwordx2 v[0:1], v[2:3], off
	s_mov_b64 s[6:7], 0
.LBB457_143:
	s_andn2_b64 vcc, exec, s[6:7]
	s_cbranch_vccnz .LBB457_145
; %bb.144:
	global_store_dword v[0:1], v2, off
.LBB457_145:
	s_mov_b64 s[6:7], 0
.LBB457_146:
	s_andn2_b64 vcc, exec, s[6:7]
	s_cbranch_vccnz .LBB457_148
; %bb.147:
	global_store_short v[0:1], v4, off
.LBB457_148:
	s_mov_b64 s[6:7], 0
.LBB457_149:
	s_andn2_b64 vcc, exec, s[6:7]
	s_cbranch_vccnz .LBB457_154
; %bb.150:
	s_cmp_gt_i32 s8, 0
	s_mov_b64 s[6:7], -1
	s_cbranch_scc0 .LBB457_152
; %bb.151:
	global_store_byte v[0:1], v4, off
	s_mov_b64 s[6:7], 0
.LBB457_152:
	s_andn2_b64 vcc, exec, s[6:7]
	s_cbranch_vccnz .LBB457_154
; %bb.153:
	global_store_byte v[0:1], v4, off
.LBB457_154:
.LBB457_155:
	v_add_u32_e32 v8, 0x80, v8
	s_mov_b64 s[6:7], -1
	s_branch .LBB457_262
.LBB457_156:
	s_mov_b64 s[4:5], -1
                                        ; implicit-def: $vgpr4
.LBB457_157:
	s_mov_b64 s[6:7], 0
.LBB457_158:
	s_and_b64 vcc, exec, s[6:7]
	s_cbranch_vccz .LBB457_162
; %bb.159:
	s_cmp_eq_u32 s8, 29
	s_cbranch_scc0 .LBB457_161
; %bb.160:
	global_load_dwordx2 v[4:5], v[2:3], off
	s_mov_b64 s[2:3], -1
	s_mov_b64 s[4:5], 0
	s_branch .LBB457_162
.LBB457_161:
	s_mov_b64 s[4:5], -1
                                        ; implicit-def: $vgpr4
.LBB457_162:
	s_mov_b64 s[6:7], 0
.LBB457_163:
	s_and_b64 vcc, exec, s[6:7]
	s_cbranch_vccz .LBB457_179
; %bb.164:
	s_cmp_lt_i32 s8, 27
	s_cbranch_scc1 .LBB457_167
; %bb.165:
	s_cmp_gt_i32 s8, 27
	s_cbranch_scc0 .LBB457_168
; %bb.166:
	global_load_dword v4, v[2:3], off
	s_mov_b64 s[2:3], 0
	s_branch .LBB457_169
.LBB457_167:
	s_mov_b64 s[2:3], -1
                                        ; implicit-def: $vgpr4
	s_branch .LBB457_172
.LBB457_168:
	s_mov_b64 s[2:3], -1
                                        ; implicit-def: $vgpr4
.LBB457_169:
	s_andn2_b64 vcc, exec, s[2:3]
	s_cbranch_vccnz .LBB457_171
; %bb.170:
	global_load_ushort v4, v[2:3], off
.LBB457_171:
	s_mov_b64 s[2:3], 0
.LBB457_172:
	s_andn2_b64 vcc, exec, s[2:3]
	s_cbranch_vccnz .LBB457_178
; %bb.173:
	global_load_ubyte v1, v[2:3], off
	s_movk_i32 s2, 0x7f
	s_mov_b64 s[6:7], 0
	s_waitcnt vmcnt(0)
	v_cmp_lt_i16_e32 vcc, s2, v1
	s_and_saveexec_b64 s[2:3], vcc
	s_xor_b64 s[2:3], exec, s[2:3]
	s_cbranch_execz .LBB457_189
; %bb.174:
	s_movk_i32 s6, 0x80
	v_cmp_ne_u16_e32 vcc, s6, v1
	s_and_b64 s[6:7], vcc, exec
	s_andn2_saveexec_b64 s[2:3], s[2:3]
	s_cbranch_execnz .LBB457_190
.LBB457_175:
	s_or_b64 exec, exec, s[2:3]
	v_mov_b32_e32 v4, 0
	s_and_saveexec_b64 s[2:3], s[6:7]
	s_cbranch_execz .LBB457_177
.LBB457_176:
	v_lshlrev_b32_e32 v4, 24, v1
	v_and_b32_e32 v1, 0xffff, v1
	v_and_b32_e32 v5, 7, v1
	v_ffbh_u32_e32 v7, v5
	v_min_u32_e32 v7, 32, v7
	v_subrev_u32_e32 v9, 28, v7
	v_bfe_u32 v6, v1, 3, 4
	v_lshlrev_b32_e32 v1, v9, v1
	v_sub_u32_e32 v7, 29, v7
	v_and_b32_e32 v1, 7, v1
	v_cmp_eq_u32_e32 vcc, 0, v6
	v_and_b32_e32 v4, 0x80000000, v4
	s_nop 0
	v_cndmask_b32_e32 v6, v6, v7, vcc
	v_cndmask_b32_e32 v1, v5, v1, vcc
	v_mov_b32_e32 v5, 0x3b800000
	v_lshlrev_b32_e32 v1, 20, v1
	v_lshl_add_u32 v5, v6, 23, v5
	v_or3_b32 v1, v4, v5, v1
	v_cvt_i32_f32_e32 v4, v1
.LBB457_177:
	s_or_b64 exec, exec, s[2:3]
.LBB457_178:
	s_mov_b64 s[2:3], -1
.LBB457_179:
	s_branch .LBB457_212
.LBB457_180:
	s_cmp_gt_i32 s8, 22
	s_cbranch_scc0 .LBB457_188
; %bb.181:
	s_cmp_lt_i32 s8, 24
	s_cbranch_scc1 .LBB457_191
; %bb.182:
	s_cmp_gt_i32 s8, 24
	s_cbranch_scc0 .LBB457_192
; %bb.183:
	global_load_ubyte v1, v[2:3], off
	s_movk_i32 s2, 0x7f
	s_mov_b64 s[6:7], 0
	s_waitcnt vmcnt(0)
	v_cmp_lt_i16_e32 vcc, s2, v1
	s_and_saveexec_b64 s[2:3], vcc
	s_xor_b64 s[2:3], exec, s[2:3]
	s_cbranch_execz .LBB457_204
; %bb.184:
	s_movk_i32 s6, 0x80
	v_cmp_ne_u16_e32 vcc, s6, v1
	s_and_b64 s[6:7], vcc, exec
	s_andn2_saveexec_b64 s[2:3], s[2:3]
	s_cbranch_execnz .LBB457_205
.LBB457_185:
	s_or_b64 exec, exec, s[2:3]
	v_mov_b32_e32 v4, 0
	s_and_saveexec_b64 s[2:3], s[6:7]
	s_cbranch_execz .LBB457_187
.LBB457_186:
	v_lshlrev_b32_e32 v4, 24, v1
	v_and_b32_e32 v1, 0xffff, v1
	v_and_b32_e32 v5, 3, v1
	v_ffbh_u32_e32 v7, v5
	v_min_u32_e32 v7, 32, v7
	v_subrev_u32_e32 v9, 29, v7
	v_bfe_u32 v6, v1, 2, 5
	v_lshlrev_b32_e32 v1, v9, v1
	v_sub_u32_e32 v7, 30, v7
	v_and_b32_e32 v1, 3, v1
	v_cmp_eq_u32_e32 vcc, 0, v6
	v_and_b32_e32 v4, 0x80000000, v4
	s_nop 0
	v_cndmask_b32_e32 v6, v6, v7, vcc
	v_cndmask_b32_e32 v1, v5, v1, vcc
	v_mov_b32_e32 v5, 0x37800000
	v_lshlrev_b32_e32 v1, 21, v1
	v_lshl_add_u32 v5, v6, 23, v5
	v_or3_b32 v1, v4, v5, v1
	v_cvt_i32_f32_e32 v4, v1
.LBB457_187:
	s_or_b64 exec, exec, s[2:3]
	s_mov_b64 s[2:3], 0
	s_branch .LBB457_193
.LBB457_188:
	s_mov_b64 s[6:7], -1
                                        ; implicit-def: $vgpr4
	s_branch .LBB457_199
.LBB457_189:
	s_andn2_saveexec_b64 s[2:3], s[2:3]
	s_cbranch_execz .LBB457_175
.LBB457_190:
	v_cmp_ne_u16_e32 vcc, 0, v1
	s_andn2_b64 s[6:7], s[6:7], exec
	s_and_b64 s[10:11], vcc, exec
	s_or_b64 s[6:7], s[6:7], s[10:11]
	s_or_b64 exec, exec, s[2:3]
	v_mov_b32_e32 v4, 0
	s_and_saveexec_b64 s[2:3], s[6:7]
	s_cbranch_execnz .LBB457_176
	s_branch .LBB457_177
.LBB457_191:
	s_mov_b64 s[2:3], -1
                                        ; implicit-def: $vgpr4
	s_branch .LBB457_196
.LBB457_192:
	s_mov_b64 s[2:3], -1
                                        ; implicit-def: $vgpr4
.LBB457_193:
	s_and_b64 vcc, exec, s[2:3]
	s_cbranch_vccz .LBB457_195
; %bb.194:
	global_load_ubyte v1, v[2:3], off
	s_mov_b32 s2, 0x7f800000
	s_waitcnt vmcnt(0)
	v_lshlrev_b32_e32 v1, 24, v1
	v_and_b32_e32 v4, 0x7f000000, v1
	v_ffbh_u32_e32 v5, v4
	v_min_u32_e32 v5, 32, v5
	v_sub_u32_e64 v5, v5, 4 clamp
	v_lshlrev_b32_e32 v7, v5, v4
	v_lshlrev_b32_e32 v5, 23, v5
	v_lshrrev_b32_e32 v7, 4, v7
	v_add_u32_e32 v6, 0x1000000, v4
	v_sub_u32_e32 v5, v7, v5
	v_ashrrev_i32_e32 v6, 8, v6
	v_add_u32_e32 v5, 0x3c000000, v5
	v_and_or_b32 v5, v6, s2, v5
	v_cmp_ne_u32_e32 vcc, 0, v4
	s_brev_b32 s2, 1
	s_nop 0
	v_cndmask_b32_e32 v4, 0, v5, vcc
	v_and_or_b32 v1, v1, s2, v4
	v_cvt_i32_f32_e32 v4, v1
.LBB457_195:
	s_mov_b64 s[2:3], 0
.LBB457_196:
	s_andn2_b64 vcc, exec, s[2:3]
	s_cbranch_vccnz .LBB457_198
; %bb.197:
	global_load_ubyte v1, v[2:3], off
	s_movk_i32 s2, 0x7f00
	s_brev_b32 s3, 16
	s_waitcnt vmcnt(0)
	v_lshlrev_b16_e32 v4, 8, v1
	v_lshlrev_b32_e32 v1, 25, v1
	v_lshrrev_b32_e32 v5, 4, v1
	v_and_or_b32 v6, v4, s2, 0.5
	v_or_b32_e32 v5, 0x70000000, v5
	v_add_f32_e32 v6, -0.5, v6
	v_mul_f32_e32 v5, 0x7800000, v5
	v_cmp_gt_u32_e32 vcc, s3, v1
	v_bfe_i32 v4, v4, 0, 16
	s_brev_b32 s2, 1
	v_cndmask_b32_e32 v1, v5, v6, vcc
	v_and_or_b32 v1, v4, s2, v1
	v_cvt_i32_f32_e32 v4, v1
.LBB457_198:
	s_mov_b64 s[6:7], 0
	s_mov_b64 s[2:3], -1
.LBB457_199:
	s_andn2_b64 vcc, exec, s[6:7]
	s_cbranch_vccnz .LBB457_212
; %bb.200:
	s_cmp_gt_i32 s8, 14
	s_cbranch_scc0 .LBB457_203
; %bb.201:
	s_cmp_eq_u32 s8, 15
	s_cbranch_scc0 .LBB457_206
; %bb.202:
	global_load_ushort v1, v[2:3], off
	s_mov_b64 s[2:3], -1
	s_mov_b64 s[4:5], 0
	s_waitcnt vmcnt(0)
	v_lshlrev_b32_e32 v1, 16, v1
	v_cvt_i32_f32_e32 v4, v1
	s_branch .LBB457_207
.LBB457_203:
	s_mov_b64 s[6:7], -1
                                        ; implicit-def: $vgpr4
	s_branch .LBB457_208
.LBB457_204:
	s_andn2_saveexec_b64 s[2:3], s[2:3]
	s_cbranch_execz .LBB457_185
.LBB457_205:
	v_cmp_ne_u16_e32 vcc, 0, v1
	s_andn2_b64 s[6:7], s[6:7], exec
	s_and_b64 s[10:11], vcc, exec
	s_or_b64 s[6:7], s[6:7], s[10:11]
	s_or_b64 exec, exec, s[2:3]
	v_mov_b32_e32 v4, 0
	s_and_saveexec_b64 s[2:3], s[6:7]
	s_cbranch_execnz .LBB457_186
	s_branch .LBB457_187
.LBB457_206:
	s_mov_b64 s[4:5], -1
                                        ; implicit-def: $vgpr4
.LBB457_207:
	s_mov_b64 s[6:7], 0
.LBB457_208:
	s_and_b64 vcc, exec, s[6:7]
	s_cbranch_vccz .LBB457_212
; %bb.209:
	s_cmp_eq_u32 s8, 11
	s_cbranch_scc0 .LBB457_211
; %bb.210:
	global_load_ubyte v1, v[2:3], off
	s_mov_b64 s[2:3], -1
	s_mov_b64 s[4:5], 0
	s_waitcnt vmcnt(0)
	v_cmp_ne_u16_e32 vcc, 0, v1
	s_nop 1
	v_cndmask_b32_e64 v4, 0, 1, vcc
	s_branch .LBB457_212
.LBB457_211:
	s_mov_b64 s[4:5], -1
                                        ; implicit-def: $vgpr4
.LBB457_212:
	s_branch .LBB457_25
.LBB457_213:
	s_cmp_lt_i32 s8, 5
	s_cbranch_scc1 .LBB457_218
; %bb.214:
	s_cmp_lt_i32 s8, 8
	s_cbranch_scc1 .LBB457_219
; %bb.215:
	;; [unrolled: 3-line block ×3, first 2 shown]
	s_cmp_gt_i32 s8, 9
	s_cbranch_scc0 .LBB457_221
; %bb.217:
	global_load_dwordx2 v[4:5], v[2:3], off
	s_mov_b64 s[2:3], 0
	s_waitcnt vmcnt(0)
	v_cvt_i32_f64_e32 v4, v[4:5]
	s_branch .LBB457_222
.LBB457_218:
                                        ; implicit-def: $vgpr4
	s_branch .LBB457_240
.LBB457_219:
	s_mov_b64 s[2:3], -1
                                        ; implicit-def: $vgpr4
	s_branch .LBB457_228
.LBB457_220:
	s_mov_b64 s[2:3], -1
                                        ; implicit-def: $vgpr4
	s_branch .LBB457_225
.LBB457_221:
	s_mov_b64 s[2:3], -1
                                        ; implicit-def: $vgpr4
.LBB457_222:
	s_andn2_b64 vcc, exec, s[2:3]
	s_cbranch_vccnz .LBB457_224
; %bb.223:
	global_load_dword v1, v[2:3], off
	s_waitcnt vmcnt(0)
	v_cvt_i32_f32_e32 v4, v1
.LBB457_224:
	s_mov_b64 s[2:3], 0
.LBB457_225:
	s_andn2_b64 vcc, exec, s[2:3]
	s_cbranch_vccnz .LBB457_227
; %bb.226:
	global_load_dword v1, v[2:3], off
	s_waitcnt vmcnt(0)
	v_cvt_i16_f16_e32 v4, v1
.LBB457_227:
	s_mov_b64 s[2:3], 0
.LBB457_228:
	s_andn2_b64 vcc, exec, s[2:3]
	s_cbranch_vccnz .LBB457_239
; %bb.229:
	s_cmp_lt_i32 s8, 6
	s_cbranch_scc1 .LBB457_232
; %bb.230:
	s_cmp_gt_i32 s8, 6
	s_cbranch_scc0 .LBB457_233
; %bb.231:
	global_load_dwordx2 v[4:5], v[2:3], off
	s_mov_b64 s[2:3], 0
	s_waitcnt vmcnt(0)
	v_cvt_i32_f64_e32 v4, v[4:5]
	s_branch .LBB457_234
.LBB457_232:
	s_mov_b64 s[2:3], -1
                                        ; implicit-def: $vgpr4
	s_branch .LBB457_237
.LBB457_233:
	s_mov_b64 s[2:3], -1
                                        ; implicit-def: $vgpr4
.LBB457_234:
	s_andn2_b64 vcc, exec, s[2:3]
	s_cbranch_vccnz .LBB457_236
; %bb.235:
	global_load_dword v1, v[2:3], off
	s_waitcnt vmcnt(0)
	v_cvt_i32_f32_e32 v4, v1
.LBB457_236:
	s_mov_b64 s[2:3], 0
.LBB457_237:
	s_andn2_b64 vcc, exec, s[2:3]
	s_cbranch_vccnz .LBB457_239
; %bb.238:
	global_load_ushort v1, v[2:3], off
	s_waitcnt vmcnt(0)
	v_cvt_i16_f16_e32 v4, v1
.LBB457_239:
	s_cbranch_execnz .LBB457_259
.LBB457_240:
	s_cmp_lt_i32 s8, 2
	s_cbranch_scc1 .LBB457_244
; %bb.241:
	s_cmp_lt_i32 s8, 3
	s_cbranch_scc1 .LBB457_245
; %bb.242:
	s_cmp_gt_i32 s8, 3
	s_cbranch_scc0 .LBB457_246
; %bb.243:
	global_load_dwordx2 v[4:5], v[2:3], off
	s_mov_b64 s[2:3], 0
	s_branch .LBB457_247
.LBB457_244:
	s_mov_b64 s[2:3], -1
                                        ; implicit-def: $vgpr4
	s_branch .LBB457_253
.LBB457_245:
	s_mov_b64 s[2:3], -1
                                        ; implicit-def: $vgpr4
	s_branch .LBB457_250
.LBB457_246:
	s_mov_b64 s[2:3], -1
                                        ; implicit-def: $vgpr4
.LBB457_247:
	s_andn2_b64 vcc, exec, s[2:3]
	s_cbranch_vccnz .LBB457_249
; %bb.248:
	global_load_dword v4, v[2:3], off
.LBB457_249:
	s_mov_b64 s[2:3], 0
.LBB457_250:
	s_andn2_b64 vcc, exec, s[2:3]
	s_cbranch_vccnz .LBB457_252
; %bb.251:
	global_load_ushort v4, v[2:3], off
.LBB457_252:
	s_mov_b64 s[2:3], 0
.LBB457_253:
	s_andn2_b64 vcc, exec, s[2:3]
	s_cbranch_vccnz .LBB457_259
; %bb.254:
	s_cmp_gt_i32 s8, 0
	s_cbranch_scc0 .LBB457_256
; %bb.255:
	global_load_sbyte v4, v[2:3], off
	s_mov_b64 s[2:3], 0
	s_branch .LBB457_257
.LBB457_256:
	s_mov_b64 s[2:3], -1
                                        ; implicit-def: $vgpr4
.LBB457_257:
	s_andn2_b64 vcc, exec, s[2:3]
	s_cbranch_vccnz .LBB457_259
; %bb.258:
	global_load_ubyte v4, v[2:3], off
.LBB457_259:
	s_branch .LBB457_26
.LBB457_260:
	s_mov_b64 s[2:3], 0
.LBB457_261:
	s_mov_b64 s[6:7], 0
                                        ; implicit-def: $vgpr8
.LBB457_262:
	s_and_b64 s[54:55], s[2:3], exec
	s_and_b64 s[56:57], s[4:5], exec
	s_orn2_b64 s[4:5], s[6:7], exec
.LBB457_263:
	s_or_b64 exec, exec, s[58:59]
	s_mov_b64 s[8:9], 0
	s_mov_b64 s[2:3], 0
                                        ; implicit-def: $vgpr2_vgpr3
                                        ; implicit-def: $vgpr0
                                        ; implicit-def: $vgpr4
	s_and_saveexec_b64 s[58:59], s[4:5]
	s_cbranch_execz .LBB457_271
; %bb.264:
	v_cmp_gt_i32_e32 vcc, s70, v8
	s_mov_b64 s[2:3], -1
	s_mov_b64 s[60:61], s[56:57]
	s_mov_b64 s[62:63], s[54:55]
	s_and_saveexec_b64 s[64:65], vcc
	s_cbranch_execz .LBB457_536
; %bb.265:
	s_andn2_b64 vcc, exec, s[42:43]
	s_cbranch_vccnz .LBB457_274
; %bb.266:
	s_andn2_b64 vcc, exec, s[52:53]
	s_cbranch_vccnz .LBB457_275
; %bb.267:
	s_add_i32 s63, s76, 1
	s_cmp_eq_u32 s72, 2
	s_cbranch_scc1 .LBB457_276
; %bb.268:
	s_and_b32 s62, s63, 28
	s_mov_b32 s66, 0
	v_mov_b32_e32 v0, 0
	v_mov_b32_e32 v2, 0
	s_mov_b64 s[2:3], s[34:35]
	s_mov_b64 s[60:61], s[50:51]
	s_waitcnt vmcnt(0)
	v_mov_b32_e32 v4, v8
.LBB457_269:                            ; =>This Inner Loop Header: Depth=1
	s_load_dwordx8 s[12:19], s[2:3], 0x4
	s_load_dwordx4 s[36:39], s[2:3], 0x24
	s_load_dwordx8 s[4:11], s[60:61], 0x0
	s_add_u32 s2, s2, 48
	s_addc_u32 s3, s3, 0
	s_waitcnt lgkmcnt(0)
	v_mul_hi_u32 v1, s13, v4
	v_add_u32_e32 v1, v4, v1
	v_lshrrev_b32_e32 v1, s14, v1
	v_mul_lo_u32 v3, v1, s12
	v_mul_hi_u32 v5, s16, v1
	v_sub_u32_e32 v3, v4, v3
	v_add_u32_e32 v4, v1, v5
	v_lshrrev_b32_e32 v4, s17, v4
	v_mul_lo_u32 v6, v4, s15
	v_mul_hi_u32 v7, s19, v4
	v_sub_u32_e32 v1, v1, v6
	v_add_u32_e32 v6, v4, v7
	v_mul_lo_u32 v5, v3, s5
	v_mul_lo_u32 v3, v3, s4
	;; [unrolled: 1-line block ×4, first 2 shown]
	v_lshrrev_b32_e32 v6, s36, v6
	v_add3_u32 v0, v3, v0, v1
	v_mul_hi_u32 v3, s38, v6
	v_add3_u32 v1, v5, v2, v7
	v_mul_lo_u32 v2, v6, s18
	v_add_u32_e32 v3, v6, v3
	v_sub_u32_e32 v2, v4, v2
	v_lshrrev_b32_e32 v4, s39, v3
	s_add_i32 s66, s66, 4
	v_mul_lo_u32 v3, v4, s37
	s_add_u32 s60, s60, 32
	v_sub_u32_e32 v3, v6, v3
	s_addc_u32 s61, s61, 0
	v_mul_lo_u32 v5, v2, s8
	v_mul_lo_u32 v2, v2, s9
	;; [unrolled: 1-line block ×4, first 2 shown]
	s_cmp_eq_u32 s62, s66
	v_add3_u32 v2, v2, v1, v3
	v_add3_u32 v0, v5, v0, v6
	s_cbranch_scc0 .LBB457_269
; %bb.270:
	v_mov_b32_e32 v1, v2
	s_branch .LBB457_277
.LBB457_271:
	s_or_b64 exec, exec, s[58:59]
	s_mov_b64 s[4:5], 0
	s_and_saveexec_b64 s[6:7], s[56:57]
	s_cbranch_execnz .LBB457_906
.LBB457_272:
	s_or_b64 exec, exec, s[6:7]
	s_and_saveexec_b64 s[6:7], s[62:63]
	s_xor_b64 s[6:7], exec, s[6:7]
	s_cbranch_execz .LBB457_907
.LBB457_273:
	global_load_ubyte v1, v[2:3], off
	s_or_b64 s[2:3], s[2:3], exec
	s_waitcnt vmcnt(0)
	v_cmp_ne_u16_e32 vcc, 0, v1
	s_nop 1
	v_cndmask_b32_e64 v4, 0, 1, vcc
	s_or_b64 exec, exec, s[6:7]
	s_and_saveexec_b64 s[6:7], s[8:9]
	s_cbranch_execz .LBB457_953
	s_branch .LBB457_908
.LBB457_274:
                                        ; implicit-def: $vgpr2
                                        ; implicit-def: $vgpr0
	s_andn2_b64 vcc, exec, s[2:3]
	s_cbranch_vccz .LBB457_281
	s_branch .LBB457_283
.LBB457_275:
	v_mov_b32_e32 v2, 0
	v_mov_b32_e32 v0, 0
	s_branch .LBB457_280
.LBB457_276:
	v_mov_b32_e32 v0, 0
	s_mov_b32 s62, 0
	v_mov_b32_e32 v1, v0
                                        ; implicit-def: $vgpr2
	s_waitcnt vmcnt(0)
	v_mov_b32_e32 v4, v8
.LBB457_277:
	s_and_b32 s6, s63, 3
	s_cmp_eq_u32 s6, 0
	s_cbranch_scc1 .LBB457_280
; %bb.278:
	s_lshl_b32 s2, s62, 3
	s_add_u32 s2, s34, s2
	s_addc_u32 s3, s35, 0
	s_add_u32 s2, s2, 0xc4
	s_addc_u32 s3, s3, 0
	s_mul_i32 s4, s62, 12
	s_add_u32 s4, s34, s4
	s_addc_u32 s5, s35, 0
.LBB457_279:                            ; =>This Inner Loop Header: Depth=1
	s_load_dwordx2 s[8:9], s[4:5], 0x4
	s_load_dword s7, s[4:5], 0xc
	s_load_dwordx2 s[10:11], s[2:3], 0x0
	v_mov_b32_e32 v2, v1
	s_add_u32 s4, s4, 12
	s_waitcnt lgkmcnt(0)
	v_mul_hi_u32 v1, s9, v4
	v_add_u32_e32 v1, v4, v1
	v_lshrrev_b32_e32 v1, s7, v1
	s_addc_u32 s5, s5, 0
	v_mul_lo_u32 v3, v1, s8
	s_add_u32 s2, s2, 8
	v_sub_u32_e32 v5, v4, v3
	s_addc_u32 s3, s3, 0
	s_add_i32 s6, s6, -1
	v_mov_b32_e32 v4, v1
	v_mad_u64_u32 v[2:3], s[8:9], v5, s11, v[2:3]
	v_mad_u64_u32 v[0:1], s[8:9], v5, s10, v[0:1]
	s_cmp_lg_u32 s6, 0
	v_mov_b32_e32 v1, v2
	s_cbranch_scc1 .LBB457_279
.LBB457_280:
	s_cbranch_execnz .LBB457_283
.LBB457_281:
	v_mul_hi_u32 v0, s25, v8
	v_add_u32_e32 v0, v8, v0
	v_lshrrev_b32_e32 v1, s26, v0
	v_mul_lo_u32 v0, v1, s24
	v_sub_u32_e32 v0, v8, v0
	v_mul_lo_u32 v2, v0, s29
	s_andn2_b64 vcc, exec, s[48:49]
	v_mul_lo_u32 v0, v0, s28
	s_cbranch_vccnz .LBB457_283
; %bb.282:
	v_mul_hi_u32 v3, s46, v1
	v_add_u32_e32 v3, v1, v3
	v_lshrrev_b32_e32 v3, s47, v3
	v_mul_lo_u32 v3, v3, s27
	v_sub_u32_e32 v3, v1, v3
	v_mad_u64_u32 v[0:1], s[2:3], v3, s30, v[0:1]
	v_mad_u64_u32 v[2:3], s[2:3], v3, s31, v[2:3]
.LBB457_283:
	v_mov_b32_e32 v3, 0
	s_and_b32 s8, 0xffff, s75
	s_cmp_lt_i32 s8, 11
	v_lshl_add_u64 v[2:3], s[22:23], 0, v[2:3]
	s_cbranch_scc1 .LBB457_290
; %bb.284:
	s_cmp_gt_i32 s8, 25
	s_cbranch_scc0 .LBB457_299
; %bb.285:
	s_cmp_gt_i32 s8, 28
	s_cbranch_scc0 .LBB457_301
	;; [unrolled: 3-line block ×4, first 2 shown]
; %bb.288:
	s_cmp_eq_u32 s8, 46
	s_mov_b64 s[6:7], 0
	s_cbranch_scc0 .LBB457_311
; %bb.289:
	global_load_dword v1, v[2:3], off
	s_mov_b64 s[2:3], -1
	s_mov_b64 s[4:5], 0
	s_waitcnt vmcnt(0)
	v_lshlrev_b32_e32 v1, 16, v1
	v_cvt_i32_f32_e32 v4, v1
	s_branch .LBB457_312
.LBB457_290:
	s_mov_b64 s[2:3], 0
                                        ; implicit-def: $vgpr4
	s_mov_b64 s[4:5], s[56:57]
	s_cbranch_execnz .LBB457_485
.LBB457_291:
	s_andn2_b64 vcc, exec, s[2:3]
	s_cbranch_vccnz .LBB457_533
.LBB457_292:
	v_mov_b32_e32 v1, 0
	s_and_b32 s12, s74, 0xff
	s_waitcnt vmcnt(0)
	v_min_i16_e32 v4, s73, v4
	s_cmp_lt_i32 s12, 11
	v_lshl_add_u64 v[0:1], s[20:21], 0, v[0:1]
	s_cbranch_scc1 .LBB457_300
; %bb.293:
	s_and_b32 s13, 0xffff, s12
	s_cmp_gt_i32 s13, 25
	s_cbranch_scc0 .LBB457_302
; %bb.294:
	s_cmp_gt_i32 s13, 28
	s_cbranch_scc0 .LBB457_304
; %bb.295:
	;; [unrolled: 3-line block ×4, first 2 shown]
	s_mov_b64 s[8:9], 0
	s_mov_b64 s[2:3], -1
	s_cmp_eq_u32 s13, 46
	s_mov_b64 s[6:7], 0
	s_cbranch_scc0 .LBB457_316
; %bb.298:
	v_cvt_f32_i32_sdwa v2, sext(v4) dst_sel:DWORD dst_unused:UNUSED_PAD src0_sel:WORD_0
	s_movk_i32 s2, 0x7fff
	s_mov_b64 s[6:7], -1
	v_bfe_u32 v3, v2, 16, 1
	v_add3_u32 v2, v2, v3, s2
	v_lshrrev_b32_e32 v2, 16, v2
	global_store_dword v[0:1], v2, off
	s_mov_b64 s[2:3], 0
	s_branch .LBB457_316
.LBB457_299:
	s_mov_b64 s[6:7], -1
	s_mov_b64 s[2:3], 0
	s_mov_b64 s[4:5], s[56:57]
                                        ; implicit-def: $vgpr4
	s_branch .LBB457_451
.LBB457_300:
	s_mov_b64 s[8:9], -1
	s_mov_b64 s[6:7], 0
	s_mov_b64 s[2:3], s[54:55]
	s_branch .LBB457_385
.LBB457_301:
	s_mov_b64 s[6:7], -1
	s_mov_b64 s[2:3], 0
	s_mov_b64 s[4:5], s[56:57]
                                        ; implicit-def: $vgpr4
	s_branch .LBB457_434
.LBB457_302:
	s_mov_b64 s[8:9], -1
	s_mov_b64 s[6:7], 0
	s_mov_b64 s[2:3], s[54:55]
	s_branch .LBB457_343
.LBB457_303:
	s_mov_b64 s[6:7], -1
	s_mov_b64 s[2:3], 0
	s_mov_b64 s[4:5], s[56:57]
                                        ; implicit-def: $vgpr4
	s_branch .LBB457_429
.LBB457_304:
	s_mov_b64 s[8:9], -1
	s_mov_b64 s[6:7], 0
	s_mov_b64 s[2:3], s[54:55]
	s_branch .LBB457_326
.LBB457_305:
	s_andn2_saveexec_b64 s[10:11], s[10:11]
	s_cbranch_execz .LBB457_69
.LBB457_306:
	s_mov_b32 s14, 0x46000000
	v_add_f32_e64 v3, |v2|, s14
	v_and_b32_e32 v3, 0xff, v3
	v_cmp_ne_u32_e32 vcc, 0, v3
	s_andn2_b64 s[8:9], s[8:9], exec
	s_and_b64 s[14:15], vcc, exec
	s_or_b64 s[8:9], s[8:9], s[14:15]
	s_or_b64 exec, exec, s[10:11]
	v_mov_b32_e32 v5, 0
	s_and_saveexec_b64 s[10:11], s[8:9]
	s_cbranch_execnz .LBB457_70
	s_branch .LBB457_71
.LBB457_307:
	s_mov_b64 s[6:7], -1
	s_mov_b64 s[2:3], 0
	s_mov_b64 s[4:5], s[56:57]
                                        ; implicit-def: $vgpr4
	s_branch .LBB457_312
.LBB457_308:
	s_mov_b64 s[8:9], -1
	s_mov_b64 s[6:7], 0
	s_mov_b64 s[2:3], s[54:55]
	s_branch .LBB457_322
.LBB457_309:
	s_andn2_saveexec_b64 s[10:11], s[10:11]
	s_cbranch_execz .LBB457_82
.LBB457_310:
	s_mov_b32 s14, 0x42800000
	v_add_f32_e64 v3, |v2|, s14
	v_and_b32_e32 v3, 0xff, v3
	v_cmp_ne_u32_e32 vcc, 0, v3
	s_andn2_b64 s[8:9], s[8:9], exec
	s_and_b64 s[14:15], vcc, exec
	s_or_b64 s[8:9], s[8:9], s[14:15]
	s_or_b64 exec, exec, s[10:11]
	v_mov_b32_e32 v5, 0
	s_and_saveexec_b64 s[10:11], s[8:9]
	s_cbranch_execnz .LBB457_83
	s_branch .LBB457_84
.LBB457_311:
	s_mov_b64 s[4:5], -1
                                        ; implicit-def: $vgpr4
	s_mov_b64 s[2:3], 0
.LBB457_312:
	s_and_b64 vcc, exec, s[6:7]
	s_cbranch_vccz .LBB457_428
; %bb.313:
	s_cmp_eq_u32 s8, 44
	s_cbranch_scc0 .LBB457_427
; %bb.314:
	global_load_ubyte v1, v[2:3], off
	s_mov_b64 s[2:3], -1
	s_mov_b64 s[4:5], 0
	s_waitcnt vmcnt(0)
	v_lshlrev_b32_e32 v4, 23, v1
	v_cvt_i32_f32_e32 v4, v4
	v_cmp_ne_u32_e32 vcc, 0, v1
	s_nop 1
	v_cndmask_b32_e32 v4, 0, v4, vcc
	s_branch .LBB457_428
.LBB457_315:
	s_mov_b64 s[8:9], -1
	s_mov_b64 s[6:7], 0
	s_mov_b64 s[2:3], s[54:55]
.LBB457_316:
	s_and_b64 vcc, exec, s[8:9]
	s_cbranch_vccz .LBB457_321
; %bb.317:
	s_cmp_eq_u32 s13, 44
	s_mov_b64 s[2:3], -1
	s_cbranch_scc0 .LBB457_321
; %bb.318:
	v_cvt_f32_i32_sdwa v2, sext(v4) dst_sel:DWORD dst_unused:UNUSED_PAD src0_sel:WORD_0
	s_movk_i32 s2, 0xff
	v_mov_b32_e32 v5, 0xff
	v_bfe_u32 v3, v2, 23, 8
	v_cmp_ne_u32_e32 vcc, s2, v3
	s_and_saveexec_b64 s[6:7], vcc
; %bb.319:
	s_mov_b32 s2, 0x3fffff
	v_lshrrev_b32_e32 v5, 23, v2
	v_and_b32_e32 v6, 0x400000, v2
	v_and_or_b32 v2, v2, s2, v3
	v_cmp_ne_u32_e32 vcc, 0, v6
	v_cmp_ne_u32_e64 s[2:3], 0, v2
	s_and_b64 s[2:3], vcc, s[2:3]
	s_nop 0
	v_cndmask_b32_e64 v2, 0, 1, s[2:3]
	v_add_u32_e32 v5, v5, v2
; %bb.320:
	s_or_b64 exec, exec, s[6:7]
	s_mov_b64 s[6:7], -1
	s_mov_b64 s[2:3], 0
	global_store_byte v[0:1], v5, off
.LBB457_321:
	s_mov_b64 s[8:9], 0
.LBB457_322:
	s_and_b64 vcc, exec, s[8:9]
	s_cbranch_vccz .LBB457_325
; %bb.323:
	s_cmp_eq_u32 s13, 29
	s_mov_b64 s[2:3], -1
	s_cbranch_scc0 .LBB457_325
; %bb.324:
	v_bfe_i32 v2, v4, 0, 16
	v_ashrrev_i32_e32 v3, 31, v2
	global_store_dwordx2 v[0:1], v[2:3], off
	s_mov_b64 s[6:7], -1
	s_mov_b64 s[2:3], 0
.LBB457_325:
	s_mov_b64 s[8:9], 0
.LBB457_326:
	s_and_b64 vcc, exec, s[8:9]
	s_cbranch_vccz .LBB457_342
; %bb.327:
	s_cmp_lt_i32 s13, 27
	s_mov_b64 s[6:7], -1
	s_cbranch_scc1 .LBB457_333
; %bb.328:
	s_cmp_gt_i32 s13, 27
	s_cbranch_scc0 .LBB457_330
; %bb.329:
	v_bfe_i32 v2, v4, 0, 16
	s_mov_b64 s[6:7], 0
	global_store_dword v[0:1], v2, off
.LBB457_330:
	s_andn2_b64 vcc, exec, s[6:7]
	s_cbranch_vccnz .LBB457_332
; %bb.331:
	global_store_short v[0:1], v4, off
.LBB457_332:
	s_mov_b64 s[6:7], 0
.LBB457_333:
	s_andn2_b64 vcc, exec, s[6:7]
	s_cbranch_vccnz .LBB457_341
; %bb.334:
	v_cvt_f32_i32_sdwa v2, sext(v4) dst_sel:DWORD dst_unused:UNUSED_PAD src0_sel:WORD_0
	s_mov_b32 s6, 0x43800000
	v_mov_b32_e32 v5, 0x80
	v_and_b32_e32 v3, 0x7fffffff, v2
	v_cmp_gt_u32_e32 vcc, s6, v3
	s_and_saveexec_b64 s[6:7], vcc
	s_cbranch_execz .LBB457_340
; %bb.335:
	s_mov_b32 s8, 0x3bffffff
	v_cmp_lt_u32_e32 vcc, s8, v3
	s_mov_b64 s[8:9], 0
                                        ; implicit-def: $vgpr3
	s_and_saveexec_b64 s[10:11], vcc
	s_xor_b64 s[10:11], exec, s[10:11]
	s_cbranch_execz .LBB457_565
; %bb.336:
	v_bfe_u32 v3, v2, 20, 1
	s_mov_b32 s14, 0x487ffff
	v_add3_u32 v3, v2, v3, s14
	s_mov_b64 s[8:9], exec
	v_lshrrev_b32_e32 v3, 20, v3
	s_andn2_saveexec_b64 s[10:11], s[10:11]
	s_cbranch_execnz .LBB457_566
.LBB457_337:
	s_or_b64 exec, exec, s[10:11]
	v_mov_b32_e32 v5, 0
	s_and_saveexec_b64 s[10:11], s[8:9]
.LBB457_338:
	v_lshrrev_b32_e32 v2, 24, v2
	s_movk_i32 s8, 0x80
	v_and_or_b32 v5, v2, s8, v3
.LBB457_339:
	s_or_b64 exec, exec, s[10:11]
.LBB457_340:
	s_or_b64 exec, exec, s[6:7]
	global_store_byte v[0:1], v5, off
.LBB457_341:
	s_mov_b64 s[6:7], -1
.LBB457_342:
	s_mov_b64 s[8:9], 0
.LBB457_343:
	s_and_b64 vcc, exec, s[8:9]
	s_cbranch_vccz .LBB457_384
; %bb.344:
	s_cmp_gt_i32 s13, 22
	s_mov_b64 s[8:9], -1
	s_cbranch_scc0 .LBB457_376
; %bb.345:
	s_cmp_lt_i32 s13, 24
	s_mov_b64 s[6:7], -1
	s_cbranch_scc1 .LBB457_365
; %bb.346:
	s_cmp_gt_i32 s13, 24
	s_cbranch_scc0 .LBB457_354
; %bb.347:
	v_cvt_f32_i32_sdwa v2, sext(v4) dst_sel:DWORD dst_unused:UNUSED_PAD src0_sel:WORD_0
	s_mov_b32 s6, 0x47800000
	v_mov_b32_e32 v5, 0x80
	v_and_b32_e32 v3, 0x7fffffff, v2
	v_cmp_gt_u32_e32 vcc, s6, v3
	s_and_saveexec_b64 s[6:7], vcc
	s_cbranch_execz .LBB457_353
; %bb.348:
	s_mov_b32 s8, 0x37ffffff
	v_cmp_lt_u32_e32 vcc, s8, v3
	s_mov_b64 s[8:9], 0
                                        ; implicit-def: $vgpr3
	s_and_saveexec_b64 s[10:11], vcc
	s_xor_b64 s[10:11], exec, s[10:11]
	s_cbranch_execz .LBB457_568
; %bb.349:
	v_bfe_u32 v3, v2, 21, 1
	s_mov_b32 s14, 0x88fffff
	v_add3_u32 v3, v2, v3, s14
	s_mov_b64 s[8:9], exec
	v_lshrrev_b32_e32 v3, 21, v3
	s_andn2_saveexec_b64 s[10:11], s[10:11]
	s_cbranch_execnz .LBB457_569
.LBB457_350:
	s_or_b64 exec, exec, s[10:11]
	v_mov_b32_e32 v5, 0
	s_and_saveexec_b64 s[10:11], s[8:9]
.LBB457_351:
	v_lshrrev_b32_e32 v2, 24, v2
	s_movk_i32 s8, 0x80
	v_and_or_b32 v5, v2, s8, v3
.LBB457_352:
	s_or_b64 exec, exec, s[10:11]
.LBB457_353:
	s_or_b64 exec, exec, s[6:7]
	s_mov_b64 s[6:7], 0
	global_store_byte v[0:1], v5, off
.LBB457_354:
	s_and_b64 vcc, exec, s[6:7]
	s_cbranch_vccz .LBB457_364
; %bb.355:
	v_cvt_f32_i32_sdwa v2, sext(v4) dst_sel:DWORD dst_unused:UNUSED_PAD src0_sel:WORD_0
	s_mov_b32 s6, 0x43f00000
                                        ; implicit-def: $vgpr3
	v_and_b32_e32 v5, 0x7fffffff, v2
	v_cmp_gt_u32_e32 vcc, s6, v5
	s_and_saveexec_b64 s[6:7], vcc
	s_xor_b64 s[6:7], exec, s[6:7]
	s_cbranch_execz .LBB457_361
; %bb.356:
	s_mov_b32 s8, 0x3c7fffff
	v_cmp_lt_u32_e32 vcc, s8, v5
                                        ; implicit-def: $vgpr3
	s_and_saveexec_b64 s[8:9], vcc
	s_xor_b64 s[8:9], exec, s[8:9]
; %bb.357:
	v_bfe_u32 v3, v2, 20, 1
	s_mov_b32 s10, 0x407ffff
	v_add3_u32 v3, v2, v3, s10
	v_lshrrev_b32_e32 v5, 20, v3
	v_and_b32_e32 v3, 0xff00000, v3
	s_mov_b32 s10, 0x7f00000
	v_mov_b32_e32 v6, 0x7e
	v_cmp_ne_u32_e32 vcc, s10, v3
	s_nop 1
	v_cndmask_b32_e32 v3, v6, v5, vcc
; %bb.358:
	s_andn2_saveexec_b64 s[8:9], s[8:9]
; %bb.359:
	s_mov_b32 s10, 0x46800000
	v_add_f32_e64 v3, |v2|, s10
; %bb.360:
	s_or_b64 exec, exec, s[8:9]
                                        ; implicit-def: $vgpr5
.LBB457_361:
	s_andn2_saveexec_b64 s[6:7], s[6:7]
; %bb.362:
	s_mov_b32 s8, 0x7f800000
	v_mov_b32_e32 v3, 0x7e
	v_mov_b32_e32 v6, 0x7f
	v_cmp_lt_u32_e32 vcc, s8, v5
	s_nop 1
	v_cndmask_b32_e32 v3, v3, v6, vcc
; %bb.363:
	s_or_b64 exec, exec, s[6:7]
	v_lshrrev_b32_e32 v2, 24, v2
	s_movk_i32 s6, 0x80
	v_and_or_b32 v2, v2, s6, v3
	global_store_byte v[0:1], v2, off
.LBB457_364:
	s_mov_b64 s[6:7], 0
.LBB457_365:
	s_andn2_b64 vcc, exec, s[6:7]
	s_cbranch_vccnz .LBB457_375
; %bb.366:
	v_cvt_f32_i32_sdwa v2, sext(v4) dst_sel:DWORD dst_unused:UNUSED_PAD src0_sel:WORD_0
	s_mov_b32 s6, 0x47800000
                                        ; implicit-def: $vgpr3
	v_and_b32_e32 v5, 0x7fffffff, v2
	v_cmp_gt_u32_e32 vcc, s6, v5
	s_and_saveexec_b64 s[6:7], vcc
	s_xor_b64 s[6:7], exec, s[6:7]
	s_cbranch_execz .LBB457_372
; %bb.367:
	s_mov_b32 s8, 0x387fffff
	v_cmp_lt_u32_e32 vcc, s8, v5
                                        ; implicit-def: $vgpr3
	s_and_saveexec_b64 s[8:9], vcc
	s_xor_b64 s[8:9], exec, s[8:9]
; %bb.368:
	v_bfe_u32 v3, v2, 21, 1
	s_mov_b32 s10, 0x80fffff
	v_add3_u32 v3, v2, v3, s10
	v_lshrrev_b32_e32 v3, 21, v3
; %bb.369:
	s_andn2_saveexec_b64 s[8:9], s[8:9]
; %bb.370:
	s_mov_b32 s10, 0x43000000
	v_add_f32_e64 v3, |v2|, s10
; %bb.371:
	s_or_b64 exec, exec, s[8:9]
                                        ; implicit-def: $vgpr5
.LBB457_372:
	s_andn2_saveexec_b64 s[6:7], s[6:7]
; %bb.373:
	s_mov_b32 s8, 0x7f800000
	v_mov_b32_e32 v3, 0x7c
	v_mov_b32_e32 v6, 0x7f
	v_cmp_lt_u32_e32 vcc, s8, v5
	s_nop 1
	v_cndmask_b32_e32 v3, v3, v6, vcc
; %bb.374:
	s_or_b64 exec, exec, s[6:7]
	v_lshrrev_b32_e32 v2, 24, v2
	s_movk_i32 s6, 0x80
	v_and_or_b32 v2, v2, s6, v3
	global_store_byte v[0:1], v2, off
.LBB457_375:
	s_mov_b64 s[8:9], 0
	s_mov_b64 s[6:7], -1
.LBB457_376:
	s_andn2_b64 vcc, exec, s[8:9]
	s_cbranch_vccnz .LBB457_384
; %bb.377:
	s_cmp_gt_i32 s13, 14
	s_mov_b64 s[8:9], -1
	s_cbranch_scc0 .LBB457_381
; %bb.378:
	s_cmp_eq_u32 s13, 15
	s_mov_b64 s[2:3], -1
	s_cbranch_scc0 .LBB457_380
; %bb.379:
	v_cvt_f32_i32_sdwa v2, sext(v4) dst_sel:DWORD dst_unused:UNUSED_PAD src0_sel:WORD_0
	s_movk_i32 s2, 0x7fff
	s_mov_b64 s[6:7], -1
	v_bfe_u32 v3, v2, 16, 1
	v_add3_u32 v2, v2, v3, s2
	global_store_short_d16_hi v[0:1], v2, off
	s_mov_b64 s[2:3], 0
.LBB457_380:
	s_mov_b64 s[8:9], 0
.LBB457_381:
	s_and_b64 vcc, exec, s[8:9]
	s_cbranch_vccz .LBB457_384
; %bb.382:
	s_cmp_eq_u32 s13, 11
	s_mov_b64 s[2:3], -1
	s_cbranch_scc0 .LBB457_384
; %bb.383:
	v_cmp_ne_u16_e32 vcc, 0, v4
	s_mov_b64 s[6:7], -1
	s_mov_b64 s[2:3], 0
	v_cndmask_b32_e64 v2, 0, 1, vcc
	global_store_byte v[0:1], v2, off
.LBB457_384:
	s_mov_b64 s[8:9], 0
.LBB457_385:
	s_and_b64 vcc, exec, s[8:9]
	s_cbranch_vccz .LBB457_424
; %bb.386:
	s_and_b32 s8, 0xffff, s12
	s_cmp_lt_i32 s8, 5
	s_mov_b64 s[6:7], -1
	s_cbranch_scc1 .LBB457_407
; %bb.387:
	s_cmp_lt_i32 s8, 8
	s_cbranch_scc1 .LBB457_397
; %bb.388:
	s_cmp_lt_i32 s8, 9
	s_cbranch_scc1 .LBB457_394
; %bb.389:
	s_cmp_gt_i32 s8, 9
	s_cbranch_scc0 .LBB457_391
; %bb.390:
	v_bfe_i32 v2, v4, 0, 16
	v_mov_b32_e32 v12, 0
	v_cvt_f64_i32_e32 v[10:11], v2
	v_mov_b32_e32 v13, v12
	s_mov_b64 s[6:7], 0
	global_store_dwordx4 v[0:1], v[10:13], off
.LBB457_391:
	s_andn2_b64 vcc, exec, s[6:7]
	s_cbranch_vccnz .LBB457_393
; %bb.392:
	v_cvt_f32_i32_sdwa v2, sext(v4) dst_sel:DWORD dst_unused:UNUSED_PAD src0_sel:WORD_0
	v_mov_b32_e32 v3, 0
	global_store_dwordx2 v[0:1], v[2:3], off
.LBB457_393:
	s_mov_b64 s[6:7], 0
.LBB457_394:
	s_andn2_b64 vcc, exec, s[6:7]
	s_cbranch_vccnz .LBB457_396
; %bb.395:
	v_cvt_f16_i16_e32 v2, v4
	global_store_dword v[0:1], v2, off
.LBB457_396:
	s_mov_b64 s[6:7], 0
.LBB457_397:
	s_andn2_b64 vcc, exec, s[6:7]
	s_cbranch_vccnz .LBB457_406
; %bb.398:
	s_cmp_lt_i32 s8, 6
	s_mov_b64 s[6:7], -1
	s_cbranch_scc1 .LBB457_404
; %bb.399:
	s_cmp_gt_i32 s8, 6
	s_cbranch_scc0 .LBB457_401
; %bb.400:
	v_bfe_i32 v2, v4, 0, 16
	v_cvt_f64_i32_e32 v[2:3], v2
	s_mov_b64 s[6:7], 0
	global_store_dwordx2 v[0:1], v[2:3], off
.LBB457_401:
	s_andn2_b64 vcc, exec, s[6:7]
	s_cbranch_vccnz .LBB457_403
; %bb.402:
	v_cvt_f32_i32_sdwa v2, sext(v4) dst_sel:DWORD dst_unused:UNUSED_PAD src0_sel:WORD_0
	global_store_dword v[0:1], v2, off
.LBB457_403:
	s_mov_b64 s[6:7], 0
.LBB457_404:
	s_andn2_b64 vcc, exec, s[6:7]
	s_cbranch_vccnz .LBB457_406
; %bb.405:
	v_cvt_f16_i16_e32 v2, v4
	global_store_short v[0:1], v2, off
.LBB457_406:
	s_mov_b64 s[6:7], 0
.LBB457_407:
	s_andn2_b64 vcc, exec, s[6:7]
	s_cbranch_vccnz .LBB457_423
; %bb.408:
	s_cmp_lt_i32 s8, 2
	s_mov_b64 s[6:7], -1
	s_cbranch_scc1 .LBB457_418
; %bb.409:
	s_cmp_lt_i32 s8, 3
	s_cbranch_scc1 .LBB457_415
; %bb.410:
	s_cmp_gt_i32 s8, 3
	v_bfe_i32 v2, v4, 0, 16
	s_cbranch_scc0 .LBB457_412
; %bb.411:
	v_ashrrev_i32_e32 v3, 31, v2
	s_mov_b64 s[6:7], 0
	global_store_dwordx2 v[0:1], v[2:3], off
.LBB457_412:
	s_andn2_b64 vcc, exec, s[6:7]
	s_cbranch_vccnz .LBB457_414
; %bb.413:
	global_store_dword v[0:1], v2, off
.LBB457_414:
	s_mov_b64 s[6:7], 0
.LBB457_415:
	s_andn2_b64 vcc, exec, s[6:7]
	s_cbranch_vccnz .LBB457_417
; %bb.416:
	global_store_short v[0:1], v4, off
.LBB457_417:
	s_mov_b64 s[6:7], 0
.LBB457_418:
	s_andn2_b64 vcc, exec, s[6:7]
	s_cbranch_vccnz .LBB457_423
; %bb.419:
	s_cmp_gt_i32 s8, 0
	s_mov_b64 s[6:7], -1
	s_cbranch_scc0 .LBB457_421
; %bb.420:
	s_mov_b64 s[6:7], 0
	global_store_byte v[0:1], v4, off
.LBB457_421:
	s_andn2_b64 vcc, exec, s[6:7]
	s_cbranch_vccnz .LBB457_423
; %bb.422:
	global_store_byte v[0:1], v4, off
.LBB457_423:
	s_mov_b64 s[6:7], -1
.LBB457_424:
	s_andn2_b64 vcc, exec, s[6:7]
	s_cbranch_vccnz .LBB457_426
; %bb.425:
	v_add_u32_e32 v8, 0x80, v8
	s_mov_b64 s[6:7], -1
	s_branch .LBB457_535
.LBB457_426:
	s_mov_b64 s[6:7], 0
	s_branch .LBB457_534
.LBB457_427:
	s_mov_b64 s[4:5], -1
                                        ; implicit-def: $vgpr4
.LBB457_428:
	s_mov_b64 s[6:7], 0
.LBB457_429:
	s_and_b64 vcc, exec, s[6:7]
	s_cbranch_vccz .LBB457_433
; %bb.430:
	s_cmp_eq_u32 s8, 29
	s_cbranch_scc0 .LBB457_432
; %bb.431:
	global_load_dwordx2 v[4:5], v[2:3], off
	s_mov_b64 s[2:3], -1
	s_mov_b64 s[4:5], 0
	s_branch .LBB457_433
.LBB457_432:
	s_mov_b64 s[4:5], -1
                                        ; implicit-def: $vgpr4
.LBB457_433:
	s_mov_b64 s[6:7], 0
.LBB457_434:
	s_and_b64 vcc, exec, s[6:7]
	s_cbranch_vccz .LBB457_450
; %bb.435:
	s_cmp_lt_i32 s8, 27
	s_cbranch_scc1 .LBB457_438
; %bb.436:
	s_cmp_gt_i32 s8, 27
	s_cbranch_scc0 .LBB457_439
; %bb.437:
	global_load_dword v4, v[2:3], off
	s_mov_b64 s[2:3], 0
	s_branch .LBB457_440
.LBB457_438:
	s_mov_b64 s[2:3], -1
                                        ; implicit-def: $vgpr4
	s_branch .LBB457_443
.LBB457_439:
	s_mov_b64 s[2:3], -1
                                        ; implicit-def: $vgpr4
.LBB457_440:
	s_andn2_b64 vcc, exec, s[2:3]
	s_cbranch_vccnz .LBB457_442
; %bb.441:
	global_load_ushort v4, v[2:3], off
.LBB457_442:
	s_mov_b64 s[2:3], 0
.LBB457_443:
	s_andn2_b64 vcc, exec, s[2:3]
	s_cbranch_vccnz .LBB457_449
; %bb.444:
	global_load_ubyte v1, v[2:3], off
	s_movk_i32 s2, 0x7f
	s_mov_b64 s[6:7], 0
	s_waitcnt vmcnt(0)
	v_cmp_lt_i16_e32 vcc, s2, v1
	s_and_saveexec_b64 s[2:3], vcc
	s_xor_b64 s[2:3], exec, s[2:3]
	s_cbranch_execz .LBB457_461
; %bb.445:
	s_movk_i32 s6, 0x80
	v_cmp_ne_u16_e32 vcc, s6, v1
	s_and_b64 s[6:7], vcc, exec
	s_andn2_saveexec_b64 s[2:3], s[2:3]
	s_cbranch_execnz .LBB457_462
.LBB457_446:
	s_or_b64 exec, exec, s[2:3]
	v_mov_b32_e32 v4, 0
	s_and_saveexec_b64 s[2:3], s[6:7]
	s_cbranch_execz .LBB457_448
.LBB457_447:
	v_lshlrev_b32_e32 v4, 24, v1
	v_and_b32_e32 v1, 0xffff, v1
	v_and_b32_e32 v5, 7, v1
	v_ffbh_u32_e32 v7, v5
	v_min_u32_e32 v7, 32, v7
	v_subrev_u32_e32 v9, 28, v7
	v_bfe_u32 v6, v1, 3, 4
	v_lshlrev_b32_e32 v1, v9, v1
	v_sub_u32_e32 v7, 29, v7
	v_and_b32_e32 v1, 7, v1
	v_cmp_eq_u32_e32 vcc, 0, v6
	v_and_b32_e32 v4, 0x80000000, v4
	s_nop 0
	v_cndmask_b32_e32 v6, v6, v7, vcc
	v_cndmask_b32_e32 v1, v5, v1, vcc
	v_mov_b32_e32 v5, 0x3b800000
	v_lshlrev_b32_e32 v1, 20, v1
	v_lshl_add_u32 v5, v6, 23, v5
	v_or3_b32 v1, v4, v5, v1
	v_cvt_i32_f32_e32 v4, v1
.LBB457_448:
	s_or_b64 exec, exec, s[2:3]
.LBB457_449:
	s_mov_b64 s[2:3], -1
.LBB457_450:
	s_mov_b64 s[6:7], 0
.LBB457_451:
	s_and_b64 vcc, exec, s[6:7]
	s_cbranch_vccz .LBB457_484
; %bb.452:
	s_cmp_gt_i32 s8, 22
	s_cbranch_scc0 .LBB457_460
; %bb.453:
	s_cmp_lt_i32 s8, 24
	s_cbranch_scc1 .LBB457_463
; %bb.454:
	s_cmp_gt_i32 s8, 24
	s_cbranch_scc0 .LBB457_464
; %bb.455:
	global_load_ubyte v1, v[2:3], off
	s_movk_i32 s2, 0x7f
	s_mov_b64 s[6:7], 0
	s_waitcnt vmcnt(0)
	v_cmp_lt_i16_e32 vcc, s2, v1
	s_and_saveexec_b64 s[2:3], vcc
	s_xor_b64 s[2:3], exec, s[2:3]
	s_cbranch_execz .LBB457_476
; %bb.456:
	s_movk_i32 s6, 0x80
	v_cmp_ne_u16_e32 vcc, s6, v1
	s_and_b64 s[6:7], vcc, exec
	s_andn2_saveexec_b64 s[2:3], s[2:3]
	s_cbranch_execnz .LBB457_477
.LBB457_457:
	s_or_b64 exec, exec, s[2:3]
	v_mov_b32_e32 v4, 0
	s_and_saveexec_b64 s[2:3], s[6:7]
	s_cbranch_execz .LBB457_459
.LBB457_458:
	v_lshlrev_b32_e32 v4, 24, v1
	v_and_b32_e32 v1, 0xffff, v1
	v_and_b32_e32 v5, 3, v1
	v_ffbh_u32_e32 v7, v5
	v_min_u32_e32 v7, 32, v7
	v_subrev_u32_e32 v9, 29, v7
	v_bfe_u32 v6, v1, 2, 5
	v_lshlrev_b32_e32 v1, v9, v1
	v_sub_u32_e32 v7, 30, v7
	v_and_b32_e32 v1, 3, v1
	v_cmp_eq_u32_e32 vcc, 0, v6
	v_and_b32_e32 v4, 0x80000000, v4
	s_nop 0
	v_cndmask_b32_e32 v6, v6, v7, vcc
	v_cndmask_b32_e32 v1, v5, v1, vcc
	v_mov_b32_e32 v5, 0x37800000
	v_lshlrev_b32_e32 v1, 21, v1
	v_lshl_add_u32 v5, v6, 23, v5
	v_or3_b32 v1, v4, v5, v1
	v_cvt_i32_f32_e32 v4, v1
.LBB457_459:
	s_or_b64 exec, exec, s[2:3]
	s_mov_b64 s[2:3], 0
	s_branch .LBB457_465
.LBB457_460:
	s_mov_b64 s[6:7], -1
                                        ; implicit-def: $vgpr4
	s_branch .LBB457_471
.LBB457_461:
	s_andn2_saveexec_b64 s[2:3], s[2:3]
	s_cbranch_execz .LBB457_446
.LBB457_462:
	v_cmp_ne_u16_e32 vcc, 0, v1
	s_andn2_b64 s[6:7], s[6:7], exec
	s_and_b64 s[10:11], vcc, exec
	s_or_b64 s[6:7], s[6:7], s[10:11]
	s_or_b64 exec, exec, s[2:3]
	v_mov_b32_e32 v4, 0
	s_and_saveexec_b64 s[2:3], s[6:7]
	s_cbranch_execnz .LBB457_447
	s_branch .LBB457_448
.LBB457_463:
	s_mov_b64 s[2:3], -1
                                        ; implicit-def: $vgpr4
	s_branch .LBB457_468
.LBB457_464:
	s_mov_b64 s[2:3], -1
                                        ; implicit-def: $vgpr4
.LBB457_465:
	s_and_b64 vcc, exec, s[2:3]
	s_cbranch_vccz .LBB457_467
; %bb.466:
	global_load_ubyte v1, v[2:3], off
	s_mov_b32 s2, 0x7f800000
	s_waitcnt vmcnt(0)
	v_lshlrev_b32_e32 v1, 24, v1
	v_and_b32_e32 v4, 0x7f000000, v1
	v_ffbh_u32_e32 v5, v4
	v_min_u32_e32 v5, 32, v5
	v_sub_u32_e64 v5, v5, 4 clamp
	v_lshlrev_b32_e32 v7, v5, v4
	v_lshlrev_b32_e32 v5, 23, v5
	v_lshrrev_b32_e32 v7, 4, v7
	v_add_u32_e32 v6, 0x1000000, v4
	v_sub_u32_e32 v5, v7, v5
	v_ashrrev_i32_e32 v6, 8, v6
	v_add_u32_e32 v5, 0x3c000000, v5
	v_and_or_b32 v5, v6, s2, v5
	v_cmp_ne_u32_e32 vcc, 0, v4
	s_brev_b32 s2, 1
	s_nop 0
	v_cndmask_b32_e32 v4, 0, v5, vcc
	v_and_or_b32 v1, v1, s2, v4
	v_cvt_i32_f32_e32 v4, v1
.LBB457_467:
	s_mov_b64 s[2:3], 0
.LBB457_468:
	s_andn2_b64 vcc, exec, s[2:3]
	s_cbranch_vccnz .LBB457_470
; %bb.469:
	global_load_ubyte v1, v[2:3], off
	s_movk_i32 s2, 0x7f00
	s_brev_b32 s3, 16
	s_waitcnt vmcnt(0)
	v_lshlrev_b16_e32 v4, 8, v1
	v_lshlrev_b32_e32 v1, 25, v1
	v_lshrrev_b32_e32 v5, 4, v1
	v_and_or_b32 v6, v4, s2, 0.5
	v_or_b32_e32 v5, 0x70000000, v5
	v_add_f32_e32 v6, -0.5, v6
	v_mul_f32_e32 v5, 0x7800000, v5
	v_cmp_gt_u32_e32 vcc, s3, v1
	v_bfe_i32 v4, v4, 0, 16
	s_brev_b32 s2, 1
	v_cndmask_b32_e32 v1, v5, v6, vcc
	v_and_or_b32 v1, v4, s2, v1
	v_cvt_i32_f32_e32 v4, v1
.LBB457_470:
	s_mov_b64 s[6:7], 0
	s_mov_b64 s[2:3], -1
.LBB457_471:
	s_andn2_b64 vcc, exec, s[6:7]
	s_cbranch_vccnz .LBB457_484
; %bb.472:
	s_cmp_gt_i32 s8, 14
	s_cbranch_scc0 .LBB457_475
; %bb.473:
	s_cmp_eq_u32 s8, 15
	s_cbranch_scc0 .LBB457_478
; %bb.474:
	global_load_ushort v1, v[2:3], off
	s_mov_b64 s[2:3], -1
	s_mov_b64 s[4:5], 0
	s_waitcnt vmcnt(0)
	v_lshlrev_b32_e32 v1, 16, v1
	v_cvt_i32_f32_e32 v4, v1
	s_branch .LBB457_479
.LBB457_475:
	s_mov_b64 s[6:7], -1
                                        ; implicit-def: $vgpr4
	s_branch .LBB457_480
.LBB457_476:
	s_andn2_saveexec_b64 s[2:3], s[2:3]
	s_cbranch_execz .LBB457_457
.LBB457_477:
	v_cmp_ne_u16_e32 vcc, 0, v1
	s_andn2_b64 s[6:7], s[6:7], exec
	s_and_b64 s[10:11], vcc, exec
	s_or_b64 s[6:7], s[6:7], s[10:11]
	s_or_b64 exec, exec, s[2:3]
	v_mov_b32_e32 v4, 0
	s_and_saveexec_b64 s[2:3], s[6:7]
	s_cbranch_execnz .LBB457_458
	s_branch .LBB457_459
.LBB457_478:
	s_mov_b64 s[4:5], -1
                                        ; implicit-def: $vgpr4
.LBB457_479:
	s_mov_b64 s[6:7], 0
.LBB457_480:
	s_and_b64 vcc, exec, s[6:7]
	s_cbranch_vccz .LBB457_484
; %bb.481:
	s_cmp_eq_u32 s8, 11
	s_cbranch_scc0 .LBB457_483
; %bb.482:
	global_load_ubyte v1, v[2:3], off
	s_mov_b64 s[2:3], -1
	s_mov_b64 s[4:5], 0
	s_waitcnt vmcnt(0)
	v_cmp_ne_u16_e32 vcc, 0, v1
	s_nop 1
	v_cndmask_b32_e64 v4, 0, 1, vcc
	s_branch .LBB457_484
.LBB457_483:
	s_mov_b64 s[4:5], -1
                                        ; implicit-def: $vgpr4
.LBB457_484:
	s_branch .LBB457_291
.LBB457_485:
	s_cmp_lt_i32 s8, 5
	s_cbranch_scc1 .LBB457_490
; %bb.486:
	s_cmp_lt_i32 s8, 8
	s_cbranch_scc1 .LBB457_491
; %bb.487:
	;; [unrolled: 3-line block ×3, first 2 shown]
	s_cmp_gt_i32 s8, 9
	s_cbranch_scc0 .LBB457_493
; %bb.489:
	global_load_dwordx2 v[4:5], v[2:3], off
	s_mov_b64 s[2:3], 0
	s_waitcnt vmcnt(0)
	v_cvt_i32_f64_e32 v4, v[4:5]
	s_branch .LBB457_494
.LBB457_490:
	s_mov_b64 s[2:3], -1
                                        ; implicit-def: $vgpr4
	s_branch .LBB457_512
.LBB457_491:
	s_mov_b64 s[2:3], -1
                                        ; implicit-def: $vgpr4
	s_branch .LBB457_500
.LBB457_492:
	s_mov_b64 s[2:3], -1
                                        ; implicit-def: $vgpr4
	s_branch .LBB457_497
.LBB457_493:
	s_mov_b64 s[2:3], -1
                                        ; implicit-def: $vgpr4
.LBB457_494:
	s_andn2_b64 vcc, exec, s[2:3]
	s_cbranch_vccnz .LBB457_496
; %bb.495:
	global_load_dword v1, v[2:3], off
	s_waitcnt vmcnt(0)
	v_cvt_i32_f32_e32 v4, v1
.LBB457_496:
	s_mov_b64 s[2:3], 0
.LBB457_497:
	s_andn2_b64 vcc, exec, s[2:3]
	s_cbranch_vccnz .LBB457_499
; %bb.498:
	global_load_dword v1, v[2:3], off
	s_waitcnt vmcnt(0)
	v_cvt_i16_f16_e32 v4, v1
.LBB457_499:
	s_mov_b64 s[2:3], 0
.LBB457_500:
	s_andn2_b64 vcc, exec, s[2:3]
	s_cbranch_vccnz .LBB457_511
; %bb.501:
	s_cmp_lt_i32 s8, 6
	s_cbranch_scc1 .LBB457_504
; %bb.502:
	s_cmp_gt_i32 s8, 6
	s_cbranch_scc0 .LBB457_505
; %bb.503:
	global_load_dwordx2 v[4:5], v[2:3], off
	s_mov_b64 s[2:3], 0
	s_waitcnt vmcnt(0)
	v_cvt_i32_f64_e32 v4, v[4:5]
	s_branch .LBB457_506
.LBB457_504:
	s_mov_b64 s[2:3], -1
                                        ; implicit-def: $vgpr4
	s_branch .LBB457_509
.LBB457_505:
	s_mov_b64 s[2:3], -1
                                        ; implicit-def: $vgpr4
.LBB457_506:
	s_andn2_b64 vcc, exec, s[2:3]
	s_cbranch_vccnz .LBB457_508
; %bb.507:
	global_load_dword v1, v[2:3], off
	s_waitcnt vmcnt(0)
	v_cvt_i32_f32_e32 v4, v1
.LBB457_508:
	s_mov_b64 s[2:3], 0
.LBB457_509:
	s_andn2_b64 vcc, exec, s[2:3]
	s_cbranch_vccnz .LBB457_511
; %bb.510:
	global_load_ushort v1, v[2:3], off
	s_waitcnt vmcnt(0)
	v_cvt_i16_f16_e32 v4, v1
.LBB457_511:
	s_mov_b64 s[2:3], 0
.LBB457_512:
	s_andn2_b64 vcc, exec, s[2:3]
	s_cbranch_vccnz .LBB457_532
; %bb.513:
	s_cmp_lt_i32 s8, 2
	s_cbranch_scc1 .LBB457_517
; %bb.514:
	s_cmp_lt_i32 s8, 3
	s_cbranch_scc1 .LBB457_518
; %bb.515:
	s_cmp_gt_i32 s8, 3
	s_cbranch_scc0 .LBB457_519
; %bb.516:
	global_load_dwordx2 v[4:5], v[2:3], off
	s_mov_b64 s[2:3], 0
	s_branch .LBB457_520
.LBB457_517:
	s_mov_b64 s[2:3], -1
                                        ; implicit-def: $vgpr4
	s_branch .LBB457_526
.LBB457_518:
	s_mov_b64 s[2:3], -1
                                        ; implicit-def: $vgpr4
	s_branch .LBB457_523
.LBB457_519:
	s_mov_b64 s[2:3], -1
                                        ; implicit-def: $vgpr4
.LBB457_520:
	s_andn2_b64 vcc, exec, s[2:3]
	s_cbranch_vccnz .LBB457_522
; %bb.521:
	global_load_dword v4, v[2:3], off
.LBB457_522:
	s_mov_b64 s[2:3], 0
.LBB457_523:
	s_andn2_b64 vcc, exec, s[2:3]
	s_cbranch_vccnz .LBB457_525
; %bb.524:
	global_load_ushort v4, v[2:3], off
.LBB457_525:
	s_mov_b64 s[2:3], 0
.LBB457_526:
	s_andn2_b64 vcc, exec, s[2:3]
	s_cbranch_vccnz .LBB457_532
; %bb.527:
	s_cmp_gt_i32 s8, 0
	s_cbranch_scc0 .LBB457_529
; %bb.528:
	global_load_sbyte v4, v[2:3], off
	s_mov_b64 s[2:3], 0
	s_branch .LBB457_530
.LBB457_529:
	s_mov_b64 s[2:3], -1
                                        ; implicit-def: $vgpr4
.LBB457_530:
	s_andn2_b64 vcc, exec, s[2:3]
	s_cbranch_vccnz .LBB457_532
; %bb.531:
	global_load_ubyte v4, v[2:3], off
.LBB457_532:
	s_branch .LBB457_292
.LBB457_533:
	s_mov_b64 s[6:7], 0
	s_mov_b64 s[2:3], s[54:55]
.LBB457_534:
                                        ; implicit-def: $vgpr8
.LBB457_535:
	s_andn2_b64 s[8:9], s[54:55], exec
	s_and_b64 s[2:3], s[2:3], exec
	s_or_b64 s[62:63], s[8:9], s[2:3]
	s_andn2_b64 s[2:3], s[56:57], exec
	s_and_b64 s[4:5], s[4:5], exec
	s_or_b64 s[60:61], s[2:3], s[4:5]
	s_orn2_b64 s[2:3], s[6:7], exec
.LBB457_536:
	s_or_b64 exec, exec, s[64:65]
	s_mov_b64 s[4:5], 0
	s_mov_b64 s[6:7], 0
	;; [unrolled: 1-line block ×3, first 2 shown]
                                        ; implicit-def: $vgpr2_vgpr3
                                        ; implicit-def: $vgpr0
                                        ; implicit-def: $vgpr4
	s_and_saveexec_b64 s[64:65], s[2:3]
	s_cbranch_execz .LBB457_905
; %bb.537:
	v_cmp_gt_i32_e32 vcc, s70, v8
	s_mov_b64 s[6:7], -1
	s_mov_b64 s[2:3], s[60:61]
	s_mov_b64 s[68:69], s[62:63]
	s_and_saveexec_b64 s[66:67], vcc
	s_cbranch_execz .LBB457_808
; %bb.538:
	s_andn2_b64 vcc, exec, s[42:43]
	s_cbranch_vccnz .LBB457_544
; %bb.539:
	s_andn2_b64 vcc, exec, s[52:53]
	s_cbranch_vccnz .LBB457_545
; %bb.540:
	s_add_i32 s77, s76, 1
	s_cmp_eq_u32 s72, 2
	s_cbranch_scc1 .LBB457_546
; %bb.541:
	s_and_b32 s71, s77, 28
	s_mov_b32 s78, 0
	v_mov_b32_e32 v0, 0
	v_mov_b32_e32 v2, 0
	s_mov_b64 s[2:3], s[34:35]
	s_mov_b64 s[68:69], s[50:51]
	s_waitcnt vmcnt(0)
	v_mov_b32_e32 v4, v8
.LBB457_542:                            ; =>This Inner Loop Header: Depth=1
	s_load_dwordx8 s[12:19], s[2:3], 0x4
	s_load_dwordx4 s[36:39], s[2:3], 0x24
	s_load_dwordx8 s[4:11], s[68:69], 0x0
	s_add_u32 s2, s2, 48
	s_addc_u32 s3, s3, 0
	s_waitcnt lgkmcnt(0)
	v_mul_hi_u32 v1, s13, v4
	v_add_u32_e32 v1, v4, v1
	v_lshrrev_b32_e32 v1, s14, v1
	v_mul_lo_u32 v3, v1, s12
	v_mul_hi_u32 v5, s16, v1
	v_sub_u32_e32 v3, v4, v3
	v_add_u32_e32 v4, v1, v5
	v_lshrrev_b32_e32 v4, s17, v4
	v_mul_lo_u32 v6, v4, s15
	v_mul_hi_u32 v7, s19, v4
	v_sub_u32_e32 v1, v1, v6
	v_add_u32_e32 v6, v4, v7
	v_mul_lo_u32 v5, v3, s5
	v_mul_lo_u32 v3, v3, s4
	;; [unrolled: 1-line block ×4, first 2 shown]
	v_lshrrev_b32_e32 v6, s36, v6
	v_add3_u32 v0, v3, v0, v1
	v_mul_hi_u32 v3, s38, v6
	v_add3_u32 v1, v5, v2, v7
	v_mul_lo_u32 v2, v6, s18
	v_add_u32_e32 v3, v6, v3
	v_sub_u32_e32 v2, v4, v2
	v_lshrrev_b32_e32 v4, s39, v3
	s_add_i32 s78, s78, 4
	v_mul_lo_u32 v3, v4, s37
	s_add_u32 s68, s68, 32
	v_sub_u32_e32 v3, v6, v3
	s_addc_u32 s69, s69, 0
	v_mul_lo_u32 v5, v2, s8
	v_mul_lo_u32 v2, v2, s9
	;; [unrolled: 1-line block ×4, first 2 shown]
	s_cmp_eq_u32 s71, s78
	v_add3_u32 v2, v2, v1, v3
	v_add3_u32 v0, v5, v0, v6
	s_cbranch_scc0 .LBB457_542
; %bb.543:
	v_mov_b32_e32 v1, v2
	s_branch .LBB457_547
.LBB457_544:
	s_mov_b64 s[2:3], -1
                                        ; implicit-def: $vgpr2
                                        ; implicit-def: $vgpr0
	s_branch .LBB457_551
.LBB457_545:
	v_mov_b32_e32 v2, 0
	v_mov_b32_e32 v0, 0
	s_branch .LBB457_550
.LBB457_546:
	v_mov_b32_e32 v0, 0
	s_mov_b32 s71, 0
	v_mov_b32_e32 v1, v0
                                        ; implicit-def: $vgpr2
	s_waitcnt vmcnt(0)
	v_mov_b32_e32 v4, v8
.LBB457_547:
	s_and_b32 s6, s77, 3
	s_cmp_eq_u32 s6, 0
	s_cbranch_scc1 .LBB457_550
; %bb.548:
	s_lshl_b32 s2, s71, 3
	s_add_u32 s2, s34, s2
	s_addc_u32 s3, s35, 0
	s_add_u32 s2, s2, 0xc4
	s_addc_u32 s3, s3, 0
	s_mul_i32 s4, s71, 12
	s_add_u32 s4, s34, s4
	s_addc_u32 s5, s35, 0
.LBB457_549:                            ; =>This Inner Loop Header: Depth=1
	s_load_dwordx2 s[8:9], s[4:5], 0x4
	s_load_dword s7, s[4:5], 0xc
	s_load_dwordx2 s[10:11], s[2:3], 0x0
	v_mov_b32_e32 v2, v1
	s_add_u32 s4, s4, 12
	s_waitcnt lgkmcnt(0)
	v_mul_hi_u32 v1, s9, v4
	v_add_u32_e32 v1, v4, v1
	v_lshrrev_b32_e32 v1, s7, v1
	s_addc_u32 s5, s5, 0
	v_mul_lo_u32 v3, v1, s8
	s_add_u32 s2, s2, 8
	v_sub_u32_e32 v5, v4, v3
	s_addc_u32 s3, s3, 0
	s_add_i32 s6, s6, -1
	v_mov_b32_e32 v4, v1
	v_mad_u64_u32 v[2:3], s[8:9], v5, s11, v[2:3]
	v_mad_u64_u32 v[0:1], s[8:9], v5, s10, v[0:1]
	s_cmp_lg_u32 s6, 0
	v_mov_b32_e32 v1, v2
	s_cbranch_scc1 .LBB457_549
.LBB457_550:
	s_mov_b64 s[2:3], 0
.LBB457_551:
	s_andn2_b64 vcc, exec, s[2:3]
	s_cbranch_vccnz .LBB457_554
; %bb.552:
	v_mul_hi_u32 v0, s25, v8
	v_add_u32_e32 v0, v8, v0
	v_lshrrev_b32_e32 v1, s26, v0
	v_mul_lo_u32 v0, v1, s24
	v_sub_u32_e32 v0, v8, v0
	v_mul_lo_u32 v2, v0, s29
	s_andn2_b64 vcc, exec, s[48:49]
	v_mul_lo_u32 v0, v0, s28
	s_cbranch_vccnz .LBB457_554
; %bb.553:
	v_mul_hi_u32 v3, s46, v1
	v_add_u32_e32 v3, v1, v3
	v_lshrrev_b32_e32 v3, s47, v3
	v_mul_lo_u32 v3, v3, s27
	v_sub_u32_e32 v3, v1, v3
	v_mad_u64_u32 v[0:1], s[2:3], v3, s30, v[0:1]
	v_mad_u64_u32 v[2:3], s[2:3], v3, s31, v[2:3]
.LBB457_554:
	v_mov_b32_e32 v3, 0
	s_and_b32 s8, 0xffff, s75
	s_cmp_lt_i32 s8, 11
	v_lshl_add_u64 v[2:3], s[22:23], 0, v[2:3]
	s_cbranch_scc1 .LBB457_561
; %bb.555:
	s_cmp_gt_i32 s8, 25
	s_cbranch_scc0 .LBB457_562
; %bb.556:
	s_cmp_gt_i32 s8, 28
	s_cbranch_scc0 .LBB457_563
	;; [unrolled: 3-line block ×4, first 2 shown]
; %bb.559:
	s_cmp_eq_u32 s8, 46
	s_mov_b64 s[6:7], 0
	s_cbranch_scc0 .LBB457_570
; %bb.560:
	global_load_dword v1, v[2:3], off
	s_mov_b64 s[2:3], -1
	s_mov_b64 s[4:5], 0
	s_waitcnt vmcnt(0)
	v_lshlrev_b32_e32 v1, 16, v1
	v_cvt_i32_f32_e32 v4, v1
	s_branch .LBB457_571
.LBB457_561:
	s_mov_b64 s[6:7], -1
	s_mov_b64 s[2:3], 0
                                        ; implicit-def: $vgpr4
	s_mov_b64 s[4:5], s[60:61]
	s_branch .LBB457_632
.LBB457_562:
	s_mov_b64 s[6:7], -1
	s_mov_b64 s[2:3], 0
	s_mov_b64 s[4:5], s[60:61]
                                        ; implicit-def: $vgpr4
	s_branch .LBB457_598
.LBB457_563:
	s_mov_b64 s[6:7], -1
	s_mov_b64 s[2:3], 0
	s_mov_b64 s[4:5], s[60:61]
                                        ; implicit-def: $vgpr4
	s_branch .LBB457_581
.LBB457_564:
	s_mov_b64 s[6:7], -1
	s_mov_b64 s[2:3], 0
	s_mov_b64 s[4:5], s[60:61]
                                        ; implicit-def: $vgpr4
	s_branch .LBB457_576
.LBB457_565:
	s_andn2_saveexec_b64 s[10:11], s[10:11]
	s_cbranch_execz .LBB457_337
.LBB457_566:
	s_mov_b32 s14, 0x46000000
	v_add_f32_e64 v3, |v2|, s14
	v_and_b32_e32 v3, 0xff, v3
	v_cmp_ne_u32_e32 vcc, 0, v3
	s_andn2_b64 s[8:9], s[8:9], exec
	s_and_b64 s[14:15], vcc, exec
	s_or_b64 s[8:9], s[8:9], s[14:15]
	s_or_b64 exec, exec, s[10:11]
	v_mov_b32_e32 v5, 0
	s_and_saveexec_b64 s[10:11], s[8:9]
	s_cbranch_execnz .LBB457_338
	s_branch .LBB457_339
.LBB457_567:
	s_mov_b64 s[6:7], -1
	s_mov_b64 s[2:3], 0
	s_mov_b64 s[4:5], s[60:61]
                                        ; implicit-def: $vgpr4
	s_branch .LBB457_571
.LBB457_568:
	s_andn2_saveexec_b64 s[10:11], s[10:11]
	s_cbranch_execz .LBB457_350
.LBB457_569:
	s_mov_b32 s14, 0x42800000
	v_add_f32_e64 v3, |v2|, s14
	v_and_b32_e32 v3, 0xff, v3
	v_cmp_ne_u32_e32 vcc, 0, v3
	s_andn2_b64 s[8:9], s[8:9], exec
	s_and_b64 s[14:15], vcc, exec
	s_or_b64 s[8:9], s[8:9], s[14:15]
	s_or_b64 exec, exec, s[10:11]
	v_mov_b32_e32 v5, 0
	s_and_saveexec_b64 s[10:11], s[8:9]
	s_cbranch_execnz .LBB457_351
	s_branch .LBB457_352
.LBB457_570:
	s_mov_b64 s[4:5], -1
                                        ; implicit-def: $vgpr4
	s_mov_b64 s[2:3], 0
.LBB457_571:
	s_and_b64 vcc, exec, s[6:7]
	s_cbranch_vccz .LBB457_575
; %bb.572:
	s_cmp_eq_u32 s8, 44
	s_cbranch_scc0 .LBB457_574
; %bb.573:
	global_load_ubyte v1, v[2:3], off
	s_mov_b64 s[2:3], -1
	s_mov_b64 s[4:5], 0
	s_waitcnt vmcnt(0)
	v_lshlrev_b32_e32 v4, 23, v1
	v_cvt_i32_f32_e32 v4, v4
	v_cmp_ne_u32_e32 vcc, 0, v1
	s_nop 1
	v_cndmask_b32_e32 v4, 0, v4, vcc
	s_branch .LBB457_575
.LBB457_574:
	s_mov_b64 s[4:5], -1
                                        ; implicit-def: $vgpr4
.LBB457_575:
	s_mov_b64 s[6:7], 0
.LBB457_576:
	s_and_b64 vcc, exec, s[6:7]
	s_cbranch_vccz .LBB457_580
; %bb.577:
	s_cmp_eq_u32 s8, 29
	s_cbranch_scc0 .LBB457_579
; %bb.578:
	global_load_dwordx2 v[4:5], v[2:3], off
	s_mov_b64 s[2:3], -1
	s_mov_b64 s[4:5], 0
	s_branch .LBB457_580
.LBB457_579:
	s_mov_b64 s[4:5], -1
                                        ; implicit-def: $vgpr4
.LBB457_580:
	s_mov_b64 s[6:7], 0
.LBB457_581:
	s_and_b64 vcc, exec, s[6:7]
	s_cbranch_vccz .LBB457_597
; %bb.582:
	s_cmp_lt_i32 s8, 27
	s_cbranch_scc1 .LBB457_585
; %bb.583:
	s_cmp_gt_i32 s8, 27
	s_cbranch_scc0 .LBB457_586
; %bb.584:
	global_load_dword v4, v[2:3], off
	s_mov_b64 s[2:3], 0
	s_branch .LBB457_587
.LBB457_585:
	s_mov_b64 s[2:3], -1
                                        ; implicit-def: $vgpr4
	s_branch .LBB457_590
.LBB457_586:
	s_mov_b64 s[2:3], -1
                                        ; implicit-def: $vgpr4
.LBB457_587:
	s_andn2_b64 vcc, exec, s[2:3]
	s_cbranch_vccnz .LBB457_589
; %bb.588:
	global_load_ushort v4, v[2:3], off
.LBB457_589:
	s_mov_b64 s[2:3], 0
.LBB457_590:
	s_andn2_b64 vcc, exec, s[2:3]
	s_cbranch_vccnz .LBB457_596
; %bb.591:
	global_load_ubyte v1, v[2:3], off
	s_movk_i32 s2, 0x7f
	s_mov_b64 s[6:7], 0
	s_waitcnt vmcnt(0)
	v_cmp_lt_i16_e32 vcc, s2, v1
	s_and_saveexec_b64 s[2:3], vcc
	s_xor_b64 s[2:3], exec, s[2:3]
	s_cbranch_execz .LBB457_608
; %bb.592:
	s_movk_i32 s6, 0x80
	v_cmp_ne_u16_e32 vcc, s6, v1
	s_and_b64 s[6:7], vcc, exec
	s_andn2_saveexec_b64 s[2:3], s[2:3]
	s_cbranch_execnz .LBB457_609
.LBB457_593:
	s_or_b64 exec, exec, s[2:3]
	v_mov_b32_e32 v4, 0
	s_and_saveexec_b64 s[2:3], s[6:7]
	s_cbranch_execz .LBB457_595
.LBB457_594:
	v_lshlrev_b32_e32 v4, 24, v1
	v_and_b32_e32 v1, 0xffff, v1
	v_and_b32_e32 v5, 7, v1
	v_ffbh_u32_e32 v7, v5
	v_min_u32_e32 v7, 32, v7
	v_subrev_u32_e32 v9, 28, v7
	v_bfe_u32 v6, v1, 3, 4
	v_lshlrev_b32_e32 v1, v9, v1
	v_sub_u32_e32 v7, 29, v7
	v_and_b32_e32 v1, 7, v1
	v_cmp_eq_u32_e32 vcc, 0, v6
	v_and_b32_e32 v4, 0x80000000, v4
	s_nop 0
	v_cndmask_b32_e32 v6, v6, v7, vcc
	v_cndmask_b32_e32 v1, v5, v1, vcc
	v_mov_b32_e32 v5, 0x3b800000
	v_lshlrev_b32_e32 v1, 20, v1
	v_lshl_add_u32 v5, v6, 23, v5
	v_or3_b32 v1, v4, v5, v1
	v_cvt_i32_f32_e32 v4, v1
.LBB457_595:
	s_or_b64 exec, exec, s[2:3]
.LBB457_596:
	s_mov_b64 s[2:3], -1
.LBB457_597:
	s_mov_b64 s[6:7], 0
.LBB457_598:
	s_and_b64 vcc, exec, s[6:7]
	s_cbranch_vccz .LBB457_631
; %bb.599:
	s_cmp_gt_i32 s8, 22
	s_cbranch_scc0 .LBB457_607
; %bb.600:
	s_cmp_lt_i32 s8, 24
	s_cbranch_scc1 .LBB457_610
; %bb.601:
	s_cmp_gt_i32 s8, 24
	s_cbranch_scc0 .LBB457_611
; %bb.602:
	global_load_ubyte v1, v[2:3], off
	s_movk_i32 s2, 0x7f
	s_mov_b64 s[6:7], 0
	s_waitcnt vmcnt(0)
	v_cmp_lt_i16_e32 vcc, s2, v1
	s_and_saveexec_b64 s[2:3], vcc
	s_xor_b64 s[2:3], exec, s[2:3]
	s_cbranch_execz .LBB457_623
; %bb.603:
	s_movk_i32 s6, 0x80
	v_cmp_ne_u16_e32 vcc, s6, v1
	s_and_b64 s[6:7], vcc, exec
	s_andn2_saveexec_b64 s[2:3], s[2:3]
	s_cbranch_execnz .LBB457_624
.LBB457_604:
	s_or_b64 exec, exec, s[2:3]
	v_mov_b32_e32 v4, 0
	s_and_saveexec_b64 s[2:3], s[6:7]
	s_cbranch_execz .LBB457_606
.LBB457_605:
	v_lshlrev_b32_e32 v4, 24, v1
	v_and_b32_e32 v1, 0xffff, v1
	v_and_b32_e32 v5, 3, v1
	v_ffbh_u32_e32 v7, v5
	v_min_u32_e32 v7, 32, v7
	v_subrev_u32_e32 v9, 29, v7
	v_bfe_u32 v6, v1, 2, 5
	v_lshlrev_b32_e32 v1, v9, v1
	v_sub_u32_e32 v7, 30, v7
	v_and_b32_e32 v1, 3, v1
	v_cmp_eq_u32_e32 vcc, 0, v6
	v_and_b32_e32 v4, 0x80000000, v4
	s_nop 0
	v_cndmask_b32_e32 v6, v6, v7, vcc
	v_cndmask_b32_e32 v1, v5, v1, vcc
	v_mov_b32_e32 v5, 0x37800000
	v_lshlrev_b32_e32 v1, 21, v1
	v_lshl_add_u32 v5, v6, 23, v5
	v_or3_b32 v1, v4, v5, v1
	v_cvt_i32_f32_e32 v4, v1
.LBB457_606:
	s_or_b64 exec, exec, s[2:3]
	s_mov_b64 s[2:3], 0
	s_branch .LBB457_612
.LBB457_607:
	s_mov_b64 s[6:7], -1
                                        ; implicit-def: $vgpr4
	s_branch .LBB457_618
.LBB457_608:
	s_andn2_saveexec_b64 s[2:3], s[2:3]
	s_cbranch_execz .LBB457_593
.LBB457_609:
	v_cmp_ne_u16_e32 vcc, 0, v1
	s_andn2_b64 s[6:7], s[6:7], exec
	s_and_b64 s[10:11], vcc, exec
	s_or_b64 s[6:7], s[6:7], s[10:11]
	s_or_b64 exec, exec, s[2:3]
	v_mov_b32_e32 v4, 0
	s_and_saveexec_b64 s[2:3], s[6:7]
	s_cbranch_execnz .LBB457_594
	s_branch .LBB457_595
.LBB457_610:
	s_mov_b64 s[2:3], -1
                                        ; implicit-def: $vgpr4
	s_branch .LBB457_615
.LBB457_611:
	s_mov_b64 s[2:3], -1
                                        ; implicit-def: $vgpr4
.LBB457_612:
	s_and_b64 vcc, exec, s[2:3]
	s_cbranch_vccz .LBB457_614
; %bb.613:
	global_load_ubyte v1, v[2:3], off
	s_mov_b32 s2, 0x7f800000
	s_waitcnt vmcnt(0)
	v_lshlrev_b32_e32 v1, 24, v1
	v_and_b32_e32 v4, 0x7f000000, v1
	v_ffbh_u32_e32 v5, v4
	v_min_u32_e32 v5, 32, v5
	v_sub_u32_e64 v5, v5, 4 clamp
	v_lshlrev_b32_e32 v7, v5, v4
	v_lshlrev_b32_e32 v5, 23, v5
	v_lshrrev_b32_e32 v7, 4, v7
	v_add_u32_e32 v6, 0x1000000, v4
	v_sub_u32_e32 v5, v7, v5
	v_ashrrev_i32_e32 v6, 8, v6
	v_add_u32_e32 v5, 0x3c000000, v5
	v_and_or_b32 v5, v6, s2, v5
	v_cmp_ne_u32_e32 vcc, 0, v4
	s_brev_b32 s2, 1
	s_nop 0
	v_cndmask_b32_e32 v4, 0, v5, vcc
	v_and_or_b32 v1, v1, s2, v4
	v_cvt_i32_f32_e32 v4, v1
.LBB457_614:
	s_mov_b64 s[2:3], 0
.LBB457_615:
	s_andn2_b64 vcc, exec, s[2:3]
	s_cbranch_vccnz .LBB457_617
; %bb.616:
	global_load_ubyte v1, v[2:3], off
	s_movk_i32 s2, 0x7f00
	s_brev_b32 s3, 16
	s_waitcnt vmcnt(0)
	v_lshlrev_b16_e32 v4, 8, v1
	v_lshlrev_b32_e32 v1, 25, v1
	v_lshrrev_b32_e32 v5, 4, v1
	v_and_or_b32 v6, v4, s2, 0.5
	v_or_b32_e32 v5, 0x70000000, v5
	v_add_f32_e32 v6, -0.5, v6
	v_mul_f32_e32 v5, 0x7800000, v5
	v_cmp_gt_u32_e32 vcc, s3, v1
	v_bfe_i32 v4, v4, 0, 16
	s_brev_b32 s2, 1
	v_cndmask_b32_e32 v1, v5, v6, vcc
	v_and_or_b32 v1, v4, s2, v1
	v_cvt_i32_f32_e32 v4, v1
.LBB457_617:
	s_mov_b64 s[6:7], 0
	s_mov_b64 s[2:3], -1
.LBB457_618:
	s_andn2_b64 vcc, exec, s[6:7]
	s_cbranch_vccnz .LBB457_631
; %bb.619:
	s_cmp_gt_i32 s8, 14
	s_cbranch_scc0 .LBB457_622
; %bb.620:
	s_cmp_eq_u32 s8, 15
	s_cbranch_scc0 .LBB457_625
; %bb.621:
	global_load_ushort v1, v[2:3], off
	s_mov_b64 s[2:3], -1
	s_mov_b64 s[4:5], 0
	s_waitcnt vmcnt(0)
	v_lshlrev_b32_e32 v1, 16, v1
	v_cvt_i32_f32_e32 v4, v1
	s_branch .LBB457_626
.LBB457_622:
	s_mov_b64 s[6:7], -1
                                        ; implicit-def: $vgpr4
	s_branch .LBB457_627
.LBB457_623:
	s_andn2_saveexec_b64 s[2:3], s[2:3]
	s_cbranch_execz .LBB457_604
.LBB457_624:
	v_cmp_ne_u16_e32 vcc, 0, v1
	s_andn2_b64 s[6:7], s[6:7], exec
	s_and_b64 s[10:11], vcc, exec
	s_or_b64 s[6:7], s[6:7], s[10:11]
	s_or_b64 exec, exec, s[2:3]
	v_mov_b32_e32 v4, 0
	s_and_saveexec_b64 s[2:3], s[6:7]
	s_cbranch_execnz .LBB457_605
	s_branch .LBB457_606
.LBB457_625:
	s_mov_b64 s[4:5], -1
                                        ; implicit-def: $vgpr4
.LBB457_626:
	s_mov_b64 s[6:7], 0
.LBB457_627:
	s_and_b64 vcc, exec, s[6:7]
	s_cbranch_vccz .LBB457_631
; %bb.628:
	s_cmp_eq_u32 s8, 11
	s_cbranch_scc0 .LBB457_630
; %bb.629:
	global_load_ubyte v1, v[2:3], off
	s_mov_b64 s[2:3], -1
	s_mov_b64 s[4:5], 0
	s_waitcnt vmcnt(0)
	v_cmp_ne_u16_e32 vcc, 0, v1
	s_nop 1
	v_cndmask_b32_e64 v4, 0, 1, vcc
	s_branch .LBB457_631
.LBB457_630:
	s_mov_b64 s[4:5], -1
                                        ; implicit-def: $vgpr4
.LBB457_631:
	s_mov_b64 s[6:7], 0
.LBB457_632:
	s_and_b64 vcc, exec, s[6:7]
	s_cbranch_vccz .LBB457_681
; %bb.633:
	s_cmp_lt_i32 s8, 5
	s_cbranch_scc1 .LBB457_638
; %bb.634:
	s_cmp_lt_i32 s8, 8
	s_cbranch_scc1 .LBB457_639
	;; [unrolled: 3-line block ×3, first 2 shown]
; %bb.636:
	s_cmp_gt_i32 s8, 9
	s_cbranch_scc0 .LBB457_641
; %bb.637:
	global_load_dwordx2 v[4:5], v[2:3], off
	s_mov_b64 s[2:3], 0
	s_waitcnt vmcnt(0)
	v_cvt_i32_f64_e32 v4, v[4:5]
	s_branch .LBB457_642
.LBB457_638:
	s_mov_b64 s[2:3], -1
                                        ; implicit-def: $vgpr4
	s_branch .LBB457_660
.LBB457_639:
	s_mov_b64 s[2:3], -1
                                        ; implicit-def: $vgpr4
	s_branch .LBB457_648
.LBB457_640:
	s_mov_b64 s[2:3], -1
                                        ; implicit-def: $vgpr4
	s_branch .LBB457_645
.LBB457_641:
	s_mov_b64 s[2:3], -1
                                        ; implicit-def: $vgpr4
.LBB457_642:
	s_andn2_b64 vcc, exec, s[2:3]
	s_cbranch_vccnz .LBB457_644
; %bb.643:
	global_load_dword v1, v[2:3], off
	s_waitcnt vmcnt(0)
	v_cvt_i32_f32_e32 v4, v1
.LBB457_644:
	s_mov_b64 s[2:3], 0
.LBB457_645:
	s_andn2_b64 vcc, exec, s[2:3]
	s_cbranch_vccnz .LBB457_647
; %bb.646:
	global_load_dword v1, v[2:3], off
	s_waitcnt vmcnt(0)
	v_cvt_i16_f16_e32 v4, v1
.LBB457_647:
	s_mov_b64 s[2:3], 0
.LBB457_648:
	s_andn2_b64 vcc, exec, s[2:3]
	s_cbranch_vccnz .LBB457_659
; %bb.649:
	s_cmp_lt_i32 s8, 6
	s_cbranch_scc1 .LBB457_652
; %bb.650:
	s_cmp_gt_i32 s8, 6
	s_cbranch_scc0 .LBB457_653
; %bb.651:
	global_load_dwordx2 v[4:5], v[2:3], off
	s_mov_b64 s[2:3], 0
	s_waitcnt vmcnt(0)
	v_cvt_i32_f64_e32 v4, v[4:5]
	s_branch .LBB457_654
.LBB457_652:
	s_mov_b64 s[2:3], -1
                                        ; implicit-def: $vgpr4
	s_branch .LBB457_657
.LBB457_653:
	s_mov_b64 s[2:3], -1
                                        ; implicit-def: $vgpr4
.LBB457_654:
	s_andn2_b64 vcc, exec, s[2:3]
	s_cbranch_vccnz .LBB457_656
; %bb.655:
	global_load_dword v1, v[2:3], off
	s_waitcnt vmcnt(0)
	v_cvt_i32_f32_e32 v4, v1
.LBB457_656:
	s_mov_b64 s[2:3], 0
.LBB457_657:
	s_andn2_b64 vcc, exec, s[2:3]
	s_cbranch_vccnz .LBB457_659
; %bb.658:
	global_load_ushort v1, v[2:3], off
	s_waitcnt vmcnt(0)
	v_cvt_i16_f16_e32 v4, v1
.LBB457_659:
	s_mov_b64 s[2:3], 0
.LBB457_660:
	s_andn2_b64 vcc, exec, s[2:3]
	s_cbranch_vccnz .LBB457_680
; %bb.661:
	s_cmp_lt_i32 s8, 2
	s_cbranch_scc1 .LBB457_665
; %bb.662:
	s_cmp_lt_i32 s8, 3
	s_cbranch_scc1 .LBB457_666
; %bb.663:
	s_cmp_gt_i32 s8, 3
	s_cbranch_scc0 .LBB457_667
; %bb.664:
	global_load_dwordx2 v[4:5], v[2:3], off
	s_mov_b64 s[2:3], 0
	s_branch .LBB457_668
.LBB457_665:
	s_mov_b64 s[2:3], -1
                                        ; implicit-def: $vgpr4
	s_branch .LBB457_674
.LBB457_666:
	s_mov_b64 s[2:3], -1
                                        ; implicit-def: $vgpr4
	s_branch .LBB457_671
.LBB457_667:
	s_mov_b64 s[2:3], -1
                                        ; implicit-def: $vgpr4
.LBB457_668:
	s_andn2_b64 vcc, exec, s[2:3]
	s_cbranch_vccnz .LBB457_670
; %bb.669:
	global_load_dword v4, v[2:3], off
.LBB457_670:
	s_mov_b64 s[2:3], 0
.LBB457_671:
	s_andn2_b64 vcc, exec, s[2:3]
	s_cbranch_vccnz .LBB457_673
; %bb.672:
	global_load_ushort v4, v[2:3], off
.LBB457_673:
	s_mov_b64 s[2:3], 0
.LBB457_674:
	s_andn2_b64 vcc, exec, s[2:3]
	s_cbranch_vccnz .LBB457_680
; %bb.675:
	s_cmp_gt_i32 s8, 0
	s_cbranch_scc0 .LBB457_677
; %bb.676:
	global_load_sbyte v4, v[2:3], off
	s_mov_b64 s[2:3], 0
	s_branch .LBB457_678
.LBB457_677:
	s_mov_b64 s[2:3], -1
                                        ; implicit-def: $vgpr4
.LBB457_678:
	s_andn2_b64 vcc, exec, s[2:3]
	s_cbranch_vccnz .LBB457_680
; %bb.679:
	global_load_ubyte v4, v[2:3], off
.LBB457_680:
	s_mov_b64 s[2:3], -1
.LBB457_681:
	s_andn2_b64 vcc, exec, s[2:3]
	s_cbranch_vccnz .LBB457_689
; %bb.682:
	v_mov_b32_e32 v1, 0
	s_and_b32 s12, s74, 0xff
	s_waitcnt vmcnt(0)
	v_min_i16_e32 v4, s73, v4
	s_cmp_lt_i32 s12, 11
	v_lshl_add_u64 v[0:1], s[20:21], 0, v[0:1]
	s_cbranch_scc1 .LBB457_690
; %bb.683:
	s_and_b32 s13, 0xffff, s12
	s_cmp_gt_i32 s13, 25
	s_cbranch_scc0 .LBB457_691
; %bb.684:
	s_cmp_gt_i32 s13, 28
	s_cbranch_scc0 .LBB457_692
; %bb.685:
	;; [unrolled: 3-line block ×4, first 2 shown]
	s_mov_b64 s[8:9], 0
	s_mov_b64 s[2:3], -1
	s_cmp_eq_u32 s13, 46
	s_mov_b64 s[6:7], 0
	s_cbranch_scc0 .LBB457_695
; %bb.688:
	v_cvt_f32_i32_sdwa v2, sext(v4) dst_sel:DWORD dst_unused:UNUSED_PAD src0_sel:WORD_0
	s_movk_i32 s2, 0x7fff
	s_mov_b64 s[6:7], -1
	v_bfe_u32 v3, v2, 16, 1
	v_add3_u32 v2, v2, v3, s2
	v_lshrrev_b32_e32 v2, 16, v2
	global_store_dword v[0:1], v2, off
	s_mov_b64 s[2:3], 0
	s_branch .LBB457_695
.LBB457_689:
	s_mov_b64 s[6:7], 0
	s_mov_b64 s[2:3], s[62:63]
	s_branch .LBB457_806
.LBB457_690:
	s_mov_b64 s[8:9], -1
	s_mov_b64 s[6:7], 0
	s_mov_b64 s[2:3], s[62:63]
	s_branch .LBB457_764
.LBB457_691:
	s_mov_b64 s[8:9], -1
	s_mov_b64 s[6:7], 0
	s_mov_b64 s[2:3], s[62:63]
	s_branch .LBB457_722
.LBB457_692:
	s_mov_b64 s[8:9], -1
	s_mov_b64 s[6:7], 0
	s_mov_b64 s[2:3], s[62:63]
	s_branch .LBB457_705
.LBB457_693:
	s_mov_b64 s[8:9], -1
	s_mov_b64 s[6:7], 0
	s_mov_b64 s[2:3], s[62:63]
	s_branch .LBB457_701
.LBB457_694:
	s_mov_b64 s[8:9], -1
	s_mov_b64 s[6:7], 0
	s_mov_b64 s[2:3], s[62:63]
.LBB457_695:
	s_and_b64 vcc, exec, s[8:9]
	s_cbranch_vccz .LBB457_700
; %bb.696:
	s_cmp_eq_u32 s13, 44
	s_mov_b64 s[2:3], -1
	s_cbranch_scc0 .LBB457_700
; %bb.697:
	v_cvt_f32_i32_sdwa v2, sext(v4) dst_sel:DWORD dst_unused:UNUSED_PAD src0_sel:WORD_0
	s_movk_i32 s2, 0xff
	v_mov_b32_e32 v5, 0xff
	v_bfe_u32 v3, v2, 23, 8
	v_cmp_ne_u32_e32 vcc, s2, v3
	s_and_saveexec_b64 s[6:7], vcc
; %bb.698:
	s_mov_b32 s2, 0x3fffff
	v_lshrrev_b32_e32 v5, 23, v2
	v_and_b32_e32 v6, 0x400000, v2
	v_and_or_b32 v2, v2, s2, v3
	v_cmp_ne_u32_e32 vcc, 0, v6
	v_cmp_ne_u32_e64 s[2:3], 0, v2
	s_and_b64 s[2:3], vcc, s[2:3]
	s_nop 0
	v_cndmask_b32_e64 v2, 0, 1, s[2:3]
	v_add_u32_e32 v5, v5, v2
; %bb.699:
	s_or_b64 exec, exec, s[6:7]
	s_mov_b64 s[6:7], -1
	s_mov_b64 s[2:3], 0
	global_store_byte v[0:1], v5, off
.LBB457_700:
	s_mov_b64 s[8:9], 0
.LBB457_701:
	s_and_b64 vcc, exec, s[8:9]
	s_cbranch_vccz .LBB457_704
; %bb.702:
	s_cmp_eq_u32 s13, 29
	s_mov_b64 s[2:3], -1
	s_cbranch_scc0 .LBB457_704
; %bb.703:
	v_bfe_i32 v2, v4, 0, 16
	v_ashrrev_i32_e32 v3, 31, v2
	global_store_dwordx2 v[0:1], v[2:3], off
	s_mov_b64 s[6:7], -1
	s_mov_b64 s[2:3], 0
.LBB457_704:
	s_mov_b64 s[8:9], 0
.LBB457_705:
	s_and_b64 vcc, exec, s[8:9]
	s_cbranch_vccz .LBB457_721
; %bb.706:
	s_cmp_lt_i32 s13, 27
	s_mov_b64 s[6:7], -1
	s_cbranch_scc1 .LBB457_712
; %bb.707:
	s_cmp_gt_i32 s13, 27
	s_cbranch_scc0 .LBB457_709
; %bb.708:
	v_bfe_i32 v2, v4, 0, 16
	s_mov_b64 s[6:7], 0
	global_store_dword v[0:1], v2, off
.LBB457_709:
	s_andn2_b64 vcc, exec, s[6:7]
	s_cbranch_vccnz .LBB457_711
; %bb.710:
	global_store_short v[0:1], v4, off
.LBB457_711:
	s_mov_b64 s[6:7], 0
.LBB457_712:
	s_andn2_b64 vcc, exec, s[6:7]
	s_cbranch_vccnz .LBB457_720
; %bb.713:
	v_cvt_f32_i32_sdwa v2, sext(v4) dst_sel:DWORD dst_unused:UNUSED_PAD src0_sel:WORD_0
	s_mov_b32 s6, 0x43800000
	v_mov_b32_e32 v5, 0x80
	v_and_b32_e32 v3, 0x7fffffff, v2
	v_cmp_gt_u32_e32 vcc, s6, v3
	s_and_saveexec_b64 s[6:7], vcc
	s_cbranch_execz .LBB457_719
; %bb.714:
	s_mov_b32 s8, 0x3bffffff
	v_cmp_lt_u32_e32 vcc, s8, v3
	s_mov_b64 s[8:9], 0
                                        ; implicit-def: $vgpr3
	s_and_saveexec_b64 s[10:11], vcc
	s_xor_b64 s[10:11], exec, s[10:11]
	s_cbranch_execz .LBB457_837
; %bb.715:
	v_bfe_u32 v3, v2, 20, 1
	s_mov_b32 s14, 0x487ffff
	v_add3_u32 v3, v2, v3, s14
	s_mov_b64 s[8:9], exec
	v_lshrrev_b32_e32 v3, 20, v3
	s_andn2_saveexec_b64 s[10:11], s[10:11]
	s_cbranch_execnz .LBB457_838
.LBB457_716:
	s_or_b64 exec, exec, s[10:11]
	v_mov_b32_e32 v5, 0
	s_and_saveexec_b64 s[10:11], s[8:9]
.LBB457_717:
	v_lshrrev_b32_e32 v2, 24, v2
	s_movk_i32 s8, 0x80
	v_and_or_b32 v5, v2, s8, v3
.LBB457_718:
	s_or_b64 exec, exec, s[10:11]
.LBB457_719:
	s_or_b64 exec, exec, s[6:7]
	global_store_byte v[0:1], v5, off
.LBB457_720:
	s_mov_b64 s[6:7], -1
.LBB457_721:
	s_mov_b64 s[8:9], 0
.LBB457_722:
	s_and_b64 vcc, exec, s[8:9]
	s_cbranch_vccz .LBB457_763
; %bb.723:
	s_cmp_gt_i32 s13, 22
	s_mov_b64 s[8:9], -1
	s_cbranch_scc0 .LBB457_755
; %bb.724:
	s_cmp_lt_i32 s13, 24
	s_mov_b64 s[6:7], -1
	s_cbranch_scc1 .LBB457_744
; %bb.725:
	s_cmp_gt_i32 s13, 24
	s_cbranch_scc0 .LBB457_733
; %bb.726:
	v_cvt_f32_i32_sdwa v2, sext(v4) dst_sel:DWORD dst_unused:UNUSED_PAD src0_sel:WORD_0
	s_mov_b32 s6, 0x47800000
	v_mov_b32_e32 v5, 0x80
	v_and_b32_e32 v3, 0x7fffffff, v2
	v_cmp_gt_u32_e32 vcc, s6, v3
	s_and_saveexec_b64 s[6:7], vcc
	s_cbranch_execz .LBB457_732
; %bb.727:
	s_mov_b32 s8, 0x37ffffff
	v_cmp_lt_u32_e32 vcc, s8, v3
	s_mov_b64 s[8:9], 0
                                        ; implicit-def: $vgpr3
	s_and_saveexec_b64 s[10:11], vcc
	s_xor_b64 s[10:11], exec, s[10:11]
	s_cbranch_execz .LBB457_840
; %bb.728:
	v_bfe_u32 v3, v2, 21, 1
	s_mov_b32 s14, 0x88fffff
	v_add3_u32 v3, v2, v3, s14
	s_mov_b64 s[8:9], exec
	v_lshrrev_b32_e32 v3, 21, v3
	s_andn2_saveexec_b64 s[10:11], s[10:11]
	s_cbranch_execnz .LBB457_841
.LBB457_729:
	s_or_b64 exec, exec, s[10:11]
	v_mov_b32_e32 v5, 0
	s_and_saveexec_b64 s[10:11], s[8:9]
.LBB457_730:
	v_lshrrev_b32_e32 v2, 24, v2
	s_movk_i32 s8, 0x80
	v_and_or_b32 v5, v2, s8, v3
.LBB457_731:
	s_or_b64 exec, exec, s[10:11]
.LBB457_732:
	s_or_b64 exec, exec, s[6:7]
	s_mov_b64 s[6:7], 0
	global_store_byte v[0:1], v5, off
.LBB457_733:
	s_and_b64 vcc, exec, s[6:7]
	s_cbranch_vccz .LBB457_743
; %bb.734:
	v_cvt_f32_i32_sdwa v2, sext(v4) dst_sel:DWORD dst_unused:UNUSED_PAD src0_sel:WORD_0
	s_mov_b32 s6, 0x43f00000
                                        ; implicit-def: $vgpr3
	v_and_b32_e32 v5, 0x7fffffff, v2
	v_cmp_gt_u32_e32 vcc, s6, v5
	s_and_saveexec_b64 s[6:7], vcc
	s_xor_b64 s[6:7], exec, s[6:7]
	s_cbranch_execz .LBB457_740
; %bb.735:
	s_mov_b32 s8, 0x3c7fffff
	v_cmp_lt_u32_e32 vcc, s8, v5
                                        ; implicit-def: $vgpr3
	s_and_saveexec_b64 s[8:9], vcc
	s_xor_b64 s[8:9], exec, s[8:9]
; %bb.736:
	v_bfe_u32 v3, v2, 20, 1
	s_mov_b32 s10, 0x407ffff
	v_add3_u32 v3, v2, v3, s10
	v_lshrrev_b32_e32 v5, 20, v3
	v_and_b32_e32 v3, 0xff00000, v3
	s_mov_b32 s10, 0x7f00000
	v_mov_b32_e32 v6, 0x7e
	v_cmp_ne_u32_e32 vcc, s10, v3
	s_nop 1
	v_cndmask_b32_e32 v3, v6, v5, vcc
; %bb.737:
	s_andn2_saveexec_b64 s[8:9], s[8:9]
; %bb.738:
	s_mov_b32 s10, 0x46800000
	v_add_f32_e64 v3, |v2|, s10
; %bb.739:
	s_or_b64 exec, exec, s[8:9]
                                        ; implicit-def: $vgpr5
.LBB457_740:
	s_andn2_saveexec_b64 s[6:7], s[6:7]
; %bb.741:
	s_mov_b32 s8, 0x7f800000
	v_mov_b32_e32 v3, 0x7e
	v_mov_b32_e32 v6, 0x7f
	v_cmp_lt_u32_e32 vcc, s8, v5
	s_nop 1
	v_cndmask_b32_e32 v3, v3, v6, vcc
; %bb.742:
	s_or_b64 exec, exec, s[6:7]
	v_lshrrev_b32_e32 v2, 24, v2
	s_movk_i32 s6, 0x80
	v_and_or_b32 v2, v2, s6, v3
	global_store_byte v[0:1], v2, off
.LBB457_743:
	s_mov_b64 s[6:7], 0
.LBB457_744:
	s_andn2_b64 vcc, exec, s[6:7]
	s_cbranch_vccnz .LBB457_754
; %bb.745:
	v_cvt_f32_i32_sdwa v2, sext(v4) dst_sel:DWORD dst_unused:UNUSED_PAD src0_sel:WORD_0
	s_mov_b32 s6, 0x47800000
                                        ; implicit-def: $vgpr3
	v_and_b32_e32 v5, 0x7fffffff, v2
	v_cmp_gt_u32_e32 vcc, s6, v5
	s_and_saveexec_b64 s[6:7], vcc
	s_xor_b64 s[6:7], exec, s[6:7]
	s_cbranch_execz .LBB457_751
; %bb.746:
	s_mov_b32 s8, 0x387fffff
	v_cmp_lt_u32_e32 vcc, s8, v5
                                        ; implicit-def: $vgpr3
	s_and_saveexec_b64 s[8:9], vcc
	s_xor_b64 s[8:9], exec, s[8:9]
; %bb.747:
	v_bfe_u32 v3, v2, 21, 1
	s_mov_b32 s10, 0x80fffff
	v_add3_u32 v3, v2, v3, s10
	v_lshrrev_b32_e32 v3, 21, v3
; %bb.748:
	s_andn2_saveexec_b64 s[8:9], s[8:9]
; %bb.749:
	s_mov_b32 s10, 0x43000000
	v_add_f32_e64 v3, |v2|, s10
; %bb.750:
	s_or_b64 exec, exec, s[8:9]
                                        ; implicit-def: $vgpr5
.LBB457_751:
	s_andn2_saveexec_b64 s[6:7], s[6:7]
; %bb.752:
	s_mov_b32 s8, 0x7f800000
	v_mov_b32_e32 v3, 0x7c
	v_mov_b32_e32 v6, 0x7f
	v_cmp_lt_u32_e32 vcc, s8, v5
	s_nop 1
	v_cndmask_b32_e32 v3, v3, v6, vcc
; %bb.753:
	s_or_b64 exec, exec, s[6:7]
	v_lshrrev_b32_e32 v2, 24, v2
	s_movk_i32 s6, 0x80
	v_and_or_b32 v2, v2, s6, v3
	global_store_byte v[0:1], v2, off
.LBB457_754:
	s_mov_b64 s[8:9], 0
	s_mov_b64 s[6:7], -1
.LBB457_755:
	s_andn2_b64 vcc, exec, s[8:9]
	s_cbranch_vccnz .LBB457_763
; %bb.756:
	s_cmp_gt_i32 s13, 14
	s_mov_b64 s[8:9], -1
	s_cbranch_scc0 .LBB457_760
; %bb.757:
	s_cmp_eq_u32 s13, 15
	s_mov_b64 s[2:3], -1
	s_cbranch_scc0 .LBB457_759
; %bb.758:
	v_cvt_f32_i32_sdwa v2, sext(v4) dst_sel:DWORD dst_unused:UNUSED_PAD src0_sel:WORD_0
	s_movk_i32 s2, 0x7fff
	s_mov_b64 s[6:7], -1
	v_bfe_u32 v3, v2, 16, 1
	v_add3_u32 v2, v2, v3, s2
	global_store_short_d16_hi v[0:1], v2, off
	s_mov_b64 s[2:3], 0
.LBB457_759:
	s_mov_b64 s[8:9], 0
.LBB457_760:
	s_and_b64 vcc, exec, s[8:9]
	s_cbranch_vccz .LBB457_763
; %bb.761:
	s_cmp_eq_u32 s13, 11
	s_mov_b64 s[2:3], -1
	s_cbranch_scc0 .LBB457_763
; %bb.762:
	v_cmp_ne_u16_e32 vcc, 0, v4
	s_mov_b64 s[6:7], -1
	s_mov_b64 s[2:3], 0
	v_cndmask_b32_e64 v2, 0, 1, vcc
	global_store_byte v[0:1], v2, off
.LBB457_763:
	s_mov_b64 s[8:9], 0
.LBB457_764:
	s_and_b64 vcc, exec, s[8:9]
	s_cbranch_vccz .LBB457_803
; %bb.765:
	s_and_b32 s8, 0xffff, s12
	s_cmp_lt_i32 s8, 5
	s_mov_b64 s[6:7], -1
	s_cbranch_scc1 .LBB457_786
; %bb.766:
	s_cmp_lt_i32 s8, 8
	s_cbranch_scc1 .LBB457_776
; %bb.767:
	s_cmp_lt_i32 s8, 9
	s_cbranch_scc1 .LBB457_773
; %bb.768:
	s_cmp_gt_i32 s8, 9
	s_cbranch_scc0 .LBB457_770
; %bb.769:
	v_bfe_i32 v2, v4, 0, 16
	v_mov_b32_e32 v12, 0
	v_cvt_f64_i32_e32 v[10:11], v2
	v_mov_b32_e32 v13, v12
	s_mov_b64 s[6:7], 0
	global_store_dwordx4 v[0:1], v[10:13], off
.LBB457_770:
	s_andn2_b64 vcc, exec, s[6:7]
	s_cbranch_vccnz .LBB457_772
; %bb.771:
	v_cvt_f32_i32_sdwa v2, sext(v4) dst_sel:DWORD dst_unused:UNUSED_PAD src0_sel:WORD_0
	v_mov_b32_e32 v3, 0
	global_store_dwordx2 v[0:1], v[2:3], off
.LBB457_772:
	s_mov_b64 s[6:7], 0
.LBB457_773:
	s_andn2_b64 vcc, exec, s[6:7]
	s_cbranch_vccnz .LBB457_775
; %bb.774:
	v_cvt_f16_i16_e32 v2, v4
	global_store_dword v[0:1], v2, off
.LBB457_775:
	s_mov_b64 s[6:7], 0
.LBB457_776:
	s_andn2_b64 vcc, exec, s[6:7]
	s_cbranch_vccnz .LBB457_785
; %bb.777:
	s_cmp_lt_i32 s8, 6
	s_mov_b64 s[6:7], -1
	s_cbranch_scc1 .LBB457_783
; %bb.778:
	s_cmp_gt_i32 s8, 6
	s_cbranch_scc0 .LBB457_780
; %bb.779:
	v_bfe_i32 v2, v4, 0, 16
	v_cvt_f64_i32_e32 v[2:3], v2
	s_mov_b64 s[6:7], 0
	global_store_dwordx2 v[0:1], v[2:3], off
.LBB457_780:
	s_andn2_b64 vcc, exec, s[6:7]
	s_cbranch_vccnz .LBB457_782
; %bb.781:
	v_cvt_f32_i32_sdwa v2, sext(v4) dst_sel:DWORD dst_unused:UNUSED_PAD src0_sel:WORD_0
	global_store_dword v[0:1], v2, off
.LBB457_782:
	s_mov_b64 s[6:7], 0
.LBB457_783:
	s_andn2_b64 vcc, exec, s[6:7]
	s_cbranch_vccnz .LBB457_785
; %bb.784:
	v_cvt_f16_i16_e32 v2, v4
	global_store_short v[0:1], v2, off
.LBB457_785:
	s_mov_b64 s[6:7], 0
.LBB457_786:
	s_andn2_b64 vcc, exec, s[6:7]
	s_cbranch_vccnz .LBB457_802
; %bb.787:
	s_cmp_lt_i32 s8, 2
	s_mov_b64 s[6:7], -1
	s_cbranch_scc1 .LBB457_797
; %bb.788:
	s_cmp_lt_i32 s8, 3
	s_cbranch_scc1 .LBB457_794
; %bb.789:
	s_cmp_gt_i32 s8, 3
	v_bfe_i32 v2, v4, 0, 16
	s_cbranch_scc0 .LBB457_791
; %bb.790:
	v_ashrrev_i32_e32 v3, 31, v2
	s_mov_b64 s[6:7], 0
	global_store_dwordx2 v[0:1], v[2:3], off
.LBB457_791:
	s_andn2_b64 vcc, exec, s[6:7]
	s_cbranch_vccnz .LBB457_793
; %bb.792:
	global_store_dword v[0:1], v2, off
.LBB457_793:
	s_mov_b64 s[6:7], 0
.LBB457_794:
	s_andn2_b64 vcc, exec, s[6:7]
	s_cbranch_vccnz .LBB457_796
; %bb.795:
	global_store_short v[0:1], v4, off
.LBB457_796:
	s_mov_b64 s[6:7], 0
.LBB457_797:
	s_andn2_b64 vcc, exec, s[6:7]
	s_cbranch_vccnz .LBB457_802
; %bb.798:
	s_cmp_gt_i32 s8, 0
	s_mov_b64 s[6:7], -1
	s_cbranch_scc0 .LBB457_800
; %bb.799:
	s_mov_b64 s[6:7], 0
	global_store_byte v[0:1], v4, off
.LBB457_800:
	s_andn2_b64 vcc, exec, s[6:7]
	s_cbranch_vccnz .LBB457_802
; %bb.801:
	global_store_byte v[0:1], v4, off
.LBB457_802:
	s_mov_b64 s[6:7], -1
.LBB457_803:
	s_andn2_b64 vcc, exec, s[6:7]
	s_cbranch_vccnz .LBB457_805
; %bb.804:
	v_add_u32_e32 v8, 0x80, v8
	s_mov_b64 s[6:7], -1
	s_branch .LBB457_807
.LBB457_805:
	s_mov_b64 s[6:7], 0
.LBB457_806:
                                        ; implicit-def: $vgpr8
.LBB457_807:
	s_andn2_b64 s[8:9], s[62:63], exec
	s_and_b64 s[2:3], s[2:3], exec
	s_or_b64 s[68:69], s[8:9], s[2:3]
	s_andn2_b64 s[2:3], s[60:61], exec
	s_and_b64 s[4:5], s[4:5], exec
	s_or_b64 s[2:3], s[2:3], s[4:5]
	s_orn2_b64 s[6:7], s[6:7], exec
.LBB457_808:
	s_or_b64 exec, exec, s[66:67]
	s_mov_b64 s[4:5], 0
	s_mov_b64 s[10:11], 0
	;; [unrolled: 1-line block ×3, first 2 shown]
                                        ; implicit-def: $vgpr2_vgpr3
                                        ; implicit-def: $vgpr0
                                        ; implicit-def: $vgpr4
	s_and_saveexec_b64 s[66:67], s[6:7]
	s_cbranch_execz .LBB457_904
; %bb.809:
	v_cmp_gt_i32_e32 vcc, s70, v8
	s_mov_b64 s[6:7], 0
	s_mov_b64 s[12:13], s[2:3]
                                        ; implicit-def: $vgpr2_vgpr3
                                        ; implicit-def: $vgpr0
                                        ; implicit-def: $vgpr4
	s_and_saveexec_b64 s[70:71], vcc
	s_cbranch_execz .LBB457_903
; %bb.810:
	s_andn2_b64 vcc, exec, s[42:43]
	s_cbranch_vccnz .LBB457_816
; %bb.811:
	s_andn2_b64 vcc, exec, s[52:53]
	s_cbranch_vccnz .LBB457_817
; %bb.812:
	s_add_i32 s77, s76, 1
	s_cmp_eq_u32 s72, 2
	s_cbranch_scc1 .LBB457_818
; %bb.813:
	s_and_b32 s76, s77, 28
	s_mov_b32 s78, 0
	v_mov_b32_e32 v0, 0
	v_mov_b32_e32 v2, 0
	s_mov_b64 s[52:53], s[34:35]
	s_waitcnt vmcnt(0)
	v_mov_b32_e32 v4, v8
.LBB457_814:                            ; =>This Inner Loop Header: Depth=1
	s_load_dwordx8 s[12:19], s[52:53], 0x4
	s_load_dwordx4 s[36:39], s[52:53], 0x24
	s_load_dwordx8 s[4:11], s[50:51], 0x0
	s_add_u32 s52, s52, 48
	s_addc_u32 s53, s53, 0
	s_waitcnt lgkmcnt(0)
	v_mul_hi_u32 v1, s13, v4
	v_add_u32_e32 v1, v4, v1
	v_lshrrev_b32_e32 v1, s14, v1
	v_mul_lo_u32 v3, v1, s12
	v_mul_hi_u32 v5, s16, v1
	v_sub_u32_e32 v3, v4, v3
	v_add_u32_e32 v4, v1, v5
	v_lshrrev_b32_e32 v4, s17, v4
	v_mul_lo_u32 v6, v4, s15
	v_mul_hi_u32 v7, s19, v4
	v_sub_u32_e32 v1, v1, v6
	v_add_u32_e32 v6, v4, v7
	v_mul_lo_u32 v5, v3, s5
	v_mul_lo_u32 v3, v3, s4
	;; [unrolled: 1-line block ×4, first 2 shown]
	v_lshrrev_b32_e32 v6, s36, v6
	v_add3_u32 v0, v3, v0, v1
	v_mul_hi_u32 v3, s38, v6
	v_add3_u32 v1, v5, v2, v7
	v_mul_lo_u32 v2, v6, s18
	v_add_u32_e32 v3, v6, v3
	v_sub_u32_e32 v2, v4, v2
	v_lshrrev_b32_e32 v4, s39, v3
	s_add_i32 s78, s78, 4
	v_mul_lo_u32 v3, v4, s37
	s_add_u32 s50, s50, 32
	v_sub_u32_e32 v3, v6, v3
	s_addc_u32 s51, s51, 0
	v_mul_lo_u32 v5, v2, s8
	v_mul_lo_u32 v2, v2, s9
	;; [unrolled: 1-line block ×4, first 2 shown]
	s_cmp_eq_u32 s76, s78
	v_add3_u32 v2, v2, v1, v3
	v_add3_u32 v0, v5, v0, v6
	s_cbranch_scc0 .LBB457_814
; %bb.815:
	v_mov_b32_e32 v1, v2
	s_branch .LBB457_819
.LBB457_816:
	s_mov_b64 s[4:5], -1
                                        ; implicit-def: $vgpr2
                                        ; implicit-def: $vgpr0
	s_branch .LBB457_823
.LBB457_817:
	v_mov_b32_e32 v2, 0
	v_mov_b32_e32 v0, 0
	s_branch .LBB457_822
.LBB457_818:
	v_mov_b32_e32 v0, 0
	s_mov_b32 s76, 0
	v_mov_b32_e32 v1, v0
                                        ; implicit-def: $vgpr2
	s_waitcnt vmcnt(0)
	v_mov_b32_e32 v4, v8
.LBB457_819:
	s_and_b32 s8, s77, 3
	s_cmp_eq_u32 s8, 0
	s_cbranch_scc1 .LBB457_822
; %bb.820:
	s_lshl_b32 s4, s76, 3
	s_add_u32 s4, s34, s4
	s_addc_u32 s5, s35, 0
	s_add_u32 s4, s4, 0xc4
	s_addc_u32 s5, s5, 0
	s_mul_i32 s6, s76, 12
	s_add_u32 s6, s34, s6
	s_addc_u32 s7, s35, 0
.LBB457_821:                            ; =>This Inner Loop Header: Depth=1
	s_load_dwordx2 s[10:11], s[6:7], 0x4
	s_load_dword s9, s[6:7], 0xc
	s_load_dwordx2 s[12:13], s[4:5], 0x0
	v_mov_b32_e32 v2, v1
	s_add_u32 s6, s6, 12
	s_waitcnt lgkmcnt(0)
	v_mul_hi_u32 v1, s11, v4
	v_add_u32_e32 v1, v4, v1
	v_lshrrev_b32_e32 v1, s9, v1
	s_addc_u32 s7, s7, 0
	v_mul_lo_u32 v3, v1, s10
	s_add_u32 s4, s4, 8
	v_sub_u32_e32 v5, v4, v3
	s_addc_u32 s5, s5, 0
	s_add_i32 s8, s8, -1
	v_mov_b32_e32 v4, v1
	v_mad_u64_u32 v[2:3], s[10:11], v5, s13, v[2:3]
	v_mad_u64_u32 v[0:1], s[10:11], v5, s12, v[0:1]
	s_cmp_lg_u32 s8, 0
	v_mov_b32_e32 v1, v2
	s_cbranch_scc1 .LBB457_821
.LBB457_822:
	s_mov_b64 s[4:5], 0
.LBB457_823:
	s_andn2_b64 vcc, exec, s[4:5]
	s_cbranch_vccnz .LBB457_826
; %bb.824:
	v_mul_hi_u32 v0, s25, v8
	v_add_u32_e32 v0, v8, v0
	v_lshrrev_b32_e32 v1, s26, v0
	v_mul_lo_u32 v0, v1, s24
	v_sub_u32_e32 v0, v8, v0
	v_mul_lo_u32 v2, v0, s29
	s_andn2_b64 vcc, exec, s[48:49]
	v_mul_lo_u32 v0, v0, s28
	s_cbranch_vccnz .LBB457_826
; %bb.825:
	v_mul_hi_u32 v3, s46, v1
	v_add_u32_e32 v3, v1, v3
	v_lshrrev_b32_e32 v3, s47, v3
	v_mul_lo_u32 v3, v3, s27
	v_sub_u32_e32 v3, v1, v3
	v_mad_u64_u32 v[0:1], s[4:5], v3, s30, v[0:1]
	v_mad_u64_u32 v[2:3], s[4:5], v3, s31, v[2:3]
.LBB457_826:
	v_mov_b32_e32 v3, 0
	s_and_b32 s12, 0xffff, s75
	s_cmp_lt_i32 s12, 11
	v_lshl_add_u64 v[2:3], s[22:23], 0, v[2:3]
	s_cbranch_scc1 .LBB457_833
; %bb.827:
	s_cmp_gt_i32 s12, 25
	s_mov_b64 s[6:7], 0
	s_cbranch_scc0 .LBB457_834
; %bb.828:
	s_cmp_gt_i32 s12, 28
	s_cbranch_scc0 .LBB457_835
; %bb.829:
	s_cmp_gt_i32 s12, 43
	;; [unrolled: 3-line block ×3, first 2 shown]
	s_cbranch_scc0 .LBB457_839
; %bb.831:
	s_cmp_eq_u32 s12, 46
	s_mov_b64 s[10:11], 0
	s_cbranch_scc0 .LBB457_842
; %bb.832:
	global_load_dword v1, v[2:3], off
	s_mov_b64 s[4:5], 0
	s_mov_b64 s[8:9], -1
	s_waitcnt vmcnt(0)
	v_lshlrev_b32_e32 v1, 16, v1
	v_cvt_i32_f32_e32 v4, v1
	s_branch .LBB457_843
.LBB457_833:
	s_mov_b64 s[10:11], -1
	s_mov_b64 s[8:9], 0
	s_mov_b64 s[6:7], 0
	s_mov_b64 s[4:5], s[2:3]
                                        ; implicit-def: $vgpr4
	s_branch .LBB457_902
.LBB457_834:
	s_mov_b64 s[10:11], -1
	s_mov_b64 s[8:9], 0
	s_mov_b64 s[4:5], s[2:3]
                                        ; implicit-def: $vgpr4
	s_branch .LBB457_870
.LBB457_835:
	s_mov_b64 s[10:11], -1
	s_mov_b64 s[8:9], 0
	s_mov_b64 s[4:5], s[2:3]
                                        ; implicit-def: $vgpr4
	s_branch .LBB457_853
.LBB457_836:
	s_mov_b64 s[10:11], -1
	s_mov_b64 s[8:9], 0
	s_mov_b64 s[4:5], s[2:3]
                                        ; implicit-def: $vgpr4
	s_branch .LBB457_848
.LBB457_837:
	s_andn2_saveexec_b64 s[10:11], s[10:11]
	s_cbranch_execz .LBB457_716
.LBB457_838:
	s_mov_b32 s14, 0x46000000
	v_add_f32_e64 v3, |v2|, s14
	v_and_b32_e32 v3, 0xff, v3
	v_cmp_ne_u32_e32 vcc, 0, v3
	s_andn2_b64 s[8:9], s[8:9], exec
	s_and_b64 s[14:15], vcc, exec
	s_or_b64 s[8:9], s[8:9], s[14:15]
	s_or_b64 exec, exec, s[10:11]
	v_mov_b32_e32 v5, 0
	s_and_saveexec_b64 s[10:11], s[8:9]
	s_cbranch_execnz .LBB457_717
	s_branch .LBB457_718
.LBB457_839:
	s_mov_b64 s[10:11], -1
	s_mov_b64 s[8:9], 0
	s_mov_b64 s[4:5], s[2:3]
                                        ; implicit-def: $vgpr4
	s_branch .LBB457_843
.LBB457_840:
	s_andn2_saveexec_b64 s[10:11], s[10:11]
	s_cbranch_execz .LBB457_729
.LBB457_841:
	s_mov_b32 s14, 0x42800000
	v_add_f32_e64 v3, |v2|, s14
	v_and_b32_e32 v3, 0xff, v3
	v_cmp_ne_u32_e32 vcc, 0, v3
	s_andn2_b64 s[8:9], s[8:9], exec
	s_and_b64 s[14:15], vcc, exec
	s_or_b64 s[8:9], s[8:9], s[14:15]
	s_or_b64 exec, exec, s[10:11]
	v_mov_b32_e32 v5, 0
	s_and_saveexec_b64 s[10:11], s[8:9]
	s_cbranch_execnz .LBB457_730
	s_branch .LBB457_731
.LBB457_842:
	s_mov_b64 s[4:5], -1
                                        ; implicit-def: $vgpr4
	s_mov_b64 s[8:9], 0
.LBB457_843:
	s_and_b64 vcc, exec, s[10:11]
	s_cbranch_vccz .LBB457_847
; %bb.844:
	s_cmp_eq_u32 s12, 44
	s_cbranch_scc0 .LBB457_846
; %bb.845:
	global_load_ubyte v1, v[2:3], off
	s_mov_b64 s[4:5], 0
	s_mov_b64 s[8:9], -1
	s_waitcnt vmcnt(0)
	v_lshlrev_b32_e32 v4, 23, v1
	v_cvt_i32_f32_e32 v4, v4
	v_cmp_ne_u32_e32 vcc, 0, v1
	s_nop 1
	v_cndmask_b32_e32 v4, 0, v4, vcc
	s_branch .LBB457_847
.LBB457_846:
	s_mov_b64 s[4:5], -1
                                        ; implicit-def: $vgpr4
.LBB457_847:
	s_mov_b64 s[10:11], 0
.LBB457_848:
	s_and_b64 vcc, exec, s[10:11]
	s_cbranch_vccz .LBB457_852
; %bb.849:
	s_cmp_eq_u32 s12, 29
	s_cbranch_scc0 .LBB457_851
; %bb.850:
	global_load_dwordx2 v[4:5], v[2:3], off
	s_mov_b64 s[4:5], 0
	s_mov_b64 s[8:9], -1
	s_branch .LBB457_852
.LBB457_851:
	s_mov_b64 s[4:5], -1
                                        ; implicit-def: $vgpr4
.LBB457_852:
	s_mov_b64 s[10:11], 0
.LBB457_853:
	s_and_b64 vcc, exec, s[10:11]
	s_cbranch_vccz .LBB457_869
; %bb.854:
	s_cmp_lt_i32 s12, 27
	s_cbranch_scc1 .LBB457_857
; %bb.855:
	s_cmp_gt_i32 s12, 27
	s_cbranch_scc0 .LBB457_858
; %bb.856:
	global_load_dword v4, v[2:3], off
	s_mov_b64 s[8:9], 0
	s_branch .LBB457_859
.LBB457_857:
	s_mov_b64 s[8:9], -1
                                        ; implicit-def: $vgpr4
	s_branch .LBB457_862
.LBB457_858:
	s_mov_b64 s[8:9], -1
                                        ; implicit-def: $vgpr4
.LBB457_859:
	s_andn2_b64 vcc, exec, s[8:9]
	s_cbranch_vccnz .LBB457_861
; %bb.860:
	global_load_ushort v4, v[2:3], off
.LBB457_861:
	s_mov_b64 s[8:9], 0
.LBB457_862:
	s_andn2_b64 vcc, exec, s[8:9]
	s_cbranch_vccnz .LBB457_868
; %bb.863:
	global_load_ubyte v1, v[2:3], off
	s_movk_i32 s8, 0x7f
	s_mov_b64 s[10:11], 0
	s_waitcnt vmcnt(0)
	v_cmp_lt_i16_e32 vcc, s8, v1
	s_and_saveexec_b64 s[8:9], vcc
	s_xor_b64 s[8:9], exec, s[8:9]
	s_cbranch_execz .LBB457_880
; %bb.864:
	s_movk_i32 s10, 0x80
	v_cmp_ne_u16_e32 vcc, s10, v1
	s_and_b64 s[10:11], vcc, exec
	s_andn2_saveexec_b64 s[8:9], s[8:9]
	s_cbranch_execnz .LBB457_881
.LBB457_865:
	s_or_b64 exec, exec, s[8:9]
	v_mov_b32_e32 v4, 0
	s_and_saveexec_b64 s[8:9], s[10:11]
	s_cbranch_execz .LBB457_867
.LBB457_866:
	v_lshlrev_b32_e32 v4, 24, v1
	v_and_b32_e32 v1, 0xffff, v1
	v_and_b32_e32 v5, 7, v1
	v_ffbh_u32_e32 v7, v5
	v_min_u32_e32 v7, 32, v7
	v_subrev_u32_e32 v8, 28, v7
	v_bfe_u32 v6, v1, 3, 4
	v_lshlrev_b32_e32 v1, v8, v1
	v_sub_u32_e32 v7, 29, v7
	v_and_b32_e32 v1, 7, v1
	v_cmp_eq_u32_e32 vcc, 0, v6
	v_and_b32_e32 v4, 0x80000000, v4
	s_nop 0
	v_cndmask_b32_e32 v6, v6, v7, vcc
	v_cndmask_b32_e32 v1, v5, v1, vcc
	v_mov_b32_e32 v5, 0x3b800000
	v_lshlrev_b32_e32 v1, 20, v1
	v_lshl_add_u32 v5, v6, 23, v5
	v_or3_b32 v1, v4, v5, v1
	v_cvt_i32_f32_e32 v4, v1
.LBB457_867:
	s_or_b64 exec, exec, s[8:9]
.LBB457_868:
	s_mov_b64 s[8:9], -1
.LBB457_869:
	s_mov_b64 s[10:11], 0
.LBB457_870:
	s_and_b64 vcc, exec, s[10:11]
	s_cbranch_vccz .LBB457_901
; %bb.871:
	s_cmp_gt_i32 s12, 22
	s_cbranch_scc0 .LBB457_879
; %bb.872:
	s_cmp_lt_i32 s12, 24
	s_cbranch_scc1 .LBB457_882
; %bb.873:
	s_cmp_gt_i32 s12, 24
	s_cbranch_scc0 .LBB457_883
; %bb.874:
	global_load_ubyte v1, v[2:3], off
	s_movk_i32 s6, 0x7f
	s_mov_b64 s[8:9], 0
	s_waitcnt vmcnt(0)
	v_cmp_lt_i16_e32 vcc, s6, v1
	s_and_saveexec_b64 s[6:7], vcc
	s_xor_b64 s[6:7], exec, s[6:7]
	s_cbranch_execz .LBB457_895
; %bb.875:
	s_movk_i32 s8, 0x80
	v_cmp_ne_u16_e32 vcc, s8, v1
	s_and_b64 s[8:9], vcc, exec
	s_andn2_saveexec_b64 s[6:7], s[6:7]
	s_cbranch_execnz .LBB457_896
.LBB457_876:
	s_or_b64 exec, exec, s[6:7]
	v_mov_b32_e32 v4, 0
	s_and_saveexec_b64 s[6:7], s[8:9]
	s_cbranch_execz .LBB457_878
.LBB457_877:
	v_lshlrev_b32_e32 v4, 24, v1
	v_and_b32_e32 v1, 0xffff, v1
	v_and_b32_e32 v5, 3, v1
	v_ffbh_u32_e32 v7, v5
	v_min_u32_e32 v7, 32, v7
	v_subrev_u32_e32 v8, 29, v7
	v_bfe_u32 v6, v1, 2, 5
	v_lshlrev_b32_e32 v1, v8, v1
	v_sub_u32_e32 v7, 30, v7
	v_and_b32_e32 v1, 3, v1
	v_cmp_eq_u32_e32 vcc, 0, v6
	v_and_b32_e32 v4, 0x80000000, v4
	s_nop 0
	v_cndmask_b32_e32 v6, v6, v7, vcc
	v_cndmask_b32_e32 v1, v5, v1, vcc
	v_mov_b32_e32 v5, 0x37800000
	v_lshlrev_b32_e32 v1, 21, v1
	v_lshl_add_u32 v5, v6, 23, v5
	v_or3_b32 v1, v4, v5, v1
	v_cvt_i32_f32_e32 v4, v1
.LBB457_878:
	s_or_b64 exec, exec, s[6:7]
	s_mov_b64 s[6:7], 0
	s_branch .LBB457_884
.LBB457_879:
	s_mov_b64 s[6:7], -1
                                        ; implicit-def: $vgpr4
	s_branch .LBB457_890
.LBB457_880:
	s_andn2_saveexec_b64 s[8:9], s[8:9]
	s_cbranch_execz .LBB457_865
.LBB457_881:
	v_cmp_ne_u16_e32 vcc, 0, v1
	s_andn2_b64 s[10:11], s[10:11], exec
	s_and_b64 s[14:15], vcc, exec
	s_or_b64 s[10:11], s[10:11], s[14:15]
	s_or_b64 exec, exec, s[8:9]
	v_mov_b32_e32 v4, 0
	s_and_saveexec_b64 s[8:9], s[10:11]
	s_cbranch_execnz .LBB457_866
	s_branch .LBB457_867
.LBB457_882:
	s_mov_b64 s[6:7], -1
                                        ; implicit-def: $vgpr4
	s_branch .LBB457_887
.LBB457_883:
	s_mov_b64 s[6:7], -1
                                        ; implicit-def: $vgpr4
.LBB457_884:
	s_and_b64 vcc, exec, s[6:7]
	s_cbranch_vccz .LBB457_886
; %bb.885:
	global_load_ubyte v1, v[2:3], off
	s_mov_b32 s6, 0x7f800000
	s_waitcnt vmcnt(0)
	v_lshlrev_b32_e32 v1, 24, v1
	v_and_b32_e32 v4, 0x7f000000, v1
	v_ffbh_u32_e32 v5, v4
	v_min_u32_e32 v5, 32, v5
	v_sub_u32_e64 v5, v5, 4 clamp
	v_lshlrev_b32_e32 v7, v5, v4
	v_lshlrev_b32_e32 v5, 23, v5
	v_lshrrev_b32_e32 v7, 4, v7
	v_add_u32_e32 v6, 0x1000000, v4
	v_sub_u32_e32 v5, v7, v5
	v_ashrrev_i32_e32 v6, 8, v6
	v_add_u32_e32 v5, 0x3c000000, v5
	v_and_or_b32 v5, v6, s6, v5
	v_cmp_ne_u32_e32 vcc, 0, v4
	s_brev_b32 s6, 1
	s_nop 0
	v_cndmask_b32_e32 v4, 0, v5, vcc
	v_and_or_b32 v1, v1, s6, v4
	v_cvt_i32_f32_e32 v4, v1
.LBB457_886:
	s_mov_b64 s[6:7], 0
.LBB457_887:
	s_andn2_b64 vcc, exec, s[6:7]
	s_cbranch_vccnz .LBB457_889
; %bb.888:
	global_load_ubyte v1, v[2:3], off
	s_movk_i32 s6, 0x7f00
	s_brev_b32 s7, 16
	s_waitcnt vmcnt(0)
	v_lshlrev_b16_e32 v4, 8, v1
	v_lshlrev_b32_e32 v1, 25, v1
	v_lshrrev_b32_e32 v5, 4, v1
	v_and_or_b32 v6, v4, s6, 0.5
	v_or_b32_e32 v5, 0x70000000, v5
	v_add_f32_e32 v6, -0.5, v6
	v_mul_f32_e32 v5, 0x7800000, v5
	v_cmp_gt_u32_e32 vcc, s7, v1
	v_bfe_i32 v4, v4, 0, 16
	s_brev_b32 s6, 1
	v_cndmask_b32_e32 v1, v5, v6, vcc
	v_and_or_b32 v1, v4, s6, v1
	v_cvt_i32_f32_e32 v4, v1
.LBB457_889:
	s_mov_b64 s[6:7], 0
	s_mov_b64 s[8:9], -1
.LBB457_890:
	s_andn2_b64 vcc, exec, s[6:7]
	s_mov_b64 s[6:7], 0
	s_cbranch_vccnz .LBB457_901
; %bb.891:
	s_cmp_gt_i32 s12, 14
	s_cbranch_scc0 .LBB457_894
; %bb.892:
	s_cmp_eq_u32 s12, 15
	s_cbranch_scc0 .LBB457_897
; %bb.893:
	global_load_ushort v1, v[2:3], off
	s_mov_b64 s[4:5], 0
	s_mov_b64 s[8:9], -1
	s_waitcnt vmcnt(0)
	v_lshlrev_b32_e32 v1, 16, v1
	v_cvt_i32_f32_e32 v4, v1
	s_branch .LBB457_898
.LBB457_894:
	s_mov_b64 s[10:11], -1
                                        ; implicit-def: $vgpr4
	s_branch .LBB457_899
.LBB457_895:
	s_andn2_saveexec_b64 s[6:7], s[6:7]
	s_cbranch_execz .LBB457_876
.LBB457_896:
	v_cmp_ne_u16_e32 vcc, 0, v1
	s_andn2_b64 s[8:9], s[8:9], exec
	s_and_b64 s[10:11], vcc, exec
	s_or_b64 s[8:9], s[8:9], s[10:11]
	s_or_b64 exec, exec, s[6:7]
	v_mov_b32_e32 v4, 0
	s_and_saveexec_b64 s[6:7], s[8:9]
	s_cbranch_execnz .LBB457_877
	s_branch .LBB457_878
.LBB457_897:
	s_mov_b64 s[4:5], -1
                                        ; implicit-def: $vgpr4
.LBB457_898:
	s_mov_b64 s[10:11], 0
.LBB457_899:
	s_and_b64 vcc, exec, s[10:11]
	s_cbranch_vccz .LBB457_901
; %bb.900:
	s_cmp_lg_u32 s12, 11
	s_cselect_b64 s[10:11], -1, 0
	s_andn2_b64 s[4:5], s[4:5], exec
	s_and_b64 s[10:11], s[10:11], exec
	s_mov_b64 s[6:7], -1
	s_or_b64 s[4:5], s[4:5], s[10:11]
.LBB457_901:
	s_mov_b64 s[10:11], 0
.LBB457_902:
	s_andn2_b64 s[12:13], s[2:3], exec
	s_and_b64 s[4:5], s[4:5], exec
	s_and_b64 s[8:9], s[8:9], exec
	;; [unrolled: 1-line block ×4, first 2 shown]
	s_or_b64 s[12:13], s[12:13], s[4:5]
.LBB457_903:
	s_or_b64 exec, exec, s[70:71]
	s_and_b64 s[4:5], s[6:7], exec
	s_andn2_b64 s[2:3], s[2:3], exec
	s_and_b64 s[6:7], s[12:13], exec
	s_and_b64 s[8:9], s[8:9], exec
	;; [unrolled: 1-line block ×3, first 2 shown]
	s_or_b64 s[2:3], s[2:3], s[6:7]
.LBB457_904:
	s_or_b64 exec, exec, s[66:67]
	s_andn2_b64 s[6:7], s[62:63], exec
	s_and_b64 s[12:13], s[68:69], exec
	s_or_b64 s[62:63], s[6:7], s[12:13]
	s_and_b64 s[6:7], s[10:11], exec
	s_andn2_b64 s[10:11], s[60:61], exec
	s_and_b64 s[2:3], s[2:3], exec
	s_and_b64 s[8:9], s[8:9], exec
	;; [unrolled: 1-line block ×3, first 2 shown]
	s_or_b64 s[60:61], s[10:11], s[2:3]
.LBB457_905:
	s_or_b64 exec, exec, s[64:65]
	s_andn2_b64 s[2:3], s[54:55], exec
	s_and_b64 s[10:11], s[62:63], exec
	s_or_b64 s[54:55], s[2:3], s[10:11]
	s_and_b64 s[2:3], s[8:9], exec
	s_and_b64 s[8:9], s[6:7], exec
	;; [unrolled: 1-line block ×3, first 2 shown]
	s_andn2_b64 s[4:5], s[56:57], exec
	s_and_b64 s[6:7], s[60:61], exec
	s_or_b64 s[56:57], s[4:5], s[6:7]
	s_or_b64 exec, exec, s[58:59]
	s_mov_b64 s[4:5], 0
	s_and_saveexec_b64 s[6:7], s[56:57]
	s_cbranch_execz .LBB457_272
.LBB457_906:
	s_mov_b64 s[4:5], exec
	s_andn2_b64 s[62:63], s[62:63], exec
	s_trap 2
	s_or_b64 exec, exec, s[6:7]
	s_and_saveexec_b64 s[6:7], s[62:63]
	s_xor_b64 s[6:7], exec, s[6:7]
	s_cbranch_execnz .LBB457_273
.LBB457_907:
	s_or_b64 exec, exec, s[6:7]
	s_and_saveexec_b64 s[6:7], s[8:9]
	s_cbranch_execz .LBB457_953
.LBB457_908:
	s_sext_i32_i16 s8, s75
	s_cmp_lt_i32 s8, 5
	s_cbranch_scc1 .LBB457_913
; %bb.909:
	s_cmp_lt_i32 s8, 8
	s_cbranch_scc1 .LBB457_914
; %bb.910:
	;; [unrolled: 3-line block ×3, first 2 shown]
	s_cmp_gt_i32 s8, 9
	s_cbranch_scc0 .LBB457_916
; %bb.912:
	global_load_dwordx2 v[4:5], v[2:3], off
	s_mov_b64 s[8:9], 0
	s_waitcnt vmcnt(0)
	v_cvt_i32_f64_e32 v4, v[4:5]
	s_branch .LBB457_917
.LBB457_913:
                                        ; implicit-def: $vgpr4
	s_branch .LBB457_934
.LBB457_914:
                                        ; implicit-def: $vgpr4
	s_branch .LBB457_923
.LBB457_915:
	s_mov_b64 s[8:9], -1
                                        ; implicit-def: $vgpr4
	s_branch .LBB457_920
.LBB457_916:
	s_mov_b64 s[8:9], -1
                                        ; implicit-def: $vgpr4
.LBB457_917:
	s_andn2_b64 vcc, exec, s[8:9]
	s_cbranch_vccnz .LBB457_919
; %bb.918:
	global_load_dword v1, v[2:3], off
	s_waitcnt vmcnt(0)
	v_cvt_i32_f32_e32 v4, v1
.LBB457_919:
	s_mov_b64 s[8:9], 0
.LBB457_920:
	s_andn2_b64 vcc, exec, s[8:9]
	s_cbranch_vccnz .LBB457_922
; %bb.921:
	global_load_dword v1, v[2:3], off
	s_waitcnt vmcnt(0)
	v_cvt_i16_f16_e32 v4, v1
.LBB457_922:
	s_cbranch_execnz .LBB457_933
.LBB457_923:
	s_sext_i32_i16 s8, s75
	s_cmp_lt_i32 s8, 6
	s_cbranch_scc1 .LBB457_926
; %bb.924:
	s_cmp_gt_i32 s8, 6
	s_cbranch_scc0 .LBB457_927
; %bb.925:
	global_load_dwordx2 v[4:5], v[2:3], off
	s_mov_b64 s[8:9], 0
	s_waitcnt vmcnt(0)
	v_cvt_i32_f64_e32 v4, v[4:5]
	s_branch .LBB457_928
.LBB457_926:
	s_mov_b64 s[8:9], -1
                                        ; implicit-def: $vgpr4
	s_branch .LBB457_931
.LBB457_927:
	s_mov_b64 s[8:9], -1
                                        ; implicit-def: $vgpr4
.LBB457_928:
	s_andn2_b64 vcc, exec, s[8:9]
	s_cbranch_vccnz .LBB457_930
; %bb.929:
	global_load_dword v1, v[2:3], off
	s_waitcnt vmcnt(0)
	v_cvt_i32_f32_e32 v4, v1
.LBB457_930:
	s_mov_b64 s[8:9], 0
.LBB457_931:
	s_andn2_b64 vcc, exec, s[8:9]
	s_cbranch_vccnz .LBB457_933
; %bb.932:
	global_load_ushort v1, v[2:3], off
	s_waitcnt vmcnt(0)
	v_cvt_i16_f16_e32 v4, v1
.LBB457_933:
	s_cbranch_execnz .LBB457_952
.LBB457_934:
	s_sext_i32_i16 s8, s75
	s_cmp_lt_i32 s8, 2
	s_cbranch_scc1 .LBB457_938
; %bb.935:
	s_cmp_lt_i32 s8, 3
	s_cbranch_scc1 .LBB457_939
; %bb.936:
	s_cmp_gt_i32 s8, 3
	s_cbranch_scc0 .LBB457_940
; %bb.937:
	global_load_dwordx2 v[4:5], v[2:3], off
	s_mov_b64 s[8:9], 0
	s_branch .LBB457_941
.LBB457_938:
                                        ; implicit-def: $vgpr4
	s_branch .LBB457_947
.LBB457_939:
	s_mov_b64 s[8:9], -1
                                        ; implicit-def: $vgpr4
	s_branch .LBB457_944
.LBB457_940:
	s_mov_b64 s[8:9], -1
                                        ; implicit-def: $vgpr4
.LBB457_941:
	s_andn2_b64 vcc, exec, s[8:9]
	s_cbranch_vccnz .LBB457_943
; %bb.942:
	global_load_dword v4, v[2:3], off
.LBB457_943:
	s_mov_b64 s[8:9], 0
.LBB457_944:
	s_andn2_b64 vcc, exec, s[8:9]
	s_cbranch_vccnz .LBB457_946
; %bb.945:
	global_load_ushort v4, v[2:3], off
.LBB457_946:
	s_cbranch_execnz .LBB457_952
.LBB457_947:
	s_sext_i32_i16 s8, s75
	s_cmp_gt_i32 s8, 0
	s_cbranch_scc0 .LBB457_949
; %bb.948:
	global_load_sbyte v4, v[2:3], off
	s_mov_b64 s[8:9], 0
	s_branch .LBB457_950
.LBB457_949:
	s_mov_b64 s[8:9], -1
                                        ; implicit-def: $vgpr4
.LBB457_950:
	s_andn2_b64 vcc, exec, s[8:9]
	s_cbranch_vccnz .LBB457_952
; %bb.951:
	global_load_ubyte v4, v[2:3], off
.LBB457_952:
	s_or_b64 s[2:3], s[2:3], exec
.LBB457_953:
	s_or_b64 exec, exec, s[6:7]
	s_mov_b64 s[10:11], 0
	s_mov_b64 s[8:9], 0
                                        ; implicit-def: $sgpr16
                                        ; implicit-def: $vgpr2_vgpr3
                                        ; implicit-def: $vgpr5
	s_and_saveexec_b64 s[6:7], s[2:3]
	s_cbranch_execz .LBB457_961
; %bb.954:
	v_mov_b32_e32 v1, 0
	s_and_b32 s16, s74, 0xff
	s_waitcnt vmcnt(0)
	v_min_i16_e32 v5, s73, v4
	s_cmp_lt_i32 s16, 11
	v_lshl_add_u64 v[2:3], s[20:21], 0, v[0:1]
	s_cbranch_scc1 .LBB457_964
; %bb.955:
	s_and_b32 s17, 0xffff, s16
	s_mov_b64 s[10:11], -1
	s_cmp_gt_i32 s17, 25
	s_mov_b64 s[2:3], s[54:55]
	s_cbranch_scc0 .LBB457_992
; %bb.956:
	s_mov_b64 s[8:9], -1
	s_cmp_gt_i32 s17, 28
	s_mov_b64 s[2:3], s[54:55]
	s_cbranch_scc0 .LBB457_976
; %bb.957:
	s_cmp_gt_i32 s17, 43
	s_mov_b64 s[2:3], s[54:55]
	s_cbranch_scc0 .LBB457_972
; %bb.958:
	;; [unrolled: 4-line block ×3, first 2 shown]
	s_cmp_eq_u32 s17, 46
	s_mov_b64 s[2:3], -1
	s_cbranch_scc0 .LBB457_965
; %bb.960:
	v_cvt_f32_i32_sdwa v0, sext(v5) dst_sel:DWORD dst_unused:UNUSED_PAD src0_sel:WORD_0
	s_movk_i32 s2, 0x7fff
	s_mov_b64 s[8:9], 0
	v_bfe_u32 v1, v0, 16, 1
	v_add3_u32 v0, v0, v1, s2
	v_lshrrev_b32_e32 v0, 16, v0
	global_store_dword v[2:3], v0, off
	s_mov_b64 s[2:3], 0
	s_branch .LBB457_966
.LBB457_961:
	s_or_b64 exec, exec, s[6:7]
	s_and_saveexec_b64 s[2:3], s[54:55]
	s_cbranch_execnz .LBB457_1034
.LBB457_962:
	s_or_b64 exec, exec, s[2:3]
	s_and_saveexec_b64 s[2:3], s[10:11]
	s_xor_b64 s[2:3], exec, s[2:3]
	s_cbranch_execz .LBB457_1035
.LBB457_963:
	s_waitcnt vmcnt(0)
	v_cmp_ne_u16_e32 vcc, 0, v5
	s_nop 1
	v_cndmask_b32_e64 v0, 0, 1, vcc
	global_store_byte v[2:3], v0, off
	s_or_b64 exec, exec, s[2:3]
	s_and_saveexec_b64 s[2:3], s[8:9]
	s_xor_b64 s[2:3], exec, s[2:3]
	s_cbranch_execz .LBB457_1073
	s_branch .LBB457_1036
.LBB457_964:
	s_mov_b64 s[8:9], -1
	s_mov_b64 s[2:3], s[54:55]
	s_branch .LBB457_1033
.LBB457_965:
	s_mov_b64 s[8:9], 0
.LBB457_966:
	s_and_b64 vcc, exec, s[8:9]
	s_cbranch_vccz .LBB457_971
; %bb.967:
	s_cmp_eq_u32 s17, 44
	s_mov_b64 s[2:3], -1
	s_cbranch_scc0 .LBB457_971
; %bb.968:
	v_cvt_f32_i32_sdwa v0, sext(v5) dst_sel:DWORD dst_unused:UNUSED_PAD src0_sel:WORD_0
	s_movk_i32 s2, 0xff
	v_mov_b32_e32 v4, 0xff
	v_bfe_u32 v1, v0, 23, 8
	v_cmp_ne_u32_e32 vcc, s2, v1
	s_and_saveexec_b64 s[8:9], vcc
; %bb.969:
	s_mov_b32 s2, 0x3fffff
	v_lshrrev_b32_e32 v4, 23, v0
	v_and_b32_e32 v6, 0x400000, v0
	v_and_or_b32 v0, v0, s2, v1
	v_cmp_ne_u32_e32 vcc, 0, v6
	v_cmp_ne_u32_e64 s[2:3], 0, v0
	s_and_b64 s[2:3], vcc, s[2:3]
	s_nop 0
	v_cndmask_b32_e64 v0, 0, 1, s[2:3]
	v_add_u32_e32 v4, v4, v0
; %bb.970:
	s_or_b64 exec, exec, s[8:9]
	s_mov_b64 s[2:3], 0
	global_store_byte v[2:3], v4, off
.LBB457_971:
	s_mov_b64 s[8:9], 0
.LBB457_972:
	s_and_b64 vcc, exec, s[8:9]
	s_cbranch_vccz .LBB457_975
; %bb.973:
	s_cmp_eq_u32 s17, 29
	s_mov_b64 s[2:3], -1
	s_cbranch_scc0 .LBB457_975
; %bb.974:
	v_bfe_i32 v0, v5, 0, 16
	v_ashrrev_i32_e32 v1, 31, v0
	global_store_dwordx2 v[2:3], v[0:1], off
	s_mov_b64 s[2:3], 0
.LBB457_975:
	s_mov_b64 s[8:9], 0
.LBB457_976:
	s_and_b64 vcc, exec, s[8:9]
	s_cbranch_vccz .LBB457_991
; %bb.977:
	s_cmp_lt_i32 s17, 27
	s_mov_b64 s[8:9], -1
	s_cbranch_scc1 .LBB457_983
; %bb.978:
	s_cmp_gt_i32 s17, 27
	s_cbranch_scc0 .LBB457_980
; %bb.979:
	v_bfe_i32 v0, v5, 0, 16
	s_mov_b64 s[8:9], 0
	global_store_dword v[2:3], v0, off
.LBB457_980:
	s_andn2_b64 vcc, exec, s[8:9]
	s_cbranch_vccnz .LBB457_982
; %bb.981:
	global_store_short v[2:3], v5, off
.LBB457_982:
	s_mov_b64 s[8:9], 0
.LBB457_983:
	s_andn2_b64 vcc, exec, s[8:9]
	s_cbranch_vccnz .LBB457_991
; %bb.984:
	v_cvt_f32_i32_sdwa v0, sext(v5) dst_sel:DWORD dst_unused:UNUSED_PAD src0_sel:WORD_0
	s_mov_b32 s8, 0x43800000
	v_mov_b32_e32 v4, 0x80
	v_and_b32_e32 v1, 0x7fffffff, v0
	v_cmp_gt_u32_e32 vcc, s8, v1
	s_and_saveexec_b64 s[8:9], vcc
	s_cbranch_execz .LBB457_990
; %bb.985:
	s_mov_b32 s10, 0x3bffffff
	v_cmp_lt_u32_e32 vcc, s10, v1
	s_mov_b64 s[10:11], 0
                                        ; implicit-def: $vgpr1
	s_and_saveexec_b64 s[12:13], vcc
	s_xor_b64 s[12:13], exec, s[12:13]
	s_cbranch_execz .LBB457_1144
; %bb.986:
	v_bfe_u32 v1, v0, 20, 1
	s_mov_b32 s14, 0x487ffff
	v_add3_u32 v1, v0, v1, s14
	s_mov_b64 s[10:11], exec
	v_lshrrev_b32_e32 v1, 20, v1
	s_andn2_saveexec_b64 s[12:13], s[12:13]
	s_cbranch_execnz .LBB457_1145
.LBB457_987:
	s_or_b64 exec, exec, s[12:13]
	v_mov_b32_e32 v4, 0
	s_and_saveexec_b64 s[12:13], s[10:11]
.LBB457_988:
	v_lshrrev_b32_e32 v0, 24, v0
	s_movk_i32 s10, 0x80
	v_and_or_b32 v4, v0, s10, v1
.LBB457_989:
	s_or_b64 exec, exec, s[12:13]
.LBB457_990:
	s_or_b64 exec, exec, s[8:9]
	global_store_byte v[2:3], v4, off
.LBB457_991:
	s_mov_b64 s[10:11], 0
.LBB457_992:
	s_mov_b64 s[8:9], 0
	s_and_b64 vcc, exec, s[10:11]
	s_cbranch_vccz .LBB457_1032
; %bb.993:
	s_cmp_gt_i32 s17, 22
	s_mov_b64 s[10:11], -1
	s_cbranch_scc0 .LBB457_1025
; %bb.994:
	s_cmp_lt_i32 s17, 24
	s_cbranch_scc1 .LBB457_1014
; %bb.995:
	s_cmp_gt_i32 s17, 24
	s_cbranch_scc0 .LBB457_1003
; %bb.996:
	v_cvt_f32_i32_sdwa v0, sext(v5) dst_sel:DWORD dst_unused:UNUSED_PAD src0_sel:WORD_0
	s_mov_b32 s10, 0x47800000
	v_mov_b32_e32 v4, 0x80
	v_and_b32_e32 v1, 0x7fffffff, v0
	v_cmp_gt_u32_e32 vcc, s10, v1
	s_and_saveexec_b64 s[10:11], vcc
	s_cbranch_execz .LBB457_1002
; %bb.997:
	s_mov_b32 s12, 0x37ffffff
	v_cmp_lt_u32_e32 vcc, s12, v1
	s_mov_b64 s[12:13], 0
                                        ; implicit-def: $vgpr1
	s_and_saveexec_b64 s[14:15], vcc
	s_xor_b64 s[14:15], exec, s[14:15]
	s_cbranch_execz .LBB457_1264
; %bb.998:
	v_bfe_u32 v1, v0, 21, 1
	s_mov_b32 s18, 0x88fffff
	v_add3_u32 v1, v0, v1, s18
	s_mov_b64 s[12:13], exec
	v_lshrrev_b32_e32 v1, 21, v1
	s_andn2_saveexec_b64 s[14:15], s[14:15]
	s_cbranch_execnz .LBB457_1265
.LBB457_999:
	s_or_b64 exec, exec, s[14:15]
	v_mov_b32_e32 v4, 0
	s_and_saveexec_b64 s[14:15], s[12:13]
.LBB457_1000:
	v_lshrrev_b32_e32 v0, 24, v0
	s_movk_i32 s12, 0x80
	v_and_or_b32 v4, v0, s12, v1
.LBB457_1001:
	s_or_b64 exec, exec, s[14:15]
.LBB457_1002:
	s_or_b64 exec, exec, s[10:11]
	s_mov_b64 s[10:11], 0
	global_store_byte v[2:3], v4, off
.LBB457_1003:
	s_and_b64 vcc, exec, s[10:11]
	s_cbranch_vccz .LBB457_1013
; %bb.1004:
	v_cvt_f32_i32_sdwa v0, sext(v5) dst_sel:DWORD dst_unused:UNUSED_PAD src0_sel:WORD_0
	s_mov_b32 s10, 0x43f00000
                                        ; implicit-def: $vgpr1
	v_and_b32_e32 v4, 0x7fffffff, v0
	v_cmp_gt_u32_e32 vcc, s10, v4
	s_and_saveexec_b64 s[10:11], vcc
	s_xor_b64 s[10:11], exec, s[10:11]
	s_cbranch_execz .LBB457_1010
; %bb.1005:
	s_mov_b32 s12, 0x3c7fffff
	v_cmp_lt_u32_e32 vcc, s12, v4
                                        ; implicit-def: $vgpr1
	s_and_saveexec_b64 s[12:13], vcc
	s_xor_b64 s[12:13], exec, s[12:13]
; %bb.1006:
	v_bfe_u32 v1, v0, 20, 1
	s_mov_b32 s14, 0x407ffff
	v_add3_u32 v1, v0, v1, s14
	v_lshrrev_b32_e32 v4, 20, v1
	v_and_b32_e32 v1, 0xff00000, v1
	s_mov_b32 s14, 0x7f00000
	v_mov_b32_e32 v6, 0x7e
	v_cmp_ne_u32_e32 vcc, s14, v1
	s_nop 1
	v_cndmask_b32_e32 v1, v6, v4, vcc
; %bb.1007:
	s_andn2_saveexec_b64 s[12:13], s[12:13]
; %bb.1008:
	s_mov_b32 s14, 0x46800000
	v_add_f32_e64 v1, |v0|, s14
; %bb.1009:
	s_or_b64 exec, exec, s[12:13]
                                        ; implicit-def: $vgpr4
.LBB457_1010:
	s_andn2_saveexec_b64 s[10:11], s[10:11]
; %bb.1011:
	s_mov_b32 s12, 0x7f800000
	v_mov_b32_e32 v1, 0x7e
	v_mov_b32_e32 v6, 0x7f
	v_cmp_lt_u32_e32 vcc, s12, v4
	s_nop 1
	v_cndmask_b32_e32 v1, v1, v6, vcc
; %bb.1012:
	s_or_b64 exec, exec, s[10:11]
	v_lshrrev_b32_e32 v0, 24, v0
	s_movk_i32 s10, 0x80
	v_and_or_b32 v0, v0, s10, v1
	global_store_byte v[2:3], v0, off
.LBB457_1013:
	s_mov_b64 s[10:11], 0
.LBB457_1014:
	s_andn2_b64 vcc, exec, s[10:11]
	s_cbranch_vccnz .LBB457_1024
; %bb.1015:
	v_cvt_f32_i32_sdwa v0, sext(v5) dst_sel:DWORD dst_unused:UNUSED_PAD src0_sel:WORD_0
	s_mov_b32 s10, 0x47800000
                                        ; implicit-def: $vgpr1
	v_and_b32_e32 v4, 0x7fffffff, v0
	v_cmp_gt_u32_e32 vcc, s10, v4
	s_and_saveexec_b64 s[10:11], vcc
	s_xor_b64 s[10:11], exec, s[10:11]
	s_cbranch_execz .LBB457_1021
; %bb.1016:
	s_mov_b32 s12, 0x387fffff
	v_cmp_lt_u32_e32 vcc, s12, v4
                                        ; implicit-def: $vgpr1
	s_and_saveexec_b64 s[12:13], vcc
	s_xor_b64 s[12:13], exec, s[12:13]
; %bb.1017:
	v_bfe_u32 v1, v0, 21, 1
	s_mov_b32 s14, 0x80fffff
	v_add3_u32 v1, v0, v1, s14
	v_lshrrev_b32_e32 v1, 21, v1
; %bb.1018:
	s_andn2_saveexec_b64 s[12:13], s[12:13]
; %bb.1019:
	s_mov_b32 s14, 0x43000000
	v_add_f32_e64 v1, |v0|, s14
; %bb.1020:
	s_or_b64 exec, exec, s[12:13]
                                        ; implicit-def: $vgpr4
.LBB457_1021:
	s_andn2_saveexec_b64 s[10:11], s[10:11]
; %bb.1022:
	s_mov_b32 s12, 0x7f800000
	v_mov_b32_e32 v1, 0x7c
	v_mov_b32_e32 v6, 0x7f
	v_cmp_lt_u32_e32 vcc, s12, v4
	s_nop 1
	v_cndmask_b32_e32 v1, v1, v6, vcc
; %bb.1023:
	s_or_b64 exec, exec, s[10:11]
	v_lshrrev_b32_e32 v0, 24, v0
	s_movk_i32 s10, 0x80
	v_and_or_b32 v0, v0, s10, v1
	global_store_byte v[2:3], v0, off
.LBB457_1024:
	s_mov_b64 s[10:11], 0
.LBB457_1025:
	s_andn2_b64 vcc, exec, s[10:11]
	s_mov_b64 s[10:11], 0
	s_cbranch_vccnz .LBB457_1033
; %bb.1026:
	s_cmp_gt_i32 s17, 14
	s_mov_b64 s[12:13], -1
	s_cbranch_scc0 .LBB457_1030
; %bb.1027:
	s_cmp_eq_u32 s17, 15
	s_mov_b64 s[2:3], -1
	s_cbranch_scc0 .LBB457_1029
; %bb.1028:
	v_cvt_f32_i32_sdwa v0, sext(v5) dst_sel:DWORD dst_unused:UNUSED_PAD src0_sel:WORD_0
	s_movk_i32 s2, 0x7fff
	v_bfe_u32 v1, v0, 16, 1
	v_add3_u32 v0, v0, v1, s2
	global_store_short_d16_hi v[2:3], v0, off
	s_mov_b64 s[2:3], 0
.LBB457_1029:
	s_mov_b64 s[12:13], 0
.LBB457_1030:
	s_and_b64 vcc, exec, s[12:13]
	s_cbranch_vccz .LBB457_1033
; %bb.1031:
	s_cmp_lg_u32 s17, 11
	s_cselect_b64 s[12:13], -1, 0
	s_andn2_b64 s[2:3], s[2:3], exec
	s_and_b64 s[12:13], s[12:13], exec
	s_mov_b64 s[10:11], -1
	s_or_b64 s[2:3], s[2:3], s[12:13]
	s_branch .LBB457_1033
.LBB457_1032:
	s_mov_b64 s[10:11], 0
.LBB457_1033:
	s_andn2_b64 s[12:13], s[54:55], exec
	s_and_b64 s[2:3], s[2:3], exec
	s_and_b64 s[8:9], s[8:9], exec
	;; [unrolled: 1-line block ×3, first 2 shown]
	s_or_b64 s[54:55], s[12:13], s[2:3]
	s_or_b64 exec, exec, s[6:7]
	s_and_saveexec_b64 s[2:3], s[54:55]
	s_cbranch_execz .LBB457_962
.LBB457_1034:
	s_or_b64 s[4:5], s[4:5], exec
	s_andn2_b64 s[10:11], s[10:11], exec
	s_trap 2
	s_or_b64 exec, exec, s[2:3]
	s_and_saveexec_b64 s[2:3], s[10:11]
	s_xor_b64 s[2:3], exec, s[2:3]
	s_cbranch_execnz .LBB457_963
.LBB457_1035:
	s_or_b64 exec, exec, s[2:3]
	s_and_saveexec_b64 s[2:3], s[8:9]
	s_xor_b64 s[2:3], exec, s[2:3]
	s_cbranch_execz .LBB457_1073
.LBB457_1036:
	s_sext_i32_i16 s8, s16
	s_cmp_lt_i32 s8, 5
	s_mov_b64 s[6:7], -1
	s_cbranch_scc1 .LBB457_1057
; %bb.1037:
	s_cmp_lt_i32 s8, 8
	s_cbranch_scc1 .LBB457_1047
; %bb.1038:
	s_cmp_lt_i32 s8, 9
	s_cbranch_scc1 .LBB457_1044
; %bb.1039:
	s_cmp_gt_i32 s8, 9
	s_cbranch_scc0 .LBB457_1041
; %bb.1040:
	s_waitcnt vmcnt(0)
	v_bfe_i32 v0, v5, 0, 16
	v_mov_b32_e32 v8, 0
	v_cvt_f64_i32_e32 v[6:7], v0
	v_mov_b32_e32 v9, v8
	s_mov_b64 s[6:7], 0
	global_store_dwordx4 v[2:3], v[6:9], off
.LBB457_1041:
	s_andn2_b64 vcc, exec, s[6:7]
	s_cbranch_vccnz .LBB457_1043
; %bb.1042:
	s_waitcnt vmcnt(0)
	v_cvt_f32_i32_sdwa v0, sext(v5) dst_sel:DWORD dst_unused:UNUSED_PAD src0_sel:WORD_0
	v_mov_b32_e32 v1, 0
	global_store_dwordx2 v[2:3], v[0:1], off
.LBB457_1043:
	s_mov_b64 s[6:7], 0
.LBB457_1044:
	s_andn2_b64 vcc, exec, s[6:7]
	s_cbranch_vccnz .LBB457_1046
; %bb.1045:
	s_waitcnt vmcnt(0)
	v_cvt_f16_i16_e32 v0, v5
	global_store_dword v[2:3], v0, off
.LBB457_1046:
	s_mov_b64 s[6:7], 0
.LBB457_1047:
	s_andn2_b64 vcc, exec, s[6:7]
	s_cbranch_vccnz .LBB457_1056
; %bb.1048:
	s_sext_i32_i16 s8, s16
	s_cmp_lt_i32 s8, 6
	s_mov_b64 s[6:7], -1
	s_cbranch_scc1 .LBB457_1054
; %bb.1049:
	s_cmp_gt_i32 s8, 6
	s_cbranch_scc0 .LBB457_1051
; %bb.1050:
	s_waitcnt vmcnt(0)
	v_bfe_i32 v0, v5, 0, 16
	v_cvt_f64_i32_e32 v[0:1], v0
	s_mov_b64 s[6:7], 0
	global_store_dwordx2 v[2:3], v[0:1], off
.LBB457_1051:
	s_andn2_b64 vcc, exec, s[6:7]
	s_cbranch_vccnz .LBB457_1053
; %bb.1052:
	s_waitcnt vmcnt(0)
	v_cvt_f32_i32_sdwa v0, sext(v5) dst_sel:DWORD dst_unused:UNUSED_PAD src0_sel:WORD_0
	global_store_dword v[2:3], v0, off
.LBB457_1053:
	s_mov_b64 s[6:7], 0
.LBB457_1054:
	s_andn2_b64 vcc, exec, s[6:7]
	s_cbranch_vccnz .LBB457_1056
; %bb.1055:
	s_waitcnt vmcnt(0)
	v_cvt_f16_i16_e32 v0, v5
	global_store_short v[2:3], v0, off
.LBB457_1056:
	s_mov_b64 s[6:7], 0
.LBB457_1057:
	s_andn2_b64 vcc, exec, s[6:7]
	s_cbranch_vccnz .LBB457_1073
; %bb.1058:
	s_sext_i32_i16 s8, s16
	s_cmp_lt_i32 s8, 2
	s_mov_b64 s[6:7], -1
	s_cbranch_scc1 .LBB457_1068
; %bb.1059:
	s_cmp_lt_i32 s8, 3
	s_cbranch_scc1 .LBB457_1065
; %bb.1060:
	s_cmp_gt_i32 s8, 3
	s_cbranch_scc0 .LBB457_1062
; %bb.1061:
	s_waitcnt vmcnt(0)
	v_bfe_i32 v0, v5, 0, 16
	v_ashrrev_i32_e32 v1, 31, v0
	s_mov_b64 s[6:7], 0
	global_store_dwordx2 v[2:3], v[0:1], off
.LBB457_1062:
	s_andn2_b64 vcc, exec, s[6:7]
	s_cbranch_vccnz .LBB457_1064
; %bb.1063:
	s_waitcnt vmcnt(0)
	v_bfe_i32 v0, v5, 0, 16
	global_store_dword v[2:3], v0, off
.LBB457_1064:
	s_mov_b64 s[6:7], 0
.LBB457_1065:
	s_andn2_b64 vcc, exec, s[6:7]
	s_cbranch_vccnz .LBB457_1067
; %bb.1066:
	s_waitcnt vmcnt(0)
	global_store_short v[2:3], v5, off
.LBB457_1067:
	s_mov_b64 s[6:7], 0
.LBB457_1068:
	s_andn2_b64 vcc, exec, s[6:7]
	s_cbranch_vccnz .LBB457_1073
; %bb.1069:
	s_sext_i32_i16 s6, s16
	s_cmp_gt_i32 s6, 0
	s_mov_b64 s[6:7], -1
	s_cbranch_scc0 .LBB457_1071
; %bb.1070:
	s_mov_b64 s[6:7], 0
	s_waitcnt vmcnt(0)
	global_store_byte v[2:3], v5, off
.LBB457_1071:
	s_andn2_b64 vcc, exec, s[6:7]
	s_cbranch_vccnz .LBB457_1073
; %bb.1072:
	s_waitcnt vmcnt(0)
	global_store_byte v[2:3], v5, off
.LBB457_1073:
	s_or_b64 exec, exec, s[2:3]
	s_and_b64 s[24:25], s[4:5], exec
                                        ; implicit-def: $vgpr16
                                        ; implicit-def: $vgpr8
.LBB457_1074:
	s_or_saveexec_b64 s[26:27], s[44:45]
	s_mov_b64 s[6:7], 0
                                        ; implicit-def: $vgpr0_vgpr1
                                        ; implicit-def: $sgpr14
                                        ; implicit-def: $vgpr2
	s_xor_b64 exec, exec, s[26:27]
	s_cbranch_execz .LBB457_2061
; %bb.1075:
	v_cndmask_b32_e64 v0, 0, 1, s[42:43]
	v_cmp_ne_u32_e64 s[2:3], 1, v0
	s_andn2_b64 vcc, exec, s[42:43]
	s_cbranch_vccnz .LBB457_1081
; %bb.1076:
	s_cmp_lg_u32 s33, 0
	s_mov_b32 s36, 0
	s_cbranch_scc0 .LBB457_1082
; %bb.1077:
	s_min_u32 s37, s72, 15
	s_add_i32 s37, s37, 1
	s_cmp_eq_u32 s72, 2
	s_cbranch_scc1 .LBB457_1083
; %bb.1078:
	s_and_b32 s36, s37, 28
	s_add_u32 s28, s34, 0xc4
	s_addc_u32 s29, s35, 0
	s_mov_b32 s38, 0
	v_mov_b32_e32 v6, 0
	v_mov_b32_e32 v14, 0
	s_mov_b64 s[30:31], s[34:35]
	v_mov_b32_e32 v0, v8
.LBB457_1079:                           ; =>This Inner Loop Header: Depth=1
	s_load_dwordx8 s[12:19], s[30:31], 0x4
	s_load_dwordx4 s[20:23], s[30:31], 0x24
	s_load_dwordx8 s[4:11], s[28:29], 0x0
	s_add_u32 s30, s30, 48
	s_addc_u32 s31, s31, 0
	s_waitcnt lgkmcnt(0)
	v_mul_hi_u32 v1, s13, v0
	v_add_u32_e32 v1, v0, v1
	v_lshrrev_b32_e32 v1, s14, v1
	v_mul_lo_u32 v2, v1, s12
	v_mul_hi_u32 v3, s16, v1
	v_sub_u32_e32 v0, v0, v2
	v_add_u32_e32 v2, v1, v3
	v_lshrrev_b32_e32 v2, s17, v2
	s_waitcnt vmcnt(0)
	v_mul_lo_u32 v4, v2, s15
	v_mul_hi_u32 v5, s19, v2
	v_sub_u32_e32 v1, v1, v4
	v_add_u32_e32 v4, v2, v5
	v_mul_lo_u32 v3, v0, s5
	v_mul_lo_u32 v0, v0, s4
	;; [unrolled: 1-line block ×4, first 2 shown]
	v_lshrrev_b32_e32 v4, s20, v4
	v_add3_u32 v1, v0, v6, v1
	v_add3_u32 v3, v3, v14, v5
	v_mul_lo_u32 v0, v4, s18
	v_mul_hi_u32 v5, s22, v4
	v_sub_u32_e32 v0, v2, v0
	v_add_u32_e32 v2, v4, v5
	v_mul_lo_u32 v5, v0, s8
	v_mul_lo_u32 v6, v0, s9
	v_lshrrev_b32_e32 v0, s23, v2
	s_add_i32 s38, s38, 4
	v_mul_lo_u32 v2, v0, s21
	s_add_u32 s28, s28, 32
	v_sub_u32_e32 v2, v4, v2
	s_addc_u32 s29, s29, 0
	v_mul_lo_u32 v4, v2, s10
	v_mul_lo_u32 v2, v2, s11
	s_cmp_lg_u32 s36, s38
	v_add3_u32 v14, v6, v3, v2
	v_add3_u32 v6, v5, v1, v4
	s_cbranch_scc1 .LBB457_1079
; %bb.1080:
	v_mov_b32_e32 v1, v14
	s_and_b32 s8, s37, 3
	s_cmp_eq_u32 s8, 0
	s_cbranch_scc0 .LBB457_1084
	s_branch .LBB457_1086
.LBB457_1081:
                                        ; implicit-def: $vgpr14
                                        ; implicit-def: $vgpr6
	s_branch .LBB457_1087
.LBB457_1082:
	v_mov_b32_e32 v14, 0
	v_mov_b32_e32 v6, 0
	s_branch .LBB457_1086
.LBB457_1083:
	v_mov_b32_e32 v6, 0
                                        ; implicit-def: $vgpr14
	v_mov_b32_e32 v1, v6
	v_mov_b32_e32 v0, v8
	s_and_b32 s8, s37, 3
	s_cmp_eq_u32 s8, 0
	s_cbranch_scc1 .LBB457_1086
.LBB457_1084:
	s_lshl_b32 s4, s36, 3
	s_add_u32 s4, s34, s4
	s_addc_u32 s5, s35, 0
	s_add_u32 s4, s4, 0xc4
	s_addc_u32 s5, s5, 0
	s_mul_i32 s6, s36, 12
	s_add_u32 s6, s34, s6
	s_addc_u32 s7, s35, 0
.LBB457_1085:                           ; =>This Inner Loop Header: Depth=1
	s_load_dwordx2 s[10:11], s[6:7], 0x4
	s_load_dword s9, s[6:7], 0xc
	s_load_dwordx2 s[12:13], s[4:5], 0x0
	v_mov_b32_e32 v2, v1
	s_add_u32 s6, s6, 12
	s_waitcnt lgkmcnt(0)
	v_mul_hi_u32 v1, s11, v0
	v_add_u32_e32 v1, v0, v1
	v_lshrrev_b32_e32 v1, s9, v1
	s_addc_u32 s7, s7, 0
	v_mul_lo_u32 v3, v1, s10
	s_add_u32 s4, s4, 8
	v_sub_u32_e32 v3, v0, v3
	s_addc_u32 s5, s5, 0
	s_add_i32 s8, s8, -1
	v_mad_u64_u32 v[14:15], s[10:11], v3, s13, v[2:3]
	s_cmp_lg_u32 s8, 0
	v_mov_b32_e32 v0, v1
	v_mad_u64_u32 v[6:7], s[10:11], v3, s12, v[6:7]
	v_mov_b32_e32 v1, v14
	s_cbranch_scc1 .LBB457_1085
.LBB457_1086:
	s_cbranch_execnz .LBB457_1089
.LBB457_1087:
	s_load_dwordx4 s[4:7], s[34:35], 0x4
	s_load_dwordx2 s[8:9], s[34:35], 0xc4
	s_cmp_lt_u32 s33, 2
	s_waitcnt lgkmcnt(0)
	v_mul_hi_u32 v0, s5, v8
	v_add_u32_e32 v0, v8, v0
	v_lshrrev_b32_e32 v0, s6, v0
	v_mul_lo_u32 v1, v0, s4
	v_sub_u32_e32 v1, v8, v1
	v_mul_lo_u32 v14, v1, s9
	v_mul_lo_u32 v6, v1, s8
	s_cbranch_scc1 .LBB457_1089
; %bb.1088:
	s_load_dwordx4 s[4:7], s[34:35], 0x10
	s_load_dwordx2 s[8:9], s[34:35], 0xcc
	s_waitcnt lgkmcnt(0)
	v_mul_hi_u32 v1, s5, v0
	v_add_u32_e32 v1, v0, v1
	v_lshrrev_b32_e32 v1, s6, v1
	v_mul_lo_u32 v1, v1, s4
	v_sub_u32_e32 v0, v0, v1
	v_mad_u64_u32 v[6:7], s[4:5], v0, s8, v[6:7]
	v_mad_u64_u32 v[14:15], s[4:5], v0, s9, v[14:15]
.LBB457_1089:
	s_and_b64 vcc, exec, s[2:3]
	v_add_u32_e32 v0, 0x80, v8
	s_cbranch_vccnz .LBB457_1095
; %bb.1090:
	s_cmp_lg_u32 s33, 0
	s_mov_b32 s36, 0
	s_cbranch_scc0 .LBB457_1096
; %bb.1091:
	s_min_u32 s37, s72, 15
	s_add_i32 s37, s37, 1
	s_cmp_eq_u32 s72, 2
	s_cbranch_scc1 .LBB457_1097
; %bb.1092:
	s_and_b32 s36, s37, 28
	s_add_u32 s28, s34, 0xc4
	s_addc_u32 s29, s35, 0
	s_mov_b32 s38, 0
	s_waitcnt vmcnt(0)
	v_mov_b32_e32 v4, 0
	v_mov_b32_e32 v12, 0
	s_mov_b64 s[30:31], s[34:35]
	v_mov_b32_e32 v2, v0
.LBB457_1093:                           ; =>This Inner Loop Header: Depth=1
	s_load_dwordx8 s[12:19], s[30:31], 0x4
	s_load_dwordx4 s[20:23], s[30:31], 0x24
	s_load_dwordx8 s[4:11], s[28:29], 0x0
	s_add_u32 s30, s30, 48
	s_addc_u32 s31, s31, 0
	s_waitcnt lgkmcnt(0)
	v_mul_hi_u32 v1, s13, v2
	v_add_u32_e32 v1, v2, v1
	v_lshrrev_b32_e32 v1, s14, v1
	v_mul_lo_u32 v3, v1, s12
	v_mul_hi_u32 v5, s16, v1
	v_sub_u32_e32 v2, v2, v3
	v_add_u32_e32 v3, v1, v5
	v_lshrrev_b32_e32 v3, s17, v3
	v_mul_lo_u32 v7, v3, s15
	v_mul_hi_u32 v9, s19, v3
	v_sub_u32_e32 v1, v1, v7
	v_add_u32_e32 v7, v3, v9
	v_mul_lo_u32 v5, v2, s5
	v_mul_lo_u32 v2, v2, s4
	;; [unrolled: 1-line block ×4, first 2 shown]
	v_lshrrev_b32_e32 v7, s20, v7
	v_add3_u32 v1, v2, v4, v1
	v_add3_u32 v4, v5, v12, v9
	v_mul_lo_u32 v2, v7, s18
	v_mul_hi_u32 v5, s22, v7
	v_sub_u32_e32 v2, v3, v2
	v_add_u32_e32 v3, v7, v5
	v_mul_lo_u32 v5, v2, s8
	v_mul_lo_u32 v9, v2, s9
	v_lshrrev_b32_e32 v2, s23, v3
	s_add_i32 s38, s38, 4
	v_mul_lo_u32 v3, v2, s21
	s_add_u32 s28, s28, 32
	v_sub_u32_e32 v3, v7, v3
	s_addc_u32 s29, s29, 0
	v_mul_lo_u32 v7, v3, s10
	v_mul_lo_u32 v3, v3, s11
	s_cmp_lg_u32 s36, s38
	v_add3_u32 v12, v9, v4, v3
	v_add3_u32 v4, v5, v1, v7
	s_cbranch_scc1 .LBB457_1093
; %bb.1094:
	v_mov_b32_e32 v1, v12
	s_and_b32 s8, s37, 3
	s_cmp_eq_u32 s8, 0
	s_cbranch_scc0 .LBB457_1098
	s_branch .LBB457_1100
.LBB457_1095:
                                        ; implicit-def: $vgpr12
                                        ; implicit-def: $vgpr4
	s_branch .LBB457_1101
.LBB457_1096:
	v_mov_b32_e32 v12, 0
	s_waitcnt vmcnt(0)
	v_mov_b32_e32 v4, 0
	s_branch .LBB457_1100
.LBB457_1097:
	s_waitcnt vmcnt(0)
	v_mov_b32_e32 v4, 0
                                        ; implicit-def: $vgpr12
	v_mov_b32_e32 v1, v4
	v_mov_b32_e32 v2, v0
	s_and_b32 s8, s37, 3
	s_cmp_eq_u32 s8, 0
	s_cbranch_scc1 .LBB457_1100
.LBB457_1098:
	s_lshl_b32 s4, s36, 3
	s_add_u32 s4, s34, s4
	s_addc_u32 s5, s35, 0
	s_add_u32 s4, s4, 0xc4
	s_addc_u32 s5, s5, 0
	s_mul_i32 s6, s36, 12
	s_add_u32 s6, s34, s6
	s_addc_u32 s7, s35, 0
.LBB457_1099:                           ; =>This Inner Loop Header: Depth=1
	s_load_dwordx2 s[10:11], s[6:7], 0x4
	s_load_dword s9, s[6:7], 0xc
	s_load_dwordx2 s[12:13], s[4:5], 0x0
	v_mov_b32_e32 v10, v1
	s_add_u32 s6, s6, 12
	s_waitcnt lgkmcnt(0)
	v_mul_hi_u32 v1, s11, v2
	v_add_u32_e32 v1, v2, v1
	v_lshrrev_b32_e32 v1, s9, v1
	s_addc_u32 s7, s7, 0
	v_mul_lo_u32 v3, v1, s10
	s_add_u32 s4, s4, 8
	v_sub_u32_e32 v3, v2, v3
	s_addc_u32 s5, s5, 0
	s_add_i32 s8, s8, -1
	v_mad_u64_u32 v[12:13], s[10:11], v3, s13, v[10:11]
	s_cmp_lg_u32 s8, 0
	v_mov_b32_e32 v2, v1
	v_mad_u64_u32 v[4:5], s[10:11], v3, s12, v[4:5]
	v_mov_b32_e32 v1, v12
	s_cbranch_scc1 .LBB457_1099
.LBB457_1100:
	s_cbranch_execnz .LBB457_1103
.LBB457_1101:
	s_load_dwordx4 s[4:7], s[34:35], 0x4
	s_load_dwordx2 s[8:9], s[34:35], 0xc4
	s_cmp_lt_u32 s33, 2
	s_waitcnt lgkmcnt(0)
	v_mul_hi_u32 v1, s5, v0
	v_add_u32_e32 v1, v0, v1
	v_lshrrev_b32_e32 v1, s6, v1
	v_mul_lo_u32 v2, v1, s4
	v_sub_u32_e32 v0, v0, v2
	v_mul_lo_u32 v12, v0, s9
	s_waitcnt vmcnt(0)
	v_mul_lo_u32 v4, v0, s8
	s_cbranch_scc1 .LBB457_1103
; %bb.1102:
	s_load_dwordx4 s[4:7], s[34:35], 0x10
	s_load_dwordx2 s[8:9], s[34:35], 0xcc
	s_waitcnt lgkmcnt(0)
	v_mul_hi_u32 v0, s5, v1
	v_add_u32_e32 v0, v1, v0
	v_lshrrev_b32_e32 v0, s6, v0
	v_mul_lo_u32 v0, v0, s4
	v_sub_u32_e32 v0, v1, v0
	v_mad_u64_u32 v[4:5], s[4:5], v0, s8, v[4:5]
	v_mad_u64_u32 v[12:13], s[4:5], v0, s9, v[12:13]
.LBB457_1103:
	s_and_b64 vcc, exec, s[2:3]
	v_add_u32_e32 v0, 0x100, v8
	s_cbranch_vccnz .LBB457_1109
; %bb.1104:
	s_cmp_lg_u32 s33, 0
	s_mov_b32 s36, 0
	s_cbranch_scc0 .LBB457_1110
; %bb.1105:
	s_min_u32 s37, s72, 15
	s_add_i32 s37, s37, 1
	s_cmp_eq_u32 s72, 2
	s_cbranch_scc1 .LBB457_1111
; %bb.1106:
	s_and_b32 s36, s37, 28
	s_add_u32 s28, s34, 0xc4
	s_addc_u32 s29, s35, 0
	s_mov_b32 s38, 0
	v_mov_b32_e32 v2, 0
	v_mov_b32_e32 v10, 0
	s_mov_b64 s[30:31], s[34:35]
	s_waitcnt vmcnt(0)
	v_mov_b32_e32 v5, v0
.LBB457_1107:                           ; =>This Inner Loop Header: Depth=1
	s_load_dwordx8 s[12:19], s[30:31], 0x4
	s_load_dwordx4 s[20:23], s[30:31], 0x24
	s_load_dwordx8 s[4:11], s[28:29], 0x0
	s_add_u32 s30, s30, 48
	s_addc_u32 s31, s31, 0
	s_waitcnt lgkmcnt(0)
	v_mul_hi_u32 v1, s13, v5
	v_add_u32_e32 v1, v5, v1
	v_lshrrev_b32_e32 v1, s14, v1
	v_mul_lo_u32 v3, v1, s12
	v_mul_hi_u32 v7, s16, v1
	v_sub_u32_e32 v3, v5, v3
	v_add_u32_e32 v5, v1, v7
	v_lshrrev_b32_e32 v5, s17, v5
	v_mul_lo_u32 v8, v5, s15
	v_mul_hi_u32 v9, s19, v5
	v_sub_u32_e32 v1, v1, v8
	v_add_u32_e32 v8, v5, v9
	v_mul_lo_u32 v7, v3, s5
	v_mul_lo_u32 v3, v3, s4
	;; [unrolled: 1-line block ×4, first 2 shown]
	v_lshrrev_b32_e32 v8, s20, v8
	v_add3_u32 v1, v3, v2, v1
	v_add3_u32 v2, v7, v10, v9
	v_mul_lo_u32 v3, v8, s18
	v_mul_hi_u32 v7, s22, v8
	v_sub_u32_e32 v3, v5, v3
	v_add_u32_e32 v5, v8, v7
	v_lshrrev_b32_e32 v5, s23, v5
	s_add_i32 s38, s38, 4
	v_mul_lo_u32 v9, v5, s21
	s_add_u32 s28, s28, 32
	v_sub_u32_e32 v8, v8, v9
	s_addc_u32 s29, s29, 0
	v_mul_lo_u32 v7, v3, s8
	v_mul_lo_u32 v3, v3, s9
	;; [unrolled: 1-line block ×4, first 2 shown]
	s_cmp_lg_u32 s36, s38
	v_add3_u32 v10, v3, v2, v8
	v_add3_u32 v2, v7, v1, v9
	s_cbranch_scc1 .LBB457_1107
; %bb.1108:
	v_mov_b32_e32 v1, v10
	s_and_b32 s8, s37, 3
	s_cmp_eq_u32 s8, 0
	s_cbranch_scc0 .LBB457_1112
	s_branch .LBB457_1114
.LBB457_1109:
                                        ; implicit-def: $vgpr10
                                        ; implicit-def: $vgpr2
	s_branch .LBB457_1115
.LBB457_1110:
	v_mov_b32_e32 v10, 0
	v_mov_b32_e32 v2, 0
	s_branch .LBB457_1114
.LBB457_1111:
	v_mov_b32_e32 v2, 0
                                        ; implicit-def: $vgpr10
	v_mov_b32_e32 v1, v2
	s_waitcnt vmcnt(0)
	v_mov_b32_e32 v5, v0
	s_and_b32 s8, s37, 3
	s_cmp_eq_u32 s8, 0
	s_cbranch_scc1 .LBB457_1114
.LBB457_1112:
	s_lshl_b32 s4, s36, 3
	s_add_u32 s4, s34, s4
	s_addc_u32 s5, s35, 0
	s_add_u32 s4, s4, 0xc4
	s_addc_u32 s5, s5, 0
	s_mul_i32 s6, s36, 12
	s_add_u32 s6, s34, s6
	s_addc_u32 s7, s35, 0
.LBB457_1113:                           ; =>This Inner Loop Header: Depth=1
	s_load_dwordx2 s[10:11], s[6:7], 0x4
	s_load_dword s9, s[6:7], 0xc
	s_load_dwordx2 s[12:13], s[4:5], 0x0
	v_mov_b32_e32 v8, v1
	s_add_u32 s6, s6, 12
	s_waitcnt lgkmcnt(0)
	v_mul_hi_u32 v1, s11, v5
	v_add_u32_e32 v1, v5, v1
	v_lshrrev_b32_e32 v1, s9, v1
	s_addc_u32 s7, s7, 0
	v_mul_lo_u32 v3, v1, s10
	s_add_u32 s4, s4, 8
	v_sub_u32_e32 v3, v5, v3
	s_addc_u32 s5, s5, 0
	s_add_i32 s8, s8, -1
	v_mad_u64_u32 v[10:11], s[10:11], v3, s13, v[8:9]
	s_cmp_lg_u32 s8, 0
	v_mov_b32_e32 v5, v1
	v_mad_u64_u32 v[2:3], s[10:11], v3, s12, v[2:3]
	v_mov_b32_e32 v1, v10
	s_cbranch_scc1 .LBB457_1113
.LBB457_1114:
	s_cbranch_execnz .LBB457_1117
.LBB457_1115:
	s_load_dwordx4 s[4:7], s[34:35], 0x4
	s_load_dwordx2 s[8:9], s[34:35], 0xc4
	s_cmp_lt_u32 s33, 2
	s_waitcnt lgkmcnt(0)
	v_mul_hi_u32 v1, s5, v0
	v_add_u32_e32 v1, v0, v1
	v_lshrrev_b32_e32 v1, s6, v1
	v_mul_lo_u32 v2, v1, s4
	v_sub_u32_e32 v0, v0, v2
	v_mul_lo_u32 v10, v0, s9
	v_mul_lo_u32 v2, v0, s8
	s_cbranch_scc1 .LBB457_1117
; %bb.1116:
	s_load_dwordx4 s[4:7], s[34:35], 0x10
	s_load_dwordx2 s[8:9], s[34:35], 0xcc
	s_waitcnt lgkmcnt(0)
	v_mul_hi_u32 v0, s5, v1
	v_add_u32_e32 v0, v1, v0
	v_lshrrev_b32_e32 v0, s6, v0
	v_mul_lo_u32 v0, v0, s4
	v_sub_u32_e32 v0, v1, v0
	v_mad_u64_u32 v[2:3], s[4:5], v0, s8, v[2:3]
	v_mad_u64_u32 v[10:11], s[4:5], v0, s9, v[10:11]
.LBB457_1117:
	s_and_b64 vcc, exec, s[2:3]
	s_cbranch_vccnz .LBB457_1123
; %bb.1118:
	s_cmp_lg_u32 s33, 0
	s_mov_b32 s30, 0
	s_cbranch_scc0 .LBB457_1124
; %bb.1119:
	s_min_u32 s31, s72, 15
	s_add_i32 s31, s31, 1
	s_cmp_eq_u32 s72, 2
	s_cbranch_scc1 .LBB457_1125
; %bb.1120:
	s_and_b32 s30, s31, 28
	s_add_u32 s2, s34, 0xc4
	s_addc_u32 s3, s35, 0
	s_mov_b32 s36, 0
	v_mov_b32_e32 v0, 0
	v_mov_b32_e32 v8, 0
	s_mov_b64 s[28:29], s[34:35]
	v_mov_b32_e32 v3, v16
.LBB457_1121:                           ; =>This Inner Loop Header: Depth=1
	s_load_dwordx8 s[12:19], s[28:29], 0x4
	s_load_dwordx4 s[20:23], s[28:29], 0x24
	s_load_dwordx8 s[4:11], s[2:3], 0x0
	s_add_u32 s28, s28, 48
	s_addc_u32 s29, s29, 0
	s_waitcnt lgkmcnt(0)
	v_mul_hi_u32 v1, s13, v3
	v_add_u32_e32 v1, v3, v1
	v_lshrrev_b32_e32 v1, s14, v1
	s_waitcnt vmcnt(0)
	v_mul_lo_u32 v5, v1, s12
	v_mul_hi_u32 v7, s16, v1
	v_sub_u32_e32 v3, v3, v5
	v_add_u32_e32 v5, v1, v7
	v_lshrrev_b32_e32 v5, s17, v5
	v_mul_lo_u32 v9, v5, s15
	v_mul_hi_u32 v11, s19, v5
	v_sub_u32_e32 v1, v1, v9
	v_add_u32_e32 v9, v5, v11
	v_mul_lo_u32 v7, v3, s5
	v_mul_lo_u32 v3, v3, s4
	;; [unrolled: 1-line block ×4, first 2 shown]
	v_lshrrev_b32_e32 v9, s20, v9
	v_add3_u32 v0, v3, v0, v1
	v_add3_u32 v1, v7, v8, v11
	v_mul_lo_u32 v3, v9, s18
	v_mul_hi_u32 v7, s22, v9
	v_sub_u32_e32 v3, v5, v3
	v_add_u32_e32 v5, v9, v7
	v_mul_lo_u32 v7, v3, s8
	v_mul_lo_u32 v8, v3, s9
	v_lshrrev_b32_e32 v3, s23, v5
	s_add_i32 s36, s36, 4
	v_mul_lo_u32 v5, v3, s21
	s_add_u32 s2, s2, 32
	v_sub_u32_e32 v5, v9, v5
	s_addc_u32 s3, s3, 0
	v_mul_lo_u32 v9, v5, s10
	v_mul_lo_u32 v5, v5, s11
	s_cmp_lg_u32 s30, s36
	v_add3_u32 v8, v8, v1, v5
	v_add3_u32 v0, v7, v0, v9
	s_cbranch_scc1 .LBB457_1121
; %bb.1122:
	v_mov_b32_e32 v1, v8
	s_and_b32 s6, s31, 3
	s_cmp_eq_u32 s6, 0
	s_cbranch_scc0 .LBB457_1126
	s_branch .LBB457_1128
.LBB457_1123:
                                        ; implicit-def: $vgpr8
                                        ; implicit-def: $vgpr0
	s_branch .LBB457_1129
.LBB457_1124:
	v_mov_b32_e32 v8, 0
	v_mov_b32_e32 v0, 0
	s_branch .LBB457_1128
.LBB457_1125:
	v_mov_b32_e32 v0, 0
                                        ; implicit-def: $vgpr8
	v_mov_b32_e32 v1, v0
	v_mov_b32_e32 v3, v16
	s_and_b32 s6, s31, 3
	s_cmp_eq_u32 s6, 0
	s_cbranch_scc1 .LBB457_1128
.LBB457_1126:
	s_lshl_b32 s2, s30, 3
	s_add_u32 s2, s34, s2
	s_addc_u32 s3, s35, 0
	s_add_u32 s2, s2, 0xc4
	s_addc_u32 s3, s3, 0
	s_mul_i32 s4, s30, 12
	s_add_u32 s4, s34, s4
	s_addc_u32 s5, s35, 0
.LBB457_1127:                           ; =>This Inner Loop Header: Depth=1
	s_load_dwordx2 s[8:9], s[4:5], 0x4
	s_load_dword s7, s[4:5], 0xc
	s_load_dwordx2 s[10:11], s[2:3], 0x0
	v_mov_b32_e32 v8, v1
	s_add_u32 s4, s4, 12
	s_waitcnt lgkmcnt(0)
	v_mul_hi_u32 v1, s9, v3
	v_add_u32_e32 v1, v3, v1
	v_lshrrev_b32_e32 v1, s7, v1
	s_addc_u32 s5, s5, 0
	s_waitcnt vmcnt(0)
	v_mul_lo_u32 v5, v1, s8
	s_add_u32 s2, s2, 8
	v_sub_u32_e32 v5, v3, v5
	s_addc_u32 s3, s3, 0
	s_add_i32 s6, s6, -1
	v_mov_b32_e32 v3, v1
	v_mad_u64_u32 v[8:9], s[8:9], v5, s11, v[8:9]
	v_mad_u64_u32 v[0:1], s[8:9], v5, s10, v[0:1]
	s_cmp_lg_u32 s6, 0
	v_mov_b32_e32 v1, v8
	s_cbranch_scc1 .LBB457_1127
.LBB457_1128:
	s_cbranch_execnz .LBB457_1131
.LBB457_1129:
	s_load_dwordx4 s[4:7], s[34:35], 0x4
	s_load_dwordx2 s[2:3], s[34:35], 0xc4
	s_cmp_lt_u32 s33, 2
	s_waitcnt lgkmcnt(0)
	v_mul_hi_u32 v0, s5, v16
	v_add_u32_e32 v0, v16, v0
	v_lshrrev_b32_e32 v1, s6, v0
	v_mul_lo_u32 v0, v1, s4
	v_sub_u32_e32 v0, v16, v0
	v_mul_lo_u32 v8, v0, s3
	v_mul_lo_u32 v0, v0, s2
	s_cbranch_scc1 .LBB457_1131
; %bb.1130:
	s_load_dwordx4 s[4:7], s[34:35], 0x10
	s_load_dwordx2 s[2:3], s[34:35], 0xcc
	s_waitcnt lgkmcnt(0)
	v_mul_hi_u32 v3, s5, v1
	v_add_u32_e32 v3, v1, v3
	v_lshrrev_b32_e32 v3, s6, v3
	v_mul_lo_u32 v3, v3, s4
	v_sub_u32_e32 v3, v1, v3
	v_mad_u64_u32 v[0:1], s[4:5], v3, s2, v[0:1]
	v_mad_u64_u32 v[8:9], s[2:3], v3, s3, v[8:9]
.LBB457_1131:
	s_load_dword s14, s[0:1], 0x160
	s_load_dwordx4 s[4:7], s[34:35], 0x148
	v_mov_b32_e32 v15, 0
	s_waitcnt lgkmcnt(0)
	s_lshr_b32 s12, s14, 24
	s_cmp_lt_i32 s12, 11
	v_lshl_add_u64 v[16:17], s[6:7], 0, v[14:15]
	s_cbranch_scc1 .LBB457_1138
; %bb.1132:
	s_and_b32 s13, 0xffff, s12
	s_cmp_gt_i32 s13, 25
	s_mov_b64 s[8:9], 0
	s_cbranch_scc0 .LBB457_1140
; %bb.1133:
	s_cmp_gt_i32 s13, 28
	s_cbranch_scc0 .LBB457_1141
; %bb.1134:
	s_cmp_gt_i32 s13, 43
	;; [unrolled: 3-line block ×3, first 2 shown]
	s_cbranch_scc0 .LBB457_1143
; %bb.1136:
	s_cmp_eq_u32 s13, 46
	s_mov_b64 s[2:3], 0
	s_cbranch_scc0 .LBB457_1146
; %bb.1137:
	global_load_dword v1, v[16:17], off
	s_mov_b64 s[0:1], 0
	s_mov_b64 s[10:11], -1
	s_waitcnt vmcnt(0)
	v_lshlrev_b32_e32 v1, 16, v1
	v_cvt_i32_f32_e32 v14, v1
	s_branch .LBB457_1147
.LBB457_1138:
	s_mov_b64 s[10:11], 0
                                        ; implicit-def: $vgpr14
	s_mov_b64 s[2:3], s[24:25]
	s_cbranch_execnz .LBB457_1205
.LBB457_1139:
	s_andn2_b64 vcc, exec, s[10:11]
	s_cbranch_vccz .LBB457_1250
	s_branch .LBB457_2059
.LBB457_1140:
	s_mov_b64 s[10:11], 0
	s_mov_b64 s[0:1], 0
                                        ; implicit-def: $vgpr14
	s_cbranch_execnz .LBB457_1172
	s_branch .LBB457_1201
.LBB457_1141:
	s_mov_b64 s[10:11], 0
	s_mov_b64 s[0:1], 0
                                        ; implicit-def: $vgpr14
	s_cbranch_execz .LBB457_1171
	s_branch .LBB457_1156
.LBB457_1142:
	s_mov_b64 s[10:11], 0
	s_mov_b64 s[0:1], 0
                                        ; implicit-def: $vgpr14
	s_cbranch_execnz .LBB457_1152
	s_branch .LBB457_1155
.LBB457_1143:
	s_mov_b64 s[2:3], -1
	s_mov_b64 s[10:11], 0
	s_mov_b64 s[0:1], 0
                                        ; implicit-def: $vgpr14
	s_branch .LBB457_1147
.LBB457_1144:
	s_andn2_saveexec_b64 s[12:13], s[12:13]
	s_cbranch_execz .LBB457_987
.LBB457_1145:
	s_mov_b32 s14, 0x46000000
	v_add_f32_e64 v1, |v0|, s14
	v_and_b32_e32 v1, 0xff, v1
	v_cmp_ne_u32_e32 vcc, 0, v1
	s_andn2_b64 s[10:11], s[10:11], exec
	s_and_b64 s[14:15], vcc, exec
	s_or_b64 s[10:11], s[10:11], s[14:15]
	s_or_b64 exec, exec, s[12:13]
	v_mov_b32_e32 v4, 0
	s_and_saveexec_b64 s[12:13], s[10:11]
	s_cbranch_execnz .LBB457_988
	s_branch .LBB457_989
.LBB457_1146:
	s_mov_b64 s[0:1], -1
                                        ; implicit-def: $vgpr14
	s_mov_b64 s[10:11], 0
.LBB457_1147:
	s_and_b64 vcc, exec, s[2:3]
	s_cbranch_vccz .LBB457_1150
; %bb.1148:
	s_cmp_eq_u32 s13, 44
	s_cbranch_scc0 .LBB457_1151
; %bb.1149:
	global_load_ubyte v1, v[16:17], off
	s_mov_b64 s[0:1], 0
	s_mov_b64 s[10:11], -1
	s_waitcnt vmcnt(0)
	v_lshlrev_b32_e32 v3, 23, v1
	v_cvt_i32_f32_e32 v3, v3
	v_cmp_ne_u32_e32 vcc, 0, v1
	s_nop 1
	v_cndmask_b32_e32 v14, 0, v3, vcc
.LBB457_1150:
	s_branch .LBB457_1155
.LBB457_1151:
	s_mov_b64 s[0:1], -1
                                        ; implicit-def: $vgpr14
	s_branch .LBB457_1155
.LBB457_1152:
	s_cmp_eq_u32 s13, 29
	s_cbranch_scc0 .LBB457_1154
; %bb.1153:
	global_load_dwordx2 v[14:15], v[16:17], off
	s_mov_b64 s[0:1], 0
	s_mov_b64 s[10:11], -1
	s_branch .LBB457_1155
.LBB457_1154:
	s_mov_b64 s[0:1], -1
                                        ; implicit-def: $vgpr14
.LBB457_1155:
	s_branch .LBB457_1171
.LBB457_1156:
	s_cmp_lt_i32 s13, 27
	s_cbranch_scc1 .LBB457_1159
; %bb.1157:
	s_cmp_gt_i32 s13, 27
	s_cbranch_scc0 .LBB457_1160
; %bb.1158:
	global_load_dword v14, v[16:17], off
	s_mov_b64 s[2:3], 0
	s_branch .LBB457_1161
.LBB457_1159:
	s_mov_b64 s[2:3], -1
                                        ; implicit-def: $vgpr14
	s_branch .LBB457_1164
.LBB457_1160:
	s_mov_b64 s[2:3], -1
                                        ; implicit-def: $vgpr14
.LBB457_1161:
	s_andn2_b64 vcc, exec, s[2:3]
	s_cbranch_vccnz .LBB457_1163
; %bb.1162:
	global_load_ushort v14, v[16:17], off
.LBB457_1163:
	s_mov_b64 s[2:3], 0
.LBB457_1164:
	s_andn2_b64 vcc, exec, s[2:3]
	s_cbranch_vccnz .LBB457_1170
; %bb.1165:
	global_load_ubyte v1, v[16:17], off
	s_movk_i32 s2, 0x7f
	s_mov_b64 s[10:11], 0
	s_waitcnt vmcnt(0)
	v_cmp_lt_i16_e32 vcc, s2, v1
	s_and_saveexec_b64 s[2:3], vcc
	s_xor_b64 s[2:3], exec, s[2:3]
	s_cbranch_execz .LBB457_1181
; %bb.1166:
	s_movk_i32 s10, 0x80
	v_cmp_ne_u16_e32 vcc, s10, v1
	s_and_b64 s[10:11], vcc, exec
	s_andn2_saveexec_b64 s[2:3], s[2:3]
	s_cbranch_execnz .LBB457_1182
.LBB457_1167:
	s_or_b64 exec, exec, s[2:3]
	v_mov_b32_e32 v14, 0
	s_and_saveexec_b64 s[2:3], s[10:11]
	s_cbranch_execz .LBB457_1169
.LBB457_1168:
	v_lshlrev_b32_e32 v3, 24, v1
	v_and_b32_e32 v1, 0xffff, v1
	v_and_b32_e32 v5, 7, v1
	v_ffbh_u32_e32 v9, v5
	v_min_u32_e32 v9, 32, v9
	v_subrev_u32_e32 v11, 28, v9
	v_bfe_u32 v7, v1, 3, 4
	v_lshlrev_b32_e32 v1, v11, v1
	v_sub_u32_e32 v9, 29, v9
	v_and_b32_e32 v1, 7, v1
	v_cmp_eq_u32_e32 vcc, 0, v7
	v_and_b32_e32 v3, 0x80000000, v3
	s_nop 0
	v_cndmask_b32_e32 v7, v7, v9, vcc
	v_cndmask_b32_e32 v1, v5, v1, vcc
	v_mov_b32_e32 v5, 0x3b800000
	v_lshlrev_b32_e32 v1, 20, v1
	v_lshl_add_u32 v5, v7, 23, v5
	v_or3_b32 v1, v3, v5, v1
	v_cvt_i32_f32_e32 v14, v1
.LBB457_1169:
	s_or_b64 exec, exec, s[2:3]
.LBB457_1170:
	s_mov_b64 s[10:11], -1
.LBB457_1171:
	s_branch .LBB457_1201
.LBB457_1172:
	s_cmp_gt_i32 s13, 22
	s_cbranch_scc0 .LBB457_1180
; %bb.1173:
	s_cmp_lt_i32 s13, 24
	s_cbranch_scc1 .LBB457_1183
; %bb.1174:
	s_cmp_gt_i32 s13, 24
	s_cbranch_scc0 .LBB457_1184
; %bb.1175:
	global_load_ubyte v1, v[16:17], off
	s_movk_i32 s2, 0x7f
	s_waitcnt vmcnt(0)
	v_cmp_lt_i16_e32 vcc, s2, v1
	s_and_saveexec_b64 s[2:3], vcc
	s_xor_b64 s[2:3], exec, s[2:3]
	s_cbranch_execz .LBB457_1195
; %bb.1176:
	s_movk_i32 s8, 0x80
	v_cmp_ne_u16_e32 vcc, s8, v1
	s_and_b64 s[8:9], vcc, exec
	s_andn2_saveexec_b64 s[2:3], s[2:3]
	s_cbranch_execnz .LBB457_1196
.LBB457_1177:
	s_or_b64 exec, exec, s[2:3]
	v_mov_b32_e32 v14, 0
	s_and_saveexec_b64 s[2:3], s[8:9]
	s_cbranch_execz .LBB457_1179
.LBB457_1178:
	v_lshlrev_b32_e32 v3, 24, v1
	v_and_b32_e32 v1, 0xffff, v1
	v_and_b32_e32 v5, 3, v1
	v_ffbh_u32_e32 v9, v5
	v_min_u32_e32 v9, 32, v9
	v_subrev_u32_e32 v11, 29, v9
	v_bfe_u32 v7, v1, 2, 5
	v_lshlrev_b32_e32 v1, v11, v1
	v_sub_u32_e32 v9, 30, v9
	v_and_b32_e32 v1, 3, v1
	v_cmp_eq_u32_e32 vcc, 0, v7
	v_and_b32_e32 v3, 0x80000000, v3
	s_nop 0
	v_cndmask_b32_e32 v7, v7, v9, vcc
	v_cndmask_b32_e32 v1, v5, v1, vcc
	v_mov_b32_e32 v5, 0x37800000
	v_lshlrev_b32_e32 v1, 21, v1
	v_lshl_add_u32 v5, v7, 23, v5
	v_or3_b32 v1, v3, v5, v1
	v_cvt_i32_f32_e32 v14, v1
.LBB457_1179:
	s_or_b64 exec, exec, s[2:3]
	s_mov_b64 s[2:3], 0
	s_branch .LBB457_1185
.LBB457_1180:
                                        ; implicit-def: $vgpr14
	s_mov_b64 s[8:9], 0
	s_branch .LBB457_1191
.LBB457_1181:
	s_andn2_saveexec_b64 s[2:3], s[2:3]
	s_cbranch_execz .LBB457_1167
.LBB457_1182:
	v_cmp_ne_u16_e32 vcc, 0, v1
	s_andn2_b64 s[10:11], s[10:11], exec
	s_and_b64 s[16:17], vcc, exec
	s_or_b64 s[10:11], s[10:11], s[16:17]
	s_or_b64 exec, exec, s[2:3]
	v_mov_b32_e32 v14, 0
	s_and_saveexec_b64 s[2:3], s[10:11]
	s_cbranch_execnz .LBB457_1168
	s_branch .LBB457_1169
.LBB457_1183:
	s_mov_b64 s[2:3], -1
                                        ; implicit-def: $vgpr14
	s_branch .LBB457_1188
.LBB457_1184:
	s_mov_b64 s[2:3], -1
                                        ; implicit-def: $vgpr14
.LBB457_1185:
	s_and_b64 vcc, exec, s[2:3]
	s_cbranch_vccz .LBB457_1187
; %bb.1186:
	global_load_ubyte v1, v[16:17], off
	s_mov_b32 s2, 0x7f800000
	s_waitcnt vmcnt(0)
	v_lshlrev_b32_e32 v1, 24, v1
	v_and_b32_e32 v3, 0x7f000000, v1
	v_ffbh_u32_e32 v5, v3
	v_min_u32_e32 v5, 32, v5
	v_sub_u32_e64 v5, v5, 4 clamp
	v_lshlrev_b32_e32 v9, v5, v3
	v_lshlrev_b32_e32 v5, 23, v5
	v_lshrrev_b32_e32 v9, 4, v9
	v_add_u32_e32 v7, 0x1000000, v3
	v_sub_u32_e32 v5, v9, v5
	v_ashrrev_i32_e32 v7, 8, v7
	v_add_u32_e32 v5, 0x3c000000, v5
	v_and_or_b32 v5, v7, s2, v5
	v_cmp_ne_u32_e32 vcc, 0, v3
	s_brev_b32 s2, 1
	s_nop 0
	v_cndmask_b32_e32 v3, 0, v5, vcc
	v_and_or_b32 v1, v1, s2, v3
	v_cvt_i32_f32_e32 v14, v1
.LBB457_1187:
	s_mov_b64 s[2:3], 0
.LBB457_1188:
	s_andn2_b64 vcc, exec, s[2:3]
	s_cbranch_vccnz .LBB457_1190
; %bb.1189:
	global_load_ubyte v1, v[16:17], off
	s_movk_i32 s2, 0x7f00
	s_brev_b32 s3, 16
	s_waitcnt vmcnt(0)
	v_lshlrev_b16_e32 v3, 8, v1
	v_lshlrev_b32_e32 v1, 25, v1
	v_lshrrev_b32_e32 v5, 4, v1
	v_and_or_b32 v7, v3, s2, 0.5
	v_or_b32_e32 v5, 0x70000000, v5
	v_add_f32_e32 v7, -0.5, v7
	v_mul_f32_e32 v5, 0x7800000, v5
	v_cmp_gt_u32_e32 vcc, s3, v1
	v_bfe_i32 v3, v3, 0, 16
	s_brev_b32 s2, 1
	v_cndmask_b32_e32 v1, v5, v7, vcc
	v_and_or_b32 v1, v3, s2, v1
	v_cvt_i32_f32_e32 v14, v1
.LBB457_1190:
	s_mov_b64 s[10:11], -1
	s_mov_b64 s[8:9], 0
	s_cbranch_execnz .LBB457_1201
.LBB457_1191:
	s_cmp_gt_i32 s13, 14
	s_cbranch_scc0 .LBB457_1194
; %bb.1192:
	s_cmp_eq_u32 s13, 15
	s_cbranch_scc0 .LBB457_1197
; %bb.1193:
	global_load_ushort v1, v[16:17], off
	s_mov_b64 s[0:1], 0
	s_mov_b64 s[10:11], -1
	s_waitcnt vmcnt(0)
	v_lshlrev_b32_e32 v1, 16, v1
	v_cvt_i32_f32_e32 v14, v1
	s_branch .LBB457_1198
.LBB457_1194:
	s_mov_b64 s[2:3], -1
                                        ; implicit-def: $vgpr14
	s_branch .LBB457_1199
.LBB457_1195:
	s_andn2_saveexec_b64 s[2:3], s[2:3]
	s_cbranch_execz .LBB457_1177
.LBB457_1196:
	v_cmp_ne_u16_e32 vcc, 0, v1
	s_andn2_b64 s[8:9], s[8:9], exec
	s_and_b64 s[10:11], vcc, exec
	s_or_b64 s[8:9], s[8:9], s[10:11]
	s_or_b64 exec, exec, s[2:3]
	v_mov_b32_e32 v14, 0
	s_and_saveexec_b64 s[2:3], s[8:9]
	s_cbranch_execnz .LBB457_1178
	s_branch .LBB457_1179
.LBB457_1197:
	s_mov_b64 s[0:1], -1
                                        ; implicit-def: $vgpr14
.LBB457_1198:
	s_mov_b64 s[2:3], 0
.LBB457_1199:
	s_and_b64 vcc, exec, s[2:3]
	s_cbranch_vccz .LBB457_1201
; %bb.1200:
	s_cmp_lg_u32 s13, 11
	s_mov_b64 s[8:9], -1
	s_cselect_b64 s[0:1], -1, 0
.LBB457_1201:
	s_and_b64 vcc, exec, s[0:1]
	s_mov_b64 s[2:3], s[24:25]
	s_cbranch_vccnz .LBB457_1262
; %bb.1202:
	s_andn2_b64 vcc, exec, s[8:9]
	s_cbranch_vccnz .LBB457_1204
.LBB457_1203:
	global_load_ubyte v1, v[16:17], off
	s_mov_b64 s[10:11], -1
	s_waitcnt vmcnt(0)
	v_cmp_ne_u16_e32 vcc, 0, v1
	s_nop 1
	v_cndmask_b32_e64 v14, 0, 1, vcc
.LBB457_1204:
	s_branch .LBB457_1139
.LBB457_1205:
	s_and_b32 s8, 0xffff, s12
	s_cmp_lt_i32 s8, 5
	s_cbranch_scc1 .LBB457_1210
; %bb.1206:
	s_cmp_lt_i32 s8, 8
	s_cbranch_scc1 .LBB457_1211
; %bb.1207:
	;; [unrolled: 3-line block ×3, first 2 shown]
	s_cmp_gt_i32 s8, 9
	s_cbranch_scc0 .LBB457_1213
; %bb.1209:
	global_load_dwordx2 v[14:15], v[16:17], off
	s_mov_b64 s[0:1], 0
	s_waitcnt vmcnt(0)
	v_cvt_i32_f64_e32 v14, v[14:15]
	s_branch .LBB457_1214
.LBB457_1210:
                                        ; implicit-def: $vgpr14
	s_branch .LBB457_1231
.LBB457_1211:
                                        ; implicit-def: $vgpr14
	s_branch .LBB457_1220
.LBB457_1212:
	s_mov_b64 s[0:1], -1
                                        ; implicit-def: $vgpr14
	s_branch .LBB457_1217
.LBB457_1213:
	s_mov_b64 s[0:1], -1
                                        ; implicit-def: $vgpr14
.LBB457_1214:
	s_andn2_b64 vcc, exec, s[0:1]
	s_cbranch_vccnz .LBB457_1216
; %bb.1215:
	global_load_dword v1, v[16:17], off
	s_waitcnt vmcnt(0)
	v_cvt_i32_f32_e32 v14, v1
.LBB457_1216:
	s_mov_b64 s[0:1], 0
.LBB457_1217:
	s_andn2_b64 vcc, exec, s[0:1]
	s_cbranch_vccnz .LBB457_1219
; %bb.1218:
	global_load_dword v1, v[16:17], off
	s_waitcnt vmcnt(0)
	v_cvt_i16_f16_e32 v14, v1
.LBB457_1219:
	s_cbranch_execnz .LBB457_1230
.LBB457_1220:
	s_cmp_lt_i32 s8, 6
	s_cbranch_scc1 .LBB457_1223
; %bb.1221:
	s_cmp_gt_i32 s8, 6
	s_cbranch_scc0 .LBB457_1224
; %bb.1222:
	global_load_dwordx2 v[14:15], v[16:17], off
	s_mov_b64 s[0:1], 0
	s_waitcnt vmcnt(0)
	v_cvt_i32_f64_e32 v14, v[14:15]
	s_branch .LBB457_1225
.LBB457_1223:
	s_mov_b64 s[0:1], -1
                                        ; implicit-def: $vgpr14
	s_branch .LBB457_1228
.LBB457_1224:
	s_mov_b64 s[0:1], -1
                                        ; implicit-def: $vgpr14
.LBB457_1225:
	s_andn2_b64 vcc, exec, s[0:1]
	s_cbranch_vccnz .LBB457_1227
; %bb.1226:
	global_load_dword v1, v[16:17], off
	s_waitcnt vmcnt(0)
	v_cvt_i32_f32_e32 v14, v1
.LBB457_1227:
	s_mov_b64 s[0:1], 0
.LBB457_1228:
	s_andn2_b64 vcc, exec, s[0:1]
	s_cbranch_vccnz .LBB457_1230
; %bb.1229:
	global_load_ushort v1, v[16:17], off
	s_waitcnt vmcnt(0)
	v_cvt_i16_f16_e32 v14, v1
.LBB457_1230:
	s_cbranch_execnz .LBB457_1249
.LBB457_1231:
	s_cmp_lt_i32 s8, 2
	s_cbranch_scc1 .LBB457_1235
; %bb.1232:
	s_cmp_lt_i32 s8, 3
	s_cbranch_scc1 .LBB457_1236
; %bb.1233:
	s_cmp_gt_i32 s8, 3
	s_cbranch_scc0 .LBB457_1237
; %bb.1234:
	global_load_dwordx2 v[14:15], v[16:17], off
	s_mov_b64 s[0:1], 0
	s_branch .LBB457_1238
.LBB457_1235:
                                        ; implicit-def: $vgpr14
	s_branch .LBB457_1244
.LBB457_1236:
	s_mov_b64 s[0:1], -1
                                        ; implicit-def: $vgpr14
	s_branch .LBB457_1241
.LBB457_1237:
	s_mov_b64 s[0:1], -1
                                        ; implicit-def: $vgpr14
.LBB457_1238:
	s_andn2_b64 vcc, exec, s[0:1]
	s_cbranch_vccnz .LBB457_1240
; %bb.1239:
	global_load_dword v14, v[16:17], off
.LBB457_1240:
	s_mov_b64 s[0:1], 0
.LBB457_1241:
	s_andn2_b64 vcc, exec, s[0:1]
	s_cbranch_vccnz .LBB457_1243
; %bb.1242:
	global_load_ushort v14, v[16:17], off
.LBB457_1243:
	s_cbranch_execnz .LBB457_1249
.LBB457_1244:
	s_cmp_gt_i32 s8, 0
	s_cbranch_scc0 .LBB457_1246
; %bb.1245:
	global_load_sbyte v14, v[16:17], off
	s_mov_b64 s[0:1], 0
	s_branch .LBB457_1247
.LBB457_1246:
	s_mov_b64 s[0:1], -1
                                        ; implicit-def: $vgpr14
.LBB457_1247:
	s_andn2_b64 vcc, exec, s[0:1]
	s_cbranch_vccnz .LBB457_1249
; %bb.1248:
	global_load_ubyte v14, v[16:17], off
.LBB457_1249:
.LBB457_1250:
	v_mov_b32_e32 v13, 0
	s_and_b32 s15, 0xffff, s12
	s_cmp_lt_i32 s15, 11
	v_lshl_add_u64 v[16:17], s[6:7], 0, v[12:13]
	s_cbranch_scc1 .LBB457_1257
; %bb.1251:
	s_cmp_gt_i32 s15, 25
	s_mov_b64 s[8:9], 0
	s_cbranch_scc0 .LBB457_1259
; %bb.1252:
	s_cmp_gt_i32 s15, 28
	s_cbranch_scc0 .LBB457_1260
; %bb.1253:
	s_cmp_gt_i32 s15, 43
	;; [unrolled: 3-line block ×3, first 2 shown]
	s_cbranch_scc0 .LBB457_1263
; %bb.1255:
	s_cmp_eq_u32 s15, 46
	s_mov_b64 s[12:13], 0
	s_cbranch_scc0 .LBB457_1266
; %bb.1256:
	global_load_dword v1, v[16:17], off
	s_mov_b64 s[0:1], 0
	s_mov_b64 s[10:11], -1
	s_waitcnt vmcnt(0)
	v_lshlrev_b32_e32 v1, 16, v1
	v_cvt_i32_f32_e32 v12, v1
	s_branch .LBB457_1267
.LBB457_1257:
	s_mov_b64 s[10:11], 0
                                        ; implicit-def: $vgpr12
	s_cbranch_execnz .LBB457_1328
.LBB457_1258:
	s_andn2_b64 vcc, exec, s[10:11]
	s_cbranch_vccnz .LBB457_2059
	s_branch .LBB457_1375
.LBB457_1259:
	s_mov_b64 s[10:11], 0
	s_mov_b64 s[0:1], 0
                                        ; implicit-def: $vgpr12
	s_cbranch_execnz .LBB457_1294
	s_branch .LBB457_1324
.LBB457_1260:
	s_mov_b64 s[12:13], -1
	s_mov_b64 s[10:11], 0
	s_mov_b64 s[0:1], 0
                                        ; implicit-def: $vgpr12
	s_branch .LBB457_1277
.LBB457_1261:
	s_mov_b64 s[12:13], -1
	s_mov_b64 s[10:11], 0
	s_mov_b64 s[0:1], 0
                                        ; implicit-def: $vgpr12
	s_branch .LBB457_1272
.LBB457_1262:
	s_or_b64 s[2:3], s[24:25], exec
	s_trap 2
	s_cbranch_execz .LBB457_1203
	s_branch .LBB457_1204
.LBB457_1263:
	s_mov_b64 s[12:13], -1
	s_mov_b64 s[10:11], 0
	s_mov_b64 s[0:1], 0
                                        ; implicit-def: $vgpr12
	s_branch .LBB457_1267
.LBB457_1264:
	s_andn2_saveexec_b64 s[14:15], s[14:15]
	s_cbranch_execz .LBB457_999
.LBB457_1265:
	s_mov_b32 s18, 0x42800000
	v_add_f32_e64 v1, |v0|, s18
	v_and_b32_e32 v1, 0xff, v1
	v_cmp_ne_u32_e32 vcc, 0, v1
	s_andn2_b64 s[12:13], s[12:13], exec
	s_and_b64 s[18:19], vcc, exec
	s_or_b64 s[12:13], s[12:13], s[18:19]
	s_or_b64 exec, exec, s[14:15]
	v_mov_b32_e32 v4, 0
	s_and_saveexec_b64 s[14:15], s[12:13]
	s_cbranch_execnz .LBB457_1000
	s_branch .LBB457_1001
.LBB457_1266:
	s_mov_b64 s[0:1], -1
                                        ; implicit-def: $vgpr12
	s_mov_b64 s[10:11], 0
.LBB457_1267:
	s_and_b64 vcc, exec, s[12:13]
	s_cbranch_vccz .LBB457_1271
; %bb.1268:
	s_cmp_eq_u32 s15, 44
	s_cbranch_scc0 .LBB457_1270
; %bb.1269:
	global_load_ubyte v1, v[16:17], off
	s_mov_b64 s[0:1], 0
	s_mov_b64 s[10:11], -1
	s_waitcnt vmcnt(0)
	v_lshlrev_b32_e32 v3, 23, v1
	v_cvt_i32_f32_e32 v3, v3
	v_cmp_ne_u32_e32 vcc, 0, v1
	s_nop 1
	v_cndmask_b32_e32 v12, 0, v3, vcc
	s_branch .LBB457_1271
.LBB457_1270:
	s_mov_b64 s[0:1], -1
                                        ; implicit-def: $vgpr12
.LBB457_1271:
	s_mov_b64 s[12:13], 0
.LBB457_1272:
	s_and_b64 vcc, exec, s[12:13]
	s_cbranch_vccz .LBB457_1276
; %bb.1273:
	s_cmp_eq_u32 s15, 29
	s_cbranch_scc0 .LBB457_1275
; %bb.1274:
	global_load_dwordx2 v[12:13], v[16:17], off
	s_mov_b64 s[0:1], 0
	s_mov_b64 s[10:11], -1
	s_branch .LBB457_1276
.LBB457_1275:
	s_mov_b64 s[0:1], -1
                                        ; implicit-def: $vgpr12
.LBB457_1276:
	s_mov_b64 s[12:13], 0
.LBB457_1277:
	s_and_b64 vcc, exec, s[12:13]
	s_cbranch_vccz .LBB457_1293
; %bb.1278:
	s_cmp_lt_i32 s15, 27
	s_cbranch_scc1 .LBB457_1281
; %bb.1279:
	s_cmp_gt_i32 s15, 27
	s_cbranch_scc0 .LBB457_1282
; %bb.1280:
	global_load_dword v12, v[16:17], off
	s_mov_b64 s[10:11], 0
	s_branch .LBB457_1283
.LBB457_1281:
	s_mov_b64 s[10:11], -1
                                        ; implicit-def: $vgpr12
	s_branch .LBB457_1286
.LBB457_1282:
	s_mov_b64 s[10:11], -1
                                        ; implicit-def: $vgpr12
.LBB457_1283:
	s_andn2_b64 vcc, exec, s[10:11]
	s_cbranch_vccnz .LBB457_1285
; %bb.1284:
	global_load_ushort v12, v[16:17], off
.LBB457_1285:
	s_mov_b64 s[10:11], 0
.LBB457_1286:
	s_andn2_b64 vcc, exec, s[10:11]
	s_cbranch_vccnz .LBB457_1292
; %bb.1287:
	global_load_ubyte v1, v[16:17], off
	s_movk_i32 s10, 0x7f
	s_mov_b64 s[12:13], 0
	s_waitcnt vmcnt(0)
	v_cmp_lt_i16_e32 vcc, s10, v1
	s_and_saveexec_b64 s[10:11], vcc
	s_xor_b64 s[10:11], exec, s[10:11]
	s_cbranch_execz .LBB457_1303
; %bb.1288:
	s_movk_i32 s12, 0x80
	v_cmp_ne_u16_e32 vcc, s12, v1
	s_and_b64 s[12:13], vcc, exec
	s_andn2_saveexec_b64 s[10:11], s[10:11]
	s_cbranch_execnz .LBB457_1304
.LBB457_1289:
	s_or_b64 exec, exec, s[10:11]
	v_mov_b32_e32 v12, 0
	s_and_saveexec_b64 s[10:11], s[12:13]
	s_cbranch_execz .LBB457_1291
.LBB457_1290:
	v_lshlrev_b32_e32 v3, 24, v1
	v_and_b32_e32 v1, 0xffff, v1
	v_and_b32_e32 v5, 7, v1
	v_ffbh_u32_e32 v9, v5
	v_min_u32_e32 v9, 32, v9
	v_subrev_u32_e32 v11, 28, v9
	v_bfe_u32 v7, v1, 3, 4
	v_lshlrev_b32_e32 v1, v11, v1
	v_sub_u32_e32 v9, 29, v9
	v_and_b32_e32 v1, 7, v1
	v_cmp_eq_u32_e32 vcc, 0, v7
	v_and_b32_e32 v3, 0x80000000, v3
	s_nop 0
	v_cndmask_b32_e32 v7, v7, v9, vcc
	v_cndmask_b32_e32 v1, v5, v1, vcc
	v_mov_b32_e32 v5, 0x3b800000
	v_lshlrev_b32_e32 v1, 20, v1
	v_lshl_add_u32 v5, v7, 23, v5
	v_or3_b32 v1, v3, v5, v1
	v_cvt_i32_f32_e32 v12, v1
.LBB457_1291:
	s_or_b64 exec, exec, s[10:11]
.LBB457_1292:
	s_mov_b64 s[10:11], -1
.LBB457_1293:
	s_branch .LBB457_1324
.LBB457_1294:
	s_cmp_gt_i32 s15, 22
	s_cbranch_scc0 .LBB457_1302
; %bb.1295:
	s_cmp_lt_i32 s15, 24
	s_cbranch_scc1 .LBB457_1305
; %bb.1296:
	s_cmp_gt_i32 s15, 24
	s_cbranch_scc0 .LBB457_1306
; %bb.1297:
	global_load_ubyte v1, v[16:17], off
	s_movk_i32 s8, 0x7f
	s_mov_b64 s[10:11], 0
	s_waitcnt vmcnt(0)
	v_cmp_lt_i16_e32 vcc, s8, v1
	s_and_saveexec_b64 s[8:9], vcc
	s_xor_b64 s[8:9], exec, s[8:9]
	s_cbranch_execz .LBB457_1318
; %bb.1298:
	s_movk_i32 s10, 0x80
	v_cmp_ne_u16_e32 vcc, s10, v1
	s_and_b64 s[10:11], vcc, exec
	s_andn2_saveexec_b64 s[8:9], s[8:9]
	s_cbranch_execnz .LBB457_1319
.LBB457_1299:
	s_or_b64 exec, exec, s[8:9]
	v_mov_b32_e32 v12, 0
	s_and_saveexec_b64 s[8:9], s[10:11]
	s_cbranch_execz .LBB457_1301
.LBB457_1300:
	v_lshlrev_b32_e32 v3, 24, v1
	v_and_b32_e32 v1, 0xffff, v1
	v_and_b32_e32 v5, 3, v1
	v_ffbh_u32_e32 v9, v5
	v_min_u32_e32 v9, 32, v9
	v_subrev_u32_e32 v11, 29, v9
	v_bfe_u32 v7, v1, 2, 5
	v_lshlrev_b32_e32 v1, v11, v1
	v_sub_u32_e32 v9, 30, v9
	v_and_b32_e32 v1, 3, v1
	v_cmp_eq_u32_e32 vcc, 0, v7
	v_and_b32_e32 v3, 0x80000000, v3
	s_nop 0
	v_cndmask_b32_e32 v7, v7, v9, vcc
	v_cndmask_b32_e32 v1, v5, v1, vcc
	v_mov_b32_e32 v5, 0x37800000
	v_lshlrev_b32_e32 v1, 21, v1
	v_lshl_add_u32 v5, v7, 23, v5
	v_or3_b32 v1, v3, v5, v1
	v_cvt_i32_f32_e32 v12, v1
.LBB457_1301:
	s_or_b64 exec, exec, s[8:9]
	s_mov_b64 s[8:9], 0
	s_branch .LBB457_1307
.LBB457_1302:
	s_mov_b64 s[8:9], -1
                                        ; implicit-def: $vgpr12
	s_branch .LBB457_1313
.LBB457_1303:
	s_andn2_saveexec_b64 s[10:11], s[10:11]
	s_cbranch_execz .LBB457_1289
.LBB457_1304:
	v_cmp_ne_u16_e32 vcc, 0, v1
	s_andn2_b64 s[12:13], s[12:13], exec
	s_and_b64 s[16:17], vcc, exec
	s_or_b64 s[12:13], s[12:13], s[16:17]
	s_or_b64 exec, exec, s[10:11]
	v_mov_b32_e32 v12, 0
	s_and_saveexec_b64 s[10:11], s[12:13]
	s_cbranch_execnz .LBB457_1290
	s_branch .LBB457_1291
.LBB457_1305:
	s_mov_b64 s[8:9], -1
                                        ; implicit-def: $vgpr12
	s_branch .LBB457_1310
.LBB457_1306:
	s_mov_b64 s[8:9], -1
                                        ; implicit-def: $vgpr12
.LBB457_1307:
	s_and_b64 vcc, exec, s[8:9]
	s_cbranch_vccz .LBB457_1309
; %bb.1308:
	global_load_ubyte v1, v[16:17], off
	s_mov_b32 s8, 0x7f800000
	s_waitcnt vmcnt(0)
	v_lshlrev_b32_e32 v1, 24, v1
	v_and_b32_e32 v3, 0x7f000000, v1
	v_ffbh_u32_e32 v5, v3
	v_min_u32_e32 v5, 32, v5
	v_sub_u32_e64 v5, v5, 4 clamp
	v_lshlrev_b32_e32 v9, v5, v3
	v_lshlrev_b32_e32 v5, 23, v5
	v_lshrrev_b32_e32 v9, 4, v9
	v_add_u32_e32 v7, 0x1000000, v3
	v_sub_u32_e32 v5, v9, v5
	v_ashrrev_i32_e32 v7, 8, v7
	v_add_u32_e32 v5, 0x3c000000, v5
	v_and_or_b32 v5, v7, s8, v5
	v_cmp_ne_u32_e32 vcc, 0, v3
	s_brev_b32 s8, 1
	s_nop 0
	v_cndmask_b32_e32 v3, 0, v5, vcc
	v_and_or_b32 v1, v1, s8, v3
	v_cvt_i32_f32_e32 v12, v1
.LBB457_1309:
	s_mov_b64 s[8:9], 0
.LBB457_1310:
	s_andn2_b64 vcc, exec, s[8:9]
	s_cbranch_vccnz .LBB457_1312
; %bb.1311:
	global_load_ubyte v1, v[16:17], off
	s_movk_i32 s8, 0x7f00
	s_brev_b32 s9, 16
	s_waitcnt vmcnt(0)
	v_lshlrev_b16_e32 v3, 8, v1
	v_lshlrev_b32_e32 v1, 25, v1
	v_lshrrev_b32_e32 v5, 4, v1
	v_and_or_b32 v7, v3, s8, 0.5
	v_or_b32_e32 v5, 0x70000000, v5
	v_add_f32_e32 v7, -0.5, v7
	v_mul_f32_e32 v5, 0x7800000, v5
	v_cmp_gt_u32_e32 vcc, s9, v1
	v_bfe_i32 v3, v3, 0, 16
	s_brev_b32 s8, 1
	v_cndmask_b32_e32 v1, v5, v7, vcc
	v_and_or_b32 v1, v3, s8, v1
	v_cvt_i32_f32_e32 v12, v1
.LBB457_1312:
	s_mov_b64 s[8:9], 0
	s_mov_b64 s[10:11], -1
.LBB457_1313:
	s_andn2_b64 vcc, exec, s[8:9]
	s_mov_b64 s[8:9], 0
	s_cbranch_vccnz .LBB457_1324
; %bb.1314:
	s_cmp_gt_i32 s15, 14
	s_cbranch_scc0 .LBB457_1317
; %bb.1315:
	s_cmp_eq_u32 s15, 15
	s_cbranch_scc0 .LBB457_1320
; %bb.1316:
	global_load_ushort v1, v[16:17], off
	s_mov_b64 s[0:1], 0
	s_mov_b64 s[10:11], -1
	s_waitcnt vmcnt(0)
	v_lshlrev_b32_e32 v1, 16, v1
	v_cvt_i32_f32_e32 v12, v1
	s_branch .LBB457_1321
.LBB457_1317:
	s_mov_b64 s[12:13], -1
                                        ; implicit-def: $vgpr12
	s_branch .LBB457_1322
.LBB457_1318:
	s_andn2_saveexec_b64 s[8:9], s[8:9]
	s_cbranch_execz .LBB457_1299
.LBB457_1319:
	v_cmp_ne_u16_e32 vcc, 0, v1
	s_andn2_b64 s[10:11], s[10:11], exec
	s_and_b64 s[12:13], vcc, exec
	s_or_b64 s[10:11], s[10:11], s[12:13]
	s_or_b64 exec, exec, s[8:9]
	v_mov_b32_e32 v12, 0
	s_and_saveexec_b64 s[8:9], s[10:11]
	s_cbranch_execnz .LBB457_1300
	s_branch .LBB457_1301
.LBB457_1320:
	s_mov_b64 s[0:1], -1
                                        ; implicit-def: $vgpr12
.LBB457_1321:
	s_mov_b64 s[12:13], 0
.LBB457_1322:
	s_and_b64 vcc, exec, s[12:13]
	s_cbranch_vccz .LBB457_1324
; %bb.1323:
	s_cmp_lg_u32 s15, 11
	s_mov_b64 s[8:9], -1
	s_cselect_b64 s[0:1], -1, 0
.LBB457_1324:
	s_and_b64 vcc, exec, s[0:1]
	s_cbranch_vccnz .LBB457_1387
; %bb.1325:
	s_andn2_b64 vcc, exec, s[8:9]
	s_cbranch_vccnz .LBB457_1327
.LBB457_1326:
	global_load_ubyte v1, v[16:17], off
	s_mov_b64 s[10:11], -1
	s_waitcnt vmcnt(0)
	v_cmp_ne_u16_e32 vcc, 0, v1
	s_nop 1
	v_cndmask_b32_e64 v12, 0, 1, vcc
.LBB457_1327:
	s_branch .LBB457_1258
.LBB457_1328:
	s_cmp_lt_i32 s15, 5
	s_cbranch_scc1 .LBB457_1333
; %bb.1329:
	s_cmp_lt_i32 s15, 8
	s_cbranch_scc1 .LBB457_1334
; %bb.1330:
	;; [unrolled: 3-line block ×3, first 2 shown]
	s_cmp_gt_i32 s15, 9
	s_cbranch_scc0 .LBB457_1336
; %bb.1332:
	global_load_dwordx2 v[12:13], v[16:17], off
	s_mov_b64 s[0:1], 0
	s_waitcnt vmcnt(0)
	v_cvt_i32_f64_e32 v12, v[12:13]
	s_branch .LBB457_1337
.LBB457_1333:
                                        ; implicit-def: $vgpr12
	s_branch .LBB457_1355
.LBB457_1334:
	s_mov_b64 s[0:1], -1
                                        ; implicit-def: $vgpr12
	s_branch .LBB457_1343
.LBB457_1335:
	s_mov_b64 s[0:1], -1
                                        ; implicit-def: $vgpr12
	s_branch .LBB457_1340
.LBB457_1336:
	s_mov_b64 s[0:1], -1
                                        ; implicit-def: $vgpr12
.LBB457_1337:
	s_andn2_b64 vcc, exec, s[0:1]
	s_cbranch_vccnz .LBB457_1339
; %bb.1338:
	global_load_dword v1, v[16:17], off
	s_waitcnt vmcnt(0)
	v_cvt_i32_f32_e32 v12, v1
.LBB457_1339:
	s_mov_b64 s[0:1], 0
.LBB457_1340:
	s_andn2_b64 vcc, exec, s[0:1]
	s_cbranch_vccnz .LBB457_1342
; %bb.1341:
	global_load_dword v1, v[16:17], off
	s_waitcnt vmcnt(0)
	v_cvt_i16_f16_e32 v12, v1
.LBB457_1342:
	s_mov_b64 s[0:1], 0
.LBB457_1343:
	s_andn2_b64 vcc, exec, s[0:1]
	s_cbranch_vccnz .LBB457_1354
; %bb.1344:
	s_cmp_lt_i32 s15, 6
	s_cbranch_scc1 .LBB457_1347
; %bb.1345:
	s_cmp_gt_i32 s15, 6
	s_cbranch_scc0 .LBB457_1348
; %bb.1346:
	global_load_dwordx2 v[12:13], v[16:17], off
	s_mov_b64 s[0:1], 0
	s_waitcnt vmcnt(0)
	v_cvt_i32_f64_e32 v12, v[12:13]
	s_branch .LBB457_1349
.LBB457_1347:
	s_mov_b64 s[0:1], -1
                                        ; implicit-def: $vgpr12
	s_branch .LBB457_1352
.LBB457_1348:
	s_mov_b64 s[0:1], -1
                                        ; implicit-def: $vgpr12
.LBB457_1349:
	s_andn2_b64 vcc, exec, s[0:1]
	s_cbranch_vccnz .LBB457_1351
; %bb.1350:
	global_load_dword v1, v[16:17], off
	s_waitcnt vmcnt(0)
	v_cvt_i32_f32_e32 v12, v1
.LBB457_1351:
	s_mov_b64 s[0:1], 0
.LBB457_1352:
	s_andn2_b64 vcc, exec, s[0:1]
	s_cbranch_vccnz .LBB457_1354
; %bb.1353:
	global_load_ushort v1, v[16:17], off
	s_waitcnt vmcnt(0)
	v_cvt_i16_f16_e32 v12, v1
.LBB457_1354:
	s_cbranch_execnz .LBB457_1374
.LBB457_1355:
	s_cmp_lt_i32 s15, 2
	s_cbranch_scc1 .LBB457_1359
; %bb.1356:
	s_cmp_lt_i32 s15, 3
	s_cbranch_scc1 .LBB457_1360
; %bb.1357:
	s_cmp_gt_i32 s15, 3
	s_cbranch_scc0 .LBB457_1361
; %bb.1358:
	global_load_dwordx2 v[12:13], v[16:17], off
	s_mov_b64 s[0:1], 0
	s_branch .LBB457_1362
.LBB457_1359:
	s_mov_b64 s[0:1], -1
                                        ; implicit-def: $vgpr12
	s_branch .LBB457_1368
.LBB457_1360:
	s_mov_b64 s[0:1], -1
                                        ; implicit-def: $vgpr12
	s_branch .LBB457_1365
.LBB457_1361:
	s_mov_b64 s[0:1], -1
                                        ; implicit-def: $vgpr12
.LBB457_1362:
	s_andn2_b64 vcc, exec, s[0:1]
	s_cbranch_vccnz .LBB457_1364
; %bb.1363:
	global_load_dword v12, v[16:17], off
.LBB457_1364:
	s_mov_b64 s[0:1], 0
.LBB457_1365:
	s_andn2_b64 vcc, exec, s[0:1]
	s_cbranch_vccnz .LBB457_1367
; %bb.1366:
	global_load_ushort v12, v[16:17], off
.LBB457_1367:
	s_mov_b64 s[0:1], 0
.LBB457_1368:
	s_andn2_b64 vcc, exec, s[0:1]
	s_cbranch_vccnz .LBB457_1374
; %bb.1369:
	s_cmp_gt_i32 s15, 0
	s_cbranch_scc0 .LBB457_1371
; %bb.1370:
	global_load_sbyte v12, v[16:17], off
	s_mov_b64 s[0:1], 0
	s_branch .LBB457_1372
.LBB457_1371:
	s_mov_b64 s[0:1], -1
                                        ; implicit-def: $vgpr12
.LBB457_1372:
	s_andn2_b64 vcc, exec, s[0:1]
	s_cbranch_vccnz .LBB457_1374
; %bb.1373:
	global_load_ubyte v12, v[16:17], off
.LBB457_1374:
.LBB457_1375:
	v_mov_b32_e32 v11, 0
	s_cmp_lt_i32 s15, 11
	v_lshl_add_u64 v[16:17], s[6:7], 0, v[10:11]
	s_cbranch_scc1 .LBB457_1382
; %bb.1376:
	s_cmp_gt_i32 s15, 25
	s_mov_b64 s[8:9], 0
	s_cbranch_scc0 .LBB457_1384
; %bb.1377:
	s_cmp_gt_i32 s15, 28
	s_cbranch_scc0 .LBB457_1385
; %bb.1378:
	s_cmp_gt_i32 s15, 43
	;; [unrolled: 3-line block ×3, first 2 shown]
	s_cbranch_scc0 .LBB457_1388
; %bb.1380:
	s_cmp_eq_u32 s15, 46
	s_mov_b64 s[12:13], 0
	s_cbranch_scc0 .LBB457_1389
; %bb.1381:
	global_load_dword v1, v[16:17], off
	s_mov_b64 s[0:1], 0
	s_mov_b64 s[10:11], -1
	s_waitcnt vmcnt(0)
	v_lshlrev_b32_e32 v1, 16, v1
	v_cvt_i32_f32_e32 v10, v1
	s_branch .LBB457_1390
.LBB457_1382:
	s_mov_b64 s[10:11], 0
                                        ; implicit-def: $vgpr10
	s_cbranch_execnz .LBB457_1452
.LBB457_1383:
	s_andn2_b64 vcc, exec, s[10:11]
	s_cbranch_vccnz .LBB457_2059
	s_branch .LBB457_1500
.LBB457_1384:
	s_mov_b64 s[12:13], -1
	s_mov_b64 s[10:11], 0
	s_mov_b64 s[0:1], 0
                                        ; implicit-def: $vgpr10
	s_branch .LBB457_1417
.LBB457_1385:
	s_mov_b64 s[12:13], -1
	s_mov_b64 s[10:11], 0
	s_mov_b64 s[0:1], 0
                                        ; implicit-def: $vgpr10
	s_branch .LBB457_1400
.LBB457_1386:
	s_mov_b64 s[12:13], -1
	s_mov_b64 s[10:11], 0
	s_mov_b64 s[0:1], 0
                                        ; implicit-def: $vgpr10
	s_branch .LBB457_1395
.LBB457_1387:
	s_trap 2
	s_or_b64 s[2:3], s[2:3], exec
	s_cbranch_execz .LBB457_1326
	s_branch .LBB457_1327
.LBB457_1388:
	s_mov_b64 s[12:13], -1
	s_mov_b64 s[10:11], 0
	s_mov_b64 s[0:1], 0
                                        ; implicit-def: $vgpr10
	s_branch .LBB457_1390
.LBB457_1389:
	s_mov_b64 s[0:1], -1
                                        ; implicit-def: $vgpr10
	s_mov_b64 s[10:11], 0
.LBB457_1390:
	s_and_b64 vcc, exec, s[12:13]
	s_cbranch_vccz .LBB457_1394
; %bb.1391:
	s_cmp_eq_u32 s15, 44
	s_cbranch_scc0 .LBB457_1393
; %bb.1392:
	global_load_ubyte v1, v[16:17], off
	s_mov_b64 s[0:1], 0
	s_mov_b64 s[10:11], -1
	s_waitcnt vmcnt(0)
	v_lshlrev_b32_e32 v3, 23, v1
	v_cvt_i32_f32_e32 v3, v3
	v_cmp_ne_u32_e32 vcc, 0, v1
	s_nop 1
	v_cndmask_b32_e32 v10, 0, v3, vcc
	s_branch .LBB457_1394
.LBB457_1393:
	s_mov_b64 s[0:1], -1
                                        ; implicit-def: $vgpr10
.LBB457_1394:
	s_mov_b64 s[12:13], 0
.LBB457_1395:
	s_and_b64 vcc, exec, s[12:13]
	s_cbranch_vccz .LBB457_1399
; %bb.1396:
	s_cmp_eq_u32 s15, 29
	s_cbranch_scc0 .LBB457_1398
; %bb.1397:
	global_load_dwordx2 v[10:11], v[16:17], off
	s_mov_b64 s[0:1], 0
	s_mov_b64 s[10:11], -1
	s_branch .LBB457_1399
.LBB457_1398:
	s_mov_b64 s[0:1], -1
                                        ; implicit-def: $vgpr10
.LBB457_1399:
	s_mov_b64 s[12:13], 0
.LBB457_1400:
	s_and_b64 vcc, exec, s[12:13]
	s_cbranch_vccz .LBB457_1416
; %bb.1401:
	s_cmp_lt_i32 s15, 27
	s_cbranch_scc1 .LBB457_1404
; %bb.1402:
	s_cmp_gt_i32 s15, 27
	s_cbranch_scc0 .LBB457_1405
; %bb.1403:
	global_load_dword v10, v[16:17], off
	s_mov_b64 s[10:11], 0
	s_branch .LBB457_1406
.LBB457_1404:
	s_mov_b64 s[10:11], -1
                                        ; implicit-def: $vgpr10
	s_branch .LBB457_1409
.LBB457_1405:
	s_mov_b64 s[10:11], -1
                                        ; implicit-def: $vgpr10
.LBB457_1406:
	s_andn2_b64 vcc, exec, s[10:11]
	s_cbranch_vccnz .LBB457_1408
; %bb.1407:
	global_load_ushort v10, v[16:17], off
.LBB457_1408:
	s_mov_b64 s[10:11], 0
.LBB457_1409:
	s_andn2_b64 vcc, exec, s[10:11]
	s_cbranch_vccnz .LBB457_1415
; %bb.1410:
	global_load_ubyte v1, v[16:17], off
	s_movk_i32 s10, 0x7f
	s_mov_b64 s[12:13], 0
	s_waitcnt vmcnt(0)
	v_cmp_lt_i16_e32 vcc, s10, v1
	s_and_saveexec_b64 s[10:11], vcc
	s_xor_b64 s[10:11], exec, s[10:11]
	s_cbranch_execz .LBB457_1427
; %bb.1411:
	s_movk_i32 s12, 0x80
	v_cmp_ne_u16_e32 vcc, s12, v1
	s_and_b64 s[12:13], vcc, exec
	s_andn2_saveexec_b64 s[10:11], s[10:11]
	s_cbranch_execnz .LBB457_1428
.LBB457_1412:
	s_or_b64 exec, exec, s[10:11]
	v_mov_b32_e32 v10, 0
	s_and_saveexec_b64 s[10:11], s[12:13]
	s_cbranch_execz .LBB457_1414
.LBB457_1413:
	v_lshlrev_b32_e32 v3, 24, v1
	v_and_b32_e32 v1, 0xffff, v1
	v_and_b32_e32 v5, 7, v1
	v_ffbh_u32_e32 v9, v5
	v_min_u32_e32 v9, 32, v9
	v_subrev_u32_e32 v10, 28, v9
	v_bfe_u32 v7, v1, 3, 4
	v_lshlrev_b32_e32 v1, v10, v1
	v_sub_u32_e32 v9, 29, v9
	v_and_b32_e32 v1, 7, v1
	v_cmp_eq_u32_e32 vcc, 0, v7
	v_and_b32_e32 v3, 0x80000000, v3
	s_nop 0
	v_cndmask_b32_e32 v7, v7, v9, vcc
	v_cndmask_b32_e32 v1, v5, v1, vcc
	v_mov_b32_e32 v5, 0x3b800000
	v_lshlrev_b32_e32 v1, 20, v1
	v_lshl_add_u32 v5, v7, 23, v5
	v_or3_b32 v1, v3, v5, v1
	v_cvt_i32_f32_e32 v10, v1
.LBB457_1414:
	s_or_b64 exec, exec, s[10:11]
.LBB457_1415:
	s_mov_b64 s[10:11], -1
.LBB457_1416:
	s_mov_b64 s[12:13], 0
.LBB457_1417:
	s_and_b64 vcc, exec, s[12:13]
	s_cbranch_vccz .LBB457_1448
; %bb.1418:
	s_cmp_gt_i32 s15, 22
	s_cbranch_scc0 .LBB457_1426
; %bb.1419:
	s_cmp_lt_i32 s15, 24
	s_cbranch_scc1 .LBB457_1429
; %bb.1420:
	s_cmp_gt_i32 s15, 24
	s_cbranch_scc0 .LBB457_1430
; %bb.1421:
	global_load_ubyte v1, v[16:17], off
	s_movk_i32 s8, 0x7f
	s_mov_b64 s[10:11], 0
	s_waitcnt vmcnt(0)
	v_cmp_lt_i16_e32 vcc, s8, v1
	s_and_saveexec_b64 s[8:9], vcc
	s_xor_b64 s[8:9], exec, s[8:9]
	s_cbranch_execz .LBB457_1442
; %bb.1422:
	s_movk_i32 s10, 0x80
	v_cmp_ne_u16_e32 vcc, s10, v1
	s_and_b64 s[10:11], vcc, exec
	s_andn2_saveexec_b64 s[8:9], s[8:9]
	s_cbranch_execnz .LBB457_1443
.LBB457_1423:
	s_or_b64 exec, exec, s[8:9]
	v_mov_b32_e32 v10, 0
	s_and_saveexec_b64 s[8:9], s[10:11]
	s_cbranch_execz .LBB457_1425
.LBB457_1424:
	v_lshlrev_b32_e32 v3, 24, v1
	v_and_b32_e32 v1, 0xffff, v1
	v_and_b32_e32 v5, 3, v1
	v_ffbh_u32_e32 v9, v5
	v_min_u32_e32 v9, 32, v9
	v_subrev_u32_e32 v10, 29, v9
	v_bfe_u32 v7, v1, 2, 5
	v_lshlrev_b32_e32 v1, v10, v1
	v_sub_u32_e32 v9, 30, v9
	v_and_b32_e32 v1, 3, v1
	v_cmp_eq_u32_e32 vcc, 0, v7
	v_and_b32_e32 v3, 0x80000000, v3
	s_nop 0
	v_cndmask_b32_e32 v7, v7, v9, vcc
	v_cndmask_b32_e32 v1, v5, v1, vcc
	v_mov_b32_e32 v5, 0x37800000
	v_lshlrev_b32_e32 v1, 21, v1
	v_lshl_add_u32 v5, v7, 23, v5
	v_or3_b32 v1, v3, v5, v1
	v_cvt_i32_f32_e32 v10, v1
.LBB457_1425:
	s_or_b64 exec, exec, s[8:9]
	s_mov_b64 s[8:9], 0
	s_branch .LBB457_1431
.LBB457_1426:
	s_mov_b64 s[8:9], -1
                                        ; implicit-def: $vgpr10
	s_branch .LBB457_1437
.LBB457_1427:
	s_andn2_saveexec_b64 s[10:11], s[10:11]
	s_cbranch_execz .LBB457_1412
.LBB457_1428:
	v_cmp_ne_u16_e32 vcc, 0, v1
	s_andn2_b64 s[12:13], s[12:13], exec
	s_and_b64 s[16:17], vcc, exec
	s_or_b64 s[12:13], s[12:13], s[16:17]
	s_or_b64 exec, exec, s[10:11]
	v_mov_b32_e32 v10, 0
	s_and_saveexec_b64 s[10:11], s[12:13]
	s_cbranch_execnz .LBB457_1413
	s_branch .LBB457_1414
.LBB457_1429:
	s_mov_b64 s[8:9], -1
                                        ; implicit-def: $vgpr10
	s_branch .LBB457_1434
.LBB457_1430:
	s_mov_b64 s[8:9], -1
                                        ; implicit-def: $vgpr10
.LBB457_1431:
	s_and_b64 vcc, exec, s[8:9]
	s_cbranch_vccz .LBB457_1433
; %bb.1432:
	global_load_ubyte v1, v[16:17], off
	s_mov_b32 s8, 0x7f800000
	s_waitcnt vmcnt(0)
	v_lshlrev_b32_e32 v1, 24, v1
	v_and_b32_e32 v3, 0x7f000000, v1
	v_ffbh_u32_e32 v5, v3
	v_min_u32_e32 v5, 32, v5
	v_sub_u32_e64 v5, v5, 4 clamp
	v_lshlrev_b32_e32 v9, v5, v3
	v_lshlrev_b32_e32 v5, 23, v5
	v_lshrrev_b32_e32 v9, 4, v9
	v_add_u32_e32 v7, 0x1000000, v3
	v_sub_u32_e32 v5, v9, v5
	v_ashrrev_i32_e32 v7, 8, v7
	v_add_u32_e32 v5, 0x3c000000, v5
	v_and_or_b32 v5, v7, s8, v5
	v_cmp_ne_u32_e32 vcc, 0, v3
	s_brev_b32 s8, 1
	s_nop 0
	v_cndmask_b32_e32 v3, 0, v5, vcc
	v_and_or_b32 v1, v1, s8, v3
	v_cvt_i32_f32_e32 v10, v1
.LBB457_1433:
	s_mov_b64 s[8:9], 0
.LBB457_1434:
	s_andn2_b64 vcc, exec, s[8:9]
	s_cbranch_vccnz .LBB457_1436
; %bb.1435:
	global_load_ubyte v1, v[16:17], off
	s_movk_i32 s8, 0x7f00
	s_brev_b32 s9, 16
	s_waitcnt vmcnt(0)
	v_lshlrev_b16_e32 v3, 8, v1
	v_lshlrev_b32_e32 v1, 25, v1
	v_lshrrev_b32_e32 v5, 4, v1
	v_and_or_b32 v7, v3, s8, 0.5
	v_or_b32_e32 v5, 0x70000000, v5
	v_add_f32_e32 v7, -0.5, v7
	v_mul_f32_e32 v5, 0x7800000, v5
	v_cmp_gt_u32_e32 vcc, s9, v1
	v_bfe_i32 v3, v3, 0, 16
	s_brev_b32 s8, 1
	v_cndmask_b32_e32 v1, v5, v7, vcc
	v_and_or_b32 v1, v3, s8, v1
	v_cvt_i32_f32_e32 v10, v1
.LBB457_1436:
	s_mov_b64 s[8:9], 0
	s_mov_b64 s[10:11], -1
.LBB457_1437:
	s_andn2_b64 vcc, exec, s[8:9]
	s_mov_b64 s[8:9], 0
	s_cbranch_vccnz .LBB457_1448
; %bb.1438:
	s_cmp_gt_i32 s15, 14
	s_cbranch_scc0 .LBB457_1441
; %bb.1439:
	s_cmp_eq_u32 s15, 15
	s_cbranch_scc0 .LBB457_1444
; %bb.1440:
	global_load_ushort v1, v[16:17], off
	s_mov_b64 s[0:1], 0
	s_mov_b64 s[10:11], -1
	s_waitcnt vmcnt(0)
	v_lshlrev_b32_e32 v1, 16, v1
	v_cvt_i32_f32_e32 v10, v1
	s_branch .LBB457_1445
.LBB457_1441:
	s_mov_b64 s[12:13], -1
                                        ; implicit-def: $vgpr10
	s_branch .LBB457_1446
.LBB457_1442:
	s_andn2_saveexec_b64 s[8:9], s[8:9]
	s_cbranch_execz .LBB457_1423
.LBB457_1443:
	v_cmp_ne_u16_e32 vcc, 0, v1
	s_andn2_b64 s[10:11], s[10:11], exec
	s_and_b64 s[12:13], vcc, exec
	s_or_b64 s[10:11], s[10:11], s[12:13]
	s_or_b64 exec, exec, s[8:9]
	v_mov_b32_e32 v10, 0
	s_and_saveexec_b64 s[8:9], s[10:11]
	s_cbranch_execnz .LBB457_1424
	s_branch .LBB457_1425
.LBB457_1444:
	s_mov_b64 s[0:1], -1
                                        ; implicit-def: $vgpr10
.LBB457_1445:
	s_mov_b64 s[12:13], 0
.LBB457_1446:
	s_and_b64 vcc, exec, s[12:13]
	s_cbranch_vccz .LBB457_1448
; %bb.1447:
	s_cmp_lg_u32 s15, 11
	s_mov_b64 s[8:9], -1
	s_cselect_b64 s[0:1], -1, 0
.LBB457_1448:
	s_and_b64 vcc, exec, s[0:1]
	s_cbranch_vccnz .LBB457_1511
; %bb.1449:
	s_andn2_b64 vcc, exec, s[8:9]
	s_cbranch_vccnz .LBB457_1451
.LBB457_1450:
	global_load_ubyte v1, v[16:17], off
	s_mov_b64 s[10:11], -1
	s_waitcnt vmcnt(0)
	v_cmp_ne_u16_e32 vcc, 0, v1
	s_nop 1
	v_cndmask_b32_e64 v10, 0, 1, vcc
.LBB457_1451:
	s_branch .LBB457_1383
.LBB457_1452:
	s_cmp_lt_i32 s15, 5
	s_cbranch_scc1 .LBB457_1457
; %bb.1453:
	s_cmp_lt_i32 s15, 8
	s_cbranch_scc1 .LBB457_1458
; %bb.1454:
	s_cmp_lt_i32 s15, 9
	s_cbranch_scc1 .LBB457_1459
; %bb.1455:
	s_cmp_gt_i32 s15, 9
	s_cbranch_scc0 .LBB457_1460
; %bb.1456:
	global_load_dwordx2 v[10:11], v[16:17], off
	s_mov_b64 s[0:1], 0
	s_waitcnt vmcnt(0)
	v_cvt_i32_f64_e32 v10, v[10:11]
	s_branch .LBB457_1461
.LBB457_1457:
	s_mov_b64 s[0:1], -1
                                        ; implicit-def: $vgpr10
	s_branch .LBB457_1479
.LBB457_1458:
	s_mov_b64 s[0:1], -1
                                        ; implicit-def: $vgpr10
	s_branch .LBB457_1467
.LBB457_1459:
	s_mov_b64 s[0:1], -1
                                        ; implicit-def: $vgpr10
	s_branch .LBB457_1464
.LBB457_1460:
	s_mov_b64 s[0:1], -1
                                        ; implicit-def: $vgpr10
.LBB457_1461:
	s_andn2_b64 vcc, exec, s[0:1]
	s_cbranch_vccnz .LBB457_1463
; %bb.1462:
	global_load_dword v1, v[16:17], off
	s_waitcnt vmcnt(0)
	v_cvt_i32_f32_e32 v10, v1
.LBB457_1463:
	s_mov_b64 s[0:1], 0
.LBB457_1464:
	s_andn2_b64 vcc, exec, s[0:1]
	s_cbranch_vccnz .LBB457_1466
; %bb.1465:
	global_load_dword v1, v[16:17], off
	s_waitcnt vmcnt(0)
	v_cvt_i16_f16_e32 v10, v1
.LBB457_1466:
	s_mov_b64 s[0:1], 0
.LBB457_1467:
	s_andn2_b64 vcc, exec, s[0:1]
	s_cbranch_vccnz .LBB457_1478
; %bb.1468:
	s_cmp_lt_i32 s15, 6
	s_cbranch_scc1 .LBB457_1471
; %bb.1469:
	s_cmp_gt_i32 s15, 6
	s_cbranch_scc0 .LBB457_1472
; %bb.1470:
	global_load_dwordx2 v[10:11], v[16:17], off
	s_mov_b64 s[0:1], 0
	s_waitcnt vmcnt(0)
	v_cvt_i32_f64_e32 v10, v[10:11]
	s_branch .LBB457_1473
.LBB457_1471:
	s_mov_b64 s[0:1], -1
                                        ; implicit-def: $vgpr10
	s_branch .LBB457_1476
.LBB457_1472:
	s_mov_b64 s[0:1], -1
                                        ; implicit-def: $vgpr10
.LBB457_1473:
	s_andn2_b64 vcc, exec, s[0:1]
	s_cbranch_vccnz .LBB457_1475
; %bb.1474:
	global_load_dword v1, v[16:17], off
	s_waitcnt vmcnt(0)
	v_cvt_i32_f32_e32 v10, v1
.LBB457_1475:
	s_mov_b64 s[0:1], 0
.LBB457_1476:
	s_andn2_b64 vcc, exec, s[0:1]
	s_cbranch_vccnz .LBB457_1478
; %bb.1477:
	global_load_ushort v1, v[16:17], off
	s_waitcnt vmcnt(0)
	v_cvt_i16_f16_e32 v10, v1
.LBB457_1478:
	s_mov_b64 s[0:1], 0
.LBB457_1479:
	s_andn2_b64 vcc, exec, s[0:1]
	s_cbranch_vccnz .LBB457_1499
; %bb.1480:
	s_cmp_lt_i32 s15, 2
	s_cbranch_scc1 .LBB457_1484
; %bb.1481:
	s_cmp_lt_i32 s15, 3
	s_cbranch_scc1 .LBB457_1485
; %bb.1482:
	s_cmp_gt_i32 s15, 3
	s_cbranch_scc0 .LBB457_1486
; %bb.1483:
	global_load_dwordx2 v[10:11], v[16:17], off
	s_mov_b64 s[0:1], 0
	s_branch .LBB457_1487
.LBB457_1484:
	s_mov_b64 s[0:1], -1
                                        ; implicit-def: $vgpr10
	s_branch .LBB457_1493
.LBB457_1485:
	s_mov_b64 s[0:1], -1
                                        ; implicit-def: $vgpr10
	s_branch .LBB457_1490
.LBB457_1486:
	s_mov_b64 s[0:1], -1
                                        ; implicit-def: $vgpr10
.LBB457_1487:
	s_andn2_b64 vcc, exec, s[0:1]
	s_cbranch_vccnz .LBB457_1489
; %bb.1488:
	global_load_dword v10, v[16:17], off
.LBB457_1489:
	s_mov_b64 s[0:1], 0
.LBB457_1490:
	s_andn2_b64 vcc, exec, s[0:1]
	s_cbranch_vccnz .LBB457_1492
; %bb.1491:
	global_load_ushort v10, v[16:17], off
.LBB457_1492:
	s_mov_b64 s[0:1], 0
.LBB457_1493:
	s_andn2_b64 vcc, exec, s[0:1]
	s_cbranch_vccnz .LBB457_1499
; %bb.1494:
	s_cmp_gt_i32 s15, 0
	s_cbranch_scc0 .LBB457_1496
; %bb.1495:
	global_load_sbyte v10, v[16:17], off
	s_mov_b64 s[0:1], 0
	s_branch .LBB457_1497
.LBB457_1496:
	s_mov_b64 s[0:1], -1
                                        ; implicit-def: $vgpr10
.LBB457_1497:
	s_andn2_b64 vcc, exec, s[0:1]
	s_cbranch_vccnz .LBB457_1499
; %bb.1498:
	global_load_ubyte v10, v[16:17], off
.LBB457_1499:
.LBB457_1500:
	v_mov_b32_e32 v9, 0
	s_cmp_lt_i32 s15, 11
	v_lshl_add_u64 v[16:17], s[6:7], 0, v[8:9]
	s_cbranch_scc1 .LBB457_1507
; %bb.1501:
	s_cmp_gt_i32 s15, 25
	s_mov_b64 s[6:7], 0
	s_cbranch_scc0 .LBB457_1508
; %bb.1502:
	s_cmp_gt_i32 s15, 28
	s_cbranch_scc0 .LBB457_1509
; %bb.1503:
	s_cmp_gt_i32 s15, 43
	;; [unrolled: 3-line block ×3, first 2 shown]
	s_cbranch_scc0 .LBB457_1512
; %bb.1505:
	s_cmp_eq_u32 s15, 46
	s_mov_b64 s[10:11], 0
	s_cbranch_scc0 .LBB457_1513
; %bb.1506:
	global_load_dword v1, v[16:17], off
	s_mov_b64 s[0:1], 0
	s_mov_b64 s[8:9], -1
	s_waitcnt vmcnt(0)
	v_lshlrev_b32_e32 v1, 16, v1
	v_cvt_i32_f32_e32 v8, v1
	s_branch .LBB457_1514
.LBB457_1507:
	s_mov_b64 s[0:1], -1
	s_mov_b64 s[8:9], 0
                                        ; implicit-def: $vgpr8
	s_branch .LBB457_1576
.LBB457_1508:
	s_mov_b64 s[10:11], -1
	s_mov_b64 s[8:9], 0
	s_mov_b64 s[0:1], 0
                                        ; implicit-def: $vgpr8
	s_branch .LBB457_1541
.LBB457_1509:
	s_mov_b64 s[10:11], -1
	s_mov_b64 s[8:9], 0
	s_mov_b64 s[0:1], 0
                                        ; implicit-def: $vgpr8
	s_branch .LBB457_1524
.LBB457_1510:
	s_mov_b64 s[10:11], -1
	s_mov_b64 s[8:9], 0
	s_mov_b64 s[0:1], 0
                                        ; implicit-def: $vgpr8
	s_branch .LBB457_1519
.LBB457_1511:
	s_trap 2
	s_or_b64 s[2:3], s[2:3], exec
	s_cbranch_execz .LBB457_1450
	s_branch .LBB457_1451
.LBB457_1512:
	s_mov_b64 s[10:11], -1
	s_mov_b64 s[8:9], 0
	s_mov_b64 s[0:1], 0
                                        ; implicit-def: $vgpr8
	s_branch .LBB457_1514
.LBB457_1513:
	s_mov_b64 s[0:1], -1
                                        ; implicit-def: $vgpr8
	s_mov_b64 s[8:9], 0
.LBB457_1514:
	s_and_b64 vcc, exec, s[10:11]
	s_cbranch_vccz .LBB457_1518
; %bb.1515:
	s_cmp_eq_u32 s15, 44
	s_cbranch_scc0 .LBB457_1517
; %bb.1516:
	global_load_ubyte v1, v[16:17], off
	s_mov_b64 s[0:1], 0
	s_mov_b64 s[8:9], -1
	s_waitcnt vmcnt(0)
	v_lshlrev_b32_e32 v3, 23, v1
	v_cvt_i32_f32_e32 v3, v3
	v_cmp_ne_u32_e32 vcc, 0, v1
	s_nop 1
	v_cndmask_b32_e32 v8, 0, v3, vcc
	s_branch .LBB457_1518
.LBB457_1517:
	s_mov_b64 s[0:1], -1
                                        ; implicit-def: $vgpr8
.LBB457_1518:
	s_mov_b64 s[10:11], 0
.LBB457_1519:
	s_and_b64 vcc, exec, s[10:11]
	s_cbranch_vccz .LBB457_1523
; %bb.1520:
	s_cmp_eq_u32 s15, 29
	s_cbranch_scc0 .LBB457_1522
; %bb.1521:
	global_load_dwordx2 v[8:9], v[16:17], off
	s_mov_b64 s[0:1], 0
	s_mov_b64 s[8:9], -1
	s_branch .LBB457_1523
.LBB457_1522:
	s_mov_b64 s[0:1], -1
                                        ; implicit-def: $vgpr8
.LBB457_1523:
	s_mov_b64 s[10:11], 0
.LBB457_1524:
	s_and_b64 vcc, exec, s[10:11]
	s_cbranch_vccz .LBB457_1540
; %bb.1525:
	s_cmp_lt_i32 s15, 27
	s_cbranch_scc1 .LBB457_1528
; %bb.1526:
	s_cmp_gt_i32 s15, 27
	s_cbranch_scc0 .LBB457_1529
; %bb.1527:
	global_load_dword v8, v[16:17], off
	s_mov_b64 s[8:9], 0
	s_branch .LBB457_1530
.LBB457_1528:
	s_mov_b64 s[8:9], -1
                                        ; implicit-def: $vgpr8
	s_branch .LBB457_1533
.LBB457_1529:
	s_mov_b64 s[8:9], -1
                                        ; implicit-def: $vgpr8
.LBB457_1530:
	s_andn2_b64 vcc, exec, s[8:9]
	s_cbranch_vccnz .LBB457_1532
; %bb.1531:
	global_load_ushort v8, v[16:17], off
.LBB457_1532:
	s_mov_b64 s[8:9], 0
.LBB457_1533:
	s_andn2_b64 vcc, exec, s[8:9]
	s_cbranch_vccnz .LBB457_1539
; %bb.1534:
	global_load_ubyte v1, v[16:17], off
	s_movk_i32 s8, 0x7f
	s_mov_b64 s[10:11], 0
	s_waitcnt vmcnt(0)
	v_cmp_lt_i16_e32 vcc, s8, v1
	s_and_saveexec_b64 s[8:9], vcc
	s_xor_b64 s[8:9], exec, s[8:9]
	s_cbranch_execz .LBB457_1551
; %bb.1535:
	s_movk_i32 s10, 0x80
	v_cmp_ne_u16_e32 vcc, s10, v1
	s_and_b64 s[10:11], vcc, exec
	s_andn2_saveexec_b64 s[8:9], s[8:9]
	s_cbranch_execnz .LBB457_1552
.LBB457_1536:
	s_or_b64 exec, exec, s[8:9]
	v_mov_b32_e32 v8, 0
	s_and_saveexec_b64 s[8:9], s[10:11]
	s_cbranch_execz .LBB457_1538
.LBB457_1537:
	v_lshlrev_b32_e32 v3, 24, v1
	v_and_b32_e32 v1, 0xffff, v1
	v_and_b32_e32 v5, 7, v1
	v_ffbh_u32_e32 v8, v5
	v_min_u32_e32 v8, 32, v8
	v_subrev_u32_e32 v9, 28, v8
	v_bfe_u32 v7, v1, 3, 4
	v_lshlrev_b32_e32 v1, v9, v1
	v_sub_u32_e32 v8, 29, v8
	v_and_b32_e32 v1, 7, v1
	v_cmp_eq_u32_e32 vcc, 0, v7
	v_and_b32_e32 v3, 0x80000000, v3
	s_nop 0
	v_cndmask_b32_e32 v7, v7, v8, vcc
	v_cndmask_b32_e32 v1, v5, v1, vcc
	v_mov_b32_e32 v5, 0x3b800000
	v_lshlrev_b32_e32 v1, 20, v1
	v_lshl_add_u32 v5, v7, 23, v5
	v_or3_b32 v1, v3, v5, v1
	v_cvt_i32_f32_e32 v8, v1
.LBB457_1538:
	s_or_b64 exec, exec, s[8:9]
.LBB457_1539:
	s_mov_b64 s[8:9], -1
.LBB457_1540:
	s_mov_b64 s[10:11], 0
.LBB457_1541:
	s_and_b64 vcc, exec, s[10:11]
	s_cbranch_vccz .LBB457_1572
; %bb.1542:
	s_cmp_gt_i32 s15, 22
	s_cbranch_scc0 .LBB457_1550
; %bb.1543:
	s_cmp_lt_i32 s15, 24
	s_cbranch_scc1 .LBB457_1553
; %bb.1544:
	s_cmp_gt_i32 s15, 24
	s_cbranch_scc0 .LBB457_1554
; %bb.1545:
	global_load_ubyte v1, v[16:17], off
	s_movk_i32 s6, 0x7f
	s_mov_b64 s[8:9], 0
	s_waitcnt vmcnt(0)
	v_cmp_lt_i16_e32 vcc, s6, v1
	s_and_saveexec_b64 s[6:7], vcc
	s_xor_b64 s[6:7], exec, s[6:7]
	s_cbranch_execz .LBB457_1566
; %bb.1546:
	s_movk_i32 s8, 0x80
	v_cmp_ne_u16_e32 vcc, s8, v1
	s_and_b64 s[8:9], vcc, exec
	s_andn2_saveexec_b64 s[6:7], s[6:7]
	s_cbranch_execnz .LBB457_1567
.LBB457_1547:
	s_or_b64 exec, exec, s[6:7]
	v_mov_b32_e32 v8, 0
	s_and_saveexec_b64 s[6:7], s[8:9]
	s_cbranch_execz .LBB457_1549
.LBB457_1548:
	v_lshlrev_b32_e32 v3, 24, v1
	v_and_b32_e32 v1, 0xffff, v1
	v_and_b32_e32 v5, 3, v1
	v_ffbh_u32_e32 v8, v5
	v_min_u32_e32 v8, 32, v8
	v_subrev_u32_e32 v9, 29, v8
	v_bfe_u32 v7, v1, 2, 5
	v_lshlrev_b32_e32 v1, v9, v1
	v_sub_u32_e32 v8, 30, v8
	v_and_b32_e32 v1, 3, v1
	v_cmp_eq_u32_e32 vcc, 0, v7
	v_and_b32_e32 v3, 0x80000000, v3
	s_nop 0
	v_cndmask_b32_e32 v7, v7, v8, vcc
	v_cndmask_b32_e32 v1, v5, v1, vcc
	v_mov_b32_e32 v5, 0x37800000
	v_lshlrev_b32_e32 v1, 21, v1
	v_lshl_add_u32 v5, v7, 23, v5
	v_or3_b32 v1, v3, v5, v1
	v_cvt_i32_f32_e32 v8, v1
.LBB457_1549:
	s_or_b64 exec, exec, s[6:7]
	s_mov_b64 s[6:7], 0
	s_branch .LBB457_1555
.LBB457_1550:
	s_mov_b64 s[6:7], -1
                                        ; implicit-def: $vgpr8
	s_branch .LBB457_1561
.LBB457_1551:
	s_andn2_saveexec_b64 s[8:9], s[8:9]
	s_cbranch_execz .LBB457_1536
.LBB457_1552:
	v_cmp_ne_u16_e32 vcc, 0, v1
	s_andn2_b64 s[10:11], s[10:11], exec
	s_and_b64 s[12:13], vcc, exec
	s_or_b64 s[10:11], s[10:11], s[12:13]
	s_or_b64 exec, exec, s[8:9]
	v_mov_b32_e32 v8, 0
	s_and_saveexec_b64 s[8:9], s[10:11]
	s_cbranch_execnz .LBB457_1537
	s_branch .LBB457_1538
.LBB457_1553:
	s_mov_b64 s[6:7], -1
                                        ; implicit-def: $vgpr8
	s_branch .LBB457_1558
.LBB457_1554:
	s_mov_b64 s[6:7], -1
                                        ; implicit-def: $vgpr8
.LBB457_1555:
	s_and_b64 vcc, exec, s[6:7]
	s_cbranch_vccz .LBB457_1557
; %bb.1556:
	global_load_ubyte v1, v[16:17], off
	s_mov_b32 s6, 0x7f800000
	s_waitcnt vmcnt(0)
	v_lshlrev_b32_e32 v1, 24, v1
	v_and_b32_e32 v3, 0x7f000000, v1
	v_ffbh_u32_e32 v5, v3
	v_min_u32_e32 v5, 32, v5
	v_sub_u32_e64 v5, v5, 4 clamp
	v_lshlrev_b32_e32 v8, v5, v3
	v_lshlrev_b32_e32 v5, 23, v5
	v_lshrrev_b32_e32 v8, 4, v8
	v_add_u32_e32 v7, 0x1000000, v3
	v_sub_u32_e32 v5, v8, v5
	v_ashrrev_i32_e32 v7, 8, v7
	v_add_u32_e32 v5, 0x3c000000, v5
	v_and_or_b32 v5, v7, s6, v5
	v_cmp_ne_u32_e32 vcc, 0, v3
	s_brev_b32 s6, 1
	s_nop 0
	v_cndmask_b32_e32 v3, 0, v5, vcc
	v_and_or_b32 v1, v1, s6, v3
	v_cvt_i32_f32_e32 v8, v1
.LBB457_1557:
	s_mov_b64 s[6:7], 0
.LBB457_1558:
	s_andn2_b64 vcc, exec, s[6:7]
	s_cbranch_vccnz .LBB457_1560
; %bb.1559:
	global_load_ubyte v1, v[16:17], off
	s_movk_i32 s6, 0x7f00
	s_brev_b32 s7, 16
	s_waitcnt vmcnt(0)
	v_lshlrev_b16_e32 v3, 8, v1
	v_lshlrev_b32_e32 v1, 25, v1
	v_lshrrev_b32_e32 v5, 4, v1
	v_and_or_b32 v7, v3, s6, 0.5
	v_or_b32_e32 v5, 0x70000000, v5
	v_add_f32_e32 v7, -0.5, v7
	v_mul_f32_e32 v5, 0x7800000, v5
	v_cmp_gt_u32_e32 vcc, s7, v1
	v_bfe_i32 v3, v3, 0, 16
	s_brev_b32 s6, 1
	v_cndmask_b32_e32 v1, v5, v7, vcc
	v_and_or_b32 v1, v3, s6, v1
	v_cvt_i32_f32_e32 v8, v1
.LBB457_1560:
	s_mov_b64 s[6:7], 0
	s_mov_b64 s[8:9], -1
.LBB457_1561:
	s_andn2_b64 vcc, exec, s[6:7]
	s_mov_b64 s[6:7], 0
	s_cbranch_vccnz .LBB457_1572
; %bb.1562:
	s_cmp_gt_i32 s15, 14
	s_cbranch_scc0 .LBB457_1565
; %bb.1563:
	s_cmp_eq_u32 s15, 15
	s_cbranch_scc0 .LBB457_1568
; %bb.1564:
	global_load_ushort v1, v[16:17], off
	s_mov_b64 s[0:1], 0
	s_mov_b64 s[8:9], -1
	s_waitcnt vmcnt(0)
	v_lshlrev_b32_e32 v1, 16, v1
	v_cvt_i32_f32_e32 v8, v1
	s_branch .LBB457_1569
.LBB457_1565:
	s_mov_b64 s[10:11], -1
                                        ; implicit-def: $vgpr8
	s_branch .LBB457_1570
.LBB457_1566:
	s_andn2_saveexec_b64 s[6:7], s[6:7]
	s_cbranch_execz .LBB457_1547
.LBB457_1567:
	v_cmp_ne_u16_e32 vcc, 0, v1
	s_andn2_b64 s[8:9], s[8:9], exec
	s_and_b64 s[10:11], vcc, exec
	s_or_b64 s[8:9], s[8:9], s[10:11]
	s_or_b64 exec, exec, s[6:7]
	v_mov_b32_e32 v8, 0
	s_and_saveexec_b64 s[6:7], s[8:9]
	s_cbranch_execnz .LBB457_1548
	s_branch .LBB457_1549
.LBB457_1568:
	s_mov_b64 s[0:1], -1
                                        ; implicit-def: $vgpr8
.LBB457_1569:
	s_mov_b64 s[10:11], 0
.LBB457_1570:
	s_and_b64 vcc, exec, s[10:11]
	s_cbranch_vccz .LBB457_1572
; %bb.1571:
	s_cmp_lg_u32 s15, 11
	s_mov_b64 s[6:7], -1
	s_cselect_b64 s[0:1], -1, 0
.LBB457_1572:
	s_and_b64 vcc, exec, s[0:1]
	s_cbranch_vccnz .LBB457_2105
; %bb.1573:
	s_andn2_b64 vcc, exec, s[6:7]
	s_cbranch_vccnz .LBB457_1575
.LBB457_1574:
	global_load_ubyte v1, v[16:17], off
	s_mov_b64 s[8:9], -1
	s_waitcnt vmcnt(0)
	v_cmp_ne_u16_e32 vcc, 0, v1
	s_nop 1
	v_cndmask_b32_e64 v8, 0, 1, vcc
.LBB457_1575:
	s_mov_b64 s[0:1], 0
.LBB457_1576:
	s_and_b64 vcc, exec, s[0:1]
	s_cbranch_vccz .LBB457_1625
; %bb.1577:
	s_cmp_lt_i32 s15, 5
	s_cbranch_scc1 .LBB457_1582
; %bb.1578:
	s_cmp_lt_i32 s15, 8
	s_cbranch_scc1 .LBB457_1583
; %bb.1579:
	s_cmp_lt_i32 s15, 9
	s_cbranch_scc1 .LBB457_1584
; %bb.1580:
	s_cmp_gt_i32 s15, 9
	s_cbranch_scc0 .LBB457_1585
; %bb.1581:
	global_load_dwordx2 v[8:9], v[16:17], off
	s_mov_b64 s[0:1], 0
	s_waitcnt vmcnt(0)
	v_cvt_i32_f64_e32 v8, v[8:9]
	s_branch .LBB457_1586
.LBB457_1582:
	s_mov_b64 s[0:1], -1
                                        ; implicit-def: $vgpr8
	s_branch .LBB457_1604
.LBB457_1583:
	s_mov_b64 s[0:1], -1
                                        ; implicit-def: $vgpr8
	s_branch .LBB457_1592
.LBB457_1584:
	s_mov_b64 s[0:1], -1
                                        ; implicit-def: $vgpr8
	s_branch .LBB457_1589
.LBB457_1585:
	s_mov_b64 s[0:1], -1
                                        ; implicit-def: $vgpr8
.LBB457_1586:
	s_andn2_b64 vcc, exec, s[0:1]
	s_cbranch_vccnz .LBB457_1588
; %bb.1587:
	global_load_dword v1, v[16:17], off
	s_waitcnt vmcnt(0)
	v_cvt_i32_f32_e32 v8, v1
.LBB457_1588:
	s_mov_b64 s[0:1], 0
.LBB457_1589:
	s_andn2_b64 vcc, exec, s[0:1]
	s_cbranch_vccnz .LBB457_1591
; %bb.1590:
	global_load_dword v1, v[16:17], off
	s_waitcnt vmcnt(0)
	v_cvt_i16_f16_e32 v8, v1
.LBB457_1591:
	s_mov_b64 s[0:1], 0
.LBB457_1592:
	s_andn2_b64 vcc, exec, s[0:1]
	s_cbranch_vccnz .LBB457_1603
; %bb.1593:
	s_cmp_lt_i32 s15, 6
	s_cbranch_scc1 .LBB457_1596
; %bb.1594:
	s_cmp_gt_i32 s15, 6
	s_cbranch_scc0 .LBB457_1597
; %bb.1595:
	global_load_dwordx2 v[8:9], v[16:17], off
	s_mov_b64 s[0:1], 0
	s_waitcnt vmcnt(0)
	v_cvt_i32_f64_e32 v8, v[8:9]
	s_branch .LBB457_1598
.LBB457_1596:
	s_mov_b64 s[0:1], -1
                                        ; implicit-def: $vgpr8
	s_branch .LBB457_1601
.LBB457_1597:
	s_mov_b64 s[0:1], -1
                                        ; implicit-def: $vgpr8
.LBB457_1598:
	s_andn2_b64 vcc, exec, s[0:1]
	s_cbranch_vccnz .LBB457_1600
; %bb.1599:
	global_load_dword v1, v[16:17], off
	s_waitcnt vmcnt(0)
	v_cvt_i32_f32_e32 v8, v1
.LBB457_1600:
	s_mov_b64 s[0:1], 0
.LBB457_1601:
	s_andn2_b64 vcc, exec, s[0:1]
	s_cbranch_vccnz .LBB457_1603
; %bb.1602:
	global_load_ushort v1, v[16:17], off
	s_waitcnt vmcnt(0)
	v_cvt_i16_f16_e32 v8, v1
.LBB457_1603:
	s_mov_b64 s[0:1], 0
.LBB457_1604:
	s_andn2_b64 vcc, exec, s[0:1]
	s_cbranch_vccnz .LBB457_1624
; %bb.1605:
	s_cmp_lt_i32 s15, 2
	s_cbranch_scc1 .LBB457_1609
; %bb.1606:
	s_cmp_lt_i32 s15, 3
	s_cbranch_scc1 .LBB457_1610
; %bb.1607:
	s_cmp_gt_i32 s15, 3
	s_cbranch_scc0 .LBB457_1611
; %bb.1608:
	global_load_dwordx2 v[8:9], v[16:17], off
	s_mov_b64 s[0:1], 0
	s_branch .LBB457_1612
.LBB457_1609:
	s_mov_b64 s[0:1], -1
                                        ; implicit-def: $vgpr8
	s_branch .LBB457_1618
.LBB457_1610:
	s_mov_b64 s[0:1], -1
                                        ; implicit-def: $vgpr8
	s_branch .LBB457_1615
.LBB457_1611:
	s_mov_b64 s[0:1], -1
                                        ; implicit-def: $vgpr8
.LBB457_1612:
	s_andn2_b64 vcc, exec, s[0:1]
	s_cbranch_vccnz .LBB457_1614
; %bb.1613:
	global_load_dword v8, v[16:17], off
.LBB457_1614:
	s_mov_b64 s[0:1], 0
.LBB457_1615:
	s_andn2_b64 vcc, exec, s[0:1]
	s_cbranch_vccnz .LBB457_1617
; %bb.1616:
	global_load_ushort v8, v[16:17], off
.LBB457_1617:
	s_mov_b64 s[0:1], 0
.LBB457_1618:
	s_andn2_b64 vcc, exec, s[0:1]
	s_cbranch_vccnz .LBB457_1624
; %bb.1619:
	s_cmp_gt_i32 s15, 0
	s_cbranch_scc0 .LBB457_1621
; %bb.1620:
	global_load_sbyte v8, v[16:17], off
	s_mov_b64 s[0:1], 0
	s_branch .LBB457_1622
.LBB457_1621:
	s_mov_b64 s[0:1], -1
                                        ; implicit-def: $vgpr8
.LBB457_1622:
	s_andn2_b64 vcc, exec, s[0:1]
	s_cbranch_vccnz .LBB457_1624
; %bb.1623:
	global_load_ubyte v8, v[16:17], off
.LBB457_1624:
	s_mov_b64 s[8:9], -1
.LBB457_1625:
	s_andn2_b64 vcc, exec, s[8:9]
	s_cbranch_vccnz .LBB457_2059
; %bb.1626:
	s_load_dword s15, s[34:35], 0x158
	s_bfe_u32 s16, s14, 0x80010
	v_mov_b32_e32 v7, 0
	s_cmp_lt_i32 s16, 11
	v_lshl_add_u64 v[6:7], s[4:5], 0, v[6:7]
	s_waitcnt vmcnt(0) lgkmcnt(0)
	v_min_i16_e32 v1, s15, v14
	s_cbranch_scc1 .LBB457_1704
; %bb.1627:
	s_and_b32 s17, 0xffff, s16
	s_mov_b64 s[10:11], -1
	s_mov_b64 s[6:7], 0
	s_cmp_gt_i32 s17, 25
	s_mov_b64 s[8:9], 0
	s_mov_b64 s[0:1], 0
	s_cbranch_scc0 .LBB457_1660
; %bb.1628:
	s_cmp_gt_i32 s17, 28
	s_cbranch_scc0 .LBB457_1643
; %bb.1629:
	s_cmp_gt_i32 s17, 43
	;; [unrolled: 3-line block ×3, first 2 shown]
	s_cbranch_scc0 .LBB457_1633
; %bb.1631:
	s_mov_b64 s[0:1], -1
	s_mov_b64 s[10:11], 0
	s_cmp_eq_u32 s17, 46
	s_cbranch_scc0 .LBB457_1633
; %bb.1632:
	v_cvt_f32_i32_sdwa v3, sext(v1) dst_sel:DWORD dst_unused:UNUSED_PAD src0_sel:WORD_0
	s_movk_i32 s8, 0x7fff
	s_mov_b64 s[0:1], 0
	v_bfe_u32 v5, v3, 16, 1
	v_add3_u32 v3, v3, v5, s8
	v_lshrrev_b32_e32 v3, 16, v3
	global_store_dword v[6:7], v3, off
	s_mov_b64 s[8:9], -1
.LBB457_1633:
	s_and_b64 vcc, exec, s[10:11]
	s_cbranch_vccz .LBB457_1638
; %bb.1634:
	s_cmp_eq_u32 s17, 44
	s_mov_b64 s[0:1], -1
	s_cbranch_scc0 .LBB457_1638
; %bb.1635:
	v_cvt_f32_i32_sdwa v3, sext(v1) dst_sel:DWORD dst_unused:UNUSED_PAD src0_sel:WORD_0
	s_movk_i32 s0, 0xff
	v_mov_b32_e32 v9, 0xff
	v_bfe_u32 v5, v3, 23, 8
	v_cmp_ne_u32_e32 vcc, s0, v5
	s_and_saveexec_b64 s[8:9], vcc
; %bb.1636:
	s_mov_b32 s0, 0x3fffff
	v_lshrrev_b32_e32 v9, 23, v3
	v_and_b32_e32 v11, 0x400000, v3
	v_and_or_b32 v3, v3, s0, v5
	v_cmp_ne_u32_e32 vcc, 0, v11
	v_cmp_ne_u32_e64 s[0:1], 0, v3
	s_and_b64 s[0:1], vcc, s[0:1]
	s_nop 0
	v_cndmask_b32_e64 v3, 0, 1, s[0:1]
	v_add_u32_e32 v9, v9, v3
; %bb.1637:
	s_or_b64 exec, exec, s[8:9]
	s_mov_b64 s[0:1], 0
	s_mov_b64 s[8:9], -1
	global_store_byte v[6:7], v9, off
.LBB457_1638:
	s_mov_b64 s[10:11], 0
.LBB457_1639:
	s_and_b64 vcc, exec, s[10:11]
	s_cbranch_vccz .LBB457_1642
; %bb.1640:
	s_cmp_eq_u32 s17, 29
	s_mov_b64 s[0:1], -1
	s_cbranch_scc0 .LBB457_1642
; %bb.1641:
	v_bfe_i32 v14, v1, 0, 16
	v_ashrrev_i32_e32 v15, 31, v14
	global_store_dwordx2 v[6:7], v[14:15], off
	s_mov_b64 s[0:1], 0
	s_mov_b64 s[8:9], -1
.LBB457_1642:
	s_mov_b64 s[10:11], 0
.LBB457_1643:
	s_and_b64 vcc, exec, s[10:11]
	s_cbranch_vccz .LBB457_1659
; %bb.1644:
	s_cmp_lt_i32 s17, 27
	s_mov_b64 s[8:9], -1
	s_cbranch_scc1 .LBB457_1650
; %bb.1645:
	s_cmp_gt_i32 s17, 27
	s_cbranch_scc0 .LBB457_1647
; %bb.1646:
	v_bfe_i32 v3, v1, 0, 16
	s_mov_b64 s[8:9], 0
	global_store_dword v[6:7], v3, off
.LBB457_1647:
	s_andn2_b64 vcc, exec, s[8:9]
	s_cbranch_vccnz .LBB457_1649
; %bb.1648:
	global_store_short v[6:7], v1, off
.LBB457_1649:
	s_mov_b64 s[8:9], 0
.LBB457_1650:
	s_andn2_b64 vcc, exec, s[8:9]
	s_cbranch_vccnz .LBB457_1658
; %bb.1651:
	v_cvt_f32_i32_sdwa v3, sext(v1) dst_sel:DWORD dst_unused:UNUSED_PAD src0_sel:WORD_0
	s_mov_b32 s8, 0x43800000
	v_mov_b32_e32 v9, 0x80
	v_and_b32_e32 v5, 0x7fffffff, v3
	v_cmp_gt_u32_e32 vcc, s8, v5
	s_and_saveexec_b64 s[8:9], vcc
	s_cbranch_execz .LBB457_1657
; %bb.1652:
	s_mov_b32 s10, 0x3bffffff
	v_cmp_lt_u32_e32 vcc, s10, v5
	s_mov_b64 s[10:11], 0
                                        ; implicit-def: $vgpr5
	s_and_saveexec_b64 s[12:13], vcc
	s_xor_b64 s[12:13], exec, s[12:13]
	s_cbranch_execz .LBB457_2106
; %bb.1653:
	v_bfe_u32 v5, v3, 20, 1
	s_mov_b32 s18, 0x487ffff
	v_add3_u32 v5, v3, v5, s18
	s_mov_b64 s[10:11], exec
	v_lshrrev_b32_e32 v5, 20, v5
	s_andn2_saveexec_b64 s[12:13], s[12:13]
	s_cbranch_execnz .LBB457_2107
.LBB457_1654:
	s_or_b64 exec, exec, s[12:13]
	v_mov_b32_e32 v9, 0
	s_and_saveexec_b64 s[12:13], s[10:11]
.LBB457_1655:
	v_lshrrev_b32_e32 v3, 24, v3
	s_movk_i32 s10, 0x80
	v_and_or_b32 v9, v3, s10, v5
.LBB457_1656:
	s_or_b64 exec, exec, s[12:13]
.LBB457_1657:
	s_or_b64 exec, exec, s[8:9]
	global_store_byte v[6:7], v9, off
.LBB457_1658:
	s_mov_b64 s[8:9], -1
.LBB457_1659:
	s_mov_b64 s[10:11], 0
.LBB457_1660:
	s_and_b64 vcc, exec, s[10:11]
	s_cbranch_vccz .LBB457_1700
; %bb.1661:
	s_cmp_gt_i32 s17, 22
	s_mov_b64 s[6:7], -1
	s_cbranch_scc0 .LBB457_1693
; %bb.1662:
	s_cmp_lt_i32 s17, 24
	s_cbranch_scc1 .LBB457_1682
; %bb.1663:
	s_cmp_gt_i32 s17, 24
	s_cbranch_scc0 .LBB457_1671
; %bb.1664:
	v_cvt_f32_i32_sdwa v3, sext(v1) dst_sel:DWORD dst_unused:UNUSED_PAD src0_sel:WORD_0
	s_mov_b32 s6, 0x47800000
	v_mov_b32_e32 v9, 0x80
	v_and_b32_e32 v5, 0x7fffffff, v3
	v_cmp_gt_u32_e32 vcc, s6, v5
	s_and_saveexec_b64 s[6:7], vcc
	s_cbranch_execz .LBB457_1670
; %bb.1665:
	s_mov_b32 s8, 0x37ffffff
	v_cmp_lt_u32_e32 vcc, s8, v5
	s_mov_b64 s[8:9], 0
                                        ; implicit-def: $vgpr5
	s_and_saveexec_b64 s[10:11], vcc
	s_xor_b64 s[10:11], exec, s[10:11]
	s_cbranch_execz .LBB457_2109
; %bb.1666:
	v_bfe_u32 v5, v3, 21, 1
	s_mov_b32 s12, 0x88fffff
	v_add3_u32 v5, v3, v5, s12
	s_mov_b64 s[8:9], exec
	v_lshrrev_b32_e32 v5, 21, v5
	s_andn2_saveexec_b64 s[10:11], s[10:11]
	s_cbranch_execnz .LBB457_2110
.LBB457_1667:
	s_or_b64 exec, exec, s[10:11]
	v_mov_b32_e32 v9, 0
	s_and_saveexec_b64 s[10:11], s[8:9]
.LBB457_1668:
	v_lshrrev_b32_e32 v3, 24, v3
	s_movk_i32 s8, 0x80
	v_and_or_b32 v9, v3, s8, v5
.LBB457_1669:
	s_or_b64 exec, exec, s[10:11]
.LBB457_1670:
	s_or_b64 exec, exec, s[6:7]
	s_mov_b64 s[6:7], 0
	global_store_byte v[6:7], v9, off
.LBB457_1671:
	s_and_b64 vcc, exec, s[6:7]
	s_cbranch_vccz .LBB457_1681
; %bb.1672:
	v_cvt_f32_i32_sdwa v3, sext(v1) dst_sel:DWORD dst_unused:UNUSED_PAD src0_sel:WORD_0
	s_mov_b32 s6, 0x43f00000
                                        ; implicit-def: $vgpr5
	v_and_b32_e32 v9, 0x7fffffff, v3
	v_cmp_gt_u32_e32 vcc, s6, v9
	s_and_saveexec_b64 s[6:7], vcc
	s_xor_b64 s[6:7], exec, s[6:7]
	s_cbranch_execz .LBB457_1678
; %bb.1673:
	s_mov_b32 s8, 0x3c7fffff
	v_cmp_lt_u32_e32 vcc, s8, v9
                                        ; implicit-def: $vgpr5
	s_and_saveexec_b64 s[8:9], vcc
	s_xor_b64 s[8:9], exec, s[8:9]
; %bb.1674:
	v_bfe_u32 v5, v3, 20, 1
	s_mov_b32 s10, 0x407ffff
	v_add3_u32 v5, v3, v5, s10
	v_lshrrev_b32_e32 v9, 20, v5
	v_and_b32_e32 v5, 0xff00000, v5
	s_mov_b32 s10, 0x7f00000
	v_mov_b32_e32 v11, 0x7e
	v_cmp_ne_u32_e32 vcc, s10, v5
	s_nop 1
	v_cndmask_b32_e32 v5, v11, v9, vcc
; %bb.1675:
	s_andn2_saveexec_b64 s[8:9], s[8:9]
; %bb.1676:
	s_mov_b32 s10, 0x46800000
	v_add_f32_e64 v5, |v3|, s10
; %bb.1677:
	s_or_b64 exec, exec, s[8:9]
                                        ; implicit-def: $vgpr9
.LBB457_1678:
	s_andn2_saveexec_b64 s[6:7], s[6:7]
; %bb.1679:
	s_mov_b32 s8, 0x7f800000
	v_mov_b32_e32 v5, 0x7e
	v_mov_b32_e32 v11, 0x7f
	v_cmp_lt_u32_e32 vcc, s8, v9
	s_nop 1
	v_cndmask_b32_e32 v5, v5, v11, vcc
; %bb.1680:
	s_or_b64 exec, exec, s[6:7]
	v_lshrrev_b32_e32 v3, 24, v3
	s_movk_i32 s6, 0x80
	v_and_or_b32 v3, v3, s6, v5
	global_store_byte v[6:7], v3, off
.LBB457_1681:
	s_mov_b64 s[6:7], 0
.LBB457_1682:
	s_andn2_b64 vcc, exec, s[6:7]
	s_cbranch_vccnz .LBB457_1692
; %bb.1683:
	v_cvt_f32_i32_sdwa v3, sext(v1) dst_sel:DWORD dst_unused:UNUSED_PAD src0_sel:WORD_0
	s_mov_b32 s6, 0x47800000
                                        ; implicit-def: $vgpr5
	v_and_b32_e32 v9, 0x7fffffff, v3
	v_cmp_gt_u32_e32 vcc, s6, v9
	s_and_saveexec_b64 s[6:7], vcc
	s_xor_b64 s[6:7], exec, s[6:7]
	s_cbranch_execz .LBB457_1689
; %bb.1684:
	s_mov_b32 s8, 0x387fffff
	v_cmp_lt_u32_e32 vcc, s8, v9
                                        ; implicit-def: $vgpr5
	s_and_saveexec_b64 s[8:9], vcc
	s_xor_b64 s[8:9], exec, s[8:9]
; %bb.1685:
	v_bfe_u32 v5, v3, 21, 1
	s_mov_b32 s10, 0x80fffff
	v_add3_u32 v5, v3, v5, s10
	v_lshrrev_b32_e32 v5, 21, v5
; %bb.1686:
	s_andn2_saveexec_b64 s[8:9], s[8:9]
; %bb.1687:
	s_mov_b32 s10, 0x43000000
	v_add_f32_e64 v5, |v3|, s10
; %bb.1688:
	s_or_b64 exec, exec, s[8:9]
                                        ; implicit-def: $vgpr9
.LBB457_1689:
	s_andn2_saveexec_b64 s[6:7], s[6:7]
; %bb.1690:
	s_mov_b32 s8, 0x7f800000
	v_mov_b32_e32 v5, 0x7c
	v_mov_b32_e32 v11, 0x7f
	v_cmp_lt_u32_e32 vcc, s8, v9
	s_nop 1
	v_cndmask_b32_e32 v5, v5, v11, vcc
; %bb.1691:
	s_or_b64 exec, exec, s[6:7]
	v_lshrrev_b32_e32 v3, 24, v3
	s_movk_i32 s6, 0x80
	v_and_or_b32 v3, v3, s6, v5
	global_store_byte v[6:7], v3, off
.LBB457_1692:
	s_mov_b64 s[6:7], 0
	s_mov_b64 s[8:9], -1
.LBB457_1693:
	s_andn2_b64 vcc, exec, s[6:7]
	s_mov_b64 s[6:7], 0
	s_cbranch_vccnz .LBB457_1700
; %bb.1694:
	s_cmp_gt_i32 s17, 14
	s_mov_b64 s[10:11], -1
	s_cbranch_scc0 .LBB457_1698
; %bb.1695:
	s_cmp_eq_u32 s17, 15
	s_mov_b64 s[0:1], -1
	s_cbranch_scc0 .LBB457_1697
; %bb.1696:
	v_cvt_f32_i32_sdwa v3, sext(v1) dst_sel:DWORD dst_unused:UNUSED_PAD src0_sel:WORD_0
	s_movk_i32 s6, 0x7fff
	s_mov_b64 s[0:1], 0
	s_mov_b64 s[8:9], -1
	v_bfe_u32 v5, v3, 16, 1
	v_add3_u32 v3, v3, v5, s6
	global_store_short_d16_hi v[6:7], v3, off
.LBB457_1697:
	s_mov_b64 s[10:11], 0
.LBB457_1698:
	s_mov_b64 s[6:7], 0
	s_and_b64 vcc, exec, s[10:11]
	s_cbranch_vccz .LBB457_1700
; %bb.1699:
	s_cmp_lg_u32 s17, 11
	s_mov_b64 s[6:7], -1
	s_cselect_b64 s[0:1], -1, 0
.LBB457_1700:
	s_and_b64 vcc, exec, s[0:1]
	s_cbranch_vccnz .LBB457_2108
; %bb.1701:
	s_andn2_b64 vcc, exec, s[6:7]
	s_cbranch_vccnz .LBB457_1703
.LBB457_1702:
	v_cmp_ne_u16_e32 vcc, 0, v1
	s_mov_b64 s[8:9], -1
	s_nop 0
	v_cndmask_b32_e64 v3, 0, 1, vcc
	global_store_byte v[6:7], v3, off
.LBB457_1703:
	s_mov_b64 s[0:1], 0
	s_branch .LBB457_1705
.LBB457_1704:
	s_mov_b64 s[0:1], -1
	s_mov_b64 s[8:9], 0
.LBB457_1705:
	s_and_b64 vcc, exec, s[0:1]
	s_cbranch_vccz .LBB457_1744
; %bb.1706:
	s_and_b32 s6, 0xffff, s16
	s_cmp_lt_i32 s6, 5
	s_mov_b64 s[0:1], -1
	s_cbranch_scc1 .LBB457_1727
; %bb.1707:
	s_cmp_lt_i32 s6, 8
	s_cbranch_scc1 .LBB457_1717
; %bb.1708:
	s_cmp_lt_i32 s6, 9
	s_cbranch_scc1 .LBB457_1714
; %bb.1709:
	s_cmp_gt_i32 s6, 9
	s_cbranch_scc0 .LBB457_1711
; %bb.1710:
	v_bfe_i32 v3, v1, 0, 16
	v_mov_b32_e32 v16, 0
	v_cvt_f64_i32_e32 v[14:15], v3
	v_mov_b32_e32 v17, v16
	global_store_dwordx4 v[6:7], v[14:17], off
	s_mov_b64 s[0:1], 0
.LBB457_1711:
	s_andn2_b64 vcc, exec, s[0:1]
	s_cbranch_vccnz .LBB457_1713
; %bb.1712:
	v_cvt_f32_i32_sdwa v14, sext(v1) dst_sel:DWORD dst_unused:UNUSED_PAD src0_sel:WORD_0
	v_mov_b32_e32 v15, 0
	global_store_dwordx2 v[6:7], v[14:15], off
.LBB457_1713:
	s_mov_b64 s[0:1], 0
.LBB457_1714:
	s_andn2_b64 vcc, exec, s[0:1]
	s_cbranch_vccnz .LBB457_1716
; %bb.1715:
	v_cvt_f16_i16_e32 v3, v1
	global_store_dword v[6:7], v3, off
.LBB457_1716:
	s_mov_b64 s[0:1], 0
.LBB457_1717:
	s_andn2_b64 vcc, exec, s[0:1]
	s_cbranch_vccnz .LBB457_1726
; %bb.1718:
	s_cmp_lt_i32 s6, 6
	s_mov_b64 s[0:1], -1
	s_cbranch_scc1 .LBB457_1724
; %bb.1719:
	s_cmp_gt_i32 s6, 6
	s_cbranch_scc0 .LBB457_1721
; %bb.1720:
	v_bfe_i32 v3, v1, 0, 16
	v_cvt_f64_i32_e32 v[14:15], v3
	global_store_dwordx2 v[6:7], v[14:15], off
	s_mov_b64 s[0:1], 0
.LBB457_1721:
	s_andn2_b64 vcc, exec, s[0:1]
	s_cbranch_vccnz .LBB457_1723
; %bb.1722:
	v_cvt_f32_i32_sdwa v3, sext(v1) dst_sel:DWORD dst_unused:UNUSED_PAD src0_sel:WORD_0
	global_store_dword v[6:7], v3, off
.LBB457_1723:
	s_mov_b64 s[0:1], 0
.LBB457_1724:
	s_andn2_b64 vcc, exec, s[0:1]
	s_cbranch_vccnz .LBB457_1726
; %bb.1725:
	v_cvt_f16_i16_e32 v3, v1
	global_store_short v[6:7], v3, off
.LBB457_1726:
	s_mov_b64 s[0:1], 0
.LBB457_1727:
	s_andn2_b64 vcc, exec, s[0:1]
	s_cbranch_vccnz .LBB457_1743
; %bb.1728:
	s_cmp_lt_i32 s6, 2
	s_mov_b64 s[0:1], -1
	s_cbranch_scc1 .LBB457_1738
; %bb.1729:
	s_cmp_lt_i32 s6, 3
	s_cbranch_scc1 .LBB457_1735
; %bb.1730:
	s_cmp_gt_i32 s6, 3
	v_bfe_i32 v14, v1, 0, 16
	s_cbranch_scc0 .LBB457_1732
; %bb.1731:
	v_ashrrev_i32_e32 v15, 31, v14
	global_store_dwordx2 v[6:7], v[14:15], off
	s_mov_b64 s[0:1], 0
.LBB457_1732:
	s_andn2_b64 vcc, exec, s[0:1]
	s_cbranch_vccnz .LBB457_1734
; %bb.1733:
	global_store_dword v[6:7], v14, off
.LBB457_1734:
	s_mov_b64 s[0:1], 0
.LBB457_1735:
	s_andn2_b64 vcc, exec, s[0:1]
	s_cbranch_vccnz .LBB457_1737
; %bb.1736:
	global_store_short v[6:7], v1, off
.LBB457_1737:
	s_mov_b64 s[0:1], 0
.LBB457_1738:
	s_andn2_b64 vcc, exec, s[0:1]
	s_cbranch_vccnz .LBB457_1743
; %bb.1739:
	s_cmp_gt_i32 s6, 0
	s_mov_b64 s[0:1], -1
	s_cbranch_scc0 .LBB457_1741
; %bb.1740:
	global_store_byte v[6:7], v1, off
	s_mov_b64 s[0:1], 0
.LBB457_1741:
	s_andn2_b64 vcc, exec, s[0:1]
	s_cbranch_vccnz .LBB457_1743
; %bb.1742:
	global_store_byte v[6:7], v1, off
.LBB457_1743:
	s_mov_b64 s[8:9], -1
.LBB457_1744:
	s_andn2_b64 vcc, exec, s[8:9]
	s_cbranch_vccnz .LBB457_2059
; %bb.1745:
	s_lshr_b32 s0, s14, 16
	s_and_b32 s14, s0, 0xff
	v_mov_b32_e32 v5, 0
	v_min_i16_e32 v1, s15, v12
	s_cmp_lt_i32 s14, 11
	v_lshl_add_u64 v[4:5], s[4:5], 0, v[4:5]
	s_cbranch_scc1 .LBB457_1823
; %bb.1746:
	s_and_b32 s16, 0xffff, s14
	s_mov_b64 s[10:11], -1
	s_mov_b64 s[6:7], 0
	s_cmp_gt_i32 s16, 25
	s_mov_b64 s[8:9], 0
	s_mov_b64 s[0:1], 0
	s_cbranch_scc0 .LBB457_1779
; %bb.1747:
	s_cmp_gt_i32 s16, 28
	s_cbranch_scc0 .LBB457_1762
; %bb.1748:
	s_cmp_gt_i32 s16, 43
	;; [unrolled: 3-line block ×3, first 2 shown]
	s_cbranch_scc0 .LBB457_1752
; %bb.1750:
	s_mov_b64 s[0:1], -1
	s_mov_b64 s[10:11], 0
	s_cmp_eq_u32 s16, 46
	s_cbranch_scc0 .LBB457_1752
; %bb.1751:
	v_cvt_f32_i32_sdwa v3, sext(v1) dst_sel:DWORD dst_unused:UNUSED_PAD src0_sel:WORD_0
	s_movk_i32 s8, 0x7fff
	s_mov_b64 s[0:1], 0
	v_bfe_u32 v6, v3, 16, 1
	v_add3_u32 v3, v3, v6, s8
	v_lshrrev_b32_e32 v3, 16, v3
	global_store_dword v[4:5], v3, off
	s_mov_b64 s[8:9], -1
.LBB457_1752:
	s_and_b64 vcc, exec, s[10:11]
	s_cbranch_vccz .LBB457_1757
; %bb.1753:
	s_cmp_eq_u32 s16, 44
	s_mov_b64 s[0:1], -1
	s_cbranch_scc0 .LBB457_1757
; %bb.1754:
	v_cvt_f32_i32_sdwa v3, sext(v1) dst_sel:DWORD dst_unused:UNUSED_PAD src0_sel:WORD_0
	s_movk_i32 s0, 0xff
	v_mov_b32_e32 v7, 0xff
	v_bfe_u32 v6, v3, 23, 8
	v_cmp_ne_u32_e32 vcc, s0, v6
	s_and_saveexec_b64 s[8:9], vcc
; %bb.1755:
	s_mov_b32 s0, 0x3fffff
	v_lshrrev_b32_e32 v7, 23, v3
	v_and_b32_e32 v9, 0x400000, v3
	v_and_or_b32 v3, v3, s0, v6
	v_cmp_ne_u32_e32 vcc, 0, v9
	v_cmp_ne_u32_e64 s[0:1], 0, v3
	s_and_b64 s[0:1], vcc, s[0:1]
	s_nop 0
	v_cndmask_b32_e64 v3, 0, 1, s[0:1]
	v_add_u32_e32 v7, v7, v3
; %bb.1756:
	s_or_b64 exec, exec, s[8:9]
	s_mov_b64 s[0:1], 0
	s_mov_b64 s[8:9], -1
	global_store_byte v[4:5], v7, off
.LBB457_1757:
	s_mov_b64 s[10:11], 0
.LBB457_1758:
	s_and_b64 vcc, exec, s[10:11]
	s_cbranch_vccz .LBB457_1761
; %bb.1759:
	s_cmp_eq_u32 s16, 29
	s_mov_b64 s[0:1], -1
	s_cbranch_scc0 .LBB457_1761
; %bb.1760:
	v_bfe_i32 v6, v1, 0, 16
	v_ashrrev_i32_e32 v7, 31, v6
	global_store_dwordx2 v[4:5], v[6:7], off
	s_mov_b64 s[0:1], 0
	s_mov_b64 s[8:9], -1
.LBB457_1761:
	s_mov_b64 s[10:11], 0
.LBB457_1762:
	s_and_b64 vcc, exec, s[10:11]
	s_cbranch_vccz .LBB457_1778
; %bb.1763:
	s_cmp_lt_i32 s16, 27
	s_mov_b64 s[8:9], -1
	s_cbranch_scc1 .LBB457_1769
; %bb.1764:
	s_cmp_gt_i32 s16, 27
	s_cbranch_scc0 .LBB457_1766
; %bb.1765:
	v_bfe_i32 v3, v1, 0, 16
	s_mov_b64 s[8:9], 0
	global_store_dword v[4:5], v3, off
.LBB457_1766:
	s_andn2_b64 vcc, exec, s[8:9]
	s_cbranch_vccnz .LBB457_1768
; %bb.1767:
	global_store_short v[4:5], v1, off
.LBB457_1768:
	s_mov_b64 s[8:9], 0
.LBB457_1769:
	s_andn2_b64 vcc, exec, s[8:9]
	s_cbranch_vccnz .LBB457_1777
; %bb.1770:
	v_cvt_f32_i32_sdwa v3, sext(v1) dst_sel:DWORD dst_unused:UNUSED_PAD src0_sel:WORD_0
	s_mov_b32 s8, 0x43800000
	v_mov_b32_e32 v7, 0x80
	v_and_b32_e32 v6, 0x7fffffff, v3
	v_cmp_gt_u32_e32 vcc, s8, v6
	s_and_saveexec_b64 s[8:9], vcc
	s_cbranch_execz .LBB457_1776
; %bb.1771:
	s_mov_b32 s10, 0x3bffffff
	v_cmp_lt_u32_e32 vcc, s10, v6
	s_mov_b64 s[10:11], 0
                                        ; implicit-def: $vgpr6
	s_and_saveexec_b64 s[12:13], vcc
	s_xor_b64 s[12:13], exec, s[12:13]
	s_cbranch_execz .LBB457_2111
; %bb.1772:
	v_bfe_u32 v6, v3, 20, 1
	s_mov_b32 s17, 0x487ffff
	v_add3_u32 v6, v3, v6, s17
	s_mov_b64 s[10:11], exec
	v_lshrrev_b32_e32 v6, 20, v6
	s_andn2_saveexec_b64 s[12:13], s[12:13]
	s_cbranch_execnz .LBB457_2112
.LBB457_1773:
	s_or_b64 exec, exec, s[12:13]
	v_mov_b32_e32 v7, 0
	s_and_saveexec_b64 s[12:13], s[10:11]
.LBB457_1774:
	v_lshrrev_b32_e32 v3, 24, v3
	s_movk_i32 s10, 0x80
	v_and_or_b32 v7, v3, s10, v6
.LBB457_1775:
	s_or_b64 exec, exec, s[12:13]
.LBB457_1776:
	s_or_b64 exec, exec, s[8:9]
	global_store_byte v[4:5], v7, off
.LBB457_1777:
	s_mov_b64 s[8:9], -1
.LBB457_1778:
	s_mov_b64 s[10:11], 0
.LBB457_1779:
	s_and_b64 vcc, exec, s[10:11]
	s_cbranch_vccz .LBB457_1819
; %bb.1780:
	s_cmp_gt_i32 s16, 22
	s_mov_b64 s[6:7], -1
	s_cbranch_scc0 .LBB457_1812
; %bb.1781:
	s_cmp_lt_i32 s16, 24
	s_cbranch_scc1 .LBB457_1801
; %bb.1782:
	s_cmp_gt_i32 s16, 24
	s_cbranch_scc0 .LBB457_1790
; %bb.1783:
	v_cvt_f32_i32_sdwa v3, sext(v1) dst_sel:DWORD dst_unused:UNUSED_PAD src0_sel:WORD_0
	s_mov_b32 s6, 0x47800000
	v_mov_b32_e32 v7, 0x80
	v_and_b32_e32 v6, 0x7fffffff, v3
	v_cmp_gt_u32_e32 vcc, s6, v6
	s_and_saveexec_b64 s[6:7], vcc
	s_cbranch_execz .LBB457_1789
; %bb.1784:
	s_mov_b32 s8, 0x37ffffff
	v_cmp_lt_u32_e32 vcc, s8, v6
	s_mov_b64 s[8:9], 0
                                        ; implicit-def: $vgpr6
	s_and_saveexec_b64 s[10:11], vcc
	s_xor_b64 s[10:11], exec, s[10:11]
	s_cbranch_execz .LBB457_2114
; %bb.1785:
	v_bfe_u32 v6, v3, 21, 1
	s_mov_b32 s12, 0x88fffff
	v_add3_u32 v6, v3, v6, s12
	s_mov_b64 s[8:9], exec
	v_lshrrev_b32_e32 v6, 21, v6
	s_andn2_saveexec_b64 s[10:11], s[10:11]
	s_cbranch_execnz .LBB457_2115
.LBB457_1786:
	s_or_b64 exec, exec, s[10:11]
	v_mov_b32_e32 v7, 0
	s_and_saveexec_b64 s[10:11], s[8:9]
.LBB457_1787:
	v_lshrrev_b32_e32 v3, 24, v3
	s_movk_i32 s8, 0x80
	v_and_or_b32 v7, v3, s8, v6
.LBB457_1788:
	s_or_b64 exec, exec, s[10:11]
.LBB457_1789:
	s_or_b64 exec, exec, s[6:7]
	s_mov_b64 s[6:7], 0
	global_store_byte v[4:5], v7, off
.LBB457_1790:
	s_and_b64 vcc, exec, s[6:7]
	s_cbranch_vccz .LBB457_1800
; %bb.1791:
	v_cvt_f32_i32_sdwa v3, sext(v1) dst_sel:DWORD dst_unused:UNUSED_PAD src0_sel:WORD_0
	s_mov_b32 s6, 0x43f00000
                                        ; implicit-def: $vgpr6
	v_and_b32_e32 v7, 0x7fffffff, v3
	v_cmp_gt_u32_e32 vcc, s6, v7
	s_and_saveexec_b64 s[6:7], vcc
	s_xor_b64 s[6:7], exec, s[6:7]
	s_cbranch_execz .LBB457_1797
; %bb.1792:
	s_mov_b32 s8, 0x3c7fffff
	v_cmp_lt_u32_e32 vcc, s8, v7
                                        ; implicit-def: $vgpr6
	s_and_saveexec_b64 s[8:9], vcc
	s_xor_b64 s[8:9], exec, s[8:9]
; %bb.1793:
	v_bfe_u32 v6, v3, 20, 1
	s_mov_b32 s10, 0x407ffff
	v_add3_u32 v6, v3, v6, s10
	v_lshrrev_b32_e32 v7, 20, v6
	v_and_b32_e32 v6, 0xff00000, v6
	s_mov_b32 s10, 0x7f00000
	v_mov_b32_e32 v9, 0x7e
	v_cmp_ne_u32_e32 vcc, s10, v6
	s_nop 1
	v_cndmask_b32_e32 v6, v9, v7, vcc
; %bb.1794:
	s_andn2_saveexec_b64 s[8:9], s[8:9]
; %bb.1795:
	s_mov_b32 s10, 0x46800000
	v_add_f32_e64 v6, |v3|, s10
; %bb.1796:
	s_or_b64 exec, exec, s[8:9]
                                        ; implicit-def: $vgpr7
.LBB457_1797:
	s_andn2_saveexec_b64 s[6:7], s[6:7]
; %bb.1798:
	s_mov_b32 s8, 0x7f800000
	v_mov_b32_e32 v6, 0x7e
	v_mov_b32_e32 v9, 0x7f
	v_cmp_lt_u32_e32 vcc, s8, v7
	s_nop 1
	v_cndmask_b32_e32 v6, v6, v9, vcc
; %bb.1799:
	s_or_b64 exec, exec, s[6:7]
	v_lshrrev_b32_e32 v3, 24, v3
	s_movk_i32 s6, 0x80
	v_and_or_b32 v3, v3, s6, v6
	global_store_byte v[4:5], v3, off
.LBB457_1800:
	s_mov_b64 s[6:7], 0
.LBB457_1801:
	s_andn2_b64 vcc, exec, s[6:7]
	s_cbranch_vccnz .LBB457_1811
; %bb.1802:
	v_cvt_f32_i32_sdwa v3, sext(v1) dst_sel:DWORD dst_unused:UNUSED_PAD src0_sel:WORD_0
	s_mov_b32 s6, 0x47800000
                                        ; implicit-def: $vgpr6
	v_and_b32_e32 v7, 0x7fffffff, v3
	v_cmp_gt_u32_e32 vcc, s6, v7
	s_and_saveexec_b64 s[6:7], vcc
	s_xor_b64 s[6:7], exec, s[6:7]
	s_cbranch_execz .LBB457_1808
; %bb.1803:
	s_mov_b32 s8, 0x387fffff
	v_cmp_lt_u32_e32 vcc, s8, v7
                                        ; implicit-def: $vgpr6
	s_and_saveexec_b64 s[8:9], vcc
	s_xor_b64 s[8:9], exec, s[8:9]
; %bb.1804:
	v_bfe_u32 v6, v3, 21, 1
	s_mov_b32 s10, 0x80fffff
	v_add3_u32 v6, v3, v6, s10
	v_lshrrev_b32_e32 v6, 21, v6
; %bb.1805:
	s_andn2_saveexec_b64 s[8:9], s[8:9]
; %bb.1806:
	s_mov_b32 s10, 0x43000000
	v_add_f32_e64 v6, |v3|, s10
; %bb.1807:
	s_or_b64 exec, exec, s[8:9]
                                        ; implicit-def: $vgpr7
.LBB457_1808:
	s_andn2_saveexec_b64 s[6:7], s[6:7]
; %bb.1809:
	s_mov_b32 s8, 0x7f800000
	v_mov_b32_e32 v6, 0x7c
	v_mov_b32_e32 v9, 0x7f
	v_cmp_lt_u32_e32 vcc, s8, v7
	s_nop 1
	v_cndmask_b32_e32 v6, v6, v9, vcc
; %bb.1810:
	s_or_b64 exec, exec, s[6:7]
	v_lshrrev_b32_e32 v3, 24, v3
	s_movk_i32 s6, 0x80
	v_and_or_b32 v3, v3, s6, v6
	global_store_byte v[4:5], v3, off
.LBB457_1811:
	s_mov_b64 s[6:7], 0
	s_mov_b64 s[8:9], -1
.LBB457_1812:
	s_andn2_b64 vcc, exec, s[6:7]
	s_mov_b64 s[6:7], 0
	s_cbranch_vccnz .LBB457_1819
; %bb.1813:
	s_cmp_gt_i32 s16, 14
	s_mov_b64 s[10:11], -1
	s_cbranch_scc0 .LBB457_1817
; %bb.1814:
	s_cmp_eq_u32 s16, 15
	s_mov_b64 s[0:1], -1
	s_cbranch_scc0 .LBB457_1816
; %bb.1815:
	v_cvt_f32_i32_sdwa v3, sext(v1) dst_sel:DWORD dst_unused:UNUSED_PAD src0_sel:WORD_0
	s_movk_i32 s6, 0x7fff
	s_mov_b64 s[0:1], 0
	s_mov_b64 s[8:9], -1
	v_bfe_u32 v6, v3, 16, 1
	v_add3_u32 v3, v3, v6, s6
	global_store_short_d16_hi v[4:5], v3, off
.LBB457_1816:
	s_mov_b64 s[10:11], 0
.LBB457_1817:
	s_mov_b64 s[6:7], 0
	s_and_b64 vcc, exec, s[10:11]
	s_cbranch_vccz .LBB457_1819
; %bb.1818:
	s_cmp_lg_u32 s16, 11
	s_mov_b64 s[6:7], -1
	s_cselect_b64 s[0:1], -1, 0
.LBB457_1819:
	s_and_b64 vcc, exec, s[0:1]
	s_cbranch_vccnz .LBB457_2113
; %bb.1820:
	s_andn2_b64 vcc, exec, s[6:7]
	s_cbranch_vccnz .LBB457_1822
.LBB457_1821:
	v_cmp_ne_u16_e32 vcc, 0, v1
	s_mov_b64 s[8:9], -1
	s_nop 0
	v_cndmask_b32_e64 v3, 0, 1, vcc
	global_store_byte v[4:5], v3, off
.LBB457_1822:
	s_mov_b64 s[0:1], 0
	s_branch .LBB457_1824
.LBB457_1823:
	s_mov_b64 s[0:1], -1
	s_mov_b64 s[8:9], 0
.LBB457_1824:
	s_and_b64 vcc, exec, s[0:1]
	s_cbranch_vccz .LBB457_1863
; %bb.1825:
	s_and_b32 s6, 0xffff, s14
	s_cmp_lt_i32 s6, 5
	s_mov_b64 s[0:1], -1
	s_cbranch_scc1 .LBB457_1846
; %bb.1826:
	s_cmp_lt_i32 s6, 8
	s_cbranch_scc1 .LBB457_1836
; %bb.1827:
	s_cmp_lt_i32 s6, 9
	s_cbranch_scc1 .LBB457_1833
; %bb.1828:
	s_cmp_gt_i32 s6, 9
	s_cbranch_scc0 .LBB457_1830
; %bb.1829:
	v_bfe_i32 v3, v1, 0, 16
	v_mov_b32_e32 v14, 0
	v_cvt_f64_i32_e32 v[12:13], v3
	v_mov_b32_e32 v15, v14
	global_store_dwordx4 v[4:5], v[12:15], off
	s_mov_b64 s[0:1], 0
.LBB457_1830:
	s_andn2_b64 vcc, exec, s[0:1]
	s_cbranch_vccnz .LBB457_1832
; %bb.1831:
	v_cvt_f32_i32_sdwa v6, sext(v1) dst_sel:DWORD dst_unused:UNUSED_PAD src0_sel:WORD_0
	v_mov_b32_e32 v7, 0
	global_store_dwordx2 v[4:5], v[6:7], off
.LBB457_1832:
	s_mov_b64 s[0:1], 0
.LBB457_1833:
	s_andn2_b64 vcc, exec, s[0:1]
	s_cbranch_vccnz .LBB457_1835
; %bb.1834:
	v_cvt_f16_i16_e32 v3, v1
	global_store_dword v[4:5], v3, off
.LBB457_1835:
	s_mov_b64 s[0:1], 0
.LBB457_1836:
	s_andn2_b64 vcc, exec, s[0:1]
	s_cbranch_vccnz .LBB457_1845
; %bb.1837:
	s_cmp_lt_i32 s6, 6
	s_mov_b64 s[0:1], -1
	s_cbranch_scc1 .LBB457_1843
; %bb.1838:
	s_cmp_gt_i32 s6, 6
	s_cbranch_scc0 .LBB457_1840
; %bb.1839:
	v_bfe_i32 v3, v1, 0, 16
	v_cvt_f64_i32_e32 v[6:7], v3
	global_store_dwordx2 v[4:5], v[6:7], off
	s_mov_b64 s[0:1], 0
.LBB457_1840:
	s_andn2_b64 vcc, exec, s[0:1]
	s_cbranch_vccnz .LBB457_1842
; %bb.1841:
	v_cvt_f32_i32_sdwa v3, sext(v1) dst_sel:DWORD dst_unused:UNUSED_PAD src0_sel:WORD_0
	global_store_dword v[4:5], v3, off
.LBB457_1842:
	s_mov_b64 s[0:1], 0
.LBB457_1843:
	s_andn2_b64 vcc, exec, s[0:1]
	s_cbranch_vccnz .LBB457_1845
; %bb.1844:
	v_cvt_f16_i16_e32 v3, v1
	global_store_short v[4:5], v3, off
.LBB457_1845:
	s_mov_b64 s[0:1], 0
.LBB457_1846:
	s_andn2_b64 vcc, exec, s[0:1]
	s_cbranch_vccnz .LBB457_1862
; %bb.1847:
	s_cmp_lt_i32 s6, 2
	s_mov_b64 s[0:1], -1
	s_cbranch_scc1 .LBB457_1857
; %bb.1848:
	s_cmp_lt_i32 s6, 3
	s_cbranch_scc1 .LBB457_1854
; %bb.1849:
	s_cmp_gt_i32 s6, 3
	s_cbranch_scc0 .LBB457_1851
; %bb.1850:
	v_bfe_i32 v6, v1, 0, 16
	v_ashrrev_i32_e32 v7, 31, v6
	global_store_dwordx2 v[4:5], v[6:7], off
	s_mov_b64 s[0:1], 0
.LBB457_1851:
	s_andn2_b64 vcc, exec, s[0:1]
	s_cbranch_vccnz .LBB457_1853
; %bb.1852:
	v_bfe_i32 v3, v1, 0, 16
	global_store_dword v[4:5], v3, off
.LBB457_1853:
	s_mov_b64 s[0:1], 0
.LBB457_1854:
	s_andn2_b64 vcc, exec, s[0:1]
	s_cbranch_vccnz .LBB457_1856
; %bb.1855:
	global_store_short v[4:5], v1, off
.LBB457_1856:
	s_mov_b64 s[0:1], 0
.LBB457_1857:
	s_andn2_b64 vcc, exec, s[0:1]
	s_cbranch_vccnz .LBB457_1862
; %bb.1858:
	s_cmp_gt_i32 s6, 0
	s_mov_b64 s[0:1], -1
	s_cbranch_scc0 .LBB457_1860
; %bb.1859:
	global_store_byte v[4:5], v1, off
	s_mov_b64 s[0:1], 0
.LBB457_1860:
	s_andn2_b64 vcc, exec, s[0:1]
	s_cbranch_vccnz .LBB457_1862
; %bb.1861:
	global_store_byte v[4:5], v1, off
.LBB457_1862:
	s_mov_b64 s[8:9], -1
.LBB457_1863:
	s_andn2_b64 vcc, exec, s[8:9]
	s_cbranch_vccnz .LBB457_2059
; %bb.1864:
	v_mov_b32_e32 v3, 0
	v_min_i16_e32 v1, s15, v10
	s_cmp_lt_i32 s14, 11
	v_lshl_add_u64 v[2:3], s[4:5], 0, v[2:3]
	s_cbranch_scc1 .LBB457_1942
; %bb.1865:
	s_and_b32 s16, 0xffff, s14
	s_mov_b64 s[10:11], -1
	s_mov_b64 s[6:7], 0
	s_cmp_gt_i32 s16, 25
	s_mov_b64 s[8:9], 0
	s_mov_b64 s[0:1], 0
	s_cbranch_scc0 .LBB457_1898
; %bb.1866:
	s_cmp_gt_i32 s16, 28
	s_cbranch_scc0 .LBB457_1881
; %bb.1867:
	s_cmp_gt_i32 s16, 43
	;; [unrolled: 3-line block ×3, first 2 shown]
	s_cbranch_scc0 .LBB457_1871
; %bb.1869:
	s_mov_b64 s[0:1], -1
	s_mov_b64 s[10:11], 0
	s_cmp_eq_u32 s16, 46
	s_cbranch_scc0 .LBB457_1871
; %bb.1870:
	v_cvt_f32_i32_sdwa v4, sext(v1) dst_sel:DWORD dst_unused:UNUSED_PAD src0_sel:WORD_0
	s_movk_i32 s8, 0x7fff
	s_mov_b64 s[0:1], 0
	v_bfe_u32 v5, v4, 16, 1
	v_add3_u32 v4, v4, v5, s8
	v_lshrrev_b32_e32 v4, 16, v4
	global_store_dword v[2:3], v4, off
	s_mov_b64 s[8:9], -1
.LBB457_1871:
	s_and_b64 vcc, exec, s[10:11]
	s_cbranch_vccz .LBB457_1876
; %bb.1872:
	s_cmp_eq_u32 s16, 44
	s_mov_b64 s[0:1], -1
	s_cbranch_scc0 .LBB457_1876
; %bb.1873:
	v_cvt_f32_i32_sdwa v4, sext(v1) dst_sel:DWORD dst_unused:UNUSED_PAD src0_sel:WORD_0
	s_movk_i32 s0, 0xff
	v_mov_b32_e32 v6, 0xff
	v_bfe_u32 v5, v4, 23, 8
	v_cmp_ne_u32_e32 vcc, s0, v5
	s_and_saveexec_b64 s[8:9], vcc
; %bb.1874:
	s_mov_b32 s0, 0x3fffff
	v_lshrrev_b32_e32 v6, 23, v4
	v_and_b32_e32 v7, 0x400000, v4
	v_and_or_b32 v4, v4, s0, v5
	v_cmp_ne_u32_e32 vcc, 0, v7
	v_cmp_ne_u32_e64 s[0:1], 0, v4
	s_and_b64 s[0:1], vcc, s[0:1]
	s_nop 0
	v_cndmask_b32_e64 v4, 0, 1, s[0:1]
	v_add_u32_e32 v6, v6, v4
; %bb.1875:
	s_or_b64 exec, exec, s[8:9]
	s_mov_b64 s[0:1], 0
	s_mov_b64 s[8:9], -1
	global_store_byte v[2:3], v6, off
.LBB457_1876:
	s_mov_b64 s[10:11], 0
.LBB457_1877:
	s_and_b64 vcc, exec, s[10:11]
	s_cbranch_vccz .LBB457_1880
; %bb.1878:
	s_cmp_eq_u32 s16, 29
	s_mov_b64 s[0:1], -1
	s_cbranch_scc0 .LBB457_1880
; %bb.1879:
	v_bfe_i32 v4, v1, 0, 16
	v_ashrrev_i32_e32 v5, 31, v4
	global_store_dwordx2 v[2:3], v[4:5], off
	s_mov_b64 s[0:1], 0
	s_mov_b64 s[8:9], -1
.LBB457_1880:
	s_mov_b64 s[10:11], 0
.LBB457_1881:
	s_and_b64 vcc, exec, s[10:11]
	s_cbranch_vccz .LBB457_1897
; %bb.1882:
	s_cmp_lt_i32 s16, 27
	s_mov_b64 s[8:9], -1
	s_cbranch_scc1 .LBB457_1888
; %bb.1883:
	s_cmp_gt_i32 s16, 27
	s_cbranch_scc0 .LBB457_1885
; %bb.1884:
	v_bfe_i32 v4, v1, 0, 16
	s_mov_b64 s[8:9], 0
	global_store_dword v[2:3], v4, off
.LBB457_1885:
	s_andn2_b64 vcc, exec, s[8:9]
	s_cbranch_vccnz .LBB457_1887
; %bb.1886:
	global_store_short v[2:3], v1, off
.LBB457_1887:
	s_mov_b64 s[8:9], 0
.LBB457_1888:
	s_andn2_b64 vcc, exec, s[8:9]
	s_cbranch_vccnz .LBB457_1896
; %bb.1889:
	v_cvt_f32_i32_sdwa v4, sext(v1) dst_sel:DWORD dst_unused:UNUSED_PAD src0_sel:WORD_0
	s_mov_b32 s8, 0x43800000
	v_mov_b32_e32 v6, 0x80
	v_and_b32_e32 v5, 0x7fffffff, v4
	v_cmp_gt_u32_e32 vcc, s8, v5
	s_and_saveexec_b64 s[8:9], vcc
	s_cbranch_execz .LBB457_1895
; %bb.1890:
	s_mov_b32 s10, 0x3bffffff
	v_cmp_lt_u32_e32 vcc, s10, v5
	s_mov_b64 s[10:11], 0
                                        ; implicit-def: $vgpr5
	s_and_saveexec_b64 s[12:13], vcc
	s_xor_b64 s[12:13], exec, s[12:13]
	s_cbranch_execz .LBB457_2116
; %bb.1891:
	v_bfe_u32 v5, v4, 20, 1
	s_mov_b32 s17, 0x487ffff
	v_add3_u32 v5, v4, v5, s17
	s_mov_b64 s[10:11], exec
	v_lshrrev_b32_e32 v5, 20, v5
	s_andn2_saveexec_b64 s[12:13], s[12:13]
	s_cbranch_execnz .LBB457_2117
.LBB457_1892:
	s_or_b64 exec, exec, s[12:13]
	v_mov_b32_e32 v6, 0
	s_and_saveexec_b64 s[12:13], s[10:11]
.LBB457_1893:
	v_lshrrev_b32_e32 v4, 24, v4
	s_movk_i32 s10, 0x80
	v_and_or_b32 v6, v4, s10, v5
.LBB457_1894:
	s_or_b64 exec, exec, s[12:13]
.LBB457_1895:
	s_or_b64 exec, exec, s[8:9]
	global_store_byte v[2:3], v6, off
.LBB457_1896:
	s_mov_b64 s[8:9], -1
.LBB457_1897:
	s_mov_b64 s[10:11], 0
.LBB457_1898:
	s_and_b64 vcc, exec, s[10:11]
	s_cbranch_vccz .LBB457_1938
; %bb.1899:
	s_cmp_gt_i32 s16, 22
	s_mov_b64 s[6:7], -1
	s_cbranch_scc0 .LBB457_1931
; %bb.1900:
	s_cmp_lt_i32 s16, 24
	s_cbranch_scc1 .LBB457_1920
; %bb.1901:
	s_cmp_gt_i32 s16, 24
	s_cbranch_scc0 .LBB457_1909
; %bb.1902:
	v_cvt_f32_i32_sdwa v4, sext(v1) dst_sel:DWORD dst_unused:UNUSED_PAD src0_sel:WORD_0
	s_mov_b32 s6, 0x47800000
	v_mov_b32_e32 v6, 0x80
	v_and_b32_e32 v5, 0x7fffffff, v4
	v_cmp_gt_u32_e32 vcc, s6, v5
	s_and_saveexec_b64 s[6:7], vcc
	s_cbranch_execz .LBB457_1908
; %bb.1903:
	s_mov_b32 s8, 0x37ffffff
	v_cmp_lt_u32_e32 vcc, s8, v5
	s_mov_b64 s[8:9], 0
                                        ; implicit-def: $vgpr5
	s_and_saveexec_b64 s[10:11], vcc
	s_xor_b64 s[10:11], exec, s[10:11]
	s_cbranch_execz .LBB457_2119
; %bb.1904:
	v_bfe_u32 v5, v4, 21, 1
	s_mov_b32 s12, 0x88fffff
	v_add3_u32 v5, v4, v5, s12
	s_mov_b64 s[8:9], exec
	v_lshrrev_b32_e32 v5, 21, v5
	s_andn2_saveexec_b64 s[10:11], s[10:11]
	s_cbranch_execnz .LBB457_2120
.LBB457_1905:
	s_or_b64 exec, exec, s[10:11]
	v_mov_b32_e32 v6, 0
	s_and_saveexec_b64 s[10:11], s[8:9]
.LBB457_1906:
	v_lshrrev_b32_e32 v4, 24, v4
	s_movk_i32 s8, 0x80
	v_and_or_b32 v6, v4, s8, v5
.LBB457_1907:
	s_or_b64 exec, exec, s[10:11]
.LBB457_1908:
	s_or_b64 exec, exec, s[6:7]
	s_mov_b64 s[6:7], 0
	global_store_byte v[2:3], v6, off
.LBB457_1909:
	s_and_b64 vcc, exec, s[6:7]
	s_cbranch_vccz .LBB457_1919
; %bb.1910:
	v_cvt_f32_i32_sdwa v4, sext(v1) dst_sel:DWORD dst_unused:UNUSED_PAD src0_sel:WORD_0
	s_mov_b32 s6, 0x43f00000
                                        ; implicit-def: $vgpr5
	v_and_b32_e32 v6, 0x7fffffff, v4
	v_cmp_gt_u32_e32 vcc, s6, v6
	s_and_saveexec_b64 s[6:7], vcc
	s_xor_b64 s[6:7], exec, s[6:7]
	s_cbranch_execz .LBB457_1916
; %bb.1911:
	s_mov_b32 s8, 0x3c7fffff
	v_cmp_lt_u32_e32 vcc, s8, v6
                                        ; implicit-def: $vgpr5
	s_and_saveexec_b64 s[8:9], vcc
	s_xor_b64 s[8:9], exec, s[8:9]
; %bb.1912:
	v_bfe_u32 v5, v4, 20, 1
	s_mov_b32 s10, 0x407ffff
	v_add3_u32 v5, v4, v5, s10
	v_lshrrev_b32_e32 v6, 20, v5
	v_and_b32_e32 v5, 0xff00000, v5
	s_mov_b32 s10, 0x7f00000
	v_mov_b32_e32 v7, 0x7e
	v_cmp_ne_u32_e32 vcc, s10, v5
	s_nop 1
	v_cndmask_b32_e32 v5, v7, v6, vcc
; %bb.1913:
	s_andn2_saveexec_b64 s[8:9], s[8:9]
; %bb.1914:
	s_mov_b32 s10, 0x46800000
	v_add_f32_e64 v5, |v4|, s10
; %bb.1915:
	s_or_b64 exec, exec, s[8:9]
                                        ; implicit-def: $vgpr6
.LBB457_1916:
	s_andn2_saveexec_b64 s[6:7], s[6:7]
; %bb.1917:
	s_mov_b32 s8, 0x7f800000
	v_mov_b32_e32 v5, 0x7e
	v_mov_b32_e32 v7, 0x7f
	v_cmp_lt_u32_e32 vcc, s8, v6
	s_nop 1
	v_cndmask_b32_e32 v5, v5, v7, vcc
; %bb.1918:
	s_or_b64 exec, exec, s[6:7]
	v_lshrrev_b32_e32 v4, 24, v4
	s_movk_i32 s6, 0x80
	v_and_or_b32 v4, v4, s6, v5
	global_store_byte v[2:3], v4, off
.LBB457_1919:
	s_mov_b64 s[6:7], 0
.LBB457_1920:
	s_andn2_b64 vcc, exec, s[6:7]
	s_cbranch_vccnz .LBB457_1930
; %bb.1921:
	v_cvt_f32_i32_sdwa v4, sext(v1) dst_sel:DWORD dst_unused:UNUSED_PAD src0_sel:WORD_0
	s_mov_b32 s6, 0x47800000
                                        ; implicit-def: $vgpr5
	v_and_b32_e32 v6, 0x7fffffff, v4
	v_cmp_gt_u32_e32 vcc, s6, v6
	s_and_saveexec_b64 s[6:7], vcc
	s_xor_b64 s[6:7], exec, s[6:7]
	s_cbranch_execz .LBB457_1927
; %bb.1922:
	s_mov_b32 s8, 0x387fffff
	v_cmp_lt_u32_e32 vcc, s8, v6
                                        ; implicit-def: $vgpr5
	s_and_saveexec_b64 s[8:9], vcc
	s_xor_b64 s[8:9], exec, s[8:9]
; %bb.1923:
	v_bfe_u32 v5, v4, 21, 1
	s_mov_b32 s10, 0x80fffff
	v_add3_u32 v5, v4, v5, s10
	v_lshrrev_b32_e32 v5, 21, v5
; %bb.1924:
	s_andn2_saveexec_b64 s[8:9], s[8:9]
; %bb.1925:
	s_mov_b32 s10, 0x43000000
	v_add_f32_e64 v5, |v4|, s10
; %bb.1926:
	s_or_b64 exec, exec, s[8:9]
                                        ; implicit-def: $vgpr6
.LBB457_1927:
	s_andn2_saveexec_b64 s[6:7], s[6:7]
; %bb.1928:
	s_mov_b32 s8, 0x7f800000
	v_mov_b32_e32 v5, 0x7c
	v_mov_b32_e32 v7, 0x7f
	v_cmp_lt_u32_e32 vcc, s8, v6
	s_nop 1
	v_cndmask_b32_e32 v5, v5, v7, vcc
; %bb.1929:
	s_or_b64 exec, exec, s[6:7]
	v_lshrrev_b32_e32 v4, 24, v4
	s_movk_i32 s6, 0x80
	v_and_or_b32 v4, v4, s6, v5
	global_store_byte v[2:3], v4, off
.LBB457_1930:
	s_mov_b64 s[6:7], 0
	s_mov_b64 s[8:9], -1
.LBB457_1931:
	s_andn2_b64 vcc, exec, s[6:7]
	s_mov_b64 s[6:7], 0
	s_cbranch_vccnz .LBB457_1938
; %bb.1932:
	s_cmp_gt_i32 s16, 14
	s_mov_b64 s[10:11], -1
	s_cbranch_scc0 .LBB457_1936
; %bb.1933:
	s_cmp_eq_u32 s16, 15
	s_mov_b64 s[0:1], -1
	s_cbranch_scc0 .LBB457_1935
; %bb.1934:
	v_cvt_f32_i32_sdwa v4, sext(v1) dst_sel:DWORD dst_unused:UNUSED_PAD src0_sel:WORD_0
	s_movk_i32 s6, 0x7fff
	s_mov_b64 s[0:1], 0
	s_mov_b64 s[8:9], -1
	v_bfe_u32 v5, v4, 16, 1
	v_add3_u32 v4, v4, v5, s6
	global_store_short_d16_hi v[2:3], v4, off
.LBB457_1935:
	s_mov_b64 s[10:11], 0
.LBB457_1936:
	s_mov_b64 s[6:7], 0
	s_and_b64 vcc, exec, s[10:11]
	s_cbranch_vccz .LBB457_1938
; %bb.1937:
	s_cmp_lg_u32 s16, 11
	s_mov_b64 s[6:7], -1
	s_cselect_b64 s[0:1], -1, 0
.LBB457_1938:
	s_and_b64 vcc, exec, s[0:1]
	s_cbranch_vccnz .LBB457_2118
; %bb.1939:
	s_andn2_b64 vcc, exec, s[6:7]
	s_cbranch_vccnz .LBB457_1941
.LBB457_1940:
	v_cmp_ne_u16_e32 vcc, 0, v1
	s_mov_b64 s[8:9], -1
	s_nop 0
	v_cndmask_b32_e64 v4, 0, 1, vcc
	global_store_byte v[2:3], v4, off
.LBB457_1941:
	s_mov_b64 s[0:1], 0
	s_branch .LBB457_1943
.LBB457_1942:
	s_mov_b64 s[0:1], -1
	s_mov_b64 s[8:9], 0
.LBB457_1943:
	s_and_b64 vcc, exec, s[0:1]
	s_cbranch_vccz .LBB457_1982
; %bb.1944:
	s_and_b32 s6, 0xffff, s14
	s_cmp_lt_i32 s6, 5
	s_mov_b64 s[0:1], -1
	s_cbranch_scc1 .LBB457_1965
; %bb.1945:
	s_cmp_lt_i32 s6, 8
	s_cbranch_scc1 .LBB457_1955
; %bb.1946:
	s_cmp_lt_i32 s6, 9
	s_cbranch_scc1 .LBB457_1952
; %bb.1947:
	s_cmp_gt_i32 s6, 9
	s_cbranch_scc0 .LBB457_1949
; %bb.1948:
	v_bfe_i32 v4, v1, 0, 16
	v_mov_b32_e32 v6, 0
	v_cvt_f64_i32_e32 v[4:5], v4
	v_mov_b32_e32 v7, v6
	global_store_dwordx4 v[2:3], v[4:7], off
	s_mov_b64 s[0:1], 0
.LBB457_1949:
	s_andn2_b64 vcc, exec, s[0:1]
	s_cbranch_vccnz .LBB457_1951
; %bb.1950:
	v_cvt_f32_i32_sdwa v4, sext(v1) dst_sel:DWORD dst_unused:UNUSED_PAD src0_sel:WORD_0
	v_mov_b32_e32 v5, 0
	global_store_dwordx2 v[2:3], v[4:5], off
.LBB457_1951:
	s_mov_b64 s[0:1], 0
.LBB457_1952:
	s_andn2_b64 vcc, exec, s[0:1]
	s_cbranch_vccnz .LBB457_1954
; %bb.1953:
	v_cvt_f16_i16_e32 v4, v1
	global_store_dword v[2:3], v4, off
.LBB457_1954:
	s_mov_b64 s[0:1], 0
.LBB457_1955:
	s_andn2_b64 vcc, exec, s[0:1]
	s_cbranch_vccnz .LBB457_1964
; %bb.1956:
	s_cmp_lt_i32 s6, 6
	s_mov_b64 s[0:1], -1
	s_cbranch_scc1 .LBB457_1962
; %bb.1957:
	s_cmp_gt_i32 s6, 6
	s_cbranch_scc0 .LBB457_1959
; %bb.1958:
	v_bfe_i32 v4, v1, 0, 16
	v_cvt_f64_i32_e32 v[4:5], v4
	global_store_dwordx2 v[2:3], v[4:5], off
	s_mov_b64 s[0:1], 0
.LBB457_1959:
	s_andn2_b64 vcc, exec, s[0:1]
	s_cbranch_vccnz .LBB457_1961
; %bb.1960:
	v_cvt_f32_i32_sdwa v4, sext(v1) dst_sel:DWORD dst_unused:UNUSED_PAD src0_sel:WORD_0
	global_store_dword v[2:3], v4, off
.LBB457_1961:
	s_mov_b64 s[0:1], 0
.LBB457_1962:
	s_andn2_b64 vcc, exec, s[0:1]
	s_cbranch_vccnz .LBB457_1964
; %bb.1963:
	v_cvt_f16_i16_e32 v4, v1
	global_store_short v[2:3], v4, off
.LBB457_1964:
	s_mov_b64 s[0:1], 0
.LBB457_1965:
	s_andn2_b64 vcc, exec, s[0:1]
	s_cbranch_vccnz .LBB457_1981
; %bb.1966:
	s_cmp_lt_i32 s6, 2
	s_mov_b64 s[0:1], -1
	s_cbranch_scc1 .LBB457_1976
; %bb.1967:
	s_cmp_lt_i32 s6, 3
	s_cbranch_scc1 .LBB457_1973
; %bb.1968:
	s_cmp_gt_i32 s6, 3
	v_bfe_i32 v4, v1, 0, 16
	s_cbranch_scc0 .LBB457_1970
; %bb.1969:
	v_ashrrev_i32_e32 v5, 31, v4
	global_store_dwordx2 v[2:3], v[4:5], off
	s_mov_b64 s[0:1], 0
.LBB457_1970:
	s_andn2_b64 vcc, exec, s[0:1]
	s_cbranch_vccnz .LBB457_1972
; %bb.1971:
	global_store_dword v[2:3], v4, off
.LBB457_1972:
	s_mov_b64 s[0:1], 0
.LBB457_1973:
	s_andn2_b64 vcc, exec, s[0:1]
	s_cbranch_vccnz .LBB457_1975
; %bb.1974:
	global_store_short v[2:3], v1, off
.LBB457_1975:
	s_mov_b64 s[0:1], 0
.LBB457_1976:
	s_andn2_b64 vcc, exec, s[0:1]
	s_cbranch_vccnz .LBB457_1981
; %bb.1977:
	s_cmp_gt_i32 s6, 0
	s_mov_b64 s[0:1], -1
	s_cbranch_scc0 .LBB457_1979
; %bb.1978:
	global_store_byte v[2:3], v1, off
	s_mov_b64 s[0:1], 0
.LBB457_1979:
	s_andn2_b64 vcc, exec, s[0:1]
	s_cbranch_vccnz .LBB457_1981
; %bb.1980:
	global_store_byte v[2:3], v1, off
.LBB457_1981:
	s_mov_b64 s[8:9], -1
.LBB457_1982:
	s_andn2_b64 vcc, exec, s[8:9]
	s_cbranch_vccnz .LBB457_2059
; %bb.1983:
	v_mov_b32_e32 v1, 0
	v_min_i16_e32 v2, s15, v8
	s_cmp_lt_i32 s14, 11
	v_lshl_add_u64 v[0:1], s[4:5], 0, v[0:1]
	s_cbranch_scc1 .LBB457_2104
; %bb.1984:
	s_and_b32 s12, 0xffff, s14
	s_mov_b64 s[6:7], -1
	s_mov_b64 s[4:5], 0
	s_cmp_gt_i32 s12, 25
	s_mov_b64 s[0:1], 0
	s_cbranch_scc0 .LBB457_2017
; %bb.1985:
	s_cmp_gt_i32 s12, 28
	s_cbranch_scc0 .LBB457_2001
; %bb.1986:
	s_cmp_gt_i32 s12, 43
	;; [unrolled: 3-line block ×3, first 2 shown]
	s_cbranch_scc0 .LBB457_1991
; %bb.1988:
	s_cmp_eq_u32 s12, 46
	s_mov_b64 s[0:1], -1
	s_cbranch_scc0 .LBB457_1990
; %bb.1989:
	v_cvt_f32_i32_sdwa v3, sext(v2) dst_sel:DWORD dst_unused:UNUSED_PAD src0_sel:WORD_0
	s_movk_i32 s0, 0x7fff
	v_bfe_u32 v4, v3, 16, 1
	v_add3_u32 v3, v3, v4, s0
	v_lshrrev_b32_e32 v3, 16, v3
	global_store_dword v[0:1], v3, off
	s_mov_b64 s[0:1], 0
.LBB457_1990:
	s_mov_b64 s[6:7], 0
.LBB457_1991:
	s_and_b64 vcc, exec, s[6:7]
	s_cbranch_vccz .LBB457_1996
; %bb.1992:
	s_cmp_eq_u32 s12, 44
	s_mov_b64 s[0:1], -1
	s_cbranch_scc0 .LBB457_1996
; %bb.1993:
	v_cvt_f32_i32_sdwa v3, sext(v2) dst_sel:DWORD dst_unused:UNUSED_PAD src0_sel:WORD_0
	s_movk_i32 s0, 0xff
	v_mov_b32_e32 v5, 0xff
	v_bfe_u32 v4, v3, 23, 8
	v_cmp_ne_u32_e32 vcc, s0, v4
	s_and_saveexec_b64 s[6:7], vcc
; %bb.1994:
	s_mov_b32 s0, 0x3fffff
	v_lshrrev_b32_e32 v5, 23, v3
	v_and_b32_e32 v6, 0x400000, v3
	v_and_or_b32 v3, v3, s0, v4
	v_cmp_ne_u32_e32 vcc, 0, v6
	v_cmp_ne_u32_e64 s[0:1], 0, v3
	s_and_b64 s[0:1], vcc, s[0:1]
	s_nop 0
	v_cndmask_b32_e64 v3, 0, 1, s[0:1]
	v_add_u32_e32 v5, v5, v3
; %bb.1995:
	s_or_b64 exec, exec, s[6:7]
	s_mov_b64 s[0:1], 0
	global_store_byte v[0:1], v5, off
.LBB457_1996:
	s_mov_b64 s[6:7], 0
.LBB457_1997:
	s_and_b64 vcc, exec, s[6:7]
	s_cbranch_vccz .LBB457_2000
; %bb.1998:
	s_cmp_eq_u32 s12, 29
	s_mov_b64 s[0:1], -1
	s_cbranch_scc0 .LBB457_2000
; %bb.1999:
	v_bfe_i32 v4, v2, 0, 16
	v_ashrrev_i32_e32 v5, 31, v4
	global_store_dwordx2 v[0:1], v[4:5], off
	s_mov_b64 s[0:1], 0
.LBB457_2000:
	s_mov_b64 s[6:7], 0
.LBB457_2001:
	s_and_b64 vcc, exec, s[6:7]
	s_cbranch_vccz .LBB457_2016
; %bb.2002:
	s_cmp_lt_i32 s12, 27
	s_mov_b64 s[6:7], -1
	s_cbranch_scc1 .LBB457_2008
; %bb.2003:
	s_cmp_gt_i32 s12, 27
	s_cbranch_scc0 .LBB457_2005
; %bb.2004:
	v_bfe_i32 v3, v2, 0, 16
	global_store_dword v[0:1], v3, off
	s_mov_b64 s[6:7], 0
.LBB457_2005:
	s_andn2_b64 vcc, exec, s[6:7]
	s_cbranch_vccnz .LBB457_2007
; %bb.2006:
	global_store_short v[0:1], v2, off
.LBB457_2007:
	s_mov_b64 s[6:7], 0
.LBB457_2008:
	s_andn2_b64 vcc, exec, s[6:7]
	s_cbranch_vccnz .LBB457_2016
; %bb.2009:
	v_cvt_f32_i32_sdwa v3, sext(v2) dst_sel:DWORD dst_unused:UNUSED_PAD src0_sel:WORD_0
	s_mov_b32 s6, 0x43800000
	v_mov_b32_e32 v5, 0x80
	v_and_b32_e32 v4, 0x7fffffff, v3
	v_cmp_gt_u32_e32 vcc, s6, v4
	s_and_saveexec_b64 s[6:7], vcc
	s_cbranch_execz .LBB457_2015
; %bb.2010:
	s_mov_b32 s8, 0x3bffffff
	v_cmp_lt_u32_e32 vcc, s8, v4
	s_mov_b64 s[8:9], 0
                                        ; implicit-def: $vgpr4
	s_and_saveexec_b64 s[10:11], vcc
	s_xor_b64 s[10:11], exec, s[10:11]
	s_cbranch_execz .LBB457_2121
; %bb.2011:
	v_bfe_u32 v4, v3, 20, 1
	s_mov_b32 s13, 0x487ffff
	v_add3_u32 v4, v3, v4, s13
	s_mov_b64 s[8:9], exec
	v_lshrrev_b32_e32 v4, 20, v4
	s_andn2_saveexec_b64 s[10:11], s[10:11]
	s_cbranch_execnz .LBB457_2122
.LBB457_2012:
	s_or_b64 exec, exec, s[10:11]
	v_mov_b32_e32 v5, 0
	s_and_saveexec_b64 s[10:11], s[8:9]
.LBB457_2013:
	v_lshrrev_b32_e32 v3, 24, v3
	s_movk_i32 s8, 0x80
	v_and_or_b32 v5, v3, s8, v4
.LBB457_2014:
	s_or_b64 exec, exec, s[10:11]
.LBB457_2015:
	s_or_b64 exec, exec, s[6:7]
	global_store_byte v[0:1], v5, off
.LBB457_2016:
	s_mov_b64 s[6:7], 0
.LBB457_2017:
	s_and_b64 vcc, exec, s[6:7]
	s_cbranch_vccz .LBB457_2057
; %bb.2018:
	s_cmp_gt_i32 s12, 22
	s_mov_b64 s[4:5], -1
	s_cbranch_scc0 .LBB457_2050
; %bb.2019:
	s_cmp_lt_i32 s12, 24
	s_cbranch_scc1 .LBB457_2039
; %bb.2020:
	s_cmp_gt_i32 s12, 24
	s_cbranch_scc0 .LBB457_2028
; %bb.2021:
	v_cvt_f32_i32_sdwa v3, sext(v2) dst_sel:DWORD dst_unused:UNUSED_PAD src0_sel:WORD_0
	s_mov_b32 s4, 0x47800000
	v_mov_b32_e32 v5, 0x80
	v_and_b32_e32 v4, 0x7fffffff, v3
	v_cmp_gt_u32_e32 vcc, s4, v4
	s_and_saveexec_b64 s[4:5], vcc
	s_cbranch_execz .LBB457_2027
; %bb.2022:
	s_mov_b32 s6, 0x37ffffff
	v_cmp_lt_u32_e32 vcc, s6, v4
	s_mov_b64 s[6:7], 0
                                        ; implicit-def: $vgpr4
	s_and_saveexec_b64 s[8:9], vcc
	s_xor_b64 s[8:9], exec, s[8:9]
	s_cbranch_execz .LBB457_2124
; %bb.2023:
	v_bfe_u32 v4, v3, 21, 1
	s_mov_b32 s10, 0x88fffff
	v_add3_u32 v4, v3, v4, s10
	s_mov_b64 s[6:7], exec
	v_lshrrev_b32_e32 v4, 21, v4
	s_andn2_saveexec_b64 s[8:9], s[8:9]
	s_cbranch_execnz .LBB457_2125
.LBB457_2024:
	s_or_b64 exec, exec, s[8:9]
	v_mov_b32_e32 v5, 0
	s_and_saveexec_b64 s[8:9], s[6:7]
.LBB457_2025:
	v_lshrrev_b32_e32 v3, 24, v3
	s_movk_i32 s6, 0x80
	v_and_or_b32 v5, v3, s6, v4
.LBB457_2026:
	s_or_b64 exec, exec, s[8:9]
.LBB457_2027:
	s_or_b64 exec, exec, s[4:5]
	s_mov_b64 s[4:5], 0
	global_store_byte v[0:1], v5, off
.LBB457_2028:
	s_and_b64 vcc, exec, s[4:5]
	s_cbranch_vccz .LBB457_2038
; %bb.2029:
	v_cvt_f32_i32_sdwa v3, sext(v2) dst_sel:DWORD dst_unused:UNUSED_PAD src0_sel:WORD_0
	s_mov_b32 s4, 0x43f00000
                                        ; implicit-def: $vgpr4
	v_and_b32_e32 v5, 0x7fffffff, v3
	v_cmp_gt_u32_e32 vcc, s4, v5
	s_and_saveexec_b64 s[4:5], vcc
	s_xor_b64 s[4:5], exec, s[4:5]
	s_cbranch_execz .LBB457_2035
; %bb.2030:
	s_mov_b32 s6, 0x3c7fffff
	v_cmp_lt_u32_e32 vcc, s6, v5
                                        ; implicit-def: $vgpr4
	s_and_saveexec_b64 s[6:7], vcc
	s_xor_b64 s[6:7], exec, s[6:7]
; %bb.2031:
	v_bfe_u32 v4, v3, 20, 1
	s_mov_b32 s8, 0x407ffff
	v_add3_u32 v4, v3, v4, s8
	v_lshrrev_b32_e32 v5, 20, v4
	v_and_b32_e32 v4, 0xff00000, v4
	s_mov_b32 s8, 0x7f00000
	v_mov_b32_e32 v6, 0x7e
	v_cmp_ne_u32_e32 vcc, s8, v4
	s_nop 1
	v_cndmask_b32_e32 v4, v6, v5, vcc
; %bb.2032:
	s_andn2_saveexec_b64 s[6:7], s[6:7]
; %bb.2033:
	s_mov_b32 s8, 0x46800000
	v_add_f32_e64 v4, |v3|, s8
; %bb.2034:
	s_or_b64 exec, exec, s[6:7]
                                        ; implicit-def: $vgpr5
.LBB457_2035:
	s_andn2_saveexec_b64 s[4:5], s[4:5]
; %bb.2036:
	s_mov_b32 s6, 0x7f800000
	v_mov_b32_e32 v4, 0x7e
	v_mov_b32_e32 v6, 0x7f
	v_cmp_lt_u32_e32 vcc, s6, v5
	s_nop 1
	v_cndmask_b32_e32 v4, v4, v6, vcc
; %bb.2037:
	s_or_b64 exec, exec, s[4:5]
	v_lshrrev_b32_e32 v3, 24, v3
	s_movk_i32 s4, 0x80
	v_and_or_b32 v3, v3, s4, v4
	global_store_byte v[0:1], v3, off
.LBB457_2038:
	s_mov_b64 s[4:5], 0
.LBB457_2039:
	s_andn2_b64 vcc, exec, s[4:5]
	s_cbranch_vccnz .LBB457_2049
; %bb.2040:
	v_cvt_f32_i32_sdwa v3, sext(v2) dst_sel:DWORD dst_unused:UNUSED_PAD src0_sel:WORD_0
	s_mov_b32 s4, 0x47800000
                                        ; implicit-def: $vgpr4
	v_and_b32_e32 v5, 0x7fffffff, v3
	v_cmp_gt_u32_e32 vcc, s4, v5
	s_and_saveexec_b64 s[4:5], vcc
	s_xor_b64 s[4:5], exec, s[4:5]
	s_cbranch_execz .LBB457_2046
; %bb.2041:
	s_mov_b32 s6, 0x387fffff
	v_cmp_lt_u32_e32 vcc, s6, v5
                                        ; implicit-def: $vgpr4
	s_and_saveexec_b64 s[6:7], vcc
	s_xor_b64 s[6:7], exec, s[6:7]
; %bb.2042:
	v_bfe_u32 v4, v3, 21, 1
	s_mov_b32 s8, 0x80fffff
	v_add3_u32 v4, v3, v4, s8
	v_lshrrev_b32_e32 v4, 21, v4
; %bb.2043:
	s_andn2_saveexec_b64 s[6:7], s[6:7]
; %bb.2044:
	s_mov_b32 s8, 0x43000000
	v_add_f32_e64 v4, |v3|, s8
; %bb.2045:
	s_or_b64 exec, exec, s[6:7]
                                        ; implicit-def: $vgpr5
.LBB457_2046:
	s_andn2_saveexec_b64 s[4:5], s[4:5]
; %bb.2047:
	s_mov_b32 s6, 0x7f800000
	v_mov_b32_e32 v4, 0x7c
	v_mov_b32_e32 v6, 0x7f
	v_cmp_lt_u32_e32 vcc, s6, v5
	s_nop 1
	v_cndmask_b32_e32 v4, v4, v6, vcc
; %bb.2048:
	s_or_b64 exec, exec, s[4:5]
	v_lshrrev_b32_e32 v3, 24, v3
	s_movk_i32 s4, 0x80
	v_and_or_b32 v3, v3, s4, v4
	global_store_byte v[0:1], v3, off
.LBB457_2049:
	s_mov_b64 s[4:5], 0
.LBB457_2050:
	s_andn2_b64 vcc, exec, s[4:5]
	s_mov_b64 s[4:5], 0
	s_cbranch_vccnz .LBB457_2057
; %bb.2051:
	s_cmp_gt_i32 s12, 14
	s_mov_b64 s[6:7], -1
	s_cbranch_scc0 .LBB457_2055
; %bb.2052:
	s_cmp_eq_u32 s12, 15
	s_mov_b64 s[0:1], -1
	s_cbranch_scc0 .LBB457_2054
; %bb.2053:
	v_cvt_f32_i32_sdwa v3, sext(v2) dst_sel:DWORD dst_unused:UNUSED_PAD src0_sel:WORD_0
	s_movk_i32 s0, 0x7fff
	v_bfe_u32 v4, v3, 16, 1
	v_add3_u32 v3, v3, v4, s0
	global_store_short_d16_hi v[0:1], v3, off
	s_mov_b64 s[0:1], 0
.LBB457_2054:
	s_mov_b64 s[6:7], 0
.LBB457_2055:
	s_and_b64 vcc, exec, s[6:7]
	s_cbranch_vccz .LBB457_2057
; %bb.2056:
	s_cmp_lg_u32 s12, 11
	s_mov_b64 s[4:5], -1
	s_cselect_b64 s[0:1], -1, 0
.LBB457_2057:
	s_and_b64 vcc, exec, s[0:1]
	s_cbranch_vccnz .LBB457_2123
.LBB457_2058:
	s_mov_b64 s[0:1], 0
	s_branch .LBB457_2060
.LBB457_2059:
	s_mov_b64 s[0:1], 0
	s_mov_b64 s[4:5], 0
                                        ; implicit-def: $vgpr0_vgpr1
                                        ; implicit-def: $sgpr14
                                        ; implicit-def: $vgpr2
.LBB457_2060:
	s_and_b64 s[6:7], s[0:1], exec
	s_andn2_b64 s[0:1], s[24:25], exec
	s_and_b64 s[2:3], s[2:3], exec
	s_and_b64 s[40:41], s[4:5], exec
	s_or_b64 s[24:25], s[0:1], s[2:3]
.LBB457_2061:
	s_or_b64 exec, exec, s[26:27]
	s_and_saveexec_b64 s[0:1], s[24:25]
	s_cbranch_execz .LBB457_2064
; %bb.2062:
	; divergent unreachable
	s_or_b64 exec, exec, s[0:1]
	s_and_saveexec_b64 s[0:1], s[40:41]
	s_xor_b64 s[0:1], exec, s[0:1]
	s_cbranch_execnz .LBB457_2065
.LBB457_2063:
	s_or_b64 exec, exec, s[0:1]
	s_and_saveexec_b64 s[0:1], s[6:7]
	s_cbranch_execnz .LBB457_2066
	s_branch .LBB457_2103
.LBB457_2064:
	s_or_b64 exec, exec, s[0:1]
	s_and_saveexec_b64 s[0:1], s[40:41]
	s_xor_b64 s[0:1], exec, s[0:1]
	s_cbranch_execz .LBB457_2063
.LBB457_2065:
	v_cmp_ne_u16_e32 vcc, 0, v2
	s_nop 1
	v_cndmask_b32_e64 v3, 0, 1, vcc
	global_store_byte v[0:1], v3, off
	s_or_b64 exec, exec, s[0:1]
	s_and_saveexec_b64 s[0:1], s[6:7]
	s_cbranch_execz .LBB457_2103
.LBB457_2066:
	s_sext_i32_i16 s2, s14
	s_cmp_lt_i32 s2, 5
	s_mov_b64 s[0:1], -1
	s_cbranch_scc1 .LBB457_2087
; %bb.2067:
	s_cmp_lt_i32 s2, 8
	s_cbranch_scc1 .LBB457_2077
; %bb.2068:
	s_cmp_lt_i32 s2, 9
	s_cbranch_scc1 .LBB457_2074
; %bb.2069:
	s_cmp_gt_i32 s2, 9
	s_cbranch_scc0 .LBB457_2071
; %bb.2070:
	v_bfe_i32 v3, v2, 0, 16
	v_mov_b32_e32 v6, 0
	s_waitcnt vmcnt(0)
	v_cvt_f64_i32_e32 v[4:5], v3
	v_mov_b32_e32 v7, v6
	global_store_dwordx4 v[0:1], v[4:7], off
	s_mov_b64 s[0:1], 0
.LBB457_2071:
	s_andn2_b64 vcc, exec, s[0:1]
	s_cbranch_vccnz .LBB457_2073
; %bb.2072:
	s_waitcnt vmcnt(0)
	v_cvt_f32_i32_sdwa v4, sext(v2) dst_sel:DWORD dst_unused:UNUSED_PAD src0_sel:WORD_0
	v_mov_b32_e32 v5, 0
	global_store_dwordx2 v[0:1], v[4:5], off
.LBB457_2073:
	s_mov_b64 s[0:1], 0
.LBB457_2074:
	s_andn2_b64 vcc, exec, s[0:1]
	s_cbranch_vccnz .LBB457_2076
; %bb.2075:
	v_cvt_f16_i16_e32 v3, v2
	global_store_dword v[0:1], v3, off
.LBB457_2076:
	s_mov_b64 s[0:1], 0
.LBB457_2077:
	s_andn2_b64 vcc, exec, s[0:1]
	s_cbranch_vccnz .LBB457_2086
; %bb.2078:
	s_sext_i32_i16 s2, s14
	s_cmp_lt_i32 s2, 6
	s_mov_b64 s[0:1], -1
	s_cbranch_scc1 .LBB457_2084
; %bb.2079:
	s_cmp_gt_i32 s2, 6
	s_cbranch_scc0 .LBB457_2081
; %bb.2080:
	v_bfe_i32 v3, v2, 0, 16
	s_waitcnt vmcnt(0)
	v_cvt_f64_i32_e32 v[4:5], v3
	global_store_dwordx2 v[0:1], v[4:5], off
	s_mov_b64 s[0:1], 0
.LBB457_2081:
	s_andn2_b64 vcc, exec, s[0:1]
	s_cbranch_vccnz .LBB457_2083
; %bb.2082:
	v_cvt_f32_i32_sdwa v3, sext(v2) dst_sel:DWORD dst_unused:UNUSED_PAD src0_sel:WORD_0
	global_store_dword v[0:1], v3, off
.LBB457_2083:
	s_mov_b64 s[0:1], 0
.LBB457_2084:
	s_andn2_b64 vcc, exec, s[0:1]
	s_cbranch_vccnz .LBB457_2086
; %bb.2085:
	v_cvt_f16_i16_e32 v3, v2
	global_store_short v[0:1], v3, off
.LBB457_2086:
	s_mov_b64 s[0:1], 0
.LBB457_2087:
	s_andn2_b64 vcc, exec, s[0:1]
	s_cbranch_vccnz .LBB457_2103
; %bb.2088:
	s_sext_i32_i16 s2, s14
	s_cmp_lt_i32 s2, 2
	s_mov_b64 s[0:1], -1
	s_cbranch_scc1 .LBB457_2098
; %bb.2089:
	s_cmp_lt_i32 s2, 3
	s_cbranch_scc1 .LBB457_2095
; %bb.2090:
	s_cmp_gt_i32 s2, 3
	s_cbranch_scc0 .LBB457_2092
; %bb.2091:
	s_waitcnt vmcnt(0)
	v_bfe_i32 v4, v2, 0, 16
	v_ashrrev_i32_e32 v5, 31, v4
	global_store_dwordx2 v[0:1], v[4:5], off
	s_mov_b64 s[0:1], 0
.LBB457_2092:
	s_andn2_b64 vcc, exec, s[0:1]
	s_cbranch_vccnz .LBB457_2094
; %bb.2093:
	v_bfe_i32 v3, v2, 0, 16
	global_store_dword v[0:1], v3, off
.LBB457_2094:
	s_mov_b64 s[0:1], 0
.LBB457_2095:
	s_andn2_b64 vcc, exec, s[0:1]
	s_cbranch_vccnz .LBB457_2097
; %bb.2096:
	global_store_short v[0:1], v2, off
.LBB457_2097:
	s_mov_b64 s[0:1], 0
.LBB457_2098:
	s_andn2_b64 vcc, exec, s[0:1]
	s_cbranch_vccnz .LBB457_2103
; %bb.2099:
	s_sext_i32_i16 s0, s14
	s_cmp_gt_i32 s0, 0
	s_mov_b64 s[0:1], -1
	s_cbranch_scc0 .LBB457_2101
; %bb.2100:
	global_store_byte v[0:1], v2, off
	s_mov_b64 s[0:1], 0
.LBB457_2101:
	s_andn2_b64 vcc, exec, s[0:1]
	s_cbranch_vccnz .LBB457_2103
; %bb.2102:
	global_store_byte v[0:1], v2, off
	s_endpgm
.LBB457_2103:
	s_endpgm
.LBB457_2104:
	s_mov_b64 s[4:5], 0
	s_mov_b64 s[0:1], -1
	s_branch .LBB457_2060
.LBB457_2105:
	s_trap 2
	s_or_b64 s[2:3], s[2:3], exec
	s_cbranch_execz .LBB457_1574
	s_branch .LBB457_1575
.LBB457_2106:
	s_andn2_saveexec_b64 s[12:13], s[12:13]
	s_cbranch_execz .LBB457_1654
.LBB457_2107:
	s_mov_b32 s18, 0x46000000
	v_add_f32_e64 v5, |v3|, s18
	v_and_b32_e32 v5, 0xff, v5
	v_cmp_ne_u32_e32 vcc, 0, v5
	s_andn2_b64 s[10:11], s[10:11], exec
	s_and_b64 s[18:19], vcc, exec
	s_or_b64 s[10:11], s[10:11], s[18:19]
	s_or_b64 exec, exec, s[12:13]
	v_mov_b32_e32 v9, 0
	s_and_saveexec_b64 s[12:13], s[10:11]
	s_cbranch_execnz .LBB457_1655
	s_branch .LBB457_1656
.LBB457_2108:
	s_trap 2
	s_or_b64 s[2:3], s[2:3], exec
	s_cbranch_execz .LBB457_1702
	s_branch .LBB457_1703
.LBB457_2109:
	s_andn2_saveexec_b64 s[10:11], s[10:11]
	s_cbranch_execz .LBB457_1667
.LBB457_2110:
	s_mov_b32 s12, 0x42800000
	v_add_f32_e64 v5, |v3|, s12
	v_and_b32_e32 v5, 0xff, v5
	v_cmp_ne_u32_e32 vcc, 0, v5
	s_andn2_b64 s[8:9], s[8:9], exec
	s_and_b64 s[12:13], vcc, exec
	s_or_b64 s[8:9], s[8:9], s[12:13]
	s_or_b64 exec, exec, s[10:11]
	v_mov_b32_e32 v9, 0
	s_and_saveexec_b64 s[10:11], s[8:9]
	s_cbranch_execnz .LBB457_1668
	s_branch .LBB457_1669
.LBB457_2111:
	s_andn2_saveexec_b64 s[12:13], s[12:13]
	s_cbranch_execz .LBB457_1773
.LBB457_2112:
	s_mov_b32 s17, 0x46000000
	v_add_f32_e64 v6, |v3|, s17
	v_and_b32_e32 v6, 0xff, v6
	v_cmp_ne_u32_e32 vcc, 0, v6
	s_andn2_b64 s[10:11], s[10:11], exec
	s_and_b64 s[18:19], vcc, exec
	s_or_b64 s[10:11], s[10:11], s[18:19]
	s_or_b64 exec, exec, s[12:13]
	v_mov_b32_e32 v7, 0
	s_and_saveexec_b64 s[12:13], s[10:11]
	s_cbranch_execnz .LBB457_1774
	s_branch .LBB457_1775
.LBB457_2113:
	s_trap 2
	s_or_b64 s[2:3], s[2:3], exec
	s_cbranch_execz .LBB457_1821
	s_branch .LBB457_1822
.LBB457_2114:
	s_andn2_saveexec_b64 s[10:11], s[10:11]
	s_cbranch_execz .LBB457_1786
.LBB457_2115:
	s_mov_b32 s12, 0x42800000
	v_add_f32_e64 v6, |v3|, s12
	v_and_b32_e32 v6, 0xff, v6
	v_cmp_ne_u32_e32 vcc, 0, v6
	s_andn2_b64 s[8:9], s[8:9], exec
	s_and_b64 s[12:13], vcc, exec
	s_or_b64 s[8:9], s[8:9], s[12:13]
	s_or_b64 exec, exec, s[10:11]
	v_mov_b32_e32 v7, 0
	s_and_saveexec_b64 s[10:11], s[8:9]
	s_cbranch_execnz .LBB457_1787
	s_branch .LBB457_1788
.LBB457_2116:
	s_andn2_saveexec_b64 s[12:13], s[12:13]
	s_cbranch_execz .LBB457_1892
.LBB457_2117:
	s_mov_b32 s17, 0x46000000
	v_add_f32_e64 v5, |v4|, s17
	v_and_b32_e32 v5, 0xff, v5
	v_cmp_ne_u32_e32 vcc, 0, v5
	s_andn2_b64 s[10:11], s[10:11], exec
	s_and_b64 s[18:19], vcc, exec
	s_or_b64 s[10:11], s[10:11], s[18:19]
	s_or_b64 exec, exec, s[12:13]
	v_mov_b32_e32 v6, 0
	s_and_saveexec_b64 s[12:13], s[10:11]
	s_cbranch_execnz .LBB457_1893
	s_branch .LBB457_1894
.LBB457_2118:
	s_trap 2
	s_or_b64 s[2:3], s[2:3], exec
	s_cbranch_execz .LBB457_1940
	s_branch .LBB457_1941
.LBB457_2119:
	s_andn2_saveexec_b64 s[10:11], s[10:11]
	s_cbranch_execz .LBB457_1905
.LBB457_2120:
	s_mov_b32 s12, 0x42800000
	v_add_f32_e64 v5, |v4|, s12
	v_and_b32_e32 v5, 0xff, v5
	v_cmp_ne_u32_e32 vcc, 0, v5
	s_andn2_b64 s[8:9], s[8:9], exec
	s_and_b64 s[12:13], vcc, exec
	s_or_b64 s[8:9], s[8:9], s[12:13]
	s_or_b64 exec, exec, s[10:11]
	v_mov_b32_e32 v6, 0
	s_and_saveexec_b64 s[10:11], s[8:9]
	s_cbranch_execnz .LBB457_1906
	s_branch .LBB457_1907
.LBB457_2121:
	s_andn2_saveexec_b64 s[10:11], s[10:11]
	s_cbranch_execz .LBB457_2012
.LBB457_2122:
	s_mov_b32 s13, 0x46000000
	v_add_f32_e64 v4, |v3|, s13
	v_and_b32_e32 v4, 0xff, v4
	v_cmp_ne_u32_e32 vcc, 0, v4
	s_andn2_b64 s[8:9], s[8:9], exec
	s_and_b64 s[16:17], vcc, exec
	s_or_b64 s[8:9], s[8:9], s[16:17]
	s_or_b64 exec, exec, s[10:11]
	v_mov_b32_e32 v5, 0
	s_and_saveexec_b64 s[10:11], s[8:9]
	s_cbranch_execnz .LBB457_2013
	s_branch .LBB457_2014
.LBB457_2123:
	s_mov_b64 s[4:5], 0
	s_or_b64 s[2:3], s[2:3], exec
	s_trap 2
	s_branch .LBB457_2058
.LBB457_2124:
	s_andn2_saveexec_b64 s[8:9], s[8:9]
	s_cbranch_execz .LBB457_2024
.LBB457_2125:
	s_mov_b32 s10, 0x42800000
	v_add_f32_e64 v4, |v3|, s10
	v_and_b32_e32 v4, 0xff, v4
	v_cmp_ne_u32_e32 vcc, 0, v4
	s_andn2_b64 s[6:7], s[6:7], exec
	s_and_b64 s[10:11], vcc, exec
	s_or_b64 s[6:7], s[6:7], s[10:11]
	s_or_b64 exec, exec, s[8:9]
	v_mov_b32_e32 v5, 0
	s_and_saveexec_b64 s[8:9], s[6:7]
	s_cbranch_execnz .LBB457_2025
	s_branch .LBB457_2026
	.section	.rodata,"a",@progbits
	.p2align	6, 0x0
	.amdhsa_kernel _ZN2at6native32elementwise_kernel_manual_unrollILi128ELi4EZNS0_15gpu_kernel_implIZZZNS0_21clamp_max_kernel_cudaERNS_18TensorIteratorBaseERKN3c106ScalarEENKUlvE_clEvENKUlvE3_clEvEUlsE_EEvS4_RKT_EUlibE0_EEviT1_
		.amdhsa_group_segment_fixed_size 0
		.amdhsa_private_segment_fixed_size 0
		.amdhsa_kernarg_size 360
		.amdhsa_user_sgpr_count 2
		.amdhsa_user_sgpr_dispatch_ptr 0
		.amdhsa_user_sgpr_queue_ptr 0
		.amdhsa_user_sgpr_kernarg_segment_ptr 1
		.amdhsa_user_sgpr_dispatch_id 0
		.amdhsa_user_sgpr_kernarg_preload_length 0
		.amdhsa_user_sgpr_kernarg_preload_offset 0
		.amdhsa_user_sgpr_private_segment_size 0
		.amdhsa_uses_dynamic_stack 0
		.amdhsa_enable_private_segment 0
		.amdhsa_system_sgpr_workgroup_id_x 1
		.amdhsa_system_sgpr_workgroup_id_y 0
		.amdhsa_system_sgpr_workgroup_id_z 0
		.amdhsa_system_sgpr_workgroup_info 0
		.amdhsa_system_vgpr_workitem_id 0
		.amdhsa_next_free_vgpr 18
		.amdhsa_next_free_sgpr 79
		.amdhsa_accum_offset 20
		.amdhsa_reserve_vcc 1
		.amdhsa_float_round_mode_32 0
		.amdhsa_float_round_mode_16_64 0
		.amdhsa_float_denorm_mode_32 3
		.amdhsa_float_denorm_mode_16_64 3
		.amdhsa_dx10_clamp 1
		.amdhsa_ieee_mode 1
		.amdhsa_fp16_overflow 0
		.amdhsa_tg_split 0
		.amdhsa_exception_fp_ieee_invalid_op 0
		.amdhsa_exception_fp_denorm_src 0
		.amdhsa_exception_fp_ieee_div_zero 0
		.amdhsa_exception_fp_ieee_overflow 0
		.amdhsa_exception_fp_ieee_underflow 0
		.amdhsa_exception_fp_ieee_inexact 0
		.amdhsa_exception_int_div_zero 0
	.end_amdhsa_kernel
	.section	.text._ZN2at6native32elementwise_kernel_manual_unrollILi128ELi4EZNS0_15gpu_kernel_implIZZZNS0_21clamp_max_kernel_cudaERNS_18TensorIteratorBaseERKN3c106ScalarEENKUlvE_clEvENKUlvE3_clEvEUlsE_EEvS4_RKT_EUlibE0_EEviT1_,"axG",@progbits,_ZN2at6native32elementwise_kernel_manual_unrollILi128ELi4EZNS0_15gpu_kernel_implIZZZNS0_21clamp_max_kernel_cudaERNS_18TensorIteratorBaseERKN3c106ScalarEENKUlvE_clEvENKUlvE3_clEvEUlsE_EEvS4_RKT_EUlibE0_EEviT1_,comdat
.Lfunc_end457:
	.size	_ZN2at6native32elementwise_kernel_manual_unrollILi128ELi4EZNS0_15gpu_kernel_implIZZZNS0_21clamp_max_kernel_cudaERNS_18TensorIteratorBaseERKN3c106ScalarEENKUlvE_clEvENKUlvE3_clEvEUlsE_EEvS4_RKT_EUlibE0_EEviT1_, .Lfunc_end457-_ZN2at6native32elementwise_kernel_manual_unrollILi128ELi4EZNS0_15gpu_kernel_implIZZZNS0_21clamp_max_kernel_cudaERNS_18TensorIteratorBaseERKN3c106ScalarEENKUlvE_clEvENKUlvE3_clEvEUlsE_EEvS4_RKT_EUlibE0_EEviT1_
                                        ; -- End function
	.set _ZN2at6native32elementwise_kernel_manual_unrollILi128ELi4EZNS0_15gpu_kernel_implIZZZNS0_21clamp_max_kernel_cudaERNS_18TensorIteratorBaseERKN3c106ScalarEENKUlvE_clEvENKUlvE3_clEvEUlsE_EEvS4_RKT_EUlibE0_EEviT1_.num_vgpr, 18
	.set _ZN2at6native32elementwise_kernel_manual_unrollILi128ELi4EZNS0_15gpu_kernel_implIZZZNS0_21clamp_max_kernel_cudaERNS_18TensorIteratorBaseERKN3c106ScalarEENKUlvE_clEvENKUlvE3_clEvEUlsE_EEvS4_RKT_EUlibE0_EEviT1_.num_agpr, 0
	.set _ZN2at6native32elementwise_kernel_manual_unrollILi128ELi4EZNS0_15gpu_kernel_implIZZZNS0_21clamp_max_kernel_cudaERNS_18TensorIteratorBaseERKN3c106ScalarEENKUlvE_clEvENKUlvE3_clEvEUlsE_EEvS4_RKT_EUlibE0_EEviT1_.numbered_sgpr, 79
	.set _ZN2at6native32elementwise_kernel_manual_unrollILi128ELi4EZNS0_15gpu_kernel_implIZZZNS0_21clamp_max_kernel_cudaERNS_18TensorIteratorBaseERKN3c106ScalarEENKUlvE_clEvENKUlvE3_clEvEUlsE_EEvS4_RKT_EUlibE0_EEviT1_.num_named_barrier, 0
	.set _ZN2at6native32elementwise_kernel_manual_unrollILi128ELi4EZNS0_15gpu_kernel_implIZZZNS0_21clamp_max_kernel_cudaERNS_18TensorIteratorBaseERKN3c106ScalarEENKUlvE_clEvENKUlvE3_clEvEUlsE_EEvS4_RKT_EUlibE0_EEviT1_.private_seg_size, 0
	.set _ZN2at6native32elementwise_kernel_manual_unrollILi128ELi4EZNS0_15gpu_kernel_implIZZZNS0_21clamp_max_kernel_cudaERNS_18TensorIteratorBaseERKN3c106ScalarEENKUlvE_clEvENKUlvE3_clEvEUlsE_EEvS4_RKT_EUlibE0_EEviT1_.uses_vcc, 1
	.set _ZN2at6native32elementwise_kernel_manual_unrollILi128ELi4EZNS0_15gpu_kernel_implIZZZNS0_21clamp_max_kernel_cudaERNS_18TensorIteratorBaseERKN3c106ScalarEENKUlvE_clEvENKUlvE3_clEvEUlsE_EEvS4_RKT_EUlibE0_EEviT1_.uses_flat_scratch, 0
	.set _ZN2at6native32elementwise_kernel_manual_unrollILi128ELi4EZNS0_15gpu_kernel_implIZZZNS0_21clamp_max_kernel_cudaERNS_18TensorIteratorBaseERKN3c106ScalarEENKUlvE_clEvENKUlvE3_clEvEUlsE_EEvS4_RKT_EUlibE0_EEviT1_.has_dyn_sized_stack, 0
	.set _ZN2at6native32elementwise_kernel_manual_unrollILi128ELi4EZNS0_15gpu_kernel_implIZZZNS0_21clamp_max_kernel_cudaERNS_18TensorIteratorBaseERKN3c106ScalarEENKUlvE_clEvENKUlvE3_clEvEUlsE_EEvS4_RKT_EUlibE0_EEviT1_.has_recursion, 0
	.set _ZN2at6native32elementwise_kernel_manual_unrollILi128ELi4EZNS0_15gpu_kernel_implIZZZNS0_21clamp_max_kernel_cudaERNS_18TensorIteratorBaseERKN3c106ScalarEENKUlvE_clEvENKUlvE3_clEvEUlsE_EEvS4_RKT_EUlibE0_EEviT1_.has_indirect_call, 0
	.section	.AMDGPU.csdata,"",@progbits
; Kernel info:
; codeLenInByte = 35460
; TotalNumSgprs: 85
; NumVgprs: 18
; NumAgprs: 0
; TotalNumVgprs: 18
; ScratchSize: 0
; MemoryBound: 1
; FloatMode: 240
; IeeeMode: 1
; LDSByteSize: 0 bytes/workgroup (compile time only)
; SGPRBlocks: 10
; VGPRBlocks: 2
; NumSGPRsForWavesPerEU: 85
; NumVGPRsForWavesPerEU: 18
; AccumOffset: 20
; Occupancy: 8
; WaveLimiterHint : 1
; COMPUTE_PGM_RSRC2:SCRATCH_EN: 0
; COMPUTE_PGM_RSRC2:USER_SGPR: 2
; COMPUTE_PGM_RSRC2:TRAP_HANDLER: 0
; COMPUTE_PGM_RSRC2:TGID_X_EN: 1
; COMPUTE_PGM_RSRC2:TGID_Y_EN: 0
; COMPUTE_PGM_RSRC2:TGID_Z_EN: 0
; COMPUTE_PGM_RSRC2:TIDIG_COMP_CNT: 0
; COMPUTE_PGM_RSRC3_GFX90A:ACCUM_OFFSET: 4
; COMPUTE_PGM_RSRC3_GFX90A:TG_SPLIT: 0
	.section	.text._ZN2at6native29vectorized_elementwise_kernelILi16EZZZNS0_21clamp_max_kernel_cudaERNS_18TensorIteratorBaseERKN3c106ScalarEENKUlvE_clEvENKUlvE4_clEvEUldE_St5arrayIPcLm2EEEEviT0_T1_,"axG",@progbits,_ZN2at6native29vectorized_elementwise_kernelILi16EZZZNS0_21clamp_max_kernel_cudaERNS_18TensorIteratorBaseERKN3c106ScalarEENKUlvE_clEvENKUlvE4_clEvEUldE_St5arrayIPcLm2EEEEviT0_T1_,comdat
	.globl	_ZN2at6native29vectorized_elementwise_kernelILi16EZZZNS0_21clamp_max_kernel_cudaERNS_18TensorIteratorBaseERKN3c106ScalarEENKUlvE_clEvENKUlvE4_clEvEUldE_St5arrayIPcLm2EEEEviT0_T1_ ; -- Begin function _ZN2at6native29vectorized_elementwise_kernelILi16EZZZNS0_21clamp_max_kernel_cudaERNS_18TensorIteratorBaseERKN3c106ScalarEENKUlvE_clEvENKUlvE4_clEvEUldE_St5arrayIPcLm2EEEEviT0_T1_
	.p2align	8
	.type	_ZN2at6native29vectorized_elementwise_kernelILi16EZZZNS0_21clamp_max_kernel_cudaERNS_18TensorIteratorBaseERKN3c106ScalarEENKUlvE_clEvENKUlvE4_clEvEUldE_St5arrayIPcLm2EEEEviT0_T1_,@function
_ZN2at6native29vectorized_elementwise_kernelILi16EZZZNS0_21clamp_max_kernel_cudaERNS_18TensorIteratorBaseERKN3c106ScalarEENKUlvE_clEvENKUlvE4_clEvEUldE_St5arrayIPcLm2EEEEviT0_T1_: ; @_ZN2at6native29vectorized_elementwise_kernelILi16EZZZNS0_21clamp_max_kernel_cudaERNS_18TensorIteratorBaseERKN3c106ScalarEENKUlvE_clEvENKUlvE4_clEvEUldE_St5arrayIPcLm2EEEEviT0_T1_
; %bb.0:
	s_load_dword s3, s[0:1], 0x0
	s_load_dwordx4 s[4:7], s[0:1], 0x8
	s_load_dwordx2 s[8:9], s[0:1], 0x18
	s_lshl_b32 s2, s2, 10
	s_mov_b64 s[0:1], -1
	s_waitcnt lgkmcnt(0)
	s_sub_i32 s10, s3, s2
	s_cmpk_gt_i32 s10, 0x3ff
	v_max_f64 v[2:3], s[4:5], s[4:5]
	s_cbranch_scc0 .LBB458_2
; %bb.1:
	s_ashr_i32 s3, s2, 31
	s_lshl_b64 s[0:1], s[2:3], 3
	s_add_u32 s4, s8, s0
	s_addc_u32 s5, s9, s1
	v_lshlrev_b32_e32 v1, 5, v0
	global_load_dwordx4 v[4:7], v1, s[4:5]
	global_load_dwordx4 v[8:11], v1, s[4:5] offset:16
	s_add_u32 s0, s6, s0
	s_addc_u32 s1, s7, s1
	s_waitcnt vmcnt(1)
	v_max_f64 v[12:13], v[4:5], v[4:5]
	v_max_f64 v[14:15], v[6:7], v[6:7]
	v_min_f64 v[12:13], v[12:13], v[2:3]
	v_cmp_u_f64_e32 vcc, v[4:5], v[4:5]
	s_waitcnt vmcnt(0)
	v_max_f64 v[16:17], v[8:9], v[8:9]
	v_min_f64 v[14:15], v[14:15], v[2:3]
	v_cndmask_b32_e32 v5, v13, v5, vcc
	v_cndmask_b32_e32 v4, v12, v4, vcc
	v_cmp_u_f64_e32 vcc, v[6:7], v[6:7]
	v_max_f64 v[18:19], v[10:11], v[10:11]
	v_min_f64 v[16:17], v[16:17], v[2:3]
	v_cndmask_b32_e32 v7, v15, v7, vcc
	v_cndmask_b32_e32 v6, v14, v6, vcc
	v_cmp_u_f64_e32 vcc, v[8:9], v[8:9]
	v_min_f64 v[18:19], v[18:19], v[2:3]
	s_nop 0
	v_cndmask_b32_e32 v9, v17, v9, vcc
	v_cndmask_b32_e32 v8, v16, v8, vcc
	v_cmp_u_f64_e32 vcc, v[10:11], v[10:11]
	s_nop 1
	v_cndmask_b32_e32 v11, v19, v11, vcc
	v_cndmask_b32_e32 v10, v18, v10, vcc
	global_store_dwordx4 v1, v[4:7], s[0:1]
	global_store_dwordx4 v1, v[8:11], s[0:1] offset:16
	s_mov_b64 s[0:1], 0
.LBB458_2:
	s_andn2_b64 vcc, exec, s[0:1]
	s_cbranch_vccnz .LBB458_16
; %bb.3:
	v_cmp_gt_i32_e32 vcc, s10, v0
	v_mov_b64_e32 v[6:7], 0
	v_or_b32_e32 v4, s2, v0
	v_mov_b64_e32 v[8:9], 0
	v_mov_b32_e32 v1, v0
	s_and_saveexec_b64 s[0:1], vcc
	s_cbranch_execz .LBB458_5
; %bb.4:
	v_mov_b32_e32 v5, 0
	v_lshl_add_u64 v[8:9], v[4:5], 3, s[8:9]
	global_load_dwordx2 v[8:9], v[8:9], off
	v_or_b32_e32 v1, 0x100, v0
.LBB458_5:
	s_or_b64 exec, exec, s[0:1]
	v_cmp_gt_i32_e64 s[0:1], s10, v1
	s_and_saveexec_b64 s[4:5], s[0:1]
	s_cbranch_execz .LBB458_7
; %bb.6:
	v_add_u32_e32 v6, s2, v1
	v_mov_b32_e32 v7, 0
	v_lshl_add_u64 v[6:7], v[6:7], 3, s[8:9]
	global_load_dwordx2 v[6:7], v[6:7], off
	v_add_u32_e32 v1, 0x100, v1
.LBB458_7:
	s_or_b64 exec, exec, s[4:5]
	v_cmp_gt_i32_e64 s[0:1], s10, v1
	v_mov_b64_e32 v[10:11], 0
	v_mov_b64_e32 v[12:13], 0
	s_and_saveexec_b64 s[4:5], s[0:1]
	s_cbranch_execz .LBB458_9
; %bb.8:
	v_add_u32_e32 v12, s2, v1
	v_mov_b32_e32 v13, 0
	v_lshl_add_u64 v[12:13], v[12:13], 3, s[8:9]
	global_load_dwordx2 v[12:13], v[12:13], off
	v_add_u32_e32 v1, 0x100, v1
.LBB458_9:
	s_or_b64 exec, exec, s[4:5]
	v_cmp_gt_i32_e64 s[0:1], s10, v1
	s_and_saveexec_b64 s[4:5], s[0:1]
	s_cbranch_execz .LBB458_11
; %bb.10:
	v_add_u32_e32 v10, s2, v1
	v_mov_b32_e32 v11, 0
	v_lshl_add_u64 v[10:11], v[10:11], 3, s[8:9]
	global_load_dwordx2 v[10:11], v[10:11], off
.LBB458_11:
	s_or_b64 exec, exec, s[4:5]
	s_waitcnt vmcnt(0)
	v_max_f64 v[14:15], v[8:9], v[8:9]
	v_min_f64 v[14:15], v[14:15], v[2:3]
	v_cmp_u_f64_e64 s[0:1], v[8:9], v[8:9]
	s_nop 1
	v_cndmask_b32_e64 v1, v14, v8, s[0:1]
	v_cndmask_b32_e64 v5, v15, v9, s[0:1]
	v_max_f64 v[8:9], v[6:7], v[6:7]
	v_cndmask_b32_e32 v14, 0, v1, vcc
	v_or_b32_e32 v1, 0x100, v0
	v_min_f64 v[8:9], v[8:9], v[2:3]
	v_cmp_u_f64_e64 s[0:1], v[6:7], v[6:7]
	v_cndmask_b32_e32 v15, 0, v5, vcc
	s_nop 0
	v_cndmask_b32_e64 v5, v8, v6, s[0:1]
	v_cndmask_b32_e64 v6, v9, v7, s[0:1]
	v_cmp_gt_i32_e64 s[0:1], s10, v1
	s_nop 1
	v_cndmask_b32_e64 v9, 0, v6, s[0:1]
	v_max_f64 v[6:7], v[12:13], v[12:13]
	v_cndmask_b32_e64 v8, 0, v5, s[0:1]
	v_or_b32_e32 v5, 0x200, v0
	v_min_f64 v[6:7], v[6:7], v[2:3]
	v_cmp_u_f64_e64 s[0:1], v[12:13], v[12:13]
	s_nop 1
	v_cndmask_b32_e64 v6, v6, v12, s[0:1]
	v_cndmask_b32_e64 v7, v7, v13, s[0:1]
	v_cmp_gt_i32_e64 s[0:1], s10, v5
	v_max_f64 v[12:13], v[10:11], v[10:11]
	v_or_b32_e32 v5, 0x300, v0
	v_cndmask_b32_e64 v7, 0, v7, s[0:1]
	v_cndmask_b32_e64 v6, 0, v6, s[0:1]
	v_min_f64 v[2:3], v[12:13], v[2:3]
	v_cmp_u_f64_e64 s[0:1], v[10:11], v[10:11]
	s_nop 1
	v_cndmask_b32_e64 v2, v2, v10, s[0:1]
	v_cndmask_b32_e64 v3, v3, v11, s[0:1]
	v_cmp_gt_i32_e64 s[0:1], s10, v5
	s_nop 1
	v_cndmask_b32_e64 v3, 0, v3, s[0:1]
	v_cndmask_b32_e64 v2, 0, v2, s[0:1]
	s_and_saveexec_b64 s[0:1], vcc
	s_cbranch_execnz .LBB458_17
; %bb.12:
	s_or_b64 exec, exec, s[0:1]
	v_cmp_gt_i32_e32 vcc, s10, v0
	s_and_saveexec_b64 s[0:1], vcc
	s_cbranch_execnz .LBB458_18
.LBB458_13:
	s_or_b64 exec, exec, s[0:1]
	v_cmp_gt_i32_e32 vcc, s10, v0
	s_and_saveexec_b64 s[0:1], vcc
	s_cbranch_execnz .LBB458_19
.LBB458_14:
	s_or_b64 exec, exec, s[0:1]
	v_cmp_gt_i32_e32 vcc, s10, v0
	s_and_saveexec_b64 s[0:1], vcc
	s_cbranch_execz .LBB458_16
.LBB458_15:
	v_add_u32_e32 v0, s2, v0
	v_mov_b32_e32 v1, 0
	v_lshl_add_u64 v[0:1], v[0:1], 3, s[6:7]
	global_store_dwordx2 v[0:1], v[2:3], off
.LBB458_16:
	s_endpgm
.LBB458_17:
	v_mov_b32_e32 v5, 0
	v_lshl_add_u64 v[4:5], v[4:5], 3, s[6:7]
	v_mov_b32_e32 v0, v1
	global_store_dwordx2 v[4:5], v[14:15], off
	s_or_b64 exec, exec, s[0:1]
	v_cmp_gt_i32_e32 vcc, s10, v0
	s_and_saveexec_b64 s[0:1], vcc
	s_cbranch_execz .LBB458_13
.LBB458_18:
	v_add_u32_e32 v4, s2, v0
	v_mov_b32_e32 v5, 0
	v_lshl_add_u64 v[4:5], v[4:5], 3, s[6:7]
	v_add_u32_e32 v0, 0x100, v0
	global_store_dwordx2 v[4:5], v[8:9], off
	s_or_b64 exec, exec, s[0:1]
	v_cmp_gt_i32_e32 vcc, s10, v0
	s_and_saveexec_b64 s[0:1], vcc
	s_cbranch_execz .LBB458_14
.LBB458_19:
	v_add_u32_e32 v4, s2, v0
	v_mov_b32_e32 v5, 0
	v_lshl_add_u64 v[4:5], v[4:5], 3, s[6:7]
	v_add_u32_e32 v0, 0x100, v0
	global_store_dwordx2 v[4:5], v[6:7], off
	s_or_b64 exec, exec, s[0:1]
	v_cmp_gt_i32_e32 vcc, s10, v0
	s_and_saveexec_b64 s[0:1], vcc
	s_cbranch_execnz .LBB458_15
	s_branch .LBB458_16
	.section	.rodata,"a",@progbits
	.p2align	6, 0x0
	.amdhsa_kernel _ZN2at6native29vectorized_elementwise_kernelILi16EZZZNS0_21clamp_max_kernel_cudaERNS_18TensorIteratorBaseERKN3c106ScalarEENKUlvE_clEvENKUlvE4_clEvEUldE_St5arrayIPcLm2EEEEviT0_T1_
		.amdhsa_group_segment_fixed_size 0
		.amdhsa_private_segment_fixed_size 0
		.amdhsa_kernarg_size 32
		.amdhsa_user_sgpr_count 2
		.amdhsa_user_sgpr_dispatch_ptr 0
		.amdhsa_user_sgpr_queue_ptr 0
		.amdhsa_user_sgpr_kernarg_segment_ptr 1
		.amdhsa_user_sgpr_dispatch_id 0
		.amdhsa_user_sgpr_kernarg_preload_length 0
		.amdhsa_user_sgpr_kernarg_preload_offset 0
		.amdhsa_user_sgpr_private_segment_size 0
		.amdhsa_uses_dynamic_stack 0
		.amdhsa_enable_private_segment 0
		.amdhsa_system_sgpr_workgroup_id_x 1
		.amdhsa_system_sgpr_workgroup_id_y 0
		.amdhsa_system_sgpr_workgroup_id_z 0
		.amdhsa_system_sgpr_workgroup_info 0
		.amdhsa_system_vgpr_workitem_id 0
		.amdhsa_next_free_vgpr 20
		.amdhsa_next_free_sgpr 11
		.amdhsa_accum_offset 20
		.amdhsa_reserve_vcc 1
		.amdhsa_float_round_mode_32 0
		.amdhsa_float_round_mode_16_64 0
		.amdhsa_float_denorm_mode_32 3
		.amdhsa_float_denorm_mode_16_64 3
		.amdhsa_dx10_clamp 1
		.amdhsa_ieee_mode 1
		.amdhsa_fp16_overflow 0
		.amdhsa_tg_split 0
		.amdhsa_exception_fp_ieee_invalid_op 0
		.amdhsa_exception_fp_denorm_src 0
		.amdhsa_exception_fp_ieee_div_zero 0
		.amdhsa_exception_fp_ieee_overflow 0
		.amdhsa_exception_fp_ieee_underflow 0
		.amdhsa_exception_fp_ieee_inexact 0
		.amdhsa_exception_int_div_zero 0
	.end_amdhsa_kernel
	.section	.text._ZN2at6native29vectorized_elementwise_kernelILi16EZZZNS0_21clamp_max_kernel_cudaERNS_18TensorIteratorBaseERKN3c106ScalarEENKUlvE_clEvENKUlvE4_clEvEUldE_St5arrayIPcLm2EEEEviT0_T1_,"axG",@progbits,_ZN2at6native29vectorized_elementwise_kernelILi16EZZZNS0_21clamp_max_kernel_cudaERNS_18TensorIteratorBaseERKN3c106ScalarEENKUlvE_clEvENKUlvE4_clEvEUldE_St5arrayIPcLm2EEEEviT0_T1_,comdat
.Lfunc_end458:
	.size	_ZN2at6native29vectorized_elementwise_kernelILi16EZZZNS0_21clamp_max_kernel_cudaERNS_18TensorIteratorBaseERKN3c106ScalarEENKUlvE_clEvENKUlvE4_clEvEUldE_St5arrayIPcLm2EEEEviT0_T1_, .Lfunc_end458-_ZN2at6native29vectorized_elementwise_kernelILi16EZZZNS0_21clamp_max_kernel_cudaERNS_18TensorIteratorBaseERKN3c106ScalarEENKUlvE_clEvENKUlvE4_clEvEUldE_St5arrayIPcLm2EEEEviT0_T1_
                                        ; -- End function
	.set _ZN2at6native29vectorized_elementwise_kernelILi16EZZZNS0_21clamp_max_kernel_cudaERNS_18TensorIteratorBaseERKN3c106ScalarEENKUlvE_clEvENKUlvE4_clEvEUldE_St5arrayIPcLm2EEEEviT0_T1_.num_vgpr, 20
	.set _ZN2at6native29vectorized_elementwise_kernelILi16EZZZNS0_21clamp_max_kernel_cudaERNS_18TensorIteratorBaseERKN3c106ScalarEENKUlvE_clEvENKUlvE4_clEvEUldE_St5arrayIPcLm2EEEEviT0_T1_.num_agpr, 0
	.set _ZN2at6native29vectorized_elementwise_kernelILi16EZZZNS0_21clamp_max_kernel_cudaERNS_18TensorIteratorBaseERKN3c106ScalarEENKUlvE_clEvENKUlvE4_clEvEUldE_St5arrayIPcLm2EEEEviT0_T1_.numbered_sgpr, 11
	.set _ZN2at6native29vectorized_elementwise_kernelILi16EZZZNS0_21clamp_max_kernel_cudaERNS_18TensorIteratorBaseERKN3c106ScalarEENKUlvE_clEvENKUlvE4_clEvEUldE_St5arrayIPcLm2EEEEviT0_T1_.num_named_barrier, 0
	.set _ZN2at6native29vectorized_elementwise_kernelILi16EZZZNS0_21clamp_max_kernel_cudaERNS_18TensorIteratorBaseERKN3c106ScalarEENKUlvE_clEvENKUlvE4_clEvEUldE_St5arrayIPcLm2EEEEviT0_T1_.private_seg_size, 0
	.set _ZN2at6native29vectorized_elementwise_kernelILi16EZZZNS0_21clamp_max_kernel_cudaERNS_18TensorIteratorBaseERKN3c106ScalarEENKUlvE_clEvENKUlvE4_clEvEUldE_St5arrayIPcLm2EEEEviT0_T1_.uses_vcc, 1
	.set _ZN2at6native29vectorized_elementwise_kernelILi16EZZZNS0_21clamp_max_kernel_cudaERNS_18TensorIteratorBaseERKN3c106ScalarEENKUlvE_clEvENKUlvE4_clEvEUldE_St5arrayIPcLm2EEEEviT0_T1_.uses_flat_scratch, 0
	.set _ZN2at6native29vectorized_elementwise_kernelILi16EZZZNS0_21clamp_max_kernel_cudaERNS_18TensorIteratorBaseERKN3c106ScalarEENKUlvE_clEvENKUlvE4_clEvEUldE_St5arrayIPcLm2EEEEviT0_T1_.has_dyn_sized_stack, 0
	.set _ZN2at6native29vectorized_elementwise_kernelILi16EZZZNS0_21clamp_max_kernel_cudaERNS_18TensorIteratorBaseERKN3c106ScalarEENKUlvE_clEvENKUlvE4_clEvEUldE_St5arrayIPcLm2EEEEviT0_T1_.has_recursion, 0
	.set _ZN2at6native29vectorized_elementwise_kernelILi16EZZZNS0_21clamp_max_kernel_cudaERNS_18TensorIteratorBaseERKN3c106ScalarEENKUlvE_clEvENKUlvE4_clEvEUldE_St5arrayIPcLm2EEEEviT0_T1_.has_indirect_call, 0
	.section	.AMDGPU.csdata,"",@progbits
; Kernel info:
; codeLenInByte = 988
; TotalNumSgprs: 17
; NumVgprs: 20
; NumAgprs: 0
; TotalNumVgprs: 20
; ScratchSize: 0
; MemoryBound: 0
; FloatMode: 240
; IeeeMode: 1
; LDSByteSize: 0 bytes/workgroup (compile time only)
; SGPRBlocks: 2
; VGPRBlocks: 2
; NumSGPRsForWavesPerEU: 17
; NumVGPRsForWavesPerEU: 20
; AccumOffset: 20
; Occupancy: 8
; WaveLimiterHint : 0
; COMPUTE_PGM_RSRC2:SCRATCH_EN: 0
; COMPUTE_PGM_RSRC2:USER_SGPR: 2
; COMPUTE_PGM_RSRC2:TRAP_HANDLER: 0
; COMPUTE_PGM_RSRC2:TGID_X_EN: 1
; COMPUTE_PGM_RSRC2:TGID_Y_EN: 0
; COMPUTE_PGM_RSRC2:TGID_Z_EN: 0
; COMPUTE_PGM_RSRC2:TIDIG_COMP_CNT: 0
; COMPUTE_PGM_RSRC3_GFX90A:ACCUM_OFFSET: 4
; COMPUTE_PGM_RSRC3_GFX90A:TG_SPLIT: 0
	.section	.text._ZN2at6native29vectorized_elementwise_kernelILi8EZZZNS0_21clamp_max_kernel_cudaERNS_18TensorIteratorBaseERKN3c106ScalarEENKUlvE_clEvENKUlvE4_clEvEUldE_St5arrayIPcLm2EEEEviT0_T1_,"axG",@progbits,_ZN2at6native29vectorized_elementwise_kernelILi8EZZZNS0_21clamp_max_kernel_cudaERNS_18TensorIteratorBaseERKN3c106ScalarEENKUlvE_clEvENKUlvE4_clEvEUldE_St5arrayIPcLm2EEEEviT0_T1_,comdat
	.globl	_ZN2at6native29vectorized_elementwise_kernelILi8EZZZNS0_21clamp_max_kernel_cudaERNS_18TensorIteratorBaseERKN3c106ScalarEENKUlvE_clEvENKUlvE4_clEvEUldE_St5arrayIPcLm2EEEEviT0_T1_ ; -- Begin function _ZN2at6native29vectorized_elementwise_kernelILi8EZZZNS0_21clamp_max_kernel_cudaERNS_18TensorIteratorBaseERKN3c106ScalarEENKUlvE_clEvENKUlvE4_clEvEUldE_St5arrayIPcLm2EEEEviT0_T1_
	.p2align	8
	.type	_ZN2at6native29vectorized_elementwise_kernelILi8EZZZNS0_21clamp_max_kernel_cudaERNS_18TensorIteratorBaseERKN3c106ScalarEENKUlvE_clEvENKUlvE4_clEvEUldE_St5arrayIPcLm2EEEEviT0_T1_,@function
_ZN2at6native29vectorized_elementwise_kernelILi8EZZZNS0_21clamp_max_kernel_cudaERNS_18TensorIteratorBaseERKN3c106ScalarEENKUlvE_clEvENKUlvE4_clEvEUldE_St5arrayIPcLm2EEEEviT0_T1_: ; @_ZN2at6native29vectorized_elementwise_kernelILi8EZZZNS0_21clamp_max_kernel_cudaERNS_18TensorIteratorBaseERKN3c106ScalarEENKUlvE_clEvENKUlvE4_clEvEUldE_St5arrayIPcLm2EEEEviT0_T1_
; %bb.0:
	s_load_dword s3, s[0:1], 0x0
	s_load_dwordx4 s[4:7], s[0:1], 0x8
	s_load_dwordx2 s[8:9], s[0:1], 0x18
	s_lshl_b32 s2, s2, 10
	s_mov_b64 s[0:1], -1
	s_waitcnt lgkmcnt(0)
	s_sub_i32 s10, s3, s2
	s_cmpk_gt_i32 s10, 0x3ff
	v_max_f64 v[2:3], s[4:5], s[4:5]
	s_cbranch_scc0 .LBB459_2
; %bb.1:
	s_ashr_i32 s3, s2, 31
	s_lshl_b64 s[0:1], s[2:3], 3
	s_add_u32 s4, s8, s0
	s_addc_u32 s5, s9, s1
	v_lshlrev_b32_e32 v1, 5, v0
	global_load_dwordx4 v[4:7], v1, s[4:5]
	global_load_dwordx4 v[8:11], v1, s[4:5] offset:16
	s_add_u32 s0, s6, s0
	s_addc_u32 s1, s7, s1
	s_waitcnt vmcnt(1)
	v_max_f64 v[12:13], v[4:5], v[4:5]
	v_max_f64 v[14:15], v[6:7], v[6:7]
	v_min_f64 v[12:13], v[12:13], v[2:3]
	v_cmp_u_f64_e32 vcc, v[4:5], v[4:5]
	s_waitcnt vmcnt(0)
	v_max_f64 v[16:17], v[8:9], v[8:9]
	v_min_f64 v[14:15], v[14:15], v[2:3]
	v_cndmask_b32_e32 v5, v13, v5, vcc
	v_cndmask_b32_e32 v4, v12, v4, vcc
	v_cmp_u_f64_e32 vcc, v[6:7], v[6:7]
	v_max_f64 v[18:19], v[10:11], v[10:11]
	v_min_f64 v[16:17], v[16:17], v[2:3]
	v_cndmask_b32_e32 v7, v15, v7, vcc
	v_cndmask_b32_e32 v6, v14, v6, vcc
	v_cmp_u_f64_e32 vcc, v[8:9], v[8:9]
	v_min_f64 v[18:19], v[18:19], v[2:3]
	s_nop 0
	v_cndmask_b32_e32 v9, v17, v9, vcc
	v_cndmask_b32_e32 v8, v16, v8, vcc
	v_cmp_u_f64_e32 vcc, v[10:11], v[10:11]
	s_nop 1
	v_cndmask_b32_e32 v11, v19, v11, vcc
	v_cndmask_b32_e32 v10, v18, v10, vcc
	global_store_dwordx4 v1, v[4:7], s[0:1]
	global_store_dwordx4 v1, v[8:11], s[0:1] offset:16
	s_mov_b64 s[0:1], 0
.LBB459_2:
	s_andn2_b64 vcc, exec, s[0:1]
	s_cbranch_vccnz .LBB459_16
; %bb.3:
	v_cmp_gt_i32_e32 vcc, s10, v0
	v_mov_b64_e32 v[6:7], 0
	v_or_b32_e32 v4, s2, v0
	v_mov_b64_e32 v[8:9], 0
	v_mov_b32_e32 v1, v0
	s_and_saveexec_b64 s[0:1], vcc
	s_cbranch_execz .LBB459_5
; %bb.4:
	v_mov_b32_e32 v5, 0
	v_lshl_add_u64 v[8:9], v[4:5], 3, s[8:9]
	global_load_dwordx2 v[8:9], v[8:9], off
	v_or_b32_e32 v1, 0x100, v0
.LBB459_5:
	s_or_b64 exec, exec, s[0:1]
	v_cmp_gt_i32_e64 s[0:1], s10, v1
	s_and_saveexec_b64 s[4:5], s[0:1]
	s_cbranch_execz .LBB459_7
; %bb.6:
	v_add_u32_e32 v6, s2, v1
	v_mov_b32_e32 v7, 0
	v_lshl_add_u64 v[6:7], v[6:7], 3, s[8:9]
	global_load_dwordx2 v[6:7], v[6:7], off
	v_add_u32_e32 v1, 0x100, v1
.LBB459_7:
	s_or_b64 exec, exec, s[4:5]
	v_cmp_gt_i32_e64 s[0:1], s10, v1
	v_mov_b64_e32 v[10:11], 0
	v_mov_b64_e32 v[12:13], 0
	s_and_saveexec_b64 s[4:5], s[0:1]
	s_cbranch_execz .LBB459_9
; %bb.8:
	v_add_u32_e32 v12, s2, v1
	v_mov_b32_e32 v13, 0
	v_lshl_add_u64 v[12:13], v[12:13], 3, s[8:9]
	global_load_dwordx2 v[12:13], v[12:13], off
	v_add_u32_e32 v1, 0x100, v1
.LBB459_9:
	s_or_b64 exec, exec, s[4:5]
	v_cmp_gt_i32_e64 s[0:1], s10, v1
	s_and_saveexec_b64 s[4:5], s[0:1]
	s_cbranch_execz .LBB459_11
; %bb.10:
	v_add_u32_e32 v10, s2, v1
	v_mov_b32_e32 v11, 0
	v_lshl_add_u64 v[10:11], v[10:11], 3, s[8:9]
	global_load_dwordx2 v[10:11], v[10:11], off
.LBB459_11:
	s_or_b64 exec, exec, s[4:5]
	s_waitcnt vmcnt(0)
	v_max_f64 v[14:15], v[8:9], v[8:9]
	v_min_f64 v[14:15], v[14:15], v[2:3]
	v_cmp_u_f64_e64 s[0:1], v[8:9], v[8:9]
	s_nop 1
	v_cndmask_b32_e64 v1, v14, v8, s[0:1]
	v_cndmask_b32_e64 v5, v15, v9, s[0:1]
	v_max_f64 v[8:9], v[6:7], v[6:7]
	v_cndmask_b32_e32 v14, 0, v1, vcc
	v_or_b32_e32 v1, 0x100, v0
	v_min_f64 v[8:9], v[8:9], v[2:3]
	v_cmp_u_f64_e64 s[0:1], v[6:7], v[6:7]
	v_cndmask_b32_e32 v15, 0, v5, vcc
	s_nop 0
	v_cndmask_b32_e64 v5, v8, v6, s[0:1]
	v_cndmask_b32_e64 v6, v9, v7, s[0:1]
	v_cmp_gt_i32_e64 s[0:1], s10, v1
	s_nop 1
	v_cndmask_b32_e64 v9, 0, v6, s[0:1]
	v_max_f64 v[6:7], v[12:13], v[12:13]
	v_cndmask_b32_e64 v8, 0, v5, s[0:1]
	v_or_b32_e32 v5, 0x200, v0
	v_min_f64 v[6:7], v[6:7], v[2:3]
	v_cmp_u_f64_e64 s[0:1], v[12:13], v[12:13]
	s_nop 1
	v_cndmask_b32_e64 v6, v6, v12, s[0:1]
	v_cndmask_b32_e64 v7, v7, v13, s[0:1]
	v_cmp_gt_i32_e64 s[0:1], s10, v5
	v_max_f64 v[12:13], v[10:11], v[10:11]
	v_or_b32_e32 v5, 0x300, v0
	v_cndmask_b32_e64 v7, 0, v7, s[0:1]
	v_cndmask_b32_e64 v6, 0, v6, s[0:1]
	v_min_f64 v[2:3], v[12:13], v[2:3]
	v_cmp_u_f64_e64 s[0:1], v[10:11], v[10:11]
	s_nop 1
	v_cndmask_b32_e64 v2, v2, v10, s[0:1]
	v_cndmask_b32_e64 v3, v3, v11, s[0:1]
	v_cmp_gt_i32_e64 s[0:1], s10, v5
	s_nop 1
	v_cndmask_b32_e64 v3, 0, v3, s[0:1]
	v_cndmask_b32_e64 v2, 0, v2, s[0:1]
	s_and_saveexec_b64 s[0:1], vcc
	s_cbranch_execnz .LBB459_17
; %bb.12:
	s_or_b64 exec, exec, s[0:1]
	v_cmp_gt_i32_e32 vcc, s10, v0
	s_and_saveexec_b64 s[0:1], vcc
	s_cbranch_execnz .LBB459_18
.LBB459_13:
	s_or_b64 exec, exec, s[0:1]
	v_cmp_gt_i32_e32 vcc, s10, v0
	s_and_saveexec_b64 s[0:1], vcc
	s_cbranch_execnz .LBB459_19
.LBB459_14:
	s_or_b64 exec, exec, s[0:1]
	v_cmp_gt_i32_e32 vcc, s10, v0
	s_and_saveexec_b64 s[0:1], vcc
	s_cbranch_execz .LBB459_16
.LBB459_15:
	v_add_u32_e32 v0, s2, v0
	v_mov_b32_e32 v1, 0
	v_lshl_add_u64 v[0:1], v[0:1], 3, s[6:7]
	global_store_dwordx2 v[0:1], v[2:3], off
.LBB459_16:
	s_endpgm
.LBB459_17:
	v_mov_b32_e32 v5, 0
	v_lshl_add_u64 v[4:5], v[4:5], 3, s[6:7]
	v_mov_b32_e32 v0, v1
	global_store_dwordx2 v[4:5], v[14:15], off
	s_or_b64 exec, exec, s[0:1]
	v_cmp_gt_i32_e32 vcc, s10, v0
	s_and_saveexec_b64 s[0:1], vcc
	s_cbranch_execz .LBB459_13
.LBB459_18:
	v_add_u32_e32 v4, s2, v0
	v_mov_b32_e32 v5, 0
	v_lshl_add_u64 v[4:5], v[4:5], 3, s[6:7]
	v_add_u32_e32 v0, 0x100, v0
	global_store_dwordx2 v[4:5], v[8:9], off
	s_or_b64 exec, exec, s[0:1]
	v_cmp_gt_i32_e32 vcc, s10, v0
	s_and_saveexec_b64 s[0:1], vcc
	s_cbranch_execz .LBB459_14
.LBB459_19:
	v_add_u32_e32 v4, s2, v0
	v_mov_b32_e32 v5, 0
	v_lshl_add_u64 v[4:5], v[4:5], 3, s[6:7]
	v_add_u32_e32 v0, 0x100, v0
	global_store_dwordx2 v[4:5], v[6:7], off
	s_or_b64 exec, exec, s[0:1]
	v_cmp_gt_i32_e32 vcc, s10, v0
	s_and_saveexec_b64 s[0:1], vcc
	s_cbranch_execnz .LBB459_15
	s_branch .LBB459_16
	.section	.rodata,"a",@progbits
	.p2align	6, 0x0
	.amdhsa_kernel _ZN2at6native29vectorized_elementwise_kernelILi8EZZZNS0_21clamp_max_kernel_cudaERNS_18TensorIteratorBaseERKN3c106ScalarEENKUlvE_clEvENKUlvE4_clEvEUldE_St5arrayIPcLm2EEEEviT0_T1_
		.amdhsa_group_segment_fixed_size 0
		.amdhsa_private_segment_fixed_size 0
		.amdhsa_kernarg_size 32
		.amdhsa_user_sgpr_count 2
		.amdhsa_user_sgpr_dispatch_ptr 0
		.amdhsa_user_sgpr_queue_ptr 0
		.amdhsa_user_sgpr_kernarg_segment_ptr 1
		.amdhsa_user_sgpr_dispatch_id 0
		.amdhsa_user_sgpr_kernarg_preload_length 0
		.amdhsa_user_sgpr_kernarg_preload_offset 0
		.amdhsa_user_sgpr_private_segment_size 0
		.amdhsa_uses_dynamic_stack 0
		.amdhsa_enable_private_segment 0
		.amdhsa_system_sgpr_workgroup_id_x 1
		.amdhsa_system_sgpr_workgroup_id_y 0
		.amdhsa_system_sgpr_workgroup_id_z 0
		.amdhsa_system_sgpr_workgroup_info 0
		.amdhsa_system_vgpr_workitem_id 0
		.amdhsa_next_free_vgpr 20
		.amdhsa_next_free_sgpr 11
		.amdhsa_accum_offset 20
		.amdhsa_reserve_vcc 1
		.amdhsa_float_round_mode_32 0
		.amdhsa_float_round_mode_16_64 0
		.amdhsa_float_denorm_mode_32 3
		.amdhsa_float_denorm_mode_16_64 3
		.amdhsa_dx10_clamp 1
		.amdhsa_ieee_mode 1
		.amdhsa_fp16_overflow 0
		.amdhsa_tg_split 0
		.amdhsa_exception_fp_ieee_invalid_op 0
		.amdhsa_exception_fp_denorm_src 0
		.amdhsa_exception_fp_ieee_div_zero 0
		.amdhsa_exception_fp_ieee_overflow 0
		.amdhsa_exception_fp_ieee_underflow 0
		.amdhsa_exception_fp_ieee_inexact 0
		.amdhsa_exception_int_div_zero 0
	.end_amdhsa_kernel
	.section	.text._ZN2at6native29vectorized_elementwise_kernelILi8EZZZNS0_21clamp_max_kernel_cudaERNS_18TensorIteratorBaseERKN3c106ScalarEENKUlvE_clEvENKUlvE4_clEvEUldE_St5arrayIPcLm2EEEEviT0_T1_,"axG",@progbits,_ZN2at6native29vectorized_elementwise_kernelILi8EZZZNS0_21clamp_max_kernel_cudaERNS_18TensorIteratorBaseERKN3c106ScalarEENKUlvE_clEvENKUlvE4_clEvEUldE_St5arrayIPcLm2EEEEviT0_T1_,comdat
.Lfunc_end459:
	.size	_ZN2at6native29vectorized_elementwise_kernelILi8EZZZNS0_21clamp_max_kernel_cudaERNS_18TensorIteratorBaseERKN3c106ScalarEENKUlvE_clEvENKUlvE4_clEvEUldE_St5arrayIPcLm2EEEEviT0_T1_, .Lfunc_end459-_ZN2at6native29vectorized_elementwise_kernelILi8EZZZNS0_21clamp_max_kernel_cudaERNS_18TensorIteratorBaseERKN3c106ScalarEENKUlvE_clEvENKUlvE4_clEvEUldE_St5arrayIPcLm2EEEEviT0_T1_
                                        ; -- End function
	.set _ZN2at6native29vectorized_elementwise_kernelILi8EZZZNS0_21clamp_max_kernel_cudaERNS_18TensorIteratorBaseERKN3c106ScalarEENKUlvE_clEvENKUlvE4_clEvEUldE_St5arrayIPcLm2EEEEviT0_T1_.num_vgpr, 20
	.set _ZN2at6native29vectorized_elementwise_kernelILi8EZZZNS0_21clamp_max_kernel_cudaERNS_18TensorIteratorBaseERKN3c106ScalarEENKUlvE_clEvENKUlvE4_clEvEUldE_St5arrayIPcLm2EEEEviT0_T1_.num_agpr, 0
	.set _ZN2at6native29vectorized_elementwise_kernelILi8EZZZNS0_21clamp_max_kernel_cudaERNS_18TensorIteratorBaseERKN3c106ScalarEENKUlvE_clEvENKUlvE4_clEvEUldE_St5arrayIPcLm2EEEEviT0_T1_.numbered_sgpr, 11
	.set _ZN2at6native29vectorized_elementwise_kernelILi8EZZZNS0_21clamp_max_kernel_cudaERNS_18TensorIteratorBaseERKN3c106ScalarEENKUlvE_clEvENKUlvE4_clEvEUldE_St5arrayIPcLm2EEEEviT0_T1_.num_named_barrier, 0
	.set _ZN2at6native29vectorized_elementwise_kernelILi8EZZZNS0_21clamp_max_kernel_cudaERNS_18TensorIteratorBaseERKN3c106ScalarEENKUlvE_clEvENKUlvE4_clEvEUldE_St5arrayIPcLm2EEEEviT0_T1_.private_seg_size, 0
	.set _ZN2at6native29vectorized_elementwise_kernelILi8EZZZNS0_21clamp_max_kernel_cudaERNS_18TensorIteratorBaseERKN3c106ScalarEENKUlvE_clEvENKUlvE4_clEvEUldE_St5arrayIPcLm2EEEEviT0_T1_.uses_vcc, 1
	.set _ZN2at6native29vectorized_elementwise_kernelILi8EZZZNS0_21clamp_max_kernel_cudaERNS_18TensorIteratorBaseERKN3c106ScalarEENKUlvE_clEvENKUlvE4_clEvEUldE_St5arrayIPcLm2EEEEviT0_T1_.uses_flat_scratch, 0
	.set _ZN2at6native29vectorized_elementwise_kernelILi8EZZZNS0_21clamp_max_kernel_cudaERNS_18TensorIteratorBaseERKN3c106ScalarEENKUlvE_clEvENKUlvE4_clEvEUldE_St5arrayIPcLm2EEEEviT0_T1_.has_dyn_sized_stack, 0
	.set _ZN2at6native29vectorized_elementwise_kernelILi8EZZZNS0_21clamp_max_kernel_cudaERNS_18TensorIteratorBaseERKN3c106ScalarEENKUlvE_clEvENKUlvE4_clEvEUldE_St5arrayIPcLm2EEEEviT0_T1_.has_recursion, 0
	.set _ZN2at6native29vectorized_elementwise_kernelILi8EZZZNS0_21clamp_max_kernel_cudaERNS_18TensorIteratorBaseERKN3c106ScalarEENKUlvE_clEvENKUlvE4_clEvEUldE_St5arrayIPcLm2EEEEviT0_T1_.has_indirect_call, 0
	.section	.AMDGPU.csdata,"",@progbits
; Kernel info:
; codeLenInByte = 988
; TotalNumSgprs: 17
; NumVgprs: 20
; NumAgprs: 0
; TotalNumVgprs: 20
; ScratchSize: 0
; MemoryBound: 0
; FloatMode: 240
; IeeeMode: 1
; LDSByteSize: 0 bytes/workgroup (compile time only)
; SGPRBlocks: 2
; VGPRBlocks: 2
; NumSGPRsForWavesPerEU: 17
; NumVGPRsForWavesPerEU: 20
; AccumOffset: 20
; Occupancy: 8
; WaveLimiterHint : 0
; COMPUTE_PGM_RSRC2:SCRATCH_EN: 0
; COMPUTE_PGM_RSRC2:USER_SGPR: 2
; COMPUTE_PGM_RSRC2:TRAP_HANDLER: 0
; COMPUTE_PGM_RSRC2:TGID_X_EN: 1
; COMPUTE_PGM_RSRC2:TGID_Y_EN: 0
; COMPUTE_PGM_RSRC2:TGID_Z_EN: 0
; COMPUTE_PGM_RSRC2:TIDIG_COMP_CNT: 0
; COMPUTE_PGM_RSRC3_GFX90A:ACCUM_OFFSET: 4
; COMPUTE_PGM_RSRC3_GFX90A:TG_SPLIT: 0
	.section	.text._ZN2at6native29vectorized_elementwise_kernelILi4EZZZNS0_21clamp_max_kernel_cudaERNS_18TensorIteratorBaseERKN3c106ScalarEENKUlvE_clEvENKUlvE4_clEvEUldE_St5arrayIPcLm2EEEEviT0_T1_,"axG",@progbits,_ZN2at6native29vectorized_elementwise_kernelILi4EZZZNS0_21clamp_max_kernel_cudaERNS_18TensorIteratorBaseERKN3c106ScalarEENKUlvE_clEvENKUlvE4_clEvEUldE_St5arrayIPcLm2EEEEviT0_T1_,comdat
	.globl	_ZN2at6native29vectorized_elementwise_kernelILi4EZZZNS0_21clamp_max_kernel_cudaERNS_18TensorIteratorBaseERKN3c106ScalarEENKUlvE_clEvENKUlvE4_clEvEUldE_St5arrayIPcLm2EEEEviT0_T1_ ; -- Begin function _ZN2at6native29vectorized_elementwise_kernelILi4EZZZNS0_21clamp_max_kernel_cudaERNS_18TensorIteratorBaseERKN3c106ScalarEENKUlvE_clEvENKUlvE4_clEvEUldE_St5arrayIPcLm2EEEEviT0_T1_
	.p2align	8
	.type	_ZN2at6native29vectorized_elementwise_kernelILi4EZZZNS0_21clamp_max_kernel_cudaERNS_18TensorIteratorBaseERKN3c106ScalarEENKUlvE_clEvENKUlvE4_clEvEUldE_St5arrayIPcLm2EEEEviT0_T1_,@function
_ZN2at6native29vectorized_elementwise_kernelILi4EZZZNS0_21clamp_max_kernel_cudaERNS_18TensorIteratorBaseERKN3c106ScalarEENKUlvE_clEvENKUlvE4_clEvEUldE_St5arrayIPcLm2EEEEviT0_T1_: ; @_ZN2at6native29vectorized_elementwise_kernelILi4EZZZNS0_21clamp_max_kernel_cudaERNS_18TensorIteratorBaseERKN3c106ScalarEENKUlvE_clEvENKUlvE4_clEvEUldE_St5arrayIPcLm2EEEEviT0_T1_
; %bb.0:
	s_load_dword s3, s[0:1], 0x0
	s_load_dwordx4 s[4:7], s[0:1], 0x8
	s_load_dwordx2 s[8:9], s[0:1], 0x18
	s_lshl_b32 s2, s2, 10
	s_mov_b64 s[0:1], -1
	s_waitcnt lgkmcnt(0)
	s_sub_i32 s10, s3, s2
	s_cmpk_gt_i32 s10, 0x3ff
	v_max_f64 v[2:3], s[4:5], s[4:5]
	s_cbranch_scc0 .LBB460_2
; %bb.1:
	s_ashr_i32 s3, s2, 31
	s_lshl_b64 s[0:1], s[2:3], 3
	s_add_u32 s4, s8, s0
	s_addc_u32 s5, s9, s1
	v_lshlrev_b32_e32 v1, 5, v0
	global_load_dwordx4 v[4:7], v1, s[4:5]
	global_load_dwordx4 v[8:11], v1, s[4:5] offset:16
	s_add_u32 s0, s6, s0
	s_addc_u32 s1, s7, s1
	s_waitcnt vmcnt(1)
	v_max_f64 v[12:13], v[4:5], v[4:5]
	v_max_f64 v[14:15], v[6:7], v[6:7]
	v_min_f64 v[12:13], v[12:13], v[2:3]
	v_cmp_u_f64_e32 vcc, v[4:5], v[4:5]
	s_waitcnt vmcnt(0)
	v_max_f64 v[16:17], v[8:9], v[8:9]
	v_min_f64 v[14:15], v[14:15], v[2:3]
	v_cndmask_b32_e32 v5, v13, v5, vcc
	v_cndmask_b32_e32 v4, v12, v4, vcc
	v_cmp_u_f64_e32 vcc, v[6:7], v[6:7]
	v_max_f64 v[18:19], v[10:11], v[10:11]
	v_min_f64 v[16:17], v[16:17], v[2:3]
	v_cndmask_b32_e32 v7, v15, v7, vcc
	v_cndmask_b32_e32 v6, v14, v6, vcc
	v_cmp_u_f64_e32 vcc, v[8:9], v[8:9]
	v_min_f64 v[18:19], v[18:19], v[2:3]
	s_nop 0
	v_cndmask_b32_e32 v9, v17, v9, vcc
	v_cndmask_b32_e32 v8, v16, v8, vcc
	v_cmp_u_f64_e32 vcc, v[10:11], v[10:11]
	s_nop 1
	v_cndmask_b32_e32 v11, v19, v11, vcc
	v_cndmask_b32_e32 v10, v18, v10, vcc
	global_store_dwordx4 v1, v[4:7], s[0:1]
	global_store_dwordx4 v1, v[8:11], s[0:1] offset:16
	s_mov_b64 s[0:1], 0
.LBB460_2:
	s_andn2_b64 vcc, exec, s[0:1]
	s_cbranch_vccnz .LBB460_16
; %bb.3:
	v_cmp_gt_i32_e32 vcc, s10, v0
	v_mov_b64_e32 v[6:7], 0
	v_or_b32_e32 v4, s2, v0
	v_mov_b64_e32 v[8:9], 0
	v_mov_b32_e32 v1, v0
	s_and_saveexec_b64 s[0:1], vcc
	s_cbranch_execz .LBB460_5
; %bb.4:
	v_mov_b32_e32 v5, 0
	v_lshl_add_u64 v[8:9], v[4:5], 3, s[8:9]
	global_load_dwordx2 v[8:9], v[8:9], off
	v_or_b32_e32 v1, 0x100, v0
.LBB460_5:
	s_or_b64 exec, exec, s[0:1]
	v_cmp_gt_i32_e64 s[0:1], s10, v1
	s_and_saveexec_b64 s[4:5], s[0:1]
	s_cbranch_execz .LBB460_7
; %bb.6:
	v_add_u32_e32 v6, s2, v1
	v_mov_b32_e32 v7, 0
	v_lshl_add_u64 v[6:7], v[6:7], 3, s[8:9]
	global_load_dwordx2 v[6:7], v[6:7], off
	v_add_u32_e32 v1, 0x100, v1
.LBB460_7:
	s_or_b64 exec, exec, s[4:5]
	v_cmp_gt_i32_e64 s[0:1], s10, v1
	v_mov_b64_e32 v[10:11], 0
	v_mov_b64_e32 v[12:13], 0
	s_and_saveexec_b64 s[4:5], s[0:1]
	s_cbranch_execz .LBB460_9
; %bb.8:
	v_add_u32_e32 v12, s2, v1
	v_mov_b32_e32 v13, 0
	v_lshl_add_u64 v[12:13], v[12:13], 3, s[8:9]
	global_load_dwordx2 v[12:13], v[12:13], off
	v_add_u32_e32 v1, 0x100, v1
.LBB460_9:
	s_or_b64 exec, exec, s[4:5]
	v_cmp_gt_i32_e64 s[0:1], s10, v1
	s_and_saveexec_b64 s[4:5], s[0:1]
	s_cbranch_execz .LBB460_11
; %bb.10:
	v_add_u32_e32 v10, s2, v1
	v_mov_b32_e32 v11, 0
	v_lshl_add_u64 v[10:11], v[10:11], 3, s[8:9]
	global_load_dwordx2 v[10:11], v[10:11], off
.LBB460_11:
	s_or_b64 exec, exec, s[4:5]
	s_waitcnt vmcnt(0)
	v_max_f64 v[14:15], v[8:9], v[8:9]
	v_min_f64 v[14:15], v[14:15], v[2:3]
	v_cmp_u_f64_e64 s[0:1], v[8:9], v[8:9]
	s_nop 1
	v_cndmask_b32_e64 v1, v14, v8, s[0:1]
	v_cndmask_b32_e64 v5, v15, v9, s[0:1]
	v_max_f64 v[8:9], v[6:7], v[6:7]
	v_cndmask_b32_e32 v14, 0, v1, vcc
	v_or_b32_e32 v1, 0x100, v0
	v_min_f64 v[8:9], v[8:9], v[2:3]
	v_cmp_u_f64_e64 s[0:1], v[6:7], v[6:7]
	v_cndmask_b32_e32 v15, 0, v5, vcc
	s_nop 0
	v_cndmask_b32_e64 v5, v8, v6, s[0:1]
	v_cndmask_b32_e64 v6, v9, v7, s[0:1]
	v_cmp_gt_i32_e64 s[0:1], s10, v1
	s_nop 1
	v_cndmask_b32_e64 v9, 0, v6, s[0:1]
	v_max_f64 v[6:7], v[12:13], v[12:13]
	v_cndmask_b32_e64 v8, 0, v5, s[0:1]
	v_or_b32_e32 v5, 0x200, v0
	v_min_f64 v[6:7], v[6:7], v[2:3]
	v_cmp_u_f64_e64 s[0:1], v[12:13], v[12:13]
	s_nop 1
	v_cndmask_b32_e64 v6, v6, v12, s[0:1]
	v_cndmask_b32_e64 v7, v7, v13, s[0:1]
	v_cmp_gt_i32_e64 s[0:1], s10, v5
	v_max_f64 v[12:13], v[10:11], v[10:11]
	v_or_b32_e32 v5, 0x300, v0
	v_cndmask_b32_e64 v7, 0, v7, s[0:1]
	v_cndmask_b32_e64 v6, 0, v6, s[0:1]
	v_min_f64 v[2:3], v[12:13], v[2:3]
	v_cmp_u_f64_e64 s[0:1], v[10:11], v[10:11]
	s_nop 1
	v_cndmask_b32_e64 v2, v2, v10, s[0:1]
	v_cndmask_b32_e64 v3, v3, v11, s[0:1]
	v_cmp_gt_i32_e64 s[0:1], s10, v5
	s_nop 1
	v_cndmask_b32_e64 v3, 0, v3, s[0:1]
	v_cndmask_b32_e64 v2, 0, v2, s[0:1]
	s_and_saveexec_b64 s[0:1], vcc
	s_cbranch_execnz .LBB460_17
; %bb.12:
	s_or_b64 exec, exec, s[0:1]
	v_cmp_gt_i32_e32 vcc, s10, v0
	s_and_saveexec_b64 s[0:1], vcc
	s_cbranch_execnz .LBB460_18
.LBB460_13:
	s_or_b64 exec, exec, s[0:1]
	v_cmp_gt_i32_e32 vcc, s10, v0
	s_and_saveexec_b64 s[0:1], vcc
	s_cbranch_execnz .LBB460_19
.LBB460_14:
	s_or_b64 exec, exec, s[0:1]
	v_cmp_gt_i32_e32 vcc, s10, v0
	s_and_saveexec_b64 s[0:1], vcc
	s_cbranch_execz .LBB460_16
.LBB460_15:
	v_add_u32_e32 v0, s2, v0
	v_mov_b32_e32 v1, 0
	v_lshl_add_u64 v[0:1], v[0:1], 3, s[6:7]
	global_store_dwordx2 v[0:1], v[2:3], off
.LBB460_16:
	s_endpgm
.LBB460_17:
	v_mov_b32_e32 v5, 0
	v_lshl_add_u64 v[4:5], v[4:5], 3, s[6:7]
	v_mov_b32_e32 v0, v1
	global_store_dwordx2 v[4:5], v[14:15], off
	s_or_b64 exec, exec, s[0:1]
	v_cmp_gt_i32_e32 vcc, s10, v0
	s_and_saveexec_b64 s[0:1], vcc
	s_cbranch_execz .LBB460_13
.LBB460_18:
	v_add_u32_e32 v4, s2, v0
	v_mov_b32_e32 v5, 0
	v_lshl_add_u64 v[4:5], v[4:5], 3, s[6:7]
	v_add_u32_e32 v0, 0x100, v0
	global_store_dwordx2 v[4:5], v[8:9], off
	s_or_b64 exec, exec, s[0:1]
	v_cmp_gt_i32_e32 vcc, s10, v0
	s_and_saveexec_b64 s[0:1], vcc
	s_cbranch_execz .LBB460_14
.LBB460_19:
	v_add_u32_e32 v4, s2, v0
	v_mov_b32_e32 v5, 0
	v_lshl_add_u64 v[4:5], v[4:5], 3, s[6:7]
	v_add_u32_e32 v0, 0x100, v0
	global_store_dwordx2 v[4:5], v[6:7], off
	s_or_b64 exec, exec, s[0:1]
	v_cmp_gt_i32_e32 vcc, s10, v0
	s_and_saveexec_b64 s[0:1], vcc
	s_cbranch_execnz .LBB460_15
	s_branch .LBB460_16
	.section	.rodata,"a",@progbits
	.p2align	6, 0x0
	.amdhsa_kernel _ZN2at6native29vectorized_elementwise_kernelILi4EZZZNS0_21clamp_max_kernel_cudaERNS_18TensorIteratorBaseERKN3c106ScalarEENKUlvE_clEvENKUlvE4_clEvEUldE_St5arrayIPcLm2EEEEviT0_T1_
		.amdhsa_group_segment_fixed_size 0
		.amdhsa_private_segment_fixed_size 0
		.amdhsa_kernarg_size 32
		.amdhsa_user_sgpr_count 2
		.amdhsa_user_sgpr_dispatch_ptr 0
		.amdhsa_user_sgpr_queue_ptr 0
		.amdhsa_user_sgpr_kernarg_segment_ptr 1
		.amdhsa_user_sgpr_dispatch_id 0
		.amdhsa_user_sgpr_kernarg_preload_length 0
		.amdhsa_user_sgpr_kernarg_preload_offset 0
		.amdhsa_user_sgpr_private_segment_size 0
		.amdhsa_uses_dynamic_stack 0
		.amdhsa_enable_private_segment 0
		.amdhsa_system_sgpr_workgroup_id_x 1
		.amdhsa_system_sgpr_workgroup_id_y 0
		.amdhsa_system_sgpr_workgroup_id_z 0
		.amdhsa_system_sgpr_workgroup_info 0
		.amdhsa_system_vgpr_workitem_id 0
		.amdhsa_next_free_vgpr 20
		.amdhsa_next_free_sgpr 11
		.amdhsa_accum_offset 20
		.amdhsa_reserve_vcc 1
		.amdhsa_float_round_mode_32 0
		.amdhsa_float_round_mode_16_64 0
		.amdhsa_float_denorm_mode_32 3
		.amdhsa_float_denorm_mode_16_64 3
		.amdhsa_dx10_clamp 1
		.amdhsa_ieee_mode 1
		.amdhsa_fp16_overflow 0
		.amdhsa_tg_split 0
		.amdhsa_exception_fp_ieee_invalid_op 0
		.amdhsa_exception_fp_denorm_src 0
		.amdhsa_exception_fp_ieee_div_zero 0
		.amdhsa_exception_fp_ieee_overflow 0
		.amdhsa_exception_fp_ieee_underflow 0
		.amdhsa_exception_fp_ieee_inexact 0
		.amdhsa_exception_int_div_zero 0
	.end_amdhsa_kernel
	.section	.text._ZN2at6native29vectorized_elementwise_kernelILi4EZZZNS0_21clamp_max_kernel_cudaERNS_18TensorIteratorBaseERKN3c106ScalarEENKUlvE_clEvENKUlvE4_clEvEUldE_St5arrayIPcLm2EEEEviT0_T1_,"axG",@progbits,_ZN2at6native29vectorized_elementwise_kernelILi4EZZZNS0_21clamp_max_kernel_cudaERNS_18TensorIteratorBaseERKN3c106ScalarEENKUlvE_clEvENKUlvE4_clEvEUldE_St5arrayIPcLm2EEEEviT0_T1_,comdat
.Lfunc_end460:
	.size	_ZN2at6native29vectorized_elementwise_kernelILi4EZZZNS0_21clamp_max_kernel_cudaERNS_18TensorIteratorBaseERKN3c106ScalarEENKUlvE_clEvENKUlvE4_clEvEUldE_St5arrayIPcLm2EEEEviT0_T1_, .Lfunc_end460-_ZN2at6native29vectorized_elementwise_kernelILi4EZZZNS0_21clamp_max_kernel_cudaERNS_18TensorIteratorBaseERKN3c106ScalarEENKUlvE_clEvENKUlvE4_clEvEUldE_St5arrayIPcLm2EEEEviT0_T1_
                                        ; -- End function
	.set _ZN2at6native29vectorized_elementwise_kernelILi4EZZZNS0_21clamp_max_kernel_cudaERNS_18TensorIteratorBaseERKN3c106ScalarEENKUlvE_clEvENKUlvE4_clEvEUldE_St5arrayIPcLm2EEEEviT0_T1_.num_vgpr, 20
	.set _ZN2at6native29vectorized_elementwise_kernelILi4EZZZNS0_21clamp_max_kernel_cudaERNS_18TensorIteratorBaseERKN3c106ScalarEENKUlvE_clEvENKUlvE4_clEvEUldE_St5arrayIPcLm2EEEEviT0_T1_.num_agpr, 0
	.set _ZN2at6native29vectorized_elementwise_kernelILi4EZZZNS0_21clamp_max_kernel_cudaERNS_18TensorIteratorBaseERKN3c106ScalarEENKUlvE_clEvENKUlvE4_clEvEUldE_St5arrayIPcLm2EEEEviT0_T1_.numbered_sgpr, 11
	.set _ZN2at6native29vectorized_elementwise_kernelILi4EZZZNS0_21clamp_max_kernel_cudaERNS_18TensorIteratorBaseERKN3c106ScalarEENKUlvE_clEvENKUlvE4_clEvEUldE_St5arrayIPcLm2EEEEviT0_T1_.num_named_barrier, 0
	.set _ZN2at6native29vectorized_elementwise_kernelILi4EZZZNS0_21clamp_max_kernel_cudaERNS_18TensorIteratorBaseERKN3c106ScalarEENKUlvE_clEvENKUlvE4_clEvEUldE_St5arrayIPcLm2EEEEviT0_T1_.private_seg_size, 0
	.set _ZN2at6native29vectorized_elementwise_kernelILi4EZZZNS0_21clamp_max_kernel_cudaERNS_18TensorIteratorBaseERKN3c106ScalarEENKUlvE_clEvENKUlvE4_clEvEUldE_St5arrayIPcLm2EEEEviT0_T1_.uses_vcc, 1
	.set _ZN2at6native29vectorized_elementwise_kernelILi4EZZZNS0_21clamp_max_kernel_cudaERNS_18TensorIteratorBaseERKN3c106ScalarEENKUlvE_clEvENKUlvE4_clEvEUldE_St5arrayIPcLm2EEEEviT0_T1_.uses_flat_scratch, 0
	.set _ZN2at6native29vectorized_elementwise_kernelILi4EZZZNS0_21clamp_max_kernel_cudaERNS_18TensorIteratorBaseERKN3c106ScalarEENKUlvE_clEvENKUlvE4_clEvEUldE_St5arrayIPcLm2EEEEviT0_T1_.has_dyn_sized_stack, 0
	.set _ZN2at6native29vectorized_elementwise_kernelILi4EZZZNS0_21clamp_max_kernel_cudaERNS_18TensorIteratorBaseERKN3c106ScalarEENKUlvE_clEvENKUlvE4_clEvEUldE_St5arrayIPcLm2EEEEviT0_T1_.has_recursion, 0
	.set _ZN2at6native29vectorized_elementwise_kernelILi4EZZZNS0_21clamp_max_kernel_cudaERNS_18TensorIteratorBaseERKN3c106ScalarEENKUlvE_clEvENKUlvE4_clEvEUldE_St5arrayIPcLm2EEEEviT0_T1_.has_indirect_call, 0
	.section	.AMDGPU.csdata,"",@progbits
; Kernel info:
; codeLenInByte = 988
; TotalNumSgprs: 17
; NumVgprs: 20
; NumAgprs: 0
; TotalNumVgprs: 20
; ScratchSize: 0
; MemoryBound: 0
; FloatMode: 240
; IeeeMode: 1
; LDSByteSize: 0 bytes/workgroup (compile time only)
; SGPRBlocks: 2
; VGPRBlocks: 2
; NumSGPRsForWavesPerEU: 17
; NumVGPRsForWavesPerEU: 20
; AccumOffset: 20
; Occupancy: 8
; WaveLimiterHint : 0
; COMPUTE_PGM_RSRC2:SCRATCH_EN: 0
; COMPUTE_PGM_RSRC2:USER_SGPR: 2
; COMPUTE_PGM_RSRC2:TRAP_HANDLER: 0
; COMPUTE_PGM_RSRC2:TGID_X_EN: 1
; COMPUTE_PGM_RSRC2:TGID_Y_EN: 0
; COMPUTE_PGM_RSRC2:TGID_Z_EN: 0
; COMPUTE_PGM_RSRC2:TIDIG_COMP_CNT: 0
; COMPUTE_PGM_RSRC3_GFX90A:ACCUM_OFFSET: 4
; COMPUTE_PGM_RSRC3_GFX90A:TG_SPLIT: 0
	.section	.text._ZN2at6native29vectorized_elementwise_kernelILi2EZZZNS0_21clamp_max_kernel_cudaERNS_18TensorIteratorBaseERKN3c106ScalarEENKUlvE_clEvENKUlvE4_clEvEUldE_St5arrayIPcLm2EEEEviT0_T1_,"axG",@progbits,_ZN2at6native29vectorized_elementwise_kernelILi2EZZZNS0_21clamp_max_kernel_cudaERNS_18TensorIteratorBaseERKN3c106ScalarEENKUlvE_clEvENKUlvE4_clEvEUldE_St5arrayIPcLm2EEEEviT0_T1_,comdat
	.globl	_ZN2at6native29vectorized_elementwise_kernelILi2EZZZNS0_21clamp_max_kernel_cudaERNS_18TensorIteratorBaseERKN3c106ScalarEENKUlvE_clEvENKUlvE4_clEvEUldE_St5arrayIPcLm2EEEEviT0_T1_ ; -- Begin function _ZN2at6native29vectorized_elementwise_kernelILi2EZZZNS0_21clamp_max_kernel_cudaERNS_18TensorIteratorBaseERKN3c106ScalarEENKUlvE_clEvENKUlvE4_clEvEUldE_St5arrayIPcLm2EEEEviT0_T1_
	.p2align	8
	.type	_ZN2at6native29vectorized_elementwise_kernelILi2EZZZNS0_21clamp_max_kernel_cudaERNS_18TensorIteratorBaseERKN3c106ScalarEENKUlvE_clEvENKUlvE4_clEvEUldE_St5arrayIPcLm2EEEEviT0_T1_,@function
_ZN2at6native29vectorized_elementwise_kernelILi2EZZZNS0_21clamp_max_kernel_cudaERNS_18TensorIteratorBaseERKN3c106ScalarEENKUlvE_clEvENKUlvE4_clEvEUldE_St5arrayIPcLm2EEEEviT0_T1_: ; @_ZN2at6native29vectorized_elementwise_kernelILi2EZZZNS0_21clamp_max_kernel_cudaERNS_18TensorIteratorBaseERKN3c106ScalarEENKUlvE_clEvENKUlvE4_clEvEUldE_St5arrayIPcLm2EEEEviT0_T1_
; %bb.0:
	s_load_dword s3, s[0:1], 0x0
	s_load_dwordx4 s[4:7], s[0:1], 0x8
	s_load_dwordx2 s[8:9], s[0:1], 0x18
	s_lshl_b32 s2, s2, 10
	s_mov_b64 s[0:1], -1
	s_waitcnt lgkmcnt(0)
	s_sub_i32 s10, s3, s2
	s_cmpk_gt_i32 s10, 0x3ff
	v_max_f64 v[2:3], s[4:5], s[4:5]
	s_cbranch_scc0 .LBB461_2
; %bb.1:
	s_ashr_i32 s3, s2, 31
	s_lshl_b64 s[0:1], s[2:3], 3
	s_add_u32 s4, s8, s0
	s_addc_u32 s5, s9, s1
	v_lshlrev_b32_e32 v12, 4, v0
	v_mov_b32_e32 v13, 0
	global_load_dwordx4 v[4:7], v12, s[4:5]
	v_lshl_add_u64 v[8:9], s[4:5], 0, v[12:13]
	v_add_co_u32_e32 v8, vcc, 0x1000, v8
	s_add_u32 s0, s6, s0
	s_nop 0
	v_addc_co_u32_e32 v9, vcc, 0, v9, vcc
	global_load_dwordx4 v[8:11], v[8:9], off
	s_addc_u32 s1, s7, s1
	v_lshl_add_u64 v[14:15], s[0:1], 0, v[12:13]
	v_add_co_u32_e32 v14, vcc, 0x1000, v14
	s_waitcnt vmcnt(1)
	v_max_f64 v[16:17], v[4:5], v[4:5]
	v_addc_co_u32_e32 v15, vcc, 0, v15, vcc
	v_max_f64 v[18:19], v[6:7], v[6:7]
	v_min_f64 v[16:17], v[16:17], v[2:3]
	v_cmp_u_f64_e32 vcc, v[4:5], v[4:5]
	v_min_f64 v[18:19], v[18:19], v[2:3]
	s_nop 0
	v_cndmask_b32_e32 v5, v17, v5, vcc
	v_cndmask_b32_e32 v4, v16, v4, vcc
	v_cmp_u_f64_e32 vcc, v[6:7], v[6:7]
	s_waitcnt vmcnt(0)
	v_max_f64 v[16:17], v[8:9], v[8:9]
	v_cndmask_b32_e32 v7, v19, v7, vcc
	v_cndmask_b32_e32 v6, v18, v6, vcc
	v_max_f64 v[18:19], v[10:11], v[10:11]
	global_store_dwordx4 v12, v[4:7], s[0:1]
	v_cmp_u_f64_e32 vcc, v[8:9], v[8:9]
	s_mov_b64 s[0:1], 0
	v_min_f64 v[4:5], v[16:17], v[2:3]
	v_min_f64 v[6:7], v[18:19], v[2:3]
	v_cndmask_b32_e32 v5, v5, v9, vcc
	v_cndmask_b32_e32 v4, v4, v8, vcc
	v_cmp_u_f64_e32 vcc, v[10:11], v[10:11]
	s_nop 1
	v_cndmask_b32_e32 v7, v7, v11, vcc
	v_cndmask_b32_e32 v6, v6, v10, vcc
	global_store_dwordx4 v[14:15], v[4:7], off
.LBB461_2:
	s_andn2_b64 vcc, exec, s[0:1]
	s_cbranch_vccnz .LBB461_16
; %bb.3:
	v_cmp_gt_i32_e32 vcc, s10, v0
	v_mov_b64_e32 v[6:7], 0
	v_or_b32_e32 v4, s2, v0
	v_mov_b64_e32 v[8:9], 0
	v_mov_b32_e32 v1, v0
	s_and_saveexec_b64 s[0:1], vcc
	s_cbranch_execz .LBB461_5
; %bb.4:
	v_mov_b32_e32 v5, 0
	v_lshl_add_u64 v[8:9], v[4:5], 3, s[8:9]
	global_load_dwordx2 v[8:9], v[8:9], off
	v_or_b32_e32 v1, 0x100, v0
.LBB461_5:
	s_or_b64 exec, exec, s[0:1]
	v_cmp_gt_i32_e64 s[0:1], s10, v1
	s_and_saveexec_b64 s[4:5], s[0:1]
	s_cbranch_execz .LBB461_7
; %bb.6:
	v_add_u32_e32 v6, s2, v1
	v_mov_b32_e32 v7, 0
	v_lshl_add_u64 v[6:7], v[6:7], 3, s[8:9]
	global_load_dwordx2 v[6:7], v[6:7], off
	v_add_u32_e32 v1, 0x100, v1
.LBB461_7:
	s_or_b64 exec, exec, s[4:5]
	v_cmp_gt_i32_e64 s[0:1], s10, v1
	v_mov_b64_e32 v[10:11], 0
	v_mov_b64_e32 v[12:13], 0
	s_and_saveexec_b64 s[4:5], s[0:1]
	s_cbranch_execz .LBB461_9
; %bb.8:
	v_add_u32_e32 v12, s2, v1
	v_mov_b32_e32 v13, 0
	v_lshl_add_u64 v[12:13], v[12:13], 3, s[8:9]
	global_load_dwordx2 v[12:13], v[12:13], off
	v_add_u32_e32 v1, 0x100, v1
.LBB461_9:
	s_or_b64 exec, exec, s[4:5]
	v_cmp_gt_i32_e64 s[0:1], s10, v1
	s_and_saveexec_b64 s[4:5], s[0:1]
	s_cbranch_execz .LBB461_11
; %bb.10:
	v_add_u32_e32 v10, s2, v1
	v_mov_b32_e32 v11, 0
	v_lshl_add_u64 v[10:11], v[10:11], 3, s[8:9]
	global_load_dwordx2 v[10:11], v[10:11], off
.LBB461_11:
	s_or_b64 exec, exec, s[4:5]
	s_waitcnt vmcnt(0)
	v_max_f64 v[14:15], v[8:9], v[8:9]
	v_min_f64 v[14:15], v[14:15], v[2:3]
	v_cmp_u_f64_e64 s[0:1], v[8:9], v[8:9]
	s_nop 1
	v_cndmask_b32_e64 v1, v14, v8, s[0:1]
	v_cndmask_b32_e64 v5, v15, v9, s[0:1]
	v_max_f64 v[8:9], v[6:7], v[6:7]
	v_cndmask_b32_e32 v14, 0, v1, vcc
	v_or_b32_e32 v1, 0x100, v0
	v_min_f64 v[8:9], v[8:9], v[2:3]
	v_cmp_u_f64_e64 s[0:1], v[6:7], v[6:7]
	v_cndmask_b32_e32 v15, 0, v5, vcc
	s_nop 0
	v_cndmask_b32_e64 v5, v8, v6, s[0:1]
	v_cndmask_b32_e64 v6, v9, v7, s[0:1]
	v_cmp_gt_i32_e64 s[0:1], s10, v1
	s_nop 1
	v_cndmask_b32_e64 v9, 0, v6, s[0:1]
	v_max_f64 v[6:7], v[12:13], v[12:13]
	v_cndmask_b32_e64 v8, 0, v5, s[0:1]
	v_or_b32_e32 v5, 0x200, v0
	v_min_f64 v[6:7], v[6:7], v[2:3]
	v_cmp_u_f64_e64 s[0:1], v[12:13], v[12:13]
	s_nop 1
	v_cndmask_b32_e64 v6, v6, v12, s[0:1]
	v_cndmask_b32_e64 v7, v7, v13, s[0:1]
	v_cmp_gt_i32_e64 s[0:1], s10, v5
	v_max_f64 v[12:13], v[10:11], v[10:11]
	v_or_b32_e32 v5, 0x300, v0
	v_cndmask_b32_e64 v7, 0, v7, s[0:1]
	v_cndmask_b32_e64 v6, 0, v6, s[0:1]
	v_min_f64 v[2:3], v[12:13], v[2:3]
	v_cmp_u_f64_e64 s[0:1], v[10:11], v[10:11]
	s_nop 1
	v_cndmask_b32_e64 v2, v2, v10, s[0:1]
	v_cndmask_b32_e64 v3, v3, v11, s[0:1]
	v_cmp_gt_i32_e64 s[0:1], s10, v5
	s_nop 1
	v_cndmask_b32_e64 v3, 0, v3, s[0:1]
	v_cndmask_b32_e64 v2, 0, v2, s[0:1]
	s_and_saveexec_b64 s[0:1], vcc
	s_cbranch_execnz .LBB461_17
; %bb.12:
	s_or_b64 exec, exec, s[0:1]
	v_cmp_gt_i32_e32 vcc, s10, v0
	s_and_saveexec_b64 s[0:1], vcc
	s_cbranch_execnz .LBB461_18
.LBB461_13:
	s_or_b64 exec, exec, s[0:1]
	v_cmp_gt_i32_e32 vcc, s10, v0
	s_and_saveexec_b64 s[0:1], vcc
	s_cbranch_execnz .LBB461_19
.LBB461_14:
	s_or_b64 exec, exec, s[0:1]
	v_cmp_gt_i32_e32 vcc, s10, v0
	s_and_saveexec_b64 s[0:1], vcc
	s_cbranch_execz .LBB461_16
.LBB461_15:
	v_add_u32_e32 v0, s2, v0
	v_mov_b32_e32 v1, 0
	v_lshl_add_u64 v[0:1], v[0:1], 3, s[6:7]
	global_store_dwordx2 v[0:1], v[2:3], off
.LBB461_16:
	s_endpgm
.LBB461_17:
	v_mov_b32_e32 v5, 0
	v_lshl_add_u64 v[4:5], v[4:5], 3, s[6:7]
	v_mov_b32_e32 v0, v1
	global_store_dwordx2 v[4:5], v[14:15], off
	s_or_b64 exec, exec, s[0:1]
	v_cmp_gt_i32_e32 vcc, s10, v0
	s_and_saveexec_b64 s[0:1], vcc
	s_cbranch_execz .LBB461_13
.LBB461_18:
	v_add_u32_e32 v4, s2, v0
	v_mov_b32_e32 v5, 0
	v_lshl_add_u64 v[4:5], v[4:5], 3, s[6:7]
	v_add_u32_e32 v0, 0x100, v0
	global_store_dwordx2 v[4:5], v[8:9], off
	s_or_b64 exec, exec, s[0:1]
	v_cmp_gt_i32_e32 vcc, s10, v0
	s_and_saveexec_b64 s[0:1], vcc
	s_cbranch_execz .LBB461_14
.LBB461_19:
	v_add_u32_e32 v4, s2, v0
	v_mov_b32_e32 v5, 0
	v_lshl_add_u64 v[4:5], v[4:5], 3, s[6:7]
	v_add_u32_e32 v0, 0x100, v0
	global_store_dwordx2 v[4:5], v[6:7], off
	s_or_b64 exec, exec, s[0:1]
	v_cmp_gt_i32_e32 vcc, s10, v0
	s_and_saveexec_b64 s[0:1], vcc
	s_cbranch_execnz .LBB461_15
	s_branch .LBB461_16
	.section	.rodata,"a",@progbits
	.p2align	6, 0x0
	.amdhsa_kernel _ZN2at6native29vectorized_elementwise_kernelILi2EZZZNS0_21clamp_max_kernel_cudaERNS_18TensorIteratorBaseERKN3c106ScalarEENKUlvE_clEvENKUlvE4_clEvEUldE_St5arrayIPcLm2EEEEviT0_T1_
		.amdhsa_group_segment_fixed_size 0
		.amdhsa_private_segment_fixed_size 0
		.amdhsa_kernarg_size 32
		.amdhsa_user_sgpr_count 2
		.amdhsa_user_sgpr_dispatch_ptr 0
		.amdhsa_user_sgpr_queue_ptr 0
		.amdhsa_user_sgpr_kernarg_segment_ptr 1
		.amdhsa_user_sgpr_dispatch_id 0
		.amdhsa_user_sgpr_kernarg_preload_length 0
		.amdhsa_user_sgpr_kernarg_preload_offset 0
		.amdhsa_user_sgpr_private_segment_size 0
		.amdhsa_uses_dynamic_stack 0
		.amdhsa_enable_private_segment 0
		.amdhsa_system_sgpr_workgroup_id_x 1
		.amdhsa_system_sgpr_workgroup_id_y 0
		.amdhsa_system_sgpr_workgroup_id_z 0
		.amdhsa_system_sgpr_workgroup_info 0
		.amdhsa_system_vgpr_workitem_id 0
		.amdhsa_next_free_vgpr 20
		.amdhsa_next_free_sgpr 11
		.amdhsa_accum_offset 20
		.amdhsa_reserve_vcc 1
		.amdhsa_float_round_mode_32 0
		.amdhsa_float_round_mode_16_64 0
		.amdhsa_float_denorm_mode_32 3
		.amdhsa_float_denorm_mode_16_64 3
		.amdhsa_dx10_clamp 1
		.amdhsa_ieee_mode 1
		.amdhsa_fp16_overflow 0
		.amdhsa_tg_split 0
		.amdhsa_exception_fp_ieee_invalid_op 0
		.amdhsa_exception_fp_denorm_src 0
		.amdhsa_exception_fp_ieee_div_zero 0
		.amdhsa_exception_fp_ieee_overflow 0
		.amdhsa_exception_fp_ieee_underflow 0
		.amdhsa_exception_fp_ieee_inexact 0
		.amdhsa_exception_int_div_zero 0
	.end_amdhsa_kernel
	.section	.text._ZN2at6native29vectorized_elementwise_kernelILi2EZZZNS0_21clamp_max_kernel_cudaERNS_18TensorIteratorBaseERKN3c106ScalarEENKUlvE_clEvENKUlvE4_clEvEUldE_St5arrayIPcLm2EEEEviT0_T1_,"axG",@progbits,_ZN2at6native29vectorized_elementwise_kernelILi2EZZZNS0_21clamp_max_kernel_cudaERNS_18TensorIteratorBaseERKN3c106ScalarEENKUlvE_clEvENKUlvE4_clEvEUldE_St5arrayIPcLm2EEEEviT0_T1_,comdat
.Lfunc_end461:
	.size	_ZN2at6native29vectorized_elementwise_kernelILi2EZZZNS0_21clamp_max_kernel_cudaERNS_18TensorIteratorBaseERKN3c106ScalarEENKUlvE_clEvENKUlvE4_clEvEUldE_St5arrayIPcLm2EEEEviT0_T1_, .Lfunc_end461-_ZN2at6native29vectorized_elementwise_kernelILi2EZZZNS0_21clamp_max_kernel_cudaERNS_18TensorIteratorBaseERKN3c106ScalarEENKUlvE_clEvENKUlvE4_clEvEUldE_St5arrayIPcLm2EEEEviT0_T1_
                                        ; -- End function
	.set _ZN2at6native29vectorized_elementwise_kernelILi2EZZZNS0_21clamp_max_kernel_cudaERNS_18TensorIteratorBaseERKN3c106ScalarEENKUlvE_clEvENKUlvE4_clEvEUldE_St5arrayIPcLm2EEEEviT0_T1_.num_vgpr, 20
	.set _ZN2at6native29vectorized_elementwise_kernelILi2EZZZNS0_21clamp_max_kernel_cudaERNS_18TensorIteratorBaseERKN3c106ScalarEENKUlvE_clEvENKUlvE4_clEvEUldE_St5arrayIPcLm2EEEEviT0_T1_.num_agpr, 0
	.set _ZN2at6native29vectorized_elementwise_kernelILi2EZZZNS0_21clamp_max_kernel_cudaERNS_18TensorIteratorBaseERKN3c106ScalarEENKUlvE_clEvENKUlvE4_clEvEUldE_St5arrayIPcLm2EEEEviT0_T1_.numbered_sgpr, 11
	.set _ZN2at6native29vectorized_elementwise_kernelILi2EZZZNS0_21clamp_max_kernel_cudaERNS_18TensorIteratorBaseERKN3c106ScalarEENKUlvE_clEvENKUlvE4_clEvEUldE_St5arrayIPcLm2EEEEviT0_T1_.num_named_barrier, 0
	.set _ZN2at6native29vectorized_elementwise_kernelILi2EZZZNS0_21clamp_max_kernel_cudaERNS_18TensorIteratorBaseERKN3c106ScalarEENKUlvE_clEvENKUlvE4_clEvEUldE_St5arrayIPcLm2EEEEviT0_T1_.private_seg_size, 0
	.set _ZN2at6native29vectorized_elementwise_kernelILi2EZZZNS0_21clamp_max_kernel_cudaERNS_18TensorIteratorBaseERKN3c106ScalarEENKUlvE_clEvENKUlvE4_clEvEUldE_St5arrayIPcLm2EEEEviT0_T1_.uses_vcc, 1
	.set _ZN2at6native29vectorized_elementwise_kernelILi2EZZZNS0_21clamp_max_kernel_cudaERNS_18TensorIteratorBaseERKN3c106ScalarEENKUlvE_clEvENKUlvE4_clEvEUldE_St5arrayIPcLm2EEEEviT0_T1_.uses_flat_scratch, 0
	.set _ZN2at6native29vectorized_elementwise_kernelILi2EZZZNS0_21clamp_max_kernel_cudaERNS_18TensorIteratorBaseERKN3c106ScalarEENKUlvE_clEvENKUlvE4_clEvEUldE_St5arrayIPcLm2EEEEviT0_T1_.has_dyn_sized_stack, 0
	.set _ZN2at6native29vectorized_elementwise_kernelILi2EZZZNS0_21clamp_max_kernel_cudaERNS_18TensorIteratorBaseERKN3c106ScalarEENKUlvE_clEvENKUlvE4_clEvEUldE_St5arrayIPcLm2EEEEviT0_T1_.has_recursion, 0
	.set _ZN2at6native29vectorized_elementwise_kernelILi2EZZZNS0_21clamp_max_kernel_cudaERNS_18TensorIteratorBaseERKN3c106ScalarEENKUlvE_clEvENKUlvE4_clEvEUldE_St5arrayIPcLm2EEEEviT0_T1_.has_indirect_call, 0
	.section	.AMDGPU.csdata,"",@progbits
; Kernel info:
; codeLenInByte = 1036
; TotalNumSgprs: 17
; NumVgprs: 20
; NumAgprs: 0
; TotalNumVgprs: 20
; ScratchSize: 0
; MemoryBound: 0
; FloatMode: 240
; IeeeMode: 1
; LDSByteSize: 0 bytes/workgroup (compile time only)
; SGPRBlocks: 2
; VGPRBlocks: 2
; NumSGPRsForWavesPerEU: 17
; NumVGPRsForWavesPerEU: 20
; AccumOffset: 20
; Occupancy: 8
; WaveLimiterHint : 1
; COMPUTE_PGM_RSRC2:SCRATCH_EN: 0
; COMPUTE_PGM_RSRC2:USER_SGPR: 2
; COMPUTE_PGM_RSRC2:TRAP_HANDLER: 0
; COMPUTE_PGM_RSRC2:TGID_X_EN: 1
; COMPUTE_PGM_RSRC2:TGID_Y_EN: 0
; COMPUTE_PGM_RSRC2:TGID_Z_EN: 0
; COMPUTE_PGM_RSRC2:TIDIG_COMP_CNT: 0
; COMPUTE_PGM_RSRC3_GFX90A:ACCUM_OFFSET: 4
; COMPUTE_PGM_RSRC3_GFX90A:TG_SPLIT: 0
	.section	.text._ZN2at6native27unrolled_elementwise_kernelIZZZNS0_21clamp_max_kernel_cudaERNS_18TensorIteratorBaseERKN3c106ScalarEENKUlvE_clEvENKUlvE4_clEvEUldE_St5arrayIPcLm2EELi4E23TrivialOffsetCalculatorILi1EjESF_NS0_6memory15LoadWithoutCastENSG_16StoreWithoutCastEEEviT_T0_T2_T3_T4_T5_,"axG",@progbits,_ZN2at6native27unrolled_elementwise_kernelIZZZNS0_21clamp_max_kernel_cudaERNS_18TensorIteratorBaseERKN3c106ScalarEENKUlvE_clEvENKUlvE4_clEvEUldE_St5arrayIPcLm2EELi4E23TrivialOffsetCalculatorILi1EjESF_NS0_6memory15LoadWithoutCastENSG_16StoreWithoutCastEEEviT_T0_T2_T3_T4_T5_,comdat
	.globl	_ZN2at6native27unrolled_elementwise_kernelIZZZNS0_21clamp_max_kernel_cudaERNS_18TensorIteratorBaseERKN3c106ScalarEENKUlvE_clEvENKUlvE4_clEvEUldE_St5arrayIPcLm2EELi4E23TrivialOffsetCalculatorILi1EjESF_NS0_6memory15LoadWithoutCastENSG_16StoreWithoutCastEEEviT_T0_T2_T3_T4_T5_ ; -- Begin function _ZN2at6native27unrolled_elementwise_kernelIZZZNS0_21clamp_max_kernel_cudaERNS_18TensorIteratorBaseERKN3c106ScalarEENKUlvE_clEvENKUlvE4_clEvEUldE_St5arrayIPcLm2EELi4E23TrivialOffsetCalculatorILi1EjESF_NS0_6memory15LoadWithoutCastENSG_16StoreWithoutCastEEEviT_T0_T2_T3_T4_T5_
	.p2align	8
	.type	_ZN2at6native27unrolled_elementwise_kernelIZZZNS0_21clamp_max_kernel_cudaERNS_18TensorIteratorBaseERKN3c106ScalarEENKUlvE_clEvENKUlvE4_clEvEUldE_St5arrayIPcLm2EELi4E23TrivialOffsetCalculatorILi1EjESF_NS0_6memory15LoadWithoutCastENSG_16StoreWithoutCastEEEviT_T0_T2_T3_T4_T5_,@function
_ZN2at6native27unrolled_elementwise_kernelIZZZNS0_21clamp_max_kernel_cudaERNS_18TensorIteratorBaseERKN3c106ScalarEENKUlvE_clEvENKUlvE4_clEvEUldE_St5arrayIPcLm2EELi4E23TrivialOffsetCalculatorILi1EjESF_NS0_6memory15LoadWithoutCastENSG_16StoreWithoutCastEEEviT_T0_T2_T3_T4_T5_: ; @_ZN2at6native27unrolled_elementwise_kernelIZZZNS0_21clamp_max_kernel_cudaERNS_18TensorIteratorBaseERKN3c106ScalarEENKUlvE_clEvENKUlvE4_clEvEUldE_St5arrayIPcLm2EELi4E23TrivialOffsetCalculatorILi1EjESF_NS0_6memory15LoadWithoutCastENSG_16StoreWithoutCastEEEviT_T0_T2_T3_T4_T5_
; %bb.0:
	s_load_dword s3, s[0:1], 0x0
	s_load_dwordx2 s[8:9], s[0:1], 0x18
	s_lshl_b32 s10, s2, 10
	v_mov_b64_e32 v[4:5], 0
	v_or_b32_e32 v2, s10, v0
	s_waitcnt lgkmcnt(0)
	s_sub_i32 s11, s3, s10
	v_cmp_gt_i32_e32 vcc, s11, v0
	v_mov_b64_e32 v[6:7], 0
	v_mov_b32_e32 v1, v0
	s_and_saveexec_b64 s[2:3], vcc
	s_cbranch_execz .LBB462_2
; %bb.1:
	v_mov_b32_e32 v3, 0
	v_lshl_add_u64 v[6:7], v[2:3], 3, s[8:9]
	global_load_dwordx2 v[6:7], v[6:7], off
	v_or_b32_e32 v1, 0x100, v0
.LBB462_2:
	s_or_b64 exec, exec, s[2:3]
	s_load_dwordx4 s[4:7], s[0:1], 0x8
	v_cmp_gt_i32_e64 s[0:1], s11, v1
	s_and_saveexec_b64 s[2:3], s[0:1]
	s_cbranch_execz .LBB462_4
; %bb.3:
	v_add_u32_e32 v4, s10, v1
	v_mov_b32_e32 v5, 0
	v_lshl_add_u64 v[4:5], v[4:5], 3, s[8:9]
	global_load_dwordx2 v[4:5], v[4:5], off
	v_add_u32_e32 v1, 0x100, v1
.LBB462_4:
	s_or_b64 exec, exec, s[2:3]
	v_cmp_gt_i32_e64 s[0:1], s11, v1
	v_mov_b64_e32 v[8:9], 0
	v_mov_b64_e32 v[10:11], 0
	s_and_saveexec_b64 s[2:3], s[0:1]
	s_cbranch_execz .LBB462_6
; %bb.5:
	v_add_u32_e32 v10, s10, v1
	v_mov_b32_e32 v11, 0
	v_lshl_add_u64 v[10:11], v[10:11], 3, s[8:9]
	global_load_dwordx2 v[10:11], v[10:11], off
	v_add_u32_e32 v1, 0x100, v1
.LBB462_6:
	s_or_b64 exec, exec, s[2:3]
	v_cmp_gt_i32_e64 s[0:1], s11, v1
	s_and_saveexec_b64 s[2:3], s[0:1]
	s_cbranch_execz .LBB462_8
; %bb.7:
	v_add_u32_e32 v8, s10, v1
	v_mov_b32_e32 v9, 0
	v_lshl_add_u64 v[8:9], v[8:9], 3, s[8:9]
	global_load_dwordx2 v[8:9], v[8:9], off
.LBB462_8:
	s_or_b64 exec, exec, s[2:3]
	s_waitcnt lgkmcnt(0)
	v_max_f64 v[16:17], s[4:5], s[4:5]
	s_waitcnt vmcnt(0)
	v_max_f64 v[12:13], v[6:7], v[6:7]
	v_min_f64 v[12:13], v[12:13], v[16:17]
	v_cmp_u_f64_e64 s[0:1], v[6:7], v[6:7]
	s_nop 1
	v_cndmask_b32_e64 v1, v12, v6, s[0:1]
	v_cndmask_b32_e64 v3, v13, v7, s[0:1]
	v_max_f64 v[6:7], v[4:5], v[4:5]
	v_cndmask_b32_e32 v14, 0, v1, vcc
	v_or_b32_e32 v1, 0x100, v0
	v_min_f64 v[6:7], v[6:7], v[16:17]
	v_cmp_u_f64_e64 s[0:1], v[4:5], v[4:5]
	v_cndmask_b32_e32 v15, 0, v3, vcc
	s_nop 0
	v_cndmask_b32_e64 v3, v6, v4, s[0:1]
	v_cndmask_b32_e64 v4, v7, v5, s[0:1]
	v_cmp_gt_i32_e64 s[0:1], s11, v1
	s_nop 1
	v_cndmask_b32_e64 v13, 0, v4, s[0:1]
	v_max_f64 v[4:5], v[10:11], v[10:11]
	v_cndmask_b32_e64 v12, 0, v3, s[0:1]
	v_or_b32_e32 v3, 0x200, v0
	v_min_f64 v[4:5], v[4:5], v[16:17]
	v_cmp_u_f64_e64 s[0:1], v[10:11], v[10:11]
	s_nop 1
	v_cndmask_b32_e64 v4, v4, v10, s[0:1]
	v_cndmask_b32_e64 v5, v5, v11, s[0:1]
	v_cmp_gt_i32_e64 s[0:1], s11, v3
	v_or_b32_e32 v3, 0x300, v0
	s_nop 0
	v_cndmask_b32_e64 v7, 0, v5, s[0:1]
	v_cndmask_b32_e64 v6, 0, v4, s[0:1]
	v_max_f64 v[4:5], v[8:9], v[8:9]
	v_min_f64 v[4:5], v[4:5], v[16:17]
	v_cmp_u_f64_e64 s[0:1], v[8:9], v[8:9]
	s_nop 1
	v_cndmask_b32_e64 v4, v4, v8, s[0:1]
	v_cndmask_b32_e64 v5, v5, v9, s[0:1]
	v_cmp_gt_i32_e64 s[0:1], s11, v3
	s_nop 1
	v_cndmask_b32_e64 v5, 0, v5, s[0:1]
	v_cndmask_b32_e64 v4, 0, v4, s[0:1]
	s_and_saveexec_b64 s[0:1], vcc
	s_cbranch_execnz .LBB462_13
; %bb.9:
	s_or_b64 exec, exec, s[0:1]
	v_cmp_gt_i32_e32 vcc, s11, v0
	s_and_saveexec_b64 s[0:1], vcc
	s_cbranch_execnz .LBB462_14
.LBB462_10:
	s_or_b64 exec, exec, s[0:1]
	v_cmp_gt_i32_e32 vcc, s11, v0
	s_and_saveexec_b64 s[0:1], vcc
	s_cbranch_execnz .LBB462_15
.LBB462_11:
	s_or_b64 exec, exec, s[0:1]
	v_cmp_gt_i32_e32 vcc, s11, v0
	s_and_saveexec_b64 s[0:1], vcc
	s_cbranch_execnz .LBB462_16
.LBB462_12:
	s_endpgm
.LBB462_13:
	v_mov_b32_e32 v3, 0
	v_lshl_add_u64 v[2:3], v[2:3], 3, s[6:7]
	v_mov_b32_e32 v0, v1
	global_store_dwordx2 v[2:3], v[14:15], off
	s_or_b64 exec, exec, s[0:1]
	v_cmp_gt_i32_e32 vcc, s11, v0
	s_and_saveexec_b64 s[0:1], vcc
	s_cbranch_execz .LBB462_10
.LBB462_14:
	v_add_u32_e32 v2, 0x100, v0
	v_add_u32_e32 v0, s10, v0
	v_mov_b32_e32 v1, 0
	v_lshl_add_u64 v[0:1], v[0:1], 3, s[6:7]
	global_store_dwordx2 v[0:1], v[12:13], off
	v_mov_b32_e32 v0, v2
	s_or_b64 exec, exec, s[0:1]
	v_cmp_gt_i32_e32 vcc, s11, v0
	s_and_saveexec_b64 s[0:1], vcc
	s_cbranch_execz .LBB462_11
.LBB462_15:
	v_add_u32_e32 v2, 0x100, v0
	v_add_u32_e32 v0, s10, v0
	v_mov_b32_e32 v1, 0
	v_lshl_add_u64 v[0:1], v[0:1], 3, s[6:7]
	global_store_dwordx2 v[0:1], v[6:7], off
	v_mov_b32_e32 v0, v2
	s_or_b64 exec, exec, s[0:1]
	v_cmp_gt_i32_e32 vcc, s11, v0
	s_and_saveexec_b64 s[0:1], vcc
	s_cbranch_execz .LBB462_12
.LBB462_16:
	v_add_u32_e32 v0, s10, v0
	v_mov_b32_e32 v1, 0
	v_lshl_add_u64 v[0:1], v[0:1], 3, s[6:7]
	global_store_dwordx2 v[0:1], v[4:5], off
	s_endpgm
	.section	.rodata,"a",@progbits
	.p2align	6, 0x0
	.amdhsa_kernel _ZN2at6native27unrolled_elementwise_kernelIZZZNS0_21clamp_max_kernel_cudaERNS_18TensorIteratorBaseERKN3c106ScalarEENKUlvE_clEvENKUlvE4_clEvEUldE_St5arrayIPcLm2EELi4E23TrivialOffsetCalculatorILi1EjESF_NS0_6memory15LoadWithoutCastENSG_16StoreWithoutCastEEEviT_T0_T2_T3_T4_T5_
		.amdhsa_group_segment_fixed_size 0
		.amdhsa_private_segment_fixed_size 0
		.amdhsa_kernarg_size 36
		.amdhsa_user_sgpr_count 2
		.amdhsa_user_sgpr_dispatch_ptr 0
		.amdhsa_user_sgpr_queue_ptr 0
		.amdhsa_user_sgpr_kernarg_segment_ptr 1
		.amdhsa_user_sgpr_dispatch_id 0
		.amdhsa_user_sgpr_kernarg_preload_length 0
		.amdhsa_user_sgpr_kernarg_preload_offset 0
		.amdhsa_user_sgpr_private_segment_size 0
		.amdhsa_uses_dynamic_stack 0
		.amdhsa_enable_private_segment 0
		.amdhsa_system_sgpr_workgroup_id_x 1
		.amdhsa_system_sgpr_workgroup_id_y 0
		.amdhsa_system_sgpr_workgroup_id_z 0
		.amdhsa_system_sgpr_workgroup_info 0
		.amdhsa_system_vgpr_workitem_id 0
		.amdhsa_next_free_vgpr 18
		.amdhsa_next_free_sgpr 12
		.amdhsa_accum_offset 20
		.amdhsa_reserve_vcc 1
		.amdhsa_float_round_mode_32 0
		.amdhsa_float_round_mode_16_64 0
		.amdhsa_float_denorm_mode_32 3
		.amdhsa_float_denorm_mode_16_64 3
		.amdhsa_dx10_clamp 1
		.amdhsa_ieee_mode 1
		.amdhsa_fp16_overflow 0
		.amdhsa_tg_split 0
		.amdhsa_exception_fp_ieee_invalid_op 0
		.amdhsa_exception_fp_denorm_src 0
		.amdhsa_exception_fp_ieee_div_zero 0
		.amdhsa_exception_fp_ieee_overflow 0
		.amdhsa_exception_fp_ieee_underflow 0
		.amdhsa_exception_fp_ieee_inexact 0
		.amdhsa_exception_int_div_zero 0
	.end_amdhsa_kernel
	.section	.text._ZN2at6native27unrolled_elementwise_kernelIZZZNS0_21clamp_max_kernel_cudaERNS_18TensorIteratorBaseERKN3c106ScalarEENKUlvE_clEvENKUlvE4_clEvEUldE_St5arrayIPcLm2EELi4E23TrivialOffsetCalculatorILi1EjESF_NS0_6memory15LoadWithoutCastENSG_16StoreWithoutCastEEEviT_T0_T2_T3_T4_T5_,"axG",@progbits,_ZN2at6native27unrolled_elementwise_kernelIZZZNS0_21clamp_max_kernel_cudaERNS_18TensorIteratorBaseERKN3c106ScalarEENKUlvE_clEvENKUlvE4_clEvEUldE_St5arrayIPcLm2EELi4E23TrivialOffsetCalculatorILi1EjESF_NS0_6memory15LoadWithoutCastENSG_16StoreWithoutCastEEEviT_T0_T2_T3_T4_T5_,comdat
.Lfunc_end462:
	.size	_ZN2at6native27unrolled_elementwise_kernelIZZZNS0_21clamp_max_kernel_cudaERNS_18TensorIteratorBaseERKN3c106ScalarEENKUlvE_clEvENKUlvE4_clEvEUldE_St5arrayIPcLm2EELi4E23TrivialOffsetCalculatorILi1EjESF_NS0_6memory15LoadWithoutCastENSG_16StoreWithoutCastEEEviT_T0_T2_T3_T4_T5_, .Lfunc_end462-_ZN2at6native27unrolled_elementwise_kernelIZZZNS0_21clamp_max_kernel_cudaERNS_18TensorIteratorBaseERKN3c106ScalarEENKUlvE_clEvENKUlvE4_clEvEUldE_St5arrayIPcLm2EELi4E23TrivialOffsetCalculatorILi1EjESF_NS0_6memory15LoadWithoutCastENSG_16StoreWithoutCastEEEviT_T0_T2_T3_T4_T5_
                                        ; -- End function
	.set _ZN2at6native27unrolled_elementwise_kernelIZZZNS0_21clamp_max_kernel_cudaERNS_18TensorIteratorBaseERKN3c106ScalarEENKUlvE_clEvENKUlvE4_clEvEUldE_St5arrayIPcLm2EELi4E23TrivialOffsetCalculatorILi1EjESF_NS0_6memory15LoadWithoutCastENSG_16StoreWithoutCastEEEviT_T0_T2_T3_T4_T5_.num_vgpr, 18
	.set _ZN2at6native27unrolled_elementwise_kernelIZZZNS0_21clamp_max_kernel_cudaERNS_18TensorIteratorBaseERKN3c106ScalarEENKUlvE_clEvENKUlvE4_clEvEUldE_St5arrayIPcLm2EELi4E23TrivialOffsetCalculatorILi1EjESF_NS0_6memory15LoadWithoutCastENSG_16StoreWithoutCastEEEviT_T0_T2_T3_T4_T5_.num_agpr, 0
	.set _ZN2at6native27unrolled_elementwise_kernelIZZZNS0_21clamp_max_kernel_cudaERNS_18TensorIteratorBaseERKN3c106ScalarEENKUlvE_clEvENKUlvE4_clEvEUldE_St5arrayIPcLm2EELi4E23TrivialOffsetCalculatorILi1EjESF_NS0_6memory15LoadWithoutCastENSG_16StoreWithoutCastEEEviT_T0_T2_T3_T4_T5_.numbered_sgpr, 12
	.set _ZN2at6native27unrolled_elementwise_kernelIZZZNS0_21clamp_max_kernel_cudaERNS_18TensorIteratorBaseERKN3c106ScalarEENKUlvE_clEvENKUlvE4_clEvEUldE_St5arrayIPcLm2EELi4E23TrivialOffsetCalculatorILi1EjESF_NS0_6memory15LoadWithoutCastENSG_16StoreWithoutCastEEEviT_T0_T2_T3_T4_T5_.num_named_barrier, 0
	.set _ZN2at6native27unrolled_elementwise_kernelIZZZNS0_21clamp_max_kernel_cudaERNS_18TensorIteratorBaseERKN3c106ScalarEENKUlvE_clEvENKUlvE4_clEvEUldE_St5arrayIPcLm2EELi4E23TrivialOffsetCalculatorILi1EjESF_NS0_6memory15LoadWithoutCastENSG_16StoreWithoutCastEEEviT_T0_T2_T3_T4_T5_.private_seg_size, 0
	.set _ZN2at6native27unrolled_elementwise_kernelIZZZNS0_21clamp_max_kernel_cudaERNS_18TensorIteratorBaseERKN3c106ScalarEENKUlvE_clEvENKUlvE4_clEvEUldE_St5arrayIPcLm2EELi4E23TrivialOffsetCalculatorILi1EjESF_NS0_6memory15LoadWithoutCastENSG_16StoreWithoutCastEEEviT_T0_T2_T3_T4_T5_.uses_vcc, 1
	.set _ZN2at6native27unrolled_elementwise_kernelIZZZNS0_21clamp_max_kernel_cudaERNS_18TensorIteratorBaseERKN3c106ScalarEENKUlvE_clEvENKUlvE4_clEvEUldE_St5arrayIPcLm2EELi4E23TrivialOffsetCalculatorILi1EjESF_NS0_6memory15LoadWithoutCastENSG_16StoreWithoutCastEEEviT_T0_T2_T3_T4_T5_.uses_flat_scratch, 0
	.set _ZN2at6native27unrolled_elementwise_kernelIZZZNS0_21clamp_max_kernel_cudaERNS_18TensorIteratorBaseERKN3c106ScalarEENKUlvE_clEvENKUlvE4_clEvEUldE_St5arrayIPcLm2EELi4E23TrivialOffsetCalculatorILi1EjESF_NS0_6memory15LoadWithoutCastENSG_16StoreWithoutCastEEEviT_T0_T2_T3_T4_T5_.has_dyn_sized_stack, 0
	.set _ZN2at6native27unrolled_elementwise_kernelIZZZNS0_21clamp_max_kernel_cudaERNS_18TensorIteratorBaseERKN3c106ScalarEENKUlvE_clEvENKUlvE4_clEvEUldE_St5arrayIPcLm2EELi4E23TrivialOffsetCalculatorILi1EjESF_NS0_6memory15LoadWithoutCastENSG_16StoreWithoutCastEEEviT_T0_T2_T3_T4_T5_.has_recursion, 0
	.set _ZN2at6native27unrolled_elementwise_kernelIZZZNS0_21clamp_max_kernel_cudaERNS_18TensorIteratorBaseERKN3c106ScalarEENKUlvE_clEvENKUlvE4_clEvEUldE_St5arrayIPcLm2EELi4E23TrivialOffsetCalculatorILi1EjESF_NS0_6memory15LoadWithoutCastENSG_16StoreWithoutCastEEEviT_T0_T2_T3_T4_T5_.has_indirect_call, 0
	.section	.AMDGPU.csdata,"",@progbits
; Kernel info:
; codeLenInByte = 792
; TotalNumSgprs: 18
; NumVgprs: 18
; NumAgprs: 0
; TotalNumVgprs: 18
; ScratchSize: 0
; MemoryBound: 0
; FloatMode: 240
; IeeeMode: 1
; LDSByteSize: 0 bytes/workgroup (compile time only)
; SGPRBlocks: 2
; VGPRBlocks: 2
; NumSGPRsForWavesPerEU: 18
; NumVGPRsForWavesPerEU: 18
; AccumOffset: 20
; Occupancy: 8
; WaveLimiterHint : 0
; COMPUTE_PGM_RSRC2:SCRATCH_EN: 0
; COMPUTE_PGM_RSRC2:USER_SGPR: 2
; COMPUTE_PGM_RSRC2:TRAP_HANDLER: 0
; COMPUTE_PGM_RSRC2:TGID_X_EN: 1
; COMPUTE_PGM_RSRC2:TGID_Y_EN: 0
; COMPUTE_PGM_RSRC2:TGID_Z_EN: 0
; COMPUTE_PGM_RSRC2:TIDIG_COMP_CNT: 0
; COMPUTE_PGM_RSRC3_GFX90A:ACCUM_OFFSET: 4
; COMPUTE_PGM_RSRC3_GFX90A:TG_SPLIT: 0
	.section	.text._ZN2at6native32elementwise_kernel_manual_unrollILi128ELi4EZNS0_22gpu_kernel_impl_nocastIZZZNS0_21clamp_max_kernel_cudaERNS_18TensorIteratorBaseERKN3c106ScalarEENKUlvE_clEvENKUlvE4_clEvEUldE_EEvS4_RKT_EUlibE_EEviT1_,"axG",@progbits,_ZN2at6native32elementwise_kernel_manual_unrollILi128ELi4EZNS0_22gpu_kernel_impl_nocastIZZZNS0_21clamp_max_kernel_cudaERNS_18TensorIteratorBaseERKN3c106ScalarEENKUlvE_clEvENKUlvE4_clEvEUldE_EEvS4_RKT_EUlibE_EEviT1_,comdat
	.globl	_ZN2at6native32elementwise_kernel_manual_unrollILi128ELi4EZNS0_22gpu_kernel_impl_nocastIZZZNS0_21clamp_max_kernel_cudaERNS_18TensorIteratorBaseERKN3c106ScalarEENKUlvE_clEvENKUlvE4_clEvEUldE_EEvS4_RKT_EUlibE_EEviT1_ ; -- Begin function _ZN2at6native32elementwise_kernel_manual_unrollILi128ELi4EZNS0_22gpu_kernel_impl_nocastIZZZNS0_21clamp_max_kernel_cudaERNS_18TensorIteratorBaseERKN3c106ScalarEENKUlvE_clEvENKUlvE4_clEvEUldE_EEvS4_RKT_EUlibE_EEviT1_
	.p2align	8
	.type	_ZN2at6native32elementwise_kernel_manual_unrollILi128ELi4EZNS0_22gpu_kernel_impl_nocastIZZZNS0_21clamp_max_kernel_cudaERNS_18TensorIteratorBaseERKN3c106ScalarEENKUlvE_clEvENKUlvE4_clEvEUldE_EEvS4_RKT_EUlibE_EEviT1_,@function
_ZN2at6native32elementwise_kernel_manual_unrollILi128ELi4EZNS0_22gpu_kernel_impl_nocastIZZZNS0_21clamp_max_kernel_cudaERNS_18TensorIteratorBaseERKN3c106ScalarEENKUlvE_clEvENKUlvE4_clEvEUldE_EEvS4_RKT_EUlibE_EEviT1_: ; @_ZN2at6native32elementwise_kernel_manual_unrollILi128ELi4EZNS0_22gpu_kernel_impl_nocastIZZZNS0_21clamp_max_kernel_cudaERNS_18TensorIteratorBaseERKN3c106ScalarEENKUlvE_clEvENKUlvE4_clEvEUldE_EEvS4_RKT_EUlibE_EEviT1_
; %bb.0:
	s_load_dword s57, s[0:1], 0x0
	s_load_dword s33, s[0:1], 0x8
	s_add_u32 s34, s0, 8
	s_addc_u32 s35, s1, 0
	v_lshl_or_b32 v8, s2, 9, v0
	v_or_b32_e32 v16, 0x180, v8
	s_waitcnt lgkmcnt(0)
	s_add_i32 s56, s33, -1
	s_cmp_gt_u32 s56, 1
	v_cmp_le_i32_e32 vcc, s57, v16
	s_cselect_b64 s[36:37], -1, 0
	s_and_saveexec_b64 s[0:1], vcc
	s_xor_b64 s[38:39], exec, s[0:1]
	s_cbranch_execz .LBB463_8
; %bb.1:
	s_load_dwordx4 s[20:23], s[34:35], 0x4
	s_load_dwordx2 s[42:43], s[34:35], 0x14
	s_load_dwordx2 s[40:41], s[34:35], 0x158
	s_load_dwordx4 s[24:27], s[34:35], 0xc4
	s_load_dwordx4 s[16:19], s[34:35], 0x148
	s_cmp_lg_u32 s33, 0
	s_cselect_b64 s[48:49], -1, 0
	s_add_u32 s46, s34, 0xc4
	s_addc_u32 s47, s35, 0
	s_min_u32 s58, s56, 15
	s_cmp_gt_u32 s33, 1
	s_cselect_b64 s[44:45], -1, 0
	v_cmp_gt_i32_e32 vcc, s57, v8
	s_and_saveexec_b64 s[50:51], vcc
	s_cbranch_execz .LBB463_15
; %bb.2:
	s_andn2_b64 vcc, exec, s[36:37]
	s_cbranch_vccnz .LBB463_23
; %bb.3:
	s_andn2_b64 vcc, exec, s[48:49]
	s_cbranch_vccnz .LBB463_75
; %bb.4:
	s_add_i32 s60, s58, 1
	s_cmp_eq_u32 s56, 2
	s_cbranch_scc1 .LBB463_77
; %bb.5:
	s_and_b32 s59, s60, 28
	s_mov_b32 s61, 0
	v_mov_b32_e32 v0, 0
	v_mov_b32_e32 v2, 0
	s_mov_b64 s[52:53], s[34:35]
	s_mov_b64 s[54:55], s[46:47]
	v_mov_b32_e32 v4, v8
.LBB463_6:                              ; =>This Inner Loop Header: Depth=1
	s_load_dwordx8 s[8:15], s[52:53], 0x4
	s_load_dwordx4 s[28:31], s[52:53], 0x24
	s_load_dwordx8 s[0:7], s[54:55], 0x0
	s_add_u32 s52, s52, 48
	s_addc_u32 s53, s53, 0
	s_waitcnt lgkmcnt(0)
	v_mul_hi_u32 v1, s9, v4
	v_add_u32_e32 v1, v4, v1
	v_lshrrev_b32_e32 v1, s10, v1
	v_mul_lo_u32 v3, v1, s8
	v_mul_hi_u32 v5, s12, v1
	v_sub_u32_e32 v3, v4, v3
	v_add_u32_e32 v4, v1, v5
	v_lshrrev_b32_e32 v4, s13, v4
	v_mul_lo_u32 v6, v4, s11
	v_mul_hi_u32 v7, s15, v4
	v_sub_u32_e32 v1, v1, v6
	v_add_u32_e32 v6, v4, v7
	v_mul_lo_u32 v5, v3, s1
	v_mul_lo_u32 v3, v3, s0
	;; [unrolled: 1-line block ×4, first 2 shown]
	v_lshrrev_b32_e32 v6, s28, v6
	v_add3_u32 v0, v3, v0, v1
	v_mul_hi_u32 v3, s30, v6
	v_add3_u32 v1, v5, v2, v7
	v_mul_lo_u32 v2, v6, s14
	v_add_u32_e32 v3, v6, v3
	v_sub_u32_e32 v2, v4, v2
	v_lshrrev_b32_e32 v4, s31, v3
	s_add_i32 s61, s61, 4
	v_mul_lo_u32 v3, v4, s29
	s_add_u32 s54, s54, 32
	v_sub_u32_e32 v3, v6, v3
	s_addc_u32 s55, s55, 0
	v_mul_lo_u32 v5, v2, s4
	v_mul_lo_u32 v2, v2, s5
	;; [unrolled: 1-line block ×4, first 2 shown]
	s_cmp_lg_u32 s59, s61
	v_add3_u32 v2, v2, v1, v3
	v_add3_u32 v0, v5, v0, v6
	s_cbranch_scc1 .LBB463_6
; %bb.7:
	v_mov_b32_e32 v1, v2
	s_branch .LBB463_78
.LBB463_8:
	s_andn2_saveexec_b64 s[0:1], s[38:39]
	s_cbranch_execz .LBB463_104
.LBB463_9:
	v_cndmask_b32_e64 v0, 0, 1, s[36:37]
	v_cmp_ne_u32_e64 s[0:1], 1, v0
	s_andn2_b64 vcc, exec, s[36:37]
	s_cbranch_vccnz .LBB463_22
; %bb.10:
	s_cmp_lg_u32 s33, 0
	s_waitcnt lgkmcnt(0)
	s_mov_b32 s26, 0
	s_cbranch_scc0 .LBB463_25
; %bb.11:
	s_min_u32 s27, s56, 15
	s_add_i32 s27, s27, 1
	s_cmp_eq_u32 s56, 2
	s_cbranch_scc1 .LBB463_26
; %bb.12:
	s_and_b32 s26, s27, 28
	s_add_u32 s2, s34, 0xc4
	s_addc_u32 s3, s35, 0
	s_mov_b32 s28, 0
	v_mov_b32_e32 v0, 0
	v_mov_b32_e32 v2, 0
	s_mov_b64 s[24:25], s[34:35]
	v_mov_b32_e32 v4, v8
.LBB463_13:                             ; =>This Inner Loop Header: Depth=1
	s_load_dwordx8 s[12:19], s[24:25], 0x4
	s_load_dwordx4 s[20:23], s[24:25], 0x24
	s_load_dwordx8 s[4:11], s[2:3], 0x0
	s_add_u32 s24, s24, 48
	s_addc_u32 s25, s25, 0
	s_waitcnt lgkmcnt(0)
	v_mul_hi_u32 v1, s13, v4
	v_add_u32_e32 v1, v4, v1
	v_lshrrev_b32_e32 v1, s14, v1
	v_mul_lo_u32 v3, v1, s12
	v_mul_hi_u32 v5, s16, v1
	v_sub_u32_e32 v3, v4, v3
	v_add_u32_e32 v4, v1, v5
	v_lshrrev_b32_e32 v4, s17, v4
	v_mul_lo_u32 v6, v4, s15
	v_mul_hi_u32 v7, s19, v4
	v_sub_u32_e32 v1, v1, v6
	v_add_u32_e32 v6, v4, v7
	v_mul_lo_u32 v5, v3, s5
	v_mul_lo_u32 v3, v3, s4
	;; [unrolled: 1-line block ×4, first 2 shown]
	v_lshrrev_b32_e32 v6, s20, v6
	v_add3_u32 v0, v3, v0, v1
	v_mul_hi_u32 v3, s22, v6
	v_add3_u32 v1, v5, v2, v7
	v_mul_lo_u32 v2, v6, s18
	v_add_u32_e32 v3, v6, v3
	v_sub_u32_e32 v2, v4, v2
	v_lshrrev_b32_e32 v4, s23, v3
	s_add_i32 s28, s28, 4
	v_mul_lo_u32 v3, v4, s21
	s_add_u32 s2, s2, 32
	v_sub_u32_e32 v3, v6, v3
	s_addc_u32 s3, s3, 0
	v_mul_lo_u32 v5, v2, s8
	v_mul_lo_u32 v2, v2, s9
	;; [unrolled: 1-line block ×4, first 2 shown]
	s_cmp_lg_u32 s26, s28
	v_add3_u32 v2, v2, v1, v3
	v_add3_u32 v0, v5, v0, v6
	s_cbranch_scc1 .LBB463_13
; %bb.14:
	v_mov_b32_e32 v1, v2
	s_and_b32 s6, s27, 3
	s_cmp_eq_u32 s6, 0
	s_cbranch_scc0 .LBB463_27
	s_branch .LBB463_29
.LBB463_15:
	s_or_b64 exec, exec, s[50:51]
	v_cmp_gt_i32_e32 vcc, s57, v8
	s_and_saveexec_b64 s[50:51], vcc
	s_cbranch_execz .LBB463_85
.LBB463_16:
	s_andn2_b64 vcc, exec, s[36:37]
	s_cbranch_vccnz .LBB463_24
; %bb.17:
	s_andn2_b64 vcc, exec, s[48:49]
	s_cbranch_vccnz .LBB463_76
; %bb.18:
	s_add_i32 s60, s58, 1
	s_cmp_eq_u32 s56, 2
	s_cbranch_scc1 .LBB463_94
; %bb.19:
	s_and_b32 s59, s60, 28
	s_mov_b32 s61, 0
	v_mov_b32_e32 v0, 0
	v_mov_b32_e32 v2, 0
	s_mov_b64 s[52:53], s[34:35]
	s_mov_b64 s[54:55], s[46:47]
	v_mov_b32_e32 v4, v8
.LBB463_20:                             ; =>This Inner Loop Header: Depth=1
	s_load_dwordx8 s[8:15], s[52:53], 0x4
	s_load_dwordx4 s[28:31], s[52:53], 0x24
	s_load_dwordx8 s[0:7], s[54:55], 0x0
	s_add_u32 s52, s52, 48
	s_addc_u32 s53, s53, 0
	s_waitcnt lgkmcnt(0)
	v_mul_hi_u32 v1, s9, v4
	v_add_u32_e32 v1, v4, v1
	v_lshrrev_b32_e32 v1, s10, v1
	v_mul_lo_u32 v3, v1, s8
	v_mul_hi_u32 v5, s12, v1
	v_sub_u32_e32 v3, v4, v3
	v_add_u32_e32 v4, v1, v5
	v_lshrrev_b32_e32 v4, s13, v4
	v_mul_lo_u32 v6, v4, s11
	v_mul_hi_u32 v7, s15, v4
	v_sub_u32_e32 v1, v1, v6
	v_add_u32_e32 v6, v4, v7
	v_mul_lo_u32 v5, v3, s1
	v_mul_lo_u32 v3, v3, s0
	;; [unrolled: 1-line block ×4, first 2 shown]
	v_lshrrev_b32_e32 v6, s28, v6
	v_add3_u32 v0, v3, v0, v1
	v_mul_hi_u32 v3, s30, v6
	v_add3_u32 v1, v5, v2, v7
	v_mul_lo_u32 v2, v6, s14
	v_add_u32_e32 v3, v6, v3
	v_sub_u32_e32 v2, v4, v2
	v_lshrrev_b32_e32 v4, s31, v3
	s_add_i32 s61, s61, 4
	v_mul_lo_u32 v3, v4, s29
	s_add_u32 s54, s54, 32
	v_sub_u32_e32 v3, v6, v3
	s_addc_u32 s55, s55, 0
	v_mul_lo_u32 v5, v2, s4
	v_mul_lo_u32 v2, v2, s5
	;; [unrolled: 1-line block ×4, first 2 shown]
	s_cmp_eq_u32 s59, s61
	v_add3_u32 v2, v2, v1, v3
	v_add3_u32 v0, v5, v0, v6
	s_cbranch_scc0 .LBB463_20
; %bb.21:
	v_mov_b32_e32 v1, v2
	s_branch .LBB463_95
.LBB463_22:
                                        ; implicit-def: $vgpr2
                                        ; implicit-def: $vgpr0
	s_branch .LBB463_30
.LBB463_23:
                                        ; implicit-def: $vgpr2
                                        ; implicit-def: $vgpr0
	s_branch .LBB463_82
.LBB463_24:
                                        ; implicit-def: $vgpr2
                                        ; implicit-def: $vgpr0
	s_branch .LBB463_99
.LBB463_25:
	v_mov_b32_e32 v2, 0
	v_mov_b32_e32 v0, 0
	s_branch .LBB463_29
.LBB463_26:
	v_mov_b32_e32 v0, 0
                                        ; implicit-def: $vgpr2
	v_mov_b32_e32 v1, v0
	v_mov_b32_e32 v4, v8
	s_and_b32 s6, s27, 3
	s_cmp_eq_u32 s6, 0
	s_cbranch_scc1 .LBB463_29
.LBB463_27:
	s_lshl_b32 s2, s26, 3
	s_add_u32 s2, s34, s2
	s_addc_u32 s3, s35, 0
	s_add_u32 s2, s2, 0xc4
	s_addc_u32 s3, s3, 0
	s_mul_i32 s4, s26, 12
	s_add_u32 s4, s34, s4
	s_addc_u32 s5, s35, 0
.LBB463_28:                             ; =>This Inner Loop Header: Depth=1
	s_load_dwordx2 s[8:9], s[4:5], 0x4
	s_load_dword s7, s[4:5], 0xc
	s_load_dwordx2 s[10:11], s[2:3], 0x0
	v_mov_b32_e32 v2, v1
	s_add_u32 s4, s4, 12
	s_waitcnt lgkmcnt(0)
	v_mul_hi_u32 v1, s9, v4
	v_add_u32_e32 v1, v4, v1
	v_lshrrev_b32_e32 v1, s7, v1
	s_addc_u32 s5, s5, 0
	v_mul_lo_u32 v3, v1, s8
	s_add_u32 s2, s2, 8
	v_sub_u32_e32 v5, v4, v3
	s_addc_u32 s3, s3, 0
	s_add_i32 s6, s6, -1
	v_mov_b32_e32 v4, v1
	v_mad_u64_u32 v[2:3], s[8:9], v5, s11, v[2:3]
	v_mad_u64_u32 v[0:1], s[8:9], v5, s10, v[0:1]
	s_cmp_lg_u32 s6, 0
	v_mov_b32_e32 v1, v2
	s_cbranch_scc1 .LBB463_28
.LBB463_29:
	s_cbranch_execnz .LBB463_32
.LBB463_30:
	s_load_dwordx4 s[4:7], s[34:35], 0x4
	s_load_dwordx2 s[2:3], s[34:35], 0xc4
	s_cmp_lt_u32 s33, 2
	s_waitcnt lgkmcnt(0)
	v_mul_hi_u32 v0, s5, v8
	v_add_u32_e32 v0, v8, v0
	v_lshrrev_b32_e32 v1, s6, v0
	v_mul_lo_u32 v0, v1, s4
	v_sub_u32_e32 v0, v8, v0
	v_mul_lo_u32 v2, v0, s3
	v_mul_lo_u32 v0, v0, s2
	s_cbranch_scc1 .LBB463_32
; %bb.31:
	s_load_dwordx4 s[4:7], s[34:35], 0x10
	s_load_dwordx2 s[2:3], s[34:35], 0xcc
	s_waitcnt lgkmcnt(0)
	v_mul_hi_u32 v3, s5, v1
	v_add_u32_e32 v3, v1, v3
	v_lshrrev_b32_e32 v3, s6, v3
	v_mul_lo_u32 v3, v3, s4
	v_sub_u32_e32 v3, v1, v3
	v_mad_u64_u32 v[0:1], s[4:5], v3, s2, v[0:1]
	v_mad_u64_u32 v[2:3], s[2:3], v3, s3, v[2:3]
.LBB463_32:
	s_and_b64 vcc, exec, s[0:1]
	v_add_u32_e32 v3, 0x80, v8
	s_cbranch_vccnz .LBB463_38
; %bb.33:
	s_cmp_lg_u32 s33, 0
	s_waitcnt lgkmcnt(0)
	s_mov_b32 s26, 0
	s_cbranch_scc0 .LBB463_39
; %bb.34:
	s_min_u32 s27, s56, 15
	s_add_i32 s27, s27, 1
	s_cmp_eq_u32 s56, 2
	s_cbranch_scc1 .LBB463_40
; %bb.35:
	s_and_b32 s26, s27, 28
	s_add_u32 s2, s34, 0xc4
	s_addc_u32 s3, s35, 0
	s_mov_b32 s28, 0
	v_mov_b32_e32 v4, 0
	v_mov_b32_e32 v6, 0
	s_mov_b64 s[24:25], s[34:35]
	v_mov_b32_e32 v9, v3
.LBB463_36:                             ; =>This Inner Loop Header: Depth=1
	s_load_dwordx8 s[12:19], s[24:25], 0x4
	s_load_dwordx4 s[20:23], s[24:25], 0x24
	s_load_dwordx8 s[4:11], s[2:3], 0x0
	s_add_u32 s24, s24, 48
	s_addc_u32 s25, s25, 0
	s_waitcnt lgkmcnt(0)
	v_mul_hi_u32 v1, s13, v9
	v_add_u32_e32 v1, v9, v1
	v_lshrrev_b32_e32 v1, s14, v1
	v_mul_hi_u32 v7, s16, v1
	v_add_u32_e32 v7, v1, v7
	v_lshrrev_b32_e32 v7, s17, v7
	v_mul_lo_u32 v5, v1, s12
	v_mul_lo_u32 v10, v7, s15
	v_mul_hi_u32 v11, s19, v7
	v_sub_u32_e32 v5, v9, v5
	v_sub_u32_e32 v1, v1, v10
	v_add_u32_e32 v10, v7, v11
	v_mul_lo_u32 v9, v5, s5
	v_mul_lo_u32 v5, v5, s4
	;; [unrolled: 1-line block ×4, first 2 shown]
	v_lshrrev_b32_e32 v10, s20, v10
	v_add3_u32 v1, v5, v4, v1
	v_add3_u32 v4, v9, v6, v11
	v_mul_hi_u32 v6, s22, v10
	v_add_u32_e32 v6, v10, v6
	v_lshrrev_b32_e32 v9, s23, v6
	s_add_i32 s28, s28, 4
	v_mul_lo_u32 v5, v10, s18
	v_mul_lo_u32 v6, v9, s21
	s_add_u32 s2, s2, 32
	v_sub_u32_e32 v5, v7, v5
	v_sub_u32_e32 v6, v10, v6
	s_addc_u32 s3, s3, 0
	v_mul_lo_u32 v7, v5, s8
	v_mul_lo_u32 v5, v5, s9
	;; [unrolled: 1-line block ×4, first 2 shown]
	s_cmp_lg_u32 s26, s28
	v_add3_u32 v6, v5, v4, v6
	v_add3_u32 v4, v7, v1, v10
	s_cbranch_scc1 .LBB463_36
; %bb.37:
	v_mov_b32_e32 v1, v6
	s_and_b32 s6, s27, 3
	s_cmp_eq_u32 s6, 0
	s_cbranch_scc0 .LBB463_41
	s_branch .LBB463_43
.LBB463_38:
                                        ; implicit-def: $vgpr6
                                        ; implicit-def: $vgpr4
	s_branch .LBB463_44
.LBB463_39:
	v_mov_b32_e32 v6, 0
	v_mov_b32_e32 v4, 0
	s_branch .LBB463_43
.LBB463_40:
	v_mov_b32_e32 v4, 0
                                        ; implicit-def: $vgpr6
	v_mov_b32_e32 v1, v4
	v_mov_b32_e32 v9, v3
	s_and_b32 s6, s27, 3
	s_cmp_eq_u32 s6, 0
	s_cbranch_scc1 .LBB463_43
.LBB463_41:
	s_lshl_b32 s2, s26, 3
	s_add_u32 s2, s34, s2
	s_addc_u32 s3, s35, 0
	s_add_u32 s2, s2, 0xc4
	s_addc_u32 s3, s3, 0
	s_mul_i32 s4, s26, 12
	s_add_u32 s4, s34, s4
	s_addc_u32 s5, s35, 0
.LBB463_42:                             ; =>This Inner Loop Header: Depth=1
	s_load_dwordx2 s[8:9], s[4:5], 0x4
	s_load_dword s7, s[4:5], 0xc
	s_load_dwordx2 s[10:11], s[2:3], 0x0
	v_mov_b32_e32 v6, v1
	s_add_u32 s4, s4, 12
	s_waitcnt lgkmcnt(0)
	v_mul_hi_u32 v1, s9, v9
	v_add_u32_e32 v1, v9, v1
	v_lshrrev_b32_e32 v1, s7, v1
	s_addc_u32 s5, s5, 0
	v_mul_lo_u32 v5, v1, s8
	s_add_u32 s2, s2, 8
	v_sub_u32_e32 v5, v9, v5
	s_addc_u32 s3, s3, 0
	s_add_i32 s6, s6, -1
	v_mad_u64_u32 v[6:7], s[8:9], v5, s11, v[6:7]
	s_cmp_lg_u32 s6, 0
	v_mov_b32_e32 v9, v1
	v_mad_u64_u32 v[4:5], s[8:9], v5, s10, v[4:5]
	v_mov_b32_e32 v1, v6
	s_cbranch_scc1 .LBB463_42
.LBB463_43:
	s_cbranch_execnz .LBB463_46
.LBB463_44:
	s_load_dwordx4 s[4:7], s[34:35], 0x4
	s_load_dwordx2 s[2:3], s[34:35], 0xc4
	s_cmp_lt_u32 s33, 2
	s_waitcnt lgkmcnt(0)
	v_mul_hi_u32 v1, s5, v3
	v_add_u32_e32 v1, v3, v1
	v_lshrrev_b32_e32 v1, s6, v1
	v_mul_lo_u32 v4, v1, s4
	v_sub_u32_e32 v3, v3, v4
	v_mul_lo_u32 v6, v3, s3
	v_mul_lo_u32 v4, v3, s2
	s_cbranch_scc1 .LBB463_46
; %bb.45:
	s_load_dwordx4 s[4:7], s[34:35], 0x10
	s_load_dwordx2 s[2:3], s[34:35], 0xcc
	s_waitcnt lgkmcnt(0)
	v_mul_hi_u32 v3, s5, v1
	v_add_u32_e32 v3, v1, v3
	v_lshrrev_b32_e32 v3, s6, v3
	v_mul_lo_u32 v3, v3, s4
	v_sub_u32_e32 v1, v1, v3
	v_mad_u64_u32 v[4:5], s[4:5], v1, s2, v[4:5]
	v_mad_u64_u32 v[6:7], s[2:3], v1, s3, v[6:7]
.LBB463_46:
	s_and_b64 vcc, exec, s[0:1]
	v_add_u32_e32 v3, 0x100, v8
	s_cbranch_vccnz .LBB463_52
; %bb.47:
	s_cmp_lg_u32 s33, 0
	s_waitcnt lgkmcnt(0)
	s_mov_b32 s26, 0
	s_cbranch_scc0 .LBB463_53
; %bb.48:
	s_min_u32 s27, s56, 15
	s_add_i32 s27, s27, 1
	s_cmp_eq_u32 s56, 2
	s_cbranch_scc1 .LBB463_54
; %bb.49:
	s_and_b32 s26, s27, 28
	s_add_u32 s2, s34, 0xc4
	s_addc_u32 s3, s35, 0
	s_mov_b32 s28, 0
	v_mov_b32_e32 v8, 0
	v_mov_b32_e32 v10, 0
	s_mov_b64 s[24:25], s[34:35]
	v_mov_b32_e32 v5, v3
.LBB463_50:                             ; =>This Inner Loop Header: Depth=1
	s_load_dwordx8 s[12:19], s[24:25], 0x4
	s_load_dwordx4 s[20:23], s[24:25], 0x24
	s_load_dwordx8 s[4:11], s[2:3], 0x0
	s_add_u32 s24, s24, 48
	s_addc_u32 s25, s25, 0
	s_waitcnt lgkmcnt(0)
	v_mul_hi_u32 v1, s13, v5
	v_add_u32_e32 v1, v5, v1
	v_lshrrev_b32_e32 v1, s14, v1
	v_mul_lo_u32 v7, v1, s12
	v_mul_hi_u32 v9, s16, v1
	v_sub_u32_e32 v5, v5, v7
	v_add_u32_e32 v7, v1, v9
	v_lshrrev_b32_e32 v7, s17, v7
	v_mul_lo_u32 v11, v7, s15
	v_mul_hi_u32 v12, s19, v7
	v_sub_u32_e32 v1, v1, v11
	v_add_u32_e32 v11, v7, v12
	v_mul_lo_u32 v9, v5, s5
	v_mul_lo_u32 v5, v5, s4
	v_mul_lo_u32 v12, v1, s7
	v_mul_lo_u32 v1, v1, s6
	v_lshrrev_b32_e32 v11, s20, v11
	v_add3_u32 v1, v5, v8, v1
	v_add3_u32 v8, v9, v10, v12
	v_mul_lo_u32 v5, v11, s18
	v_mul_hi_u32 v9, s22, v11
	v_sub_u32_e32 v5, v7, v5
	v_add_u32_e32 v7, v11, v9
	v_mul_lo_u32 v9, v5, s8
	v_mul_lo_u32 v10, v5, s9
	v_lshrrev_b32_e32 v5, s23, v7
	s_add_i32 s28, s28, 4
	v_mul_lo_u32 v7, v5, s21
	s_add_u32 s2, s2, 32
	v_sub_u32_e32 v7, v11, v7
	s_addc_u32 s3, s3, 0
	v_mul_lo_u32 v11, v7, s10
	v_mul_lo_u32 v7, v7, s11
	s_cmp_lg_u32 s26, s28
	v_add3_u32 v10, v10, v8, v7
	v_add3_u32 v8, v9, v1, v11
	s_cbranch_scc1 .LBB463_50
; %bb.51:
	v_mov_b32_e32 v1, v10
	s_and_b32 s6, s27, 3
	s_cmp_eq_u32 s6, 0
	s_cbranch_scc0 .LBB463_55
	s_branch .LBB463_57
.LBB463_52:
                                        ; implicit-def: $vgpr10
                                        ; implicit-def: $vgpr8
	s_branch .LBB463_58
.LBB463_53:
	v_mov_b32_e32 v10, 0
	v_mov_b32_e32 v8, 0
	s_branch .LBB463_57
.LBB463_54:
	v_mov_b32_e32 v8, 0
                                        ; implicit-def: $vgpr10
	v_mov_b32_e32 v1, v8
	v_mov_b32_e32 v5, v3
	s_and_b32 s6, s27, 3
	s_cmp_eq_u32 s6, 0
	s_cbranch_scc1 .LBB463_57
.LBB463_55:
	s_lshl_b32 s2, s26, 3
	s_add_u32 s2, s34, s2
	s_addc_u32 s3, s35, 0
	s_add_u32 s2, s2, 0xc4
	s_addc_u32 s3, s3, 0
	s_mul_i32 s4, s26, 12
	s_add_u32 s4, s34, s4
	s_addc_u32 s5, s35, 0
.LBB463_56:                             ; =>This Inner Loop Header: Depth=1
	s_load_dwordx2 s[8:9], s[4:5], 0x4
	s_load_dword s7, s[4:5], 0xc
	s_load_dwordx2 s[10:11], s[2:3], 0x0
	v_mov_b32_e32 v10, v1
	s_add_u32 s4, s4, 12
	s_waitcnt lgkmcnt(0)
	v_mul_hi_u32 v1, s9, v5
	v_add_u32_e32 v1, v5, v1
	v_lshrrev_b32_e32 v1, s7, v1
	s_addc_u32 s5, s5, 0
	v_mul_lo_u32 v7, v1, s8
	s_add_u32 s2, s2, 8
	v_sub_u32_e32 v7, v5, v7
	s_addc_u32 s3, s3, 0
	s_add_i32 s6, s6, -1
	v_mad_u64_u32 v[10:11], s[8:9], v7, s11, v[10:11]
	s_cmp_lg_u32 s6, 0
	v_mov_b32_e32 v5, v1
	v_mad_u64_u32 v[8:9], s[8:9], v7, s10, v[8:9]
	v_mov_b32_e32 v1, v10
	s_cbranch_scc1 .LBB463_56
.LBB463_57:
	s_cbranch_execnz .LBB463_60
.LBB463_58:
	s_load_dwordx4 s[4:7], s[34:35], 0x4
	s_load_dwordx2 s[2:3], s[34:35], 0xc4
	s_cmp_lt_u32 s33, 2
	s_waitcnt lgkmcnt(0)
	v_mul_hi_u32 v1, s5, v3
	v_add_u32_e32 v1, v3, v1
	v_lshrrev_b32_e32 v1, s6, v1
	v_mul_lo_u32 v5, v1, s4
	v_sub_u32_e32 v3, v3, v5
	v_mul_lo_u32 v10, v3, s3
	v_mul_lo_u32 v8, v3, s2
	s_cbranch_scc1 .LBB463_60
; %bb.59:
	s_load_dwordx4 s[4:7], s[34:35], 0x10
	s_load_dwordx2 s[2:3], s[34:35], 0xcc
	s_waitcnt lgkmcnt(0)
	v_mul_hi_u32 v3, s5, v1
	v_add_u32_e32 v3, v1, v3
	v_lshrrev_b32_e32 v3, s6, v3
	v_mul_lo_u32 v3, v3, s4
	v_sub_u32_e32 v1, v1, v3
	v_mad_u64_u32 v[8:9], s[4:5], v1, s2, v[8:9]
	v_mad_u64_u32 v[10:11], s[2:3], v1, s3, v[10:11]
.LBB463_60:
	s_and_b64 vcc, exec, s[0:1]
	s_cbranch_vccnz .LBB463_66
; %bb.61:
	s_cmp_lg_u32 s33, 0
	s_waitcnt lgkmcnt(0)
	s_mov_b32 s24, 0
	s_cbranch_scc0 .LBB463_67
; %bb.62:
	s_min_u32 s25, s56, 15
	s_add_i32 s25, s25, 1
	s_cmp_eq_u32 s56, 2
	s_cbranch_scc1 .LBB463_68
; %bb.63:
	s_and_b32 s24, s25, 28
	s_add_u32 s20, s34, 0xc4
	s_addc_u32 s21, s35, 0
	s_mov_b32 s26, 0
	v_mov_b32_e32 v12, 0
	v_mov_b32_e32 v14, 0
	s_mov_b64 s[22:23], s[34:35]
	v_mov_b32_e32 v3, v16
.LBB463_64:                             ; =>This Inner Loop Header: Depth=1
	s_load_dwordx8 s[8:15], s[22:23], 0x4
	s_load_dwordx4 s[16:19], s[22:23], 0x24
	s_load_dwordx8 s[0:7], s[20:21], 0x0
	s_add_u32 s22, s22, 48
	s_addc_u32 s23, s23, 0
	s_waitcnt lgkmcnt(0)
	v_mul_hi_u32 v1, s9, v3
	v_add_u32_e32 v1, v3, v1
	v_lshrrev_b32_e32 v1, s10, v1
	v_mul_lo_u32 v5, v1, s8
	v_mul_hi_u32 v7, s12, v1
	v_sub_u32_e32 v3, v3, v5
	v_add_u32_e32 v5, v1, v7
	v_lshrrev_b32_e32 v5, s13, v5
	v_mul_lo_u32 v9, v5, s11
	v_mul_hi_u32 v11, s15, v5
	v_sub_u32_e32 v1, v1, v9
	v_add_u32_e32 v9, v5, v11
	v_mul_lo_u32 v7, v3, s1
	v_mul_lo_u32 v3, v3, s0
	v_mul_lo_u32 v11, v1, s3
	v_mul_lo_u32 v1, v1, s2
	v_lshrrev_b32_e32 v9, s16, v9
	v_add3_u32 v1, v3, v12, v1
	v_add3_u32 v7, v7, v14, v11
	v_mul_lo_u32 v3, v9, s14
	v_mul_hi_u32 v11, s18, v9
	v_sub_u32_e32 v3, v5, v3
	v_add_u32_e32 v5, v9, v11
	v_mul_lo_u32 v11, v3, s4
	v_mul_lo_u32 v12, v3, s5
	v_lshrrev_b32_e32 v3, s19, v5
	s_add_i32 s26, s26, 4
	v_mul_lo_u32 v5, v3, s17
	s_add_u32 s20, s20, 32
	v_sub_u32_e32 v5, v9, v5
	s_addc_u32 s21, s21, 0
	v_mul_lo_u32 v9, v5, s6
	v_mul_lo_u32 v5, v5, s7
	s_cmp_lg_u32 s24, s26
	v_add3_u32 v14, v12, v7, v5
	v_add3_u32 v12, v11, v1, v9
	s_cbranch_scc1 .LBB463_64
; %bb.65:
	v_mov_b32_e32 v1, v14
	s_and_b32 s4, s25, 3
	s_cmp_eq_u32 s4, 0
	s_cbranch_scc0 .LBB463_69
	s_branch .LBB463_71
.LBB463_66:
                                        ; implicit-def: $vgpr14
                                        ; implicit-def: $vgpr12
	s_branch .LBB463_72
.LBB463_67:
	v_mov_b32_e32 v14, 0
	v_mov_b32_e32 v12, 0
	s_branch .LBB463_71
.LBB463_68:
	v_mov_b32_e32 v12, 0
                                        ; implicit-def: $vgpr14
	v_mov_b32_e32 v1, v12
	v_mov_b32_e32 v3, v16
	s_and_b32 s4, s25, 3
	s_cmp_eq_u32 s4, 0
	s_cbranch_scc1 .LBB463_71
.LBB463_69:
	s_lshl_b32 s0, s24, 3
	s_add_u32 s0, s34, s0
	s_addc_u32 s1, s35, 0
	s_add_u32 s0, s0, 0xc4
	s_addc_u32 s1, s1, 0
	s_mul_i32 s2, s24, 12
	s_add_u32 s2, s34, s2
	s_addc_u32 s3, s35, 0
.LBB463_70:                             ; =>This Inner Loop Header: Depth=1
	s_load_dwordx2 s[6:7], s[2:3], 0x4
	s_load_dword s5, s[2:3], 0xc
	s_load_dwordx2 s[8:9], s[0:1], 0x0
	v_mov_b32_e32 v14, v1
	s_add_u32 s2, s2, 12
	s_waitcnt lgkmcnt(0)
	v_mul_hi_u32 v1, s7, v3
	v_add_u32_e32 v1, v3, v1
	v_lshrrev_b32_e32 v1, s5, v1
	s_addc_u32 s3, s3, 0
	v_mul_lo_u32 v5, v1, s6
	s_add_u32 s0, s0, 8
	v_sub_u32_e32 v5, v3, v5
	s_addc_u32 s1, s1, 0
	s_add_i32 s4, s4, -1
	v_mad_u64_u32 v[14:15], s[6:7], v5, s9, v[14:15]
	s_cmp_lg_u32 s4, 0
	v_mov_b32_e32 v3, v1
	v_mad_u64_u32 v[12:13], s[6:7], v5, s8, v[12:13]
	v_mov_b32_e32 v1, v14
	s_cbranch_scc1 .LBB463_70
.LBB463_71:
	s_cbranch_execnz .LBB463_74
.LBB463_72:
	s_load_dwordx4 s[0:3], s[34:35], 0x4
	s_load_dwordx2 s[4:5], s[34:35], 0xc4
	s_cmp_lt_u32 s33, 2
	s_waitcnt lgkmcnt(0)
	v_mul_hi_u32 v1, s1, v16
	v_add_u32_e32 v1, v16, v1
	v_lshrrev_b32_e32 v1, s2, v1
	v_mul_lo_u32 v3, v1, s0
	v_sub_u32_e32 v3, v16, v3
	v_mul_lo_u32 v14, v3, s5
	v_mul_lo_u32 v12, v3, s4
	s_cbranch_scc1 .LBB463_74
; %bb.73:
	s_load_dwordx4 s[0:3], s[34:35], 0x10
	s_load_dwordx2 s[4:5], s[34:35], 0xcc
	s_waitcnt lgkmcnt(0)
	v_mul_hi_u32 v3, s1, v1
	v_add_u32_e32 v3, v1, v3
	v_lshrrev_b32_e32 v3, s2, v3
	v_mul_lo_u32 v3, v3, s0
	v_sub_u32_e32 v1, v1, v3
	v_mad_u64_u32 v[12:13], s[0:1], v1, s4, v[12:13]
	v_mad_u64_u32 v[14:15], s[0:1], v1, s5, v[14:15]
.LBB463_74:
	s_load_dwordx4 s[0:3], s[34:35], 0x148
	s_load_dwordx2 s[4:5], s[34:35], 0x158
	s_waitcnt lgkmcnt(0)
	global_load_dwordx2 v[16:17], v2, s[2:3]
	global_load_dwordx2 v[18:19], v6, s[2:3]
	;; [unrolled: 1-line block ×4, first 2 shown]
	v_max_f64 v[2:3], s[4:5], s[4:5]
	s_waitcnt vmcnt(3)
	v_max_f64 v[6:7], v[16:17], v[16:17]
	s_waitcnt vmcnt(2)
	v_max_f64 v[10:11], v[18:19], v[18:19]
	v_min_f64 v[6:7], v[6:7], v[2:3]
	v_cmp_u_f64_e32 vcc, v[16:17], v[16:17]
	s_waitcnt vmcnt(1)
	v_max_f64 v[14:15], v[20:21], v[20:21]
	v_min_f64 v[10:11], v[10:11], v[2:3]
	v_cndmask_b32_e32 v7, v7, v17, vcc
	v_cndmask_b32_e32 v6, v6, v16, vcc
	v_cmp_u_f64_e32 vcc, v[18:19], v[18:19]
	s_waitcnt vmcnt(0)
	v_max_f64 v[24:25], v[22:23], v[22:23]
	v_min_f64 v[14:15], v[14:15], v[2:3]
	v_cndmask_b32_e32 v11, v11, v19, vcc
	v_cndmask_b32_e32 v10, v10, v18, vcc
	v_cmp_u_f64_e32 vcc, v[20:21], v[20:21]
	v_min_f64 v[2:3], v[24:25], v[2:3]
	s_nop 0
	v_cndmask_b32_e32 v15, v15, v21, vcc
	v_cndmask_b32_e32 v14, v14, v20, vcc
	v_cmp_u_f64_e32 vcc, v[22:23], v[22:23]
	s_nop 1
	v_cndmask_b32_e32 v3, v3, v23, vcc
	v_cndmask_b32_e32 v2, v2, v22, vcc
	global_store_dwordx2 v0, v[6:7], s[0:1]
	global_store_dwordx2 v4, v[10:11], s[0:1]
	;; [unrolled: 1-line block ×4, first 2 shown]
	s_endpgm
.LBB463_75:
	v_mov_b32_e32 v2, 0
	v_mov_b32_e32 v0, 0
	s_branch .LBB463_81
.LBB463_76:
	v_mov_b32_e32 v2, 0
	v_mov_b32_e32 v0, 0
	s_branch .LBB463_98
.LBB463_77:
	v_mov_b32_e32 v0, 0
	s_mov_b32 s59, 0
	v_mov_b32_e32 v1, v0
                                        ; implicit-def: $vgpr2
	v_mov_b32_e32 v4, v8
.LBB463_78:
	s_and_b32 s4, s60, 3
	s_cmp_eq_u32 s4, 0
	s_cbranch_scc1 .LBB463_81
; %bb.79:
	s_lshl_b32 s0, s59, 3
	s_add_u32 s0, s34, s0
	s_addc_u32 s1, s35, 0
	s_add_u32 s0, s0, 0xc4
	s_addc_u32 s1, s1, 0
	s_mul_i32 s2, s59, 12
	s_add_u32 s2, s34, s2
	s_addc_u32 s3, s35, 0
.LBB463_80:                             ; =>This Inner Loop Header: Depth=1
	s_load_dwordx2 s[6:7], s[2:3], 0x4
	s_load_dword s5, s[2:3], 0xc
	s_load_dwordx2 s[8:9], s[0:1], 0x0
	v_mov_b32_e32 v2, v1
	s_add_u32 s2, s2, 12
	s_waitcnt lgkmcnt(0)
	v_mul_hi_u32 v1, s7, v4
	v_add_u32_e32 v1, v4, v1
	v_lshrrev_b32_e32 v1, s5, v1
	s_addc_u32 s3, s3, 0
	v_mul_lo_u32 v3, v1, s6
	s_add_u32 s0, s0, 8
	v_sub_u32_e32 v5, v4, v3
	s_addc_u32 s1, s1, 0
	s_add_i32 s4, s4, -1
	v_mov_b32_e32 v4, v1
	v_mad_u64_u32 v[2:3], s[6:7], v5, s9, v[2:3]
	v_mad_u64_u32 v[0:1], s[6:7], v5, s8, v[0:1]
	s_cmp_lg_u32 s4, 0
	v_mov_b32_e32 v1, v2
	s_cbranch_scc1 .LBB463_80
.LBB463_81:
	s_cbranch_execnz .LBB463_84
.LBB463_82:
	s_waitcnt lgkmcnt(0)
	v_mul_hi_u32 v0, s21, v8
	v_add_u32_e32 v0, v8, v0
	v_lshrrev_b32_e32 v1, s22, v0
	v_mul_lo_u32 v0, v1, s20
	v_sub_u32_e32 v0, v8, v0
	v_mul_lo_u32 v2, v0, s25
	s_andn2_b64 vcc, exec, s[44:45]
	v_mul_lo_u32 v0, v0, s24
	s_cbranch_vccnz .LBB463_84
; %bb.83:
	v_mul_hi_u32 v3, s42, v1
	v_add_u32_e32 v3, v1, v3
	v_lshrrev_b32_e32 v3, s43, v3
	v_mul_lo_u32 v3, v3, s23
	v_sub_u32_e32 v3, v1, v3
	v_mad_u64_u32 v[0:1], s[0:1], v3, s26, v[0:1]
	v_mad_u64_u32 v[2:3], s[0:1], v3, s27, v[2:3]
.LBB463_84:
	s_waitcnt lgkmcnt(0)
	global_load_dwordx2 v[2:3], v2, s[18:19]
	v_max_f64 v[4:5], s[40:41], s[40:41]
	v_add_u32_e32 v8, 0x80, v8
	s_waitcnt vmcnt(0)
	v_max_f64 v[6:7], v[2:3], v[2:3]
	v_min_f64 v[4:5], v[6:7], v[4:5]
	v_cmp_u_f64_e32 vcc, v[2:3], v[2:3]
	s_nop 1
	v_cndmask_b32_e32 v3, v5, v3, vcc
	v_cndmask_b32_e32 v2, v4, v2, vcc
	global_store_dwordx2 v0, v[2:3], s[16:17]
	s_or_b64 exec, exec, s[50:51]
	v_cmp_gt_i32_e32 vcc, s57, v8
	s_and_saveexec_b64 s[50:51], vcc
	s_cbranch_execnz .LBB463_16
.LBB463_85:
	s_or_b64 exec, exec, s[50:51]
	v_cmp_gt_i32_e32 vcc, s57, v8
	s_and_saveexec_b64 s[50:51], vcc
	s_cbranch_execz .LBB463_102
.LBB463_86:
	s_andn2_b64 vcc, exec, s[36:37]
	s_cbranch_vccnz .LBB463_92
; %bb.87:
	s_andn2_b64 vcc, exec, s[48:49]
	s_cbranch_vccnz .LBB463_93
; %bb.88:
	s_add_i32 s60, s58, 1
	s_cmp_eq_u32 s56, 2
	s_cbranch_scc1 .LBB463_105
; %bb.89:
	s_and_b32 s59, s60, 28
	s_mov_b32 s61, 0
	v_mov_b32_e32 v0, 0
	v_mov_b32_e32 v2, 0
	s_mov_b64 s[52:53], s[34:35]
	s_mov_b64 s[54:55], s[46:47]
	v_mov_b32_e32 v4, v8
.LBB463_90:                             ; =>This Inner Loop Header: Depth=1
	s_load_dwordx8 s[8:15], s[52:53], 0x4
	s_load_dwordx4 s[28:31], s[52:53], 0x24
	s_load_dwordx8 s[0:7], s[54:55], 0x0
	s_add_u32 s52, s52, 48
	s_addc_u32 s53, s53, 0
	s_waitcnt lgkmcnt(0)
	v_mul_hi_u32 v1, s9, v4
	v_add_u32_e32 v1, v4, v1
	v_lshrrev_b32_e32 v1, s10, v1
	v_mul_lo_u32 v3, v1, s8
	v_mul_hi_u32 v5, s12, v1
	v_sub_u32_e32 v3, v4, v3
	v_add_u32_e32 v4, v1, v5
	v_lshrrev_b32_e32 v4, s13, v4
	v_mul_lo_u32 v6, v4, s11
	v_mul_hi_u32 v7, s15, v4
	v_sub_u32_e32 v1, v1, v6
	v_add_u32_e32 v6, v4, v7
	v_mul_lo_u32 v5, v3, s1
	v_mul_lo_u32 v3, v3, s0
	;; [unrolled: 1-line block ×4, first 2 shown]
	v_lshrrev_b32_e32 v6, s28, v6
	v_add3_u32 v0, v3, v0, v1
	v_mul_hi_u32 v3, s30, v6
	v_add3_u32 v1, v5, v2, v7
	v_mul_lo_u32 v2, v6, s14
	v_add_u32_e32 v3, v6, v3
	v_sub_u32_e32 v2, v4, v2
	v_lshrrev_b32_e32 v4, s31, v3
	s_add_i32 s61, s61, 4
	v_mul_lo_u32 v3, v4, s29
	s_add_u32 s54, s54, 32
	v_sub_u32_e32 v3, v6, v3
	s_addc_u32 s55, s55, 0
	v_mul_lo_u32 v5, v2, s4
	v_mul_lo_u32 v2, v2, s5
	;; [unrolled: 1-line block ×4, first 2 shown]
	s_cmp_eq_u32 s59, s61
	v_add3_u32 v2, v2, v1, v3
	v_add3_u32 v0, v5, v0, v6
	s_cbranch_scc0 .LBB463_90
; %bb.91:
	v_mov_b32_e32 v1, v2
	s_branch .LBB463_106
.LBB463_92:
                                        ; implicit-def: $vgpr2
                                        ; implicit-def: $vgpr0
	s_branch .LBB463_110
.LBB463_93:
	v_mov_b32_e32 v2, 0
	v_mov_b32_e32 v0, 0
	s_branch .LBB463_109
.LBB463_94:
	v_mov_b32_e32 v0, 0
	s_mov_b32 s59, 0
	v_mov_b32_e32 v1, v0
                                        ; implicit-def: $vgpr2
	v_mov_b32_e32 v4, v8
.LBB463_95:
	s_and_b32 s4, s60, 3
	s_cmp_eq_u32 s4, 0
	s_cbranch_scc1 .LBB463_98
; %bb.96:
	s_lshl_b32 s0, s59, 3
	s_add_u32 s0, s34, s0
	s_addc_u32 s1, s35, 0
	s_add_u32 s0, s0, 0xc4
	s_addc_u32 s1, s1, 0
	s_mul_i32 s2, s59, 12
	s_add_u32 s2, s34, s2
	s_addc_u32 s3, s35, 0
.LBB463_97:                             ; =>This Inner Loop Header: Depth=1
	s_load_dwordx2 s[6:7], s[2:3], 0x4
	s_load_dword s5, s[2:3], 0xc
	s_load_dwordx2 s[8:9], s[0:1], 0x0
	v_mov_b32_e32 v2, v1
	s_add_u32 s2, s2, 12
	s_waitcnt lgkmcnt(0)
	v_mul_hi_u32 v1, s7, v4
	v_add_u32_e32 v1, v4, v1
	v_lshrrev_b32_e32 v1, s5, v1
	s_addc_u32 s3, s3, 0
	v_mul_lo_u32 v3, v1, s6
	s_add_u32 s0, s0, 8
	v_sub_u32_e32 v5, v4, v3
	s_addc_u32 s1, s1, 0
	s_add_i32 s4, s4, -1
	v_mov_b32_e32 v4, v1
	v_mad_u64_u32 v[2:3], s[6:7], v5, s9, v[2:3]
	v_mad_u64_u32 v[0:1], s[6:7], v5, s8, v[0:1]
	s_cmp_lg_u32 s4, 0
	v_mov_b32_e32 v1, v2
	s_cbranch_scc1 .LBB463_97
.LBB463_98:
	s_cbranch_execnz .LBB463_101
.LBB463_99:
	s_waitcnt lgkmcnt(0)
	v_mul_hi_u32 v0, s21, v8
	v_add_u32_e32 v0, v8, v0
	v_lshrrev_b32_e32 v1, s22, v0
	v_mul_lo_u32 v0, v1, s20
	v_sub_u32_e32 v0, v8, v0
	v_mul_lo_u32 v2, v0, s25
	s_andn2_b64 vcc, exec, s[44:45]
	v_mul_lo_u32 v0, v0, s24
	s_cbranch_vccnz .LBB463_101
; %bb.100:
	v_mul_hi_u32 v3, s42, v1
	v_add_u32_e32 v3, v1, v3
	v_lshrrev_b32_e32 v3, s43, v3
	v_mul_lo_u32 v3, v3, s23
	v_sub_u32_e32 v3, v1, v3
	v_mad_u64_u32 v[0:1], s[0:1], v3, s26, v[0:1]
	v_mad_u64_u32 v[2:3], s[0:1], v3, s27, v[2:3]
.LBB463_101:
	s_waitcnt lgkmcnt(0)
	global_load_dwordx2 v[2:3], v2, s[18:19]
	v_max_f64 v[4:5], s[40:41], s[40:41]
	v_add_u32_e32 v8, 0x80, v8
	s_waitcnt vmcnt(0)
	v_max_f64 v[6:7], v[2:3], v[2:3]
	v_min_f64 v[4:5], v[6:7], v[4:5]
	v_cmp_u_f64_e32 vcc, v[2:3], v[2:3]
	s_nop 1
	v_cndmask_b32_e32 v3, v5, v3, vcc
	v_cndmask_b32_e32 v2, v4, v2, vcc
	global_store_dwordx2 v0, v[2:3], s[16:17]
	s_or_b64 exec, exec, s[50:51]
	v_cmp_gt_i32_e32 vcc, s57, v8
	s_and_saveexec_b64 s[50:51], vcc
	s_cbranch_execnz .LBB463_86
.LBB463_102:
	s_or_b64 exec, exec, s[50:51]
	v_cmp_gt_i32_e32 vcc, s57, v8
	s_and_saveexec_b64 s[50:51], vcc
	s_cbranch_execnz .LBB463_113
.LBB463_103:
	s_or_b64 exec, exec, s[50:51]
                                        ; implicit-def: $vgpr16
                                        ; implicit-def: $vgpr8
	s_andn2_saveexec_b64 s[0:1], s[38:39]
	s_cbranch_execnz .LBB463_9
.LBB463_104:
	s_endpgm
.LBB463_105:
	v_mov_b32_e32 v0, 0
	s_mov_b32 s59, 0
	v_mov_b32_e32 v1, v0
                                        ; implicit-def: $vgpr2
	v_mov_b32_e32 v4, v8
.LBB463_106:
	s_and_b32 s4, s60, 3
	s_cmp_eq_u32 s4, 0
	s_cbranch_scc1 .LBB463_109
; %bb.107:
	s_lshl_b32 s0, s59, 3
	s_add_u32 s0, s34, s0
	s_addc_u32 s1, s35, 0
	s_add_u32 s0, s0, 0xc4
	s_addc_u32 s1, s1, 0
	s_mul_i32 s2, s59, 12
	s_add_u32 s2, s34, s2
	s_addc_u32 s3, s35, 0
.LBB463_108:                            ; =>This Inner Loop Header: Depth=1
	s_load_dwordx2 s[6:7], s[2:3], 0x4
	s_load_dword s5, s[2:3], 0xc
	s_load_dwordx2 s[8:9], s[0:1], 0x0
	v_mov_b32_e32 v2, v1
	s_add_u32 s2, s2, 12
	s_waitcnt lgkmcnt(0)
	v_mul_hi_u32 v1, s7, v4
	v_add_u32_e32 v1, v4, v1
	v_lshrrev_b32_e32 v1, s5, v1
	s_addc_u32 s3, s3, 0
	v_mul_lo_u32 v3, v1, s6
	s_add_u32 s0, s0, 8
	v_sub_u32_e32 v5, v4, v3
	s_addc_u32 s1, s1, 0
	s_add_i32 s4, s4, -1
	v_mov_b32_e32 v4, v1
	v_mad_u64_u32 v[2:3], s[6:7], v5, s9, v[2:3]
	v_mad_u64_u32 v[0:1], s[6:7], v5, s8, v[0:1]
	s_cmp_lg_u32 s4, 0
	v_mov_b32_e32 v1, v2
	s_cbranch_scc1 .LBB463_108
.LBB463_109:
	s_cbranch_execnz .LBB463_112
.LBB463_110:
	s_waitcnt lgkmcnt(0)
	v_mul_hi_u32 v0, s21, v8
	v_add_u32_e32 v0, v8, v0
	v_lshrrev_b32_e32 v1, s22, v0
	v_mul_lo_u32 v0, v1, s20
	v_sub_u32_e32 v0, v8, v0
	v_mul_lo_u32 v2, v0, s25
	s_andn2_b64 vcc, exec, s[44:45]
	v_mul_lo_u32 v0, v0, s24
	s_cbranch_vccnz .LBB463_112
; %bb.111:
	v_mul_hi_u32 v3, s42, v1
	v_add_u32_e32 v3, v1, v3
	v_lshrrev_b32_e32 v3, s43, v3
	v_mul_lo_u32 v3, v3, s23
	v_sub_u32_e32 v3, v1, v3
	v_mad_u64_u32 v[0:1], s[0:1], v3, s26, v[0:1]
	v_mad_u64_u32 v[2:3], s[0:1], v3, s27, v[2:3]
.LBB463_112:
	s_waitcnt lgkmcnt(0)
	global_load_dwordx2 v[2:3], v2, s[18:19]
	v_max_f64 v[4:5], s[40:41], s[40:41]
	v_add_u32_e32 v8, 0x80, v8
	s_waitcnt vmcnt(0)
	v_max_f64 v[6:7], v[2:3], v[2:3]
	v_min_f64 v[4:5], v[6:7], v[4:5]
	v_cmp_u_f64_e32 vcc, v[2:3], v[2:3]
	s_nop 1
	v_cndmask_b32_e32 v3, v5, v3, vcc
	v_cndmask_b32_e32 v2, v4, v2, vcc
	global_store_dwordx2 v0, v[2:3], s[16:17]
	s_or_b64 exec, exec, s[50:51]
	v_cmp_gt_i32_e32 vcc, s57, v8
	s_and_saveexec_b64 s[50:51], vcc
	s_cbranch_execz .LBB463_103
.LBB463_113:
	s_andn2_b64 vcc, exec, s[36:37]
	s_cbranch_vccnz .LBB463_119
; %bb.114:
	s_andn2_b64 vcc, exec, s[48:49]
	s_cbranch_vccnz .LBB463_120
; %bb.115:
	s_add_i32 s58, s58, 1
	s_cmp_eq_u32 s56, 2
	s_cbranch_scc1 .LBB463_121
; %bb.116:
	s_and_b32 s52, s58, 28
	s_mov_b32 s53, 0
	v_mov_b32_e32 v0, 0
	v_mov_b32_e32 v2, 0
	s_mov_b64 s[48:49], s[34:35]
	v_mov_b32_e32 v4, v8
.LBB463_117:                            ; =>This Inner Loop Header: Depth=1
	s_load_dwordx8 s[8:15], s[48:49], 0x4
	s_load_dwordx4 s[28:31], s[48:49], 0x24
	s_load_dwordx8 s[0:7], s[46:47], 0x0
	s_add_u32 s48, s48, 48
	s_addc_u32 s49, s49, 0
	s_waitcnt lgkmcnt(0)
	v_mul_hi_u32 v1, s9, v4
	v_add_u32_e32 v1, v4, v1
	v_lshrrev_b32_e32 v1, s10, v1
	v_mul_lo_u32 v3, v1, s8
	v_mul_hi_u32 v5, s12, v1
	v_sub_u32_e32 v3, v4, v3
	v_add_u32_e32 v4, v1, v5
	v_lshrrev_b32_e32 v4, s13, v4
	v_mul_lo_u32 v6, v4, s11
	v_mul_hi_u32 v7, s15, v4
	v_sub_u32_e32 v1, v1, v6
	v_add_u32_e32 v6, v4, v7
	v_mul_lo_u32 v5, v3, s1
	v_mul_lo_u32 v3, v3, s0
	v_mul_lo_u32 v7, v1, s3
	v_mul_lo_u32 v1, v1, s2
	v_lshrrev_b32_e32 v6, s28, v6
	v_add3_u32 v0, v3, v0, v1
	v_mul_hi_u32 v3, s30, v6
	v_add3_u32 v1, v5, v2, v7
	v_mul_lo_u32 v2, v6, s14
	v_add_u32_e32 v3, v6, v3
	v_sub_u32_e32 v2, v4, v2
	v_lshrrev_b32_e32 v4, s31, v3
	s_add_i32 s53, s53, 4
	v_mul_lo_u32 v3, v4, s29
	s_add_u32 s46, s46, 32
	v_sub_u32_e32 v3, v6, v3
	s_addc_u32 s47, s47, 0
	v_mul_lo_u32 v5, v2, s4
	v_mul_lo_u32 v2, v2, s5
	;; [unrolled: 1-line block ×4, first 2 shown]
	s_cmp_eq_u32 s52, s53
	v_add3_u32 v2, v2, v1, v3
	v_add3_u32 v0, v5, v0, v6
	s_cbranch_scc0 .LBB463_117
; %bb.118:
	v_mov_b32_e32 v1, v2
	s_branch .LBB463_122
.LBB463_119:
                                        ; implicit-def: $vgpr2
                                        ; implicit-def: $vgpr0
	s_branch .LBB463_126
.LBB463_120:
	v_mov_b32_e32 v2, 0
	v_mov_b32_e32 v0, 0
	s_branch .LBB463_125
.LBB463_121:
	v_mov_b32_e32 v0, 0
	s_mov_b32 s52, 0
	v_mov_b32_e32 v1, v0
                                        ; implicit-def: $vgpr2
	v_mov_b32_e32 v4, v8
.LBB463_122:
	s_and_b32 s4, s58, 3
	s_cmp_eq_u32 s4, 0
	s_cbranch_scc1 .LBB463_125
; %bb.123:
	s_lshl_b32 s0, s52, 3
	s_add_u32 s0, s34, s0
	s_addc_u32 s1, s35, 0
	s_add_u32 s0, s0, 0xc4
	s_addc_u32 s1, s1, 0
	s_mul_i32 s2, s52, 12
	s_add_u32 s2, s34, s2
	s_addc_u32 s3, s35, 0
.LBB463_124:                            ; =>This Inner Loop Header: Depth=1
	s_load_dwordx2 s[6:7], s[2:3], 0x4
	s_load_dword s5, s[2:3], 0xc
	s_load_dwordx2 s[8:9], s[0:1], 0x0
	v_mov_b32_e32 v2, v1
	s_add_u32 s2, s2, 12
	s_waitcnt lgkmcnt(0)
	v_mul_hi_u32 v1, s7, v4
	v_add_u32_e32 v1, v4, v1
	v_lshrrev_b32_e32 v1, s5, v1
	s_addc_u32 s3, s3, 0
	v_mul_lo_u32 v3, v1, s6
	s_add_u32 s0, s0, 8
	v_sub_u32_e32 v5, v4, v3
	s_addc_u32 s1, s1, 0
	s_add_i32 s4, s4, -1
	v_mov_b32_e32 v4, v1
	v_mad_u64_u32 v[2:3], s[6:7], v5, s9, v[2:3]
	v_mad_u64_u32 v[0:1], s[6:7], v5, s8, v[0:1]
	s_cmp_lg_u32 s4, 0
	v_mov_b32_e32 v1, v2
	s_cbranch_scc1 .LBB463_124
.LBB463_125:
	s_cbranch_execnz .LBB463_128
.LBB463_126:
	s_waitcnt lgkmcnt(0)
	v_mul_hi_u32 v0, s21, v8
	v_add_u32_e32 v0, v8, v0
	v_lshrrev_b32_e32 v1, s22, v0
	v_mul_lo_u32 v0, v1, s20
	v_sub_u32_e32 v0, v8, v0
	v_mul_lo_u32 v2, v0, s25
	s_andn2_b64 vcc, exec, s[44:45]
	v_mul_lo_u32 v0, v0, s24
	s_cbranch_vccnz .LBB463_128
; %bb.127:
	v_mul_hi_u32 v3, s42, v1
	v_add_u32_e32 v3, v1, v3
	v_lshrrev_b32_e32 v3, s43, v3
	v_mul_lo_u32 v3, v3, s23
	v_sub_u32_e32 v3, v1, v3
	v_mad_u64_u32 v[0:1], s[0:1], v3, s26, v[0:1]
	v_mad_u64_u32 v[2:3], s[0:1], v3, s27, v[2:3]
.LBB463_128:
	s_waitcnt lgkmcnt(0)
	global_load_dwordx2 v[2:3], v2, s[18:19]
	v_max_f64 v[4:5], s[40:41], s[40:41]
	s_waitcnt vmcnt(0)
	v_max_f64 v[6:7], v[2:3], v[2:3]
	v_min_f64 v[4:5], v[6:7], v[4:5]
	v_cmp_u_f64_e32 vcc, v[2:3], v[2:3]
	s_nop 1
	v_cndmask_b32_e32 v3, v5, v3, vcc
	v_cndmask_b32_e32 v2, v4, v2, vcc
	global_store_dwordx2 v0, v[2:3], s[16:17]
	s_or_b64 exec, exec, s[50:51]
                                        ; implicit-def: $vgpr16
                                        ; implicit-def: $vgpr8
	s_andn2_saveexec_b64 s[0:1], s[38:39]
	s_cbranch_execz .LBB463_104
	s_branch .LBB463_9
	.section	.rodata,"a",@progbits
	.p2align	6, 0x0
	.amdhsa_kernel _ZN2at6native32elementwise_kernel_manual_unrollILi128ELi4EZNS0_22gpu_kernel_impl_nocastIZZZNS0_21clamp_max_kernel_cudaERNS_18TensorIteratorBaseERKN3c106ScalarEENKUlvE_clEvENKUlvE4_clEvEUldE_EEvS4_RKT_EUlibE_EEviT1_
		.amdhsa_group_segment_fixed_size 0
		.amdhsa_private_segment_fixed_size 0
		.amdhsa_kernarg_size 360
		.amdhsa_user_sgpr_count 2
		.amdhsa_user_sgpr_dispatch_ptr 0
		.amdhsa_user_sgpr_queue_ptr 0
		.amdhsa_user_sgpr_kernarg_segment_ptr 1
		.amdhsa_user_sgpr_dispatch_id 0
		.amdhsa_user_sgpr_kernarg_preload_length 0
		.amdhsa_user_sgpr_kernarg_preload_offset 0
		.amdhsa_user_sgpr_private_segment_size 0
		.amdhsa_uses_dynamic_stack 0
		.amdhsa_enable_private_segment 0
		.amdhsa_system_sgpr_workgroup_id_x 1
		.amdhsa_system_sgpr_workgroup_id_y 0
		.amdhsa_system_sgpr_workgroup_id_z 0
		.amdhsa_system_sgpr_workgroup_info 0
		.amdhsa_system_vgpr_workitem_id 0
		.amdhsa_next_free_vgpr 26
		.amdhsa_next_free_sgpr 62
		.amdhsa_accum_offset 28
		.amdhsa_reserve_vcc 1
		.amdhsa_float_round_mode_32 0
		.amdhsa_float_round_mode_16_64 0
		.amdhsa_float_denorm_mode_32 3
		.amdhsa_float_denorm_mode_16_64 3
		.amdhsa_dx10_clamp 1
		.amdhsa_ieee_mode 1
		.amdhsa_fp16_overflow 0
		.amdhsa_tg_split 0
		.amdhsa_exception_fp_ieee_invalid_op 0
		.amdhsa_exception_fp_denorm_src 0
		.amdhsa_exception_fp_ieee_div_zero 0
		.amdhsa_exception_fp_ieee_overflow 0
		.amdhsa_exception_fp_ieee_underflow 0
		.amdhsa_exception_fp_ieee_inexact 0
		.amdhsa_exception_int_div_zero 0
	.end_amdhsa_kernel
	.section	.text._ZN2at6native32elementwise_kernel_manual_unrollILi128ELi4EZNS0_22gpu_kernel_impl_nocastIZZZNS0_21clamp_max_kernel_cudaERNS_18TensorIteratorBaseERKN3c106ScalarEENKUlvE_clEvENKUlvE4_clEvEUldE_EEvS4_RKT_EUlibE_EEviT1_,"axG",@progbits,_ZN2at6native32elementwise_kernel_manual_unrollILi128ELi4EZNS0_22gpu_kernel_impl_nocastIZZZNS0_21clamp_max_kernel_cudaERNS_18TensorIteratorBaseERKN3c106ScalarEENKUlvE_clEvENKUlvE4_clEvEUldE_EEvS4_RKT_EUlibE_EEviT1_,comdat
.Lfunc_end463:
	.size	_ZN2at6native32elementwise_kernel_manual_unrollILi128ELi4EZNS0_22gpu_kernel_impl_nocastIZZZNS0_21clamp_max_kernel_cudaERNS_18TensorIteratorBaseERKN3c106ScalarEENKUlvE_clEvENKUlvE4_clEvEUldE_EEvS4_RKT_EUlibE_EEviT1_, .Lfunc_end463-_ZN2at6native32elementwise_kernel_manual_unrollILi128ELi4EZNS0_22gpu_kernel_impl_nocastIZZZNS0_21clamp_max_kernel_cudaERNS_18TensorIteratorBaseERKN3c106ScalarEENKUlvE_clEvENKUlvE4_clEvEUldE_EEvS4_RKT_EUlibE_EEviT1_
                                        ; -- End function
	.set _ZN2at6native32elementwise_kernel_manual_unrollILi128ELi4EZNS0_22gpu_kernel_impl_nocastIZZZNS0_21clamp_max_kernel_cudaERNS_18TensorIteratorBaseERKN3c106ScalarEENKUlvE_clEvENKUlvE4_clEvEUldE_EEvS4_RKT_EUlibE_EEviT1_.num_vgpr, 26
	.set _ZN2at6native32elementwise_kernel_manual_unrollILi128ELi4EZNS0_22gpu_kernel_impl_nocastIZZZNS0_21clamp_max_kernel_cudaERNS_18TensorIteratorBaseERKN3c106ScalarEENKUlvE_clEvENKUlvE4_clEvEUldE_EEvS4_RKT_EUlibE_EEviT1_.num_agpr, 0
	.set _ZN2at6native32elementwise_kernel_manual_unrollILi128ELi4EZNS0_22gpu_kernel_impl_nocastIZZZNS0_21clamp_max_kernel_cudaERNS_18TensorIteratorBaseERKN3c106ScalarEENKUlvE_clEvENKUlvE4_clEvEUldE_EEvS4_RKT_EUlibE_EEviT1_.numbered_sgpr, 62
	.set _ZN2at6native32elementwise_kernel_manual_unrollILi128ELi4EZNS0_22gpu_kernel_impl_nocastIZZZNS0_21clamp_max_kernel_cudaERNS_18TensorIteratorBaseERKN3c106ScalarEENKUlvE_clEvENKUlvE4_clEvEUldE_EEvS4_RKT_EUlibE_EEviT1_.num_named_barrier, 0
	.set _ZN2at6native32elementwise_kernel_manual_unrollILi128ELi4EZNS0_22gpu_kernel_impl_nocastIZZZNS0_21clamp_max_kernel_cudaERNS_18TensorIteratorBaseERKN3c106ScalarEENKUlvE_clEvENKUlvE4_clEvEUldE_EEvS4_RKT_EUlibE_EEviT1_.private_seg_size, 0
	.set _ZN2at6native32elementwise_kernel_manual_unrollILi128ELi4EZNS0_22gpu_kernel_impl_nocastIZZZNS0_21clamp_max_kernel_cudaERNS_18TensorIteratorBaseERKN3c106ScalarEENKUlvE_clEvENKUlvE4_clEvEUldE_EEvS4_RKT_EUlibE_EEviT1_.uses_vcc, 1
	.set _ZN2at6native32elementwise_kernel_manual_unrollILi128ELi4EZNS0_22gpu_kernel_impl_nocastIZZZNS0_21clamp_max_kernel_cudaERNS_18TensorIteratorBaseERKN3c106ScalarEENKUlvE_clEvENKUlvE4_clEvEUldE_EEvS4_RKT_EUlibE_EEviT1_.uses_flat_scratch, 0
	.set _ZN2at6native32elementwise_kernel_manual_unrollILi128ELi4EZNS0_22gpu_kernel_impl_nocastIZZZNS0_21clamp_max_kernel_cudaERNS_18TensorIteratorBaseERKN3c106ScalarEENKUlvE_clEvENKUlvE4_clEvEUldE_EEvS4_RKT_EUlibE_EEviT1_.has_dyn_sized_stack, 0
	.set _ZN2at6native32elementwise_kernel_manual_unrollILi128ELi4EZNS0_22gpu_kernel_impl_nocastIZZZNS0_21clamp_max_kernel_cudaERNS_18TensorIteratorBaseERKN3c106ScalarEENKUlvE_clEvENKUlvE4_clEvEUldE_EEvS4_RKT_EUlibE_EEviT1_.has_recursion, 0
	.set _ZN2at6native32elementwise_kernel_manual_unrollILi128ELi4EZNS0_22gpu_kernel_impl_nocastIZZZNS0_21clamp_max_kernel_cudaERNS_18TensorIteratorBaseERKN3c106ScalarEENKUlvE_clEvENKUlvE4_clEvEUldE_EEvS4_RKT_EUlibE_EEviT1_.has_indirect_call, 0
	.section	.AMDGPU.csdata,"",@progbits
; Kernel info:
; codeLenInByte = 6080
; TotalNumSgprs: 68
; NumVgprs: 26
; NumAgprs: 0
; TotalNumVgprs: 26
; ScratchSize: 0
; MemoryBound: 0
; FloatMode: 240
; IeeeMode: 1
; LDSByteSize: 0 bytes/workgroup (compile time only)
; SGPRBlocks: 8
; VGPRBlocks: 3
; NumSGPRsForWavesPerEU: 68
; NumVGPRsForWavesPerEU: 26
; AccumOffset: 28
; Occupancy: 8
; WaveLimiterHint : 1
; COMPUTE_PGM_RSRC2:SCRATCH_EN: 0
; COMPUTE_PGM_RSRC2:USER_SGPR: 2
; COMPUTE_PGM_RSRC2:TRAP_HANDLER: 0
; COMPUTE_PGM_RSRC2:TGID_X_EN: 1
; COMPUTE_PGM_RSRC2:TGID_Y_EN: 0
; COMPUTE_PGM_RSRC2:TGID_Z_EN: 0
; COMPUTE_PGM_RSRC2:TIDIG_COMP_CNT: 0
; COMPUTE_PGM_RSRC3_GFX90A:ACCUM_OFFSET: 6
; COMPUTE_PGM_RSRC3_GFX90A:TG_SPLIT: 0
	.section	.text._ZN2at6native32elementwise_kernel_manual_unrollILi128ELi4EZNS0_15gpu_kernel_implIZZZNS0_21clamp_max_kernel_cudaERNS_18TensorIteratorBaseERKN3c106ScalarEENKUlvE_clEvENKUlvE4_clEvEUldE_EEvS4_RKT_EUlibE_EEviT1_,"axG",@progbits,_ZN2at6native32elementwise_kernel_manual_unrollILi128ELi4EZNS0_15gpu_kernel_implIZZZNS0_21clamp_max_kernel_cudaERNS_18TensorIteratorBaseERKN3c106ScalarEENKUlvE_clEvENKUlvE4_clEvEUldE_EEvS4_RKT_EUlibE_EEviT1_,comdat
	.globl	_ZN2at6native32elementwise_kernel_manual_unrollILi128ELi4EZNS0_15gpu_kernel_implIZZZNS0_21clamp_max_kernel_cudaERNS_18TensorIteratorBaseERKN3c106ScalarEENKUlvE_clEvENKUlvE4_clEvEUldE_EEvS4_RKT_EUlibE_EEviT1_ ; -- Begin function _ZN2at6native32elementwise_kernel_manual_unrollILi128ELi4EZNS0_15gpu_kernel_implIZZZNS0_21clamp_max_kernel_cudaERNS_18TensorIteratorBaseERKN3c106ScalarEENKUlvE_clEvENKUlvE4_clEvEUldE_EEvS4_RKT_EUlibE_EEviT1_
	.p2align	8
	.type	_ZN2at6native32elementwise_kernel_manual_unrollILi128ELi4EZNS0_15gpu_kernel_implIZZZNS0_21clamp_max_kernel_cudaERNS_18TensorIteratorBaseERKN3c106ScalarEENKUlvE_clEvENKUlvE4_clEvEUldE_EEvS4_RKT_EUlibE_EEviT1_,@function
_ZN2at6native32elementwise_kernel_manual_unrollILi128ELi4EZNS0_15gpu_kernel_implIZZZNS0_21clamp_max_kernel_cudaERNS_18TensorIteratorBaseERKN3c106ScalarEENKUlvE_clEvENKUlvE4_clEvEUldE_EEvS4_RKT_EUlibE_EEviT1_: ; @_ZN2at6native32elementwise_kernel_manual_unrollILi128ELi4EZNS0_15gpu_kernel_implIZZZNS0_21clamp_max_kernel_cudaERNS_18TensorIteratorBaseERKN3c106ScalarEENKUlvE_clEvENKUlvE4_clEvEUldE_EEvS4_RKT_EUlibE_EEviT1_
; %bb.0:
	s_load_dword s33, s[0:1], 0x28
	s_load_dword s40, s[0:1], 0x0
	s_load_dwordx8 s[4:11], s[0:1], 0x8
	v_lshl_or_b32 v12, s2, 9, v0
	v_or_b32_e32 v0, 0x180, v12
	s_waitcnt lgkmcnt(0)
	s_bfe_u32 s44, s33, 0x80008
	v_cmp_le_i32_e32 vcc, s40, v0
	s_mov_b64 s[2:3], 0
	s_mov_b64 s[14:15], 0
	s_and_saveexec_b64 s[0:1], vcc
	s_xor_b64 s[12:13], exec, s[0:1]
	s_cbranch_execz .LBB464_1027
; %bb.1:
	v_cmp_gt_i32_e32 vcc, s40, v12
	s_mov_b64 s[20:21], -1
	s_mov_b64 s[22:23], 0
	s_mov_b64 s[16:17], 0
	s_and_saveexec_b64 s[18:19], vcc
	s_cbranch_execz .LBB464_252
; %bb.2:
	v_mul_lo_u32 v0, v12, s9
	v_ashrrev_i32_e32 v1, 31, v0
	s_and_b32 s24, 0xffff, s44
	s_cmp_lt_i32 s24, 11
	v_lshl_add_u64 v[0:1], s[6:7], 0, v[0:1]
	s_cbranch_scc1 .LBB464_9
; %bb.3:
	s_cmp_gt_i32 s24, 25
	s_cbranch_scc0 .LBB464_18
; %bb.4:
	s_cmp_gt_i32 s24, 28
	s_cbranch_scc0 .LBB464_22
	;; [unrolled: 3-line block ×4, first 2 shown]
; %bb.7:
	s_cmp_eq_u32 s24, 46
	s_cbranch_scc0 .LBB464_28
; %bb.8:
	global_load_dword v2, v[0:1], off
	s_mov_b64 s[0:1], -1
	s_waitcnt vmcnt(0)
	v_lshlrev_b32_e32 v2, 16, v2
	v_cvt_f64_f32_e32 v[2:3], v2
	s_branch .LBB464_30
.LBB464_9:
                                        ; implicit-def: $vgpr2_vgpr3
	s_mov_b64 s[0:1], 0
	s_cbranch_execnz .LBB464_203
.LBB464_10:
	s_andn2_b64 vcc, exec, s[0:1]
	s_cbranch_vccnz .LBB464_250
.LBB464_11:
	v_max_f64 v[0:1], s[10:11], s[10:11]
	s_waitcnt vmcnt(0)
	v_max_f64 v[4:5], v[2:3], v[2:3]
	v_min_f64 v[0:1], v[4:5], v[0:1]
	v_cmp_u_f64_e32 vcc, v[2:3], v[2:3]
	s_and_b32 s26, s33, 0xff
	s_cmp_lt_i32 s26, 11
	v_cndmask_b32_e32 v0, v0, v2, vcc
	v_mul_lo_u32 v2, v12, s8
	v_cndmask_b32_e32 v1, v1, v3, vcc
	v_ashrrev_i32_e32 v3, 31, v2
	v_lshl_add_u64 v[4:5], s[4:5], 0, v[2:3]
	s_cbranch_scc1 .LBB464_19
; %bb.12:
	s_and_b32 s27, 0xffff, s26
	s_cmp_gt_i32 s27, 25
	s_cbranch_scc0 .LBB464_23
; %bb.13:
	s_cmp_gt_i32 s27, 28
	s_cbranch_scc0 .LBB464_25
; %bb.14:
	;; [unrolled: 3-line block ×4, first 2 shown]
	s_mov_b64 s[20:21], 0
	s_mov_b64 s[0:1], -1
	s_cmp_eq_u32 s27, 46
	s_mov_b64 s[14:15], 0
	s_cbranch_scc0 .LBB464_34
; %bb.17:
	v_cvt_f32_f64_e32 v2, v[0:1]
	v_bfe_u32 v3, v2, 16, 1
	s_movk_i32 s0, 0x7fff
	v_add3_u32 v3, v2, v3, s0
	v_cmp_o_f32_e32 vcc, v2, v2
	v_mov_b32_e32 v2, 0x7fc0
	s_mov_b64 s[14:15], -1
	v_cndmask_b32_sdwa v2, v2, v3, vcc dst_sel:DWORD dst_unused:UNUSED_PAD src0_sel:DWORD src1_sel:WORD_1
	global_store_dword v[4:5], v2, off
	s_mov_b64 s[0:1], 0
	s_branch .LBB464_34
.LBB464_18:
	s_mov_b64 s[0:1], 0
                                        ; implicit-def: $vgpr2_vgpr3
	s_cbranch_execnz .LBB464_170
	s_branch .LBB464_202
.LBB464_19:
	s_mov_b64 s[0:1], 0
	s_mov_b64 s[14:15], 0
	s_cbranch_execnz .LBB464_103
.LBB464_20:
	s_andn2_b64 vcc, exec, s[14:15]
	s_cbranch_vccnz .LBB464_141
.LBB464_21:
	v_add_u32_e32 v12, 0x80, v12
	s_mov_b64 s[20:21], -1
	s_branch .LBB464_251
.LBB464_22:
	s_mov_b64 s[14:15], -1
	s_mov_b64 s[0:1], 0
                                        ; implicit-def: $vgpr2_vgpr3
	s_branch .LBB464_149
.LBB464_23:
	s_mov_b64 s[20:21], -1
	s_mov_b64 s[0:1], 0
	s_mov_b64 s[14:15], 0
	s_branch .LBB464_61
.LBB464_24:
	s_mov_b64 s[14:15], -1
	s_mov_b64 s[0:1], 0
                                        ; implicit-def: $vgpr2_vgpr3
	s_branch .LBB464_144
.LBB464_25:
	s_mov_b64 s[20:21], -1
	s_mov_b64 s[0:1], 0
	s_mov_b64 s[14:15], 0
	s_branch .LBB464_44
.LBB464_26:
	s_mov_b64 s[14:15], -1
	s_branch .LBB464_29
.LBB464_27:
	s_mov_b64 s[20:21], -1
	s_mov_b64 s[0:1], 0
	s_mov_b64 s[14:15], 0
	s_branch .LBB464_40
.LBB464_28:
	s_mov_b64 s[16:17], -1
.LBB464_29:
	s_mov_b64 s[0:1], 0
                                        ; implicit-def: $vgpr2_vgpr3
.LBB464_30:
	s_and_b64 vcc, exec, s[14:15]
	s_cbranch_vccz .LBB464_143
; %bb.31:
	s_cmp_eq_u32 s24, 44
	s_cbranch_scc0 .LBB464_142
; %bb.32:
	global_load_ubyte v4, v[0:1], off
	s_movk_i32 s14, 0xff
	v_bfrev_b32_e32 v5, 4
	v_mov_b32_e32 v6, 0x7ff80000
	v_bfrev_b32_e32 v7, 28
	s_mov_b64 s[0:1], -1
	s_mov_b64 s[16:17], 0
	s_waitcnt vmcnt(0)
	v_lshlrev_b32_e32 v2, 23, v4
	v_cvt_f64_f32_e32 v[2:3], v2
	v_cmp_ne_u32_e32 vcc, s14, v4
	s_nop 1
	v_cndmask_b32_e32 v2, v5, v2, vcc
	v_cndmask_b32_e32 v3, v6, v3, vcc
	v_cmp_ne_u32_e32 vcc, 0, v4
	s_nop 1
	v_cndmask_b32_e32 v3, v7, v3, vcc
	v_cndmask_b32_e32 v2, 0, v2, vcc
	s_branch .LBB464_143
.LBB464_33:
	s_mov_b64 s[20:21], -1
	s_mov_b64 s[0:1], 0
	s_mov_b64 s[14:15], 0
.LBB464_34:
	s_and_b64 vcc, exec, s[20:21]
	s_cbranch_vccz .LBB464_39
; %bb.35:
	s_cmp_eq_u32 s27, 44
	s_mov_b64 s[0:1], -1
	s_cbranch_scc0 .LBB464_39
; %bb.36:
	v_cvt_f32_f64_e32 v2, v[0:1]
	v_bfe_u32 v3, v2, 23, 8
	s_movk_i32 s0, 0xff
	v_cmp_ne_u32_e32 vcc, s0, v3
	v_mov_b32_e32 v6, 0xff
	s_and_saveexec_b64 s[14:15], vcc
; %bb.37:
	s_mov_b32 s0, 0x3fffff
	v_lshrrev_b32_e32 v6, 23, v2
	v_and_b32_e32 v7, 0x400000, v2
	v_and_or_b32 v2, v2, s0, v3
	v_cmp_ne_u32_e32 vcc, 0, v7
	v_cmp_ne_u32_e64 s[0:1], 0, v2
	s_and_b64 s[0:1], vcc, s[0:1]
	s_nop 0
	v_cndmask_b32_e64 v2, 0, 1, s[0:1]
	v_add_u32_e32 v6, v6, v2
; %bb.38:
	s_or_b64 exec, exec, s[14:15]
	s_mov_b64 s[14:15], -1
	s_mov_b64 s[0:1], 0
	global_store_byte v[4:5], v6, off
.LBB464_39:
	s_mov_b64 s[20:21], 0
.LBB464_40:
	s_and_b64 vcc, exec, s[20:21]
	s_cbranch_vccz .LBB464_43
; %bb.41:
	s_cmp_eq_u32 s27, 29
	s_mov_b64 s[0:1], -1
	s_cbranch_scc0 .LBB464_43
; %bb.42:
	v_trunc_f64_e32 v[2:3], v[0:1]
	s_movk_i32 s0, 0xffe0
	v_ldexp_f64 v[6:7], v[2:3], s0
	v_floor_f64_e32 v[6:7], v[6:7]
	v_fmac_f64_e32 v[2:3], 0xc1f00000, v[6:7]
	v_cvt_u32_f64_e32 v9, v[6:7]
	v_cvt_u32_f64_e32 v8, v[2:3]
	global_store_dwordx2 v[4:5], v[8:9], off
	s_mov_b64 s[14:15], -1
	s_mov_b64 s[0:1], 0
.LBB464_43:
	s_mov_b64 s[20:21], 0
.LBB464_44:
	s_and_b64 vcc, exec, s[20:21]
	s_cbranch_vccz .LBB464_60
; %bb.45:
	s_cmp_lt_i32 s27, 27
	s_mov_b64 s[14:15], -1
	s_cbranch_scc1 .LBB464_51
; %bb.46:
	s_cmp_gt_i32 s27, 27
	v_cvt_u32_f64_e32 v2, v[0:1]
	s_cbranch_scc0 .LBB464_48
; %bb.47:
	s_mov_b64 s[14:15], 0
	global_store_dword v[4:5], v2, off
.LBB464_48:
	s_andn2_b64 vcc, exec, s[14:15]
	s_cbranch_vccnz .LBB464_50
; %bb.49:
	global_store_short v[4:5], v2, off
.LBB464_50:
	s_mov_b64 s[14:15], 0
.LBB464_51:
	s_andn2_b64 vcc, exec, s[14:15]
	s_cbranch_vccnz .LBB464_59
; %bb.52:
	v_cvt_f32_f64_e32 v2, v[0:1]
	v_and_b32_e32 v3, 0x7fffffff, v2
	s_mov_b32 s14, 0x43800000
	v_cmp_gt_u32_e32 vcc, s14, v3
	v_mov_b32_e32 v6, 0x80
	s_and_saveexec_b64 s[14:15], vcc
	s_cbranch_execz .LBB464_58
; %bb.53:
	s_mov_b32 s20, 0x3bffffff
	v_cmp_lt_u32_e32 vcc, s20, v3
	s_mov_b64 s[20:21], 0
                                        ; implicit-def: $vgpr3
	s_and_saveexec_b64 s[24:25], vcc
	s_xor_b64 s[24:25], exec, s[24:25]
	s_cbranch_execz .LBB464_279
; %bb.54:
	v_bfe_u32 v3, v2, 20, 1
	s_mov_b32 s28, 0x487ffff
	v_add3_u32 v3, v2, v3, s28
	s_mov_b64 s[20:21], exec
	v_lshrrev_b32_e32 v3, 20, v3
	s_andn2_saveexec_b64 s[24:25], s[24:25]
	s_cbranch_execnz .LBB464_280
.LBB464_55:
	s_or_b64 exec, exec, s[24:25]
	v_mov_b32_e32 v6, 0
	s_and_saveexec_b64 s[24:25], s[20:21]
.LBB464_56:
	v_lshrrev_b32_e32 v2, 24, v2
	s_movk_i32 s20, 0x80
	v_and_or_b32 v6, v2, s20, v3
.LBB464_57:
	s_or_b64 exec, exec, s[24:25]
.LBB464_58:
	s_or_b64 exec, exec, s[14:15]
	global_store_byte v[4:5], v6, off
.LBB464_59:
	s_mov_b64 s[14:15], -1
.LBB464_60:
	s_mov_b64 s[20:21], 0
.LBB464_61:
	s_and_b64 vcc, exec, s[20:21]
	s_cbranch_vccz .LBB464_102
; %bb.62:
	s_cmp_gt_i32 s27, 22
	s_mov_b64 s[20:21], -1
	s_cbranch_scc0 .LBB464_94
; %bb.63:
	s_cmp_lt_i32 s27, 24
	s_mov_b64 s[14:15], -1
	s_cbranch_scc1 .LBB464_83
; %bb.64:
	s_cmp_gt_i32 s27, 24
	s_cbranch_scc0 .LBB464_72
; %bb.65:
	v_cvt_f32_f64_e32 v2, v[0:1]
	v_and_b32_e32 v3, 0x7fffffff, v2
	s_mov_b32 s14, 0x47800000
	v_cmp_gt_u32_e32 vcc, s14, v3
	v_mov_b32_e32 v6, 0x80
	s_and_saveexec_b64 s[14:15], vcc
	s_cbranch_execz .LBB464_71
; %bb.66:
	s_mov_b32 s20, 0x37ffffff
	v_cmp_lt_u32_e32 vcc, s20, v3
	s_mov_b64 s[20:21], 0
                                        ; implicit-def: $vgpr3
	s_and_saveexec_b64 s[24:25], vcc
	s_xor_b64 s[24:25], exec, s[24:25]
	s_cbranch_execz .LBB464_283
; %bb.67:
	v_bfe_u32 v3, v2, 21, 1
	s_mov_b32 s28, 0x88fffff
	v_add3_u32 v3, v2, v3, s28
	s_mov_b64 s[20:21], exec
	v_lshrrev_b32_e32 v3, 21, v3
	s_andn2_saveexec_b64 s[24:25], s[24:25]
	s_cbranch_execnz .LBB464_284
.LBB464_68:
	s_or_b64 exec, exec, s[24:25]
	v_mov_b32_e32 v6, 0
	s_and_saveexec_b64 s[24:25], s[20:21]
.LBB464_69:
	v_lshrrev_b32_e32 v2, 24, v2
	s_movk_i32 s20, 0x80
	v_and_or_b32 v6, v2, s20, v3
.LBB464_70:
	s_or_b64 exec, exec, s[24:25]
.LBB464_71:
	s_or_b64 exec, exec, s[14:15]
	s_mov_b64 s[14:15], 0
	global_store_byte v[4:5], v6, off
.LBB464_72:
	s_and_b64 vcc, exec, s[14:15]
	s_cbranch_vccz .LBB464_82
; %bb.73:
	v_cvt_f32_f64_e32 v2, v[0:1]
	v_and_b32_e32 v6, 0x7fffffff, v2
	s_mov_b32 s14, 0x43f00000
	v_cmp_gt_u32_e32 vcc, s14, v6
                                        ; implicit-def: $vgpr3
	s_and_saveexec_b64 s[14:15], vcc
	s_xor_b64 s[14:15], exec, s[14:15]
	s_cbranch_execz .LBB464_79
; %bb.74:
	s_mov_b32 s20, 0x3c7fffff
	v_cmp_lt_u32_e32 vcc, s20, v6
                                        ; implicit-def: $vgpr3
	s_and_saveexec_b64 s[20:21], vcc
	s_xor_b64 s[20:21], exec, s[20:21]
; %bb.75:
	v_bfe_u32 v3, v2, 20, 1
	s_mov_b32 s24, 0x407ffff
	v_add3_u32 v3, v2, v3, s24
	v_lshrrev_b32_e32 v6, 20, v3
	v_and_b32_e32 v3, 0xff00000, v3
	s_mov_b32 s24, 0x7f00000
	v_mov_b32_e32 v7, 0x7e
	v_cmp_ne_u32_e32 vcc, s24, v3
	s_nop 1
	v_cndmask_b32_e32 v3, v7, v6, vcc
; %bb.76:
	s_andn2_saveexec_b64 s[20:21], s[20:21]
; %bb.77:
	s_mov_b32 s24, 0x46800000
	v_add_f32_e64 v3, |v2|, s24
; %bb.78:
	s_or_b64 exec, exec, s[20:21]
                                        ; implicit-def: $vgpr6
.LBB464_79:
	s_andn2_saveexec_b64 s[14:15], s[14:15]
; %bb.80:
	s_mov_b32 s20, 0x7f800000
	v_mov_b32_e32 v3, 0x7e
	v_mov_b32_e32 v7, 0x7f
	v_cmp_lt_u32_e32 vcc, s20, v6
	s_nop 1
	v_cndmask_b32_e32 v3, v3, v7, vcc
; %bb.81:
	s_or_b64 exec, exec, s[14:15]
	v_lshrrev_b32_e32 v2, 24, v2
	s_movk_i32 s14, 0x80
	v_and_or_b32 v2, v2, s14, v3
	global_store_byte v[4:5], v2, off
.LBB464_82:
	s_mov_b64 s[14:15], 0
.LBB464_83:
	s_andn2_b64 vcc, exec, s[14:15]
	s_cbranch_vccnz .LBB464_93
; %bb.84:
	v_cvt_f32_f64_e32 v2, v[0:1]
	v_and_b32_e32 v6, 0x7fffffff, v2
	s_mov_b32 s14, 0x47800000
	v_cmp_gt_u32_e32 vcc, s14, v6
                                        ; implicit-def: $vgpr3
	s_and_saveexec_b64 s[14:15], vcc
	s_xor_b64 s[14:15], exec, s[14:15]
	s_cbranch_execz .LBB464_90
; %bb.85:
	s_mov_b32 s20, 0x387fffff
	v_cmp_lt_u32_e32 vcc, s20, v6
                                        ; implicit-def: $vgpr3
	s_and_saveexec_b64 s[20:21], vcc
	s_xor_b64 s[20:21], exec, s[20:21]
; %bb.86:
	v_bfe_u32 v3, v2, 21, 1
	s_mov_b32 s24, 0x80fffff
	v_add3_u32 v3, v2, v3, s24
	v_lshrrev_b32_e32 v3, 21, v3
; %bb.87:
	s_andn2_saveexec_b64 s[20:21], s[20:21]
; %bb.88:
	s_mov_b32 s24, 0x43000000
	v_add_f32_e64 v3, |v2|, s24
; %bb.89:
	s_or_b64 exec, exec, s[20:21]
                                        ; implicit-def: $vgpr6
.LBB464_90:
	s_andn2_saveexec_b64 s[14:15], s[14:15]
; %bb.91:
	s_mov_b32 s20, 0x7f800000
	v_mov_b32_e32 v3, 0x7c
	v_mov_b32_e32 v7, 0x7f
	v_cmp_lt_u32_e32 vcc, s20, v6
	s_nop 1
	v_cndmask_b32_e32 v3, v3, v7, vcc
; %bb.92:
	s_or_b64 exec, exec, s[14:15]
	v_lshrrev_b32_e32 v2, 24, v2
	s_movk_i32 s14, 0x80
	v_and_or_b32 v2, v2, s14, v3
	global_store_byte v[4:5], v2, off
.LBB464_93:
	s_mov_b64 s[20:21], 0
	s_mov_b64 s[14:15], -1
.LBB464_94:
	s_andn2_b64 vcc, exec, s[20:21]
	s_cbranch_vccnz .LBB464_102
; %bb.95:
	s_cmp_gt_i32 s27, 14
	s_mov_b64 s[20:21], -1
	s_cbranch_scc0 .LBB464_99
; %bb.96:
	s_cmp_eq_u32 s27, 15
	s_mov_b64 s[0:1], -1
	s_cbranch_scc0 .LBB464_98
; %bb.97:
	v_cvt_f32_f64_e32 v2, v[0:1]
	v_bfe_u32 v3, v2, 16, 1
	s_movk_i32 s0, 0x7fff
	v_add3_u32 v3, v2, v3, s0
	v_cmp_o_f32_e32 vcc, v2, v2
	v_mov_b32_e32 v2, 0x7fc0
	s_mov_b64 s[14:15], -1
	v_cndmask_b32_sdwa v2, v2, v3, vcc dst_sel:DWORD dst_unused:UNUSED_PAD src0_sel:DWORD src1_sel:WORD_1
	global_store_short v[4:5], v2, off
	s_mov_b64 s[0:1], 0
.LBB464_98:
	s_mov_b64 s[20:21], 0
.LBB464_99:
	s_and_b64 vcc, exec, s[20:21]
	s_cbranch_vccz .LBB464_102
; %bb.100:
	s_cmp_eq_u32 s27, 11
	s_mov_b64 s[0:1], -1
	s_cbranch_scc0 .LBB464_102
; %bb.101:
	v_cmp_neq_f64_e32 vcc, 0, v[0:1]
	s_mov_b64 s[0:1], 0
	s_mov_b64 s[14:15], -1
	v_cndmask_b32_e64 v2, 0, 1, vcc
	global_store_byte v[4:5], v2, off
.LBB464_102:
	s_branch .LBB464_20
.LBB464_103:
	s_and_b32 s20, 0xffff, s26
	s_cmp_lt_i32 s20, 5
	s_mov_b64 s[14:15], -1
	s_cbranch_scc1 .LBB464_124
; %bb.104:
	s_cmp_lt_i32 s20, 8
	s_cbranch_scc1 .LBB464_114
; %bb.105:
	s_cmp_lt_i32 s20, 9
	s_cbranch_scc1 .LBB464_111
; %bb.106:
	s_cmp_gt_i32 s20, 9
	s_cbranch_scc0 .LBB464_108
; %bb.107:
	v_mov_b32_e32 v2, 0
	v_mov_b32_e32 v3, v2
	global_store_dwordx4 v[4:5], v[0:3], off
	s_mov_b64 s[14:15], 0
.LBB464_108:
	s_andn2_b64 vcc, exec, s[14:15]
	s_cbranch_vccnz .LBB464_110
; %bb.109:
	v_cvt_f32_f64_e32 v2, v[0:1]
	v_mov_b32_e32 v3, 0
	global_store_dwordx2 v[4:5], v[2:3], off
.LBB464_110:
	s_mov_b64 s[14:15], 0
.LBB464_111:
	s_andn2_b64 vcc, exec, s[14:15]
	s_cbranch_vccnz .LBB464_113
; %bb.112:
	s_movk_i32 s14, 0x1ff
	v_and_or_b32 v2, v1, s14, v0
	v_cmp_ne_u32_e32 vcc, 0, v2
	v_lshrrev_b32_e32 v3, 8, v1
	s_movk_i32 s14, 0xffe
	v_cndmask_b32_e64 v2, 0, 1, vcc
	v_bfe_u32 v6, v1, 20, 11
	v_and_or_b32 v2, v3, s14, v2
	v_sub_u32_e32 v7, 0x3f1, v6
	v_or_b32_e32 v3, 0x1000, v2
	v_med3_i32 v7, v7, 0, 13
	v_lshrrev_b32_e32 v8, v7, v3
	v_lshlrev_b32_e32 v7, v7, v8
	v_cmp_ne_u32_e32 vcc, v7, v3
	v_add_u32_e32 v6, 0xfffffc10, v6
	v_lshl_or_b32 v7, v6, 12, v2
	v_cndmask_b32_e64 v3, 0, 1, vcc
	v_or_b32_e32 v3, v8, v3
	v_cmp_gt_i32_e32 vcc, 1, v6
	s_movk_i32 s14, 0x40f
	s_nop 0
	v_cndmask_b32_e32 v3, v7, v3, vcc
	v_and_b32_e32 v7, 7, v3
	v_cmp_lt_i32_e32 vcc, 5, v7
	v_lshrrev_b32_e32 v3, 2, v3
	s_nop 0
	v_cndmask_b32_e64 v8, 0, 1, vcc
	v_cmp_eq_u32_e32 vcc, 3, v7
	s_nop 1
	v_cndmask_b32_e64 v7, 0, 1, vcc
	v_or_b32_e32 v7, v7, v8
	v_add_u32_e32 v3, v3, v7
	v_mov_b32_e32 v7, 0x7c00
	v_cmp_gt_i32_e32 vcc, 31, v6
	v_mov_b32_e32 v8, 0x7e00
	s_nop 0
	v_cndmask_b32_e32 v3, v7, v3, vcc
	v_cmp_ne_u32_e32 vcc, 0, v2
	s_nop 1
	v_cndmask_b32_e32 v2, v7, v8, vcc
	v_cmp_eq_u32_e32 vcc, s14, v6
	s_mov_b32 s14, 0x8000
	s_nop 0
	v_cndmask_b32_e32 v2, v3, v2, vcc
	v_and_b32_sdwa v3, v1, s14 dst_sel:DWORD dst_unused:UNUSED_PAD src0_sel:WORD_1 src1_sel:DWORD
	s_mov_b32 s14, 0xffff
	v_bitop3_b32 v2, v3, s14, v2 bitop3:0xc8
	global_store_dword v[4:5], v2, off
.LBB464_113:
	s_mov_b64 s[14:15], 0
.LBB464_114:
	s_andn2_b64 vcc, exec, s[14:15]
	s_cbranch_vccnz .LBB464_123
; %bb.115:
	s_cmp_lt_i32 s20, 6
	s_mov_b64 s[14:15], -1
	s_cbranch_scc1 .LBB464_121
; %bb.116:
	s_cmp_gt_i32 s20, 6
	s_cbranch_scc0 .LBB464_118
; %bb.117:
	global_store_dwordx2 v[4:5], v[0:1], off
	s_mov_b64 s[14:15], 0
.LBB464_118:
	s_andn2_b64 vcc, exec, s[14:15]
	s_cbranch_vccnz .LBB464_120
; %bb.119:
	v_cvt_f32_f64_e32 v2, v[0:1]
	global_store_dword v[4:5], v2, off
.LBB464_120:
	s_mov_b64 s[14:15], 0
.LBB464_121:
	s_andn2_b64 vcc, exec, s[14:15]
	s_cbranch_vccnz .LBB464_123
; %bb.122:
	s_movk_i32 s14, 0x1ff
	v_and_or_b32 v2, v1, s14, v0
	v_cmp_ne_u32_e32 vcc, 0, v2
	v_lshrrev_b32_e32 v3, 8, v1
	s_movk_i32 s14, 0xffe
	v_cndmask_b32_e64 v2, 0, 1, vcc
	v_bfe_u32 v6, v1, 20, 11
	v_and_or_b32 v2, v3, s14, v2
	v_sub_u32_e32 v7, 0x3f1, v6
	v_or_b32_e32 v3, 0x1000, v2
	v_med3_i32 v7, v7, 0, 13
	v_lshrrev_b32_e32 v8, v7, v3
	v_lshlrev_b32_e32 v7, v7, v8
	v_cmp_ne_u32_e32 vcc, v7, v3
	v_add_u32_e32 v6, 0xfffffc10, v6
	v_lshl_or_b32 v7, v6, 12, v2
	v_cndmask_b32_e64 v3, 0, 1, vcc
	v_or_b32_e32 v3, v8, v3
	v_cmp_gt_i32_e32 vcc, 1, v6
	s_movk_i32 s14, 0x40f
	s_nop 0
	v_cndmask_b32_e32 v3, v7, v3, vcc
	v_and_b32_e32 v7, 7, v3
	v_cmp_lt_i32_e32 vcc, 5, v7
	v_lshrrev_b32_e32 v3, 2, v3
	s_nop 0
	v_cndmask_b32_e64 v8, 0, 1, vcc
	v_cmp_eq_u32_e32 vcc, 3, v7
	s_nop 1
	v_cndmask_b32_e64 v7, 0, 1, vcc
	v_or_b32_e32 v7, v7, v8
	v_add_u32_e32 v3, v3, v7
	v_mov_b32_e32 v7, 0x7c00
	v_cmp_gt_i32_e32 vcc, 31, v6
	v_mov_b32_e32 v8, 0x7e00
	s_nop 0
	v_cndmask_b32_e32 v3, v7, v3, vcc
	v_cmp_ne_u32_e32 vcc, 0, v2
	s_nop 1
	v_cndmask_b32_e32 v2, v7, v8, vcc
	v_cmp_eq_u32_e32 vcc, s14, v6
	s_mov_b32 s14, 0x8000
	s_nop 0
	v_cndmask_b32_e32 v2, v3, v2, vcc
	v_lshrrev_b32_e32 v3, 16, v1
	v_and_or_b32 v2, v3, s14, v2
	global_store_short v[4:5], v2, off
.LBB464_123:
	s_mov_b64 s[14:15], 0
.LBB464_124:
	s_andn2_b64 vcc, exec, s[14:15]
	s_cbranch_vccnz .LBB464_140
; %bb.125:
	s_cmp_lt_i32 s20, 2
	s_mov_b64 s[14:15], -1
	s_cbranch_scc1 .LBB464_135
; %bb.126:
	s_cmp_lt_i32 s20, 3
	s_cbranch_scc1 .LBB464_132
; %bb.127:
	s_cmp_gt_i32 s20, 3
	s_cbranch_scc0 .LBB464_129
; %bb.128:
	v_trunc_f64_e32 v[2:3], v[0:1]
	s_movk_i32 s14, 0xffe0
	v_ldexp_f64 v[6:7], v[2:3], s14
	v_floor_f64_e32 v[6:7], v[6:7]
	v_fmac_f64_e32 v[2:3], 0xc1f00000, v[6:7]
	v_cvt_i32_f64_e32 v9, v[6:7]
	v_cvt_u32_f64_e32 v8, v[2:3]
	global_store_dwordx2 v[4:5], v[8:9], off
	s_mov_b64 s[14:15], 0
.LBB464_129:
	s_andn2_b64 vcc, exec, s[14:15]
	s_cbranch_vccnz .LBB464_131
; %bb.130:
	v_cvt_i32_f64_e32 v2, v[0:1]
	global_store_dword v[4:5], v2, off
.LBB464_131:
	s_mov_b64 s[14:15], 0
.LBB464_132:
	s_andn2_b64 vcc, exec, s[14:15]
	s_cbranch_vccnz .LBB464_134
; %bb.133:
	v_cvt_i32_f64_e32 v2, v[0:1]
	global_store_short v[4:5], v2, off
.LBB464_134:
	s_mov_b64 s[14:15], 0
.LBB464_135:
	s_andn2_b64 vcc, exec, s[14:15]
	s_cbranch_vccnz .LBB464_140
; %bb.136:
	s_cmp_gt_i32 s20, 0
	s_mov_b64 s[14:15], -1
	s_cbranch_scc0 .LBB464_138
; %bb.137:
	v_cvt_i32_f64_e32 v2, v[0:1]
	global_store_byte v[4:5], v2, off
	s_mov_b64 s[14:15], 0
.LBB464_138:
	s_andn2_b64 vcc, exec, s[14:15]
	s_cbranch_vccnz .LBB464_140
; %bb.139:
	v_trunc_f64_e32 v[0:1], v[0:1]
	s_movk_i32 s14, 0xffe0
	v_ldexp_f64 v[2:3], v[0:1], s14
	v_floor_f64_e32 v[2:3], v[2:3]
	v_fmac_f64_e32 v[0:1], 0xc1f00000, v[2:3]
	v_cvt_u32_f64_e32 v0, v[0:1]
	global_store_byte v[4:5], v0, off
.LBB464_140:
	s_branch .LBB464_21
.LBB464_141:
	s_mov_b64 s[20:21], 0
                                        ; implicit-def: $vgpr12
	s_branch .LBB464_251
.LBB464_142:
	s_mov_b64 s[16:17], -1
                                        ; implicit-def: $vgpr2_vgpr3
.LBB464_143:
	s_mov_b64 s[14:15], 0
.LBB464_144:
	s_and_b64 vcc, exec, s[14:15]
	s_cbranch_vccz .LBB464_148
; %bb.145:
	s_cmp_eq_u32 s24, 29
	s_cbranch_scc0 .LBB464_147
; %bb.146:
	global_load_dwordx2 v[2:3], v[0:1], off
	s_mov_b64 s[0:1], -1
	s_mov_b64 s[16:17], 0
	s_mov_b64 s[14:15], 0
	s_waitcnt vmcnt(0)
	v_cvt_f64_u32_e32 v[4:5], v3
	v_cvt_f64_u32_e32 v[2:3], v2
	v_ldexp_f64 v[4:5], v[4:5], 32
	v_add_f64 v[2:3], v[4:5], v[2:3]
	s_branch .LBB464_149
.LBB464_147:
	s_mov_b64 s[16:17], -1
                                        ; implicit-def: $vgpr2_vgpr3
.LBB464_148:
	s_mov_b64 s[14:15], 0
.LBB464_149:
	s_and_b64 vcc, exec, s[14:15]
	s_cbranch_vccz .LBB464_169
; %bb.150:
	s_cmp_lt_i32 s24, 27
	s_cbranch_scc1 .LBB464_153
; %bb.151:
	s_cmp_gt_i32 s24, 27
	s_cbranch_scc0 .LBB464_154
; %bb.152:
	global_load_dword v2, v[0:1], off
	s_mov_b64 s[0:1], 0
	s_waitcnt vmcnt(0)
	v_cvt_f64_u32_e32 v[2:3], v2
	s_branch .LBB464_155
.LBB464_153:
	s_mov_b64 s[0:1], -1
                                        ; implicit-def: $vgpr2_vgpr3
	s_branch .LBB464_158
.LBB464_154:
	s_mov_b64 s[0:1], -1
                                        ; implicit-def: $vgpr2_vgpr3
.LBB464_155:
	s_andn2_b64 vcc, exec, s[0:1]
	s_cbranch_vccnz .LBB464_157
; %bb.156:
	global_load_ushort v2, v[0:1], off
	s_waitcnt vmcnt(0)
	v_cvt_f64_u32_e32 v[2:3], v2
.LBB464_157:
	s_mov_b64 s[0:1], 0
.LBB464_158:
	s_andn2_b64 vcc, exec, s[0:1]
	s_cbranch_vccnz .LBB464_168
; %bb.159:
	global_load_ubyte v4, v[0:1], off
	s_movk_i32 s0, 0x7f
	s_waitcnt vmcnt(0)
	v_cmp_lt_i16_e32 vcc, s0, v4
	s_mov_b64 s[0:1], 0
	s_and_saveexec_b64 s[14:15], vcc
	s_xor_b64 s[14:15], exec, s[14:15]
	s_cbranch_execz .LBB464_163
; %bb.160:
	s_movk_i32 s0, 0x80
	v_cmp_eq_u16_e32 vcc, s0, v4
	s_mov_b64 s[0:1], -1
	s_and_saveexec_b64 s[20:21], vcc
; %bb.161:
	s_xor_b64 s[0:1], exec, -1
; %bb.162:
	s_or_b64 exec, exec, s[20:21]
	s_and_b64 s[0:1], s[0:1], exec
.LBB464_163:
	s_or_saveexec_b64 s[14:15], s[14:15]
	v_bfrev_b32_e32 v2, 4
	v_mov_b32_e32 v3, 0x7ff80000
	s_xor_b64 exec, exec, s[14:15]
; %bb.164:
	v_cmp_ne_u16_e32 vcc, 0, v4
	s_andn2_b64 s[0:1], s[0:1], exec
	s_and_b64 s[20:21], vcc, exec
	v_mov_b64_e32 v[2:3], 0
	s_or_b64 s[0:1], s[0:1], s[20:21]
; %bb.165:
	s_or_b64 exec, exec, s[14:15]
	s_and_saveexec_b64 s[14:15], s[0:1]
	s_cbranch_execz .LBB464_167
; %bb.166:
	v_and_b32_e32 v3, 0xffff, v4
	v_lshlrev_b32_e32 v2, 24, v4
	v_and_b32_e32 v4, 7, v3
	v_ffbh_u32_e32 v6, v4
	v_min_u32_e32 v6, 32, v6
	v_subrev_u32_e32 v7, 28, v6
	v_bfe_u32 v5, v3, 3, 4
	v_lshlrev_b32_e32 v3, v7, v3
	v_sub_u32_e32 v6, 29, v6
	v_and_b32_e32 v3, 7, v3
	v_cmp_eq_u32_e32 vcc, 0, v5
	v_and_b32_e32 v2, 0x80000000, v2
	s_nop 0
	v_cndmask_b32_e32 v5, v5, v6, vcc
	v_cndmask_b32_e32 v3, v4, v3, vcc
	v_mov_b32_e32 v4, 0x3b800000
	v_lshlrev_b32_e32 v3, 20, v3
	v_lshl_add_u32 v4, v5, 23, v4
	v_or3_b32 v2, v2, v4, v3
	v_cvt_f64_f32_e32 v[2:3], v2
.LBB464_167:
	s_or_b64 exec, exec, s[14:15]
.LBB464_168:
	s_mov_b64 s[0:1], -1
.LBB464_169:
	s_branch .LBB464_202
.LBB464_170:
	s_cmp_gt_i32 s24, 22
	s_cbranch_scc0 .LBB464_182
; %bb.171:
	s_cmp_lt_i32 s24, 24
	s_cbranch_scc1 .LBB464_183
; %bb.172:
	s_cmp_gt_i32 s24, 24
	s_cbranch_scc0 .LBB464_184
; %bb.173:
	global_load_ubyte v4, v[0:1], off
	s_movk_i32 s0, 0x7f
	s_waitcnt vmcnt(0)
	v_cmp_lt_i16_e32 vcc, s0, v4
	s_mov_b64 s[0:1], 0
	s_and_saveexec_b64 s[14:15], vcc
	s_xor_b64 s[14:15], exec, s[14:15]
	s_cbranch_execz .LBB464_177
; %bb.174:
	s_movk_i32 s0, 0x80
	v_cmp_eq_u16_e32 vcc, s0, v4
	s_mov_b64 s[0:1], -1
	s_and_saveexec_b64 s[20:21], vcc
; %bb.175:
	s_xor_b64 s[0:1], exec, -1
; %bb.176:
	s_or_b64 exec, exec, s[20:21]
	s_and_b64 s[0:1], s[0:1], exec
.LBB464_177:
	s_or_saveexec_b64 s[14:15], s[14:15]
	v_bfrev_b32_e32 v2, 4
	v_mov_b32_e32 v3, 0x7ff80000
	s_xor_b64 exec, exec, s[14:15]
; %bb.178:
	v_cmp_ne_u16_e32 vcc, 0, v4
	s_andn2_b64 s[0:1], s[0:1], exec
	s_and_b64 s[20:21], vcc, exec
	v_mov_b64_e32 v[2:3], 0
	s_or_b64 s[0:1], s[0:1], s[20:21]
; %bb.179:
	s_or_b64 exec, exec, s[14:15]
	s_and_saveexec_b64 s[14:15], s[0:1]
	s_cbranch_execz .LBB464_181
; %bb.180:
	v_and_b32_e32 v3, 0xffff, v4
	v_lshlrev_b32_e32 v2, 24, v4
	v_and_b32_e32 v4, 3, v3
	v_ffbh_u32_e32 v6, v4
	v_min_u32_e32 v6, 32, v6
	v_subrev_u32_e32 v7, 29, v6
	v_bfe_u32 v5, v3, 2, 5
	v_lshlrev_b32_e32 v3, v7, v3
	v_sub_u32_e32 v6, 30, v6
	v_and_b32_e32 v3, 3, v3
	v_cmp_eq_u32_e32 vcc, 0, v5
	v_and_b32_e32 v2, 0x80000000, v2
	s_nop 0
	v_cndmask_b32_e32 v5, v5, v6, vcc
	v_cndmask_b32_e32 v3, v4, v3, vcc
	v_mov_b32_e32 v4, 0x37800000
	v_lshlrev_b32_e32 v3, 21, v3
	v_lshl_add_u32 v4, v5, 23, v4
	v_or3_b32 v2, v2, v4, v3
	v_cvt_f64_f32_e32 v[2:3], v2
.LBB464_181:
	s_or_b64 exec, exec, s[14:15]
	s_mov_b64 s[0:1], 0
	s_branch .LBB464_185
.LBB464_182:
	s_mov_b64 s[14:15], -1
                                        ; implicit-def: $vgpr2_vgpr3
	s_branch .LBB464_191
.LBB464_183:
	s_mov_b64 s[0:1], -1
                                        ; implicit-def: $vgpr2_vgpr3
	s_branch .LBB464_188
.LBB464_184:
	s_mov_b64 s[0:1], -1
                                        ; implicit-def: $vgpr2_vgpr3
.LBB464_185:
	s_and_b64 vcc, exec, s[0:1]
	s_cbranch_vccz .LBB464_187
; %bb.186:
	global_load_ubyte v2, v[0:1], off
	s_mov_b32 s0, 0x7f800000
	s_waitcnt vmcnt(0)
	v_lshlrev_b32_e32 v2, 24, v2
	v_and_b32_e32 v3, 0x7f000000, v2
	v_ffbh_u32_e32 v4, v3
	v_min_u32_e32 v4, 32, v4
	v_sub_u32_e64 v4, v4, 4 clamp
	v_lshlrev_b32_e32 v6, v4, v3
	v_lshlrev_b32_e32 v4, 23, v4
	v_lshrrev_b32_e32 v6, 4, v6
	v_add_u32_e32 v5, 0x1000000, v3
	v_sub_u32_e32 v4, v6, v4
	v_ashrrev_i32_e32 v5, 8, v5
	v_add_u32_e32 v4, 0x3c000000, v4
	v_and_or_b32 v4, v5, s0, v4
	v_cmp_ne_u32_e32 vcc, 0, v3
	s_brev_b32 s0, 1
	s_nop 0
	v_cndmask_b32_e32 v3, 0, v4, vcc
	v_and_or_b32 v2, v2, s0, v3
	v_cvt_f64_f32_e32 v[2:3], v2
.LBB464_187:
	s_mov_b64 s[0:1], 0
.LBB464_188:
	s_andn2_b64 vcc, exec, s[0:1]
	s_cbranch_vccnz .LBB464_190
; %bb.189:
	global_load_ubyte v2, v[0:1], off
	s_movk_i32 s0, 0x7f00
	s_brev_b32 s1, 16
	s_waitcnt vmcnt(0)
	v_lshlrev_b16_e32 v3, 8, v2
	v_lshlrev_b32_e32 v2, 25, v2
	v_lshrrev_b32_e32 v4, 4, v2
	v_and_or_b32 v5, v3, s0, 0.5
	v_or_b32_e32 v4, 0x70000000, v4
	v_add_f32_e32 v5, -0.5, v5
	v_mul_f32_e32 v4, 0x7800000, v4
	v_cmp_gt_u32_e32 vcc, s1, v2
	v_bfe_i32 v3, v3, 0, 16
	s_brev_b32 s0, 1
	v_cndmask_b32_e32 v2, v4, v5, vcc
	v_and_or_b32 v2, v3, s0, v2
	v_cvt_f64_f32_e32 v[2:3], v2
.LBB464_190:
	s_mov_b64 s[14:15], 0
	s_mov_b64 s[0:1], -1
.LBB464_191:
	s_andn2_b64 vcc, exec, s[14:15]
	s_cbranch_vccnz .LBB464_202
; %bb.192:
	s_cmp_gt_i32 s24, 14
	s_cbranch_scc0 .LBB464_195
; %bb.193:
	s_cmp_eq_u32 s24, 15
	s_cbranch_scc0 .LBB464_196
; %bb.194:
	global_load_ushort v2, v[0:1], off
	s_mov_b64 s[0:1], -1
	s_mov_b64 s[16:17], 0
	s_waitcnt vmcnt(0)
	v_lshlrev_b32_e32 v2, 16, v2
	v_cvt_f64_f32_e32 v[2:3], v2
	s_branch .LBB464_197
.LBB464_195:
	s_mov_b64 s[14:15], -1
                                        ; implicit-def: $vgpr2_vgpr3
	s_branch .LBB464_198
.LBB464_196:
	s_mov_b64 s[16:17], -1
                                        ; implicit-def: $vgpr2_vgpr3
.LBB464_197:
	s_mov_b64 s[14:15], 0
.LBB464_198:
	s_and_b64 vcc, exec, s[14:15]
	s_cbranch_vccz .LBB464_202
; %bb.199:
	s_cmp_eq_u32 s24, 11
	s_cbranch_scc0 .LBB464_201
; %bb.200:
	global_load_ubyte v3, v[0:1], off
	v_mov_b32_e32 v4, 0x3ff00000
	v_mov_b32_e32 v2, 0
	s_mov_b64 s[0:1], -1
	s_mov_b64 s[16:17], 0
	s_waitcnt vmcnt(0)
	v_cmp_ne_u16_e32 vcc, 0, v3
	s_nop 1
	v_cndmask_b32_e32 v3, 0, v4, vcc
	s_branch .LBB464_202
.LBB464_201:
	s_mov_b64 s[16:17], -1
                                        ; implicit-def: $vgpr2_vgpr3
.LBB464_202:
	s_branch .LBB464_10
.LBB464_203:
	s_cmp_lt_i32 s24, 5
	s_cbranch_scc1 .LBB464_208
; %bb.204:
	s_cmp_lt_i32 s24, 8
	s_cbranch_scc1 .LBB464_209
; %bb.205:
	;; [unrolled: 3-line block ×3, first 2 shown]
	s_cmp_gt_i32 s24, 9
	s_cbranch_scc0 .LBB464_211
; %bb.207:
	global_load_dwordx2 v[2:3], v[0:1], off
	s_mov_b64 s[0:1], 0
	s_branch .LBB464_212
.LBB464_208:
                                        ; implicit-def: $vgpr2_vgpr3
	s_branch .LBB464_230
.LBB464_209:
	s_mov_b64 s[0:1], -1
                                        ; implicit-def: $vgpr2_vgpr3
	s_branch .LBB464_218
.LBB464_210:
	s_mov_b64 s[0:1], -1
                                        ; implicit-def: $vgpr2_vgpr3
	s_branch .LBB464_215
.LBB464_211:
	s_mov_b64 s[0:1], -1
                                        ; implicit-def: $vgpr2_vgpr3
.LBB464_212:
	s_andn2_b64 vcc, exec, s[0:1]
	s_cbranch_vccnz .LBB464_214
; %bb.213:
	global_load_dword v2, v[0:1], off
	s_waitcnt vmcnt(0)
	v_cvt_f64_f32_e32 v[2:3], v2
.LBB464_214:
	s_mov_b64 s[0:1], 0
.LBB464_215:
	s_andn2_b64 vcc, exec, s[0:1]
	s_cbranch_vccnz .LBB464_217
; %bb.216:
	global_load_dword v2, v[0:1], off
	s_waitcnt vmcnt(0)
	v_cvt_f32_f16_e32 v2, v2
	v_cvt_f64_f32_e32 v[2:3], v2
.LBB464_217:
	s_mov_b64 s[0:1], 0
.LBB464_218:
	s_andn2_b64 vcc, exec, s[0:1]
	s_cbranch_vccnz .LBB464_229
; %bb.219:
	s_cmp_lt_i32 s24, 6
	s_cbranch_scc1 .LBB464_222
; %bb.220:
	s_cmp_gt_i32 s24, 6
	s_cbranch_scc0 .LBB464_223
; %bb.221:
	global_load_dwordx2 v[2:3], v[0:1], off
	s_mov_b64 s[0:1], 0
	s_branch .LBB464_224
.LBB464_222:
	s_mov_b64 s[0:1], -1
                                        ; implicit-def: $vgpr2_vgpr3
	s_branch .LBB464_227
.LBB464_223:
	s_mov_b64 s[0:1], -1
                                        ; implicit-def: $vgpr2_vgpr3
.LBB464_224:
	s_andn2_b64 vcc, exec, s[0:1]
	s_cbranch_vccnz .LBB464_226
; %bb.225:
	global_load_dword v2, v[0:1], off
	s_waitcnt vmcnt(0)
	v_cvt_f64_f32_e32 v[2:3], v2
.LBB464_226:
	s_mov_b64 s[0:1], 0
.LBB464_227:
	s_andn2_b64 vcc, exec, s[0:1]
	s_cbranch_vccnz .LBB464_229
; %bb.228:
	global_load_ushort v2, v[0:1], off
	s_waitcnt vmcnt(0)
	v_cvt_f32_f16_e32 v2, v2
	v_cvt_f64_f32_e32 v[2:3], v2
.LBB464_229:
	s_cbranch_execnz .LBB464_249
.LBB464_230:
	s_cmp_lt_i32 s24, 2
	s_cbranch_scc1 .LBB464_234
; %bb.231:
	s_cmp_lt_i32 s24, 3
	s_cbranch_scc1 .LBB464_235
; %bb.232:
	s_cmp_gt_i32 s24, 3
	s_cbranch_scc0 .LBB464_236
; %bb.233:
	global_load_dwordx2 v[2:3], v[0:1], off
	s_mov_b64 s[0:1], 0
	s_waitcnt vmcnt(0)
	v_cvt_f64_i32_e32 v[4:5], v3
	v_cvt_f64_u32_e32 v[2:3], v2
	v_ldexp_f64 v[4:5], v[4:5], 32
	v_add_f64 v[2:3], v[4:5], v[2:3]
	s_branch .LBB464_237
.LBB464_234:
	s_mov_b64 s[0:1], -1
                                        ; implicit-def: $vgpr2_vgpr3
	s_branch .LBB464_243
.LBB464_235:
	s_mov_b64 s[0:1], -1
                                        ; implicit-def: $vgpr2_vgpr3
	s_branch .LBB464_240
.LBB464_236:
	s_mov_b64 s[0:1], -1
                                        ; implicit-def: $vgpr2_vgpr3
.LBB464_237:
	s_andn2_b64 vcc, exec, s[0:1]
	s_cbranch_vccnz .LBB464_239
; %bb.238:
	global_load_dword v2, v[0:1], off
	s_waitcnt vmcnt(0)
	v_cvt_f64_i32_e32 v[2:3], v2
.LBB464_239:
	s_mov_b64 s[0:1], 0
.LBB464_240:
	s_andn2_b64 vcc, exec, s[0:1]
	s_cbranch_vccnz .LBB464_242
; %bb.241:
	global_load_sshort v2, v[0:1], off
	s_waitcnt vmcnt(0)
	v_cvt_f64_i32_e32 v[2:3], v2
.LBB464_242:
	s_mov_b64 s[0:1], 0
.LBB464_243:
	s_andn2_b64 vcc, exec, s[0:1]
	s_cbranch_vccnz .LBB464_249
; %bb.244:
	s_cmp_gt_i32 s24, 0
	s_cbranch_scc0 .LBB464_246
; %bb.245:
	global_load_sbyte v2, v[0:1], off
	s_mov_b64 s[0:1], 0
	s_waitcnt vmcnt(0)
	v_cvt_f64_i32_e32 v[2:3], v2
	s_branch .LBB464_247
.LBB464_246:
	s_mov_b64 s[0:1], -1
                                        ; implicit-def: $vgpr2_vgpr3
.LBB464_247:
	s_andn2_b64 vcc, exec, s[0:1]
	s_cbranch_vccnz .LBB464_249
; %bb.248:
	global_load_ubyte v0, v[0:1], off
	s_waitcnt vmcnt(0)
	v_cvt_f64_u32_e32 v[2:3], v0
.LBB464_249:
	s_branch .LBB464_11
.LBB464_250:
	s_mov_b64 s[0:1], 0
                                        ; implicit-def: $vgpr12
	s_mov_b64 s[20:21], 0
.LBB464_251:
	s_and_b64 s[14:15], s[0:1], exec
	s_and_b64 s[16:17], s[16:17], exec
	s_orn2_b64 s[20:21], s[20:21], exec
.LBB464_252:
	s_or_b64 exec, exec, s[18:19]
	s_mov_b64 s[24:25], 0
	s_mov_b64 s[0:1], 0
                                        ; implicit-def: $vgpr0_vgpr1
                                        ; implicit-def: $vgpr2_vgpr3
	s_and_saveexec_b64 s[18:19], s[20:21]
	s_cbranch_execz .LBB464_261
; %bb.253:
	v_cmp_gt_i32_e32 vcc, s40, v12
	s_mov_b64 s[0:1], -1
	s_mov_b64 s[20:21], s[16:17]
	s_mov_b64 s[22:23], s[14:15]
	s_and_saveexec_b64 s[24:25], vcc
	s_cbranch_execz .LBB464_513
; %bb.254:
	v_mul_lo_u32 v0, v12, s9
	v_ashrrev_i32_e32 v1, 31, v0
	s_and_b32 s28, 0xffff, s44
	s_cmp_lt_i32 s28, 11
	v_lshl_add_u64 v[0:1], s[6:7], 0, v[0:1]
	s_cbranch_scc1 .LBB464_264
; %bb.255:
	s_cmp_gt_i32 s28, 25
	s_cbranch_scc0 .LBB464_273
; %bb.256:
	s_cmp_gt_i32 s28, 28
	s_cbranch_scc0 .LBB464_275
	;; [unrolled: 3-line block ×4, first 2 shown]
; %bb.259:
	s_cmp_eq_u32 s28, 46
	s_mov_b64 s[22:23], 0
	s_cbranch_scc0 .LBB464_285
; %bb.260:
	global_load_dword v2, v[0:1], off
	s_mov_b64 s[20:21], 0
	s_waitcnt vmcnt(0)
	v_lshlrev_b32_e32 v2, 16, v2
	v_cvt_f64_f32_e32 v[2:3], v2
	s_branch .LBB464_286
.LBB464_261:
	s_or_b64 exec, exec, s[18:19]
	s_mov_b64 s[18:19], 0
	s_and_saveexec_b64 s[20:21], s[16:17]
	s_cbranch_execnz .LBB464_859
.LBB464_262:
	s_or_b64 exec, exec, s[20:21]
	s_and_saveexec_b64 s[16:17], s[22:23]
	s_xor_b64 s[16:17], exec, s[16:17]
	s_cbranch_execz .LBB464_860
.LBB464_263:
	global_load_ubyte v3, v[0:1], off
	v_mov_b32_e32 v4, 0x3ff00000
	s_waitcnt vmcnt(1)
	v_mov_b32_e32 v2, 0
	s_or_b64 s[0:1], s[0:1], exec
	s_waitcnt vmcnt(0)
	v_cmp_ne_u16_e32 vcc, 0, v3
	s_nop 1
	v_cndmask_b32_e32 v3, 0, v4, vcc
	s_or_b64 exec, exec, s[16:17]
	s_and_saveexec_b64 s[16:17], s[24:25]
	s_cbranch_execz .LBB464_906
	s_branch .LBB464_861
.LBB464_264:
	s_mov_b64 s[0:1], 0
                                        ; implicit-def: $vgpr2_vgpr3
	s_mov_b64 s[20:21], s[16:17]
	s_cbranch_execnz .LBB464_463
.LBB464_265:
	s_andn2_b64 vcc, exec, s[0:1]
	s_cbranch_vccnz .LBB464_511
.LBB464_266:
	v_max_f64 v[0:1], s[10:11], s[10:11]
	s_waitcnt vmcnt(0)
	v_max_f64 v[4:5], v[2:3], v[2:3]
	v_min_f64 v[0:1], v[4:5], v[0:1]
	v_cmp_u_f64_e32 vcc, v[2:3], v[2:3]
	s_and_b32 s30, s33, 0xff
	s_cmp_lt_i32 s30, 11
	v_cndmask_b32_e32 v0, v0, v2, vcc
	v_mul_lo_u32 v2, v12, s8
	v_cndmask_b32_e32 v1, v1, v3, vcc
	v_ashrrev_i32_e32 v3, 31, v2
	v_lshl_add_u64 v[4:5], s[4:5], 0, v[2:3]
	s_cbranch_scc1 .LBB464_274
; %bb.267:
	s_and_b32 s31, 0xffff, s30
	s_cmp_gt_i32 s31, 25
	s_cbranch_scc0 .LBB464_276
; %bb.268:
	s_cmp_gt_i32 s31, 28
	s_cbranch_scc0 .LBB464_278
; %bb.269:
	s_cmp_gt_i32 s31, 43
	s_cbranch_scc0 .LBB464_282
; %bb.270:
	s_cmp_gt_i32 s31, 45
	s_cbranch_scc0 .LBB464_289
; %bb.271:
	s_mov_b64 s[26:27], 0
	s_mov_b64 s[0:1], -1
	s_cmp_eq_u32 s31, 46
	s_mov_b64 s[22:23], 0
	s_cbranch_scc0 .LBB464_290
; %bb.272:
	v_cvt_f32_f64_e32 v2, v[0:1]
	v_bfe_u32 v3, v2, 16, 1
	s_movk_i32 s0, 0x7fff
	v_add3_u32 v3, v2, v3, s0
	v_cmp_o_f32_e32 vcc, v2, v2
	v_mov_b32_e32 v2, 0x7fc0
	s_mov_b64 s[22:23], -1
	v_cndmask_b32_sdwa v2, v2, v3, vcc dst_sel:DWORD dst_unused:UNUSED_PAD src0_sel:DWORD src1_sel:WORD_1
	global_store_dword v[4:5], v2, off
	s_mov_b64 s[0:1], 0
	s_branch .LBB464_290
.LBB464_273:
	s_mov_b64 s[22:23], -1
	s_mov_b64 s[0:1], 0
	s_mov_b64 s[20:21], s[16:17]
                                        ; implicit-def: $vgpr2_vgpr3
	s_branch .LBB464_429
.LBB464_274:
	s_mov_b64 s[26:27], -1
	s_mov_b64 s[22:23], 0
	s_mov_b64 s[0:1], s[14:15]
	s_branch .LBB464_359
.LBB464_275:
	s_mov_b64 s[22:23], -1
	s_mov_b64 s[0:1], 0
	s_mov_b64 s[20:21], s[16:17]
                                        ; implicit-def: $vgpr2_vgpr3
	s_branch .LBB464_408
.LBB464_276:
	s_mov_b64 s[26:27], -1
	s_mov_b64 s[22:23], 0
	s_mov_b64 s[0:1], s[14:15]
	s_branch .LBB464_317
.LBB464_277:
	s_mov_b64 s[22:23], -1
	s_mov_b64 s[0:1], 0
	s_mov_b64 s[20:21], s[16:17]
                                        ; implicit-def: $vgpr2_vgpr3
	s_branch .LBB464_403
.LBB464_278:
	s_mov_b64 s[26:27], -1
	s_mov_b64 s[22:23], 0
	s_mov_b64 s[0:1], s[14:15]
	s_branch .LBB464_300
.LBB464_279:
	s_andn2_saveexec_b64 s[24:25], s[24:25]
	s_cbranch_execz .LBB464_55
.LBB464_280:
	s_mov_b32 s28, 0x46000000
	v_add_f32_e64 v3, |v2|, s28
	v_and_b32_e32 v3, 0xff, v3
	v_cmp_ne_u32_e32 vcc, 0, v3
	s_andn2_b64 s[20:21], s[20:21], exec
	s_and_b64 s[28:29], vcc, exec
	s_or_b64 s[20:21], s[20:21], s[28:29]
	s_or_b64 exec, exec, s[24:25]
	v_mov_b32_e32 v6, 0
	s_and_saveexec_b64 s[24:25], s[20:21]
	s_cbranch_execnz .LBB464_56
	s_branch .LBB464_57
.LBB464_281:
	s_mov_b64 s[22:23], -1
	s_mov_b64 s[0:1], 0
	s_mov_b64 s[20:21], s[16:17]
                                        ; implicit-def: $vgpr2_vgpr3
	s_branch .LBB464_286
.LBB464_282:
	s_mov_b64 s[26:27], -1
	s_mov_b64 s[22:23], 0
	s_mov_b64 s[0:1], s[14:15]
	s_branch .LBB464_296
.LBB464_283:
	s_andn2_saveexec_b64 s[24:25], s[24:25]
	s_cbranch_execz .LBB464_68
.LBB464_284:
	s_mov_b32 s28, 0x42800000
	v_add_f32_e64 v3, |v2|, s28
	v_and_b32_e32 v3, 0xff, v3
	v_cmp_ne_u32_e32 vcc, 0, v3
	s_andn2_b64 s[20:21], s[20:21], exec
	s_and_b64 s[28:29], vcc, exec
	s_or_b64 s[20:21], s[20:21], s[28:29]
	s_or_b64 exec, exec, s[24:25]
	v_mov_b32_e32 v6, 0
	s_and_saveexec_b64 s[24:25], s[20:21]
	s_cbranch_execnz .LBB464_69
	s_branch .LBB464_70
.LBB464_285:
	s_mov_b64 s[20:21], -1
                                        ; implicit-def: $vgpr2_vgpr3
	s_mov_b64 s[0:1], 0
.LBB464_286:
	s_and_b64 vcc, exec, s[22:23]
	s_cbranch_vccz .LBB464_402
; %bb.287:
	s_cmp_eq_u32 s28, 44
	s_cbranch_scc0 .LBB464_401
; %bb.288:
	global_load_ubyte v4, v[0:1], off
	s_movk_i32 s20, 0xff
	v_bfrev_b32_e32 v5, 4
	v_mov_b32_e32 v6, 0x7ff80000
	v_bfrev_b32_e32 v7, 28
	s_mov_b64 s[0:1], -1
	s_waitcnt vmcnt(0)
	v_lshlrev_b32_e32 v2, 23, v4
	v_cvt_f64_f32_e32 v[2:3], v2
	v_cmp_ne_u32_e32 vcc, s20, v4
	s_mov_b64 s[20:21], 0
	s_nop 0
	v_cndmask_b32_e32 v2, v5, v2, vcc
	v_cndmask_b32_e32 v3, v6, v3, vcc
	v_cmp_ne_u32_e32 vcc, 0, v4
	s_nop 1
	v_cndmask_b32_e32 v3, v7, v3, vcc
	v_cndmask_b32_e32 v2, 0, v2, vcc
	s_branch .LBB464_402
.LBB464_289:
	s_mov_b64 s[26:27], -1
	s_mov_b64 s[22:23], 0
	s_mov_b64 s[0:1], s[14:15]
.LBB464_290:
	s_and_b64 vcc, exec, s[26:27]
	s_cbranch_vccz .LBB464_295
; %bb.291:
	s_cmp_eq_u32 s31, 44
	s_mov_b64 s[0:1], -1
	s_cbranch_scc0 .LBB464_295
; %bb.292:
	v_cvt_f32_f64_e32 v2, v[0:1]
	v_bfe_u32 v3, v2, 23, 8
	s_movk_i32 s0, 0xff
	v_cmp_ne_u32_e32 vcc, s0, v3
	v_mov_b32_e32 v6, 0xff
	s_and_saveexec_b64 s[22:23], vcc
; %bb.293:
	s_mov_b32 s0, 0x3fffff
	v_lshrrev_b32_e32 v6, 23, v2
	v_and_b32_e32 v7, 0x400000, v2
	v_and_or_b32 v2, v2, s0, v3
	v_cmp_ne_u32_e32 vcc, 0, v7
	v_cmp_ne_u32_e64 s[0:1], 0, v2
	s_and_b64 s[0:1], vcc, s[0:1]
	s_nop 0
	v_cndmask_b32_e64 v2, 0, 1, s[0:1]
	v_add_u32_e32 v6, v6, v2
; %bb.294:
	s_or_b64 exec, exec, s[22:23]
	s_mov_b64 s[22:23], -1
	s_mov_b64 s[0:1], 0
	global_store_byte v[4:5], v6, off
.LBB464_295:
	s_mov_b64 s[26:27], 0
.LBB464_296:
	s_and_b64 vcc, exec, s[26:27]
	s_cbranch_vccz .LBB464_299
; %bb.297:
	s_cmp_eq_u32 s31, 29
	s_mov_b64 s[0:1], -1
	s_cbranch_scc0 .LBB464_299
; %bb.298:
	v_trunc_f64_e32 v[2:3], v[0:1]
	s_movk_i32 s0, 0xffe0
	v_ldexp_f64 v[6:7], v[2:3], s0
	v_floor_f64_e32 v[6:7], v[6:7]
	v_fmac_f64_e32 v[2:3], 0xc1f00000, v[6:7]
	v_cvt_u32_f64_e32 v9, v[6:7]
	v_cvt_u32_f64_e32 v8, v[2:3]
	global_store_dwordx2 v[4:5], v[8:9], off
	s_mov_b64 s[22:23], -1
	s_mov_b64 s[0:1], 0
.LBB464_299:
	s_mov_b64 s[26:27], 0
.LBB464_300:
	s_and_b64 vcc, exec, s[26:27]
	s_cbranch_vccz .LBB464_316
; %bb.301:
	s_cmp_lt_i32 s31, 27
	s_mov_b64 s[22:23], -1
	s_cbranch_scc1 .LBB464_307
; %bb.302:
	s_cmp_gt_i32 s31, 27
	v_cvt_u32_f64_e32 v2, v[0:1]
	s_cbranch_scc0 .LBB464_304
; %bb.303:
	s_mov_b64 s[22:23], 0
	global_store_dword v[4:5], v2, off
.LBB464_304:
	s_andn2_b64 vcc, exec, s[22:23]
	s_cbranch_vccnz .LBB464_306
; %bb.305:
	global_store_short v[4:5], v2, off
.LBB464_306:
	s_mov_b64 s[22:23], 0
.LBB464_307:
	s_andn2_b64 vcc, exec, s[22:23]
	s_cbranch_vccnz .LBB464_315
; %bb.308:
	v_cvt_f32_f64_e32 v2, v[0:1]
	v_and_b32_e32 v3, 0x7fffffff, v2
	s_mov_b32 s22, 0x43800000
	v_cmp_gt_u32_e32 vcc, s22, v3
	v_mov_b32_e32 v6, 0x80
	s_and_saveexec_b64 s[22:23], vcc
	s_cbranch_execz .LBB464_314
; %bb.309:
	s_mov_b32 s26, 0x3bffffff
	v_cmp_lt_u32_e32 vcc, s26, v3
	s_mov_b64 s[26:27], 0
                                        ; implicit-def: $vgpr3
	s_and_saveexec_b64 s[28:29], vcc
	s_xor_b64 s[28:29], exec, s[28:29]
	s_cbranch_execz .LBB464_526
; %bb.310:
	v_bfe_u32 v3, v2, 20, 1
	s_mov_b32 s34, 0x487ffff
	v_add3_u32 v3, v2, v3, s34
	s_mov_b64 s[26:27], exec
	v_lshrrev_b32_e32 v3, 20, v3
	s_andn2_saveexec_b64 s[28:29], s[28:29]
	s_cbranch_execnz .LBB464_527
.LBB464_311:
	s_or_b64 exec, exec, s[28:29]
	v_mov_b32_e32 v6, 0
	s_and_saveexec_b64 s[28:29], s[26:27]
.LBB464_312:
	v_lshrrev_b32_e32 v2, 24, v2
	s_movk_i32 s26, 0x80
	v_and_or_b32 v6, v2, s26, v3
.LBB464_313:
	s_or_b64 exec, exec, s[28:29]
.LBB464_314:
	s_or_b64 exec, exec, s[22:23]
	global_store_byte v[4:5], v6, off
.LBB464_315:
	s_mov_b64 s[22:23], -1
.LBB464_316:
	s_mov_b64 s[26:27], 0
.LBB464_317:
	s_and_b64 vcc, exec, s[26:27]
	s_cbranch_vccz .LBB464_358
; %bb.318:
	s_cmp_gt_i32 s31, 22
	s_mov_b64 s[26:27], -1
	s_cbranch_scc0 .LBB464_350
; %bb.319:
	s_cmp_lt_i32 s31, 24
	s_mov_b64 s[22:23], -1
	s_cbranch_scc1 .LBB464_339
; %bb.320:
	s_cmp_gt_i32 s31, 24
	s_cbranch_scc0 .LBB464_328
; %bb.321:
	v_cvt_f32_f64_e32 v2, v[0:1]
	v_and_b32_e32 v3, 0x7fffffff, v2
	s_mov_b32 s22, 0x47800000
	v_cmp_gt_u32_e32 vcc, s22, v3
	v_mov_b32_e32 v6, 0x80
	s_and_saveexec_b64 s[22:23], vcc
	s_cbranch_execz .LBB464_327
; %bb.322:
	s_mov_b32 s26, 0x37ffffff
	v_cmp_lt_u32_e32 vcc, s26, v3
	s_mov_b64 s[26:27], 0
                                        ; implicit-def: $vgpr3
	s_and_saveexec_b64 s[28:29], vcc
	s_xor_b64 s[28:29], exec, s[28:29]
	s_cbranch_execz .LBB464_529
; %bb.323:
	v_bfe_u32 v3, v2, 21, 1
	s_mov_b32 s34, 0x88fffff
	v_add3_u32 v3, v2, v3, s34
	s_mov_b64 s[26:27], exec
	v_lshrrev_b32_e32 v3, 21, v3
	s_andn2_saveexec_b64 s[28:29], s[28:29]
	s_cbranch_execnz .LBB464_530
.LBB464_324:
	s_or_b64 exec, exec, s[28:29]
	v_mov_b32_e32 v6, 0
	s_and_saveexec_b64 s[28:29], s[26:27]
.LBB464_325:
	v_lshrrev_b32_e32 v2, 24, v2
	s_movk_i32 s26, 0x80
	v_and_or_b32 v6, v2, s26, v3
.LBB464_326:
	s_or_b64 exec, exec, s[28:29]
.LBB464_327:
	s_or_b64 exec, exec, s[22:23]
	s_mov_b64 s[22:23], 0
	global_store_byte v[4:5], v6, off
.LBB464_328:
	s_and_b64 vcc, exec, s[22:23]
	s_cbranch_vccz .LBB464_338
; %bb.329:
	v_cvt_f32_f64_e32 v2, v[0:1]
	v_and_b32_e32 v6, 0x7fffffff, v2
	s_mov_b32 s22, 0x43f00000
	v_cmp_gt_u32_e32 vcc, s22, v6
                                        ; implicit-def: $vgpr3
	s_and_saveexec_b64 s[22:23], vcc
	s_xor_b64 s[22:23], exec, s[22:23]
	s_cbranch_execz .LBB464_335
; %bb.330:
	s_mov_b32 s26, 0x3c7fffff
	v_cmp_lt_u32_e32 vcc, s26, v6
                                        ; implicit-def: $vgpr3
	s_and_saveexec_b64 s[26:27], vcc
	s_xor_b64 s[26:27], exec, s[26:27]
; %bb.331:
	v_bfe_u32 v3, v2, 20, 1
	s_mov_b32 s28, 0x407ffff
	v_add3_u32 v3, v2, v3, s28
	v_lshrrev_b32_e32 v6, 20, v3
	v_and_b32_e32 v3, 0xff00000, v3
	s_mov_b32 s28, 0x7f00000
	v_mov_b32_e32 v7, 0x7e
	v_cmp_ne_u32_e32 vcc, s28, v3
	s_nop 1
	v_cndmask_b32_e32 v3, v7, v6, vcc
; %bb.332:
	s_andn2_saveexec_b64 s[26:27], s[26:27]
; %bb.333:
	s_mov_b32 s28, 0x46800000
	v_add_f32_e64 v3, |v2|, s28
; %bb.334:
	s_or_b64 exec, exec, s[26:27]
                                        ; implicit-def: $vgpr6
.LBB464_335:
	s_andn2_saveexec_b64 s[22:23], s[22:23]
; %bb.336:
	s_mov_b32 s26, 0x7f800000
	v_mov_b32_e32 v3, 0x7e
	v_mov_b32_e32 v7, 0x7f
	v_cmp_lt_u32_e32 vcc, s26, v6
	s_nop 1
	v_cndmask_b32_e32 v3, v3, v7, vcc
; %bb.337:
	s_or_b64 exec, exec, s[22:23]
	v_lshrrev_b32_e32 v2, 24, v2
	s_movk_i32 s22, 0x80
	v_and_or_b32 v2, v2, s22, v3
	global_store_byte v[4:5], v2, off
.LBB464_338:
	s_mov_b64 s[22:23], 0
.LBB464_339:
	s_andn2_b64 vcc, exec, s[22:23]
	s_cbranch_vccnz .LBB464_349
; %bb.340:
	v_cvt_f32_f64_e32 v2, v[0:1]
	v_and_b32_e32 v6, 0x7fffffff, v2
	s_mov_b32 s22, 0x47800000
	v_cmp_gt_u32_e32 vcc, s22, v6
                                        ; implicit-def: $vgpr3
	s_and_saveexec_b64 s[22:23], vcc
	s_xor_b64 s[22:23], exec, s[22:23]
	s_cbranch_execz .LBB464_346
; %bb.341:
	s_mov_b32 s26, 0x387fffff
	v_cmp_lt_u32_e32 vcc, s26, v6
                                        ; implicit-def: $vgpr3
	s_and_saveexec_b64 s[26:27], vcc
	s_xor_b64 s[26:27], exec, s[26:27]
; %bb.342:
	v_bfe_u32 v3, v2, 21, 1
	s_mov_b32 s28, 0x80fffff
	v_add3_u32 v3, v2, v3, s28
	v_lshrrev_b32_e32 v3, 21, v3
; %bb.343:
	s_andn2_saveexec_b64 s[26:27], s[26:27]
; %bb.344:
	s_mov_b32 s28, 0x43000000
	v_add_f32_e64 v3, |v2|, s28
; %bb.345:
	s_or_b64 exec, exec, s[26:27]
                                        ; implicit-def: $vgpr6
.LBB464_346:
	s_andn2_saveexec_b64 s[22:23], s[22:23]
; %bb.347:
	s_mov_b32 s26, 0x7f800000
	v_mov_b32_e32 v3, 0x7c
	v_mov_b32_e32 v7, 0x7f
	v_cmp_lt_u32_e32 vcc, s26, v6
	s_nop 1
	v_cndmask_b32_e32 v3, v3, v7, vcc
; %bb.348:
	s_or_b64 exec, exec, s[22:23]
	v_lshrrev_b32_e32 v2, 24, v2
	s_movk_i32 s22, 0x80
	v_and_or_b32 v2, v2, s22, v3
	global_store_byte v[4:5], v2, off
.LBB464_349:
	s_mov_b64 s[26:27], 0
	s_mov_b64 s[22:23], -1
.LBB464_350:
	s_andn2_b64 vcc, exec, s[26:27]
	s_cbranch_vccnz .LBB464_358
; %bb.351:
	s_cmp_gt_i32 s31, 14
	s_mov_b64 s[26:27], -1
	s_cbranch_scc0 .LBB464_355
; %bb.352:
	s_cmp_eq_u32 s31, 15
	s_mov_b64 s[0:1], -1
	s_cbranch_scc0 .LBB464_354
; %bb.353:
	v_cvt_f32_f64_e32 v2, v[0:1]
	v_bfe_u32 v3, v2, 16, 1
	s_movk_i32 s0, 0x7fff
	v_add3_u32 v3, v2, v3, s0
	v_cmp_o_f32_e32 vcc, v2, v2
	v_mov_b32_e32 v2, 0x7fc0
	s_mov_b64 s[22:23], -1
	v_cndmask_b32_sdwa v2, v2, v3, vcc dst_sel:DWORD dst_unused:UNUSED_PAD src0_sel:DWORD src1_sel:WORD_1
	global_store_short v[4:5], v2, off
	s_mov_b64 s[0:1], 0
.LBB464_354:
	s_mov_b64 s[26:27], 0
.LBB464_355:
	s_and_b64 vcc, exec, s[26:27]
	s_cbranch_vccz .LBB464_358
; %bb.356:
	s_cmp_eq_u32 s31, 11
	s_mov_b64 s[0:1], -1
	s_cbranch_scc0 .LBB464_358
; %bb.357:
	v_cmp_neq_f64_e32 vcc, 0, v[0:1]
	s_mov_b64 s[0:1], 0
	s_mov_b64 s[22:23], -1
	v_cndmask_b32_e64 v2, 0, 1, vcc
	global_store_byte v[4:5], v2, off
.LBB464_358:
	s_mov_b64 s[26:27], 0
.LBB464_359:
	s_and_b64 vcc, exec, s[26:27]
	s_cbranch_vccz .LBB464_398
; %bb.360:
	s_and_b32 s26, 0xffff, s30
	s_cmp_lt_i32 s26, 5
	s_mov_b64 s[22:23], -1
	s_cbranch_scc1 .LBB464_381
; %bb.361:
	s_cmp_lt_i32 s26, 8
	s_cbranch_scc1 .LBB464_371
; %bb.362:
	s_cmp_lt_i32 s26, 9
	s_cbranch_scc1 .LBB464_368
; %bb.363:
	s_cmp_gt_i32 s26, 9
	s_cbranch_scc0 .LBB464_365
; %bb.364:
	v_mov_b32_e32 v2, 0
	v_mov_b32_e32 v3, v2
	s_mov_b64 s[22:23], 0
	global_store_dwordx4 v[4:5], v[0:3], off
.LBB464_365:
	s_andn2_b64 vcc, exec, s[22:23]
	s_cbranch_vccnz .LBB464_367
; %bb.366:
	v_cvt_f32_f64_e32 v2, v[0:1]
	v_mov_b32_e32 v3, 0
	global_store_dwordx2 v[4:5], v[2:3], off
.LBB464_367:
	s_mov_b64 s[22:23], 0
.LBB464_368:
	s_andn2_b64 vcc, exec, s[22:23]
	s_cbranch_vccnz .LBB464_370
; %bb.369:
	s_movk_i32 s22, 0x1ff
	v_and_or_b32 v2, v1, s22, v0
	v_cmp_ne_u32_e32 vcc, 0, v2
	v_lshrrev_b32_e32 v3, 8, v1
	s_movk_i32 s22, 0xffe
	v_cndmask_b32_e64 v2, 0, 1, vcc
	v_bfe_u32 v6, v1, 20, 11
	v_and_or_b32 v2, v3, s22, v2
	v_sub_u32_e32 v7, 0x3f1, v6
	v_or_b32_e32 v3, 0x1000, v2
	v_med3_i32 v7, v7, 0, 13
	v_lshrrev_b32_e32 v8, v7, v3
	v_lshlrev_b32_e32 v7, v7, v8
	v_cmp_ne_u32_e32 vcc, v7, v3
	v_add_u32_e32 v6, 0xfffffc10, v6
	v_lshl_or_b32 v7, v6, 12, v2
	v_cndmask_b32_e64 v3, 0, 1, vcc
	v_or_b32_e32 v3, v8, v3
	v_cmp_gt_i32_e32 vcc, 1, v6
	s_movk_i32 s22, 0x40f
	s_nop 0
	v_cndmask_b32_e32 v3, v7, v3, vcc
	v_and_b32_e32 v7, 7, v3
	v_cmp_lt_i32_e32 vcc, 5, v7
	v_lshrrev_b32_e32 v3, 2, v3
	s_nop 0
	v_cndmask_b32_e64 v8, 0, 1, vcc
	v_cmp_eq_u32_e32 vcc, 3, v7
	s_nop 1
	v_cndmask_b32_e64 v7, 0, 1, vcc
	v_or_b32_e32 v7, v7, v8
	v_add_u32_e32 v3, v3, v7
	v_mov_b32_e32 v7, 0x7c00
	v_cmp_gt_i32_e32 vcc, 31, v6
	v_mov_b32_e32 v8, 0x7e00
	s_nop 0
	v_cndmask_b32_e32 v3, v7, v3, vcc
	v_cmp_ne_u32_e32 vcc, 0, v2
	s_nop 1
	v_cndmask_b32_e32 v2, v7, v8, vcc
	v_cmp_eq_u32_e32 vcc, s22, v6
	s_mov_b32 s22, 0x8000
	s_nop 0
	v_cndmask_b32_e32 v2, v3, v2, vcc
	v_and_b32_sdwa v3, v1, s22 dst_sel:DWORD dst_unused:UNUSED_PAD src0_sel:WORD_1 src1_sel:DWORD
	s_mov_b32 s22, 0xffff
	v_bitop3_b32 v2, v3, s22, v2 bitop3:0xc8
	global_store_dword v[4:5], v2, off
.LBB464_370:
	s_mov_b64 s[22:23], 0
.LBB464_371:
	s_andn2_b64 vcc, exec, s[22:23]
	s_cbranch_vccnz .LBB464_380
; %bb.372:
	s_cmp_lt_i32 s26, 6
	s_mov_b64 s[22:23], -1
	s_cbranch_scc1 .LBB464_378
; %bb.373:
	s_cmp_gt_i32 s26, 6
	s_cbranch_scc0 .LBB464_375
; %bb.374:
	s_mov_b64 s[22:23], 0
	global_store_dwordx2 v[4:5], v[0:1], off
.LBB464_375:
	s_andn2_b64 vcc, exec, s[22:23]
	s_cbranch_vccnz .LBB464_377
; %bb.376:
	v_cvt_f32_f64_e32 v2, v[0:1]
	global_store_dword v[4:5], v2, off
.LBB464_377:
	s_mov_b64 s[22:23], 0
.LBB464_378:
	s_andn2_b64 vcc, exec, s[22:23]
	s_cbranch_vccnz .LBB464_380
; %bb.379:
	s_movk_i32 s22, 0x1ff
	v_and_or_b32 v2, v1, s22, v0
	v_cmp_ne_u32_e32 vcc, 0, v2
	v_lshrrev_b32_e32 v3, 8, v1
	s_movk_i32 s22, 0xffe
	v_cndmask_b32_e64 v2, 0, 1, vcc
	v_bfe_u32 v6, v1, 20, 11
	v_and_or_b32 v2, v3, s22, v2
	v_sub_u32_e32 v7, 0x3f1, v6
	v_or_b32_e32 v3, 0x1000, v2
	v_med3_i32 v7, v7, 0, 13
	v_lshrrev_b32_e32 v8, v7, v3
	v_lshlrev_b32_e32 v7, v7, v8
	v_cmp_ne_u32_e32 vcc, v7, v3
	v_add_u32_e32 v6, 0xfffffc10, v6
	v_lshl_or_b32 v7, v6, 12, v2
	v_cndmask_b32_e64 v3, 0, 1, vcc
	v_or_b32_e32 v3, v8, v3
	v_cmp_gt_i32_e32 vcc, 1, v6
	s_movk_i32 s22, 0x40f
	s_nop 0
	v_cndmask_b32_e32 v3, v7, v3, vcc
	v_and_b32_e32 v7, 7, v3
	v_cmp_lt_i32_e32 vcc, 5, v7
	v_lshrrev_b32_e32 v3, 2, v3
	s_nop 0
	v_cndmask_b32_e64 v8, 0, 1, vcc
	v_cmp_eq_u32_e32 vcc, 3, v7
	s_nop 1
	v_cndmask_b32_e64 v7, 0, 1, vcc
	v_or_b32_e32 v7, v7, v8
	v_add_u32_e32 v3, v3, v7
	v_mov_b32_e32 v7, 0x7c00
	v_cmp_gt_i32_e32 vcc, 31, v6
	v_mov_b32_e32 v8, 0x7e00
	s_nop 0
	v_cndmask_b32_e32 v3, v7, v3, vcc
	v_cmp_ne_u32_e32 vcc, 0, v2
	s_nop 1
	v_cndmask_b32_e32 v2, v7, v8, vcc
	v_cmp_eq_u32_e32 vcc, s22, v6
	s_mov_b32 s22, 0x8000
	s_nop 0
	v_cndmask_b32_e32 v2, v3, v2, vcc
	v_lshrrev_b32_e32 v3, 16, v1
	v_and_or_b32 v2, v3, s22, v2
	global_store_short v[4:5], v2, off
.LBB464_380:
	s_mov_b64 s[22:23], 0
.LBB464_381:
	s_andn2_b64 vcc, exec, s[22:23]
	s_cbranch_vccnz .LBB464_397
; %bb.382:
	s_cmp_lt_i32 s26, 2
	s_mov_b64 s[22:23], -1
	s_cbranch_scc1 .LBB464_392
; %bb.383:
	s_cmp_lt_i32 s26, 3
	s_cbranch_scc1 .LBB464_389
; %bb.384:
	s_cmp_gt_i32 s26, 3
	s_cbranch_scc0 .LBB464_386
; %bb.385:
	v_trunc_f64_e32 v[2:3], v[0:1]
	s_movk_i32 s22, 0xffe0
	v_ldexp_f64 v[6:7], v[2:3], s22
	v_floor_f64_e32 v[6:7], v[6:7]
	v_fmac_f64_e32 v[2:3], 0xc1f00000, v[6:7]
	v_cvt_i32_f64_e32 v9, v[6:7]
	v_cvt_u32_f64_e32 v8, v[2:3]
	s_mov_b64 s[22:23], 0
	global_store_dwordx2 v[4:5], v[8:9], off
.LBB464_386:
	s_andn2_b64 vcc, exec, s[22:23]
	s_cbranch_vccnz .LBB464_388
; %bb.387:
	v_cvt_i32_f64_e32 v2, v[0:1]
	global_store_dword v[4:5], v2, off
.LBB464_388:
	s_mov_b64 s[22:23], 0
.LBB464_389:
	s_andn2_b64 vcc, exec, s[22:23]
	s_cbranch_vccnz .LBB464_391
; %bb.390:
	v_cvt_i32_f64_e32 v2, v[0:1]
	global_store_short v[4:5], v2, off
.LBB464_391:
	s_mov_b64 s[22:23], 0
.LBB464_392:
	s_andn2_b64 vcc, exec, s[22:23]
	s_cbranch_vccnz .LBB464_397
; %bb.393:
	s_cmp_gt_i32 s26, 0
	s_mov_b64 s[22:23], -1
	s_cbranch_scc0 .LBB464_395
; %bb.394:
	v_cvt_i32_f64_e32 v2, v[0:1]
	s_mov_b64 s[22:23], 0
	global_store_byte v[4:5], v2, off
.LBB464_395:
	s_andn2_b64 vcc, exec, s[22:23]
	s_cbranch_vccnz .LBB464_397
; %bb.396:
	v_trunc_f64_e32 v[0:1], v[0:1]
	s_movk_i32 s22, 0xffe0
	v_ldexp_f64 v[2:3], v[0:1], s22
	v_floor_f64_e32 v[2:3], v[2:3]
	v_fmac_f64_e32 v[0:1], 0xc1f00000, v[2:3]
	v_cvt_u32_f64_e32 v0, v[0:1]
	global_store_byte v[4:5], v0, off
.LBB464_397:
	s_mov_b64 s[22:23], -1
.LBB464_398:
	s_andn2_b64 vcc, exec, s[22:23]
	s_cbranch_vccnz .LBB464_400
; %bb.399:
	v_add_u32_e32 v12, 0x80, v12
	s_mov_b64 s[26:27], -1
	s_branch .LBB464_512
.LBB464_400:
	s_mov_b64 s[26:27], 0
                                        ; implicit-def: $vgpr12
	s_branch .LBB464_512
.LBB464_401:
	s_mov_b64 s[20:21], -1
                                        ; implicit-def: $vgpr2_vgpr3
.LBB464_402:
	s_mov_b64 s[22:23], 0
.LBB464_403:
	s_and_b64 vcc, exec, s[22:23]
	s_cbranch_vccz .LBB464_407
; %bb.404:
	s_cmp_eq_u32 s28, 29
	s_cbranch_scc0 .LBB464_406
; %bb.405:
	global_load_dwordx2 v[2:3], v[0:1], off
	s_mov_b64 s[0:1], -1
	s_mov_b64 s[20:21], 0
	s_mov_b64 s[22:23], 0
	s_waitcnt vmcnt(0)
	v_cvt_f64_u32_e32 v[4:5], v3
	v_cvt_f64_u32_e32 v[2:3], v2
	v_ldexp_f64 v[4:5], v[4:5], 32
	v_add_f64 v[2:3], v[4:5], v[2:3]
	s_branch .LBB464_408
.LBB464_406:
	s_mov_b64 s[20:21], -1
                                        ; implicit-def: $vgpr2_vgpr3
.LBB464_407:
	s_mov_b64 s[22:23], 0
.LBB464_408:
	s_and_b64 vcc, exec, s[22:23]
	s_cbranch_vccz .LBB464_428
; %bb.409:
	s_cmp_lt_i32 s28, 27
	s_cbranch_scc1 .LBB464_412
; %bb.410:
	s_cmp_gt_i32 s28, 27
	s_cbranch_scc0 .LBB464_413
; %bb.411:
	global_load_dword v2, v[0:1], off
	s_mov_b64 s[0:1], 0
	s_waitcnt vmcnt(0)
	v_cvt_f64_u32_e32 v[2:3], v2
	s_branch .LBB464_414
.LBB464_412:
	s_mov_b64 s[0:1], -1
                                        ; implicit-def: $vgpr2_vgpr3
	s_branch .LBB464_417
.LBB464_413:
	s_mov_b64 s[0:1], -1
                                        ; implicit-def: $vgpr2_vgpr3
.LBB464_414:
	s_andn2_b64 vcc, exec, s[0:1]
	s_cbranch_vccnz .LBB464_416
; %bb.415:
	global_load_ushort v2, v[0:1], off
	s_waitcnt vmcnt(0)
	v_cvt_f64_u32_e32 v[2:3], v2
.LBB464_416:
	s_mov_b64 s[0:1], 0
.LBB464_417:
	s_andn2_b64 vcc, exec, s[0:1]
	s_cbranch_vccnz .LBB464_427
; %bb.418:
	global_load_ubyte v4, v[0:1], off
	s_movk_i32 s0, 0x7f
	s_waitcnt vmcnt(0)
	v_cmp_lt_i16_e32 vcc, s0, v4
	s_mov_b64 s[0:1], 0
	s_and_saveexec_b64 s[22:23], vcc
	s_xor_b64 s[22:23], exec, s[22:23]
	s_cbranch_execz .LBB464_422
; %bb.419:
	s_movk_i32 s0, 0x80
	v_cmp_eq_u16_e32 vcc, s0, v4
	s_mov_b64 s[0:1], -1
	s_and_saveexec_b64 s[26:27], vcc
; %bb.420:
	s_xor_b64 s[0:1], exec, -1
; %bb.421:
	s_or_b64 exec, exec, s[26:27]
	s_and_b64 s[0:1], s[0:1], exec
.LBB464_422:
	s_or_saveexec_b64 s[22:23], s[22:23]
	v_bfrev_b32_e32 v2, 4
	v_mov_b32_e32 v3, 0x7ff80000
	s_xor_b64 exec, exec, s[22:23]
; %bb.423:
	v_cmp_ne_u16_e32 vcc, 0, v4
	s_andn2_b64 s[0:1], s[0:1], exec
	s_and_b64 s[26:27], vcc, exec
	v_mov_b64_e32 v[2:3], 0
	s_or_b64 s[0:1], s[0:1], s[26:27]
; %bb.424:
	s_or_b64 exec, exec, s[22:23]
	s_and_saveexec_b64 s[22:23], s[0:1]
	s_cbranch_execz .LBB464_426
; %bb.425:
	v_and_b32_e32 v3, 0xffff, v4
	v_lshlrev_b32_e32 v2, 24, v4
	v_and_b32_e32 v4, 7, v3
	v_ffbh_u32_e32 v6, v4
	v_min_u32_e32 v6, 32, v6
	v_subrev_u32_e32 v7, 28, v6
	v_bfe_u32 v5, v3, 3, 4
	v_lshlrev_b32_e32 v3, v7, v3
	v_sub_u32_e32 v6, 29, v6
	v_and_b32_e32 v3, 7, v3
	v_cmp_eq_u32_e32 vcc, 0, v5
	v_and_b32_e32 v2, 0x80000000, v2
	s_nop 0
	v_cndmask_b32_e32 v5, v5, v6, vcc
	v_cndmask_b32_e32 v3, v4, v3, vcc
	v_mov_b32_e32 v4, 0x3b800000
	v_lshlrev_b32_e32 v3, 20, v3
	v_lshl_add_u32 v4, v5, 23, v4
	v_or3_b32 v2, v2, v4, v3
	v_cvt_f64_f32_e32 v[2:3], v2
.LBB464_426:
	s_or_b64 exec, exec, s[22:23]
.LBB464_427:
	s_mov_b64 s[0:1], -1
.LBB464_428:
	s_mov_b64 s[22:23], 0
.LBB464_429:
	s_and_b64 vcc, exec, s[22:23]
	s_cbranch_vccz .LBB464_462
; %bb.430:
	s_cmp_gt_i32 s28, 22
	s_cbranch_scc0 .LBB464_442
; %bb.431:
	s_cmp_lt_i32 s28, 24
	s_cbranch_scc1 .LBB464_443
; %bb.432:
	s_cmp_gt_i32 s28, 24
	s_cbranch_scc0 .LBB464_444
; %bb.433:
	global_load_ubyte v4, v[0:1], off
	s_movk_i32 s0, 0x7f
	s_waitcnt vmcnt(0)
	v_cmp_lt_i16_e32 vcc, s0, v4
	s_mov_b64 s[0:1], 0
	s_and_saveexec_b64 s[22:23], vcc
	s_xor_b64 s[22:23], exec, s[22:23]
	s_cbranch_execz .LBB464_437
; %bb.434:
	s_movk_i32 s0, 0x80
	v_cmp_eq_u16_e32 vcc, s0, v4
	s_mov_b64 s[0:1], -1
	s_and_saveexec_b64 s[26:27], vcc
; %bb.435:
	s_xor_b64 s[0:1], exec, -1
; %bb.436:
	s_or_b64 exec, exec, s[26:27]
	s_and_b64 s[0:1], s[0:1], exec
.LBB464_437:
	s_or_saveexec_b64 s[22:23], s[22:23]
	v_bfrev_b32_e32 v2, 4
	v_mov_b32_e32 v3, 0x7ff80000
	s_xor_b64 exec, exec, s[22:23]
; %bb.438:
	v_cmp_ne_u16_e32 vcc, 0, v4
	s_andn2_b64 s[0:1], s[0:1], exec
	s_and_b64 s[26:27], vcc, exec
	v_mov_b64_e32 v[2:3], 0
	s_or_b64 s[0:1], s[0:1], s[26:27]
; %bb.439:
	s_or_b64 exec, exec, s[22:23]
	s_and_saveexec_b64 s[22:23], s[0:1]
	s_cbranch_execz .LBB464_441
; %bb.440:
	v_and_b32_e32 v3, 0xffff, v4
	v_lshlrev_b32_e32 v2, 24, v4
	v_and_b32_e32 v4, 3, v3
	v_ffbh_u32_e32 v6, v4
	v_min_u32_e32 v6, 32, v6
	v_subrev_u32_e32 v7, 29, v6
	v_bfe_u32 v5, v3, 2, 5
	v_lshlrev_b32_e32 v3, v7, v3
	v_sub_u32_e32 v6, 30, v6
	v_and_b32_e32 v3, 3, v3
	v_cmp_eq_u32_e32 vcc, 0, v5
	v_and_b32_e32 v2, 0x80000000, v2
	s_nop 0
	v_cndmask_b32_e32 v5, v5, v6, vcc
	v_cndmask_b32_e32 v3, v4, v3, vcc
	v_mov_b32_e32 v4, 0x37800000
	v_lshlrev_b32_e32 v3, 21, v3
	v_lshl_add_u32 v4, v5, 23, v4
	v_or3_b32 v2, v2, v4, v3
	v_cvt_f64_f32_e32 v[2:3], v2
.LBB464_441:
	s_or_b64 exec, exec, s[22:23]
	s_mov_b64 s[0:1], 0
	s_branch .LBB464_445
.LBB464_442:
	s_mov_b64 s[22:23], -1
                                        ; implicit-def: $vgpr2_vgpr3
	s_branch .LBB464_451
.LBB464_443:
	s_mov_b64 s[0:1], -1
                                        ; implicit-def: $vgpr2_vgpr3
	s_branch .LBB464_448
.LBB464_444:
	s_mov_b64 s[0:1], -1
                                        ; implicit-def: $vgpr2_vgpr3
.LBB464_445:
	s_and_b64 vcc, exec, s[0:1]
	s_cbranch_vccz .LBB464_447
; %bb.446:
	global_load_ubyte v2, v[0:1], off
	s_mov_b32 s0, 0x7f800000
	s_waitcnt vmcnt(0)
	v_lshlrev_b32_e32 v2, 24, v2
	v_and_b32_e32 v3, 0x7f000000, v2
	v_ffbh_u32_e32 v4, v3
	v_min_u32_e32 v4, 32, v4
	v_sub_u32_e64 v4, v4, 4 clamp
	v_lshlrev_b32_e32 v6, v4, v3
	v_lshlrev_b32_e32 v4, 23, v4
	v_lshrrev_b32_e32 v6, 4, v6
	v_add_u32_e32 v5, 0x1000000, v3
	v_sub_u32_e32 v4, v6, v4
	v_ashrrev_i32_e32 v5, 8, v5
	v_add_u32_e32 v4, 0x3c000000, v4
	v_and_or_b32 v4, v5, s0, v4
	v_cmp_ne_u32_e32 vcc, 0, v3
	s_brev_b32 s0, 1
	s_nop 0
	v_cndmask_b32_e32 v3, 0, v4, vcc
	v_and_or_b32 v2, v2, s0, v3
	v_cvt_f64_f32_e32 v[2:3], v2
.LBB464_447:
	s_mov_b64 s[0:1], 0
.LBB464_448:
	s_andn2_b64 vcc, exec, s[0:1]
	s_cbranch_vccnz .LBB464_450
; %bb.449:
	global_load_ubyte v2, v[0:1], off
	s_movk_i32 s0, 0x7f00
	s_brev_b32 s1, 16
	s_waitcnt vmcnt(0)
	v_lshlrev_b16_e32 v3, 8, v2
	v_lshlrev_b32_e32 v2, 25, v2
	v_lshrrev_b32_e32 v4, 4, v2
	v_and_or_b32 v5, v3, s0, 0.5
	v_or_b32_e32 v4, 0x70000000, v4
	v_add_f32_e32 v5, -0.5, v5
	v_mul_f32_e32 v4, 0x7800000, v4
	v_cmp_gt_u32_e32 vcc, s1, v2
	v_bfe_i32 v3, v3, 0, 16
	s_brev_b32 s0, 1
	v_cndmask_b32_e32 v2, v4, v5, vcc
	v_and_or_b32 v2, v3, s0, v2
	v_cvt_f64_f32_e32 v[2:3], v2
.LBB464_450:
	s_mov_b64 s[22:23], 0
	s_mov_b64 s[0:1], -1
.LBB464_451:
	s_andn2_b64 vcc, exec, s[22:23]
	s_cbranch_vccnz .LBB464_462
; %bb.452:
	s_cmp_gt_i32 s28, 14
	s_cbranch_scc0 .LBB464_455
; %bb.453:
	s_cmp_eq_u32 s28, 15
	s_cbranch_scc0 .LBB464_456
; %bb.454:
	global_load_ushort v2, v[0:1], off
	s_mov_b64 s[0:1], -1
	s_mov_b64 s[20:21], 0
	s_waitcnt vmcnt(0)
	v_lshlrev_b32_e32 v2, 16, v2
	v_cvt_f64_f32_e32 v[2:3], v2
	s_branch .LBB464_457
.LBB464_455:
	s_mov_b64 s[22:23], -1
                                        ; implicit-def: $vgpr2_vgpr3
	s_branch .LBB464_458
.LBB464_456:
	s_mov_b64 s[20:21], -1
                                        ; implicit-def: $vgpr2_vgpr3
.LBB464_457:
	s_mov_b64 s[22:23], 0
.LBB464_458:
	s_and_b64 vcc, exec, s[22:23]
	s_cbranch_vccz .LBB464_462
; %bb.459:
	s_cmp_eq_u32 s28, 11
	s_cbranch_scc0 .LBB464_461
; %bb.460:
	global_load_ubyte v3, v[0:1], off
	v_mov_b32_e32 v4, 0x3ff00000
	s_waitcnt vmcnt(1)
	v_mov_b32_e32 v2, 0
	s_mov_b64 s[0:1], -1
	s_mov_b64 s[20:21], 0
	s_waitcnt vmcnt(0)
	v_cmp_ne_u16_e32 vcc, 0, v3
	s_nop 1
	v_cndmask_b32_e32 v3, 0, v4, vcc
	s_branch .LBB464_462
.LBB464_461:
	s_mov_b64 s[20:21], -1
                                        ; implicit-def: $vgpr2_vgpr3
.LBB464_462:
	s_branch .LBB464_265
.LBB464_463:
	s_cmp_lt_i32 s28, 5
	s_cbranch_scc1 .LBB464_468
; %bb.464:
	s_cmp_lt_i32 s28, 8
	s_cbranch_scc1 .LBB464_469
; %bb.465:
	;; [unrolled: 3-line block ×3, first 2 shown]
	s_cmp_gt_i32 s28, 9
	s_cbranch_scc0 .LBB464_471
; %bb.467:
	global_load_dwordx2 v[2:3], v[0:1], off
	s_mov_b64 s[0:1], 0
	s_branch .LBB464_472
.LBB464_468:
	s_mov_b64 s[0:1], -1
                                        ; implicit-def: $vgpr2_vgpr3
	s_branch .LBB464_490
.LBB464_469:
	s_mov_b64 s[0:1], -1
                                        ; implicit-def: $vgpr2_vgpr3
	s_branch .LBB464_478
.LBB464_470:
	s_mov_b64 s[0:1], -1
                                        ; implicit-def: $vgpr2_vgpr3
	s_branch .LBB464_475
.LBB464_471:
	s_mov_b64 s[0:1], -1
                                        ; implicit-def: $vgpr2_vgpr3
.LBB464_472:
	s_andn2_b64 vcc, exec, s[0:1]
	s_cbranch_vccnz .LBB464_474
; %bb.473:
	global_load_dword v2, v[0:1], off
	s_waitcnt vmcnt(0)
	v_cvt_f64_f32_e32 v[2:3], v2
.LBB464_474:
	s_mov_b64 s[0:1], 0
.LBB464_475:
	s_andn2_b64 vcc, exec, s[0:1]
	s_cbranch_vccnz .LBB464_477
; %bb.476:
	global_load_dword v2, v[0:1], off
	s_waitcnt vmcnt(0)
	v_cvt_f32_f16_e32 v2, v2
	v_cvt_f64_f32_e32 v[2:3], v2
.LBB464_477:
	s_mov_b64 s[0:1], 0
.LBB464_478:
	s_andn2_b64 vcc, exec, s[0:1]
	s_cbranch_vccnz .LBB464_489
; %bb.479:
	s_cmp_lt_i32 s28, 6
	s_cbranch_scc1 .LBB464_482
; %bb.480:
	s_cmp_gt_i32 s28, 6
	s_cbranch_scc0 .LBB464_483
; %bb.481:
	global_load_dwordx2 v[2:3], v[0:1], off
	s_mov_b64 s[0:1], 0
	s_branch .LBB464_484
.LBB464_482:
	s_mov_b64 s[0:1], -1
                                        ; implicit-def: $vgpr2_vgpr3
	s_branch .LBB464_487
.LBB464_483:
	s_mov_b64 s[0:1], -1
                                        ; implicit-def: $vgpr2_vgpr3
.LBB464_484:
	s_andn2_b64 vcc, exec, s[0:1]
	s_cbranch_vccnz .LBB464_486
; %bb.485:
	global_load_dword v2, v[0:1], off
	s_waitcnt vmcnt(0)
	v_cvt_f64_f32_e32 v[2:3], v2
.LBB464_486:
	s_mov_b64 s[0:1], 0
.LBB464_487:
	s_andn2_b64 vcc, exec, s[0:1]
	s_cbranch_vccnz .LBB464_489
; %bb.488:
	global_load_ushort v2, v[0:1], off
	s_waitcnt vmcnt(0)
	v_cvt_f32_f16_e32 v2, v2
	v_cvt_f64_f32_e32 v[2:3], v2
.LBB464_489:
	s_mov_b64 s[0:1], 0
.LBB464_490:
	s_andn2_b64 vcc, exec, s[0:1]
	s_cbranch_vccnz .LBB464_510
; %bb.491:
	s_cmp_lt_i32 s28, 2
	s_cbranch_scc1 .LBB464_495
; %bb.492:
	s_cmp_lt_i32 s28, 3
	s_cbranch_scc1 .LBB464_496
; %bb.493:
	s_cmp_gt_i32 s28, 3
	s_cbranch_scc0 .LBB464_497
; %bb.494:
	global_load_dwordx2 v[2:3], v[0:1], off
	s_mov_b64 s[0:1], 0
	s_waitcnt vmcnt(0)
	v_cvt_f64_i32_e32 v[4:5], v3
	v_cvt_f64_u32_e32 v[2:3], v2
	v_ldexp_f64 v[4:5], v[4:5], 32
	v_add_f64 v[2:3], v[4:5], v[2:3]
	s_branch .LBB464_498
.LBB464_495:
	s_mov_b64 s[0:1], -1
                                        ; implicit-def: $vgpr2_vgpr3
	s_branch .LBB464_504
.LBB464_496:
	s_mov_b64 s[0:1], -1
                                        ; implicit-def: $vgpr2_vgpr3
	s_branch .LBB464_501
.LBB464_497:
	s_mov_b64 s[0:1], -1
                                        ; implicit-def: $vgpr2_vgpr3
.LBB464_498:
	s_andn2_b64 vcc, exec, s[0:1]
	s_cbranch_vccnz .LBB464_500
; %bb.499:
	global_load_dword v2, v[0:1], off
	s_waitcnt vmcnt(0)
	v_cvt_f64_i32_e32 v[2:3], v2
.LBB464_500:
	s_mov_b64 s[0:1], 0
.LBB464_501:
	s_andn2_b64 vcc, exec, s[0:1]
	s_cbranch_vccnz .LBB464_503
; %bb.502:
	global_load_sshort v2, v[0:1], off
	s_waitcnt vmcnt(0)
	v_cvt_f64_i32_e32 v[2:3], v2
.LBB464_503:
	s_mov_b64 s[0:1], 0
.LBB464_504:
	s_andn2_b64 vcc, exec, s[0:1]
	s_cbranch_vccnz .LBB464_510
; %bb.505:
	s_cmp_gt_i32 s28, 0
	s_cbranch_scc0 .LBB464_507
; %bb.506:
	global_load_sbyte v2, v[0:1], off
	s_mov_b64 s[0:1], 0
	s_waitcnt vmcnt(0)
	v_cvt_f64_i32_e32 v[2:3], v2
	s_branch .LBB464_508
.LBB464_507:
	s_mov_b64 s[0:1], -1
                                        ; implicit-def: $vgpr2_vgpr3
.LBB464_508:
	s_andn2_b64 vcc, exec, s[0:1]
	s_cbranch_vccnz .LBB464_510
; %bb.509:
	global_load_ubyte v0, v[0:1], off
	s_waitcnt vmcnt(0)
	v_cvt_f64_u32_e32 v[2:3], v0
.LBB464_510:
	s_branch .LBB464_266
.LBB464_511:
	s_mov_b64 s[26:27], 0
                                        ; implicit-def: $vgpr12
	s_mov_b64 s[0:1], s[14:15]
.LBB464_512:
	s_andn2_b64 s[22:23], s[14:15], exec
	s_and_b64 s[0:1], s[0:1], exec
	s_or_b64 s[22:23], s[22:23], s[0:1]
	s_andn2_b64 s[0:1], s[16:17], exec
	s_and_b64 s[20:21], s[20:21], exec
	s_or_b64 s[20:21], s[0:1], s[20:21]
	s_orn2_b64 s[0:1], s[26:27], exec
.LBB464_513:
	s_or_b64 exec, exec, s[24:25]
	s_mov_b64 s[26:27], 0
	s_mov_b64 s[28:29], 0
	;; [unrolled: 1-line block ×3, first 2 shown]
                                        ; implicit-def: $vgpr0_vgpr1
                                        ; implicit-def: $vgpr2_vgpr3
	s_and_saveexec_b64 s[24:25], s[0:1]
	s_cbranch_execz .LBB464_858
; %bb.514:
	v_cmp_gt_i32_e32 vcc, s40, v12
	s_mov_b64 s[36:37], -1
	s_mov_b64 s[0:1], s[20:21]
	s_mov_b64 s[30:31], s[22:23]
	s_and_saveexec_b64 s[26:27], vcc
	s_cbranch_execz .LBB464_772
; %bb.515:
	v_mul_lo_u32 v0, v12, s9
	v_ashrrev_i32_e32 v1, 31, v0
	s_and_b32 s36, 0xffff, s44
	s_cmp_lt_i32 s36, 11
	v_lshl_add_u64 v[0:1], s[6:7], 0, v[0:1]
	s_cbranch_scc1 .LBB464_522
; %bb.516:
	s_cmp_gt_i32 s36, 25
	s_cbranch_scc0 .LBB464_523
; %bb.517:
	s_cmp_gt_i32 s36, 28
	s_cbranch_scc0 .LBB464_524
	;; [unrolled: 3-line block ×4, first 2 shown]
; %bb.520:
	s_cmp_eq_u32 s36, 46
	s_mov_b64 s[30:31], 0
	s_cbranch_scc0 .LBB464_531
; %bb.521:
	global_load_dword v2, v[0:1], off
	s_mov_b64 s[0:1], -1
	s_waitcnt vmcnt(0)
	v_lshlrev_b32_e32 v2, 16, v2
	v_cvt_f64_f32_e32 v[2:3], v2
	s_branch .LBB464_532
.LBB464_522:
	s_mov_b64 s[30:31], -1
	s_mov_b64 s[0:1], 0
                                        ; implicit-def: $vgpr2_vgpr3
	s_mov_b64 s[28:29], s[20:21]
	s_branch .LBB464_597
.LBB464_523:
	s_mov_b64 s[30:31], -1
	s_mov_b64 s[0:1], 0
	s_mov_b64 s[28:29], s[20:21]
                                        ; implicit-def: $vgpr2_vgpr3
	s_branch .LBB464_563
.LBB464_524:
	s_mov_b64 s[30:31], -1
	s_mov_b64 s[0:1], 0
	s_mov_b64 s[28:29], s[20:21]
                                        ; implicit-def: $vgpr2_vgpr3
	s_branch .LBB464_542
.LBB464_525:
	s_mov_b64 s[30:31], -1
	s_mov_b64 s[0:1], 0
	s_mov_b64 s[28:29], s[20:21]
                                        ; implicit-def: $vgpr2_vgpr3
	s_branch .LBB464_537
.LBB464_526:
	s_andn2_saveexec_b64 s[28:29], s[28:29]
	s_cbranch_execz .LBB464_311
.LBB464_527:
	s_mov_b32 s34, 0x46000000
	v_add_f32_e64 v3, |v2|, s34
	v_and_b32_e32 v3, 0xff, v3
	v_cmp_ne_u32_e32 vcc, 0, v3
	s_andn2_b64 s[26:27], s[26:27], exec
	s_and_b64 s[34:35], vcc, exec
	s_or_b64 s[26:27], s[26:27], s[34:35]
	s_or_b64 exec, exec, s[28:29]
	v_mov_b32_e32 v6, 0
	s_and_saveexec_b64 s[28:29], s[26:27]
	s_cbranch_execnz .LBB464_312
	s_branch .LBB464_313
.LBB464_528:
	s_mov_b64 s[30:31], -1
	s_mov_b64 s[0:1], 0
	s_mov_b64 s[28:29], s[20:21]
                                        ; implicit-def: $vgpr2_vgpr3
	s_branch .LBB464_532
.LBB464_529:
	s_andn2_saveexec_b64 s[28:29], s[28:29]
	s_cbranch_execz .LBB464_324
.LBB464_530:
	s_mov_b32 s34, 0x42800000
	v_add_f32_e64 v3, |v2|, s34
	v_and_b32_e32 v3, 0xff, v3
	v_cmp_ne_u32_e32 vcc, 0, v3
	s_andn2_b64 s[26:27], s[26:27], exec
	s_and_b64 s[34:35], vcc, exec
	s_or_b64 s[26:27], s[26:27], s[34:35]
	s_or_b64 exec, exec, s[28:29]
	v_mov_b32_e32 v6, 0
	s_and_saveexec_b64 s[28:29], s[26:27]
	s_cbranch_execnz .LBB464_325
	s_branch .LBB464_326
.LBB464_531:
	s_mov_b64 s[28:29], -1
                                        ; implicit-def: $vgpr2_vgpr3
	s_mov_b64 s[0:1], 0
.LBB464_532:
	s_and_b64 vcc, exec, s[30:31]
	s_cbranch_vccz .LBB464_536
; %bb.533:
	s_cmp_eq_u32 s36, 44
	s_cbranch_scc0 .LBB464_535
; %bb.534:
	global_load_ubyte v4, v[0:1], off
	s_movk_i32 s28, 0xff
	v_bfrev_b32_e32 v5, 4
	v_mov_b32_e32 v6, 0x7ff80000
	v_bfrev_b32_e32 v7, 28
	s_mov_b64 s[0:1], -1
	s_waitcnt vmcnt(0)
	v_lshlrev_b32_e32 v2, 23, v4
	v_cvt_f64_f32_e32 v[2:3], v2
	v_cmp_ne_u32_e32 vcc, s28, v4
	s_mov_b64 s[28:29], 0
	s_nop 0
	v_cndmask_b32_e32 v2, v5, v2, vcc
	v_cndmask_b32_e32 v3, v6, v3, vcc
	v_cmp_ne_u32_e32 vcc, 0, v4
	s_nop 1
	v_cndmask_b32_e32 v3, v7, v3, vcc
	v_cndmask_b32_e32 v2, 0, v2, vcc
	s_branch .LBB464_536
.LBB464_535:
	s_mov_b64 s[28:29], -1
                                        ; implicit-def: $vgpr2_vgpr3
.LBB464_536:
	s_mov_b64 s[30:31], 0
.LBB464_537:
	s_and_b64 vcc, exec, s[30:31]
	s_cbranch_vccz .LBB464_541
; %bb.538:
	s_cmp_eq_u32 s36, 29
	s_cbranch_scc0 .LBB464_540
; %bb.539:
	global_load_dwordx2 v[2:3], v[0:1], off
	s_mov_b64 s[0:1], -1
	s_mov_b64 s[28:29], 0
	s_mov_b64 s[30:31], 0
	s_waitcnt vmcnt(0)
	v_cvt_f64_u32_e32 v[4:5], v3
	v_cvt_f64_u32_e32 v[2:3], v2
	v_ldexp_f64 v[4:5], v[4:5], 32
	v_add_f64 v[2:3], v[4:5], v[2:3]
	s_branch .LBB464_542
.LBB464_540:
	s_mov_b64 s[28:29], -1
                                        ; implicit-def: $vgpr2_vgpr3
.LBB464_541:
	s_mov_b64 s[30:31], 0
.LBB464_542:
	s_and_b64 vcc, exec, s[30:31]
	s_cbranch_vccz .LBB464_562
; %bb.543:
	s_cmp_lt_i32 s36, 27
	s_cbranch_scc1 .LBB464_546
; %bb.544:
	s_cmp_gt_i32 s36, 27
	s_cbranch_scc0 .LBB464_547
; %bb.545:
	global_load_dword v2, v[0:1], off
	s_mov_b64 s[0:1], 0
	s_waitcnt vmcnt(0)
	v_cvt_f64_u32_e32 v[2:3], v2
	s_branch .LBB464_548
.LBB464_546:
	s_mov_b64 s[0:1], -1
                                        ; implicit-def: $vgpr2_vgpr3
	s_branch .LBB464_551
.LBB464_547:
	s_mov_b64 s[0:1], -1
                                        ; implicit-def: $vgpr2_vgpr3
.LBB464_548:
	s_andn2_b64 vcc, exec, s[0:1]
	s_cbranch_vccnz .LBB464_550
; %bb.549:
	global_load_ushort v2, v[0:1], off
	s_waitcnt vmcnt(0)
	v_cvt_f64_u32_e32 v[2:3], v2
.LBB464_550:
	s_mov_b64 s[0:1], 0
.LBB464_551:
	s_andn2_b64 vcc, exec, s[0:1]
	s_cbranch_vccnz .LBB464_561
; %bb.552:
	global_load_ubyte v4, v[0:1], off
	s_movk_i32 s0, 0x7f
	s_waitcnt vmcnt(0)
	v_cmp_lt_i16_e32 vcc, s0, v4
	s_mov_b64 s[0:1], 0
	s_and_saveexec_b64 s[30:31], vcc
	s_xor_b64 s[30:31], exec, s[30:31]
	s_cbranch_execz .LBB464_556
; %bb.553:
	s_movk_i32 s0, 0x80
	v_cmp_eq_u16_e32 vcc, s0, v4
	s_mov_b64 s[0:1], -1
	s_and_saveexec_b64 s[34:35], vcc
; %bb.554:
	s_xor_b64 s[0:1], exec, -1
; %bb.555:
	s_or_b64 exec, exec, s[34:35]
	s_and_b64 s[0:1], s[0:1], exec
.LBB464_556:
	s_or_saveexec_b64 s[30:31], s[30:31]
	v_bfrev_b32_e32 v2, 4
	v_mov_b32_e32 v3, 0x7ff80000
	s_xor_b64 exec, exec, s[30:31]
; %bb.557:
	v_cmp_ne_u16_e32 vcc, 0, v4
	s_andn2_b64 s[0:1], s[0:1], exec
	s_and_b64 s[34:35], vcc, exec
	v_mov_b64_e32 v[2:3], 0
	s_or_b64 s[0:1], s[0:1], s[34:35]
; %bb.558:
	s_or_b64 exec, exec, s[30:31]
	s_and_saveexec_b64 s[30:31], s[0:1]
	s_cbranch_execz .LBB464_560
; %bb.559:
	v_and_b32_e32 v3, 0xffff, v4
	v_lshlrev_b32_e32 v2, 24, v4
	v_and_b32_e32 v4, 7, v3
	v_ffbh_u32_e32 v6, v4
	v_min_u32_e32 v6, 32, v6
	v_subrev_u32_e32 v7, 28, v6
	v_bfe_u32 v5, v3, 3, 4
	v_lshlrev_b32_e32 v3, v7, v3
	v_sub_u32_e32 v6, 29, v6
	v_and_b32_e32 v3, 7, v3
	v_cmp_eq_u32_e32 vcc, 0, v5
	v_and_b32_e32 v2, 0x80000000, v2
	s_nop 0
	v_cndmask_b32_e32 v5, v5, v6, vcc
	v_cndmask_b32_e32 v3, v4, v3, vcc
	v_mov_b32_e32 v4, 0x3b800000
	v_lshlrev_b32_e32 v3, 20, v3
	v_lshl_add_u32 v4, v5, 23, v4
	v_or3_b32 v2, v2, v4, v3
	v_cvt_f64_f32_e32 v[2:3], v2
.LBB464_560:
	s_or_b64 exec, exec, s[30:31]
.LBB464_561:
	s_mov_b64 s[0:1], -1
.LBB464_562:
	s_mov_b64 s[30:31], 0
.LBB464_563:
	s_and_b64 vcc, exec, s[30:31]
	s_cbranch_vccz .LBB464_596
; %bb.564:
	s_cmp_gt_i32 s36, 22
	s_cbranch_scc0 .LBB464_576
; %bb.565:
	s_cmp_lt_i32 s36, 24
	s_cbranch_scc1 .LBB464_577
; %bb.566:
	s_cmp_gt_i32 s36, 24
	s_cbranch_scc0 .LBB464_578
; %bb.567:
	global_load_ubyte v4, v[0:1], off
	s_movk_i32 s0, 0x7f
	s_waitcnt vmcnt(0)
	v_cmp_lt_i16_e32 vcc, s0, v4
	s_mov_b64 s[0:1], 0
	s_and_saveexec_b64 s[30:31], vcc
	s_xor_b64 s[30:31], exec, s[30:31]
	s_cbranch_execz .LBB464_571
; %bb.568:
	s_movk_i32 s0, 0x80
	v_cmp_eq_u16_e32 vcc, s0, v4
	s_mov_b64 s[0:1], -1
	s_and_saveexec_b64 s[34:35], vcc
; %bb.569:
	s_xor_b64 s[0:1], exec, -1
; %bb.570:
	s_or_b64 exec, exec, s[34:35]
	s_and_b64 s[0:1], s[0:1], exec
.LBB464_571:
	s_or_saveexec_b64 s[30:31], s[30:31]
	v_bfrev_b32_e32 v2, 4
	v_mov_b32_e32 v3, 0x7ff80000
	s_xor_b64 exec, exec, s[30:31]
; %bb.572:
	v_cmp_ne_u16_e32 vcc, 0, v4
	s_andn2_b64 s[0:1], s[0:1], exec
	s_and_b64 s[34:35], vcc, exec
	v_mov_b64_e32 v[2:3], 0
	s_or_b64 s[0:1], s[0:1], s[34:35]
; %bb.573:
	s_or_b64 exec, exec, s[30:31]
	s_and_saveexec_b64 s[30:31], s[0:1]
	s_cbranch_execz .LBB464_575
; %bb.574:
	v_and_b32_e32 v3, 0xffff, v4
	v_lshlrev_b32_e32 v2, 24, v4
	v_and_b32_e32 v4, 3, v3
	v_ffbh_u32_e32 v6, v4
	v_min_u32_e32 v6, 32, v6
	v_subrev_u32_e32 v7, 29, v6
	v_bfe_u32 v5, v3, 2, 5
	v_lshlrev_b32_e32 v3, v7, v3
	v_sub_u32_e32 v6, 30, v6
	v_and_b32_e32 v3, 3, v3
	v_cmp_eq_u32_e32 vcc, 0, v5
	v_and_b32_e32 v2, 0x80000000, v2
	s_nop 0
	v_cndmask_b32_e32 v5, v5, v6, vcc
	v_cndmask_b32_e32 v3, v4, v3, vcc
	v_mov_b32_e32 v4, 0x37800000
	v_lshlrev_b32_e32 v3, 21, v3
	v_lshl_add_u32 v4, v5, 23, v4
	v_or3_b32 v2, v2, v4, v3
	v_cvt_f64_f32_e32 v[2:3], v2
.LBB464_575:
	s_or_b64 exec, exec, s[30:31]
	s_mov_b64 s[0:1], 0
	s_branch .LBB464_579
.LBB464_576:
	s_mov_b64 s[30:31], -1
                                        ; implicit-def: $vgpr2_vgpr3
	s_branch .LBB464_585
.LBB464_577:
	s_mov_b64 s[0:1], -1
                                        ; implicit-def: $vgpr2_vgpr3
	s_branch .LBB464_582
.LBB464_578:
	s_mov_b64 s[0:1], -1
                                        ; implicit-def: $vgpr2_vgpr3
.LBB464_579:
	s_and_b64 vcc, exec, s[0:1]
	s_cbranch_vccz .LBB464_581
; %bb.580:
	global_load_ubyte v2, v[0:1], off
	s_mov_b32 s0, 0x7f800000
	s_waitcnt vmcnt(0)
	v_lshlrev_b32_e32 v2, 24, v2
	v_and_b32_e32 v3, 0x7f000000, v2
	v_ffbh_u32_e32 v4, v3
	v_min_u32_e32 v4, 32, v4
	v_sub_u32_e64 v4, v4, 4 clamp
	v_lshlrev_b32_e32 v6, v4, v3
	v_lshlrev_b32_e32 v4, 23, v4
	v_lshrrev_b32_e32 v6, 4, v6
	v_add_u32_e32 v5, 0x1000000, v3
	v_sub_u32_e32 v4, v6, v4
	v_ashrrev_i32_e32 v5, 8, v5
	v_add_u32_e32 v4, 0x3c000000, v4
	v_and_or_b32 v4, v5, s0, v4
	v_cmp_ne_u32_e32 vcc, 0, v3
	s_brev_b32 s0, 1
	s_nop 0
	v_cndmask_b32_e32 v3, 0, v4, vcc
	v_and_or_b32 v2, v2, s0, v3
	v_cvt_f64_f32_e32 v[2:3], v2
.LBB464_581:
	s_mov_b64 s[0:1], 0
.LBB464_582:
	s_andn2_b64 vcc, exec, s[0:1]
	s_cbranch_vccnz .LBB464_584
; %bb.583:
	global_load_ubyte v2, v[0:1], off
	s_movk_i32 s0, 0x7f00
	s_brev_b32 s1, 16
	s_waitcnt vmcnt(0)
	v_lshlrev_b16_e32 v3, 8, v2
	v_lshlrev_b32_e32 v2, 25, v2
	v_lshrrev_b32_e32 v4, 4, v2
	v_and_or_b32 v5, v3, s0, 0.5
	v_or_b32_e32 v4, 0x70000000, v4
	v_add_f32_e32 v5, -0.5, v5
	v_mul_f32_e32 v4, 0x7800000, v4
	v_cmp_gt_u32_e32 vcc, s1, v2
	v_bfe_i32 v3, v3, 0, 16
	s_brev_b32 s0, 1
	v_cndmask_b32_e32 v2, v4, v5, vcc
	v_and_or_b32 v2, v3, s0, v2
	v_cvt_f64_f32_e32 v[2:3], v2
.LBB464_584:
	s_mov_b64 s[30:31], 0
	s_mov_b64 s[0:1], -1
.LBB464_585:
	s_andn2_b64 vcc, exec, s[30:31]
	s_cbranch_vccnz .LBB464_596
; %bb.586:
	s_cmp_gt_i32 s36, 14
	s_cbranch_scc0 .LBB464_589
; %bb.587:
	s_cmp_eq_u32 s36, 15
	s_cbranch_scc0 .LBB464_590
; %bb.588:
	global_load_ushort v2, v[0:1], off
	s_mov_b64 s[0:1], -1
	s_mov_b64 s[28:29], 0
	s_waitcnt vmcnt(0)
	v_lshlrev_b32_e32 v2, 16, v2
	v_cvt_f64_f32_e32 v[2:3], v2
	s_branch .LBB464_591
.LBB464_589:
	s_mov_b64 s[30:31], -1
                                        ; implicit-def: $vgpr2_vgpr3
	s_branch .LBB464_592
.LBB464_590:
	s_mov_b64 s[28:29], -1
                                        ; implicit-def: $vgpr2_vgpr3
.LBB464_591:
	s_mov_b64 s[30:31], 0
.LBB464_592:
	s_and_b64 vcc, exec, s[30:31]
	s_cbranch_vccz .LBB464_596
; %bb.593:
	s_cmp_eq_u32 s36, 11
	s_cbranch_scc0 .LBB464_595
; %bb.594:
	global_load_ubyte v3, v[0:1], off
	v_mov_b32_e32 v4, 0x3ff00000
	s_waitcnt vmcnt(1)
	v_mov_b32_e32 v2, 0
	s_mov_b64 s[0:1], -1
	s_mov_b64 s[28:29], 0
	s_waitcnt vmcnt(0)
	v_cmp_ne_u16_e32 vcc, 0, v3
	s_nop 1
	v_cndmask_b32_e32 v3, 0, v4, vcc
	s_branch .LBB464_596
.LBB464_595:
	s_mov_b64 s[28:29], -1
                                        ; implicit-def: $vgpr2_vgpr3
.LBB464_596:
	s_mov_b64 s[30:31], 0
.LBB464_597:
	s_and_b64 vcc, exec, s[30:31]
	s_cbranch_vccz .LBB464_646
; %bb.598:
	s_cmp_lt_i32 s36, 5
	s_cbranch_scc1 .LBB464_603
; %bb.599:
	s_cmp_lt_i32 s36, 8
	s_cbranch_scc1 .LBB464_604
	;; [unrolled: 3-line block ×3, first 2 shown]
; %bb.601:
	s_cmp_gt_i32 s36, 9
	s_cbranch_scc0 .LBB464_606
; %bb.602:
	global_load_dwordx2 v[2:3], v[0:1], off
	s_mov_b64 s[0:1], 0
	s_branch .LBB464_607
.LBB464_603:
	s_mov_b64 s[0:1], -1
                                        ; implicit-def: $vgpr2_vgpr3
	s_branch .LBB464_625
.LBB464_604:
	s_mov_b64 s[0:1], -1
                                        ; implicit-def: $vgpr2_vgpr3
	s_branch .LBB464_613
.LBB464_605:
	s_mov_b64 s[0:1], -1
                                        ; implicit-def: $vgpr2_vgpr3
	s_branch .LBB464_610
.LBB464_606:
	s_mov_b64 s[0:1], -1
                                        ; implicit-def: $vgpr2_vgpr3
.LBB464_607:
	s_andn2_b64 vcc, exec, s[0:1]
	s_cbranch_vccnz .LBB464_609
; %bb.608:
	global_load_dword v2, v[0:1], off
	s_waitcnt vmcnt(0)
	v_cvt_f64_f32_e32 v[2:3], v2
.LBB464_609:
	s_mov_b64 s[0:1], 0
.LBB464_610:
	s_andn2_b64 vcc, exec, s[0:1]
	s_cbranch_vccnz .LBB464_612
; %bb.611:
	global_load_dword v2, v[0:1], off
	s_waitcnt vmcnt(0)
	v_cvt_f32_f16_e32 v2, v2
	v_cvt_f64_f32_e32 v[2:3], v2
.LBB464_612:
	s_mov_b64 s[0:1], 0
.LBB464_613:
	s_andn2_b64 vcc, exec, s[0:1]
	s_cbranch_vccnz .LBB464_624
; %bb.614:
	s_cmp_lt_i32 s36, 6
	s_cbranch_scc1 .LBB464_617
; %bb.615:
	s_cmp_gt_i32 s36, 6
	s_cbranch_scc0 .LBB464_618
; %bb.616:
	global_load_dwordx2 v[2:3], v[0:1], off
	s_mov_b64 s[0:1], 0
	s_branch .LBB464_619
.LBB464_617:
	s_mov_b64 s[0:1], -1
                                        ; implicit-def: $vgpr2_vgpr3
	s_branch .LBB464_622
.LBB464_618:
	s_mov_b64 s[0:1], -1
                                        ; implicit-def: $vgpr2_vgpr3
.LBB464_619:
	s_andn2_b64 vcc, exec, s[0:1]
	s_cbranch_vccnz .LBB464_621
; %bb.620:
	global_load_dword v2, v[0:1], off
	s_waitcnt vmcnt(0)
	v_cvt_f64_f32_e32 v[2:3], v2
.LBB464_621:
	s_mov_b64 s[0:1], 0
.LBB464_622:
	s_andn2_b64 vcc, exec, s[0:1]
	s_cbranch_vccnz .LBB464_624
; %bb.623:
	global_load_ushort v2, v[0:1], off
	s_waitcnt vmcnt(0)
	v_cvt_f32_f16_e32 v2, v2
	v_cvt_f64_f32_e32 v[2:3], v2
.LBB464_624:
	s_mov_b64 s[0:1], 0
.LBB464_625:
	s_andn2_b64 vcc, exec, s[0:1]
	s_cbranch_vccnz .LBB464_645
; %bb.626:
	s_cmp_lt_i32 s36, 2
	s_cbranch_scc1 .LBB464_630
; %bb.627:
	s_cmp_lt_i32 s36, 3
	s_cbranch_scc1 .LBB464_631
; %bb.628:
	s_cmp_gt_i32 s36, 3
	s_cbranch_scc0 .LBB464_632
; %bb.629:
	global_load_dwordx2 v[2:3], v[0:1], off
	s_mov_b64 s[0:1], 0
	s_waitcnt vmcnt(0)
	v_cvt_f64_i32_e32 v[4:5], v3
	v_cvt_f64_u32_e32 v[2:3], v2
	v_ldexp_f64 v[4:5], v[4:5], 32
	v_add_f64 v[2:3], v[4:5], v[2:3]
	s_branch .LBB464_633
.LBB464_630:
	s_mov_b64 s[0:1], -1
                                        ; implicit-def: $vgpr2_vgpr3
	s_branch .LBB464_639
.LBB464_631:
	s_mov_b64 s[0:1], -1
                                        ; implicit-def: $vgpr2_vgpr3
	s_branch .LBB464_636
.LBB464_632:
	s_mov_b64 s[0:1], -1
                                        ; implicit-def: $vgpr2_vgpr3
.LBB464_633:
	s_andn2_b64 vcc, exec, s[0:1]
	s_cbranch_vccnz .LBB464_635
; %bb.634:
	global_load_dword v2, v[0:1], off
	s_waitcnt vmcnt(0)
	v_cvt_f64_i32_e32 v[2:3], v2
.LBB464_635:
	s_mov_b64 s[0:1], 0
.LBB464_636:
	s_andn2_b64 vcc, exec, s[0:1]
	s_cbranch_vccnz .LBB464_638
; %bb.637:
	global_load_sshort v2, v[0:1], off
	s_waitcnt vmcnt(0)
	v_cvt_f64_i32_e32 v[2:3], v2
.LBB464_638:
	s_mov_b64 s[0:1], 0
.LBB464_639:
	s_andn2_b64 vcc, exec, s[0:1]
	s_cbranch_vccnz .LBB464_645
; %bb.640:
	s_cmp_gt_i32 s36, 0
	s_cbranch_scc0 .LBB464_642
; %bb.641:
	global_load_sbyte v2, v[0:1], off
	s_mov_b64 s[0:1], 0
	s_waitcnt vmcnt(0)
	v_cvt_f64_i32_e32 v[2:3], v2
	s_branch .LBB464_643
.LBB464_642:
	s_mov_b64 s[0:1], -1
                                        ; implicit-def: $vgpr2_vgpr3
.LBB464_643:
	s_andn2_b64 vcc, exec, s[0:1]
	s_cbranch_vccnz .LBB464_645
; %bb.644:
	global_load_ubyte v0, v[0:1], off
	s_waitcnt vmcnt(0)
	v_cvt_f64_u32_e32 v[2:3], v0
.LBB464_645:
	s_mov_b64 s[0:1], -1
.LBB464_646:
	s_andn2_b64 vcc, exec, s[0:1]
	s_cbranch_vccnz .LBB464_654
; %bb.647:
	v_max_f64 v[0:1], s[10:11], s[10:11]
	s_waitcnt vmcnt(0)
	v_max_f64 v[4:5], v[2:3], v[2:3]
	v_min_f64 v[0:1], v[4:5], v[0:1]
	v_cmp_u_f64_e32 vcc, v[2:3], v[2:3]
	s_and_b32 s38, s33, 0xff
	s_cmp_lt_i32 s38, 11
	v_cndmask_b32_e32 v0, v0, v2, vcc
	v_mul_lo_u32 v2, v12, s8
	v_cndmask_b32_e32 v1, v1, v3, vcc
	v_ashrrev_i32_e32 v3, 31, v2
	v_lshl_add_u64 v[4:5], s[4:5], 0, v[2:3]
	s_cbranch_scc1 .LBB464_655
; %bb.648:
	s_and_b32 s39, 0xffff, s38
	s_cmp_gt_i32 s39, 25
	s_cbranch_scc0 .LBB464_656
; %bb.649:
	s_cmp_gt_i32 s39, 28
	s_cbranch_scc0 .LBB464_657
; %bb.650:
	;; [unrolled: 3-line block ×4, first 2 shown]
	s_mov_b64 s[34:35], 0
	s_mov_b64 s[0:1], -1
	s_cmp_eq_u32 s39, 46
	s_mov_b64 s[30:31], 0
	s_cbranch_scc0 .LBB464_660
; %bb.653:
	v_cvt_f32_f64_e32 v2, v[0:1]
	v_bfe_u32 v3, v2, 16, 1
	s_movk_i32 s0, 0x7fff
	v_add3_u32 v3, v2, v3, s0
	v_cmp_o_f32_e32 vcc, v2, v2
	v_mov_b32_e32 v2, 0x7fc0
	s_mov_b64 s[30:31], -1
	v_cndmask_b32_sdwa v2, v2, v3, vcc dst_sel:DWORD dst_unused:UNUSED_PAD src0_sel:DWORD src1_sel:WORD_1
	global_store_dword v[4:5], v2, off
	s_mov_b64 s[0:1], 0
	s_branch .LBB464_660
.LBB464_654:
	s_mov_b64 s[34:35], 0
                                        ; implicit-def: $vgpr12
	s_mov_b64 s[0:1], s[22:23]
	s_branch .LBB464_771
.LBB464_655:
	s_mov_b64 s[34:35], -1
	s_mov_b64 s[30:31], 0
	s_mov_b64 s[0:1], s[22:23]
	s_branch .LBB464_729
.LBB464_656:
	s_mov_b64 s[34:35], -1
	s_mov_b64 s[30:31], 0
	s_mov_b64 s[0:1], s[22:23]
	s_branch .LBB464_687
.LBB464_657:
	s_mov_b64 s[34:35], -1
	s_mov_b64 s[30:31], 0
	s_mov_b64 s[0:1], s[22:23]
	s_branch .LBB464_670
.LBB464_658:
	s_mov_b64 s[34:35], -1
	s_mov_b64 s[30:31], 0
	s_mov_b64 s[0:1], s[22:23]
	s_branch .LBB464_666
.LBB464_659:
	s_mov_b64 s[34:35], -1
	s_mov_b64 s[30:31], 0
	s_mov_b64 s[0:1], s[22:23]
.LBB464_660:
	s_and_b64 vcc, exec, s[34:35]
	s_cbranch_vccz .LBB464_665
; %bb.661:
	s_cmp_eq_u32 s39, 44
	s_mov_b64 s[0:1], -1
	s_cbranch_scc0 .LBB464_665
; %bb.662:
	v_cvt_f32_f64_e32 v2, v[0:1]
	v_bfe_u32 v3, v2, 23, 8
	s_movk_i32 s0, 0xff
	v_cmp_ne_u32_e32 vcc, s0, v3
	v_mov_b32_e32 v6, 0xff
	s_and_saveexec_b64 s[30:31], vcc
; %bb.663:
	s_mov_b32 s0, 0x3fffff
	v_lshrrev_b32_e32 v6, 23, v2
	v_and_b32_e32 v7, 0x400000, v2
	v_and_or_b32 v2, v2, s0, v3
	v_cmp_ne_u32_e32 vcc, 0, v7
	v_cmp_ne_u32_e64 s[0:1], 0, v2
	s_and_b64 s[0:1], vcc, s[0:1]
	s_nop 0
	v_cndmask_b32_e64 v2, 0, 1, s[0:1]
	v_add_u32_e32 v6, v6, v2
; %bb.664:
	s_or_b64 exec, exec, s[30:31]
	s_mov_b64 s[30:31], -1
	s_mov_b64 s[0:1], 0
	global_store_byte v[4:5], v6, off
.LBB464_665:
	s_mov_b64 s[34:35], 0
.LBB464_666:
	s_and_b64 vcc, exec, s[34:35]
	s_cbranch_vccz .LBB464_669
; %bb.667:
	s_cmp_eq_u32 s39, 29
	s_mov_b64 s[0:1], -1
	s_cbranch_scc0 .LBB464_669
; %bb.668:
	v_trunc_f64_e32 v[2:3], v[0:1]
	s_movk_i32 s0, 0xffe0
	v_ldexp_f64 v[6:7], v[2:3], s0
	v_floor_f64_e32 v[6:7], v[6:7]
	v_fmac_f64_e32 v[2:3], 0xc1f00000, v[6:7]
	v_cvt_u32_f64_e32 v9, v[6:7]
	v_cvt_u32_f64_e32 v8, v[2:3]
	global_store_dwordx2 v[4:5], v[8:9], off
	s_mov_b64 s[30:31], -1
	s_mov_b64 s[0:1], 0
.LBB464_669:
	s_mov_b64 s[34:35], 0
.LBB464_670:
	s_and_b64 vcc, exec, s[34:35]
	s_cbranch_vccz .LBB464_686
; %bb.671:
	s_cmp_lt_i32 s39, 27
	s_mov_b64 s[30:31], -1
	s_cbranch_scc1 .LBB464_677
; %bb.672:
	s_cmp_gt_i32 s39, 27
	v_cvt_u32_f64_e32 v2, v[0:1]
	s_cbranch_scc0 .LBB464_674
; %bb.673:
	s_mov_b64 s[30:31], 0
	global_store_dword v[4:5], v2, off
.LBB464_674:
	s_andn2_b64 vcc, exec, s[30:31]
	s_cbranch_vccnz .LBB464_676
; %bb.675:
	global_store_short v[4:5], v2, off
.LBB464_676:
	s_mov_b64 s[30:31], 0
.LBB464_677:
	s_andn2_b64 vcc, exec, s[30:31]
	s_cbranch_vccnz .LBB464_685
; %bb.678:
	v_cvt_f32_f64_e32 v2, v[0:1]
	v_and_b32_e32 v3, 0x7fffffff, v2
	s_mov_b32 s30, 0x43800000
	v_cmp_gt_u32_e32 vcc, s30, v3
	v_mov_b32_e32 v6, 0x80
	s_and_saveexec_b64 s[30:31], vcc
	s_cbranch_execz .LBB464_684
; %bb.679:
	s_mov_b32 s34, 0x3bffffff
	v_cmp_lt_u32_e32 vcc, s34, v3
	s_mov_b64 s[34:35], 0
                                        ; implicit-def: $vgpr3
	s_and_saveexec_b64 s[36:37], vcc
	s_xor_b64 s[36:37], exec, s[36:37]
	s_cbranch_execz .LBB464_785
; %bb.680:
	v_bfe_u32 v3, v2, 20, 1
	s_mov_b32 s41, 0x487ffff
	v_add3_u32 v3, v2, v3, s41
	s_mov_b64 s[34:35], exec
	v_lshrrev_b32_e32 v3, 20, v3
	s_andn2_saveexec_b64 s[36:37], s[36:37]
	s_cbranch_execnz .LBB464_786
.LBB464_681:
	s_or_b64 exec, exec, s[36:37]
	v_mov_b32_e32 v6, 0
	s_and_saveexec_b64 s[36:37], s[34:35]
.LBB464_682:
	v_lshrrev_b32_e32 v2, 24, v2
	s_movk_i32 s34, 0x80
	v_and_or_b32 v6, v2, s34, v3
.LBB464_683:
	s_or_b64 exec, exec, s[36:37]
.LBB464_684:
	s_or_b64 exec, exec, s[30:31]
	global_store_byte v[4:5], v6, off
.LBB464_685:
	s_mov_b64 s[30:31], -1
.LBB464_686:
	s_mov_b64 s[34:35], 0
.LBB464_687:
	s_and_b64 vcc, exec, s[34:35]
	s_cbranch_vccz .LBB464_728
; %bb.688:
	s_cmp_gt_i32 s39, 22
	s_mov_b64 s[34:35], -1
	s_cbranch_scc0 .LBB464_720
; %bb.689:
	s_cmp_lt_i32 s39, 24
	s_mov_b64 s[30:31], -1
	s_cbranch_scc1 .LBB464_709
; %bb.690:
	s_cmp_gt_i32 s39, 24
	s_cbranch_scc0 .LBB464_698
; %bb.691:
	v_cvt_f32_f64_e32 v2, v[0:1]
	v_and_b32_e32 v3, 0x7fffffff, v2
	s_mov_b32 s30, 0x47800000
	v_cmp_gt_u32_e32 vcc, s30, v3
	v_mov_b32_e32 v6, 0x80
	s_and_saveexec_b64 s[30:31], vcc
	s_cbranch_execz .LBB464_697
; %bb.692:
	s_mov_b32 s34, 0x37ffffff
	v_cmp_lt_u32_e32 vcc, s34, v3
	s_mov_b64 s[34:35], 0
                                        ; implicit-def: $vgpr3
	s_and_saveexec_b64 s[36:37], vcc
	s_xor_b64 s[36:37], exec, s[36:37]
	s_cbranch_execz .LBB464_788
; %bb.693:
	v_bfe_u32 v3, v2, 21, 1
	s_mov_b32 s41, 0x88fffff
	v_add3_u32 v3, v2, v3, s41
	s_mov_b64 s[34:35], exec
	v_lshrrev_b32_e32 v3, 21, v3
	s_andn2_saveexec_b64 s[36:37], s[36:37]
	s_cbranch_execnz .LBB464_789
.LBB464_694:
	s_or_b64 exec, exec, s[36:37]
	v_mov_b32_e32 v6, 0
	s_and_saveexec_b64 s[36:37], s[34:35]
.LBB464_695:
	v_lshrrev_b32_e32 v2, 24, v2
	s_movk_i32 s34, 0x80
	v_and_or_b32 v6, v2, s34, v3
.LBB464_696:
	s_or_b64 exec, exec, s[36:37]
.LBB464_697:
	s_or_b64 exec, exec, s[30:31]
	s_mov_b64 s[30:31], 0
	global_store_byte v[4:5], v6, off
.LBB464_698:
	s_and_b64 vcc, exec, s[30:31]
	s_cbranch_vccz .LBB464_708
; %bb.699:
	v_cvt_f32_f64_e32 v2, v[0:1]
	v_and_b32_e32 v6, 0x7fffffff, v2
	s_mov_b32 s30, 0x43f00000
	v_cmp_gt_u32_e32 vcc, s30, v6
                                        ; implicit-def: $vgpr3
	s_and_saveexec_b64 s[30:31], vcc
	s_xor_b64 s[30:31], exec, s[30:31]
	s_cbranch_execz .LBB464_705
; %bb.700:
	s_mov_b32 s34, 0x3c7fffff
	v_cmp_lt_u32_e32 vcc, s34, v6
                                        ; implicit-def: $vgpr3
	s_and_saveexec_b64 s[34:35], vcc
	s_xor_b64 s[34:35], exec, s[34:35]
; %bb.701:
	v_bfe_u32 v3, v2, 20, 1
	s_mov_b32 s36, 0x407ffff
	v_add3_u32 v3, v2, v3, s36
	v_lshrrev_b32_e32 v6, 20, v3
	v_and_b32_e32 v3, 0xff00000, v3
	s_mov_b32 s36, 0x7f00000
	v_mov_b32_e32 v7, 0x7e
	v_cmp_ne_u32_e32 vcc, s36, v3
	s_nop 1
	v_cndmask_b32_e32 v3, v7, v6, vcc
; %bb.702:
	s_andn2_saveexec_b64 s[34:35], s[34:35]
; %bb.703:
	s_mov_b32 s36, 0x46800000
	v_add_f32_e64 v3, |v2|, s36
; %bb.704:
	s_or_b64 exec, exec, s[34:35]
                                        ; implicit-def: $vgpr6
.LBB464_705:
	s_andn2_saveexec_b64 s[30:31], s[30:31]
; %bb.706:
	s_mov_b32 s34, 0x7f800000
	v_mov_b32_e32 v3, 0x7e
	v_mov_b32_e32 v7, 0x7f
	v_cmp_lt_u32_e32 vcc, s34, v6
	s_nop 1
	v_cndmask_b32_e32 v3, v3, v7, vcc
; %bb.707:
	s_or_b64 exec, exec, s[30:31]
	v_lshrrev_b32_e32 v2, 24, v2
	s_movk_i32 s30, 0x80
	v_and_or_b32 v2, v2, s30, v3
	global_store_byte v[4:5], v2, off
.LBB464_708:
	s_mov_b64 s[30:31], 0
.LBB464_709:
	s_andn2_b64 vcc, exec, s[30:31]
	s_cbranch_vccnz .LBB464_719
; %bb.710:
	v_cvt_f32_f64_e32 v2, v[0:1]
	v_and_b32_e32 v6, 0x7fffffff, v2
	s_mov_b32 s30, 0x47800000
	v_cmp_gt_u32_e32 vcc, s30, v6
                                        ; implicit-def: $vgpr3
	s_and_saveexec_b64 s[30:31], vcc
	s_xor_b64 s[30:31], exec, s[30:31]
	s_cbranch_execz .LBB464_716
; %bb.711:
	s_mov_b32 s34, 0x387fffff
	v_cmp_lt_u32_e32 vcc, s34, v6
                                        ; implicit-def: $vgpr3
	s_and_saveexec_b64 s[34:35], vcc
	s_xor_b64 s[34:35], exec, s[34:35]
; %bb.712:
	v_bfe_u32 v3, v2, 21, 1
	s_mov_b32 s36, 0x80fffff
	v_add3_u32 v3, v2, v3, s36
	v_lshrrev_b32_e32 v3, 21, v3
; %bb.713:
	s_andn2_saveexec_b64 s[34:35], s[34:35]
; %bb.714:
	s_mov_b32 s36, 0x43000000
	v_add_f32_e64 v3, |v2|, s36
; %bb.715:
	s_or_b64 exec, exec, s[34:35]
                                        ; implicit-def: $vgpr6
.LBB464_716:
	s_andn2_saveexec_b64 s[30:31], s[30:31]
; %bb.717:
	s_mov_b32 s34, 0x7f800000
	v_mov_b32_e32 v3, 0x7c
	v_mov_b32_e32 v7, 0x7f
	v_cmp_lt_u32_e32 vcc, s34, v6
	s_nop 1
	v_cndmask_b32_e32 v3, v3, v7, vcc
; %bb.718:
	s_or_b64 exec, exec, s[30:31]
	v_lshrrev_b32_e32 v2, 24, v2
	s_movk_i32 s30, 0x80
	v_and_or_b32 v2, v2, s30, v3
	global_store_byte v[4:5], v2, off
.LBB464_719:
	s_mov_b64 s[34:35], 0
	s_mov_b64 s[30:31], -1
.LBB464_720:
	s_andn2_b64 vcc, exec, s[34:35]
	s_cbranch_vccnz .LBB464_728
; %bb.721:
	s_cmp_gt_i32 s39, 14
	s_mov_b64 s[34:35], -1
	s_cbranch_scc0 .LBB464_725
; %bb.722:
	s_cmp_eq_u32 s39, 15
	s_mov_b64 s[0:1], -1
	s_cbranch_scc0 .LBB464_724
; %bb.723:
	v_cvt_f32_f64_e32 v2, v[0:1]
	v_bfe_u32 v3, v2, 16, 1
	s_movk_i32 s0, 0x7fff
	v_add3_u32 v3, v2, v3, s0
	v_cmp_o_f32_e32 vcc, v2, v2
	v_mov_b32_e32 v2, 0x7fc0
	s_mov_b64 s[30:31], -1
	v_cndmask_b32_sdwa v2, v2, v3, vcc dst_sel:DWORD dst_unused:UNUSED_PAD src0_sel:DWORD src1_sel:WORD_1
	global_store_short v[4:5], v2, off
	s_mov_b64 s[0:1], 0
.LBB464_724:
	s_mov_b64 s[34:35], 0
.LBB464_725:
	s_and_b64 vcc, exec, s[34:35]
	s_cbranch_vccz .LBB464_728
; %bb.726:
	s_cmp_eq_u32 s39, 11
	s_mov_b64 s[0:1], -1
	s_cbranch_scc0 .LBB464_728
; %bb.727:
	v_cmp_neq_f64_e32 vcc, 0, v[0:1]
	s_mov_b64 s[0:1], 0
	s_mov_b64 s[30:31], -1
	v_cndmask_b32_e64 v2, 0, 1, vcc
	global_store_byte v[4:5], v2, off
.LBB464_728:
	s_mov_b64 s[34:35], 0
.LBB464_729:
	s_and_b64 vcc, exec, s[34:35]
	s_cbranch_vccz .LBB464_768
; %bb.730:
	s_and_b32 s34, 0xffff, s38
	s_cmp_lt_i32 s34, 5
	s_mov_b64 s[30:31], -1
	s_cbranch_scc1 .LBB464_751
; %bb.731:
	s_cmp_lt_i32 s34, 8
	s_cbranch_scc1 .LBB464_741
; %bb.732:
	s_cmp_lt_i32 s34, 9
	s_cbranch_scc1 .LBB464_738
; %bb.733:
	s_cmp_gt_i32 s34, 9
	s_cbranch_scc0 .LBB464_735
; %bb.734:
	v_mov_b32_e32 v2, 0
	v_mov_b32_e32 v3, v2
	s_mov_b64 s[30:31], 0
	global_store_dwordx4 v[4:5], v[0:3], off
.LBB464_735:
	s_andn2_b64 vcc, exec, s[30:31]
	s_cbranch_vccnz .LBB464_737
; %bb.736:
	v_cvt_f32_f64_e32 v2, v[0:1]
	v_mov_b32_e32 v3, 0
	global_store_dwordx2 v[4:5], v[2:3], off
.LBB464_737:
	s_mov_b64 s[30:31], 0
.LBB464_738:
	s_andn2_b64 vcc, exec, s[30:31]
	s_cbranch_vccnz .LBB464_740
; %bb.739:
	s_movk_i32 s30, 0x1ff
	v_and_or_b32 v2, v1, s30, v0
	v_cmp_ne_u32_e32 vcc, 0, v2
	v_lshrrev_b32_e32 v3, 8, v1
	s_movk_i32 s30, 0xffe
	v_cndmask_b32_e64 v2, 0, 1, vcc
	v_bfe_u32 v6, v1, 20, 11
	v_and_or_b32 v2, v3, s30, v2
	v_sub_u32_e32 v7, 0x3f1, v6
	v_or_b32_e32 v3, 0x1000, v2
	v_med3_i32 v7, v7, 0, 13
	v_lshrrev_b32_e32 v8, v7, v3
	v_lshlrev_b32_e32 v7, v7, v8
	v_cmp_ne_u32_e32 vcc, v7, v3
	v_add_u32_e32 v6, 0xfffffc10, v6
	v_lshl_or_b32 v7, v6, 12, v2
	v_cndmask_b32_e64 v3, 0, 1, vcc
	v_or_b32_e32 v3, v8, v3
	v_cmp_gt_i32_e32 vcc, 1, v6
	s_movk_i32 s30, 0x40f
	s_nop 0
	v_cndmask_b32_e32 v3, v7, v3, vcc
	v_and_b32_e32 v7, 7, v3
	v_cmp_lt_i32_e32 vcc, 5, v7
	v_lshrrev_b32_e32 v3, 2, v3
	s_nop 0
	v_cndmask_b32_e64 v8, 0, 1, vcc
	v_cmp_eq_u32_e32 vcc, 3, v7
	s_nop 1
	v_cndmask_b32_e64 v7, 0, 1, vcc
	v_or_b32_e32 v7, v7, v8
	v_add_u32_e32 v3, v3, v7
	v_mov_b32_e32 v7, 0x7c00
	v_cmp_gt_i32_e32 vcc, 31, v6
	v_mov_b32_e32 v8, 0x7e00
	s_nop 0
	v_cndmask_b32_e32 v3, v7, v3, vcc
	v_cmp_ne_u32_e32 vcc, 0, v2
	s_nop 1
	v_cndmask_b32_e32 v2, v7, v8, vcc
	v_cmp_eq_u32_e32 vcc, s30, v6
	s_mov_b32 s30, 0x8000
	s_nop 0
	v_cndmask_b32_e32 v2, v3, v2, vcc
	v_and_b32_sdwa v3, v1, s30 dst_sel:DWORD dst_unused:UNUSED_PAD src0_sel:WORD_1 src1_sel:DWORD
	s_mov_b32 s30, 0xffff
	v_bitop3_b32 v2, v3, s30, v2 bitop3:0xc8
	global_store_dword v[4:5], v2, off
.LBB464_740:
	s_mov_b64 s[30:31], 0
.LBB464_741:
	s_andn2_b64 vcc, exec, s[30:31]
	s_cbranch_vccnz .LBB464_750
; %bb.742:
	s_cmp_lt_i32 s34, 6
	s_mov_b64 s[30:31], -1
	s_cbranch_scc1 .LBB464_748
; %bb.743:
	s_cmp_gt_i32 s34, 6
	s_cbranch_scc0 .LBB464_745
; %bb.744:
	s_mov_b64 s[30:31], 0
	global_store_dwordx2 v[4:5], v[0:1], off
.LBB464_745:
	s_andn2_b64 vcc, exec, s[30:31]
	s_cbranch_vccnz .LBB464_747
; %bb.746:
	v_cvt_f32_f64_e32 v2, v[0:1]
	global_store_dword v[4:5], v2, off
.LBB464_747:
	s_mov_b64 s[30:31], 0
.LBB464_748:
	s_andn2_b64 vcc, exec, s[30:31]
	s_cbranch_vccnz .LBB464_750
; %bb.749:
	s_movk_i32 s30, 0x1ff
	v_and_or_b32 v2, v1, s30, v0
	v_cmp_ne_u32_e32 vcc, 0, v2
	v_lshrrev_b32_e32 v3, 8, v1
	s_movk_i32 s30, 0xffe
	v_cndmask_b32_e64 v2, 0, 1, vcc
	v_bfe_u32 v6, v1, 20, 11
	v_and_or_b32 v2, v3, s30, v2
	v_sub_u32_e32 v7, 0x3f1, v6
	v_or_b32_e32 v3, 0x1000, v2
	v_med3_i32 v7, v7, 0, 13
	v_lshrrev_b32_e32 v8, v7, v3
	v_lshlrev_b32_e32 v7, v7, v8
	v_cmp_ne_u32_e32 vcc, v7, v3
	v_add_u32_e32 v6, 0xfffffc10, v6
	v_lshl_or_b32 v7, v6, 12, v2
	v_cndmask_b32_e64 v3, 0, 1, vcc
	v_or_b32_e32 v3, v8, v3
	v_cmp_gt_i32_e32 vcc, 1, v6
	s_movk_i32 s30, 0x40f
	s_nop 0
	v_cndmask_b32_e32 v3, v7, v3, vcc
	v_and_b32_e32 v7, 7, v3
	v_cmp_lt_i32_e32 vcc, 5, v7
	v_lshrrev_b32_e32 v3, 2, v3
	s_nop 0
	v_cndmask_b32_e64 v8, 0, 1, vcc
	v_cmp_eq_u32_e32 vcc, 3, v7
	s_nop 1
	v_cndmask_b32_e64 v7, 0, 1, vcc
	v_or_b32_e32 v7, v7, v8
	v_add_u32_e32 v3, v3, v7
	v_mov_b32_e32 v7, 0x7c00
	v_cmp_gt_i32_e32 vcc, 31, v6
	v_mov_b32_e32 v8, 0x7e00
	s_nop 0
	v_cndmask_b32_e32 v3, v7, v3, vcc
	v_cmp_ne_u32_e32 vcc, 0, v2
	s_nop 1
	v_cndmask_b32_e32 v2, v7, v8, vcc
	v_cmp_eq_u32_e32 vcc, s30, v6
	s_mov_b32 s30, 0x8000
	s_nop 0
	v_cndmask_b32_e32 v2, v3, v2, vcc
	v_lshrrev_b32_e32 v3, 16, v1
	v_and_or_b32 v2, v3, s30, v2
	global_store_short v[4:5], v2, off
.LBB464_750:
	s_mov_b64 s[30:31], 0
.LBB464_751:
	s_andn2_b64 vcc, exec, s[30:31]
	s_cbranch_vccnz .LBB464_767
; %bb.752:
	s_cmp_lt_i32 s34, 2
	s_mov_b64 s[30:31], -1
	s_cbranch_scc1 .LBB464_762
; %bb.753:
	s_cmp_lt_i32 s34, 3
	s_cbranch_scc1 .LBB464_759
; %bb.754:
	s_cmp_gt_i32 s34, 3
	s_cbranch_scc0 .LBB464_756
; %bb.755:
	v_trunc_f64_e32 v[2:3], v[0:1]
	s_movk_i32 s30, 0xffe0
	v_ldexp_f64 v[6:7], v[2:3], s30
	v_floor_f64_e32 v[6:7], v[6:7]
	v_fmac_f64_e32 v[2:3], 0xc1f00000, v[6:7]
	v_cvt_i32_f64_e32 v9, v[6:7]
	v_cvt_u32_f64_e32 v8, v[2:3]
	s_mov_b64 s[30:31], 0
	global_store_dwordx2 v[4:5], v[8:9], off
.LBB464_756:
	s_andn2_b64 vcc, exec, s[30:31]
	s_cbranch_vccnz .LBB464_758
; %bb.757:
	v_cvt_i32_f64_e32 v2, v[0:1]
	global_store_dword v[4:5], v2, off
.LBB464_758:
	s_mov_b64 s[30:31], 0
.LBB464_759:
	s_andn2_b64 vcc, exec, s[30:31]
	s_cbranch_vccnz .LBB464_761
; %bb.760:
	v_cvt_i32_f64_e32 v2, v[0:1]
	global_store_short v[4:5], v2, off
.LBB464_761:
	s_mov_b64 s[30:31], 0
.LBB464_762:
	s_andn2_b64 vcc, exec, s[30:31]
	s_cbranch_vccnz .LBB464_767
; %bb.763:
	s_cmp_gt_i32 s34, 0
	s_mov_b64 s[30:31], -1
	s_cbranch_scc0 .LBB464_765
; %bb.764:
	v_cvt_i32_f64_e32 v2, v[0:1]
	s_mov_b64 s[30:31], 0
	global_store_byte v[4:5], v2, off
.LBB464_765:
	s_andn2_b64 vcc, exec, s[30:31]
	s_cbranch_vccnz .LBB464_767
; %bb.766:
	v_trunc_f64_e32 v[0:1], v[0:1]
	s_movk_i32 s30, 0xffe0
	v_ldexp_f64 v[2:3], v[0:1], s30
	v_floor_f64_e32 v[2:3], v[2:3]
	v_fmac_f64_e32 v[0:1], 0xc1f00000, v[2:3]
	v_cvt_u32_f64_e32 v0, v[0:1]
	global_store_byte v[4:5], v0, off
.LBB464_767:
	s_mov_b64 s[30:31], -1
.LBB464_768:
	s_andn2_b64 vcc, exec, s[30:31]
	s_cbranch_vccnz .LBB464_770
; %bb.769:
	v_add_u32_e32 v12, 0x80, v12
	s_mov_b64 s[34:35], -1
	s_branch .LBB464_771
.LBB464_770:
	s_mov_b64 s[34:35], 0
                                        ; implicit-def: $vgpr12
.LBB464_771:
	s_andn2_b64 s[30:31], s[22:23], exec
	s_and_b64 s[0:1], s[0:1], exec
	s_or_b64 s[30:31], s[30:31], s[0:1]
	s_andn2_b64 s[0:1], s[20:21], exec
	s_and_b64 s[28:29], s[28:29], exec
	s_or_b64 s[0:1], s[0:1], s[28:29]
	s_orn2_b64 s[36:37], s[34:35], exec
.LBB464_772:
	s_or_b64 exec, exec, s[26:27]
	s_mov_b64 s[34:35], 0
	s_mov_b64 s[28:29], 0
	;; [unrolled: 1-line block ×3, first 2 shown]
                                        ; implicit-def: $vgpr0_vgpr1
                                        ; implicit-def: $vgpr2_vgpr3
	s_and_saveexec_b64 s[26:27], s[36:37]
	s_cbranch_execz .LBB464_857
; %bb.773:
	v_cmp_gt_i32_e32 vcc, s40, v12
	s_mov_b64 s[36:37], 0
	s_mov_b64 s[40:41], s[0:1]
	;; [unrolled: 1-line block ×3, first 2 shown]
                                        ; implicit-def: $vgpr0_vgpr1
                                        ; implicit-def: $vgpr2_vgpr3
	s_and_saveexec_b64 s[28:29], vcc
	s_cbranch_execz .LBB464_856
; %bb.774:
	v_mul_lo_u32 v0, v12, s9
	v_ashrrev_i32_e32 v1, 31, v0
	s_and_b32 s45, 0xffff, s44
	s_cmp_lt_i32 s45, 11
	v_lshl_add_u64 v[0:1], s[6:7], 0, v[0:1]
	s_cbranch_scc1 .LBB464_781
; %bb.775:
	s_cmp_gt_i32 s45, 25
	s_cbranch_scc0 .LBB464_782
; %bb.776:
	s_cmp_gt_i32 s45, 28
	s_cbranch_scc0 .LBB464_783
	;; [unrolled: 3-line block ×4, first 2 shown]
; %bb.779:
	s_cmp_eq_u32 s45, 46
	s_mov_b64 s[40:41], 0
	s_cbranch_scc0 .LBB464_790
; %bb.780:
	global_load_dword v2, v[0:1], off
	s_mov_b64 s[38:39], -1
	s_waitcnt vmcnt(0)
	v_lshlrev_b32_e32 v2, 16, v2
	v_cvt_f64_f32_e32 v[2:3], v2
	s_branch .LBB464_792
.LBB464_781:
	s_mov_b64 s[40:41], -1
                                        ; implicit-def: $vgpr2_vgpr3
	s_mov_b64 s[34:35], s[0:1]
	s_branch .LBB464_855
.LBB464_782:
	s_mov_b64 s[40:41], -1
	s_mov_b64 s[34:35], s[0:1]
                                        ; implicit-def: $vgpr2_vgpr3
	s_branch .LBB464_823
.LBB464_783:
	s_mov_b64 s[40:41], -1
	s_mov_b64 s[34:35], s[0:1]
                                        ; implicit-def: $vgpr2_vgpr3
	s_branch .LBB464_802
.LBB464_784:
	s_mov_b64 s[40:41], -1
	s_mov_b64 s[34:35], s[0:1]
                                        ; implicit-def: $vgpr2_vgpr3
	s_branch .LBB464_797
.LBB464_785:
	s_andn2_saveexec_b64 s[36:37], s[36:37]
	s_cbranch_execz .LBB464_681
.LBB464_786:
	s_mov_b32 s41, 0x46000000
	v_add_f32_e64 v3, |v2|, s41
	v_and_b32_e32 v3, 0xff, v3
	v_cmp_ne_u32_e32 vcc, 0, v3
	s_andn2_b64 s[34:35], s[34:35], exec
	s_and_b64 s[42:43], vcc, exec
	s_or_b64 s[34:35], s[34:35], s[42:43]
	s_or_b64 exec, exec, s[36:37]
	v_mov_b32_e32 v6, 0
	s_and_saveexec_b64 s[36:37], s[34:35]
	s_cbranch_execnz .LBB464_682
	s_branch .LBB464_683
.LBB464_787:
	s_mov_b64 s[40:41], -1
	s_mov_b64 s[34:35], s[0:1]
	s_branch .LBB464_791
.LBB464_788:
	s_andn2_saveexec_b64 s[36:37], s[36:37]
	s_cbranch_execz .LBB464_694
.LBB464_789:
	s_mov_b32 s41, 0x42800000
	v_add_f32_e64 v3, |v2|, s41
	v_and_b32_e32 v3, 0xff, v3
	v_cmp_ne_u32_e32 vcc, 0, v3
	s_andn2_b64 s[34:35], s[34:35], exec
	s_and_b64 s[42:43], vcc, exec
	s_or_b64 s[34:35], s[34:35], s[42:43]
	s_or_b64 exec, exec, s[36:37]
	v_mov_b32_e32 v6, 0
	s_and_saveexec_b64 s[36:37], s[34:35]
	s_cbranch_execnz .LBB464_695
	s_branch .LBB464_696
.LBB464_790:
	s_mov_b64 s[34:35], -1
.LBB464_791:
                                        ; implicit-def: $vgpr2_vgpr3
.LBB464_792:
	s_and_b64 vcc, exec, s[40:41]
	s_cbranch_vccz .LBB464_796
; %bb.793:
	s_cmp_eq_u32 s45, 44
	s_cbranch_scc0 .LBB464_795
; %bb.794:
	global_load_ubyte v4, v[0:1], off
	s_movk_i32 s38, 0xff
	v_bfrev_b32_e32 v5, 4
	v_mov_b32_e32 v6, 0x7ff80000
	v_bfrev_b32_e32 v7, 28
	s_mov_b64 s[34:35], 0
	s_waitcnt vmcnt(0)
	v_lshlrev_b32_e32 v2, 23, v4
	v_cvt_f64_f32_e32 v[2:3], v2
	v_cmp_ne_u32_e32 vcc, s38, v4
	s_mov_b64 s[38:39], -1
	s_nop 0
	v_cndmask_b32_e32 v2, v5, v2, vcc
	v_cndmask_b32_e32 v3, v6, v3, vcc
	v_cmp_ne_u32_e32 vcc, 0, v4
	s_nop 1
	v_cndmask_b32_e32 v3, v7, v3, vcc
	v_cndmask_b32_e32 v2, 0, v2, vcc
	s_branch .LBB464_796
.LBB464_795:
	s_mov_b64 s[34:35], -1
                                        ; implicit-def: $vgpr2_vgpr3
.LBB464_796:
	s_mov_b64 s[40:41], 0
.LBB464_797:
	s_and_b64 vcc, exec, s[40:41]
	s_cbranch_vccz .LBB464_801
; %bb.798:
	s_cmp_eq_u32 s45, 29
	s_cbranch_scc0 .LBB464_800
; %bb.799:
	global_load_dwordx2 v[2:3], v[0:1], off
	s_mov_b64 s[34:35], 0
	s_mov_b64 s[38:39], -1
	s_mov_b64 s[40:41], 0
	s_waitcnt vmcnt(0)
	v_cvt_f64_u32_e32 v[4:5], v3
	v_cvt_f64_u32_e32 v[2:3], v2
	v_ldexp_f64 v[4:5], v[4:5], 32
	v_add_f64 v[2:3], v[4:5], v[2:3]
	s_branch .LBB464_802
.LBB464_800:
	s_mov_b64 s[34:35], -1
                                        ; implicit-def: $vgpr2_vgpr3
.LBB464_801:
	s_mov_b64 s[40:41], 0
.LBB464_802:
	s_and_b64 vcc, exec, s[40:41]
	s_cbranch_vccz .LBB464_822
; %bb.803:
	s_cmp_lt_i32 s45, 27
	s_cbranch_scc1 .LBB464_806
; %bb.804:
	s_cmp_gt_i32 s45, 27
	s_cbranch_scc0 .LBB464_807
; %bb.805:
	global_load_dword v2, v[0:1], off
	s_mov_b64 s[38:39], 0
	s_waitcnt vmcnt(0)
	v_cvt_f64_u32_e32 v[2:3], v2
	s_branch .LBB464_808
.LBB464_806:
	s_mov_b64 s[38:39], -1
                                        ; implicit-def: $vgpr2_vgpr3
	s_branch .LBB464_811
.LBB464_807:
	s_mov_b64 s[38:39], -1
                                        ; implicit-def: $vgpr2_vgpr3
.LBB464_808:
	s_andn2_b64 vcc, exec, s[38:39]
	s_cbranch_vccnz .LBB464_810
; %bb.809:
	global_load_ushort v2, v[0:1], off
	s_waitcnt vmcnt(0)
	v_cvt_f64_u32_e32 v[2:3], v2
.LBB464_810:
	s_mov_b64 s[38:39], 0
.LBB464_811:
	s_andn2_b64 vcc, exec, s[38:39]
	s_cbranch_vccnz .LBB464_821
; %bb.812:
	global_load_ubyte v4, v[0:1], off
	s_movk_i32 s38, 0x7f
	s_waitcnt vmcnt(0)
	v_cmp_lt_i16_e32 vcc, s38, v4
	s_mov_b64 s[38:39], 0
	s_and_saveexec_b64 s[40:41], vcc
	s_xor_b64 s[40:41], exec, s[40:41]
	s_cbranch_execz .LBB464_816
; %bb.813:
	s_movk_i32 s38, 0x80
	v_cmp_eq_u16_e32 vcc, s38, v4
	s_mov_b64 s[38:39], -1
	s_and_saveexec_b64 s[42:43], vcc
; %bb.814:
	s_xor_b64 s[38:39], exec, -1
; %bb.815:
	s_or_b64 exec, exec, s[42:43]
	s_and_b64 s[38:39], s[38:39], exec
.LBB464_816:
	s_or_saveexec_b64 s[40:41], s[40:41]
	v_bfrev_b32_e32 v2, 4
	v_mov_b32_e32 v3, 0x7ff80000
	s_xor_b64 exec, exec, s[40:41]
; %bb.817:
	v_cmp_ne_u16_e32 vcc, 0, v4
	s_andn2_b64 s[38:39], s[38:39], exec
	s_and_b64 s[42:43], vcc, exec
	v_mov_b64_e32 v[2:3], 0
	s_or_b64 s[38:39], s[38:39], s[42:43]
; %bb.818:
	s_or_b64 exec, exec, s[40:41]
	s_and_saveexec_b64 s[40:41], s[38:39]
	s_cbranch_execz .LBB464_820
; %bb.819:
	v_and_b32_e32 v3, 0xffff, v4
	v_lshlrev_b32_e32 v2, 24, v4
	v_and_b32_e32 v4, 7, v3
	v_ffbh_u32_e32 v6, v4
	v_min_u32_e32 v6, 32, v6
	v_subrev_u32_e32 v7, 28, v6
	v_bfe_u32 v5, v3, 3, 4
	v_lshlrev_b32_e32 v3, v7, v3
	v_sub_u32_e32 v6, 29, v6
	v_and_b32_e32 v3, 7, v3
	v_cmp_eq_u32_e32 vcc, 0, v5
	v_and_b32_e32 v2, 0x80000000, v2
	s_nop 0
	v_cndmask_b32_e32 v5, v5, v6, vcc
	v_cndmask_b32_e32 v3, v4, v3, vcc
	v_mov_b32_e32 v4, 0x3b800000
	v_lshlrev_b32_e32 v3, 20, v3
	v_lshl_add_u32 v4, v5, 23, v4
	v_or3_b32 v2, v2, v4, v3
	v_cvt_f64_f32_e32 v[2:3], v2
.LBB464_820:
	s_or_b64 exec, exec, s[40:41]
.LBB464_821:
	s_mov_b64 s[38:39], -1
.LBB464_822:
	s_mov_b64 s[40:41], 0
.LBB464_823:
	s_and_b64 vcc, exec, s[40:41]
	s_cbranch_vccz .LBB464_854
; %bb.824:
	s_cmp_gt_i32 s45, 22
	s_cbranch_scc0 .LBB464_836
; %bb.825:
	s_cmp_lt_i32 s45, 24
	s_cbranch_scc1 .LBB464_837
; %bb.826:
	s_cmp_gt_i32 s45, 24
	s_cbranch_scc0 .LBB464_838
; %bb.827:
	global_load_ubyte v4, v[0:1], off
	s_movk_i32 s36, 0x7f
	s_waitcnt vmcnt(0)
	v_cmp_lt_i16_e32 vcc, s36, v4
	s_mov_b64 s[36:37], 0
	s_and_saveexec_b64 s[38:39], vcc
	s_xor_b64 s[38:39], exec, s[38:39]
	s_cbranch_execz .LBB464_831
; %bb.828:
	s_movk_i32 s36, 0x80
	v_cmp_eq_u16_e32 vcc, s36, v4
	s_mov_b64 s[36:37], -1
	s_and_saveexec_b64 s[40:41], vcc
; %bb.829:
	s_xor_b64 s[36:37], exec, -1
; %bb.830:
	s_or_b64 exec, exec, s[40:41]
	s_and_b64 s[36:37], s[36:37], exec
.LBB464_831:
	s_or_saveexec_b64 s[38:39], s[38:39]
	v_bfrev_b32_e32 v2, 4
	v_mov_b32_e32 v3, 0x7ff80000
	s_xor_b64 exec, exec, s[38:39]
; %bb.832:
	v_cmp_ne_u16_e32 vcc, 0, v4
	s_andn2_b64 s[36:37], s[36:37], exec
	s_and_b64 s[40:41], vcc, exec
	v_mov_b64_e32 v[2:3], 0
	s_or_b64 s[36:37], s[36:37], s[40:41]
; %bb.833:
	s_or_b64 exec, exec, s[38:39]
	s_and_saveexec_b64 s[38:39], s[36:37]
	s_cbranch_execz .LBB464_835
; %bb.834:
	v_and_b32_e32 v3, 0xffff, v4
	v_lshlrev_b32_e32 v2, 24, v4
	v_and_b32_e32 v4, 3, v3
	v_ffbh_u32_e32 v6, v4
	v_min_u32_e32 v6, 32, v6
	v_subrev_u32_e32 v7, 29, v6
	v_bfe_u32 v5, v3, 2, 5
	v_lshlrev_b32_e32 v3, v7, v3
	v_sub_u32_e32 v6, 30, v6
	v_and_b32_e32 v3, 3, v3
	v_cmp_eq_u32_e32 vcc, 0, v5
	v_and_b32_e32 v2, 0x80000000, v2
	s_nop 0
	v_cndmask_b32_e32 v5, v5, v6, vcc
	v_cndmask_b32_e32 v3, v4, v3, vcc
	v_mov_b32_e32 v4, 0x37800000
	v_lshlrev_b32_e32 v3, 21, v3
	v_lshl_add_u32 v4, v5, 23, v4
	v_or3_b32 v2, v2, v4, v3
	v_cvt_f64_f32_e32 v[2:3], v2
.LBB464_835:
	s_or_b64 exec, exec, s[38:39]
	s_mov_b64 s[36:37], 0
	s_branch .LBB464_839
.LBB464_836:
	s_mov_b64 s[36:37], -1
                                        ; implicit-def: $vgpr2_vgpr3
	s_branch .LBB464_845
.LBB464_837:
	s_mov_b64 s[36:37], -1
                                        ; implicit-def: $vgpr2_vgpr3
	s_branch .LBB464_842
.LBB464_838:
	s_mov_b64 s[36:37], -1
                                        ; implicit-def: $vgpr2_vgpr3
.LBB464_839:
	s_and_b64 vcc, exec, s[36:37]
	s_cbranch_vccz .LBB464_841
; %bb.840:
	global_load_ubyte v2, v[0:1], off
	s_mov_b32 s36, 0x7f800000
	s_waitcnt vmcnt(0)
	v_lshlrev_b32_e32 v2, 24, v2
	v_and_b32_e32 v3, 0x7f000000, v2
	v_ffbh_u32_e32 v4, v3
	v_min_u32_e32 v4, 32, v4
	v_sub_u32_e64 v4, v4, 4 clamp
	v_lshlrev_b32_e32 v6, v4, v3
	v_lshlrev_b32_e32 v4, 23, v4
	v_lshrrev_b32_e32 v6, 4, v6
	v_add_u32_e32 v5, 0x1000000, v3
	v_sub_u32_e32 v4, v6, v4
	v_ashrrev_i32_e32 v5, 8, v5
	v_add_u32_e32 v4, 0x3c000000, v4
	v_and_or_b32 v4, v5, s36, v4
	v_cmp_ne_u32_e32 vcc, 0, v3
	s_brev_b32 s36, 1
	s_nop 0
	v_cndmask_b32_e32 v3, 0, v4, vcc
	v_and_or_b32 v2, v2, s36, v3
	v_cvt_f64_f32_e32 v[2:3], v2
.LBB464_841:
	s_mov_b64 s[36:37], 0
.LBB464_842:
	s_andn2_b64 vcc, exec, s[36:37]
	s_cbranch_vccnz .LBB464_844
; %bb.843:
	global_load_ubyte v2, v[0:1], off
	s_movk_i32 s36, 0x7f00
	s_brev_b32 s37, 16
	s_waitcnt vmcnt(0)
	v_lshlrev_b16_e32 v3, 8, v2
	v_lshlrev_b32_e32 v2, 25, v2
	v_lshrrev_b32_e32 v4, 4, v2
	v_and_or_b32 v5, v3, s36, 0.5
	v_or_b32_e32 v4, 0x70000000, v4
	v_add_f32_e32 v5, -0.5, v5
	v_mul_f32_e32 v4, 0x7800000, v4
	v_cmp_gt_u32_e32 vcc, s37, v2
	v_bfe_i32 v3, v3, 0, 16
	s_brev_b32 s36, 1
	v_cndmask_b32_e32 v2, v4, v5, vcc
	v_and_or_b32 v2, v3, s36, v2
	v_cvt_f64_f32_e32 v[2:3], v2
.LBB464_844:
	s_mov_b64 s[36:37], 0
	s_mov_b64 s[38:39], -1
.LBB464_845:
	s_andn2_b64 vcc, exec, s[36:37]
	s_mov_b64 s[36:37], 0
	s_cbranch_vccnz .LBB464_854
; %bb.846:
	s_cmp_gt_i32 s45, 14
	s_cbranch_scc0 .LBB464_849
; %bb.847:
	s_cmp_eq_u32 s45, 15
	s_cbranch_scc0 .LBB464_850
; %bb.848:
	global_load_ushort v2, v[0:1], off
	s_mov_b64 s[34:35], 0
	s_mov_b64 s[38:39], -1
	s_waitcnt vmcnt(0)
	v_lshlrev_b32_e32 v2, 16, v2
	v_cvt_f64_f32_e32 v[2:3], v2
	s_branch .LBB464_851
.LBB464_849:
	s_mov_b64 s[40:41], -1
                                        ; implicit-def: $vgpr2_vgpr3
	s_branch .LBB464_852
.LBB464_850:
	s_mov_b64 s[34:35], -1
                                        ; implicit-def: $vgpr2_vgpr3
.LBB464_851:
	s_mov_b64 s[40:41], 0
.LBB464_852:
	s_and_b64 vcc, exec, s[40:41]
	s_cbranch_vccz .LBB464_854
; %bb.853:
	s_cmp_lg_u32 s45, 11
	s_cselect_b64 s[40:41], -1, 0
	s_andn2_b64 s[34:35], s[34:35], exec
	s_and_b64 s[40:41], s[40:41], exec
	s_mov_b64 s[36:37], -1
	s_or_b64 s[34:35], s[34:35], s[40:41]
.LBB464_854:
	s_mov_b64 s[40:41], 0
.LBB464_855:
	s_and_b64 s[42:43], s[40:41], exec
	s_andn2_b64 s[40:41], s[0:1], exec
	s_and_b64 s[34:35], s[34:35], exec
	s_and_b64 s[38:39], s[38:39], exec
	s_and_b64 s[36:37], s[36:37], exec
	s_or_b64 s[40:41], s[40:41], s[34:35]
.LBB464_856:
	s_or_b64 exec, exec, s[28:29]
	s_and_b64 s[34:35], s[36:37], exec
	s_andn2_b64 s[0:1], s[0:1], exec
	s_and_b64 s[36:37], s[40:41], exec
	s_and_b64 s[38:39], s[38:39], exec
	;; [unrolled: 1-line block ×3, first 2 shown]
	s_or_b64 s[0:1], s[0:1], s[36:37]
.LBB464_857:
	s_or_b64 exec, exec, s[26:27]
	s_andn2_b64 s[22:23], s[22:23], exec
	s_and_b64 s[26:27], s[30:31], exec
	s_andn2_b64 s[20:21], s[20:21], exec
	s_and_b64 s[0:1], s[0:1], exec
	s_or_b64 s[22:23], s[22:23], s[26:27]
	s_and_b64 s[30:31], s[38:39], exec
	s_and_b64 s[28:29], s[28:29], exec
	;; [unrolled: 1-line block ×3, first 2 shown]
	s_or_b64 s[20:21], s[20:21], s[0:1]
.LBB464_858:
	s_or_b64 exec, exec, s[24:25]
	s_andn2_b64 s[0:1], s[14:15], exec
	s_and_b64 s[14:15], s[22:23], exec
	s_andn2_b64 s[16:17], s[16:17], exec
	s_and_b64 s[20:21], s[20:21], exec
	s_or_b64 s[14:15], s[0:1], s[14:15]
	s_and_b64 s[0:1], s[30:31], exec
	s_and_b64 s[24:25], s[28:29], exec
	;; [unrolled: 1-line block ×3, first 2 shown]
	s_or_b64 s[16:17], s[16:17], s[20:21]
	s_or_b64 exec, exec, s[18:19]
	s_mov_b64 s[18:19], 0
	s_and_saveexec_b64 s[20:21], s[16:17]
	s_cbranch_execz .LBB464_262
.LBB464_859:
	s_mov_b64 s[18:19], exec
	s_andn2_b64 s[22:23], s[22:23], exec
	s_trap 2
	s_or_b64 exec, exec, s[20:21]
	s_and_saveexec_b64 s[16:17], s[22:23]
	s_xor_b64 s[16:17], exec, s[16:17]
	s_cbranch_execnz .LBB464_263
.LBB464_860:
	s_or_b64 exec, exec, s[16:17]
	s_and_saveexec_b64 s[16:17], s[24:25]
	s_cbranch_execz .LBB464_906
.LBB464_861:
	s_sext_i32_i16 s20, s44
	s_cmp_lt_i32 s20, 5
	s_cbranch_scc1 .LBB464_866
; %bb.862:
	s_cmp_lt_i32 s20, 8
	s_cbranch_scc1 .LBB464_867
; %bb.863:
	;; [unrolled: 3-line block ×3, first 2 shown]
	s_cmp_gt_i32 s20, 9
	s_cbranch_scc0 .LBB464_869
; %bb.865:
	global_load_dwordx2 v[2:3], v[0:1], off
	s_mov_b64 s[20:21], 0
	s_branch .LBB464_870
.LBB464_866:
                                        ; implicit-def: $vgpr2_vgpr3
	s_branch .LBB464_887
.LBB464_867:
                                        ; implicit-def: $vgpr2_vgpr3
	s_branch .LBB464_876
.LBB464_868:
	s_mov_b64 s[20:21], -1
                                        ; implicit-def: $vgpr2_vgpr3
	s_branch .LBB464_873
.LBB464_869:
	s_mov_b64 s[20:21], -1
                                        ; implicit-def: $vgpr2_vgpr3
.LBB464_870:
	s_andn2_b64 vcc, exec, s[20:21]
	s_cbranch_vccnz .LBB464_872
; %bb.871:
	global_load_dword v2, v[0:1], off
	s_waitcnt vmcnt(0)
	v_cvt_f64_f32_e32 v[2:3], v2
.LBB464_872:
	s_mov_b64 s[20:21], 0
.LBB464_873:
	s_andn2_b64 vcc, exec, s[20:21]
	s_cbranch_vccnz .LBB464_875
; %bb.874:
	global_load_dword v2, v[0:1], off
	s_waitcnt vmcnt(0)
	v_cvt_f32_f16_e32 v2, v2
	v_cvt_f64_f32_e32 v[2:3], v2
.LBB464_875:
	s_cbranch_execnz .LBB464_886
.LBB464_876:
	s_sext_i32_i16 s20, s44
	s_cmp_lt_i32 s20, 6
	s_cbranch_scc1 .LBB464_879
; %bb.877:
	s_cmp_gt_i32 s20, 6
	s_cbranch_scc0 .LBB464_880
; %bb.878:
	global_load_dwordx2 v[2:3], v[0:1], off
	s_mov_b64 s[20:21], 0
	s_branch .LBB464_881
.LBB464_879:
	s_mov_b64 s[20:21], -1
                                        ; implicit-def: $vgpr2_vgpr3
	s_branch .LBB464_884
.LBB464_880:
	s_mov_b64 s[20:21], -1
                                        ; implicit-def: $vgpr2_vgpr3
.LBB464_881:
	s_andn2_b64 vcc, exec, s[20:21]
	s_cbranch_vccnz .LBB464_883
; %bb.882:
	global_load_dword v2, v[0:1], off
	s_waitcnt vmcnt(0)
	v_cvt_f64_f32_e32 v[2:3], v2
.LBB464_883:
	s_mov_b64 s[20:21], 0
.LBB464_884:
	s_andn2_b64 vcc, exec, s[20:21]
	s_cbranch_vccnz .LBB464_886
; %bb.885:
	global_load_ushort v2, v[0:1], off
	s_waitcnt vmcnt(0)
	v_cvt_f32_f16_e32 v2, v2
	v_cvt_f64_f32_e32 v[2:3], v2
.LBB464_886:
	s_cbranch_execnz .LBB464_905
.LBB464_887:
	s_sext_i32_i16 s20, s44
	s_cmp_lt_i32 s20, 2
	s_cbranch_scc1 .LBB464_891
; %bb.888:
	s_cmp_lt_i32 s20, 3
	s_cbranch_scc1 .LBB464_892
; %bb.889:
	s_cmp_gt_i32 s20, 3
	s_cbranch_scc0 .LBB464_893
; %bb.890:
	global_load_dwordx2 v[2:3], v[0:1], off
	s_mov_b64 s[20:21], 0
	s_waitcnt vmcnt(0)
	v_cvt_f64_i32_e32 v[4:5], v3
	v_cvt_f64_u32_e32 v[2:3], v2
	v_ldexp_f64 v[4:5], v[4:5], 32
	v_add_f64 v[2:3], v[4:5], v[2:3]
	s_branch .LBB464_894
.LBB464_891:
                                        ; implicit-def: $vgpr2_vgpr3
	s_branch .LBB464_900
.LBB464_892:
	s_mov_b64 s[20:21], -1
                                        ; implicit-def: $vgpr2_vgpr3
	s_branch .LBB464_897
.LBB464_893:
	s_mov_b64 s[20:21], -1
                                        ; implicit-def: $vgpr2_vgpr3
.LBB464_894:
	s_andn2_b64 vcc, exec, s[20:21]
	s_cbranch_vccnz .LBB464_896
; %bb.895:
	global_load_dword v2, v[0:1], off
	s_waitcnt vmcnt(0)
	v_cvt_f64_i32_e32 v[2:3], v2
.LBB464_896:
	s_mov_b64 s[20:21], 0
.LBB464_897:
	s_andn2_b64 vcc, exec, s[20:21]
	s_cbranch_vccnz .LBB464_899
; %bb.898:
	global_load_sshort v2, v[0:1], off
	s_waitcnt vmcnt(0)
	v_cvt_f64_i32_e32 v[2:3], v2
.LBB464_899:
	s_cbranch_execnz .LBB464_905
.LBB464_900:
	s_sext_i32_i16 s20, s44
	s_cmp_gt_i32 s20, 0
	s_cbranch_scc0 .LBB464_902
; %bb.901:
	global_load_sbyte v2, v[0:1], off
	s_mov_b64 s[20:21], 0
	s_waitcnt vmcnt(0)
	v_cvt_f64_i32_e32 v[2:3], v2
	s_branch .LBB464_903
.LBB464_902:
	s_mov_b64 s[20:21], -1
                                        ; implicit-def: $vgpr2_vgpr3
.LBB464_903:
	s_andn2_b64 vcc, exec, s[20:21]
	s_cbranch_vccnz .LBB464_905
; %bb.904:
	global_load_ubyte v0, v[0:1], off
	s_waitcnt vmcnt(0)
	v_cvt_f64_u32_e32 v[2:3], v0
.LBB464_905:
	s_or_b64 s[0:1], s[0:1], exec
.LBB464_906:
	s_or_b64 exec, exec, s[16:17]
	s_mov_b64 s[22:23], 0
	s_mov_b64 s[20:21], 0
                                        ; implicit-def: $sgpr28
                                        ; implicit-def: $vgpr4_vgpr5
                                        ; implicit-def: $vgpr0_vgpr1
	s_and_saveexec_b64 s[16:17], s[0:1]
	s_cbranch_execz .LBB464_981
; %bb.907:
	v_max_f64 v[0:1], s[10:11], s[10:11]
	s_waitcnt vmcnt(0)
	v_max_f64 v[4:5], v[2:3], v[2:3]
	v_min_f64 v[0:1], v[4:5], v[0:1]
	v_cmp_u_f64_e32 vcc, v[2:3], v[2:3]
	s_and_b32 s28, s33, 0xff
	s_cmp_lt_i32 s28, 11
	v_cndmask_b32_e32 v0, v0, v2, vcc
	v_mul_lo_u32 v2, v12, s8
	v_cndmask_b32_e32 v1, v1, v3, vcc
	v_ashrrev_i32_e32 v3, 31, v2
	v_lshl_add_u64 v[4:5], s[4:5], 0, v[2:3]
	s_cbranch_scc1 .LBB464_984
; %bb.908:
	s_and_b32 s29, 0xffff, s28
	s_mov_b64 s[22:23], -1
	s_cmp_gt_i32 s29, 25
	s_mov_b64 s[0:1], s[14:15]
	s_cbranch_scc0 .LBB464_941
; %bb.909:
	s_mov_b64 s[20:21], -1
	s_cmp_gt_i32 s29, 28
	s_mov_b64 s[0:1], s[14:15]
	s_cbranch_scc0 .LBB464_925
; %bb.910:
	s_cmp_gt_i32 s29, 43
	s_mov_b64 s[0:1], s[14:15]
	s_cbranch_scc0 .LBB464_921
; %bb.911:
	;; [unrolled: 4-line block ×3, first 2 shown]
	s_cmp_eq_u32 s29, 46
	s_mov_b64 s[0:1], -1
	s_cbranch_scc0 .LBB464_914
; %bb.913:
	v_cvt_f32_f64_e32 v2, v[0:1]
	v_bfe_u32 v3, v2, 16, 1
	s_movk_i32 s0, 0x7fff
	v_add3_u32 v3, v2, v3, s0
	v_cmp_o_f32_e32 vcc, v2, v2
	v_mov_b32_e32 v2, 0x7fc0
	s_mov_b64 s[0:1], 0
	v_cndmask_b32_sdwa v2, v2, v3, vcc dst_sel:DWORD dst_unused:UNUSED_PAD src0_sel:DWORD src1_sel:WORD_1
	global_store_dword v[4:5], v2, off
.LBB464_914:
	s_mov_b64 s[20:21], 0
.LBB464_915:
	s_and_b64 vcc, exec, s[20:21]
	s_cbranch_vccz .LBB464_920
; %bb.916:
	s_cmp_eq_u32 s29, 44
	s_mov_b64 s[0:1], -1
	s_cbranch_scc0 .LBB464_920
; %bb.917:
	v_cvt_f32_f64_e32 v2, v[0:1]
	v_bfe_u32 v3, v2, 23, 8
	s_movk_i32 s0, 0xff
	v_cmp_ne_u32_e32 vcc, s0, v3
	v_mov_b32_e32 v6, 0xff
	s_and_saveexec_b64 s[20:21], vcc
; %bb.918:
	s_mov_b32 s0, 0x3fffff
	v_lshrrev_b32_e32 v6, 23, v2
	v_and_b32_e32 v7, 0x400000, v2
	v_and_or_b32 v2, v2, s0, v3
	v_cmp_ne_u32_e32 vcc, 0, v7
	v_cmp_ne_u32_e64 s[0:1], 0, v2
	s_and_b64 s[0:1], vcc, s[0:1]
	s_nop 0
	v_cndmask_b32_e64 v2, 0, 1, s[0:1]
	v_add_u32_e32 v6, v6, v2
; %bb.919:
	s_or_b64 exec, exec, s[20:21]
	s_mov_b64 s[0:1], 0
	global_store_byte v[4:5], v6, off
.LBB464_920:
	s_mov_b64 s[20:21], 0
.LBB464_921:
	s_and_b64 vcc, exec, s[20:21]
	s_cbranch_vccz .LBB464_924
; %bb.922:
	s_cmp_eq_u32 s29, 29
	s_mov_b64 s[0:1], -1
	s_cbranch_scc0 .LBB464_924
; %bb.923:
	v_trunc_f64_e32 v[2:3], v[0:1]
	s_movk_i32 s0, 0xffe0
	v_ldexp_f64 v[6:7], v[2:3], s0
	v_floor_f64_e32 v[6:7], v[6:7]
	v_fmac_f64_e32 v[2:3], 0xc1f00000, v[6:7]
	v_cvt_u32_f64_e32 v9, v[6:7]
	v_cvt_u32_f64_e32 v8, v[2:3]
	global_store_dwordx2 v[4:5], v[8:9], off
	s_mov_b64 s[0:1], 0
.LBB464_924:
	s_mov_b64 s[20:21], 0
.LBB464_925:
	s_and_b64 vcc, exec, s[20:21]
	s_cbranch_vccz .LBB464_940
; %bb.926:
	s_cmp_lt_i32 s29, 27
	s_mov_b64 s[20:21], -1
	s_cbranch_scc1 .LBB464_932
; %bb.927:
	s_cmp_gt_i32 s29, 27
	v_cvt_u32_f64_e32 v2, v[0:1]
	s_cbranch_scc0 .LBB464_929
; %bb.928:
	s_mov_b64 s[20:21], 0
	global_store_dword v[4:5], v2, off
.LBB464_929:
	s_andn2_b64 vcc, exec, s[20:21]
	s_cbranch_vccnz .LBB464_931
; %bb.930:
	global_store_short v[4:5], v2, off
.LBB464_931:
	s_mov_b64 s[20:21], 0
.LBB464_932:
	s_andn2_b64 vcc, exec, s[20:21]
	s_cbranch_vccnz .LBB464_940
; %bb.933:
	v_cvt_f32_f64_e32 v2, v[0:1]
	v_and_b32_e32 v3, 0x7fffffff, v2
	s_mov_b32 s20, 0x43800000
	v_cmp_gt_u32_e32 vcc, s20, v3
	v_mov_b32_e32 v6, 0x80
	s_and_saveexec_b64 s[20:21], vcc
	s_cbranch_execz .LBB464_939
; %bb.934:
	s_mov_b32 s22, 0x3bffffff
	v_cmp_lt_u32_e32 vcc, s22, v3
	s_mov_b64 s[22:23], 0
                                        ; implicit-def: $vgpr3
	s_and_saveexec_b64 s[24:25], vcc
	s_xor_b64 s[24:25], exec, s[24:25]
	s_cbranch_execz .LBB464_1041
; %bb.935:
	v_bfe_u32 v3, v2, 20, 1
	s_mov_b32 s26, 0x487ffff
	v_add3_u32 v3, v2, v3, s26
	s_mov_b64 s[22:23], exec
	v_lshrrev_b32_e32 v3, 20, v3
	s_andn2_saveexec_b64 s[24:25], s[24:25]
	s_cbranch_execnz .LBB464_1042
.LBB464_936:
	s_or_b64 exec, exec, s[24:25]
	v_mov_b32_e32 v6, 0
	s_and_saveexec_b64 s[24:25], s[22:23]
.LBB464_937:
	v_lshrrev_b32_e32 v2, 24, v2
	s_movk_i32 s22, 0x80
	v_and_or_b32 v6, v2, s22, v3
.LBB464_938:
	s_or_b64 exec, exec, s[24:25]
.LBB464_939:
	s_or_b64 exec, exec, s[20:21]
	global_store_byte v[4:5], v6, off
.LBB464_940:
	s_mov_b64 s[22:23], 0
.LBB464_941:
	s_mov_b64 s[20:21], 0
	s_and_b64 vcc, exec, s[22:23]
	s_cbranch_vccz .LBB464_985
; %bb.942:
	s_cmp_gt_i32 s29, 22
	s_mov_b64 s[22:23], -1
	s_cbranch_scc0 .LBB464_974
; %bb.943:
	s_cmp_lt_i32 s29, 24
	s_cbranch_scc1 .LBB464_963
; %bb.944:
	s_cmp_gt_i32 s29, 24
	s_cbranch_scc0 .LBB464_952
; %bb.945:
	v_cvt_f32_f64_e32 v2, v[0:1]
	v_and_b32_e32 v3, 0x7fffffff, v2
	s_mov_b32 s22, 0x47800000
	v_cmp_gt_u32_e32 vcc, s22, v3
	v_mov_b32_e32 v6, 0x80
	s_and_saveexec_b64 s[22:23], vcc
	s_cbranch_execz .LBB464_951
; %bb.946:
	s_mov_b32 s24, 0x37ffffff
	v_cmp_lt_u32_e32 vcc, s24, v3
	s_mov_b64 s[24:25], 0
                                        ; implicit-def: $vgpr3
	s_and_saveexec_b64 s[26:27], vcc
	s_xor_b64 s[26:27], exec, s[26:27]
	s_cbranch_execz .LBB464_1166
; %bb.947:
	v_bfe_u32 v3, v2, 21, 1
	s_mov_b32 s30, 0x88fffff
	v_add3_u32 v3, v2, v3, s30
	s_mov_b64 s[24:25], exec
	v_lshrrev_b32_e32 v3, 21, v3
	s_andn2_saveexec_b64 s[26:27], s[26:27]
	s_cbranch_execnz .LBB464_1167
.LBB464_948:
	s_or_b64 exec, exec, s[26:27]
	v_mov_b32_e32 v6, 0
	s_and_saveexec_b64 s[26:27], s[24:25]
.LBB464_949:
	v_lshrrev_b32_e32 v2, 24, v2
	s_movk_i32 s24, 0x80
	v_and_or_b32 v6, v2, s24, v3
.LBB464_950:
	s_or_b64 exec, exec, s[26:27]
.LBB464_951:
	s_or_b64 exec, exec, s[22:23]
	s_mov_b64 s[22:23], 0
	global_store_byte v[4:5], v6, off
.LBB464_952:
	s_and_b64 vcc, exec, s[22:23]
	s_cbranch_vccz .LBB464_962
; %bb.953:
	v_cvt_f32_f64_e32 v2, v[0:1]
	v_and_b32_e32 v6, 0x7fffffff, v2
	s_mov_b32 s22, 0x43f00000
	v_cmp_gt_u32_e32 vcc, s22, v6
                                        ; implicit-def: $vgpr3
	s_and_saveexec_b64 s[22:23], vcc
	s_xor_b64 s[22:23], exec, s[22:23]
	s_cbranch_execz .LBB464_959
; %bb.954:
	s_mov_b32 s24, 0x3c7fffff
	v_cmp_lt_u32_e32 vcc, s24, v6
                                        ; implicit-def: $vgpr3
	s_and_saveexec_b64 s[24:25], vcc
	s_xor_b64 s[24:25], exec, s[24:25]
; %bb.955:
	v_bfe_u32 v3, v2, 20, 1
	s_mov_b32 s26, 0x407ffff
	v_add3_u32 v3, v2, v3, s26
	v_lshrrev_b32_e32 v6, 20, v3
	v_and_b32_e32 v3, 0xff00000, v3
	s_mov_b32 s26, 0x7f00000
	v_mov_b32_e32 v7, 0x7e
	v_cmp_ne_u32_e32 vcc, s26, v3
	s_nop 1
	v_cndmask_b32_e32 v3, v7, v6, vcc
; %bb.956:
	s_andn2_saveexec_b64 s[24:25], s[24:25]
; %bb.957:
	s_mov_b32 s26, 0x46800000
	v_add_f32_e64 v3, |v2|, s26
; %bb.958:
	s_or_b64 exec, exec, s[24:25]
                                        ; implicit-def: $vgpr6
.LBB464_959:
	s_andn2_saveexec_b64 s[22:23], s[22:23]
; %bb.960:
	s_mov_b32 s24, 0x7f800000
	v_mov_b32_e32 v3, 0x7e
	v_mov_b32_e32 v7, 0x7f
	v_cmp_lt_u32_e32 vcc, s24, v6
	s_nop 1
	v_cndmask_b32_e32 v3, v3, v7, vcc
; %bb.961:
	s_or_b64 exec, exec, s[22:23]
	v_lshrrev_b32_e32 v2, 24, v2
	s_movk_i32 s22, 0x80
	v_and_or_b32 v2, v2, s22, v3
	global_store_byte v[4:5], v2, off
.LBB464_962:
	s_mov_b64 s[22:23], 0
.LBB464_963:
	s_andn2_b64 vcc, exec, s[22:23]
	s_cbranch_vccnz .LBB464_973
; %bb.964:
	v_cvt_f32_f64_e32 v2, v[0:1]
	v_and_b32_e32 v6, 0x7fffffff, v2
	s_mov_b32 s22, 0x47800000
	v_cmp_gt_u32_e32 vcc, s22, v6
                                        ; implicit-def: $vgpr3
	s_and_saveexec_b64 s[22:23], vcc
	s_xor_b64 s[22:23], exec, s[22:23]
	s_cbranch_execz .LBB464_970
; %bb.965:
	s_mov_b32 s24, 0x387fffff
	v_cmp_lt_u32_e32 vcc, s24, v6
                                        ; implicit-def: $vgpr3
	s_and_saveexec_b64 s[24:25], vcc
	s_xor_b64 s[24:25], exec, s[24:25]
; %bb.966:
	v_bfe_u32 v3, v2, 21, 1
	s_mov_b32 s26, 0x80fffff
	v_add3_u32 v3, v2, v3, s26
	v_lshrrev_b32_e32 v3, 21, v3
; %bb.967:
	s_andn2_saveexec_b64 s[24:25], s[24:25]
; %bb.968:
	s_mov_b32 s26, 0x43000000
	v_add_f32_e64 v3, |v2|, s26
; %bb.969:
	s_or_b64 exec, exec, s[24:25]
                                        ; implicit-def: $vgpr6
.LBB464_970:
	s_andn2_saveexec_b64 s[22:23], s[22:23]
; %bb.971:
	s_mov_b32 s24, 0x7f800000
	v_mov_b32_e32 v3, 0x7c
	v_mov_b32_e32 v7, 0x7f
	v_cmp_lt_u32_e32 vcc, s24, v6
	s_nop 1
	v_cndmask_b32_e32 v3, v3, v7, vcc
; %bb.972:
	s_or_b64 exec, exec, s[22:23]
	v_lshrrev_b32_e32 v2, 24, v2
	s_movk_i32 s22, 0x80
	v_and_or_b32 v2, v2, s22, v3
	global_store_byte v[4:5], v2, off
.LBB464_973:
	s_mov_b64 s[22:23], 0
.LBB464_974:
	s_andn2_b64 vcc, exec, s[22:23]
	s_mov_b64 s[22:23], 0
	s_cbranch_vccnz .LBB464_986
; %bb.975:
	s_cmp_gt_i32 s29, 14
	s_mov_b64 s[24:25], -1
	s_cbranch_scc0 .LBB464_979
; %bb.976:
	s_cmp_eq_u32 s29, 15
	s_mov_b64 s[0:1], -1
	s_cbranch_scc0 .LBB464_978
; %bb.977:
	v_cvt_f32_f64_e32 v2, v[0:1]
	v_bfe_u32 v3, v2, 16, 1
	s_movk_i32 s0, 0x7fff
	v_add3_u32 v3, v2, v3, s0
	v_cmp_o_f32_e32 vcc, v2, v2
	v_mov_b32_e32 v2, 0x7fc0
	s_mov_b64 s[0:1], 0
	v_cndmask_b32_sdwa v2, v2, v3, vcc dst_sel:DWORD dst_unused:UNUSED_PAD src0_sel:DWORD src1_sel:WORD_1
	global_store_short v[4:5], v2, off
.LBB464_978:
	s_mov_b64 s[24:25], 0
.LBB464_979:
	s_and_b64 vcc, exec, s[24:25]
	s_cbranch_vccz .LBB464_986
; %bb.980:
	s_cmp_lg_u32 s29, 11
	s_cselect_b64 s[24:25], -1, 0
	s_andn2_b64 s[0:1], s[0:1], exec
	s_and_b64 s[24:25], s[24:25], exec
	s_mov_b64 s[22:23], -1
	s_or_b64 s[0:1], s[0:1], s[24:25]
	s_branch .LBB464_986
.LBB464_981:
	s_or_b64 exec, exec, s[16:17]
	s_and_saveexec_b64 s[0:1], s[14:15]
	s_cbranch_execnz .LBB464_987
.LBB464_982:
	s_or_b64 exec, exec, s[0:1]
	s_and_saveexec_b64 s[0:1], s[22:23]
	s_xor_b64 s[0:1], exec, s[0:1]
	s_cbranch_execz .LBB464_988
.LBB464_983:
	v_cmp_neq_f64_e32 vcc, 0, v[0:1]
	s_waitcnt vmcnt(0)
	s_nop 0
	v_cndmask_b32_e64 v2, 0, 1, vcc
	global_store_byte v[4:5], v2, off
	s_or_b64 exec, exec, s[0:1]
	s_and_saveexec_b64 s[0:1], s[20:21]
	s_xor_b64 s[0:1], exec, s[0:1]
	s_cbranch_execz .LBB464_1026
	s_branch .LBB464_989
.LBB464_984:
	s_mov_b64 s[20:21], -1
	s_mov_b64 s[0:1], s[14:15]
	s_branch .LBB464_986
.LBB464_985:
	s_mov_b64 s[22:23], 0
.LBB464_986:
	s_andn2_b64 s[14:15], s[14:15], exec
	s_and_b64 s[0:1], s[0:1], exec
	s_and_b64 s[20:21], s[20:21], exec
	;; [unrolled: 1-line block ×3, first 2 shown]
	s_or_b64 s[14:15], s[14:15], s[0:1]
	s_or_b64 exec, exec, s[16:17]
	s_and_saveexec_b64 s[0:1], s[14:15]
	s_cbranch_execz .LBB464_982
.LBB464_987:
	s_or_b64 s[18:19], s[18:19], exec
	s_andn2_b64 s[22:23], s[22:23], exec
	s_trap 2
	s_or_b64 exec, exec, s[0:1]
	s_and_saveexec_b64 s[0:1], s[22:23]
	s_xor_b64 s[0:1], exec, s[0:1]
	s_cbranch_execnz .LBB464_983
.LBB464_988:
	s_or_b64 exec, exec, s[0:1]
	s_and_saveexec_b64 s[0:1], s[20:21]
	s_xor_b64 s[0:1], exec, s[0:1]
	s_cbranch_execz .LBB464_1026
.LBB464_989:
	s_sext_i32_i16 s16, s28
	s_cmp_lt_i32 s16, 5
	s_mov_b64 s[14:15], -1
	s_cbranch_scc1 .LBB464_1010
; %bb.990:
	s_cmp_lt_i32 s16, 8
	s_cbranch_scc1 .LBB464_1000
; %bb.991:
	s_cmp_lt_i32 s16, 9
	s_cbranch_scc1 .LBB464_997
; %bb.992:
	s_cmp_gt_i32 s16, 9
	s_cbranch_scc0 .LBB464_994
; %bb.993:
	s_waitcnt vmcnt(0)
	v_mov_b32_e32 v2, 0
	v_mov_b32_e32 v3, v2
	s_mov_b64 s[14:15], 0
	global_store_dwordx4 v[4:5], v[0:3], off
.LBB464_994:
	s_andn2_b64 vcc, exec, s[14:15]
	s_cbranch_vccnz .LBB464_996
; %bb.995:
	s_waitcnt vmcnt(0)
	v_cvt_f32_f64_e32 v2, v[0:1]
	v_mov_b32_e32 v3, 0
	global_store_dwordx2 v[4:5], v[2:3], off
.LBB464_996:
	s_mov_b64 s[14:15], 0
.LBB464_997:
	s_andn2_b64 vcc, exec, s[14:15]
	s_cbranch_vccnz .LBB464_999
; %bb.998:
	s_movk_i32 s14, 0x1ff
	s_waitcnt vmcnt(0)
	v_and_or_b32 v2, v1, s14, v0
	v_cmp_ne_u32_e32 vcc, 0, v2
	v_lshrrev_b32_e32 v3, 8, v1
	s_movk_i32 s14, 0xffe
	v_cndmask_b32_e64 v2, 0, 1, vcc
	v_bfe_u32 v6, v1, 20, 11
	v_and_or_b32 v2, v3, s14, v2
	v_sub_u32_e32 v7, 0x3f1, v6
	v_or_b32_e32 v3, 0x1000, v2
	v_med3_i32 v7, v7, 0, 13
	v_lshrrev_b32_e32 v8, v7, v3
	v_lshlrev_b32_e32 v7, v7, v8
	v_cmp_ne_u32_e32 vcc, v7, v3
	v_add_u32_e32 v6, 0xfffffc10, v6
	v_lshl_or_b32 v7, v6, 12, v2
	v_cndmask_b32_e64 v3, 0, 1, vcc
	v_or_b32_e32 v3, v8, v3
	v_cmp_gt_i32_e32 vcc, 1, v6
	s_movk_i32 s14, 0x40f
	s_nop 0
	v_cndmask_b32_e32 v3, v7, v3, vcc
	v_and_b32_e32 v7, 7, v3
	v_cmp_lt_i32_e32 vcc, 5, v7
	v_lshrrev_b32_e32 v3, 2, v3
	s_nop 0
	v_cndmask_b32_e64 v8, 0, 1, vcc
	v_cmp_eq_u32_e32 vcc, 3, v7
	s_nop 1
	v_cndmask_b32_e64 v7, 0, 1, vcc
	v_or_b32_e32 v7, v7, v8
	v_add_u32_e32 v3, v3, v7
	v_mov_b32_e32 v7, 0x7c00
	v_cmp_gt_i32_e32 vcc, 31, v6
	v_mov_b32_e32 v8, 0x7e00
	s_nop 0
	v_cndmask_b32_e32 v3, v7, v3, vcc
	v_cmp_ne_u32_e32 vcc, 0, v2
	s_nop 1
	v_cndmask_b32_e32 v2, v7, v8, vcc
	v_cmp_eq_u32_e32 vcc, s14, v6
	s_mov_b32 s14, 0x8000
	s_nop 0
	v_cndmask_b32_e32 v2, v3, v2, vcc
	v_and_b32_sdwa v3, v1, s14 dst_sel:DWORD dst_unused:UNUSED_PAD src0_sel:WORD_1 src1_sel:DWORD
	s_mov_b32 s14, 0xffff
	v_bitop3_b32 v2, v3, s14, v2 bitop3:0xc8
	global_store_dword v[4:5], v2, off
.LBB464_999:
	s_mov_b64 s[14:15], 0
.LBB464_1000:
	s_andn2_b64 vcc, exec, s[14:15]
	s_cbranch_vccnz .LBB464_1009
; %bb.1001:
	s_sext_i32_i16 s16, s28
	s_cmp_lt_i32 s16, 6
	s_mov_b64 s[14:15], -1
	s_cbranch_scc1 .LBB464_1007
; %bb.1002:
	s_cmp_gt_i32 s16, 6
	s_cbranch_scc0 .LBB464_1004
; %bb.1003:
	s_mov_b64 s[14:15], 0
	global_store_dwordx2 v[4:5], v[0:1], off
.LBB464_1004:
	s_andn2_b64 vcc, exec, s[14:15]
	s_cbranch_vccnz .LBB464_1006
; %bb.1005:
	s_waitcnt vmcnt(0)
	v_cvt_f32_f64_e32 v2, v[0:1]
	global_store_dword v[4:5], v2, off
.LBB464_1006:
	s_mov_b64 s[14:15], 0
.LBB464_1007:
	s_andn2_b64 vcc, exec, s[14:15]
	s_cbranch_vccnz .LBB464_1009
; %bb.1008:
	s_movk_i32 s14, 0x1ff
	s_waitcnt vmcnt(0)
	v_and_or_b32 v2, v1, s14, v0
	v_cmp_ne_u32_e32 vcc, 0, v2
	v_lshrrev_b32_e32 v3, 8, v1
	s_movk_i32 s14, 0xffe
	v_cndmask_b32_e64 v2, 0, 1, vcc
	v_bfe_u32 v6, v1, 20, 11
	v_and_or_b32 v2, v3, s14, v2
	v_sub_u32_e32 v7, 0x3f1, v6
	v_or_b32_e32 v3, 0x1000, v2
	v_med3_i32 v7, v7, 0, 13
	v_lshrrev_b32_e32 v8, v7, v3
	v_lshlrev_b32_e32 v7, v7, v8
	v_cmp_ne_u32_e32 vcc, v7, v3
	v_add_u32_e32 v6, 0xfffffc10, v6
	v_lshl_or_b32 v7, v6, 12, v2
	v_cndmask_b32_e64 v3, 0, 1, vcc
	v_or_b32_e32 v3, v8, v3
	v_cmp_gt_i32_e32 vcc, 1, v6
	s_movk_i32 s14, 0x40f
	s_nop 0
	v_cndmask_b32_e32 v3, v7, v3, vcc
	v_and_b32_e32 v7, 7, v3
	v_cmp_lt_i32_e32 vcc, 5, v7
	v_lshrrev_b32_e32 v3, 2, v3
	s_nop 0
	v_cndmask_b32_e64 v8, 0, 1, vcc
	v_cmp_eq_u32_e32 vcc, 3, v7
	s_nop 1
	v_cndmask_b32_e64 v7, 0, 1, vcc
	v_or_b32_e32 v7, v7, v8
	v_add_u32_e32 v3, v3, v7
	v_mov_b32_e32 v7, 0x7c00
	v_cmp_gt_i32_e32 vcc, 31, v6
	v_mov_b32_e32 v8, 0x7e00
	s_nop 0
	v_cndmask_b32_e32 v3, v7, v3, vcc
	v_cmp_ne_u32_e32 vcc, 0, v2
	s_nop 1
	v_cndmask_b32_e32 v2, v7, v8, vcc
	v_cmp_eq_u32_e32 vcc, s14, v6
	s_mov_b32 s14, 0x8000
	s_nop 0
	v_cndmask_b32_e32 v2, v3, v2, vcc
	v_lshrrev_b32_e32 v3, 16, v1
	v_and_or_b32 v2, v3, s14, v2
	global_store_short v[4:5], v2, off
.LBB464_1009:
	s_mov_b64 s[14:15], 0
.LBB464_1010:
	s_andn2_b64 vcc, exec, s[14:15]
	s_cbranch_vccnz .LBB464_1026
; %bb.1011:
	s_sext_i32_i16 s16, s28
	s_cmp_lt_i32 s16, 2
	s_mov_b64 s[14:15], -1
	s_cbranch_scc1 .LBB464_1021
; %bb.1012:
	s_cmp_lt_i32 s16, 3
	s_cbranch_scc1 .LBB464_1018
; %bb.1013:
	s_cmp_gt_i32 s16, 3
	s_cbranch_scc0 .LBB464_1015
; %bb.1014:
	s_waitcnt vmcnt(0)
	v_trunc_f64_e32 v[2:3], v[0:1]
	s_movk_i32 s14, 0xffe0
	v_ldexp_f64 v[6:7], v[2:3], s14
	v_floor_f64_e32 v[6:7], v[6:7]
	v_fmac_f64_e32 v[2:3], 0xc1f00000, v[6:7]
	v_cvt_i32_f64_e32 v9, v[6:7]
	v_cvt_u32_f64_e32 v8, v[2:3]
	s_mov_b64 s[14:15], 0
	global_store_dwordx2 v[4:5], v[8:9], off
.LBB464_1015:
	s_andn2_b64 vcc, exec, s[14:15]
	s_cbranch_vccnz .LBB464_1017
; %bb.1016:
	s_waitcnt vmcnt(0)
	v_cvt_i32_f64_e32 v2, v[0:1]
	global_store_dword v[4:5], v2, off
.LBB464_1017:
	s_mov_b64 s[14:15], 0
.LBB464_1018:
	s_andn2_b64 vcc, exec, s[14:15]
	s_cbranch_vccnz .LBB464_1020
; %bb.1019:
	s_waitcnt vmcnt(0)
	v_cvt_i32_f64_e32 v2, v[0:1]
	global_store_short v[4:5], v2, off
.LBB464_1020:
	s_mov_b64 s[14:15], 0
.LBB464_1021:
	s_andn2_b64 vcc, exec, s[14:15]
	s_cbranch_vccnz .LBB464_1026
; %bb.1022:
	s_sext_i32_i16 s14, s28
	s_cmp_gt_i32 s14, 0
	s_mov_b64 s[14:15], -1
	s_cbranch_scc0 .LBB464_1024
; %bb.1023:
	s_waitcnt vmcnt(0)
	v_cvt_i32_f64_e32 v2, v[0:1]
	s_mov_b64 s[14:15], 0
	global_store_byte v[4:5], v2, off
.LBB464_1024:
	s_andn2_b64 vcc, exec, s[14:15]
	s_cbranch_vccnz .LBB464_1026
; %bb.1025:
	v_trunc_f64_e32 v[0:1], v[0:1]
	s_movk_i32 s14, 0xffe0
	s_waitcnt vmcnt(0)
	v_ldexp_f64 v[2:3], v[0:1], s14
	v_floor_f64_e32 v[2:3], v[2:3]
	v_fmac_f64_e32 v[0:1], 0xc1f00000, v[2:3]
	v_cvt_u32_f64_e32 v0, v[0:1]
	global_store_byte v[4:5], v0, off
.LBB464_1026:
	s_or_b64 exec, exec, s[0:1]
	s_and_b64 s[14:15], s[18:19], exec
                                        ; implicit-def: $vgpr12
.LBB464_1027:
	s_or_saveexec_b64 s[12:13], s[12:13]
	s_mov_b64 s[0:1], 0
                                        ; implicit-def: $sgpr20
                                        ; implicit-def: $vgpr4_vgpr5
                                        ; implicit-def: $vgpr0_vgpr1
	s_xor_b64 exec, exec, s[12:13]
	s_cbranch_execz .LBB464_1975
; %bb.1028:
	s_waitcnt vmcnt(0)
	v_mul_lo_u32 v2, s9, v12
	v_ashrrev_i32_e32 v3, 31, v2
	s_and_b32 s24, 0xffff, s44
	s_cmp_lt_i32 s24, 11
	v_lshl_add_u64 v[4:5], s[6:7], 0, v[2:3]
	s_cbranch_scc1 .LBB464_1035
; %bb.1029:
	s_cmp_gt_i32 s24, 25
	s_cbranch_scc0 .LBB464_1037
; %bb.1030:
	s_cmp_gt_i32 s24, 28
	s_cbranch_scc0 .LBB464_1038
	;; [unrolled: 3-line block ×4, first 2 shown]
; %bb.1033:
	s_cmp_eq_u32 s24, 46
	s_mov_b64 s[16:17], 0
	s_cbranch_scc0 .LBB464_1043
; %bb.1034:
	global_load_dword v0, v[4:5], off
	s_mov_b64 s[18:19], -1
	s_waitcnt vmcnt(0)
	v_lshlrev_b32_e32 v0, 16, v0
	v_cvt_f64_f32_e32 v[0:1], v0
	s_branch .LBB464_1044
.LBB464_1035:
	s_mov_b64 s[18:19], 0
                                        ; implicit-def: $vgpr0_vgpr1
	s_mov_b64 s[16:17], s[14:15]
	s_cbranch_execnz .LBB464_1107
.LBB464_1036:
	s_andn2_b64 vcc, exec, s[18:19]
	s_cbranch_vccz .LBB464_1152
	s_branch .LBB464_1973
.LBB464_1037:
	s_mov_b64 s[18:19], 0
                                        ; implicit-def: $vgpr0_vgpr1
	s_cbranch_execnz .LBB464_1074
	s_branch .LBB464_1103
.LBB464_1038:
	s_mov_b64 s[16:17], -1
	s_mov_b64 s[18:19], 0
                                        ; implicit-def: $vgpr0_vgpr1
	s_branch .LBB464_1053
.LBB464_1039:
	s_mov_b64 s[18:19], 0
                                        ; implicit-def: $vgpr0_vgpr1
	s_cbranch_execnz .LBB464_1049
	s_branch .LBB464_1052
.LBB464_1040:
	s_mov_b64 s[16:17], -1
	s_mov_b64 s[18:19], 0
                                        ; implicit-def: $vgpr0_vgpr1
	s_branch .LBB464_1044
.LBB464_1041:
	s_andn2_saveexec_b64 s[24:25], s[24:25]
	s_cbranch_execz .LBB464_936
.LBB464_1042:
	s_mov_b32 s26, 0x46000000
	v_add_f32_e64 v3, |v2|, s26
	v_and_b32_e32 v3, 0xff, v3
	v_cmp_ne_u32_e32 vcc, 0, v3
	s_andn2_b64 s[22:23], s[22:23], exec
	s_and_b64 s[26:27], vcc, exec
	s_or_b64 s[22:23], s[22:23], s[26:27]
	s_or_b64 exec, exec, s[24:25]
	v_mov_b32_e32 v6, 0
	s_and_saveexec_b64 s[24:25], s[22:23]
	s_cbranch_execnz .LBB464_937
	s_branch .LBB464_938
.LBB464_1043:
	s_mov_b64 s[0:1], -1
                                        ; implicit-def: $vgpr0_vgpr1
	s_mov_b64 s[18:19], 0
.LBB464_1044:
	s_and_b64 vcc, exec, s[16:17]
	s_cbranch_vccz .LBB464_1047
; %bb.1045:
	s_cmp_eq_u32 s24, 44
	s_cbranch_scc0 .LBB464_1048
; %bb.1046:
	global_load_ubyte v3, v[4:5], off
	s_movk_i32 s16, 0xff
	v_bfrev_b32_e32 v6, 4
	v_mov_b32_e32 v7, 0x7ff80000
	v_bfrev_b32_e32 v8, 28
	s_mov_b64 s[0:1], 0
	s_mov_b64 s[18:19], -1
	s_waitcnt vmcnt(0)
	v_lshlrev_b32_e32 v0, 23, v3
	v_cvt_f64_f32_e32 v[0:1], v0
	v_cmp_ne_u32_e32 vcc, s16, v3
	s_nop 1
	v_cndmask_b32_e32 v0, v6, v0, vcc
	v_cndmask_b32_e32 v1, v7, v1, vcc
	v_cmp_ne_u32_e32 vcc, 0, v3
	s_nop 1
	v_cndmask_b32_e32 v1, v8, v1, vcc
	v_cndmask_b32_e32 v0, 0, v0, vcc
.LBB464_1047:
	s_branch .LBB464_1052
.LBB464_1048:
	s_mov_b64 s[0:1], -1
                                        ; implicit-def: $vgpr0_vgpr1
	s_branch .LBB464_1052
.LBB464_1049:
	s_cmp_eq_u32 s24, 29
	s_cbranch_scc0 .LBB464_1051
; %bb.1050:
	global_load_dwordx2 v[0:1], v[4:5], off
	s_mov_b64 s[0:1], 0
	s_mov_b64 s[18:19], -1
	s_mov_b64 s[16:17], 0
	s_waitcnt vmcnt(0)
	v_cvt_f64_u32_e32 v[6:7], v1
	v_cvt_f64_u32_e32 v[0:1], v0
	v_ldexp_f64 v[6:7], v[6:7], 32
	v_add_f64 v[0:1], v[6:7], v[0:1]
	s_branch .LBB464_1053
.LBB464_1051:
	s_mov_b64 s[0:1], -1
                                        ; implicit-def: $vgpr0_vgpr1
.LBB464_1052:
	s_mov_b64 s[16:17], 0
.LBB464_1053:
	s_and_b64 vcc, exec, s[16:17]
	s_cbranch_vccz .LBB464_1073
; %bb.1054:
	s_cmp_lt_i32 s24, 27
	s_cbranch_scc1 .LBB464_1057
; %bb.1055:
	s_cmp_gt_i32 s24, 27
	s_cbranch_scc0 .LBB464_1058
; %bb.1056:
	global_load_dword v0, v[4:5], off
	s_mov_b64 s[16:17], 0
	s_waitcnt vmcnt(0)
	v_cvt_f64_u32_e32 v[0:1], v0
	s_branch .LBB464_1059
.LBB464_1057:
	s_mov_b64 s[16:17], -1
                                        ; implicit-def: $vgpr0_vgpr1
	s_branch .LBB464_1062
.LBB464_1058:
	s_mov_b64 s[16:17], -1
                                        ; implicit-def: $vgpr0_vgpr1
.LBB464_1059:
	s_andn2_b64 vcc, exec, s[16:17]
	s_cbranch_vccnz .LBB464_1061
; %bb.1060:
	global_load_ushort v0, v[4:5], off
	s_waitcnt vmcnt(0)
	v_cvt_f64_u32_e32 v[0:1], v0
.LBB464_1061:
	s_mov_b64 s[16:17], 0
.LBB464_1062:
	s_andn2_b64 vcc, exec, s[16:17]
	s_cbranch_vccnz .LBB464_1072
; %bb.1063:
	global_load_ubyte v3, v[4:5], off
	s_movk_i32 s16, 0x7f
	s_waitcnt vmcnt(0)
	v_cmp_lt_i16_e32 vcc, s16, v3
	s_mov_b64 s[16:17], 0
	s_and_saveexec_b64 s[18:19], vcc
	s_xor_b64 s[18:19], exec, s[18:19]
	s_cbranch_execz .LBB464_1067
; %bb.1064:
	s_movk_i32 s16, 0x80
	v_cmp_eq_u16_e32 vcc, s16, v3
	s_mov_b64 s[16:17], -1
	s_and_saveexec_b64 s[20:21], vcc
; %bb.1065:
	s_xor_b64 s[16:17], exec, -1
; %bb.1066:
	s_or_b64 exec, exec, s[20:21]
	s_and_b64 s[16:17], s[16:17], exec
.LBB464_1067:
	s_or_saveexec_b64 s[18:19], s[18:19]
	v_bfrev_b32_e32 v0, 4
	v_mov_b32_e32 v1, 0x7ff80000
	s_xor_b64 exec, exec, s[18:19]
; %bb.1068:
	v_cmp_ne_u16_e32 vcc, 0, v3
	s_andn2_b64 s[16:17], s[16:17], exec
	s_and_b64 s[20:21], vcc, exec
	v_mov_b64_e32 v[0:1], 0
	s_or_b64 s[16:17], s[16:17], s[20:21]
; %bb.1069:
	s_or_b64 exec, exec, s[18:19]
	s_and_saveexec_b64 s[18:19], s[16:17]
	s_cbranch_execz .LBB464_1071
; %bb.1070:
	v_and_b32_e32 v1, 0xffff, v3
	v_lshlrev_b32_e32 v0, 24, v3
	v_and_b32_e32 v3, 7, v1
	v_ffbh_u32_e32 v7, v3
	v_min_u32_e32 v7, 32, v7
	v_subrev_u32_e32 v8, 28, v7
	v_bfe_u32 v6, v1, 3, 4
	v_lshlrev_b32_e32 v1, v8, v1
	v_sub_u32_e32 v7, 29, v7
	v_and_b32_e32 v1, 7, v1
	v_cmp_eq_u32_e32 vcc, 0, v6
	v_and_b32_e32 v0, 0x80000000, v0
	s_nop 0
	v_cndmask_b32_e32 v6, v6, v7, vcc
	v_cndmask_b32_e32 v1, v3, v1, vcc
	v_mov_b32_e32 v3, 0x3b800000
	v_lshlrev_b32_e32 v1, 20, v1
	v_lshl_add_u32 v3, v6, 23, v3
	v_or3_b32 v0, v0, v3, v1
	v_cvt_f64_f32_e32 v[0:1], v0
.LBB464_1071:
	s_or_b64 exec, exec, s[18:19]
.LBB464_1072:
	s_mov_b64 s[18:19], -1
.LBB464_1073:
	s_branch .LBB464_1103
.LBB464_1074:
	s_cmp_gt_i32 s24, 22
	s_cbranch_scc0 .LBB464_1086
; %bb.1075:
	s_cmp_lt_i32 s24, 24
	s_cbranch_scc1 .LBB464_1087
; %bb.1076:
	s_cmp_gt_i32 s24, 24
	s_cbranch_scc0 .LBB464_1088
; %bb.1077:
	global_load_ubyte v3, v[4:5], off
	s_movk_i32 s2, 0x7f
	s_waitcnt vmcnt(0)
	v_cmp_lt_i16_e32 vcc, s2, v3
	s_mov_b64 s[2:3], 0
	s_and_saveexec_b64 s[16:17], vcc
	s_xor_b64 s[16:17], exec, s[16:17]
	s_cbranch_execz .LBB464_1081
; %bb.1078:
	s_movk_i32 s2, 0x80
	v_cmp_eq_u16_e32 vcc, s2, v3
	s_mov_b64 s[2:3], -1
	s_and_saveexec_b64 s[18:19], vcc
; %bb.1079:
	s_xor_b64 s[2:3], exec, -1
; %bb.1080:
	s_or_b64 exec, exec, s[18:19]
	s_and_b64 s[2:3], s[2:3], exec
.LBB464_1081:
	s_or_saveexec_b64 s[16:17], s[16:17]
	v_bfrev_b32_e32 v0, 4
	v_mov_b32_e32 v1, 0x7ff80000
	s_xor_b64 exec, exec, s[16:17]
; %bb.1082:
	v_cmp_ne_u16_e32 vcc, 0, v3
	s_andn2_b64 s[2:3], s[2:3], exec
	s_and_b64 s[18:19], vcc, exec
	v_mov_b64_e32 v[0:1], 0
	s_or_b64 s[2:3], s[2:3], s[18:19]
; %bb.1083:
	s_or_b64 exec, exec, s[16:17]
	s_and_saveexec_b64 s[16:17], s[2:3]
	s_cbranch_execz .LBB464_1085
; %bb.1084:
	v_and_b32_e32 v1, 0xffff, v3
	v_lshlrev_b32_e32 v0, 24, v3
	v_and_b32_e32 v3, 3, v1
	v_ffbh_u32_e32 v7, v3
	v_min_u32_e32 v7, 32, v7
	v_subrev_u32_e32 v8, 29, v7
	v_bfe_u32 v6, v1, 2, 5
	v_lshlrev_b32_e32 v1, v8, v1
	v_sub_u32_e32 v7, 30, v7
	v_and_b32_e32 v1, 3, v1
	v_cmp_eq_u32_e32 vcc, 0, v6
	v_and_b32_e32 v0, 0x80000000, v0
	s_nop 0
	v_cndmask_b32_e32 v6, v6, v7, vcc
	v_cndmask_b32_e32 v1, v3, v1, vcc
	v_mov_b32_e32 v3, 0x37800000
	v_lshlrev_b32_e32 v1, 21, v1
	v_lshl_add_u32 v3, v6, 23, v3
	v_or3_b32 v0, v0, v3, v1
	v_cvt_f64_f32_e32 v[0:1], v0
.LBB464_1085:
	s_or_b64 exec, exec, s[16:17]
	s_mov_b64 s[2:3], 0
	s_branch .LBB464_1089
.LBB464_1086:
                                        ; implicit-def: $vgpr0_vgpr1
	s_mov_b64 s[2:3], 0
	s_branch .LBB464_1095
.LBB464_1087:
	s_mov_b64 s[2:3], -1
                                        ; implicit-def: $vgpr0_vgpr1
	s_branch .LBB464_1092
.LBB464_1088:
	s_mov_b64 s[2:3], -1
                                        ; implicit-def: $vgpr0_vgpr1
.LBB464_1089:
	s_and_b64 vcc, exec, s[2:3]
	s_cbranch_vccz .LBB464_1091
; %bb.1090:
	global_load_ubyte v0, v[4:5], off
	s_mov_b32 s2, 0x7f800000
	s_waitcnt vmcnt(0)
	v_lshlrev_b32_e32 v0, 24, v0
	v_and_b32_e32 v1, 0x7f000000, v0
	v_ffbh_u32_e32 v3, v1
	v_min_u32_e32 v3, 32, v3
	v_sub_u32_e64 v3, v3, 4 clamp
	v_lshlrev_b32_e32 v7, v3, v1
	v_lshlrev_b32_e32 v3, 23, v3
	v_lshrrev_b32_e32 v7, 4, v7
	v_add_u32_e32 v6, 0x1000000, v1
	v_sub_u32_e32 v3, v7, v3
	v_ashrrev_i32_e32 v6, 8, v6
	v_add_u32_e32 v3, 0x3c000000, v3
	v_and_or_b32 v3, v6, s2, v3
	v_cmp_ne_u32_e32 vcc, 0, v1
	s_brev_b32 s2, 1
	s_nop 0
	v_cndmask_b32_e32 v1, 0, v3, vcc
	v_and_or_b32 v0, v0, s2, v1
	v_cvt_f64_f32_e32 v[0:1], v0
.LBB464_1091:
	s_mov_b64 s[2:3], 0
.LBB464_1092:
	s_andn2_b64 vcc, exec, s[2:3]
	s_cbranch_vccnz .LBB464_1094
; %bb.1093:
	global_load_ubyte v0, v[4:5], off
	s_movk_i32 s2, 0x7f00
	s_brev_b32 s3, 16
	s_waitcnt vmcnt(0)
	v_lshlrev_b16_e32 v1, 8, v0
	v_lshlrev_b32_e32 v0, 25, v0
	v_lshrrev_b32_e32 v3, 4, v0
	v_and_or_b32 v6, v1, s2, 0.5
	v_or_b32_e32 v3, 0x70000000, v3
	v_add_f32_e32 v6, -0.5, v6
	v_mul_f32_e32 v3, 0x7800000, v3
	v_cmp_gt_u32_e32 vcc, s3, v0
	v_bfe_i32 v1, v1, 0, 16
	s_brev_b32 s2, 1
	v_cndmask_b32_e32 v0, v3, v6, vcc
	v_and_or_b32 v0, v1, s2, v0
	v_cvt_f64_f32_e32 v[0:1], v0
.LBB464_1094:
	s_mov_b64 s[18:19], -1
	s_mov_b64 s[2:3], 0
	s_cbranch_execnz .LBB464_1103
.LBB464_1095:
	s_cmp_gt_i32 s24, 14
	s_cbranch_scc0 .LBB464_1098
; %bb.1096:
	s_cmp_eq_u32 s24, 15
	s_cbranch_scc0 .LBB464_1099
; %bb.1097:
	global_load_ushort v0, v[4:5], off
	s_mov_b64 s[0:1], 0
	s_mov_b64 s[18:19], -1
	s_waitcnt vmcnt(0)
	v_lshlrev_b32_e32 v0, 16, v0
	v_cvt_f64_f32_e32 v[0:1], v0
	s_branch .LBB464_1100
.LBB464_1098:
	s_mov_b64 s[16:17], -1
                                        ; implicit-def: $vgpr0_vgpr1
	s_branch .LBB464_1101
.LBB464_1099:
	s_mov_b64 s[0:1], -1
                                        ; implicit-def: $vgpr0_vgpr1
.LBB464_1100:
	s_mov_b64 s[16:17], 0
.LBB464_1101:
	s_and_b64 vcc, exec, s[16:17]
	s_cbranch_vccz .LBB464_1103
; %bb.1102:
	s_cmp_lg_u32 s24, 11
	s_mov_b64 s[2:3], -1
	s_cselect_b64 s[0:1], -1, 0
.LBB464_1103:
	s_and_b64 vcc, exec, s[0:1]
	s_mov_b64 s[16:17], s[14:15]
	s_cbranch_vccnz .LBB464_1164
; %bb.1104:
	s_andn2_b64 vcc, exec, s[2:3]
	s_cbranch_vccnz .LBB464_1106
.LBB464_1105:
	global_load_ubyte v1, v[4:5], off
	v_mov_b32_e32 v3, 0x3ff00000
	v_mov_b32_e32 v0, 0
	s_mov_b64 s[18:19], -1
	s_waitcnt vmcnt(0)
	v_cmp_ne_u16_e32 vcc, 0, v1
	s_nop 1
	v_cndmask_b32_e32 v1, 0, v3, vcc
.LBB464_1106:
	s_branch .LBB464_1036
.LBB464_1107:
	s_cmp_lt_i32 s24, 5
	s_cbranch_scc1 .LBB464_1112
; %bb.1108:
	s_cmp_lt_i32 s24, 8
	s_cbranch_scc1 .LBB464_1113
; %bb.1109:
	;; [unrolled: 3-line block ×3, first 2 shown]
	s_cmp_gt_i32 s24, 9
	s_cbranch_scc0 .LBB464_1115
; %bb.1111:
	global_load_dwordx2 v[0:1], v[4:5], off
	s_mov_b64 s[0:1], 0
	s_branch .LBB464_1116
.LBB464_1112:
                                        ; implicit-def: $vgpr0_vgpr1
	s_branch .LBB464_1133
.LBB464_1113:
                                        ; implicit-def: $vgpr0_vgpr1
	s_branch .LBB464_1122
.LBB464_1114:
	s_mov_b64 s[0:1], -1
                                        ; implicit-def: $vgpr0_vgpr1
	s_branch .LBB464_1119
.LBB464_1115:
	s_mov_b64 s[0:1], -1
                                        ; implicit-def: $vgpr0_vgpr1
.LBB464_1116:
	s_andn2_b64 vcc, exec, s[0:1]
	s_cbranch_vccnz .LBB464_1118
; %bb.1117:
	global_load_dword v0, v[4:5], off
	s_waitcnt vmcnt(0)
	v_cvt_f64_f32_e32 v[0:1], v0
.LBB464_1118:
	s_mov_b64 s[0:1], 0
.LBB464_1119:
	s_andn2_b64 vcc, exec, s[0:1]
	s_cbranch_vccnz .LBB464_1121
; %bb.1120:
	global_load_dword v0, v[4:5], off
	s_waitcnt vmcnt(0)
	v_cvt_f32_f16_e32 v0, v0
	v_cvt_f64_f32_e32 v[0:1], v0
.LBB464_1121:
	s_cbranch_execnz .LBB464_1132
.LBB464_1122:
	s_cmp_lt_i32 s24, 6
	s_cbranch_scc1 .LBB464_1125
; %bb.1123:
	s_cmp_gt_i32 s24, 6
	s_cbranch_scc0 .LBB464_1126
; %bb.1124:
	global_load_dwordx2 v[0:1], v[4:5], off
	s_mov_b64 s[0:1], 0
	s_branch .LBB464_1127
.LBB464_1125:
	s_mov_b64 s[0:1], -1
                                        ; implicit-def: $vgpr0_vgpr1
	s_branch .LBB464_1130
.LBB464_1126:
	s_mov_b64 s[0:1], -1
                                        ; implicit-def: $vgpr0_vgpr1
.LBB464_1127:
	s_andn2_b64 vcc, exec, s[0:1]
	s_cbranch_vccnz .LBB464_1129
; %bb.1128:
	global_load_dword v0, v[4:5], off
	s_waitcnt vmcnt(0)
	v_cvt_f64_f32_e32 v[0:1], v0
.LBB464_1129:
	s_mov_b64 s[0:1], 0
.LBB464_1130:
	s_andn2_b64 vcc, exec, s[0:1]
	s_cbranch_vccnz .LBB464_1132
; %bb.1131:
	global_load_ushort v0, v[4:5], off
	s_waitcnt vmcnt(0)
	v_cvt_f32_f16_e32 v0, v0
	v_cvt_f64_f32_e32 v[0:1], v0
.LBB464_1132:
	s_cbranch_execnz .LBB464_1151
.LBB464_1133:
	s_cmp_lt_i32 s24, 2
	s_cbranch_scc1 .LBB464_1137
; %bb.1134:
	s_cmp_lt_i32 s24, 3
	s_cbranch_scc1 .LBB464_1138
; %bb.1135:
	s_cmp_gt_i32 s24, 3
	s_cbranch_scc0 .LBB464_1139
; %bb.1136:
	global_load_dwordx2 v[0:1], v[4:5], off
	s_mov_b64 s[0:1], 0
	s_waitcnt vmcnt(0)
	v_cvt_f64_i32_e32 v[6:7], v1
	v_cvt_f64_u32_e32 v[0:1], v0
	v_ldexp_f64 v[6:7], v[6:7], 32
	v_add_f64 v[0:1], v[6:7], v[0:1]
	s_branch .LBB464_1140
.LBB464_1137:
                                        ; implicit-def: $vgpr0_vgpr1
	s_branch .LBB464_1146
.LBB464_1138:
	s_mov_b64 s[0:1], -1
                                        ; implicit-def: $vgpr0_vgpr1
	s_branch .LBB464_1143
.LBB464_1139:
	s_mov_b64 s[0:1], -1
                                        ; implicit-def: $vgpr0_vgpr1
.LBB464_1140:
	s_andn2_b64 vcc, exec, s[0:1]
	s_cbranch_vccnz .LBB464_1142
; %bb.1141:
	global_load_dword v0, v[4:5], off
	s_waitcnt vmcnt(0)
	v_cvt_f64_i32_e32 v[0:1], v0
.LBB464_1142:
	s_mov_b64 s[0:1], 0
.LBB464_1143:
	s_andn2_b64 vcc, exec, s[0:1]
	s_cbranch_vccnz .LBB464_1145
; %bb.1144:
	global_load_sshort v0, v[4:5], off
	s_waitcnt vmcnt(0)
	v_cvt_f64_i32_e32 v[0:1], v0
.LBB464_1145:
	s_cbranch_execnz .LBB464_1151
.LBB464_1146:
	s_cmp_gt_i32 s24, 0
	s_cbranch_scc0 .LBB464_1148
; %bb.1147:
	global_load_sbyte v0, v[4:5], off
	s_mov_b64 s[0:1], 0
	s_waitcnt vmcnt(0)
	v_cvt_f64_i32_e32 v[0:1], v0
	s_branch .LBB464_1149
.LBB464_1148:
	s_mov_b64 s[0:1], -1
                                        ; implicit-def: $vgpr0_vgpr1
.LBB464_1149:
	s_andn2_b64 vcc, exec, s[0:1]
	s_cbranch_vccnz .LBB464_1151
; %bb.1150:
	global_load_ubyte v0, v[4:5], off
	s_waitcnt vmcnt(0)
	v_cvt_f64_u32_e32 v[0:1], v0
.LBB464_1151:
.LBB464_1152:
	s_lshl_b32 s9, s9, 7
	v_add_u32_e32 v2, s9, v2
	v_ashrrev_i32_e32 v3, 31, v2
	s_cmp_lt_i32 s24, 11
	v_lshl_add_u64 v[4:5], s[6:7], 0, v[2:3]
	s_cbranch_scc1 .LBB464_1159
; %bb.1153:
	s_cmp_gt_i32 s24, 25
	s_mov_b64 s[2:3], 0
	s_cbranch_scc0 .LBB464_1161
; %bb.1154:
	s_cmp_gt_i32 s24, 28
	s_cbranch_scc0 .LBB464_1162
; %bb.1155:
	s_cmp_gt_i32 s24, 43
	;; [unrolled: 3-line block ×3, first 2 shown]
	s_cbranch_scc0 .LBB464_1165
; %bb.1157:
	s_cmp_eq_u32 s24, 46
	s_mov_b64 s[20:21], 0
	s_cbranch_scc0 .LBB464_1168
; %bb.1158:
	global_load_dword v3, v[4:5], off
	s_mov_b64 s[0:1], 0
	s_mov_b64 s[18:19], -1
	s_waitcnt vmcnt(0)
	v_lshlrev_b32_e32 v3, 16, v3
	v_cvt_f64_f32_e32 v[8:9], v3
	s_branch .LBB464_1169
.LBB464_1159:
	s_mov_b64 s[18:19], 0
                                        ; implicit-def: $vgpr8_vgpr9
	s_cbranch_execnz .LBB464_1234
.LBB464_1160:
	s_andn2_b64 vcc, exec, s[18:19]
	s_cbranch_vccnz .LBB464_1973
	s_branch .LBB464_1281
.LBB464_1161:
	s_mov_b64 s[18:19], 0
	s_mov_b64 s[0:1], 0
                                        ; implicit-def: $vgpr8_vgpr9
	s_cbranch_execnz .LBB464_1200
	s_branch .LBB464_1230
.LBB464_1162:
	s_mov_b64 s[20:21], -1
	s_mov_b64 s[18:19], 0
	s_mov_b64 s[0:1], 0
                                        ; implicit-def: $vgpr8_vgpr9
	s_branch .LBB464_1179
.LBB464_1163:
	s_mov_b64 s[20:21], -1
	s_mov_b64 s[18:19], 0
	s_mov_b64 s[0:1], 0
                                        ; implicit-def: $vgpr8_vgpr9
	s_branch .LBB464_1174
.LBB464_1164:
	s_or_b64 s[16:17], s[14:15], exec
	s_trap 2
	s_cbranch_execz .LBB464_1105
	s_branch .LBB464_1106
.LBB464_1165:
	s_mov_b64 s[20:21], -1
	s_mov_b64 s[18:19], 0
	s_mov_b64 s[0:1], 0
                                        ; implicit-def: $vgpr8_vgpr9
	s_branch .LBB464_1169
.LBB464_1166:
	s_andn2_saveexec_b64 s[26:27], s[26:27]
	s_cbranch_execz .LBB464_948
.LBB464_1167:
	s_mov_b32 s30, 0x42800000
	v_add_f32_e64 v3, |v2|, s30
	v_and_b32_e32 v3, 0xff, v3
	v_cmp_ne_u32_e32 vcc, 0, v3
	s_andn2_b64 s[24:25], s[24:25], exec
	s_and_b64 s[30:31], vcc, exec
	s_or_b64 s[24:25], s[24:25], s[30:31]
	s_or_b64 exec, exec, s[26:27]
	v_mov_b32_e32 v6, 0
	s_and_saveexec_b64 s[26:27], s[24:25]
	s_cbranch_execnz .LBB464_949
	s_branch .LBB464_950
.LBB464_1168:
	s_mov_b64 s[0:1], -1
                                        ; implicit-def: $vgpr8_vgpr9
	s_mov_b64 s[18:19], 0
.LBB464_1169:
	s_and_b64 vcc, exec, s[20:21]
	s_cbranch_vccz .LBB464_1173
; %bb.1170:
	s_cmp_eq_u32 s24, 44
	s_cbranch_scc0 .LBB464_1172
; %bb.1171:
	global_load_ubyte v3, v[4:5], off
	s_movk_i32 s18, 0xff
	v_bfrev_b32_e32 v8, 4
	v_mov_b32_e32 v9, 0x7ff80000
	v_bfrev_b32_e32 v10, 28
	s_mov_b64 s[0:1], 0
	s_waitcnt vmcnt(0)
	v_lshlrev_b32_e32 v6, 23, v3
	v_cvt_f64_f32_e32 v[6:7], v6
	v_cmp_ne_u32_e32 vcc, s18, v3
	s_mov_b64 s[18:19], -1
	s_nop 0
	v_cndmask_b32_e32 v6, v8, v6, vcc
	v_cndmask_b32_e32 v7, v9, v7, vcc
	v_cmp_ne_u32_e32 vcc, 0, v3
	s_nop 1
	v_cndmask_b32_e32 v9, v10, v7, vcc
	v_cndmask_b32_e32 v8, 0, v6, vcc
	s_branch .LBB464_1173
.LBB464_1172:
	s_mov_b64 s[0:1], -1
                                        ; implicit-def: $vgpr8_vgpr9
.LBB464_1173:
	s_mov_b64 s[20:21], 0
.LBB464_1174:
	s_and_b64 vcc, exec, s[20:21]
	s_cbranch_vccz .LBB464_1178
; %bb.1175:
	s_cmp_eq_u32 s24, 29
	s_cbranch_scc0 .LBB464_1177
; %bb.1176:
	global_load_dwordx2 v[6:7], v[4:5], off
	s_mov_b64 s[0:1], 0
	s_mov_b64 s[18:19], -1
	s_mov_b64 s[20:21], 0
	s_waitcnt vmcnt(0)
	v_cvt_f64_u32_e32 v[8:9], v7
	v_cvt_f64_u32_e32 v[6:7], v6
	v_ldexp_f64 v[8:9], v[8:9], 32
	v_add_f64 v[8:9], v[8:9], v[6:7]
	s_branch .LBB464_1179
.LBB464_1177:
	s_mov_b64 s[0:1], -1
                                        ; implicit-def: $vgpr8_vgpr9
.LBB464_1178:
	s_mov_b64 s[20:21], 0
.LBB464_1179:
	s_and_b64 vcc, exec, s[20:21]
	s_cbranch_vccz .LBB464_1199
; %bb.1180:
	s_cmp_lt_i32 s24, 27
	s_cbranch_scc1 .LBB464_1183
; %bb.1181:
	s_cmp_gt_i32 s24, 27
	s_cbranch_scc0 .LBB464_1184
; %bb.1182:
	global_load_dword v3, v[4:5], off
	s_mov_b64 s[18:19], 0
	s_waitcnt vmcnt(0)
	v_cvt_f64_u32_e32 v[8:9], v3
	s_branch .LBB464_1185
.LBB464_1183:
	s_mov_b64 s[18:19], -1
                                        ; implicit-def: $vgpr8_vgpr9
	s_branch .LBB464_1188
.LBB464_1184:
	s_mov_b64 s[18:19], -1
                                        ; implicit-def: $vgpr8_vgpr9
.LBB464_1185:
	s_andn2_b64 vcc, exec, s[18:19]
	s_cbranch_vccnz .LBB464_1187
; %bb.1186:
	global_load_ushort v3, v[4:5], off
	s_waitcnt vmcnt(0)
	v_cvt_f64_u32_e32 v[8:9], v3
.LBB464_1187:
	s_mov_b64 s[18:19], 0
.LBB464_1188:
	s_andn2_b64 vcc, exec, s[18:19]
	s_cbranch_vccnz .LBB464_1198
; %bb.1189:
	global_load_ubyte v3, v[4:5], off
	s_movk_i32 s18, 0x7f
	s_waitcnt vmcnt(0)
	v_cmp_lt_i16_e32 vcc, s18, v3
	s_mov_b64 s[18:19], 0
	s_and_saveexec_b64 s[20:21], vcc
	s_xor_b64 s[20:21], exec, s[20:21]
	s_cbranch_execz .LBB464_1193
; %bb.1190:
	s_movk_i32 s18, 0x80
	v_cmp_eq_u16_e32 vcc, s18, v3
	s_mov_b64 s[18:19], -1
	s_and_saveexec_b64 s[22:23], vcc
; %bb.1191:
	s_xor_b64 s[18:19], exec, -1
; %bb.1192:
	s_or_b64 exec, exec, s[22:23]
	s_and_b64 s[18:19], s[18:19], exec
.LBB464_1193:
	s_or_saveexec_b64 s[20:21], s[20:21]
	v_bfrev_b32_e32 v8, 4
	v_mov_b32_e32 v9, 0x7ff80000
	s_xor_b64 exec, exec, s[20:21]
; %bb.1194:
	v_cmp_ne_u16_e32 vcc, 0, v3
	s_andn2_b64 s[18:19], s[18:19], exec
	s_and_b64 s[22:23], vcc, exec
	v_mov_b64_e32 v[8:9], 0
	s_or_b64 s[18:19], s[18:19], s[22:23]
; %bb.1195:
	s_or_b64 exec, exec, s[20:21]
	s_and_saveexec_b64 s[20:21], s[18:19]
	s_cbranch_execz .LBB464_1197
; %bb.1196:
	v_lshlrev_b32_e32 v6, 24, v3
	v_and_b32_e32 v3, 0xffff, v3
	v_and_b32_e32 v7, 7, v3
	v_ffbh_u32_e32 v9, v7
	v_min_u32_e32 v9, 32, v9
	v_subrev_u32_e32 v10, 28, v9
	v_bfe_u32 v8, v3, 3, 4
	v_lshlrev_b32_e32 v3, v10, v3
	v_sub_u32_e32 v9, 29, v9
	v_and_b32_e32 v3, 7, v3
	v_cmp_eq_u32_e32 vcc, 0, v8
	v_and_b32_e32 v6, 0x80000000, v6
	s_nop 0
	v_cndmask_b32_e32 v8, v8, v9, vcc
	v_cndmask_b32_e32 v3, v7, v3, vcc
	v_mov_b32_e32 v7, 0x3b800000
	v_lshlrev_b32_e32 v3, 20, v3
	v_lshl_add_u32 v7, v8, 23, v7
	v_or3_b32 v3, v6, v7, v3
	v_cvt_f64_f32_e32 v[8:9], v3
.LBB464_1197:
	s_or_b64 exec, exec, s[20:21]
.LBB464_1198:
	s_mov_b64 s[18:19], -1
.LBB464_1199:
	s_branch .LBB464_1230
.LBB464_1200:
	s_cmp_gt_i32 s24, 22
	s_cbranch_scc0 .LBB464_1212
; %bb.1201:
	s_cmp_lt_i32 s24, 24
	s_cbranch_scc1 .LBB464_1213
; %bb.1202:
	s_cmp_gt_i32 s24, 24
	s_cbranch_scc0 .LBB464_1214
; %bb.1203:
	global_load_ubyte v3, v[4:5], off
	s_movk_i32 s2, 0x7f
	s_waitcnt vmcnt(0)
	v_cmp_lt_i16_e32 vcc, s2, v3
	s_mov_b64 s[2:3], 0
	s_and_saveexec_b64 s[18:19], vcc
	s_xor_b64 s[18:19], exec, s[18:19]
	s_cbranch_execz .LBB464_1207
; %bb.1204:
	s_movk_i32 s2, 0x80
	v_cmp_eq_u16_e32 vcc, s2, v3
	s_mov_b64 s[2:3], -1
	s_and_saveexec_b64 s[20:21], vcc
; %bb.1205:
	s_xor_b64 s[2:3], exec, -1
; %bb.1206:
	s_or_b64 exec, exec, s[20:21]
	s_and_b64 s[2:3], s[2:3], exec
.LBB464_1207:
	s_or_saveexec_b64 s[18:19], s[18:19]
	v_bfrev_b32_e32 v8, 4
	v_mov_b32_e32 v9, 0x7ff80000
	s_xor_b64 exec, exec, s[18:19]
; %bb.1208:
	v_cmp_ne_u16_e32 vcc, 0, v3
	s_andn2_b64 s[2:3], s[2:3], exec
	s_and_b64 s[20:21], vcc, exec
	v_mov_b64_e32 v[8:9], 0
	s_or_b64 s[2:3], s[2:3], s[20:21]
; %bb.1209:
	s_or_b64 exec, exec, s[18:19]
	s_and_saveexec_b64 s[18:19], s[2:3]
	s_cbranch_execz .LBB464_1211
; %bb.1210:
	v_lshlrev_b32_e32 v6, 24, v3
	v_and_b32_e32 v3, 0xffff, v3
	v_and_b32_e32 v7, 3, v3
	v_ffbh_u32_e32 v9, v7
	v_min_u32_e32 v9, 32, v9
	v_subrev_u32_e32 v10, 29, v9
	v_bfe_u32 v8, v3, 2, 5
	v_lshlrev_b32_e32 v3, v10, v3
	v_sub_u32_e32 v9, 30, v9
	v_and_b32_e32 v3, 3, v3
	v_cmp_eq_u32_e32 vcc, 0, v8
	v_and_b32_e32 v6, 0x80000000, v6
	s_nop 0
	v_cndmask_b32_e32 v8, v8, v9, vcc
	v_cndmask_b32_e32 v3, v7, v3, vcc
	v_mov_b32_e32 v7, 0x37800000
	v_lshlrev_b32_e32 v3, 21, v3
	v_lshl_add_u32 v7, v8, 23, v7
	v_or3_b32 v3, v6, v7, v3
	v_cvt_f64_f32_e32 v[8:9], v3
.LBB464_1211:
	s_or_b64 exec, exec, s[18:19]
	s_mov_b64 s[2:3], 0
	s_branch .LBB464_1215
.LBB464_1212:
	s_mov_b64 s[2:3], -1
                                        ; implicit-def: $vgpr8_vgpr9
	s_branch .LBB464_1221
.LBB464_1213:
	s_mov_b64 s[2:3], -1
                                        ; implicit-def: $vgpr8_vgpr9
	s_branch .LBB464_1218
.LBB464_1214:
	s_mov_b64 s[2:3], -1
                                        ; implicit-def: $vgpr8_vgpr9
.LBB464_1215:
	s_and_b64 vcc, exec, s[2:3]
	s_cbranch_vccz .LBB464_1217
; %bb.1216:
	global_load_ubyte v3, v[4:5], off
	s_mov_b32 s2, 0x7f800000
	s_waitcnt vmcnt(0)
	v_lshlrev_b32_e32 v3, 24, v3
	v_and_b32_e32 v6, 0x7f000000, v3
	v_ffbh_u32_e32 v7, v6
	v_min_u32_e32 v7, 32, v7
	v_sub_u32_e64 v7, v7, 4 clamp
	v_lshlrev_b32_e32 v9, v7, v6
	v_lshlrev_b32_e32 v7, 23, v7
	v_lshrrev_b32_e32 v9, 4, v9
	v_add_u32_e32 v8, 0x1000000, v6
	v_sub_u32_e32 v7, v9, v7
	v_ashrrev_i32_e32 v8, 8, v8
	v_add_u32_e32 v7, 0x3c000000, v7
	v_and_or_b32 v7, v8, s2, v7
	v_cmp_ne_u32_e32 vcc, 0, v6
	s_brev_b32 s2, 1
	s_nop 0
	v_cndmask_b32_e32 v6, 0, v7, vcc
	v_and_or_b32 v3, v3, s2, v6
	v_cvt_f64_f32_e32 v[8:9], v3
.LBB464_1217:
	s_mov_b64 s[2:3], 0
.LBB464_1218:
	s_andn2_b64 vcc, exec, s[2:3]
	s_cbranch_vccnz .LBB464_1220
; %bb.1219:
	global_load_ubyte v3, v[4:5], off
	s_movk_i32 s2, 0x7f00
	s_brev_b32 s3, 16
	s_waitcnt vmcnt(0)
	v_lshlrev_b16_e32 v6, 8, v3
	v_lshlrev_b32_e32 v3, 25, v3
	v_lshrrev_b32_e32 v7, 4, v3
	v_and_or_b32 v8, v6, s2, 0.5
	v_or_b32_e32 v7, 0x70000000, v7
	v_add_f32_e32 v8, -0.5, v8
	v_mul_f32_e32 v7, 0x7800000, v7
	v_cmp_gt_u32_e32 vcc, s3, v3
	v_bfe_i32 v6, v6, 0, 16
	s_brev_b32 s2, 1
	v_cndmask_b32_e32 v3, v7, v8, vcc
	v_and_or_b32 v3, v6, s2, v3
	v_cvt_f64_f32_e32 v[8:9], v3
.LBB464_1220:
	s_mov_b64 s[2:3], 0
	s_mov_b64 s[18:19], -1
.LBB464_1221:
	s_andn2_b64 vcc, exec, s[2:3]
	s_mov_b64 s[2:3], 0
	s_cbranch_vccnz .LBB464_1230
; %bb.1222:
	s_cmp_gt_i32 s24, 14
	s_cbranch_scc0 .LBB464_1225
; %bb.1223:
	s_cmp_eq_u32 s24, 15
	s_cbranch_scc0 .LBB464_1226
; %bb.1224:
	global_load_ushort v3, v[4:5], off
	s_mov_b64 s[0:1], 0
	s_mov_b64 s[18:19], -1
	s_waitcnt vmcnt(0)
	v_lshlrev_b32_e32 v3, 16, v3
	v_cvt_f64_f32_e32 v[8:9], v3
	s_branch .LBB464_1227
.LBB464_1225:
	s_mov_b64 s[20:21], -1
                                        ; implicit-def: $vgpr8_vgpr9
	s_branch .LBB464_1228
.LBB464_1226:
	s_mov_b64 s[0:1], -1
                                        ; implicit-def: $vgpr8_vgpr9
.LBB464_1227:
	s_mov_b64 s[20:21], 0
.LBB464_1228:
	s_and_b64 vcc, exec, s[20:21]
	s_cbranch_vccz .LBB464_1230
; %bb.1229:
	s_cmp_lg_u32 s24, 11
	s_mov_b64 s[2:3], -1
	s_cselect_b64 s[0:1], -1, 0
.LBB464_1230:
	s_and_b64 vcc, exec, s[0:1]
	s_cbranch_vccnz .LBB464_1293
; %bb.1231:
	s_andn2_b64 vcc, exec, s[2:3]
	s_cbranch_vccnz .LBB464_1233
.LBB464_1232:
	global_load_ubyte v3, v[4:5], off
	v_mov_b32_e32 v6, 0x3ff00000
	v_mov_b32_e32 v8, 0
	s_mov_b64 s[18:19], -1
	s_waitcnt vmcnt(0)
	v_cmp_ne_u16_e32 vcc, 0, v3
	s_nop 1
	v_cndmask_b32_e32 v9, 0, v6, vcc
.LBB464_1233:
	s_branch .LBB464_1160
.LBB464_1234:
	s_cmp_lt_i32 s24, 5
	s_cbranch_scc1 .LBB464_1239
; %bb.1235:
	s_cmp_lt_i32 s24, 8
	s_cbranch_scc1 .LBB464_1240
; %bb.1236:
	s_cmp_lt_i32 s24, 9
	s_cbranch_scc1 .LBB464_1241
; %bb.1237:
	s_cmp_gt_i32 s24, 9
	s_cbranch_scc0 .LBB464_1242
; %bb.1238:
	global_load_dwordx2 v[8:9], v[4:5], off
	s_mov_b64 s[0:1], 0
	s_branch .LBB464_1243
.LBB464_1239:
                                        ; implicit-def: $vgpr8_vgpr9
	s_branch .LBB464_1261
.LBB464_1240:
	s_mov_b64 s[0:1], -1
                                        ; implicit-def: $vgpr8_vgpr9
	s_branch .LBB464_1249
.LBB464_1241:
	s_mov_b64 s[0:1], -1
                                        ; implicit-def: $vgpr8_vgpr9
	s_branch .LBB464_1246
.LBB464_1242:
	s_mov_b64 s[0:1], -1
                                        ; implicit-def: $vgpr8_vgpr9
.LBB464_1243:
	s_andn2_b64 vcc, exec, s[0:1]
	s_cbranch_vccnz .LBB464_1245
; %bb.1244:
	global_load_dword v3, v[4:5], off
	s_waitcnt vmcnt(0)
	v_cvt_f64_f32_e32 v[8:9], v3
.LBB464_1245:
	s_mov_b64 s[0:1], 0
.LBB464_1246:
	s_andn2_b64 vcc, exec, s[0:1]
	s_cbranch_vccnz .LBB464_1248
; %bb.1247:
	global_load_dword v3, v[4:5], off
	s_waitcnt vmcnt(0)
	v_cvt_f32_f16_e32 v3, v3
	v_cvt_f64_f32_e32 v[8:9], v3
.LBB464_1248:
	s_mov_b64 s[0:1], 0
.LBB464_1249:
	s_andn2_b64 vcc, exec, s[0:1]
	s_cbranch_vccnz .LBB464_1260
; %bb.1250:
	s_cmp_lt_i32 s24, 6
	s_cbranch_scc1 .LBB464_1253
; %bb.1251:
	s_cmp_gt_i32 s24, 6
	s_cbranch_scc0 .LBB464_1254
; %bb.1252:
	global_load_dwordx2 v[8:9], v[4:5], off
	s_mov_b64 s[0:1], 0
	s_branch .LBB464_1255
.LBB464_1253:
	s_mov_b64 s[0:1], -1
                                        ; implicit-def: $vgpr8_vgpr9
	s_branch .LBB464_1258
.LBB464_1254:
	s_mov_b64 s[0:1], -1
                                        ; implicit-def: $vgpr8_vgpr9
.LBB464_1255:
	s_andn2_b64 vcc, exec, s[0:1]
	s_cbranch_vccnz .LBB464_1257
; %bb.1256:
	global_load_dword v3, v[4:5], off
	s_waitcnt vmcnt(0)
	v_cvt_f64_f32_e32 v[8:9], v3
.LBB464_1257:
	s_mov_b64 s[0:1], 0
.LBB464_1258:
	s_andn2_b64 vcc, exec, s[0:1]
	s_cbranch_vccnz .LBB464_1260
; %bb.1259:
	global_load_ushort v3, v[4:5], off
	s_waitcnt vmcnt(0)
	v_cvt_f32_f16_e32 v3, v3
	v_cvt_f64_f32_e32 v[8:9], v3
.LBB464_1260:
	s_cbranch_execnz .LBB464_1280
.LBB464_1261:
	s_cmp_lt_i32 s24, 2
	s_cbranch_scc1 .LBB464_1265
; %bb.1262:
	s_cmp_lt_i32 s24, 3
	s_cbranch_scc1 .LBB464_1266
; %bb.1263:
	s_cmp_gt_i32 s24, 3
	s_cbranch_scc0 .LBB464_1267
; %bb.1264:
	global_load_dwordx2 v[6:7], v[4:5], off
	s_mov_b64 s[0:1], 0
	s_waitcnt vmcnt(0)
	v_cvt_f64_i32_e32 v[8:9], v7
	v_cvt_f64_u32_e32 v[6:7], v6
	v_ldexp_f64 v[8:9], v[8:9], 32
	v_add_f64 v[8:9], v[8:9], v[6:7]
	s_branch .LBB464_1268
.LBB464_1265:
	s_mov_b64 s[0:1], -1
                                        ; implicit-def: $vgpr8_vgpr9
	s_branch .LBB464_1274
.LBB464_1266:
	s_mov_b64 s[0:1], -1
                                        ; implicit-def: $vgpr8_vgpr9
	s_branch .LBB464_1271
.LBB464_1267:
	s_mov_b64 s[0:1], -1
                                        ; implicit-def: $vgpr8_vgpr9
.LBB464_1268:
	s_andn2_b64 vcc, exec, s[0:1]
	s_cbranch_vccnz .LBB464_1270
; %bb.1269:
	global_load_dword v3, v[4:5], off
	s_waitcnt vmcnt(0)
	v_cvt_f64_i32_e32 v[8:9], v3
.LBB464_1270:
	s_mov_b64 s[0:1], 0
.LBB464_1271:
	s_andn2_b64 vcc, exec, s[0:1]
	s_cbranch_vccnz .LBB464_1273
; %bb.1272:
	global_load_sshort v3, v[4:5], off
	s_waitcnt vmcnt(0)
	v_cvt_f64_i32_e32 v[8:9], v3
.LBB464_1273:
	s_mov_b64 s[0:1], 0
.LBB464_1274:
	s_andn2_b64 vcc, exec, s[0:1]
	s_cbranch_vccnz .LBB464_1280
; %bb.1275:
	s_cmp_gt_i32 s24, 0
	s_cbranch_scc0 .LBB464_1277
; %bb.1276:
	global_load_sbyte v3, v[4:5], off
	s_mov_b64 s[0:1], 0
	s_waitcnt vmcnt(0)
	v_cvt_f64_i32_e32 v[8:9], v3
	s_branch .LBB464_1278
.LBB464_1277:
	s_mov_b64 s[0:1], -1
                                        ; implicit-def: $vgpr8_vgpr9
.LBB464_1278:
	s_andn2_b64 vcc, exec, s[0:1]
	s_cbranch_vccnz .LBB464_1280
; %bb.1279:
	global_load_ubyte v3, v[4:5], off
	s_waitcnt vmcnt(0)
	v_cvt_f64_u32_e32 v[8:9], v3
.LBB464_1280:
.LBB464_1281:
	v_add_u32_e32 v2, s9, v2
	v_ashrrev_i32_e32 v3, 31, v2
	s_cmp_lt_i32 s24, 11
	v_lshl_add_u64 v[4:5], s[6:7], 0, v[2:3]
	s_cbranch_scc1 .LBB464_1288
; %bb.1282:
	s_cmp_gt_i32 s24, 25
	s_mov_b64 s[2:3], 0
	s_cbranch_scc0 .LBB464_1290
; %bb.1283:
	s_cmp_gt_i32 s24, 28
	s_cbranch_scc0 .LBB464_1291
; %bb.1284:
	s_cmp_gt_i32 s24, 43
	;; [unrolled: 3-line block ×3, first 2 shown]
	s_cbranch_scc0 .LBB464_1294
; %bb.1286:
	s_cmp_eq_u32 s24, 46
	s_mov_b64 s[20:21], 0
	s_cbranch_scc0 .LBB464_1295
; %bb.1287:
	global_load_dword v3, v[4:5], off
	s_mov_b64 s[0:1], 0
	s_mov_b64 s[18:19], -1
	s_waitcnt vmcnt(0)
	v_lshlrev_b32_e32 v3, 16, v3
	v_cvt_f64_f32_e32 v[6:7], v3
	s_branch .LBB464_1296
.LBB464_1288:
	s_mov_b64 s[18:19], 0
                                        ; implicit-def: $vgpr6_vgpr7
	s_cbranch_execnz .LBB464_1362
.LBB464_1289:
	s_andn2_b64 vcc, exec, s[18:19]
	s_cbranch_vccnz .LBB464_1973
	s_branch .LBB464_1410
.LBB464_1290:
	s_mov_b64 s[20:21], -1
	s_mov_b64 s[18:19], 0
	s_mov_b64 s[0:1], 0
                                        ; implicit-def: $vgpr6_vgpr7
	s_branch .LBB464_1327
.LBB464_1291:
	s_mov_b64 s[20:21], -1
	s_mov_b64 s[18:19], 0
	s_mov_b64 s[0:1], 0
                                        ; implicit-def: $vgpr6_vgpr7
	s_branch .LBB464_1306
.LBB464_1292:
	s_mov_b64 s[20:21], -1
	s_mov_b64 s[18:19], 0
	s_mov_b64 s[0:1], 0
                                        ; implicit-def: $vgpr6_vgpr7
	s_branch .LBB464_1301
.LBB464_1293:
	s_trap 2
	s_or_b64 s[16:17], s[16:17], exec
	s_cbranch_execz .LBB464_1232
	s_branch .LBB464_1233
.LBB464_1294:
	s_mov_b64 s[20:21], -1
	s_mov_b64 s[18:19], 0
	s_mov_b64 s[0:1], 0
                                        ; implicit-def: $vgpr6_vgpr7
	s_branch .LBB464_1296
.LBB464_1295:
	s_mov_b64 s[0:1], -1
                                        ; implicit-def: $vgpr6_vgpr7
	s_mov_b64 s[18:19], 0
.LBB464_1296:
	s_and_b64 vcc, exec, s[20:21]
	s_cbranch_vccz .LBB464_1300
; %bb.1297:
	s_cmp_eq_u32 s24, 44
	s_cbranch_scc0 .LBB464_1299
; %bb.1298:
	global_load_ubyte v3, v[4:5], off
	s_movk_i32 s18, 0xff
	v_bfrev_b32_e32 v10, 4
	v_mov_b32_e32 v11, 0x7ff80000
	v_bfrev_b32_e32 v13, 28
	s_mov_b64 s[0:1], 0
	s_waitcnt vmcnt(0)
	v_lshlrev_b32_e32 v6, 23, v3
	v_cvt_f64_f32_e32 v[6:7], v6
	v_cmp_ne_u32_e32 vcc, s18, v3
	s_mov_b64 s[18:19], -1
	s_nop 0
	v_cndmask_b32_e32 v6, v10, v6, vcc
	v_cndmask_b32_e32 v7, v11, v7, vcc
	v_cmp_ne_u32_e32 vcc, 0, v3
	s_nop 1
	v_cndmask_b32_e32 v7, v13, v7, vcc
	v_cndmask_b32_e32 v6, 0, v6, vcc
	s_branch .LBB464_1300
.LBB464_1299:
	s_mov_b64 s[0:1], -1
                                        ; implicit-def: $vgpr6_vgpr7
.LBB464_1300:
	s_mov_b64 s[20:21], 0
.LBB464_1301:
	s_and_b64 vcc, exec, s[20:21]
	s_cbranch_vccz .LBB464_1305
; %bb.1302:
	s_cmp_eq_u32 s24, 29
	s_cbranch_scc0 .LBB464_1304
; %bb.1303:
	global_load_dwordx2 v[6:7], v[4:5], off
	s_mov_b64 s[0:1], 0
	s_mov_b64 s[18:19], -1
	s_mov_b64 s[20:21], 0
	s_waitcnt vmcnt(0)
	v_cvt_f64_u32_e32 v[10:11], v7
	v_cvt_f64_u32_e32 v[6:7], v6
	v_ldexp_f64 v[10:11], v[10:11], 32
	v_add_f64 v[6:7], v[10:11], v[6:7]
	s_branch .LBB464_1306
.LBB464_1304:
	s_mov_b64 s[0:1], -1
                                        ; implicit-def: $vgpr6_vgpr7
.LBB464_1305:
	s_mov_b64 s[20:21], 0
.LBB464_1306:
	s_and_b64 vcc, exec, s[20:21]
	s_cbranch_vccz .LBB464_1326
; %bb.1307:
	s_cmp_lt_i32 s24, 27
	s_cbranch_scc1 .LBB464_1310
; %bb.1308:
	s_cmp_gt_i32 s24, 27
	s_cbranch_scc0 .LBB464_1311
; %bb.1309:
	global_load_dword v3, v[4:5], off
	s_mov_b64 s[18:19], 0
	s_waitcnt vmcnt(0)
	v_cvt_f64_u32_e32 v[6:7], v3
	s_branch .LBB464_1312
.LBB464_1310:
	s_mov_b64 s[18:19], -1
                                        ; implicit-def: $vgpr6_vgpr7
	s_branch .LBB464_1315
.LBB464_1311:
	s_mov_b64 s[18:19], -1
                                        ; implicit-def: $vgpr6_vgpr7
.LBB464_1312:
	s_andn2_b64 vcc, exec, s[18:19]
	s_cbranch_vccnz .LBB464_1314
; %bb.1313:
	global_load_ushort v3, v[4:5], off
	s_waitcnt vmcnt(0)
	v_cvt_f64_u32_e32 v[6:7], v3
.LBB464_1314:
	s_mov_b64 s[18:19], 0
.LBB464_1315:
	s_andn2_b64 vcc, exec, s[18:19]
	s_cbranch_vccnz .LBB464_1325
; %bb.1316:
	global_load_ubyte v3, v[4:5], off
	s_movk_i32 s18, 0x7f
	s_waitcnt vmcnt(0)
	v_cmp_lt_i16_e32 vcc, s18, v3
	s_mov_b64 s[18:19], 0
	s_and_saveexec_b64 s[20:21], vcc
	s_xor_b64 s[20:21], exec, s[20:21]
	s_cbranch_execz .LBB464_1320
; %bb.1317:
	s_movk_i32 s18, 0x80
	v_cmp_eq_u16_e32 vcc, s18, v3
	s_mov_b64 s[18:19], -1
	s_and_saveexec_b64 s[22:23], vcc
; %bb.1318:
	s_xor_b64 s[18:19], exec, -1
; %bb.1319:
	s_or_b64 exec, exec, s[22:23]
	s_and_b64 s[18:19], s[18:19], exec
.LBB464_1320:
	s_or_saveexec_b64 s[20:21], s[20:21]
	v_bfrev_b32_e32 v6, 4
	v_mov_b32_e32 v7, 0x7ff80000
	s_xor_b64 exec, exec, s[20:21]
; %bb.1321:
	v_cmp_ne_u16_e32 vcc, 0, v3
	s_andn2_b64 s[18:19], s[18:19], exec
	s_and_b64 s[22:23], vcc, exec
	v_mov_b64_e32 v[6:7], 0
	s_or_b64 s[18:19], s[18:19], s[22:23]
; %bb.1322:
	s_or_b64 exec, exec, s[20:21]
	s_and_saveexec_b64 s[20:21], s[18:19]
	s_cbranch_execz .LBB464_1324
; %bb.1323:
	v_lshlrev_b32_e32 v6, 24, v3
	v_and_b32_e32 v3, 0xffff, v3
	v_and_b32_e32 v7, 7, v3
	v_ffbh_u32_e32 v11, v7
	v_min_u32_e32 v11, 32, v11
	v_subrev_u32_e32 v13, 28, v11
	v_bfe_u32 v10, v3, 3, 4
	v_lshlrev_b32_e32 v3, v13, v3
	v_sub_u32_e32 v11, 29, v11
	v_and_b32_e32 v3, 7, v3
	v_cmp_eq_u32_e32 vcc, 0, v10
	v_and_b32_e32 v6, 0x80000000, v6
	s_nop 0
	v_cndmask_b32_e32 v10, v10, v11, vcc
	v_cndmask_b32_e32 v3, v7, v3, vcc
	v_mov_b32_e32 v7, 0x3b800000
	v_lshlrev_b32_e32 v3, 20, v3
	v_lshl_add_u32 v7, v10, 23, v7
	v_or3_b32 v3, v6, v7, v3
	v_cvt_f64_f32_e32 v[6:7], v3
.LBB464_1324:
	s_or_b64 exec, exec, s[20:21]
.LBB464_1325:
	s_mov_b64 s[18:19], -1
.LBB464_1326:
	s_mov_b64 s[20:21], 0
.LBB464_1327:
	s_and_b64 vcc, exec, s[20:21]
	s_cbranch_vccz .LBB464_1358
; %bb.1328:
	s_cmp_gt_i32 s24, 22
	s_cbranch_scc0 .LBB464_1340
; %bb.1329:
	s_cmp_lt_i32 s24, 24
	s_cbranch_scc1 .LBB464_1341
; %bb.1330:
	s_cmp_gt_i32 s24, 24
	s_cbranch_scc0 .LBB464_1342
; %bb.1331:
	global_load_ubyte v3, v[4:5], off
	s_movk_i32 s2, 0x7f
	s_waitcnt vmcnt(0)
	v_cmp_lt_i16_e32 vcc, s2, v3
	s_mov_b64 s[2:3], 0
	s_and_saveexec_b64 s[18:19], vcc
	s_xor_b64 s[18:19], exec, s[18:19]
	s_cbranch_execz .LBB464_1335
; %bb.1332:
	s_movk_i32 s2, 0x80
	v_cmp_eq_u16_e32 vcc, s2, v3
	s_mov_b64 s[2:3], -1
	s_and_saveexec_b64 s[20:21], vcc
; %bb.1333:
	s_xor_b64 s[2:3], exec, -1
; %bb.1334:
	s_or_b64 exec, exec, s[20:21]
	s_and_b64 s[2:3], s[2:3], exec
.LBB464_1335:
	s_or_saveexec_b64 s[18:19], s[18:19]
	v_bfrev_b32_e32 v6, 4
	v_mov_b32_e32 v7, 0x7ff80000
	s_xor_b64 exec, exec, s[18:19]
; %bb.1336:
	v_cmp_ne_u16_e32 vcc, 0, v3
	s_andn2_b64 s[2:3], s[2:3], exec
	s_and_b64 s[20:21], vcc, exec
	v_mov_b64_e32 v[6:7], 0
	s_or_b64 s[2:3], s[2:3], s[20:21]
; %bb.1337:
	s_or_b64 exec, exec, s[18:19]
	s_and_saveexec_b64 s[18:19], s[2:3]
	s_cbranch_execz .LBB464_1339
; %bb.1338:
	v_lshlrev_b32_e32 v6, 24, v3
	v_and_b32_e32 v3, 0xffff, v3
	v_and_b32_e32 v7, 3, v3
	v_ffbh_u32_e32 v11, v7
	v_min_u32_e32 v11, 32, v11
	v_subrev_u32_e32 v13, 29, v11
	v_bfe_u32 v10, v3, 2, 5
	v_lshlrev_b32_e32 v3, v13, v3
	v_sub_u32_e32 v11, 30, v11
	v_and_b32_e32 v3, 3, v3
	v_cmp_eq_u32_e32 vcc, 0, v10
	v_and_b32_e32 v6, 0x80000000, v6
	s_nop 0
	v_cndmask_b32_e32 v10, v10, v11, vcc
	v_cndmask_b32_e32 v3, v7, v3, vcc
	v_mov_b32_e32 v7, 0x37800000
	v_lshlrev_b32_e32 v3, 21, v3
	v_lshl_add_u32 v7, v10, 23, v7
	v_or3_b32 v3, v6, v7, v3
	v_cvt_f64_f32_e32 v[6:7], v3
.LBB464_1339:
	s_or_b64 exec, exec, s[18:19]
	s_mov_b64 s[2:3], 0
	s_branch .LBB464_1343
.LBB464_1340:
	s_mov_b64 s[2:3], -1
                                        ; implicit-def: $vgpr6_vgpr7
	s_branch .LBB464_1349
.LBB464_1341:
	s_mov_b64 s[2:3], -1
                                        ; implicit-def: $vgpr6_vgpr7
	s_branch .LBB464_1346
.LBB464_1342:
	s_mov_b64 s[2:3], -1
                                        ; implicit-def: $vgpr6_vgpr7
.LBB464_1343:
	s_and_b64 vcc, exec, s[2:3]
	s_cbranch_vccz .LBB464_1345
; %bb.1344:
	global_load_ubyte v3, v[4:5], off
	s_mov_b32 s2, 0x7f800000
	s_waitcnt vmcnt(0)
	v_lshlrev_b32_e32 v3, 24, v3
	v_and_b32_e32 v6, 0x7f000000, v3
	v_ffbh_u32_e32 v7, v6
	v_min_u32_e32 v7, 32, v7
	v_sub_u32_e64 v7, v7, 4 clamp
	v_lshlrev_b32_e32 v11, v7, v6
	v_lshlrev_b32_e32 v7, 23, v7
	v_lshrrev_b32_e32 v11, 4, v11
	v_add_u32_e32 v10, 0x1000000, v6
	v_sub_u32_e32 v7, v11, v7
	v_ashrrev_i32_e32 v10, 8, v10
	v_add_u32_e32 v7, 0x3c000000, v7
	v_and_or_b32 v7, v10, s2, v7
	v_cmp_ne_u32_e32 vcc, 0, v6
	s_brev_b32 s2, 1
	s_nop 0
	v_cndmask_b32_e32 v6, 0, v7, vcc
	v_and_or_b32 v3, v3, s2, v6
	v_cvt_f64_f32_e32 v[6:7], v3
.LBB464_1345:
	s_mov_b64 s[2:3], 0
.LBB464_1346:
	s_andn2_b64 vcc, exec, s[2:3]
	s_cbranch_vccnz .LBB464_1348
; %bb.1347:
	global_load_ubyte v3, v[4:5], off
	s_movk_i32 s2, 0x7f00
	s_brev_b32 s3, 16
	s_waitcnt vmcnt(0)
	v_lshlrev_b16_e32 v6, 8, v3
	v_lshlrev_b32_e32 v3, 25, v3
	v_lshrrev_b32_e32 v7, 4, v3
	v_and_or_b32 v10, v6, s2, 0.5
	v_or_b32_e32 v7, 0x70000000, v7
	v_add_f32_e32 v10, -0.5, v10
	v_mul_f32_e32 v7, 0x7800000, v7
	v_cmp_gt_u32_e32 vcc, s3, v3
	v_bfe_i32 v6, v6, 0, 16
	s_brev_b32 s2, 1
	v_cndmask_b32_e32 v3, v7, v10, vcc
	v_and_or_b32 v3, v6, s2, v3
	v_cvt_f64_f32_e32 v[6:7], v3
.LBB464_1348:
	s_mov_b64 s[2:3], 0
	s_mov_b64 s[18:19], -1
.LBB464_1349:
	s_andn2_b64 vcc, exec, s[2:3]
	s_mov_b64 s[2:3], 0
	s_cbranch_vccnz .LBB464_1358
; %bb.1350:
	s_cmp_gt_i32 s24, 14
	s_cbranch_scc0 .LBB464_1353
; %bb.1351:
	s_cmp_eq_u32 s24, 15
	s_cbranch_scc0 .LBB464_1354
; %bb.1352:
	global_load_ushort v3, v[4:5], off
	s_mov_b64 s[0:1], 0
	s_mov_b64 s[18:19], -1
	s_waitcnt vmcnt(0)
	v_lshlrev_b32_e32 v3, 16, v3
	v_cvt_f64_f32_e32 v[6:7], v3
	s_branch .LBB464_1355
.LBB464_1353:
	s_mov_b64 s[20:21], -1
                                        ; implicit-def: $vgpr6_vgpr7
	s_branch .LBB464_1356
.LBB464_1354:
	s_mov_b64 s[0:1], -1
                                        ; implicit-def: $vgpr6_vgpr7
.LBB464_1355:
	s_mov_b64 s[20:21], 0
.LBB464_1356:
	s_and_b64 vcc, exec, s[20:21]
	s_cbranch_vccz .LBB464_1358
; %bb.1357:
	s_cmp_lg_u32 s24, 11
	s_mov_b64 s[2:3], -1
	s_cselect_b64 s[0:1], -1, 0
.LBB464_1358:
	s_and_b64 vcc, exec, s[0:1]
	s_cbranch_vccnz .LBB464_1421
; %bb.1359:
	s_andn2_b64 vcc, exec, s[2:3]
	s_cbranch_vccnz .LBB464_1361
.LBB464_1360:
	global_load_ubyte v3, v[4:5], off
	v_mov_b32_e32 v7, 0x3ff00000
	v_mov_b32_e32 v6, 0
	s_mov_b64 s[18:19], -1
	s_waitcnt vmcnt(0)
	v_cmp_ne_u16_e32 vcc, 0, v3
	s_nop 1
	v_cndmask_b32_e32 v7, 0, v7, vcc
.LBB464_1361:
	s_branch .LBB464_1289
.LBB464_1362:
	s_cmp_lt_i32 s24, 5
	s_cbranch_scc1 .LBB464_1367
; %bb.1363:
	s_cmp_lt_i32 s24, 8
	s_cbranch_scc1 .LBB464_1368
; %bb.1364:
	;; [unrolled: 3-line block ×3, first 2 shown]
	s_cmp_gt_i32 s24, 9
	s_cbranch_scc0 .LBB464_1370
; %bb.1366:
	global_load_dwordx2 v[6:7], v[4:5], off
	s_mov_b64 s[0:1], 0
	s_branch .LBB464_1371
.LBB464_1367:
	s_mov_b64 s[0:1], -1
                                        ; implicit-def: $vgpr6_vgpr7
	s_branch .LBB464_1389
.LBB464_1368:
	s_mov_b64 s[0:1], -1
                                        ; implicit-def: $vgpr6_vgpr7
	s_branch .LBB464_1377
.LBB464_1369:
	s_mov_b64 s[0:1], -1
                                        ; implicit-def: $vgpr6_vgpr7
	s_branch .LBB464_1374
.LBB464_1370:
	s_mov_b64 s[0:1], -1
                                        ; implicit-def: $vgpr6_vgpr7
.LBB464_1371:
	s_andn2_b64 vcc, exec, s[0:1]
	s_cbranch_vccnz .LBB464_1373
; %bb.1372:
	global_load_dword v3, v[4:5], off
	s_waitcnt vmcnt(0)
	v_cvt_f64_f32_e32 v[6:7], v3
.LBB464_1373:
	s_mov_b64 s[0:1], 0
.LBB464_1374:
	s_andn2_b64 vcc, exec, s[0:1]
	s_cbranch_vccnz .LBB464_1376
; %bb.1375:
	global_load_dword v3, v[4:5], off
	s_waitcnt vmcnt(0)
	v_cvt_f32_f16_e32 v3, v3
	v_cvt_f64_f32_e32 v[6:7], v3
.LBB464_1376:
	s_mov_b64 s[0:1], 0
.LBB464_1377:
	s_andn2_b64 vcc, exec, s[0:1]
	s_cbranch_vccnz .LBB464_1388
; %bb.1378:
	s_cmp_lt_i32 s24, 6
	s_cbranch_scc1 .LBB464_1381
; %bb.1379:
	s_cmp_gt_i32 s24, 6
	s_cbranch_scc0 .LBB464_1382
; %bb.1380:
	global_load_dwordx2 v[6:7], v[4:5], off
	s_mov_b64 s[0:1], 0
	s_branch .LBB464_1383
.LBB464_1381:
	s_mov_b64 s[0:1], -1
                                        ; implicit-def: $vgpr6_vgpr7
	s_branch .LBB464_1386
.LBB464_1382:
	s_mov_b64 s[0:1], -1
                                        ; implicit-def: $vgpr6_vgpr7
.LBB464_1383:
	s_andn2_b64 vcc, exec, s[0:1]
	s_cbranch_vccnz .LBB464_1385
; %bb.1384:
	global_load_dword v3, v[4:5], off
	s_waitcnt vmcnt(0)
	v_cvt_f64_f32_e32 v[6:7], v3
.LBB464_1385:
	s_mov_b64 s[0:1], 0
.LBB464_1386:
	s_andn2_b64 vcc, exec, s[0:1]
	s_cbranch_vccnz .LBB464_1388
; %bb.1387:
	global_load_ushort v3, v[4:5], off
	s_waitcnt vmcnt(0)
	v_cvt_f32_f16_e32 v3, v3
	v_cvt_f64_f32_e32 v[6:7], v3
.LBB464_1388:
	s_mov_b64 s[0:1], 0
.LBB464_1389:
	s_andn2_b64 vcc, exec, s[0:1]
	s_cbranch_vccnz .LBB464_1409
; %bb.1390:
	s_cmp_lt_i32 s24, 2
	s_cbranch_scc1 .LBB464_1394
; %bb.1391:
	s_cmp_lt_i32 s24, 3
	s_cbranch_scc1 .LBB464_1395
; %bb.1392:
	s_cmp_gt_i32 s24, 3
	s_cbranch_scc0 .LBB464_1396
; %bb.1393:
	global_load_dwordx2 v[6:7], v[4:5], off
	s_mov_b64 s[0:1], 0
	s_waitcnt vmcnt(0)
	v_cvt_f64_i32_e32 v[10:11], v7
	v_cvt_f64_u32_e32 v[6:7], v6
	v_ldexp_f64 v[10:11], v[10:11], 32
	v_add_f64 v[6:7], v[10:11], v[6:7]
	s_branch .LBB464_1397
.LBB464_1394:
	s_mov_b64 s[0:1], -1
                                        ; implicit-def: $vgpr6_vgpr7
	s_branch .LBB464_1403
.LBB464_1395:
	s_mov_b64 s[0:1], -1
                                        ; implicit-def: $vgpr6_vgpr7
	s_branch .LBB464_1400
.LBB464_1396:
	s_mov_b64 s[0:1], -1
                                        ; implicit-def: $vgpr6_vgpr7
.LBB464_1397:
	s_andn2_b64 vcc, exec, s[0:1]
	s_cbranch_vccnz .LBB464_1399
; %bb.1398:
	global_load_dword v3, v[4:5], off
	s_waitcnt vmcnt(0)
	v_cvt_f64_i32_e32 v[6:7], v3
.LBB464_1399:
	s_mov_b64 s[0:1], 0
.LBB464_1400:
	s_andn2_b64 vcc, exec, s[0:1]
	s_cbranch_vccnz .LBB464_1402
; %bb.1401:
	global_load_sshort v3, v[4:5], off
	s_waitcnt vmcnt(0)
	v_cvt_f64_i32_e32 v[6:7], v3
.LBB464_1402:
	s_mov_b64 s[0:1], 0
.LBB464_1403:
	s_andn2_b64 vcc, exec, s[0:1]
	s_cbranch_vccnz .LBB464_1409
; %bb.1404:
	s_cmp_gt_i32 s24, 0
	s_cbranch_scc0 .LBB464_1406
; %bb.1405:
	global_load_sbyte v3, v[4:5], off
	s_mov_b64 s[0:1], 0
	s_waitcnt vmcnt(0)
	v_cvt_f64_i32_e32 v[6:7], v3
	s_branch .LBB464_1407
.LBB464_1406:
	s_mov_b64 s[0:1], -1
                                        ; implicit-def: $vgpr6_vgpr7
.LBB464_1407:
	s_andn2_b64 vcc, exec, s[0:1]
	s_cbranch_vccnz .LBB464_1409
; %bb.1408:
	global_load_ubyte v3, v[4:5], off
	s_waitcnt vmcnt(0)
	v_cvt_f64_u32_e32 v[6:7], v3
.LBB464_1409:
.LBB464_1410:
	v_add_u32_e32 v2, s9, v2
	v_ashrrev_i32_e32 v3, 31, v2
	s_cmp_lt_i32 s24, 11
	v_lshl_add_u64 v[2:3], s[6:7], 0, v[2:3]
	s_cbranch_scc1 .LBB464_1417
; %bb.1411:
	s_cmp_gt_i32 s24, 25
	s_mov_b64 s[2:3], 0
	s_cbranch_scc0 .LBB464_1418
; %bb.1412:
	s_cmp_gt_i32 s24, 28
	s_cbranch_scc0 .LBB464_1419
; %bb.1413:
	s_cmp_gt_i32 s24, 43
	;; [unrolled: 3-line block ×3, first 2 shown]
	s_cbranch_scc0 .LBB464_1422
; %bb.1415:
	s_cmp_eq_u32 s24, 46
	s_mov_b64 s[18:19], 0
	s_cbranch_scc0 .LBB464_1423
; %bb.1416:
	global_load_dword v4, v[2:3], off
	s_mov_b64 s[0:1], 0
	s_mov_b64 s[6:7], -1
	s_waitcnt vmcnt(0)
	v_lshlrev_b32_e32 v4, 16, v4
	v_cvt_f64_f32_e32 v[4:5], v4
	s_branch .LBB464_1424
.LBB464_1417:
	s_mov_b64 s[0:1], -1
	s_mov_b64 s[6:7], 0
                                        ; implicit-def: $vgpr4_vgpr5
	s_branch .LBB464_1490
.LBB464_1418:
	s_mov_b64 s[18:19], -1
	s_mov_b64 s[6:7], 0
	s_mov_b64 s[0:1], 0
                                        ; implicit-def: $vgpr4_vgpr5
	s_branch .LBB464_1455
.LBB464_1419:
	s_mov_b64 s[18:19], -1
	s_mov_b64 s[6:7], 0
	s_mov_b64 s[0:1], 0
                                        ; implicit-def: $vgpr4_vgpr5
	s_branch .LBB464_1434
.LBB464_1420:
	s_mov_b64 s[18:19], -1
	s_mov_b64 s[6:7], 0
	s_mov_b64 s[0:1], 0
                                        ; implicit-def: $vgpr4_vgpr5
	s_branch .LBB464_1429
.LBB464_1421:
	s_trap 2
	s_or_b64 s[16:17], s[16:17], exec
	s_cbranch_execz .LBB464_1360
	s_branch .LBB464_1361
.LBB464_1422:
	s_mov_b64 s[18:19], -1
	s_mov_b64 s[6:7], 0
	s_mov_b64 s[0:1], 0
                                        ; implicit-def: $vgpr4_vgpr5
	s_branch .LBB464_1424
.LBB464_1423:
	s_mov_b64 s[0:1], -1
                                        ; implicit-def: $vgpr4_vgpr5
	s_mov_b64 s[6:7], 0
.LBB464_1424:
	s_and_b64 vcc, exec, s[18:19]
	s_cbranch_vccz .LBB464_1428
; %bb.1425:
	s_cmp_eq_u32 s24, 44
	s_cbranch_scc0 .LBB464_1427
; %bb.1426:
	global_load_ubyte v10, v[2:3], off
	s_movk_i32 s6, 0xff
	v_bfrev_b32_e32 v11, 4
	v_mov_b32_e32 v13, 0x7ff80000
	v_bfrev_b32_e32 v14, 28
	s_mov_b64 s[0:1], 0
	s_waitcnt vmcnt(0)
	v_lshlrev_b32_e32 v4, 23, v10
	v_cvt_f64_f32_e32 v[4:5], v4
	v_cmp_ne_u32_e32 vcc, s6, v10
	s_mov_b64 s[6:7], -1
	s_nop 0
	v_cndmask_b32_e32 v4, v11, v4, vcc
	v_cndmask_b32_e32 v5, v13, v5, vcc
	v_cmp_ne_u32_e32 vcc, 0, v10
	s_nop 1
	v_cndmask_b32_e32 v5, v14, v5, vcc
	v_cndmask_b32_e32 v4, 0, v4, vcc
	s_branch .LBB464_1428
.LBB464_1427:
	s_mov_b64 s[0:1], -1
                                        ; implicit-def: $vgpr4_vgpr5
.LBB464_1428:
	s_mov_b64 s[18:19], 0
.LBB464_1429:
	s_and_b64 vcc, exec, s[18:19]
	s_cbranch_vccz .LBB464_1433
; %bb.1430:
	s_cmp_eq_u32 s24, 29
	s_cbranch_scc0 .LBB464_1432
; %bb.1431:
	global_load_dwordx2 v[4:5], v[2:3], off
	s_mov_b64 s[0:1], 0
	s_mov_b64 s[6:7], -1
	s_mov_b64 s[18:19], 0
	s_waitcnt vmcnt(0)
	v_cvt_f64_u32_e32 v[10:11], v5
	v_cvt_f64_u32_e32 v[4:5], v4
	v_ldexp_f64 v[10:11], v[10:11], 32
	v_add_f64 v[4:5], v[10:11], v[4:5]
	s_branch .LBB464_1434
.LBB464_1432:
	s_mov_b64 s[0:1], -1
                                        ; implicit-def: $vgpr4_vgpr5
.LBB464_1433:
	s_mov_b64 s[18:19], 0
.LBB464_1434:
	s_and_b64 vcc, exec, s[18:19]
	s_cbranch_vccz .LBB464_1454
; %bb.1435:
	s_cmp_lt_i32 s24, 27
	s_cbranch_scc1 .LBB464_1438
; %bb.1436:
	s_cmp_gt_i32 s24, 27
	s_cbranch_scc0 .LBB464_1439
; %bb.1437:
	global_load_dword v4, v[2:3], off
	s_mov_b64 s[6:7], 0
	s_waitcnt vmcnt(0)
	v_cvt_f64_u32_e32 v[4:5], v4
	s_branch .LBB464_1440
.LBB464_1438:
	s_mov_b64 s[6:7], -1
                                        ; implicit-def: $vgpr4_vgpr5
	s_branch .LBB464_1443
.LBB464_1439:
	s_mov_b64 s[6:7], -1
                                        ; implicit-def: $vgpr4_vgpr5
.LBB464_1440:
	s_andn2_b64 vcc, exec, s[6:7]
	s_cbranch_vccnz .LBB464_1442
; %bb.1441:
	global_load_ushort v4, v[2:3], off
	s_waitcnt vmcnt(0)
	v_cvt_f64_u32_e32 v[4:5], v4
.LBB464_1442:
	s_mov_b64 s[6:7], 0
.LBB464_1443:
	s_andn2_b64 vcc, exec, s[6:7]
	s_cbranch_vccnz .LBB464_1453
; %bb.1444:
	global_load_ubyte v10, v[2:3], off
	s_movk_i32 s6, 0x7f
	s_waitcnt vmcnt(0)
	v_cmp_lt_i16_e32 vcc, s6, v10
	s_mov_b64 s[6:7], 0
	s_and_saveexec_b64 s[18:19], vcc
	s_xor_b64 s[18:19], exec, s[18:19]
	s_cbranch_execz .LBB464_1448
; %bb.1445:
	s_movk_i32 s6, 0x80
	v_cmp_eq_u16_e32 vcc, s6, v10
	s_mov_b64 s[6:7], -1
	s_and_saveexec_b64 s[20:21], vcc
; %bb.1446:
	s_xor_b64 s[6:7], exec, -1
; %bb.1447:
	s_or_b64 exec, exec, s[20:21]
	s_and_b64 s[6:7], s[6:7], exec
.LBB464_1448:
	s_or_saveexec_b64 s[18:19], s[18:19]
	v_bfrev_b32_e32 v4, 4
	v_mov_b32_e32 v5, 0x7ff80000
	s_xor_b64 exec, exec, s[18:19]
; %bb.1449:
	v_cmp_ne_u16_e32 vcc, 0, v10
	s_andn2_b64 s[6:7], s[6:7], exec
	s_and_b64 s[20:21], vcc, exec
	v_mov_b64_e32 v[4:5], 0
	s_or_b64 s[6:7], s[6:7], s[20:21]
; %bb.1450:
	s_or_b64 exec, exec, s[18:19]
	s_and_saveexec_b64 s[18:19], s[6:7]
	s_cbranch_execz .LBB464_1452
; %bb.1451:
	v_and_b32_e32 v5, 0xffff, v10
	v_lshlrev_b32_e32 v4, 24, v10
	v_and_b32_e32 v10, 7, v5
	v_ffbh_u32_e32 v13, v10
	v_min_u32_e32 v13, 32, v13
	v_subrev_u32_e32 v14, 28, v13
	v_bfe_u32 v11, v5, 3, 4
	v_lshlrev_b32_e32 v5, v14, v5
	v_sub_u32_e32 v13, 29, v13
	v_and_b32_e32 v5, 7, v5
	v_cmp_eq_u32_e32 vcc, 0, v11
	v_and_b32_e32 v4, 0x80000000, v4
	s_nop 0
	v_cndmask_b32_e32 v11, v11, v13, vcc
	v_cndmask_b32_e32 v5, v10, v5, vcc
	v_mov_b32_e32 v10, 0x3b800000
	v_lshlrev_b32_e32 v5, 20, v5
	v_lshl_add_u32 v10, v11, 23, v10
	v_or3_b32 v4, v4, v10, v5
	v_cvt_f64_f32_e32 v[4:5], v4
.LBB464_1452:
	s_or_b64 exec, exec, s[18:19]
.LBB464_1453:
	s_mov_b64 s[6:7], -1
.LBB464_1454:
	s_mov_b64 s[18:19], 0
.LBB464_1455:
	s_and_b64 vcc, exec, s[18:19]
	s_cbranch_vccz .LBB464_1486
; %bb.1456:
	s_cmp_gt_i32 s24, 22
	s_cbranch_scc0 .LBB464_1468
; %bb.1457:
	s_cmp_lt_i32 s24, 24
	s_cbranch_scc1 .LBB464_1469
; %bb.1458:
	s_cmp_gt_i32 s24, 24
	s_cbranch_scc0 .LBB464_1470
; %bb.1459:
	global_load_ubyte v10, v[2:3], off
	s_movk_i32 s2, 0x7f
	s_waitcnt vmcnt(0)
	v_cmp_lt_i16_e32 vcc, s2, v10
	s_mov_b64 s[2:3], 0
	s_and_saveexec_b64 s[6:7], vcc
	s_xor_b64 s[6:7], exec, s[6:7]
	s_cbranch_execz .LBB464_1463
; %bb.1460:
	s_movk_i32 s2, 0x80
	v_cmp_eq_u16_e32 vcc, s2, v10
	s_mov_b64 s[2:3], -1
	s_and_saveexec_b64 s[18:19], vcc
; %bb.1461:
	s_xor_b64 s[2:3], exec, -1
; %bb.1462:
	s_or_b64 exec, exec, s[18:19]
	s_and_b64 s[2:3], s[2:3], exec
.LBB464_1463:
	s_or_saveexec_b64 s[6:7], s[6:7]
	v_bfrev_b32_e32 v4, 4
	v_mov_b32_e32 v5, 0x7ff80000
	s_xor_b64 exec, exec, s[6:7]
; %bb.1464:
	v_cmp_ne_u16_e32 vcc, 0, v10
	s_andn2_b64 s[2:3], s[2:3], exec
	s_and_b64 s[18:19], vcc, exec
	v_mov_b64_e32 v[4:5], 0
	s_or_b64 s[2:3], s[2:3], s[18:19]
; %bb.1465:
	s_or_b64 exec, exec, s[6:7]
	s_and_saveexec_b64 s[6:7], s[2:3]
	s_cbranch_execz .LBB464_1467
; %bb.1466:
	v_and_b32_e32 v5, 0xffff, v10
	v_lshlrev_b32_e32 v4, 24, v10
	v_and_b32_e32 v10, 3, v5
	v_ffbh_u32_e32 v13, v10
	v_min_u32_e32 v13, 32, v13
	v_subrev_u32_e32 v14, 29, v13
	v_bfe_u32 v11, v5, 2, 5
	v_lshlrev_b32_e32 v5, v14, v5
	v_sub_u32_e32 v13, 30, v13
	v_and_b32_e32 v5, 3, v5
	v_cmp_eq_u32_e32 vcc, 0, v11
	v_and_b32_e32 v4, 0x80000000, v4
	s_nop 0
	v_cndmask_b32_e32 v11, v11, v13, vcc
	v_cndmask_b32_e32 v5, v10, v5, vcc
	v_mov_b32_e32 v10, 0x37800000
	v_lshlrev_b32_e32 v5, 21, v5
	v_lshl_add_u32 v10, v11, 23, v10
	v_or3_b32 v4, v4, v10, v5
	v_cvt_f64_f32_e32 v[4:5], v4
.LBB464_1467:
	s_or_b64 exec, exec, s[6:7]
	s_mov_b64 s[2:3], 0
	s_branch .LBB464_1471
.LBB464_1468:
	s_mov_b64 s[2:3], -1
                                        ; implicit-def: $vgpr4_vgpr5
	s_branch .LBB464_1477
.LBB464_1469:
	s_mov_b64 s[2:3], -1
                                        ; implicit-def: $vgpr4_vgpr5
	s_branch .LBB464_1474
.LBB464_1470:
	s_mov_b64 s[2:3], -1
                                        ; implicit-def: $vgpr4_vgpr5
.LBB464_1471:
	s_and_b64 vcc, exec, s[2:3]
	s_cbranch_vccz .LBB464_1473
; %bb.1472:
	global_load_ubyte v4, v[2:3], off
	s_mov_b32 s2, 0x7f800000
	s_waitcnt vmcnt(0)
	v_lshlrev_b32_e32 v4, 24, v4
	v_and_b32_e32 v5, 0x7f000000, v4
	v_ffbh_u32_e32 v10, v5
	v_min_u32_e32 v10, 32, v10
	v_sub_u32_e64 v10, v10, 4 clamp
	v_lshlrev_b32_e32 v13, v10, v5
	v_lshlrev_b32_e32 v10, 23, v10
	v_lshrrev_b32_e32 v13, 4, v13
	v_add_u32_e32 v11, 0x1000000, v5
	v_sub_u32_e32 v10, v13, v10
	v_ashrrev_i32_e32 v11, 8, v11
	v_add_u32_e32 v10, 0x3c000000, v10
	v_and_or_b32 v10, v11, s2, v10
	v_cmp_ne_u32_e32 vcc, 0, v5
	s_brev_b32 s2, 1
	s_nop 0
	v_cndmask_b32_e32 v5, 0, v10, vcc
	v_and_or_b32 v4, v4, s2, v5
	v_cvt_f64_f32_e32 v[4:5], v4
.LBB464_1473:
	s_mov_b64 s[2:3], 0
.LBB464_1474:
	s_andn2_b64 vcc, exec, s[2:3]
	s_cbranch_vccnz .LBB464_1476
; %bb.1475:
	global_load_ubyte v4, v[2:3], off
	s_movk_i32 s2, 0x7f00
	s_brev_b32 s3, 16
	s_waitcnt vmcnt(0)
	v_lshlrev_b16_e32 v5, 8, v4
	v_lshlrev_b32_e32 v4, 25, v4
	v_lshrrev_b32_e32 v10, 4, v4
	v_and_or_b32 v11, v5, s2, 0.5
	v_or_b32_e32 v10, 0x70000000, v10
	v_add_f32_e32 v11, -0.5, v11
	v_mul_f32_e32 v10, 0x7800000, v10
	v_cmp_gt_u32_e32 vcc, s3, v4
	v_bfe_i32 v5, v5, 0, 16
	s_brev_b32 s2, 1
	v_cndmask_b32_e32 v4, v10, v11, vcc
	v_and_or_b32 v4, v5, s2, v4
	v_cvt_f64_f32_e32 v[4:5], v4
.LBB464_1476:
	s_mov_b64 s[2:3], 0
	s_mov_b64 s[6:7], -1
.LBB464_1477:
	s_andn2_b64 vcc, exec, s[2:3]
	s_mov_b64 s[2:3], 0
	s_cbranch_vccnz .LBB464_1486
; %bb.1478:
	s_cmp_gt_i32 s24, 14
	s_cbranch_scc0 .LBB464_1481
; %bb.1479:
	s_cmp_eq_u32 s24, 15
	s_cbranch_scc0 .LBB464_1482
; %bb.1480:
	global_load_ushort v4, v[2:3], off
	s_mov_b64 s[0:1], 0
	s_mov_b64 s[6:7], -1
	s_waitcnt vmcnt(0)
	v_lshlrev_b32_e32 v4, 16, v4
	v_cvt_f64_f32_e32 v[4:5], v4
	s_branch .LBB464_1483
.LBB464_1481:
	s_mov_b64 s[18:19], -1
                                        ; implicit-def: $vgpr4_vgpr5
	s_branch .LBB464_1484
.LBB464_1482:
	s_mov_b64 s[0:1], -1
                                        ; implicit-def: $vgpr4_vgpr5
.LBB464_1483:
	s_mov_b64 s[18:19], 0
.LBB464_1484:
	s_and_b64 vcc, exec, s[18:19]
	s_cbranch_vccz .LBB464_1486
; %bb.1485:
	s_cmp_lg_u32 s24, 11
	s_mov_b64 s[2:3], -1
	s_cselect_b64 s[0:1], -1, 0
.LBB464_1486:
	s_and_b64 vcc, exec, s[0:1]
	s_cbranch_vccnz .LBB464_2019
; %bb.1487:
	s_andn2_b64 vcc, exec, s[2:3]
	s_cbranch_vccnz .LBB464_1489
.LBB464_1488:
	global_load_ubyte v5, v[2:3], off
	v_mov_b32_e32 v10, 0x3ff00000
	v_mov_b32_e32 v4, 0
	s_mov_b64 s[6:7], -1
	s_waitcnt vmcnt(0)
	v_cmp_ne_u16_e32 vcc, 0, v5
	s_nop 1
	v_cndmask_b32_e32 v5, 0, v10, vcc
.LBB464_1489:
	s_mov_b64 s[0:1], 0
.LBB464_1490:
	s_and_b64 vcc, exec, s[0:1]
	s_cbranch_vccz .LBB464_1539
; %bb.1491:
	s_cmp_lt_i32 s24, 5
	s_cbranch_scc1 .LBB464_1496
; %bb.1492:
	s_cmp_lt_i32 s24, 8
	s_cbranch_scc1 .LBB464_1497
	;; [unrolled: 3-line block ×3, first 2 shown]
; %bb.1494:
	s_cmp_gt_i32 s24, 9
	s_cbranch_scc0 .LBB464_1499
; %bb.1495:
	global_load_dwordx2 v[4:5], v[2:3], off
	s_mov_b64 s[0:1], 0
	s_branch .LBB464_1500
.LBB464_1496:
	s_mov_b64 s[0:1], -1
                                        ; implicit-def: $vgpr4_vgpr5
	s_branch .LBB464_1518
.LBB464_1497:
	s_mov_b64 s[0:1], -1
                                        ; implicit-def: $vgpr4_vgpr5
	s_branch .LBB464_1506
.LBB464_1498:
	s_mov_b64 s[0:1], -1
                                        ; implicit-def: $vgpr4_vgpr5
	s_branch .LBB464_1503
.LBB464_1499:
	s_mov_b64 s[0:1], -1
                                        ; implicit-def: $vgpr4_vgpr5
.LBB464_1500:
	s_andn2_b64 vcc, exec, s[0:1]
	s_cbranch_vccnz .LBB464_1502
; %bb.1501:
	global_load_dword v4, v[2:3], off
	s_waitcnt vmcnt(0)
	v_cvt_f64_f32_e32 v[4:5], v4
.LBB464_1502:
	s_mov_b64 s[0:1], 0
.LBB464_1503:
	s_andn2_b64 vcc, exec, s[0:1]
	s_cbranch_vccnz .LBB464_1505
; %bb.1504:
	global_load_dword v4, v[2:3], off
	s_waitcnt vmcnt(0)
	v_cvt_f32_f16_e32 v4, v4
	v_cvt_f64_f32_e32 v[4:5], v4
.LBB464_1505:
	s_mov_b64 s[0:1], 0
.LBB464_1506:
	s_andn2_b64 vcc, exec, s[0:1]
	s_cbranch_vccnz .LBB464_1517
; %bb.1507:
	s_cmp_lt_i32 s24, 6
	s_cbranch_scc1 .LBB464_1510
; %bb.1508:
	s_cmp_gt_i32 s24, 6
	s_cbranch_scc0 .LBB464_1511
; %bb.1509:
	global_load_dwordx2 v[4:5], v[2:3], off
	s_mov_b64 s[0:1], 0
	s_branch .LBB464_1512
.LBB464_1510:
	s_mov_b64 s[0:1], -1
                                        ; implicit-def: $vgpr4_vgpr5
	s_branch .LBB464_1515
.LBB464_1511:
	s_mov_b64 s[0:1], -1
                                        ; implicit-def: $vgpr4_vgpr5
.LBB464_1512:
	s_andn2_b64 vcc, exec, s[0:1]
	s_cbranch_vccnz .LBB464_1514
; %bb.1513:
	global_load_dword v4, v[2:3], off
	s_waitcnt vmcnt(0)
	v_cvt_f64_f32_e32 v[4:5], v4
.LBB464_1514:
	s_mov_b64 s[0:1], 0
.LBB464_1515:
	s_andn2_b64 vcc, exec, s[0:1]
	s_cbranch_vccnz .LBB464_1517
; %bb.1516:
	global_load_ushort v4, v[2:3], off
	s_waitcnt vmcnt(0)
	v_cvt_f32_f16_e32 v4, v4
	v_cvt_f64_f32_e32 v[4:5], v4
.LBB464_1517:
	s_mov_b64 s[0:1], 0
.LBB464_1518:
	s_andn2_b64 vcc, exec, s[0:1]
	s_cbranch_vccnz .LBB464_1538
; %bb.1519:
	s_cmp_lt_i32 s24, 2
	s_cbranch_scc1 .LBB464_1523
; %bb.1520:
	s_cmp_lt_i32 s24, 3
	s_cbranch_scc1 .LBB464_1524
; %bb.1521:
	s_cmp_gt_i32 s24, 3
	s_cbranch_scc0 .LBB464_1525
; %bb.1522:
	global_load_dwordx2 v[4:5], v[2:3], off
	s_mov_b64 s[0:1], 0
	s_waitcnt vmcnt(0)
	v_cvt_f64_i32_e32 v[10:11], v5
	v_cvt_f64_u32_e32 v[4:5], v4
	v_ldexp_f64 v[10:11], v[10:11], 32
	v_add_f64 v[4:5], v[10:11], v[4:5]
	s_branch .LBB464_1526
.LBB464_1523:
	s_mov_b64 s[0:1], -1
                                        ; implicit-def: $vgpr4_vgpr5
	s_branch .LBB464_1532
.LBB464_1524:
	s_mov_b64 s[0:1], -1
                                        ; implicit-def: $vgpr4_vgpr5
	s_branch .LBB464_1529
.LBB464_1525:
	s_mov_b64 s[0:1], -1
                                        ; implicit-def: $vgpr4_vgpr5
.LBB464_1526:
	s_andn2_b64 vcc, exec, s[0:1]
	s_cbranch_vccnz .LBB464_1528
; %bb.1527:
	global_load_dword v4, v[2:3], off
	s_waitcnt vmcnt(0)
	v_cvt_f64_i32_e32 v[4:5], v4
.LBB464_1528:
	s_mov_b64 s[0:1], 0
.LBB464_1529:
	s_andn2_b64 vcc, exec, s[0:1]
	s_cbranch_vccnz .LBB464_1531
; %bb.1530:
	global_load_sshort v4, v[2:3], off
	s_waitcnt vmcnt(0)
	v_cvt_f64_i32_e32 v[4:5], v4
.LBB464_1531:
	s_mov_b64 s[0:1], 0
.LBB464_1532:
	s_andn2_b64 vcc, exec, s[0:1]
	s_cbranch_vccnz .LBB464_1538
; %bb.1533:
	s_cmp_gt_i32 s24, 0
	s_cbranch_scc0 .LBB464_1535
; %bb.1534:
	global_load_sbyte v4, v[2:3], off
	s_mov_b64 s[0:1], 0
	s_waitcnt vmcnt(0)
	v_cvt_f64_i32_e32 v[4:5], v4
	s_branch .LBB464_1536
.LBB464_1535:
	s_mov_b64 s[0:1], -1
                                        ; implicit-def: $vgpr4_vgpr5
.LBB464_1536:
	s_andn2_b64 vcc, exec, s[0:1]
	s_cbranch_vccnz .LBB464_1538
; %bb.1537:
	global_load_ubyte v2, v[2:3], off
	s_waitcnt vmcnt(0)
	v_cvt_f64_u32_e32 v[4:5], v2
.LBB464_1538:
	s_mov_b64 s[6:7], -1
.LBB464_1539:
	s_andn2_b64 vcc, exec, s[6:7]
	s_cbranch_vccnz .LBB464_1973
; %bb.1540:
	v_max_f64 v[10:11], s[10:11], s[10:11]
	s_waitcnt vmcnt(0)
	v_max_f64 v[2:3], v[0:1], v[0:1]
	v_mul_lo_u32 v12, s8, v12
	v_min_f64 v[2:3], v[2:3], v[10:11]
	v_cmp_u_f64_e32 vcc, v[0:1], v[0:1]
	v_ashrrev_i32_e32 v13, 31, v12
	s_and_b32 s20, s33, 0xff
	v_cndmask_b32_e32 v1, v3, v1, vcc
	v_cndmask_b32_e32 v0, v2, v0, vcc
	s_cmp_lt_i32 s20, 11
	v_lshl_add_u64 v[14:15], s[4:5], 0, v[12:13]
	s_cbranch_scc1 .LBB464_1618
; %bb.1541:
	s_and_b32 s9, 0xffff, s20
	s_mov_b64 s[10:11], -1
	s_mov_b64 s[2:3], 0
	s_cmp_gt_i32 s9, 25
	s_mov_b64 s[6:7], 0
	s_mov_b64 s[0:1], 0
	s_cbranch_scc0 .LBB464_1574
; %bb.1542:
	s_cmp_gt_i32 s9, 28
	s_cbranch_scc0 .LBB464_1557
; %bb.1543:
	s_cmp_gt_i32 s9, 43
	;; [unrolled: 3-line block ×3, first 2 shown]
	s_cbranch_scc0 .LBB464_1547
; %bb.1545:
	s_mov_b64 s[0:1], -1
	s_mov_b64 s[10:11], 0
	s_cmp_eq_u32 s9, 46
	s_cbranch_scc0 .LBB464_1547
; %bb.1546:
	v_cvt_f32_f64_e32 v2, v[0:1]
	v_bfe_u32 v3, v2, 16, 1
	s_movk_i32 s0, 0x7fff
	v_add3_u32 v3, v2, v3, s0
	v_cmp_o_f32_e32 vcc, v2, v2
	v_mov_b32_e32 v2, 0x7fc0
	s_mov_b64 s[0:1], 0
	v_cndmask_b32_sdwa v2, v2, v3, vcc dst_sel:DWORD dst_unused:UNUSED_PAD src0_sel:DWORD src1_sel:WORD_1
	global_store_dword v[14:15], v2, off
	s_mov_b64 s[6:7], -1
.LBB464_1547:
	s_and_b64 vcc, exec, s[10:11]
	s_cbranch_vccz .LBB464_1552
; %bb.1548:
	s_cmp_eq_u32 s9, 44
	s_mov_b64 s[0:1], -1
	s_cbranch_scc0 .LBB464_1552
; %bb.1549:
	v_cvt_f32_f64_e32 v2, v[0:1]
	v_bfe_u32 v3, v2, 23, 8
	s_movk_i32 s0, 0xff
	v_cmp_ne_u32_e32 vcc, s0, v3
	v_mov_b32_e32 v13, 0xff
	s_and_saveexec_b64 s[6:7], vcc
; %bb.1550:
	s_mov_b32 s0, 0x3fffff
	v_lshrrev_b32_e32 v13, 23, v2
	v_and_b32_e32 v16, 0x400000, v2
	v_and_or_b32 v2, v2, s0, v3
	v_cmp_ne_u32_e32 vcc, 0, v16
	v_cmp_ne_u32_e64 s[0:1], 0, v2
	s_and_b64 s[0:1], vcc, s[0:1]
	s_nop 0
	v_cndmask_b32_e64 v2, 0, 1, s[0:1]
	v_add_u32_e32 v13, v13, v2
; %bb.1551:
	s_or_b64 exec, exec, s[6:7]
	s_mov_b64 s[0:1], 0
	s_mov_b64 s[6:7], -1
	global_store_byte v[14:15], v13, off
.LBB464_1552:
	s_mov_b64 s[10:11], 0
.LBB464_1553:
	s_and_b64 vcc, exec, s[10:11]
	s_cbranch_vccz .LBB464_1556
; %bb.1554:
	s_cmp_eq_u32 s9, 29
	s_mov_b64 s[0:1], -1
	s_cbranch_scc0 .LBB464_1556
; %bb.1555:
	v_trunc_f64_e32 v[2:3], v[0:1]
	s_movk_i32 s0, 0xffe0
	v_ldexp_f64 v[16:17], v[2:3], s0
	v_floor_f64_e32 v[16:17], v[16:17]
	v_fmac_f64_e32 v[2:3], 0xc1f00000, v[16:17]
	v_cvt_u32_f64_e32 v19, v[16:17]
	v_cvt_u32_f64_e32 v18, v[2:3]
	global_store_dwordx2 v[14:15], v[18:19], off
	s_mov_b64 s[0:1], 0
	s_mov_b64 s[6:7], -1
.LBB464_1556:
	s_mov_b64 s[10:11], 0
.LBB464_1557:
	s_and_b64 vcc, exec, s[10:11]
	s_cbranch_vccz .LBB464_1573
; %bb.1558:
	s_cmp_lt_i32 s9, 27
	s_mov_b64 s[6:7], -1
	s_cbranch_scc1 .LBB464_1564
; %bb.1559:
	s_cmp_gt_i32 s9, 27
	v_cvt_u32_f64_e32 v2, v[0:1]
	s_cbranch_scc0 .LBB464_1561
; %bb.1560:
	s_mov_b64 s[6:7], 0
	global_store_dword v[14:15], v2, off
.LBB464_1561:
	s_andn2_b64 vcc, exec, s[6:7]
	s_cbranch_vccnz .LBB464_1563
; %bb.1562:
	global_store_short v[14:15], v2, off
.LBB464_1563:
	s_mov_b64 s[6:7], 0
.LBB464_1564:
	s_andn2_b64 vcc, exec, s[6:7]
	s_cbranch_vccnz .LBB464_1572
; %bb.1565:
	v_cvt_f32_f64_e32 v2, v[0:1]
	v_and_b32_e32 v3, 0x7fffffff, v2
	s_mov_b32 s6, 0x43800000
	v_cmp_gt_u32_e32 vcc, s6, v3
	v_mov_b32_e32 v13, 0x80
	s_and_saveexec_b64 s[6:7], vcc
	s_cbranch_execz .LBB464_1571
; %bb.1566:
	s_mov_b32 s10, 0x3bffffff
	v_cmp_lt_u32_e32 vcc, s10, v3
	s_mov_b64 s[10:11], 0
                                        ; implicit-def: $vgpr3
	s_and_saveexec_b64 s[18:19], vcc
	s_xor_b64 s[18:19], exec, s[18:19]
	s_cbranch_execz .LBB464_2020
; %bb.1567:
	v_bfe_u32 v3, v2, 20, 1
	s_mov_b32 s21, 0x487ffff
	v_add3_u32 v3, v2, v3, s21
	s_mov_b64 s[10:11], exec
	v_lshrrev_b32_e32 v3, 20, v3
	s_andn2_saveexec_b64 s[18:19], s[18:19]
	s_cbranch_execnz .LBB464_2021
.LBB464_1568:
	s_or_b64 exec, exec, s[18:19]
	v_mov_b32_e32 v13, 0
	s_and_saveexec_b64 s[18:19], s[10:11]
.LBB464_1569:
	v_lshrrev_b32_e32 v2, 24, v2
	s_movk_i32 s10, 0x80
	v_and_or_b32 v13, v2, s10, v3
.LBB464_1570:
	s_or_b64 exec, exec, s[18:19]
.LBB464_1571:
	s_or_b64 exec, exec, s[6:7]
	global_store_byte v[14:15], v13, off
.LBB464_1572:
	s_mov_b64 s[6:7], -1
.LBB464_1573:
	s_mov_b64 s[10:11], 0
.LBB464_1574:
	s_and_b64 vcc, exec, s[10:11]
	s_cbranch_vccz .LBB464_1614
; %bb.1575:
	s_cmp_gt_i32 s9, 22
	s_mov_b64 s[2:3], -1
	s_cbranch_scc0 .LBB464_1607
; %bb.1576:
	s_cmp_lt_i32 s9, 24
	s_cbranch_scc1 .LBB464_1596
; %bb.1577:
	s_cmp_gt_i32 s9, 24
	s_cbranch_scc0 .LBB464_1585
; %bb.1578:
	v_cvt_f32_f64_e32 v2, v[0:1]
	v_and_b32_e32 v3, 0x7fffffff, v2
	s_mov_b32 s2, 0x47800000
	v_cmp_gt_u32_e32 vcc, s2, v3
	v_mov_b32_e32 v13, 0x80
	s_and_saveexec_b64 s[2:3], vcc
	s_cbranch_execz .LBB464_1584
; %bb.1579:
	s_mov_b32 s6, 0x37ffffff
	v_cmp_lt_u32_e32 vcc, s6, v3
	s_mov_b64 s[6:7], 0
                                        ; implicit-def: $vgpr3
	s_and_saveexec_b64 s[10:11], vcc
	s_xor_b64 s[10:11], exec, s[10:11]
	s_cbranch_execz .LBB464_2023
; %bb.1580:
	v_bfe_u32 v3, v2, 21, 1
	s_mov_b32 s18, 0x88fffff
	v_add3_u32 v3, v2, v3, s18
	s_mov_b64 s[6:7], exec
	v_lshrrev_b32_e32 v3, 21, v3
	s_andn2_saveexec_b64 s[10:11], s[10:11]
	s_cbranch_execnz .LBB464_2024
.LBB464_1581:
	s_or_b64 exec, exec, s[10:11]
	v_mov_b32_e32 v13, 0
	s_and_saveexec_b64 s[10:11], s[6:7]
.LBB464_1582:
	v_lshrrev_b32_e32 v2, 24, v2
	s_movk_i32 s6, 0x80
	v_and_or_b32 v13, v2, s6, v3
.LBB464_1583:
	s_or_b64 exec, exec, s[10:11]
.LBB464_1584:
	s_or_b64 exec, exec, s[2:3]
	s_mov_b64 s[2:3], 0
	global_store_byte v[14:15], v13, off
.LBB464_1585:
	s_and_b64 vcc, exec, s[2:3]
	s_cbranch_vccz .LBB464_1595
; %bb.1586:
	v_cvt_f32_f64_e32 v2, v[0:1]
	v_and_b32_e32 v13, 0x7fffffff, v2
	s_mov_b32 s2, 0x43f00000
	v_cmp_gt_u32_e32 vcc, s2, v13
                                        ; implicit-def: $vgpr3
	s_and_saveexec_b64 s[2:3], vcc
	s_xor_b64 s[2:3], exec, s[2:3]
	s_cbranch_execz .LBB464_1592
; %bb.1587:
	s_mov_b32 s6, 0x3c7fffff
	v_cmp_lt_u32_e32 vcc, s6, v13
                                        ; implicit-def: $vgpr3
	s_and_saveexec_b64 s[6:7], vcc
	s_xor_b64 s[6:7], exec, s[6:7]
; %bb.1588:
	v_bfe_u32 v3, v2, 20, 1
	s_mov_b32 s10, 0x407ffff
	v_add3_u32 v3, v2, v3, s10
	v_lshrrev_b32_e32 v13, 20, v3
	v_and_b32_e32 v3, 0xff00000, v3
	s_mov_b32 s10, 0x7f00000
	v_mov_b32_e32 v16, 0x7e
	v_cmp_ne_u32_e32 vcc, s10, v3
	s_nop 1
	v_cndmask_b32_e32 v3, v16, v13, vcc
; %bb.1589:
	s_andn2_saveexec_b64 s[6:7], s[6:7]
; %bb.1590:
	s_mov_b32 s10, 0x46800000
	v_add_f32_e64 v3, |v2|, s10
; %bb.1591:
	s_or_b64 exec, exec, s[6:7]
                                        ; implicit-def: $vgpr13
.LBB464_1592:
	s_andn2_saveexec_b64 s[2:3], s[2:3]
; %bb.1593:
	s_mov_b32 s6, 0x7f800000
	v_mov_b32_e32 v3, 0x7e
	v_mov_b32_e32 v16, 0x7f
	v_cmp_lt_u32_e32 vcc, s6, v13
	s_nop 1
	v_cndmask_b32_e32 v3, v3, v16, vcc
; %bb.1594:
	s_or_b64 exec, exec, s[2:3]
	v_lshrrev_b32_e32 v2, 24, v2
	s_movk_i32 s2, 0x80
	v_and_or_b32 v2, v2, s2, v3
	global_store_byte v[14:15], v2, off
.LBB464_1595:
	s_mov_b64 s[2:3], 0
.LBB464_1596:
	s_andn2_b64 vcc, exec, s[2:3]
	s_cbranch_vccnz .LBB464_1606
; %bb.1597:
	v_cvt_f32_f64_e32 v2, v[0:1]
	v_and_b32_e32 v13, 0x7fffffff, v2
	s_mov_b32 s2, 0x47800000
	v_cmp_gt_u32_e32 vcc, s2, v13
                                        ; implicit-def: $vgpr3
	s_and_saveexec_b64 s[2:3], vcc
	s_xor_b64 s[2:3], exec, s[2:3]
	s_cbranch_execz .LBB464_1603
; %bb.1598:
	s_mov_b32 s6, 0x387fffff
	v_cmp_lt_u32_e32 vcc, s6, v13
                                        ; implicit-def: $vgpr3
	s_and_saveexec_b64 s[6:7], vcc
	s_xor_b64 s[6:7], exec, s[6:7]
; %bb.1599:
	v_bfe_u32 v3, v2, 21, 1
	s_mov_b32 s10, 0x80fffff
	v_add3_u32 v3, v2, v3, s10
	v_lshrrev_b32_e32 v3, 21, v3
; %bb.1600:
	s_andn2_saveexec_b64 s[6:7], s[6:7]
; %bb.1601:
	s_mov_b32 s10, 0x43000000
	v_add_f32_e64 v3, |v2|, s10
; %bb.1602:
	s_or_b64 exec, exec, s[6:7]
                                        ; implicit-def: $vgpr13
.LBB464_1603:
	s_andn2_saveexec_b64 s[2:3], s[2:3]
; %bb.1604:
	s_mov_b32 s6, 0x7f800000
	v_mov_b32_e32 v3, 0x7c
	v_mov_b32_e32 v16, 0x7f
	v_cmp_lt_u32_e32 vcc, s6, v13
	s_nop 1
	v_cndmask_b32_e32 v3, v3, v16, vcc
; %bb.1605:
	s_or_b64 exec, exec, s[2:3]
	v_lshrrev_b32_e32 v2, 24, v2
	s_movk_i32 s2, 0x80
	v_and_or_b32 v2, v2, s2, v3
	global_store_byte v[14:15], v2, off
.LBB464_1606:
	s_mov_b64 s[2:3], 0
	s_mov_b64 s[6:7], -1
.LBB464_1607:
	s_andn2_b64 vcc, exec, s[2:3]
	s_mov_b64 s[2:3], 0
	s_cbranch_vccnz .LBB464_1614
; %bb.1608:
	s_cmp_gt_i32 s9, 14
	s_mov_b64 s[10:11], -1
	s_cbranch_scc0 .LBB464_1612
; %bb.1609:
	s_cmp_eq_u32 s9, 15
	s_mov_b64 s[0:1], -1
	s_cbranch_scc0 .LBB464_1611
; %bb.1610:
	v_cvt_f32_f64_e32 v2, v[0:1]
	v_bfe_u32 v3, v2, 16, 1
	s_movk_i32 s0, 0x7fff
	v_add3_u32 v3, v2, v3, s0
	v_cmp_o_f32_e32 vcc, v2, v2
	v_mov_b32_e32 v2, 0x7fc0
	s_mov_b64 s[0:1], 0
	v_cndmask_b32_sdwa v2, v2, v3, vcc dst_sel:DWORD dst_unused:UNUSED_PAD src0_sel:DWORD src1_sel:WORD_1
	global_store_short v[14:15], v2, off
	s_mov_b64 s[6:7], -1
.LBB464_1611:
	s_mov_b64 s[10:11], 0
.LBB464_1612:
	s_and_b64 vcc, exec, s[10:11]
	s_cbranch_vccz .LBB464_1614
; %bb.1613:
	s_cmp_lg_u32 s9, 11
	s_mov_b64 s[2:3], -1
	s_cselect_b64 s[0:1], -1, 0
.LBB464_1614:
	s_and_b64 vcc, exec, s[0:1]
	s_cbranch_vccnz .LBB464_2022
; %bb.1615:
	s_andn2_b64 vcc, exec, s[2:3]
	s_cbranch_vccnz .LBB464_1617
.LBB464_1616:
	v_cmp_neq_f64_e32 vcc, 0, v[0:1]
	s_mov_b64 s[6:7], -1
	s_nop 0
	v_cndmask_b32_e64 v2, 0, 1, vcc
	global_store_byte v[14:15], v2, off
.LBB464_1617:
	s_mov_b64 s[0:1], 0
	s_branch .LBB464_1619
.LBB464_1618:
	s_mov_b64 s[0:1], -1
	s_mov_b64 s[6:7], 0
.LBB464_1619:
	s_and_b64 vcc, exec, s[0:1]
	s_cbranch_vccz .LBB464_1658
; %bb.1620:
	s_and_b32 s2, 0xffff, s20
	s_cmp_lt_i32 s2, 5
	s_mov_b64 s[0:1], -1
	s_cbranch_scc1 .LBB464_1641
; %bb.1621:
	s_cmp_lt_i32 s2, 8
	s_cbranch_scc1 .LBB464_1631
; %bb.1622:
	s_cmp_lt_i32 s2, 9
	s_cbranch_scc1 .LBB464_1628
; %bb.1623:
	s_cmp_gt_i32 s2, 9
	s_cbranch_scc0 .LBB464_1625
; %bb.1624:
	v_mov_b32_e32 v2, 0
	v_mov_b32_e32 v3, v2
	global_store_dwordx4 v[14:15], v[0:3], off
	s_mov_b64 s[0:1], 0
.LBB464_1625:
	s_andn2_b64 vcc, exec, s[0:1]
	s_cbranch_vccnz .LBB464_1627
; %bb.1626:
	v_cvt_f32_f64_e32 v2, v[0:1]
	v_mov_b32_e32 v3, 0
	global_store_dwordx2 v[14:15], v[2:3], off
.LBB464_1627:
	s_mov_b64 s[0:1], 0
.LBB464_1628:
	s_andn2_b64 vcc, exec, s[0:1]
	s_cbranch_vccnz .LBB464_1630
; %bb.1629:
	s_movk_i32 s0, 0x1ff
	v_and_or_b32 v2, v1, s0, v0
	v_cmp_ne_u32_e32 vcc, 0, v2
	v_lshrrev_b32_e32 v3, 8, v1
	s_movk_i32 s0, 0xffe
	v_cndmask_b32_e64 v2, 0, 1, vcc
	v_bfe_u32 v13, v1, 20, 11
	v_and_or_b32 v2, v3, s0, v2
	v_sub_u32_e32 v16, 0x3f1, v13
	v_or_b32_e32 v3, 0x1000, v2
	v_med3_i32 v16, v16, 0, 13
	v_lshrrev_b32_e32 v17, v16, v3
	v_lshlrev_b32_e32 v16, v16, v17
	v_cmp_ne_u32_e32 vcc, v16, v3
	v_add_u32_e32 v13, 0xfffffc10, v13
	v_lshl_or_b32 v16, v13, 12, v2
	v_cndmask_b32_e64 v3, 0, 1, vcc
	v_or_b32_e32 v3, v17, v3
	v_cmp_gt_i32_e32 vcc, 1, v13
	s_movk_i32 s0, 0x40f
	s_nop 0
	v_cndmask_b32_e32 v3, v16, v3, vcc
	v_and_b32_e32 v16, 7, v3
	v_cmp_lt_i32_e32 vcc, 5, v16
	v_lshrrev_b32_e32 v3, 2, v3
	s_nop 0
	v_cndmask_b32_e64 v17, 0, 1, vcc
	v_cmp_eq_u32_e32 vcc, 3, v16
	s_nop 1
	v_cndmask_b32_e64 v16, 0, 1, vcc
	v_or_b32_e32 v16, v16, v17
	v_add_u32_e32 v3, v3, v16
	v_mov_b32_e32 v16, 0x7c00
	v_cmp_gt_i32_e32 vcc, 31, v13
	v_mov_b32_e32 v17, 0x7e00
	s_nop 0
	v_cndmask_b32_e32 v3, v16, v3, vcc
	v_cmp_ne_u32_e32 vcc, 0, v2
	s_nop 1
	v_cndmask_b32_e32 v2, v16, v17, vcc
	v_cmp_eq_u32_e32 vcc, s0, v13
	s_mov_b32 s0, 0x8000
	s_nop 0
	v_cndmask_b32_e32 v2, v3, v2, vcc
	v_and_b32_sdwa v3, v1, s0 dst_sel:DWORD dst_unused:UNUSED_PAD src0_sel:WORD_1 src1_sel:DWORD
	s_mov_b32 s0, 0xffff
	v_bitop3_b32 v2, v3, s0, v2 bitop3:0xc8
	global_store_dword v[14:15], v2, off
.LBB464_1630:
	s_mov_b64 s[0:1], 0
.LBB464_1631:
	s_andn2_b64 vcc, exec, s[0:1]
	s_cbranch_vccnz .LBB464_1640
; %bb.1632:
	s_cmp_lt_i32 s2, 6
	s_mov_b64 s[0:1], -1
	s_cbranch_scc1 .LBB464_1638
; %bb.1633:
	s_cmp_gt_i32 s2, 6
	s_cbranch_scc0 .LBB464_1635
; %bb.1634:
	global_store_dwordx2 v[14:15], v[0:1], off
	s_mov_b64 s[0:1], 0
.LBB464_1635:
	s_andn2_b64 vcc, exec, s[0:1]
	s_cbranch_vccnz .LBB464_1637
; %bb.1636:
	v_cvt_f32_f64_e32 v2, v[0:1]
	global_store_dword v[14:15], v2, off
.LBB464_1637:
	s_mov_b64 s[0:1], 0
.LBB464_1638:
	s_andn2_b64 vcc, exec, s[0:1]
	s_cbranch_vccnz .LBB464_1640
; %bb.1639:
	s_movk_i32 s0, 0x1ff
	v_and_or_b32 v2, v1, s0, v0
	v_cmp_ne_u32_e32 vcc, 0, v2
	v_lshrrev_b32_e32 v3, 8, v1
	s_movk_i32 s0, 0xffe
	v_cndmask_b32_e64 v2, 0, 1, vcc
	v_bfe_u32 v13, v1, 20, 11
	v_and_or_b32 v2, v3, s0, v2
	v_sub_u32_e32 v16, 0x3f1, v13
	v_or_b32_e32 v3, 0x1000, v2
	v_med3_i32 v16, v16, 0, 13
	v_lshrrev_b32_e32 v17, v16, v3
	v_lshlrev_b32_e32 v16, v16, v17
	v_cmp_ne_u32_e32 vcc, v16, v3
	v_add_u32_e32 v13, 0xfffffc10, v13
	v_lshl_or_b32 v16, v13, 12, v2
	v_cndmask_b32_e64 v3, 0, 1, vcc
	v_or_b32_e32 v3, v17, v3
	v_cmp_gt_i32_e32 vcc, 1, v13
	s_movk_i32 s0, 0x40f
	s_nop 0
	v_cndmask_b32_e32 v3, v16, v3, vcc
	v_and_b32_e32 v16, 7, v3
	v_cmp_lt_i32_e32 vcc, 5, v16
	v_lshrrev_b32_e32 v3, 2, v3
	s_nop 0
	v_cndmask_b32_e64 v17, 0, 1, vcc
	v_cmp_eq_u32_e32 vcc, 3, v16
	s_nop 1
	v_cndmask_b32_e64 v16, 0, 1, vcc
	v_or_b32_e32 v16, v16, v17
	v_add_u32_e32 v3, v3, v16
	v_mov_b32_e32 v16, 0x7c00
	v_cmp_gt_i32_e32 vcc, 31, v13
	v_mov_b32_e32 v17, 0x7e00
	s_nop 0
	v_cndmask_b32_e32 v3, v16, v3, vcc
	v_cmp_ne_u32_e32 vcc, 0, v2
	s_nop 1
	v_cndmask_b32_e32 v2, v16, v17, vcc
	v_cmp_eq_u32_e32 vcc, s0, v13
	s_mov_b32 s0, 0x8000
	s_nop 0
	v_cndmask_b32_e32 v2, v3, v2, vcc
	v_lshrrev_b32_e32 v3, 16, v1
	v_and_or_b32 v2, v3, s0, v2
	global_store_short v[14:15], v2, off
.LBB464_1640:
	s_mov_b64 s[0:1], 0
.LBB464_1641:
	s_andn2_b64 vcc, exec, s[0:1]
	s_cbranch_vccnz .LBB464_1657
; %bb.1642:
	s_cmp_lt_i32 s2, 2
	s_mov_b64 s[0:1], -1
	s_cbranch_scc1 .LBB464_1652
; %bb.1643:
	s_cmp_lt_i32 s2, 3
	s_cbranch_scc1 .LBB464_1649
; %bb.1644:
	s_cmp_gt_i32 s2, 3
	s_cbranch_scc0 .LBB464_1646
; %bb.1645:
	v_trunc_f64_e32 v[2:3], v[0:1]
	s_movk_i32 s0, 0xffe0
	v_ldexp_f64 v[16:17], v[2:3], s0
	v_floor_f64_e32 v[16:17], v[16:17]
	v_fmac_f64_e32 v[2:3], 0xc1f00000, v[16:17]
	v_cvt_i32_f64_e32 v19, v[16:17]
	v_cvt_u32_f64_e32 v18, v[2:3]
	global_store_dwordx2 v[14:15], v[18:19], off
	s_mov_b64 s[0:1], 0
.LBB464_1646:
	s_andn2_b64 vcc, exec, s[0:1]
	s_cbranch_vccnz .LBB464_1648
; %bb.1647:
	v_cvt_i32_f64_e32 v2, v[0:1]
	global_store_dword v[14:15], v2, off
.LBB464_1648:
	s_mov_b64 s[0:1], 0
.LBB464_1649:
	s_andn2_b64 vcc, exec, s[0:1]
	s_cbranch_vccnz .LBB464_1651
; %bb.1650:
	v_cvt_i32_f64_e32 v2, v[0:1]
	global_store_short v[14:15], v2, off
.LBB464_1651:
	s_mov_b64 s[0:1], 0
.LBB464_1652:
	s_andn2_b64 vcc, exec, s[0:1]
	s_cbranch_vccnz .LBB464_1657
; %bb.1653:
	s_cmp_gt_i32 s2, 0
	s_mov_b64 s[0:1], -1
	s_cbranch_scc0 .LBB464_1655
; %bb.1654:
	v_cvt_i32_f64_e32 v2, v[0:1]
	global_store_byte v[14:15], v2, off
	s_mov_b64 s[0:1], 0
.LBB464_1655:
	s_andn2_b64 vcc, exec, s[0:1]
	s_cbranch_vccnz .LBB464_1657
; %bb.1656:
	v_trunc_f64_e32 v[0:1], v[0:1]
	s_movk_i32 s0, 0xffe0
	v_ldexp_f64 v[2:3], v[0:1], s0
	v_floor_f64_e32 v[2:3], v[2:3]
	v_fmac_f64_e32 v[0:1], 0xc1f00000, v[2:3]
	v_cvt_u32_f64_e32 v0, v[0:1]
	global_store_byte v[14:15], v0, off
.LBB464_1657:
	s_mov_b64 s[6:7], -1
.LBB464_1658:
	s_andn2_b64 vcc, exec, s[6:7]
	s_cbranch_vccnz .LBB464_1973
; %bb.1659:
	v_max_f64 v[0:1], v[8:9], v[8:9]
	v_min_f64 v[0:1], v[0:1], v[10:11]
	v_cmp_u_f64_e32 vcc, v[8:9], v[8:9]
	s_lshl_b32 s18, s8, 7
	s_cmp_lt_i32 s20, 11
	v_cndmask_b32_e32 v0, v0, v8, vcc
	v_add_u32_e32 v8, s18, v12
	v_cndmask_b32_e32 v1, v1, v9, vcc
	v_ashrrev_i32_e32 v9, 31, v8
	v_lshl_add_u64 v[12:13], s[4:5], 0, v[8:9]
	s_cbranch_scc1 .LBB464_1737
; %bb.1660:
	s_and_b32 s19, 0xffff, s20
	s_mov_b64 s[8:9], -1
	s_mov_b64 s[2:3], 0
	s_cmp_gt_i32 s19, 25
	s_mov_b64 s[6:7], 0
	s_mov_b64 s[0:1], 0
	s_cbranch_scc0 .LBB464_1693
; %bb.1661:
	s_cmp_gt_i32 s19, 28
	s_cbranch_scc0 .LBB464_1676
; %bb.1662:
	s_cmp_gt_i32 s19, 43
	;; [unrolled: 3-line block ×3, first 2 shown]
	s_cbranch_scc0 .LBB464_1666
; %bb.1664:
	s_mov_b64 s[0:1], -1
	s_mov_b64 s[8:9], 0
	s_cmp_eq_u32 s19, 46
	s_cbranch_scc0 .LBB464_1666
; %bb.1665:
	v_cvt_f32_f64_e32 v2, v[0:1]
	v_bfe_u32 v3, v2, 16, 1
	s_movk_i32 s0, 0x7fff
	v_add3_u32 v3, v2, v3, s0
	v_cmp_o_f32_e32 vcc, v2, v2
	v_mov_b32_e32 v2, 0x7fc0
	s_mov_b64 s[0:1], 0
	v_cndmask_b32_sdwa v2, v2, v3, vcc dst_sel:DWORD dst_unused:UNUSED_PAD src0_sel:DWORD src1_sel:WORD_1
	global_store_dword v[12:13], v2, off
	s_mov_b64 s[6:7], -1
.LBB464_1666:
	s_and_b64 vcc, exec, s[8:9]
	s_cbranch_vccz .LBB464_1671
; %bb.1667:
	s_cmp_eq_u32 s19, 44
	s_mov_b64 s[0:1], -1
	s_cbranch_scc0 .LBB464_1671
; %bb.1668:
	v_cvt_f32_f64_e32 v2, v[0:1]
	v_bfe_u32 v3, v2, 23, 8
	s_movk_i32 s0, 0xff
	v_cmp_ne_u32_e32 vcc, s0, v3
	v_mov_b32_e32 v9, 0xff
	s_and_saveexec_b64 s[6:7], vcc
; %bb.1669:
	s_mov_b32 s0, 0x3fffff
	v_lshrrev_b32_e32 v9, 23, v2
	v_and_b32_e32 v14, 0x400000, v2
	v_and_or_b32 v2, v2, s0, v3
	v_cmp_ne_u32_e32 vcc, 0, v14
	v_cmp_ne_u32_e64 s[0:1], 0, v2
	s_and_b64 s[0:1], vcc, s[0:1]
	s_nop 0
	v_cndmask_b32_e64 v2, 0, 1, s[0:1]
	v_add_u32_e32 v9, v9, v2
; %bb.1670:
	s_or_b64 exec, exec, s[6:7]
	s_mov_b64 s[0:1], 0
	s_mov_b64 s[6:7], -1
	global_store_byte v[12:13], v9, off
.LBB464_1671:
	s_mov_b64 s[8:9], 0
.LBB464_1672:
	s_and_b64 vcc, exec, s[8:9]
	s_cbranch_vccz .LBB464_1675
; %bb.1673:
	s_cmp_eq_u32 s19, 29
	s_mov_b64 s[0:1], -1
	s_cbranch_scc0 .LBB464_1675
; %bb.1674:
	v_trunc_f64_e32 v[2:3], v[0:1]
	s_movk_i32 s0, 0xffe0
	v_ldexp_f64 v[14:15], v[2:3], s0
	v_floor_f64_e32 v[14:15], v[14:15]
	v_fmac_f64_e32 v[2:3], 0xc1f00000, v[14:15]
	v_cvt_u32_f64_e32 v17, v[14:15]
	v_cvt_u32_f64_e32 v16, v[2:3]
	global_store_dwordx2 v[12:13], v[16:17], off
	s_mov_b64 s[0:1], 0
	s_mov_b64 s[6:7], -1
.LBB464_1675:
	s_mov_b64 s[8:9], 0
.LBB464_1676:
	s_and_b64 vcc, exec, s[8:9]
	s_cbranch_vccz .LBB464_1692
; %bb.1677:
	s_cmp_lt_i32 s19, 27
	s_mov_b64 s[6:7], -1
	s_cbranch_scc1 .LBB464_1683
; %bb.1678:
	s_cmp_gt_i32 s19, 27
	v_cvt_u32_f64_e32 v2, v[0:1]
	s_cbranch_scc0 .LBB464_1680
; %bb.1679:
	s_mov_b64 s[6:7], 0
	global_store_dword v[12:13], v2, off
.LBB464_1680:
	s_andn2_b64 vcc, exec, s[6:7]
	s_cbranch_vccnz .LBB464_1682
; %bb.1681:
	global_store_short v[12:13], v2, off
.LBB464_1682:
	s_mov_b64 s[6:7], 0
.LBB464_1683:
	s_andn2_b64 vcc, exec, s[6:7]
	s_cbranch_vccnz .LBB464_1691
; %bb.1684:
	v_cvt_f32_f64_e32 v2, v[0:1]
	v_and_b32_e32 v3, 0x7fffffff, v2
	s_mov_b32 s6, 0x43800000
	v_cmp_gt_u32_e32 vcc, s6, v3
	v_mov_b32_e32 v9, 0x80
	s_and_saveexec_b64 s[6:7], vcc
	s_cbranch_execz .LBB464_1690
; %bb.1685:
	s_mov_b32 s8, 0x3bffffff
	v_cmp_lt_u32_e32 vcc, s8, v3
	s_mov_b64 s[8:9], 0
                                        ; implicit-def: $vgpr3
	s_and_saveexec_b64 s[10:11], vcc
	s_xor_b64 s[10:11], exec, s[10:11]
	s_cbranch_execz .LBB464_2025
; %bb.1686:
	v_bfe_u32 v3, v2, 20, 1
	s_mov_b32 s21, 0x487ffff
	v_add3_u32 v3, v2, v3, s21
	s_mov_b64 s[8:9], exec
	v_lshrrev_b32_e32 v3, 20, v3
	s_andn2_saveexec_b64 s[10:11], s[10:11]
	s_cbranch_execnz .LBB464_2026
.LBB464_1687:
	s_or_b64 exec, exec, s[10:11]
	v_mov_b32_e32 v9, 0
	s_and_saveexec_b64 s[10:11], s[8:9]
.LBB464_1688:
	v_lshrrev_b32_e32 v2, 24, v2
	s_movk_i32 s8, 0x80
	v_and_or_b32 v9, v2, s8, v3
.LBB464_1689:
	s_or_b64 exec, exec, s[10:11]
.LBB464_1690:
	s_or_b64 exec, exec, s[6:7]
	global_store_byte v[12:13], v9, off
.LBB464_1691:
	s_mov_b64 s[6:7], -1
.LBB464_1692:
	s_mov_b64 s[8:9], 0
.LBB464_1693:
	s_and_b64 vcc, exec, s[8:9]
	s_cbranch_vccz .LBB464_1733
; %bb.1694:
	s_cmp_gt_i32 s19, 22
	s_mov_b64 s[2:3], -1
	s_cbranch_scc0 .LBB464_1726
; %bb.1695:
	s_cmp_lt_i32 s19, 24
	s_cbranch_scc1 .LBB464_1715
; %bb.1696:
	s_cmp_gt_i32 s19, 24
	s_cbranch_scc0 .LBB464_1704
; %bb.1697:
	v_cvt_f32_f64_e32 v2, v[0:1]
	v_and_b32_e32 v3, 0x7fffffff, v2
	s_mov_b32 s2, 0x47800000
	v_cmp_gt_u32_e32 vcc, s2, v3
	v_mov_b32_e32 v9, 0x80
	s_and_saveexec_b64 s[2:3], vcc
	s_cbranch_execz .LBB464_1703
; %bb.1698:
	s_mov_b32 s6, 0x37ffffff
	v_cmp_lt_u32_e32 vcc, s6, v3
	s_mov_b64 s[6:7], 0
                                        ; implicit-def: $vgpr3
	s_and_saveexec_b64 s[8:9], vcc
	s_xor_b64 s[8:9], exec, s[8:9]
	s_cbranch_execz .LBB464_2028
; %bb.1699:
	v_bfe_u32 v3, v2, 21, 1
	s_mov_b32 s10, 0x88fffff
	v_add3_u32 v3, v2, v3, s10
	s_mov_b64 s[6:7], exec
	v_lshrrev_b32_e32 v3, 21, v3
	s_andn2_saveexec_b64 s[8:9], s[8:9]
	s_cbranch_execnz .LBB464_2029
.LBB464_1700:
	s_or_b64 exec, exec, s[8:9]
	v_mov_b32_e32 v9, 0
	s_and_saveexec_b64 s[8:9], s[6:7]
.LBB464_1701:
	v_lshrrev_b32_e32 v2, 24, v2
	s_movk_i32 s6, 0x80
	v_and_or_b32 v9, v2, s6, v3
.LBB464_1702:
	s_or_b64 exec, exec, s[8:9]
.LBB464_1703:
	s_or_b64 exec, exec, s[2:3]
	s_mov_b64 s[2:3], 0
	global_store_byte v[12:13], v9, off
.LBB464_1704:
	s_and_b64 vcc, exec, s[2:3]
	s_cbranch_vccz .LBB464_1714
; %bb.1705:
	v_cvt_f32_f64_e32 v2, v[0:1]
	v_and_b32_e32 v9, 0x7fffffff, v2
	s_mov_b32 s2, 0x43f00000
	v_cmp_gt_u32_e32 vcc, s2, v9
                                        ; implicit-def: $vgpr3
	s_and_saveexec_b64 s[2:3], vcc
	s_xor_b64 s[2:3], exec, s[2:3]
	s_cbranch_execz .LBB464_1711
; %bb.1706:
	s_mov_b32 s6, 0x3c7fffff
	v_cmp_lt_u32_e32 vcc, s6, v9
                                        ; implicit-def: $vgpr3
	s_and_saveexec_b64 s[6:7], vcc
	s_xor_b64 s[6:7], exec, s[6:7]
; %bb.1707:
	v_bfe_u32 v3, v2, 20, 1
	s_mov_b32 s8, 0x407ffff
	v_add3_u32 v3, v2, v3, s8
	v_lshrrev_b32_e32 v9, 20, v3
	v_and_b32_e32 v3, 0xff00000, v3
	s_mov_b32 s8, 0x7f00000
	v_mov_b32_e32 v14, 0x7e
	v_cmp_ne_u32_e32 vcc, s8, v3
	s_nop 1
	v_cndmask_b32_e32 v3, v14, v9, vcc
; %bb.1708:
	s_andn2_saveexec_b64 s[6:7], s[6:7]
; %bb.1709:
	s_mov_b32 s8, 0x46800000
	v_add_f32_e64 v3, |v2|, s8
; %bb.1710:
	s_or_b64 exec, exec, s[6:7]
                                        ; implicit-def: $vgpr9
.LBB464_1711:
	s_andn2_saveexec_b64 s[2:3], s[2:3]
; %bb.1712:
	s_mov_b32 s6, 0x7f800000
	v_mov_b32_e32 v3, 0x7e
	v_mov_b32_e32 v14, 0x7f
	v_cmp_lt_u32_e32 vcc, s6, v9
	s_nop 1
	v_cndmask_b32_e32 v3, v3, v14, vcc
; %bb.1713:
	s_or_b64 exec, exec, s[2:3]
	v_lshrrev_b32_e32 v2, 24, v2
	s_movk_i32 s2, 0x80
	v_and_or_b32 v2, v2, s2, v3
	global_store_byte v[12:13], v2, off
.LBB464_1714:
	s_mov_b64 s[2:3], 0
.LBB464_1715:
	s_andn2_b64 vcc, exec, s[2:3]
	s_cbranch_vccnz .LBB464_1725
; %bb.1716:
	v_cvt_f32_f64_e32 v2, v[0:1]
	v_and_b32_e32 v9, 0x7fffffff, v2
	s_mov_b32 s2, 0x47800000
	v_cmp_gt_u32_e32 vcc, s2, v9
                                        ; implicit-def: $vgpr3
	s_and_saveexec_b64 s[2:3], vcc
	s_xor_b64 s[2:3], exec, s[2:3]
	s_cbranch_execz .LBB464_1722
; %bb.1717:
	s_mov_b32 s6, 0x387fffff
	v_cmp_lt_u32_e32 vcc, s6, v9
                                        ; implicit-def: $vgpr3
	s_and_saveexec_b64 s[6:7], vcc
	s_xor_b64 s[6:7], exec, s[6:7]
; %bb.1718:
	v_bfe_u32 v3, v2, 21, 1
	s_mov_b32 s8, 0x80fffff
	v_add3_u32 v3, v2, v3, s8
	v_lshrrev_b32_e32 v3, 21, v3
; %bb.1719:
	s_andn2_saveexec_b64 s[6:7], s[6:7]
; %bb.1720:
	s_mov_b32 s8, 0x43000000
	v_add_f32_e64 v3, |v2|, s8
; %bb.1721:
	s_or_b64 exec, exec, s[6:7]
                                        ; implicit-def: $vgpr9
.LBB464_1722:
	s_andn2_saveexec_b64 s[2:3], s[2:3]
; %bb.1723:
	s_mov_b32 s6, 0x7f800000
	v_mov_b32_e32 v3, 0x7c
	v_mov_b32_e32 v14, 0x7f
	v_cmp_lt_u32_e32 vcc, s6, v9
	s_nop 1
	v_cndmask_b32_e32 v3, v3, v14, vcc
; %bb.1724:
	s_or_b64 exec, exec, s[2:3]
	v_lshrrev_b32_e32 v2, 24, v2
	s_movk_i32 s2, 0x80
	v_and_or_b32 v2, v2, s2, v3
	global_store_byte v[12:13], v2, off
.LBB464_1725:
	s_mov_b64 s[2:3], 0
	s_mov_b64 s[6:7], -1
.LBB464_1726:
	s_andn2_b64 vcc, exec, s[2:3]
	s_mov_b64 s[2:3], 0
	s_cbranch_vccnz .LBB464_1733
; %bb.1727:
	s_cmp_gt_i32 s19, 14
	s_mov_b64 s[8:9], -1
	s_cbranch_scc0 .LBB464_1731
; %bb.1728:
	s_cmp_eq_u32 s19, 15
	s_mov_b64 s[0:1], -1
	s_cbranch_scc0 .LBB464_1730
; %bb.1729:
	v_cvt_f32_f64_e32 v2, v[0:1]
	v_bfe_u32 v3, v2, 16, 1
	s_movk_i32 s0, 0x7fff
	v_add3_u32 v3, v2, v3, s0
	v_cmp_o_f32_e32 vcc, v2, v2
	v_mov_b32_e32 v2, 0x7fc0
	s_mov_b64 s[0:1], 0
	v_cndmask_b32_sdwa v2, v2, v3, vcc dst_sel:DWORD dst_unused:UNUSED_PAD src0_sel:DWORD src1_sel:WORD_1
	global_store_short v[12:13], v2, off
	s_mov_b64 s[6:7], -1
.LBB464_1730:
	s_mov_b64 s[8:9], 0
.LBB464_1731:
	s_and_b64 vcc, exec, s[8:9]
	s_cbranch_vccz .LBB464_1733
; %bb.1732:
	s_cmp_lg_u32 s19, 11
	s_mov_b64 s[2:3], -1
	s_cselect_b64 s[0:1], -1, 0
.LBB464_1733:
	s_and_b64 vcc, exec, s[0:1]
	s_cbranch_vccnz .LBB464_2027
; %bb.1734:
	s_andn2_b64 vcc, exec, s[2:3]
	s_cbranch_vccnz .LBB464_1736
.LBB464_1735:
	v_cmp_neq_f64_e32 vcc, 0, v[0:1]
	s_mov_b64 s[6:7], -1
	s_nop 0
	v_cndmask_b32_e64 v2, 0, 1, vcc
	global_store_byte v[12:13], v2, off
.LBB464_1736:
	s_mov_b64 s[0:1], 0
	s_branch .LBB464_1738
.LBB464_1737:
	s_mov_b64 s[0:1], -1
	s_mov_b64 s[6:7], 0
.LBB464_1738:
	s_and_b64 vcc, exec, s[0:1]
	s_cbranch_vccz .LBB464_1777
; %bb.1739:
	s_and_b32 s2, 0xffff, s20
	s_cmp_lt_i32 s2, 5
	s_mov_b64 s[0:1], -1
	s_cbranch_scc1 .LBB464_1760
; %bb.1740:
	s_cmp_lt_i32 s2, 8
	s_cbranch_scc1 .LBB464_1750
; %bb.1741:
	s_cmp_lt_i32 s2, 9
	s_cbranch_scc1 .LBB464_1747
; %bb.1742:
	s_cmp_gt_i32 s2, 9
	s_cbranch_scc0 .LBB464_1744
; %bb.1743:
	v_mov_b32_e32 v2, 0
	v_mov_b32_e32 v3, v2
	global_store_dwordx4 v[12:13], v[0:3], off
	s_mov_b64 s[0:1], 0
.LBB464_1744:
	s_andn2_b64 vcc, exec, s[0:1]
	s_cbranch_vccnz .LBB464_1746
; %bb.1745:
	v_cvt_f32_f64_e32 v2, v[0:1]
	v_mov_b32_e32 v3, 0
	global_store_dwordx2 v[12:13], v[2:3], off
.LBB464_1746:
	s_mov_b64 s[0:1], 0
.LBB464_1747:
	s_andn2_b64 vcc, exec, s[0:1]
	s_cbranch_vccnz .LBB464_1749
; %bb.1748:
	s_movk_i32 s0, 0x1ff
	v_and_or_b32 v2, v1, s0, v0
	v_cmp_ne_u32_e32 vcc, 0, v2
	v_lshrrev_b32_e32 v3, 8, v1
	s_movk_i32 s0, 0xffe
	v_cndmask_b32_e64 v2, 0, 1, vcc
	v_bfe_u32 v9, v1, 20, 11
	v_and_or_b32 v2, v3, s0, v2
	v_sub_u32_e32 v14, 0x3f1, v9
	v_or_b32_e32 v3, 0x1000, v2
	v_med3_i32 v14, v14, 0, 13
	v_lshrrev_b32_e32 v15, v14, v3
	v_lshlrev_b32_e32 v14, v14, v15
	v_cmp_ne_u32_e32 vcc, v14, v3
	v_add_u32_e32 v9, 0xfffffc10, v9
	v_lshl_or_b32 v14, v9, 12, v2
	v_cndmask_b32_e64 v3, 0, 1, vcc
	v_or_b32_e32 v3, v15, v3
	v_cmp_gt_i32_e32 vcc, 1, v9
	s_movk_i32 s0, 0x40f
	s_nop 0
	v_cndmask_b32_e32 v3, v14, v3, vcc
	v_and_b32_e32 v14, 7, v3
	v_cmp_lt_i32_e32 vcc, 5, v14
	v_lshrrev_b32_e32 v3, 2, v3
	s_nop 0
	v_cndmask_b32_e64 v15, 0, 1, vcc
	v_cmp_eq_u32_e32 vcc, 3, v14
	s_nop 1
	v_cndmask_b32_e64 v14, 0, 1, vcc
	v_or_b32_e32 v14, v14, v15
	v_add_u32_e32 v3, v3, v14
	v_mov_b32_e32 v14, 0x7c00
	v_cmp_gt_i32_e32 vcc, 31, v9
	v_mov_b32_e32 v15, 0x7e00
	s_nop 0
	v_cndmask_b32_e32 v3, v14, v3, vcc
	v_cmp_ne_u32_e32 vcc, 0, v2
	s_nop 1
	v_cndmask_b32_e32 v2, v14, v15, vcc
	v_cmp_eq_u32_e32 vcc, s0, v9
	s_mov_b32 s0, 0x8000
	s_nop 0
	v_cndmask_b32_e32 v2, v3, v2, vcc
	v_and_b32_sdwa v3, v1, s0 dst_sel:DWORD dst_unused:UNUSED_PAD src0_sel:WORD_1 src1_sel:DWORD
	s_mov_b32 s0, 0xffff
	v_bitop3_b32 v2, v3, s0, v2 bitop3:0xc8
	global_store_dword v[12:13], v2, off
.LBB464_1749:
	s_mov_b64 s[0:1], 0
.LBB464_1750:
	s_andn2_b64 vcc, exec, s[0:1]
	s_cbranch_vccnz .LBB464_1759
; %bb.1751:
	s_cmp_lt_i32 s2, 6
	s_mov_b64 s[0:1], -1
	s_cbranch_scc1 .LBB464_1757
; %bb.1752:
	s_cmp_gt_i32 s2, 6
	s_cbranch_scc0 .LBB464_1754
; %bb.1753:
	global_store_dwordx2 v[12:13], v[0:1], off
	s_mov_b64 s[0:1], 0
.LBB464_1754:
	s_andn2_b64 vcc, exec, s[0:1]
	s_cbranch_vccnz .LBB464_1756
; %bb.1755:
	v_cvt_f32_f64_e32 v2, v[0:1]
	global_store_dword v[12:13], v2, off
.LBB464_1756:
	s_mov_b64 s[0:1], 0
.LBB464_1757:
	s_andn2_b64 vcc, exec, s[0:1]
	s_cbranch_vccnz .LBB464_1759
; %bb.1758:
	s_movk_i32 s0, 0x1ff
	v_and_or_b32 v2, v1, s0, v0
	v_cmp_ne_u32_e32 vcc, 0, v2
	v_lshrrev_b32_e32 v3, 8, v1
	s_movk_i32 s0, 0xffe
	v_cndmask_b32_e64 v2, 0, 1, vcc
	v_bfe_u32 v9, v1, 20, 11
	v_and_or_b32 v2, v3, s0, v2
	v_sub_u32_e32 v14, 0x3f1, v9
	v_or_b32_e32 v3, 0x1000, v2
	v_med3_i32 v14, v14, 0, 13
	v_lshrrev_b32_e32 v15, v14, v3
	v_lshlrev_b32_e32 v14, v14, v15
	v_cmp_ne_u32_e32 vcc, v14, v3
	v_add_u32_e32 v9, 0xfffffc10, v9
	v_lshl_or_b32 v14, v9, 12, v2
	v_cndmask_b32_e64 v3, 0, 1, vcc
	v_or_b32_e32 v3, v15, v3
	v_cmp_gt_i32_e32 vcc, 1, v9
	s_movk_i32 s0, 0x40f
	s_nop 0
	v_cndmask_b32_e32 v3, v14, v3, vcc
	v_and_b32_e32 v14, 7, v3
	v_cmp_lt_i32_e32 vcc, 5, v14
	v_lshrrev_b32_e32 v3, 2, v3
	s_nop 0
	v_cndmask_b32_e64 v15, 0, 1, vcc
	v_cmp_eq_u32_e32 vcc, 3, v14
	s_nop 1
	v_cndmask_b32_e64 v14, 0, 1, vcc
	v_or_b32_e32 v14, v14, v15
	v_add_u32_e32 v3, v3, v14
	v_mov_b32_e32 v14, 0x7c00
	v_cmp_gt_i32_e32 vcc, 31, v9
	v_mov_b32_e32 v15, 0x7e00
	s_nop 0
	v_cndmask_b32_e32 v3, v14, v3, vcc
	v_cmp_ne_u32_e32 vcc, 0, v2
	s_nop 1
	v_cndmask_b32_e32 v2, v14, v15, vcc
	v_cmp_eq_u32_e32 vcc, s0, v9
	s_mov_b32 s0, 0x8000
	s_nop 0
	v_cndmask_b32_e32 v2, v3, v2, vcc
	v_lshrrev_b32_e32 v3, 16, v1
	v_and_or_b32 v2, v3, s0, v2
	global_store_short v[12:13], v2, off
.LBB464_1759:
	s_mov_b64 s[0:1], 0
.LBB464_1760:
	s_andn2_b64 vcc, exec, s[0:1]
	s_cbranch_vccnz .LBB464_1776
; %bb.1761:
	s_cmp_lt_i32 s2, 2
	s_mov_b64 s[0:1], -1
	s_cbranch_scc1 .LBB464_1771
; %bb.1762:
	s_cmp_lt_i32 s2, 3
	s_cbranch_scc1 .LBB464_1768
; %bb.1763:
	s_cmp_gt_i32 s2, 3
	s_cbranch_scc0 .LBB464_1765
; %bb.1764:
	v_trunc_f64_e32 v[2:3], v[0:1]
	s_movk_i32 s0, 0xffe0
	v_ldexp_f64 v[14:15], v[2:3], s0
	v_floor_f64_e32 v[14:15], v[14:15]
	v_fmac_f64_e32 v[2:3], 0xc1f00000, v[14:15]
	v_cvt_i32_f64_e32 v17, v[14:15]
	v_cvt_u32_f64_e32 v16, v[2:3]
	global_store_dwordx2 v[12:13], v[16:17], off
	s_mov_b64 s[0:1], 0
.LBB464_1765:
	s_andn2_b64 vcc, exec, s[0:1]
	s_cbranch_vccnz .LBB464_1767
; %bb.1766:
	v_cvt_i32_f64_e32 v2, v[0:1]
	global_store_dword v[12:13], v2, off
.LBB464_1767:
	s_mov_b64 s[0:1], 0
.LBB464_1768:
	s_andn2_b64 vcc, exec, s[0:1]
	s_cbranch_vccnz .LBB464_1770
; %bb.1769:
	v_cvt_i32_f64_e32 v2, v[0:1]
	global_store_short v[12:13], v2, off
.LBB464_1770:
	s_mov_b64 s[0:1], 0
.LBB464_1771:
	s_andn2_b64 vcc, exec, s[0:1]
	s_cbranch_vccnz .LBB464_1776
; %bb.1772:
	s_cmp_gt_i32 s2, 0
	s_mov_b64 s[0:1], -1
	s_cbranch_scc0 .LBB464_1774
; %bb.1773:
	v_cvt_i32_f64_e32 v2, v[0:1]
	global_store_byte v[12:13], v2, off
	s_mov_b64 s[0:1], 0
.LBB464_1774:
	s_andn2_b64 vcc, exec, s[0:1]
	s_cbranch_vccnz .LBB464_1776
; %bb.1775:
	v_trunc_f64_e32 v[0:1], v[0:1]
	s_movk_i32 s0, 0xffe0
	v_ldexp_f64 v[2:3], v[0:1], s0
	v_floor_f64_e32 v[2:3], v[2:3]
	v_fmac_f64_e32 v[0:1], 0xc1f00000, v[2:3]
	v_cvt_u32_f64_e32 v0, v[0:1]
	global_store_byte v[12:13], v0, off
.LBB464_1776:
	s_mov_b64 s[6:7], -1
.LBB464_1777:
	s_andn2_b64 vcc, exec, s[6:7]
	s_cbranch_vccnz .LBB464_1973
; %bb.1778:
	v_max_f64 v[0:1], v[6:7], v[6:7]
	v_min_f64 v[0:1], v[0:1], v[10:11]
	v_cmp_u_f64_e32 vcc, v[6:7], v[6:7]
	s_cmp_lt_i32 s20, 11
	s_nop 0
	v_cndmask_b32_e32 v0, v0, v6, vcc
	v_add_u32_e32 v6, s18, v8
	v_cndmask_b32_e32 v1, v1, v7, vcc
	v_ashrrev_i32_e32 v7, 31, v6
	v_lshl_add_u64 v[8:9], s[4:5], 0, v[6:7]
	s_cbranch_scc1 .LBB464_1856
; %bb.1779:
	s_and_b32 s19, 0xffff, s20
	s_mov_b64 s[8:9], -1
	s_mov_b64 s[2:3], 0
	s_cmp_gt_i32 s19, 25
	s_mov_b64 s[6:7], 0
	s_mov_b64 s[0:1], 0
	s_cbranch_scc0 .LBB464_1812
; %bb.1780:
	s_cmp_gt_i32 s19, 28
	s_cbranch_scc0 .LBB464_1795
; %bb.1781:
	s_cmp_gt_i32 s19, 43
	;; [unrolled: 3-line block ×3, first 2 shown]
	s_cbranch_scc0 .LBB464_1785
; %bb.1783:
	s_mov_b64 s[0:1], -1
	s_mov_b64 s[8:9], 0
	s_cmp_eq_u32 s19, 46
	s_cbranch_scc0 .LBB464_1785
; %bb.1784:
	v_cvt_f32_f64_e32 v2, v[0:1]
	v_bfe_u32 v3, v2, 16, 1
	s_movk_i32 s0, 0x7fff
	v_add3_u32 v3, v2, v3, s0
	v_cmp_o_f32_e32 vcc, v2, v2
	v_mov_b32_e32 v2, 0x7fc0
	s_mov_b64 s[0:1], 0
	v_cndmask_b32_sdwa v2, v2, v3, vcc dst_sel:DWORD dst_unused:UNUSED_PAD src0_sel:DWORD src1_sel:WORD_1
	global_store_dword v[8:9], v2, off
	s_mov_b64 s[6:7], -1
.LBB464_1785:
	s_and_b64 vcc, exec, s[8:9]
	s_cbranch_vccz .LBB464_1790
; %bb.1786:
	s_cmp_eq_u32 s19, 44
	s_mov_b64 s[0:1], -1
	s_cbranch_scc0 .LBB464_1790
; %bb.1787:
	v_cvt_f32_f64_e32 v2, v[0:1]
	v_bfe_u32 v3, v2, 23, 8
	s_movk_i32 s0, 0xff
	v_cmp_ne_u32_e32 vcc, s0, v3
	v_mov_b32_e32 v7, 0xff
	s_and_saveexec_b64 s[6:7], vcc
; %bb.1788:
	s_mov_b32 s0, 0x3fffff
	v_lshrrev_b32_e32 v7, 23, v2
	v_and_b32_e32 v12, 0x400000, v2
	v_and_or_b32 v2, v2, s0, v3
	v_cmp_ne_u32_e32 vcc, 0, v12
	v_cmp_ne_u32_e64 s[0:1], 0, v2
	s_and_b64 s[0:1], vcc, s[0:1]
	s_nop 0
	v_cndmask_b32_e64 v2, 0, 1, s[0:1]
	v_add_u32_e32 v7, v7, v2
; %bb.1789:
	s_or_b64 exec, exec, s[6:7]
	s_mov_b64 s[0:1], 0
	s_mov_b64 s[6:7], -1
	global_store_byte v[8:9], v7, off
.LBB464_1790:
	s_mov_b64 s[8:9], 0
.LBB464_1791:
	s_and_b64 vcc, exec, s[8:9]
	s_cbranch_vccz .LBB464_1794
; %bb.1792:
	s_cmp_eq_u32 s19, 29
	s_mov_b64 s[0:1], -1
	s_cbranch_scc0 .LBB464_1794
; %bb.1793:
	v_trunc_f64_e32 v[2:3], v[0:1]
	s_movk_i32 s0, 0xffe0
	v_ldexp_f64 v[12:13], v[2:3], s0
	v_floor_f64_e32 v[12:13], v[12:13]
	v_fmac_f64_e32 v[2:3], 0xc1f00000, v[12:13]
	v_cvt_u32_f64_e32 v15, v[12:13]
	v_cvt_u32_f64_e32 v14, v[2:3]
	global_store_dwordx2 v[8:9], v[14:15], off
	s_mov_b64 s[0:1], 0
	s_mov_b64 s[6:7], -1
.LBB464_1794:
	s_mov_b64 s[8:9], 0
.LBB464_1795:
	s_and_b64 vcc, exec, s[8:9]
	s_cbranch_vccz .LBB464_1811
; %bb.1796:
	s_cmp_lt_i32 s19, 27
	s_mov_b64 s[6:7], -1
	s_cbranch_scc1 .LBB464_1802
; %bb.1797:
	s_cmp_gt_i32 s19, 27
	v_cvt_u32_f64_e32 v2, v[0:1]
	s_cbranch_scc0 .LBB464_1799
; %bb.1798:
	s_mov_b64 s[6:7], 0
	global_store_dword v[8:9], v2, off
.LBB464_1799:
	s_andn2_b64 vcc, exec, s[6:7]
	s_cbranch_vccnz .LBB464_1801
; %bb.1800:
	global_store_short v[8:9], v2, off
.LBB464_1801:
	s_mov_b64 s[6:7], 0
.LBB464_1802:
	s_andn2_b64 vcc, exec, s[6:7]
	s_cbranch_vccnz .LBB464_1810
; %bb.1803:
	v_cvt_f32_f64_e32 v2, v[0:1]
	v_and_b32_e32 v3, 0x7fffffff, v2
	s_mov_b32 s6, 0x43800000
	v_cmp_gt_u32_e32 vcc, s6, v3
	v_mov_b32_e32 v7, 0x80
	s_and_saveexec_b64 s[6:7], vcc
	s_cbranch_execz .LBB464_1809
; %bb.1804:
	s_mov_b32 s8, 0x3bffffff
	v_cmp_lt_u32_e32 vcc, s8, v3
	s_mov_b64 s[8:9], 0
                                        ; implicit-def: $vgpr3
	s_and_saveexec_b64 s[10:11], vcc
	s_xor_b64 s[10:11], exec, s[10:11]
	s_cbranch_execz .LBB464_2030
; %bb.1805:
	v_bfe_u32 v3, v2, 20, 1
	s_mov_b32 s21, 0x487ffff
	v_add3_u32 v3, v2, v3, s21
	s_mov_b64 s[8:9], exec
	v_lshrrev_b32_e32 v3, 20, v3
	s_andn2_saveexec_b64 s[10:11], s[10:11]
	s_cbranch_execnz .LBB464_2031
.LBB464_1806:
	s_or_b64 exec, exec, s[10:11]
	v_mov_b32_e32 v7, 0
	s_and_saveexec_b64 s[10:11], s[8:9]
.LBB464_1807:
	v_lshrrev_b32_e32 v2, 24, v2
	s_movk_i32 s8, 0x80
	v_and_or_b32 v7, v2, s8, v3
.LBB464_1808:
	s_or_b64 exec, exec, s[10:11]
.LBB464_1809:
	s_or_b64 exec, exec, s[6:7]
	global_store_byte v[8:9], v7, off
.LBB464_1810:
	s_mov_b64 s[6:7], -1
.LBB464_1811:
	s_mov_b64 s[8:9], 0
.LBB464_1812:
	s_and_b64 vcc, exec, s[8:9]
	s_cbranch_vccz .LBB464_1852
; %bb.1813:
	s_cmp_gt_i32 s19, 22
	s_mov_b64 s[2:3], -1
	s_cbranch_scc0 .LBB464_1845
; %bb.1814:
	s_cmp_lt_i32 s19, 24
	s_cbranch_scc1 .LBB464_1834
; %bb.1815:
	s_cmp_gt_i32 s19, 24
	s_cbranch_scc0 .LBB464_1823
; %bb.1816:
	v_cvt_f32_f64_e32 v2, v[0:1]
	v_and_b32_e32 v3, 0x7fffffff, v2
	s_mov_b32 s2, 0x47800000
	v_cmp_gt_u32_e32 vcc, s2, v3
	v_mov_b32_e32 v7, 0x80
	s_and_saveexec_b64 s[2:3], vcc
	s_cbranch_execz .LBB464_1822
; %bb.1817:
	s_mov_b32 s6, 0x37ffffff
	v_cmp_lt_u32_e32 vcc, s6, v3
	s_mov_b64 s[6:7], 0
                                        ; implicit-def: $vgpr3
	s_and_saveexec_b64 s[8:9], vcc
	s_xor_b64 s[8:9], exec, s[8:9]
	s_cbranch_execz .LBB464_2033
; %bb.1818:
	v_bfe_u32 v3, v2, 21, 1
	s_mov_b32 s10, 0x88fffff
	v_add3_u32 v3, v2, v3, s10
	s_mov_b64 s[6:7], exec
	v_lshrrev_b32_e32 v3, 21, v3
	s_andn2_saveexec_b64 s[8:9], s[8:9]
	s_cbranch_execnz .LBB464_2034
.LBB464_1819:
	s_or_b64 exec, exec, s[8:9]
	v_mov_b32_e32 v7, 0
	s_and_saveexec_b64 s[8:9], s[6:7]
.LBB464_1820:
	v_lshrrev_b32_e32 v2, 24, v2
	s_movk_i32 s6, 0x80
	v_and_or_b32 v7, v2, s6, v3
.LBB464_1821:
	s_or_b64 exec, exec, s[8:9]
.LBB464_1822:
	s_or_b64 exec, exec, s[2:3]
	s_mov_b64 s[2:3], 0
	global_store_byte v[8:9], v7, off
.LBB464_1823:
	s_and_b64 vcc, exec, s[2:3]
	s_cbranch_vccz .LBB464_1833
; %bb.1824:
	v_cvt_f32_f64_e32 v2, v[0:1]
	v_and_b32_e32 v7, 0x7fffffff, v2
	s_mov_b32 s2, 0x43f00000
	v_cmp_gt_u32_e32 vcc, s2, v7
                                        ; implicit-def: $vgpr3
	s_and_saveexec_b64 s[2:3], vcc
	s_xor_b64 s[2:3], exec, s[2:3]
	s_cbranch_execz .LBB464_1830
; %bb.1825:
	s_mov_b32 s6, 0x3c7fffff
	v_cmp_lt_u32_e32 vcc, s6, v7
                                        ; implicit-def: $vgpr3
	s_and_saveexec_b64 s[6:7], vcc
	s_xor_b64 s[6:7], exec, s[6:7]
; %bb.1826:
	v_bfe_u32 v3, v2, 20, 1
	s_mov_b32 s8, 0x407ffff
	v_add3_u32 v3, v2, v3, s8
	v_lshrrev_b32_e32 v7, 20, v3
	v_and_b32_e32 v3, 0xff00000, v3
	s_mov_b32 s8, 0x7f00000
	v_mov_b32_e32 v12, 0x7e
	v_cmp_ne_u32_e32 vcc, s8, v3
	s_nop 1
	v_cndmask_b32_e32 v3, v12, v7, vcc
; %bb.1827:
	s_andn2_saveexec_b64 s[6:7], s[6:7]
; %bb.1828:
	s_mov_b32 s8, 0x46800000
	v_add_f32_e64 v3, |v2|, s8
; %bb.1829:
	s_or_b64 exec, exec, s[6:7]
                                        ; implicit-def: $vgpr7
.LBB464_1830:
	s_andn2_saveexec_b64 s[2:3], s[2:3]
; %bb.1831:
	s_mov_b32 s6, 0x7f800000
	v_mov_b32_e32 v3, 0x7e
	v_mov_b32_e32 v12, 0x7f
	v_cmp_lt_u32_e32 vcc, s6, v7
	s_nop 1
	v_cndmask_b32_e32 v3, v3, v12, vcc
; %bb.1832:
	s_or_b64 exec, exec, s[2:3]
	v_lshrrev_b32_e32 v2, 24, v2
	s_movk_i32 s2, 0x80
	v_and_or_b32 v2, v2, s2, v3
	global_store_byte v[8:9], v2, off
.LBB464_1833:
	s_mov_b64 s[2:3], 0
.LBB464_1834:
	s_andn2_b64 vcc, exec, s[2:3]
	s_cbranch_vccnz .LBB464_1844
; %bb.1835:
	v_cvt_f32_f64_e32 v2, v[0:1]
	v_and_b32_e32 v7, 0x7fffffff, v2
	s_mov_b32 s2, 0x47800000
	v_cmp_gt_u32_e32 vcc, s2, v7
                                        ; implicit-def: $vgpr3
	s_and_saveexec_b64 s[2:3], vcc
	s_xor_b64 s[2:3], exec, s[2:3]
	s_cbranch_execz .LBB464_1841
; %bb.1836:
	s_mov_b32 s6, 0x387fffff
	v_cmp_lt_u32_e32 vcc, s6, v7
                                        ; implicit-def: $vgpr3
	s_and_saveexec_b64 s[6:7], vcc
	s_xor_b64 s[6:7], exec, s[6:7]
; %bb.1837:
	v_bfe_u32 v3, v2, 21, 1
	s_mov_b32 s8, 0x80fffff
	v_add3_u32 v3, v2, v3, s8
	v_lshrrev_b32_e32 v3, 21, v3
; %bb.1838:
	s_andn2_saveexec_b64 s[6:7], s[6:7]
; %bb.1839:
	s_mov_b32 s8, 0x43000000
	v_add_f32_e64 v3, |v2|, s8
; %bb.1840:
	s_or_b64 exec, exec, s[6:7]
                                        ; implicit-def: $vgpr7
.LBB464_1841:
	s_andn2_saveexec_b64 s[2:3], s[2:3]
; %bb.1842:
	s_mov_b32 s6, 0x7f800000
	v_mov_b32_e32 v3, 0x7c
	v_mov_b32_e32 v12, 0x7f
	v_cmp_lt_u32_e32 vcc, s6, v7
	s_nop 1
	v_cndmask_b32_e32 v3, v3, v12, vcc
; %bb.1843:
	s_or_b64 exec, exec, s[2:3]
	v_lshrrev_b32_e32 v2, 24, v2
	s_movk_i32 s2, 0x80
	v_and_or_b32 v2, v2, s2, v3
	global_store_byte v[8:9], v2, off
.LBB464_1844:
	s_mov_b64 s[2:3], 0
	s_mov_b64 s[6:7], -1
.LBB464_1845:
	s_andn2_b64 vcc, exec, s[2:3]
	s_mov_b64 s[2:3], 0
	s_cbranch_vccnz .LBB464_1852
; %bb.1846:
	s_cmp_gt_i32 s19, 14
	s_mov_b64 s[8:9], -1
	s_cbranch_scc0 .LBB464_1850
; %bb.1847:
	s_cmp_eq_u32 s19, 15
	s_mov_b64 s[0:1], -1
	s_cbranch_scc0 .LBB464_1849
; %bb.1848:
	v_cvt_f32_f64_e32 v2, v[0:1]
	v_bfe_u32 v3, v2, 16, 1
	s_movk_i32 s0, 0x7fff
	v_add3_u32 v3, v2, v3, s0
	v_cmp_o_f32_e32 vcc, v2, v2
	v_mov_b32_e32 v2, 0x7fc0
	s_mov_b64 s[0:1], 0
	v_cndmask_b32_sdwa v2, v2, v3, vcc dst_sel:DWORD dst_unused:UNUSED_PAD src0_sel:DWORD src1_sel:WORD_1
	global_store_short v[8:9], v2, off
	s_mov_b64 s[6:7], -1
.LBB464_1849:
	s_mov_b64 s[8:9], 0
.LBB464_1850:
	s_and_b64 vcc, exec, s[8:9]
	s_cbranch_vccz .LBB464_1852
; %bb.1851:
	s_cmp_lg_u32 s19, 11
	s_mov_b64 s[2:3], -1
	s_cselect_b64 s[0:1], -1, 0
.LBB464_1852:
	s_and_b64 vcc, exec, s[0:1]
	s_cbranch_vccnz .LBB464_2032
; %bb.1853:
	s_andn2_b64 vcc, exec, s[2:3]
	s_cbranch_vccnz .LBB464_1855
.LBB464_1854:
	v_cmp_neq_f64_e32 vcc, 0, v[0:1]
	s_mov_b64 s[6:7], -1
	s_nop 0
	v_cndmask_b32_e64 v2, 0, 1, vcc
	global_store_byte v[8:9], v2, off
.LBB464_1855:
	s_mov_b64 s[0:1], 0
	s_branch .LBB464_1857
.LBB464_1856:
	s_mov_b64 s[0:1], -1
	s_mov_b64 s[6:7], 0
.LBB464_1857:
	s_and_b64 vcc, exec, s[0:1]
	s_cbranch_vccz .LBB464_1896
; %bb.1858:
	s_and_b32 s2, 0xffff, s20
	s_cmp_lt_i32 s2, 5
	s_mov_b64 s[0:1], -1
	s_cbranch_scc1 .LBB464_1879
; %bb.1859:
	s_cmp_lt_i32 s2, 8
	s_cbranch_scc1 .LBB464_1869
; %bb.1860:
	s_cmp_lt_i32 s2, 9
	s_cbranch_scc1 .LBB464_1866
; %bb.1861:
	s_cmp_gt_i32 s2, 9
	s_cbranch_scc0 .LBB464_1863
; %bb.1862:
	v_mov_b32_e32 v2, 0
	v_mov_b32_e32 v3, v2
	global_store_dwordx4 v[8:9], v[0:3], off
	s_mov_b64 s[0:1], 0
.LBB464_1863:
	s_andn2_b64 vcc, exec, s[0:1]
	s_cbranch_vccnz .LBB464_1865
; %bb.1864:
	v_cvt_f32_f64_e32 v2, v[0:1]
	v_mov_b32_e32 v3, 0
	global_store_dwordx2 v[8:9], v[2:3], off
.LBB464_1865:
	s_mov_b64 s[0:1], 0
.LBB464_1866:
	s_andn2_b64 vcc, exec, s[0:1]
	s_cbranch_vccnz .LBB464_1868
; %bb.1867:
	s_movk_i32 s0, 0x1ff
	v_and_or_b32 v2, v1, s0, v0
	v_cmp_ne_u32_e32 vcc, 0, v2
	v_lshrrev_b32_e32 v3, 8, v1
	s_movk_i32 s0, 0xffe
	v_cndmask_b32_e64 v2, 0, 1, vcc
	v_bfe_u32 v7, v1, 20, 11
	v_and_or_b32 v2, v3, s0, v2
	v_sub_u32_e32 v12, 0x3f1, v7
	v_or_b32_e32 v3, 0x1000, v2
	v_med3_i32 v12, v12, 0, 13
	v_lshrrev_b32_e32 v13, v12, v3
	v_lshlrev_b32_e32 v12, v12, v13
	v_cmp_ne_u32_e32 vcc, v12, v3
	v_add_u32_e32 v7, 0xfffffc10, v7
	v_lshl_or_b32 v12, v7, 12, v2
	v_cndmask_b32_e64 v3, 0, 1, vcc
	v_or_b32_e32 v3, v13, v3
	v_cmp_gt_i32_e32 vcc, 1, v7
	s_movk_i32 s0, 0x40f
	s_nop 0
	v_cndmask_b32_e32 v3, v12, v3, vcc
	v_and_b32_e32 v12, 7, v3
	v_cmp_lt_i32_e32 vcc, 5, v12
	v_lshrrev_b32_e32 v3, 2, v3
	s_nop 0
	v_cndmask_b32_e64 v13, 0, 1, vcc
	v_cmp_eq_u32_e32 vcc, 3, v12
	s_nop 1
	v_cndmask_b32_e64 v12, 0, 1, vcc
	v_or_b32_e32 v12, v12, v13
	v_add_u32_e32 v3, v3, v12
	v_mov_b32_e32 v12, 0x7c00
	v_cmp_gt_i32_e32 vcc, 31, v7
	v_mov_b32_e32 v13, 0x7e00
	s_nop 0
	v_cndmask_b32_e32 v3, v12, v3, vcc
	v_cmp_ne_u32_e32 vcc, 0, v2
	s_nop 1
	v_cndmask_b32_e32 v2, v12, v13, vcc
	v_cmp_eq_u32_e32 vcc, s0, v7
	s_mov_b32 s0, 0x8000
	s_nop 0
	v_cndmask_b32_e32 v2, v3, v2, vcc
	v_and_b32_sdwa v3, v1, s0 dst_sel:DWORD dst_unused:UNUSED_PAD src0_sel:WORD_1 src1_sel:DWORD
	s_mov_b32 s0, 0xffff
	v_bitop3_b32 v2, v3, s0, v2 bitop3:0xc8
	global_store_dword v[8:9], v2, off
.LBB464_1868:
	s_mov_b64 s[0:1], 0
.LBB464_1869:
	s_andn2_b64 vcc, exec, s[0:1]
	s_cbranch_vccnz .LBB464_1878
; %bb.1870:
	s_cmp_lt_i32 s2, 6
	s_mov_b64 s[0:1], -1
	s_cbranch_scc1 .LBB464_1876
; %bb.1871:
	s_cmp_gt_i32 s2, 6
	s_cbranch_scc0 .LBB464_1873
; %bb.1872:
	global_store_dwordx2 v[8:9], v[0:1], off
	s_mov_b64 s[0:1], 0
.LBB464_1873:
	s_andn2_b64 vcc, exec, s[0:1]
	s_cbranch_vccnz .LBB464_1875
; %bb.1874:
	v_cvt_f32_f64_e32 v2, v[0:1]
	global_store_dword v[8:9], v2, off
.LBB464_1875:
	s_mov_b64 s[0:1], 0
.LBB464_1876:
	s_andn2_b64 vcc, exec, s[0:1]
	s_cbranch_vccnz .LBB464_1878
; %bb.1877:
	s_movk_i32 s0, 0x1ff
	v_and_or_b32 v2, v1, s0, v0
	v_cmp_ne_u32_e32 vcc, 0, v2
	v_lshrrev_b32_e32 v3, 8, v1
	s_movk_i32 s0, 0xffe
	v_cndmask_b32_e64 v2, 0, 1, vcc
	v_bfe_u32 v7, v1, 20, 11
	v_and_or_b32 v2, v3, s0, v2
	v_sub_u32_e32 v12, 0x3f1, v7
	v_or_b32_e32 v3, 0x1000, v2
	v_med3_i32 v12, v12, 0, 13
	v_lshrrev_b32_e32 v13, v12, v3
	v_lshlrev_b32_e32 v12, v12, v13
	v_cmp_ne_u32_e32 vcc, v12, v3
	v_add_u32_e32 v7, 0xfffffc10, v7
	v_lshl_or_b32 v12, v7, 12, v2
	v_cndmask_b32_e64 v3, 0, 1, vcc
	v_or_b32_e32 v3, v13, v3
	v_cmp_gt_i32_e32 vcc, 1, v7
	s_movk_i32 s0, 0x40f
	s_nop 0
	v_cndmask_b32_e32 v3, v12, v3, vcc
	v_and_b32_e32 v12, 7, v3
	v_cmp_lt_i32_e32 vcc, 5, v12
	v_lshrrev_b32_e32 v3, 2, v3
	s_nop 0
	v_cndmask_b32_e64 v13, 0, 1, vcc
	v_cmp_eq_u32_e32 vcc, 3, v12
	s_nop 1
	v_cndmask_b32_e64 v12, 0, 1, vcc
	v_or_b32_e32 v12, v12, v13
	v_add_u32_e32 v3, v3, v12
	v_mov_b32_e32 v12, 0x7c00
	v_cmp_gt_i32_e32 vcc, 31, v7
	v_mov_b32_e32 v13, 0x7e00
	s_nop 0
	v_cndmask_b32_e32 v3, v12, v3, vcc
	v_cmp_ne_u32_e32 vcc, 0, v2
	s_nop 1
	v_cndmask_b32_e32 v2, v12, v13, vcc
	v_cmp_eq_u32_e32 vcc, s0, v7
	s_mov_b32 s0, 0x8000
	s_nop 0
	v_cndmask_b32_e32 v2, v3, v2, vcc
	v_lshrrev_b32_e32 v3, 16, v1
	v_and_or_b32 v2, v3, s0, v2
	global_store_short v[8:9], v2, off
.LBB464_1878:
	s_mov_b64 s[0:1], 0
.LBB464_1879:
	s_andn2_b64 vcc, exec, s[0:1]
	s_cbranch_vccnz .LBB464_1895
; %bb.1880:
	s_cmp_lt_i32 s2, 2
	s_mov_b64 s[0:1], -1
	s_cbranch_scc1 .LBB464_1890
; %bb.1881:
	s_cmp_lt_i32 s2, 3
	s_cbranch_scc1 .LBB464_1887
; %bb.1882:
	s_cmp_gt_i32 s2, 3
	s_cbranch_scc0 .LBB464_1884
; %bb.1883:
	v_trunc_f64_e32 v[2:3], v[0:1]
	s_movk_i32 s0, 0xffe0
	v_ldexp_f64 v[12:13], v[2:3], s0
	v_floor_f64_e32 v[12:13], v[12:13]
	v_fmac_f64_e32 v[2:3], 0xc1f00000, v[12:13]
	v_cvt_i32_f64_e32 v15, v[12:13]
	v_cvt_u32_f64_e32 v14, v[2:3]
	global_store_dwordx2 v[8:9], v[14:15], off
	s_mov_b64 s[0:1], 0
.LBB464_1884:
	s_andn2_b64 vcc, exec, s[0:1]
	s_cbranch_vccnz .LBB464_1886
; %bb.1885:
	v_cvt_i32_f64_e32 v2, v[0:1]
	global_store_dword v[8:9], v2, off
.LBB464_1886:
	s_mov_b64 s[0:1], 0
.LBB464_1887:
	s_andn2_b64 vcc, exec, s[0:1]
	s_cbranch_vccnz .LBB464_1889
; %bb.1888:
	v_cvt_i32_f64_e32 v2, v[0:1]
	global_store_short v[8:9], v2, off
.LBB464_1889:
	s_mov_b64 s[0:1], 0
.LBB464_1890:
	s_andn2_b64 vcc, exec, s[0:1]
	s_cbranch_vccnz .LBB464_1895
; %bb.1891:
	s_cmp_gt_i32 s2, 0
	s_mov_b64 s[0:1], -1
	s_cbranch_scc0 .LBB464_1893
; %bb.1892:
	v_cvt_i32_f64_e32 v2, v[0:1]
	global_store_byte v[8:9], v2, off
	s_mov_b64 s[0:1], 0
.LBB464_1893:
	s_andn2_b64 vcc, exec, s[0:1]
	s_cbranch_vccnz .LBB464_1895
; %bb.1894:
	v_trunc_f64_e32 v[0:1], v[0:1]
	s_movk_i32 s0, 0xffe0
	v_ldexp_f64 v[2:3], v[0:1], s0
	v_floor_f64_e32 v[2:3], v[2:3]
	v_fmac_f64_e32 v[0:1], 0xc1f00000, v[2:3]
	v_cvt_u32_f64_e32 v0, v[0:1]
	global_store_byte v[8:9], v0, off
.LBB464_1895:
	s_mov_b64 s[6:7], -1
.LBB464_1896:
	s_andn2_b64 vcc, exec, s[6:7]
	s_cbranch_vccnz .LBB464_1973
; %bb.1897:
	v_max_f64 v[0:1], v[4:5], v[4:5]
	v_add_u32_e32 v2, s18, v6
	v_min_f64 v[0:1], v[0:1], v[10:11]
	v_cmp_u_f64_e32 vcc, v[4:5], v[4:5]
	v_ashrrev_i32_e32 v3, 31, v2
	s_cmp_lt_i32 s20, 11
	v_cndmask_b32_e32 v1, v1, v5, vcc
	v_cndmask_b32_e32 v0, v0, v4, vcc
	v_lshl_add_u64 v[4:5], s[4:5], 0, v[2:3]
	s_cbranch_scc1 .LBB464_2018
; %bb.1898:
	s_and_b32 s10, 0xffff, s20
	s_mov_b64 s[4:5], -1
	s_mov_b64 s[2:3], 0
	s_cmp_gt_i32 s10, 25
	s_mov_b64 s[0:1], 0
	s_cbranch_scc0 .LBB464_1931
; %bb.1899:
	s_cmp_gt_i32 s10, 28
	s_cbranch_scc0 .LBB464_1915
; %bb.1900:
	s_cmp_gt_i32 s10, 43
	;; [unrolled: 3-line block ×3, first 2 shown]
	s_cbranch_scc0 .LBB464_1905
; %bb.1902:
	s_cmp_eq_u32 s10, 46
	s_mov_b64 s[0:1], -1
	s_cbranch_scc0 .LBB464_1904
; %bb.1903:
	v_cvt_f32_f64_e32 v2, v[0:1]
	v_bfe_u32 v3, v2, 16, 1
	s_movk_i32 s0, 0x7fff
	v_add3_u32 v3, v2, v3, s0
	v_cmp_o_f32_e32 vcc, v2, v2
	v_mov_b32_e32 v2, 0x7fc0
	s_mov_b64 s[0:1], 0
	v_cndmask_b32_sdwa v2, v2, v3, vcc dst_sel:DWORD dst_unused:UNUSED_PAD src0_sel:DWORD src1_sel:WORD_1
	global_store_dword v[4:5], v2, off
.LBB464_1904:
	s_mov_b64 s[4:5], 0
.LBB464_1905:
	s_and_b64 vcc, exec, s[4:5]
	s_cbranch_vccz .LBB464_1910
; %bb.1906:
	s_cmp_eq_u32 s10, 44
	s_mov_b64 s[0:1], -1
	s_cbranch_scc0 .LBB464_1910
; %bb.1907:
	v_cvt_f32_f64_e32 v2, v[0:1]
	v_bfe_u32 v3, v2, 23, 8
	s_movk_i32 s0, 0xff
	v_cmp_ne_u32_e32 vcc, s0, v3
	v_mov_b32_e32 v6, 0xff
	s_and_saveexec_b64 s[4:5], vcc
; %bb.1908:
	s_mov_b32 s0, 0x3fffff
	v_lshrrev_b32_e32 v6, 23, v2
	v_and_b32_e32 v7, 0x400000, v2
	v_and_or_b32 v2, v2, s0, v3
	v_cmp_ne_u32_e32 vcc, 0, v7
	v_cmp_ne_u32_e64 s[0:1], 0, v2
	s_and_b64 s[0:1], vcc, s[0:1]
	s_nop 0
	v_cndmask_b32_e64 v2, 0, 1, s[0:1]
	v_add_u32_e32 v6, v6, v2
; %bb.1909:
	s_or_b64 exec, exec, s[4:5]
	s_mov_b64 s[0:1], 0
	global_store_byte v[4:5], v6, off
.LBB464_1910:
	s_mov_b64 s[4:5], 0
.LBB464_1911:
	s_and_b64 vcc, exec, s[4:5]
	s_cbranch_vccz .LBB464_1914
; %bb.1912:
	s_cmp_eq_u32 s10, 29
	s_mov_b64 s[0:1], -1
	s_cbranch_scc0 .LBB464_1914
; %bb.1913:
	v_trunc_f64_e32 v[2:3], v[0:1]
	s_movk_i32 s0, 0xffe0
	v_ldexp_f64 v[6:7], v[2:3], s0
	v_floor_f64_e32 v[6:7], v[6:7]
	v_fmac_f64_e32 v[2:3], 0xc1f00000, v[6:7]
	v_cvt_u32_f64_e32 v9, v[6:7]
	v_cvt_u32_f64_e32 v8, v[2:3]
	global_store_dwordx2 v[4:5], v[8:9], off
	s_mov_b64 s[0:1], 0
.LBB464_1914:
	s_mov_b64 s[4:5], 0
.LBB464_1915:
	s_and_b64 vcc, exec, s[4:5]
	s_cbranch_vccz .LBB464_1930
; %bb.1916:
	s_cmp_lt_i32 s10, 27
	s_mov_b64 s[4:5], -1
	s_cbranch_scc1 .LBB464_1922
; %bb.1917:
	s_cmp_gt_i32 s10, 27
	v_cvt_u32_f64_e32 v2, v[0:1]
	s_cbranch_scc0 .LBB464_1919
; %bb.1918:
	global_store_dword v[4:5], v2, off
	s_mov_b64 s[4:5], 0
.LBB464_1919:
	s_andn2_b64 vcc, exec, s[4:5]
	s_cbranch_vccnz .LBB464_1921
; %bb.1920:
	global_store_short v[4:5], v2, off
.LBB464_1921:
	s_mov_b64 s[4:5], 0
.LBB464_1922:
	s_andn2_b64 vcc, exec, s[4:5]
	s_cbranch_vccnz .LBB464_1930
; %bb.1923:
	v_cvt_f32_f64_e32 v2, v[0:1]
	v_and_b32_e32 v3, 0x7fffffff, v2
	s_mov_b32 s4, 0x43800000
	v_cmp_gt_u32_e32 vcc, s4, v3
	v_mov_b32_e32 v6, 0x80
	s_and_saveexec_b64 s[4:5], vcc
	s_cbranch_execz .LBB464_1929
; %bb.1924:
	s_mov_b32 s6, 0x3bffffff
	v_cmp_lt_u32_e32 vcc, s6, v3
	s_mov_b64 s[6:7], 0
                                        ; implicit-def: $vgpr3
	s_and_saveexec_b64 s[8:9], vcc
	s_xor_b64 s[8:9], exec, s[8:9]
	s_cbranch_execz .LBB464_2035
; %bb.1925:
	v_bfe_u32 v3, v2, 20, 1
	s_mov_b32 s11, 0x487ffff
	v_add3_u32 v3, v2, v3, s11
	s_mov_b64 s[6:7], exec
	v_lshrrev_b32_e32 v3, 20, v3
	s_andn2_saveexec_b64 s[8:9], s[8:9]
	s_cbranch_execnz .LBB464_2036
.LBB464_1926:
	s_or_b64 exec, exec, s[8:9]
	v_mov_b32_e32 v6, 0
	s_and_saveexec_b64 s[8:9], s[6:7]
.LBB464_1927:
	v_lshrrev_b32_e32 v2, 24, v2
	s_movk_i32 s6, 0x80
	v_and_or_b32 v6, v2, s6, v3
.LBB464_1928:
	s_or_b64 exec, exec, s[8:9]
.LBB464_1929:
	s_or_b64 exec, exec, s[4:5]
	global_store_byte v[4:5], v6, off
.LBB464_1930:
	s_mov_b64 s[4:5], 0
.LBB464_1931:
	s_and_b64 vcc, exec, s[4:5]
	s_cbranch_vccz .LBB464_1971
; %bb.1932:
	s_cmp_gt_i32 s10, 22
	s_mov_b64 s[2:3], -1
	s_cbranch_scc0 .LBB464_1964
; %bb.1933:
	s_cmp_lt_i32 s10, 24
	s_cbranch_scc1 .LBB464_1953
; %bb.1934:
	s_cmp_gt_i32 s10, 24
	s_cbranch_scc0 .LBB464_1942
; %bb.1935:
	v_cvt_f32_f64_e32 v2, v[0:1]
	v_and_b32_e32 v3, 0x7fffffff, v2
	s_mov_b32 s2, 0x47800000
	v_cmp_gt_u32_e32 vcc, s2, v3
	v_mov_b32_e32 v6, 0x80
	s_and_saveexec_b64 s[2:3], vcc
	s_cbranch_execz .LBB464_1941
; %bb.1936:
	s_mov_b32 s4, 0x37ffffff
	v_cmp_lt_u32_e32 vcc, s4, v3
	s_mov_b64 s[4:5], 0
                                        ; implicit-def: $vgpr3
	s_and_saveexec_b64 s[6:7], vcc
	s_xor_b64 s[6:7], exec, s[6:7]
	s_cbranch_execz .LBB464_2038
; %bb.1937:
	v_bfe_u32 v3, v2, 21, 1
	s_mov_b32 s8, 0x88fffff
	v_add3_u32 v3, v2, v3, s8
	s_mov_b64 s[4:5], exec
	v_lshrrev_b32_e32 v3, 21, v3
	s_andn2_saveexec_b64 s[6:7], s[6:7]
	s_cbranch_execnz .LBB464_2039
.LBB464_1938:
	s_or_b64 exec, exec, s[6:7]
	v_mov_b32_e32 v6, 0
	s_and_saveexec_b64 s[6:7], s[4:5]
.LBB464_1939:
	v_lshrrev_b32_e32 v2, 24, v2
	s_movk_i32 s4, 0x80
	v_and_or_b32 v6, v2, s4, v3
.LBB464_1940:
	s_or_b64 exec, exec, s[6:7]
.LBB464_1941:
	s_or_b64 exec, exec, s[2:3]
	s_mov_b64 s[2:3], 0
	global_store_byte v[4:5], v6, off
.LBB464_1942:
	s_and_b64 vcc, exec, s[2:3]
	s_cbranch_vccz .LBB464_1952
; %bb.1943:
	v_cvt_f32_f64_e32 v2, v[0:1]
	v_and_b32_e32 v6, 0x7fffffff, v2
	s_mov_b32 s2, 0x43f00000
	v_cmp_gt_u32_e32 vcc, s2, v6
                                        ; implicit-def: $vgpr3
	s_and_saveexec_b64 s[2:3], vcc
	s_xor_b64 s[2:3], exec, s[2:3]
	s_cbranch_execz .LBB464_1949
; %bb.1944:
	s_mov_b32 s4, 0x3c7fffff
	v_cmp_lt_u32_e32 vcc, s4, v6
                                        ; implicit-def: $vgpr3
	s_and_saveexec_b64 s[4:5], vcc
	s_xor_b64 s[4:5], exec, s[4:5]
; %bb.1945:
	v_bfe_u32 v3, v2, 20, 1
	s_mov_b32 s6, 0x407ffff
	v_add3_u32 v3, v2, v3, s6
	v_lshrrev_b32_e32 v6, 20, v3
	v_and_b32_e32 v3, 0xff00000, v3
	s_mov_b32 s6, 0x7f00000
	v_mov_b32_e32 v7, 0x7e
	v_cmp_ne_u32_e32 vcc, s6, v3
	s_nop 1
	v_cndmask_b32_e32 v3, v7, v6, vcc
; %bb.1946:
	s_andn2_saveexec_b64 s[4:5], s[4:5]
; %bb.1947:
	s_mov_b32 s6, 0x46800000
	v_add_f32_e64 v3, |v2|, s6
; %bb.1948:
	s_or_b64 exec, exec, s[4:5]
                                        ; implicit-def: $vgpr6
.LBB464_1949:
	s_andn2_saveexec_b64 s[2:3], s[2:3]
; %bb.1950:
	s_mov_b32 s4, 0x7f800000
	v_mov_b32_e32 v3, 0x7e
	v_mov_b32_e32 v7, 0x7f
	v_cmp_lt_u32_e32 vcc, s4, v6
	s_nop 1
	v_cndmask_b32_e32 v3, v3, v7, vcc
; %bb.1951:
	s_or_b64 exec, exec, s[2:3]
	v_lshrrev_b32_e32 v2, 24, v2
	s_movk_i32 s2, 0x80
	v_and_or_b32 v2, v2, s2, v3
	global_store_byte v[4:5], v2, off
.LBB464_1952:
	s_mov_b64 s[2:3], 0
.LBB464_1953:
	s_andn2_b64 vcc, exec, s[2:3]
	s_cbranch_vccnz .LBB464_1963
; %bb.1954:
	v_cvt_f32_f64_e32 v2, v[0:1]
	v_and_b32_e32 v6, 0x7fffffff, v2
	s_mov_b32 s2, 0x47800000
	v_cmp_gt_u32_e32 vcc, s2, v6
                                        ; implicit-def: $vgpr3
	s_and_saveexec_b64 s[2:3], vcc
	s_xor_b64 s[2:3], exec, s[2:3]
	s_cbranch_execz .LBB464_1960
; %bb.1955:
	s_mov_b32 s4, 0x387fffff
	v_cmp_lt_u32_e32 vcc, s4, v6
                                        ; implicit-def: $vgpr3
	s_and_saveexec_b64 s[4:5], vcc
	s_xor_b64 s[4:5], exec, s[4:5]
; %bb.1956:
	v_bfe_u32 v3, v2, 21, 1
	s_mov_b32 s6, 0x80fffff
	v_add3_u32 v3, v2, v3, s6
	v_lshrrev_b32_e32 v3, 21, v3
; %bb.1957:
	s_andn2_saveexec_b64 s[4:5], s[4:5]
; %bb.1958:
	s_mov_b32 s6, 0x43000000
	v_add_f32_e64 v3, |v2|, s6
; %bb.1959:
	s_or_b64 exec, exec, s[4:5]
                                        ; implicit-def: $vgpr6
.LBB464_1960:
	s_andn2_saveexec_b64 s[2:3], s[2:3]
; %bb.1961:
	s_mov_b32 s4, 0x7f800000
	v_mov_b32_e32 v3, 0x7c
	v_mov_b32_e32 v7, 0x7f
	v_cmp_lt_u32_e32 vcc, s4, v6
	s_nop 1
	v_cndmask_b32_e32 v3, v3, v7, vcc
; %bb.1962:
	s_or_b64 exec, exec, s[2:3]
	v_lshrrev_b32_e32 v2, 24, v2
	s_movk_i32 s2, 0x80
	v_and_or_b32 v2, v2, s2, v3
	global_store_byte v[4:5], v2, off
.LBB464_1963:
	s_mov_b64 s[2:3], 0
.LBB464_1964:
	s_andn2_b64 vcc, exec, s[2:3]
	s_mov_b64 s[2:3], 0
	s_cbranch_vccnz .LBB464_1971
; %bb.1965:
	s_cmp_gt_i32 s10, 14
	s_mov_b64 s[4:5], -1
	s_cbranch_scc0 .LBB464_1969
; %bb.1966:
	s_cmp_eq_u32 s10, 15
	s_mov_b64 s[0:1], -1
	s_cbranch_scc0 .LBB464_1968
; %bb.1967:
	v_cvt_f32_f64_e32 v2, v[0:1]
	v_bfe_u32 v3, v2, 16, 1
	s_movk_i32 s0, 0x7fff
	v_add3_u32 v3, v2, v3, s0
	v_cmp_o_f32_e32 vcc, v2, v2
	v_mov_b32_e32 v2, 0x7fc0
	s_mov_b64 s[0:1], 0
	v_cndmask_b32_sdwa v2, v2, v3, vcc dst_sel:DWORD dst_unused:UNUSED_PAD src0_sel:DWORD src1_sel:WORD_1
	global_store_short v[4:5], v2, off
.LBB464_1968:
	s_mov_b64 s[4:5], 0
.LBB464_1969:
	s_and_b64 vcc, exec, s[4:5]
	s_cbranch_vccz .LBB464_1971
; %bb.1970:
	s_cmp_lg_u32 s10, 11
	s_mov_b64 s[2:3], -1
	s_cselect_b64 s[0:1], -1, 0
.LBB464_1971:
	s_and_b64 vcc, exec, s[0:1]
	s_cbranch_vccnz .LBB464_2037
.LBB464_1972:
	s_mov_b64 s[0:1], 0
	s_branch .LBB464_1974
.LBB464_1973:
	s_mov_b64 s[0:1], 0
	s_mov_b64 s[2:3], 0
                                        ; implicit-def: $sgpr20
                                        ; implicit-def: $vgpr4_vgpr5
                                        ; implicit-def: $vgpr0_vgpr1
.LBB464_1974:
	s_andn2_b64 s[4:5], s[14:15], exec
	s_and_b64 s[6:7], s[16:17], exec
	s_and_b64 s[0:1], s[0:1], exec
	;; [unrolled: 1-line block ×3, first 2 shown]
	s_or_b64 s[14:15], s[4:5], s[6:7]
.LBB464_1975:
	s_or_b64 exec, exec, s[12:13]
	s_and_saveexec_b64 s[4:5], s[14:15]
	s_cbranch_execz .LBB464_1978
; %bb.1976:
	; divergent unreachable
	s_or_b64 exec, exec, s[4:5]
	s_and_saveexec_b64 s[4:5], s[2:3]
	s_xor_b64 s[2:3], exec, s[4:5]
	s_cbranch_execnz .LBB464_1979
.LBB464_1977:
	s_or_b64 exec, exec, s[2:3]
	s_and_saveexec_b64 s[2:3], s[0:1]
	s_cbranch_execnz .LBB464_1980
	s_branch .LBB464_2017
.LBB464_1978:
	s_or_b64 exec, exec, s[4:5]
	s_and_saveexec_b64 s[4:5], s[2:3]
	s_xor_b64 s[2:3], exec, s[4:5]
	s_cbranch_execz .LBB464_1977
.LBB464_1979:
	s_waitcnt vmcnt(0)
	v_cmp_neq_f64_e32 vcc, 0, v[0:1]
	s_nop 1
	v_cndmask_b32_e64 v2, 0, 1, vcc
	global_store_byte v[4:5], v2, off
	s_or_b64 exec, exec, s[2:3]
	s_and_saveexec_b64 s[2:3], s[0:1]
	s_cbranch_execz .LBB464_2017
.LBB464_1980:
	s_sext_i32_i16 s2, s20
	s_cmp_lt_i32 s2, 5
	s_mov_b64 s[0:1], -1
	s_cbranch_scc1 .LBB464_2001
; %bb.1981:
	s_cmp_lt_i32 s2, 8
	s_cbranch_scc1 .LBB464_1991
; %bb.1982:
	s_cmp_lt_i32 s2, 9
	s_cbranch_scc1 .LBB464_1988
; %bb.1983:
	s_cmp_gt_i32 s2, 9
	s_cbranch_scc0 .LBB464_1985
; %bb.1984:
	s_waitcnt vmcnt(0)
	v_mov_b32_e32 v2, 0
	v_mov_b32_e32 v3, v2
	global_store_dwordx4 v[4:5], v[0:3], off
	s_mov_b64 s[0:1], 0
.LBB464_1985:
	s_andn2_b64 vcc, exec, s[0:1]
	s_cbranch_vccnz .LBB464_1987
; %bb.1986:
	s_waitcnt vmcnt(0)
	v_cvt_f32_f64_e32 v2, v[0:1]
	v_mov_b32_e32 v3, 0
	global_store_dwordx2 v[4:5], v[2:3], off
.LBB464_1987:
	s_mov_b64 s[0:1], 0
.LBB464_1988:
	s_andn2_b64 vcc, exec, s[0:1]
	s_cbranch_vccnz .LBB464_1990
; %bb.1989:
	s_movk_i32 s0, 0x1ff
	s_waitcnt vmcnt(0)
	v_and_or_b32 v2, v1, s0, v0
	v_cmp_ne_u32_e32 vcc, 0, v2
	v_lshrrev_b32_e32 v3, 8, v1
	s_movk_i32 s0, 0xffe
	v_cndmask_b32_e64 v2, 0, 1, vcc
	v_bfe_u32 v6, v1, 20, 11
	v_and_or_b32 v2, v3, s0, v2
	v_sub_u32_e32 v7, 0x3f1, v6
	v_or_b32_e32 v3, 0x1000, v2
	v_med3_i32 v7, v7, 0, 13
	v_lshrrev_b32_e32 v8, v7, v3
	v_lshlrev_b32_e32 v7, v7, v8
	v_cmp_ne_u32_e32 vcc, v7, v3
	v_add_u32_e32 v6, 0xfffffc10, v6
	v_lshl_or_b32 v7, v6, 12, v2
	v_cndmask_b32_e64 v3, 0, 1, vcc
	v_or_b32_e32 v3, v8, v3
	v_cmp_gt_i32_e32 vcc, 1, v6
	s_movk_i32 s0, 0x40f
	s_nop 0
	v_cndmask_b32_e32 v3, v7, v3, vcc
	v_and_b32_e32 v7, 7, v3
	v_cmp_lt_i32_e32 vcc, 5, v7
	v_lshrrev_b32_e32 v3, 2, v3
	s_nop 0
	v_cndmask_b32_e64 v8, 0, 1, vcc
	v_cmp_eq_u32_e32 vcc, 3, v7
	s_nop 1
	v_cndmask_b32_e64 v7, 0, 1, vcc
	v_or_b32_e32 v7, v7, v8
	v_add_u32_e32 v3, v3, v7
	v_mov_b32_e32 v7, 0x7c00
	v_cmp_gt_i32_e32 vcc, 31, v6
	v_mov_b32_e32 v8, 0x7e00
	s_nop 0
	v_cndmask_b32_e32 v3, v7, v3, vcc
	v_cmp_ne_u32_e32 vcc, 0, v2
	s_nop 1
	v_cndmask_b32_e32 v2, v7, v8, vcc
	v_cmp_eq_u32_e32 vcc, s0, v6
	s_mov_b32 s0, 0x8000
	s_nop 0
	v_cndmask_b32_e32 v2, v3, v2, vcc
	v_and_b32_sdwa v3, v1, s0 dst_sel:DWORD dst_unused:UNUSED_PAD src0_sel:WORD_1 src1_sel:DWORD
	s_mov_b32 s0, 0xffff
	v_bitop3_b32 v2, v3, s0, v2 bitop3:0xc8
	global_store_dword v[4:5], v2, off
.LBB464_1990:
	s_mov_b64 s[0:1], 0
.LBB464_1991:
	s_andn2_b64 vcc, exec, s[0:1]
	s_cbranch_vccnz .LBB464_2000
; %bb.1992:
	s_sext_i32_i16 s2, s20
	s_cmp_lt_i32 s2, 6
	s_mov_b64 s[0:1], -1
	s_cbranch_scc1 .LBB464_1998
; %bb.1993:
	s_cmp_gt_i32 s2, 6
	s_cbranch_scc0 .LBB464_1995
; %bb.1994:
	s_waitcnt vmcnt(0)
	global_store_dwordx2 v[4:5], v[0:1], off
	s_mov_b64 s[0:1], 0
.LBB464_1995:
	s_andn2_b64 vcc, exec, s[0:1]
	s_cbranch_vccnz .LBB464_1997
; %bb.1996:
	s_waitcnt vmcnt(0)
	v_cvt_f32_f64_e32 v2, v[0:1]
	global_store_dword v[4:5], v2, off
.LBB464_1997:
	s_mov_b64 s[0:1], 0
.LBB464_1998:
	s_andn2_b64 vcc, exec, s[0:1]
	s_cbranch_vccnz .LBB464_2000
; %bb.1999:
	s_movk_i32 s0, 0x1ff
	s_waitcnt vmcnt(0)
	v_and_or_b32 v2, v1, s0, v0
	v_cmp_ne_u32_e32 vcc, 0, v2
	v_lshrrev_b32_e32 v3, 8, v1
	s_movk_i32 s0, 0xffe
	v_cndmask_b32_e64 v2, 0, 1, vcc
	v_bfe_u32 v6, v1, 20, 11
	v_and_or_b32 v2, v3, s0, v2
	v_sub_u32_e32 v7, 0x3f1, v6
	v_or_b32_e32 v3, 0x1000, v2
	v_med3_i32 v7, v7, 0, 13
	v_lshrrev_b32_e32 v8, v7, v3
	v_lshlrev_b32_e32 v7, v7, v8
	v_cmp_ne_u32_e32 vcc, v7, v3
	v_add_u32_e32 v6, 0xfffffc10, v6
	v_lshl_or_b32 v7, v6, 12, v2
	v_cndmask_b32_e64 v3, 0, 1, vcc
	v_or_b32_e32 v3, v8, v3
	v_cmp_gt_i32_e32 vcc, 1, v6
	s_movk_i32 s0, 0x40f
	s_nop 0
	v_cndmask_b32_e32 v3, v7, v3, vcc
	v_and_b32_e32 v7, 7, v3
	v_cmp_lt_i32_e32 vcc, 5, v7
	v_lshrrev_b32_e32 v3, 2, v3
	s_nop 0
	v_cndmask_b32_e64 v8, 0, 1, vcc
	v_cmp_eq_u32_e32 vcc, 3, v7
	s_nop 1
	v_cndmask_b32_e64 v7, 0, 1, vcc
	v_or_b32_e32 v7, v7, v8
	v_add_u32_e32 v3, v3, v7
	v_mov_b32_e32 v7, 0x7c00
	v_cmp_gt_i32_e32 vcc, 31, v6
	v_mov_b32_e32 v8, 0x7e00
	s_nop 0
	v_cndmask_b32_e32 v3, v7, v3, vcc
	v_cmp_ne_u32_e32 vcc, 0, v2
	s_nop 1
	v_cndmask_b32_e32 v2, v7, v8, vcc
	v_cmp_eq_u32_e32 vcc, s0, v6
	s_mov_b32 s0, 0x8000
	s_nop 0
	v_cndmask_b32_e32 v2, v3, v2, vcc
	v_lshrrev_b32_e32 v3, 16, v1
	v_and_or_b32 v2, v3, s0, v2
	global_store_short v[4:5], v2, off
.LBB464_2000:
	s_mov_b64 s[0:1], 0
.LBB464_2001:
	s_andn2_b64 vcc, exec, s[0:1]
	s_cbranch_vccnz .LBB464_2017
; %bb.2002:
	s_sext_i32_i16 s2, s20
	s_cmp_lt_i32 s2, 2
	s_mov_b64 s[0:1], -1
	s_cbranch_scc1 .LBB464_2012
; %bb.2003:
	s_cmp_lt_i32 s2, 3
	s_cbranch_scc1 .LBB464_2009
; %bb.2004:
	s_cmp_gt_i32 s2, 3
	s_cbranch_scc0 .LBB464_2006
; %bb.2005:
	s_waitcnt vmcnt(0)
	v_trunc_f64_e32 v[2:3], v[0:1]
	s_movk_i32 s0, 0xffe0
	v_ldexp_f64 v[6:7], v[2:3], s0
	v_floor_f64_e32 v[6:7], v[6:7]
	v_fmac_f64_e32 v[2:3], 0xc1f00000, v[6:7]
	v_cvt_i32_f64_e32 v9, v[6:7]
	v_cvt_u32_f64_e32 v8, v[2:3]
	global_store_dwordx2 v[4:5], v[8:9], off
	s_mov_b64 s[0:1], 0
.LBB464_2006:
	s_andn2_b64 vcc, exec, s[0:1]
	s_cbranch_vccnz .LBB464_2008
; %bb.2007:
	s_waitcnt vmcnt(0)
	v_cvt_i32_f64_e32 v2, v[0:1]
	global_store_dword v[4:5], v2, off
.LBB464_2008:
	s_mov_b64 s[0:1], 0
.LBB464_2009:
	s_andn2_b64 vcc, exec, s[0:1]
	s_cbranch_vccnz .LBB464_2011
; %bb.2010:
	s_waitcnt vmcnt(0)
	v_cvt_i32_f64_e32 v2, v[0:1]
	global_store_short v[4:5], v2, off
.LBB464_2011:
	s_mov_b64 s[0:1], 0
.LBB464_2012:
	s_andn2_b64 vcc, exec, s[0:1]
	s_cbranch_vccnz .LBB464_2017
; %bb.2013:
	s_sext_i32_i16 s0, s20
	s_cmp_gt_i32 s0, 0
	s_mov_b64 s[0:1], -1
	s_cbranch_scc0 .LBB464_2015
; %bb.2014:
	s_waitcnt vmcnt(0)
	v_cvt_i32_f64_e32 v2, v[0:1]
	global_store_byte v[4:5], v2, off
	s_mov_b64 s[0:1], 0
.LBB464_2015:
	s_andn2_b64 vcc, exec, s[0:1]
	s_cbranch_vccnz .LBB464_2017
; %bb.2016:
	s_waitcnt vmcnt(0)
	v_trunc_f64_e32 v[0:1], v[0:1]
	s_movk_i32 s0, 0xffe0
	v_ldexp_f64 v[2:3], v[0:1], s0
	v_floor_f64_e32 v[2:3], v[2:3]
	v_fmac_f64_e32 v[0:1], 0xc1f00000, v[2:3]
	v_cvt_u32_f64_e32 v0, v[0:1]
	global_store_byte v[4:5], v0, off
	s_endpgm
.LBB464_2017:
	s_endpgm
.LBB464_2018:
	s_mov_b64 s[2:3], 0
	s_mov_b64 s[0:1], -1
	s_branch .LBB464_1974
.LBB464_2019:
	s_trap 2
	s_or_b64 s[16:17], s[16:17], exec
	s_cbranch_execz .LBB464_1488
	s_branch .LBB464_1489
.LBB464_2020:
	s_andn2_saveexec_b64 s[18:19], s[18:19]
	s_cbranch_execz .LBB464_1568
.LBB464_2021:
	s_mov_b32 s21, 0x46000000
	v_add_f32_e64 v3, |v2|, s21
	v_and_b32_e32 v3, 0xff, v3
	v_cmp_ne_u32_e32 vcc, 0, v3
	s_andn2_b64 s[10:11], s[10:11], exec
	s_and_b64 s[22:23], vcc, exec
	s_or_b64 s[10:11], s[10:11], s[22:23]
	s_or_b64 exec, exec, s[18:19]
	v_mov_b32_e32 v13, 0
	s_and_saveexec_b64 s[18:19], s[10:11]
	s_cbranch_execnz .LBB464_1569
	s_branch .LBB464_1570
.LBB464_2022:
	s_trap 2
	s_or_b64 s[16:17], s[16:17], exec
	s_cbranch_execz .LBB464_1616
	s_branch .LBB464_1617
.LBB464_2023:
	s_andn2_saveexec_b64 s[10:11], s[10:11]
	s_cbranch_execz .LBB464_1581
.LBB464_2024:
	s_mov_b32 s18, 0x42800000
	v_add_f32_e64 v3, |v2|, s18
	v_and_b32_e32 v3, 0xff, v3
	v_cmp_ne_u32_e32 vcc, 0, v3
	s_andn2_b64 s[6:7], s[6:7], exec
	s_and_b64 s[18:19], vcc, exec
	s_or_b64 s[6:7], s[6:7], s[18:19]
	s_or_b64 exec, exec, s[10:11]
	v_mov_b32_e32 v13, 0
	s_and_saveexec_b64 s[10:11], s[6:7]
	s_cbranch_execnz .LBB464_1582
	s_branch .LBB464_1583
.LBB464_2025:
	s_andn2_saveexec_b64 s[10:11], s[10:11]
	s_cbranch_execz .LBB464_1687
.LBB464_2026:
	s_mov_b32 s21, 0x46000000
	v_add_f32_e64 v3, |v2|, s21
	v_and_b32_e32 v3, 0xff, v3
	v_cmp_ne_u32_e32 vcc, 0, v3
	s_andn2_b64 s[8:9], s[8:9], exec
	s_and_b64 s[22:23], vcc, exec
	s_or_b64 s[8:9], s[8:9], s[22:23]
	s_or_b64 exec, exec, s[10:11]
	v_mov_b32_e32 v9, 0
	s_and_saveexec_b64 s[10:11], s[8:9]
	s_cbranch_execnz .LBB464_1688
	s_branch .LBB464_1689
.LBB464_2027:
	s_trap 2
	s_or_b64 s[16:17], s[16:17], exec
	s_cbranch_execz .LBB464_1735
	s_branch .LBB464_1736
.LBB464_2028:
	s_andn2_saveexec_b64 s[8:9], s[8:9]
	s_cbranch_execz .LBB464_1700
.LBB464_2029:
	s_mov_b32 s10, 0x42800000
	v_add_f32_e64 v3, |v2|, s10
	v_and_b32_e32 v3, 0xff, v3
	v_cmp_ne_u32_e32 vcc, 0, v3
	s_andn2_b64 s[6:7], s[6:7], exec
	s_and_b64 s[10:11], vcc, exec
	s_or_b64 s[6:7], s[6:7], s[10:11]
	s_or_b64 exec, exec, s[8:9]
	v_mov_b32_e32 v9, 0
	s_and_saveexec_b64 s[8:9], s[6:7]
	s_cbranch_execnz .LBB464_1701
	s_branch .LBB464_1702
.LBB464_2030:
	s_andn2_saveexec_b64 s[10:11], s[10:11]
	s_cbranch_execz .LBB464_1806
.LBB464_2031:
	s_mov_b32 s21, 0x46000000
	v_add_f32_e64 v3, |v2|, s21
	v_and_b32_e32 v3, 0xff, v3
	v_cmp_ne_u32_e32 vcc, 0, v3
	s_andn2_b64 s[8:9], s[8:9], exec
	s_and_b64 s[22:23], vcc, exec
	s_or_b64 s[8:9], s[8:9], s[22:23]
	s_or_b64 exec, exec, s[10:11]
	v_mov_b32_e32 v7, 0
	s_and_saveexec_b64 s[10:11], s[8:9]
	s_cbranch_execnz .LBB464_1807
	s_branch .LBB464_1808
.LBB464_2032:
	s_trap 2
	s_or_b64 s[16:17], s[16:17], exec
	s_cbranch_execz .LBB464_1854
	s_branch .LBB464_1855
.LBB464_2033:
	s_andn2_saveexec_b64 s[8:9], s[8:9]
	s_cbranch_execz .LBB464_1819
.LBB464_2034:
	s_mov_b32 s10, 0x42800000
	v_add_f32_e64 v3, |v2|, s10
	v_and_b32_e32 v3, 0xff, v3
	v_cmp_ne_u32_e32 vcc, 0, v3
	s_andn2_b64 s[6:7], s[6:7], exec
	s_and_b64 s[10:11], vcc, exec
	s_or_b64 s[6:7], s[6:7], s[10:11]
	s_or_b64 exec, exec, s[8:9]
	v_mov_b32_e32 v7, 0
	s_and_saveexec_b64 s[8:9], s[6:7]
	s_cbranch_execnz .LBB464_1820
	s_branch .LBB464_1821
.LBB464_2035:
	s_andn2_saveexec_b64 s[8:9], s[8:9]
	s_cbranch_execz .LBB464_1926
.LBB464_2036:
	s_mov_b32 s11, 0x46000000
	v_add_f32_e64 v3, |v2|, s11
	v_and_b32_e32 v3, 0xff, v3
	v_cmp_ne_u32_e32 vcc, 0, v3
	s_andn2_b64 s[6:7], s[6:7], exec
	s_and_b64 s[18:19], vcc, exec
	s_or_b64 s[6:7], s[6:7], s[18:19]
	s_or_b64 exec, exec, s[8:9]
	v_mov_b32_e32 v6, 0
	s_and_saveexec_b64 s[8:9], s[6:7]
	s_cbranch_execnz .LBB464_1927
	s_branch .LBB464_1928
.LBB464_2037:
	s_mov_b64 s[2:3], 0
	s_or_b64 s[16:17], s[16:17], exec
	s_trap 2
	s_branch .LBB464_1972
.LBB464_2038:
	s_andn2_saveexec_b64 s[6:7], s[6:7]
	s_cbranch_execz .LBB464_1938
.LBB464_2039:
	s_mov_b32 s8, 0x42800000
	v_add_f32_e64 v3, |v2|, s8
	v_and_b32_e32 v3, 0xff, v3
	v_cmp_ne_u32_e32 vcc, 0, v3
	s_andn2_b64 s[4:5], s[4:5], exec
	s_and_b64 s[8:9], vcc, exec
	s_or_b64 s[4:5], s[4:5], s[8:9]
	s_or_b64 exec, exec, s[6:7]
	v_mov_b32_e32 v6, 0
	s_and_saveexec_b64 s[6:7], s[4:5]
	s_cbranch_execnz .LBB464_1939
	s_branch .LBB464_1940
	.section	.rodata,"a",@progbits
	.p2align	6, 0x0
	.amdhsa_kernel _ZN2at6native32elementwise_kernel_manual_unrollILi128ELi4EZNS0_15gpu_kernel_implIZZZNS0_21clamp_max_kernel_cudaERNS_18TensorIteratorBaseERKN3c106ScalarEENKUlvE_clEvENKUlvE4_clEvEUldE_EEvS4_RKT_EUlibE_EEviT1_
		.amdhsa_group_segment_fixed_size 0
		.amdhsa_private_segment_fixed_size 0
		.amdhsa_kernarg_size 48
		.amdhsa_user_sgpr_count 2
		.amdhsa_user_sgpr_dispatch_ptr 0
		.amdhsa_user_sgpr_queue_ptr 0
		.amdhsa_user_sgpr_kernarg_segment_ptr 1
		.amdhsa_user_sgpr_dispatch_id 0
		.amdhsa_user_sgpr_kernarg_preload_length 0
		.amdhsa_user_sgpr_kernarg_preload_offset 0
		.amdhsa_user_sgpr_private_segment_size 0
		.amdhsa_uses_dynamic_stack 0
		.amdhsa_enable_private_segment 0
		.amdhsa_system_sgpr_workgroup_id_x 1
		.amdhsa_system_sgpr_workgroup_id_y 0
		.amdhsa_system_sgpr_workgroup_id_z 0
		.amdhsa_system_sgpr_workgroup_info 0
		.amdhsa_system_vgpr_workitem_id 0
		.amdhsa_next_free_vgpr 20
		.amdhsa_next_free_sgpr 46
		.amdhsa_accum_offset 20
		.amdhsa_reserve_vcc 1
		.amdhsa_float_round_mode_32 0
		.amdhsa_float_round_mode_16_64 0
		.amdhsa_float_denorm_mode_32 3
		.amdhsa_float_denorm_mode_16_64 3
		.amdhsa_dx10_clamp 1
		.amdhsa_ieee_mode 1
		.amdhsa_fp16_overflow 0
		.amdhsa_tg_split 0
		.amdhsa_exception_fp_ieee_invalid_op 0
		.amdhsa_exception_fp_denorm_src 0
		.amdhsa_exception_fp_ieee_div_zero 0
		.amdhsa_exception_fp_ieee_overflow 0
		.amdhsa_exception_fp_ieee_underflow 0
		.amdhsa_exception_fp_ieee_inexact 0
		.amdhsa_exception_int_div_zero 0
	.end_amdhsa_kernel
	.section	.text._ZN2at6native32elementwise_kernel_manual_unrollILi128ELi4EZNS0_15gpu_kernel_implIZZZNS0_21clamp_max_kernel_cudaERNS_18TensorIteratorBaseERKN3c106ScalarEENKUlvE_clEvENKUlvE4_clEvEUldE_EEvS4_RKT_EUlibE_EEviT1_,"axG",@progbits,_ZN2at6native32elementwise_kernel_manual_unrollILi128ELi4EZNS0_15gpu_kernel_implIZZZNS0_21clamp_max_kernel_cudaERNS_18TensorIteratorBaseERKN3c106ScalarEENKUlvE_clEvENKUlvE4_clEvEUldE_EEvS4_RKT_EUlibE_EEviT1_,comdat
.Lfunc_end464:
	.size	_ZN2at6native32elementwise_kernel_manual_unrollILi128ELi4EZNS0_15gpu_kernel_implIZZZNS0_21clamp_max_kernel_cudaERNS_18TensorIteratorBaseERKN3c106ScalarEENKUlvE_clEvENKUlvE4_clEvEUldE_EEvS4_RKT_EUlibE_EEviT1_, .Lfunc_end464-_ZN2at6native32elementwise_kernel_manual_unrollILi128ELi4EZNS0_15gpu_kernel_implIZZZNS0_21clamp_max_kernel_cudaERNS_18TensorIteratorBaseERKN3c106ScalarEENKUlvE_clEvENKUlvE4_clEvEUldE_EEvS4_RKT_EUlibE_EEviT1_
                                        ; -- End function
	.set _ZN2at6native32elementwise_kernel_manual_unrollILi128ELi4EZNS0_15gpu_kernel_implIZZZNS0_21clamp_max_kernel_cudaERNS_18TensorIteratorBaseERKN3c106ScalarEENKUlvE_clEvENKUlvE4_clEvEUldE_EEvS4_RKT_EUlibE_EEviT1_.num_vgpr, 20
	.set _ZN2at6native32elementwise_kernel_manual_unrollILi128ELi4EZNS0_15gpu_kernel_implIZZZNS0_21clamp_max_kernel_cudaERNS_18TensorIteratorBaseERKN3c106ScalarEENKUlvE_clEvENKUlvE4_clEvEUldE_EEvS4_RKT_EUlibE_EEviT1_.num_agpr, 0
	.set _ZN2at6native32elementwise_kernel_manual_unrollILi128ELi4EZNS0_15gpu_kernel_implIZZZNS0_21clamp_max_kernel_cudaERNS_18TensorIteratorBaseERKN3c106ScalarEENKUlvE_clEvENKUlvE4_clEvEUldE_EEvS4_RKT_EUlibE_EEviT1_.numbered_sgpr, 46
	.set _ZN2at6native32elementwise_kernel_manual_unrollILi128ELi4EZNS0_15gpu_kernel_implIZZZNS0_21clamp_max_kernel_cudaERNS_18TensorIteratorBaseERKN3c106ScalarEENKUlvE_clEvENKUlvE4_clEvEUldE_EEvS4_RKT_EUlibE_EEviT1_.num_named_barrier, 0
	.set _ZN2at6native32elementwise_kernel_manual_unrollILi128ELi4EZNS0_15gpu_kernel_implIZZZNS0_21clamp_max_kernel_cudaERNS_18TensorIteratorBaseERKN3c106ScalarEENKUlvE_clEvENKUlvE4_clEvEUldE_EEvS4_RKT_EUlibE_EEviT1_.private_seg_size, 0
	.set _ZN2at6native32elementwise_kernel_manual_unrollILi128ELi4EZNS0_15gpu_kernel_implIZZZNS0_21clamp_max_kernel_cudaERNS_18TensorIteratorBaseERKN3c106ScalarEENKUlvE_clEvENKUlvE4_clEvEUldE_EEvS4_RKT_EUlibE_EEviT1_.uses_vcc, 1
	.set _ZN2at6native32elementwise_kernel_manual_unrollILi128ELi4EZNS0_15gpu_kernel_implIZZZNS0_21clamp_max_kernel_cudaERNS_18TensorIteratorBaseERKN3c106ScalarEENKUlvE_clEvENKUlvE4_clEvEUldE_EEvS4_RKT_EUlibE_EEviT1_.uses_flat_scratch, 0
	.set _ZN2at6native32elementwise_kernel_manual_unrollILi128ELi4EZNS0_15gpu_kernel_implIZZZNS0_21clamp_max_kernel_cudaERNS_18TensorIteratorBaseERKN3c106ScalarEENKUlvE_clEvENKUlvE4_clEvEUldE_EEvS4_RKT_EUlibE_EEviT1_.has_dyn_sized_stack, 0
	.set _ZN2at6native32elementwise_kernel_manual_unrollILi128ELi4EZNS0_15gpu_kernel_implIZZZNS0_21clamp_max_kernel_cudaERNS_18TensorIteratorBaseERKN3c106ScalarEENKUlvE_clEvENKUlvE4_clEvEUldE_EEvS4_RKT_EUlibE_EEviT1_.has_recursion, 0
	.set _ZN2at6native32elementwise_kernel_manual_unrollILi128ELi4EZNS0_15gpu_kernel_implIZZZNS0_21clamp_max_kernel_cudaERNS_18TensorIteratorBaseERKN3c106ScalarEENKUlvE_clEvENKUlvE4_clEvEUldE_EEvS4_RKT_EUlibE_EEviT1_.has_indirect_call, 0
	.section	.AMDGPU.csdata,"",@progbits
; Kernel info:
; codeLenInByte = 35936
; TotalNumSgprs: 52
; NumVgprs: 20
; NumAgprs: 0
; TotalNumVgprs: 20
; ScratchSize: 0
; MemoryBound: 1
; FloatMode: 240
; IeeeMode: 1
; LDSByteSize: 0 bytes/workgroup (compile time only)
; SGPRBlocks: 6
; VGPRBlocks: 2
; NumSGPRsForWavesPerEU: 52
; NumVGPRsForWavesPerEU: 20
; AccumOffset: 20
; Occupancy: 8
; WaveLimiterHint : 0
; COMPUTE_PGM_RSRC2:SCRATCH_EN: 0
; COMPUTE_PGM_RSRC2:USER_SGPR: 2
; COMPUTE_PGM_RSRC2:TRAP_HANDLER: 0
; COMPUTE_PGM_RSRC2:TGID_X_EN: 1
; COMPUTE_PGM_RSRC2:TGID_Y_EN: 0
; COMPUTE_PGM_RSRC2:TGID_Z_EN: 0
; COMPUTE_PGM_RSRC2:TIDIG_COMP_CNT: 0
; COMPUTE_PGM_RSRC3_GFX90A:ACCUM_OFFSET: 4
; COMPUTE_PGM_RSRC3_GFX90A:TG_SPLIT: 0
	.section	.text._ZN2at6native32elementwise_kernel_manual_unrollILi128ELi4EZNS0_15gpu_kernel_implIZZZNS0_21clamp_max_kernel_cudaERNS_18TensorIteratorBaseERKN3c106ScalarEENKUlvE_clEvENKUlvE4_clEvEUldE_EEvS4_RKT_EUlibE0_EEviT1_,"axG",@progbits,_ZN2at6native32elementwise_kernel_manual_unrollILi128ELi4EZNS0_15gpu_kernel_implIZZZNS0_21clamp_max_kernel_cudaERNS_18TensorIteratorBaseERKN3c106ScalarEENKUlvE_clEvENKUlvE4_clEvEUldE_EEvS4_RKT_EUlibE0_EEviT1_,comdat
	.globl	_ZN2at6native32elementwise_kernel_manual_unrollILi128ELi4EZNS0_15gpu_kernel_implIZZZNS0_21clamp_max_kernel_cudaERNS_18TensorIteratorBaseERKN3c106ScalarEENKUlvE_clEvENKUlvE4_clEvEUldE_EEvS4_RKT_EUlibE0_EEviT1_ ; -- Begin function _ZN2at6native32elementwise_kernel_manual_unrollILi128ELi4EZNS0_15gpu_kernel_implIZZZNS0_21clamp_max_kernel_cudaERNS_18TensorIteratorBaseERKN3c106ScalarEENKUlvE_clEvENKUlvE4_clEvEUldE_EEvS4_RKT_EUlibE0_EEviT1_
	.p2align	8
	.type	_ZN2at6native32elementwise_kernel_manual_unrollILi128ELi4EZNS0_15gpu_kernel_implIZZZNS0_21clamp_max_kernel_cudaERNS_18TensorIteratorBaseERKN3c106ScalarEENKUlvE_clEvENKUlvE4_clEvEUldE_EEvS4_RKT_EUlibE0_EEviT1_,@function
_ZN2at6native32elementwise_kernel_manual_unrollILi128ELi4EZNS0_15gpu_kernel_implIZZZNS0_21clamp_max_kernel_cudaERNS_18TensorIteratorBaseERKN3c106ScalarEENKUlvE_clEvENKUlvE4_clEvEUldE_EEvS4_RKT_EUlibE0_EEviT1_: ; @_ZN2at6native32elementwise_kernel_manual_unrollILi128ELi4EZNS0_15gpu_kernel_implIZZZNS0_21clamp_max_kernel_cudaERNS_18TensorIteratorBaseERKN3c106ScalarEENKUlvE_clEvENKUlvE4_clEvEUldE_EEvS4_RKT_EUlibE0_EEviT1_
; %bb.0:
	s_load_dword s72, s[0:1], 0x0
	s_load_dword s33, s[0:1], 0x8
	s_add_u32 s34, s0, 8
	s_addc_u32 s35, s1, 0
	v_lshl_or_b32 v10, s2, 9, v0
	v_or_b32_e32 v16, 0x180, v10
	s_waitcnt lgkmcnt(0)
	s_add_i32 s74, s33, -1
	s_cmp_gt_u32 s74, 1
	v_cmp_le_i32_e32 vcc, s72, v16
	s_cselect_b64 s[42:43], -1, 0
	s_mov_b64 s[40:41], 0
	s_mov_b64 s[24:25], 0
	s_and_saveexec_b64 s[2:3], vcc
	s_xor_b64 s[44:45], exec, s[2:3]
	s_cbranch_execz .LBB465_1090
; %bb.1:
	s_load_dwordx4 s[24:27], s[34:35], 0x4
	s_load_dwordx2 s[48:49], s[34:35], 0x14
	s_load_dwordx2 s[46:47], s[34:35], 0x158
	s_load_dword s75, s[34:35], 0x160
	s_cmp_lg_u32 s33, 0
	s_load_dwordx4 s[28:31], s[34:35], 0xc4
	s_load_dwordx4 s[20:23], s[34:35], 0x148
	s_cselect_b64 s[54:55], -1, 0
	s_add_u32 s52, s34, 0xc4
	s_addc_u32 s53, s35, 0
	s_min_u32 s77, s74, 15
	s_cmp_gt_u32 s33, 1
	s_cselect_b64 s[50:51], -1, 0
	s_waitcnt lgkmcnt(0)
	s_bfe_u32 s76, s75, 0x80008
	v_cmp_gt_i32_e32 vcc, s72, v10
	s_mov_b64 s[4:5], -1
	s_mov_b64 s[64:65], 0
	s_mov_b64 s[58:59], 0
	;; [unrolled: 1-line block ×3, first 2 shown]
	s_and_saveexec_b64 s[60:61], vcc
	s_cbranch_execz .LBB465_267
; %bb.2:
	s_andn2_b64 vcc, exec, s[42:43]
	s_cbranch_vccnz .LBB465_8
; %bb.3:
	s_andn2_b64 vcc, exec, s[54:55]
	s_cbranch_vccnz .LBB465_9
; %bb.4:
	s_add_i32 s59, s77, 1
	s_cmp_eq_u32 s74, 2
	s_cbranch_scc1 .LBB465_10
; %bb.5:
	s_and_b32 s58, s59, 28
	s_mov_b32 s62, 0
	v_mov_b32_e32 v2, 0
	v_mov_b32_e32 v0, 0
	s_mov_b64 s[2:3], s[34:35]
	s_mov_b64 s[56:57], s[52:53]
	v_mov_b32_e32 v4, v10
.LBB465_6:                              ; =>This Inner Loop Header: Depth=1
	s_load_dwordx8 s[12:19], s[2:3], 0x4
	s_load_dwordx4 s[36:39], s[2:3], 0x24
	s_load_dwordx8 s[4:11], s[56:57], 0x0
	s_add_u32 s2, s2, 48
	s_addc_u32 s3, s3, 0
	s_waitcnt lgkmcnt(0)
	v_mul_hi_u32 v1, s13, v4
	v_add_u32_e32 v1, v4, v1
	v_lshrrev_b32_e32 v1, s14, v1
	v_mul_lo_u32 v3, v1, s12
	v_mul_hi_u32 v5, s16, v1
	v_sub_u32_e32 v3, v4, v3
	v_add_u32_e32 v4, v1, v5
	v_lshrrev_b32_e32 v4, s17, v4
	v_mul_lo_u32 v6, v4, s15
	v_mul_hi_u32 v7, s19, v4
	v_sub_u32_e32 v1, v1, v6
	v_add_u32_e32 v6, v4, v7
	v_mul_lo_u32 v5, v3, s5
	v_mul_lo_u32 v3, v3, s4
	v_mul_lo_u32 v7, v1, s7
	v_mul_lo_u32 v1, v1, s6
	v_lshrrev_b32_e32 v6, s36, v6
	v_add3_u32 v1, v3, v2, v1
	v_mul_hi_u32 v3, s38, v6
	v_mul_lo_u32 v2, v6, s18
	v_add_u32_e32 v3, v6, v3
	v_sub_u32_e32 v2, v4, v2
	v_lshrrev_b32_e32 v4, s39, v3
	s_add_i32 s62, s62, 4
	v_mul_lo_u32 v3, v4, s37
	s_add_u32 s56, s56, 32
	v_sub_u32_e32 v3, v6, v3
	s_addc_u32 s57, s57, 0
	v_add3_u32 v0, v5, v0, v7
	v_mul_lo_u32 v5, v2, s8
	v_mul_lo_u32 v2, v2, s9
	;; [unrolled: 1-line block ×4, first 2 shown]
	s_cmp_lg_u32 s58, s62
	v_add3_u32 v0, v2, v0, v3
	v_add3_u32 v2, v5, v1, v6
	s_cbranch_scc1 .LBB465_6
; %bb.7:
	v_mov_b32_e32 v1, v0
	s_branch .LBB465_11
.LBB465_8:
                                        ; implicit-def: $vgpr0
                                        ; implicit-def: $vgpr2
	s_branch .LBB465_15
.LBB465_9:
	v_mov_b32_e32 v0, 0
	v_mov_b32_e32 v2, 0
	s_branch .LBB465_14
.LBB465_10:
	v_mov_b32_e32 v2, 0
	s_mov_b32 s58, 0
	v_mov_b32_e32 v1, v2
                                        ; implicit-def: $vgpr0
	v_mov_b32_e32 v4, v10
.LBB465_11:
	s_and_b32 s6, s59, 3
	s_cmp_eq_u32 s6, 0
	s_cbranch_scc1 .LBB465_14
; %bb.12:
	s_lshl_b32 s2, s58, 3
	s_add_u32 s2, s34, s2
	s_addc_u32 s3, s35, 0
	s_add_u32 s2, s2, 0xc4
	s_addc_u32 s3, s3, 0
	s_mul_i32 s4, s58, 12
	s_add_u32 s4, s34, s4
	s_addc_u32 s5, s35, 0
.LBB465_13:                             ; =>This Inner Loop Header: Depth=1
	s_load_dwordx2 s[8:9], s[4:5], 0x4
	s_load_dword s7, s[4:5], 0xc
	s_load_dwordx2 s[10:11], s[2:3], 0x0
	v_mov_b32_e32 v0, v1
	s_add_u32 s4, s4, 12
	s_waitcnt lgkmcnt(0)
	v_mul_hi_u32 v1, s9, v4
	v_add_u32_e32 v1, v4, v1
	v_lshrrev_b32_e32 v1, s7, v1
	s_addc_u32 s5, s5, 0
	v_mul_lo_u32 v3, v1, s8
	s_add_u32 s2, s2, 8
	v_sub_u32_e32 v3, v4, v3
	s_addc_u32 s3, s3, 0
	s_add_i32 s6, s6, -1
	v_mov_b32_e32 v4, v1
	v_mad_u64_u32 v[0:1], s[8:9], v3, s11, v[0:1]
	s_cmp_lg_u32 s6, 0
	v_mad_u64_u32 v[2:3], s[8:9], v3, s10, v[2:3]
	v_mov_b32_e32 v1, v0
	s_cbranch_scc1 .LBB465_13
.LBB465_14:
	s_cbranch_execnz .LBB465_17
.LBB465_15:
	v_mul_hi_u32 v0, s25, v10
	v_add_u32_e32 v0, v10, v0
	v_lshrrev_b32_e32 v1, s26, v0
	v_mul_lo_u32 v0, v1, s24
	v_sub_u32_e32 v2, v10, v0
	v_mul_lo_u32 v0, v2, s29
	s_andn2_b64 vcc, exec, s[50:51]
	v_mul_lo_u32 v2, v2, s28
	s_cbranch_vccnz .LBB465_17
; %bb.16:
	v_mul_hi_u32 v3, s48, v1
	v_add_u32_e32 v3, v1, v3
	v_lshrrev_b32_e32 v3, s49, v3
	v_mul_lo_u32 v3, v3, s27
	v_sub_u32_e32 v1, v1, v3
	v_mad_u64_u32 v[2:3], s[2:3], v1, s30, v[2:3]
	v_mad_u64_u32 v[0:1], s[2:3], v1, s31, v[0:1]
.LBB465_17:
	v_mov_b32_e32 v1, 0
	s_and_b32 s10, 0xffff, s76
	s_cmp_lt_i32 s10, 11
	v_lshl_add_u64 v[0:1], s[22:23], 0, v[0:1]
	s_cbranch_scc1 .LBB465_24
; %bb.18:
	s_cmp_gt_i32 s10, 25
	s_cbranch_scc0 .LBB465_33
; %bb.19:
	s_cmp_gt_i32 s10, 28
	s_cbranch_scc0 .LBB465_36
	;; [unrolled: 3-line block ×4, first 2 shown]
; %bb.22:
	s_cmp_eq_u32 s10, 46
	s_mov_b64 s[6:7], 0
	s_cbranch_scc0 .LBB465_42
; %bb.23:
	global_load_dword v3, v[0:1], off
	s_mov_b64 s[2:3], -1
	s_mov_b64 s[4:5], 0
	s_waitcnt vmcnt(0)
	v_lshlrev_b32_e32 v3, 16, v3
	v_cvt_f64_f32_e32 v[4:5], v3
	s_branch .LBB465_44
.LBB465_24:
	s_mov_b64 s[4:5], 0
                                        ; implicit-def: $vgpr4_vgpr5
	s_mov_b64 s[2:3], 0
	s_cbranch_execnz .LBB465_217
.LBB465_25:
	s_andn2_b64 vcc, exec, s[2:3]
	s_cbranch_vccnz .LBB465_264
.LBB465_26:
	v_max_f64 v[0:1], s[46:47], s[46:47]
	s_waitcnt vmcnt(0)
	v_max_f64 v[6:7], v[4:5], v[4:5]
	v_min_f64 v[0:1], v[6:7], v[0:1]
	v_cmp_u_f64_e32 vcc, v[4:5], v[4:5]
	v_mov_b32_e32 v3, 0
	s_and_b32 s12, s75, 0xff
	v_cndmask_b32_e32 v1, v1, v5, vcc
	v_cndmask_b32_e32 v0, v0, v4, vcc
	s_cmp_lt_i32 s12, 11
	v_lshl_add_u64 v[4:5], s[20:21], 0, v[2:3]
	s_cbranch_scc1 .LBB465_34
; %bb.27:
	s_and_b32 s13, 0xffff, s12
	s_cmp_gt_i32 s13, 25
	s_cbranch_scc0 .LBB465_37
; %bb.28:
	s_cmp_gt_i32 s13, 28
	s_cbranch_scc0 .LBB465_39
; %bb.29:
	;; [unrolled: 3-line block ×4, first 2 shown]
	s_mov_b64 s[8:9], 0
	s_mov_b64 s[2:3], -1
	s_cmp_eq_u32 s13, 46
	s_mov_b64 s[6:7], 0
	s_cbranch_scc0 .LBB465_48
; %bb.32:
	v_cvt_f32_f64_e32 v2, v[0:1]
	v_bfe_u32 v3, v2, 16, 1
	s_movk_i32 s2, 0x7fff
	v_add3_u32 v3, v2, v3, s2
	v_cmp_o_f32_e32 vcc, v2, v2
	v_mov_b32_e32 v2, 0x7fc0
	s_mov_b64 s[6:7], -1
	v_cndmask_b32_sdwa v2, v2, v3, vcc dst_sel:DWORD dst_unused:UNUSED_PAD src0_sel:DWORD src1_sel:WORD_1
	global_store_dword v[4:5], v2, off
	s_mov_b64 s[2:3], 0
	s_branch .LBB465_48
.LBB465_33:
	s_mov_b64 s[4:5], 0
	s_mov_b64 s[2:3], 0
                                        ; implicit-def: $vgpr4_vgpr5
	s_cbranch_execnz .LBB465_184
	s_branch .LBB465_216
.LBB465_34:
	s_mov_b64 s[2:3], 0
	s_mov_b64 s[6:7], 0
	s_cbranch_execnz .LBB465_117
.LBB465_35:
	s_andn2_b64 vcc, exec, s[6:7]
	s_cbranch_vccnz .LBB465_265
	s_branch .LBB465_155
.LBB465_36:
	s_mov_b64 s[6:7], -1
	s_mov_b64 s[4:5], 0
	s_mov_b64 s[2:3], 0
                                        ; implicit-def: $vgpr4_vgpr5
	s_branch .LBB465_163
.LBB465_37:
	s_mov_b64 s[8:9], -1
	s_mov_b64 s[2:3], 0
	s_mov_b64 s[6:7], 0
	s_branch .LBB465_75
.LBB465_38:
	s_mov_b64 s[6:7], -1
	s_mov_b64 s[4:5], 0
	s_mov_b64 s[2:3], 0
                                        ; implicit-def: $vgpr4_vgpr5
	s_branch .LBB465_158
.LBB465_39:
	s_mov_b64 s[8:9], -1
	s_mov_b64 s[2:3], 0
	s_mov_b64 s[6:7], 0
	s_branch .LBB465_58
.LBB465_40:
	s_mov_b64 s[6:7], -1
	s_mov_b64 s[4:5], 0
	s_branch .LBB465_43
.LBB465_41:
	s_mov_b64 s[8:9], -1
	s_mov_b64 s[2:3], 0
	s_mov_b64 s[6:7], 0
	s_branch .LBB465_54
.LBB465_42:
	s_mov_b64 s[4:5], -1
.LBB465_43:
	s_mov_b64 s[2:3], 0
                                        ; implicit-def: $vgpr4_vgpr5
.LBB465_44:
	s_and_b64 vcc, exec, s[6:7]
	s_cbranch_vccz .LBB465_157
; %bb.45:
	s_cmp_eq_u32 s10, 44
	s_cbranch_scc0 .LBB465_156
; %bb.46:
	global_load_ubyte v3, v[0:1], off
	s_movk_i32 s4, 0xff
	v_bfrev_b32_e32 v6, 4
	v_mov_b32_e32 v7, 0x7ff80000
	v_bfrev_b32_e32 v8, 28
	s_mov_b64 s[2:3], -1
	s_waitcnt vmcnt(0)
	v_lshlrev_b32_e32 v4, 23, v3
	v_cvt_f64_f32_e32 v[4:5], v4
	v_cmp_ne_u32_e32 vcc, s4, v3
	s_mov_b64 s[4:5], 0
	s_nop 0
	v_cndmask_b32_e32 v4, v6, v4, vcc
	v_cndmask_b32_e32 v5, v7, v5, vcc
	v_cmp_ne_u32_e32 vcc, 0, v3
	s_nop 1
	v_cndmask_b32_e32 v5, v8, v5, vcc
	v_cndmask_b32_e32 v4, 0, v4, vcc
	s_branch .LBB465_157
.LBB465_47:
	s_mov_b64 s[8:9], -1
	s_mov_b64 s[2:3], 0
	s_mov_b64 s[6:7], 0
.LBB465_48:
	s_and_b64 vcc, exec, s[8:9]
	s_cbranch_vccz .LBB465_53
; %bb.49:
	s_cmp_eq_u32 s13, 44
	s_mov_b64 s[2:3], -1
	s_cbranch_scc0 .LBB465_53
; %bb.50:
	v_cvt_f32_f64_e32 v2, v[0:1]
	v_bfe_u32 v3, v2, 23, 8
	s_movk_i32 s2, 0xff
	v_cmp_ne_u32_e32 vcc, s2, v3
	v_mov_b32_e32 v6, 0xff
	s_and_saveexec_b64 s[6:7], vcc
; %bb.51:
	s_mov_b32 s2, 0x3fffff
	v_lshrrev_b32_e32 v6, 23, v2
	v_and_b32_e32 v7, 0x400000, v2
	v_and_or_b32 v2, v2, s2, v3
	v_cmp_ne_u32_e32 vcc, 0, v7
	v_cmp_ne_u32_e64 s[2:3], 0, v2
	s_and_b64 s[2:3], vcc, s[2:3]
	s_nop 0
	v_cndmask_b32_e64 v2, 0, 1, s[2:3]
	v_add_u32_e32 v6, v6, v2
; %bb.52:
	s_or_b64 exec, exec, s[6:7]
	s_mov_b64 s[6:7], -1
	s_mov_b64 s[2:3], 0
	global_store_byte v[4:5], v6, off
.LBB465_53:
	s_mov_b64 s[8:9], 0
.LBB465_54:
	s_and_b64 vcc, exec, s[8:9]
	s_cbranch_vccz .LBB465_57
; %bb.55:
	s_cmp_eq_u32 s13, 29
	s_mov_b64 s[2:3], -1
	s_cbranch_scc0 .LBB465_57
; %bb.56:
	v_trunc_f64_e32 v[2:3], v[0:1]
	s_movk_i32 s2, 0xffe0
	v_ldexp_f64 v[6:7], v[2:3], s2
	v_floor_f64_e32 v[6:7], v[6:7]
	v_fmac_f64_e32 v[2:3], 0xc1f00000, v[6:7]
	v_cvt_u32_f64_e32 v9, v[6:7]
	v_cvt_u32_f64_e32 v8, v[2:3]
	global_store_dwordx2 v[4:5], v[8:9], off
	s_mov_b64 s[6:7], -1
	s_mov_b64 s[2:3], 0
.LBB465_57:
	s_mov_b64 s[8:9], 0
.LBB465_58:
	s_and_b64 vcc, exec, s[8:9]
	s_cbranch_vccz .LBB465_74
; %bb.59:
	s_cmp_lt_i32 s13, 27
	s_mov_b64 s[6:7], -1
	s_cbranch_scc1 .LBB465_65
; %bb.60:
	s_cmp_gt_i32 s13, 27
	v_cvt_u32_f64_e32 v2, v[0:1]
	s_cbranch_scc0 .LBB465_62
; %bb.61:
	s_mov_b64 s[6:7], 0
	global_store_dword v[4:5], v2, off
.LBB465_62:
	s_andn2_b64 vcc, exec, s[6:7]
	s_cbranch_vccnz .LBB465_64
; %bb.63:
	global_store_short v[4:5], v2, off
.LBB465_64:
	s_mov_b64 s[6:7], 0
.LBB465_65:
	s_andn2_b64 vcc, exec, s[6:7]
	s_cbranch_vccnz .LBB465_73
; %bb.66:
	v_cvt_f32_f64_e32 v2, v[0:1]
	v_and_b32_e32 v3, 0x7fffffff, v2
	s_mov_b32 s6, 0x43800000
	v_cmp_gt_u32_e32 vcc, s6, v3
	v_mov_b32_e32 v6, 0x80
	s_and_saveexec_b64 s[6:7], vcc
	s_cbranch_execz .LBB465_72
; %bb.67:
	s_mov_b32 s8, 0x3bffffff
	v_cmp_lt_u32_e32 vcc, s8, v3
	s_mov_b64 s[8:9], 0
                                        ; implicit-def: $vgpr3
	s_and_saveexec_b64 s[10:11], vcc
	s_xor_b64 s[10:11], exec, s[10:11]
	s_cbranch_execz .LBB465_309
; %bb.68:
	v_bfe_u32 v3, v2, 20, 1
	s_mov_b32 s14, 0x487ffff
	v_add3_u32 v3, v2, v3, s14
	s_mov_b64 s[8:9], exec
	v_lshrrev_b32_e32 v3, 20, v3
	s_andn2_saveexec_b64 s[10:11], s[10:11]
	s_cbranch_execnz .LBB465_310
.LBB465_69:
	s_or_b64 exec, exec, s[10:11]
	v_mov_b32_e32 v6, 0
	s_and_saveexec_b64 s[10:11], s[8:9]
.LBB465_70:
	v_lshrrev_b32_e32 v2, 24, v2
	s_movk_i32 s8, 0x80
	v_and_or_b32 v6, v2, s8, v3
.LBB465_71:
	s_or_b64 exec, exec, s[10:11]
.LBB465_72:
	s_or_b64 exec, exec, s[6:7]
	global_store_byte v[4:5], v6, off
.LBB465_73:
	s_mov_b64 s[6:7], -1
.LBB465_74:
	s_mov_b64 s[8:9], 0
.LBB465_75:
	s_and_b64 vcc, exec, s[8:9]
	s_cbranch_vccz .LBB465_116
; %bb.76:
	s_cmp_gt_i32 s13, 22
	s_mov_b64 s[8:9], -1
	s_cbranch_scc0 .LBB465_108
; %bb.77:
	s_cmp_lt_i32 s13, 24
	s_mov_b64 s[6:7], -1
	s_cbranch_scc1 .LBB465_97
; %bb.78:
	s_cmp_gt_i32 s13, 24
	s_cbranch_scc0 .LBB465_86
; %bb.79:
	v_cvt_f32_f64_e32 v2, v[0:1]
	v_and_b32_e32 v3, 0x7fffffff, v2
	s_mov_b32 s6, 0x47800000
	v_cmp_gt_u32_e32 vcc, s6, v3
	v_mov_b32_e32 v6, 0x80
	s_and_saveexec_b64 s[6:7], vcc
	s_cbranch_execz .LBB465_85
; %bb.80:
	s_mov_b32 s8, 0x37ffffff
	v_cmp_lt_u32_e32 vcc, s8, v3
	s_mov_b64 s[8:9], 0
                                        ; implicit-def: $vgpr3
	s_and_saveexec_b64 s[10:11], vcc
	s_xor_b64 s[10:11], exec, s[10:11]
	s_cbranch_execz .LBB465_313
; %bb.81:
	v_bfe_u32 v3, v2, 21, 1
	s_mov_b32 s14, 0x88fffff
	v_add3_u32 v3, v2, v3, s14
	s_mov_b64 s[8:9], exec
	v_lshrrev_b32_e32 v3, 21, v3
	s_andn2_saveexec_b64 s[10:11], s[10:11]
	s_cbranch_execnz .LBB465_314
.LBB465_82:
	s_or_b64 exec, exec, s[10:11]
	v_mov_b32_e32 v6, 0
	s_and_saveexec_b64 s[10:11], s[8:9]
.LBB465_83:
	v_lshrrev_b32_e32 v2, 24, v2
	s_movk_i32 s8, 0x80
	v_and_or_b32 v6, v2, s8, v3
.LBB465_84:
	s_or_b64 exec, exec, s[10:11]
.LBB465_85:
	s_or_b64 exec, exec, s[6:7]
	s_mov_b64 s[6:7], 0
	global_store_byte v[4:5], v6, off
.LBB465_86:
	s_and_b64 vcc, exec, s[6:7]
	s_cbranch_vccz .LBB465_96
; %bb.87:
	v_cvt_f32_f64_e32 v2, v[0:1]
	v_and_b32_e32 v6, 0x7fffffff, v2
	s_mov_b32 s6, 0x43f00000
	v_cmp_gt_u32_e32 vcc, s6, v6
                                        ; implicit-def: $vgpr3
	s_and_saveexec_b64 s[6:7], vcc
	s_xor_b64 s[6:7], exec, s[6:7]
	s_cbranch_execz .LBB465_93
; %bb.88:
	s_mov_b32 s8, 0x3c7fffff
	v_cmp_lt_u32_e32 vcc, s8, v6
                                        ; implicit-def: $vgpr3
	s_and_saveexec_b64 s[8:9], vcc
	s_xor_b64 s[8:9], exec, s[8:9]
; %bb.89:
	v_bfe_u32 v3, v2, 20, 1
	s_mov_b32 s10, 0x407ffff
	v_add3_u32 v3, v2, v3, s10
	v_lshrrev_b32_e32 v6, 20, v3
	v_and_b32_e32 v3, 0xff00000, v3
	s_mov_b32 s10, 0x7f00000
	v_mov_b32_e32 v7, 0x7e
	v_cmp_ne_u32_e32 vcc, s10, v3
	s_nop 1
	v_cndmask_b32_e32 v3, v7, v6, vcc
; %bb.90:
	s_andn2_saveexec_b64 s[8:9], s[8:9]
; %bb.91:
	s_mov_b32 s10, 0x46800000
	v_add_f32_e64 v3, |v2|, s10
; %bb.92:
	s_or_b64 exec, exec, s[8:9]
                                        ; implicit-def: $vgpr6
.LBB465_93:
	s_andn2_saveexec_b64 s[6:7], s[6:7]
; %bb.94:
	s_mov_b32 s8, 0x7f800000
	v_mov_b32_e32 v3, 0x7e
	v_mov_b32_e32 v7, 0x7f
	v_cmp_lt_u32_e32 vcc, s8, v6
	s_nop 1
	v_cndmask_b32_e32 v3, v3, v7, vcc
; %bb.95:
	s_or_b64 exec, exec, s[6:7]
	v_lshrrev_b32_e32 v2, 24, v2
	s_movk_i32 s6, 0x80
	v_and_or_b32 v2, v2, s6, v3
	global_store_byte v[4:5], v2, off
.LBB465_96:
	s_mov_b64 s[6:7], 0
.LBB465_97:
	s_andn2_b64 vcc, exec, s[6:7]
	s_cbranch_vccnz .LBB465_107
; %bb.98:
	v_cvt_f32_f64_e32 v2, v[0:1]
	v_and_b32_e32 v6, 0x7fffffff, v2
	s_mov_b32 s6, 0x47800000
	v_cmp_gt_u32_e32 vcc, s6, v6
                                        ; implicit-def: $vgpr3
	s_and_saveexec_b64 s[6:7], vcc
	s_xor_b64 s[6:7], exec, s[6:7]
	s_cbranch_execz .LBB465_104
; %bb.99:
	s_mov_b32 s8, 0x387fffff
	v_cmp_lt_u32_e32 vcc, s8, v6
                                        ; implicit-def: $vgpr3
	s_and_saveexec_b64 s[8:9], vcc
	s_xor_b64 s[8:9], exec, s[8:9]
; %bb.100:
	v_bfe_u32 v3, v2, 21, 1
	s_mov_b32 s10, 0x80fffff
	v_add3_u32 v3, v2, v3, s10
	v_lshrrev_b32_e32 v3, 21, v3
; %bb.101:
	s_andn2_saveexec_b64 s[8:9], s[8:9]
; %bb.102:
	s_mov_b32 s10, 0x43000000
	v_add_f32_e64 v3, |v2|, s10
; %bb.103:
	s_or_b64 exec, exec, s[8:9]
                                        ; implicit-def: $vgpr6
.LBB465_104:
	s_andn2_saveexec_b64 s[6:7], s[6:7]
; %bb.105:
	s_mov_b32 s8, 0x7f800000
	v_mov_b32_e32 v3, 0x7c
	v_mov_b32_e32 v7, 0x7f
	v_cmp_lt_u32_e32 vcc, s8, v6
	s_nop 1
	v_cndmask_b32_e32 v3, v3, v7, vcc
; %bb.106:
	s_or_b64 exec, exec, s[6:7]
	v_lshrrev_b32_e32 v2, 24, v2
	s_movk_i32 s6, 0x80
	v_and_or_b32 v2, v2, s6, v3
	global_store_byte v[4:5], v2, off
.LBB465_107:
	s_mov_b64 s[8:9], 0
	s_mov_b64 s[6:7], -1
.LBB465_108:
	s_andn2_b64 vcc, exec, s[8:9]
	s_cbranch_vccnz .LBB465_116
; %bb.109:
	s_cmp_gt_i32 s13, 14
	s_mov_b64 s[8:9], -1
	s_cbranch_scc0 .LBB465_113
; %bb.110:
	s_cmp_eq_u32 s13, 15
	s_mov_b64 s[2:3], -1
	s_cbranch_scc0 .LBB465_112
; %bb.111:
	v_cvt_f32_f64_e32 v2, v[0:1]
	v_bfe_u32 v3, v2, 16, 1
	s_movk_i32 s2, 0x7fff
	v_add3_u32 v3, v2, v3, s2
	v_cmp_o_f32_e32 vcc, v2, v2
	v_mov_b32_e32 v2, 0x7fc0
	s_mov_b64 s[6:7], -1
	v_cndmask_b32_sdwa v2, v2, v3, vcc dst_sel:DWORD dst_unused:UNUSED_PAD src0_sel:DWORD src1_sel:WORD_1
	global_store_short v[4:5], v2, off
	s_mov_b64 s[2:3], 0
.LBB465_112:
	s_mov_b64 s[8:9], 0
.LBB465_113:
	s_and_b64 vcc, exec, s[8:9]
	s_cbranch_vccz .LBB465_116
; %bb.114:
	s_cmp_eq_u32 s13, 11
	s_mov_b64 s[2:3], -1
	s_cbranch_scc0 .LBB465_116
; %bb.115:
	v_cmp_neq_f64_e32 vcc, 0, v[0:1]
	s_mov_b64 s[2:3], 0
	s_mov_b64 s[6:7], -1
	v_cndmask_b32_e64 v2, 0, 1, vcc
	global_store_byte v[4:5], v2, off
.LBB465_116:
	s_branch .LBB465_35
.LBB465_117:
	s_and_b32 s8, 0xffff, s12
	s_cmp_lt_i32 s8, 5
	s_mov_b64 s[6:7], -1
	s_cbranch_scc1 .LBB465_138
; %bb.118:
	s_cmp_lt_i32 s8, 8
	s_cbranch_scc1 .LBB465_128
; %bb.119:
	s_cmp_lt_i32 s8, 9
	s_cbranch_scc1 .LBB465_125
; %bb.120:
	s_cmp_gt_i32 s8, 9
	s_cbranch_scc0 .LBB465_122
; %bb.121:
	v_mov_b32_e32 v2, 0
	v_mov_b32_e32 v3, v2
	global_store_dwordx4 v[4:5], v[0:3], off
	s_mov_b64 s[6:7], 0
.LBB465_122:
	s_andn2_b64 vcc, exec, s[6:7]
	s_cbranch_vccnz .LBB465_124
; %bb.123:
	v_cvt_f32_f64_e32 v2, v[0:1]
	v_mov_b32_e32 v3, 0
	global_store_dwordx2 v[4:5], v[2:3], off
.LBB465_124:
	s_mov_b64 s[6:7], 0
.LBB465_125:
	s_andn2_b64 vcc, exec, s[6:7]
	s_cbranch_vccnz .LBB465_127
; %bb.126:
	s_movk_i32 s6, 0x1ff
	v_and_or_b32 v2, v1, s6, v0
	v_cmp_ne_u32_e32 vcc, 0, v2
	v_lshrrev_b32_e32 v3, 8, v1
	s_movk_i32 s6, 0xffe
	v_cndmask_b32_e64 v2, 0, 1, vcc
	v_bfe_u32 v6, v1, 20, 11
	v_and_or_b32 v2, v3, s6, v2
	v_sub_u32_e32 v7, 0x3f1, v6
	v_or_b32_e32 v3, 0x1000, v2
	v_med3_i32 v7, v7, 0, 13
	v_lshrrev_b32_e32 v8, v7, v3
	v_lshlrev_b32_e32 v7, v7, v8
	v_cmp_ne_u32_e32 vcc, v7, v3
	v_add_u32_e32 v6, 0xfffffc10, v6
	v_lshl_or_b32 v7, v6, 12, v2
	v_cndmask_b32_e64 v3, 0, 1, vcc
	v_or_b32_e32 v3, v8, v3
	v_cmp_gt_i32_e32 vcc, 1, v6
	s_movk_i32 s6, 0x40f
	s_nop 0
	v_cndmask_b32_e32 v3, v7, v3, vcc
	v_and_b32_e32 v7, 7, v3
	v_cmp_lt_i32_e32 vcc, 5, v7
	v_lshrrev_b32_e32 v3, 2, v3
	s_nop 0
	v_cndmask_b32_e64 v8, 0, 1, vcc
	v_cmp_eq_u32_e32 vcc, 3, v7
	s_nop 1
	v_cndmask_b32_e64 v7, 0, 1, vcc
	v_or_b32_e32 v7, v7, v8
	v_add_u32_e32 v3, v3, v7
	v_mov_b32_e32 v7, 0x7c00
	v_cmp_gt_i32_e32 vcc, 31, v6
	v_mov_b32_e32 v8, 0x7e00
	s_nop 0
	v_cndmask_b32_e32 v3, v7, v3, vcc
	v_cmp_ne_u32_e32 vcc, 0, v2
	s_nop 1
	v_cndmask_b32_e32 v2, v7, v8, vcc
	v_cmp_eq_u32_e32 vcc, s6, v6
	s_mov_b32 s6, 0x8000
	s_nop 0
	v_cndmask_b32_e32 v2, v3, v2, vcc
	v_and_b32_sdwa v3, v1, s6 dst_sel:DWORD dst_unused:UNUSED_PAD src0_sel:WORD_1 src1_sel:DWORD
	s_mov_b32 s6, 0xffff
	v_bitop3_b32 v2, v3, s6, v2 bitop3:0xc8
	global_store_dword v[4:5], v2, off
.LBB465_127:
	s_mov_b64 s[6:7], 0
.LBB465_128:
	s_andn2_b64 vcc, exec, s[6:7]
	s_cbranch_vccnz .LBB465_137
; %bb.129:
	s_cmp_lt_i32 s8, 6
	s_mov_b64 s[6:7], -1
	s_cbranch_scc1 .LBB465_135
; %bb.130:
	s_cmp_gt_i32 s8, 6
	s_cbranch_scc0 .LBB465_132
; %bb.131:
	global_store_dwordx2 v[4:5], v[0:1], off
	s_mov_b64 s[6:7], 0
.LBB465_132:
	s_andn2_b64 vcc, exec, s[6:7]
	s_cbranch_vccnz .LBB465_134
; %bb.133:
	v_cvt_f32_f64_e32 v2, v[0:1]
	global_store_dword v[4:5], v2, off
.LBB465_134:
	s_mov_b64 s[6:7], 0
.LBB465_135:
	s_andn2_b64 vcc, exec, s[6:7]
	s_cbranch_vccnz .LBB465_137
; %bb.136:
	s_movk_i32 s6, 0x1ff
	v_and_or_b32 v2, v1, s6, v0
	v_cmp_ne_u32_e32 vcc, 0, v2
	v_lshrrev_b32_e32 v3, 8, v1
	s_movk_i32 s6, 0xffe
	v_cndmask_b32_e64 v2, 0, 1, vcc
	v_bfe_u32 v6, v1, 20, 11
	v_and_or_b32 v2, v3, s6, v2
	v_sub_u32_e32 v7, 0x3f1, v6
	v_or_b32_e32 v3, 0x1000, v2
	v_med3_i32 v7, v7, 0, 13
	v_lshrrev_b32_e32 v8, v7, v3
	v_lshlrev_b32_e32 v7, v7, v8
	v_cmp_ne_u32_e32 vcc, v7, v3
	v_add_u32_e32 v6, 0xfffffc10, v6
	v_lshl_or_b32 v7, v6, 12, v2
	v_cndmask_b32_e64 v3, 0, 1, vcc
	v_or_b32_e32 v3, v8, v3
	v_cmp_gt_i32_e32 vcc, 1, v6
	s_movk_i32 s6, 0x40f
	s_nop 0
	v_cndmask_b32_e32 v3, v7, v3, vcc
	v_and_b32_e32 v7, 7, v3
	v_cmp_lt_i32_e32 vcc, 5, v7
	v_lshrrev_b32_e32 v3, 2, v3
	s_nop 0
	v_cndmask_b32_e64 v8, 0, 1, vcc
	v_cmp_eq_u32_e32 vcc, 3, v7
	s_nop 1
	v_cndmask_b32_e64 v7, 0, 1, vcc
	v_or_b32_e32 v7, v7, v8
	v_add_u32_e32 v3, v3, v7
	v_mov_b32_e32 v7, 0x7c00
	v_cmp_gt_i32_e32 vcc, 31, v6
	v_mov_b32_e32 v8, 0x7e00
	s_nop 0
	v_cndmask_b32_e32 v3, v7, v3, vcc
	v_cmp_ne_u32_e32 vcc, 0, v2
	s_nop 1
	v_cndmask_b32_e32 v2, v7, v8, vcc
	v_cmp_eq_u32_e32 vcc, s6, v6
	s_mov_b32 s6, 0x8000
	s_nop 0
	v_cndmask_b32_e32 v2, v3, v2, vcc
	v_lshrrev_b32_e32 v3, 16, v1
	v_and_or_b32 v2, v3, s6, v2
	global_store_short v[4:5], v2, off
.LBB465_137:
	s_mov_b64 s[6:7], 0
.LBB465_138:
	s_andn2_b64 vcc, exec, s[6:7]
	s_cbranch_vccnz .LBB465_154
; %bb.139:
	s_cmp_lt_i32 s8, 2
	s_mov_b64 s[6:7], -1
	s_cbranch_scc1 .LBB465_149
; %bb.140:
	s_cmp_lt_i32 s8, 3
	s_cbranch_scc1 .LBB465_146
; %bb.141:
	s_cmp_gt_i32 s8, 3
	s_cbranch_scc0 .LBB465_143
; %bb.142:
	v_trunc_f64_e32 v[2:3], v[0:1]
	s_movk_i32 s6, 0xffe0
	v_ldexp_f64 v[6:7], v[2:3], s6
	v_floor_f64_e32 v[6:7], v[6:7]
	v_fmac_f64_e32 v[2:3], 0xc1f00000, v[6:7]
	v_cvt_i32_f64_e32 v9, v[6:7]
	v_cvt_u32_f64_e32 v8, v[2:3]
	global_store_dwordx2 v[4:5], v[8:9], off
	s_mov_b64 s[6:7], 0
.LBB465_143:
	s_andn2_b64 vcc, exec, s[6:7]
	s_cbranch_vccnz .LBB465_145
; %bb.144:
	v_cvt_i32_f64_e32 v2, v[0:1]
	global_store_dword v[4:5], v2, off
.LBB465_145:
	s_mov_b64 s[6:7], 0
.LBB465_146:
	s_andn2_b64 vcc, exec, s[6:7]
	s_cbranch_vccnz .LBB465_148
; %bb.147:
	v_cvt_i32_f64_e32 v2, v[0:1]
	global_store_short v[4:5], v2, off
.LBB465_148:
	s_mov_b64 s[6:7], 0
.LBB465_149:
	s_andn2_b64 vcc, exec, s[6:7]
	s_cbranch_vccnz .LBB465_154
; %bb.150:
	s_cmp_gt_i32 s8, 0
	s_mov_b64 s[6:7], -1
	s_cbranch_scc0 .LBB465_152
; %bb.151:
	v_cvt_i32_f64_e32 v2, v[0:1]
	global_store_byte v[4:5], v2, off
	s_mov_b64 s[6:7], 0
.LBB465_152:
	s_andn2_b64 vcc, exec, s[6:7]
	s_cbranch_vccnz .LBB465_154
; %bb.153:
	v_trunc_f64_e32 v[0:1], v[0:1]
	s_movk_i32 s6, 0xffe0
	v_ldexp_f64 v[2:3], v[0:1], s6
	v_floor_f64_e32 v[2:3], v[2:3]
	v_fmac_f64_e32 v[0:1], 0xc1f00000, v[2:3]
	v_cvt_u32_f64_e32 v0, v[0:1]
	global_store_byte v[4:5], v0, off
.LBB465_154:
.LBB465_155:
	v_add_u32_e32 v10, 0x80, v10
	s_mov_b64 s[6:7], -1
	s_branch .LBB465_266
.LBB465_156:
	s_mov_b64 s[4:5], -1
                                        ; implicit-def: $vgpr4_vgpr5
.LBB465_157:
	s_mov_b64 s[6:7], 0
.LBB465_158:
	s_and_b64 vcc, exec, s[6:7]
	s_cbranch_vccz .LBB465_162
; %bb.159:
	s_cmp_eq_u32 s10, 29
	s_cbranch_scc0 .LBB465_161
; %bb.160:
	global_load_dwordx2 v[4:5], v[0:1], off
	s_mov_b64 s[2:3], -1
	s_mov_b64 s[4:5], 0
	s_mov_b64 s[6:7], 0
	s_waitcnt vmcnt(0)
	v_cvt_f64_u32_e32 v[6:7], v5
	v_cvt_f64_u32_e32 v[4:5], v4
	v_ldexp_f64 v[6:7], v[6:7], 32
	v_add_f64 v[4:5], v[6:7], v[4:5]
	s_branch .LBB465_163
.LBB465_161:
	s_mov_b64 s[4:5], -1
                                        ; implicit-def: $vgpr4_vgpr5
.LBB465_162:
	s_mov_b64 s[6:7], 0
.LBB465_163:
	s_and_b64 vcc, exec, s[6:7]
	s_cbranch_vccz .LBB465_183
; %bb.164:
	s_cmp_lt_i32 s10, 27
	s_cbranch_scc1 .LBB465_167
; %bb.165:
	s_cmp_gt_i32 s10, 27
	s_cbranch_scc0 .LBB465_168
; %bb.166:
	global_load_dword v3, v[0:1], off
	s_mov_b64 s[2:3], 0
	s_waitcnt vmcnt(0)
	v_cvt_f64_u32_e32 v[4:5], v3
	s_branch .LBB465_169
.LBB465_167:
	s_mov_b64 s[2:3], -1
                                        ; implicit-def: $vgpr4_vgpr5
	s_branch .LBB465_172
.LBB465_168:
	s_mov_b64 s[2:3], -1
                                        ; implicit-def: $vgpr4_vgpr5
.LBB465_169:
	s_andn2_b64 vcc, exec, s[2:3]
	s_cbranch_vccnz .LBB465_171
; %bb.170:
	global_load_ushort v3, v[0:1], off
	s_waitcnt vmcnt(0)
	v_cvt_f64_u32_e32 v[4:5], v3
.LBB465_171:
	s_mov_b64 s[2:3], 0
.LBB465_172:
	s_andn2_b64 vcc, exec, s[2:3]
	s_cbranch_vccnz .LBB465_182
; %bb.173:
	global_load_ubyte v3, v[0:1], off
	s_movk_i32 s2, 0x7f
	s_waitcnt vmcnt(0)
	v_cmp_lt_i16_e32 vcc, s2, v3
	s_mov_b64 s[2:3], 0
	s_and_saveexec_b64 s[6:7], vcc
	s_xor_b64 s[6:7], exec, s[6:7]
	s_cbranch_execz .LBB465_177
; %bb.174:
	s_movk_i32 s2, 0x80
	v_cmp_eq_u16_e32 vcc, s2, v3
	s_mov_b64 s[2:3], -1
	s_and_saveexec_b64 s[8:9], vcc
; %bb.175:
	s_xor_b64 s[2:3], exec, -1
; %bb.176:
	s_or_b64 exec, exec, s[8:9]
	s_and_b64 s[2:3], s[2:3], exec
.LBB465_177:
	s_or_saveexec_b64 s[6:7], s[6:7]
	v_bfrev_b32_e32 v4, 4
	v_mov_b32_e32 v5, 0x7ff80000
	s_xor_b64 exec, exec, s[6:7]
; %bb.178:
	v_cmp_ne_u16_e32 vcc, 0, v3
	s_andn2_b64 s[2:3], s[2:3], exec
	s_and_b64 s[8:9], vcc, exec
	v_mov_b64_e32 v[4:5], 0
	s_or_b64 s[2:3], s[2:3], s[8:9]
; %bb.179:
	s_or_b64 exec, exec, s[6:7]
	s_and_saveexec_b64 s[6:7], s[2:3]
	s_cbranch_execz .LBB465_181
; %bb.180:
	v_lshlrev_b32_e32 v4, 24, v3
	v_and_b32_e32 v3, 0xffff, v3
	v_and_b32_e32 v5, 7, v3
	v_ffbh_u32_e32 v7, v5
	v_min_u32_e32 v7, 32, v7
	v_subrev_u32_e32 v8, 28, v7
	v_bfe_u32 v6, v3, 3, 4
	v_lshlrev_b32_e32 v3, v8, v3
	v_sub_u32_e32 v7, 29, v7
	v_and_b32_e32 v3, 7, v3
	v_cmp_eq_u32_e32 vcc, 0, v6
	v_and_b32_e32 v4, 0x80000000, v4
	s_nop 0
	v_cndmask_b32_e32 v6, v6, v7, vcc
	v_cndmask_b32_e32 v3, v5, v3, vcc
	v_mov_b32_e32 v5, 0x3b800000
	v_lshlrev_b32_e32 v3, 20, v3
	v_lshl_add_u32 v5, v6, 23, v5
	v_or3_b32 v3, v4, v5, v3
	v_cvt_f64_f32_e32 v[4:5], v3
.LBB465_181:
	s_or_b64 exec, exec, s[6:7]
.LBB465_182:
	s_mov_b64 s[2:3], -1
.LBB465_183:
	s_branch .LBB465_216
.LBB465_184:
	s_cmp_gt_i32 s10, 22
	s_cbranch_scc0 .LBB465_196
; %bb.185:
	s_cmp_lt_i32 s10, 24
	s_cbranch_scc1 .LBB465_197
; %bb.186:
	s_cmp_gt_i32 s10, 24
	s_cbranch_scc0 .LBB465_198
; %bb.187:
	global_load_ubyte v3, v[0:1], off
	s_movk_i32 s2, 0x7f
	s_waitcnt vmcnt(0)
	v_cmp_lt_i16_e32 vcc, s2, v3
	s_mov_b64 s[2:3], 0
	s_and_saveexec_b64 s[6:7], vcc
	s_xor_b64 s[6:7], exec, s[6:7]
	s_cbranch_execz .LBB465_191
; %bb.188:
	s_movk_i32 s2, 0x80
	v_cmp_eq_u16_e32 vcc, s2, v3
	s_mov_b64 s[2:3], -1
	s_and_saveexec_b64 s[8:9], vcc
; %bb.189:
	s_xor_b64 s[2:3], exec, -1
; %bb.190:
	s_or_b64 exec, exec, s[8:9]
	s_and_b64 s[2:3], s[2:3], exec
.LBB465_191:
	s_or_saveexec_b64 s[6:7], s[6:7]
	v_bfrev_b32_e32 v4, 4
	v_mov_b32_e32 v5, 0x7ff80000
	s_xor_b64 exec, exec, s[6:7]
; %bb.192:
	v_cmp_ne_u16_e32 vcc, 0, v3
	s_andn2_b64 s[2:3], s[2:3], exec
	s_and_b64 s[8:9], vcc, exec
	v_mov_b64_e32 v[4:5], 0
	s_or_b64 s[2:3], s[2:3], s[8:9]
; %bb.193:
	s_or_b64 exec, exec, s[6:7]
	s_and_saveexec_b64 s[6:7], s[2:3]
	s_cbranch_execz .LBB465_195
; %bb.194:
	v_lshlrev_b32_e32 v4, 24, v3
	v_and_b32_e32 v3, 0xffff, v3
	v_and_b32_e32 v5, 3, v3
	v_ffbh_u32_e32 v7, v5
	v_min_u32_e32 v7, 32, v7
	v_subrev_u32_e32 v8, 29, v7
	v_bfe_u32 v6, v3, 2, 5
	v_lshlrev_b32_e32 v3, v8, v3
	v_sub_u32_e32 v7, 30, v7
	v_and_b32_e32 v3, 3, v3
	v_cmp_eq_u32_e32 vcc, 0, v6
	v_and_b32_e32 v4, 0x80000000, v4
	s_nop 0
	v_cndmask_b32_e32 v6, v6, v7, vcc
	v_cndmask_b32_e32 v3, v5, v3, vcc
	v_mov_b32_e32 v5, 0x37800000
	v_lshlrev_b32_e32 v3, 21, v3
	v_lshl_add_u32 v5, v6, 23, v5
	v_or3_b32 v3, v4, v5, v3
	v_cvt_f64_f32_e32 v[4:5], v3
.LBB465_195:
	s_or_b64 exec, exec, s[6:7]
	s_mov_b64 s[2:3], 0
	s_branch .LBB465_199
.LBB465_196:
	s_mov_b64 s[6:7], -1
                                        ; implicit-def: $vgpr4_vgpr5
	s_branch .LBB465_205
.LBB465_197:
	s_mov_b64 s[2:3], -1
                                        ; implicit-def: $vgpr4_vgpr5
	s_branch .LBB465_202
.LBB465_198:
	s_mov_b64 s[2:3], -1
                                        ; implicit-def: $vgpr4_vgpr5
.LBB465_199:
	s_and_b64 vcc, exec, s[2:3]
	s_cbranch_vccz .LBB465_201
; %bb.200:
	global_load_ubyte v3, v[0:1], off
	s_mov_b32 s2, 0x7f800000
	s_waitcnt vmcnt(0)
	v_lshlrev_b32_e32 v3, 24, v3
	v_and_b32_e32 v4, 0x7f000000, v3
	v_ffbh_u32_e32 v5, v4
	v_min_u32_e32 v5, 32, v5
	v_sub_u32_e64 v5, v5, 4 clamp
	v_lshlrev_b32_e32 v7, v5, v4
	v_lshlrev_b32_e32 v5, 23, v5
	v_lshrrev_b32_e32 v7, 4, v7
	v_add_u32_e32 v6, 0x1000000, v4
	v_sub_u32_e32 v5, v7, v5
	v_ashrrev_i32_e32 v6, 8, v6
	v_add_u32_e32 v5, 0x3c000000, v5
	v_and_or_b32 v5, v6, s2, v5
	v_cmp_ne_u32_e32 vcc, 0, v4
	s_brev_b32 s2, 1
	s_nop 0
	v_cndmask_b32_e32 v4, 0, v5, vcc
	v_and_or_b32 v3, v3, s2, v4
	v_cvt_f64_f32_e32 v[4:5], v3
.LBB465_201:
	s_mov_b64 s[2:3], 0
.LBB465_202:
	s_andn2_b64 vcc, exec, s[2:3]
	s_cbranch_vccnz .LBB465_204
; %bb.203:
	global_load_ubyte v3, v[0:1], off
	s_movk_i32 s2, 0x7f00
	s_brev_b32 s3, 16
	s_waitcnt vmcnt(0)
	v_lshlrev_b16_e32 v4, 8, v3
	v_lshlrev_b32_e32 v3, 25, v3
	v_lshrrev_b32_e32 v5, 4, v3
	v_and_or_b32 v6, v4, s2, 0.5
	v_or_b32_e32 v5, 0x70000000, v5
	v_add_f32_e32 v6, -0.5, v6
	v_mul_f32_e32 v5, 0x7800000, v5
	v_cmp_gt_u32_e32 vcc, s3, v3
	v_bfe_i32 v4, v4, 0, 16
	s_brev_b32 s2, 1
	v_cndmask_b32_e32 v3, v5, v6, vcc
	v_and_or_b32 v3, v4, s2, v3
	v_cvt_f64_f32_e32 v[4:5], v3
.LBB465_204:
	s_mov_b64 s[6:7], 0
	s_mov_b64 s[2:3], -1
.LBB465_205:
	s_andn2_b64 vcc, exec, s[6:7]
	s_cbranch_vccnz .LBB465_216
; %bb.206:
	s_cmp_gt_i32 s10, 14
	s_cbranch_scc0 .LBB465_209
; %bb.207:
	s_cmp_eq_u32 s10, 15
	s_cbranch_scc0 .LBB465_210
; %bb.208:
	global_load_ushort v3, v[0:1], off
	s_mov_b64 s[2:3], -1
	s_mov_b64 s[4:5], 0
	s_waitcnt vmcnt(0)
	v_lshlrev_b32_e32 v3, 16, v3
	v_cvt_f64_f32_e32 v[4:5], v3
	s_branch .LBB465_211
.LBB465_209:
	s_mov_b64 s[6:7], -1
                                        ; implicit-def: $vgpr4_vgpr5
	s_branch .LBB465_212
.LBB465_210:
	s_mov_b64 s[4:5], -1
                                        ; implicit-def: $vgpr4_vgpr5
.LBB465_211:
	s_mov_b64 s[6:7], 0
.LBB465_212:
	s_and_b64 vcc, exec, s[6:7]
	s_cbranch_vccz .LBB465_216
; %bb.213:
	s_cmp_eq_u32 s10, 11
	s_cbranch_scc0 .LBB465_215
; %bb.214:
	global_load_ubyte v3, v[0:1], off
	v_mov_b32_e32 v5, 0x3ff00000
	v_mov_b32_e32 v4, 0
	s_mov_b64 s[2:3], -1
	s_mov_b64 s[4:5], 0
	s_waitcnt vmcnt(0)
	v_cmp_ne_u16_e32 vcc, 0, v3
	s_nop 1
	v_cndmask_b32_e32 v5, 0, v5, vcc
	s_branch .LBB465_216
.LBB465_215:
	s_mov_b64 s[4:5], -1
                                        ; implicit-def: $vgpr4_vgpr5
.LBB465_216:
	s_branch .LBB465_25
.LBB465_217:
	s_cmp_lt_i32 s10, 5
	s_cbranch_scc1 .LBB465_222
; %bb.218:
	s_cmp_lt_i32 s10, 8
	s_cbranch_scc1 .LBB465_223
; %bb.219:
	;; [unrolled: 3-line block ×3, first 2 shown]
	s_cmp_gt_i32 s10, 9
	s_cbranch_scc0 .LBB465_225
; %bb.221:
	global_load_dwordx2 v[4:5], v[0:1], off
	s_mov_b64 s[2:3], 0
	s_branch .LBB465_226
.LBB465_222:
                                        ; implicit-def: $vgpr4_vgpr5
	s_branch .LBB465_244
.LBB465_223:
	s_mov_b64 s[2:3], -1
                                        ; implicit-def: $vgpr4_vgpr5
	s_branch .LBB465_232
.LBB465_224:
	s_mov_b64 s[2:3], -1
                                        ; implicit-def: $vgpr4_vgpr5
	s_branch .LBB465_229
.LBB465_225:
	s_mov_b64 s[2:3], -1
                                        ; implicit-def: $vgpr4_vgpr5
.LBB465_226:
	s_andn2_b64 vcc, exec, s[2:3]
	s_cbranch_vccnz .LBB465_228
; %bb.227:
	global_load_dword v3, v[0:1], off
	s_waitcnt vmcnt(0)
	v_cvt_f64_f32_e32 v[4:5], v3
.LBB465_228:
	s_mov_b64 s[2:3], 0
.LBB465_229:
	s_andn2_b64 vcc, exec, s[2:3]
	s_cbranch_vccnz .LBB465_231
; %bb.230:
	global_load_dword v3, v[0:1], off
	s_waitcnt vmcnt(0)
	v_cvt_f32_f16_e32 v3, v3
	v_cvt_f64_f32_e32 v[4:5], v3
.LBB465_231:
	s_mov_b64 s[2:3], 0
.LBB465_232:
	s_andn2_b64 vcc, exec, s[2:3]
	s_cbranch_vccnz .LBB465_243
; %bb.233:
	s_cmp_lt_i32 s10, 6
	s_cbranch_scc1 .LBB465_236
; %bb.234:
	s_cmp_gt_i32 s10, 6
	s_cbranch_scc0 .LBB465_237
; %bb.235:
	global_load_dwordx2 v[4:5], v[0:1], off
	s_mov_b64 s[2:3], 0
	s_branch .LBB465_238
.LBB465_236:
	s_mov_b64 s[2:3], -1
                                        ; implicit-def: $vgpr4_vgpr5
	s_branch .LBB465_241
.LBB465_237:
	s_mov_b64 s[2:3], -1
                                        ; implicit-def: $vgpr4_vgpr5
.LBB465_238:
	s_andn2_b64 vcc, exec, s[2:3]
	s_cbranch_vccnz .LBB465_240
; %bb.239:
	global_load_dword v3, v[0:1], off
	s_waitcnt vmcnt(0)
	v_cvt_f64_f32_e32 v[4:5], v3
.LBB465_240:
	s_mov_b64 s[2:3], 0
.LBB465_241:
	s_andn2_b64 vcc, exec, s[2:3]
	s_cbranch_vccnz .LBB465_243
; %bb.242:
	global_load_ushort v3, v[0:1], off
	s_waitcnt vmcnt(0)
	v_cvt_f32_f16_e32 v3, v3
	v_cvt_f64_f32_e32 v[4:5], v3
.LBB465_243:
	s_cbranch_execnz .LBB465_263
.LBB465_244:
	s_cmp_lt_i32 s10, 2
	s_cbranch_scc1 .LBB465_248
; %bb.245:
	s_cmp_lt_i32 s10, 3
	s_cbranch_scc1 .LBB465_249
; %bb.246:
	s_cmp_gt_i32 s10, 3
	s_cbranch_scc0 .LBB465_250
; %bb.247:
	global_load_dwordx2 v[4:5], v[0:1], off
	s_mov_b64 s[2:3], 0
	s_waitcnt vmcnt(0)
	v_cvt_f64_i32_e32 v[6:7], v5
	v_cvt_f64_u32_e32 v[4:5], v4
	v_ldexp_f64 v[6:7], v[6:7], 32
	v_add_f64 v[4:5], v[6:7], v[4:5]
	s_branch .LBB465_251
.LBB465_248:
	s_mov_b64 s[2:3], -1
                                        ; implicit-def: $vgpr4_vgpr5
	s_branch .LBB465_257
.LBB465_249:
	s_mov_b64 s[2:3], -1
                                        ; implicit-def: $vgpr4_vgpr5
	s_branch .LBB465_254
.LBB465_250:
	s_mov_b64 s[2:3], -1
                                        ; implicit-def: $vgpr4_vgpr5
.LBB465_251:
	s_andn2_b64 vcc, exec, s[2:3]
	s_cbranch_vccnz .LBB465_253
; %bb.252:
	global_load_dword v3, v[0:1], off
	s_waitcnt vmcnt(0)
	v_cvt_f64_i32_e32 v[4:5], v3
.LBB465_253:
	s_mov_b64 s[2:3], 0
.LBB465_254:
	s_andn2_b64 vcc, exec, s[2:3]
	s_cbranch_vccnz .LBB465_256
; %bb.255:
	global_load_sshort v3, v[0:1], off
	s_waitcnt vmcnt(0)
	v_cvt_f64_i32_e32 v[4:5], v3
.LBB465_256:
	s_mov_b64 s[2:3], 0
.LBB465_257:
	s_andn2_b64 vcc, exec, s[2:3]
	s_cbranch_vccnz .LBB465_263
; %bb.258:
	s_cmp_gt_i32 s10, 0
	s_cbranch_scc0 .LBB465_260
; %bb.259:
	global_load_sbyte v3, v[0:1], off
	s_mov_b64 s[2:3], 0
	s_waitcnt vmcnt(0)
	v_cvt_f64_i32_e32 v[4:5], v3
	s_branch .LBB465_261
.LBB465_260:
	s_mov_b64 s[2:3], -1
                                        ; implicit-def: $vgpr4_vgpr5
.LBB465_261:
	s_andn2_b64 vcc, exec, s[2:3]
	s_cbranch_vccnz .LBB465_263
; %bb.262:
	global_load_ubyte v0, v[0:1], off
	s_waitcnt vmcnt(0)
	v_cvt_f64_u32_e32 v[4:5], v0
.LBB465_263:
	s_branch .LBB465_26
.LBB465_264:
	s_mov_b64 s[2:3], 0
.LBB465_265:
	s_mov_b64 s[6:7], 0
                                        ; implicit-def: $vgpr10
.LBB465_266:
	s_and_b64 s[56:57], s[2:3], exec
	s_and_b64 s[58:59], s[4:5], exec
	s_orn2_b64 s[4:5], s[6:7], exec
.LBB465_267:
	s_or_b64 exec, exec, s[60:61]
	s_mov_b64 s[8:9], 0
	s_mov_b64 s[2:3], 0
                                        ; implicit-def: $vgpr0_vgpr1
                                        ; implicit-def: $vgpr2
                                        ; implicit-def: $vgpr6_vgpr7
	s_and_saveexec_b64 s[60:61], s[4:5]
	s_cbranch_execz .LBB465_275
; %bb.268:
	v_cmp_gt_i32_e32 vcc, s72, v10
	s_mov_b64 s[2:3], -1
	s_mov_b64 s[62:63], s[58:59]
	s_mov_b64 s[64:65], s[56:57]
	s_and_saveexec_b64 s[66:67], vcc
	s_cbranch_execz .LBB465_544
; %bb.269:
	s_andn2_b64 vcc, exec, s[42:43]
	s_cbranch_vccnz .LBB465_278
; %bb.270:
	s_andn2_b64 vcc, exec, s[54:55]
	s_cbranch_vccnz .LBB465_279
; %bb.271:
	s_add_i32 s65, s77, 1
	s_cmp_eq_u32 s74, 2
	s_cbranch_scc1 .LBB465_280
; %bb.272:
	s_and_b32 s64, s65, 28
	s_mov_b32 s68, 0
	v_mov_b32_e32 v2, 0
	v_mov_b32_e32 v0, 0
	s_mov_b64 s[2:3], s[34:35]
	s_mov_b64 s[62:63], s[52:53]
	s_waitcnt vmcnt(0)
	v_mov_b32_e32 v4, v10
.LBB465_273:                            ; =>This Inner Loop Header: Depth=1
	s_load_dwordx8 s[12:19], s[2:3], 0x4
	s_load_dwordx4 s[36:39], s[2:3], 0x24
	s_load_dwordx8 s[4:11], s[62:63], 0x0
	s_add_u32 s2, s2, 48
	s_addc_u32 s3, s3, 0
	s_waitcnt lgkmcnt(0)
	v_mul_hi_u32 v1, s13, v4
	v_add_u32_e32 v1, v4, v1
	v_lshrrev_b32_e32 v1, s14, v1
	v_mul_lo_u32 v3, v1, s12
	v_mul_hi_u32 v5, s16, v1
	v_sub_u32_e32 v3, v4, v3
	v_add_u32_e32 v4, v1, v5
	v_lshrrev_b32_e32 v4, s17, v4
	v_mul_lo_u32 v6, v4, s15
	v_mul_hi_u32 v7, s19, v4
	v_sub_u32_e32 v1, v1, v6
	v_add_u32_e32 v6, v4, v7
	v_mul_lo_u32 v5, v3, s5
	v_mul_lo_u32 v3, v3, s4
	;; [unrolled: 1-line block ×4, first 2 shown]
	v_lshrrev_b32_e32 v6, s36, v6
	v_add3_u32 v1, v3, v2, v1
	v_mul_hi_u32 v3, s38, v6
	v_mul_lo_u32 v2, v6, s18
	v_add_u32_e32 v3, v6, v3
	v_sub_u32_e32 v2, v4, v2
	v_lshrrev_b32_e32 v4, s39, v3
	s_add_i32 s68, s68, 4
	v_mul_lo_u32 v3, v4, s37
	s_add_u32 s62, s62, 32
	v_sub_u32_e32 v3, v6, v3
	s_addc_u32 s63, s63, 0
	v_add3_u32 v0, v5, v0, v7
	v_mul_lo_u32 v5, v2, s8
	v_mul_lo_u32 v2, v2, s9
	;; [unrolled: 1-line block ×4, first 2 shown]
	s_cmp_eq_u32 s64, s68
	v_add3_u32 v0, v2, v0, v3
	v_add3_u32 v2, v5, v1, v6
	s_cbranch_scc0 .LBB465_273
; %bb.274:
	v_mov_b32_e32 v1, v0
	s_branch .LBB465_281
.LBB465_275:
	s_or_b64 exec, exec, s[60:61]
	s_mov_b64 s[4:5], 0
	s_and_saveexec_b64 s[6:7], s[58:59]
	s_cbranch_execnz .LBB465_922
.LBB465_276:
	s_or_b64 exec, exec, s[6:7]
	s_and_saveexec_b64 s[6:7], s[64:65]
	s_xor_b64 s[6:7], exec, s[6:7]
	s_cbranch_execz .LBB465_923
.LBB465_277:
	global_load_ubyte v3, v[0:1], off
	s_waitcnt vmcnt(1)
	v_mov_b32_e32 v4, 0x3ff00000
	v_mov_b32_e32 v6, 0
	s_or_b64 s[2:3], s[2:3], exec
	s_waitcnt vmcnt(0)
	v_cmp_ne_u16_e32 vcc, 0, v3
	s_nop 1
	v_cndmask_b32_e32 v7, 0, v4, vcc
	s_or_b64 exec, exec, s[6:7]
	s_and_saveexec_b64 s[6:7], s[8:9]
	s_cbranch_execz .LBB465_969
	s_branch .LBB465_924
.LBB465_278:
                                        ; implicit-def: $vgpr0
                                        ; implicit-def: $vgpr2
	s_andn2_b64 vcc, exec, s[2:3]
	s_cbranch_vccz .LBB465_285
	s_branch .LBB465_287
.LBB465_279:
	v_mov_b32_e32 v0, 0
	v_mov_b32_e32 v2, 0
	s_branch .LBB465_284
.LBB465_280:
	v_mov_b32_e32 v2, 0
	s_mov_b32 s64, 0
	v_mov_b32_e32 v1, v2
                                        ; implicit-def: $vgpr0
	s_waitcnt vmcnt(0)
	v_mov_b32_e32 v4, v10
.LBB465_281:
	s_and_b32 s6, s65, 3
	s_cmp_eq_u32 s6, 0
	s_cbranch_scc1 .LBB465_284
; %bb.282:
	s_lshl_b32 s2, s64, 3
	s_add_u32 s2, s34, s2
	s_addc_u32 s3, s35, 0
	s_add_u32 s2, s2, 0xc4
	s_addc_u32 s3, s3, 0
	s_mul_i32 s4, s64, 12
	s_add_u32 s4, s34, s4
	s_addc_u32 s5, s35, 0
.LBB465_283:                            ; =>This Inner Loop Header: Depth=1
	s_load_dwordx2 s[8:9], s[4:5], 0x4
	s_load_dword s7, s[4:5], 0xc
	s_load_dwordx2 s[10:11], s[2:3], 0x0
	v_mov_b32_e32 v0, v1
	s_add_u32 s4, s4, 12
	s_waitcnt lgkmcnt(0)
	v_mul_hi_u32 v1, s9, v4
	v_add_u32_e32 v1, v4, v1
	v_lshrrev_b32_e32 v1, s7, v1
	s_addc_u32 s5, s5, 0
	v_mul_lo_u32 v3, v1, s8
	s_add_u32 s2, s2, 8
	v_sub_u32_e32 v3, v4, v3
	s_addc_u32 s3, s3, 0
	s_add_i32 s6, s6, -1
	v_mov_b32_e32 v4, v1
	v_mad_u64_u32 v[0:1], s[8:9], v3, s11, v[0:1]
	s_cmp_lg_u32 s6, 0
	v_mad_u64_u32 v[2:3], s[8:9], v3, s10, v[2:3]
	v_mov_b32_e32 v1, v0
	s_cbranch_scc1 .LBB465_283
.LBB465_284:
	s_cbranch_execnz .LBB465_287
.LBB465_285:
	v_mul_hi_u32 v0, s25, v10
	v_add_u32_e32 v0, v10, v0
	v_lshrrev_b32_e32 v1, s26, v0
	v_mul_lo_u32 v0, v1, s24
	v_sub_u32_e32 v2, v10, v0
	v_mul_lo_u32 v0, v2, s29
	s_andn2_b64 vcc, exec, s[50:51]
	v_mul_lo_u32 v2, v2, s28
	s_cbranch_vccnz .LBB465_287
; %bb.286:
	v_mul_hi_u32 v3, s48, v1
	v_add_u32_e32 v3, v1, v3
	v_lshrrev_b32_e32 v3, s49, v3
	v_mul_lo_u32 v3, v3, s27
	v_sub_u32_e32 v1, v1, v3
	v_mad_u64_u32 v[2:3], s[2:3], v1, s30, v[2:3]
	v_mad_u64_u32 v[0:1], s[2:3], v1, s31, v[0:1]
.LBB465_287:
	v_mov_b32_e32 v1, 0
	s_and_b32 s10, 0xffff, s76
	s_cmp_lt_i32 s10, 11
	v_lshl_add_u64 v[0:1], s[22:23], 0, v[0:1]
	s_cbranch_scc1 .LBB465_294
; %bb.288:
	s_cmp_gt_i32 s10, 25
	s_cbranch_scc0 .LBB465_303
; %bb.289:
	s_cmp_gt_i32 s10, 28
	s_cbranch_scc0 .LBB465_305
	;; [unrolled: 3-line block ×4, first 2 shown]
; %bb.292:
	s_cmp_eq_u32 s10, 46
	s_mov_b64 s[6:7], 0
	s_cbranch_scc0 .LBB465_315
; %bb.293:
	global_load_dword v3, v[0:1], off
	s_mov_b64 s[2:3], -1
	s_mov_b64 s[4:5], 0
	s_waitcnt vmcnt(0)
	v_lshlrev_b32_e32 v3, 16, v3
	v_cvt_f64_f32_e32 v[4:5], v3
	s_branch .LBB465_316
.LBB465_294:
	s_mov_b64 s[2:3], 0
                                        ; implicit-def: $vgpr4_vgpr5
	s_mov_b64 s[4:5], s[58:59]
	s_cbranch_execnz .LBB465_493
.LBB465_295:
	s_andn2_b64 vcc, exec, s[2:3]
	s_cbranch_vccnz .LBB465_541
.LBB465_296:
	v_max_f64 v[0:1], s[46:47], s[46:47]
	s_waitcnt vmcnt(0)
	v_max_f64 v[6:7], v[4:5], v[4:5]
	v_min_f64 v[0:1], v[6:7], v[0:1]
	v_cmp_u_f64_e32 vcc, v[4:5], v[4:5]
	v_mov_b32_e32 v3, 0
	s_and_b32 s12, s75, 0xff
	v_cndmask_b32_e32 v1, v1, v5, vcc
	v_cndmask_b32_e32 v0, v0, v4, vcc
	s_cmp_lt_i32 s12, 11
	v_lshl_add_u64 v[4:5], s[20:21], 0, v[2:3]
	s_cbranch_scc1 .LBB465_304
; %bb.297:
	s_and_b32 s13, 0xffff, s12
	s_cmp_gt_i32 s13, 25
	s_cbranch_scc0 .LBB465_306
; %bb.298:
	s_cmp_gt_i32 s13, 28
	s_cbranch_scc0 .LBB465_308
; %bb.299:
	;; [unrolled: 3-line block ×4, first 2 shown]
	s_mov_b64 s[8:9], 0
	s_mov_b64 s[2:3], -1
	s_cmp_eq_u32 s13, 46
	s_mov_b64 s[6:7], 0
	s_cbranch_scc0 .LBB465_320
; %bb.302:
	v_cvt_f32_f64_e32 v2, v[0:1]
	v_bfe_u32 v3, v2, 16, 1
	s_movk_i32 s2, 0x7fff
	v_add3_u32 v3, v2, v3, s2
	v_cmp_o_f32_e32 vcc, v2, v2
	v_mov_b32_e32 v2, 0x7fc0
	s_mov_b64 s[6:7], -1
	v_cndmask_b32_sdwa v2, v2, v3, vcc dst_sel:DWORD dst_unused:UNUSED_PAD src0_sel:DWORD src1_sel:WORD_1
	global_store_dword v[4:5], v2, off
	s_mov_b64 s[2:3], 0
	s_branch .LBB465_320
.LBB465_303:
	s_mov_b64 s[6:7], -1
	s_mov_b64 s[2:3], 0
	s_mov_b64 s[4:5], s[58:59]
                                        ; implicit-def: $vgpr4_vgpr5
	s_branch .LBB465_459
.LBB465_304:
	s_mov_b64 s[8:9], -1
	s_mov_b64 s[6:7], 0
	s_mov_b64 s[2:3], s[56:57]
	s_branch .LBB465_389
.LBB465_305:
	s_mov_b64 s[6:7], -1
	s_mov_b64 s[2:3], 0
	s_mov_b64 s[4:5], s[58:59]
                                        ; implicit-def: $vgpr4_vgpr5
	s_branch .LBB465_438
.LBB465_306:
	s_mov_b64 s[8:9], -1
	s_mov_b64 s[6:7], 0
	s_mov_b64 s[2:3], s[56:57]
	s_branch .LBB465_347
.LBB465_307:
	s_mov_b64 s[6:7], -1
	s_mov_b64 s[2:3], 0
	s_mov_b64 s[4:5], s[58:59]
                                        ; implicit-def: $vgpr4_vgpr5
	s_branch .LBB465_433
.LBB465_308:
	s_mov_b64 s[8:9], -1
	s_mov_b64 s[6:7], 0
	s_mov_b64 s[2:3], s[56:57]
	s_branch .LBB465_330
.LBB465_309:
	s_andn2_saveexec_b64 s[10:11], s[10:11]
	s_cbranch_execz .LBB465_69
.LBB465_310:
	s_mov_b32 s14, 0x46000000
	v_add_f32_e64 v3, |v2|, s14
	v_and_b32_e32 v3, 0xff, v3
	v_cmp_ne_u32_e32 vcc, 0, v3
	s_andn2_b64 s[8:9], s[8:9], exec
	s_and_b64 s[14:15], vcc, exec
	s_or_b64 s[8:9], s[8:9], s[14:15]
	s_or_b64 exec, exec, s[10:11]
	v_mov_b32_e32 v6, 0
	s_and_saveexec_b64 s[10:11], s[8:9]
	s_cbranch_execnz .LBB465_70
	s_branch .LBB465_71
.LBB465_311:
	s_mov_b64 s[6:7], -1
	s_mov_b64 s[2:3], 0
	s_mov_b64 s[4:5], s[58:59]
                                        ; implicit-def: $vgpr4_vgpr5
	s_branch .LBB465_316
.LBB465_312:
	s_mov_b64 s[8:9], -1
	s_mov_b64 s[6:7], 0
	s_mov_b64 s[2:3], s[56:57]
	s_branch .LBB465_326
.LBB465_313:
	s_andn2_saveexec_b64 s[10:11], s[10:11]
	s_cbranch_execz .LBB465_82
.LBB465_314:
	s_mov_b32 s14, 0x42800000
	v_add_f32_e64 v3, |v2|, s14
	v_and_b32_e32 v3, 0xff, v3
	v_cmp_ne_u32_e32 vcc, 0, v3
	s_andn2_b64 s[8:9], s[8:9], exec
	s_and_b64 s[14:15], vcc, exec
	s_or_b64 s[8:9], s[8:9], s[14:15]
	s_or_b64 exec, exec, s[10:11]
	v_mov_b32_e32 v6, 0
	s_and_saveexec_b64 s[10:11], s[8:9]
	s_cbranch_execnz .LBB465_83
	s_branch .LBB465_84
.LBB465_315:
	s_mov_b64 s[4:5], -1
                                        ; implicit-def: $vgpr4_vgpr5
	s_mov_b64 s[2:3], 0
.LBB465_316:
	s_and_b64 vcc, exec, s[6:7]
	s_cbranch_vccz .LBB465_432
; %bb.317:
	s_cmp_eq_u32 s10, 44
	s_cbranch_scc0 .LBB465_431
; %bb.318:
	global_load_ubyte v3, v[0:1], off
	s_movk_i32 s4, 0xff
	v_bfrev_b32_e32 v6, 4
	v_mov_b32_e32 v7, 0x7ff80000
	v_bfrev_b32_e32 v8, 28
	s_mov_b64 s[2:3], -1
	s_waitcnt vmcnt(0)
	v_lshlrev_b32_e32 v4, 23, v3
	v_cvt_f64_f32_e32 v[4:5], v4
	v_cmp_ne_u32_e32 vcc, s4, v3
	s_mov_b64 s[4:5], 0
	s_nop 0
	v_cndmask_b32_e32 v4, v6, v4, vcc
	v_cndmask_b32_e32 v5, v7, v5, vcc
	v_cmp_ne_u32_e32 vcc, 0, v3
	s_nop 1
	v_cndmask_b32_e32 v5, v8, v5, vcc
	v_cndmask_b32_e32 v4, 0, v4, vcc
	s_branch .LBB465_432
.LBB465_319:
	s_mov_b64 s[8:9], -1
	s_mov_b64 s[6:7], 0
	s_mov_b64 s[2:3], s[56:57]
.LBB465_320:
	s_and_b64 vcc, exec, s[8:9]
	s_cbranch_vccz .LBB465_325
; %bb.321:
	s_cmp_eq_u32 s13, 44
	s_mov_b64 s[2:3], -1
	s_cbranch_scc0 .LBB465_325
; %bb.322:
	v_cvt_f32_f64_e32 v2, v[0:1]
	v_bfe_u32 v3, v2, 23, 8
	s_movk_i32 s2, 0xff
	v_cmp_ne_u32_e32 vcc, s2, v3
	v_mov_b32_e32 v6, 0xff
	s_and_saveexec_b64 s[6:7], vcc
; %bb.323:
	s_mov_b32 s2, 0x3fffff
	v_lshrrev_b32_e32 v6, 23, v2
	v_and_b32_e32 v7, 0x400000, v2
	v_and_or_b32 v2, v2, s2, v3
	v_cmp_ne_u32_e32 vcc, 0, v7
	v_cmp_ne_u32_e64 s[2:3], 0, v2
	s_and_b64 s[2:3], vcc, s[2:3]
	s_nop 0
	v_cndmask_b32_e64 v2, 0, 1, s[2:3]
	v_add_u32_e32 v6, v6, v2
; %bb.324:
	s_or_b64 exec, exec, s[6:7]
	s_mov_b64 s[6:7], -1
	s_mov_b64 s[2:3], 0
	global_store_byte v[4:5], v6, off
.LBB465_325:
	s_mov_b64 s[8:9], 0
.LBB465_326:
	s_and_b64 vcc, exec, s[8:9]
	s_cbranch_vccz .LBB465_329
; %bb.327:
	s_cmp_eq_u32 s13, 29
	s_mov_b64 s[2:3], -1
	s_cbranch_scc0 .LBB465_329
; %bb.328:
	v_trunc_f64_e32 v[2:3], v[0:1]
	s_movk_i32 s2, 0xffe0
	v_ldexp_f64 v[6:7], v[2:3], s2
	v_floor_f64_e32 v[6:7], v[6:7]
	v_fmac_f64_e32 v[2:3], 0xc1f00000, v[6:7]
	v_cvt_u32_f64_e32 v9, v[6:7]
	v_cvt_u32_f64_e32 v8, v[2:3]
	global_store_dwordx2 v[4:5], v[8:9], off
	s_mov_b64 s[6:7], -1
	s_mov_b64 s[2:3], 0
.LBB465_329:
	s_mov_b64 s[8:9], 0
.LBB465_330:
	s_and_b64 vcc, exec, s[8:9]
	s_cbranch_vccz .LBB465_346
; %bb.331:
	s_cmp_lt_i32 s13, 27
	s_mov_b64 s[6:7], -1
	s_cbranch_scc1 .LBB465_337
; %bb.332:
	s_cmp_gt_i32 s13, 27
	v_cvt_u32_f64_e32 v2, v[0:1]
	s_cbranch_scc0 .LBB465_334
; %bb.333:
	s_mov_b64 s[6:7], 0
	global_store_dword v[4:5], v2, off
.LBB465_334:
	s_andn2_b64 vcc, exec, s[6:7]
	s_cbranch_vccnz .LBB465_336
; %bb.335:
	global_store_short v[4:5], v2, off
.LBB465_336:
	s_mov_b64 s[6:7], 0
.LBB465_337:
	s_andn2_b64 vcc, exec, s[6:7]
	s_cbranch_vccnz .LBB465_345
; %bb.338:
	v_cvt_f32_f64_e32 v2, v[0:1]
	v_and_b32_e32 v3, 0x7fffffff, v2
	s_mov_b32 s6, 0x43800000
	v_cmp_gt_u32_e32 vcc, s6, v3
	v_mov_b32_e32 v6, 0x80
	s_and_saveexec_b64 s[6:7], vcc
	s_cbranch_execz .LBB465_344
; %bb.339:
	s_mov_b32 s8, 0x3bffffff
	v_cmp_lt_u32_e32 vcc, s8, v3
	s_mov_b64 s[8:9], 0
                                        ; implicit-def: $vgpr3
	s_and_saveexec_b64 s[10:11], vcc
	s_xor_b64 s[10:11], exec, s[10:11]
	s_cbranch_execz .LBB465_573
; %bb.340:
	v_bfe_u32 v3, v2, 20, 1
	s_mov_b32 s14, 0x487ffff
	v_add3_u32 v3, v2, v3, s14
	s_mov_b64 s[8:9], exec
	v_lshrrev_b32_e32 v3, 20, v3
	s_andn2_saveexec_b64 s[10:11], s[10:11]
	s_cbranch_execnz .LBB465_574
.LBB465_341:
	s_or_b64 exec, exec, s[10:11]
	v_mov_b32_e32 v6, 0
	s_and_saveexec_b64 s[10:11], s[8:9]
.LBB465_342:
	v_lshrrev_b32_e32 v2, 24, v2
	s_movk_i32 s8, 0x80
	v_and_or_b32 v6, v2, s8, v3
.LBB465_343:
	s_or_b64 exec, exec, s[10:11]
.LBB465_344:
	s_or_b64 exec, exec, s[6:7]
	global_store_byte v[4:5], v6, off
.LBB465_345:
	s_mov_b64 s[6:7], -1
.LBB465_346:
	s_mov_b64 s[8:9], 0
.LBB465_347:
	s_and_b64 vcc, exec, s[8:9]
	s_cbranch_vccz .LBB465_388
; %bb.348:
	s_cmp_gt_i32 s13, 22
	s_mov_b64 s[8:9], -1
	s_cbranch_scc0 .LBB465_380
; %bb.349:
	s_cmp_lt_i32 s13, 24
	s_mov_b64 s[6:7], -1
	s_cbranch_scc1 .LBB465_369
; %bb.350:
	s_cmp_gt_i32 s13, 24
	s_cbranch_scc0 .LBB465_358
; %bb.351:
	v_cvt_f32_f64_e32 v2, v[0:1]
	v_and_b32_e32 v3, 0x7fffffff, v2
	s_mov_b32 s6, 0x47800000
	v_cmp_gt_u32_e32 vcc, s6, v3
	v_mov_b32_e32 v6, 0x80
	s_and_saveexec_b64 s[6:7], vcc
	s_cbranch_execz .LBB465_357
; %bb.352:
	s_mov_b32 s8, 0x37ffffff
	v_cmp_lt_u32_e32 vcc, s8, v3
	s_mov_b64 s[8:9], 0
                                        ; implicit-def: $vgpr3
	s_and_saveexec_b64 s[10:11], vcc
	s_xor_b64 s[10:11], exec, s[10:11]
	s_cbranch_execz .LBB465_576
; %bb.353:
	v_bfe_u32 v3, v2, 21, 1
	s_mov_b32 s14, 0x88fffff
	v_add3_u32 v3, v2, v3, s14
	s_mov_b64 s[8:9], exec
	v_lshrrev_b32_e32 v3, 21, v3
	s_andn2_saveexec_b64 s[10:11], s[10:11]
	s_cbranch_execnz .LBB465_577
.LBB465_354:
	s_or_b64 exec, exec, s[10:11]
	v_mov_b32_e32 v6, 0
	s_and_saveexec_b64 s[10:11], s[8:9]
.LBB465_355:
	v_lshrrev_b32_e32 v2, 24, v2
	s_movk_i32 s8, 0x80
	v_and_or_b32 v6, v2, s8, v3
.LBB465_356:
	s_or_b64 exec, exec, s[10:11]
.LBB465_357:
	s_or_b64 exec, exec, s[6:7]
	s_mov_b64 s[6:7], 0
	global_store_byte v[4:5], v6, off
.LBB465_358:
	s_and_b64 vcc, exec, s[6:7]
	s_cbranch_vccz .LBB465_368
; %bb.359:
	v_cvt_f32_f64_e32 v2, v[0:1]
	v_and_b32_e32 v6, 0x7fffffff, v2
	s_mov_b32 s6, 0x43f00000
	v_cmp_gt_u32_e32 vcc, s6, v6
                                        ; implicit-def: $vgpr3
	s_and_saveexec_b64 s[6:7], vcc
	s_xor_b64 s[6:7], exec, s[6:7]
	s_cbranch_execz .LBB465_365
; %bb.360:
	s_mov_b32 s8, 0x3c7fffff
	v_cmp_lt_u32_e32 vcc, s8, v6
                                        ; implicit-def: $vgpr3
	s_and_saveexec_b64 s[8:9], vcc
	s_xor_b64 s[8:9], exec, s[8:9]
; %bb.361:
	v_bfe_u32 v3, v2, 20, 1
	s_mov_b32 s10, 0x407ffff
	v_add3_u32 v3, v2, v3, s10
	v_lshrrev_b32_e32 v6, 20, v3
	v_and_b32_e32 v3, 0xff00000, v3
	s_mov_b32 s10, 0x7f00000
	v_mov_b32_e32 v7, 0x7e
	v_cmp_ne_u32_e32 vcc, s10, v3
	s_nop 1
	v_cndmask_b32_e32 v3, v7, v6, vcc
; %bb.362:
	s_andn2_saveexec_b64 s[8:9], s[8:9]
; %bb.363:
	s_mov_b32 s10, 0x46800000
	v_add_f32_e64 v3, |v2|, s10
; %bb.364:
	s_or_b64 exec, exec, s[8:9]
                                        ; implicit-def: $vgpr6
.LBB465_365:
	s_andn2_saveexec_b64 s[6:7], s[6:7]
; %bb.366:
	s_mov_b32 s8, 0x7f800000
	v_mov_b32_e32 v3, 0x7e
	v_mov_b32_e32 v7, 0x7f
	v_cmp_lt_u32_e32 vcc, s8, v6
	s_nop 1
	v_cndmask_b32_e32 v3, v3, v7, vcc
; %bb.367:
	s_or_b64 exec, exec, s[6:7]
	v_lshrrev_b32_e32 v2, 24, v2
	s_movk_i32 s6, 0x80
	v_and_or_b32 v2, v2, s6, v3
	global_store_byte v[4:5], v2, off
.LBB465_368:
	s_mov_b64 s[6:7], 0
.LBB465_369:
	s_andn2_b64 vcc, exec, s[6:7]
	s_cbranch_vccnz .LBB465_379
; %bb.370:
	v_cvt_f32_f64_e32 v2, v[0:1]
	v_and_b32_e32 v6, 0x7fffffff, v2
	s_mov_b32 s6, 0x47800000
	v_cmp_gt_u32_e32 vcc, s6, v6
                                        ; implicit-def: $vgpr3
	s_and_saveexec_b64 s[6:7], vcc
	s_xor_b64 s[6:7], exec, s[6:7]
	s_cbranch_execz .LBB465_376
; %bb.371:
	s_mov_b32 s8, 0x387fffff
	v_cmp_lt_u32_e32 vcc, s8, v6
                                        ; implicit-def: $vgpr3
	s_and_saveexec_b64 s[8:9], vcc
	s_xor_b64 s[8:9], exec, s[8:9]
; %bb.372:
	v_bfe_u32 v3, v2, 21, 1
	s_mov_b32 s10, 0x80fffff
	v_add3_u32 v3, v2, v3, s10
	v_lshrrev_b32_e32 v3, 21, v3
; %bb.373:
	s_andn2_saveexec_b64 s[8:9], s[8:9]
; %bb.374:
	s_mov_b32 s10, 0x43000000
	v_add_f32_e64 v3, |v2|, s10
; %bb.375:
	s_or_b64 exec, exec, s[8:9]
                                        ; implicit-def: $vgpr6
.LBB465_376:
	s_andn2_saveexec_b64 s[6:7], s[6:7]
; %bb.377:
	s_mov_b32 s8, 0x7f800000
	v_mov_b32_e32 v3, 0x7c
	v_mov_b32_e32 v7, 0x7f
	v_cmp_lt_u32_e32 vcc, s8, v6
	s_nop 1
	v_cndmask_b32_e32 v3, v3, v7, vcc
; %bb.378:
	s_or_b64 exec, exec, s[6:7]
	v_lshrrev_b32_e32 v2, 24, v2
	s_movk_i32 s6, 0x80
	v_and_or_b32 v2, v2, s6, v3
	global_store_byte v[4:5], v2, off
.LBB465_379:
	s_mov_b64 s[8:9], 0
	s_mov_b64 s[6:7], -1
.LBB465_380:
	s_andn2_b64 vcc, exec, s[8:9]
	s_cbranch_vccnz .LBB465_388
; %bb.381:
	s_cmp_gt_i32 s13, 14
	s_mov_b64 s[8:9], -1
	s_cbranch_scc0 .LBB465_385
; %bb.382:
	s_cmp_eq_u32 s13, 15
	s_mov_b64 s[2:3], -1
	s_cbranch_scc0 .LBB465_384
; %bb.383:
	v_cvt_f32_f64_e32 v2, v[0:1]
	v_bfe_u32 v3, v2, 16, 1
	s_movk_i32 s2, 0x7fff
	v_add3_u32 v3, v2, v3, s2
	v_cmp_o_f32_e32 vcc, v2, v2
	v_mov_b32_e32 v2, 0x7fc0
	s_mov_b64 s[6:7], -1
	v_cndmask_b32_sdwa v2, v2, v3, vcc dst_sel:DWORD dst_unused:UNUSED_PAD src0_sel:DWORD src1_sel:WORD_1
	global_store_short v[4:5], v2, off
	s_mov_b64 s[2:3], 0
.LBB465_384:
	s_mov_b64 s[8:9], 0
.LBB465_385:
	s_and_b64 vcc, exec, s[8:9]
	s_cbranch_vccz .LBB465_388
; %bb.386:
	s_cmp_eq_u32 s13, 11
	s_mov_b64 s[2:3], -1
	s_cbranch_scc0 .LBB465_388
; %bb.387:
	v_cmp_neq_f64_e32 vcc, 0, v[0:1]
	s_mov_b64 s[2:3], 0
	s_mov_b64 s[6:7], -1
	v_cndmask_b32_e64 v2, 0, 1, vcc
	global_store_byte v[4:5], v2, off
.LBB465_388:
	s_mov_b64 s[8:9], 0
.LBB465_389:
	s_and_b64 vcc, exec, s[8:9]
	s_cbranch_vccz .LBB465_428
; %bb.390:
	s_and_b32 s8, 0xffff, s12
	s_cmp_lt_i32 s8, 5
	s_mov_b64 s[6:7], -1
	s_cbranch_scc1 .LBB465_411
; %bb.391:
	s_cmp_lt_i32 s8, 8
	s_cbranch_scc1 .LBB465_401
; %bb.392:
	s_cmp_lt_i32 s8, 9
	s_cbranch_scc1 .LBB465_398
; %bb.393:
	s_cmp_gt_i32 s8, 9
	s_cbranch_scc0 .LBB465_395
; %bb.394:
	v_mov_b32_e32 v2, 0
	v_mov_b32_e32 v3, v2
	s_mov_b64 s[6:7], 0
	global_store_dwordx4 v[4:5], v[0:3], off
.LBB465_395:
	s_andn2_b64 vcc, exec, s[6:7]
	s_cbranch_vccnz .LBB465_397
; %bb.396:
	v_cvt_f32_f64_e32 v2, v[0:1]
	v_mov_b32_e32 v3, 0
	global_store_dwordx2 v[4:5], v[2:3], off
.LBB465_397:
	s_mov_b64 s[6:7], 0
.LBB465_398:
	s_andn2_b64 vcc, exec, s[6:7]
	s_cbranch_vccnz .LBB465_400
; %bb.399:
	s_movk_i32 s6, 0x1ff
	v_and_or_b32 v2, v1, s6, v0
	v_cmp_ne_u32_e32 vcc, 0, v2
	v_lshrrev_b32_e32 v3, 8, v1
	s_movk_i32 s6, 0xffe
	v_cndmask_b32_e64 v2, 0, 1, vcc
	v_bfe_u32 v6, v1, 20, 11
	v_and_or_b32 v2, v3, s6, v2
	v_sub_u32_e32 v7, 0x3f1, v6
	v_or_b32_e32 v3, 0x1000, v2
	v_med3_i32 v7, v7, 0, 13
	v_lshrrev_b32_e32 v8, v7, v3
	v_lshlrev_b32_e32 v7, v7, v8
	v_cmp_ne_u32_e32 vcc, v7, v3
	v_add_u32_e32 v6, 0xfffffc10, v6
	v_lshl_or_b32 v7, v6, 12, v2
	v_cndmask_b32_e64 v3, 0, 1, vcc
	v_or_b32_e32 v3, v8, v3
	v_cmp_gt_i32_e32 vcc, 1, v6
	s_movk_i32 s6, 0x40f
	s_nop 0
	v_cndmask_b32_e32 v3, v7, v3, vcc
	v_and_b32_e32 v7, 7, v3
	v_cmp_lt_i32_e32 vcc, 5, v7
	v_lshrrev_b32_e32 v3, 2, v3
	s_nop 0
	v_cndmask_b32_e64 v8, 0, 1, vcc
	v_cmp_eq_u32_e32 vcc, 3, v7
	s_nop 1
	v_cndmask_b32_e64 v7, 0, 1, vcc
	v_or_b32_e32 v7, v7, v8
	v_add_u32_e32 v3, v3, v7
	v_mov_b32_e32 v7, 0x7c00
	v_cmp_gt_i32_e32 vcc, 31, v6
	v_mov_b32_e32 v8, 0x7e00
	s_nop 0
	v_cndmask_b32_e32 v3, v7, v3, vcc
	v_cmp_ne_u32_e32 vcc, 0, v2
	s_nop 1
	v_cndmask_b32_e32 v2, v7, v8, vcc
	v_cmp_eq_u32_e32 vcc, s6, v6
	s_mov_b32 s6, 0x8000
	s_nop 0
	v_cndmask_b32_e32 v2, v3, v2, vcc
	v_and_b32_sdwa v3, v1, s6 dst_sel:DWORD dst_unused:UNUSED_PAD src0_sel:WORD_1 src1_sel:DWORD
	s_mov_b32 s6, 0xffff
	v_bitop3_b32 v2, v3, s6, v2 bitop3:0xc8
	global_store_dword v[4:5], v2, off
.LBB465_400:
	s_mov_b64 s[6:7], 0
.LBB465_401:
	s_andn2_b64 vcc, exec, s[6:7]
	s_cbranch_vccnz .LBB465_410
; %bb.402:
	s_cmp_lt_i32 s8, 6
	s_mov_b64 s[6:7], -1
	s_cbranch_scc1 .LBB465_408
; %bb.403:
	s_cmp_gt_i32 s8, 6
	s_cbranch_scc0 .LBB465_405
; %bb.404:
	s_mov_b64 s[6:7], 0
	global_store_dwordx2 v[4:5], v[0:1], off
.LBB465_405:
	s_andn2_b64 vcc, exec, s[6:7]
	s_cbranch_vccnz .LBB465_407
; %bb.406:
	v_cvt_f32_f64_e32 v2, v[0:1]
	global_store_dword v[4:5], v2, off
.LBB465_407:
	s_mov_b64 s[6:7], 0
.LBB465_408:
	s_andn2_b64 vcc, exec, s[6:7]
	s_cbranch_vccnz .LBB465_410
; %bb.409:
	s_movk_i32 s6, 0x1ff
	v_and_or_b32 v2, v1, s6, v0
	v_cmp_ne_u32_e32 vcc, 0, v2
	v_lshrrev_b32_e32 v3, 8, v1
	s_movk_i32 s6, 0xffe
	v_cndmask_b32_e64 v2, 0, 1, vcc
	v_bfe_u32 v6, v1, 20, 11
	v_and_or_b32 v2, v3, s6, v2
	v_sub_u32_e32 v7, 0x3f1, v6
	v_or_b32_e32 v3, 0x1000, v2
	v_med3_i32 v7, v7, 0, 13
	v_lshrrev_b32_e32 v8, v7, v3
	v_lshlrev_b32_e32 v7, v7, v8
	v_cmp_ne_u32_e32 vcc, v7, v3
	v_add_u32_e32 v6, 0xfffffc10, v6
	v_lshl_or_b32 v7, v6, 12, v2
	v_cndmask_b32_e64 v3, 0, 1, vcc
	v_or_b32_e32 v3, v8, v3
	v_cmp_gt_i32_e32 vcc, 1, v6
	s_movk_i32 s6, 0x40f
	s_nop 0
	v_cndmask_b32_e32 v3, v7, v3, vcc
	v_and_b32_e32 v7, 7, v3
	v_cmp_lt_i32_e32 vcc, 5, v7
	v_lshrrev_b32_e32 v3, 2, v3
	s_nop 0
	v_cndmask_b32_e64 v8, 0, 1, vcc
	v_cmp_eq_u32_e32 vcc, 3, v7
	s_nop 1
	v_cndmask_b32_e64 v7, 0, 1, vcc
	v_or_b32_e32 v7, v7, v8
	v_add_u32_e32 v3, v3, v7
	v_mov_b32_e32 v7, 0x7c00
	v_cmp_gt_i32_e32 vcc, 31, v6
	v_mov_b32_e32 v8, 0x7e00
	s_nop 0
	v_cndmask_b32_e32 v3, v7, v3, vcc
	v_cmp_ne_u32_e32 vcc, 0, v2
	s_nop 1
	v_cndmask_b32_e32 v2, v7, v8, vcc
	v_cmp_eq_u32_e32 vcc, s6, v6
	s_mov_b32 s6, 0x8000
	s_nop 0
	v_cndmask_b32_e32 v2, v3, v2, vcc
	v_lshrrev_b32_e32 v3, 16, v1
	v_and_or_b32 v2, v3, s6, v2
	global_store_short v[4:5], v2, off
.LBB465_410:
	s_mov_b64 s[6:7], 0
.LBB465_411:
	s_andn2_b64 vcc, exec, s[6:7]
	s_cbranch_vccnz .LBB465_427
; %bb.412:
	s_cmp_lt_i32 s8, 2
	s_mov_b64 s[6:7], -1
	s_cbranch_scc1 .LBB465_422
; %bb.413:
	s_cmp_lt_i32 s8, 3
	s_cbranch_scc1 .LBB465_419
; %bb.414:
	s_cmp_gt_i32 s8, 3
	s_cbranch_scc0 .LBB465_416
; %bb.415:
	v_trunc_f64_e32 v[2:3], v[0:1]
	s_movk_i32 s6, 0xffe0
	v_ldexp_f64 v[6:7], v[2:3], s6
	v_floor_f64_e32 v[6:7], v[6:7]
	v_fmac_f64_e32 v[2:3], 0xc1f00000, v[6:7]
	v_cvt_i32_f64_e32 v9, v[6:7]
	v_cvt_u32_f64_e32 v8, v[2:3]
	s_mov_b64 s[6:7], 0
	global_store_dwordx2 v[4:5], v[8:9], off
.LBB465_416:
	s_andn2_b64 vcc, exec, s[6:7]
	s_cbranch_vccnz .LBB465_418
; %bb.417:
	v_cvt_i32_f64_e32 v2, v[0:1]
	global_store_dword v[4:5], v2, off
.LBB465_418:
	s_mov_b64 s[6:7], 0
.LBB465_419:
	s_andn2_b64 vcc, exec, s[6:7]
	s_cbranch_vccnz .LBB465_421
; %bb.420:
	v_cvt_i32_f64_e32 v2, v[0:1]
	global_store_short v[4:5], v2, off
.LBB465_421:
	s_mov_b64 s[6:7], 0
.LBB465_422:
	s_andn2_b64 vcc, exec, s[6:7]
	s_cbranch_vccnz .LBB465_427
; %bb.423:
	s_cmp_gt_i32 s8, 0
	s_mov_b64 s[6:7], -1
	s_cbranch_scc0 .LBB465_425
; %bb.424:
	v_cvt_i32_f64_e32 v2, v[0:1]
	s_mov_b64 s[6:7], 0
	global_store_byte v[4:5], v2, off
.LBB465_425:
	s_andn2_b64 vcc, exec, s[6:7]
	s_cbranch_vccnz .LBB465_427
; %bb.426:
	v_trunc_f64_e32 v[0:1], v[0:1]
	s_movk_i32 s6, 0xffe0
	v_ldexp_f64 v[2:3], v[0:1], s6
	v_floor_f64_e32 v[2:3], v[2:3]
	v_fmac_f64_e32 v[0:1], 0xc1f00000, v[2:3]
	v_cvt_u32_f64_e32 v0, v[0:1]
	global_store_byte v[4:5], v0, off
.LBB465_427:
	s_mov_b64 s[6:7], -1
.LBB465_428:
	s_andn2_b64 vcc, exec, s[6:7]
	s_cbranch_vccnz .LBB465_430
; %bb.429:
	v_add_u32_e32 v10, 0x80, v10
	s_mov_b64 s[6:7], -1
	s_branch .LBB465_543
.LBB465_430:
	s_mov_b64 s[6:7], 0
	s_branch .LBB465_542
.LBB465_431:
	s_mov_b64 s[4:5], -1
                                        ; implicit-def: $vgpr4_vgpr5
.LBB465_432:
	s_mov_b64 s[6:7], 0
.LBB465_433:
	s_and_b64 vcc, exec, s[6:7]
	s_cbranch_vccz .LBB465_437
; %bb.434:
	s_cmp_eq_u32 s10, 29
	s_cbranch_scc0 .LBB465_436
; %bb.435:
	global_load_dwordx2 v[4:5], v[0:1], off
	s_mov_b64 s[2:3], -1
	s_mov_b64 s[4:5], 0
	s_mov_b64 s[6:7], 0
	s_waitcnt vmcnt(0)
	v_cvt_f64_u32_e32 v[6:7], v5
	v_cvt_f64_u32_e32 v[4:5], v4
	v_ldexp_f64 v[6:7], v[6:7], 32
	v_add_f64 v[4:5], v[6:7], v[4:5]
	s_branch .LBB465_438
.LBB465_436:
	s_mov_b64 s[4:5], -1
                                        ; implicit-def: $vgpr4_vgpr5
.LBB465_437:
	s_mov_b64 s[6:7], 0
.LBB465_438:
	s_and_b64 vcc, exec, s[6:7]
	s_cbranch_vccz .LBB465_458
; %bb.439:
	s_cmp_lt_i32 s10, 27
	s_cbranch_scc1 .LBB465_442
; %bb.440:
	s_cmp_gt_i32 s10, 27
	s_cbranch_scc0 .LBB465_443
; %bb.441:
	global_load_dword v3, v[0:1], off
	s_mov_b64 s[2:3], 0
	s_waitcnt vmcnt(0)
	v_cvt_f64_u32_e32 v[4:5], v3
	s_branch .LBB465_444
.LBB465_442:
	s_mov_b64 s[2:3], -1
                                        ; implicit-def: $vgpr4_vgpr5
	s_branch .LBB465_447
.LBB465_443:
	s_mov_b64 s[2:3], -1
                                        ; implicit-def: $vgpr4_vgpr5
.LBB465_444:
	s_andn2_b64 vcc, exec, s[2:3]
	s_cbranch_vccnz .LBB465_446
; %bb.445:
	global_load_ushort v3, v[0:1], off
	s_waitcnt vmcnt(0)
	v_cvt_f64_u32_e32 v[4:5], v3
.LBB465_446:
	s_mov_b64 s[2:3], 0
.LBB465_447:
	s_andn2_b64 vcc, exec, s[2:3]
	s_cbranch_vccnz .LBB465_457
; %bb.448:
	global_load_ubyte v3, v[0:1], off
	s_movk_i32 s2, 0x7f
	s_waitcnt vmcnt(0)
	v_cmp_lt_i16_e32 vcc, s2, v3
	s_mov_b64 s[2:3], 0
	s_and_saveexec_b64 s[6:7], vcc
	s_xor_b64 s[6:7], exec, s[6:7]
	s_cbranch_execz .LBB465_452
; %bb.449:
	s_movk_i32 s2, 0x80
	v_cmp_eq_u16_e32 vcc, s2, v3
	s_mov_b64 s[2:3], -1
	s_and_saveexec_b64 s[8:9], vcc
; %bb.450:
	s_xor_b64 s[2:3], exec, -1
; %bb.451:
	s_or_b64 exec, exec, s[8:9]
	s_and_b64 s[2:3], s[2:3], exec
.LBB465_452:
	s_or_saveexec_b64 s[6:7], s[6:7]
	v_bfrev_b32_e32 v4, 4
	v_mov_b32_e32 v5, 0x7ff80000
	s_xor_b64 exec, exec, s[6:7]
; %bb.453:
	v_cmp_ne_u16_e32 vcc, 0, v3
	s_andn2_b64 s[2:3], s[2:3], exec
	s_and_b64 s[8:9], vcc, exec
	v_mov_b64_e32 v[4:5], 0
	s_or_b64 s[2:3], s[2:3], s[8:9]
; %bb.454:
	s_or_b64 exec, exec, s[6:7]
	s_and_saveexec_b64 s[6:7], s[2:3]
	s_cbranch_execz .LBB465_456
; %bb.455:
	v_lshlrev_b32_e32 v4, 24, v3
	v_and_b32_e32 v3, 0xffff, v3
	v_and_b32_e32 v5, 7, v3
	v_ffbh_u32_e32 v7, v5
	v_min_u32_e32 v7, 32, v7
	v_subrev_u32_e32 v8, 28, v7
	v_bfe_u32 v6, v3, 3, 4
	v_lshlrev_b32_e32 v3, v8, v3
	v_sub_u32_e32 v7, 29, v7
	v_and_b32_e32 v3, 7, v3
	v_cmp_eq_u32_e32 vcc, 0, v6
	v_and_b32_e32 v4, 0x80000000, v4
	s_nop 0
	v_cndmask_b32_e32 v6, v6, v7, vcc
	v_cndmask_b32_e32 v3, v5, v3, vcc
	v_mov_b32_e32 v5, 0x3b800000
	v_lshlrev_b32_e32 v3, 20, v3
	v_lshl_add_u32 v5, v6, 23, v5
	v_or3_b32 v3, v4, v5, v3
	v_cvt_f64_f32_e32 v[4:5], v3
.LBB465_456:
	s_or_b64 exec, exec, s[6:7]
.LBB465_457:
	s_mov_b64 s[2:3], -1
.LBB465_458:
	s_mov_b64 s[6:7], 0
.LBB465_459:
	s_and_b64 vcc, exec, s[6:7]
	s_cbranch_vccz .LBB465_492
; %bb.460:
	s_cmp_gt_i32 s10, 22
	s_cbranch_scc0 .LBB465_472
; %bb.461:
	s_cmp_lt_i32 s10, 24
	s_cbranch_scc1 .LBB465_473
; %bb.462:
	s_cmp_gt_i32 s10, 24
	s_cbranch_scc0 .LBB465_474
; %bb.463:
	global_load_ubyte v3, v[0:1], off
	s_movk_i32 s2, 0x7f
	s_waitcnt vmcnt(0)
	v_cmp_lt_i16_e32 vcc, s2, v3
	s_mov_b64 s[2:3], 0
	s_and_saveexec_b64 s[6:7], vcc
	s_xor_b64 s[6:7], exec, s[6:7]
	s_cbranch_execz .LBB465_467
; %bb.464:
	s_movk_i32 s2, 0x80
	v_cmp_eq_u16_e32 vcc, s2, v3
	s_mov_b64 s[2:3], -1
	s_and_saveexec_b64 s[8:9], vcc
; %bb.465:
	s_xor_b64 s[2:3], exec, -1
; %bb.466:
	s_or_b64 exec, exec, s[8:9]
	s_and_b64 s[2:3], s[2:3], exec
.LBB465_467:
	s_or_saveexec_b64 s[6:7], s[6:7]
	v_bfrev_b32_e32 v4, 4
	v_mov_b32_e32 v5, 0x7ff80000
	s_xor_b64 exec, exec, s[6:7]
; %bb.468:
	v_cmp_ne_u16_e32 vcc, 0, v3
	s_andn2_b64 s[2:3], s[2:3], exec
	s_and_b64 s[8:9], vcc, exec
	v_mov_b64_e32 v[4:5], 0
	s_or_b64 s[2:3], s[2:3], s[8:9]
; %bb.469:
	s_or_b64 exec, exec, s[6:7]
	s_and_saveexec_b64 s[6:7], s[2:3]
	s_cbranch_execz .LBB465_471
; %bb.470:
	v_lshlrev_b32_e32 v4, 24, v3
	v_and_b32_e32 v3, 0xffff, v3
	v_and_b32_e32 v5, 3, v3
	v_ffbh_u32_e32 v7, v5
	v_min_u32_e32 v7, 32, v7
	v_subrev_u32_e32 v8, 29, v7
	v_bfe_u32 v6, v3, 2, 5
	v_lshlrev_b32_e32 v3, v8, v3
	v_sub_u32_e32 v7, 30, v7
	v_and_b32_e32 v3, 3, v3
	v_cmp_eq_u32_e32 vcc, 0, v6
	v_and_b32_e32 v4, 0x80000000, v4
	s_nop 0
	v_cndmask_b32_e32 v6, v6, v7, vcc
	v_cndmask_b32_e32 v3, v5, v3, vcc
	v_mov_b32_e32 v5, 0x37800000
	v_lshlrev_b32_e32 v3, 21, v3
	v_lshl_add_u32 v5, v6, 23, v5
	v_or3_b32 v3, v4, v5, v3
	v_cvt_f64_f32_e32 v[4:5], v3
.LBB465_471:
	s_or_b64 exec, exec, s[6:7]
	s_mov_b64 s[2:3], 0
	s_branch .LBB465_475
.LBB465_472:
	s_mov_b64 s[6:7], -1
                                        ; implicit-def: $vgpr4_vgpr5
	s_branch .LBB465_481
.LBB465_473:
	s_mov_b64 s[2:3], -1
                                        ; implicit-def: $vgpr4_vgpr5
	s_branch .LBB465_478
.LBB465_474:
	s_mov_b64 s[2:3], -1
                                        ; implicit-def: $vgpr4_vgpr5
.LBB465_475:
	s_and_b64 vcc, exec, s[2:3]
	s_cbranch_vccz .LBB465_477
; %bb.476:
	global_load_ubyte v3, v[0:1], off
	s_mov_b32 s2, 0x7f800000
	s_waitcnt vmcnt(0)
	v_lshlrev_b32_e32 v3, 24, v3
	v_and_b32_e32 v4, 0x7f000000, v3
	v_ffbh_u32_e32 v5, v4
	v_min_u32_e32 v5, 32, v5
	v_sub_u32_e64 v5, v5, 4 clamp
	v_lshlrev_b32_e32 v7, v5, v4
	v_lshlrev_b32_e32 v5, 23, v5
	v_lshrrev_b32_e32 v7, 4, v7
	v_add_u32_e32 v6, 0x1000000, v4
	v_sub_u32_e32 v5, v7, v5
	v_ashrrev_i32_e32 v6, 8, v6
	v_add_u32_e32 v5, 0x3c000000, v5
	v_and_or_b32 v5, v6, s2, v5
	v_cmp_ne_u32_e32 vcc, 0, v4
	s_brev_b32 s2, 1
	s_nop 0
	v_cndmask_b32_e32 v4, 0, v5, vcc
	v_and_or_b32 v3, v3, s2, v4
	v_cvt_f64_f32_e32 v[4:5], v3
.LBB465_477:
	s_mov_b64 s[2:3], 0
.LBB465_478:
	s_andn2_b64 vcc, exec, s[2:3]
	s_cbranch_vccnz .LBB465_480
; %bb.479:
	global_load_ubyte v3, v[0:1], off
	s_movk_i32 s2, 0x7f00
	s_brev_b32 s3, 16
	s_waitcnt vmcnt(0)
	v_lshlrev_b16_e32 v4, 8, v3
	v_lshlrev_b32_e32 v3, 25, v3
	v_lshrrev_b32_e32 v5, 4, v3
	v_and_or_b32 v6, v4, s2, 0.5
	v_or_b32_e32 v5, 0x70000000, v5
	v_add_f32_e32 v6, -0.5, v6
	v_mul_f32_e32 v5, 0x7800000, v5
	v_cmp_gt_u32_e32 vcc, s3, v3
	v_bfe_i32 v4, v4, 0, 16
	s_brev_b32 s2, 1
	v_cndmask_b32_e32 v3, v5, v6, vcc
	v_and_or_b32 v3, v4, s2, v3
	v_cvt_f64_f32_e32 v[4:5], v3
.LBB465_480:
	s_mov_b64 s[6:7], 0
	s_mov_b64 s[2:3], -1
.LBB465_481:
	s_andn2_b64 vcc, exec, s[6:7]
	s_cbranch_vccnz .LBB465_492
; %bb.482:
	s_cmp_gt_i32 s10, 14
	s_cbranch_scc0 .LBB465_485
; %bb.483:
	s_cmp_eq_u32 s10, 15
	s_cbranch_scc0 .LBB465_486
; %bb.484:
	global_load_ushort v3, v[0:1], off
	s_mov_b64 s[2:3], -1
	s_mov_b64 s[4:5], 0
	s_waitcnt vmcnt(0)
	v_lshlrev_b32_e32 v3, 16, v3
	v_cvt_f64_f32_e32 v[4:5], v3
	s_branch .LBB465_487
.LBB465_485:
	s_mov_b64 s[6:7], -1
                                        ; implicit-def: $vgpr4_vgpr5
	s_branch .LBB465_488
.LBB465_486:
	s_mov_b64 s[4:5], -1
                                        ; implicit-def: $vgpr4_vgpr5
.LBB465_487:
	s_mov_b64 s[6:7], 0
.LBB465_488:
	s_and_b64 vcc, exec, s[6:7]
	s_cbranch_vccz .LBB465_492
; %bb.489:
	s_cmp_eq_u32 s10, 11
	s_cbranch_scc0 .LBB465_491
; %bb.490:
	global_load_ubyte v3, v[0:1], off
	s_waitcnt vmcnt(1)
	v_mov_b32_e32 v5, 0x3ff00000
	v_mov_b32_e32 v4, 0
	s_mov_b64 s[2:3], -1
	s_mov_b64 s[4:5], 0
	s_waitcnt vmcnt(0)
	v_cmp_ne_u16_e32 vcc, 0, v3
	s_nop 1
	v_cndmask_b32_e32 v5, 0, v5, vcc
	s_branch .LBB465_492
.LBB465_491:
	s_mov_b64 s[4:5], -1
                                        ; implicit-def: $vgpr4_vgpr5
.LBB465_492:
	s_branch .LBB465_295
.LBB465_493:
	s_cmp_lt_i32 s10, 5
	s_cbranch_scc1 .LBB465_498
; %bb.494:
	s_cmp_lt_i32 s10, 8
	s_cbranch_scc1 .LBB465_499
; %bb.495:
	;; [unrolled: 3-line block ×3, first 2 shown]
	s_cmp_gt_i32 s10, 9
	s_cbranch_scc0 .LBB465_501
; %bb.497:
	global_load_dwordx2 v[4:5], v[0:1], off
	s_mov_b64 s[2:3], 0
	s_branch .LBB465_502
.LBB465_498:
	s_mov_b64 s[2:3], -1
                                        ; implicit-def: $vgpr4_vgpr5
	s_branch .LBB465_520
.LBB465_499:
	s_mov_b64 s[2:3], -1
                                        ; implicit-def: $vgpr4_vgpr5
	s_branch .LBB465_508
.LBB465_500:
	s_mov_b64 s[2:3], -1
                                        ; implicit-def: $vgpr4_vgpr5
	s_branch .LBB465_505
.LBB465_501:
	s_mov_b64 s[2:3], -1
                                        ; implicit-def: $vgpr4_vgpr5
.LBB465_502:
	s_andn2_b64 vcc, exec, s[2:3]
	s_cbranch_vccnz .LBB465_504
; %bb.503:
	global_load_dword v3, v[0:1], off
	s_waitcnt vmcnt(0)
	v_cvt_f64_f32_e32 v[4:5], v3
.LBB465_504:
	s_mov_b64 s[2:3], 0
.LBB465_505:
	s_andn2_b64 vcc, exec, s[2:3]
	s_cbranch_vccnz .LBB465_507
; %bb.506:
	global_load_dword v3, v[0:1], off
	s_waitcnt vmcnt(0)
	v_cvt_f32_f16_e32 v3, v3
	v_cvt_f64_f32_e32 v[4:5], v3
.LBB465_507:
	s_mov_b64 s[2:3], 0
.LBB465_508:
	s_andn2_b64 vcc, exec, s[2:3]
	s_cbranch_vccnz .LBB465_519
; %bb.509:
	s_cmp_lt_i32 s10, 6
	s_cbranch_scc1 .LBB465_512
; %bb.510:
	s_cmp_gt_i32 s10, 6
	s_cbranch_scc0 .LBB465_513
; %bb.511:
	global_load_dwordx2 v[4:5], v[0:1], off
	s_mov_b64 s[2:3], 0
	s_branch .LBB465_514
.LBB465_512:
	s_mov_b64 s[2:3], -1
                                        ; implicit-def: $vgpr4_vgpr5
	s_branch .LBB465_517
.LBB465_513:
	s_mov_b64 s[2:3], -1
                                        ; implicit-def: $vgpr4_vgpr5
.LBB465_514:
	s_andn2_b64 vcc, exec, s[2:3]
	s_cbranch_vccnz .LBB465_516
; %bb.515:
	global_load_dword v3, v[0:1], off
	s_waitcnt vmcnt(0)
	v_cvt_f64_f32_e32 v[4:5], v3
.LBB465_516:
	s_mov_b64 s[2:3], 0
.LBB465_517:
	s_andn2_b64 vcc, exec, s[2:3]
	s_cbranch_vccnz .LBB465_519
; %bb.518:
	global_load_ushort v3, v[0:1], off
	s_waitcnt vmcnt(0)
	v_cvt_f32_f16_e32 v3, v3
	v_cvt_f64_f32_e32 v[4:5], v3
.LBB465_519:
	s_mov_b64 s[2:3], 0
.LBB465_520:
	s_andn2_b64 vcc, exec, s[2:3]
	s_cbranch_vccnz .LBB465_540
; %bb.521:
	s_cmp_lt_i32 s10, 2
	s_cbranch_scc1 .LBB465_525
; %bb.522:
	s_cmp_lt_i32 s10, 3
	s_cbranch_scc1 .LBB465_526
; %bb.523:
	s_cmp_gt_i32 s10, 3
	s_cbranch_scc0 .LBB465_527
; %bb.524:
	global_load_dwordx2 v[4:5], v[0:1], off
	s_mov_b64 s[2:3], 0
	s_waitcnt vmcnt(0)
	v_cvt_f64_i32_e32 v[6:7], v5
	v_cvt_f64_u32_e32 v[4:5], v4
	v_ldexp_f64 v[6:7], v[6:7], 32
	v_add_f64 v[4:5], v[6:7], v[4:5]
	s_branch .LBB465_528
.LBB465_525:
	s_mov_b64 s[2:3], -1
                                        ; implicit-def: $vgpr4_vgpr5
	s_branch .LBB465_534
.LBB465_526:
	s_mov_b64 s[2:3], -1
                                        ; implicit-def: $vgpr4_vgpr5
	s_branch .LBB465_531
.LBB465_527:
	s_mov_b64 s[2:3], -1
                                        ; implicit-def: $vgpr4_vgpr5
.LBB465_528:
	s_andn2_b64 vcc, exec, s[2:3]
	s_cbranch_vccnz .LBB465_530
; %bb.529:
	global_load_dword v3, v[0:1], off
	s_waitcnt vmcnt(0)
	v_cvt_f64_i32_e32 v[4:5], v3
.LBB465_530:
	s_mov_b64 s[2:3], 0
.LBB465_531:
	s_andn2_b64 vcc, exec, s[2:3]
	s_cbranch_vccnz .LBB465_533
; %bb.532:
	global_load_sshort v3, v[0:1], off
	s_waitcnt vmcnt(0)
	v_cvt_f64_i32_e32 v[4:5], v3
.LBB465_533:
	s_mov_b64 s[2:3], 0
.LBB465_534:
	s_andn2_b64 vcc, exec, s[2:3]
	s_cbranch_vccnz .LBB465_540
; %bb.535:
	s_cmp_gt_i32 s10, 0
	s_cbranch_scc0 .LBB465_537
; %bb.536:
	global_load_sbyte v3, v[0:1], off
	s_mov_b64 s[2:3], 0
	s_waitcnt vmcnt(0)
	v_cvt_f64_i32_e32 v[4:5], v3
	s_branch .LBB465_538
.LBB465_537:
	s_mov_b64 s[2:3], -1
                                        ; implicit-def: $vgpr4_vgpr5
.LBB465_538:
	s_andn2_b64 vcc, exec, s[2:3]
	s_cbranch_vccnz .LBB465_540
; %bb.539:
	global_load_ubyte v0, v[0:1], off
	s_waitcnt vmcnt(0)
	v_cvt_f64_u32_e32 v[4:5], v0
.LBB465_540:
	s_branch .LBB465_296
.LBB465_541:
	s_mov_b64 s[6:7], 0
	s_mov_b64 s[2:3], s[56:57]
.LBB465_542:
                                        ; implicit-def: $vgpr10
.LBB465_543:
	s_andn2_b64 s[8:9], s[56:57], exec
	s_and_b64 s[2:3], s[2:3], exec
	s_or_b64 s[64:65], s[8:9], s[2:3]
	s_andn2_b64 s[2:3], s[58:59], exec
	s_and_b64 s[4:5], s[4:5], exec
	s_or_b64 s[62:63], s[2:3], s[4:5]
	s_orn2_b64 s[2:3], s[6:7], exec
.LBB465_544:
	s_or_b64 exec, exec, s[66:67]
	s_mov_b64 s[4:5], 0
	s_mov_b64 s[6:7], 0
	;; [unrolled: 1-line block ×3, first 2 shown]
                                        ; implicit-def: $vgpr0_vgpr1
                                        ; implicit-def: $vgpr2
                                        ; implicit-def: $vgpr6_vgpr7
	s_and_saveexec_b64 s[66:67], s[2:3]
	s_cbranch_execz .LBB465_921
; %bb.545:
	v_cmp_gt_i32_e32 vcc, s72, v10
	s_mov_b64 s[6:7], -1
	s_mov_b64 s[2:3], s[62:63]
	s_mov_b64 s[70:71], s[64:65]
	s_and_saveexec_b64 s[68:69], vcc
	s_cbranch_execz .LBB465_820
; %bb.546:
	s_andn2_b64 vcc, exec, s[42:43]
	s_cbranch_vccnz .LBB465_552
; %bb.547:
	s_andn2_b64 vcc, exec, s[54:55]
	s_cbranch_vccnz .LBB465_553
; %bb.548:
	s_add_i32 s78, s77, 1
	s_cmp_eq_u32 s74, 2
	s_cbranch_scc1 .LBB465_554
; %bb.549:
	s_and_b32 s73, s78, 28
	s_mov_b32 s79, 0
	v_mov_b32_e32 v2, 0
	v_mov_b32_e32 v0, 0
	s_mov_b64 s[2:3], s[34:35]
	s_mov_b64 s[70:71], s[52:53]
	s_waitcnt vmcnt(0)
	v_mov_b32_e32 v4, v10
.LBB465_550:                            ; =>This Inner Loop Header: Depth=1
	s_load_dwordx8 s[12:19], s[2:3], 0x4
	s_load_dwordx4 s[36:39], s[2:3], 0x24
	s_load_dwordx8 s[4:11], s[70:71], 0x0
	s_add_u32 s2, s2, 48
	s_addc_u32 s3, s3, 0
	s_waitcnt lgkmcnt(0)
	v_mul_hi_u32 v1, s13, v4
	v_add_u32_e32 v1, v4, v1
	v_lshrrev_b32_e32 v1, s14, v1
	v_mul_lo_u32 v3, v1, s12
	v_mul_hi_u32 v5, s16, v1
	v_sub_u32_e32 v3, v4, v3
	v_add_u32_e32 v4, v1, v5
	v_lshrrev_b32_e32 v4, s17, v4
	v_mul_lo_u32 v6, v4, s15
	v_mul_hi_u32 v7, s19, v4
	v_sub_u32_e32 v1, v1, v6
	v_add_u32_e32 v6, v4, v7
	v_mul_lo_u32 v5, v3, s5
	v_mul_lo_u32 v3, v3, s4
	;; [unrolled: 1-line block ×4, first 2 shown]
	v_lshrrev_b32_e32 v6, s36, v6
	v_add3_u32 v1, v3, v2, v1
	v_mul_hi_u32 v3, s38, v6
	v_mul_lo_u32 v2, v6, s18
	v_add_u32_e32 v3, v6, v3
	v_sub_u32_e32 v2, v4, v2
	v_lshrrev_b32_e32 v4, s39, v3
	s_add_i32 s79, s79, 4
	v_mul_lo_u32 v3, v4, s37
	s_add_u32 s70, s70, 32
	v_sub_u32_e32 v3, v6, v3
	s_addc_u32 s71, s71, 0
	v_add3_u32 v0, v5, v0, v7
	v_mul_lo_u32 v5, v2, s8
	v_mul_lo_u32 v2, v2, s9
	;; [unrolled: 1-line block ×4, first 2 shown]
	s_cmp_eq_u32 s73, s79
	v_add3_u32 v0, v2, v0, v3
	v_add3_u32 v2, v5, v1, v6
	s_cbranch_scc0 .LBB465_550
; %bb.551:
	v_mov_b32_e32 v1, v0
	s_branch .LBB465_555
.LBB465_552:
	s_mov_b64 s[2:3], -1
                                        ; implicit-def: $vgpr0
                                        ; implicit-def: $vgpr2
	s_branch .LBB465_559
.LBB465_553:
	v_mov_b32_e32 v0, 0
	v_mov_b32_e32 v2, 0
	s_branch .LBB465_558
.LBB465_554:
	v_mov_b32_e32 v2, 0
	s_mov_b32 s73, 0
	v_mov_b32_e32 v1, v2
                                        ; implicit-def: $vgpr0
	s_waitcnt vmcnt(0)
	v_mov_b32_e32 v4, v10
.LBB465_555:
	s_and_b32 s6, s78, 3
	s_cmp_eq_u32 s6, 0
	s_cbranch_scc1 .LBB465_558
; %bb.556:
	s_lshl_b32 s2, s73, 3
	s_add_u32 s2, s34, s2
	s_addc_u32 s3, s35, 0
	s_add_u32 s2, s2, 0xc4
	s_addc_u32 s3, s3, 0
	s_mul_i32 s4, s73, 12
	s_add_u32 s4, s34, s4
	s_addc_u32 s5, s35, 0
.LBB465_557:                            ; =>This Inner Loop Header: Depth=1
	s_load_dwordx2 s[8:9], s[4:5], 0x4
	s_load_dword s7, s[4:5], 0xc
	s_load_dwordx2 s[10:11], s[2:3], 0x0
	v_mov_b32_e32 v0, v1
	s_add_u32 s4, s4, 12
	s_waitcnt lgkmcnt(0)
	v_mul_hi_u32 v1, s9, v4
	v_add_u32_e32 v1, v4, v1
	v_lshrrev_b32_e32 v1, s7, v1
	s_addc_u32 s5, s5, 0
	v_mul_lo_u32 v3, v1, s8
	s_add_u32 s2, s2, 8
	v_sub_u32_e32 v3, v4, v3
	s_addc_u32 s3, s3, 0
	s_add_i32 s6, s6, -1
	v_mov_b32_e32 v4, v1
	v_mad_u64_u32 v[0:1], s[8:9], v3, s11, v[0:1]
	s_cmp_lg_u32 s6, 0
	v_mad_u64_u32 v[2:3], s[8:9], v3, s10, v[2:3]
	v_mov_b32_e32 v1, v0
	s_cbranch_scc1 .LBB465_557
.LBB465_558:
	s_mov_b64 s[2:3], 0
.LBB465_559:
	s_andn2_b64 vcc, exec, s[2:3]
	s_cbranch_vccnz .LBB465_562
; %bb.560:
	v_mul_hi_u32 v0, s25, v10
	v_add_u32_e32 v0, v10, v0
	v_lshrrev_b32_e32 v1, s26, v0
	v_mul_lo_u32 v0, v1, s24
	v_sub_u32_e32 v2, v10, v0
	v_mul_lo_u32 v0, v2, s29
	s_andn2_b64 vcc, exec, s[50:51]
	v_mul_lo_u32 v2, v2, s28
	s_cbranch_vccnz .LBB465_562
; %bb.561:
	v_mul_hi_u32 v3, s48, v1
	v_add_u32_e32 v3, v1, v3
	v_lshrrev_b32_e32 v3, s49, v3
	v_mul_lo_u32 v3, v3, s27
	v_sub_u32_e32 v1, v1, v3
	v_mad_u64_u32 v[2:3], s[2:3], v1, s30, v[2:3]
	v_mad_u64_u32 v[0:1], s[2:3], v1, s31, v[0:1]
.LBB465_562:
	v_mov_b32_e32 v1, 0
	s_and_b32 s10, 0xffff, s76
	s_cmp_lt_i32 s10, 11
	v_lshl_add_u64 v[0:1], s[22:23], 0, v[0:1]
	s_cbranch_scc1 .LBB465_569
; %bb.563:
	s_cmp_gt_i32 s10, 25
	s_cbranch_scc0 .LBB465_570
; %bb.564:
	s_cmp_gt_i32 s10, 28
	s_cbranch_scc0 .LBB465_571
; %bb.565:
	s_cmp_gt_i32 s10, 43
	s_cbranch_scc0 .LBB465_572
; %bb.566:
	s_cmp_gt_i32 s10, 45
	s_cbranch_scc0 .LBB465_575
; %bb.567:
	s_cmp_eq_u32 s10, 46
	s_mov_b64 s[6:7], 0
	s_cbranch_scc0 .LBB465_578
; %bb.568:
	global_load_dword v3, v[0:1], off
	s_mov_b64 s[2:3], -1
	s_mov_b64 s[4:5], 0
	s_waitcnt vmcnt(0)
	v_lshlrev_b32_e32 v3, 16, v3
	v_cvt_f64_f32_e32 v[4:5], v3
	s_branch .LBB465_579
.LBB465_569:
	s_mov_b64 s[6:7], -1
	s_mov_b64 s[2:3], 0
                                        ; implicit-def: $vgpr4_vgpr5
	s_mov_b64 s[4:5], s[62:63]
	s_branch .LBB465_644
.LBB465_570:
	s_mov_b64 s[6:7], -1
	s_mov_b64 s[2:3], 0
	s_mov_b64 s[4:5], s[62:63]
                                        ; implicit-def: $vgpr4_vgpr5
	s_branch .LBB465_610
.LBB465_571:
	s_mov_b64 s[6:7], -1
	s_mov_b64 s[2:3], 0
	s_mov_b64 s[4:5], s[62:63]
                                        ; implicit-def: $vgpr4_vgpr5
	s_branch .LBB465_589
.LBB465_572:
	s_mov_b64 s[6:7], -1
	s_mov_b64 s[2:3], 0
	s_mov_b64 s[4:5], s[62:63]
                                        ; implicit-def: $vgpr4_vgpr5
	s_branch .LBB465_584
.LBB465_573:
	s_andn2_saveexec_b64 s[10:11], s[10:11]
	s_cbranch_execz .LBB465_341
.LBB465_574:
	s_mov_b32 s14, 0x46000000
	v_add_f32_e64 v3, |v2|, s14
	v_and_b32_e32 v3, 0xff, v3
	v_cmp_ne_u32_e32 vcc, 0, v3
	s_andn2_b64 s[8:9], s[8:9], exec
	s_and_b64 s[14:15], vcc, exec
	s_or_b64 s[8:9], s[8:9], s[14:15]
	s_or_b64 exec, exec, s[10:11]
	v_mov_b32_e32 v6, 0
	s_and_saveexec_b64 s[10:11], s[8:9]
	s_cbranch_execnz .LBB465_342
	s_branch .LBB465_343
.LBB465_575:
	s_mov_b64 s[6:7], -1
	s_mov_b64 s[2:3], 0
	s_mov_b64 s[4:5], s[62:63]
                                        ; implicit-def: $vgpr4_vgpr5
	s_branch .LBB465_579
.LBB465_576:
	s_andn2_saveexec_b64 s[10:11], s[10:11]
	s_cbranch_execz .LBB465_354
.LBB465_577:
	s_mov_b32 s14, 0x42800000
	v_add_f32_e64 v3, |v2|, s14
	v_and_b32_e32 v3, 0xff, v3
	v_cmp_ne_u32_e32 vcc, 0, v3
	s_andn2_b64 s[8:9], s[8:9], exec
	s_and_b64 s[14:15], vcc, exec
	s_or_b64 s[8:9], s[8:9], s[14:15]
	s_or_b64 exec, exec, s[10:11]
	v_mov_b32_e32 v6, 0
	s_and_saveexec_b64 s[10:11], s[8:9]
	s_cbranch_execnz .LBB465_355
	s_branch .LBB465_356
.LBB465_578:
	s_mov_b64 s[4:5], -1
                                        ; implicit-def: $vgpr4_vgpr5
	s_mov_b64 s[2:3], 0
.LBB465_579:
	s_and_b64 vcc, exec, s[6:7]
	s_cbranch_vccz .LBB465_583
; %bb.580:
	s_cmp_eq_u32 s10, 44
	s_cbranch_scc0 .LBB465_582
; %bb.581:
	global_load_ubyte v3, v[0:1], off
	s_movk_i32 s4, 0xff
	v_bfrev_b32_e32 v6, 4
	v_mov_b32_e32 v7, 0x7ff80000
	v_bfrev_b32_e32 v8, 28
	s_mov_b64 s[2:3], -1
	s_waitcnt vmcnt(0)
	v_lshlrev_b32_e32 v4, 23, v3
	v_cvt_f64_f32_e32 v[4:5], v4
	v_cmp_ne_u32_e32 vcc, s4, v3
	s_mov_b64 s[4:5], 0
	s_nop 0
	v_cndmask_b32_e32 v4, v6, v4, vcc
	v_cndmask_b32_e32 v5, v7, v5, vcc
	v_cmp_ne_u32_e32 vcc, 0, v3
	s_nop 1
	v_cndmask_b32_e32 v5, v8, v5, vcc
	v_cndmask_b32_e32 v4, 0, v4, vcc
	s_branch .LBB465_583
.LBB465_582:
	s_mov_b64 s[4:5], -1
                                        ; implicit-def: $vgpr4_vgpr5
.LBB465_583:
	s_mov_b64 s[6:7], 0
.LBB465_584:
	s_and_b64 vcc, exec, s[6:7]
	s_cbranch_vccz .LBB465_588
; %bb.585:
	s_cmp_eq_u32 s10, 29
	s_cbranch_scc0 .LBB465_587
; %bb.586:
	global_load_dwordx2 v[4:5], v[0:1], off
	s_mov_b64 s[2:3], -1
	s_mov_b64 s[4:5], 0
	s_mov_b64 s[6:7], 0
	s_waitcnt vmcnt(0)
	v_cvt_f64_u32_e32 v[6:7], v5
	v_cvt_f64_u32_e32 v[4:5], v4
	v_ldexp_f64 v[6:7], v[6:7], 32
	v_add_f64 v[4:5], v[6:7], v[4:5]
	s_branch .LBB465_589
.LBB465_587:
	s_mov_b64 s[4:5], -1
                                        ; implicit-def: $vgpr4_vgpr5
.LBB465_588:
	s_mov_b64 s[6:7], 0
.LBB465_589:
	s_and_b64 vcc, exec, s[6:7]
	s_cbranch_vccz .LBB465_609
; %bb.590:
	s_cmp_lt_i32 s10, 27
	s_cbranch_scc1 .LBB465_593
; %bb.591:
	s_cmp_gt_i32 s10, 27
	s_cbranch_scc0 .LBB465_594
; %bb.592:
	global_load_dword v3, v[0:1], off
	s_mov_b64 s[2:3], 0
	s_waitcnt vmcnt(0)
	v_cvt_f64_u32_e32 v[4:5], v3
	s_branch .LBB465_595
.LBB465_593:
	s_mov_b64 s[2:3], -1
                                        ; implicit-def: $vgpr4_vgpr5
	s_branch .LBB465_598
.LBB465_594:
	s_mov_b64 s[2:3], -1
                                        ; implicit-def: $vgpr4_vgpr5
.LBB465_595:
	s_andn2_b64 vcc, exec, s[2:3]
	s_cbranch_vccnz .LBB465_597
; %bb.596:
	global_load_ushort v3, v[0:1], off
	s_waitcnt vmcnt(0)
	v_cvt_f64_u32_e32 v[4:5], v3
.LBB465_597:
	s_mov_b64 s[2:3], 0
.LBB465_598:
	s_andn2_b64 vcc, exec, s[2:3]
	s_cbranch_vccnz .LBB465_608
; %bb.599:
	global_load_ubyte v3, v[0:1], off
	s_movk_i32 s2, 0x7f
	s_waitcnt vmcnt(0)
	v_cmp_lt_i16_e32 vcc, s2, v3
	s_mov_b64 s[2:3], 0
	s_and_saveexec_b64 s[6:7], vcc
	s_xor_b64 s[6:7], exec, s[6:7]
	s_cbranch_execz .LBB465_603
; %bb.600:
	s_movk_i32 s2, 0x80
	v_cmp_eq_u16_e32 vcc, s2, v3
	s_mov_b64 s[2:3], -1
	s_and_saveexec_b64 s[8:9], vcc
; %bb.601:
	s_xor_b64 s[2:3], exec, -1
; %bb.602:
	s_or_b64 exec, exec, s[8:9]
	s_and_b64 s[2:3], s[2:3], exec
.LBB465_603:
	s_or_saveexec_b64 s[6:7], s[6:7]
	v_bfrev_b32_e32 v4, 4
	v_mov_b32_e32 v5, 0x7ff80000
	s_xor_b64 exec, exec, s[6:7]
; %bb.604:
	v_cmp_ne_u16_e32 vcc, 0, v3
	s_andn2_b64 s[2:3], s[2:3], exec
	s_and_b64 s[8:9], vcc, exec
	v_mov_b64_e32 v[4:5], 0
	s_or_b64 s[2:3], s[2:3], s[8:9]
; %bb.605:
	s_or_b64 exec, exec, s[6:7]
	s_and_saveexec_b64 s[6:7], s[2:3]
	s_cbranch_execz .LBB465_607
; %bb.606:
	v_lshlrev_b32_e32 v4, 24, v3
	v_and_b32_e32 v3, 0xffff, v3
	v_and_b32_e32 v5, 7, v3
	v_ffbh_u32_e32 v7, v5
	v_min_u32_e32 v7, 32, v7
	v_subrev_u32_e32 v8, 28, v7
	v_bfe_u32 v6, v3, 3, 4
	v_lshlrev_b32_e32 v3, v8, v3
	v_sub_u32_e32 v7, 29, v7
	v_and_b32_e32 v3, 7, v3
	v_cmp_eq_u32_e32 vcc, 0, v6
	v_and_b32_e32 v4, 0x80000000, v4
	s_nop 0
	v_cndmask_b32_e32 v6, v6, v7, vcc
	v_cndmask_b32_e32 v3, v5, v3, vcc
	v_mov_b32_e32 v5, 0x3b800000
	v_lshlrev_b32_e32 v3, 20, v3
	v_lshl_add_u32 v5, v6, 23, v5
	v_or3_b32 v3, v4, v5, v3
	v_cvt_f64_f32_e32 v[4:5], v3
.LBB465_607:
	s_or_b64 exec, exec, s[6:7]
.LBB465_608:
	s_mov_b64 s[2:3], -1
.LBB465_609:
	s_mov_b64 s[6:7], 0
.LBB465_610:
	s_and_b64 vcc, exec, s[6:7]
	s_cbranch_vccz .LBB465_643
; %bb.611:
	s_cmp_gt_i32 s10, 22
	s_cbranch_scc0 .LBB465_623
; %bb.612:
	s_cmp_lt_i32 s10, 24
	s_cbranch_scc1 .LBB465_624
; %bb.613:
	s_cmp_gt_i32 s10, 24
	s_cbranch_scc0 .LBB465_625
; %bb.614:
	global_load_ubyte v3, v[0:1], off
	s_movk_i32 s2, 0x7f
	s_waitcnt vmcnt(0)
	v_cmp_lt_i16_e32 vcc, s2, v3
	s_mov_b64 s[2:3], 0
	s_and_saveexec_b64 s[6:7], vcc
	s_xor_b64 s[6:7], exec, s[6:7]
	s_cbranch_execz .LBB465_618
; %bb.615:
	s_movk_i32 s2, 0x80
	v_cmp_eq_u16_e32 vcc, s2, v3
	s_mov_b64 s[2:3], -1
	s_and_saveexec_b64 s[8:9], vcc
; %bb.616:
	s_xor_b64 s[2:3], exec, -1
; %bb.617:
	s_or_b64 exec, exec, s[8:9]
	s_and_b64 s[2:3], s[2:3], exec
.LBB465_618:
	s_or_saveexec_b64 s[6:7], s[6:7]
	v_bfrev_b32_e32 v4, 4
	v_mov_b32_e32 v5, 0x7ff80000
	s_xor_b64 exec, exec, s[6:7]
; %bb.619:
	v_cmp_ne_u16_e32 vcc, 0, v3
	s_andn2_b64 s[2:3], s[2:3], exec
	s_and_b64 s[8:9], vcc, exec
	v_mov_b64_e32 v[4:5], 0
	s_or_b64 s[2:3], s[2:3], s[8:9]
; %bb.620:
	s_or_b64 exec, exec, s[6:7]
	s_and_saveexec_b64 s[6:7], s[2:3]
	s_cbranch_execz .LBB465_622
; %bb.621:
	v_lshlrev_b32_e32 v4, 24, v3
	v_and_b32_e32 v3, 0xffff, v3
	v_and_b32_e32 v5, 3, v3
	v_ffbh_u32_e32 v7, v5
	v_min_u32_e32 v7, 32, v7
	v_subrev_u32_e32 v8, 29, v7
	v_bfe_u32 v6, v3, 2, 5
	v_lshlrev_b32_e32 v3, v8, v3
	v_sub_u32_e32 v7, 30, v7
	v_and_b32_e32 v3, 3, v3
	v_cmp_eq_u32_e32 vcc, 0, v6
	v_and_b32_e32 v4, 0x80000000, v4
	s_nop 0
	v_cndmask_b32_e32 v6, v6, v7, vcc
	v_cndmask_b32_e32 v3, v5, v3, vcc
	v_mov_b32_e32 v5, 0x37800000
	v_lshlrev_b32_e32 v3, 21, v3
	v_lshl_add_u32 v5, v6, 23, v5
	v_or3_b32 v3, v4, v5, v3
	v_cvt_f64_f32_e32 v[4:5], v3
.LBB465_622:
	s_or_b64 exec, exec, s[6:7]
	s_mov_b64 s[2:3], 0
	s_branch .LBB465_626
.LBB465_623:
	s_mov_b64 s[6:7], -1
                                        ; implicit-def: $vgpr4_vgpr5
	s_branch .LBB465_632
.LBB465_624:
	s_mov_b64 s[2:3], -1
                                        ; implicit-def: $vgpr4_vgpr5
	s_branch .LBB465_629
.LBB465_625:
	s_mov_b64 s[2:3], -1
                                        ; implicit-def: $vgpr4_vgpr5
.LBB465_626:
	s_and_b64 vcc, exec, s[2:3]
	s_cbranch_vccz .LBB465_628
; %bb.627:
	global_load_ubyte v3, v[0:1], off
	s_mov_b32 s2, 0x7f800000
	s_waitcnt vmcnt(0)
	v_lshlrev_b32_e32 v3, 24, v3
	v_and_b32_e32 v4, 0x7f000000, v3
	v_ffbh_u32_e32 v5, v4
	v_min_u32_e32 v5, 32, v5
	v_sub_u32_e64 v5, v5, 4 clamp
	v_lshlrev_b32_e32 v7, v5, v4
	v_lshlrev_b32_e32 v5, 23, v5
	v_lshrrev_b32_e32 v7, 4, v7
	v_add_u32_e32 v6, 0x1000000, v4
	v_sub_u32_e32 v5, v7, v5
	v_ashrrev_i32_e32 v6, 8, v6
	v_add_u32_e32 v5, 0x3c000000, v5
	v_and_or_b32 v5, v6, s2, v5
	v_cmp_ne_u32_e32 vcc, 0, v4
	s_brev_b32 s2, 1
	s_nop 0
	v_cndmask_b32_e32 v4, 0, v5, vcc
	v_and_or_b32 v3, v3, s2, v4
	v_cvt_f64_f32_e32 v[4:5], v3
.LBB465_628:
	s_mov_b64 s[2:3], 0
.LBB465_629:
	s_andn2_b64 vcc, exec, s[2:3]
	s_cbranch_vccnz .LBB465_631
; %bb.630:
	global_load_ubyte v3, v[0:1], off
	s_movk_i32 s2, 0x7f00
	s_brev_b32 s3, 16
	s_waitcnt vmcnt(0)
	v_lshlrev_b16_e32 v4, 8, v3
	v_lshlrev_b32_e32 v3, 25, v3
	v_lshrrev_b32_e32 v5, 4, v3
	v_and_or_b32 v6, v4, s2, 0.5
	v_or_b32_e32 v5, 0x70000000, v5
	v_add_f32_e32 v6, -0.5, v6
	v_mul_f32_e32 v5, 0x7800000, v5
	v_cmp_gt_u32_e32 vcc, s3, v3
	v_bfe_i32 v4, v4, 0, 16
	s_brev_b32 s2, 1
	v_cndmask_b32_e32 v3, v5, v6, vcc
	v_and_or_b32 v3, v4, s2, v3
	v_cvt_f64_f32_e32 v[4:5], v3
.LBB465_631:
	s_mov_b64 s[6:7], 0
	s_mov_b64 s[2:3], -1
.LBB465_632:
	s_andn2_b64 vcc, exec, s[6:7]
	s_cbranch_vccnz .LBB465_643
; %bb.633:
	s_cmp_gt_i32 s10, 14
	s_cbranch_scc0 .LBB465_636
; %bb.634:
	s_cmp_eq_u32 s10, 15
	s_cbranch_scc0 .LBB465_637
; %bb.635:
	global_load_ushort v3, v[0:1], off
	s_mov_b64 s[2:3], -1
	s_mov_b64 s[4:5], 0
	s_waitcnt vmcnt(0)
	v_lshlrev_b32_e32 v3, 16, v3
	v_cvt_f64_f32_e32 v[4:5], v3
	s_branch .LBB465_638
.LBB465_636:
	s_mov_b64 s[6:7], -1
                                        ; implicit-def: $vgpr4_vgpr5
	s_branch .LBB465_639
.LBB465_637:
	s_mov_b64 s[4:5], -1
                                        ; implicit-def: $vgpr4_vgpr5
.LBB465_638:
	s_mov_b64 s[6:7], 0
.LBB465_639:
	s_and_b64 vcc, exec, s[6:7]
	s_cbranch_vccz .LBB465_643
; %bb.640:
	s_cmp_eq_u32 s10, 11
	s_cbranch_scc0 .LBB465_642
; %bb.641:
	global_load_ubyte v3, v[0:1], off
	s_waitcnt vmcnt(1)
	v_mov_b32_e32 v5, 0x3ff00000
	v_mov_b32_e32 v4, 0
	s_mov_b64 s[2:3], -1
	s_mov_b64 s[4:5], 0
	s_waitcnt vmcnt(0)
	v_cmp_ne_u16_e32 vcc, 0, v3
	s_nop 1
	v_cndmask_b32_e32 v5, 0, v5, vcc
	s_branch .LBB465_643
.LBB465_642:
	s_mov_b64 s[4:5], -1
                                        ; implicit-def: $vgpr4_vgpr5
.LBB465_643:
	s_mov_b64 s[6:7], 0
.LBB465_644:
	s_and_b64 vcc, exec, s[6:7]
	s_cbranch_vccz .LBB465_693
; %bb.645:
	s_cmp_lt_i32 s10, 5
	s_cbranch_scc1 .LBB465_650
; %bb.646:
	s_cmp_lt_i32 s10, 8
	s_cbranch_scc1 .LBB465_651
; %bb.647:
	s_cmp_lt_i32 s10, 9
	s_cbranch_scc1 .LBB465_652
; %bb.648:
	s_cmp_gt_i32 s10, 9
	s_cbranch_scc0 .LBB465_653
; %bb.649:
	global_load_dwordx2 v[4:5], v[0:1], off
	s_mov_b64 s[2:3], 0
	s_branch .LBB465_654
.LBB465_650:
	s_mov_b64 s[2:3], -1
                                        ; implicit-def: $vgpr4_vgpr5
	s_branch .LBB465_672
.LBB465_651:
	s_mov_b64 s[2:3], -1
                                        ; implicit-def: $vgpr4_vgpr5
	s_branch .LBB465_660
.LBB465_652:
	s_mov_b64 s[2:3], -1
                                        ; implicit-def: $vgpr4_vgpr5
	s_branch .LBB465_657
.LBB465_653:
	s_mov_b64 s[2:3], -1
                                        ; implicit-def: $vgpr4_vgpr5
.LBB465_654:
	s_andn2_b64 vcc, exec, s[2:3]
	s_cbranch_vccnz .LBB465_656
; %bb.655:
	global_load_dword v3, v[0:1], off
	s_waitcnt vmcnt(0)
	v_cvt_f64_f32_e32 v[4:5], v3
.LBB465_656:
	s_mov_b64 s[2:3], 0
.LBB465_657:
	s_andn2_b64 vcc, exec, s[2:3]
	s_cbranch_vccnz .LBB465_659
; %bb.658:
	global_load_dword v3, v[0:1], off
	s_waitcnt vmcnt(0)
	v_cvt_f32_f16_e32 v3, v3
	v_cvt_f64_f32_e32 v[4:5], v3
.LBB465_659:
	s_mov_b64 s[2:3], 0
.LBB465_660:
	s_andn2_b64 vcc, exec, s[2:3]
	s_cbranch_vccnz .LBB465_671
; %bb.661:
	s_cmp_lt_i32 s10, 6
	s_cbranch_scc1 .LBB465_664
; %bb.662:
	s_cmp_gt_i32 s10, 6
	s_cbranch_scc0 .LBB465_665
; %bb.663:
	global_load_dwordx2 v[4:5], v[0:1], off
	s_mov_b64 s[2:3], 0
	s_branch .LBB465_666
.LBB465_664:
	s_mov_b64 s[2:3], -1
                                        ; implicit-def: $vgpr4_vgpr5
	s_branch .LBB465_669
.LBB465_665:
	s_mov_b64 s[2:3], -1
                                        ; implicit-def: $vgpr4_vgpr5
.LBB465_666:
	s_andn2_b64 vcc, exec, s[2:3]
	s_cbranch_vccnz .LBB465_668
; %bb.667:
	global_load_dword v3, v[0:1], off
	s_waitcnt vmcnt(0)
	v_cvt_f64_f32_e32 v[4:5], v3
.LBB465_668:
	s_mov_b64 s[2:3], 0
.LBB465_669:
	s_andn2_b64 vcc, exec, s[2:3]
	s_cbranch_vccnz .LBB465_671
; %bb.670:
	global_load_ushort v3, v[0:1], off
	s_waitcnt vmcnt(0)
	v_cvt_f32_f16_e32 v3, v3
	v_cvt_f64_f32_e32 v[4:5], v3
.LBB465_671:
	s_mov_b64 s[2:3], 0
.LBB465_672:
	s_andn2_b64 vcc, exec, s[2:3]
	s_cbranch_vccnz .LBB465_692
; %bb.673:
	s_cmp_lt_i32 s10, 2
	s_cbranch_scc1 .LBB465_677
; %bb.674:
	s_cmp_lt_i32 s10, 3
	s_cbranch_scc1 .LBB465_678
; %bb.675:
	s_cmp_gt_i32 s10, 3
	s_cbranch_scc0 .LBB465_679
; %bb.676:
	global_load_dwordx2 v[4:5], v[0:1], off
	s_mov_b64 s[2:3], 0
	s_waitcnt vmcnt(0)
	v_cvt_f64_i32_e32 v[6:7], v5
	v_cvt_f64_u32_e32 v[4:5], v4
	v_ldexp_f64 v[6:7], v[6:7], 32
	v_add_f64 v[4:5], v[6:7], v[4:5]
	s_branch .LBB465_680
.LBB465_677:
	s_mov_b64 s[2:3], -1
                                        ; implicit-def: $vgpr4_vgpr5
	s_branch .LBB465_686
.LBB465_678:
	s_mov_b64 s[2:3], -1
                                        ; implicit-def: $vgpr4_vgpr5
	s_branch .LBB465_683
.LBB465_679:
	s_mov_b64 s[2:3], -1
                                        ; implicit-def: $vgpr4_vgpr5
.LBB465_680:
	s_andn2_b64 vcc, exec, s[2:3]
	s_cbranch_vccnz .LBB465_682
; %bb.681:
	global_load_dword v3, v[0:1], off
	s_waitcnt vmcnt(0)
	v_cvt_f64_i32_e32 v[4:5], v3
.LBB465_682:
	s_mov_b64 s[2:3], 0
.LBB465_683:
	s_andn2_b64 vcc, exec, s[2:3]
	s_cbranch_vccnz .LBB465_685
; %bb.684:
	global_load_sshort v3, v[0:1], off
	s_waitcnt vmcnt(0)
	v_cvt_f64_i32_e32 v[4:5], v3
.LBB465_685:
	s_mov_b64 s[2:3], 0
.LBB465_686:
	s_andn2_b64 vcc, exec, s[2:3]
	s_cbranch_vccnz .LBB465_692
; %bb.687:
	s_cmp_gt_i32 s10, 0
	s_cbranch_scc0 .LBB465_689
; %bb.688:
	global_load_sbyte v3, v[0:1], off
	s_mov_b64 s[2:3], 0
	s_waitcnt vmcnt(0)
	v_cvt_f64_i32_e32 v[4:5], v3
	s_branch .LBB465_690
.LBB465_689:
	s_mov_b64 s[2:3], -1
                                        ; implicit-def: $vgpr4_vgpr5
.LBB465_690:
	s_andn2_b64 vcc, exec, s[2:3]
	s_cbranch_vccnz .LBB465_692
; %bb.691:
	global_load_ubyte v0, v[0:1], off
	s_waitcnt vmcnt(0)
	v_cvt_f64_u32_e32 v[4:5], v0
.LBB465_692:
	s_mov_b64 s[2:3], -1
.LBB465_693:
	s_andn2_b64 vcc, exec, s[2:3]
	s_cbranch_vccnz .LBB465_701
; %bb.694:
	v_max_f64 v[0:1], s[46:47], s[46:47]
	s_waitcnt vmcnt(0)
	v_max_f64 v[6:7], v[4:5], v[4:5]
	v_min_f64 v[0:1], v[6:7], v[0:1]
	v_cmp_u_f64_e32 vcc, v[4:5], v[4:5]
	v_mov_b32_e32 v3, 0
	s_and_b32 s12, s75, 0xff
	v_cndmask_b32_e32 v1, v1, v5, vcc
	v_cndmask_b32_e32 v0, v0, v4, vcc
	s_cmp_lt_i32 s12, 11
	v_lshl_add_u64 v[4:5], s[20:21], 0, v[2:3]
	s_cbranch_scc1 .LBB465_702
; %bb.695:
	s_and_b32 s13, 0xffff, s12
	s_cmp_gt_i32 s13, 25
	s_cbranch_scc0 .LBB465_703
; %bb.696:
	s_cmp_gt_i32 s13, 28
	s_cbranch_scc0 .LBB465_704
; %bb.697:
	;; [unrolled: 3-line block ×4, first 2 shown]
	s_mov_b64 s[8:9], 0
	s_mov_b64 s[2:3], -1
	s_cmp_eq_u32 s13, 46
	s_mov_b64 s[6:7], 0
	s_cbranch_scc0 .LBB465_707
; %bb.700:
	v_cvt_f32_f64_e32 v2, v[0:1]
	v_bfe_u32 v3, v2, 16, 1
	s_movk_i32 s2, 0x7fff
	v_add3_u32 v3, v2, v3, s2
	v_cmp_o_f32_e32 vcc, v2, v2
	v_mov_b32_e32 v2, 0x7fc0
	s_mov_b64 s[6:7], -1
	v_cndmask_b32_sdwa v2, v2, v3, vcc dst_sel:DWORD dst_unused:UNUSED_PAD src0_sel:DWORD src1_sel:WORD_1
	global_store_dword v[4:5], v2, off
	s_mov_b64 s[2:3], 0
	s_branch .LBB465_707
.LBB465_701:
	s_mov_b64 s[6:7], 0
	s_mov_b64 s[2:3], s[64:65]
	s_branch .LBB465_818
.LBB465_702:
	s_mov_b64 s[8:9], -1
	s_mov_b64 s[6:7], 0
	s_mov_b64 s[2:3], s[64:65]
	s_branch .LBB465_776
.LBB465_703:
	s_mov_b64 s[8:9], -1
	s_mov_b64 s[6:7], 0
	s_mov_b64 s[2:3], s[64:65]
	s_branch .LBB465_734
.LBB465_704:
	s_mov_b64 s[8:9], -1
	s_mov_b64 s[6:7], 0
	s_mov_b64 s[2:3], s[64:65]
	s_branch .LBB465_717
.LBB465_705:
	s_mov_b64 s[8:9], -1
	s_mov_b64 s[6:7], 0
	s_mov_b64 s[2:3], s[64:65]
	s_branch .LBB465_713
.LBB465_706:
	s_mov_b64 s[8:9], -1
	s_mov_b64 s[6:7], 0
	s_mov_b64 s[2:3], s[64:65]
.LBB465_707:
	s_and_b64 vcc, exec, s[8:9]
	s_cbranch_vccz .LBB465_712
; %bb.708:
	s_cmp_eq_u32 s13, 44
	s_mov_b64 s[2:3], -1
	s_cbranch_scc0 .LBB465_712
; %bb.709:
	v_cvt_f32_f64_e32 v2, v[0:1]
	v_bfe_u32 v3, v2, 23, 8
	s_movk_i32 s2, 0xff
	v_cmp_ne_u32_e32 vcc, s2, v3
	v_mov_b32_e32 v6, 0xff
	s_and_saveexec_b64 s[6:7], vcc
; %bb.710:
	s_mov_b32 s2, 0x3fffff
	v_lshrrev_b32_e32 v6, 23, v2
	v_and_b32_e32 v7, 0x400000, v2
	v_and_or_b32 v2, v2, s2, v3
	v_cmp_ne_u32_e32 vcc, 0, v7
	v_cmp_ne_u32_e64 s[2:3], 0, v2
	s_and_b64 s[2:3], vcc, s[2:3]
	s_nop 0
	v_cndmask_b32_e64 v2, 0, 1, s[2:3]
	v_add_u32_e32 v6, v6, v2
; %bb.711:
	s_or_b64 exec, exec, s[6:7]
	s_mov_b64 s[6:7], -1
	s_mov_b64 s[2:3], 0
	global_store_byte v[4:5], v6, off
.LBB465_712:
	s_mov_b64 s[8:9], 0
.LBB465_713:
	s_and_b64 vcc, exec, s[8:9]
	s_cbranch_vccz .LBB465_716
; %bb.714:
	s_cmp_eq_u32 s13, 29
	s_mov_b64 s[2:3], -1
	s_cbranch_scc0 .LBB465_716
; %bb.715:
	v_trunc_f64_e32 v[2:3], v[0:1]
	s_movk_i32 s2, 0xffe0
	v_ldexp_f64 v[6:7], v[2:3], s2
	v_floor_f64_e32 v[6:7], v[6:7]
	v_fmac_f64_e32 v[2:3], 0xc1f00000, v[6:7]
	v_cvt_u32_f64_e32 v9, v[6:7]
	v_cvt_u32_f64_e32 v8, v[2:3]
	global_store_dwordx2 v[4:5], v[8:9], off
	s_mov_b64 s[6:7], -1
	s_mov_b64 s[2:3], 0
.LBB465_716:
	s_mov_b64 s[8:9], 0
.LBB465_717:
	s_and_b64 vcc, exec, s[8:9]
	s_cbranch_vccz .LBB465_733
; %bb.718:
	s_cmp_lt_i32 s13, 27
	s_mov_b64 s[6:7], -1
	s_cbranch_scc1 .LBB465_724
; %bb.719:
	s_cmp_gt_i32 s13, 27
	v_cvt_u32_f64_e32 v2, v[0:1]
	s_cbranch_scc0 .LBB465_721
; %bb.720:
	s_mov_b64 s[6:7], 0
	global_store_dword v[4:5], v2, off
.LBB465_721:
	s_andn2_b64 vcc, exec, s[6:7]
	s_cbranch_vccnz .LBB465_723
; %bb.722:
	global_store_short v[4:5], v2, off
.LBB465_723:
	s_mov_b64 s[6:7], 0
.LBB465_724:
	s_andn2_b64 vcc, exec, s[6:7]
	s_cbranch_vccnz .LBB465_732
; %bb.725:
	v_cvt_f32_f64_e32 v2, v[0:1]
	v_and_b32_e32 v3, 0x7fffffff, v2
	s_mov_b32 s6, 0x43800000
	v_cmp_gt_u32_e32 vcc, s6, v3
	v_mov_b32_e32 v6, 0x80
	s_and_saveexec_b64 s[6:7], vcc
	s_cbranch_execz .LBB465_731
; %bb.726:
	s_mov_b32 s8, 0x3bffffff
	v_cmp_lt_u32_e32 vcc, s8, v3
	s_mov_b64 s[8:9], 0
                                        ; implicit-def: $vgpr3
	s_and_saveexec_b64 s[10:11], vcc
	s_xor_b64 s[10:11], exec, s[10:11]
	s_cbranch_execz .LBB465_849
; %bb.727:
	v_bfe_u32 v3, v2, 20, 1
	s_mov_b32 s14, 0x487ffff
	v_add3_u32 v3, v2, v3, s14
	s_mov_b64 s[8:9], exec
	v_lshrrev_b32_e32 v3, 20, v3
	s_andn2_saveexec_b64 s[10:11], s[10:11]
	s_cbranch_execnz .LBB465_850
.LBB465_728:
	s_or_b64 exec, exec, s[10:11]
	v_mov_b32_e32 v6, 0
	s_and_saveexec_b64 s[10:11], s[8:9]
.LBB465_729:
	v_lshrrev_b32_e32 v2, 24, v2
	s_movk_i32 s8, 0x80
	v_and_or_b32 v6, v2, s8, v3
.LBB465_730:
	s_or_b64 exec, exec, s[10:11]
.LBB465_731:
	s_or_b64 exec, exec, s[6:7]
	global_store_byte v[4:5], v6, off
.LBB465_732:
	s_mov_b64 s[6:7], -1
.LBB465_733:
	s_mov_b64 s[8:9], 0
.LBB465_734:
	s_and_b64 vcc, exec, s[8:9]
	s_cbranch_vccz .LBB465_775
; %bb.735:
	s_cmp_gt_i32 s13, 22
	s_mov_b64 s[8:9], -1
	s_cbranch_scc0 .LBB465_767
; %bb.736:
	s_cmp_lt_i32 s13, 24
	s_mov_b64 s[6:7], -1
	s_cbranch_scc1 .LBB465_756
; %bb.737:
	s_cmp_gt_i32 s13, 24
	s_cbranch_scc0 .LBB465_745
; %bb.738:
	v_cvt_f32_f64_e32 v2, v[0:1]
	v_and_b32_e32 v3, 0x7fffffff, v2
	s_mov_b32 s6, 0x47800000
	v_cmp_gt_u32_e32 vcc, s6, v3
	v_mov_b32_e32 v6, 0x80
	s_and_saveexec_b64 s[6:7], vcc
	s_cbranch_execz .LBB465_744
; %bb.739:
	s_mov_b32 s8, 0x37ffffff
	v_cmp_lt_u32_e32 vcc, s8, v3
	s_mov_b64 s[8:9], 0
                                        ; implicit-def: $vgpr3
	s_and_saveexec_b64 s[10:11], vcc
	s_xor_b64 s[10:11], exec, s[10:11]
	s_cbranch_execz .LBB465_852
; %bb.740:
	v_bfe_u32 v3, v2, 21, 1
	s_mov_b32 s14, 0x88fffff
	v_add3_u32 v3, v2, v3, s14
	s_mov_b64 s[8:9], exec
	v_lshrrev_b32_e32 v3, 21, v3
	s_andn2_saveexec_b64 s[10:11], s[10:11]
	s_cbranch_execnz .LBB465_853
.LBB465_741:
	s_or_b64 exec, exec, s[10:11]
	v_mov_b32_e32 v6, 0
	s_and_saveexec_b64 s[10:11], s[8:9]
.LBB465_742:
	v_lshrrev_b32_e32 v2, 24, v2
	s_movk_i32 s8, 0x80
	v_and_or_b32 v6, v2, s8, v3
.LBB465_743:
	s_or_b64 exec, exec, s[10:11]
.LBB465_744:
	s_or_b64 exec, exec, s[6:7]
	s_mov_b64 s[6:7], 0
	global_store_byte v[4:5], v6, off
.LBB465_745:
	s_and_b64 vcc, exec, s[6:7]
	s_cbranch_vccz .LBB465_755
; %bb.746:
	v_cvt_f32_f64_e32 v2, v[0:1]
	v_and_b32_e32 v6, 0x7fffffff, v2
	s_mov_b32 s6, 0x43f00000
	v_cmp_gt_u32_e32 vcc, s6, v6
                                        ; implicit-def: $vgpr3
	s_and_saveexec_b64 s[6:7], vcc
	s_xor_b64 s[6:7], exec, s[6:7]
	s_cbranch_execz .LBB465_752
; %bb.747:
	s_mov_b32 s8, 0x3c7fffff
	v_cmp_lt_u32_e32 vcc, s8, v6
                                        ; implicit-def: $vgpr3
	s_and_saveexec_b64 s[8:9], vcc
	s_xor_b64 s[8:9], exec, s[8:9]
; %bb.748:
	v_bfe_u32 v3, v2, 20, 1
	s_mov_b32 s10, 0x407ffff
	v_add3_u32 v3, v2, v3, s10
	v_lshrrev_b32_e32 v6, 20, v3
	v_and_b32_e32 v3, 0xff00000, v3
	s_mov_b32 s10, 0x7f00000
	v_mov_b32_e32 v7, 0x7e
	v_cmp_ne_u32_e32 vcc, s10, v3
	s_nop 1
	v_cndmask_b32_e32 v3, v7, v6, vcc
; %bb.749:
	s_andn2_saveexec_b64 s[8:9], s[8:9]
; %bb.750:
	s_mov_b32 s10, 0x46800000
	v_add_f32_e64 v3, |v2|, s10
; %bb.751:
	s_or_b64 exec, exec, s[8:9]
                                        ; implicit-def: $vgpr6
.LBB465_752:
	s_andn2_saveexec_b64 s[6:7], s[6:7]
; %bb.753:
	s_mov_b32 s8, 0x7f800000
	v_mov_b32_e32 v3, 0x7e
	v_mov_b32_e32 v7, 0x7f
	v_cmp_lt_u32_e32 vcc, s8, v6
	s_nop 1
	v_cndmask_b32_e32 v3, v3, v7, vcc
; %bb.754:
	s_or_b64 exec, exec, s[6:7]
	v_lshrrev_b32_e32 v2, 24, v2
	s_movk_i32 s6, 0x80
	v_and_or_b32 v2, v2, s6, v3
	global_store_byte v[4:5], v2, off
.LBB465_755:
	s_mov_b64 s[6:7], 0
.LBB465_756:
	s_andn2_b64 vcc, exec, s[6:7]
	s_cbranch_vccnz .LBB465_766
; %bb.757:
	v_cvt_f32_f64_e32 v2, v[0:1]
	v_and_b32_e32 v6, 0x7fffffff, v2
	s_mov_b32 s6, 0x47800000
	v_cmp_gt_u32_e32 vcc, s6, v6
                                        ; implicit-def: $vgpr3
	s_and_saveexec_b64 s[6:7], vcc
	s_xor_b64 s[6:7], exec, s[6:7]
	s_cbranch_execz .LBB465_763
; %bb.758:
	s_mov_b32 s8, 0x387fffff
	v_cmp_lt_u32_e32 vcc, s8, v6
                                        ; implicit-def: $vgpr3
	s_and_saveexec_b64 s[8:9], vcc
	s_xor_b64 s[8:9], exec, s[8:9]
; %bb.759:
	v_bfe_u32 v3, v2, 21, 1
	s_mov_b32 s10, 0x80fffff
	v_add3_u32 v3, v2, v3, s10
	v_lshrrev_b32_e32 v3, 21, v3
; %bb.760:
	s_andn2_saveexec_b64 s[8:9], s[8:9]
; %bb.761:
	s_mov_b32 s10, 0x43000000
	v_add_f32_e64 v3, |v2|, s10
; %bb.762:
	s_or_b64 exec, exec, s[8:9]
                                        ; implicit-def: $vgpr6
.LBB465_763:
	s_andn2_saveexec_b64 s[6:7], s[6:7]
; %bb.764:
	s_mov_b32 s8, 0x7f800000
	v_mov_b32_e32 v3, 0x7c
	v_mov_b32_e32 v7, 0x7f
	v_cmp_lt_u32_e32 vcc, s8, v6
	s_nop 1
	v_cndmask_b32_e32 v3, v3, v7, vcc
; %bb.765:
	s_or_b64 exec, exec, s[6:7]
	v_lshrrev_b32_e32 v2, 24, v2
	s_movk_i32 s6, 0x80
	v_and_or_b32 v2, v2, s6, v3
	global_store_byte v[4:5], v2, off
.LBB465_766:
	s_mov_b64 s[8:9], 0
	s_mov_b64 s[6:7], -1
.LBB465_767:
	s_andn2_b64 vcc, exec, s[8:9]
	s_cbranch_vccnz .LBB465_775
; %bb.768:
	s_cmp_gt_i32 s13, 14
	s_mov_b64 s[8:9], -1
	s_cbranch_scc0 .LBB465_772
; %bb.769:
	s_cmp_eq_u32 s13, 15
	s_mov_b64 s[2:3], -1
	s_cbranch_scc0 .LBB465_771
; %bb.770:
	v_cvt_f32_f64_e32 v2, v[0:1]
	v_bfe_u32 v3, v2, 16, 1
	s_movk_i32 s2, 0x7fff
	v_add3_u32 v3, v2, v3, s2
	v_cmp_o_f32_e32 vcc, v2, v2
	v_mov_b32_e32 v2, 0x7fc0
	s_mov_b64 s[6:7], -1
	v_cndmask_b32_sdwa v2, v2, v3, vcc dst_sel:DWORD dst_unused:UNUSED_PAD src0_sel:DWORD src1_sel:WORD_1
	global_store_short v[4:5], v2, off
	s_mov_b64 s[2:3], 0
.LBB465_771:
	s_mov_b64 s[8:9], 0
.LBB465_772:
	s_and_b64 vcc, exec, s[8:9]
	s_cbranch_vccz .LBB465_775
; %bb.773:
	s_cmp_eq_u32 s13, 11
	s_mov_b64 s[2:3], -1
	s_cbranch_scc0 .LBB465_775
; %bb.774:
	v_cmp_neq_f64_e32 vcc, 0, v[0:1]
	s_mov_b64 s[2:3], 0
	s_mov_b64 s[6:7], -1
	v_cndmask_b32_e64 v2, 0, 1, vcc
	global_store_byte v[4:5], v2, off
.LBB465_775:
	s_mov_b64 s[8:9], 0
.LBB465_776:
	s_and_b64 vcc, exec, s[8:9]
	s_cbranch_vccz .LBB465_815
; %bb.777:
	s_and_b32 s8, 0xffff, s12
	s_cmp_lt_i32 s8, 5
	s_mov_b64 s[6:7], -1
	s_cbranch_scc1 .LBB465_798
; %bb.778:
	s_cmp_lt_i32 s8, 8
	s_cbranch_scc1 .LBB465_788
; %bb.779:
	s_cmp_lt_i32 s8, 9
	s_cbranch_scc1 .LBB465_785
; %bb.780:
	s_cmp_gt_i32 s8, 9
	s_cbranch_scc0 .LBB465_782
; %bb.781:
	v_mov_b32_e32 v2, 0
	v_mov_b32_e32 v3, v2
	s_mov_b64 s[6:7], 0
	global_store_dwordx4 v[4:5], v[0:3], off
.LBB465_782:
	s_andn2_b64 vcc, exec, s[6:7]
	s_cbranch_vccnz .LBB465_784
; %bb.783:
	v_cvt_f32_f64_e32 v2, v[0:1]
	v_mov_b32_e32 v3, 0
	global_store_dwordx2 v[4:5], v[2:3], off
.LBB465_784:
	s_mov_b64 s[6:7], 0
.LBB465_785:
	s_andn2_b64 vcc, exec, s[6:7]
	s_cbranch_vccnz .LBB465_787
; %bb.786:
	s_movk_i32 s6, 0x1ff
	v_and_or_b32 v2, v1, s6, v0
	v_cmp_ne_u32_e32 vcc, 0, v2
	v_lshrrev_b32_e32 v3, 8, v1
	s_movk_i32 s6, 0xffe
	v_cndmask_b32_e64 v2, 0, 1, vcc
	v_bfe_u32 v6, v1, 20, 11
	v_and_or_b32 v2, v3, s6, v2
	v_sub_u32_e32 v7, 0x3f1, v6
	v_or_b32_e32 v3, 0x1000, v2
	v_med3_i32 v7, v7, 0, 13
	v_lshrrev_b32_e32 v8, v7, v3
	v_lshlrev_b32_e32 v7, v7, v8
	v_cmp_ne_u32_e32 vcc, v7, v3
	v_add_u32_e32 v6, 0xfffffc10, v6
	v_lshl_or_b32 v7, v6, 12, v2
	v_cndmask_b32_e64 v3, 0, 1, vcc
	v_or_b32_e32 v3, v8, v3
	v_cmp_gt_i32_e32 vcc, 1, v6
	s_movk_i32 s6, 0x40f
	s_nop 0
	v_cndmask_b32_e32 v3, v7, v3, vcc
	v_and_b32_e32 v7, 7, v3
	v_cmp_lt_i32_e32 vcc, 5, v7
	v_lshrrev_b32_e32 v3, 2, v3
	s_nop 0
	v_cndmask_b32_e64 v8, 0, 1, vcc
	v_cmp_eq_u32_e32 vcc, 3, v7
	s_nop 1
	v_cndmask_b32_e64 v7, 0, 1, vcc
	v_or_b32_e32 v7, v7, v8
	v_add_u32_e32 v3, v3, v7
	v_mov_b32_e32 v7, 0x7c00
	v_cmp_gt_i32_e32 vcc, 31, v6
	v_mov_b32_e32 v8, 0x7e00
	s_nop 0
	v_cndmask_b32_e32 v3, v7, v3, vcc
	v_cmp_ne_u32_e32 vcc, 0, v2
	s_nop 1
	v_cndmask_b32_e32 v2, v7, v8, vcc
	v_cmp_eq_u32_e32 vcc, s6, v6
	s_mov_b32 s6, 0x8000
	s_nop 0
	v_cndmask_b32_e32 v2, v3, v2, vcc
	v_and_b32_sdwa v3, v1, s6 dst_sel:DWORD dst_unused:UNUSED_PAD src0_sel:WORD_1 src1_sel:DWORD
	s_mov_b32 s6, 0xffff
	v_bitop3_b32 v2, v3, s6, v2 bitop3:0xc8
	global_store_dword v[4:5], v2, off
.LBB465_787:
	s_mov_b64 s[6:7], 0
.LBB465_788:
	s_andn2_b64 vcc, exec, s[6:7]
	s_cbranch_vccnz .LBB465_797
; %bb.789:
	s_cmp_lt_i32 s8, 6
	s_mov_b64 s[6:7], -1
	s_cbranch_scc1 .LBB465_795
; %bb.790:
	s_cmp_gt_i32 s8, 6
	s_cbranch_scc0 .LBB465_792
; %bb.791:
	s_mov_b64 s[6:7], 0
	global_store_dwordx2 v[4:5], v[0:1], off
.LBB465_792:
	s_andn2_b64 vcc, exec, s[6:7]
	s_cbranch_vccnz .LBB465_794
; %bb.793:
	v_cvt_f32_f64_e32 v2, v[0:1]
	global_store_dword v[4:5], v2, off
.LBB465_794:
	s_mov_b64 s[6:7], 0
.LBB465_795:
	s_andn2_b64 vcc, exec, s[6:7]
	s_cbranch_vccnz .LBB465_797
; %bb.796:
	s_movk_i32 s6, 0x1ff
	v_and_or_b32 v2, v1, s6, v0
	v_cmp_ne_u32_e32 vcc, 0, v2
	v_lshrrev_b32_e32 v3, 8, v1
	s_movk_i32 s6, 0xffe
	v_cndmask_b32_e64 v2, 0, 1, vcc
	v_bfe_u32 v6, v1, 20, 11
	v_and_or_b32 v2, v3, s6, v2
	v_sub_u32_e32 v7, 0x3f1, v6
	v_or_b32_e32 v3, 0x1000, v2
	v_med3_i32 v7, v7, 0, 13
	v_lshrrev_b32_e32 v8, v7, v3
	v_lshlrev_b32_e32 v7, v7, v8
	v_cmp_ne_u32_e32 vcc, v7, v3
	v_add_u32_e32 v6, 0xfffffc10, v6
	v_lshl_or_b32 v7, v6, 12, v2
	v_cndmask_b32_e64 v3, 0, 1, vcc
	v_or_b32_e32 v3, v8, v3
	v_cmp_gt_i32_e32 vcc, 1, v6
	s_movk_i32 s6, 0x40f
	s_nop 0
	v_cndmask_b32_e32 v3, v7, v3, vcc
	v_and_b32_e32 v7, 7, v3
	v_cmp_lt_i32_e32 vcc, 5, v7
	v_lshrrev_b32_e32 v3, 2, v3
	s_nop 0
	v_cndmask_b32_e64 v8, 0, 1, vcc
	v_cmp_eq_u32_e32 vcc, 3, v7
	s_nop 1
	v_cndmask_b32_e64 v7, 0, 1, vcc
	v_or_b32_e32 v7, v7, v8
	v_add_u32_e32 v3, v3, v7
	v_mov_b32_e32 v7, 0x7c00
	v_cmp_gt_i32_e32 vcc, 31, v6
	v_mov_b32_e32 v8, 0x7e00
	s_nop 0
	v_cndmask_b32_e32 v3, v7, v3, vcc
	v_cmp_ne_u32_e32 vcc, 0, v2
	s_nop 1
	v_cndmask_b32_e32 v2, v7, v8, vcc
	v_cmp_eq_u32_e32 vcc, s6, v6
	s_mov_b32 s6, 0x8000
	s_nop 0
	v_cndmask_b32_e32 v2, v3, v2, vcc
	v_lshrrev_b32_e32 v3, 16, v1
	v_and_or_b32 v2, v3, s6, v2
	global_store_short v[4:5], v2, off
.LBB465_797:
	s_mov_b64 s[6:7], 0
.LBB465_798:
	s_andn2_b64 vcc, exec, s[6:7]
	s_cbranch_vccnz .LBB465_814
; %bb.799:
	s_cmp_lt_i32 s8, 2
	s_mov_b64 s[6:7], -1
	s_cbranch_scc1 .LBB465_809
; %bb.800:
	s_cmp_lt_i32 s8, 3
	s_cbranch_scc1 .LBB465_806
; %bb.801:
	s_cmp_gt_i32 s8, 3
	s_cbranch_scc0 .LBB465_803
; %bb.802:
	v_trunc_f64_e32 v[2:3], v[0:1]
	s_movk_i32 s6, 0xffe0
	v_ldexp_f64 v[6:7], v[2:3], s6
	v_floor_f64_e32 v[6:7], v[6:7]
	v_fmac_f64_e32 v[2:3], 0xc1f00000, v[6:7]
	v_cvt_i32_f64_e32 v9, v[6:7]
	v_cvt_u32_f64_e32 v8, v[2:3]
	s_mov_b64 s[6:7], 0
	global_store_dwordx2 v[4:5], v[8:9], off
.LBB465_803:
	s_andn2_b64 vcc, exec, s[6:7]
	s_cbranch_vccnz .LBB465_805
; %bb.804:
	v_cvt_i32_f64_e32 v2, v[0:1]
	global_store_dword v[4:5], v2, off
.LBB465_805:
	s_mov_b64 s[6:7], 0
.LBB465_806:
	s_andn2_b64 vcc, exec, s[6:7]
	s_cbranch_vccnz .LBB465_808
; %bb.807:
	v_cvt_i32_f64_e32 v2, v[0:1]
	global_store_short v[4:5], v2, off
.LBB465_808:
	s_mov_b64 s[6:7], 0
.LBB465_809:
	s_andn2_b64 vcc, exec, s[6:7]
	s_cbranch_vccnz .LBB465_814
; %bb.810:
	s_cmp_gt_i32 s8, 0
	s_mov_b64 s[6:7], -1
	s_cbranch_scc0 .LBB465_812
; %bb.811:
	v_cvt_i32_f64_e32 v2, v[0:1]
	s_mov_b64 s[6:7], 0
	global_store_byte v[4:5], v2, off
.LBB465_812:
	s_andn2_b64 vcc, exec, s[6:7]
	s_cbranch_vccnz .LBB465_814
; %bb.813:
	v_trunc_f64_e32 v[0:1], v[0:1]
	s_movk_i32 s6, 0xffe0
	v_ldexp_f64 v[2:3], v[0:1], s6
	v_floor_f64_e32 v[2:3], v[2:3]
	v_fmac_f64_e32 v[0:1], 0xc1f00000, v[2:3]
	v_cvt_u32_f64_e32 v0, v[0:1]
	global_store_byte v[4:5], v0, off
.LBB465_814:
	s_mov_b64 s[6:7], -1
.LBB465_815:
	s_andn2_b64 vcc, exec, s[6:7]
	s_cbranch_vccnz .LBB465_817
; %bb.816:
	v_add_u32_e32 v10, 0x80, v10
	s_mov_b64 s[6:7], -1
	s_branch .LBB465_819
.LBB465_817:
	s_mov_b64 s[6:7], 0
.LBB465_818:
                                        ; implicit-def: $vgpr10
.LBB465_819:
	s_andn2_b64 s[8:9], s[64:65], exec
	s_and_b64 s[2:3], s[2:3], exec
	s_or_b64 s[70:71], s[8:9], s[2:3]
	s_andn2_b64 s[2:3], s[62:63], exec
	s_and_b64 s[4:5], s[4:5], exec
	s_or_b64 s[2:3], s[2:3], s[4:5]
	s_orn2_b64 s[6:7], s[6:7], exec
.LBB465_820:
	s_or_b64 exec, exec, s[68:69]
	s_mov_b64 s[4:5], 0
	s_mov_b64 s[10:11], 0
	s_mov_b64 s[8:9], 0
                                        ; implicit-def: $vgpr0_vgpr1
                                        ; implicit-def: $vgpr2
                                        ; implicit-def: $vgpr6_vgpr7
	s_and_saveexec_b64 s[68:69], s[6:7]
	s_cbranch_execz .LBB465_920
; %bb.821:
	v_cmp_gt_i32_e32 vcc, s72, v10
	s_mov_b64 s[6:7], 0
	s_mov_b64 s[12:13], s[2:3]
                                        ; implicit-def: $vgpr0_vgpr1
                                        ; implicit-def: $vgpr2
                                        ; implicit-def: $vgpr6_vgpr7
	s_and_saveexec_b64 s[72:73], vcc
	s_cbranch_execz .LBB465_919
; %bb.822:
	s_andn2_b64 vcc, exec, s[42:43]
	s_cbranch_vccnz .LBB465_828
; %bb.823:
	s_andn2_b64 vcc, exec, s[54:55]
	s_cbranch_vccnz .LBB465_829
; %bb.824:
	s_add_i32 s78, s77, 1
	s_cmp_eq_u32 s74, 2
	s_cbranch_scc1 .LBB465_830
; %bb.825:
	s_and_b32 s77, s78, 28
	s_mov_b32 s79, 0
	v_mov_b32_e32 v2, 0
	v_mov_b32_e32 v0, 0
	s_mov_b64 s[54:55], s[34:35]
	s_waitcnt vmcnt(0)
	v_mov_b32_e32 v4, v10
.LBB465_826:                            ; =>This Inner Loop Header: Depth=1
	s_load_dwordx8 s[12:19], s[54:55], 0x4
	s_load_dwordx4 s[36:39], s[54:55], 0x24
	s_load_dwordx8 s[4:11], s[52:53], 0x0
	s_add_u32 s54, s54, 48
	s_addc_u32 s55, s55, 0
	s_waitcnt lgkmcnt(0)
	v_mul_hi_u32 v1, s13, v4
	v_add_u32_e32 v1, v4, v1
	v_lshrrev_b32_e32 v1, s14, v1
	v_mul_lo_u32 v3, v1, s12
	v_mul_hi_u32 v5, s16, v1
	v_sub_u32_e32 v3, v4, v3
	v_add_u32_e32 v4, v1, v5
	v_lshrrev_b32_e32 v4, s17, v4
	v_mul_lo_u32 v6, v4, s15
	v_mul_hi_u32 v7, s19, v4
	v_sub_u32_e32 v1, v1, v6
	v_add_u32_e32 v6, v4, v7
	v_mul_lo_u32 v5, v3, s5
	v_mul_lo_u32 v3, v3, s4
	;; [unrolled: 1-line block ×4, first 2 shown]
	v_lshrrev_b32_e32 v6, s36, v6
	v_add3_u32 v1, v3, v2, v1
	v_mul_hi_u32 v3, s38, v6
	v_mul_lo_u32 v2, v6, s18
	v_add_u32_e32 v3, v6, v3
	v_sub_u32_e32 v2, v4, v2
	v_lshrrev_b32_e32 v4, s39, v3
	s_add_i32 s79, s79, 4
	v_mul_lo_u32 v3, v4, s37
	s_add_u32 s52, s52, 32
	v_sub_u32_e32 v3, v6, v3
	s_addc_u32 s53, s53, 0
	v_add3_u32 v0, v5, v0, v7
	v_mul_lo_u32 v5, v2, s8
	v_mul_lo_u32 v2, v2, s9
	;; [unrolled: 1-line block ×4, first 2 shown]
	s_cmp_eq_u32 s77, s79
	v_add3_u32 v0, v2, v0, v3
	v_add3_u32 v2, v5, v1, v6
	s_cbranch_scc0 .LBB465_826
; %bb.827:
	v_mov_b32_e32 v1, v0
	s_branch .LBB465_831
.LBB465_828:
	s_mov_b64 s[4:5], -1
                                        ; implicit-def: $vgpr0
                                        ; implicit-def: $vgpr2
	s_branch .LBB465_835
.LBB465_829:
	v_mov_b32_e32 v0, 0
	v_mov_b32_e32 v2, 0
	s_branch .LBB465_834
.LBB465_830:
	v_mov_b32_e32 v2, 0
	s_mov_b32 s77, 0
	v_mov_b32_e32 v1, v2
                                        ; implicit-def: $vgpr0
	s_waitcnt vmcnt(0)
	v_mov_b32_e32 v4, v10
.LBB465_831:
	s_and_b32 s8, s78, 3
	s_cmp_eq_u32 s8, 0
	s_cbranch_scc1 .LBB465_834
; %bb.832:
	s_lshl_b32 s4, s77, 3
	s_add_u32 s4, s34, s4
	s_addc_u32 s5, s35, 0
	s_add_u32 s4, s4, 0xc4
	s_addc_u32 s5, s5, 0
	s_mul_i32 s6, s77, 12
	s_add_u32 s6, s34, s6
	s_addc_u32 s7, s35, 0
.LBB465_833:                            ; =>This Inner Loop Header: Depth=1
	s_load_dwordx2 s[10:11], s[6:7], 0x4
	s_load_dword s9, s[6:7], 0xc
	s_load_dwordx2 s[12:13], s[4:5], 0x0
	v_mov_b32_e32 v0, v1
	s_add_u32 s6, s6, 12
	s_waitcnt lgkmcnt(0)
	v_mul_hi_u32 v1, s11, v4
	v_add_u32_e32 v1, v4, v1
	v_lshrrev_b32_e32 v1, s9, v1
	s_addc_u32 s7, s7, 0
	v_mul_lo_u32 v3, v1, s10
	s_add_u32 s4, s4, 8
	v_sub_u32_e32 v3, v4, v3
	s_addc_u32 s5, s5, 0
	s_add_i32 s8, s8, -1
	v_mov_b32_e32 v4, v1
	v_mad_u64_u32 v[0:1], s[10:11], v3, s13, v[0:1]
	s_cmp_lg_u32 s8, 0
	v_mad_u64_u32 v[2:3], s[10:11], v3, s12, v[2:3]
	v_mov_b32_e32 v1, v0
	s_cbranch_scc1 .LBB465_833
.LBB465_834:
	s_mov_b64 s[4:5], 0
.LBB465_835:
	s_andn2_b64 vcc, exec, s[4:5]
	s_cbranch_vccnz .LBB465_838
; %bb.836:
	v_mul_hi_u32 v0, s25, v10
	v_add_u32_e32 v0, v10, v0
	v_lshrrev_b32_e32 v1, s26, v0
	v_mul_lo_u32 v0, v1, s24
	v_sub_u32_e32 v2, v10, v0
	v_mul_lo_u32 v0, v2, s29
	s_andn2_b64 vcc, exec, s[50:51]
	v_mul_lo_u32 v2, v2, s28
	s_cbranch_vccnz .LBB465_838
; %bb.837:
	v_mul_hi_u32 v3, s48, v1
	v_add_u32_e32 v3, v1, v3
	v_lshrrev_b32_e32 v3, s49, v3
	v_mul_lo_u32 v3, v3, s27
	v_sub_u32_e32 v1, v1, v3
	v_mad_u64_u32 v[2:3], s[4:5], v1, s30, v[2:3]
	v_mad_u64_u32 v[0:1], s[4:5], v1, s31, v[0:1]
.LBB465_838:
	v_mov_b32_e32 v1, 0
	s_and_b32 s14, 0xffff, s76
	s_cmp_lt_i32 s14, 11
	v_lshl_add_u64 v[0:1], s[22:23], 0, v[0:1]
	s_cbranch_scc1 .LBB465_845
; %bb.839:
	s_cmp_gt_i32 s14, 25
	s_mov_b64 s[6:7], 0
	s_cbranch_scc0 .LBB465_846
; %bb.840:
	s_cmp_gt_i32 s14, 28
	s_cbranch_scc0 .LBB465_847
; %bb.841:
	s_cmp_gt_i32 s14, 43
	;; [unrolled: 3-line block ×3, first 2 shown]
	s_cbranch_scc0 .LBB465_851
; %bb.843:
	s_cmp_eq_u32 s14, 46
	s_mov_b64 s[10:11], 0
	s_cbranch_scc0 .LBB465_854
; %bb.844:
	global_load_dword v3, v[0:1], off
	s_mov_b64 s[4:5], 0
	s_mov_b64 s[8:9], -1
	s_waitcnt vmcnt(0)
	v_lshlrev_b32_e32 v3, 16, v3
	v_cvt_f64_f32_e32 v[6:7], v3
	s_branch .LBB465_855
.LBB465_845:
	s_mov_b64 s[10:11], -1
	s_mov_b64 s[8:9], 0
	s_mov_b64 s[6:7], 0
	;; [unrolled: 1-line block ×3, first 2 shown]
                                        ; implicit-def: $vgpr6_vgpr7
	s_branch .LBB465_918
.LBB465_846:
	s_mov_b64 s[10:11], -1
	s_mov_b64 s[8:9], 0
	s_mov_b64 s[4:5], s[2:3]
                                        ; implicit-def: $vgpr6_vgpr7
	s_branch .LBB465_886
.LBB465_847:
	s_mov_b64 s[10:11], -1
	s_mov_b64 s[8:9], 0
	s_mov_b64 s[4:5], s[2:3]
                                        ; implicit-def: $vgpr6_vgpr7
	s_branch .LBB465_865
.LBB465_848:
	s_mov_b64 s[10:11], -1
	s_mov_b64 s[8:9], 0
	s_mov_b64 s[4:5], s[2:3]
                                        ; implicit-def: $vgpr6_vgpr7
	s_branch .LBB465_860
.LBB465_849:
	s_andn2_saveexec_b64 s[10:11], s[10:11]
	s_cbranch_execz .LBB465_728
.LBB465_850:
	s_mov_b32 s14, 0x46000000
	v_add_f32_e64 v3, |v2|, s14
	v_and_b32_e32 v3, 0xff, v3
	v_cmp_ne_u32_e32 vcc, 0, v3
	s_andn2_b64 s[8:9], s[8:9], exec
	s_and_b64 s[14:15], vcc, exec
	s_or_b64 s[8:9], s[8:9], s[14:15]
	s_or_b64 exec, exec, s[10:11]
	v_mov_b32_e32 v6, 0
	s_and_saveexec_b64 s[10:11], s[8:9]
	s_cbranch_execnz .LBB465_729
	s_branch .LBB465_730
.LBB465_851:
	s_mov_b64 s[10:11], -1
	s_mov_b64 s[8:9], 0
	s_mov_b64 s[4:5], s[2:3]
                                        ; implicit-def: $vgpr6_vgpr7
	s_branch .LBB465_855
.LBB465_852:
	s_andn2_saveexec_b64 s[10:11], s[10:11]
	s_cbranch_execz .LBB465_741
.LBB465_853:
	s_mov_b32 s14, 0x42800000
	v_add_f32_e64 v3, |v2|, s14
	v_and_b32_e32 v3, 0xff, v3
	v_cmp_ne_u32_e32 vcc, 0, v3
	s_andn2_b64 s[8:9], s[8:9], exec
	s_and_b64 s[14:15], vcc, exec
	s_or_b64 s[8:9], s[8:9], s[14:15]
	s_or_b64 exec, exec, s[10:11]
	v_mov_b32_e32 v6, 0
	s_and_saveexec_b64 s[10:11], s[8:9]
	s_cbranch_execnz .LBB465_742
	s_branch .LBB465_743
.LBB465_854:
	s_mov_b64 s[4:5], -1
                                        ; implicit-def: $vgpr6_vgpr7
	s_mov_b64 s[8:9], 0
.LBB465_855:
	s_and_b64 vcc, exec, s[10:11]
	s_cbranch_vccz .LBB465_859
; %bb.856:
	s_cmp_eq_u32 s14, 44
	s_cbranch_scc0 .LBB465_858
; %bb.857:
	global_load_ubyte v3, v[0:1], off
	s_movk_i32 s8, 0xff
	v_bfrev_b32_e32 v6, 4
	v_mov_b32_e32 v7, 0x7ff80000
	v_bfrev_b32_e32 v8, 28
	s_mov_b64 s[4:5], 0
	s_waitcnt vmcnt(0)
	v_lshlrev_b32_e32 v4, 23, v3
	v_cvt_f64_f32_e32 v[4:5], v4
	v_cmp_ne_u32_e32 vcc, s8, v3
	s_mov_b64 s[8:9], -1
	s_nop 0
	v_cndmask_b32_e32 v4, v6, v4, vcc
	v_cndmask_b32_e32 v5, v7, v5, vcc
	v_cmp_ne_u32_e32 vcc, 0, v3
	s_nop 1
	v_cndmask_b32_e32 v7, v8, v5, vcc
	v_cndmask_b32_e32 v6, 0, v4, vcc
	s_branch .LBB465_859
.LBB465_858:
	s_mov_b64 s[4:5], -1
                                        ; implicit-def: $vgpr6_vgpr7
.LBB465_859:
	s_mov_b64 s[10:11], 0
.LBB465_860:
	s_and_b64 vcc, exec, s[10:11]
	s_cbranch_vccz .LBB465_864
; %bb.861:
	s_cmp_eq_u32 s14, 29
	s_cbranch_scc0 .LBB465_863
; %bb.862:
	global_load_dwordx2 v[4:5], v[0:1], off
	s_mov_b64 s[4:5], 0
	s_mov_b64 s[8:9], -1
	s_mov_b64 s[10:11], 0
	s_waitcnt vmcnt(0)
	v_cvt_f64_u32_e32 v[6:7], v5
	v_cvt_f64_u32_e32 v[4:5], v4
	v_ldexp_f64 v[6:7], v[6:7], 32
	v_add_f64 v[6:7], v[6:7], v[4:5]
	s_branch .LBB465_865
.LBB465_863:
	s_mov_b64 s[4:5], -1
                                        ; implicit-def: $vgpr6_vgpr7
.LBB465_864:
	s_mov_b64 s[10:11], 0
.LBB465_865:
	s_and_b64 vcc, exec, s[10:11]
	s_cbranch_vccz .LBB465_885
; %bb.866:
	s_cmp_lt_i32 s14, 27
	s_cbranch_scc1 .LBB465_869
; %bb.867:
	s_cmp_gt_i32 s14, 27
	s_cbranch_scc0 .LBB465_870
; %bb.868:
	global_load_dword v3, v[0:1], off
	s_mov_b64 s[8:9], 0
	s_waitcnt vmcnt(0)
	v_cvt_f64_u32_e32 v[6:7], v3
	s_branch .LBB465_871
.LBB465_869:
	s_mov_b64 s[8:9], -1
                                        ; implicit-def: $vgpr6_vgpr7
	s_branch .LBB465_874
.LBB465_870:
	s_mov_b64 s[8:9], -1
                                        ; implicit-def: $vgpr6_vgpr7
.LBB465_871:
	s_andn2_b64 vcc, exec, s[8:9]
	s_cbranch_vccnz .LBB465_873
; %bb.872:
	global_load_ushort v3, v[0:1], off
	s_waitcnt vmcnt(0)
	v_cvt_f64_u32_e32 v[6:7], v3
.LBB465_873:
	s_mov_b64 s[8:9], 0
.LBB465_874:
	s_andn2_b64 vcc, exec, s[8:9]
	s_cbranch_vccnz .LBB465_884
; %bb.875:
	global_load_ubyte v3, v[0:1], off
	s_movk_i32 s8, 0x7f
	s_waitcnt vmcnt(0)
	v_cmp_lt_i16_e32 vcc, s8, v3
	s_mov_b64 s[8:9], 0
	s_and_saveexec_b64 s[10:11], vcc
	s_xor_b64 s[10:11], exec, s[10:11]
	s_cbranch_execz .LBB465_879
; %bb.876:
	s_movk_i32 s8, 0x80
	v_cmp_eq_u16_e32 vcc, s8, v3
	s_mov_b64 s[8:9], -1
	s_and_saveexec_b64 s[12:13], vcc
; %bb.877:
	s_xor_b64 s[8:9], exec, -1
; %bb.878:
	s_or_b64 exec, exec, s[12:13]
	s_and_b64 s[8:9], s[8:9], exec
.LBB465_879:
	s_or_saveexec_b64 s[10:11], s[10:11]
	v_bfrev_b32_e32 v6, 4
	v_mov_b32_e32 v7, 0x7ff80000
	s_xor_b64 exec, exec, s[10:11]
; %bb.880:
	v_cmp_ne_u16_e32 vcc, 0, v3
	s_andn2_b64 s[8:9], s[8:9], exec
	s_and_b64 s[12:13], vcc, exec
	v_mov_b64_e32 v[6:7], 0
	s_or_b64 s[8:9], s[8:9], s[12:13]
; %bb.881:
	s_or_b64 exec, exec, s[10:11]
	s_and_saveexec_b64 s[10:11], s[8:9]
	s_cbranch_execz .LBB465_883
; %bb.882:
	v_lshlrev_b32_e32 v4, 24, v3
	v_and_b32_e32 v3, 0xffff, v3
	v_and_b32_e32 v5, 7, v3
	v_ffbh_u32_e32 v7, v5
	v_min_u32_e32 v7, 32, v7
	v_subrev_u32_e32 v8, 28, v7
	v_bfe_u32 v6, v3, 3, 4
	v_lshlrev_b32_e32 v3, v8, v3
	v_sub_u32_e32 v7, 29, v7
	v_and_b32_e32 v3, 7, v3
	v_cmp_eq_u32_e32 vcc, 0, v6
	v_and_b32_e32 v4, 0x80000000, v4
	s_nop 0
	v_cndmask_b32_e32 v6, v6, v7, vcc
	v_cndmask_b32_e32 v3, v5, v3, vcc
	v_mov_b32_e32 v5, 0x3b800000
	v_lshlrev_b32_e32 v3, 20, v3
	v_lshl_add_u32 v5, v6, 23, v5
	v_or3_b32 v3, v4, v5, v3
	v_cvt_f64_f32_e32 v[6:7], v3
.LBB465_883:
	s_or_b64 exec, exec, s[10:11]
.LBB465_884:
	s_mov_b64 s[8:9], -1
.LBB465_885:
	s_mov_b64 s[10:11], 0
.LBB465_886:
	s_and_b64 vcc, exec, s[10:11]
	s_cbranch_vccz .LBB465_917
; %bb.887:
	s_cmp_gt_i32 s14, 22
	s_cbranch_scc0 .LBB465_899
; %bb.888:
	s_cmp_lt_i32 s14, 24
	s_cbranch_scc1 .LBB465_900
; %bb.889:
	s_cmp_gt_i32 s14, 24
	s_cbranch_scc0 .LBB465_901
; %bb.890:
	global_load_ubyte v3, v[0:1], off
	s_movk_i32 s6, 0x7f
	s_waitcnt vmcnt(0)
	v_cmp_lt_i16_e32 vcc, s6, v3
	s_mov_b64 s[6:7], 0
	s_and_saveexec_b64 s[8:9], vcc
	s_xor_b64 s[8:9], exec, s[8:9]
	s_cbranch_execz .LBB465_894
; %bb.891:
	s_movk_i32 s6, 0x80
	v_cmp_eq_u16_e32 vcc, s6, v3
	s_mov_b64 s[6:7], -1
	s_and_saveexec_b64 s[10:11], vcc
; %bb.892:
	s_xor_b64 s[6:7], exec, -1
; %bb.893:
	s_or_b64 exec, exec, s[10:11]
	s_and_b64 s[6:7], s[6:7], exec
.LBB465_894:
	s_or_saveexec_b64 s[8:9], s[8:9]
	v_bfrev_b32_e32 v6, 4
	v_mov_b32_e32 v7, 0x7ff80000
	s_xor_b64 exec, exec, s[8:9]
; %bb.895:
	v_cmp_ne_u16_e32 vcc, 0, v3
	s_andn2_b64 s[6:7], s[6:7], exec
	s_and_b64 s[10:11], vcc, exec
	v_mov_b64_e32 v[6:7], 0
	s_or_b64 s[6:7], s[6:7], s[10:11]
; %bb.896:
	s_or_b64 exec, exec, s[8:9]
	s_and_saveexec_b64 s[8:9], s[6:7]
	s_cbranch_execz .LBB465_898
; %bb.897:
	v_lshlrev_b32_e32 v4, 24, v3
	v_and_b32_e32 v3, 0xffff, v3
	v_and_b32_e32 v5, 3, v3
	v_ffbh_u32_e32 v7, v5
	v_min_u32_e32 v7, 32, v7
	v_subrev_u32_e32 v8, 29, v7
	v_bfe_u32 v6, v3, 2, 5
	v_lshlrev_b32_e32 v3, v8, v3
	v_sub_u32_e32 v7, 30, v7
	v_and_b32_e32 v3, 3, v3
	v_cmp_eq_u32_e32 vcc, 0, v6
	v_and_b32_e32 v4, 0x80000000, v4
	s_nop 0
	v_cndmask_b32_e32 v6, v6, v7, vcc
	v_cndmask_b32_e32 v3, v5, v3, vcc
	v_mov_b32_e32 v5, 0x37800000
	v_lshlrev_b32_e32 v3, 21, v3
	v_lshl_add_u32 v5, v6, 23, v5
	v_or3_b32 v3, v4, v5, v3
	v_cvt_f64_f32_e32 v[6:7], v3
.LBB465_898:
	s_or_b64 exec, exec, s[8:9]
	s_mov_b64 s[6:7], 0
	s_branch .LBB465_902
.LBB465_899:
	s_mov_b64 s[6:7], -1
                                        ; implicit-def: $vgpr6_vgpr7
	s_branch .LBB465_908
.LBB465_900:
	s_mov_b64 s[6:7], -1
                                        ; implicit-def: $vgpr6_vgpr7
	s_branch .LBB465_905
.LBB465_901:
	s_mov_b64 s[6:7], -1
                                        ; implicit-def: $vgpr6_vgpr7
.LBB465_902:
	s_and_b64 vcc, exec, s[6:7]
	s_cbranch_vccz .LBB465_904
; %bb.903:
	global_load_ubyte v3, v[0:1], off
	s_mov_b32 s6, 0x7f800000
	s_waitcnt vmcnt(0)
	v_lshlrev_b32_e32 v3, 24, v3
	v_and_b32_e32 v4, 0x7f000000, v3
	v_ffbh_u32_e32 v5, v4
	v_min_u32_e32 v5, 32, v5
	v_sub_u32_e64 v5, v5, 4 clamp
	v_lshlrev_b32_e32 v7, v5, v4
	v_lshlrev_b32_e32 v5, 23, v5
	v_lshrrev_b32_e32 v7, 4, v7
	v_add_u32_e32 v6, 0x1000000, v4
	v_sub_u32_e32 v5, v7, v5
	v_ashrrev_i32_e32 v6, 8, v6
	v_add_u32_e32 v5, 0x3c000000, v5
	v_and_or_b32 v5, v6, s6, v5
	v_cmp_ne_u32_e32 vcc, 0, v4
	s_brev_b32 s6, 1
	s_nop 0
	v_cndmask_b32_e32 v4, 0, v5, vcc
	v_and_or_b32 v3, v3, s6, v4
	v_cvt_f64_f32_e32 v[6:7], v3
.LBB465_904:
	s_mov_b64 s[6:7], 0
.LBB465_905:
	s_andn2_b64 vcc, exec, s[6:7]
	s_cbranch_vccnz .LBB465_907
; %bb.906:
	global_load_ubyte v3, v[0:1], off
	s_movk_i32 s6, 0x7f00
	s_brev_b32 s7, 16
	s_waitcnt vmcnt(0)
	v_lshlrev_b16_e32 v4, 8, v3
	v_lshlrev_b32_e32 v3, 25, v3
	v_lshrrev_b32_e32 v5, 4, v3
	v_and_or_b32 v6, v4, s6, 0.5
	v_or_b32_e32 v5, 0x70000000, v5
	v_add_f32_e32 v6, -0.5, v6
	v_mul_f32_e32 v5, 0x7800000, v5
	v_cmp_gt_u32_e32 vcc, s7, v3
	v_bfe_i32 v4, v4, 0, 16
	s_brev_b32 s6, 1
	v_cndmask_b32_e32 v3, v5, v6, vcc
	v_and_or_b32 v3, v4, s6, v3
	v_cvt_f64_f32_e32 v[6:7], v3
.LBB465_907:
	s_mov_b64 s[6:7], 0
	s_mov_b64 s[8:9], -1
.LBB465_908:
	s_andn2_b64 vcc, exec, s[6:7]
	s_mov_b64 s[6:7], 0
	s_cbranch_vccnz .LBB465_917
; %bb.909:
	s_cmp_gt_i32 s14, 14
	s_cbranch_scc0 .LBB465_912
; %bb.910:
	s_cmp_eq_u32 s14, 15
	s_cbranch_scc0 .LBB465_913
; %bb.911:
	global_load_ushort v3, v[0:1], off
	s_mov_b64 s[4:5], 0
	s_mov_b64 s[8:9], -1
	s_waitcnt vmcnt(0)
	v_lshlrev_b32_e32 v3, 16, v3
	v_cvt_f64_f32_e32 v[6:7], v3
	s_branch .LBB465_914
.LBB465_912:
	s_mov_b64 s[10:11], -1
                                        ; implicit-def: $vgpr6_vgpr7
	s_branch .LBB465_915
.LBB465_913:
	s_mov_b64 s[4:5], -1
                                        ; implicit-def: $vgpr6_vgpr7
.LBB465_914:
	s_mov_b64 s[10:11], 0
.LBB465_915:
	s_and_b64 vcc, exec, s[10:11]
	s_cbranch_vccz .LBB465_917
; %bb.916:
	s_cmp_lg_u32 s14, 11
	s_cselect_b64 s[10:11], -1, 0
	s_andn2_b64 s[4:5], s[4:5], exec
	s_and_b64 s[10:11], s[10:11], exec
	s_mov_b64 s[6:7], -1
	s_or_b64 s[4:5], s[4:5], s[10:11]
.LBB465_917:
	s_mov_b64 s[10:11], 0
.LBB465_918:
	s_andn2_b64 s[12:13], s[2:3], exec
	s_and_b64 s[4:5], s[4:5], exec
	s_and_b64 s[8:9], s[8:9], exec
	;; [unrolled: 1-line block ×4, first 2 shown]
	s_or_b64 s[12:13], s[12:13], s[4:5]
.LBB465_919:
	s_or_b64 exec, exec, s[72:73]
	s_and_b64 s[4:5], s[6:7], exec
	s_andn2_b64 s[2:3], s[2:3], exec
	s_and_b64 s[6:7], s[12:13], exec
	s_and_b64 s[8:9], s[8:9], exec
	s_and_b64 s[10:11], s[10:11], exec
	s_or_b64 s[2:3], s[2:3], s[6:7]
.LBB465_920:
	s_or_b64 exec, exec, s[68:69]
	s_andn2_b64 s[6:7], s[64:65], exec
	s_and_b64 s[12:13], s[70:71], exec
	s_or_b64 s[64:65], s[6:7], s[12:13]
	s_and_b64 s[6:7], s[10:11], exec
	s_andn2_b64 s[10:11], s[62:63], exec
	s_and_b64 s[2:3], s[2:3], exec
	s_and_b64 s[8:9], s[8:9], exec
	;; [unrolled: 1-line block ×3, first 2 shown]
	s_or_b64 s[62:63], s[10:11], s[2:3]
.LBB465_921:
	s_or_b64 exec, exec, s[66:67]
	s_andn2_b64 s[2:3], s[56:57], exec
	s_and_b64 s[10:11], s[64:65], exec
	s_or_b64 s[56:57], s[2:3], s[10:11]
	s_and_b64 s[2:3], s[8:9], exec
	s_and_b64 s[8:9], s[6:7], exec
	s_and_b64 s[64:65], s[4:5], exec
	s_andn2_b64 s[4:5], s[58:59], exec
	s_and_b64 s[6:7], s[62:63], exec
	s_or_b64 s[58:59], s[4:5], s[6:7]
	s_or_b64 exec, exec, s[60:61]
	s_mov_b64 s[4:5], 0
	s_and_saveexec_b64 s[6:7], s[58:59]
	s_cbranch_execz .LBB465_276
.LBB465_922:
	s_mov_b64 s[4:5], exec
	s_andn2_b64 s[64:65], s[64:65], exec
	s_trap 2
	s_or_b64 exec, exec, s[6:7]
	s_and_saveexec_b64 s[6:7], s[64:65]
	s_xor_b64 s[6:7], exec, s[6:7]
	s_cbranch_execnz .LBB465_277
.LBB465_923:
	s_or_b64 exec, exec, s[6:7]
	s_and_saveexec_b64 s[6:7], s[8:9]
	s_cbranch_execz .LBB465_969
.LBB465_924:
	s_sext_i32_i16 s8, s76
	s_cmp_lt_i32 s8, 5
	s_cbranch_scc1 .LBB465_929
; %bb.925:
	s_cmp_lt_i32 s8, 8
	s_cbranch_scc1 .LBB465_930
; %bb.926:
	s_cmp_lt_i32 s8, 9
	s_cbranch_scc1 .LBB465_931
; %bb.927:
	s_cmp_gt_i32 s8, 9
	s_cbranch_scc0 .LBB465_932
; %bb.928:
	global_load_dwordx2 v[6:7], v[0:1], off
	s_mov_b64 s[8:9], 0
	s_branch .LBB465_933
.LBB465_929:
                                        ; implicit-def: $vgpr6_vgpr7
	s_branch .LBB465_950
.LBB465_930:
                                        ; implicit-def: $vgpr6_vgpr7
	s_branch .LBB465_939
.LBB465_931:
	s_mov_b64 s[8:9], -1
                                        ; implicit-def: $vgpr6_vgpr7
	s_branch .LBB465_936
.LBB465_932:
	s_mov_b64 s[8:9], -1
                                        ; implicit-def: $vgpr6_vgpr7
.LBB465_933:
	s_andn2_b64 vcc, exec, s[8:9]
	s_cbranch_vccnz .LBB465_935
; %bb.934:
	global_load_dword v3, v[0:1], off
	s_waitcnt vmcnt(0)
	v_cvt_f64_f32_e32 v[6:7], v3
.LBB465_935:
	s_mov_b64 s[8:9], 0
.LBB465_936:
	s_andn2_b64 vcc, exec, s[8:9]
	s_cbranch_vccnz .LBB465_938
; %bb.937:
	global_load_dword v3, v[0:1], off
	s_waitcnt vmcnt(0)
	v_cvt_f32_f16_e32 v3, v3
	v_cvt_f64_f32_e32 v[6:7], v3
.LBB465_938:
	s_cbranch_execnz .LBB465_949
.LBB465_939:
	s_sext_i32_i16 s8, s76
	s_cmp_lt_i32 s8, 6
	s_cbranch_scc1 .LBB465_942
; %bb.940:
	s_cmp_gt_i32 s8, 6
	s_cbranch_scc0 .LBB465_943
; %bb.941:
	global_load_dwordx2 v[6:7], v[0:1], off
	s_mov_b64 s[8:9], 0
	s_branch .LBB465_944
.LBB465_942:
	s_mov_b64 s[8:9], -1
                                        ; implicit-def: $vgpr6_vgpr7
	s_branch .LBB465_947
.LBB465_943:
	s_mov_b64 s[8:9], -1
                                        ; implicit-def: $vgpr6_vgpr7
.LBB465_944:
	s_andn2_b64 vcc, exec, s[8:9]
	s_cbranch_vccnz .LBB465_946
; %bb.945:
	global_load_dword v3, v[0:1], off
	s_waitcnt vmcnt(0)
	v_cvt_f64_f32_e32 v[6:7], v3
.LBB465_946:
	s_mov_b64 s[8:9], 0
.LBB465_947:
	s_andn2_b64 vcc, exec, s[8:9]
	s_cbranch_vccnz .LBB465_949
; %bb.948:
	global_load_ushort v3, v[0:1], off
	s_waitcnt vmcnt(0)
	v_cvt_f32_f16_e32 v3, v3
	v_cvt_f64_f32_e32 v[6:7], v3
.LBB465_949:
	s_cbranch_execnz .LBB465_968
.LBB465_950:
	s_sext_i32_i16 s8, s76
	s_cmp_lt_i32 s8, 2
	s_cbranch_scc1 .LBB465_954
; %bb.951:
	s_cmp_lt_i32 s8, 3
	s_cbranch_scc1 .LBB465_955
; %bb.952:
	s_cmp_gt_i32 s8, 3
	s_cbranch_scc0 .LBB465_956
; %bb.953:
	global_load_dwordx2 v[4:5], v[0:1], off
	s_mov_b64 s[8:9], 0
	s_waitcnt vmcnt(0)
	v_cvt_f64_i32_e32 v[6:7], v5
	v_cvt_f64_u32_e32 v[4:5], v4
	v_ldexp_f64 v[6:7], v[6:7], 32
	v_add_f64 v[6:7], v[6:7], v[4:5]
	s_branch .LBB465_957
.LBB465_954:
                                        ; implicit-def: $vgpr6_vgpr7
	s_branch .LBB465_963
.LBB465_955:
	s_mov_b64 s[8:9], -1
                                        ; implicit-def: $vgpr6_vgpr7
	s_branch .LBB465_960
.LBB465_956:
	s_mov_b64 s[8:9], -1
                                        ; implicit-def: $vgpr6_vgpr7
.LBB465_957:
	s_andn2_b64 vcc, exec, s[8:9]
	s_cbranch_vccnz .LBB465_959
; %bb.958:
	global_load_dword v3, v[0:1], off
	s_waitcnt vmcnt(0)
	v_cvt_f64_i32_e32 v[6:7], v3
.LBB465_959:
	s_mov_b64 s[8:9], 0
.LBB465_960:
	s_andn2_b64 vcc, exec, s[8:9]
	s_cbranch_vccnz .LBB465_962
; %bb.961:
	global_load_sshort v3, v[0:1], off
	s_waitcnt vmcnt(0)
	v_cvt_f64_i32_e32 v[6:7], v3
.LBB465_962:
	s_cbranch_execnz .LBB465_968
.LBB465_963:
	s_sext_i32_i16 s8, s76
	s_cmp_gt_i32 s8, 0
	s_cbranch_scc0 .LBB465_965
; %bb.964:
	global_load_sbyte v3, v[0:1], off
	s_mov_b64 s[8:9], 0
	s_waitcnt vmcnt(0)
	v_cvt_f64_i32_e32 v[6:7], v3
	s_branch .LBB465_966
.LBB465_965:
	s_mov_b64 s[8:9], -1
                                        ; implicit-def: $vgpr6_vgpr7
.LBB465_966:
	s_andn2_b64 vcc, exec, s[8:9]
	s_cbranch_vccnz .LBB465_968
; %bb.967:
	global_load_ubyte v0, v[0:1], off
	s_waitcnt vmcnt(0)
	v_cvt_f64_u32_e32 v[6:7], v0
.LBB465_968:
	s_or_b64 s[2:3], s[2:3], exec
.LBB465_969:
	s_or_b64 exec, exec, s[6:7]
	s_mov_b64 s[10:11], 0
	s_mov_b64 s[8:9], 0
                                        ; implicit-def: $sgpr16
                                        ; implicit-def: $vgpr4_vgpr5
                                        ; implicit-def: $vgpr0_vgpr1
	s_and_saveexec_b64 s[6:7], s[2:3]
	s_cbranch_execz .LBB465_1044
; %bb.970:
	v_max_f64 v[0:1], s[46:47], s[46:47]
	s_waitcnt vmcnt(0)
	v_max_f64 v[4:5], v[6:7], v[6:7]
	v_min_f64 v[0:1], v[4:5], v[0:1]
	v_cmp_u_f64_e32 vcc, v[6:7], v[6:7]
	v_mov_b32_e32 v3, 0
	s_and_b32 s16, s75, 0xff
	v_cndmask_b32_e32 v1, v1, v7, vcc
	v_cndmask_b32_e32 v0, v0, v6, vcc
	s_cmp_lt_i32 s16, 11
	v_lshl_add_u64 v[4:5], s[20:21], 0, v[2:3]
	s_cbranch_scc1 .LBB465_1047
; %bb.971:
	s_and_b32 s17, 0xffff, s16
	s_mov_b64 s[10:11], -1
	s_cmp_gt_i32 s17, 25
	s_mov_b64 s[2:3], s[56:57]
	s_cbranch_scc0 .LBB465_1004
; %bb.972:
	s_mov_b64 s[8:9], -1
	s_cmp_gt_i32 s17, 28
	s_mov_b64 s[2:3], s[56:57]
	s_cbranch_scc0 .LBB465_988
; %bb.973:
	s_cmp_gt_i32 s17, 43
	s_mov_b64 s[2:3], s[56:57]
	s_cbranch_scc0 .LBB465_984
; %bb.974:
	;; [unrolled: 4-line block ×3, first 2 shown]
	s_cmp_eq_u32 s17, 46
	s_mov_b64 s[2:3], -1
	s_cbranch_scc0 .LBB465_977
; %bb.976:
	v_cvt_f32_f64_e32 v2, v[0:1]
	v_bfe_u32 v3, v2, 16, 1
	s_movk_i32 s2, 0x7fff
	v_add3_u32 v3, v2, v3, s2
	v_cmp_o_f32_e32 vcc, v2, v2
	v_mov_b32_e32 v2, 0x7fc0
	s_mov_b64 s[2:3], 0
	v_cndmask_b32_sdwa v2, v2, v3, vcc dst_sel:DWORD dst_unused:UNUSED_PAD src0_sel:DWORD src1_sel:WORD_1
	global_store_dword v[4:5], v2, off
.LBB465_977:
	s_mov_b64 s[8:9], 0
.LBB465_978:
	s_and_b64 vcc, exec, s[8:9]
	s_cbranch_vccz .LBB465_983
; %bb.979:
	s_cmp_eq_u32 s17, 44
	s_mov_b64 s[2:3], -1
	s_cbranch_scc0 .LBB465_983
; %bb.980:
	v_cvt_f32_f64_e32 v2, v[0:1]
	v_bfe_u32 v3, v2, 23, 8
	s_movk_i32 s2, 0xff
	v_cmp_ne_u32_e32 vcc, s2, v3
	v_mov_b32_e32 v6, 0xff
	s_and_saveexec_b64 s[8:9], vcc
; %bb.981:
	s_mov_b32 s2, 0x3fffff
	v_lshrrev_b32_e32 v6, 23, v2
	v_and_b32_e32 v7, 0x400000, v2
	v_and_or_b32 v2, v2, s2, v3
	v_cmp_ne_u32_e32 vcc, 0, v7
	v_cmp_ne_u32_e64 s[2:3], 0, v2
	s_and_b64 s[2:3], vcc, s[2:3]
	s_nop 0
	v_cndmask_b32_e64 v2, 0, 1, s[2:3]
	v_add_u32_e32 v6, v6, v2
; %bb.982:
	s_or_b64 exec, exec, s[8:9]
	s_mov_b64 s[2:3], 0
	global_store_byte v[4:5], v6, off
.LBB465_983:
	s_mov_b64 s[8:9], 0
.LBB465_984:
	s_and_b64 vcc, exec, s[8:9]
	s_cbranch_vccz .LBB465_987
; %bb.985:
	s_cmp_eq_u32 s17, 29
	s_mov_b64 s[2:3], -1
	s_cbranch_scc0 .LBB465_987
; %bb.986:
	v_trunc_f64_e32 v[2:3], v[0:1]
	s_movk_i32 s2, 0xffe0
	v_ldexp_f64 v[6:7], v[2:3], s2
	v_floor_f64_e32 v[6:7], v[6:7]
	v_fmac_f64_e32 v[2:3], 0xc1f00000, v[6:7]
	v_cvt_u32_f64_e32 v9, v[6:7]
	v_cvt_u32_f64_e32 v8, v[2:3]
	global_store_dwordx2 v[4:5], v[8:9], off
	s_mov_b64 s[2:3], 0
.LBB465_987:
	s_mov_b64 s[8:9], 0
.LBB465_988:
	s_and_b64 vcc, exec, s[8:9]
	s_cbranch_vccz .LBB465_1003
; %bb.989:
	s_cmp_lt_i32 s17, 27
	s_mov_b64 s[8:9], -1
	s_cbranch_scc1 .LBB465_995
; %bb.990:
	s_cmp_gt_i32 s17, 27
	s_cbranch_scc0 .LBB465_992
; %bb.991:
	v_cvt_u32_f64_e32 v2, v[0:1]
	s_mov_b64 s[8:9], 0
	global_store_dword v[4:5], v2, off
.LBB465_992:
	s_andn2_b64 vcc, exec, s[8:9]
	s_cbranch_vccnz .LBB465_994
; %bb.993:
	v_cvt_u32_f64_e32 v2, v[0:1]
	global_store_short v[4:5], v2, off
.LBB465_994:
	s_mov_b64 s[8:9], 0
.LBB465_995:
	s_andn2_b64 vcc, exec, s[8:9]
	s_cbranch_vccnz .LBB465_1003
; %bb.996:
	v_cvt_f32_f64_e32 v2, v[0:1]
	v_and_b32_e32 v3, 0x7fffffff, v2
	s_mov_b32 s8, 0x43800000
	v_cmp_gt_u32_e32 vcc, s8, v3
	v_mov_b32_e32 v6, 0x80
	s_and_saveexec_b64 s[8:9], vcc
	s_cbranch_execz .LBB465_1002
; %bb.997:
	s_mov_b32 s10, 0x3bffffff
	v_cmp_lt_u32_e32 vcc, s10, v3
	s_mov_b64 s[10:11], 0
                                        ; implicit-def: $vgpr3
	s_and_saveexec_b64 s[12:13], vcc
	s_xor_b64 s[12:13], exec, s[12:13]
	s_cbranch_execz .LBB465_1160
; %bb.998:
	v_bfe_u32 v3, v2, 20, 1
	s_mov_b32 s14, 0x487ffff
	v_add3_u32 v3, v2, v3, s14
	s_mov_b64 s[10:11], exec
	v_lshrrev_b32_e32 v3, 20, v3
	s_andn2_saveexec_b64 s[12:13], s[12:13]
	s_cbranch_execnz .LBB465_1161
.LBB465_999:
	s_or_b64 exec, exec, s[12:13]
	v_mov_b32_e32 v6, 0
	s_and_saveexec_b64 s[12:13], s[10:11]
.LBB465_1000:
	v_lshrrev_b32_e32 v2, 24, v2
	s_movk_i32 s10, 0x80
	v_and_or_b32 v6, v2, s10, v3
.LBB465_1001:
	s_or_b64 exec, exec, s[12:13]
.LBB465_1002:
	s_or_b64 exec, exec, s[8:9]
	global_store_byte v[4:5], v6, off
.LBB465_1003:
	s_mov_b64 s[10:11], 0
.LBB465_1004:
	s_mov_b64 s[8:9], 0
	s_and_b64 vcc, exec, s[10:11]
	s_cbranch_vccz .LBB465_1048
; %bb.1005:
	s_cmp_gt_i32 s17, 22
	s_mov_b64 s[10:11], -1
	s_cbranch_scc0 .LBB465_1037
; %bb.1006:
	s_cmp_lt_i32 s17, 24
	s_cbranch_scc1 .LBB465_1026
; %bb.1007:
	s_cmp_gt_i32 s17, 24
	s_cbranch_scc0 .LBB465_1015
; %bb.1008:
	v_cvt_f32_f64_e32 v2, v[0:1]
	v_and_b32_e32 v3, 0x7fffffff, v2
	s_mov_b32 s10, 0x47800000
	v_cmp_gt_u32_e32 vcc, s10, v3
	v_mov_b32_e32 v6, 0x80
	s_and_saveexec_b64 s[10:11], vcc
	s_cbranch_execz .LBB465_1014
; %bb.1009:
	s_mov_b32 s12, 0x37ffffff
	v_cmp_lt_u32_e32 vcc, s12, v3
	s_mov_b64 s[12:13], 0
                                        ; implicit-def: $vgpr3
	s_and_saveexec_b64 s[14:15], vcc
	s_xor_b64 s[14:15], exec, s[14:15]
	s_cbranch_execz .LBB465_1285
; %bb.1010:
	v_bfe_u32 v3, v2, 21, 1
	s_mov_b32 s18, 0x88fffff
	v_add3_u32 v3, v2, v3, s18
	s_mov_b64 s[12:13], exec
	v_lshrrev_b32_e32 v3, 21, v3
	s_andn2_saveexec_b64 s[14:15], s[14:15]
	s_cbranch_execnz .LBB465_1286
.LBB465_1011:
	s_or_b64 exec, exec, s[14:15]
	v_mov_b32_e32 v6, 0
	s_and_saveexec_b64 s[14:15], s[12:13]
.LBB465_1012:
	v_lshrrev_b32_e32 v2, 24, v2
	s_movk_i32 s12, 0x80
	v_and_or_b32 v6, v2, s12, v3
.LBB465_1013:
	s_or_b64 exec, exec, s[14:15]
.LBB465_1014:
	s_or_b64 exec, exec, s[10:11]
	s_mov_b64 s[10:11], 0
	global_store_byte v[4:5], v6, off
.LBB465_1015:
	s_and_b64 vcc, exec, s[10:11]
	s_cbranch_vccz .LBB465_1025
; %bb.1016:
	v_cvt_f32_f64_e32 v2, v[0:1]
	v_and_b32_e32 v6, 0x7fffffff, v2
	s_mov_b32 s10, 0x43f00000
	v_cmp_gt_u32_e32 vcc, s10, v6
                                        ; implicit-def: $vgpr3
	s_and_saveexec_b64 s[10:11], vcc
	s_xor_b64 s[10:11], exec, s[10:11]
	s_cbranch_execz .LBB465_1022
; %bb.1017:
	s_mov_b32 s12, 0x3c7fffff
	v_cmp_lt_u32_e32 vcc, s12, v6
                                        ; implicit-def: $vgpr3
	s_and_saveexec_b64 s[12:13], vcc
	s_xor_b64 s[12:13], exec, s[12:13]
; %bb.1018:
	v_bfe_u32 v3, v2, 20, 1
	s_mov_b32 s14, 0x407ffff
	v_add3_u32 v3, v2, v3, s14
	v_lshrrev_b32_e32 v6, 20, v3
	v_and_b32_e32 v3, 0xff00000, v3
	s_mov_b32 s14, 0x7f00000
	v_mov_b32_e32 v7, 0x7e
	v_cmp_ne_u32_e32 vcc, s14, v3
	s_nop 1
	v_cndmask_b32_e32 v3, v7, v6, vcc
; %bb.1019:
	s_andn2_saveexec_b64 s[12:13], s[12:13]
; %bb.1020:
	s_mov_b32 s14, 0x46800000
	v_add_f32_e64 v3, |v2|, s14
; %bb.1021:
	s_or_b64 exec, exec, s[12:13]
                                        ; implicit-def: $vgpr6
.LBB465_1022:
	s_andn2_saveexec_b64 s[10:11], s[10:11]
; %bb.1023:
	s_mov_b32 s12, 0x7f800000
	v_mov_b32_e32 v3, 0x7e
	v_mov_b32_e32 v7, 0x7f
	v_cmp_lt_u32_e32 vcc, s12, v6
	s_nop 1
	v_cndmask_b32_e32 v3, v3, v7, vcc
; %bb.1024:
	s_or_b64 exec, exec, s[10:11]
	v_lshrrev_b32_e32 v2, 24, v2
	s_movk_i32 s10, 0x80
	v_and_or_b32 v2, v2, s10, v3
	global_store_byte v[4:5], v2, off
.LBB465_1025:
	s_mov_b64 s[10:11], 0
.LBB465_1026:
	s_andn2_b64 vcc, exec, s[10:11]
	s_cbranch_vccnz .LBB465_1036
; %bb.1027:
	v_cvt_f32_f64_e32 v2, v[0:1]
	v_and_b32_e32 v6, 0x7fffffff, v2
	s_mov_b32 s10, 0x47800000
	v_cmp_gt_u32_e32 vcc, s10, v6
                                        ; implicit-def: $vgpr3
	s_and_saveexec_b64 s[10:11], vcc
	s_xor_b64 s[10:11], exec, s[10:11]
	s_cbranch_execz .LBB465_1033
; %bb.1028:
	s_mov_b32 s12, 0x387fffff
	v_cmp_lt_u32_e32 vcc, s12, v6
                                        ; implicit-def: $vgpr3
	s_and_saveexec_b64 s[12:13], vcc
	s_xor_b64 s[12:13], exec, s[12:13]
; %bb.1029:
	v_bfe_u32 v3, v2, 21, 1
	s_mov_b32 s14, 0x80fffff
	v_add3_u32 v3, v2, v3, s14
	v_lshrrev_b32_e32 v3, 21, v3
; %bb.1030:
	s_andn2_saveexec_b64 s[12:13], s[12:13]
; %bb.1031:
	s_mov_b32 s14, 0x43000000
	v_add_f32_e64 v3, |v2|, s14
; %bb.1032:
	s_or_b64 exec, exec, s[12:13]
                                        ; implicit-def: $vgpr6
.LBB465_1033:
	s_andn2_saveexec_b64 s[10:11], s[10:11]
; %bb.1034:
	s_mov_b32 s12, 0x7f800000
	v_mov_b32_e32 v3, 0x7c
	v_mov_b32_e32 v7, 0x7f
	v_cmp_lt_u32_e32 vcc, s12, v6
	s_nop 1
	v_cndmask_b32_e32 v3, v3, v7, vcc
; %bb.1035:
	s_or_b64 exec, exec, s[10:11]
	v_lshrrev_b32_e32 v2, 24, v2
	s_movk_i32 s10, 0x80
	v_and_or_b32 v2, v2, s10, v3
	global_store_byte v[4:5], v2, off
.LBB465_1036:
	s_mov_b64 s[10:11], 0
.LBB465_1037:
	s_andn2_b64 vcc, exec, s[10:11]
	s_mov_b64 s[10:11], 0
	s_cbranch_vccnz .LBB465_1049
; %bb.1038:
	s_cmp_gt_i32 s17, 14
	s_mov_b64 s[12:13], -1
	s_cbranch_scc0 .LBB465_1042
; %bb.1039:
	s_cmp_eq_u32 s17, 15
	s_mov_b64 s[2:3], -1
	s_cbranch_scc0 .LBB465_1041
; %bb.1040:
	v_cvt_f32_f64_e32 v2, v[0:1]
	v_bfe_u32 v3, v2, 16, 1
	s_movk_i32 s2, 0x7fff
	v_add3_u32 v3, v2, v3, s2
	v_cmp_o_f32_e32 vcc, v2, v2
	v_mov_b32_e32 v2, 0x7fc0
	s_mov_b64 s[2:3], 0
	v_cndmask_b32_sdwa v2, v2, v3, vcc dst_sel:DWORD dst_unused:UNUSED_PAD src0_sel:DWORD src1_sel:WORD_1
	global_store_short v[4:5], v2, off
.LBB465_1041:
	s_mov_b64 s[12:13], 0
.LBB465_1042:
	s_and_b64 vcc, exec, s[12:13]
	s_cbranch_vccz .LBB465_1049
; %bb.1043:
	s_cmp_lg_u32 s17, 11
	s_cselect_b64 s[12:13], -1, 0
	s_andn2_b64 s[2:3], s[2:3], exec
	s_and_b64 s[12:13], s[12:13], exec
	s_mov_b64 s[10:11], -1
	s_or_b64 s[2:3], s[2:3], s[12:13]
	s_branch .LBB465_1049
.LBB465_1044:
	s_or_b64 exec, exec, s[6:7]
	s_and_saveexec_b64 s[2:3], s[56:57]
	s_cbranch_execnz .LBB465_1050
.LBB465_1045:
	s_or_b64 exec, exec, s[2:3]
	s_and_saveexec_b64 s[2:3], s[10:11]
	s_xor_b64 s[2:3], exec, s[2:3]
	s_cbranch_execz .LBB465_1051
.LBB465_1046:
	v_cmp_neq_f64_e32 vcc, 0, v[0:1]
	s_nop 1
	v_cndmask_b32_e64 v2, 0, 1, vcc
	s_waitcnt vmcnt(0)
	global_store_byte v[4:5], v2, off
	s_or_b64 exec, exec, s[2:3]
	s_and_saveexec_b64 s[2:3], s[8:9]
	s_xor_b64 s[2:3], exec, s[2:3]
	s_cbranch_execz .LBB465_1089
	s_branch .LBB465_1052
.LBB465_1047:
	s_mov_b64 s[8:9], -1
	s_mov_b64 s[2:3], s[56:57]
	s_branch .LBB465_1049
.LBB465_1048:
	s_mov_b64 s[10:11], 0
.LBB465_1049:
	s_andn2_b64 s[12:13], s[56:57], exec
	s_and_b64 s[2:3], s[2:3], exec
	s_and_b64 s[8:9], s[8:9], exec
	;; [unrolled: 1-line block ×3, first 2 shown]
	s_or_b64 s[56:57], s[12:13], s[2:3]
	s_or_b64 exec, exec, s[6:7]
	s_and_saveexec_b64 s[2:3], s[56:57]
	s_cbranch_execz .LBB465_1045
.LBB465_1050:
	s_or_b64 s[4:5], s[4:5], exec
	s_andn2_b64 s[10:11], s[10:11], exec
	s_trap 2
	s_or_b64 exec, exec, s[2:3]
	s_and_saveexec_b64 s[2:3], s[10:11]
	s_xor_b64 s[2:3], exec, s[2:3]
	s_cbranch_execnz .LBB465_1046
.LBB465_1051:
	s_or_b64 exec, exec, s[2:3]
	s_and_saveexec_b64 s[2:3], s[8:9]
	s_xor_b64 s[2:3], exec, s[2:3]
	s_cbranch_execz .LBB465_1089
.LBB465_1052:
	s_sext_i32_i16 s8, s16
	s_cmp_lt_i32 s8, 5
	s_mov_b64 s[6:7], -1
	s_cbranch_scc1 .LBB465_1073
; %bb.1053:
	s_cmp_lt_i32 s8, 8
	s_cbranch_scc1 .LBB465_1063
; %bb.1054:
	s_cmp_lt_i32 s8, 9
	s_cbranch_scc1 .LBB465_1060
; %bb.1055:
	s_cmp_gt_i32 s8, 9
	s_cbranch_scc0 .LBB465_1057
; %bb.1056:
	v_mov_b32_e32 v2, 0
	v_mov_b32_e32 v3, v2
	s_mov_b64 s[6:7], 0
	s_waitcnt vmcnt(0)
	global_store_dwordx4 v[4:5], v[0:3], off
.LBB465_1057:
	s_andn2_b64 vcc, exec, s[6:7]
	s_cbranch_vccnz .LBB465_1059
; %bb.1058:
	v_cvt_f32_f64_e32 v2, v[0:1]
	v_mov_b32_e32 v3, 0
	s_waitcnt vmcnt(0)
	global_store_dwordx2 v[4:5], v[2:3], off
.LBB465_1059:
	s_mov_b64 s[6:7], 0
.LBB465_1060:
	s_andn2_b64 vcc, exec, s[6:7]
	s_cbranch_vccnz .LBB465_1062
; %bb.1061:
	s_movk_i32 s6, 0x1ff
	v_and_or_b32 v2, v1, s6, v0
	v_cmp_ne_u32_e32 vcc, 0, v2
	v_lshrrev_b32_e32 v3, 8, v1
	s_movk_i32 s6, 0xffe
	v_cndmask_b32_e64 v2, 0, 1, vcc
	s_waitcnt vmcnt(0)
	v_bfe_u32 v6, v1, 20, 11
	v_and_or_b32 v2, v3, s6, v2
	v_sub_u32_e32 v7, 0x3f1, v6
	v_or_b32_e32 v3, 0x1000, v2
	v_med3_i32 v7, v7, 0, 13
	v_lshrrev_b32_e32 v8, v7, v3
	v_lshlrev_b32_e32 v7, v7, v8
	v_cmp_ne_u32_e32 vcc, v7, v3
	v_add_u32_e32 v6, 0xfffffc10, v6
	v_lshl_or_b32 v7, v6, 12, v2
	v_cndmask_b32_e64 v3, 0, 1, vcc
	v_or_b32_e32 v3, v8, v3
	v_cmp_gt_i32_e32 vcc, 1, v6
	s_movk_i32 s6, 0x40f
	s_nop 0
	v_cndmask_b32_e32 v3, v7, v3, vcc
	v_and_b32_e32 v7, 7, v3
	v_cmp_lt_i32_e32 vcc, 5, v7
	v_lshrrev_b32_e32 v3, 2, v3
	s_nop 0
	v_cndmask_b32_e64 v8, 0, 1, vcc
	v_cmp_eq_u32_e32 vcc, 3, v7
	s_nop 1
	v_cndmask_b32_e64 v7, 0, 1, vcc
	v_or_b32_e32 v7, v7, v8
	v_add_u32_e32 v3, v3, v7
	v_mov_b32_e32 v7, 0x7c00
	v_cmp_gt_i32_e32 vcc, 31, v6
	v_mov_b32_e32 v8, 0x7e00
	s_nop 0
	v_cndmask_b32_e32 v3, v7, v3, vcc
	v_cmp_ne_u32_e32 vcc, 0, v2
	s_nop 1
	v_cndmask_b32_e32 v2, v7, v8, vcc
	v_cmp_eq_u32_e32 vcc, s6, v6
	s_mov_b32 s6, 0x8000
	s_nop 0
	v_cndmask_b32_e32 v2, v3, v2, vcc
	v_and_b32_sdwa v3, v1, s6 dst_sel:DWORD dst_unused:UNUSED_PAD src0_sel:WORD_1 src1_sel:DWORD
	s_mov_b32 s6, 0xffff
	v_bitop3_b32 v2, v3, s6, v2 bitop3:0xc8
	global_store_dword v[4:5], v2, off
.LBB465_1062:
	s_mov_b64 s[6:7], 0
.LBB465_1063:
	s_andn2_b64 vcc, exec, s[6:7]
	s_cbranch_vccnz .LBB465_1072
; %bb.1064:
	s_sext_i32_i16 s8, s16
	s_cmp_lt_i32 s8, 6
	s_mov_b64 s[6:7], -1
	s_cbranch_scc1 .LBB465_1070
; %bb.1065:
	s_cmp_gt_i32 s8, 6
	s_cbranch_scc0 .LBB465_1067
; %bb.1066:
	s_mov_b64 s[6:7], 0
	s_waitcnt vmcnt(0)
	global_store_dwordx2 v[4:5], v[0:1], off
.LBB465_1067:
	s_andn2_b64 vcc, exec, s[6:7]
	s_cbranch_vccnz .LBB465_1069
; %bb.1068:
	v_cvt_f32_f64_e32 v2, v[0:1]
	s_waitcnt vmcnt(0)
	global_store_dword v[4:5], v2, off
.LBB465_1069:
	s_mov_b64 s[6:7], 0
.LBB465_1070:
	s_andn2_b64 vcc, exec, s[6:7]
	s_cbranch_vccnz .LBB465_1072
; %bb.1071:
	s_movk_i32 s6, 0x1ff
	v_and_or_b32 v2, v1, s6, v0
	v_cmp_ne_u32_e32 vcc, 0, v2
	v_lshrrev_b32_e32 v3, 8, v1
	s_movk_i32 s6, 0xffe
	v_cndmask_b32_e64 v2, 0, 1, vcc
	s_waitcnt vmcnt(0)
	v_bfe_u32 v6, v1, 20, 11
	v_and_or_b32 v2, v3, s6, v2
	v_sub_u32_e32 v7, 0x3f1, v6
	v_or_b32_e32 v3, 0x1000, v2
	v_med3_i32 v7, v7, 0, 13
	v_lshrrev_b32_e32 v8, v7, v3
	v_lshlrev_b32_e32 v7, v7, v8
	v_cmp_ne_u32_e32 vcc, v7, v3
	v_add_u32_e32 v6, 0xfffffc10, v6
	v_lshl_or_b32 v7, v6, 12, v2
	v_cndmask_b32_e64 v3, 0, 1, vcc
	v_or_b32_e32 v3, v8, v3
	v_cmp_gt_i32_e32 vcc, 1, v6
	s_movk_i32 s6, 0x40f
	s_nop 0
	v_cndmask_b32_e32 v3, v7, v3, vcc
	v_and_b32_e32 v7, 7, v3
	v_cmp_lt_i32_e32 vcc, 5, v7
	v_lshrrev_b32_e32 v3, 2, v3
	s_nop 0
	v_cndmask_b32_e64 v8, 0, 1, vcc
	v_cmp_eq_u32_e32 vcc, 3, v7
	s_nop 1
	v_cndmask_b32_e64 v7, 0, 1, vcc
	v_or_b32_e32 v7, v7, v8
	v_add_u32_e32 v3, v3, v7
	v_mov_b32_e32 v7, 0x7c00
	v_cmp_gt_i32_e32 vcc, 31, v6
	v_mov_b32_e32 v8, 0x7e00
	s_nop 0
	v_cndmask_b32_e32 v3, v7, v3, vcc
	v_cmp_ne_u32_e32 vcc, 0, v2
	s_nop 1
	v_cndmask_b32_e32 v2, v7, v8, vcc
	v_cmp_eq_u32_e32 vcc, s6, v6
	s_mov_b32 s6, 0x8000
	s_nop 0
	v_cndmask_b32_e32 v2, v3, v2, vcc
	v_lshrrev_b32_e32 v3, 16, v1
	v_and_or_b32 v2, v3, s6, v2
	global_store_short v[4:5], v2, off
.LBB465_1072:
	s_mov_b64 s[6:7], 0
.LBB465_1073:
	s_andn2_b64 vcc, exec, s[6:7]
	s_cbranch_vccnz .LBB465_1089
; %bb.1074:
	s_sext_i32_i16 s8, s16
	s_cmp_lt_i32 s8, 2
	s_mov_b64 s[6:7], -1
	s_cbranch_scc1 .LBB465_1084
; %bb.1075:
	s_cmp_lt_i32 s8, 3
	s_cbranch_scc1 .LBB465_1081
; %bb.1076:
	s_cmp_gt_i32 s8, 3
	s_cbranch_scc0 .LBB465_1078
; %bb.1077:
	v_trunc_f64_e32 v[2:3], v[0:1]
	s_movk_i32 s6, 0xffe0
	s_waitcnt vmcnt(0)
	v_ldexp_f64 v[6:7], v[2:3], s6
	v_floor_f64_e32 v[6:7], v[6:7]
	v_fmac_f64_e32 v[2:3], 0xc1f00000, v[6:7]
	v_cvt_i32_f64_e32 v9, v[6:7]
	v_cvt_u32_f64_e32 v8, v[2:3]
	s_mov_b64 s[6:7], 0
	global_store_dwordx2 v[4:5], v[8:9], off
.LBB465_1078:
	s_andn2_b64 vcc, exec, s[6:7]
	s_cbranch_vccnz .LBB465_1080
; %bb.1079:
	v_cvt_i32_f64_e32 v2, v[0:1]
	s_waitcnt vmcnt(0)
	global_store_dword v[4:5], v2, off
.LBB465_1080:
	s_mov_b64 s[6:7], 0
.LBB465_1081:
	s_andn2_b64 vcc, exec, s[6:7]
	s_cbranch_vccnz .LBB465_1083
; %bb.1082:
	v_cvt_i32_f64_e32 v2, v[0:1]
	s_waitcnt vmcnt(0)
	global_store_short v[4:5], v2, off
.LBB465_1083:
	s_mov_b64 s[6:7], 0
.LBB465_1084:
	s_andn2_b64 vcc, exec, s[6:7]
	s_cbranch_vccnz .LBB465_1089
; %bb.1085:
	s_sext_i32_i16 s6, s16
	s_cmp_gt_i32 s6, 0
	s_mov_b64 s[6:7], -1
	s_cbranch_scc0 .LBB465_1087
; %bb.1086:
	v_cvt_i32_f64_e32 v2, v[0:1]
	s_mov_b64 s[6:7], 0
	s_waitcnt vmcnt(0)
	global_store_byte v[4:5], v2, off
.LBB465_1087:
	s_andn2_b64 vcc, exec, s[6:7]
	s_cbranch_vccnz .LBB465_1089
; %bb.1088:
	v_trunc_f64_e32 v[0:1], v[0:1]
	s_movk_i32 s6, 0xffe0
	v_ldexp_f64 v[2:3], v[0:1], s6
	v_floor_f64_e32 v[2:3], v[2:3]
	v_fmac_f64_e32 v[0:1], 0xc1f00000, v[2:3]
	v_cvt_u32_f64_e32 v0, v[0:1]
	s_waitcnt vmcnt(0)
	global_store_byte v[4:5], v0, off
.LBB465_1089:
	s_or_b64 exec, exec, s[2:3]
	s_and_b64 s[24:25], s[4:5], exec
                                        ; implicit-def: $vgpr16
                                        ; implicit-def: $vgpr10
.LBB465_1090:
	s_or_saveexec_b64 s[26:27], s[44:45]
	s_mov_b64 s[6:7], 0
                                        ; implicit-def: $vgpr4_vgpr5
                                        ; implicit-def: $sgpr14
                                        ; implicit-def: $vgpr0_vgpr1
	s_xor_b64 exec, exec, s[26:27]
	s_cbranch_execz .LBB465_2094
; %bb.1091:
	v_cndmask_b32_e64 v0, 0, 1, s[42:43]
	v_cmp_ne_u32_e64 s[2:3], 1, v0
	s_andn2_b64 vcc, exec, s[42:43]
	s_cbranch_vccnz .LBB465_1097
; %bb.1092:
	s_cmp_lg_u32 s33, 0
	s_mov_b32 s36, 0
	s_cbranch_scc0 .LBB465_1098
; %bb.1093:
	s_min_u32 s37, s74, 15
	s_add_i32 s37, s37, 1
	s_cmp_eq_u32 s74, 2
	s_cbranch_scc1 .LBB465_1099
; %bb.1094:
	s_and_b32 s36, s37, 28
	s_add_u32 s28, s34, 0xc4
	s_addc_u32 s29, s35, 0
	s_mov_b32 s38, 0
	v_mov_b32_e32 v2, 0
	v_mov_b32_e32 v0, 0
	s_mov_b64 s[30:31], s[34:35]
	s_waitcnt vmcnt(0)
	v_mov_b32_e32 v4, v10
.LBB465_1095:                           ; =>This Inner Loop Header: Depth=1
	s_load_dwordx8 s[12:19], s[30:31], 0x4
	s_load_dwordx4 s[20:23], s[30:31], 0x24
	s_load_dwordx8 s[4:11], s[28:29], 0x0
	s_add_u32 s30, s30, 48
	s_addc_u32 s31, s31, 0
	s_waitcnt lgkmcnt(0)
	v_mul_hi_u32 v1, s13, v4
	v_add_u32_e32 v1, v4, v1
	v_lshrrev_b32_e32 v1, s14, v1
	v_mul_lo_u32 v3, v1, s12
	v_mul_hi_u32 v5, s16, v1
	v_sub_u32_e32 v3, v4, v3
	v_add_u32_e32 v4, v1, v5
	v_lshrrev_b32_e32 v4, s17, v4
	v_mul_lo_u32 v6, v4, s15
	v_mul_hi_u32 v7, s19, v4
	v_sub_u32_e32 v1, v1, v6
	v_add_u32_e32 v6, v4, v7
	v_mul_lo_u32 v5, v3, s5
	v_mul_lo_u32 v3, v3, s4
	;; [unrolled: 1-line block ×4, first 2 shown]
	v_lshrrev_b32_e32 v6, s20, v6
	v_add3_u32 v1, v3, v2, v1
	v_mul_hi_u32 v3, s22, v6
	v_mul_lo_u32 v2, v6, s18
	v_add_u32_e32 v3, v6, v3
	v_sub_u32_e32 v2, v4, v2
	v_lshrrev_b32_e32 v4, s23, v3
	s_add_i32 s38, s38, 4
	v_mul_lo_u32 v3, v4, s21
	s_add_u32 s28, s28, 32
	v_sub_u32_e32 v3, v6, v3
	s_addc_u32 s29, s29, 0
	v_add3_u32 v0, v5, v0, v7
	v_mul_lo_u32 v5, v2, s8
	v_mul_lo_u32 v2, v2, s9
	;; [unrolled: 1-line block ×4, first 2 shown]
	s_cmp_lg_u32 s36, s38
	v_add3_u32 v0, v2, v0, v3
	v_add3_u32 v2, v5, v1, v6
	s_cbranch_scc1 .LBB465_1095
; %bb.1096:
	v_mov_b32_e32 v1, v0
	s_and_b32 s8, s37, 3
	s_cmp_eq_u32 s8, 0
	s_cbranch_scc0 .LBB465_1100
	s_branch .LBB465_1102
.LBB465_1097:
                                        ; implicit-def: $vgpr0
                                        ; implicit-def: $vgpr2
	s_branch .LBB465_1103
.LBB465_1098:
	v_mov_b32_e32 v0, 0
	v_mov_b32_e32 v2, 0
	s_branch .LBB465_1102
.LBB465_1099:
	v_mov_b32_e32 v2, 0
                                        ; implicit-def: $vgpr0
	v_mov_b32_e32 v1, v2
	s_waitcnt vmcnt(0)
	v_mov_b32_e32 v4, v10
	s_and_b32 s8, s37, 3
	s_cmp_eq_u32 s8, 0
	s_cbranch_scc1 .LBB465_1102
.LBB465_1100:
	s_lshl_b32 s4, s36, 3
	s_add_u32 s4, s34, s4
	s_addc_u32 s5, s35, 0
	s_add_u32 s4, s4, 0xc4
	s_addc_u32 s5, s5, 0
	s_mul_i32 s6, s36, 12
	s_add_u32 s6, s34, s6
	s_addc_u32 s7, s35, 0
.LBB465_1101:                           ; =>This Inner Loop Header: Depth=1
	s_load_dwordx2 s[10:11], s[6:7], 0x4
	s_load_dword s9, s[6:7], 0xc
	s_load_dwordx2 s[12:13], s[4:5], 0x0
	v_mov_b32_e32 v0, v1
	s_add_u32 s6, s6, 12
	s_waitcnt lgkmcnt(0)
	v_mul_hi_u32 v1, s11, v4
	v_add_u32_e32 v1, v4, v1
	v_lshrrev_b32_e32 v1, s9, v1
	s_addc_u32 s7, s7, 0
	v_mul_lo_u32 v3, v1, s10
	s_add_u32 s4, s4, 8
	v_sub_u32_e32 v3, v4, v3
	s_addc_u32 s5, s5, 0
	s_add_i32 s8, s8, -1
	v_mov_b32_e32 v4, v1
	v_mad_u64_u32 v[0:1], s[10:11], v3, s13, v[0:1]
	s_cmp_lg_u32 s8, 0
	v_mad_u64_u32 v[2:3], s[10:11], v3, s12, v[2:3]
	v_mov_b32_e32 v1, v0
	s_cbranch_scc1 .LBB465_1101
.LBB465_1102:
	s_cbranch_execnz .LBB465_1105
.LBB465_1103:
	s_load_dwordx4 s[4:7], s[34:35], 0x4
	s_load_dwordx2 s[8:9], s[34:35], 0xc4
	s_cmp_lt_u32 s33, 2
	s_waitcnt lgkmcnt(0)
	v_mul_hi_u32 v0, s5, v10
	v_add_u32_e32 v0, v10, v0
	v_lshrrev_b32_e32 v1, s6, v0
	v_mul_lo_u32 v0, v1, s4
	v_sub_u32_e32 v2, v10, v0
	v_mul_lo_u32 v0, v2, s9
	v_mul_lo_u32 v2, v2, s8
	s_cbranch_scc1 .LBB465_1105
; %bb.1104:
	s_load_dwordx4 s[4:7], s[34:35], 0x10
	s_load_dwordx2 s[8:9], s[34:35], 0xcc
	s_waitcnt lgkmcnt(0)
	v_mul_hi_u32 v3, s5, v1
	v_add_u32_e32 v3, v1, v3
	v_lshrrev_b32_e32 v3, s6, v3
	v_mul_lo_u32 v3, v3, s4
	v_sub_u32_e32 v1, v1, v3
	v_mad_u64_u32 v[2:3], s[4:5], v1, s8, v[2:3]
	v_mad_u64_u32 v[0:1], s[4:5], v1, s9, v[0:1]
.LBB465_1105:
	s_and_b64 vcc, exec, s[2:3]
	v_add_u32_e32 v3, 0x80, v10
	s_cbranch_vccnz .LBB465_1111
; %bb.1106:
	s_cmp_lg_u32 s33, 0
	s_mov_b32 s36, 0
	s_cbranch_scc0 .LBB465_1112
; %bb.1107:
	s_min_u32 s37, s74, 15
	s_add_i32 s37, s37, 1
	s_cmp_eq_u32 s74, 2
	s_cbranch_scc1 .LBB465_1113
; %bb.1108:
	s_and_b32 s36, s37, 28
	s_add_u32 s28, s34, 0xc4
	s_addc_u32 s29, s35, 0
	s_mov_b32 s38, 0
	v_mov_b32_e32 v8, 0
	v_mov_b32_e32 v14, 0
	s_mov_b64 s[30:31], s[34:35]
	s_waitcnt vmcnt(0)
	v_mov_b32_e32 v4, v3
.LBB465_1109:                           ; =>This Inner Loop Header: Depth=1
	s_load_dwordx8 s[12:19], s[30:31], 0x4
	s_load_dwordx4 s[20:23], s[30:31], 0x24
	s_load_dwordx8 s[4:11], s[28:29], 0x0
	s_add_u32 s30, s30, 48
	s_addc_u32 s31, s31, 0
	s_waitcnt lgkmcnt(0)
	v_mul_hi_u32 v1, s13, v4
	v_add_u32_e32 v1, v4, v1
	v_lshrrev_b32_e32 v1, s14, v1
	v_mul_lo_u32 v5, v1, s12
	v_mul_hi_u32 v6, s16, v1
	v_sub_u32_e32 v4, v4, v5
	v_add_u32_e32 v5, v1, v6
	v_lshrrev_b32_e32 v5, s17, v5
	v_mul_lo_u32 v7, v5, s15
	v_mul_hi_u32 v9, s19, v5
	v_sub_u32_e32 v1, v1, v7
	v_add_u32_e32 v7, v5, v9
	v_mul_lo_u32 v6, v4, s5
	v_mul_lo_u32 v4, v4, s4
	;; [unrolled: 1-line block ×4, first 2 shown]
	v_lshrrev_b32_e32 v7, s20, v7
	v_add3_u32 v1, v4, v8, v1
	v_mul_lo_u32 v4, v7, s18
	v_mul_hi_u32 v8, s22, v7
	v_sub_u32_e32 v4, v5, v4
	v_add_u32_e32 v5, v7, v8
	v_add3_u32 v6, v6, v14, v9
	v_mul_lo_u32 v8, v4, s8
	v_mul_lo_u32 v9, v4, s9
	v_lshrrev_b32_e32 v4, s23, v5
	s_add_i32 s38, s38, 4
	v_mul_lo_u32 v5, v4, s21
	s_add_u32 s28, s28, 32
	v_sub_u32_e32 v5, v7, v5
	s_addc_u32 s29, s29, 0
	v_mul_lo_u32 v7, v5, s10
	v_mul_lo_u32 v5, v5, s11
	s_cmp_lg_u32 s36, s38
	v_add3_u32 v14, v9, v6, v5
	v_add3_u32 v8, v8, v1, v7
	s_cbranch_scc1 .LBB465_1109
; %bb.1110:
	v_mov_b32_e32 v1, v14
	s_and_b32 s8, s37, 3
	s_cmp_eq_u32 s8, 0
	s_cbranch_scc0 .LBB465_1114
	s_branch .LBB465_1116
.LBB465_1111:
                                        ; implicit-def: $vgpr14
                                        ; implicit-def: $vgpr8
	s_branch .LBB465_1117
.LBB465_1112:
	v_mov_b32_e32 v14, 0
	v_mov_b32_e32 v8, 0
	s_branch .LBB465_1116
.LBB465_1113:
	v_mov_b32_e32 v8, 0
                                        ; implicit-def: $vgpr14
	v_mov_b32_e32 v1, v8
	s_waitcnt vmcnt(0)
	v_mov_b32_e32 v4, v3
	s_and_b32 s8, s37, 3
	s_cmp_eq_u32 s8, 0
	s_cbranch_scc1 .LBB465_1116
.LBB465_1114:
	s_lshl_b32 s4, s36, 3
	s_add_u32 s4, s34, s4
	s_addc_u32 s5, s35, 0
	s_add_u32 s4, s4, 0xc4
	s_addc_u32 s5, s5, 0
	s_mul_i32 s6, s36, 12
	s_add_u32 s6, s34, s6
	s_addc_u32 s7, s35, 0
.LBB465_1115:                           ; =>This Inner Loop Header: Depth=1
	s_load_dwordx2 s[10:11], s[6:7], 0x4
	s_load_dword s9, s[6:7], 0xc
	s_load_dwordx2 s[12:13], s[4:5], 0x0
	v_mov_b32_e32 v6, v1
	s_add_u32 s6, s6, 12
	s_waitcnt lgkmcnt(0)
	v_mul_hi_u32 v1, s11, v4
	v_add_u32_e32 v1, v4, v1
	v_lshrrev_b32_e32 v1, s9, v1
	s_addc_u32 s7, s7, 0
	v_mul_lo_u32 v5, v1, s10
	s_add_u32 s4, s4, 8
	v_sub_u32_e32 v5, v4, v5
	s_addc_u32 s5, s5, 0
	s_add_i32 s8, s8, -1
	v_mad_u64_u32 v[14:15], s[10:11], v5, s13, v[6:7]
	s_cmp_lg_u32 s8, 0
	v_mov_b32_e32 v4, v1
	v_mad_u64_u32 v[8:9], s[10:11], v5, s12, v[8:9]
	v_mov_b32_e32 v1, v14
	s_cbranch_scc1 .LBB465_1115
.LBB465_1116:
	s_cbranch_execnz .LBB465_1119
.LBB465_1117:
	s_load_dwordx4 s[4:7], s[34:35], 0x4
	s_load_dwordx2 s[8:9], s[34:35], 0xc4
	s_cmp_lt_u32 s33, 2
	s_waitcnt lgkmcnt(0)
	v_mul_hi_u32 v1, s5, v3
	v_add_u32_e32 v1, v3, v1
	v_lshrrev_b32_e32 v1, s6, v1
	s_waitcnt vmcnt(0)
	v_mul_lo_u32 v4, v1, s4
	v_sub_u32_e32 v3, v3, v4
	v_mul_lo_u32 v14, v3, s9
	v_mul_lo_u32 v8, v3, s8
	s_cbranch_scc1 .LBB465_1119
; %bb.1118:
	s_load_dwordx4 s[4:7], s[34:35], 0x10
	s_load_dwordx2 s[8:9], s[34:35], 0xcc
	s_waitcnt lgkmcnt(0)
	v_mul_hi_u32 v3, s5, v1
	v_add_u32_e32 v3, v1, v3
	v_lshrrev_b32_e32 v3, s6, v3
	v_mul_lo_u32 v3, v3, s4
	v_sub_u32_e32 v1, v1, v3
	v_mad_u64_u32 v[8:9], s[4:5], v1, s8, v[8:9]
	v_mad_u64_u32 v[14:15], s[4:5], v1, s9, v[14:15]
.LBB465_1119:
	s_and_b64 vcc, exec, s[2:3]
	v_add_u32_e32 v3, 0x100, v10
	s_cbranch_vccnz .LBB465_1125
; %bb.1120:
	s_cmp_lg_u32 s33, 0
	s_mov_b32 s36, 0
	s_cbranch_scc0 .LBB465_1126
; %bb.1121:
	s_min_u32 s37, s74, 15
	s_add_i32 s37, s37, 1
	s_cmp_eq_u32 s74, 2
	s_cbranch_scc1 .LBB465_1127
; %bb.1122:
	s_and_b32 s36, s37, 28
	s_add_u32 s28, s34, 0xc4
	s_addc_u32 s29, s35, 0
	s_mov_b32 s38, 0
	s_waitcnt vmcnt(0)
	v_mov_b32_e32 v6, 0
	v_mov_b32_e32 v12, 0
	s_mov_b64 s[30:31], s[34:35]
	v_mov_b32_e32 v4, v3
.LBB465_1123:                           ; =>This Inner Loop Header: Depth=1
	s_load_dwordx8 s[12:19], s[30:31], 0x4
	s_load_dwordx4 s[20:23], s[30:31], 0x24
	s_load_dwordx8 s[4:11], s[28:29], 0x0
	s_add_u32 s30, s30, 48
	s_addc_u32 s31, s31, 0
	s_waitcnt lgkmcnt(0)
	v_mul_hi_u32 v1, s13, v4
	v_add_u32_e32 v1, v4, v1
	v_lshrrev_b32_e32 v1, s14, v1
	v_mul_lo_u32 v5, v1, s12
	v_mul_hi_u32 v7, s16, v1
	v_sub_u32_e32 v4, v4, v5
	v_add_u32_e32 v5, v1, v7
	v_lshrrev_b32_e32 v5, s17, v5
	v_mul_lo_u32 v9, v5, s15
	v_mul_hi_u32 v10, s19, v5
	v_sub_u32_e32 v1, v1, v9
	v_add_u32_e32 v9, v5, v10
	v_mul_lo_u32 v7, v4, s5
	v_mul_lo_u32 v4, v4, s4
	;; [unrolled: 1-line block ×4, first 2 shown]
	v_lshrrev_b32_e32 v9, s20, v9
	v_add3_u32 v1, v4, v6, v1
	v_add3_u32 v6, v7, v12, v10
	v_mul_lo_u32 v4, v9, s18
	v_mul_hi_u32 v7, s22, v9
	v_sub_u32_e32 v4, v5, v4
	v_add_u32_e32 v5, v9, v7
	v_mul_lo_u32 v7, v4, s8
	v_mul_lo_u32 v10, v4, s9
	v_lshrrev_b32_e32 v4, s23, v5
	s_add_i32 s38, s38, 4
	v_mul_lo_u32 v5, v4, s21
	s_add_u32 s28, s28, 32
	v_sub_u32_e32 v5, v9, v5
	s_addc_u32 s29, s29, 0
	v_mul_lo_u32 v9, v5, s10
	v_mul_lo_u32 v5, v5, s11
	s_cmp_lg_u32 s36, s38
	v_add3_u32 v12, v10, v6, v5
	v_add3_u32 v6, v7, v1, v9
	s_cbranch_scc1 .LBB465_1123
; %bb.1124:
	v_mov_b32_e32 v1, v12
	s_and_b32 s8, s37, 3
	s_cmp_eq_u32 s8, 0
	s_cbranch_scc0 .LBB465_1128
	s_branch .LBB465_1130
.LBB465_1125:
                                        ; implicit-def: $vgpr12
                                        ; implicit-def: $vgpr6
	s_branch .LBB465_1131
.LBB465_1126:
	v_mov_b32_e32 v12, 0
	s_waitcnt vmcnt(0)
	v_mov_b32_e32 v6, 0
	s_branch .LBB465_1130
.LBB465_1127:
	s_waitcnt vmcnt(0)
	v_mov_b32_e32 v6, 0
                                        ; implicit-def: $vgpr12
	v_mov_b32_e32 v1, v6
	v_mov_b32_e32 v4, v3
	s_and_b32 s8, s37, 3
	s_cmp_eq_u32 s8, 0
	s_cbranch_scc1 .LBB465_1130
.LBB465_1128:
	s_lshl_b32 s4, s36, 3
	s_add_u32 s4, s34, s4
	s_addc_u32 s5, s35, 0
	s_add_u32 s4, s4, 0xc4
	s_addc_u32 s5, s5, 0
	s_mul_i32 s6, s36, 12
	s_add_u32 s6, s34, s6
	s_addc_u32 s7, s35, 0
.LBB465_1129:                           ; =>This Inner Loop Header: Depth=1
	s_load_dwordx2 s[10:11], s[6:7], 0x4
	s_load_dword s9, s[6:7], 0xc
	s_load_dwordx2 s[12:13], s[4:5], 0x0
	v_mov_b32_e32 v10, v1
	s_add_u32 s6, s6, 12
	s_waitcnt lgkmcnt(0)
	v_mul_hi_u32 v1, s11, v4
	v_add_u32_e32 v1, v4, v1
	v_lshrrev_b32_e32 v1, s9, v1
	s_addc_u32 s7, s7, 0
	v_mul_lo_u32 v5, v1, s10
	s_add_u32 s4, s4, 8
	v_sub_u32_e32 v5, v4, v5
	s_addc_u32 s5, s5, 0
	s_add_i32 s8, s8, -1
	v_mad_u64_u32 v[12:13], s[10:11], v5, s13, v[10:11]
	s_cmp_lg_u32 s8, 0
	v_mov_b32_e32 v4, v1
	v_mad_u64_u32 v[6:7], s[10:11], v5, s12, v[6:7]
	v_mov_b32_e32 v1, v12
	s_cbranch_scc1 .LBB465_1129
.LBB465_1130:
	s_cbranch_execnz .LBB465_1133
.LBB465_1131:
	s_load_dwordx4 s[4:7], s[34:35], 0x4
	s_load_dwordx2 s[8:9], s[34:35], 0xc4
	s_cmp_lt_u32 s33, 2
	s_waitcnt lgkmcnt(0)
	v_mul_hi_u32 v1, s5, v3
	v_add_u32_e32 v1, v3, v1
	v_lshrrev_b32_e32 v1, s6, v1
	s_waitcnt vmcnt(0)
	v_mul_lo_u32 v4, v1, s4
	v_sub_u32_e32 v3, v3, v4
	v_mul_lo_u32 v12, v3, s9
	v_mul_lo_u32 v6, v3, s8
	s_cbranch_scc1 .LBB465_1133
; %bb.1132:
	s_load_dwordx4 s[4:7], s[34:35], 0x10
	s_load_dwordx2 s[8:9], s[34:35], 0xcc
	s_waitcnt lgkmcnt(0)
	v_mul_hi_u32 v3, s5, v1
	v_add_u32_e32 v3, v1, v3
	v_lshrrev_b32_e32 v3, s6, v3
	v_mul_lo_u32 v3, v3, s4
	v_sub_u32_e32 v1, v1, v3
	v_mad_u64_u32 v[6:7], s[4:5], v1, s8, v[6:7]
	v_mad_u64_u32 v[12:13], s[4:5], v1, s9, v[12:13]
.LBB465_1133:
	s_and_b64 vcc, exec, s[2:3]
	s_cbranch_vccnz .LBB465_1139
; %bb.1134:
	s_cmp_lg_u32 s33, 0
	s_mov_b32 s30, 0
	s_cbranch_scc0 .LBB465_1140
; %bb.1135:
	s_min_u32 s31, s74, 15
	s_add_i32 s31, s31, 1
	s_cmp_eq_u32 s74, 2
	s_cbranch_scc1 .LBB465_1141
; %bb.1136:
	s_and_b32 s30, s31, 28
	s_add_u32 s2, s34, 0xc4
	s_addc_u32 s3, s35, 0
	s_mov_b32 s36, 0
	s_waitcnt vmcnt(0)
	v_mov_b32_e32 v4, 0
	v_mov_b32_e32 v10, 0
	s_mov_b64 s[28:29], s[34:35]
	v_mov_b32_e32 v3, v16
.LBB465_1137:                           ; =>This Inner Loop Header: Depth=1
	s_load_dwordx8 s[12:19], s[28:29], 0x4
	s_load_dwordx4 s[20:23], s[28:29], 0x24
	s_load_dwordx8 s[4:11], s[2:3], 0x0
	s_add_u32 s28, s28, 48
	s_addc_u32 s29, s29, 0
	s_waitcnt lgkmcnt(0)
	v_mul_hi_u32 v1, s13, v3
	v_add_u32_e32 v1, v3, v1
	v_lshrrev_b32_e32 v1, s14, v1
	v_mul_lo_u32 v5, v1, s12
	v_mul_hi_u32 v7, s16, v1
	v_sub_u32_e32 v3, v3, v5
	v_add_u32_e32 v5, v1, v7
	v_lshrrev_b32_e32 v5, s17, v5
	v_mul_lo_u32 v9, v5, s15
	v_mul_hi_u32 v11, s19, v5
	v_sub_u32_e32 v1, v1, v9
	v_add_u32_e32 v9, v5, v11
	v_mul_lo_u32 v7, v3, s5
	v_mul_lo_u32 v3, v3, s4
	;; [unrolled: 1-line block ×4, first 2 shown]
	v_lshrrev_b32_e32 v9, s20, v9
	v_add3_u32 v1, v3, v4, v1
	v_add3_u32 v4, v7, v10, v11
	v_mul_lo_u32 v3, v9, s18
	v_mul_hi_u32 v7, s22, v9
	v_sub_u32_e32 v3, v5, v3
	v_add_u32_e32 v5, v9, v7
	v_mul_lo_u32 v7, v3, s8
	v_mul_lo_u32 v10, v3, s9
	v_lshrrev_b32_e32 v3, s23, v5
	s_add_i32 s36, s36, 4
	v_mul_lo_u32 v5, v3, s21
	s_add_u32 s2, s2, 32
	v_sub_u32_e32 v5, v9, v5
	s_addc_u32 s3, s3, 0
	v_mul_lo_u32 v9, v5, s10
	v_mul_lo_u32 v5, v5, s11
	s_cmp_lg_u32 s30, s36
	v_add3_u32 v10, v10, v4, v5
	v_add3_u32 v4, v7, v1, v9
	s_cbranch_scc1 .LBB465_1137
; %bb.1138:
	v_mov_b32_e32 v1, v10
	s_and_b32 s6, s31, 3
	s_cmp_eq_u32 s6, 0
	s_cbranch_scc0 .LBB465_1142
	s_branch .LBB465_1144
.LBB465_1139:
                                        ; implicit-def: $vgpr10
                                        ; implicit-def: $vgpr4
	s_branch .LBB465_1145
.LBB465_1140:
	v_mov_b32_e32 v10, 0
	s_waitcnt vmcnt(0)
	v_mov_b32_e32 v4, 0
	s_branch .LBB465_1144
.LBB465_1141:
	s_waitcnt vmcnt(0)
	v_mov_b32_e32 v4, 0
                                        ; implicit-def: $vgpr10
	v_mov_b32_e32 v1, v4
	v_mov_b32_e32 v3, v16
	s_and_b32 s6, s31, 3
	s_cmp_eq_u32 s6, 0
	s_cbranch_scc1 .LBB465_1144
.LBB465_1142:
	s_lshl_b32 s2, s30, 3
	s_add_u32 s2, s34, s2
	s_addc_u32 s3, s35, 0
	s_add_u32 s2, s2, 0xc4
	s_addc_u32 s3, s3, 0
	s_mul_i32 s4, s30, 12
	s_add_u32 s4, s34, s4
	s_addc_u32 s5, s35, 0
.LBB465_1143:                           ; =>This Inner Loop Header: Depth=1
	s_load_dwordx2 s[8:9], s[4:5], 0x4
	s_load_dword s7, s[4:5], 0xc
	s_load_dwordx2 s[10:11], s[2:3], 0x0
	v_mov_b32_e32 v10, v1
	s_add_u32 s4, s4, 12
	s_waitcnt lgkmcnt(0)
	v_mul_hi_u32 v1, s9, v3
	v_add_u32_e32 v1, v3, v1
	v_lshrrev_b32_e32 v1, s7, v1
	s_addc_u32 s5, s5, 0
	v_mul_lo_u32 v5, v1, s8
	s_add_u32 s2, s2, 8
	v_sub_u32_e32 v5, v3, v5
	s_addc_u32 s3, s3, 0
	s_add_i32 s6, s6, -1
	v_mad_u64_u32 v[10:11], s[8:9], v5, s11, v[10:11]
	s_cmp_lg_u32 s6, 0
	v_mov_b32_e32 v3, v1
	v_mad_u64_u32 v[4:5], s[8:9], v5, s10, v[4:5]
	v_mov_b32_e32 v1, v10
	s_cbranch_scc1 .LBB465_1143
.LBB465_1144:
	s_cbranch_execnz .LBB465_1147
.LBB465_1145:
	s_load_dwordx4 s[4:7], s[34:35], 0x4
	s_load_dwordx2 s[2:3], s[34:35], 0xc4
	s_cmp_lt_u32 s33, 2
	s_waitcnt lgkmcnt(0)
	v_mul_hi_u32 v1, s5, v16
	v_add_u32_e32 v1, v16, v1
	v_lshrrev_b32_e32 v1, s6, v1
	v_mul_lo_u32 v3, v1, s4
	v_sub_u32_e32 v3, v16, v3
	v_mul_lo_u32 v10, v3, s3
	s_waitcnt vmcnt(0)
	v_mul_lo_u32 v4, v3, s2
	s_cbranch_scc1 .LBB465_1147
; %bb.1146:
	s_load_dwordx4 s[4:7], s[34:35], 0x10
	s_load_dwordx2 s[2:3], s[34:35], 0xcc
	s_waitcnt lgkmcnt(0)
	v_mul_hi_u32 v3, s5, v1
	v_add_u32_e32 v3, v1, v3
	v_lshrrev_b32_e32 v3, s6, v3
	v_mul_lo_u32 v3, v3, s4
	v_sub_u32_e32 v1, v1, v3
	v_mad_u64_u32 v[4:5], s[4:5], v1, s2, v[4:5]
	v_mad_u64_u32 v[10:11], s[2:3], v1, s3, v[10:11]
.LBB465_1147:
	s_load_dword s14, s[0:1], 0x168
	s_load_dwordx4 s[4:7], s[34:35], 0x148
	v_mov_b32_e32 v1, 0
	s_waitcnt lgkmcnt(0)
	s_bfe_u32 s15, s14, 0x80008
	s_cmp_lt_i32 s15, 11
	v_lshl_add_u64 v[16:17], s[6:7], 0, v[0:1]
	s_cbranch_scc1 .LBB465_1154
; %bb.1148:
	s_and_b32 s16, 0xffff, s15
	s_cmp_gt_i32 s16, 25
	s_mov_b64 s[8:9], 0
	s_cbranch_scc0 .LBB465_1156
; %bb.1149:
	s_cmp_gt_i32 s16, 28
	s_cbranch_scc0 .LBB465_1157
; %bb.1150:
	s_cmp_gt_i32 s16, 43
	;; [unrolled: 3-line block ×3, first 2 shown]
	s_cbranch_scc0 .LBB465_1159
; %bb.1152:
	s_cmp_eq_u32 s16, 46
	s_mov_b64 s[2:3], 0
	s_cbranch_scc0 .LBB465_1162
; %bb.1153:
	global_load_dword v0, v[16:17], off
	s_mov_b64 s[0:1], 0
	s_mov_b64 s[10:11], -1
	s_waitcnt vmcnt(0)
	v_lshlrev_b32_e32 v0, 16, v0
	v_cvt_f64_f32_e32 v[0:1], v0
	s_branch .LBB465_1163
.LBB465_1154:
	s_mov_b64 s[10:11], 0
                                        ; implicit-def: $vgpr0_vgpr1
	s_mov_b64 s[2:3], s[24:25]
	s_cbranch_execnz .LBB465_1226
.LBB465_1155:
	s_andn2_b64 vcc, exec, s[10:11]
	s_cbranch_vccz .LBB465_1271
	s_branch .LBB465_2092
.LBB465_1156:
	s_mov_b64 s[10:11], 0
	s_mov_b64 s[0:1], 0
                                        ; implicit-def: $vgpr0_vgpr1
	s_cbranch_execnz .LBB465_1193
	s_branch .LBB465_1222
.LBB465_1157:
	s_mov_b64 s[2:3], -1
	s_mov_b64 s[10:11], 0
	s_mov_b64 s[0:1], 0
                                        ; implicit-def: $vgpr0_vgpr1
	s_branch .LBB465_1172
.LBB465_1158:
	s_mov_b64 s[10:11], 0
	s_mov_b64 s[0:1], 0
                                        ; implicit-def: $vgpr0_vgpr1
	s_cbranch_execnz .LBB465_1168
	s_branch .LBB465_1171
.LBB465_1159:
	s_mov_b64 s[2:3], -1
	s_mov_b64 s[10:11], 0
	s_mov_b64 s[0:1], 0
                                        ; implicit-def: $vgpr0_vgpr1
	s_branch .LBB465_1163
.LBB465_1160:
	s_andn2_saveexec_b64 s[12:13], s[12:13]
	s_cbranch_execz .LBB465_999
.LBB465_1161:
	s_mov_b32 s14, 0x46000000
	v_add_f32_e64 v3, |v2|, s14
	v_and_b32_e32 v3, 0xff, v3
	v_cmp_ne_u32_e32 vcc, 0, v3
	s_andn2_b64 s[10:11], s[10:11], exec
	s_and_b64 s[14:15], vcc, exec
	s_or_b64 s[10:11], s[10:11], s[14:15]
	s_or_b64 exec, exec, s[12:13]
	v_mov_b32_e32 v6, 0
	s_and_saveexec_b64 s[12:13], s[10:11]
	s_cbranch_execnz .LBB465_1000
	s_branch .LBB465_1001
.LBB465_1162:
	s_mov_b64 s[0:1], -1
                                        ; implicit-def: $vgpr0_vgpr1
	s_mov_b64 s[10:11], 0
.LBB465_1163:
	s_and_b64 vcc, exec, s[2:3]
	s_cbranch_vccz .LBB465_1166
; %bb.1164:
	s_cmp_eq_u32 s16, 44
	s_cbranch_scc0 .LBB465_1167
; %bb.1165:
	global_load_ubyte v3, v[16:17], off
	s_movk_i32 s2, 0xff
	s_waitcnt vmcnt(1)
	v_bfrev_b32_e32 v5, 4
	v_mov_b32_e32 v7, 0x7ff80000
	v_bfrev_b32_e32 v9, 28
	s_mov_b64 s[0:1], 0
	s_mov_b64 s[10:11], -1
	s_waitcnt vmcnt(0)
	v_lshlrev_b32_e32 v0, 23, v3
	v_cvt_f64_f32_e32 v[0:1], v0
	v_cmp_ne_u32_e32 vcc, s2, v3
	s_nop 1
	v_cndmask_b32_e32 v0, v5, v0, vcc
	v_cndmask_b32_e32 v1, v7, v1, vcc
	v_cmp_ne_u32_e32 vcc, 0, v3
	s_nop 1
	v_cndmask_b32_e32 v1, v9, v1, vcc
	v_cndmask_b32_e32 v0, 0, v0, vcc
.LBB465_1166:
	s_branch .LBB465_1171
.LBB465_1167:
	s_mov_b64 s[0:1], -1
                                        ; implicit-def: $vgpr0_vgpr1
	s_branch .LBB465_1171
.LBB465_1168:
	s_cmp_eq_u32 s16, 29
	s_cbranch_scc0 .LBB465_1170
; %bb.1169:
	global_load_dwordx2 v[0:1], v[16:17], off
	s_mov_b64 s[0:1], 0
	s_mov_b64 s[10:11], -1
	s_mov_b64 s[2:3], 0
	s_waitcnt vmcnt(0)
	v_cvt_f64_u32_e32 v[18:19], v1
	v_cvt_f64_u32_e32 v[0:1], v0
	v_ldexp_f64 v[18:19], v[18:19], 32
	v_add_f64 v[0:1], v[18:19], v[0:1]
	s_branch .LBB465_1172
.LBB465_1170:
	s_mov_b64 s[0:1], -1
                                        ; implicit-def: $vgpr0_vgpr1
.LBB465_1171:
	s_mov_b64 s[2:3], 0
.LBB465_1172:
	s_and_b64 vcc, exec, s[2:3]
	s_cbranch_vccz .LBB465_1192
; %bb.1173:
	s_cmp_lt_i32 s16, 27
	s_cbranch_scc1 .LBB465_1176
; %bb.1174:
	s_cmp_gt_i32 s16, 27
	s_cbranch_scc0 .LBB465_1177
; %bb.1175:
	global_load_dword v0, v[16:17], off
	s_mov_b64 s[2:3], 0
	s_waitcnt vmcnt(0)
	v_cvt_f64_u32_e32 v[0:1], v0
	s_branch .LBB465_1178
.LBB465_1176:
	s_mov_b64 s[2:3], -1
                                        ; implicit-def: $vgpr0_vgpr1
	s_branch .LBB465_1181
.LBB465_1177:
	s_mov_b64 s[2:3], -1
                                        ; implicit-def: $vgpr0_vgpr1
.LBB465_1178:
	s_andn2_b64 vcc, exec, s[2:3]
	s_cbranch_vccnz .LBB465_1180
; %bb.1179:
	global_load_ushort v0, v[16:17], off
	s_waitcnt vmcnt(0)
	v_cvt_f64_u32_e32 v[0:1], v0
.LBB465_1180:
	s_mov_b64 s[2:3], 0
.LBB465_1181:
	s_andn2_b64 vcc, exec, s[2:3]
	s_cbranch_vccnz .LBB465_1191
; %bb.1182:
	global_load_ubyte v3, v[16:17], off
	s_movk_i32 s2, 0x7f
	s_waitcnt vmcnt(0)
	v_cmp_lt_i16_e32 vcc, s2, v3
	s_mov_b64 s[2:3], 0
	s_and_saveexec_b64 s[10:11], vcc
	s_xor_b64 s[10:11], exec, s[10:11]
	s_cbranch_execz .LBB465_1186
; %bb.1183:
	s_movk_i32 s2, 0x80
	v_cmp_eq_u16_e32 vcc, s2, v3
	s_mov_b64 s[2:3], -1
	s_and_saveexec_b64 s[12:13], vcc
; %bb.1184:
	s_xor_b64 s[2:3], exec, -1
; %bb.1185:
	s_or_b64 exec, exec, s[12:13]
	s_and_b64 s[2:3], s[2:3], exec
.LBB465_1186:
	s_or_saveexec_b64 s[10:11], s[10:11]
	v_bfrev_b32_e32 v0, 4
	v_mov_b32_e32 v1, 0x7ff80000
	s_xor_b64 exec, exec, s[10:11]
; %bb.1187:
	v_cmp_ne_u16_e32 vcc, 0, v3
	s_andn2_b64 s[2:3], s[2:3], exec
	s_and_b64 s[12:13], vcc, exec
	v_mov_b64_e32 v[0:1], 0
	s_or_b64 s[2:3], s[2:3], s[12:13]
; %bb.1188:
	s_or_b64 exec, exec, s[10:11]
	s_and_saveexec_b64 s[10:11], s[2:3]
	s_cbranch_execz .LBB465_1190
; %bb.1189:
	v_and_b32_e32 v1, 0xffff, v3
	v_lshlrev_b32_e32 v0, 24, v3
	v_and_b32_e32 v3, 7, v1
	v_ffbh_u32_e32 v7, v3
	v_min_u32_e32 v7, 32, v7
	v_subrev_u32_e32 v9, 28, v7
	v_bfe_u32 v5, v1, 3, 4
	v_lshlrev_b32_e32 v1, v9, v1
	v_sub_u32_e32 v7, 29, v7
	v_and_b32_e32 v1, 7, v1
	v_cmp_eq_u32_e32 vcc, 0, v5
	v_and_b32_e32 v0, 0x80000000, v0
	s_nop 0
	v_cndmask_b32_e32 v5, v5, v7, vcc
	v_cndmask_b32_e32 v1, v3, v1, vcc
	v_mov_b32_e32 v3, 0x3b800000
	v_lshlrev_b32_e32 v1, 20, v1
	v_lshl_add_u32 v3, v5, 23, v3
	v_or3_b32 v0, v0, v3, v1
	v_cvt_f64_f32_e32 v[0:1], v0
.LBB465_1190:
	s_or_b64 exec, exec, s[10:11]
.LBB465_1191:
	s_mov_b64 s[10:11], -1
.LBB465_1192:
	s_branch .LBB465_1222
.LBB465_1193:
	s_cmp_gt_i32 s16, 22
	s_cbranch_scc0 .LBB465_1205
; %bb.1194:
	s_cmp_lt_i32 s16, 24
	s_cbranch_scc1 .LBB465_1206
; %bb.1195:
	s_cmp_gt_i32 s16, 24
	s_cbranch_scc0 .LBB465_1207
; %bb.1196:
	global_load_ubyte v3, v[16:17], off
	s_movk_i32 s2, 0x7f
	s_waitcnt vmcnt(0)
	v_cmp_lt_i16_e32 vcc, s2, v3
	s_mov_b64 s[2:3], 0
	s_and_saveexec_b64 s[8:9], vcc
	s_xor_b64 s[8:9], exec, s[8:9]
	s_cbranch_execz .LBB465_1200
; %bb.1197:
	s_movk_i32 s2, 0x80
	v_cmp_eq_u16_e32 vcc, s2, v3
	s_mov_b64 s[2:3], -1
	s_and_saveexec_b64 s[10:11], vcc
; %bb.1198:
	s_xor_b64 s[2:3], exec, -1
; %bb.1199:
	s_or_b64 exec, exec, s[10:11]
	s_and_b64 s[2:3], s[2:3], exec
.LBB465_1200:
	s_or_saveexec_b64 s[8:9], s[8:9]
	v_bfrev_b32_e32 v0, 4
	v_mov_b32_e32 v1, 0x7ff80000
	s_xor_b64 exec, exec, s[8:9]
; %bb.1201:
	v_cmp_ne_u16_e32 vcc, 0, v3
	s_andn2_b64 s[2:3], s[2:3], exec
	s_and_b64 s[10:11], vcc, exec
	v_mov_b64_e32 v[0:1], 0
	s_or_b64 s[2:3], s[2:3], s[10:11]
; %bb.1202:
	s_or_b64 exec, exec, s[8:9]
	s_and_saveexec_b64 s[8:9], s[2:3]
	s_cbranch_execz .LBB465_1204
; %bb.1203:
	v_and_b32_e32 v1, 0xffff, v3
	v_lshlrev_b32_e32 v0, 24, v3
	v_and_b32_e32 v3, 3, v1
	v_ffbh_u32_e32 v7, v3
	v_min_u32_e32 v7, 32, v7
	v_subrev_u32_e32 v9, 29, v7
	v_bfe_u32 v5, v1, 2, 5
	v_lshlrev_b32_e32 v1, v9, v1
	v_sub_u32_e32 v7, 30, v7
	v_and_b32_e32 v1, 3, v1
	v_cmp_eq_u32_e32 vcc, 0, v5
	v_and_b32_e32 v0, 0x80000000, v0
	s_nop 0
	v_cndmask_b32_e32 v5, v5, v7, vcc
	v_cndmask_b32_e32 v1, v3, v1, vcc
	v_mov_b32_e32 v3, 0x37800000
	v_lshlrev_b32_e32 v1, 21, v1
	v_lshl_add_u32 v3, v5, 23, v3
	v_or3_b32 v0, v0, v3, v1
	v_cvt_f64_f32_e32 v[0:1], v0
.LBB465_1204:
	s_or_b64 exec, exec, s[8:9]
	s_mov_b64 s[2:3], 0
	s_branch .LBB465_1208
.LBB465_1205:
                                        ; implicit-def: $vgpr0_vgpr1
	s_mov_b64 s[8:9], 0
	s_branch .LBB465_1214
.LBB465_1206:
	s_mov_b64 s[2:3], -1
                                        ; implicit-def: $vgpr0_vgpr1
	s_branch .LBB465_1211
.LBB465_1207:
	s_mov_b64 s[2:3], -1
                                        ; implicit-def: $vgpr0_vgpr1
.LBB465_1208:
	s_and_b64 vcc, exec, s[2:3]
	s_cbranch_vccz .LBB465_1210
; %bb.1209:
	global_load_ubyte v0, v[16:17], off
	s_mov_b32 s2, 0x7f800000
	s_waitcnt vmcnt(0)
	v_lshlrev_b32_e32 v0, 24, v0
	v_and_b32_e32 v1, 0x7f000000, v0
	v_ffbh_u32_e32 v3, v1
	v_min_u32_e32 v3, 32, v3
	v_sub_u32_e64 v3, v3, 4 clamp
	v_lshlrev_b32_e32 v7, v3, v1
	v_lshlrev_b32_e32 v3, 23, v3
	v_lshrrev_b32_e32 v7, 4, v7
	v_add_u32_e32 v5, 0x1000000, v1
	v_sub_u32_e32 v3, v7, v3
	v_ashrrev_i32_e32 v5, 8, v5
	v_add_u32_e32 v3, 0x3c000000, v3
	v_and_or_b32 v3, v5, s2, v3
	v_cmp_ne_u32_e32 vcc, 0, v1
	s_brev_b32 s2, 1
	s_nop 0
	v_cndmask_b32_e32 v1, 0, v3, vcc
	v_and_or_b32 v0, v0, s2, v1
	v_cvt_f64_f32_e32 v[0:1], v0
.LBB465_1210:
	s_mov_b64 s[2:3], 0
.LBB465_1211:
	s_andn2_b64 vcc, exec, s[2:3]
	s_cbranch_vccnz .LBB465_1213
; %bb.1212:
	global_load_ubyte v0, v[16:17], off
	s_movk_i32 s2, 0x7f00
	s_brev_b32 s3, 16
	s_waitcnt vmcnt(0)
	v_lshlrev_b16_e32 v1, 8, v0
	v_lshlrev_b32_e32 v0, 25, v0
	v_lshrrev_b32_e32 v3, 4, v0
	v_and_or_b32 v5, v1, s2, 0.5
	v_or_b32_e32 v3, 0x70000000, v3
	v_add_f32_e32 v5, -0.5, v5
	v_mul_f32_e32 v3, 0x7800000, v3
	v_cmp_gt_u32_e32 vcc, s3, v0
	v_bfe_i32 v1, v1, 0, 16
	s_brev_b32 s2, 1
	v_cndmask_b32_e32 v0, v3, v5, vcc
	v_and_or_b32 v0, v1, s2, v0
	v_cvt_f64_f32_e32 v[0:1], v0
.LBB465_1213:
	s_mov_b64 s[10:11], -1
	s_mov_b64 s[8:9], 0
	s_cbranch_execnz .LBB465_1222
.LBB465_1214:
	s_cmp_gt_i32 s16, 14
	s_cbranch_scc0 .LBB465_1217
; %bb.1215:
	s_cmp_eq_u32 s16, 15
	s_cbranch_scc0 .LBB465_1218
; %bb.1216:
	global_load_ushort v0, v[16:17], off
	s_mov_b64 s[0:1], 0
	s_mov_b64 s[10:11], -1
	s_waitcnt vmcnt(0)
	v_lshlrev_b32_e32 v0, 16, v0
	v_cvt_f64_f32_e32 v[0:1], v0
	s_branch .LBB465_1219
.LBB465_1217:
	s_mov_b64 s[2:3], -1
                                        ; implicit-def: $vgpr0_vgpr1
	s_branch .LBB465_1220
.LBB465_1218:
	s_mov_b64 s[0:1], -1
                                        ; implicit-def: $vgpr0_vgpr1
.LBB465_1219:
	s_mov_b64 s[2:3], 0
.LBB465_1220:
	s_and_b64 vcc, exec, s[2:3]
	s_cbranch_vccz .LBB465_1222
; %bb.1221:
	s_cmp_lg_u32 s16, 11
	s_mov_b64 s[8:9], -1
	s_cselect_b64 s[0:1], -1, 0
.LBB465_1222:
	s_and_b64 vcc, exec, s[0:1]
	s_mov_b64 s[2:3], s[24:25]
	s_cbranch_vccnz .LBB465_1283
; %bb.1223:
	s_andn2_b64 vcc, exec, s[8:9]
	s_cbranch_vccnz .LBB465_1225
.LBB465_1224:
	global_load_ubyte v1, v[16:17], off
	v_mov_b32_e32 v3, 0x3ff00000
	v_mov_b32_e32 v0, 0
	s_mov_b64 s[10:11], -1
	s_waitcnt vmcnt(0)
	v_cmp_ne_u16_e32 vcc, 0, v1
	s_nop 1
	v_cndmask_b32_e32 v1, 0, v3, vcc
.LBB465_1225:
	s_branch .LBB465_1155
.LBB465_1226:
	s_and_b32 s8, 0xffff, s15
	s_cmp_lt_i32 s8, 5
	s_cbranch_scc1 .LBB465_1231
; %bb.1227:
	s_cmp_lt_i32 s8, 8
	s_cbranch_scc1 .LBB465_1232
; %bb.1228:
	;; [unrolled: 3-line block ×3, first 2 shown]
	s_cmp_gt_i32 s8, 9
	s_cbranch_scc0 .LBB465_1234
; %bb.1230:
	global_load_dwordx2 v[0:1], v[16:17], off
	s_mov_b64 s[0:1], 0
	s_branch .LBB465_1235
.LBB465_1231:
                                        ; implicit-def: $vgpr0_vgpr1
	s_branch .LBB465_1252
.LBB465_1232:
                                        ; implicit-def: $vgpr0_vgpr1
	s_branch .LBB465_1241
.LBB465_1233:
	s_mov_b64 s[0:1], -1
                                        ; implicit-def: $vgpr0_vgpr1
	s_branch .LBB465_1238
.LBB465_1234:
	s_mov_b64 s[0:1], -1
                                        ; implicit-def: $vgpr0_vgpr1
.LBB465_1235:
	s_andn2_b64 vcc, exec, s[0:1]
	s_cbranch_vccnz .LBB465_1237
; %bb.1236:
	global_load_dword v0, v[16:17], off
	s_waitcnt vmcnt(0)
	v_cvt_f64_f32_e32 v[0:1], v0
.LBB465_1237:
	s_mov_b64 s[0:1], 0
.LBB465_1238:
	s_andn2_b64 vcc, exec, s[0:1]
	s_cbranch_vccnz .LBB465_1240
; %bb.1239:
	global_load_dword v0, v[16:17], off
	s_waitcnt vmcnt(0)
	v_cvt_f32_f16_e32 v0, v0
	v_cvt_f64_f32_e32 v[0:1], v0
.LBB465_1240:
	s_cbranch_execnz .LBB465_1251
.LBB465_1241:
	s_cmp_lt_i32 s8, 6
	s_cbranch_scc1 .LBB465_1244
; %bb.1242:
	s_cmp_gt_i32 s8, 6
	s_cbranch_scc0 .LBB465_1245
; %bb.1243:
	global_load_dwordx2 v[0:1], v[16:17], off
	s_mov_b64 s[0:1], 0
	s_branch .LBB465_1246
.LBB465_1244:
	s_mov_b64 s[0:1], -1
                                        ; implicit-def: $vgpr0_vgpr1
	s_branch .LBB465_1249
.LBB465_1245:
	s_mov_b64 s[0:1], -1
                                        ; implicit-def: $vgpr0_vgpr1
.LBB465_1246:
	s_andn2_b64 vcc, exec, s[0:1]
	s_cbranch_vccnz .LBB465_1248
; %bb.1247:
	global_load_dword v0, v[16:17], off
	s_waitcnt vmcnt(0)
	v_cvt_f64_f32_e32 v[0:1], v0
.LBB465_1248:
	s_mov_b64 s[0:1], 0
.LBB465_1249:
	s_andn2_b64 vcc, exec, s[0:1]
	s_cbranch_vccnz .LBB465_1251
; %bb.1250:
	global_load_ushort v0, v[16:17], off
	s_waitcnt vmcnt(0)
	v_cvt_f32_f16_e32 v0, v0
	v_cvt_f64_f32_e32 v[0:1], v0
.LBB465_1251:
	s_cbranch_execnz .LBB465_1270
.LBB465_1252:
	s_cmp_lt_i32 s8, 2
	s_cbranch_scc1 .LBB465_1256
; %bb.1253:
	s_cmp_lt_i32 s8, 3
	s_cbranch_scc1 .LBB465_1257
; %bb.1254:
	s_cmp_gt_i32 s8, 3
	s_cbranch_scc0 .LBB465_1258
; %bb.1255:
	global_load_dwordx2 v[0:1], v[16:17], off
	s_mov_b64 s[0:1], 0
	s_waitcnt vmcnt(0)
	v_cvt_f64_i32_e32 v[18:19], v1
	v_cvt_f64_u32_e32 v[0:1], v0
	v_ldexp_f64 v[18:19], v[18:19], 32
	v_add_f64 v[0:1], v[18:19], v[0:1]
	s_branch .LBB465_1259
.LBB465_1256:
                                        ; implicit-def: $vgpr0_vgpr1
	s_branch .LBB465_1265
.LBB465_1257:
	s_mov_b64 s[0:1], -1
                                        ; implicit-def: $vgpr0_vgpr1
	s_branch .LBB465_1262
.LBB465_1258:
	s_mov_b64 s[0:1], -1
                                        ; implicit-def: $vgpr0_vgpr1
.LBB465_1259:
	s_andn2_b64 vcc, exec, s[0:1]
	s_cbranch_vccnz .LBB465_1261
; %bb.1260:
	global_load_dword v0, v[16:17], off
	s_waitcnt vmcnt(0)
	v_cvt_f64_i32_e32 v[0:1], v0
.LBB465_1261:
	s_mov_b64 s[0:1], 0
.LBB465_1262:
	s_andn2_b64 vcc, exec, s[0:1]
	s_cbranch_vccnz .LBB465_1264
; %bb.1263:
	global_load_sshort v0, v[16:17], off
	s_waitcnt vmcnt(0)
	v_cvt_f64_i32_e32 v[0:1], v0
.LBB465_1264:
	s_cbranch_execnz .LBB465_1270
.LBB465_1265:
	s_cmp_gt_i32 s8, 0
	s_cbranch_scc0 .LBB465_1267
; %bb.1266:
	global_load_sbyte v0, v[16:17], off
	s_mov_b64 s[0:1], 0
	s_waitcnt vmcnt(0)
	v_cvt_f64_i32_e32 v[0:1], v0
	s_branch .LBB465_1268
.LBB465_1267:
	s_mov_b64 s[0:1], -1
                                        ; implicit-def: $vgpr0_vgpr1
.LBB465_1268:
	s_andn2_b64 vcc, exec, s[0:1]
	s_cbranch_vccnz .LBB465_1270
; %bb.1269:
	global_load_ubyte v0, v[16:17], off
	s_waitcnt vmcnt(0)
	v_cvt_f64_u32_e32 v[0:1], v0
.LBB465_1270:
.LBB465_1271:
	s_lshr_b32 s0, s14, 8
	v_mov_b32_e32 v15, 0
	s_and_b32 s16, s0, 0xff
	s_cmp_lt_i32 s16, 11
	v_lshl_add_u64 v[16:17], s[6:7], 0, v[14:15]
	s_cbranch_scc1 .LBB465_1278
; %bb.1272:
	s_and_b32 s17, 0xffff, s16
	s_cmp_gt_i32 s17, 25
	s_mov_b64 s[8:9], 0
	s_cbranch_scc0 .LBB465_1280
; %bb.1273:
	s_cmp_gt_i32 s17, 28
	s_cbranch_scc0 .LBB465_1281
; %bb.1274:
	s_cmp_gt_i32 s17, 43
	;; [unrolled: 3-line block ×3, first 2 shown]
	s_cbranch_scc0 .LBB465_1284
; %bb.1276:
	s_cmp_eq_u32 s17, 46
	s_mov_b64 s[12:13], 0
	s_cbranch_scc0 .LBB465_1287
; %bb.1277:
	global_load_dword v3, v[16:17], off
	s_mov_b64 s[0:1], 0
	s_mov_b64 s[10:11], -1
	s_waitcnt vmcnt(0)
	v_lshlrev_b32_e32 v3, 16, v3
	v_cvt_f64_f32_e32 v[14:15], v3
	s_branch .LBB465_1288
.LBB465_1278:
	s_mov_b64 s[10:11], 0
                                        ; implicit-def: $vgpr14_vgpr15
	s_cbranch_execnz .LBB465_1353
.LBB465_1279:
	s_andn2_b64 vcc, exec, s[10:11]
	s_cbranch_vccnz .LBB465_2092
	s_branch .LBB465_1400
.LBB465_1280:
	s_mov_b64 s[10:11], 0
	s_mov_b64 s[0:1], 0
                                        ; implicit-def: $vgpr14_vgpr15
	s_cbranch_execnz .LBB465_1319
	s_branch .LBB465_1349
.LBB465_1281:
	s_mov_b64 s[12:13], -1
	s_mov_b64 s[10:11], 0
	s_mov_b64 s[0:1], 0
                                        ; implicit-def: $vgpr14_vgpr15
	s_branch .LBB465_1298
.LBB465_1282:
	s_mov_b64 s[12:13], -1
	s_mov_b64 s[10:11], 0
	s_mov_b64 s[0:1], 0
                                        ; implicit-def: $vgpr14_vgpr15
	s_branch .LBB465_1293
.LBB465_1283:
	s_or_b64 s[2:3], s[24:25], exec
	s_trap 2
	s_cbranch_execz .LBB465_1224
	s_branch .LBB465_1225
.LBB465_1284:
	s_mov_b64 s[12:13], -1
	s_mov_b64 s[10:11], 0
	s_mov_b64 s[0:1], 0
                                        ; implicit-def: $vgpr14_vgpr15
	s_branch .LBB465_1288
.LBB465_1285:
	s_andn2_saveexec_b64 s[14:15], s[14:15]
	s_cbranch_execz .LBB465_1011
.LBB465_1286:
	s_mov_b32 s18, 0x42800000
	v_add_f32_e64 v3, |v2|, s18
	v_and_b32_e32 v3, 0xff, v3
	v_cmp_ne_u32_e32 vcc, 0, v3
	s_andn2_b64 s[12:13], s[12:13], exec
	s_and_b64 s[18:19], vcc, exec
	s_or_b64 s[12:13], s[12:13], s[18:19]
	s_or_b64 exec, exec, s[14:15]
	v_mov_b32_e32 v6, 0
	s_and_saveexec_b64 s[14:15], s[12:13]
	s_cbranch_execnz .LBB465_1012
	s_branch .LBB465_1013
.LBB465_1287:
	s_mov_b64 s[0:1], -1
                                        ; implicit-def: $vgpr14_vgpr15
	s_mov_b64 s[10:11], 0
.LBB465_1288:
	s_and_b64 vcc, exec, s[12:13]
	s_cbranch_vccz .LBB465_1292
; %bb.1289:
	s_cmp_eq_u32 s17, 44
	s_cbranch_scc0 .LBB465_1291
; %bb.1290:
	global_load_ubyte v3, v[16:17], off
	s_movk_i32 s10, 0xff
	s_waitcnt vmcnt(1)
	v_bfrev_b32_e32 v5, 4
	v_mov_b32_e32 v7, 0x7ff80000
	v_bfrev_b32_e32 v9, 28
	s_mov_b64 s[0:1], 0
	s_waitcnt vmcnt(0)
	v_lshlrev_b32_e32 v11, 23, v3
	v_cvt_f64_f32_e32 v[14:15], v11
	v_cmp_ne_u32_e32 vcc, s10, v3
	s_mov_b64 s[10:11], -1
	s_nop 0
	v_cndmask_b32_e32 v5, v5, v14, vcc
	v_cndmask_b32_e32 v7, v7, v15, vcc
	v_cmp_ne_u32_e32 vcc, 0, v3
	s_nop 1
	v_cndmask_b32_e32 v15, v9, v7, vcc
	v_cndmask_b32_e32 v14, 0, v5, vcc
	s_branch .LBB465_1292
.LBB465_1291:
	s_mov_b64 s[0:1], -1
                                        ; implicit-def: $vgpr14_vgpr15
.LBB465_1292:
	s_mov_b64 s[12:13], 0
.LBB465_1293:
	s_and_b64 vcc, exec, s[12:13]
	s_cbranch_vccz .LBB465_1297
; %bb.1294:
	s_cmp_eq_u32 s17, 29
	s_cbranch_scc0 .LBB465_1296
; %bb.1295:
	global_load_dwordx2 v[14:15], v[16:17], off
	s_mov_b64 s[0:1], 0
	s_mov_b64 s[10:11], -1
	s_mov_b64 s[12:13], 0
	s_waitcnt vmcnt(0)
	v_cvt_f64_u32_e32 v[18:19], v15
	v_cvt_f64_u32_e32 v[14:15], v14
	v_ldexp_f64 v[18:19], v[18:19], 32
	v_add_f64 v[14:15], v[18:19], v[14:15]
	s_branch .LBB465_1298
.LBB465_1296:
	s_mov_b64 s[0:1], -1
                                        ; implicit-def: $vgpr14_vgpr15
.LBB465_1297:
	s_mov_b64 s[12:13], 0
.LBB465_1298:
	s_and_b64 vcc, exec, s[12:13]
	s_cbranch_vccz .LBB465_1318
; %bb.1299:
	s_cmp_lt_i32 s17, 27
	s_cbranch_scc1 .LBB465_1302
; %bb.1300:
	s_cmp_gt_i32 s17, 27
	s_cbranch_scc0 .LBB465_1303
; %bb.1301:
	global_load_dword v3, v[16:17], off
	s_mov_b64 s[10:11], 0
	s_waitcnt vmcnt(0)
	v_cvt_f64_u32_e32 v[14:15], v3
	s_branch .LBB465_1304
.LBB465_1302:
	s_mov_b64 s[10:11], -1
                                        ; implicit-def: $vgpr14_vgpr15
	s_branch .LBB465_1307
.LBB465_1303:
	s_mov_b64 s[10:11], -1
                                        ; implicit-def: $vgpr14_vgpr15
.LBB465_1304:
	s_andn2_b64 vcc, exec, s[10:11]
	s_cbranch_vccnz .LBB465_1306
; %bb.1305:
	global_load_ushort v3, v[16:17], off
	s_waitcnt vmcnt(0)
	v_cvt_f64_u32_e32 v[14:15], v3
.LBB465_1306:
	s_mov_b64 s[10:11], 0
.LBB465_1307:
	s_andn2_b64 vcc, exec, s[10:11]
	s_cbranch_vccnz .LBB465_1317
; %bb.1308:
	global_load_ubyte v3, v[16:17], off
	s_movk_i32 s10, 0x7f
	s_waitcnt vmcnt(0)
	v_cmp_lt_i16_e32 vcc, s10, v3
	s_mov_b64 s[10:11], 0
	s_and_saveexec_b64 s[12:13], vcc
	s_xor_b64 s[12:13], exec, s[12:13]
	s_cbranch_execz .LBB465_1312
; %bb.1309:
	s_movk_i32 s10, 0x80
	v_cmp_eq_u16_e32 vcc, s10, v3
	s_mov_b64 s[10:11], -1
	s_and_saveexec_b64 s[14:15], vcc
; %bb.1310:
	s_xor_b64 s[10:11], exec, -1
; %bb.1311:
	s_or_b64 exec, exec, s[14:15]
	s_and_b64 s[10:11], s[10:11], exec
.LBB465_1312:
	s_or_saveexec_b64 s[12:13], s[12:13]
	v_bfrev_b32_e32 v14, 4
	v_mov_b32_e32 v15, 0x7ff80000
	s_xor_b64 exec, exec, s[12:13]
; %bb.1313:
	v_cmp_ne_u16_e32 vcc, 0, v3
	s_andn2_b64 s[10:11], s[10:11], exec
	s_and_b64 s[14:15], vcc, exec
	v_mov_b64_e32 v[14:15], 0
	s_or_b64 s[10:11], s[10:11], s[14:15]
; %bb.1314:
	s_or_b64 exec, exec, s[12:13]
	s_and_saveexec_b64 s[12:13], s[10:11]
	s_cbranch_execz .LBB465_1316
; %bb.1315:
	v_lshlrev_b32_e32 v5, 24, v3
	v_and_b32_e32 v3, 0xffff, v3
	v_and_b32_e32 v7, 7, v3
	v_ffbh_u32_e32 v11, v7
	v_min_u32_e32 v11, 32, v11
	v_subrev_u32_e32 v13, 28, v11
	v_bfe_u32 v9, v3, 3, 4
	v_lshlrev_b32_e32 v3, v13, v3
	v_sub_u32_e32 v11, 29, v11
	v_and_b32_e32 v3, 7, v3
	v_cmp_eq_u32_e32 vcc, 0, v9
	v_and_b32_e32 v5, 0x80000000, v5
	s_nop 0
	v_cndmask_b32_e32 v9, v9, v11, vcc
	v_cndmask_b32_e32 v3, v7, v3, vcc
	v_mov_b32_e32 v7, 0x3b800000
	v_lshlrev_b32_e32 v3, 20, v3
	v_lshl_add_u32 v7, v9, 23, v7
	v_or3_b32 v3, v5, v7, v3
	v_cvt_f64_f32_e32 v[14:15], v3
.LBB465_1316:
	s_or_b64 exec, exec, s[12:13]
.LBB465_1317:
	s_mov_b64 s[10:11], -1
.LBB465_1318:
	s_branch .LBB465_1349
.LBB465_1319:
	s_cmp_gt_i32 s17, 22
	s_cbranch_scc0 .LBB465_1331
; %bb.1320:
	s_cmp_lt_i32 s17, 24
	s_cbranch_scc1 .LBB465_1332
; %bb.1321:
	s_cmp_gt_i32 s17, 24
	s_cbranch_scc0 .LBB465_1333
; %bb.1322:
	global_load_ubyte v3, v[16:17], off
	s_movk_i32 s8, 0x7f
	s_waitcnt vmcnt(0)
	v_cmp_lt_i16_e32 vcc, s8, v3
	s_mov_b64 s[8:9], 0
	s_and_saveexec_b64 s[10:11], vcc
	s_xor_b64 s[10:11], exec, s[10:11]
	s_cbranch_execz .LBB465_1326
; %bb.1323:
	s_movk_i32 s8, 0x80
	v_cmp_eq_u16_e32 vcc, s8, v3
	s_mov_b64 s[8:9], -1
	s_and_saveexec_b64 s[12:13], vcc
; %bb.1324:
	s_xor_b64 s[8:9], exec, -1
; %bb.1325:
	s_or_b64 exec, exec, s[12:13]
	s_and_b64 s[8:9], s[8:9], exec
.LBB465_1326:
	s_or_saveexec_b64 s[10:11], s[10:11]
	v_bfrev_b32_e32 v14, 4
	v_mov_b32_e32 v15, 0x7ff80000
	s_xor_b64 exec, exec, s[10:11]
; %bb.1327:
	v_cmp_ne_u16_e32 vcc, 0, v3
	s_andn2_b64 s[8:9], s[8:9], exec
	s_and_b64 s[12:13], vcc, exec
	v_mov_b64_e32 v[14:15], 0
	s_or_b64 s[8:9], s[8:9], s[12:13]
; %bb.1328:
	s_or_b64 exec, exec, s[10:11]
	s_and_saveexec_b64 s[10:11], s[8:9]
	s_cbranch_execz .LBB465_1330
; %bb.1329:
	v_lshlrev_b32_e32 v5, 24, v3
	v_and_b32_e32 v3, 0xffff, v3
	v_and_b32_e32 v7, 3, v3
	v_ffbh_u32_e32 v11, v7
	v_min_u32_e32 v11, 32, v11
	v_subrev_u32_e32 v13, 29, v11
	v_bfe_u32 v9, v3, 2, 5
	v_lshlrev_b32_e32 v3, v13, v3
	v_sub_u32_e32 v11, 30, v11
	v_and_b32_e32 v3, 3, v3
	v_cmp_eq_u32_e32 vcc, 0, v9
	v_and_b32_e32 v5, 0x80000000, v5
	s_nop 0
	v_cndmask_b32_e32 v9, v9, v11, vcc
	v_cndmask_b32_e32 v3, v7, v3, vcc
	v_mov_b32_e32 v7, 0x37800000
	v_lshlrev_b32_e32 v3, 21, v3
	v_lshl_add_u32 v7, v9, 23, v7
	v_or3_b32 v3, v5, v7, v3
	v_cvt_f64_f32_e32 v[14:15], v3
.LBB465_1330:
	s_or_b64 exec, exec, s[10:11]
	s_mov_b64 s[8:9], 0
	s_branch .LBB465_1334
.LBB465_1331:
	s_mov_b64 s[8:9], -1
                                        ; implicit-def: $vgpr14_vgpr15
	s_branch .LBB465_1340
.LBB465_1332:
	s_mov_b64 s[8:9], -1
                                        ; implicit-def: $vgpr14_vgpr15
	s_branch .LBB465_1337
.LBB465_1333:
	s_mov_b64 s[8:9], -1
                                        ; implicit-def: $vgpr14_vgpr15
.LBB465_1334:
	s_and_b64 vcc, exec, s[8:9]
	s_cbranch_vccz .LBB465_1336
; %bb.1335:
	global_load_ubyte v3, v[16:17], off
	s_mov_b32 s8, 0x7f800000
	s_waitcnt vmcnt(0)
	v_lshlrev_b32_e32 v3, 24, v3
	v_and_b32_e32 v5, 0x7f000000, v3
	v_ffbh_u32_e32 v7, v5
	v_min_u32_e32 v7, 32, v7
	v_sub_u32_e64 v7, v7, 4 clamp
	v_lshlrev_b32_e32 v11, v7, v5
	v_lshlrev_b32_e32 v7, 23, v7
	v_lshrrev_b32_e32 v11, 4, v11
	v_add_u32_e32 v9, 0x1000000, v5
	v_sub_u32_e32 v7, v11, v7
	v_ashrrev_i32_e32 v9, 8, v9
	v_add_u32_e32 v7, 0x3c000000, v7
	v_and_or_b32 v7, v9, s8, v7
	v_cmp_ne_u32_e32 vcc, 0, v5
	s_brev_b32 s8, 1
	s_nop 0
	v_cndmask_b32_e32 v5, 0, v7, vcc
	v_and_or_b32 v3, v3, s8, v5
	v_cvt_f64_f32_e32 v[14:15], v3
.LBB465_1336:
	s_mov_b64 s[8:9], 0
.LBB465_1337:
	s_andn2_b64 vcc, exec, s[8:9]
	s_cbranch_vccnz .LBB465_1339
; %bb.1338:
	global_load_ubyte v3, v[16:17], off
	s_movk_i32 s8, 0x7f00
	s_brev_b32 s9, 16
	s_waitcnt vmcnt(0)
	v_lshlrev_b16_e32 v5, 8, v3
	v_lshlrev_b32_e32 v3, 25, v3
	v_lshrrev_b32_e32 v7, 4, v3
	v_and_or_b32 v9, v5, s8, 0.5
	v_or_b32_e32 v7, 0x70000000, v7
	v_add_f32_e32 v9, -0.5, v9
	v_mul_f32_e32 v7, 0x7800000, v7
	v_cmp_gt_u32_e32 vcc, s9, v3
	v_bfe_i32 v5, v5, 0, 16
	s_brev_b32 s8, 1
	v_cndmask_b32_e32 v3, v7, v9, vcc
	v_and_or_b32 v3, v5, s8, v3
	v_cvt_f64_f32_e32 v[14:15], v3
.LBB465_1339:
	s_mov_b64 s[8:9], 0
	s_mov_b64 s[10:11], -1
.LBB465_1340:
	s_andn2_b64 vcc, exec, s[8:9]
	s_mov_b64 s[8:9], 0
	s_cbranch_vccnz .LBB465_1349
; %bb.1341:
	s_cmp_gt_i32 s17, 14
	s_cbranch_scc0 .LBB465_1344
; %bb.1342:
	s_cmp_eq_u32 s17, 15
	s_cbranch_scc0 .LBB465_1345
; %bb.1343:
	global_load_ushort v3, v[16:17], off
	s_mov_b64 s[0:1], 0
	s_mov_b64 s[10:11], -1
	s_waitcnt vmcnt(0)
	v_lshlrev_b32_e32 v3, 16, v3
	v_cvt_f64_f32_e32 v[14:15], v3
	s_branch .LBB465_1346
.LBB465_1344:
	s_mov_b64 s[12:13], -1
                                        ; implicit-def: $vgpr14_vgpr15
	s_branch .LBB465_1347
.LBB465_1345:
	s_mov_b64 s[0:1], -1
                                        ; implicit-def: $vgpr14_vgpr15
.LBB465_1346:
	s_mov_b64 s[12:13], 0
.LBB465_1347:
	s_and_b64 vcc, exec, s[12:13]
	s_cbranch_vccz .LBB465_1349
; %bb.1348:
	s_cmp_lg_u32 s17, 11
	s_mov_b64 s[8:9], -1
	s_cselect_b64 s[0:1], -1, 0
.LBB465_1349:
	s_and_b64 vcc, exec, s[0:1]
	s_cbranch_vccnz .LBB465_1412
; %bb.1350:
	s_andn2_b64 vcc, exec, s[8:9]
	s_cbranch_vccnz .LBB465_1352
.LBB465_1351:
	global_load_ubyte v3, v[16:17], off
	s_waitcnt vmcnt(1)
	v_mov_b32_e32 v5, 0x3ff00000
	v_mov_b32_e32 v14, 0
	s_mov_b64 s[10:11], -1
	s_waitcnt vmcnt(0)
	v_cmp_ne_u16_e32 vcc, 0, v3
	s_nop 1
	v_cndmask_b32_e32 v15, 0, v5, vcc
.LBB465_1352:
	s_branch .LBB465_1279
.LBB465_1353:
	s_and_b32 s8, 0xffff, s16
	s_cmp_lt_i32 s8, 5
	s_cbranch_scc1 .LBB465_1358
; %bb.1354:
	s_cmp_lt_i32 s8, 8
	s_cbranch_scc1 .LBB465_1359
; %bb.1355:
	;; [unrolled: 3-line block ×3, first 2 shown]
	s_cmp_gt_i32 s8, 9
	s_cbranch_scc0 .LBB465_1361
; %bb.1357:
	global_load_dwordx2 v[14:15], v[16:17], off
	s_mov_b64 s[0:1], 0
	s_branch .LBB465_1362
.LBB465_1358:
                                        ; implicit-def: $vgpr14_vgpr15
	s_branch .LBB465_1380
.LBB465_1359:
	s_mov_b64 s[0:1], -1
                                        ; implicit-def: $vgpr14_vgpr15
	s_branch .LBB465_1368
.LBB465_1360:
	s_mov_b64 s[0:1], -1
                                        ; implicit-def: $vgpr14_vgpr15
	s_branch .LBB465_1365
.LBB465_1361:
	s_mov_b64 s[0:1], -1
                                        ; implicit-def: $vgpr14_vgpr15
.LBB465_1362:
	s_andn2_b64 vcc, exec, s[0:1]
	s_cbranch_vccnz .LBB465_1364
; %bb.1363:
	global_load_dword v3, v[16:17], off
	s_waitcnt vmcnt(0)
	v_cvt_f64_f32_e32 v[14:15], v3
.LBB465_1364:
	s_mov_b64 s[0:1], 0
.LBB465_1365:
	s_andn2_b64 vcc, exec, s[0:1]
	s_cbranch_vccnz .LBB465_1367
; %bb.1366:
	global_load_dword v3, v[16:17], off
	s_waitcnt vmcnt(0)
	v_cvt_f32_f16_e32 v3, v3
	v_cvt_f64_f32_e32 v[14:15], v3
.LBB465_1367:
	s_mov_b64 s[0:1], 0
.LBB465_1368:
	s_andn2_b64 vcc, exec, s[0:1]
	s_cbranch_vccnz .LBB465_1379
; %bb.1369:
	s_cmp_lt_i32 s8, 6
	s_cbranch_scc1 .LBB465_1372
; %bb.1370:
	s_cmp_gt_i32 s8, 6
	s_cbranch_scc0 .LBB465_1373
; %bb.1371:
	global_load_dwordx2 v[14:15], v[16:17], off
	s_mov_b64 s[0:1], 0
	s_branch .LBB465_1374
.LBB465_1372:
	s_mov_b64 s[0:1], -1
                                        ; implicit-def: $vgpr14_vgpr15
	s_branch .LBB465_1377
.LBB465_1373:
	s_mov_b64 s[0:1], -1
                                        ; implicit-def: $vgpr14_vgpr15
.LBB465_1374:
	s_andn2_b64 vcc, exec, s[0:1]
	s_cbranch_vccnz .LBB465_1376
; %bb.1375:
	global_load_dword v3, v[16:17], off
	s_waitcnt vmcnt(0)
	v_cvt_f64_f32_e32 v[14:15], v3
.LBB465_1376:
	s_mov_b64 s[0:1], 0
.LBB465_1377:
	s_andn2_b64 vcc, exec, s[0:1]
	s_cbranch_vccnz .LBB465_1379
; %bb.1378:
	global_load_ushort v3, v[16:17], off
	s_waitcnt vmcnt(0)
	v_cvt_f32_f16_e32 v3, v3
	v_cvt_f64_f32_e32 v[14:15], v3
.LBB465_1379:
	s_cbranch_execnz .LBB465_1399
.LBB465_1380:
	s_cmp_lt_i32 s8, 2
	s_cbranch_scc1 .LBB465_1384
; %bb.1381:
	s_cmp_lt_i32 s8, 3
	s_cbranch_scc1 .LBB465_1385
; %bb.1382:
	s_cmp_gt_i32 s8, 3
	s_cbranch_scc0 .LBB465_1386
; %bb.1383:
	global_load_dwordx2 v[14:15], v[16:17], off
	s_mov_b64 s[0:1], 0
	s_waitcnt vmcnt(0)
	v_cvt_f64_i32_e32 v[18:19], v15
	v_cvt_f64_u32_e32 v[14:15], v14
	v_ldexp_f64 v[18:19], v[18:19], 32
	v_add_f64 v[14:15], v[18:19], v[14:15]
	s_branch .LBB465_1387
.LBB465_1384:
	s_mov_b64 s[0:1], -1
                                        ; implicit-def: $vgpr14_vgpr15
	s_branch .LBB465_1393
.LBB465_1385:
	s_mov_b64 s[0:1], -1
                                        ; implicit-def: $vgpr14_vgpr15
	s_branch .LBB465_1390
.LBB465_1386:
	s_mov_b64 s[0:1], -1
                                        ; implicit-def: $vgpr14_vgpr15
.LBB465_1387:
	s_andn2_b64 vcc, exec, s[0:1]
	s_cbranch_vccnz .LBB465_1389
; %bb.1388:
	global_load_dword v3, v[16:17], off
	s_waitcnt vmcnt(0)
	v_cvt_f64_i32_e32 v[14:15], v3
.LBB465_1389:
	s_mov_b64 s[0:1], 0
.LBB465_1390:
	s_andn2_b64 vcc, exec, s[0:1]
	s_cbranch_vccnz .LBB465_1392
; %bb.1391:
	global_load_sshort v3, v[16:17], off
	s_waitcnt vmcnt(0)
	v_cvt_f64_i32_e32 v[14:15], v3
.LBB465_1392:
	s_mov_b64 s[0:1], 0
.LBB465_1393:
	s_andn2_b64 vcc, exec, s[0:1]
	s_cbranch_vccnz .LBB465_1399
; %bb.1394:
	s_cmp_gt_i32 s8, 0
	s_cbranch_scc0 .LBB465_1396
; %bb.1395:
	global_load_sbyte v3, v[16:17], off
	s_mov_b64 s[0:1], 0
	s_waitcnt vmcnt(0)
	v_cvt_f64_i32_e32 v[14:15], v3
	s_branch .LBB465_1397
.LBB465_1396:
	s_mov_b64 s[0:1], -1
                                        ; implicit-def: $vgpr14_vgpr15
.LBB465_1397:
	s_andn2_b64 vcc, exec, s[0:1]
	s_cbranch_vccnz .LBB465_1399
; %bb.1398:
	global_load_ubyte v3, v[16:17], off
	s_waitcnt vmcnt(0)
	v_cvt_f64_u32_e32 v[14:15], v3
.LBB465_1399:
.LBB465_1400:
	v_mov_b32_e32 v13, 0
	s_cmp_lt_i32 s16, 11
	v_lshl_add_u64 v[16:17], s[6:7], 0, v[12:13]
	s_cbranch_scc1 .LBB465_1407
; %bb.1401:
	s_and_b32 s17, 0xffff, s16
	s_cmp_gt_i32 s17, 25
	s_mov_b64 s[8:9], 0
	s_cbranch_scc0 .LBB465_1409
; %bb.1402:
	s_cmp_gt_i32 s17, 28
	s_cbranch_scc0 .LBB465_1410
; %bb.1403:
	s_cmp_gt_i32 s17, 43
	;; [unrolled: 3-line block ×3, first 2 shown]
	s_cbranch_scc0 .LBB465_1413
; %bb.1405:
	s_cmp_eq_u32 s17, 46
	s_mov_b64 s[12:13], 0
	s_cbranch_scc0 .LBB465_1414
; %bb.1406:
	global_load_dword v3, v[16:17], off
	s_mov_b64 s[0:1], 0
	s_mov_b64 s[10:11], -1
	s_waitcnt vmcnt(0)
	v_lshlrev_b32_e32 v3, 16, v3
	v_cvt_f64_f32_e32 v[12:13], v3
	s_branch .LBB465_1415
.LBB465_1407:
	s_mov_b64 s[10:11], 0
                                        ; implicit-def: $vgpr12_vgpr13
	s_cbranch_execnz .LBB465_1481
.LBB465_1408:
	s_andn2_b64 vcc, exec, s[10:11]
	s_cbranch_vccnz .LBB465_2092
	s_branch .LBB465_1529
.LBB465_1409:
	s_mov_b64 s[12:13], -1
	s_mov_b64 s[10:11], 0
	s_mov_b64 s[0:1], 0
                                        ; implicit-def: $vgpr12_vgpr13
	s_branch .LBB465_1446
.LBB465_1410:
	s_mov_b64 s[12:13], -1
	s_mov_b64 s[10:11], 0
	s_mov_b64 s[0:1], 0
                                        ; implicit-def: $vgpr12_vgpr13
	s_branch .LBB465_1425
.LBB465_1411:
	s_mov_b64 s[12:13], -1
	s_mov_b64 s[10:11], 0
	s_mov_b64 s[0:1], 0
                                        ; implicit-def: $vgpr12_vgpr13
	s_branch .LBB465_1420
.LBB465_1412:
	s_trap 2
	s_or_b64 s[2:3], s[2:3], exec
	s_cbranch_execz .LBB465_1351
	s_branch .LBB465_1352
.LBB465_1413:
	s_mov_b64 s[12:13], -1
	s_mov_b64 s[10:11], 0
	s_mov_b64 s[0:1], 0
                                        ; implicit-def: $vgpr12_vgpr13
	s_branch .LBB465_1415
.LBB465_1414:
	s_mov_b64 s[0:1], -1
                                        ; implicit-def: $vgpr12_vgpr13
	s_mov_b64 s[10:11], 0
.LBB465_1415:
	s_and_b64 vcc, exec, s[12:13]
	s_cbranch_vccz .LBB465_1419
; %bb.1416:
	s_cmp_eq_u32 s17, 44
	s_cbranch_scc0 .LBB465_1418
; %bb.1417:
	global_load_ubyte v3, v[16:17], off
	s_movk_i32 s10, 0xff
	s_waitcnt vmcnt(1)
	v_bfrev_b32_e32 v5, 4
	v_mov_b32_e32 v7, 0x7ff80000
	v_bfrev_b32_e32 v9, 28
	s_mov_b64 s[0:1], 0
	s_waitcnt vmcnt(0)
	v_lshlrev_b32_e32 v11, 23, v3
	v_cvt_f64_f32_e32 v[12:13], v11
	v_cmp_ne_u32_e32 vcc, s10, v3
	s_mov_b64 s[10:11], -1
	s_nop 0
	v_cndmask_b32_e32 v5, v5, v12, vcc
	v_cndmask_b32_e32 v7, v7, v13, vcc
	v_cmp_ne_u32_e32 vcc, 0, v3
	s_nop 1
	v_cndmask_b32_e32 v13, v9, v7, vcc
	v_cndmask_b32_e32 v12, 0, v5, vcc
	s_branch .LBB465_1419
.LBB465_1418:
	s_mov_b64 s[0:1], -1
                                        ; implicit-def: $vgpr12_vgpr13
.LBB465_1419:
	s_mov_b64 s[12:13], 0
.LBB465_1420:
	s_and_b64 vcc, exec, s[12:13]
	s_cbranch_vccz .LBB465_1424
; %bb.1421:
	s_cmp_eq_u32 s17, 29
	s_cbranch_scc0 .LBB465_1423
; %bb.1422:
	global_load_dwordx2 v[12:13], v[16:17], off
	s_mov_b64 s[0:1], 0
	s_mov_b64 s[10:11], -1
	s_mov_b64 s[12:13], 0
	s_waitcnt vmcnt(0)
	v_cvt_f64_u32_e32 v[18:19], v13
	v_cvt_f64_u32_e32 v[12:13], v12
	v_ldexp_f64 v[18:19], v[18:19], 32
	v_add_f64 v[12:13], v[18:19], v[12:13]
	s_branch .LBB465_1425
.LBB465_1423:
	s_mov_b64 s[0:1], -1
                                        ; implicit-def: $vgpr12_vgpr13
.LBB465_1424:
	s_mov_b64 s[12:13], 0
.LBB465_1425:
	s_and_b64 vcc, exec, s[12:13]
	s_cbranch_vccz .LBB465_1445
; %bb.1426:
	s_cmp_lt_i32 s17, 27
	s_cbranch_scc1 .LBB465_1429
; %bb.1427:
	s_cmp_gt_i32 s17, 27
	s_cbranch_scc0 .LBB465_1430
; %bb.1428:
	global_load_dword v3, v[16:17], off
	s_mov_b64 s[10:11], 0
	s_waitcnt vmcnt(0)
	v_cvt_f64_u32_e32 v[12:13], v3
	s_branch .LBB465_1431
.LBB465_1429:
	s_mov_b64 s[10:11], -1
                                        ; implicit-def: $vgpr12_vgpr13
	s_branch .LBB465_1434
.LBB465_1430:
	s_mov_b64 s[10:11], -1
                                        ; implicit-def: $vgpr12_vgpr13
.LBB465_1431:
	s_andn2_b64 vcc, exec, s[10:11]
	s_cbranch_vccnz .LBB465_1433
; %bb.1432:
	global_load_ushort v3, v[16:17], off
	s_waitcnt vmcnt(0)
	v_cvt_f64_u32_e32 v[12:13], v3
.LBB465_1433:
	s_mov_b64 s[10:11], 0
.LBB465_1434:
	s_andn2_b64 vcc, exec, s[10:11]
	s_cbranch_vccnz .LBB465_1444
; %bb.1435:
	global_load_ubyte v3, v[16:17], off
	s_movk_i32 s10, 0x7f
	s_waitcnt vmcnt(0)
	v_cmp_lt_i16_e32 vcc, s10, v3
	s_mov_b64 s[10:11], 0
	s_and_saveexec_b64 s[12:13], vcc
	s_xor_b64 s[12:13], exec, s[12:13]
	s_cbranch_execz .LBB465_1439
; %bb.1436:
	s_movk_i32 s10, 0x80
	v_cmp_eq_u16_e32 vcc, s10, v3
	s_mov_b64 s[10:11], -1
	s_and_saveexec_b64 s[14:15], vcc
; %bb.1437:
	s_xor_b64 s[10:11], exec, -1
; %bb.1438:
	s_or_b64 exec, exec, s[14:15]
	s_and_b64 s[10:11], s[10:11], exec
.LBB465_1439:
	s_or_saveexec_b64 s[12:13], s[12:13]
	v_bfrev_b32_e32 v12, 4
	v_mov_b32_e32 v13, 0x7ff80000
	s_xor_b64 exec, exec, s[12:13]
; %bb.1440:
	v_cmp_ne_u16_e32 vcc, 0, v3
	s_andn2_b64 s[10:11], s[10:11], exec
	s_and_b64 s[14:15], vcc, exec
	v_mov_b64_e32 v[12:13], 0
	s_or_b64 s[10:11], s[10:11], s[14:15]
; %bb.1441:
	s_or_b64 exec, exec, s[12:13]
	s_and_saveexec_b64 s[12:13], s[10:11]
	s_cbranch_execz .LBB465_1443
; %bb.1442:
	v_lshlrev_b32_e32 v5, 24, v3
	v_and_b32_e32 v3, 0xffff, v3
	v_and_b32_e32 v7, 7, v3
	v_ffbh_u32_e32 v11, v7
	v_min_u32_e32 v11, 32, v11
	v_subrev_u32_e32 v12, 28, v11
	v_bfe_u32 v9, v3, 3, 4
	v_lshlrev_b32_e32 v3, v12, v3
	v_sub_u32_e32 v11, 29, v11
	v_and_b32_e32 v3, 7, v3
	v_cmp_eq_u32_e32 vcc, 0, v9
	v_and_b32_e32 v5, 0x80000000, v5
	s_nop 0
	v_cndmask_b32_e32 v9, v9, v11, vcc
	v_cndmask_b32_e32 v3, v7, v3, vcc
	v_mov_b32_e32 v7, 0x3b800000
	v_lshlrev_b32_e32 v3, 20, v3
	v_lshl_add_u32 v7, v9, 23, v7
	v_or3_b32 v3, v5, v7, v3
	v_cvt_f64_f32_e32 v[12:13], v3
.LBB465_1443:
	s_or_b64 exec, exec, s[12:13]
.LBB465_1444:
	s_mov_b64 s[10:11], -1
.LBB465_1445:
	s_mov_b64 s[12:13], 0
.LBB465_1446:
	s_and_b64 vcc, exec, s[12:13]
	s_cbranch_vccz .LBB465_1477
; %bb.1447:
	s_cmp_gt_i32 s17, 22
	s_cbranch_scc0 .LBB465_1459
; %bb.1448:
	s_cmp_lt_i32 s17, 24
	s_cbranch_scc1 .LBB465_1460
; %bb.1449:
	s_cmp_gt_i32 s17, 24
	s_cbranch_scc0 .LBB465_1461
; %bb.1450:
	global_load_ubyte v3, v[16:17], off
	s_movk_i32 s8, 0x7f
	s_waitcnt vmcnt(0)
	v_cmp_lt_i16_e32 vcc, s8, v3
	s_mov_b64 s[8:9], 0
	s_and_saveexec_b64 s[10:11], vcc
	s_xor_b64 s[10:11], exec, s[10:11]
	s_cbranch_execz .LBB465_1454
; %bb.1451:
	s_movk_i32 s8, 0x80
	v_cmp_eq_u16_e32 vcc, s8, v3
	s_mov_b64 s[8:9], -1
	s_and_saveexec_b64 s[12:13], vcc
; %bb.1452:
	s_xor_b64 s[8:9], exec, -1
; %bb.1453:
	s_or_b64 exec, exec, s[12:13]
	s_and_b64 s[8:9], s[8:9], exec
.LBB465_1454:
	s_or_saveexec_b64 s[10:11], s[10:11]
	v_bfrev_b32_e32 v12, 4
	v_mov_b32_e32 v13, 0x7ff80000
	s_xor_b64 exec, exec, s[10:11]
; %bb.1455:
	v_cmp_ne_u16_e32 vcc, 0, v3
	s_andn2_b64 s[8:9], s[8:9], exec
	s_and_b64 s[12:13], vcc, exec
	v_mov_b64_e32 v[12:13], 0
	s_or_b64 s[8:9], s[8:9], s[12:13]
; %bb.1456:
	s_or_b64 exec, exec, s[10:11]
	s_and_saveexec_b64 s[10:11], s[8:9]
	s_cbranch_execz .LBB465_1458
; %bb.1457:
	v_lshlrev_b32_e32 v5, 24, v3
	v_and_b32_e32 v3, 0xffff, v3
	v_and_b32_e32 v7, 3, v3
	v_ffbh_u32_e32 v11, v7
	v_min_u32_e32 v11, 32, v11
	v_subrev_u32_e32 v12, 29, v11
	v_bfe_u32 v9, v3, 2, 5
	v_lshlrev_b32_e32 v3, v12, v3
	v_sub_u32_e32 v11, 30, v11
	v_and_b32_e32 v3, 3, v3
	v_cmp_eq_u32_e32 vcc, 0, v9
	v_and_b32_e32 v5, 0x80000000, v5
	s_nop 0
	v_cndmask_b32_e32 v9, v9, v11, vcc
	v_cndmask_b32_e32 v3, v7, v3, vcc
	v_mov_b32_e32 v7, 0x37800000
	v_lshlrev_b32_e32 v3, 21, v3
	v_lshl_add_u32 v7, v9, 23, v7
	v_or3_b32 v3, v5, v7, v3
	v_cvt_f64_f32_e32 v[12:13], v3
.LBB465_1458:
	s_or_b64 exec, exec, s[10:11]
	s_mov_b64 s[8:9], 0
	s_branch .LBB465_1462
.LBB465_1459:
	s_mov_b64 s[8:9], -1
                                        ; implicit-def: $vgpr12_vgpr13
	s_branch .LBB465_1468
.LBB465_1460:
	s_mov_b64 s[8:9], -1
                                        ; implicit-def: $vgpr12_vgpr13
	s_branch .LBB465_1465
.LBB465_1461:
	s_mov_b64 s[8:9], -1
                                        ; implicit-def: $vgpr12_vgpr13
.LBB465_1462:
	s_and_b64 vcc, exec, s[8:9]
	s_cbranch_vccz .LBB465_1464
; %bb.1463:
	global_load_ubyte v3, v[16:17], off
	s_mov_b32 s8, 0x7f800000
	s_waitcnt vmcnt(0)
	v_lshlrev_b32_e32 v3, 24, v3
	v_and_b32_e32 v5, 0x7f000000, v3
	v_ffbh_u32_e32 v7, v5
	v_min_u32_e32 v7, 32, v7
	v_sub_u32_e64 v7, v7, 4 clamp
	v_lshlrev_b32_e32 v11, v7, v5
	v_lshlrev_b32_e32 v7, 23, v7
	v_lshrrev_b32_e32 v11, 4, v11
	v_add_u32_e32 v9, 0x1000000, v5
	v_sub_u32_e32 v7, v11, v7
	v_ashrrev_i32_e32 v9, 8, v9
	v_add_u32_e32 v7, 0x3c000000, v7
	v_and_or_b32 v7, v9, s8, v7
	v_cmp_ne_u32_e32 vcc, 0, v5
	s_brev_b32 s8, 1
	s_nop 0
	v_cndmask_b32_e32 v5, 0, v7, vcc
	v_and_or_b32 v3, v3, s8, v5
	v_cvt_f64_f32_e32 v[12:13], v3
.LBB465_1464:
	s_mov_b64 s[8:9], 0
.LBB465_1465:
	s_andn2_b64 vcc, exec, s[8:9]
	s_cbranch_vccnz .LBB465_1467
; %bb.1466:
	global_load_ubyte v3, v[16:17], off
	s_movk_i32 s8, 0x7f00
	s_brev_b32 s9, 16
	s_waitcnt vmcnt(0)
	v_lshlrev_b16_e32 v5, 8, v3
	v_lshlrev_b32_e32 v3, 25, v3
	v_lshrrev_b32_e32 v7, 4, v3
	v_and_or_b32 v9, v5, s8, 0.5
	v_or_b32_e32 v7, 0x70000000, v7
	v_add_f32_e32 v9, -0.5, v9
	v_mul_f32_e32 v7, 0x7800000, v7
	v_cmp_gt_u32_e32 vcc, s9, v3
	v_bfe_i32 v5, v5, 0, 16
	s_brev_b32 s8, 1
	v_cndmask_b32_e32 v3, v7, v9, vcc
	v_and_or_b32 v3, v5, s8, v3
	v_cvt_f64_f32_e32 v[12:13], v3
.LBB465_1467:
	s_mov_b64 s[8:9], 0
	s_mov_b64 s[10:11], -1
.LBB465_1468:
	s_andn2_b64 vcc, exec, s[8:9]
	s_mov_b64 s[8:9], 0
	s_cbranch_vccnz .LBB465_1477
; %bb.1469:
	s_cmp_gt_i32 s17, 14
	s_cbranch_scc0 .LBB465_1472
; %bb.1470:
	s_cmp_eq_u32 s17, 15
	s_cbranch_scc0 .LBB465_1473
; %bb.1471:
	global_load_ushort v3, v[16:17], off
	s_mov_b64 s[0:1], 0
	s_mov_b64 s[10:11], -1
	s_waitcnt vmcnt(0)
	v_lshlrev_b32_e32 v3, 16, v3
	v_cvt_f64_f32_e32 v[12:13], v3
	s_branch .LBB465_1474
.LBB465_1472:
	s_mov_b64 s[12:13], -1
                                        ; implicit-def: $vgpr12_vgpr13
	s_branch .LBB465_1475
.LBB465_1473:
	s_mov_b64 s[0:1], -1
                                        ; implicit-def: $vgpr12_vgpr13
.LBB465_1474:
	s_mov_b64 s[12:13], 0
.LBB465_1475:
	s_and_b64 vcc, exec, s[12:13]
	s_cbranch_vccz .LBB465_1477
; %bb.1476:
	s_cmp_lg_u32 s17, 11
	s_mov_b64 s[8:9], -1
	s_cselect_b64 s[0:1], -1, 0
.LBB465_1477:
	s_and_b64 vcc, exec, s[0:1]
	s_cbranch_vccnz .LBB465_1540
; %bb.1478:
	s_andn2_b64 vcc, exec, s[8:9]
	s_cbranch_vccnz .LBB465_1480
.LBB465_1479:
	global_load_ubyte v3, v[16:17], off
	s_waitcnt vmcnt(1)
	v_mov_b32_e32 v5, 0x3ff00000
	v_mov_b32_e32 v12, 0
	s_mov_b64 s[10:11], -1
	s_waitcnt vmcnt(0)
	v_cmp_ne_u16_e32 vcc, 0, v3
	s_nop 1
	v_cndmask_b32_e32 v13, 0, v5, vcc
.LBB465_1480:
	s_branch .LBB465_1408
.LBB465_1481:
	s_and_b32 s8, 0xffff, s16
	s_cmp_lt_i32 s8, 5
	s_cbranch_scc1 .LBB465_1486
; %bb.1482:
	s_cmp_lt_i32 s8, 8
	s_cbranch_scc1 .LBB465_1487
; %bb.1483:
	;; [unrolled: 3-line block ×3, first 2 shown]
	s_cmp_gt_i32 s8, 9
	s_cbranch_scc0 .LBB465_1489
; %bb.1485:
	global_load_dwordx2 v[12:13], v[16:17], off
	s_mov_b64 s[0:1], 0
	s_branch .LBB465_1490
.LBB465_1486:
	s_mov_b64 s[0:1], -1
                                        ; implicit-def: $vgpr12_vgpr13
	s_branch .LBB465_1508
.LBB465_1487:
	s_mov_b64 s[0:1], -1
                                        ; implicit-def: $vgpr12_vgpr13
	s_branch .LBB465_1496
.LBB465_1488:
	s_mov_b64 s[0:1], -1
                                        ; implicit-def: $vgpr12_vgpr13
	s_branch .LBB465_1493
.LBB465_1489:
	s_mov_b64 s[0:1], -1
                                        ; implicit-def: $vgpr12_vgpr13
.LBB465_1490:
	s_andn2_b64 vcc, exec, s[0:1]
	s_cbranch_vccnz .LBB465_1492
; %bb.1491:
	global_load_dword v3, v[16:17], off
	s_waitcnt vmcnt(0)
	v_cvt_f64_f32_e32 v[12:13], v3
.LBB465_1492:
	s_mov_b64 s[0:1], 0
.LBB465_1493:
	s_andn2_b64 vcc, exec, s[0:1]
	s_cbranch_vccnz .LBB465_1495
; %bb.1494:
	global_load_dword v3, v[16:17], off
	s_waitcnt vmcnt(0)
	v_cvt_f32_f16_e32 v3, v3
	v_cvt_f64_f32_e32 v[12:13], v3
.LBB465_1495:
	s_mov_b64 s[0:1], 0
.LBB465_1496:
	s_andn2_b64 vcc, exec, s[0:1]
	s_cbranch_vccnz .LBB465_1507
; %bb.1497:
	s_cmp_lt_i32 s8, 6
	s_cbranch_scc1 .LBB465_1500
; %bb.1498:
	s_cmp_gt_i32 s8, 6
	s_cbranch_scc0 .LBB465_1501
; %bb.1499:
	global_load_dwordx2 v[12:13], v[16:17], off
	s_mov_b64 s[0:1], 0
	s_branch .LBB465_1502
.LBB465_1500:
	s_mov_b64 s[0:1], -1
                                        ; implicit-def: $vgpr12_vgpr13
	s_branch .LBB465_1505
.LBB465_1501:
	s_mov_b64 s[0:1], -1
                                        ; implicit-def: $vgpr12_vgpr13
.LBB465_1502:
	s_andn2_b64 vcc, exec, s[0:1]
	s_cbranch_vccnz .LBB465_1504
; %bb.1503:
	global_load_dword v3, v[16:17], off
	s_waitcnt vmcnt(0)
	v_cvt_f64_f32_e32 v[12:13], v3
.LBB465_1504:
	s_mov_b64 s[0:1], 0
.LBB465_1505:
	s_andn2_b64 vcc, exec, s[0:1]
	s_cbranch_vccnz .LBB465_1507
; %bb.1506:
	global_load_ushort v3, v[16:17], off
	s_waitcnt vmcnt(0)
	v_cvt_f32_f16_e32 v3, v3
	v_cvt_f64_f32_e32 v[12:13], v3
.LBB465_1507:
	s_mov_b64 s[0:1], 0
.LBB465_1508:
	s_andn2_b64 vcc, exec, s[0:1]
	s_cbranch_vccnz .LBB465_1528
; %bb.1509:
	s_cmp_lt_i32 s8, 2
	s_cbranch_scc1 .LBB465_1513
; %bb.1510:
	s_cmp_lt_i32 s8, 3
	s_cbranch_scc1 .LBB465_1514
; %bb.1511:
	s_cmp_gt_i32 s8, 3
	s_cbranch_scc0 .LBB465_1515
; %bb.1512:
	global_load_dwordx2 v[12:13], v[16:17], off
	s_mov_b64 s[0:1], 0
	s_waitcnt vmcnt(0)
	v_cvt_f64_i32_e32 v[18:19], v13
	v_cvt_f64_u32_e32 v[12:13], v12
	v_ldexp_f64 v[18:19], v[18:19], 32
	v_add_f64 v[12:13], v[18:19], v[12:13]
	s_branch .LBB465_1516
.LBB465_1513:
	s_mov_b64 s[0:1], -1
                                        ; implicit-def: $vgpr12_vgpr13
	s_branch .LBB465_1522
.LBB465_1514:
	s_mov_b64 s[0:1], -1
                                        ; implicit-def: $vgpr12_vgpr13
	s_branch .LBB465_1519
.LBB465_1515:
	s_mov_b64 s[0:1], -1
                                        ; implicit-def: $vgpr12_vgpr13
.LBB465_1516:
	s_andn2_b64 vcc, exec, s[0:1]
	s_cbranch_vccnz .LBB465_1518
; %bb.1517:
	global_load_dword v3, v[16:17], off
	s_waitcnt vmcnt(0)
	v_cvt_f64_i32_e32 v[12:13], v3
.LBB465_1518:
	s_mov_b64 s[0:1], 0
.LBB465_1519:
	s_andn2_b64 vcc, exec, s[0:1]
	s_cbranch_vccnz .LBB465_1521
; %bb.1520:
	global_load_sshort v3, v[16:17], off
	s_waitcnt vmcnt(0)
	v_cvt_f64_i32_e32 v[12:13], v3
.LBB465_1521:
	s_mov_b64 s[0:1], 0
.LBB465_1522:
	s_andn2_b64 vcc, exec, s[0:1]
	s_cbranch_vccnz .LBB465_1528
; %bb.1523:
	s_cmp_gt_i32 s8, 0
	s_cbranch_scc0 .LBB465_1525
; %bb.1524:
	global_load_sbyte v3, v[16:17], off
	s_mov_b64 s[0:1], 0
	s_waitcnt vmcnt(0)
	v_cvt_f64_i32_e32 v[12:13], v3
	s_branch .LBB465_1526
.LBB465_1525:
	s_mov_b64 s[0:1], -1
                                        ; implicit-def: $vgpr12_vgpr13
.LBB465_1526:
	s_andn2_b64 vcc, exec, s[0:1]
	s_cbranch_vccnz .LBB465_1528
; %bb.1527:
	global_load_ubyte v3, v[16:17], off
	s_waitcnt vmcnt(0)
	v_cvt_f64_u32_e32 v[12:13], v3
.LBB465_1528:
.LBB465_1529:
	v_mov_b32_e32 v11, 0
	s_cmp_lt_i32 s16, 11
	v_lshl_add_u64 v[16:17], s[6:7], 0, v[10:11]
	s_cbranch_scc1 .LBB465_1536
; %bb.1530:
	s_and_b32 s14, 0xffff, s16
	s_cmp_gt_i32 s14, 25
	s_mov_b64 s[6:7], 0
	s_cbranch_scc0 .LBB465_1537
; %bb.1531:
	s_cmp_gt_i32 s14, 28
	s_cbranch_scc0 .LBB465_1538
; %bb.1532:
	s_cmp_gt_i32 s14, 43
	;; [unrolled: 3-line block ×3, first 2 shown]
	s_cbranch_scc0 .LBB465_1541
; %bb.1534:
	s_cmp_eq_u32 s14, 46
	s_mov_b64 s[10:11], 0
	s_cbranch_scc0 .LBB465_1542
; %bb.1535:
	global_load_dword v3, v[16:17], off
	s_mov_b64 s[0:1], 0
	s_mov_b64 s[8:9], -1
	s_waitcnt vmcnt(0)
	v_lshlrev_b32_e32 v3, 16, v3
	v_cvt_f64_f32_e32 v[10:11], v3
	s_branch .LBB465_1543
.LBB465_1536:
	s_mov_b64 s[0:1], -1
	s_mov_b64 s[8:9], 0
                                        ; implicit-def: $vgpr10_vgpr11
	s_branch .LBB465_1609
.LBB465_1537:
	s_mov_b64 s[10:11], -1
	s_mov_b64 s[8:9], 0
	s_mov_b64 s[0:1], 0
                                        ; implicit-def: $vgpr10_vgpr11
	s_branch .LBB465_1574
.LBB465_1538:
	s_mov_b64 s[10:11], -1
	s_mov_b64 s[8:9], 0
	s_mov_b64 s[0:1], 0
                                        ; implicit-def: $vgpr10_vgpr11
	s_branch .LBB465_1553
.LBB465_1539:
	s_mov_b64 s[10:11], -1
	s_mov_b64 s[8:9], 0
	s_mov_b64 s[0:1], 0
                                        ; implicit-def: $vgpr10_vgpr11
	s_branch .LBB465_1548
.LBB465_1540:
	s_trap 2
	s_or_b64 s[2:3], s[2:3], exec
	s_cbranch_execz .LBB465_1479
	s_branch .LBB465_1480
.LBB465_1541:
	s_mov_b64 s[10:11], -1
	s_mov_b64 s[8:9], 0
	s_mov_b64 s[0:1], 0
                                        ; implicit-def: $vgpr10_vgpr11
	s_branch .LBB465_1543
.LBB465_1542:
	s_mov_b64 s[0:1], -1
                                        ; implicit-def: $vgpr10_vgpr11
	s_mov_b64 s[8:9], 0
.LBB465_1543:
	s_and_b64 vcc, exec, s[10:11]
	s_cbranch_vccz .LBB465_1547
; %bb.1544:
	s_cmp_eq_u32 s14, 44
	s_cbranch_scc0 .LBB465_1546
; %bb.1545:
	global_load_ubyte v3, v[16:17], off
	s_movk_i32 s8, 0xff
	s_waitcnt vmcnt(1)
	v_bfrev_b32_e32 v5, 4
	v_mov_b32_e32 v7, 0x7ff80000
	v_bfrev_b32_e32 v9, 28
	s_mov_b64 s[0:1], 0
	s_waitcnt vmcnt(0)
	v_lshlrev_b32_e32 v10, 23, v3
	v_cvt_f64_f32_e32 v[10:11], v10
	v_cmp_ne_u32_e32 vcc, s8, v3
	s_mov_b64 s[8:9], -1
	s_nop 0
	v_cndmask_b32_e32 v5, v5, v10, vcc
	v_cndmask_b32_e32 v7, v7, v11, vcc
	v_cmp_ne_u32_e32 vcc, 0, v3
	s_nop 1
	v_cndmask_b32_e32 v11, v9, v7, vcc
	v_cndmask_b32_e32 v10, 0, v5, vcc
	s_branch .LBB465_1547
.LBB465_1546:
	s_mov_b64 s[0:1], -1
                                        ; implicit-def: $vgpr10_vgpr11
.LBB465_1547:
	s_mov_b64 s[10:11], 0
.LBB465_1548:
	s_and_b64 vcc, exec, s[10:11]
	s_cbranch_vccz .LBB465_1552
; %bb.1549:
	s_cmp_eq_u32 s14, 29
	s_cbranch_scc0 .LBB465_1551
; %bb.1550:
	global_load_dwordx2 v[10:11], v[16:17], off
	s_mov_b64 s[0:1], 0
	s_mov_b64 s[8:9], -1
	s_mov_b64 s[10:11], 0
	s_waitcnt vmcnt(0)
	v_cvt_f64_u32_e32 v[18:19], v11
	v_cvt_f64_u32_e32 v[10:11], v10
	v_ldexp_f64 v[18:19], v[18:19], 32
	v_add_f64 v[10:11], v[18:19], v[10:11]
	s_branch .LBB465_1553
.LBB465_1551:
	s_mov_b64 s[0:1], -1
                                        ; implicit-def: $vgpr10_vgpr11
.LBB465_1552:
	s_mov_b64 s[10:11], 0
.LBB465_1553:
	s_and_b64 vcc, exec, s[10:11]
	s_cbranch_vccz .LBB465_1573
; %bb.1554:
	s_cmp_lt_i32 s14, 27
	s_cbranch_scc1 .LBB465_1557
; %bb.1555:
	s_cmp_gt_i32 s14, 27
	s_cbranch_scc0 .LBB465_1558
; %bb.1556:
	global_load_dword v3, v[16:17], off
	s_mov_b64 s[8:9], 0
	s_waitcnt vmcnt(0)
	v_cvt_f64_u32_e32 v[10:11], v3
	s_branch .LBB465_1559
.LBB465_1557:
	s_mov_b64 s[8:9], -1
                                        ; implicit-def: $vgpr10_vgpr11
	s_branch .LBB465_1562
.LBB465_1558:
	s_mov_b64 s[8:9], -1
                                        ; implicit-def: $vgpr10_vgpr11
.LBB465_1559:
	s_andn2_b64 vcc, exec, s[8:9]
	s_cbranch_vccnz .LBB465_1561
; %bb.1560:
	global_load_ushort v3, v[16:17], off
	s_waitcnt vmcnt(0)
	v_cvt_f64_u32_e32 v[10:11], v3
.LBB465_1561:
	s_mov_b64 s[8:9], 0
.LBB465_1562:
	s_andn2_b64 vcc, exec, s[8:9]
	s_cbranch_vccnz .LBB465_1572
; %bb.1563:
	global_load_ubyte v3, v[16:17], off
	s_movk_i32 s8, 0x7f
	s_waitcnt vmcnt(0)
	v_cmp_lt_i16_e32 vcc, s8, v3
	s_mov_b64 s[8:9], 0
	s_and_saveexec_b64 s[10:11], vcc
	s_xor_b64 s[10:11], exec, s[10:11]
	s_cbranch_execz .LBB465_1567
; %bb.1564:
	s_movk_i32 s8, 0x80
	v_cmp_eq_u16_e32 vcc, s8, v3
	s_mov_b64 s[8:9], -1
	s_and_saveexec_b64 s[12:13], vcc
; %bb.1565:
	s_xor_b64 s[8:9], exec, -1
; %bb.1566:
	s_or_b64 exec, exec, s[12:13]
	s_and_b64 s[8:9], s[8:9], exec
.LBB465_1567:
	s_or_saveexec_b64 s[10:11], s[10:11]
	v_bfrev_b32_e32 v10, 4
	v_mov_b32_e32 v11, 0x7ff80000
	s_xor_b64 exec, exec, s[10:11]
; %bb.1568:
	v_cmp_ne_u16_e32 vcc, 0, v3
	s_andn2_b64 s[8:9], s[8:9], exec
	s_and_b64 s[12:13], vcc, exec
	v_mov_b64_e32 v[10:11], 0
	s_or_b64 s[8:9], s[8:9], s[12:13]
; %bb.1569:
	s_or_b64 exec, exec, s[10:11]
	s_and_saveexec_b64 s[10:11], s[8:9]
	s_cbranch_execz .LBB465_1571
; %bb.1570:
	v_lshlrev_b32_e32 v5, 24, v3
	v_and_b32_e32 v3, 0xffff, v3
	v_and_b32_e32 v7, 7, v3
	v_ffbh_u32_e32 v10, v7
	v_min_u32_e32 v10, 32, v10
	v_subrev_u32_e32 v11, 28, v10
	v_bfe_u32 v9, v3, 3, 4
	v_lshlrev_b32_e32 v3, v11, v3
	v_sub_u32_e32 v10, 29, v10
	v_and_b32_e32 v3, 7, v3
	v_cmp_eq_u32_e32 vcc, 0, v9
	v_and_b32_e32 v5, 0x80000000, v5
	s_nop 0
	v_cndmask_b32_e32 v9, v9, v10, vcc
	v_cndmask_b32_e32 v3, v7, v3, vcc
	v_mov_b32_e32 v7, 0x3b800000
	v_lshlrev_b32_e32 v3, 20, v3
	v_lshl_add_u32 v7, v9, 23, v7
	v_or3_b32 v3, v5, v7, v3
	v_cvt_f64_f32_e32 v[10:11], v3
.LBB465_1571:
	s_or_b64 exec, exec, s[10:11]
.LBB465_1572:
	s_mov_b64 s[8:9], -1
.LBB465_1573:
	s_mov_b64 s[10:11], 0
.LBB465_1574:
	s_and_b64 vcc, exec, s[10:11]
	s_cbranch_vccz .LBB465_1605
; %bb.1575:
	s_cmp_gt_i32 s14, 22
	s_cbranch_scc0 .LBB465_1587
; %bb.1576:
	s_cmp_lt_i32 s14, 24
	s_cbranch_scc1 .LBB465_1588
; %bb.1577:
	s_cmp_gt_i32 s14, 24
	s_cbranch_scc0 .LBB465_1589
; %bb.1578:
	global_load_ubyte v3, v[16:17], off
	s_movk_i32 s6, 0x7f
	s_waitcnt vmcnt(0)
	v_cmp_lt_i16_e32 vcc, s6, v3
	s_mov_b64 s[6:7], 0
	s_and_saveexec_b64 s[8:9], vcc
	s_xor_b64 s[8:9], exec, s[8:9]
	s_cbranch_execz .LBB465_1582
; %bb.1579:
	s_movk_i32 s6, 0x80
	v_cmp_eq_u16_e32 vcc, s6, v3
	s_mov_b64 s[6:7], -1
	s_and_saveexec_b64 s[10:11], vcc
; %bb.1580:
	s_xor_b64 s[6:7], exec, -1
; %bb.1581:
	s_or_b64 exec, exec, s[10:11]
	s_and_b64 s[6:7], s[6:7], exec
.LBB465_1582:
	s_or_saveexec_b64 s[8:9], s[8:9]
	v_bfrev_b32_e32 v10, 4
	v_mov_b32_e32 v11, 0x7ff80000
	s_xor_b64 exec, exec, s[8:9]
; %bb.1583:
	v_cmp_ne_u16_e32 vcc, 0, v3
	s_andn2_b64 s[6:7], s[6:7], exec
	s_and_b64 s[10:11], vcc, exec
	v_mov_b64_e32 v[10:11], 0
	s_or_b64 s[6:7], s[6:7], s[10:11]
; %bb.1584:
	s_or_b64 exec, exec, s[8:9]
	s_and_saveexec_b64 s[8:9], s[6:7]
	s_cbranch_execz .LBB465_1586
; %bb.1585:
	v_lshlrev_b32_e32 v5, 24, v3
	v_and_b32_e32 v3, 0xffff, v3
	v_and_b32_e32 v7, 3, v3
	v_ffbh_u32_e32 v10, v7
	v_min_u32_e32 v10, 32, v10
	v_subrev_u32_e32 v11, 29, v10
	v_bfe_u32 v9, v3, 2, 5
	v_lshlrev_b32_e32 v3, v11, v3
	v_sub_u32_e32 v10, 30, v10
	v_and_b32_e32 v3, 3, v3
	v_cmp_eq_u32_e32 vcc, 0, v9
	v_and_b32_e32 v5, 0x80000000, v5
	s_nop 0
	v_cndmask_b32_e32 v9, v9, v10, vcc
	v_cndmask_b32_e32 v3, v7, v3, vcc
	v_mov_b32_e32 v7, 0x37800000
	v_lshlrev_b32_e32 v3, 21, v3
	v_lshl_add_u32 v7, v9, 23, v7
	v_or3_b32 v3, v5, v7, v3
	v_cvt_f64_f32_e32 v[10:11], v3
.LBB465_1586:
	s_or_b64 exec, exec, s[8:9]
	s_mov_b64 s[6:7], 0
	s_branch .LBB465_1590
.LBB465_1587:
	s_mov_b64 s[6:7], -1
                                        ; implicit-def: $vgpr10_vgpr11
	s_branch .LBB465_1596
.LBB465_1588:
	s_mov_b64 s[6:7], -1
                                        ; implicit-def: $vgpr10_vgpr11
	s_branch .LBB465_1593
.LBB465_1589:
	s_mov_b64 s[6:7], -1
                                        ; implicit-def: $vgpr10_vgpr11
.LBB465_1590:
	s_and_b64 vcc, exec, s[6:7]
	s_cbranch_vccz .LBB465_1592
; %bb.1591:
	global_load_ubyte v3, v[16:17], off
	s_mov_b32 s6, 0x7f800000
	s_waitcnt vmcnt(0)
	v_lshlrev_b32_e32 v3, 24, v3
	v_and_b32_e32 v5, 0x7f000000, v3
	v_ffbh_u32_e32 v7, v5
	v_min_u32_e32 v7, 32, v7
	v_sub_u32_e64 v7, v7, 4 clamp
	v_lshlrev_b32_e32 v10, v7, v5
	v_lshlrev_b32_e32 v7, 23, v7
	v_lshrrev_b32_e32 v10, 4, v10
	v_add_u32_e32 v9, 0x1000000, v5
	v_sub_u32_e32 v7, v10, v7
	v_ashrrev_i32_e32 v9, 8, v9
	v_add_u32_e32 v7, 0x3c000000, v7
	v_and_or_b32 v7, v9, s6, v7
	v_cmp_ne_u32_e32 vcc, 0, v5
	s_brev_b32 s6, 1
	s_nop 0
	v_cndmask_b32_e32 v5, 0, v7, vcc
	v_and_or_b32 v3, v3, s6, v5
	v_cvt_f64_f32_e32 v[10:11], v3
.LBB465_1592:
	s_mov_b64 s[6:7], 0
.LBB465_1593:
	s_andn2_b64 vcc, exec, s[6:7]
	s_cbranch_vccnz .LBB465_1595
; %bb.1594:
	global_load_ubyte v3, v[16:17], off
	s_movk_i32 s6, 0x7f00
	s_brev_b32 s7, 16
	s_waitcnt vmcnt(0)
	v_lshlrev_b16_e32 v5, 8, v3
	v_lshlrev_b32_e32 v3, 25, v3
	v_lshrrev_b32_e32 v7, 4, v3
	v_and_or_b32 v9, v5, s6, 0.5
	v_or_b32_e32 v7, 0x70000000, v7
	v_add_f32_e32 v9, -0.5, v9
	v_mul_f32_e32 v7, 0x7800000, v7
	v_cmp_gt_u32_e32 vcc, s7, v3
	v_bfe_i32 v5, v5, 0, 16
	s_brev_b32 s6, 1
	v_cndmask_b32_e32 v3, v7, v9, vcc
	v_and_or_b32 v3, v5, s6, v3
	v_cvt_f64_f32_e32 v[10:11], v3
.LBB465_1595:
	s_mov_b64 s[6:7], 0
	s_mov_b64 s[8:9], -1
.LBB465_1596:
	s_andn2_b64 vcc, exec, s[6:7]
	s_mov_b64 s[6:7], 0
	s_cbranch_vccnz .LBB465_1605
; %bb.1597:
	s_cmp_gt_i32 s14, 14
	s_cbranch_scc0 .LBB465_1600
; %bb.1598:
	s_cmp_eq_u32 s14, 15
	s_cbranch_scc0 .LBB465_1601
; %bb.1599:
	global_load_ushort v3, v[16:17], off
	s_mov_b64 s[0:1], 0
	s_mov_b64 s[8:9], -1
	s_waitcnt vmcnt(0)
	v_lshlrev_b32_e32 v3, 16, v3
	v_cvt_f64_f32_e32 v[10:11], v3
	s_branch .LBB465_1602
.LBB465_1600:
	s_mov_b64 s[10:11], -1
                                        ; implicit-def: $vgpr10_vgpr11
	s_branch .LBB465_1603
.LBB465_1601:
	s_mov_b64 s[0:1], -1
                                        ; implicit-def: $vgpr10_vgpr11
.LBB465_1602:
	s_mov_b64 s[10:11], 0
.LBB465_1603:
	s_and_b64 vcc, exec, s[10:11]
	s_cbranch_vccz .LBB465_1605
; %bb.1604:
	s_cmp_lg_u32 s14, 11
	s_mov_b64 s[6:7], -1
	s_cselect_b64 s[0:1], -1, 0
.LBB465_1605:
	s_and_b64 vcc, exec, s[0:1]
	s_cbranch_vccnz .LBB465_2138
; %bb.1606:
	s_andn2_b64 vcc, exec, s[6:7]
	s_cbranch_vccnz .LBB465_1608
.LBB465_1607:
	global_load_ubyte v3, v[16:17], off
	s_waitcnt vmcnt(1)
	v_mov_b32_e32 v5, 0x3ff00000
	v_mov_b32_e32 v10, 0
	s_mov_b64 s[8:9], -1
	s_waitcnt vmcnt(0)
	v_cmp_ne_u16_e32 vcc, 0, v3
	s_nop 1
	v_cndmask_b32_e32 v11, 0, v5, vcc
.LBB465_1608:
	s_mov_b64 s[0:1], 0
.LBB465_1609:
	s_and_b64 vcc, exec, s[0:1]
	s_cbranch_vccz .LBB465_1658
; %bb.1610:
	s_and_b32 s6, 0xffff, s16
	s_cmp_lt_i32 s6, 5
	s_cbranch_scc1 .LBB465_1615
; %bb.1611:
	s_cmp_lt_i32 s6, 8
	s_cbranch_scc1 .LBB465_1616
; %bb.1612:
	;; [unrolled: 3-line block ×3, first 2 shown]
	s_cmp_gt_i32 s6, 9
	s_cbranch_scc0 .LBB465_1618
; %bb.1614:
	global_load_dwordx2 v[10:11], v[16:17], off
	s_mov_b64 s[0:1], 0
	s_branch .LBB465_1619
.LBB465_1615:
	s_mov_b64 s[0:1], -1
                                        ; implicit-def: $vgpr10_vgpr11
	s_branch .LBB465_1637
.LBB465_1616:
	s_mov_b64 s[0:1], -1
                                        ; implicit-def: $vgpr10_vgpr11
	s_branch .LBB465_1625
.LBB465_1617:
	s_mov_b64 s[0:1], -1
                                        ; implicit-def: $vgpr10_vgpr11
	s_branch .LBB465_1622
.LBB465_1618:
	s_mov_b64 s[0:1], -1
                                        ; implicit-def: $vgpr10_vgpr11
.LBB465_1619:
	s_andn2_b64 vcc, exec, s[0:1]
	s_cbranch_vccnz .LBB465_1621
; %bb.1620:
	global_load_dword v3, v[16:17], off
	s_waitcnt vmcnt(0)
	v_cvt_f64_f32_e32 v[10:11], v3
.LBB465_1621:
	s_mov_b64 s[0:1], 0
.LBB465_1622:
	s_andn2_b64 vcc, exec, s[0:1]
	s_cbranch_vccnz .LBB465_1624
; %bb.1623:
	global_load_dword v3, v[16:17], off
	s_waitcnt vmcnt(0)
	v_cvt_f32_f16_e32 v3, v3
	v_cvt_f64_f32_e32 v[10:11], v3
.LBB465_1624:
	s_mov_b64 s[0:1], 0
.LBB465_1625:
	s_andn2_b64 vcc, exec, s[0:1]
	s_cbranch_vccnz .LBB465_1636
; %bb.1626:
	s_cmp_lt_i32 s6, 6
	s_cbranch_scc1 .LBB465_1629
; %bb.1627:
	s_cmp_gt_i32 s6, 6
	s_cbranch_scc0 .LBB465_1630
; %bb.1628:
	global_load_dwordx2 v[10:11], v[16:17], off
	s_mov_b64 s[0:1], 0
	s_branch .LBB465_1631
.LBB465_1629:
	s_mov_b64 s[0:1], -1
                                        ; implicit-def: $vgpr10_vgpr11
	s_branch .LBB465_1634
.LBB465_1630:
	s_mov_b64 s[0:1], -1
                                        ; implicit-def: $vgpr10_vgpr11
.LBB465_1631:
	s_andn2_b64 vcc, exec, s[0:1]
	s_cbranch_vccnz .LBB465_1633
; %bb.1632:
	global_load_dword v3, v[16:17], off
	s_waitcnt vmcnt(0)
	v_cvt_f64_f32_e32 v[10:11], v3
.LBB465_1633:
	s_mov_b64 s[0:1], 0
.LBB465_1634:
	s_andn2_b64 vcc, exec, s[0:1]
	s_cbranch_vccnz .LBB465_1636
; %bb.1635:
	global_load_ushort v3, v[16:17], off
	s_waitcnt vmcnt(0)
	v_cvt_f32_f16_e32 v3, v3
	v_cvt_f64_f32_e32 v[10:11], v3
.LBB465_1636:
	s_mov_b64 s[0:1], 0
.LBB465_1637:
	s_andn2_b64 vcc, exec, s[0:1]
	s_cbranch_vccnz .LBB465_1657
; %bb.1638:
	s_cmp_lt_i32 s6, 2
	s_cbranch_scc1 .LBB465_1642
; %bb.1639:
	s_cmp_lt_i32 s6, 3
	s_cbranch_scc1 .LBB465_1643
; %bb.1640:
	s_cmp_gt_i32 s6, 3
	s_cbranch_scc0 .LBB465_1644
; %bb.1641:
	global_load_dwordx2 v[10:11], v[16:17], off
	s_mov_b64 s[0:1], 0
	s_waitcnt vmcnt(0)
	v_cvt_f64_i32_e32 v[18:19], v11
	v_cvt_f64_u32_e32 v[10:11], v10
	v_ldexp_f64 v[18:19], v[18:19], 32
	v_add_f64 v[10:11], v[18:19], v[10:11]
	s_branch .LBB465_1645
.LBB465_1642:
	s_mov_b64 s[0:1], -1
                                        ; implicit-def: $vgpr10_vgpr11
	s_branch .LBB465_1651
.LBB465_1643:
	s_mov_b64 s[0:1], -1
                                        ; implicit-def: $vgpr10_vgpr11
	s_branch .LBB465_1648
.LBB465_1644:
	s_mov_b64 s[0:1], -1
                                        ; implicit-def: $vgpr10_vgpr11
.LBB465_1645:
	s_andn2_b64 vcc, exec, s[0:1]
	s_cbranch_vccnz .LBB465_1647
; %bb.1646:
	global_load_dword v3, v[16:17], off
	s_waitcnt vmcnt(0)
	v_cvt_f64_i32_e32 v[10:11], v3
.LBB465_1647:
	s_mov_b64 s[0:1], 0
.LBB465_1648:
	s_andn2_b64 vcc, exec, s[0:1]
	s_cbranch_vccnz .LBB465_1650
; %bb.1649:
	global_load_sshort v3, v[16:17], off
	s_waitcnt vmcnt(0)
	v_cvt_f64_i32_e32 v[10:11], v3
.LBB465_1650:
	s_mov_b64 s[0:1], 0
.LBB465_1651:
	s_andn2_b64 vcc, exec, s[0:1]
	s_cbranch_vccnz .LBB465_1657
; %bb.1652:
	s_cmp_gt_i32 s6, 0
	s_cbranch_scc0 .LBB465_1654
; %bb.1653:
	global_load_sbyte v3, v[16:17], off
	s_mov_b64 s[0:1], 0
	s_waitcnt vmcnt(0)
	v_cvt_f64_i32_e32 v[10:11], v3
	s_branch .LBB465_1655
.LBB465_1654:
	s_mov_b64 s[0:1], -1
                                        ; implicit-def: $vgpr10_vgpr11
.LBB465_1655:
	s_andn2_b64 vcc, exec, s[0:1]
	s_cbranch_vccnz .LBB465_1657
; %bb.1656:
	global_load_ubyte v3, v[16:17], off
	s_waitcnt vmcnt(0)
	v_cvt_f64_u32_e32 v[10:11], v3
.LBB465_1657:
	s_mov_b64 s[8:9], -1
.LBB465_1658:
	s_andn2_b64 vcc, exec, s[8:9]
	s_cbranch_vccnz .LBB465_2092
; %bb.1659:
	s_load_dword s6, s[34:35], 0x160
	s_load_dwordx2 s[0:1], s[34:35], 0x158
	s_waitcnt vmcnt(0)
	v_max_f64 v[18:19], v[0:1], v[0:1]
	v_cmp_u_f64_e32 vcc, v[0:1], v[0:1]
	v_mov_b32_e32 v3, 0
	s_waitcnt lgkmcnt(0)
	s_and_b32 s14, s6, 0xff
	v_max_f64 v[16:17], s[0:1], s[0:1]
	v_min_f64 v[18:19], v[18:19], v[16:17]
	v_cndmask_b32_e32 v1, v19, v1, vcc
	v_cndmask_b32_e32 v0, v18, v0, vcc
	s_cmp_lt_i32 s14, 11
	v_lshl_add_u64 v[18:19], s[4:5], 0, v[2:3]
	s_cbranch_scc1 .LBB465_1737
; %bb.1660:
	s_and_b32 s15, 0xffff, s14
	s_mov_b64 s[10:11], -1
	s_mov_b64 s[6:7], 0
	s_cmp_gt_i32 s15, 25
	s_mov_b64 s[8:9], 0
	s_mov_b64 s[0:1], 0
	s_cbranch_scc0 .LBB465_1693
; %bb.1661:
	s_cmp_gt_i32 s15, 28
	s_cbranch_scc0 .LBB465_1676
; %bb.1662:
	s_cmp_gt_i32 s15, 43
	;; [unrolled: 3-line block ×3, first 2 shown]
	s_cbranch_scc0 .LBB465_1666
; %bb.1664:
	s_mov_b64 s[0:1], -1
	s_mov_b64 s[10:11], 0
	s_cmp_eq_u32 s15, 46
	s_cbranch_scc0 .LBB465_1666
; %bb.1665:
	v_cvt_f32_f64_e32 v2, v[0:1]
	v_bfe_u32 v3, v2, 16, 1
	s_movk_i32 s0, 0x7fff
	v_add3_u32 v3, v2, v3, s0
	v_cmp_o_f32_e32 vcc, v2, v2
	v_mov_b32_e32 v2, 0x7fc0
	s_mov_b64 s[0:1], 0
	v_cndmask_b32_sdwa v2, v2, v3, vcc dst_sel:DWORD dst_unused:UNUSED_PAD src0_sel:DWORD src1_sel:WORD_1
	global_store_dword v[18:19], v2, off
	s_mov_b64 s[8:9], -1
.LBB465_1666:
	s_and_b64 vcc, exec, s[10:11]
	s_cbranch_vccz .LBB465_1671
; %bb.1667:
	s_cmp_eq_u32 s15, 44
	s_mov_b64 s[0:1], -1
	s_cbranch_scc0 .LBB465_1671
; %bb.1668:
	v_cvt_f32_f64_e32 v2, v[0:1]
	v_bfe_u32 v3, v2, 23, 8
	s_movk_i32 s0, 0xff
	v_cmp_ne_u32_e32 vcc, s0, v3
	v_mov_b32_e32 v5, 0xff
	s_and_saveexec_b64 s[8:9], vcc
; %bb.1669:
	s_mov_b32 s0, 0x3fffff
	v_lshrrev_b32_e32 v5, 23, v2
	v_and_b32_e32 v7, 0x400000, v2
	v_and_or_b32 v2, v2, s0, v3
	v_cmp_ne_u32_e32 vcc, 0, v7
	v_cmp_ne_u32_e64 s[0:1], 0, v2
	s_and_b64 s[0:1], vcc, s[0:1]
	s_nop 0
	v_cndmask_b32_e64 v2, 0, 1, s[0:1]
	v_add_u32_e32 v5, v5, v2
; %bb.1670:
	s_or_b64 exec, exec, s[8:9]
	s_mov_b64 s[0:1], 0
	s_mov_b64 s[8:9], -1
	global_store_byte v[18:19], v5, off
.LBB465_1671:
	s_mov_b64 s[10:11], 0
.LBB465_1672:
	s_and_b64 vcc, exec, s[10:11]
	s_cbranch_vccz .LBB465_1675
; %bb.1673:
	s_cmp_eq_u32 s15, 29
	s_mov_b64 s[0:1], -1
	s_cbranch_scc0 .LBB465_1675
; %bb.1674:
	v_trunc_f64_e32 v[2:3], v[0:1]
	s_movk_i32 s0, 0xffe0
	v_ldexp_f64 v[20:21], v[2:3], s0
	v_floor_f64_e32 v[20:21], v[20:21]
	v_fmac_f64_e32 v[2:3], 0xc1f00000, v[20:21]
	v_cvt_u32_f64_e32 v23, v[20:21]
	v_cvt_u32_f64_e32 v22, v[2:3]
	global_store_dwordx2 v[18:19], v[22:23], off
	s_mov_b64 s[0:1], 0
	s_mov_b64 s[8:9], -1
.LBB465_1675:
	s_mov_b64 s[10:11], 0
.LBB465_1676:
	s_and_b64 vcc, exec, s[10:11]
	s_cbranch_vccz .LBB465_1692
; %bb.1677:
	s_cmp_lt_i32 s15, 27
	s_mov_b64 s[8:9], -1
	s_cbranch_scc1 .LBB465_1683
; %bb.1678:
	s_cmp_gt_i32 s15, 27
	v_cvt_u32_f64_e32 v2, v[0:1]
	s_cbranch_scc0 .LBB465_1680
; %bb.1679:
	s_mov_b64 s[8:9], 0
	global_store_dword v[18:19], v2, off
.LBB465_1680:
	s_andn2_b64 vcc, exec, s[8:9]
	s_cbranch_vccnz .LBB465_1682
; %bb.1681:
	global_store_short v[18:19], v2, off
.LBB465_1682:
	s_mov_b64 s[8:9], 0
.LBB465_1683:
	s_andn2_b64 vcc, exec, s[8:9]
	s_cbranch_vccnz .LBB465_1691
; %bb.1684:
	v_cvt_f32_f64_e32 v2, v[0:1]
	v_and_b32_e32 v3, 0x7fffffff, v2
	s_mov_b32 s8, 0x43800000
	v_cmp_gt_u32_e32 vcc, s8, v3
	v_mov_b32_e32 v5, 0x80
	s_and_saveexec_b64 s[8:9], vcc
	s_cbranch_execz .LBB465_1690
; %bb.1685:
	s_mov_b32 s10, 0x3bffffff
	v_cmp_lt_u32_e32 vcc, s10, v3
	s_mov_b64 s[10:11], 0
                                        ; implicit-def: $vgpr3
	s_and_saveexec_b64 s[12:13], vcc
	s_xor_b64 s[12:13], exec, s[12:13]
	s_cbranch_execz .LBB465_2139
; %bb.1686:
	v_bfe_u32 v3, v2, 20, 1
	s_mov_b32 s16, 0x487ffff
	v_add3_u32 v3, v2, v3, s16
	s_mov_b64 s[10:11], exec
	v_lshrrev_b32_e32 v3, 20, v3
	s_andn2_saveexec_b64 s[12:13], s[12:13]
	s_cbranch_execnz .LBB465_2140
.LBB465_1687:
	s_or_b64 exec, exec, s[12:13]
	v_mov_b32_e32 v5, 0
	s_and_saveexec_b64 s[12:13], s[10:11]
.LBB465_1688:
	v_lshrrev_b32_e32 v2, 24, v2
	s_movk_i32 s10, 0x80
	v_and_or_b32 v5, v2, s10, v3
.LBB465_1689:
	s_or_b64 exec, exec, s[12:13]
.LBB465_1690:
	s_or_b64 exec, exec, s[8:9]
	global_store_byte v[18:19], v5, off
.LBB465_1691:
	s_mov_b64 s[8:9], -1
.LBB465_1692:
	s_mov_b64 s[10:11], 0
.LBB465_1693:
	s_and_b64 vcc, exec, s[10:11]
	s_cbranch_vccz .LBB465_1733
; %bb.1694:
	s_cmp_gt_i32 s15, 22
	s_mov_b64 s[6:7], -1
	s_cbranch_scc0 .LBB465_1726
; %bb.1695:
	s_cmp_lt_i32 s15, 24
	s_cbranch_scc1 .LBB465_1715
; %bb.1696:
	s_cmp_gt_i32 s15, 24
	s_cbranch_scc0 .LBB465_1704
; %bb.1697:
	v_cvt_f32_f64_e32 v2, v[0:1]
	v_and_b32_e32 v3, 0x7fffffff, v2
	s_mov_b32 s6, 0x47800000
	v_cmp_gt_u32_e32 vcc, s6, v3
	v_mov_b32_e32 v5, 0x80
	s_and_saveexec_b64 s[6:7], vcc
	s_cbranch_execz .LBB465_1703
; %bb.1698:
	s_mov_b32 s8, 0x37ffffff
	v_cmp_lt_u32_e32 vcc, s8, v3
	s_mov_b64 s[8:9], 0
                                        ; implicit-def: $vgpr3
	s_and_saveexec_b64 s[10:11], vcc
	s_xor_b64 s[10:11], exec, s[10:11]
	s_cbranch_execz .LBB465_2142
; %bb.1699:
	v_bfe_u32 v3, v2, 21, 1
	s_mov_b32 s12, 0x88fffff
	v_add3_u32 v3, v2, v3, s12
	s_mov_b64 s[8:9], exec
	v_lshrrev_b32_e32 v3, 21, v3
	s_andn2_saveexec_b64 s[10:11], s[10:11]
	s_cbranch_execnz .LBB465_2143
.LBB465_1700:
	s_or_b64 exec, exec, s[10:11]
	v_mov_b32_e32 v5, 0
	s_and_saveexec_b64 s[10:11], s[8:9]
.LBB465_1701:
	v_lshrrev_b32_e32 v2, 24, v2
	s_movk_i32 s8, 0x80
	v_and_or_b32 v5, v2, s8, v3
.LBB465_1702:
	s_or_b64 exec, exec, s[10:11]
.LBB465_1703:
	s_or_b64 exec, exec, s[6:7]
	s_mov_b64 s[6:7], 0
	global_store_byte v[18:19], v5, off
.LBB465_1704:
	s_and_b64 vcc, exec, s[6:7]
	s_cbranch_vccz .LBB465_1714
; %bb.1705:
	v_cvt_f32_f64_e32 v2, v[0:1]
	v_and_b32_e32 v5, 0x7fffffff, v2
	s_mov_b32 s6, 0x43f00000
	v_cmp_gt_u32_e32 vcc, s6, v5
                                        ; implicit-def: $vgpr3
	s_and_saveexec_b64 s[6:7], vcc
	s_xor_b64 s[6:7], exec, s[6:7]
	s_cbranch_execz .LBB465_1711
; %bb.1706:
	s_mov_b32 s8, 0x3c7fffff
	v_cmp_lt_u32_e32 vcc, s8, v5
                                        ; implicit-def: $vgpr3
	s_and_saveexec_b64 s[8:9], vcc
	s_xor_b64 s[8:9], exec, s[8:9]
; %bb.1707:
	v_bfe_u32 v3, v2, 20, 1
	s_mov_b32 s10, 0x407ffff
	v_add3_u32 v3, v2, v3, s10
	v_lshrrev_b32_e32 v5, 20, v3
	v_and_b32_e32 v3, 0xff00000, v3
	s_mov_b32 s10, 0x7f00000
	v_mov_b32_e32 v7, 0x7e
	v_cmp_ne_u32_e32 vcc, s10, v3
	s_nop 1
	v_cndmask_b32_e32 v3, v7, v5, vcc
; %bb.1708:
	s_andn2_saveexec_b64 s[8:9], s[8:9]
; %bb.1709:
	s_mov_b32 s10, 0x46800000
	v_add_f32_e64 v3, |v2|, s10
; %bb.1710:
	s_or_b64 exec, exec, s[8:9]
                                        ; implicit-def: $vgpr5
.LBB465_1711:
	s_andn2_saveexec_b64 s[6:7], s[6:7]
; %bb.1712:
	s_mov_b32 s8, 0x7f800000
	v_mov_b32_e32 v3, 0x7e
	v_mov_b32_e32 v7, 0x7f
	v_cmp_lt_u32_e32 vcc, s8, v5
	s_nop 1
	v_cndmask_b32_e32 v3, v3, v7, vcc
; %bb.1713:
	s_or_b64 exec, exec, s[6:7]
	v_lshrrev_b32_e32 v2, 24, v2
	s_movk_i32 s6, 0x80
	v_and_or_b32 v2, v2, s6, v3
	global_store_byte v[18:19], v2, off
.LBB465_1714:
	s_mov_b64 s[6:7], 0
.LBB465_1715:
	s_andn2_b64 vcc, exec, s[6:7]
	s_cbranch_vccnz .LBB465_1725
; %bb.1716:
	v_cvt_f32_f64_e32 v2, v[0:1]
	v_and_b32_e32 v5, 0x7fffffff, v2
	s_mov_b32 s6, 0x47800000
	v_cmp_gt_u32_e32 vcc, s6, v5
                                        ; implicit-def: $vgpr3
	s_and_saveexec_b64 s[6:7], vcc
	s_xor_b64 s[6:7], exec, s[6:7]
	s_cbranch_execz .LBB465_1722
; %bb.1717:
	s_mov_b32 s8, 0x387fffff
	v_cmp_lt_u32_e32 vcc, s8, v5
                                        ; implicit-def: $vgpr3
	s_and_saveexec_b64 s[8:9], vcc
	s_xor_b64 s[8:9], exec, s[8:9]
; %bb.1718:
	v_bfe_u32 v3, v2, 21, 1
	s_mov_b32 s10, 0x80fffff
	v_add3_u32 v3, v2, v3, s10
	v_lshrrev_b32_e32 v3, 21, v3
; %bb.1719:
	s_andn2_saveexec_b64 s[8:9], s[8:9]
; %bb.1720:
	s_mov_b32 s10, 0x43000000
	v_add_f32_e64 v3, |v2|, s10
; %bb.1721:
	s_or_b64 exec, exec, s[8:9]
                                        ; implicit-def: $vgpr5
.LBB465_1722:
	s_andn2_saveexec_b64 s[6:7], s[6:7]
; %bb.1723:
	s_mov_b32 s8, 0x7f800000
	v_mov_b32_e32 v3, 0x7c
	v_mov_b32_e32 v7, 0x7f
	v_cmp_lt_u32_e32 vcc, s8, v5
	s_nop 1
	v_cndmask_b32_e32 v3, v3, v7, vcc
; %bb.1724:
	s_or_b64 exec, exec, s[6:7]
	v_lshrrev_b32_e32 v2, 24, v2
	s_movk_i32 s6, 0x80
	v_and_or_b32 v2, v2, s6, v3
	global_store_byte v[18:19], v2, off
.LBB465_1725:
	s_mov_b64 s[6:7], 0
	s_mov_b64 s[8:9], -1
.LBB465_1726:
	s_andn2_b64 vcc, exec, s[6:7]
	s_mov_b64 s[6:7], 0
	s_cbranch_vccnz .LBB465_1733
; %bb.1727:
	s_cmp_gt_i32 s15, 14
	s_mov_b64 s[10:11], -1
	s_cbranch_scc0 .LBB465_1731
; %bb.1728:
	s_cmp_eq_u32 s15, 15
	s_mov_b64 s[0:1], -1
	s_cbranch_scc0 .LBB465_1730
; %bb.1729:
	v_cvt_f32_f64_e32 v2, v[0:1]
	v_bfe_u32 v3, v2, 16, 1
	s_movk_i32 s0, 0x7fff
	v_add3_u32 v3, v2, v3, s0
	v_cmp_o_f32_e32 vcc, v2, v2
	v_mov_b32_e32 v2, 0x7fc0
	s_mov_b64 s[0:1], 0
	v_cndmask_b32_sdwa v2, v2, v3, vcc dst_sel:DWORD dst_unused:UNUSED_PAD src0_sel:DWORD src1_sel:WORD_1
	global_store_short v[18:19], v2, off
	s_mov_b64 s[8:9], -1
.LBB465_1730:
	s_mov_b64 s[10:11], 0
.LBB465_1731:
	s_and_b64 vcc, exec, s[10:11]
	s_cbranch_vccz .LBB465_1733
; %bb.1732:
	s_cmp_lg_u32 s15, 11
	s_mov_b64 s[6:7], -1
	s_cselect_b64 s[0:1], -1, 0
.LBB465_1733:
	s_and_b64 vcc, exec, s[0:1]
	s_cbranch_vccnz .LBB465_2141
; %bb.1734:
	s_andn2_b64 vcc, exec, s[6:7]
	s_cbranch_vccnz .LBB465_1736
.LBB465_1735:
	v_cmp_neq_f64_e32 vcc, 0, v[0:1]
	s_mov_b64 s[8:9], -1
	s_nop 0
	v_cndmask_b32_e64 v2, 0, 1, vcc
	global_store_byte v[18:19], v2, off
.LBB465_1736:
	s_mov_b64 s[0:1], 0
	s_branch .LBB465_1738
.LBB465_1737:
	s_mov_b64 s[0:1], -1
	s_mov_b64 s[8:9], 0
.LBB465_1738:
	s_and_b64 vcc, exec, s[0:1]
	s_cbranch_vccz .LBB465_1777
; %bb.1739:
	s_and_b32 s6, 0xffff, s14
	s_cmp_lt_i32 s6, 5
	s_mov_b64 s[0:1], -1
	s_cbranch_scc1 .LBB465_1760
; %bb.1740:
	s_cmp_lt_i32 s6, 8
	s_cbranch_scc1 .LBB465_1750
; %bb.1741:
	s_cmp_lt_i32 s6, 9
	s_cbranch_scc1 .LBB465_1747
; %bb.1742:
	s_cmp_gt_i32 s6, 9
	s_cbranch_scc0 .LBB465_1744
; %bb.1743:
	v_mov_b32_e32 v2, 0
	v_mov_b32_e32 v3, v2
	global_store_dwordx4 v[18:19], v[0:3], off
	s_mov_b64 s[0:1], 0
.LBB465_1744:
	s_andn2_b64 vcc, exec, s[0:1]
	s_cbranch_vccnz .LBB465_1746
; %bb.1745:
	v_cvt_f32_f64_e32 v2, v[0:1]
	v_mov_b32_e32 v3, 0
	global_store_dwordx2 v[18:19], v[2:3], off
.LBB465_1746:
	s_mov_b64 s[0:1], 0
.LBB465_1747:
	s_andn2_b64 vcc, exec, s[0:1]
	s_cbranch_vccnz .LBB465_1749
; %bb.1748:
	s_movk_i32 s0, 0x1ff
	v_and_or_b32 v2, v1, s0, v0
	v_cmp_ne_u32_e32 vcc, 0, v2
	v_lshrrev_b32_e32 v3, 8, v1
	s_movk_i32 s0, 0xffe
	v_cndmask_b32_e64 v2, 0, 1, vcc
	v_bfe_u32 v5, v1, 20, 11
	v_and_or_b32 v2, v3, s0, v2
	v_sub_u32_e32 v7, 0x3f1, v5
	v_or_b32_e32 v3, 0x1000, v2
	v_med3_i32 v7, v7, 0, 13
	v_lshrrev_b32_e32 v9, v7, v3
	v_lshlrev_b32_e32 v7, v7, v9
	v_cmp_ne_u32_e32 vcc, v7, v3
	v_add_u32_e32 v5, 0xfffffc10, v5
	v_lshl_or_b32 v7, v5, 12, v2
	v_cndmask_b32_e64 v3, 0, 1, vcc
	v_or_b32_e32 v3, v9, v3
	v_cmp_gt_i32_e32 vcc, 1, v5
	s_movk_i32 s0, 0x40f
	s_nop 0
	v_cndmask_b32_e32 v3, v7, v3, vcc
	v_and_b32_e32 v7, 7, v3
	v_cmp_lt_i32_e32 vcc, 5, v7
	v_lshrrev_b32_e32 v3, 2, v3
	s_nop 0
	v_cndmask_b32_e64 v9, 0, 1, vcc
	v_cmp_eq_u32_e32 vcc, 3, v7
	s_nop 1
	v_cndmask_b32_e64 v7, 0, 1, vcc
	v_or_b32_e32 v7, v7, v9
	v_add_u32_e32 v3, v3, v7
	v_mov_b32_e32 v7, 0x7c00
	v_cmp_gt_i32_e32 vcc, 31, v5
	v_mov_b32_e32 v9, 0x7e00
	s_nop 0
	v_cndmask_b32_e32 v3, v7, v3, vcc
	v_cmp_ne_u32_e32 vcc, 0, v2
	s_nop 1
	v_cndmask_b32_e32 v2, v7, v9, vcc
	v_cmp_eq_u32_e32 vcc, s0, v5
	s_mov_b32 s0, 0x8000
	s_nop 0
	v_cndmask_b32_e32 v2, v3, v2, vcc
	v_and_b32_sdwa v3, v1, s0 dst_sel:DWORD dst_unused:UNUSED_PAD src0_sel:WORD_1 src1_sel:DWORD
	s_mov_b32 s0, 0xffff
	v_bitop3_b32 v2, v3, s0, v2 bitop3:0xc8
	global_store_dword v[18:19], v2, off
.LBB465_1749:
	s_mov_b64 s[0:1], 0
.LBB465_1750:
	s_andn2_b64 vcc, exec, s[0:1]
	s_cbranch_vccnz .LBB465_1759
; %bb.1751:
	s_cmp_lt_i32 s6, 6
	s_mov_b64 s[0:1], -1
	s_cbranch_scc1 .LBB465_1757
; %bb.1752:
	s_cmp_gt_i32 s6, 6
	s_cbranch_scc0 .LBB465_1754
; %bb.1753:
	global_store_dwordx2 v[18:19], v[0:1], off
	s_mov_b64 s[0:1], 0
.LBB465_1754:
	s_andn2_b64 vcc, exec, s[0:1]
	s_cbranch_vccnz .LBB465_1756
; %bb.1755:
	v_cvt_f32_f64_e32 v2, v[0:1]
	global_store_dword v[18:19], v2, off
.LBB465_1756:
	s_mov_b64 s[0:1], 0
.LBB465_1757:
	s_andn2_b64 vcc, exec, s[0:1]
	s_cbranch_vccnz .LBB465_1759
; %bb.1758:
	s_movk_i32 s0, 0x1ff
	v_and_or_b32 v2, v1, s0, v0
	v_cmp_ne_u32_e32 vcc, 0, v2
	v_lshrrev_b32_e32 v3, 8, v1
	s_movk_i32 s0, 0xffe
	v_cndmask_b32_e64 v2, 0, 1, vcc
	v_bfe_u32 v5, v1, 20, 11
	v_and_or_b32 v2, v3, s0, v2
	v_sub_u32_e32 v7, 0x3f1, v5
	v_or_b32_e32 v3, 0x1000, v2
	v_med3_i32 v7, v7, 0, 13
	v_lshrrev_b32_e32 v9, v7, v3
	v_lshlrev_b32_e32 v7, v7, v9
	v_cmp_ne_u32_e32 vcc, v7, v3
	v_add_u32_e32 v5, 0xfffffc10, v5
	v_lshl_or_b32 v7, v5, 12, v2
	v_cndmask_b32_e64 v3, 0, 1, vcc
	v_or_b32_e32 v3, v9, v3
	v_cmp_gt_i32_e32 vcc, 1, v5
	s_movk_i32 s0, 0x40f
	s_nop 0
	v_cndmask_b32_e32 v3, v7, v3, vcc
	v_and_b32_e32 v7, 7, v3
	v_cmp_lt_i32_e32 vcc, 5, v7
	v_lshrrev_b32_e32 v3, 2, v3
	s_nop 0
	v_cndmask_b32_e64 v9, 0, 1, vcc
	v_cmp_eq_u32_e32 vcc, 3, v7
	s_nop 1
	v_cndmask_b32_e64 v7, 0, 1, vcc
	v_or_b32_e32 v7, v7, v9
	v_add_u32_e32 v3, v3, v7
	v_mov_b32_e32 v7, 0x7c00
	v_cmp_gt_i32_e32 vcc, 31, v5
	v_mov_b32_e32 v9, 0x7e00
	s_nop 0
	v_cndmask_b32_e32 v3, v7, v3, vcc
	v_cmp_ne_u32_e32 vcc, 0, v2
	s_nop 1
	v_cndmask_b32_e32 v2, v7, v9, vcc
	v_cmp_eq_u32_e32 vcc, s0, v5
	s_mov_b32 s0, 0x8000
	s_nop 0
	v_cndmask_b32_e32 v2, v3, v2, vcc
	v_lshrrev_b32_e32 v3, 16, v1
	v_and_or_b32 v2, v3, s0, v2
	global_store_short v[18:19], v2, off
.LBB465_1759:
	s_mov_b64 s[0:1], 0
.LBB465_1760:
	s_andn2_b64 vcc, exec, s[0:1]
	s_cbranch_vccnz .LBB465_1776
; %bb.1761:
	s_cmp_lt_i32 s6, 2
	s_mov_b64 s[0:1], -1
	s_cbranch_scc1 .LBB465_1771
; %bb.1762:
	s_cmp_lt_i32 s6, 3
	s_cbranch_scc1 .LBB465_1768
; %bb.1763:
	s_cmp_gt_i32 s6, 3
	s_cbranch_scc0 .LBB465_1765
; %bb.1764:
	v_trunc_f64_e32 v[2:3], v[0:1]
	s_movk_i32 s0, 0xffe0
	v_ldexp_f64 v[20:21], v[2:3], s0
	v_floor_f64_e32 v[20:21], v[20:21]
	v_fmac_f64_e32 v[2:3], 0xc1f00000, v[20:21]
	v_cvt_i32_f64_e32 v23, v[20:21]
	v_cvt_u32_f64_e32 v22, v[2:3]
	global_store_dwordx2 v[18:19], v[22:23], off
	s_mov_b64 s[0:1], 0
.LBB465_1765:
	s_andn2_b64 vcc, exec, s[0:1]
	s_cbranch_vccnz .LBB465_1767
; %bb.1766:
	v_cvt_i32_f64_e32 v2, v[0:1]
	global_store_dword v[18:19], v2, off
.LBB465_1767:
	s_mov_b64 s[0:1], 0
.LBB465_1768:
	s_andn2_b64 vcc, exec, s[0:1]
	s_cbranch_vccnz .LBB465_1770
; %bb.1769:
	v_cvt_i32_f64_e32 v2, v[0:1]
	global_store_short v[18:19], v2, off
.LBB465_1770:
	s_mov_b64 s[0:1], 0
.LBB465_1771:
	s_andn2_b64 vcc, exec, s[0:1]
	s_cbranch_vccnz .LBB465_1776
; %bb.1772:
	s_cmp_gt_i32 s6, 0
	s_mov_b64 s[0:1], -1
	s_cbranch_scc0 .LBB465_1774
; %bb.1773:
	v_cvt_i32_f64_e32 v2, v[0:1]
	global_store_byte v[18:19], v2, off
	s_mov_b64 s[0:1], 0
.LBB465_1774:
	s_andn2_b64 vcc, exec, s[0:1]
	s_cbranch_vccnz .LBB465_1776
; %bb.1775:
	v_trunc_f64_e32 v[0:1], v[0:1]
	s_movk_i32 s0, 0xffe0
	v_ldexp_f64 v[2:3], v[0:1], s0
	v_floor_f64_e32 v[2:3], v[2:3]
	v_fmac_f64_e32 v[0:1], 0xc1f00000, v[2:3]
	v_cvt_u32_f64_e32 v0, v[0:1]
	global_store_byte v[18:19], v0, off
.LBB465_1776:
	s_mov_b64 s[8:9], -1
.LBB465_1777:
	s_andn2_b64 vcc, exec, s[8:9]
	s_cbranch_vccnz .LBB465_2092
; %bb.1778:
	v_max_f64 v[0:1], v[14:15], v[14:15]
	v_min_f64 v[0:1], v[0:1], v[16:17]
	v_cmp_u_f64_e32 vcc, v[14:15], v[14:15]
	v_mov_b32_e32 v9, 0
	s_and_b32 s15, 0xffff, s14
	v_cndmask_b32_e32 v1, v1, v15, vcc
	v_cndmask_b32_e32 v0, v0, v14, vcc
	s_cmp_lt_i32 s15, 11
	v_lshl_add_u64 v[8:9], s[4:5], 0, v[8:9]
	s_cbranch_scc1 .LBB465_1856
; %bb.1779:
	s_mov_b64 s[10:11], -1
	s_mov_b64 s[6:7], 0
	s_cmp_gt_i32 s15, 25
	s_mov_b64 s[8:9], 0
	s_mov_b64 s[0:1], 0
	s_cbranch_scc0 .LBB465_1812
; %bb.1780:
	s_cmp_gt_i32 s15, 28
	s_cbranch_scc0 .LBB465_1795
; %bb.1781:
	s_cmp_gt_i32 s15, 43
	;; [unrolled: 3-line block ×3, first 2 shown]
	s_cbranch_scc0 .LBB465_1785
; %bb.1783:
	s_mov_b64 s[0:1], -1
	s_mov_b64 s[10:11], 0
	s_cmp_eq_u32 s15, 46
	s_cbranch_scc0 .LBB465_1785
; %bb.1784:
	v_cvt_f32_f64_e32 v2, v[0:1]
	v_bfe_u32 v3, v2, 16, 1
	s_movk_i32 s0, 0x7fff
	v_add3_u32 v3, v2, v3, s0
	v_cmp_o_f32_e32 vcc, v2, v2
	v_mov_b32_e32 v2, 0x7fc0
	s_mov_b64 s[0:1], 0
	v_cndmask_b32_sdwa v2, v2, v3, vcc dst_sel:DWORD dst_unused:UNUSED_PAD src0_sel:DWORD src1_sel:WORD_1
	global_store_dword v[8:9], v2, off
	s_mov_b64 s[8:9], -1
.LBB465_1785:
	s_and_b64 vcc, exec, s[10:11]
	s_cbranch_vccz .LBB465_1790
; %bb.1786:
	s_cmp_eq_u32 s15, 44
	s_mov_b64 s[0:1], -1
	s_cbranch_scc0 .LBB465_1790
; %bb.1787:
	v_cvt_f32_f64_e32 v2, v[0:1]
	v_bfe_u32 v3, v2, 23, 8
	s_movk_i32 s0, 0xff
	v_cmp_ne_u32_e32 vcc, s0, v3
	v_mov_b32_e32 v5, 0xff
	s_and_saveexec_b64 s[8:9], vcc
; %bb.1788:
	s_mov_b32 s0, 0x3fffff
	v_lshrrev_b32_e32 v5, 23, v2
	v_and_b32_e32 v7, 0x400000, v2
	v_and_or_b32 v2, v2, s0, v3
	v_cmp_ne_u32_e32 vcc, 0, v7
	v_cmp_ne_u32_e64 s[0:1], 0, v2
	s_and_b64 s[0:1], vcc, s[0:1]
	s_nop 0
	v_cndmask_b32_e64 v2, 0, 1, s[0:1]
	v_add_u32_e32 v5, v5, v2
; %bb.1789:
	s_or_b64 exec, exec, s[8:9]
	s_mov_b64 s[0:1], 0
	s_mov_b64 s[8:9], -1
	global_store_byte v[8:9], v5, off
.LBB465_1790:
	s_mov_b64 s[10:11], 0
.LBB465_1791:
	s_and_b64 vcc, exec, s[10:11]
	s_cbranch_vccz .LBB465_1794
; %bb.1792:
	s_cmp_eq_u32 s15, 29
	s_mov_b64 s[0:1], -1
	s_cbranch_scc0 .LBB465_1794
; %bb.1793:
	v_trunc_f64_e32 v[2:3], v[0:1]
	s_movk_i32 s0, 0xffe0
	v_ldexp_f64 v[14:15], v[2:3], s0
	v_floor_f64_e32 v[14:15], v[14:15]
	v_fmac_f64_e32 v[2:3], 0xc1f00000, v[14:15]
	v_cvt_u32_f64_e32 v19, v[14:15]
	v_cvt_u32_f64_e32 v18, v[2:3]
	global_store_dwordx2 v[8:9], v[18:19], off
	s_mov_b64 s[0:1], 0
	s_mov_b64 s[8:9], -1
.LBB465_1794:
	s_mov_b64 s[10:11], 0
.LBB465_1795:
	s_and_b64 vcc, exec, s[10:11]
	s_cbranch_vccz .LBB465_1811
; %bb.1796:
	s_cmp_lt_i32 s15, 27
	s_mov_b64 s[8:9], -1
	s_cbranch_scc1 .LBB465_1802
; %bb.1797:
	s_cmp_gt_i32 s15, 27
	s_cbranch_scc0 .LBB465_1799
; %bb.1798:
	v_cvt_u32_f64_e32 v2, v[0:1]
	s_mov_b64 s[8:9], 0
	global_store_dword v[8:9], v2, off
.LBB465_1799:
	s_andn2_b64 vcc, exec, s[8:9]
	s_cbranch_vccnz .LBB465_1801
; %bb.1800:
	v_cvt_u32_f64_e32 v2, v[0:1]
	global_store_short v[8:9], v2, off
.LBB465_1801:
	s_mov_b64 s[8:9], 0
.LBB465_1802:
	s_andn2_b64 vcc, exec, s[8:9]
	s_cbranch_vccnz .LBB465_1810
; %bb.1803:
	v_cvt_f32_f64_e32 v2, v[0:1]
	v_and_b32_e32 v3, 0x7fffffff, v2
	s_mov_b32 s8, 0x43800000
	v_cmp_gt_u32_e32 vcc, s8, v3
	v_mov_b32_e32 v5, 0x80
	s_and_saveexec_b64 s[8:9], vcc
	s_cbranch_execz .LBB465_1809
; %bb.1804:
	s_mov_b32 s10, 0x3bffffff
	v_cmp_lt_u32_e32 vcc, s10, v3
	s_mov_b64 s[10:11], 0
                                        ; implicit-def: $vgpr3
	s_and_saveexec_b64 s[12:13], vcc
	s_xor_b64 s[12:13], exec, s[12:13]
	s_cbranch_execz .LBB465_2144
; %bb.1805:
	v_bfe_u32 v3, v2, 20, 1
	s_mov_b32 s16, 0x487ffff
	v_add3_u32 v3, v2, v3, s16
	s_mov_b64 s[10:11], exec
	v_lshrrev_b32_e32 v3, 20, v3
	s_andn2_saveexec_b64 s[12:13], s[12:13]
	s_cbranch_execnz .LBB465_2145
.LBB465_1806:
	s_or_b64 exec, exec, s[12:13]
	v_mov_b32_e32 v5, 0
	s_and_saveexec_b64 s[12:13], s[10:11]
.LBB465_1807:
	v_lshrrev_b32_e32 v2, 24, v2
	s_movk_i32 s10, 0x80
	v_and_or_b32 v5, v2, s10, v3
.LBB465_1808:
	s_or_b64 exec, exec, s[12:13]
.LBB465_1809:
	s_or_b64 exec, exec, s[8:9]
	global_store_byte v[8:9], v5, off
.LBB465_1810:
	s_mov_b64 s[8:9], -1
.LBB465_1811:
	s_mov_b64 s[10:11], 0
.LBB465_1812:
	s_and_b64 vcc, exec, s[10:11]
	s_cbranch_vccz .LBB465_1852
; %bb.1813:
	s_cmp_gt_i32 s15, 22
	s_mov_b64 s[6:7], -1
	s_cbranch_scc0 .LBB465_1845
; %bb.1814:
	s_cmp_lt_i32 s15, 24
	s_cbranch_scc1 .LBB465_1834
; %bb.1815:
	s_cmp_gt_i32 s15, 24
	s_cbranch_scc0 .LBB465_1823
; %bb.1816:
	v_cvt_f32_f64_e32 v2, v[0:1]
	v_and_b32_e32 v3, 0x7fffffff, v2
	s_mov_b32 s6, 0x47800000
	v_cmp_gt_u32_e32 vcc, s6, v3
	v_mov_b32_e32 v5, 0x80
	s_and_saveexec_b64 s[6:7], vcc
	s_cbranch_execz .LBB465_1822
; %bb.1817:
	s_mov_b32 s8, 0x37ffffff
	v_cmp_lt_u32_e32 vcc, s8, v3
	s_mov_b64 s[8:9], 0
                                        ; implicit-def: $vgpr3
	s_and_saveexec_b64 s[10:11], vcc
	s_xor_b64 s[10:11], exec, s[10:11]
	s_cbranch_execz .LBB465_2147
; %bb.1818:
	v_bfe_u32 v3, v2, 21, 1
	s_mov_b32 s12, 0x88fffff
	v_add3_u32 v3, v2, v3, s12
	s_mov_b64 s[8:9], exec
	v_lshrrev_b32_e32 v3, 21, v3
	s_andn2_saveexec_b64 s[10:11], s[10:11]
	s_cbranch_execnz .LBB465_2148
.LBB465_1819:
	s_or_b64 exec, exec, s[10:11]
	v_mov_b32_e32 v5, 0
	s_and_saveexec_b64 s[10:11], s[8:9]
.LBB465_1820:
	v_lshrrev_b32_e32 v2, 24, v2
	s_movk_i32 s8, 0x80
	v_and_or_b32 v5, v2, s8, v3
.LBB465_1821:
	s_or_b64 exec, exec, s[10:11]
.LBB465_1822:
	s_or_b64 exec, exec, s[6:7]
	s_mov_b64 s[6:7], 0
	global_store_byte v[8:9], v5, off
.LBB465_1823:
	s_and_b64 vcc, exec, s[6:7]
	s_cbranch_vccz .LBB465_1833
; %bb.1824:
	v_cvt_f32_f64_e32 v2, v[0:1]
	v_and_b32_e32 v5, 0x7fffffff, v2
	s_mov_b32 s6, 0x43f00000
	v_cmp_gt_u32_e32 vcc, s6, v5
                                        ; implicit-def: $vgpr3
	s_and_saveexec_b64 s[6:7], vcc
	s_xor_b64 s[6:7], exec, s[6:7]
	s_cbranch_execz .LBB465_1830
; %bb.1825:
	s_mov_b32 s8, 0x3c7fffff
	v_cmp_lt_u32_e32 vcc, s8, v5
                                        ; implicit-def: $vgpr3
	s_and_saveexec_b64 s[8:9], vcc
	s_xor_b64 s[8:9], exec, s[8:9]
; %bb.1826:
	v_bfe_u32 v3, v2, 20, 1
	s_mov_b32 s10, 0x407ffff
	v_add3_u32 v3, v2, v3, s10
	v_lshrrev_b32_e32 v5, 20, v3
	v_and_b32_e32 v3, 0xff00000, v3
	s_mov_b32 s10, 0x7f00000
	v_mov_b32_e32 v7, 0x7e
	v_cmp_ne_u32_e32 vcc, s10, v3
	s_nop 1
	v_cndmask_b32_e32 v3, v7, v5, vcc
; %bb.1827:
	s_andn2_saveexec_b64 s[8:9], s[8:9]
; %bb.1828:
	s_mov_b32 s10, 0x46800000
	v_add_f32_e64 v3, |v2|, s10
; %bb.1829:
	s_or_b64 exec, exec, s[8:9]
                                        ; implicit-def: $vgpr5
.LBB465_1830:
	s_andn2_saveexec_b64 s[6:7], s[6:7]
; %bb.1831:
	s_mov_b32 s8, 0x7f800000
	v_mov_b32_e32 v3, 0x7e
	v_mov_b32_e32 v7, 0x7f
	v_cmp_lt_u32_e32 vcc, s8, v5
	s_nop 1
	v_cndmask_b32_e32 v3, v3, v7, vcc
; %bb.1832:
	s_or_b64 exec, exec, s[6:7]
	v_lshrrev_b32_e32 v2, 24, v2
	s_movk_i32 s6, 0x80
	v_and_or_b32 v2, v2, s6, v3
	global_store_byte v[8:9], v2, off
.LBB465_1833:
	s_mov_b64 s[6:7], 0
.LBB465_1834:
	s_andn2_b64 vcc, exec, s[6:7]
	s_cbranch_vccnz .LBB465_1844
; %bb.1835:
	v_cvt_f32_f64_e32 v2, v[0:1]
	v_and_b32_e32 v5, 0x7fffffff, v2
	s_mov_b32 s6, 0x47800000
	v_cmp_gt_u32_e32 vcc, s6, v5
                                        ; implicit-def: $vgpr3
	s_and_saveexec_b64 s[6:7], vcc
	s_xor_b64 s[6:7], exec, s[6:7]
	s_cbranch_execz .LBB465_1841
; %bb.1836:
	s_mov_b32 s8, 0x387fffff
	v_cmp_lt_u32_e32 vcc, s8, v5
                                        ; implicit-def: $vgpr3
	s_and_saveexec_b64 s[8:9], vcc
	s_xor_b64 s[8:9], exec, s[8:9]
; %bb.1837:
	v_bfe_u32 v3, v2, 21, 1
	s_mov_b32 s10, 0x80fffff
	v_add3_u32 v3, v2, v3, s10
	v_lshrrev_b32_e32 v3, 21, v3
; %bb.1838:
	s_andn2_saveexec_b64 s[8:9], s[8:9]
; %bb.1839:
	s_mov_b32 s10, 0x43000000
	v_add_f32_e64 v3, |v2|, s10
; %bb.1840:
	s_or_b64 exec, exec, s[8:9]
                                        ; implicit-def: $vgpr5
.LBB465_1841:
	s_andn2_saveexec_b64 s[6:7], s[6:7]
; %bb.1842:
	s_mov_b32 s8, 0x7f800000
	v_mov_b32_e32 v3, 0x7c
	v_mov_b32_e32 v7, 0x7f
	v_cmp_lt_u32_e32 vcc, s8, v5
	s_nop 1
	v_cndmask_b32_e32 v3, v3, v7, vcc
; %bb.1843:
	s_or_b64 exec, exec, s[6:7]
	v_lshrrev_b32_e32 v2, 24, v2
	s_movk_i32 s6, 0x80
	v_and_or_b32 v2, v2, s6, v3
	global_store_byte v[8:9], v2, off
.LBB465_1844:
	s_mov_b64 s[6:7], 0
	s_mov_b64 s[8:9], -1
.LBB465_1845:
	s_andn2_b64 vcc, exec, s[6:7]
	s_mov_b64 s[6:7], 0
	s_cbranch_vccnz .LBB465_1852
; %bb.1846:
	s_cmp_gt_i32 s15, 14
	s_mov_b64 s[10:11], -1
	s_cbranch_scc0 .LBB465_1850
; %bb.1847:
	s_cmp_eq_u32 s15, 15
	s_mov_b64 s[0:1], -1
	s_cbranch_scc0 .LBB465_1849
; %bb.1848:
	v_cvt_f32_f64_e32 v2, v[0:1]
	v_bfe_u32 v3, v2, 16, 1
	s_movk_i32 s0, 0x7fff
	v_add3_u32 v3, v2, v3, s0
	v_cmp_o_f32_e32 vcc, v2, v2
	v_mov_b32_e32 v2, 0x7fc0
	s_mov_b64 s[0:1], 0
	v_cndmask_b32_sdwa v2, v2, v3, vcc dst_sel:DWORD dst_unused:UNUSED_PAD src0_sel:DWORD src1_sel:WORD_1
	global_store_short v[8:9], v2, off
	s_mov_b64 s[8:9], -1
.LBB465_1849:
	s_mov_b64 s[10:11], 0
.LBB465_1850:
	s_and_b64 vcc, exec, s[10:11]
	s_cbranch_vccz .LBB465_1852
; %bb.1851:
	s_cmp_lg_u32 s15, 11
	s_mov_b64 s[6:7], -1
	s_cselect_b64 s[0:1], -1, 0
.LBB465_1852:
	s_and_b64 vcc, exec, s[0:1]
	s_cbranch_vccnz .LBB465_2146
; %bb.1853:
	s_andn2_b64 vcc, exec, s[6:7]
	s_cbranch_vccnz .LBB465_1855
.LBB465_1854:
	v_cmp_neq_f64_e32 vcc, 0, v[0:1]
	s_mov_b64 s[8:9], -1
	s_nop 0
	v_cndmask_b32_e64 v2, 0, 1, vcc
	global_store_byte v[8:9], v2, off
.LBB465_1855:
	s_mov_b64 s[0:1], 0
	s_branch .LBB465_1857
.LBB465_1856:
	s_mov_b64 s[0:1], -1
	s_mov_b64 s[8:9], 0
.LBB465_1857:
	s_and_b64 vcc, exec, s[0:1]
	s_cbranch_vccz .LBB465_1896
; %bb.1858:
	s_cmp_lt_i32 s15, 5
	s_mov_b64 s[0:1], -1
	s_cbranch_scc1 .LBB465_1879
; %bb.1859:
	s_cmp_lt_i32 s15, 8
	s_cbranch_scc1 .LBB465_1869
; %bb.1860:
	s_cmp_lt_i32 s15, 9
	s_cbranch_scc1 .LBB465_1866
; %bb.1861:
	s_cmp_gt_i32 s15, 9
	s_cbranch_scc0 .LBB465_1863
; %bb.1862:
	v_mov_b32_e32 v2, 0
	v_mov_b32_e32 v3, v2
	global_store_dwordx4 v[8:9], v[0:3], off
	s_mov_b64 s[0:1], 0
.LBB465_1863:
	s_andn2_b64 vcc, exec, s[0:1]
	s_cbranch_vccnz .LBB465_1865
; %bb.1864:
	v_cvt_f32_f64_e32 v2, v[0:1]
	v_mov_b32_e32 v3, 0
	global_store_dwordx2 v[8:9], v[2:3], off
.LBB465_1865:
	s_mov_b64 s[0:1], 0
.LBB465_1866:
	s_andn2_b64 vcc, exec, s[0:1]
	s_cbranch_vccnz .LBB465_1868
; %bb.1867:
	s_movk_i32 s0, 0x1ff
	v_and_or_b32 v2, v1, s0, v0
	v_cmp_ne_u32_e32 vcc, 0, v2
	v_lshrrev_b32_e32 v3, 8, v1
	s_movk_i32 s0, 0xffe
	v_cndmask_b32_e64 v2, 0, 1, vcc
	v_bfe_u32 v5, v1, 20, 11
	v_and_or_b32 v2, v3, s0, v2
	v_sub_u32_e32 v7, 0x3f1, v5
	v_or_b32_e32 v3, 0x1000, v2
	v_med3_i32 v7, v7, 0, 13
	v_lshrrev_b32_e32 v14, v7, v3
	v_lshlrev_b32_e32 v7, v7, v14
	v_cmp_ne_u32_e32 vcc, v7, v3
	v_add_u32_e32 v5, 0xfffffc10, v5
	v_lshl_or_b32 v7, v5, 12, v2
	v_cndmask_b32_e64 v3, 0, 1, vcc
	v_or_b32_e32 v3, v14, v3
	v_cmp_gt_i32_e32 vcc, 1, v5
	s_movk_i32 s0, 0x40f
	s_nop 0
	v_cndmask_b32_e32 v3, v7, v3, vcc
	v_and_b32_e32 v7, 7, v3
	v_cmp_lt_i32_e32 vcc, 5, v7
	v_lshrrev_b32_e32 v3, 2, v3
	s_nop 0
	v_cndmask_b32_e64 v14, 0, 1, vcc
	v_cmp_eq_u32_e32 vcc, 3, v7
	s_nop 1
	v_cndmask_b32_e64 v7, 0, 1, vcc
	v_or_b32_e32 v7, v7, v14
	v_add_u32_e32 v3, v3, v7
	v_mov_b32_e32 v7, 0x7c00
	v_cmp_gt_i32_e32 vcc, 31, v5
	v_mov_b32_e32 v14, 0x7e00
	s_nop 0
	v_cndmask_b32_e32 v3, v7, v3, vcc
	v_cmp_ne_u32_e32 vcc, 0, v2
	s_nop 1
	v_cndmask_b32_e32 v2, v7, v14, vcc
	v_cmp_eq_u32_e32 vcc, s0, v5
	s_mov_b32 s0, 0x8000
	s_nop 0
	v_cndmask_b32_e32 v2, v3, v2, vcc
	v_and_b32_sdwa v3, v1, s0 dst_sel:DWORD dst_unused:UNUSED_PAD src0_sel:WORD_1 src1_sel:DWORD
	s_mov_b32 s0, 0xffff
	v_bitop3_b32 v2, v3, s0, v2 bitop3:0xc8
	global_store_dword v[8:9], v2, off
.LBB465_1868:
	s_mov_b64 s[0:1], 0
.LBB465_1869:
	s_andn2_b64 vcc, exec, s[0:1]
	s_cbranch_vccnz .LBB465_1878
; %bb.1870:
	s_cmp_lt_i32 s15, 6
	s_mov_b64 s[0:1], -1
	s_cbranch_scc1 .LBB465_1876
; %bb.1871:
	s_cmp_gt_i32 s15, 6
	s_cbranch_scc0 .LBB465_1873
; %bb.1872:
	global_store_dwordx2 v[8:9], v[0:1], off
	s_mov_b64 s[0:1], 0
.LBB465_1873:
	s_andn2_b64 vcc, exec, s[0:1]
	s_cbranch_vccnz .LBB465_1875
; %bb.1874:
	v_cvt_f32_f64_e32 v2, v[0:1]
	global_store_dword v[8:9], v2, off
.LBB465_1875:
	s_mov_b64 s[0:1], 0
.LBB465_1876:
	s_andn2_b64 vcc, exec, s[0:1]
	s_cbranch_vccnz .LBB465_1878
; %bb.1877:
	s_movk_i32 s0, 0x1ff
	v_and_or_b32 v2, v1, s0, v0
	v_cmp_ne_u32_e32 vcc, 0, v2
	v_lshrrev_b32_e32 v3, 8, v1
	s_movk_i32 s0, 0xffe
	v_cndmask_b32_e64 v2, 0, 1, vcc
	v_bfe_u32 v5, v1, 20, 11
	v_and_or_b32 v2, v3, s0, v2
	v_sub_u32_e32 v7, 0x3f1, v5
	v_or_b32_e32 v3, 0x1000, v2
	v_med3_i32 v7, v7, 0, 13
	v_lshrrev_b32_e32 v14, v7, v3
	v_lshlrev_b32_e32 v7, v7, v14
	v_cmp_ne_u32_e32 vcc, v7, v3
	v_add_u32_e32 v5, 0xfffffc10, v5
	v_lshl_or_b32 v7, v5, 12, v2
	v_cndmask_b32_e64 v3, 0, 1, vcc
	v_or_b32_e32 v3, v14, v3
	v_cmp_gt_i32_e32 vcc, 1, v5
	s_movk_i32 s0, 0x40f
	s_nop 0
	v_cndmask_b32_e32 v3, v7, v3, vcc
	v_and_b32_e32 v7, 7, v3
	v_cmp_lt_i32_e32 vcc, 5, v7
	v_lshrrev_b32_e32 v3, 2, v3
	s_nop 0
	v_cndmask_b32_e64 v14, 0, 1, vcc
	v_cmp_eq_u32_e32 vcc, 3, v7
	s_nop 1
	v_cndmask_b32_e64 v7, 0, 1, vcc
	v_or_b32_e32 v7, v7, v14
	v_add_u32_e32 v3, v3, v7
	v_mov_b32_e32 v7, 0x7c00
	v_cmp_gt_i32_e32 vcc, 31, v5
	v_mov_b32_e32 v14, 0x7e00
	s_nop 0
	v_cndmask_b32_e32 v3, v7, v3, vcc
	v_cmp_ne_u32_e32 vcc, 0, v2
	s_nop 1
	v_cndmask_b32_e32 v2, v7, v14, vcc
	v_cmp_eq_u32_e32 vcc, s0, v5
	s_mov_b32 s0, 0x8000
	s_nop 0
	v_cndmask_b32_e32 v2, v3, v2, vcc
	v_lshrrev_b32_e32 v3, 16, v1
	v_and_or_b32 v2, v3, s0, v2
	global_store_short v[8:9], v2, off
.LBB465_1878:
	s_mov_b64 s[0:1], 0
.LBB465_1879:
	s_andn2_b64 vcc, exec, s[0:1]
	s_cbranch_vccnz .LBB465_1895
; %bb.1880:
	s_cmp_lt_i32 s15, 2
	s_mov_b64 s[0:1], -1
	s_cbranch_scc1 .LBB465_1890
; %bb.1881:
	s_cmp_lt_i32 s15, 3
	s_cbranch_scc1 .LBB465_1887
; %bb.1882:
	s_cmp_gt_i32 s15, 3
	s_cbranch_scc0 .LBB465_1884
; %bb.1883:
	v_trunc_f64_e32 v[2:3], v[0:1]
	s_movk_i32 s0, 0xffe0
	v_ldexp_f64 v[14:15], v[2:3], s0
	v_floor_f64_e32 v[14:15], v[14:15]
	v_fmac_f64_e32 v[2:3], 0xc1f00000, v[14:15]
	v_cvt_i32_f64_e32 v19, v[14:15]
	v_cvt_u32_f64_e32 v18, v[2:3]
	global_store_dwordx2 v[8:9], v[18:19], off
	s_mov_b64 s[0:1], 0
.LBB465_1884:
	s_andn2_b64 vcc, exec, s[0:1]
	s_cbranch_vccnz .LBB465_1886
; %bb.1885:
	v_cvt_i32_f64_e32 v2, v[0:1]
	global_store_dword v[8:9], v2, off
.LBB465_1886:
	s_mov_b64 s[0:1], 0
.LBB465_1887:
	s_andn2_b64 vcc, exec, s[0:1]
	s_cbranch_vccnz .LBB465_1889
; %bb.1888:
	v_cvt_i32_f64_e32 v2, v[0:1]
	global_store_short v[8:9], v2, off
.LBB465_1889:
	s_mov_b64 s[0:1], 0
.LBB465_1890:
	s_andn2_b64 vcc, exec, s[0:1]
	s_cbranch_vccnz .LBB465_1895
; %bb.1891:
	s_cmp_gt_i32 s15, 0
	s_mov_b64 s[0:1], -1
	s_cbranch_scc0 .LBB465_1893
; %bb.1892:
	v_cvt_i32_f64_e32 v2, v[0:1]
	global_store_byte v[8:9], v2, off
	s_mov_b64 s[0:1], 0
.LBB465_1893:
	s_andn2_b64 vcc, exec, s[0:1]
	s_cbranch_vccnz .LBB465_1895
; %bb.1894:
	v_trunc_f64_e32 v[0:1], v[0:1]
	s_movk_i32 s0, 0xffe0
	v_ldexp_f64 v[2:3], v[0:1], s0
	v_floor_f64_e32 v[2:3], v[2:3]
	v_fmac_f64_e32 v[0:1], 0xc1f00000, v[2:3]
	v_cvt_u32_f64_e32 v0, v[0:1]
	global_store_byte v[8:9], v0, off
.LBB465_1895:
	s_mov_b64 s[8:9], -1
.LBB465_1896:
	s_andn2_b64 vcc, exec, s[8:9]
	s_cbranch_vccnz .LBB465_2092
; %bb.1897:
	v_max_f64 v[0:1], v[12:13], v[12:13]
	v_min_f64 v[0:1], v[0:1], v[16:17]
	v_cmp_u_f64_e32 vcc, v[12:13], v[12:13]
	v_mov_b32_e32 v7, 0
	s_cmp_lt_i32 s15, 11
	v_cndmask_b32_e32 v1, v1, v13, vcc
	v_cndmask_b32_e32 v0, v0, v12, vcc
	v_lshl_add_u64 v[6:7], s[4:5], 0, v[6:7]
	s_cbranch_scc1 .LBB465_1975
; %bb.1898:
	s_mov_b64 s[10:11], -1
	s_mov_b64 s[6:7], 0
	s_cmp_gt_i32 s15, 25
	s_mov_b64 s[8:9], 0
	s_mov_b64 s[0:1], 0
	s_cbranch_scc0 .LBB465_1931
; %bb.1899:
	s_cmp_gt_i32 s15, 28
	s_cbranch_scc0 .LBB465_1914
; %bb.1900:
	s_cmp_gt_i32 s15, 43
	;; [unrolled: 3-line block ×3, first 2 shown]
	s_cbranch_scc0 .LBB465_1904
; %bb.1902:
	s_mov_b64 s[0:1], -1
	s_mov_b64 s[10:11], 0
	s_cmp_eq_u32 s15, 46
	s_cbranch_scc0 .LBB465_1904
; %bb.1903:
	v_cvt_f32_f64_e32 v2, v[0:1]
	v_bfe_u32 v3, v2, 16, 1
	s_movk_i32 s0, 0x7fff
	v_add3_u32 v3, v2, v3, s0
	v_cmp_o_f32_e32 vcc, v2, v2
	v_mov_b32_e32 v2, 0x7fc0
	s_mov_b64 s[0:1], 0
	v_cndmask_b32_sdwa v2, v2, v3, vcc dst_sel:DWORD dst_unused:UNUSED_PAD src0_sel:DWORD src1_sel:WORD_1
	global_store_dword v[6:7], v2, off
	s_mov_b64 s[8:9], -1
.LBB465_1904:
	s_and_b64 vcc, exec, s[10:11]
	s_cbranch_vccz .LBB465_1909
; %bb.1905:
	s_cmp_eq_u32 s15, 44
	s_mov_b64 s[0:1], -1
	s_cbranch_scc0 .LBB465_1909
; %bb.1906:
	v_cvt_f32_f64_e32 v2, v[0:1]
	v_bfe_u32 v3, v2, 23, 8
	s_movk_i32 s0, 0xff
	v_cmp_ne_u32_e32 vcc, s0, v3
	v_mov_b32_e32 v5, 0xff
	s_and_saveexec_b64 s[8:9], vcc
; %bb.1907:
	s_mov_b32 s0, 0x3fffff
	v_lshrrev_b32_e32 v5, 23, v2
	v_and_b32_e32 v8, 0x400000, v2
	v_and_or_b32 v2, v2, s0, v3
	v_cmp_ne_u32_e32 vcc, 0, v8
	v_cmp_ne_u32_e64 s[0:1], 0, v2
	s_and_b64 s[0:1], vcc, s[0:1]
	s_nop 0
	v_cndmask_b32_e64 v2, 0, 1, s[0:1]
	v_add_u32_e32 v5, v5, v2
; %bb.1908:
	s_or_b64 exec, exec, s[8:9]
	s_mov_b64 s[0:1], 0
	s_mov_b64 s[8:9], -1
	global_store_byte v[6:7], v5, off
.LBB465_1909:
	s_mov_b64 s[10:11], 0
.LBB465_1910:
	s_and_b64 vcc, exec, s[10:11]
	s_cbranch_vccz .LBB465_1913
; %bb.1911:
	s_cmp_eq_u32 s15, 29
	s_mov_b64 s[0:1], -1
	s_cbranch_scc0 .LBB465_1913
; %bb.1912:
	v_trunc_f64_e32 v[2:3], v[0:1]
	s_movk_i32 s0, 0xffe0
	v_ldexp_f64 v[8:9], v[2:3], s0
	v_floor_f64_e32 v[8:9], v[8:9]
	v_fmac_f64_e32 v[2:3], 0xc1f00000, v[8:9]
	v_cvt_u32_f64_e32 v13, v[8:9]
	v_cvt_u32_f64_e32 v12, v[2:3]
	global_store_dwordx2 v[6:7], v[12:13], off
	s_mov_b64 s[0:1], 0
	s_mov_b64 s[8:9], -1
.LBB465_1913:
	s_mov_b64 s[10:11], 0
.LBB465_1914:
	s_and_b64 vcc, exec, s[10:11]
	s_cbranch_vccz .LBB465_1930
; %bb.1915:
	s_cmp_lt_i32 s15, 27
	s_mov_b64 s[8:9], -1
	s_cbranch_scc1 .LBB465_1921
; %bb.1916:
	s_cmp_gt_i32 s15, 27
	v_cvt_u32_f64_e32 v2, v[0:1]
	s_cbranch_scc0 .LBB465_1918
; %bb.1917:
	s_mov_b64 s[8:9], 0
	global_store_dword v[6:7], v2, off
.LBB465_1918:
	s_andn2_b64 vcc, exec, s[8:9]
	s_cbranch_vccnz .LBB465_1920
; %bb.1919:
	global_store_short v[6:7], v2, off
.LBB465_1920:
	s_mov_b64 s[8:9], 0
.LBB465_1921:
	s_andn2_b64 vcc, exec, s[8:9]
	s_cbranch_vccnz .LBB465_1929
; %bb.1922:
	v_cvt_f32_f64_e32 v2, v[0:1]
	v_and_b32_e32 v3, 0x7fffffff, v2
	s_mov_b32 s8, 0x43800000
	v_cmp_gt_u32_e32 vcc, s8, v3
	v_mov_b32_e32 v5, 0x80
	s_and_saveexec_b64 s[8:9], vcc
	s_cbranch_execz .LBB465_1928
; %bb.1923:
	s_mov_b32 s10, 0x3bffffff
	v_cmp_lt_u32_e32 vcc, s10, v3
	s_mov_b64 s[10:11], 0
                                        ; implicit-def: $vgpr3
	s_and_saveexec_b64 s[12:13], vcc
	s_xor_b64 s[12:13], exec, s[12:13]
	s_cbranch_execz .LBB465_2149
; %bb.1924:
	v_bfe_u32 v3, v2, 20, 1
	s_mov_b32 s16, 0x487ffff
	v_add3_u32 v3, v2, v3, s16
	s_mov_b64 s[10:11], exec
	v_lshrrev_b32_e32 v3, 20, v3
	s_andn2_saveexec_b64 s[12:13], s[12:13]
	s_cbranch_execnz .LBB465_2150
.LBB465_1925:
	s_or_b64 exec, exec, s[12:13]
	v_mov_b32_e32 v5, 0
	s_and_saveexec_b64 s[12:13], s[10:11]
.LBB465_1926:
	v_lshrrev_b32_e32 v2, 24, v2
	s_movk_i32 s10, 0x80
	v_and_or_b32 v5, v2, s10, v3
.LBB465_1927:
	s_or_b64 exec, exec, s[12:13]
.LBB465_1928:
	s_or_b64 exec, exec, s[8:9]
	global_store_byte v[6:7], v5, off
.LBB465_1929:
	s_mov_b64 s[8:9], -1
.LBB465_1930:
	s_mov_b64 s[10:11], 0
.LBB465_1931:
	s_and_b64 vcc, exec, s[10:11]
	s_cbranch_vccz .LBB465_1971
; %bb.1932:
	s_cmp_gt_i32 s15, 22
	s_mov_b64 s[6:7], -1
	s_cbranch_scc0 .LBB465_1964
; %bb.1933:
	s_cmp_lt_i32 s15, 24
	s_cbranch_scc1 .LBB465_1953
; %bb.1934:
	s_cmp_gt_i32 s15, 24
	s_cbranch_scc0 .LBB465_1942
; %bb.1935:
	v_cvt_f32_f64_e32 v2, v[0:1]
	v_and_b32_e32 v3, 0x7fffffff, v2
	s_mov_b32 s6, 0x47800000
	v_cmp_gt_u32_e32 vcc, s6, v3
	v_mov_b32_e32 v5, 0x80
	s_and_saveexec_b64 s[6:7], vcc
	s_cbranch_execz .LBB465_1941
; %bb.1936:
	s_mov_b32 s8, 0x37ffffff
	v_cmp_lt_u32_e32 vcc, s8, v3
	s_mov_b64 s[8:9], 0
                                        ; implicit-def: $vgpr3
	s_and_saveexec_b64 s[10:11], vcc
	s_xor_b64 s[10:11], exec, s[10:11]
	s_cbranch_execz .LBB465_2152
; %bb.1937:
	v_bfe_u32 v3, v2, 21, 1
	s_mov_b32 s12, 0x88fffff
	v_add3_u32 v3, v2, v3, s12
	s_mov_b64 s[8:9], exec
	v_lshrrev_b32_e32 v3, 21, v3
	s_andn2_saveexec_b64 s[10:11], s[10:11]
	s_cbranch_execnz .LBB465_2153
.LBB465_1938:
	s_or_b64 exec, exec, s[10:11]
	v_mov_b32_e32 v5, 0
	s_and_saveexec_b64 s[10:11], s[8:9]
.LBB465_1939:
	v_lshrrev_b32_e32 v2, 24, v2
	s_movk_i32 s8, 0x80
	v_and_or_b32 v5, v2, s8, v3
.LBB465_1940:
	s_or_b64 exec, exec, s[10:11]
.LBB465_1941:
	s_or_b64 exec, exec, s[6:7]
	s_mov_b64 s[6:7], 0
	global_store_byte v[6:7], v5, off
.LBB465_1942:
	s_and_b64 vcc, exec, s[6:7]
	s_cbranch_vccz .LBB465_1952
; %bb.1943:
	v_cvt_f32_f64_e32 v2, v[0:1]
	v_and_b32_e32 v5, 0x7fffffff, v2
	s_mov_b32 s6, 0x43f00000
	v_cmp_gt_u32_e32 vcc, s6, v5
                                        ; implicit-def: $vgpr3
	s_and_saveexec_b64 s[6:7], vcc
	s_xor_b64 s[6:7], exec, s[6:7]
	s_cbranch_execz .LBB465_1949
; %bb.1944:
	s_mov_b32 s8, 0x3c7fffff
	v_cmp_lt_u32_e32 vcc, s8, v5
                                        ; implicit-def: $vgpr3
	s_and_saveexec_b64 s[8:9], vcc
	s_xor_b64 s[8:9], exec, s[8:9]
; %bb.1945:
	v_bfe_u32 v3, v2, 20, 1
	s_mov_b32 s10, 0x407ffff
	v_add3_u32 v3, v2, v3, s10
	v_lshrrev_b32_e32 v5, 20, v3
	v_and_b32_e32 v3, 0xff00000, v3
	s_mov_b32 s10, 0x7f00000
	v_mov_b32_e32 v8, 0x7e
	v_cmp_ne_u32_e32 vcc, s10, v3
	s_nop 1
	v_cndmask_b32_e32 v3, v8, v5, vcc
; %bb.1946:
	s_andn2_saveexec_b64 s[8:9], s[8:9]
; %bb.1947:
	s_mov_b32 s10, 0x46800000
	v_add_f32_e64 v3, |v2|, s10
; %bb.1948:
	s_or_b64 exec, exec, s[8:9]
                                        ; implicit-def: $vgpr5
.LBB465_1949:
	s_andn2_saveexec_b64 s[6:7], s[6:7]
; %bb.1950:
	s_mov_b32 s8, 0x7f800000
	v_mov_b32_e32 v3, 0x7e
	v_mov_b32_e32 v8, 0x7f
	v_cmp_lt_u32_e32 vcc, s8, v5
	s_nop 1
	v_cndmask_b32_e32 v3, v3, v8, vcc
; %bb.1951:
	s_or_b64 exec, exec, s[6:7]
	v_lshrrev_b32_e32 v2, 24, v2
	s_movk_i32 s6, 0x80
	v_and_or_b32 v2, v2, s6, v3
	global_store_byte v[6:7], v2, off
.LBB465_1952:
	s_mov_b64 s[6:7], 0
.LBB465_1953:
	s_andn2_b64 vcc, exec, s[6:7]
	s_cbranch_vccnz .LBB465_1963
; %bb.1954:
	v_cvt_f32_f64_e32 v2, v[0:1]
	v_and_b32_e32 v5, 0x7fffffff, v2
	s_mov_b32 s6, 0x47800000
	v_cmp_gt_u32_e32 vcc, s6, v5
                                        ; implicit-def: $vgpr3
	s_and_saveexec_b64 s[6:7], vcc
	s_xor_b64 s[6:7], exec, s[6:7]
	s_cbranch_execz .LBB465_1960
; %bb.1955:
	s_mov_b32 s8, 0x387fffff
	v_cmp_lt_u32_e32 vcc, s8, v5
                                        ; implicit-def: $vgpr3
	s_and_saveexec_b64 s[8:9], vcc
	s_xor_b64 s[8:9], exec, s[8:9]
; %bb.1956:
	v_bfe_u32 v3, v2, 21, 1
	s_mov_b32 s10, 0x80fffff
	v_add3_u32 v3, v2, v3, s10
	v_lshrrev_b32_e32 v3, 21, v3
; %bb.1957:
	s_andn2_saveexec_b64 s[8:9], s[8:9]
; %bb.1958:
	s_mov_b32 s10, 0x43000000
	v_add_f32_e64 v3, |v2|, s10
; %bb.1959:
	s_or_b64 exec, exec, s[8:9]
                                        ; implicit-def: $vgpr5
.LBB465_1960:
	s_andn2_saveexec_b64 s[6:7], s[6:7]
; %bb.1961:
	s_mov_b32 s8, 0x7f800000
	v_mov_b32_e32 v3, 0x7c
	v_mov_b32_e32 v8, 0x7f
	v_cmp_lt_u32_e32 vcc, s8, v5
	s_nop 1
	v_cndmask_b32_e32 v3, v3, v8, vcc
; %bb.1962:
	s_or_b64 exec, exec, s[6:7]
	v_lshrrev_b32_e32 v2, 24, v2
	s_movk_i32 s6, 0x80
	v_and_or_b32 v2, v2, s6, v3
	global_store_byte v[6:7], v2, off
.LBB465_1963:
	s_mov_b64 s[6:7], 0
	s_mov_b64 s[8:9], -1
.LBB465_1964:
	s_andn2_b64 vcc, exec, s[6:7]
	s_mov_b64 s[6:7], 0
	s_cbranch_vccnz .LBB465_1971
; %bb.1965:
	s_cmp_gt_i32 s15, 14
	s_mov_b64 s[10:11], -1
	s_cbranch_scc0 .LBB465_1969
; %bb.1966:
	s_cmp_eq_u32 s15, 15
	s_mov_b64 s[0:1], -1
	s_cbranch_scc0 .LBB465_1968
; %bb.1967:
	v_cvt_f32_f64_e32 v2, v[0:1]
	v_bfe_u32 v3, v2, 16, 1
	s_movk_i32 s0, 0x7fff
	v_add3_u32 v3, v2, v3, s0
	v_cmp_o_f32_e32 vcc, v2, v2
	v_mov_b32_e32 v2, 0x7fc0
	s_mov_b64 s[0:1], 0
	v_cndmask_b32_sdwa v2, v2, v3, vcc dst_sel:DWORD dst_unused:UNUSED_PAD src0_sel:DWORD src1_sel:WORD_1
	global_store_short v[6:7], v2, off
	s_mov_b64 s[8:9], -1
.LBB465_1968:
	s_mov_b64 s[10:11], 0
.LBB465_1969:
	s_and_b64 vcc, exec, s[10:11]
	s_cbranch_vccz .LBB465_1971
; %bb.1970:
	s_cmp_lg_u32 s15, 11
	s_mov_b64 s[6:7], -1
	s_cselect_b64 s[0:1], -1, 0
.LBB465_1971:
	s_and_b64 vcc, exec, s[0:1]
	s_cbranch_vccnz .LBB465_2151
; %bb.1972:
	s_andn2_b64 vcc, exec, s[6:7]
	s_cbranch_vccnz .LBB465_1974
.LBB465_1973:
	v_cmp_neq_f64_e32 vcc, 0, v[0:1]
	s_mov_b64 s[8:9], -1
	s_nop 0
	v_cndmask_b32_e64 v2, 0, 1, vcc
	global_store_byte v[6:7], v2, off
.LBB465_1974:
	s_mov_b64 s[0:1], 0
	s_branch .LBB465_1976
.LBB465_1975:
	s_mov_b64 s[0:1], -1
	s_mov_b64 s[8:9], 0
.LBB465_1976:
	s_and_b64 vcc, exec, s[0:1]
	s_cbranch_vccz .LBB465_2015
; %bb.1977:
	s_cmp_lt_i32 s15, 5
	s_mov_b64 s[0:1], -1
	s_cbranch_scc1 .LBB465_1998
; %bb.1978:
	s_cmp_lt_i32 s15, 8
	s_cbranch_scc1 .LBB465_1988
; %bb.1979:
	s_cmp_lt_i32 s15, 9
	s_cbranch_scc1 .LBB465_1985
; %bb.1980:
	s_cmp_gt_i32 s15, 9
	s_cbranch_scc0 .LBB465_1982
; %bb.1981:
	v_mov_b32_e32 v2, 0
	v_mov_b32_e32 v3, v2
	global_store_dwordx4 v[6:7], v[0:3], off
	s_mov_b64 s[0:1], 0
.LBB465_1982:
	s_andn2_b64 vcc, exec, s[0:1]
	s_cbranch_vccnz .LBB465_1984
; %bb.1983:
	v_cvt_f32_f64_e32 v2, v[0:1]
	v_mov_b32_e32 v3, 0
	global_store_dwordx2 v[6:7], v[2:3], off
.LBB465_1984:
	s_mov_b64 s[0:1], 0
.LBB465_1985:
	s_andn2_b64 vcc, exec, s[0:1]
	s_cbranch_vccnz .LBB465_1987
; %bb.1986:
	s_movk_i32 s0, 0x1ff
	v_and_or_b32 v2, v1, s0, v0
	v_cmp_ne_u32_e32 vcc, 0, v2
	v_lshrrev_b32_e32 v3, 8, v1
	s_movk_i32 s0, 0xffe
	v_cndmask_b32_e64 v2, 0, 1, vcc
	v_bfe_u32 v5, v1, 20, 11
	v_and_or_b32 v2, v3, s0, v2
	v_sub_u32_e32 v8, 0x3f1, v5
	v_or_b32_e32 v3, 0x1000, v2
	v_med3_i32 v8, v8, 0, 13
	v_lshrrev_b32_e32 v9, v8, v3
	v_lshlrev_b32_e32 v8, v8, v9
	v_cmp_ne_u32_e32 vcc, v8, v3
	v_add_u32_e32 v5, 0xfffffc10, v5
	v_lshl_or_b32 v8, v5, 12, v2
	v_cndmask_b32_e64 v3, 0, 1, vcc
	v_or_b32_e32 v3, v9, v3
	v_cmp_gt_i32_e32 vcc, 1, v5
	s_movk_i32 s0, 0x40f
	s_nop 0
	v_cndmask_b32_e32 v3, v8, v3, vcc
	v_and_b32_e32 v8, 7, v3
	v_cmp_lt_i32_e32 vcc, 5, v8
	v_lshrrev_b32_e32 v3, 2, v3
	s_nop 0
	v_cndmask_b32_e64 v9, 0, 1, vcc
	v_cmp_eq_u32_e32 vcc, 3, v8
	s_nop 1
	v_cndmask_b32_e64 v8, 0, 1, vcc
	v_or_b32_e32 v8, v8, v9
	v_add_u32_e32 v3, v3, v8
	v_mov_b32_e32 v8, 0x7c00
	v_cmp_gt_i32_e32 vcc, 31, v5
	v_mov_b32_e32 v9, 0x7e00
	s_nop 0
	v_cndmask_b32_e32 v3, v8, v3, vcc
	v_cmp_ne_u32_e32 vcc, 0, v2
	s_nop 1
	v_cndmask_b32_e32 v2, v8, v9, vcc
	v_cmp_eq_u32_e32 vcc, s0, v5
	s_mov_b32 s0, 0x8000
	s_nop 0
	v_cndmask_b32_e32 v2, v3, v2, vcc
	v_and_b32_sdwa v3, v1, s0 dst_sel:DWORD dst_unused:UNUSED_PAD src0_sel:WORD_1 src1_sel:DWORD
	s_mov_b32 s0, 0xffff
	v_bitop3_b32 v2, v3, s0, v2 bitop3:0xc8
	global_store_dword v[6:7], v2, off
.LBB465_1987:
	s_mov_b64 s[0:1], 0
.LBB465_1988:
	s_andn2_b64 vcc, exec, s[0:1]
	s_cbranch_vccnz .LBB465_1997
; %bb.1989:
	s_cmp_lt_i32 s15, 6
	s_mov_b64 s[0:1], -1
	s_cbranch_scc1 .LBB465_1995
; %bb.1990:
	s_cmp_gt_i32 s15, 6
	s_cbranch_scc0 .LBB465_1992
; %bb.1991:
	global_store_dwordx2 v[6:7], v[0:1], off
	s_mov_b64 s[0:1], 0
.LBB465_1992:
	s_andn2_b64 vcc, exec, s[0:1]
	s_cbranch_vccnz .LBB465_1994
; %bb.1993:
	v_cvt_f32_f64_e32 v2, v[0:1]
	global_store_dword v[6:7], v2, off
.LBB465_1994:
	s_mov_b64 s[0:1], 0
.LBB465_1995:
	s_andn2_b64 vcc, exec, s[0:1]
	s_cbranch_vccnz .LBB465_1997
; %bb.1996:
	s_movk_i32 s0, 0x1ff
	v_and_or_b32 v2, v1, s0, v0
	v_cmp_ne_u32_e32 vcc, 0, v2
	v_lshrrev_b32_e32 v3, 8, v1
	s_movk_i32 s0, 0xffe
	v_cndmask_b32_e64 v2, 0, 1, vcc
	v_bfe_u32 v5, v1, 20, 11
	v_and_or_b32 v2, v3, s0, v2
	v_sub_u32_e32 v8, 0x3f1, v5
	v_or_b32_e32 v3, 0x1000, v2
	v_med3_i32 v8, v8, 0, 13
	v_lshrrev_b32_e32 v9, v8, v3
	v_lshlrev_b32_e32 v8, v8, v9
	v_cmp_ne_u32_e32 vcc, v8, v3
	v_add_u32_e32 v5, 0xfffffc10, v5
	v_lshl_or_b32 v8, v5, 12, v2
	v_cndmask_b32_e64 v3, 0, 1, vcc
	v_or_b32_e32 v3, v9, v3
	v_cmp_gt_i32_e32 vcc, 1, v5
	s_movk_i32 s0, 0x40f
	s_nop 0
	v_cndmask_b32_e32 v3, v8, v3, vcc
	v_and_b32_e32 v8, 7, v3
	v_cmp_lt_i32_e32 vcc, 5, v8
	v_lshrrev_b32_e32 v3, 2, v3
	s_nop 0
	v_cndmask_b32_e64 v9, 0, 1, vcc
	v_cmp_eq_u32_e32 vcc, 3, v8
	s_nop 1
	v_cndmask_b32_e64 v8, 0, 1, vcc
	v_or_b32_e32 v8, v8, v9
	v_add_u32_e32 v3, v3, v8
	v_mov_b32_e32 v8, 0x7c00
	v_cmp_gt_i32_e32 vcc, 31, v5
	v_mov_b32_e32 v9, 0x7e00
	s_nop 0
	v_cndmask_b32_e32 v3, v8, v3, vcc
	v_cmp_ne_u32_e32 vcc, 0, v2
	s_nop 1
	v_cndmask_b32_e32 v2, v8, v9, vcc
	v_cmp_eq_u32_e32 vcc, s0, v5
	s_mov_b32 s0, 0x8000
	s_nop 0
	v_cndmask_b32_e32 v2, v3, v2, vcc
	v_lshrrev_b32_e32 v3, 16, v1
	v_and_or_b32 v2, v3, s0, v2
	global_store_short v[6:7], v2, off
.LBB465_1997:
	s_mov_b64 s[0:1], 0
.LBB465_1998:
	s_andn2_b64 vcc, exec, s[0:1]
	s_cbranch_vccnz .LBB465_2014
; %bb.1999:
	s_cmp_lt_i32 s15, 2
	s_mov_b64 s[0:1], -1
	s_cbranch_scc1 .LBB465_2009
; %bb.2000:
	s_cmp_lt_i32 s15, 3
	s_cbranch_scc1 .LBB465_2006
; %bb.2001:
	s_cmp_gt_i32 s15, 3
	s_cbranch_scc0 .LBB465_2003
; %bb.2002:
	v_trunc_f64_e32 v[2:3], v[0:1]
	s_movk_i32 s0, 0xffe0
	v_ldexp_f64 v[8:9], v[2:3], s0
	v_floor_f64_e32 v[8:9], v[8:9]
	v_fmac_f64_e32 v[2:3], 0xc1f00000, v[8:9]
	v_cvt_i32_f64_e32 v13, v[8:9]
	v_cvt_u32_f64_e32 v12, v[2:3]
	global_store_dwordx2 v[6:7], v[12:13], off
	s_mov_b64 s[0:1], 0
.LBB465_2003:
	s_andn2_b64 vcc, exec, s[0:1]
	s_cbranch_vccnz .LBB465_2005
; %bb.2004:
	v_cvt_i32_f64_e32 v2, v[0:1]
	global_store_dword v[6:7], v2, off
.LBB465_2005:
	s_mov_b64 s[0:1], 0
.LBB465_2006:
	s_andn2_b64 vcc, exec, s[0:1]
	s_cbranch_vccnz .LBB465_2008
; %bb.2007:
	v_cvt_i32_f64_e32 v2, v[0:1]
	global_store_short v[6:7], v2, off
.LBB465_2008:
	s_mov_b64 s[0:1], 0
.LBB465_2009:
	s_andn2_b64 vcc, exec, s[0:1]
	s_cbranch_vccnz .LBB465_2014
; %bb.2010:
	s_cmp_gt_i32 s15, 0
	s_mov_b64 s[0:1], -1
	s_cbranch_scc0 .LBB465_2012
; %bb.2011:
	v_cvt_i32_f64_e32 v2, v[0:1]
	global_store_byte v[6:7], v2, off
	s_mov_b64 s[0:1], 0
.LBB465_2012:
	s_andn2_b64 vcc, exec, s[0:1]
	s_cbranch_vccnz .LBB465_2014
; %bb.2013:
	v_trunc_f64_e32 v[0:1], v[0:1]
	s_movk_i32 s0, 0xffe0
	v_ldexp_f64 v[2:3], v[0:1], s0
	v_floor_f64_e32 v[2:3], v[2:3]
	v_fmac_f64_e32 v[0:1], 0xc1f00000, v[2:3]
	v_cvt_u32_f64_e32 v0, v[0:1]
	global_store_byte v[6:7], v0, off
.LBB465_2014:
	s_mov_b64 s[8:9], -1
.LBB465_2015:
	s_andn2_b64 vcc, exec, s[8:9]
	s_cbranch_vccnz .LBB465_2092
; %bb.2016:
	v_max_f64 v[0:1], v[10:11], v[10:11]
	v_min_f64 v[0:1], v[0:1], v[16:17]
	v_cmp_u_f64_e32 vcc, v[10:11], v[10:11]
	v_mov_b32_e32 v5, 0
	s_cmp_lt_i32 s15, 11
	v_cndmask_b32_e32 v1, v1, v11, vcc
	v_cndmask_b32_e32 v0, v0, v10, vcc
	v_lshl_add_u64 v[4:5], s[4:5], 0, v[4:5]
	s_cbranch_scc1 .LBB465_2137
; %bb.2017:
	s_mov_b64 s[6:7], -1
	s_mov_b64 s[4:5], 0
	s_cmp_gt_i32 s15, 25
	s_mov_b64 s[0:1], 0
	s_cbranch_scc0 .LBB465_2050
; %bb.2018:
	s_cmp_gt_i32 s15, 28
	s_cbranch_scc0 .LBB465_2034
; %bb.2019:
	s_cmp_gt_i32 s15, 43
	;; [unrolled: 3-line block ×3, first 2 shown]
	s_cbranch_scc0 .LBB465_2024
; %bb.2021:
	s_cmp_eq_u32 s15, 46
	s_mov_b64 s[0:1], -1
	s_cbranch_scc0 .LBB465_2023
; %bb.2022:
	v_cvt_f32_f64_e32 v2, v[0:1]
	v_bfe_u32 v3, v2, 16, 1
	s_movk_i32 s0, 0x7fff
	v_add3_u32 v3, v2, v3, s0
	v_cmp_o_f32_e32 vcc, v2, v2
	v_mov_b32_e32 v2, 0x7fc0
	s_mov_b64 s[0:1], 0
	v_cndmask_b32_sdwa v2, v2, v3, vcc dst_sel:DWORD dst_unused:UNUSED_PAD src0_sel:DWORD src1_sel:WORD_1
	global_store_dword v[4:5], v2, off
.LBB465_2023:
	s_mov_b64 s[6:7], 0
.LBB465_2024:
	s_and_b64 vcc, exec, s[6:7]
	s_cbranch_vccz .LBB465_2029
; %bb.2025:
	s_cmp_eq_u32 s15, 44
	s_mov_b64 s[0:1], -1
	s_cbranch_scc0 .LBB465_2029
; %bb.2026:
	v_cvt_f32_f64_e32 v2, v[0:1]
	v_bfe_u32 v3, v2, 23, 8
	s_movk_i32 s0, 0xff
	v_cmp_ne_u32_e32 vcc, s0, v3
	v_mov_b32_e32 v6, 0xff
	s_and_saveexec_b64 s[6:7], vcc
; %bb.2027:
	s_mov_b32 s0, 0x3fffff
	v_lshrrev_b32_e32 v6, 23, v2
	v_and_b32_e32 v7, 0x400000, v2
	v_and_or_b32 v2, v2, s0, v3
	v_cmp_ne_u32_e32 vcc, 0, v7
	v_cmp_ne_u32_e64 s[0:1], 0, v2
	s_and_b64 s[0:1], vcc, s[0:1]
	s_nop 0
	v_cndmask_b32_e64 v2, 0, 1, s[0:1]
	v_add_u32_e32 v6, v6, v2
; %bb.2028:
	s_or_b64 exec, exec, s[6:7]
	s_mov_b64 s[0:1], 0
	global_store_byte v[4:5], v6, off
.LBB465_2029:
	s_mov_b64 s[6:7], 0
.LBB465_2030:
	s_and_b64 vcc, exec, s[6:7]
	s_cbranch_vccz .LBB465_2033
; %bb.2031:
	s_cmp_eq_u32 s15, 29
	s_mov_b64 s[0:1], -1
	s_cbranch_scc0 .LBB465_2033
; %bb.2032:
	v_trunc_f64_e32 v[2:3], v[0:1]
	s_movk_i32 s0, 0xffe0
	v_ldexp_f64 v[6:7], v[2:3], s0
	v_floor_f64_e32 v[6:7], v[6:7]
	v_fmac_f64_e32 v[2:3], 0xc1f00000, v[6:7]
	v_cvt_u32_f64_e32 v9, v[6:7]
	v_cvt_u32_f64_e32 v8, v[2:3]
	global_store_dwordx2 v[4:5], v[8:9], off
	s_mov_b64 s[0:1], 0
.LBB465_2033:
	s_mov_b64 s[6:7], 0
.LBB465_2034:
	s_and_b64 vcc, exec, s[6:7]
	s_cbranch_vccz .LBB465_2049
; %bb.2035:
	s_cmp_lt_i32 s15, 27
	s_mov_b64 s[6:7], -1
	s_cbranch_scc1 .LBB465_2041
; %bb.2036:
	s_cmp_gt_i32 s15, 27
	s_cbranch_scc0 .LBB465_2038
; %bb.2037:
	v_cvt_u32_f64_e32 v2, v[0:1]
	global_store_dword v[4:5], v2, off
	s_mov_b64 s[6:7], 0
.LBB465_2038:
	s_andn2_b64 vcc, exec, s[6:7]
	s_cbranch_vccnz .LBB465_2040
; %bb.2039:
	v_cvt_u32_f64_e32 v2, v[0:1]
	global_store_short v[4:5], v2, off
.LBB465_2040:
	s_mov_b64 s[6:7], 0
.LBB465_2041:
	s_andn2_b64 vcc, exec, s[6:7]
	s_cbranch_vccnz .LBB465_2049
; %bb.2042:
	v_cvt_f32_f64_e32 v2, v[0:1]
	v_and_b32_e32 v3, 0x7fffffff, v2
	s_mov_b32 s6, 0x43800000
	v_cmp_gt_u32_e32 vcc, s6, v3
	v_mov_b32_e32 v6, 0x80
	s_and_saveexec_b64 s[6:7], vcc
	s_cbranch_execz .LBB465_2048
; %bb.2043:
	s_mov_b32 s8, 0x3bffffff
	v_cmp_lt_u32_e32 vcc, s8, v3
	s_mov_b64 s[8:9], 0
                                        ; implicit-def: $vgpr3
	s_and_saveexec_b64 s[10:11], vcc
	s_xor_b64 s[10:11], exec, s[10:11]
	s_cbranch_execz .LBB465_2154
; %bb.2044:
	v_bfe_u32 v3, v2, 20, 1
	s_mov_b32 s12, 0x487ffff
	v_add3_u32 v3, v2, v3, s12
	s_mov_b64 s[8:9], exec
	v_lshrrev_b32_e32 v3, 20, v3
	s_andn2_saveexec_b64 s[10:11], s[10:11]
	s_cbranch_execnz .LBB465_2155
.LBB465_2045:
	s_or_b64 exec, exec, s[10:11]
	v_mov_b32_e32 v6, 0
	s_and_saveexec_b64 s[10:11], s[8:9]
.LBB465_2046:
	v_lshrrev_b32_e32 v2, 24, v2
	s_movk_i32 s8, 0x80
	v_and_or_b32 v6, v2, s8, v3
.LBB465_2047:
	s_or_b64 exec, exec, s[10:11]
.LBB465_2048:
	s_or_b64 exec, exec, s[6:7]
	global_store_byte v[4:5], v6, off
.LBB465_2049:
	s_mov_b64 s[6:7], 0
.LBB465_2050:
	s_and_b64 vcc, exec, s[6:7]
	s_cbranch_vccz .LBB465_2090
; %bb.2051:
	s_cmp_gt_i32 s15, 22
	s_mov_b64 s[4:5], -1
	s_cbranch_scc0 .LBB465_2083
; %bb.2052:
	s_cmp_lt_i32 s15, 24
	s_cbranch_scc1 .LBB465_2072
; %bb.2053:
	s_cmp_gt_i32 s15, 24
	s_cbranch_scc0 .LBB465_2061
; %bb.2054:
	v_cvt_f32_f64_e32 v2, v[0:1]
	v_and_b32_e32 v3, 0x7fffffff, v2
	s_mov_b32 s4, 0x47800000
	v_cmp_gt_u32_e32 vcc, s4, v3
	v_mov_b32_e32 v6, 0x80
	s_and_saveexec_b64 s[4:5], vcc
	s_cbranch_execz .LBB465_2060
; %bb.2055:
	s_mov_b32 s6, 0x37ffffff
	v_cmp_lt_u32_e32 vcc, s6, v3
	s_mov_b64 s[6:7], 0
                                        ; implicit-def: $vgpr3
	s_and_saveexec_b64 s[8:9], vcc
	s_xor_b64 s[8:9], exec, s[8:9]
	s_cbranch_execz .LBB465_2157
; %bb.2056:
	v_bfe_u32 v3, v2, 21, 1
	s_mov_b32 s10, 0x88fffff
	v_add3_u32 v3, v2, v3, s10
	s_mov_b64 s[6:7], exec
	v_lshrrev_b32_e32 v3, 21, v3
	s_andn2_saveexec_b64 s[8:9], s[8:9]
	s_cbranch_execnz .LBB465_2158
.LBB465_2057:
	s_or_b64 exec, exec, s[8:9]
	v_mov_b32_e32 v6, 0
	s_and_saveexec_b64 s[8:9], s[6:7]
.LBB465_2058:
	v_lshrrev_b32_e32 v2, 24, v2
	s_movk_i32 s6, 0x80
	v_and_or_b32 v6, v2, s6, v3
.LBB465_2059:
	s_or_b64 exec, exec, s[8:9]
.LBB465_2060:
	s_or_b64 exec, exec, s[4:5]
	s_mov_b64 s[4:5], 0
	global_store_byte v[4:5], v6, off
.LBB465_2061:
	s_and_b64 vcc, exec, s[4:5]
	s_cbranch_vccz .LBB465_2071
; %bb.2062:
	v_cvt_f32_f64_e32 v2, v[0:1]
	v_and_b32_e32 v6, 0x7fffffff, v2
	s_mov_b32 s4, 0x43f00000
	v_cmp_gt_u32_e32 vcc, s4, v6
                                        ; implicit-def: $vgpr3
	s_and_saveexec_b64 s[4:5], vcc
	s_xor_b64 s[4:5], exec, s[4:5]
	s_cbranch_execz .LBB465_2068
; %bb.2063:
	s_mov_b32 s6, 0x3c7fffff
	v_cmp_lt_u32_e32 vcc, s6, v6
                                        ; implicit-def: $vgpr3
	s_and_saveexec_b64 s[6:7], vcc
	s_xor_b64 s[6:7], exec, s[6:7]
; %bb.2064:
	v_bfe_u32 v3, v2, 20, 1
	s_mov_b32 s8, 0x407ffff
	v_add3_u32 v3, v2, v3, s8
	v_lshrrev_b32_e32 v6, 20, v3
	v_and_b32_e32 v3, 0xff00000, v3
	s_mov_b32 s8, 0x7f00000
	v_mov_b32_e32 v7, 0x7e
	v_cmp_ne_u32_e32 vcc, s8, v3
	s_nop 1
	v_cndmask_b32_e32 v3, v7, v6, vcc
; %bb.2065:
	s_andn2_saveexec_b64 s[6:7], s[6:7]
; %bb.2066:
	s_mov_b32 s8, 0x46800000
	v_add_f32_e64 v3, |v2|, s8
; %bb.2067:
	s_or_b64 exec, exec, s[6:7]
                                        ; implicit-def: $vgpr6
.LBB465_2068:
	s_andn2_saveexec_b64 s[4:5], s[4:5]
; %bb.2069:
	s_mov_b32 s6, 0x7f800000
	v_mov_b32_e32 v3, 0x7e
	v_mov_b32_e32 v7, 0x7f
	v_cmp_lt_u32_e32 vcc, s6, v6
	s_nop 1
	v_cndmask_b32_e32 v3, v3, v7, vcc
; %bb.2070:
	s_or_b64 exec, exec, s[4:5]
	v_lshrrev_b32_e32 v2, 24, v2
	s_movk_i32 s4, 0x80
	v_and_or_b32 v2, v2, s4, v3
	global_store_byte v[4:5], v2, off
.LBB465_2071:
	s_mov_b64 s[4:5], 0
.LBB465_2072:
	s_andn2_b64 vcc, exec, s[4:5]
	s_cbranch_vccnz .LBB465_2082
; %bb.2073:
	v_cvt_f32_f64_e32 v2, v[0:1]
	v_and_b32_e32 v6, 0x7fffffff, v2
	s_mov_b32 s4, 0x47800000
	v_cmp_gt_u32_e32 vcc, s4, v6
                                        ; implicit-def: $vgpr3
	s_and_saveexec_b64 s[4:5], vcc
	s_xor_b64 s[4:5], exec, s[4:5]
	s_cbranch_execz .LBB465_2079
; %bb.2074:
	s_mov_b32 s6, 0x387fffff
	v_cmp_lt_u32_e32 vcc, s6, v6
                                        ; implicit-def: $vgpr3
	s_and_saveexec_b64 s[6:7], vcc
	s_xor_b64 s[6:7], exec, s[6:7]
; %bb.2075:
	v_bfe_u32 v3, v2, 21, 1
	s_mov_b32 s8, 0x80fffff
	v_add3_u32 v3, v2, v3, s8
	v_lshrrev_b32_e32 v3, 21, v3
; %bb.2076:
	s_andn2_saveexec_b64 s[6:7], s[6:7]
; %bb.2077:
	s_mov_b32 s8, 0x43000000
	v_add_f32_e64 v3, |v2|, s8
; %bb.2078:
	s_or_b64 exec, exec, s[6:7]
                                        ; implicit-def: $vgpr6
.LBB465_2079:
	s_andn2_saveexec_b64 s[4:5], s[4:5]
; %bb.2080:
	s_mov_b32 s6, 0x7f800000
	v_mov_b32_e32 v3, 0x7c
	v_mov_b32_e32 v7, 0x7f
	v_cmp_lt_u32_e32 vcc, s6, v6
	s_nop 1
	v_cndmask_b32_e32 v3, v3, v7, vcc
; %bb.2081:
	s_or_b64 exec, exec, s[4:5]
	v_lshrrev_b32_e32 v2, 24, v2
	s_movk_i32 s4, 0x80
	v_and_or_b32 v2, v2, s4, v3
	global_store_byte v[4:5], v2, off
.LBB465_2082:
	s_mov_b64 s[4:5], 0
.LBB465_2083:
	s_andn2_b64 vcc, exec, s[4:5]
	s_mov_b64 s[4:5], 0
	s_cbranch_vccnz .LBB465_2090
; %bb.2084:
	s_cmp_gt_i32 s15, 14
	s_mov_b64 s[6:7], -1
	s_cbranch_scc0 .LBB465_2088
; %bb.2085:
	s_cmp_eq_u32 s15, 15
	s_mov_b64 s[0:1], -1
	s_cbranch_scc0 .LBB465_2087
; %bb.2086:
	v_cvt_f32_f64_e32 v2, v[0:1]
	v_bfe_u32 v3, v2, 16, 1
	s_movk_i32 s0, 0x7fff
	v_add3_u32 v3, v2, v3, s0
	v_cmp_o_f32_e32 vcc, v2, v2
	v_mov_b32_e32 v2, 0x7fc0
	s_mov_b64 s[0:1], 0
	v_cndmask_b32_sdwa v2, v2, v3, vcc dst_sel:DWORD dst_unused:UNUSED_PAD src0_sel:DWORD src1_sel:WORD_1
	global_store_short v[4:5], v2, off
.LBB465_2087:
	s_mov_b64 s[6:7], 0
.LBB465_2088:
	s_and_b64 vcc, exec, s[6:7]
	s_cbranch_vccz .LBB465_2090
; %bb.2089:
	s_cmp_lg_u32 s15, 11
	s_mov_b64 s[4:5], -1
	s_cselect_b64 s[0:1], -1, 0
.LBB465_2090:
	s_and_b64 vcc, exec, s[0:1]
	s_cbranch_vccnz .LBB465_2156
.LBB465_2091:
	s_mov_b64 s[0:1], 0
	s_branch .LBB465_2093
.LBB465_2092:
	s_mov_b64 s[0:1], 0
	s_mov_b64 s[4:5], 0
                                        ; implicit-def: $vgpr4_vgpr5
                                        ; implicit-def: $sgpr14
                                        ; implicit-def: $vgpr0_vgpr1
.LBB465_2093:
	s_and_b64 s[6:7], s[0:1], exec
	s_andn2_b64 s[0:1], s[24:25], exec
	s_and_b64 s[2:3], s[2:3], exec
	s_and_b64 s[40:41], s[4:5], exec
	s_or_b64 s[24:25], s[0:1], s[2:3]
.LBB465_2094:
	s_or_b64 exec, exec, s[26:27]
	s_and_saveexec_b64 s[0:1], s[24:25]
	s_cbranch_execz .LBB465_2097
; %bb.2095:
	; divergent unreachable
	s_or_b64 exec, exec, s[0:1]
	s_and_saveexec_b64 s[0:1], s[40:41]
	s_xor_b64 s[0:1], exec, s[0:1]
	s_cbranch_execnz .LBB465_2098
.LBB465_2096:
	s_or_b64 exec, exec, s[0:1]
	s_and_saveexec_b64 s[0:1], s[6:7]
	s_cbranch_execnz .LBB465_2099
	s_branch .LBB465_2136
.LBB465_2097:
	s_or_b64 exec, exec, s[0:1]
	s_and_saveexec_b64 s[0:1], s[40:41]
	s_xor_b64 s[0:1], exec, s[0:1]
	s_cbranch_execz .LBB465_2096
.LBB465_2098:
	s_waitcnt vmcnt(0)
	v_cmp_neq_f64_e32 vcc, 0, v[0:1]
	s_nop 1
	v_cndmask_b32_e64 v2, 0, 1, vcc
	global_store_byte v[4:5], v2, off
	s_or_b64 exec, exec, s[0:1]
	s_and_saveexec_b64 s[0:1], s[6:7]
	s_cbranch_execz .LBB465_2136
.LBB465_2099:
	s_sext_i32_i16 s2, s14
	s_cmp_lt_i32 s2, 5
	s_mov_b64 s[0:1], -1
	s_cbranch_scc1 .LBB465_2120
; %bb.2100:
	s_cmp_lt_i32 s2, 8
	s_cbranch_scc1 .LBB465_2110
; %bb.2101:
	s_cmp_lt_i32 s2, 9
	s_cbranch_scc1 .LBB465_2107
; %bb.2102:
	s_cmp_gt_i32 s2, 9
	s_cbranch_scc0 .LBB465_2104
; %bb.2103:
	v_mov_b32_e32 v2, 0
	v_mov_b32_e32 v3, v2
	s_waitcnt vmcnt(0)
	global_store_dwordx4 v[4:5], v[0:3], off
	s_mov_b64 s[0:1], 0
.LBB465_2104:
	s_andn2_b64 vcc, exec, s[0:1]
	s_cbranch_vccnz .LBB465_2106
; %bb.2105:
	s_waitcnt vmcnt(0)
	v_cvt_f32_f64_e32 v2, v[0:1]
	v_mov_b32_e32 v3, 0
	global_store_dwordx2 v[4:5], v[2:3], off
.LBB465_2106:
	s_mov_b64 s[0:1], 0
.LBB465_2107:
	s_andn2_b64 vcc, exec, s[0:1]
	s_cbranch_vccnz .LBB465_2109
; %bb.2108:
	s_movk_i32 s0, 0x1ff
	s_waitcnt vmcnt(0)
	v_and_or_b32 v2, v1, s0, v0
	v_cmp_ne_u32_e32 vcc, 0, v2
	v_lshrrev_b32_e32 v3, 8, v1
	s_movk_i32 s0, 0xffe
	v_cndmask_b32_e64 v2, 0, 1, vcc
	v_bfe_u32 v6, v1, 20, 11
	v_and_or_b32 v2, v3, s0, v2
	v_sub_u32_e32 v7, 0x3f1, v6
	v_or_b32_e32 v3, 0x1000, v2
	v_med3_i32 v7, v7, 0, 13
	v_lshrrev_b32_e32 v8, v7, v3
	v_lshlrev_b32_e32 v7, v7, v8
	v_cmp_ne_u32_e32 vcc, v7, v3
	v_add_u32_e32 v6, 0xfffffc10, v6
	v_lshl_or_b32 v7, v6, 12, v2
	v_cndmask_b32_e64 v3, 0, 1, vcc
	v_or_b32_e32 v3, v8, v3
	v_cmp_gt_i32_e32 vcc, 1, v6
	s_movk_i32 s0, 0x40f
	s_nop 0
	v_cndmask_b32_e32 v3, v7, v3, vcc
	v_and_b32_e32 v7, 7, v3
	v_cmp_lt_i32_e32 vcc, 5, v7
	v_lshrrev_b32_e32 v3, 2, v3
	s_nop 0
	v_cndmask_b32_e64 v8, 0, 1, vcc
	v_cmp_eq_u32_e32 vcc, 3, v7
	s_nop 1
	v_cndmask_b32_e64 v7, 0, 1, vcc
	v_or_b32_e32 v7, v7, v8
	v_add_u32_e32 v3, v3, v7
	v_mov_b32_e32 v7, 0x7c00
	v_cmp_gt_i32_e32 vcc, 31, v6
	v_mov_b32_e32 v8, 0x7e00
	s_nop 0
	v_cndmask_b32_e32 v3, v7, v3, vcc
	v_cmp_ne_u32_e32 vcc, 0, v2
	s_nop 1
	v_cndmask_b32_e32 v2, v7, v8, vcc
	v_cmp_eq_u32_e32 vcc, s0, v6
	s_mov_b32 s0, 0x8000
	s_nop 0
	v_cndmask_b32_e32 v2, v3, v2, vcc
	v_and_b32_sdwa v3, v1, s0 dst_sel:DWORD dst_unused:UNUSED_PAD src0_sel:WORD_1 src1_sel:DWORD
	s_mov_b32 s0, 0xffff
	v_bitop3_b32 v2, v3, s0, v2 bitop3:0xc8
	global_store_dword v[4:5], v2, off
.LBB465_2109:
	s_mov_b64 s[0:1], 0
.LBB465_2110:
	s_andn2_b64 vcc, exec, s[0:1]
	s_cbranch_vccnz .LBB465_2119
; %bb.2111:
	s_sext_i32_i16 s2, s14
	s_cmp_lt_i32 s2, 6
	s_mov_b64 s[0:1], -1
	s_cbranch_scc1 .LBB465_2117
; %bb.2112:
	s_cmp_gt_i32 s2, 6
	s_cbranch_scc0 .LBB465_2114
; %bb.2113:
	s_waitcnt vmcnt(0)
	global_store_dwordx2 v[4:5], v[0:1], off
	s_mov_b64 s[0:1], 0
.LBB465_2114:
	s_andn2_b64 vcc, exec, s[0:1]
	s_cbranch_vccnz .LBB465_2116
; %bb.2115:
	s_waitcnt vmcnt(0)
	v_cvt_f32_f64_e32 v2, v[0:1]
	global_store_dword v[4:5], v2, off
.LBB465_2116:
	s_mov_b64 s[0:1], 0
.LBB465_2117:
	s_andn2_b64 vcc, exec, s[0:1]
	s_cbranch_vccnz .LBB465_2119
; %bb.2118:
	s_movk_i32 s0, 0x1ff
	s_waitcnt vmcnt(0)
	v_and_or_b32 v2, v1, s0, v0
	v_cmp_ne_u32_e32 vcc, 0, v2
	v_lshrrev_b32_e32 v3, 8, v1
	s_movk_i32 s0, 0xffe
	v_cndmask_b32_e64 v2, 0, 1, vcc
	v_bfe_u32 v6, v1, 20, 11
	v_and_or_b32 v2, v3, s0, v2
	v_sub_u32_e32 v7, 0x3f1, v6
	v_or_b32_e32 v3, 0x1000, v2
	v_med3_i32 v7, v7, 0, 13
	v_lshrrev_b32_e32 v8, v7, v3
	v_lshlrev_b32_e32 v7, v7, v8
	v_cmp_ne_u32_e32 vcc, v7, v3
	v_add_u32_e32 v6, 0xfffffc10, v6
	v_lshl_or_b32 v7, v6, 12, v2
	v_cndmask_b32_e64 v3, 0, 1, vcc
	v_or_b32_e32 v3, v8, v3
	v_cmp_gt_i32_e32 vcc, 1, v6
	s_movk_i32 s0, 0x40f
	s_nop 0
	v_cndmask_b32_e32 v3, v7, v3, vcc
	v_and_b32_e32 v7, 7, v3
	v_cmp_lt_i32_e32 vcc, 5, v7
	v_lshrrev_b32_e32 v3, 2, v3
	s_nop 0
	v_cndmask_b32_e64 v8, 0, 1, vcc
	v_cmp_eq_u32_e32 vcc, 3, v7
	s_nop 1
	v_cndmask_b32_e64 v7, 0, 1, vcc
	v_or_b32_e32 v7, v7, v8
	v_add_u32_e32 v3, v3, v7
	v_mov_b32_e32 v7, 0x7c00
	v_cmp_gt_i32_e32 vcc, 31, v6
	v_mov_b32_e32 v8, 0x7e00
	s_nop 0
	v_cndmask_b32_e32 v3, v7, v3, vcc
	v_cmp_ne_u32_e32 vcc, 0, v2
	s_nop 1
	v_cndmask_b32_e32 v2, v7, v8, vcc
	v_cmp_eq_u32_e32 vcc, s0, v6
	s_mov_b32 s0, 0x8000
	s_nop 0
	v_cndmask_b32_e32 v2, v3, v2, vcc
	v_lshrrev_b32_e32 v3, 16, v1
	v_and_or_b32 v2, v3, s0, v2
	global_store_short v[4:5], v2, off
.LBB465_2119:
	s_mov_b64 s[0:1], 0
.LBB465_2120:
	s_andn2_b64 vcc, exec, s[0:1]
	s_cbranch_vccnz .LBB465_2136
; %bb.2121:
	s_sext_i32_i16 s2, s14
	s_cmp_lt_i32 s2, 2
	s_mov_b64 s[0:1], -1
	s_cbranch_scc1 .LBB465_2131
; %bb.2122:
	s_cmp_lt_i32 s2, 3
	s_cbranch_scc1 .LBB465_2128
; %bb.2123:
	s_cmp_gt_i32 s2, 3
	s_cbranch_scc0 .LBB465_2125
; %bb.2124:
	s_waitcnt vmcnt(0)
	v_trunc_f64_e32 v[2:3], v[0:1]
	s_movk_i32 s0, 0xffe0
	v_ldexp_f64 v[6:7], v[2:3], s0
	v_floor_f64_e32 v[6:7], v[6:7]
	v_fmac_f64_e32 v[2:3], 0xc1f00000, v[6:7]
	v_cvt_i32_f64_e32 v9, v[6:7]
	v_cvt_u32_f64_e32 v8, v[2:3]
	global_store_dwordx2 v[4:5], v[8:9], off
	s_mov_b64 s[0:1], 0
.LBB465_2125:
	s_andn2_b64 vcc, exec, s[0:1]
	s_cbranch_vccnz .LBB465_2127
; %bb.2126:
	s_waitcnt vmcnt(0)
	v_cvt_i32_f64_e32 v2, v[0:1]
	global_store_dword v[4:5], v2, off
.LBB465_2127:
	s_mov_b64 s[0:1], 0
.LBB465_2128:
	s_andn2_b64 vcc, exec, s[0:1]
	s_cbranch_vccnz .LBB465_2130
; %bb.2129:
	s_waitcnt vmcnt(0)
	v_cvt_i32_f64_e32 v2, v[0:1]
	global_store_short v[4:5], v2, off
.LBB465_2130:
	s_mov_b64 s[0:1], 0
.LBB465_2131:
	s_andn2_b64 vcc, exec, s[0:1]
	s_cbranch_vccnz .LBB465_2136
; %bb.2132:
	s_sext_i32_i16 s0, s14
	s_cmp_gt_i32 s0, 0
	s_mov_b64 s[0:1], -1
	s_cbranch_scc0 .LBB465_2134
; %bb.2133:
	s_waitcnt vmcnt(0)
	v_cvt_i32_f64_e32 v2, v[0:1]
	global_store_byte v[4:5], v2, off
	s_mov_b64 s[0:1], 0
.LBB465_2134:
	s_andn2_b64 vcc, exec, s[0:1]
	s_cbranch_vccnz .LBB465_2136
; %bb.2135:
	s_waitcnt vmcnt(0)
	v_trunc_f64_e32 v[0:1], v[0:1]
	s_movk_i32 s0, 0xffe0
	v_ldexp_f64 v[2:3], v[0:1], s0
	v_floor_f64_e32 v[2:3], v[2:3]
	v_fmac_f64_e32 v[0:1], 0xc1f00000, v[2:3]
	v_cvt_u32_f64_e32 v0, v[0:1]
	global_store_byte v[4:5], v0, off
	s_endpgm
.LBB465_2136:
	s_endpgm
.LBB465_2137:
	s_mov_b64 s[4:5], 0
	s_mov_b64 s[0:1], -1
	s_branch .LBB465_2093
.LBB465_2138:
	s_trap 2
	s_or_b64 s[2:3], s[2:3], exec
	s_cbranch_execz .LBB465_1607
	s_branch .LBB465_1608
.LBB465_2139:
	s_andn2_saveexec_b64 s[12:13], s[12:13]
	s_cbranch_execz .LBB465_1687
.LBB465_2140:
	s_mov_b32 s16, 0x46000000
	v_add_f32_e64 v3, |v2|, s16
	v_and_b32_e32 v3, 0xff, v3
	v_cmp_ne_u32_e32 vcc, 0, v3
	s_andn2_b64 s[10:11], s[10:11], exec
	s_and_b64 s[16:17], vcc, exec
	s_or_b64 s[10:11], s[10:11], s[16:17]
	s_or_b64 exec, exec, s[12:13]
	v_mov_b32_e32 v5, 0
	s_and_saveexec_b64 s[12:13], s[10:11]
	s_cbranch_execnz .LBB465_1688
	s_branch .LBB465_1689
.LBB465_2141:
	s_trap 2
	s_or_b64 s[2:3], s[2:3], exec
	s_cbranch_execz .LBB465_1735
	s_branch .LBB465_1736
.LBB465_2142:
	s_andn2_saveexec_b64 s[10:11], s[10:11]
	s_cbranch_execz .LBB465_1700
.LBB465_2143:
	s_mov_b32 s12, 0x42800000
	v_add_f32_e64 v3, |v2|, s12
	v_and_b32_e32 v3, 0xff, v3
	v_cmp_ne_u32_e32 vcc, 0, v3
	s_andn2_b64 s[8:9], s[8:9], exec
	s_and_b64 s[12:13], vcc, exec
	s_or_b64 s[8:9], s[8:9], s[12:13]
	s_or_b64 exec, exec, s[10:11]
	v_mov_b32_e32 v5, 0
	s_and_saveexec_b64 s[10:11], s[8:9]
	s_cbranch_execnz .LBB465_1701
	s_branch .LBB465_1702
.LBB465_2144:
	s_andn2_saveexec_b64 s[12:13], s[12:13]
	s_cbranch_execz .LBB465_1806
.LBB465_2145:
	s_mov_b32 s16, 0x46000000
	v_add_f32_e64 v3, |v2|, s16
	v_and_b32_e32 v3, 0xff, v3
	v_cmp_ne_u32_e32 vcc, 0, v3
	s_andn2_b64 s[10:11], s[10:11], exec
	s_and_b64 s[16:17], vcc, exec
	s_or_b64 s[10:11], s[10:11], s[16:17]
	s_or_b64 exec, exec, s[12:13]
	v_mov_b32_e32 v5, 0
	s_and_saveexec_b64 s[12:13], s[10:11]
	s_cbranch_execnz .LBB465_1807
	s_branch .LBB465_1808
.LBB465_2146:
	s_trap 2
	s_or_b64 s[2:3], s[2:3], exec
	s_cbranch_execz .LBB465_1854
	s_branch .LBB465_1855
.LBB465_2147:
	s_andn2_saveexec_b64 s[10:11], s[10:11]
	s_cbranch_execz .LBB465_1819
.LBB465_2148:
	s_mov_b32 s12, 0x42800000
	v_add_f32_e64 v3, |v2|, s12
	v_and_b32_e32 v3, 0xff, v3
	v_cmp_ne_u32_e32 vcc, 0, v3
	s_andn2_b64 s[8:9], s[8:9], exec
	s_and_b64 s[12:13], vcc, exec
	s_or_b64 s[8:9], s[8:9], s[12:13]
	s_or_b64 exec, exec, s[10:11]
	v_mov_b32_e32 v5, 0
	s_and_saveexec_b64 s[10:11], s[8:9]
	s_cbranch_execnz .LBB465_1820
	s_branch .LBB465_1821
.LBB465_2149:
	s_andn2_saveexec_b64 s[12:13], s[12:13]
	s_cbranch_execz .LBB465_1925
.LBB465_2150:
	s_mov_b32 s16, 0x46000000
	v_add_f32_e64 v3, |v2|, s16
	v_and_b32_e32 v3, 0xff, v3
	v_cmp_ne_u32_e32 vcc, 0, v3
	s_andn2_b64 s[10:11], s[10:11], exec
	s_and_b64 s[16:17], vcc, exec
	s_or_b64 s[10:11], s[10:11], s[16:17]
	s_or_b64 exec, exec, s[12:13]
	v_mov_b32_e32 v5, 0
	s_and_saveexec_b64 s[12:13], s[10:11]
	s_cbranch_execnz .LBB465_1926
	s_branch .LBB465_1927
.LBB465_2151:
	s_trap 2
	s_or_b64 s[2:3], s[2:3], exec
	s_cbranch_execz .LBB465_1973
	s_branch .LBB465_1974
.LBB465_2152:
	s_andn2_saveexec_b64 s[10:11], s[10:11]
	s_cbranch_execz .LBB465_1938
.LBB465_2153:
	s_mov_b32 s12, 0x42800000
	v_add_f32_e64 v3, |v2|, s12
	v_and_b32_e32 v3, 0xff, v3
	v_cmp_ne_u32_e32 vcc, 0, v3
	s_andn2_b64 s[8:9], s[8:9], exec
	s_and_b64 s[12:13], vcc, exec
	s_or_b64 s[8:9], s[8:9], s[12:13]
	s_or_b64 exec, exec, s[10:11]
	v_mov_b32_e32 v5, 0
	s_and_saveexec_b64 s[10:11], s[8:9]
	s_cbranch_execnz .LBB465_1939
	s_branch .LBB465_1940
.LBB465_2154:
	s_andn2_saveexec_b64 s[10:11], s[10:11]
	s_cbranch_execz .LBB465_2045
.LBB465_2155:
	s_mov_b32 s12, 0x46000000
	v_add_f32_e64 v3, |v2|, s12
	v_and_b32_e32 v3, 0xff, v3
	v_cmp_ne_u32_e32 vcc, 0, v3
	s_andn2_b64 s[8:9], s[8:9], exec
	s_and_b64 s[12:13], vcc, exec
	s_or_b64 s[8:9], s[8:9], s[12:13]
	s_or_b64 exec, exec, s[10:11]
	v_mov_b32_e32 v6, 0
	s_and_saveexec_b64 s[10:11], s[8:9]
	s_cbranch_execnz .LBB465_2046
	s_branch .LBB465_2047
.LBB465_2156:
	s_mov_b64 s[4:5], 0
	s_or_b64 s[2:3], s[2:3], exec
	s_trap 2
	s_branch .LBB465_2091
.LBB465_2157:
	s_andn2_saveexec_b64 s[8:9], s[8:9]
	s_cbranch_execz .LBB465_2057
.LBB465_2158:
	s_mov_b32 s10, 0x42800000
	v_add_f32_e64 v3, |v2|, s10
	v_and_b32_e32 v3, 0xff, v3
	v_cmp_ne_u32_e32 vcc, 0, v3
	s_andn2_b64 s[6:7], s[6:7], exec
	s_and_b64 s[10:11], vcc, exec
	s_or_b64 s[6:7], s[6:7], s[10:11]
	s_or_b64 exec, exec, s[8:9]
	v_mov_b32_e32 v6, 0
	s_and_saveexec_b64 s[8:9], s[6:7]
	s_cbranch_execnz .LBB465_2058
	s_branch .LBB465_2059
	.section	.rodata,"a",@progbits
	.p2align	6, 0x0
	.amdhsa_kernel _ZN2at6native32elementwise_kernel_manual_unrollILi128ELi4EZNS0_15gpu_kernel_implIZZZNS0_21clamp_max_kernel_cudaERNS_18TensorIteratorBaseERKN3c106ScalarEENKUlvE_clEvENKUlvE4_clEvEUldE_EEvS4_RKT_EUlibE0_EEviT1_
		.amdhsa_group_segment_fixed_size 0
		.amdhsa_private_segment_fixed_size 0
		.amdhsa_kernarg_size 368
		.amdhsa_user_sgpr_count 2
		.amdhsa_user_sgpr_dispatch_ptr 0
		.amdhsa_user_sgpr_queue_ptr 0
		.amdhsa_user_sgpr_kernarg_segment_ptr 1
		.amdhsa_user_sgpr_dispatch_id 0
		.amdhsa_user_sgpr_kernarg_preload_length 0
		.amdhsa_user_sgpr_kernarg_preload_offset 0
		.amdhsa_user_sgpr_private_segment_size 0
		.amdhsa_uses_dynamic_stack 0
		.amdhsa_enable_private_segment 0
		.amdhsa_system_sgpr_workgroup_id_x 1
		.amdhsa_system_sgpr_workgroup_id_y 0
		.amdhsa_system_sgpr_workgroup_id_z 0
		.amdhsa_system_sgpr_workgroup_info 0
		.amdhsa_system_vgpr_workitem_id 0
		.amdhsa_next_free_vgpr 24
		.amdhsa_next_free_sgpr 80
		.amdhsa_accum_offset 24
		.amdhsa_reserve_vcc 1
		.amdhsa_float_round_mode_32 0
		.amdhsa_float_round_mode_16_64 0
		.amdhsa_float_denorm_mode_32 3
		.amdhsa_float_denorm_mode_16_64 3
		.amdhsa_dx10_clamp 1
		.amdhsa_ieee_mode 1
		.amdhsa_fp16_overflow 0
		.amdhsa_tg_split 0
		.amdhsa_exception_fp_ieee_invalid_op 0
		.amdhsa_exception_fp_denorm_src 0
		.amdhsa_exception_fp_ieee_div_zero 0
		.amdhsa_exception_fp_ieee_overflow 0
		.amdhsa_exception_fp_ieee_underflow 0
		.amdhsa_exception_fp_ieee_inexact 0
		.amdhsa_exception_int_div_zero 0
	.end_amdhsa_kernel
	.section	.text._ZN2at6native32elementwise_kernel_manual_unrollILi128ELi4EZNS0_15gpu_kernel_implIZZZNS0_21clamp_max_kernel_cudaERNS_18TensorIteratorBaseERKN3c106ScalarEENKUlvE_clEvENKUlvE4_clEvEUldE_EEvS4_RKT_EUlibE0_EEviT1_,"axG",@progbits,_ZN2at6native32elementwise_kernel_manual_unrollILi128ELi4EZNS0_15gpu_kernel_implIZZZNS0_21clamp_max_kernel_cudaERNS_18TensorIteratorBaseERKN3c106ScalarEENKUlvE_clEvENKUlvE4_clEvEUldE_EEvS4_RKT_EUlibE0_EEviT1_,comdat
.Lfunc_end465:
	.size	_ZN2at6native32elementwise_kernel_manual_unrollILi128ELi4EZNS0_15gpu_kernel_implIZZZNS0_21clamp_max_kernel_cudaERNS_18TensorIteratorBaseERKN3c106ScalarEENKUlvE_clEvENKUlvE4_clEvEUldE_EEvS4_RKT_EUlibE0_EEviT1_, .Lfunc_end465-_ZN2at6native32elementwise_kernel_manual_unrollILi128ELi4EZNS0_15gpu_kernel_implIZZZNS0_21clamp_max_kernel_cudaERNS_18TensorIteratorBaseERKN3c106ScalarEENKUlvE_clEvENKUlvE4_clEvEUldE_EEvS4_RKT_EUlibE0_EEviT1_
                                        ; -- End function
	.set _ZN2at6native32elementwise_kernel_manual_unrollILi128ELi4EZNS0_15gpu_kernel_implIZZZNS0_21clamp_max_kernel_cudaERNS_18TensorIteratorBaseERKN3c106ScalarEENKUlvE_clEvENKUlvE4_clEvEUldE_EEvS4_RKT_EUlibE0_EEviT1_.num_vgpr, 24
	.set _ZN2at6native32elementwise_kernel_manual_unrollILi128ELi4EZNS0_15gpu_kernel_implIZZZNS0_21clamp_max_kernel_cudaERNS_18TensorIteratorBaseERKN3c106ScalarEENKUlvE_clEvENKUlvE4_clEvEUldE_EEvS4_RKT_EUlibE0_EEviT1_.num_agpr, 0
	.set _ZN2at6native32elementwise_kernel_manual_unrollILi128ELi4EZNS0_15gpu_kernel_implIZZZNS0_21clamp_max_kernel_cudaERNS_18TensorIteratorBaseERKN3c106ScalarEENKUlvE_clEvENKUlvE4_clEvEUldE_EEvS4_RKT_EUlibE0_EEviT1_.numbered_sgpr, 80
	.set _ZN2at6native32elementwise_kernel_manual_unrollILi128ELi4EZNS0_15gpu_kernel_implIZZZNS0_21clamp_max_kernel_cudaERNS_18TensorIteratorBaseERKN3c106ScalarEENKUlvE_clEvENKUlvE4_clEvEUldE_EEvS4_RKT_EUlibE0_EEviT1_.num_named_barrier, 0
	.set _ZN2at6native32elementwise_kernel_manual_unrollILi128ELi4EZNS0_15gpu_kernel_implIZZZNS0_21clamp_max_kernel_cudaERNS_18TensorIteratorBaseERKN3c106ScalarEENKUlvE_clEvENKUlvE4_clEvEUldE_EEvS4_RKT_EUlibE0_EEviT1_.private_seg_size, 0
	.set _ZN2at6native32elementwise_kernel_manual_unrollILi128ELi4EZNS0_15gpu_kernel_implIZZZNS0_21clamp_max_kernel_cudaERNS_18TensorIteratorBaseERKN3c106ScalarEENKUlvE_clEvENKUlvE4_clEvEUldE_EEvS4_RKT_EUlibE0_EEviT1_.uses_vcc, 1
	.set _ZN2at6native32elementwise_kernel_manual_unrollILi128ELi4EZNS0_15gpu_kernel_implIZZZNS0_21clamp_max_kernel_cudaERNS_18TensorIteratorBaseERKN3c106ScalarEENKUlvE_clEvENKUlvE4_clEvEUldE_EEvS4_RKT_EUlibE0_EEviT1_.uses_flat_scratch, 0
	.set _ZN2at6native32elementwise_kernel_manual_unrollILi128ELi4EZNS0_15gpu_kernel_implIZZZNS0_21clamp_max_kernel_cudaERNS_18TensorIteratorBaseERKN3c106ScalarEENKUlvE_clEvENKUlvE4_clEvEUldE_EEvS4_RKT_EUlibE0_EEviT1_.has_dyn_sized_stack, 0
	.set _ZN2at6native32elementwise_kernel_manual_unrollILi128ELi4EZNS0_15gpu_kernel_implIZZZNS0_21clamp_max_kernel_cudaERNS_18TensorIteratorBaseERKN3c106ScalarEENKUlvE_clEvENKUlvE4_clEvEUldE_EEvS4_RKT_EUlibE0_EEviT1_.has_recursion, 0
	.set _ZN2at6native32elementwise_kernel_manual_unrollILi128ELi4EZNS0_15gpu_kernel_implIZZZNS0_21clamp_max_kernel_cudaERNS_18TensorIteratorBaseERKN3c106ScalarEENKUlvE_clEvENKUlvE4_clEvEUldE_EEvS4_RKT_EUlibE0_EEviT1_.has_indirect_call, 0
	.section	.AMDGPU.csdata,"",@progbits
; Kernel info:
; codeLenInByte = 41480
; TotalNumSgprs: 86
; NumVgprs: 24
; NumAgprs: 0
; TotalNumVgprs: 24
; ScratchSize: 0
; MemoryBound: 1
; FloatMode: 240
; IeeeMode: 1
; LDSByteSize: 0 bytes/workgroup (compile time only)
; SGPRBlocks: 10
; VGPRBlocks: 2
; NumSGPRsForWavesPerEU: 86
; NumVGPRsForWavesPerEU: 24
; AccumOffset: 24
; Occupancy: 8
; WaveLimiterHint : 1
; COMPUTE_PGM_RSRC2:SCRATCH_EN: 0
; COMPUTE_PGM_RSRC2:USER_SGPR: 2
; COMPUTE_PGM_RSRC2:TRAP_HANDLER: 0
; COMPUTE_PGM_RSRC2:TGID_X_EN: 1
; COMPUTE_PGM_RSRC2:TGID_Y_EN: 0
; COMPUTE_PGM_RSRC2:TGID_Z_EN: 0
; COMPUTE_PGM_RSRC2:TIDIG_COMP_CNT: 0
; COMPUTE_PGM_RSRC3_GFX90A:ACCUM_OFFSET: 5
; COMPUTE_PGM_RSRC3_GFX90A:TG_SPLIT: 0
	.section	.text._ZN2at6native29vectorized_elementwise_kernelILi16EZZZNS0_21clamp_max_kernel_cudaERNS_18TensorIteratorBaseERKN3c106ScalarEENKUlvE_clEvENKUlvE5_clEvEUlfE_St5arrayIPcLm2EEEEviT0_T1_,"axG",@progbits,_ZN2at6native29vectorized_elementwise_kernelILi16EZZZNS0_21clamp_max_kernel_cudaERNS_18TensorIteratorBaseERKN3c106ScalarEENKUlvE_clEvENKUlvE5_clEvEUlfE_St5arrayIPcLm2EEEEviT0_T1_,comdat
	.globl	_ZN2at6native29vectorized_elementwise_kernelILi16EZZZNS0_21clamp_max_kernel_cudaERNS_18TensorIteratorBaseERKN3c106ScalarEENKUlvE_clEvENKUlvE5_clEvEUlfE_St5arrayIPcLm2EEEEviT0_T1_ ; -- Begin function _ZN2at6native29vectorized_elementwise_kernelILi16EZZZNS0_21clamp_max_kernel_cudaERNS_18TensorIteratorBaseERKN3c106ScalarEENKUlvE_clEvENKUlvE5_clEvEUlfE_St5arrayIPcLm2EEEEviT0_T1_
	.p2align	8
	.type	_ZN2at6native29vectorized_elementwise_kernelILi16EZZZNS0_21clamp_max_kernel_cudaERNS_18TensorIteratorBaseERKN3c106ScalarEENKUlvE_clEvENKUlvE5_clEvEUlfE_St5arrayIPcLm2EEEEviT0_T1_,@function
_ZN2at6native29vectorized_elementwise_kernelILi16EZZZNS0_21clamp_max_kernel_cudaERNS_18TensorIteratorBaseERKN3c106ScalarEENKUlvE_clEvENKUlvE5_clEvEUlfE_St5arrayIPcLm2EEEEviT0_T1_: ; @_ZN2at6native29vectorized_elementwise_kernelILi16EZZZNS0_21clamp_max_kernel_cudaERNS_18TensorIteratorBaseERKN3c106ScalarEENKUlvE_clEvENKUlvE5_clEvEUlfE_St5arrayIPcLm2EEEEviT0_T1_
; %bb.0:
	s_load_dwordx2 s[8:9], s[0:1], 0x0
	s_load_dwordx4 s[4:7], s[0:1], 0x8
	s_lshl_b32 s2, s2, 10
	s_mov_b64 s[0:1], -1
	s_waitcnt lgkmcnt(0)
	s_sub_i32 s10, s8, s2
	s_cmpk_gt_i32 s10, 0x3ff
	v_max_f32_e64 v1, s9, s9
	s_cbranch_scc0 .LBB466_2
; %bb.1:
	s_ashr_i32 s3, s2, 31
	s_lshl_b64 s[0:1], s[2:3], 2
	s_add_u32 s8, s6, s0
	s_addc_u32 s9, s7, s1
	v_lshlrev_b32_e32 v6, 4, v0
	global_load_dwordx4 v[2:5], v6, s[8:9]
	s_add_u32 s0, s4, s0
	s_addc_u32 s1, s5, s1
	s_waitcnt vmcnt(0)
	v_max_f32_e32 v8, v3, v3
	v_max_f32_e32 v7, v2, v2
	v_min_f32_e32 v8, v8, v1
	v_cmp_u_f32_e32 vcc, v3, v3
	v_max_f32_e32 v10, v5, v5
	v_min_f32_e32 v7, v7, v1
	v_cndmask_b32_e32 v3, v8, v3, vcc
	v_cmp_u_f32_e32 vcc, v2, v2
	v_max_f32_e32 v9, v4, v4
	v_min_f32_e32 v10, v10, v1
	v_cndmask_b32_e32 v2, v7, v2, vcc
	v_cmp_u_f32_e32 vcc, v5, v5
	v_min_f32_e32 v9, v9, v1
	s_nop 0
	v_cndmask_b32_e32 v5, v10, v5, vcc
	v_cmp_u_f32_e32 vcc, v4, v4
	s_nop 1
	v_cndmask_b32_e32 v4, v9, v4, vcc
	global_store_dwordx4 v6, v[2:5], s[0:1]
	s_mov_b64 s[0:1], 0
.LBB466_2:
	s_andn2_b64 vcc, exec, s[0:1]
	s_cbranch_vccnz .LBB466_16
; %bb.3:
	v_cmp_gt_i32_e32 vcc, s10, v0
	v_mov_b32_e32 v4, 0
	v_or_b32_e32 v2, s2, v0
	v_mov_b32_e32 v3, 0
	v_mov_b32_e32 v5, v0
	s_and_saveexec_b64 s[0:1], vcc
	s_cbranch_execz .LBB466_5
; %bb.4:
	v_mov_b32_e32 v3, 0
	v_lshl_add_u64 v[6:7], v[2:3], 2, s[6:7]
	global_load_dword v3, v[6:7], off
	v_or_b32_e32 v5, 0x100, v0
.LBB466_5:
	s_or_b64 exec, exec, s[0:1]
	v_cmp_gt_i32_e64 s[0:1], s10, v5
	s_and_saveexec_b64 s[8:9], s[0:1]
	s_cbranch_execz .LBB466_7
; %bb.6:
	v_add_u32_e32 v6, s2, v5
	v_mov_b32_e32 v7, 0
	v_lshl_add_u64 v[6:7], v[6:7], 2, s[6:7]
	global_load_dword v4, v[6:7], off
	v_add_u32_e32 v5, 0x100, v5
.LBB466_7:
	s_or_b64 exec, exec, s[8:9]
	v_cmp_gt_i32_e64 s[0:1], s10, v5
	v_mov_b32_e32 v6, 0
	v_mov_b32_e32 v7, 0
	s_and_saveexec_b64 s[8:9], s[0:1]
	s_cbranch_execz .LBB466_9
; %bb.8:
	v_add_u32_e32 v8, s2, v5
	v_mov_b32_e32 v9, 0
	v_lshl_add_u64 v[8:9], v[8:9], 2, s[6:7]
	global_load_dword v7, v[8:9], off
	v_add_u32_e32 v5, 0x100, v5
.LBB466_9:
	s_or_b64 exec, exec, s[8:9]
	v_cmp_gt_i32_e64 s[0:1], s10, v5
	s_and_saveexec_b64 s[8:9], s[0:1]
	s_cbranch_execz .LBB466_11
; %bb.10:
	v_add_u32_e32 v8, s2, v5
	v_mov_b32_e32 v9, 0
	v_lshl_add_u64 v[8:9], v[8:9], 2, s[6:7]
	global_load_dword v6, v[8:9], off
.LBB466_11:
	s_or_b64 exec, exec, s[8:9]
	s_waitcnt vmcnt(0)
	v_max_f32_e32 v5, v3, v3
	v_min_f32_e32 v5, v5, v1
	v_cmp_u_f32_e64 s[0:1], v3, v3
	v_or_b32_e32 v8, 0x100, v0
	s_nop 0
	v_cndmask_b32_e64 v3, v5, v3, s[0:1]
	v_cndmask_b32_e32 v9, 0, v3, vcc
	v_max_f32_e32 v3, v4, v4
	v_min_f32_e32 v3, v3, v1
	v_cmp_u_f32_e64 s[0:1], v4, v4
	s_nop 1
	v_cndmask_b32_e64 v3, v3, v4, s[0:1]
	v_cmp_gt_i32_e64 s[0:1], s10, v8
	v_max_f32_e32 v4, v7, v7
	v_min_f32_e32 v4, v4, v1
	v_cndmask_b32_e64 v5, 0, v3, s[0:1]
	v_or_b32_e32 v3, 0x200, v0
	v_cmp_u_f32_e64 s[0:1], v7, v7
	s_nop 1
	v_cndmask_b32_e64 v4, v4, v7, s[0:1]
	v_cmp_gt_i32_e64 s[0:1], s10, v3
	v_max_f32_e32 v7, v6, v6
	v_or_b32_e32 v3, 0x300, v0
	v_cndmask_b32_e64 v4, 0, v4, s[0:1]
	v_min_f32_e32 v1, v7, v1
	v_cmp_u_f32_e64 s[0:1], v6, v6
	s_nop 1
	v_cndmask_b32_e64 v1, v1, v6, s[0:1]
	v_cmp_gt_i32_e64 s[0:1], s10, v3
	s_nop 1
	v_cndmask_b32_e64 v1, 0, v1, s[0:1]
	s_and_saveexec_b64 s[0:1], vcc
	s_cbranch_execnz .LBB466_17
; %bb.12:
	s_or_b64 exec, exec, s[0:1]
	v_cmp_gt_i32_e32 vcc, s10, v0
	s_and_saveexec_b64 s[0:1], vcc
	s_cbranch_execnz .LBB466_18
.LBB466_13:
	s_or_b64 exec, exec, s[0:1]
	v_cmp_gt_i32_e32 vcc, s10, v0
	s_and_saveexec_b64 s[0:1], vcc
	s_cbranch_execnz .LBB466_19
.LBB466_14:
	s_or_b64 exec, exec, s[0:1]
	v_cmp_gt_i32_e32 vcc, s10, v0
	s_and_saveexec_b64 s[0:1], vcc
	s_cbranch_execz .LBB466_16
.LBB466_15:
	v_add_u32_e32 v2, s2, v0
	v_mov_b32_e32 v3, 0
	v_lshl_add_u64 v[2:3], v[2:3], 2, s[4:5]
	global_store_dword v[2:3], v1, off
.LBB466_16:
	s_endpgm
.LBB466_17:
	v_mov_b32_e32 v3, 0
	v_lshl_add_u64 v[2:3], v[2:3], 2, s[4:5]
	v_mov_b32_e32 v0, v8
	global_store_dword v[2:3], v9, off
	s_or_b64 exec, exec, s[0:1]
	v_cmp_gt_i32_e32 vcc, s10, v0
	s_and_saveexec_b64 s[0:1], vcc
	s_cbranch_execz .LBB466_13
.LBB466_18:
	v_add_u32_e32 v2, s2, v0
	v_mov_b32_e32 v3, 0
	v_lshl_add_u64 v[2:3], v[2:3], 2, s[4:5]
	v_add_u32_e32 v0, 0x100, v0
	global_store_dword v[2:3], v5, off
	s_or_b64 exec, exec, s[0:1]
	v_cmp_gt_i32_e32 vcc, s10, v0
	s_and_saveexec_b64 s[0:1], vcc
	s_cbranch_execz .LBB466_14
.LBB466_19:
	v_add_u32_e32 v2, s2, v0
	v_mov_b32_e32 v3, 0
	v_lshl_add_u64 v[2:3], v[2:3], 2, s[4:5]
	v_add_u32_e32 v0, 0x100, v0
	global_store_dword v[2:3], v4, off
	s_or_b64 exec, exec, s[0:1]
	v_cmp_gt_i32_e32 vcc, s10, v0
	s_and_saveexec_b64 s[0:1], vcc
	s_cbranch_execnz .LBB466_15
	s_branch .LBB466_16
	.section	.rodata,"a",@progbits
	.p2align	6, 0x0
	.amdhsa_kernel _ZN2at6native29vectorized_elementwise_kernelILi16EZZZNS0_21clamp_max_kernel_cudaERNS_18TensorIteratorBaseERKN3c106ScalarEENKUlvE_clEvENKUlvE5_clEvEUlfE_St5arrayIPcLm2EEEEviT0_T1_
		.amdhsa_group_segment_fixed_size 0
		.amdhsa_private_segment_fixed_size 0
		.amdhsa_kernarg_size 24
		.amdhsa_user_sgpr_count 2
		.amdhsa_user_sgpr_dispatch_ptr 0
		.amdhsa_user_sgpr_queue_ptr 0
		.amdhsa_user_sgpr_kernarg_segment_ptr 1
		.amdhsa_user_sgpr_dispatch_id 0
		.amdhsa_user_sgpr_kernarg_preload_length 0
		.amdhsa_user_sgpr_kernarg_preload_offset 0
		.amdhsa_user_sgpr_private_segment_size 0
		.amdhsa_uses_dynamic_stack 0
		.amdhsa_enable_private_segment 0
		.amdhsa_system_sgpr_workgroup_id_x 1
		.amdhsa_system_sgpr_workgroup_id_y 0
		.amdhsa_system_sgpr_workgroup_id_z 0
		.amdhsa_system_sgpr_workgroup_info 0
		.amdhsa_system_vgpr_workitem_id 0
		.amdhsa_next_free_vgpr 11
		.amdhsa_next_free_sgpr 11
		.amdhsa_accum_offset 12
		.amdhsa_reserve_vcc 1
		.amdhsa_float_round_mode_32 0
		.amdhsa_float_round_mode_16_64 0
		.amdhsa_float_denorm_mode_32 3
		.amdhsa_float_denorm_mode_16_64 3
		.amdhsa_dx10_clamp 1
		.amdhsa_ieee_mode 1
		.amdhsa_fp16_overflow 0
		.amdhsa_tg_split 0
		.amdhsa_exception_fp_ieee_invalid_op 0
		.amdhsa_exception_fp_denorm_src 0
		.amdhsa_exception_fp_ieee_div_zero 0
		.amdhsa_exception_fp_ieee_overflow 0
		.amdhsa_exception_fp_ieee_underflow 0
		.amdhsa_exception_fp_ieee_inexact 0
		.amdhsa_exception_int_div_zero 0
	.end_amdhsa_kernel
	.section	.text._ZN2at6native29vectorized_elementwise_kernelILi16EZZZNS0_21clamp_max_kernel_cudaERNS_18TensorIteratorBaseERKN3c106ScalarEENKUlvE_clEvENKUlvE5_clEvEUlfE_St5arrayIPcLm2EEEEviT0_T1_,"axG",@progbits,_ZN2at6native29vectorized_elementwise_kernelILi16EZZZNS0_21clamp_max_kernel_cudaERNS_18TensorIteratorBaseERKN3c106ScalarEENKUlvE_clEvENKUlvE5_clEvEUlfE_St5arrayIPcLm2EEEEviT0_T1_,comdat
.Lfunc_end466:
	.size	_ZN2at6native29vectorized_elementwise_kernelILi16EZZZNS0_21clamp_max_kernel_cudaERNS_18TensorIteratorBaseERKN3c106ScalarEENKUlvE_clEvENKUlvE5_clEvEUlfE_St5arrayIPcLm2EEEEviT0_T1_, .Lfunc_end466-_ZN2at6native29vectorized_elementwise_kernelILi16EZZZNS0_21clamp_max_kernel_cudaERNS_18TensorIteratorBaseERKN3c106ScalarEENKUlvE_clEvENKUlvE5_clEvEUlfE_St5arrayIPcLm2EEEEviT0_T1_
                                        ; -- End function
	.set _ZN2at6native29vectorized_elementwise_kernelILi16EZZZNS0_21clamp_max_kernel_cudaERNS_18TensorIteratorBaseERKN3c106ScalarEENKUlvE_clEvENKUlvE5_clEvEUlfE_St5arrayIPcLm2EEEEviT0_T1_.num_vgpr, 11
	.set _ZN2at6native29vectorized_elementwise_kernelILi16EZZZNS0_21clamp_max_kernel_cudaERNS_18TensorIteratorBaseERKN3c106ScalarEENKUlvE_clEvENKUlvE5_clEvEUlfE_St5arrayIPcLm2EEEEviT0_T1_.num_agpr, 0
	.set _ZN2at6native29vectorized_elementwise_kernelILi16EZZZNS0_21clamp_max_kernel_cudaERNS_18TensorIteratorBaseERKN3c106ScalarEENKUlvE_clEvENKUlvE5_clEvEUlfE_St5arrayIPcLm2EEEEviT0_T1_.numbered_sgpr, 11
	.set _ZN2at6native29vectorized_elementwise_kernelILi16EZZZNS0_21clamp_max_kernel_cudaERNS_18TensorIteratorBaseERKN3c106ScalarEENKUlvE_clEvENKUlvE5_clEvEUlfE_St5arrayIPcLm2EEEEviT0_T1_.num_named_barrier, 0
	.set _ZN2at6native29vectorized_elementwise_kernelILi16EZZZNS0_21clamp_max_kernel_cudaERNS_18TensorIteratorBaseERKN3c106ScalarEENKUlvE_clEvENKUlvE5_clEvEUlfE_St5arrayIPcLm2EEEEviT0_T1_.private_seg_size, 0
	.set _ZN2at6native29vectorized_elementwise_kernelILi16EZZZNS0_21clamp_max_kernel_cudaERNS_18TensorIteratorBaseERKN3c106ScalarEENKUlvE_clEvENKUlvE5_clEvEUlfE_St5arrayIPcLm2EEEEviT0_T1_.uses_vcc, 1
	.set _ZN2at6native29vectorized_elementwise_kernelILi16EZZZNS0_21clamp_max_kernel_cudaERNS_18TensorIteratorBaseERKN3c106ScalarEENKUlvE_clEvENKUlvE5_clEvEUlfE_St5arrayIPcLm2EEEEviT0_T1_.uses_flat_scratch, 0
	.set _ZN2at6native29vectorized_elementwise_kernelILi16EZZZNS0_21clamp_max_kernel_cudaERNS_18TensorIteratorBaseERKN3c106ScalarEENKUlvE_clEvENKUlvE5_clEvEUlfE_St5arrayIPcLm2EEEEviT0_T1_.has_dyn_sized_stack, 0
	.set _ZN2at6native29vectorized_elementwise_kernelILi16EZZZNS0_21clamp_max_kernel_cudaERNS_18TensorIteratorBaseERKN3c106ScalarEENKUlvE_clEvENKUlvE5_clEvEUlfE_St5arrayIPcLm2EEEEviT0_T1_.has_recursion, 0
	.set _ZN2at6native29vectorized_elementwise_kernelILi16EZZZNS0_21clamp_max_kernel_cudaERNS_18TensorIteratorBaseERKN3c106ScalarEENKUlvE_clEvENKUlvE5_clEvEUlfE_St5arrayIPcLm2EEEEviT0_T1_.has_indirect_call, 0
	.section	.AMDGPU.csdata,"",@progbits
; Kernel info:
; codeLenInByte = 816
; TotalNumSgprs: 17
; NumVgprs: 11
; NumAgprs: 0
; TotalNumVgprs: 11
; ScratchSize: 0
; MemoryBound: 0
; FloatMode: 240
; IeeeMode: 1
; LDSByteSize: 0 bytes/workgroup (compile time only)
; SGPRBlocks: 2
; VGPRBlocks: 1
; NumSGPRsForWavesPerEU: 17
; NumVGPRsForWavesPerEU: 11
; AccumOffset: 12
; Occupancy: 8
; WaveLimiterHint : 0
; COMPUTE_PGM_RSRC2:SCRATCH_EN: 0
; COMPUTE_PGM_RSRC2:USER_SGPR: 2
; COMPUTE_PGM_RSRC2:TRAP_HANDLER: 0
; COMPUTE_PGM_RSRC2:TGID_X_EN: 1
; COMPUTE_PGM_RSRC2:TGID_Y_EN: 0
; COMPUTE_PGM_RSRC2:TGID_Z_EN: 0
; COMPUTE_PGM_RSRC2:TIDIG_COMP_CNT: 0
; COMPUTE_PGM_RSRC3_GFX90A:ACCUM_OFFSET: 2
; COMPUTE_PGM_RSRC3_GFX90A:TG_SPLIT: 0
	.section	.text._ZN2at6native29vectorized_elementwise_kernelILi8EZZZNS0_21clamp_max_kernel_cudaERNS_18TensorIteratorBaseERKN3c106ScalarEENKUlvE_clEvENKUlvE5_clEvEUlfE_St5arrayIPcLm2EEEEviT0_T1_,"axG",@progbits,_ZN2at6native29vectorized_elementwise_kernelILi8EZZZNS0_21clamp_max_kernel_cudaERNS_18TensorIteratorBaseERKN3c106ScalarEENKUlvE_clEvENKUlvE5_clEvEUlfE_St5arrayIPcLm2EEEEviT0_T1_,comdat
	.globl	_ZN2at6native29vectorized_elementwise_kernelILi8EZZZNS0_21clamp_max_kernel_cudaERNS_18TensorIteratorBaseERKN3c106ScalarEENKUlvE_clEvENKUlvE5_clEvEUlfE_St5arrayIPcLm2EEEEviT0_T1_ ; -- Begin function _ZN2at6native29vectorized_elementwise_kernelILi8EZZZNS0_21clamp_max_kernel_cudaERNS_18TensorIteratorBaseERKN3c106ScalarEENKUlvE_clEvENKUlvE5_clEvEUlfE_St5arrayIPcLm2EEEEviT0_T1_
	.p2align	8
	.type	_ZN2at6native29vectorized_elementwise_kernelILi8EZZZNS0_21clamp_max_kernel_cudaERNS_18TensorIteratorBaseERKN3c106ScalarEENKUlvE_clEvENKUlvE5_clEvEUlfE_St5arrayIPcLm2EEEEviT0_T1_,@function
_ZN2at6native29vectorized_elementwise_kernelILi8EZZZNS0_21clamp_max_kernel_cudaERNS_18TensorIteratorBaseERKN3c106ScalarEENKUlvE_clEvENKUlvE5_clEvEUlfE_St5arrayIPcLm2EEEEviT0_T1_: ; @_ZN2at6native29vectorized_elementwise_kernelILi8EZZZNS0_21clamp_max_kernel_cudaERNS_18TensorIteratorBaseERKN3c106ScalarEENKUlvE_clEvENKUlvE5_clEvEUlfE_St5arrayIPcLm2EEEEviT0_T1_
; %bb.0:
	s_load_dwordx2 s[8:9], s[0:1], 0x0
	s_load_dwordx4 s[4:7], s[0:1], 0x8
	s_lshl_b32 s2, s2, 10
	s_mov_b64 s[0:1], -1
	s_waitcnt lgkmcnt(0)
	s_sub_i32 s10, s8, s2
	s_cmpk_gt_i32 s10, 0x3ff
	v_max_f32_e64 v1, s9, s9
	s_cbranch_scc0 .LBB467_2
; %bb.1:
	s_ashr_i32 s3, s2, 31
	s_lshl_b64 s[0:1], s[2:3], 2
	s_add_u32 s8, s6, s0
	s_addc_u32 s9, s7, s1
	v_lshlrev_b32_e32 v6, 4, v0
	global_load_dwordx4 v[2:5], v6, s[8:9]
	s_add_u32 s0, s4, s0
	s_addc_u32 s1, s5, s1
	s_waitcnt vmcnt(0)
	v_max_f32_e32 v8, v3, v3
	v_max_f32_e32 v7, v2, v2
	v_min_f32_e32 v8, v8, v1
	v_cmp_u_f32_e32 vcc, v3, v3
	v_max_f32_e32 v10, v5, v5
	v_min_f32_e32 v7, v7, v1
	v_cndmask_b32_e32 v3, v8, v3, vcc
	v_cmp_u_f32_e32 vcc, v2, v2
	v_max_f32_e32 v9, v4, v4
	v_min_f32_e32 v10, v10, v1
	v_cndmask_b32_e32 v2, v7, v2, vcc
	v_cmp_u_f32_e32 vcc, v5, v5
	v_min_f32_e32 v9, v9, v1
	s_nop 0
	v_cndmask_b32_e32 v5, v10, v5, vcc
	v_cmp_u_f32_e32 vcc, v4, v4
	s_nop 1
	v_cndmask_b32_e32 v4, v9, v4, vcc
	global_store_dwordx4 v6, v[2:5], s[0:1]
	s_mov_b64 s[0:1], 0
.LBB467_2:
	s_andn2_b64 vcc, exec, s[0:1]
	s_cbranch_vccnz .LBB467_16
; %bb.3:
	v_cmp_gt_i32_e32 vcc, s10, v0
	v_mov_b32_e32 v4, 0
	v_or_b32_e32 v2, s2, v0
	v_mov_b32_e32 v3, 0
	v_mov_b32_e32 v5, v0
	s_and_saveexec_b64 s[0:1], vcc
	s_cbranch_execz .LBB467_5
; %bb.4:
	v_mov_b32_e32 v3, 0
	v_lshl_add_u64 v[6:7], v[2:3], 2, s[6:7]
	global_load_dword v3, v[6:7], off
	v_or_b32_e32 v5, 0x100, v0
.LBB467_5:
	s_or_b64 exec, exec, s[0:1]
	v_cmp_gt_i32_e64 s[0:1], s10, v5
	s_and_saveexec_b64 s[8:9], s[0:1]
	s_cbranch_execz .LBB467_7
; %bb.6:
	v_add_u32_e32 v6, s2, v5
	v_mov_b32_e32 v7, 0
	v_lshl_add_u64 v[6:7], v[6:7], 2, s[6:7]
	global_load_dword v4, v[6:7], off
	v_add_u32_e32 v5, 0x100, v5
.LBB467_7:
	s_or_b64 exec, exec, s[8:9]
	v_cmp_gt_i32_e64 s[0:1], s10, v5
	v_mov_b32_e32 v6, 0
	v_mov_b32_e32 v7, 0
	s_and_saveexec_b64 s[8:9], s[0:1]
	s_cbranch_execz .LBB467_9
; %bb.8:
	v_add_u32_e32 v8, s2, v5
	v_mov_b32_e32 v9, 0
	v_lshl_add_u64 v[8:9], v[8:9], 2, s[6:7]
	global_load_dword v7, v[8:9], off
	v_add_u32_e32 v5, 0x100, v5
.LBB467_9:
	s_or_b64 exec, exec, s[8:9]
	v_cmp_gt_i32_e64 s[0:1], s10, v5
	s_and_saveexec_b64 s[8:9], s[0:1]
	s_cbranch_execz .LBB467_11
; %bb.10:
	v_add_u32_e32 v8, s2, v5
	v_mov_b32_e32 v9, 0
	v_lshl_add_u64 v[8:9], v[8:9], 2, s[6:7]
	global_load_dword v6, v[8:9], off
.LBB467_11:
	s_or_b64 exec, exec, s[8:9]
	s_waitcnt vmcnt(0)
	v_max_f32_e32 v5, v3, v3
	v_min_f32_e32 v5, v5, v1
	v_cmp_u_f32_e64 s[0:1], v3, v3
	v_or_b32_e32 v8, 0x100, v0
	s_nop 0
	v_cndmask_b32_e64 v3, v5, v3, s[0:1]
	v_cndmask_b32_e32 v9, 0, v3, vcc
	v_max_f32_e32 v3, v4, v4
	v_min_f32_e32 v3, v3, v1
	v_cmp_u_f32_e64 s[0:1], v4, v4
	s_nop 1
	v_cndmask_b32_e64 v3, v3, v4, s[0:1]
	v_cmp_gt_i32_e64 s[0:1], s10, v8
	v_max_f32_e32 v4, v7, v7
	v_min_f32_e32 v4, v4, v1
	v_cndmask_b32_e64 v5, 0, v3, s[0:1]
	v_or_b32_e32 v3, 0x200, v0
	v_cmp_u_f32_e64 s[0:1], v7, v7
	s_nop 1
	v_cndmask_b32_e64 v4, v4, v7, s[0:1]
	v_cmp_gt_i32_e64 s[0:1], s10, v3
	v_max_f32_e32 v7, v6, v6
	v_or_b32_e32 v3, 0x300, v0
	v_cndmask_b32_e64 v4, 0, v4, s[0:1]
	v_min_f32_e32 v1, v7, v1
	v_cmp_u_f32_e64 s[0:1], v6, v6
	s_nop 1
	v_cndmask_b32_e64 v1, v1, v6, s[0:1]
	v_cmp_gt_i32_e64 s[0:1], s10, v3
	s_nop 1
	v_cndmask_b32_e64 v1, 0, v1, s[0:1]
	s_and_saveexec_b64 s[0:1], vcc
	s_cbranch_execnz .LBB467_17
; %bb.12:
	s_or_b64 exec, exec, s[0:1]
	v_cmp_gt_i32_e32 vcc, s10, v0
	s_and_saveexec_b64 s[0:1], vcc
	s_cbranch_execnz .LBB467_18
.LBB467_13:
	s_or_b64 exec, exec, s[0:1]
	v_cmp_gt_i32_e32 vcc, s10, v0
	s_and_saveexec_b64 s[0:1], vcc
	s_cbranch_execnz .LBB467_19
.LBB467_14:
	s_or_b64 exec, exec, s[0:1]
	v_cmp_gt_i32_e32 vcc, s10, v0
	s_and_saveexec_b64 s[0:1], vcc
	s_cbranch_execz .LBB467_16
.LBB467_15:
	v_add_u32_e32 v2, s2, v0
	v_mov_b32_e32 v3, 0
	v_lshl_add_u64 v[2:3], v[2:3], 2, s[4:5]
	global_store_dword v[2:3], v1, off
.LBB467_16:
	s_endpgm
.LBB467_17:
	v_mov_b32_e32 v3, 0
	v_lshl_add_u64 v[2:3], v[2:3], 2, s[4:5]
	v_mov_b32_e32 v0, v8
	global_store_dword v[2:3], v9, off
	s_or_b64 exec, exec, s[0:1]
	v_cmp_gt_i32_e32 vcc, s10, v0
	s_and_saveexec_b64 s[0:1], vcc
	s_cbranch_execz .LBB467_13
.LBB467_18:
	v_add_u32_e32 v2, s2, v0
	v_mov_b32_e32 v3, 0
	v_lshl_add_u64 v[2:3], v[2:3], 2, s[4:5]
	v_add_u32_e32 v0, 0x100, v0
	global_store_dword v[2:3], v5, off
	s_or_b64 exec, exec, s[0:1]
	v_cmp_gt_i32_e32 vcc, s10, v0
	s_and_saveexec_b64 s[0:1], vcc
	s_cbranch_execz .LBB467_14
.LBB467_19:
	v_add_u32_e32 v2, s2, v0
	v_mov_b32_e32 v3, 0
	v_lshl_add_u64 v[2:3], v[2:3], 2, s[4:5]
	v_add_u32_e32 v0, 0x100, v0
	global_store_dword v[2:3], v4, off
	s_or_b64 exec, exec, s[0:1]
	v_cmp_gt_i32_e32 vcc, s10, v0
	s_and_saveexec_b64 s[0:1], vcc
	s_cbranch_execnz .LBB467_15
	s_branch .LBB467_16
	.section	.rodata,"a",@progbits
	.p2align	6, 0x0
	.amdhsa_kernel _ZN2at6native29vectorized_elementwise_kernelILi8EZZZNS0_21clamp_max_kernel_cudaERNS_18TensorIteratorBaseERKN3c106ScalarEENKUlvE_clEvENKUlvE5_clEvEUlfE_St5arrayIPcLm2EEEEviT0_T1_
		.amdhsa_group_segment_fixed_size 0
		.amdhsa_private_segment_fixed_size 0
		.amdhsa_kernarg_size 24
		.amdhsa_user_sgpr_count 2
		.amdhsa_user_sgpr_dispatch_ptr 0
		.amdhsa_user_sgpr_queue_ptr 0
		.amdhsa_user_sgpr_kernarg_segment_ptr 1
		.amdhsa_user_sgpr_dispatch_id 0
		.amdhsa_user_sgpr_kernarg_preload_length 0
		.amdhsa_user_sgpr_kernarg_preload_offset 0
		.amdhsa_user_sgpr_private_segment_size 0
		.amdhsa_uses_dynamic_stack 0
		.amdhsa_enable_private_segment 0
		.amdhsa_system_sgpr_workgroup_id_x 1
		.amdhsa_system_sgpr_workgroup_id_y 0
		.amdhsa_system_sgpr_workgroup_id_z 0
		.amdhsa_system_sgpr_workgroup_info 0
		.amdhsa_system_vgpr_workitem_id 0
		.amdhsa_next_free_vgpr 11
		.amdhsa_next_free_sgpr 11
		.amdhsa_accum_offset 12
		.amdhsa_reserve_vcc 1
		.amdhsa_float_round_mode_32 0
		.amdhsa_float_round_mode_16_64 0
		.amdhsa_float_denorm_mode_32 3
		.amdhsa_float_denorm_mode_16_64 3
		.amdhsa_dx10_clamp 1
		.amdhsa_ieee_mode 1
		.amdhsa_fp16_overflow 0
		.amdhsa_tg_split 0
		.amdhsa_exception_fp_ieee_invalid_op 0
		.amdhsa_exception_fp_denorm_src 0
		.amdhsa_exception_fp_ieee_div_zero 0
		.amdhsa_exception_fp_ieee_overflow 0
		.amdhsa_exception_fp_ieee_underflow 0
		.amdhsa_exception_fp_ieee_inexact 0
		.amdhsa_exception_int_div_zero 0
	.end_amdhsa_kernel
	.section	.text._ZN2at6native29vectorized_elementwise_kernelILi8EZZZNS0_21clamp_max_kernel_cudaERNS_18TensorIteratorBaseERKN3c106ScalarEENKUlvE_clEvENKUlvE5_clEvEUlfE_St5arrayIPcLm2EEEEviT0_T1_,"axG",@progbits,_ZN2at6native29vectorized_elementwise_kernelILi8EZZZNS0_21clamp_max_kernel_cudaERNS_18TensorIteratorBaseERKN3c106ScalarEENKUlvE_clEvENKUlvE5_clEvEUlfE_St5arrayIPcLm2EEEEviT0_T1_,comdat
.Lfunc_end467:
	.size	_ZN2at6native29vectorized_elementwise_kernelILi8EZZZNS0_21clamp_max_kernel_cudaERNS_18TensorIteratorBaseERKN3c106ScalarEENKUlvE_clEvENKUlvE5_clEvEUlfE_St5arrayIPcLm2EEEEviT0_T1_, .Lfunc_end467-_ZN2at6native29vectorized_elementwise_kernelILi8EZZZNS0_21clamp_max_kernel_cudaERNS_18TensorIteratorBaseERKN3c106ScalarEENKUlvE_clEvENKUlvE5_clEvEUlfE_St5arrayIPcLm2EEEEviT0_T1_
                                        ; -- End function
	.set _ZN2at6native29vectorized_elementwise_kernelILi8EZZZNS0_21clamp_max_kernel_cudaERNS_18TensorIteratorBaseERKN3c106ScalarEENKUlvE_clEvENKUlvE5_clEvEUlfE_St5arrayIPcLm2EEEEviT0_T1_.num_vgpr, 11
	.set _ZN2at6native29vectorized_elementwise_kernelILi8EZZZNS0_21clamp_max_kernel_cudaERNS_18TensorIteratorBaseERKN3c106ScalarEENKUlvE_clEvENKUlvE5_clEvEUlfE_St5arrayIPcLm2EEEEviT0_T1_.num_agpr, 0
	.set _ZN2at6native29vectorized_elementwise_kernelILi8EZZZNS0_21clamp_max_kernel_cudaERNS_18TensorIteratorBaseERKN3c106ScalarEENKUlvE_clEvENKUlvE5_clEvEUlfE_St5arrayIPcLm2EEEEviT0_T1_.numbered_sgpr, 11
	.set _ZN2at6native29vectorized_elementwise_kernelILi8EZZZNS0_21clamp_max_kernel_cudaERNS_18TensorIteratorBaseERKN3c106ScalarEENKUlvE_clEvENKUlvE5_clEvEUlfE_St5arrayIPcLm2EEEEviT0_T1_.num_named_barrier, 0
	.set _ZN2at6native29vectorized_elementwise_kernelILi8EZZZNS0_21clamp_max_kernel_cudaERNS_18TensorIteratorBaseERKN3c106ScalarEENKUlvE_clEvENKUlvE5_clEvEUlfE_St5arrayIPcLm2EEEEviT0_T1_.private_seg_size, 0
	.set _ZN2at6native29vectorized_elementwise_kernelILi8EZZZNS0_21clamp_max_kernel_cudaERNS_18TensorIteratorBaseERKN3c106ScalarEENKUlvE_clEvENKUlvE5_clEvEUlfE_St5arrayIPcLm2EEEEviT0_T1_.uses_vcc, 1
	.set _ZN2at6native29vectorized_elementwise_kernelILi8EZZZNS0_21clamp_max_kernel_cudaERNS_18TensorIteratorBaseERKN3c106ScalarEENKUlvE_clEvENKUlvE5_clEvEUlfE_St5arrayIPcLm2EEEEviT0_T1_.uses_flat_scratch, 0
	.set _ZN2at6native29vectorized_elementwise_kernelILi8EZZZNS0_21clamp_max_kernel_cudaERNS_18TensorIteratorBaseERKN3c106ScalarEENKUlvE_clEvENKUlvE5_clEvEUlfE_St5arrayIPcLm2EEEEviT0_T1_.has_dyn_sized_stack, 0
	.set _ZN2at6native29vectorized_elementwise_kernelILi8EZZZNS0_21clamp_max_kernel_cudaERNS_18TensorIteratorBaseERKN3c106ScalarEENKUlvE_clEvENKUlvE5_clEvEUlfE_St5arrayIPcLm2EEEEviT0_T1_.has_recursion, 0
	.set _ZN2at6native29vectorized_elementwise_kernelILi8EZZZNS0_21clamp_max_kernel_cudaERNS_18TensorIteratorBaseERKN3c106ScalarEENKUlvE_clEvENKUlvE5_clEvEUlfE_St5arrayIPcLm2EEEEviT0_T1_.has_indirect_call, 0
	.section	.AMDGPU.csdata,"",@progbits
; Kernel info:
; codeLenInByte = 816
; TotalNumSgprs: 17
; NumVgprs: 11
; NumAgprs: 0
; TotalNumVgprs: 11
; ScratchSize: 0
; MemoryBound: 0
; FloatMode: 240
; IeeeMode: 1
; LDSByteSize: 0 bytes/workgroup (compile time only)
; SGPRBlocks: 2
; VGPRBlocks: 1
; NumSGPRsForWavesPerEU: 17
; NumVGPRsForWavesPerEU: 11
; AccumOffset: 12
; Occupancy: 8
; WaveLimiterHint : 0
; COMPUTE_PGM_RSRC2:SCRATCH_EN: 0
; COMPUTE_PGM_RSRC2:USER_SGPR: 2
; COMPUTE_PGM_RSRC2:TRAP_HANDLER: 0
; COMPUTE_PGM_RSRC2:TGID_X_EN: 1
; COMPUTE_PGM_RSRC2:TGID_Y_EN: 0
; COMPUTE_PGM_RSRC2:TGID_Z_EN: 0
; COMPUTE_PGM_RSRC2:TIDIG_COMP_CNT: 0
; COMPUTE_PGM_RSRC3_GFX90A:ACCUM_OFFSET: 2
; COMPUTE_PGM_RSRC3_GFX90A:TG_SPLIT: 0
	.section	.text._ZN2at6native29vectorized_elementwise_kernelILi4EZZZNS0_21clamp_max_kernel_cudaERNS_18TensorIteratorBaseERKN3c106ScalarEENKUlvE_clEvENKUlvE5_clEvEUlfE_St5arrayIPcLm2EEEEviT0_T1_,"axG",@progbits,_ZN2at6native29vectorized_elementwise_kernelILi4EZZZNS0_21clamp_max_kernel_cudaERNS_18TensorIteratorBaseERKN3c106ScalarEENKUlvE_clEvENKUlvE5_clEvEUlfE_St5arrayIPcLm2EEEEviT0_T1_,comdat
	.globl	_ZN2at6native29vectorized_elementwise_kernelILi4EZZZNS0_21clamp_max_kernel_cudaERNS_18TensorIteratorBaseERKN3c106ScalarEENKUlvE_clEvENKUlvE5_clEvEUlfE_St5arrayIPcLm2EEEEviT0_T1_ ; -- Begin function _ZN2at6native29vectorized_elementwise_kernelILi4EZZZNS0_21clamp_max_kernel_cudaERNS_18TensorIteratorBaseERKN3c106ScalarEENKUlvE_clEvENKUlvE5_clEvEUlfE_St5arrayIPcLm2EEEEviT0_T1_
	.p2align	8
	.type	_ZN2at6native29vectorized_elementwise_kernelILi4EZZZNS0_21clamp_max_kernel_cudaERNS_18TensorIteratorBaseERKN3c106ScalarEENKUlvE_clEvENKUlvE5_clEvEUlfE_St5arrayIPcLm2EEEEviT0_T1_,@function
_ZN2at6native29vectorized_elementwise_kernelILi4EZZZNS0_21clamp_max_kernel_cudaERNS_18TensorIteratorBaseERKN3c106ScalarEENKUlvE_clEvENKUlvE5_clEvEUlfE_St5arrayIPcLm2EEEEviT0_T1_: ; @_ZN2at6native29vectorized_elementwise_kernelILi4EZZZNS0_21clamp_max_kernel_cudaERNS_18TensorIteratorBaseERKN3c106ScalarEENKUlvE_clEvENKUlvE5_clEvEUlfE_St5arrayIPcLm2EEEEviT0_T1_
; %bb.0:
	s_load_dwordx2 s[8:9], s[0:1], 0x0
	s_load_dwordx4 s[4:7], s[0:1], 0x8
	s_lshl_b32 s2, s2, 10
	s_mov_b64 s[0:1], -1
	s_waitcnt lgkmcnt(0)
	s_sub_i32 s10, s8, s2
	s_cmpk_gt_i32 s10, 0x3ff
	v_max_f32_e64 v1, s9, s9
	s_cbranch_scc0 .LBB468_2
; %bb.1:
	s_ashr_i32 s3, s2, 31
	s_lshl_b64 s[0:1], s[2:3], 2
	s_add_u32 s8, s6, s0
	s_addc_u32 s9, s7, s1
	v_lshlrev_b32_e32 v6, 4, v0
	global_load_dwordx4 v[2:5], v6, s[8:9]
	s_add_u32 s0, s4, s0
	s_addc_u32 s1, s5, s1
	s_waitcnt vmcnt(0)
	v_max_f32_e32 v8, v3, v3
	v_max_f32_e32 v7, v2, v2
	v_min_f32_e32 v8, v8, v1
	v_cmp_u_f32_e32 vcc, v3, v3
	v_max_f32_e32 v10, v5, v5
	v_min_f32_e32 v7, v7, v1
	v_cndmask_b32_e32 v3, v8, v3, vcc
	v_cmp_u_f32_e32 vcc, v2, v2
	v_max_f32_e32 v9, v4, v4
	v_min_f32_e32 v10, v10, v1
	v_cndmask_b32_e32 v2, v7, v2, vcc
	v_cmp_u_f32_e32 vcc, v5, v5
	v_min_f32_e32 v9, v9, v1
	s_nop 0
	v_cndmask_b32_e32 v5, v10, v5, vcc
	v_cmp_u_f32_e32 vcc, v4, v4
	s_nop 1
	v_cndmask_b32_e32 v4, v9, v4, vcc
	global_store_dwordx4 v6, v[2:5], s[0:1]
	s_mov_b64 s[0:1], 0
.LBB468_2:
	s_andn2_b64 vcc, exec, s[0:1]
	s_cbranch_vccnz .LBB468_16
; %bb.3:
	v_cmp_gt_i32_e32 vcc, s10, v0
	v_mov_b32_e32 v4, 0
	v_or_b32_e32 v2, s2, v0
	v_mov_b32_e32 v3, 0
	v_mov_b32_e32 v5, v0
	s_and_saveexec_b64 s[0:1], vcc
	s_cbranch_execz .LBB468_5
; %bb.4:
	v_mov_b32_e32 v3, 0
	v_lshl_add_u64 v[6:7], v[2:3], 2, s[6:7]
	global_load_dword v3, v[6:7], off
	v_or_b32_e32 v5, 0x100, v0
.LBB468_5:
	s_or_b64 exec, exec, s[0:1]
	v_cmp_gt_i32_e64 s[0:1], s10, v5
	s_and_saveexec_b64 s[8:9], s[0:1]
	s_cbranch_execz .LBB468_7
; %bb.6:
	v_add_u32_e32 v6, s2, v5
	v_mov_b32_e32 v7, 0
	v_lshl_add_u64 v[6:7], v[6:7], 2, s[6:7]
	global_load_dword v4, v[6:7], off
	v_add_u32_e32 v5, 0x100, v5
.LBB468_7:
	s_or_b64 exec, exec, s[8:9]
	v_cmp_gt_i32_e64 s[0:1], s10, v5
	v_mov_b32_e32 v6, 0
	v_mov_b32_e32 v7, 0
	s_and_saveexec_b64 s[8:9], s[0:1]
	s_cbranch_execz .LBB468_9
; %bb.8:
	v_add_u32_e32 v8, s2, v5
	v_mov_b32_e32 v9, 0
	v_lshl_add_u64 v[8:9], v[8:9], 2, s[6:7]
	global_load_dword v7, v[8:9], off
	v_add_u32_e32 v5, 0x100, v5
.LBB468_9:
	s_or_b64 exec, exec, s[8:9]
	v_cmp_gt_i32_e64 s[0:1], s10, v5
	s_and_saveexec_b64 s[8:9], s[0:1]
	s_cbranch_execz .LBB468_11
; %bb.10:
	v_add_u32_e32 v8, s2, v5
	v_mov_b32_e32 v9, 0
	v_lshl_add_u64 v[8:9], v[8:9], 2, s[6:7]
	global_load_dword v6, v[8:9], off
.LBB468_11:
	s_or_b64 exec, exec, s[8:9]
	s_waitcnt vmcnt(0)
	v_max_f32_e32 v5, v3, v3
	v_min_f32_e32 v5, v5, v1
	v_cmp_u_f32_e64 s[0:1], v3, v3
	v_or_b32_e32 v8, 0x100, v0
	s_nop 0
	v_cndmask_b32_e64 v3, v5, v3, s[0:1]
	v_cndmask_b32_e32 v9, 0, v3, vcc
	v_max_f32_e32 v3, v4, v4
	v_min_f32_e32 v3, v3, v1
	v_cmp_u_f32_e64 s[0:1], v4, v4
	s_nop 1
	v_cndmask_b32_e64 v3, v3, v4, s[0:1]
	v_cmp_gt_i32_e64 s[0:1], s10, v8
	v_max_f32_e32 v4, v7, v7
	v_min_f32_e32 v4, v4, v1
	v_cndmask_b32_e64 v5, 0, v3, s[0:1]
	v_or_b32_e32 v3, 0x200, v0
	v_cmp_u_f32_e64 s[0:1], v7, v7
	s_nop 1
	v_cndmask_b32_e64 v4, v4, v7, s[0:1]
	v_cmp_gt_i32_e64 s[0:1], s10, v3
	v_max_f32_e32 v7, v6, v6
	v_or_b32_e32 v3, 0x300, v0
	v_cndmask_b32_e64 v4, 0, v4, s[0:1]
	v_min_f32_e32 v1, v7, v1
	v_cmp_u_f32_e64 s[0:1], v6, v6
	s_nop 1
	v_cndmask_b32_e64 v1, v1, v6, s[0:1]
	v_cmp_gt_i32_e64 s[0:1], s10, v3
	s_nop 1
	v_cndmask_b32_e64 v1, 0, v1, s[0:1]
	s_and_saveexec_b64 s[0:1], vcc
	s_cbranch_execnz .LBB468_17
; %bb.12:
	s_or_b64 exec, exec, s[0:1]
	v_cmp_gt_i32_e32 vcc, s10, v0
	s_and_saveexec_b64 s[0:1], vcc
	s_cbranch_execnz .LBB468_18
.LBB468_13:
	s_or_b64 exec, exec, s[0:1]
	v_cmp_gt_i32_e32 vcc, s10, v0
	s_and_saveexec_b64 s[0:1], vcc
	s_cbranch_execnz .LBB468_19
.LBB468_14:
	s_or_b64 exec, exec, s[0:1]
	v_cmp_gt_i32_e32 vcc, s10, v0
	s_and_saveexec_b64 s[0:1], vcc
	s_cbranch_execz .LBB468_16
.LBB468_15:
	v_add_u32_e32 v2, s2, v0
	v_mov_b32_e32 v3, 0
	v_lshl_add_u64 v[2:3], v[2:3], 2, s[4:5]
	global_store_dword v[2:3], v1, off
.LBB468_16:
	s_endpgm
.LBB468_17:
	v_mov_b32_e32 v3, 0
	v_lshl_add_u64 v[2:3], v[2:3], 2, s[4:5]
	v_mov_b32_e32 v0, v8
	global_store_dword v[2:3], v9, off
	s_or_b64 exec, exec, s[0:1]
	v_cmp_gt_i32_e32 vcc, s10, v0
	s_and_saveexec_b64 s[0:1], vcc
	s_cbranch_execz .LBB468_13
.LBB468_18:
	v_add_u32_e32 v2, s2, v0
	v_mov_b32_e32 v3, 0
	v_lshl_add_u64 v[2:3], v[2:3], 2, s[4:5]
	v_add_u32_e32 v0, 0x100, v0
	global_store_dword v[2:3], v5, off
	s_or_b64 exec, exec, s[0:1]
	v_cmp_gt_i32_e32 vcc, s10, v0
	s_and_saveexec_b64 s[0:1], vcc
	s_cbranch_execz .LBB468_14
.LBB468_19:
	v_add_u32_e32 v2, s2, v0
	v_mov_b32_e32 v3, 0
	v_lshl_add_u64 v[2:3], v[2:3], 2, s[4:5]
	v_add_u32_e32 v0, 0x100, v0
	global_store_dword v[2:3], v4, off
	s_or_b64 exec, exec, s[0:1]
	v_cmp_gt_i32_e32 vcc, s10, v0
	s_and_saveexec_b64 s[0:1], vcc
	s_cbranch_execnz .LBB468_15
	s_branch .LBB468_16
	.section	.rodata,"a",@progbits
	.p2align	6, 0x0
	.amdhsa_kernel _ZN2at6native29vectorized_elementwise_kernelILi4EZZZNS0_21clamp_max_kernel_cudaERNS_18TensorIteratorBaseERKN3c106ScalarEENKUlvE_clEvENKUlvE5_clEvEUlfE_St5arrayIPcLm2EEEEviT0_T1_
		.amdhsa_group_segment_fixed_size 0
		.amdhsa_private_segment_fixed_size 0
		.amdhsa_kernarg_size 24
		.amdhsa_user_sgpr_count 2
		.amdhsa_user_sgpr_dispatch_ptr 0
		.amdhsa_user_sgpr_queue_ptr 0
		.amdhsa_user_sgpr_kernarg_segment_ptr 1
		.amdhsa_user_sgpr_dispatch_id 0
		.amdhsa_user_sgpr_kernarg_preload_length 0
		.amdhsa_user_sgpr_kernarg_preload_offset 0
		.amdhsa_user_sgpr_private_segment_size 0
		.amdhsa_uses_dynamic_stack 0
		.amdhsa_enable_private_segment 0
		.amdhsa_system_sgpr_workgroup_id_x 1
		.amdhsa_system_sgpr_workgroup_id_y 0
		.amdhsa_system_sgpr_workgroup_id_z 0
		.amdhsa_system_sgpr_workgroup_info 0
		.amdhsa_system_vgpr_workitem_id 0
		.amdhsa_next_free_vgpr 11
		.amdhsa_next_free_sgpr 11
		.amdhsa_accum_offset 12
		.amdhsa_reserve_vcc 1
		.amdhsa_float_round_mode_32 0
		.amdhsa_float_round_mode_16_64 0
		.amdhsa_float_denorm_mode_32 3
		.amdhsa_float_denorm_mode_16_64 3
		.amdhsa_dx10_clamp 1
		.amdhsa_ieee_mode 1
		.amdhsa_fp16_overflow 0
		.amdhsa_tg_split 0
		.amdhsa_exception_fp_ieee_invalid_op 0
		.amdhsa_exception_fp_denorm_src 0
		.amdhsa_exception_fp_ieee_div_zero 0
		.amdhsa_exception_fp_ieee_overflow 0
		.amdhsa_exception_fp_ieee_underflow 0
		.amdhsa_exception_fp_ieee_inexact 0
		.amdhsa_exception_int_div_zero 0
	.end_amdhsa_kernel
	.section	.text._ZN2at6native29vectorized_elementwise_kernelILi4EZZZNS0_21clamp_max_kernel_cudaERNS_18TensorIteratorBaseERKN3c106ScalarEENKUlvE_clEvENKUlvE5_clEvEUlfE_St5arrayIPcLm2EEEEviT0_T1_,"axG",@progbits,_ZN2at6native29vectorized_elementwise_kernelILi4EZZZNS0_21clamp_max_kernel_cudaERNS_18TensorIteratorBaseERKN3c106ScalarEENKUlvE_clEvENKUlvE5_clEvEUlfE_St5arrayIPcLm2EEEEviT0_T1_,comdat
.Lfunc_end468:
	.size	_ZN2at6native29vectorized_elementwise_kernelILi4EZZZNS0_21clamp_max_kernel_cudaERNS_18TensorIteratorBaseERKN3c106ScalarEENKUlvE_clEvENKUlvE5_clEvEUlfE_St5arrayIPcLm2EEEEviT0_T1_, .Lfunc_end468-_ZN2at6native29vectorized_elementwise_kernelILi4EZZZNS0_21clamp_max_kernel_cudaERNS_18TensorIteratorBaseERKN3c106ScalarEENKUlvE_clEvENKUlvE5_clEvEUlfE_St5arrayIPcLm2EEEEviT0_T1_
                                        ; -- End function
	.set _ZN2at6native29vectorized_elementwise_kernelILi4EZZZNS0_21clamp_max_kernel_cudaERNS_18TensorIteratorBaseERKN3c106ScalarEENKUlvE_clEvENKUlvE5_clEvEUlfE_St5arrayIPcLm2EEEEviT0_T1_.num_vgpr, 11
	.set _ZN2at6native29vectorized_elementwise_kernelILi4EZZZNS0_21clamp_max_kernel_cudaERNS_18TensorIteratorBaseERKN3c106ScalarEENKUlvE_clEvENKUlvE5_clEvEUlfE_St5arrayIPcLm2EEEEviT0_T1_.num_agpr, 0
	.set _ZN2at6native29vectorized_elementwise_kernelILi4EZZZNS0_21clamp_max_kernel_cudaERNS_18TensorIteratorBaseERKN3c106ScalarEENKUlvE_clEvENKUlvE5_clEvEUlfE_St5arrayIPcLm2EEEEviT0_T1_.numbered_sgpr, 11
	.set _ZN2at6native29vectorized_elementwise_kernelILi4EZZZNS0_21clamp_max_kernel_cudaERNS_18TensorIteratorBaseERKN3c106ScalarEENKUlvE_clEvENKUlvE5_clEvEUlfE_St5arrayIPcLm2EEEEviT0_T1_.num_named_barrier, 0
	.set _ZN2at6native29vectorized_elementwise_kernelILi4EZZZNS0_21clamp_max_kernel_cudaERNS_18TensorIteratorBaseERKN3c106ScalarEENKUlvE_clEvENKUlvE5_clEvEUlfE_St5arrayIPcLm2EEEEviT0_T1_.private_seg_size, 0
	.set _ZN2at6native29vectorized_elementwise_kernelILi4EZZZNS0_21clamp_max_kernel_cudaERNS_18TensorIteratorBaseERKN3c106ScalarEENKUlvE_clEvENKUlvE5_clEvEUlfE_St5arrayIPcLm2EEEEviT0_T1_.uses_vcc, 1
	.set _ZN2at6native29vectorized_elementwise_kernelILi4EZZZNS0_21clamp_max_kernel_cudaERNS_18TensorIteratorBaseERKN3c106ScalarEENKUlvE_clEvENKUlvE5_clEvEUlfE_St5arrayIPcLm2EEEEviT0_T1_.uses_flat_scratch, 0
	.set _ZN2at6native29vectorized_elementwise_kernelILi4EZZZNS0_21clamp_max_kernel_cudaERNS_18TensorIteratorBaseERKN3c106ScalarEENKUlvE_clEvENKUlvE5_clEvEUlfE_St5arrayIPcLm2EEEEviT0_T1_.has_dyn_sized_stack, 0
	.set _ZN2at6native29vectorized_elementwise_kernelILi4EZZZNS0_21clamp_max_kernel_cudaERNS_18TensorIteratorBaseERKN3c106ScalarEENKUlvE_clEvENKUlvE5_clEvEUlfE_St5arrayIPcLm2EEEEviT0_T1_.has_recursion, 0
	.set _ZN2at6native29vectorized_elementwise_kernelILi4EZZZNS0_21clamp_max_kernel_cudaERNS_18TensorIteratorBaseERKN3c106ScalarEENKUlvE_clEvENKUlvE5_clEvEUlfE_St5arrayIPcLm2EEEEviT0_T1_.has_indirect_call, 0
	.section	.AMDGPU.csdata,"",@progbits
; Kernel info:
; codeLenInByte = 816
; TotalNumSgprs: 17
; NumVgprs: 11
; NumAgprs: 0
; TotalNumVgprs: 11
; ScratchSize: 0
; MemoryBound: 0
; FloatMode: 240
; IeeeMode: 1
; LDSByteSize: 0 bytes/workgroup (compile time only)
; SGPRBlocks: 2
; VGPRBlocks: 1
; NumSGPRsForWavesPerEU: 17
; NumVGPRsForWavesPerEU: 11
; AccumOffset: 12
; Occupancy: 8
; WaveLimiterHint : 0
; COMPUTE_PGM_RSRC2:SCRATCH_EN: 0
; COMPUTE_PGM_RSRC2:USER_SGPR: 2
; COMPUTE_PGM_RSRC2:TRAP_HANDLER: 0
; COMPUTE_PGM_RSRC2:TGID_X_EN: 1
; COMPUTE_PGM_RSRC2:TGID_Y_EN: 0
; COMPUTE_PGM_RSRC2:TGID_Z_EN: 0
; COMPUTE_PGM_RSRC2:TIDIG_COMP_CNT: 0
; COMPUTE_PGM_RSRC3_GFX90A:ACCUM_OFFSET: 2
; COMPUTE_PGM_RSRC3_GFX90A:TG_SPLIT: 0
	.section	.text._ZN2at6native29vectorized_elementwise_kernelILi2EZZZNS0_21clamp_max_kernel_cudaERNS_18TensorIteratorBaseERKN3c106ScalarEENKUlvE_clEvENKUlvE5_clEvEUlfE_St5arrayIPcLm2EEEEviT0_T1_,"axG",@progbits,_ZN2at6native29vectorized_elementwise_kernelILi2EZZZNS0_21clamp_max_kernel_cudaERNS_18TensorIteratorBaseERKN3c106ScalarEENKUlvE_clEvENKUlvE5_clEvEUlfE_St5arrayIPcLm2EEEEviT0_T1_,comdat
	.globl	_ZN2at6native29vectorized_elementwise_kernelILi2EZZZNS0_21clamp_max_kernel_cudaERNS_18TensorIteratorBaseERKN3c106ScalarEENKUlvE_clEvENKUlvE5_clEvEUlfE_St5arrayIPcLm2EEEEviT0_T1_ ; -- Begin function _ZN2at6native29vectorized_elementwise_kernelILi2EZZZNS0_21clamp_max_kernel_cudaERNS_18TensorIteratorBaseERKN3c106ScalarEENKUlvE_clEvENKUlvE5_clEvEUlfE_St5arrayIPcLm2EEEEviT0_T1_
	.p2align	8
	.type	_ZN2at6native29vectorized_elementwise_kernelILi2EZZZNS0_21clamp_max_kernel_cudaERNS_18TensorIteratorBaseERKN3c106ScalarEENKUlvE_clEvENKUlvE5_clEvEUlfE_St5arrayIPcLm2EEEEviT0_T1_,@function
_ZN2at6native29vectorized_elementwise_kernelILi2EZZZNS0_21clamp_max_kernel_cudaERNS_18TensorIteratorBaseERKN3c106ScalarEENKUlvE_clEvENKUlvE5_clEvEUlfE_St5arrayIPcLm2EEEEviT0_T1_: ; @_ZN2at6native29vectorized_elementwise_kernelILi2EZZZNS0_21clamp_max_kernel_cudaERNS_18TensorIteratorBaseERKN3c106ScalarEENKUlvE_clEvENKUlvE5_clEvEUlfE_St5arrayIPcLm2EEEEviT0_T1_
; %bb.0:
	s_load_dwordx2 s[8:9], s[0:1], 0x0
	s_load_dwordx4 s[4:7], s[0:1], 0x8
	s_lshl_b32 s2, s2, 10
	s_mov_b64 s[0:1], -1
	s_waitcnt lgkmcnt(0)
	s_sub_i32 s10, s8, s2
	s_cmpk_gt_i32 s10, 0x3ff
	v_max_f32_e64 v1, s9, s9
	s_cbranch_scc0 .LBB469_2
; %bb.1:
	s_ashr_i32 s3, s2, 31
	s_lshl_b64 s[0:1], s[2:3], 2
	s_add_u32 s8, s6, s0
	s_addc_u32 s9, s7, s1
	v_lshlrev_b32_e32 v6, 3, v0
	global_load_dwordx2 v[2:3], v6, s[8:9]
	global_load_dwordx2 v[4:5], v6, s[8:9] offset:2048
	s_add_u32 s0, s4, s0
	s_addc_u32 s1, s5, s1
	s_waitcnt vmcnt(1)
	v_max_f32_e32 v8, v3, v3
	v_max_f32_e32 v7, v2, v2
	v_min_f32_e32 v8, v8, v1
	v_cmp_u_f32_e32 vcc, v3, v3
	s_waitcnt vmcnt(0)
	v_max_f32_e32 v10, v5, v5
	v_min_f32_e32 v7, v7, v1
	v_cndmask_b32_e32 v3, v8, v3, vcc
	v_cmp_u_f32_e32 vcc, v2, v2
	v_max_f32_e32 v9, v4, v4
	v_min_f32_e32 v10, v10, v1
	v_cndmask_b32_e32 v2, v7, v2, vcc
	v_cmp_u_f32_e32 vcc, v5, v5
	v_min_f32_e32 v9, v9, v1
	s_nop 0
	v_cndmask_b32_e32 v5, v10, v5, vcc
	v_cmp_u_f32_e32 vcc, v4, v4
	s_nop 1
	v_cndmask_b32_e32 v4, v9, v4, vcc
	global_store_dwordx2 v6, v[2:3], s[0:1]
	global_store_dwordx2 v6, v[4:5], s[0:1] offset:2048
	s_mov_b64 s[0:1], 0
.LBB469_2:
	s_andn2_b64 vcc, exec, s[0:1]
	s_cbranch_vccnz .LBB469_16
; %bb.3:
	v_cmp_gt_i32_e32 vcc, s10, v0
	v_mov_b32_e32 v4, 0
	v_or_b32_e32 v2, s2, v0
	v_mov_b32_e32 v3, 0
	v_mov_b32_e32 v5, v0
	s_and_saveexec_b64 s[0:1], vcc
	s_cbranch_execz .LBB469_5
; %bb.4:
	v_mov_b32_e32 v3, 0
	v_lshl_add_u64 v[6:7], v[2:3], 2, s[6:7]
	global_load_dword v3, v[6:7], off
	v_or_b32_e32 v5, 0x100, v0
.LBB469_5:
	s_or_b64 exec, exec, s[0:1]
	v_cmp_gt_i32_e64 s[0:1], s10, v5
	s_and_saveexec_b64 s[8:9], s[0:1]
	s_cbranch_execz .LBB469_7
; %bb.6:
	v_add_u32_e32 v6, s2, v5
	v_mov_b32_e32 v7, 0
	v_lshl_add_u64 v[6:7], v[6:7], 2, s[6:7]
	global_load_dword v4, v[6:7], off
	v_add_u32_e32 v5, 0x100, v5
.LBB469_7:
	s_or_b64 exec, exec, s[8:9]
	v_cmp_gt_i32_e64 s[0:1], s10, v5
	v_mov_b32_e32 v6, 0
	v_mov_b32_e32 v7, 0
	s_and_saveexec_b64 s[8:9], s[0:1]
	s_cbranch_execz .LBB469_9
; %bb.8:
	v_add_u32_e32 v8, s2, v5
	v_mov_b32_e32 v9, 0
	v_lshl_add_u64 v[8:9], v[8:9], 2, s[6:7]
	global_load_dword v7, v[8:9], off
	v_add_u32_e32 v5, 0x100, v5
.LBB469_9:
	s_or_b64 exec, exec, s[8:9]
	v_cmp_gt_i32_e64 s[0:1], s10, v5
	s_and_saveexec_b64 s[8:9], s[0:1]
	s_cbranch_execz .LBB469_11
; %bb.10:
	v_add_u32_e32 v8, s2, v5
	v_mov_b32_e32 v9, 0
	v_lshl_add_u64 v[8:9], v[8:9], 2, s[6:7]
	global_load_dword v6, v[8:9], off
.LBB469_11:
	s_or_b64 exec, exec, s[8:9]
	s_waitcnt vmcnt(0)
	v_max_f32_e32 v5, v3, v3
	v_min_f32_e32 v5, v5, v1
	v_cmp_u_f32_e64 s[0:1], v3, v3
	v_or_b32_e32 v8, 0x100, v0
	s_nop 0
	v_cndmask_b32_e64 v3, v5, v3, s[0:1]
	v_cndmask_b32_e32 v9, 0, v3, vcc
	v_max_f32_e32 v3, v4, v4
	v_min_f32_e32 v3, v3, v1
	v_cmp_u_f32_e64 s[0:1], v4, v4
	s_nop 1
	v_cndmask_b32_e64 v3, v3, v4, s[0:1]
	v_cmp_gt_i32_e64 s[0:1], s10, v8
	v_max_f32_e32 v4, v7, v7
	v_min_f32_e32 v4, v4, v1
	v_cndmask_b32_e64 v5, 0, v3, s[0:1]
	v_or_b32_e32 v3, 0x200, v0
	v_cmp_u_f32_e64 s[0:1], v7, v7
	s_nop 1
	v_cndmask_b32_e64 v4, v4, v7, s[0:1]
	v_cmp_gt_i32_e64 s[0:1], s10, v3
	v_max_f32_e32 v7, v6, v6
	v_or_b32_e32 v3, 0x300, v0
	v_cndmask_b32_e64 v4, 0, v4, s[0:1]
	v_min_f32_e32 v1, v7, v1
	v_cmp_u_f32_e64 s[0:1], v6, v6
	s_nop 1
	v_cndmask_b32_e64 v1, v1, v6, s[0:1]
	v_cmp_gt_i32_e64 s[0:1], s10, v3
	s_nop 1
	v_cndmask_b32_e64 v1, 0, v1, s[0:1]
	s_and_saveexec_b64 s[0:1], vcc
	s_cbranch_execnz .LBB469_17
; %bb.12:
	s_or_b64 exec, exec, s[0:1]
	v_cmp_gt_i32_e32 vcc, s10, v0
	s_and_saveexec_b64 s[0:1], vcc
	s_cbranch_execnz .LBB469_18
.LBB469_13:
	s_or_b64 exec, exec, s[0:1]
	v_cmp_gt_i32_e32 vcc, s10, v0
	s_and_saveexec_b64 s[0:1], vcc
	s_cbranch_execnz .LBB469_19
.LBB469_14:
	s_or_b64 exec, exec, s[0:1]
	v_cmp_gt_i32_e32 vcc, s10, v0
	s_and_saveexec_b64 s[0:1], vcc
	s_cbranch_execz .LBB469_16
.LBB469_15:
	v_add_u32_e32 v2, s2, v0
	v_mov_b32_e32 v3, 0
	v_lshl_add_u64 v[2:3], v[2:3], 2, s[4:5]
	global_store_dword v[2:3], v1, off
.LBB469_16:
	s_endpgm
.LBB469_17:
	v_mov_b32_e32 v3, 0
	v_lshl_add_u64 v[2:3], v[2:3], 2, s[4:5]
	v_mov_b32_e32 v0, v8
	global_store_dword v[2:3], v9, off
	s_or_b64 exec, exec, s[0:1]
	v_cmp_gt_i32_e32 vcc, s10, v0
	s_and_saveexec_b64 s[0:1], vcc
	s_cbranch_execz .LBB469_13
.LBB469_18:
	v_add_u32_e32 v2, s2, v0
	v_mov_b32_e32 v3, 0
	v_lshl_add_u64 v[2:3], v[2:3], 2, s[4:5]
	v_add_u32_e32 v0, 0x100, v0
	global_store_dword v[2:3], v5, off
	s_or_b64 exec, exec, s[0:1]
	v_cmp_gt_i32_e32 vcc, s10, v0
	s_and_saveexec_b64 s[0:1], vcc
	s_cbranch_execz .LBB469_14
.LBB469_19:
	v_add_u32_e32 v2, s2, v0
	v_mov_b32_e32 v3, 0
	v_lshl_add_u64 v[2:3], v[2:3], 2, s[4:5]
	v_add_u32_e32 v0, 0x100, v0
	global_store_dword v[2:3], v4, off
	s_or_b64 exec, exec, s[0:1]
	v_cmp_gt_i32_e32 vcc, s10, v0
	s_and_saveexec_b64 s[0:1], vcc
	s_cbranch_execnz .LBB469_15
	s_branch .LBB469_16
	.section	.rodata,"a",@progbits
	.p2align	6, 0x0
	.amdhsa_kernel _ZN2at6native29vectorized_elementwise_kernelILi2EZZZNS0_21clamp_max_kernel_cudaERNS_18TensorIteratorBaseERKN3c106ScalarEENKUlvE_clEvENKUlvE5_clEvEUlfE_St5arrayIPcLm2EEEEviT0_T1_
		.amdhsa_group_segment_fixed_size 0
		.amdhsa_private_segment_fixed_size 0
		.amdhsa_kernarg_size 24
		.amdhsa_user_sgpr_count 2
		.amdhsa_user_sgpr_dispatch_ptr 0
		.amdhsa_user_sgpr_queue_ptr 0
		.amdhsa_user_sgpr_kernarg_segment_ptr 1
		.amdhsa_user_sgpr_dispatch_id 0
		.amdhsa_user_sgpr_kernarg_preload_length 0
		.amdhsa_user_sgpr_kernarg_preload_offset 0
		.amdhsa_user_sgpr_private_segment_size 0
		.amdhsa_uses_dynamic_stack 0
		.amdhsa_enable_private_segment 0
		.amdhsa_system_sgpr_workgroup_id_x 1
		.amdhsa_system_sgpr_workgroup_id_y 0
		.amdhsa_system_sgpr_workgroup_id_z 0
		.amdhsa_system_sgpr_workgroup_info 0
		.amdhsa_system_vgpr_workitem_id 0
		.amdhsa_next_free_vgpr 11
		.amdhsa_next_free_sgpr 11
		.amdhsa_accum_offset 12
		.amdhsa_reserve_vcc 1
		.amdhsa_float_round_mode_32 0
		.amdhsa_float_round_mode_16_64 0
		.amdhsa_float_denorm_mode_32 3
		.amdhsa_float_denorm_mode_16_64 3
		.amdhsa_dx10_clamp 1
		.amdhsa_ieee_mode 1
		.amdhsa_fp16_overflow 0
		.amdhsa_tg_split 0
		.amdhsa_exception_fp_ieee_invalid_op 0
		.amdhsa_exception_fp_denorm_src 0
		.amdhsa_exception_fp_ieee_div_zero 0
		.amdhsa_exception_fp_ieee_overflow 0
		.amdhsa_exception_fp_ieee_underflow 0
		.amdhsa_exception_fp_ieee_inexact 0
		.amdhsa_exception_int_div_zero 0
	.end_amdhsa_kernel
	.section	.text._ZN2at6native29vectorized_elementwise_kernelILi2EZZZNS0_21clamp_max_kernel_cudaERNS_18TensorIteratorBaseERKN3c106ScalarEENKUlvE_clEvENKUlvE5_clEvEUlfE_St5arrayIPcLm2EEEEviT0_T1_,"axG",@progbits,_ZN2at6native29vectorized_elementwise_kernelILi2EZZZNS0_21clamp_max_kernel_cudaERNS_18TensorIteratorBaseERKN3c106ScalarEENKUlvE_clEvENKUlvE5_clEvEUlfE_St5arrayIPcLm2EEEEviT0_T1_,comdat
.Lfunc_end469:
	.size	_ZN2at6native29vectorized_elementwise_kernelILi2EZZZNS0_21clamp_max_kernel_cudaERNS_18TensorIteratorBaseERKN3c106ScalarEENKUlvE_clEvENKUlvE5_clEvEUlfE_St5arrayIPcLm2EEEEviT0_T1_, .Lfunc_end469-_ZN2at6native29vectorized_elementwise_kernelILi2EZZZNS0_21clamp_max_kernel_cudaERNS_18TensorIteratorBaseERKN3c106ScalarEENKUlvE_clEvENKUlvE5_clEvEUlfE_St5arrayIPcLm2EEEEviT0_T1_
                                        ; -- End function
	.set _ZN2at6native29vectorized_elementwise_kernelILi2EZZZNS0_21clamp_max_kernel_cudaERNS_18TensorIteratorBaseERKN3c106ScalarEENKUlvE_clEvENKUlvE5_clEvEUlfE_St5arrayIPcLm2EEEEviT0_T1_.num_vgpr, 11
	.set _ZN2at6native29vectorized_elementwise_kernelILi2EZZZNS0_21clamp_max_kernel_cudaERNS_18TensorIteratorBaseERKN3c106ScalarEENKUlvE_clEvENKUlvE5_clEvEUlfE_St5arrayIPcLm2EEEEviT0_T1_.num_agpr, 0
	.set _ZN2at6native29vectorized_elementwise_kernelILi2EZZZNS0_21clamp_max_kernel_cudaERNS_18TensorIteratorBaseERKN3c106ScalarEENKUlvE_clEvENKUlvE5_clEvEUlfE_St5arrayIPcLm2EEEEviT0_T1_.numbered_sgpr, 11
	.set _ZN2at6native29vectorized_elementwise_kernelILi2EZZZNS0_21clamp_max_kernel_cudaERNS_18TensorIteratorBaseERKN3c106ScalarEENKUlvE_clEvENKUlvE5_clEvEUlfE_St5arrayIPcLm2EEEEviT0_T1_.num_named_barrier, 0
	.set _ZN2at6native29vectorized_elementwise_kernelILi2EZZZNS0_21clamp_max_kernel_cudaERNS_18TensorIteratorBaseERKN3c106ScalarEENKUlvE_clEvENKUlvE5_clEvEUlfE_St5arrayIPcLm2EEEEviT0_T1_.private_seg_size, 0
	.set _ZN2at6native29vectorized_elementwise_kernelILi2EZZZNS0_21clamp_max_kernel_cudaERNS_18TensorIteratorBaseERKN3c106ScalarEENKUlvE_clEvENKUlvE5_clEvEUlfE_St5arrayIPcLm2EEEEviT0_T1_.uses_vcc, 1
	.set _ZN2at6native29vectorized_elementwise_kernelILi2EZZZNS0_21clamp_max_kernel_cudaERNS_18TensorIteratorBaseERKN3c106ScalarEENKUlvE_clEvENKUlvE5_clEvEUlfE_St5arrayIPcLm2EEEEviT0_T1_.uses_flat_scratch, 0
	.set _ZN2at6native29vectorized_elementwise_kernelILi2EZZZNS0_21clamp_max_kernel_cudaERNS_18TensorIteratorBaseERKN3c106ScalarEENKUlvE_clEvENKUlvE5_clEvEUlfE_St5arrayIPcLm2EEEEviT0_T1_.has_dyn_sized_stack, 0
	.set _ZN2at6native29vectorized_elementwise_kernelILi2EZZZNS0_21clamp_max_kernel_cudaERNS_18TensorIteratorBaseERKN3c106ScalarEENKUlvE_clEvENKUlvE5_clEvEUlfE_St5arrayIPcLm2EEEEviT0_T1_.has_recursion, 0
	.set _ZN2at6native29vectorized_elementwise_kernelILi2EZZZNS0_21clamp_max_kernel_cudaERNS_18TensorIteratorBaseERKN3c106ScalarEENKUlvE_clEvENKUlvE5_clEvEUlfE_St5arrayIPcLm2EEEEviT0_T1_.has_indirect_call, 0
	.section	.AMDGPU.csdata,"",@progbits
; Kernel info:
; codeLenInByte = 836
; TotalNumSgprs: 17
; NumVgprs: 11
; NumAgprs: 0
; TotalNumVgprs: 11
; ScratchSize: 0
; MemoryBound: 0
; FloatMode: 240
; IeeeMode: 1
; LDSByteSize: 0 bytes/workgroup (compile time only)
; SGPRBlocks: 2
; VGPRBlocks: 1
; NumSGPRsForWavesPerEU: 17
; NumVGPRsForWavesPerEU: 11
; AccumOffset: 12
; Occupancy: 8
; WaveLimiterHint : 1
; COMPUTE_PGM_RSRC2:SCRATCH_EN: 0
; COMPUTE_PGM_RSRC2:USER_SGPR: 2
; COMPUTE_PGM_RSRC2:TRAP_HANDLER: 0
; COMPUTE_PGM_RSRC2:TGID_X_EN: 1
; COMPUTE_PGM_RSRC2:TGID_Y_EN: 0
; COMPUTE_PGM_RSRC2:TGID_Z_EN: 0
; COMPUTE_PGM_RSRC2:TIDIG_COMP_CNT: 0
; COMPUTE_PGM_RSRC3_GFX90A:ACCUM_OFFSET: 2
; COMPUTE_PGM_RSRC3_GFX90A:TG_SPLIT: 0
	.section	.text._ZN2at6native27unrolled_elementwise_kernelIZZZNS0_21clamp_max_kernel_cudaERNS_18TensorIteratorBaseERKN3c106ScalarEENKUlvE_clEvENKUlvE5_clEvEUlfE_St5arrayIPcLm2EELi4E23TrivialOffsetCalculatorILi1EjESF_NS0_6memory15LoadWithoutCastENSG_16StoreWithoutCastEEEviT_T0_T2_T3_T4_T5_,"axG",@progbits,_ZN2at6native27unrolled_elementwise_kernelIZZZNS0_21clamp_max_kernel_cudaERNS_18TensorIteratorBaseERKN3c106ScalarEENKUlvE_clEvENKUlvE5_clEvEUlfE_St5arrayIPcLm2EELi4E23TrivialOffsetCalculatorILi1EjESF_NS0_6memory15LoadWithoutCastENSG_16StoreWithoutCastEEEviT_T0_T2_T3_T4_T5_,comdat
	.globl	_ZN2at6native27unrolled_elementwise_kernelIZZZNS0_21clamp_max_kernel_cudaERNS_18TensorIteratorBaseERKN3c106ScalarEENKUlvE_clEvENKUlvE5_clEvEUlfE_St5arrayIPcLm2EELi4E23TrivialOffsetCalculatorILi1EjESF_NS0_6memory15LoadWithoutCastENSG_16StoreWithoutCastEEEviT_T0_T2_T3_T4_T5_ ; -- Begin function _ZN2at6native27unrolled_elementwise_kernelIZZZNS0_21clamp_max_kernel_cudaERNS_18TensorIteratorBaseERKN3c106ScalarEENKUlvE_clEvENKUlvE5_clEvEUlfE_St5arrayIPcLm2EELi4E23TrivialOffsetCalculatorILi1EjESF_NS0_6memory15LoadWithoutCastENSG_16StoreWithoutCastEEEviT_T0_T2_T3_T4_T5_
	.p2align	8
	.type	_ZN2at6native27unrolled_elementwise_kernelIZZZNS0_21clamp_max_kernel_cudaERNS_18TensorIteratorBaseERKN3c106ScalarEENKUlvE_clEvENKUlvE5_clEvEUlfE_St5arrayIPcLm2EELi4E23TrivialOffsetCalculatorILi1EjESF_NS0_6memory15LoadWithoutCastENSG_16StoreWithoutCastEEEviT_T0_T2_T3_T4_T5_,@function
_ZN2at6native27unrolled_elementwise_kernelIZZZNS0_21clamp_max_kernel_cudaERNS_18TensorIteratorBaseERKN3c106ScalarEENKUlvE_clEvENKUlvE5_clEvEUlfE_St5arrayIPcLm2EELi4E23TrivialOffsetCalculatorILi1EjESF_NS0_6memory15LoadWithoutCastENSG_16StoreWithoutCastEEEviT_T0_T2_T3_T4_T5_: ; @_ZN2at6native27unrolled_elementwise_kernelIZZZNS0_21clamp_max_kernel_cudaERNS_18TensorIteratorBaseERKN3c106ScalarEENKUlvE_clEvENKUlvE5_clEvEUlfE_St5arrayIPcLm2EELi4E23TrivialOffsetCalculatorILi1EjESF_NS0_6memory15LoadWithoutCastENSG_16StoreWithoutCastEEEviT_T0_T2_T3_T4_T5_
; %bb.0:
	s_load_dwordx2 s[8:9], s[0:1], 0x0
	s_load_dwordx4 s[4:7], s[0:1], 0x8
	s_lshl_b32 s10, s2, 10
	v_mov_b32_e32 v1, 0
	v_or_b32_e32 v2, s10, v0
	s_waitcnt lgkmcnt(0)
	s_sub_i32 s8, s8, s10
	v_cmp_gt_i32_e32 vcc, s8, v0
	v_mov_b32_e32 v3, 0
	v_mov_b32_e32 v5, v0
	s_and_saveexec_b64 s[0:1], vcc
	s_cbranch_execz .LBB470_2
; %bb.1:
	v_mov_b32_e32 v3, 0
	v_lshl_add_u64 v[4:5], v[2:3], 2, s[6:7]
	global_load_dword v3, v[4:5], off
	v_or_b32_e32 v5, 0x100, v0
.LBB470_2:
	s_or_b64 exec, exec, s[0:1]
	v_cmp_gt_i32_e64 s[0:1], s8, v5
	s_and_saveexec_b64 s[2:3], s[0:1]
	s_cbranch_execz .LBB470_4
; %bb.3:
	v_add_u32_e32 v6, s10, v5
	v_mov_b32_e32 v7, 0
	v_lshl_add_u64 v[6:7], v[6:7], 2, s[6:7]
	global_load_dword v1, v[6:7], off
	v_add_u32_e32 v5, 0x100, v5
.LBB470_4:
	s_or_b64 exec, exec, s[2:3]
	v_cmp_gt_i32_e64 s[0:1], s8, v5
	v_mov_b32_e32 v4, 0
	v_mov_b32_e32 v6, 0
	s_and_saveexec_b64 s[2:3], s[0:1]
	s_cbranch_execz .LBB470_6
; %bb.5:
	v_add_u32_e32 v6, s10, v5
	v_mov_b32_e32 v7, 0
	v_lshl_add_u64 v[6:7], v[6:7], 2, s[6:7]
	global_load_dword v6, v[6:7], off
	v_add_u32_e32 v5, 0x100, v5
.LBB470_6:
	s_or_b64 exec, exec, s[2:3]
	v_cmp_gt_i32_e64 s[0:1], s8, v5
	s_and_saveexec_b64 s[2:3], s[0:1]
	s_cbranch_execz .LBB470_8
; %bb.7:
	v_add_u32_e32 v4, s10, v5
	v_mov_b32_e32 v5, 0
	v_lshl_add_u64 v[4:5], v[4:5], 2, s[6:7]
	global_load_dword v4, v[4:5], off
.LBB470_8:
	s_or_b64 exec, exec, s[2:3]
	s_waitcnt vmcnt(0)
	v_max_f32_e32 v5, v3, v3
	v_max_f32_e64 v10, s9, s9
	v_min_f32_e32 v5, v5, v10
	v_cmp_u_f32_e64 s[0:1], v3, v3
	v_or_b32_e32 v8, 0x100, v0
	s_nop 0
	v_cndmask_b32_e64 v3, v5, v3, s[0:1]
	v_cndmask_b32_e32 v9, 0, v3, vcc
	v_max_f32_e32 v3, v1, v1
	v_min_f32_e32 v3, v3, v10
	v_cmp_u_f32_e64 s[0:1], v1, v1
	s_nop 1
	v_cndmask_b32_e64 v1, v3, v1, s[0:1]
	v_cmp_gt_i32_e64 s[0:1], s8, v8
	v_max_f32_e32 v3, v6, v6
	v_min_f32_e32 v3, v3, v10
	v_cndmask_b32_e64 v7, 0, v1, s[0:1]
	v_or_b32_e32 v1, 0x200, v0
	v_cmp_u_f32_e64 s[0:1], v6, v6
	s_nop 1
	v_cndmask_b32_e64 v3, v3, v6, s[0:1]
	v_cmp_gt_i32_e64 s[0:1], s8, v1
	v_or_b32_e32 v1, 0x300, v0
	s_nop 0
	v_cndmask_b32_e64 v5, 0, v3, s[0:1]
	v_max_f32_e32 v3, v4, v4
	v_min_f32_e32 v3, v3, v10
	v_cmp_u_f32_e64 s[0:1], v4, v4
	s_nop 1
	v_cndmask_b32_e64 v3, v3, v4, s[0:1]
	v_cmp_gt_i32_e64 s[0:1], s8, v1
	s_nop 1
	v_cndmask_b32_e64 v1, 0, v3, s[0:1]
	s_and_saveexec_b64 s[0:1], vcc
	s_cbranch_execnz .LBB470_13
; %bb.9:
	s_or_b64 exec, exec, s[0:1]
	v_cmp_gt_i32_e32 vcc, s8, v0
	s_and_saveexec_b64 s[0:1], vcc
	s_cbranch_execnz .LBB470_14
.LBB470_10:
	s_or_b64 exec, exec, s[0:1]
	v_cmp_gt_i32_e32 vcc, s8, v0
	s_and_saveexec_b64 s[0:1], vcc
	s_cbranch_execnz .LBB470_15
.LBB470_11:
	s_or_b64 exec, exec, s[0:1]
	v_cmp_gt_i32_e32 vcc, s8, v0
	s_and_saveexec_b64 s[0:1], vcc
	s_cbranch_execnz .LBB470_16
.LBB470_12:
	s_endpgm
.LBB470_13:
	v_mov_b32_e32 v3, 0
	v_lshl_add_u64 v[2:3], v[2:3], 2, s[4:5]
	v_mov_b32_e32 v0, v8
	global_store_dword v[2:3], v9, off
	s_or_b64 exec, exec, s[0:1]
	v_cmp_gt_i32_e32 vcc, s8, v0
	s_and_saveexec_b64 s[0:1], vcc
	s_cbranch_execz .LBB470_10
.LBB470_14:
	v_add_u32_e32 v4, 0x100, v0
	v_add_u32_e32 v2, s10, v0
	v_mov_b32_e32 v3, 0
	v_lshl_add_u64 v[2:3], v[2:3], 2, s[4:5]
	v_mov_b32_e32 v0, v4
	global_store_dword v[2:3], v7, off
	s_or_b64 exec, exec, s[0:1]
	v_cmp_gt_i32_e32 vcc, s8, v0
	s_and_saveexec_b64 s[0:1], vcc
	s_cbranch_execz .LBB470_11
.LBB470_15:
	v_add_u32_e32 v4, 0x100, v0
	v_add_u32_e32 v2, s10, v0
	v_mov_b32_e32 v3, 0
	v_lshl_add_u64 v[2:3], v[2:3], 2, s[4:5]
	v_mov_b32_e32 v0, v4
	global_store_dword v[2:3], v5, off
	s_or_b64 exec, exec, s[0:1]
	v_cmp_gt_i32_e32 vcc, s8, v0
	s_and_saveexec_b64 s[0:1], vcc
	s_cbranch_execz .LBB470_12
.LBB470_16:
	v_add_u32_e32 v2, s10, v0
	v_mov_b32_e32 v3, 0
	v_lshl_add_u64 v[2:3], v[2:3], 2, s[4:5]
	global_store_dword v[2:3], v1, off
	s_endpgm
	.section	.rodata,"a",@progbits
	.p2align	6, 0x0
	.amdhsa_kernel _ZN2at6native27unrolled_elementwise_kernelIZZZNS0_21clamp_max_kernel_cudaERNS_18TensorIteratorBaseERKN3c106ScalarEENKUlvE_clEvENKUlvE5_clEvEUlfE_St5arrayIPcLm2EELi4E23TrivialOffsetCalculatorILi1EjESF_NS0_6memory15LoadWithoutCastENSG_16StoreWithoutCastEEEviT_T0_T2_T3_T4_T5_
		.amdhsa_group_segment_fixed_size 0
		.amdhsa_private_segment_fixed_size 0
		.amdhsa_kernarg_size 28
		.amdhsa_user_sgpr_count 2
		.amdhsa_user_sgpr_dispatch_ptr 0
		.amdhsa_user_sgpr_queue_ptr 0
		.amdhsa_user_sgpr_kernarg_segment_ptr 1
		.amdhsa_user_sgpr_dispatch_id 0
		.amdhsa_user_sgpr_kernarg_preload_length 0
		.amdhsa_user_sgpr_kernarg_preload_offset 0
		.amdhsa_user_sgpr_private_segment_size 0
		.amdhsa_uses_dynamic_stack 0
		.amdhsa_enable_private_segment 0
		.amdhsa_system_sgpr_workgroup_id_x 1
		.amdhsa_system_sgpr_workgroup_id_y 0
		.amdhsa_system_sgpr_workgroup_id_z 0
		.amdhsa_system_sgpr_workgroup_info 0
		.amdhsa_system_vgpr_workitem_id 0
		.amdhsa_next_free_vgpr 11
		.amdhsa_next_free_sgpr 11
		.amdhsa_accum_offset 12
		.amdhsa_reserve_vcc 1
		.amdhsa_float_round_mode_32 0
		.amdhsa_float_round_mode_16_64 0
		.amdhsa_float_denorm_mode_32 3
		.amdhsa_float_denorm_mode_16_64 3
		.amdhsa_dx10_clamp 1
		.amdhsa_ieee_mode 1
		.amdhsa_fp16_overflow 0
		.amdhsa_tg_split 0
		.amdhsa_exception_fp_ieee_invalid_op 0
		.amdhsa_exception_fp_denorm_src 0
		.amdhsa_exception_fp_ieee_div_zero 0
		.amdhsa_exception_fp_ieee_overflow 0
		.amdhsa_exception_fp_ieee_underflow 0
		.amdhsa_exception_fp_ieee_inexact 0
		.amdhsa_exception_int_div_zero 0
	.end_amdhsa_kernel
	.section	.text._ZN2at6native27unrolled_elementwise_kernelIZZZNS0_21clamp_max_kernel_cudaERNS_18TensorIteratorBaseERKN3c106ScalarEENKUlvE_clEvENKUlvE5_clEvEUlfE_St5arrayIPcLm2EELi4E23TrivialOffsetCalculatorILi1EjESF_NS0_6memory15LoadWithoutCastENSG_16StoreWithoutCastEEEviT_T0_T2_T3_T4_T5_,"axG",@progbits,_ZN2at6native27unrolled_elementwise_kernelIZZZNS0_21clamp_max_kernel_cudaERNS_18TensorIteratorBaseERKN3c106ScalarEENKUlvE_clEvENKUlvE5_clEvEUlfE_St5arrayIPcLm2EELi4E23TrivialOffsetCalculatorILi1EjESF_NS0_6memory15LoadWithoutCastENSG_16StoreWithoutCastEEEviT_T0_T2_T3_T4_T5_,comdat
.Lfunc_end470:
	.size	_ZN2at6native27unrolled_elementwise_kernelIZZZNS0_21clamp_max_kernel_cudaERNS_18TensorIteratorBaseERKN3c106ScalarEENKUlvE_clEvENKUlvE5_clEvEUlfE_St5arrayIPcLm2EELi4E23TrivialOffsetCalculatorILi1EjESF_NS0_6memory15LoadWithoutCastENSG_16StoreWithoutCastEEEviT_T0_T2_T3_T4_T5_, .Lfunc_end470-_ZN2at6native27unrolled_elementwise_kernelIZZZNS0_21clamp_max_kernel_cudaERNS_18TensorIteratorBaseERKN3c106ScalarEENKUlvE_clEvENKUlvE5_clEvEUlfE_St5arrayIPcLm2EELi4E23TrivialOffsetCalculatorILi1EjESF_NS0_6memory15LoadWithoutCastENSG_16StoreWithoutCastEEEviT_T0_T2_T3_T4_T5_
                                        ; -- End function
	.set _ZN2at6native27unrolled_elementwise_kernelIZZZNS0_21clamp_max_kernel_cudaERNS_18TensorIteratorBaseERKN3c106ScalarEENKUlvE_clEvENKUlvE5_clEvEUlfE_St5arrayIPcLm2EELi4E23TrivialOffsetCalculatorILi1EjESF_NS0_6memory15LoadWithoutCastENSG_16StoreWithoutCastEEEviT_T0_T2_T3_T4_T5_.num_vgpr, 11
	.set _ZN2at6native27unrolled_elementwise_kernelIZZZNS0_21clamp_max_kernel_cudaERNS_18TensorIteratorBaseERKN3c106ScalarEENKUlvE_clEvENKUlvE5_clEvEUlfE_St5arrayIPcLm2EELi4E23TrivialOffsetCalculatorILi1EjESF_NS0_6memory15LoadWithoutCastENSG_16StoreWithoutCastEEEviT_T0_T2_T3_T4_T5_.num_agpr, 0
	.set _ZN2at6native27unrolled_elementwise_kernelIZZZNS0_21clamp_max_kernel_cudaERNS_18TensorIteratorBaseERKN3c106ScalarEENKUlvE_clEvENKUlvE5_clEvEUlfE_St5arrayIPcLm2EELi4E23TrivialOffsetCalculatorILi1EjESF_NS0_6memory15LoadWithoutCastENSG_16StoreWithoutCastEEEviT_T0_T2_T3_T4_T5_.numbered_sgpr, 11
	.set _ZN2at6native27unrolled_elementwise_kernelIZZZNS0_21clamp_max_kernel_cudaERNS_18TensorIteratorBaseERKN3c106ScalarEENKUlvE_clEvENKUlvE5_clEvEUlfE_St5arrayIPcLm2EELi4E23TrivialOffsetCalculatorILi1EjESF_NS0_6memory15LoadWithoutCastENSG_16StoreWithoutCastEEEviT_T0_T2_T3_T4_T5_.num_named_barrier, 0
	.set _ZN2at6native27unrolled_elementwise_kernelIZZZNS0_21clamp_max_kernel_cudaERNS_18TensorIteratorBaseERKN3c106ScalarEENKUlvE_clEvENKUlvE5_clEvEUlfE_St5arrayIPcLm2EELi4E23TrivialOffsetCalculatorILi1EjESF_NS0_6memory15LoadWithoutCastENSG_16StoreWithoutCastEEEviT_T0_T2_T3_T4_T5_.private_seg_size, 0
	.set _ZN2at6native27unrolled_elementwise_kernelIZZZNS0_21clamp_max_kernel_cudaERNS_18TensorIteratorBaseERKN3c106ScalarEENKUlvE_clEvENKUlvE5_clEvEUlfE_St5arrayIPcLm2EELi4E23TrivialOffsetCalculatorILi1EjESF_NS0_6memory15LoadWithoutCastENSG_16StoreWithoutCastEEEviT_T0_T2_T3_T4_T5_.uses_vcc, 1
	.set _ZN2at6native27unrolled_elementwise_kernelIZZZNS0_21clamp_max_kernel_cudaERNS_18TensorIteratorBaseERKN3c106ScalarEENKUlvE_clEvENKUlvE5_clEvEUlfE_St5arrayIPcLm2EELi4E23TrivialOffsetCalculatorILi1EjESF_NS0_6memory15LoadWithoutCastENSG_16StoreWithoutCastEEEviT_T0_T2_T3_T4_T5_.uses_flat_scratch, 0
	.set _ZN2at6native27unrolled_elementwise_kernelIZZZNS0_21clamp_max_kernel_cudaERNS_18TensorIteratorBaseERKN3c106ScalarEENKUlvE_clEvENKUlvE5_clEvEUlfE_St5arrayIPcLm2EELi4E23TrivialOffsetCalculatorILi1EjESF_NS0_6memory15LoadWithoutCastENSG_16StoreWithoutCastEEEviT_T0_T2_T3_T4_T5_.has_dyn_sized_stack, 0
	.set _ZN2at6native27unrolled_elementwise_kernelIZZZNS0_21clamp_max_kernel_cudaERNS_18TensorIteratorBaseERKN3c106ScalarEENKUlvE_clEvENKUlvE5_clEvEUlfE_St5arrayIPcLm2EELi4E23TrivialOffsetCalculatorILi1EjESF_NS0_6memory15LoadWithoutCastENSG_16StoreWithoutCastEEEviT_T0_T2_T3_T4_T5_.has_recursion, 0
	.set _ZN2at6native27unrolled_elementwise_kernelIZZZNS0_21clamp_max_kernel_cudaERNS_18TensorIteratorBaseERKN3c106ScalarEENKUlvE_clEvENKUlvE5_clEvEUlfE_St5arrayIPcLm2EELi4E23TrivialOffsetCalculatorILi1EjESF_NS0_6memory15LoadWithoutCastENSG_16StoreWithoutCastEEEviT_T0_T2_T3_T4_T5_.has_indirect_call, 0
	.section	.AMDGPU.csdata,"",@progbits
; Kernel info:
; codeLenInByte = 684
; TotalNumSgprs: 17
; NumVgprs: 11
; NumAgprs: 0
; TotalNumVgprs: 11
; ScratchSize: 0
; MemoryBound: 0
; FloatMode: 240
; IeeeMode: 1
; LDSByteSize: 0 bytes/workgroup (compile time only)
; SGPRBlocks: 2
; VGPRBlocks: 1
; NumSGPRsForWavesPerEU: 17
; NumVGPRsForWavesPerEU: 11
; AccumOffset: 12
; Occupancy: 8
; WaveLimiterHint : 0
; COMPUTE_PGM_RSRC2:SCRATCH_EN: 0
; COMPUTE_PGM_RSRC2:USER_SGPR: 2
; COMPUTE_PGM_RSRC2:TRAP_HANDLER: 0
; COMPUTE_PGM_RSRC2:TGID_X_EN: 1
; COMPUTE_PGM_RSRC2:TGID_Y_EN: 0
; COMPUTE_PGM_RSRC2:TGID_Z_EN: 0
; COMPUTE_PGM_RSRC2:TIDIG_COMP_CNT: 0
; COMPUTE_PGM_RSRC3_GFX90A:ACCUM_OFFSET: 2
; COMPUTE_PGM_RSRC3_GFX90A:TG_SPLIT: 0
	.section	.text._ZN2at6native32elementwise_kernel_manual_unrollILi128ELi4EZNS0_22gpu_kernel_impl_nocastIZZZNS0_21clamp_max_kernel_cudaERNS_18TensorIteratorBaseERKN3c106ScalarEENKUlvE_clEvENKUlvE5_clEvEUlfE_EEvS4_RKT_EUlibE_EEviT1_,"axG",@progbits,_ZN2at6native32elementwise_kernel_manual_unrollILi128ELi4EZNS0_22gpu_kernel_impl_nocastIZZZNS0_21clamp_max_kernel_cudaERNS_18TensorIteratorBaseERKN3c106ScalarEENKUlvE_clEvENKUlvE5_clEvEUlfE_EEvS4_RKT_EUlibE_EEviT1_,comdat
	.globl	_ZN2at6native32elementwise_kernel_manual_unrollILi128ELi4EZNS0_22gpu_kernel_impl_nocastIZZZNS0_21clamp_max_kernel_cudaERNS_18TensorIteratorBaseERKN3c106ScalarEENKUlvE_clEvENKUlvE5_clEvEUlfE_EEvS4_RKT_EUlibE_EEviT1_ ; -- Begin function _ZN2at6native32elementwise_kernel_manual_unrollILi128ELi4EZNS0_22gpu_kernel_impl_nocastIZZZNS0_21clamp_max_kernel_cudaERNS_18TensorIteratorBaseERKN3c106ScalarEENKUlvE_clEvENKUlvE5_clEvEUlfE_EEvS4_RKT_EUlibE_EEviT1_
	.p2align	8
	.type	_ZN2at6native32elementwise_kernel_manual_unrollILi128ELi4EZNS0_22gpu_kernel_impl_nocastIZZZNS0_21clamp_max_kernel_cudaERNS_18TensorIteratorBaseERKN3c106ScalarEENKUlvE_clEvENKUlvE5_clEvEUlfE_EEvS4_RKT_EUlibE_EEviT1_,@function
_ZN2at6native32elementwise_kernel_manual_unrollILi128ELi4EZNS0_22gpu_kernel_impl_nocastIZZZNS0_21clamp_max_kernel_cudaERNS_18TensorIteratorBaseERKN3c106ScalarEENKUlvE_clEvENKUlvE5_clEvEUlfE_EEvS4_RKT_EUlibE_EEviT1_: ; @_ZN2at6native32elementwise_kernel_manual_unrollILi128ELi4EZNS0_22gpu_kernel_impl_nocastIZZZNS0_21clamp_max_kernel_cudaERNS_18TensorIteratorBaseERKN3c106ScalarEENKUlvE_clEvENKUlvE5_clEvEUlfE_EEvS4_RKT_EUlibE_EEviT1_
; %bb.0:
	s_load_dword s56, s[0:1], 0x0
	s_load_dword s33, s[0:1], 0x8
	s_add_u32 s34, s0, 8
	s_addc_u32 s35, s1, 0
	v_lshl_or_b32 v8, s2, 9, v0
	v_or_b32_e32 v16, 0x180, v8
	s_waitcnt lgkmcnt(0)
	s_add_i32 s54, s33, -1
	s_cmp_gt_u32 s54, 1
	v_cmp_le_i32_e32 vcc, s56, v16
	s_cselect_b64 s[36:37], -1, 0
	s_and_saveexec_b64 s[0:1], vcc
	s_xor_b64 s[38:39], exec, s[0:1]
	s_cbranch_execz .LBB471_8
; %bb.1:
	s_load_dwordx4 s[24:27], s[34:35], 0x4
	s_load_dwordx2 s[40:41], s[34:35], 0x14
	s_load_dwordx4 s[20:23], s[34:35], 0xc4
	s_load_dwordx4 s[16:19], s[34:35], 0x148
	s_load_dword s55, s[34:35], 0x158
	s_cmp_lg_u32 s33, 0
	s_cselect_b64 s[46:47], -1, 0
	s_add_u32 s44, s34, 0xc4
	s_addc_u32 s45, s35, 0
	s_min_u32 s57, s54, 15
	s_cmp_gt_u32 s33, 1
	s_cselect_b64 s[42:43], -1, 0
	v_cmp_gt_i32_e32 vcc, s56, v8
	s_and_saveexec_b64 s[48:49], vcc
	s_cbranch_execz .LBB471_15
; %bb.2:
	s_andn2_b64 vcc, exec, s[36:37]
	s_cbranch_vccnz .LBB471_23
; %bb.3:
	s_andn2_b64 vcc, exec, s[46:47]
	s_cbranch_vccnz .LBB471_75
; %bb.4:
	s_add_i32 s59, s57, 1
	s_cmp_eq_u32 s54, 2
	s_cbranch_scc1 .LBB471_77
; %bb.5:
	s_and_b32 s58, s59, 28
	s_mov_b32 s60, 0
	v_mov_b32_e32 v0, 0
	v_mov_b32_e32 v2, 0
	s_mov_b64 s[50:51], s[34:35]
	s_mov_b64 s[52:53], s[44:45]
	v_mov_b32_e32 v4, v8
.LBB471_6:                              ; =>This Inner Loop Header: Depth=1
	s_load_dwordx8 s[8:15], s[50:51], 0x4
	s_load_dwordx4 s[28:31], s[50:51], 0x24
	s_load_dwordx8 s[0:7], s[52:53], 0x0
	s_add_u32 s50, s50, 48
	s_addc_u32 s51, s51, 0
	s_waitcnt lgkmcnt(0)
	v_mul_hi_u32 v1, s9, v4
	v_add_u32_e32 v1, v4, v1
	v_lshrrev_b32_e32 v1, s10, v1
	v_mul_lo_u32 v3, v1, s8
	v_mul_hi_u32 v5, s12, v1
	v_sub_u32_e32 v3, v4, v3
	v_add_u32_e32 v4, v1, v5
	v_lshrrev_b32_e32 v4, s13, v4
	v_mul_lo_u32 v6, v4, s11
	v_mul_hi_u32 v7, s15, v4
	v_sub_u32_e32 v1, v1, v6
	v_add_u32_e32 v6, v4, v7
	v_mul_lo_u32 v5, v3, s1
	v_mul_lo_u32 v3, v3, s0
	;; [unrolled: 1-line block ×4, first 2 shown]
	v_lshrrev_b32_e32 v6, s28, v6
	v_add3_u32 v0, v3, v0, v1
	v_mul_hi_u32 v3, s30, v6
	v_add3_u32 v1, v5, v2, v7
	v_mul_lo_u32 v2, v6, s14
	v_add_u32_e32 v3, v6, v3
	v_sub_u32_e32 v2, v4, v2
	v_lshrrev_b32_e32 v4, s31, v3
	s_add_i32 s60, s60, 4
	v_mul_lo_u32 v3, v4, s29
	s_add_u32 s52, s52, 32
	v_sub_u32_e32 v3, v6, v3
	s_addc_u32 s53, s53, 0
	v_mul_lo_u32 v5, v2, s4
	v_mul_lo_u32 v2, v2, s5
	;; [unrolled: 1-line block ×4, first 2 shown]
	s_cmp_lg_u32 s58, s60
	v_add3_u32 v2, v2, v1, v3
	v_add3_u32 v0, v5, v0, v6
	s_cbranch_scc1 .LBB471_6
; %bb.7:
	v_mov_b32_e32 v1, v2
	s_branch .LBB471_78
.LBB471_8:
	s_andn2_saveexec_b64 s[0:1], s[38:39]
	s_cbranch_execz .LBB471_104
.LBB471_9:
	v_cndmask_b32_e64 v0, 0, 1, s[36:37]
	v_cmp_ne_u32_e64 s[0:1], 1, v0
	s_andn2_b64 vcc, exec, s[36:37]
	s_cbranch_vccnz .LBB471_22
; %bb.10:
	s_cmp_lg_u32 s33, 0
	s_waitcnt lgkmcnt(0)
	s_mov_b32 s26, 0
	s_cbranch_scc0 .LBB471_25
; %bb.11:
	s_min_u32 s27, s54, 15
	s_add_i32 s27, s27, 1
	s_cmp_eq_u32 s54, 2
	s_cbranch_scc1 .LBB471_26
; %bb.12:
	s_and_b32 s26, s27, 28
	s_add_u32 s2, s34, 0xc4
	s_addc_u32 s3, s35, 0
	s_mov_b32 s28, 0
	v_mov_b32_e32 v0, 0
	v_mov_b32_e32 v2, 0
	s_mov_b64 s[24:25], s[34:35]
	v_mov_b32_e32 v4, v8
.LBB471_13:                             ; =>This Inner Loop Header: Depth=1
	s_load_dwordx8 s[12:19], s[24:25], 0x4
	s_load_dwordx4 s[20:23], s[24:25], 0x24
	s_load_dwordx8 s[4:11], s[2:3], 0x0
	s_add_u32 s24, s24, 48
	s_addc_u32 s25, s25, 0
	s_waitcnt lgkmcnt(0)
	v_mul_hi_u32 v1, s13, v4
	v_add_u32_e32 v1, v4, v1
	v_lshrrev_b32_e32 v1, s14, v1
	v_mul_lo_u32 v3, v1, s12
	v_mul_hi_u32 v5, s16, v1
	v_sub_u32_e32 v3, v4, v3
	v_add_u32_e32 v4, v1, v5
	v_lshrrev_b32_e32 v4, s17, v4
	v_mul_lo_u32 v6, v4, s15
	v_mul_hi_u32 v7, s19, v4
	v_sub_u32_e32 v1, v1, v6
	v_add_u32_e32 v6, v4, v7
	v_mul_lo_u32 v5, v3, s5
	v_mul_lo_u32 v3, v3, s4
	;; [unrolled: 1-line block ×4, first 2 shown]
	v_lshrrev_b32_e32 v6, s20, v6
	v_add3_u32 v0, v3, v0, v1
	v_mul_hi_u32 v3, s22, v6
	v_add3_u32 v1, v5, v2, v7
	v_mul_lo_u32 v2, v6, s18
	v_add_u32_e32 v3, v6, v3
	v_sub_u32_e32 v2, v4, v2
	v_lshrrev_b32_e32 v4, s23, v3
	s_add_i32 s28, s28, 4
	v_mul_lo_u32 v3, v4, s21
	s_add_u32 s2, s2, 32
	v_sub_u32_e32 v3, v6, v3
	s_addc_u32 s3, s3, 0
	v_mul_lo_u32 v5, v2, s8
	v_mul_lo_u32 v2, v2, s9
	;; [unrolled: 1-line block ×4, first 2 shown]
	s_cmp_lg_u32 s26, s28
	v_add3_u32 v2, v2, v1, v3
	v_add3_u32 v0, v5, v0, v6
	s_cbranch_scc1 .LBB471_13
; %bb.14:
	v_mov_b32_e32 v1, v2
	s_and_b32 s6, s27, 3
	s_cmp_eq_u32 s6, 0
	s_cbranch_scc0 .LBB471_27
	s_branch .LBB471_29
.LBB471_15:
	s_or_b64 exec, exec, s[48:49]
	v_cmp_gt_i32_e32 vcc, s56, v8
	s_and_saveexec_b64 s[48:49], vcc
	s_cbranch_execz .LBB471_85
.LBB471_16:
	s_andn2_b64 vcc, exec, s[36:37]
	s_cbranch_vccnz .LBB471_24
; %bb.17:
	s_andn2_b64 vcc, exec, s[46:47]
	s_cbranch_vccnz .LBB471_76
; %bb.18:
	s_add_i32 s59, s57, 1
	s_cmp_eq_u32 s54, 2
	s_cbranch_scc1 .LBB471_94
; %bb.19:
	s_and_b32 s58, s59, 28
	s_mov_b32 s60, 0
	v_mov_b32_e32 v0, 0
	v_mov_b32_e32 v2, 0
	s_mov_b64 s[50:51], s[34:35]
	s_mov_b64 s[52:53], s[44:45]
	v_mov_b32_e32 v4, v8
.LBB471_20:                             ; =>This Inner Loop Header: Depth=1
	s_load_dwordx8 s[8:15], s[50:51], 0x4
	s_load_dwordx4 s[28:31], s[50:51], 0x24
	s_load_dwordx8 s[0:7], s[52:53], 0x0
	s_add_u32 s50, s50, 48
	s_addc_u32 s51, s51, 0
	s_waitcnt lgkmcnt(0)
	v_mul_hi_u32 v1, s9, v4
	v_add_u32_e32 v1, v4, v1
	v_lshrrev_b32_e32 v1, s10, v1
	v_mul_lo_u32 v3, v1, s8
	v_mul_hi_u32 v5, s12, v1
	v_sub_u32_e32 v3, v4, v3
	v_add_u32_e32 v4, v1, v5
	v_lshrrev_b32_e32 v4, s13, v4
	v_mul_lo_u32 v6, v4, s11
	v_mul_hi_u32 v7, s15, v4
	v_sub_u32_e32 v1, v1, v6
	v_add_u32_e32 v6, v4, v7
	v_mul_lo_u32 v5, v3, s1
	v_mul_lo_u32 v3, v3, s0
	;; [unrolled: 1-line block ×4, first 2 shown]
	v_lshrrev_b32_e32 v6, s28, v6
	v_add3_u32 v0, v3, v0, v1
	v_mul_hi_u32 v3, s30, v6
	v_add3_u32 v1, v5, v2, v7
	v_mul_lo_u32 v2, v6, s14
	v_add_u32_e32 v3, v6, v3
	v_sub_u32_e32 v2, v4, v2
	v_lshrrev_b32_e32 v4, s31, v3
	s_add_i32 s60, s60, 4
	v_mul_lo_u32 v3, v4, s29
	s_add_u32 s52, s52, 32
	v_sub_u32_e32 v3, v6, v3
	s_addc_u32 s53, s53, 0
	v_mul_lo_u32 v5, v2, s4
	v_mul_lo_u32 v2, v2, s5
	;; [unrolled: 1-line block ×4, first 2 shown]
	s_cmp_eq_u32 s58, s60
	v_add3_u32 v2, v2, v1, v3
	v_add3_u32 v0, v5, v0, v6
	s_cbranch_scc0 .LBB471_20
; %bb.21:
	v_mov_b32_e32 v1, v2
	s_branch .LBB471_95
.LBB471_22:
                                        ; implicit-def: $vgpr2
                                        ; implicit-def: $vgpr0
	s_branch .LBB471_30
.LBB471_23:
                                        ; implicit-def: $vgpr2
                                        ; implicit-def: $vgpr0
	s_branch .LBB471_82
.LBB471_24:
                                        ; implicit-def: $vgpr2
                                        ; implicit-def: $vgpr0
	s_branch .LBB471_99
.LBB471_25:
	v_mov_b32_e32 v2, 0
	v_mov_b32_e32 v0, 0
	s_branch .LBB471_29
.LBB471_26:
	v_mov_b32_e32 v0, 0
                                        ; implicit-def: $vgpr2
	v_mov_b32_e32 v1, v0
	v_mov_b32_e32 v4, v8
	s_and_b32 s6, s27, 3
	s_cmp_eq_u32 s6, 0
	s_cbranch_scc1 .LBB471_29
.LBB471_27:
	s_lshl_b32 s2, s26, 3
	s_add_u32 s2, s34, s2
	s_addc_u32 s3, s35, 0
	s_add_u32 s2, s2, 0xc4
	s_addc_u32 s3, s3, 0
	s_mul_i32 s4, s26, 12
	s_add_u32 s4, s34, s4
	s_addc_u32 s5, s35, 0
.LBB471_28:                             ; =>This Inner Loop Header: Depth=1
	s_load_dwordx2 s[8:9], s[4:5], 0x4
	s_load_dword s7, s[4:5], 0xc
	s_load_dwordx2 s[10:11], s[2:3], 0x0
	v_mov_b32_e32 v2, v1
	s_add_u32 s4, s4, 12
	s_waitcnt lgkmcnt(0)
	v_mul_hi_u32 v1, s9, v4
	v_add_u32_e32 v1, v4, v1
	v_lshrrev_b32_e32 v1, s7, v1
	s_addc_u32 s5, s5, 0
	v_mul_lo_u32 v3, v1, s8
	s_add_u32 s2, s2, 8
	v_sub_u32_e32 v5, v4, v3
	s_addc_u32 s3, s3, 0
	s_add_i32 s6, s6, -1
	v_mov_b32_e32 v4, v1
	v_mad_u64_u32 v[2:3], s[8:9], v5, s11, v[2:3]
	v_mad_u64_u32 v[0:1], s[8:9], v5, s10, v[0:1]
	s_cmp_lg_u32 s6, 0
	v_mov_b32_e32 v1, v2
	s_cbranch_scc1 .LBB471_28
.LBB471_29:
	s_cbranch_execnz .LBB471_32
.LBB471_30:
	s_load_dwordx4 s[4:7], s[34:35], 0x4
	s_load_dwordx2 s[2:3], s[34:35], 0xc4
	s_cmp_lt_u32 s33, 2
	s_waitcnt lgkmcnt(0)
	v_mul_hi_u32 v0, s5, v8
	v_add_u32_e32 v0, v8, v0
	v_lshrrev_b32_e32 v1, s6, v0
	v_mul_lo_u32 v0, v1, s4
	v_sub_u32_e32 v0, v8, v0
	v_mul_lo_u32 v2, v0, s3
	v_mul_lo_u32 v0, v0, s2
	s_cbranch_scc1 .LBB471_32
; %bb.31:
	s_load_dwordx4 s[4:7], s[34:35], 0x10
	s_load_dwordx2 s[2:3], s[34:35], 0xcc
	s_waitcnt lgkmcnt(0)
	v_mul_hi_u32 v3, s5, v1
	v_add_u32_e32 v3, v1, v3
	v_lshrrev_b32_e32 v3, s6, v3
	v_mul_lo_u32 v3, v3, s4
	v_sub_u32_e32 v3, v1, v3
	v_mad_u64_u32 v[0:1], s[4:5], v3, s2, v[0:1]
	v_mad_u64_u32 v[2:3], s[2:3], v3, s3, v[2:3]
.LBB471_32:
	s_and_b64 vcc, exec, s[0:1]
	v_add_u32_e32 v3, 0x80, v8
	s_cbranch_vccnz .LBB471_38
; %bb.33:
	s_cmp_lg_u32 s33, 0
	s_waitcnt lgkmcnt(0)
	s_mov_b32 s26, 0
	s_cbranch_scc0 .LBB471_39
; %bb.34:
	s_min_u32 s27, s54, 15
	s_add_i32 s27, s27, 1
	s_cmp_eq_u32 s54, 2
	s_cbranch_scc1 .LBB471_40
; %bb.35:
	s_and_b32 s26, s27, 28
	s_add_u32 s2, s34, 0xc4
	s_addc_u32 s3, s35, 0
	s_mov_b32 s28, 0
	v_mov_b32_e32 v4, 0
	v_mov_b32_e32 v6, 0
	s_mov_b64 s[24:25], s[34:35]
	v_mov_b32_e32 v9, v3
.LBB471_36:                             ; =>This Inner Loop Header: Depth=1
	s_load_dwordx8 s[12:19], s[24:25], 0x4
	s_load_dwordx4 s[20:23], s[24:25], 0x24
	s_load_dwordx8 s[4:11], s[2:3], 0x0
	s_add_u32 s24, s24, 48
	s_addc_u32 s25, s25, 0
	s_waitcnt lgkmcnt(0)
	v_mul_hi_u32 v1, s13, v9
	v_add_u32_e32 v1, v9, v1
	v_lshrrev_b32_e32 v1, s14, v1
	v_mul_hi_u32 v7, s16, v1
	v_add_u32_e32 v7, v1, v7
	v_lshrrev_b32_e32 v7, s17, v7
	v_mul_lo_u32 v5, v1, s12
	v_mul_lo_u32 v10, v7, s15
	v_mul_hi_u32 v11, s19, v7
	v_sub_u32_e32 v5, v9, v5
	v_sub_u32_e32 v1, v1, v10
	v_add_u32_e32 v10, v7, v11
	v_mul_lo_u32 v9, v5, s5
	v_mul_lo_u32 v5, v5, s4
	;; [unrolled: 1-line block ×4, first 2 shown]
	v_lshrrev_b32_e32 v10, s20, v10
	v_add3_u32 v1, v5, v4, v1
	v_add3_u32 v4, v9, v6, v11
	v_mul_hi_u32 v6, s22, v10
	v_add_u32_e32 v6, v10, v6
	v_lshrrev_b32_e32 v9, s23, v6
	s_add_i32 s28, s28, 4
	v_mul_lo_u32 v5, v10, s18
	v_mul_lo_u32 v6, v9, s21
	s_add_u32 s2, s2, 32
	v_sub_u32_e32 v5, v7, v5
	v_sub_u32_e32 v6, v10, v6
	s_addc_u32 s3, s3, 0
	v_mul_lo_u32 v7, v5, s8
	v_mul_lo_u32 v5, v5, s9
	;; [unrolled: 1-line block ×4, first 2 shown]
	s_cmp_lg_u32 s26, s28
	v_add3_u32 v6, v5, v4, v6
	v_add3_u32 v4, v7, v1, v10
	s_cbranch_scc1 .LBB471_36
; %bb.37:
	v_mov_b32_e32 v1, v6
	s_and_b32 s6, s27, 3
	s_cmp_eq_u32 s6, 0
	s_cbranch_scc0 .LBB471_41
	s_branch .LBB471_43
.LBB471_38:
                                        ; implicit-def: $vgpr6
                                        ; implicit-def: $vgpr4
	s_branch .LBB471_44
.LBB471_39:
	v_mov_b32_e32 v6, 0
	v_mov_b32_e32 v4, 0
	s_branch .LBB471_43
.LBB471_40:
	v_mov_b32_e32 v4, 0
                                        ; implicit-def: $vgpr6
	v_mov_b32_e32 v1, v4
	v_mov_b32_e32 v9, v3
	s_and_b32 s6, s27, 3
	s_cmp_eq_u32 s6, 0
	s_cbranch_scc1 .LBB471_43
.LBB471_41:
	s_lshl_b32 s2, s26, 3
	s_add_u32 s2, s34, s2
	s_addc_u32 s3, s35, 0
	s_add_u32 s2, s2, 0xc4
	s_addc_u32 s3, s3, 0
	s_mul_i32 s4, s26, 12
	s_add_u32 s4, s34, s4
	s_addc_u32 s5, s35, 0
.LBB471_42:                             ; =>This Inner Loop Header: Depth=1
	s_load_dwordx2 s[8:9], s[4:5], 0x4
	s_load_dword s7, s[4:5], 0xc
	s_load_dwordx2 s[10:11], s[2:3], 0x0
	v_mov_b32_e32 v6, v1
	s_add_u32 s4, s4, 12
	s_waitcnt lgkmcnt(0)
	v_mul_hi_u32 v1, s9, v9
	v_add_u32_e32 v1, v9, v1
	v_lshrrev_b32_e32 v1, s7, v1
	s_addc_u32 s5, s5, 0
	v_mul_lo_u32 v5, v1, s8
	s_add_u32 s2, s2, 8
	v_sub_u32_e32 v5, v9, v5
	s_addc_u32 s3, s3, 0
	s_add_i32 s6, s6, -1
	v_mad_u64_u32 v[6:7], s[8:9], v5, s11, v[6:7]
	s_cmp_lg_u32 s6, 0
	v_mov_b32_e32 v9, v1
	v_mad_u64_u32 v[4:5], s[8:9], v5, s10, v[4:5]
	v_mov_b32_e32 v1, v6
	s_cbranch_scc1 .LBB471_42
.LBB471_43:
	s_cbranch_execnz .LBB471_46
.LBB471_44:
	s_load_dwordx4 s[4:7], s[34:35], 0x4
	s_load_dwordx2 s[2:3], s[34:35], 0xc4
	s_cmp_lt_u32 s33, 2
	s_waitcnt lgkmcnt(0)
	v_mul_hi_u32 v1, s5, v3
	v_add_u32_e32 v1, v3, v1
	v_lshrrev_b32_e32 v1, s6, v1
	v_mul_lo_u32 v4, v1, s4
	v_sub_u32_e32 v3, v3, v4
	v_mul_lo_u32 v6, v3, s3
	v_mul_lo_u32 v4, v3, s2
	s_cbranch_scc1 .LBB471_46
; %bb.45:
	s_load_dwordx4 s[4:7], s[34:35], 0x10
	s_load_dwordx2 s[2:3], s[34:35], 0xcc
	s_waitcnt lgkmcnt(0)
	v_mul_hi_u32 v3, s5, v1
	v_add_u32_e32 v3, v1, v3
	v_lshrrev_b32_e32 v3, s6, v3
	v_mul_lo_u32 v3, v3, s4
	v_sub_u32_e32 v1, v1, v3
	v_mad_u64_u32 v[4:5], s[4:5], v1, s2, v[4:5]
	v_mad_u64_u32 v[6:7], s[2:3], v1, s3, v[6:7]
.LBB471_46:
	s_and_b64 vcc, exec, s[0:1]
	v_add_u32_e32 v3, 0x100, v8
	s_cbranch_vccnz .LBB471_52
; %bb.47:
	s_cmp_lg_u32 s33, 0
	s_waitcnt lgkmcnt(0)
	s_mov_b32 s26, 0
	s_cbranch_scc0 .LBB471_53
; %bb.48:
	s_min_u32 s27, s54, 15
	s_add_i32 s27, s27, 1
	s_cmp_eq_u32 s54, 2
	s_cbranch_scc1 .LBB471_54
; %bb.49:
	s_and_b32 s26, s27, 28
	s_add_u32 s2, s34, 0xc4
	s_addc_u32 s3, s35, 0
	s_mov_b32 s28, 0
	v_mov_b32_e32 v8, 0
	v_mov_b32_e32 v10, 0
	s_mov_b64 s[24:25], s[34:35]
	v_mov_b32_e32 v5, v3
.LBB471_50:                             ; =>This Inner Loop Header: Depth=1
	s_load_dwordx8 s[12:19], s[24:25], 0x4
	s_load_dwordx4 s[20:23], s[24:25], 0x24
	s_load_dwordx8 s[4:11], s[2:3], 0x0
	s_add_u32 s24, s24, 48
	s_addc_u32 s25, s25, 0
	s_waitcnt lgkmcnt(0)
	v_mul_hi_u32 v1, s13, v5
	v_add_u32_e32 v1, v5, v1
	v_lshrrev_b32_e32 v1, s14, v1
	v_mul_lo_u32 v7, v1, s12
	v_mul_hi_u32 v9, s16, v1
	v_sub_u32_e32 v5, v5, v7
	v_add_u32_e32 v7, v1, v9
	v_lshrrev_b32_e32 v7, s17, v7
	v_mul_lo_u32 v11, v7, s15
	v_mul_hi_u32 v12, s19, v7
	v_sub_u32_e32 v1, v1, v11
	v_add_u32_e32 v11, v7, v12
	v_mul_lo_u32 v9, v5, s5
	v_mul_lo_u32 v5, v5, s4
	;; [unrolled: 1-line block ×4, first 2 shown]
	v_lshrrev_b32_e32 v11, s20, v11
	v_add3_u32 v1, v5, v8, v1
	v_add3_u32 v8, v9, v10, v12
	v_mul_lo_u32 v5, v11, s18
	v_mul_hi_u32 v9, s22, v11
	v_sub_u32_e32 v5, v7, v5
	v_add_u32_e32 v7, v11, v9
	v_mul_lo_u32 v9, v5, s8
	v_mul_lo_u32 v10, v5, s9
	v_lshrrev_b32_e32 v5, s23, v7
	s_add_i32 s28, s28, 4
	v_mul_lo_u32 v7, v5, s21
	s_add_u32 s2, s2, 32
	v_sub_u32_e32 v7, v11, v7
	s_addc_u32 s3, s3, 0
	v_mul_lo_u32 v11, v7, s10
	v_mul_lo_u32 v7, v7, s11
	s_cmp_lg_u32 s26, s28
	v_add3_u32 v10, v10, v8, v7
	v_add3_u32 v8, v9, v1, v11
	s_cbranch_scc1 .LBB471_50
; %bb.51:
	v_mov_b32_e32 v1, v10
	s_and_b32 s6, s27, 3
	s_cmp_eq_u32 s6, 0
	s_cbranch_scc0 .LBB471_55
	s_branch .LBB471_57
.LBB471_52:
                                        ; implicit-def: $vgpr10
                                        ; implicit-def: $vgpr8
	s_branch .LBB471_58
.LBB471_53:
	v_mov_b32_e32 v10, 0
	v_mov_b32_e32 v8, 0
	s_branch .LBB471_57
.LBB471_54:
	v_mov_b32_e32 v8, 0
                                        ; implicit-def: $vgpr10
	v_mov_b32_e32 v1, v8
	v_mov_b32_e32 v5, v3
	s_and_b32 s6, s27, 3
	s_cmp_eq_u32 s6, 0
	s_cbranch_scc1 .LBB471_57
.LBB471_55:
	s_lshl_b32 s2, s26, 3
	s_add_u32 s2, s34, s2
	s_addc_u32 s3, s35, 0
	s_add_u32 s2, s2, 0xc4
	s_addc_u32 s3, s3, 0
	s_mul_i32 s4, s26, 12
	s_add_u32 s4, s34, s4
	s_addc_u32 s5, s35, 0
.LBB471_56:                             ; =>This Inner Loop Header: Depth=1
	s_load_dwordx2 s[8:9], s[4:5], 0x4
	s_load_dword s7, s[4:5], 0xc
	s_load_dwordx2 s[10:11], s[2:3], 0x0
	v_mov_b32_e32 v10, v1
	s_add_u32 s4, s4, 12
	s_waitcnt lgkmcnt(0)
	v_mul_hi_u32 v1, s9, v5
	v_add_u32_e32 v1, v5, v1
	v_lshrrev_b32_e32 v1, s7, v1
	s_addc_u32 s5, s5, 0
	v_mul_lo_u32 v7, v1, s8
	s_add_u32 s2, s2, 8
	v_sub_u32_e32 v7, v5, v7
	s_addc_u32 s3, s3, 0
	s_add_i32 s6, s6, -1
	v_mad_u64_u32 v[10:11], s[8:9], v7, s11, v[10:11]
	s_cmp_lg_u32 s6, 0
	v_mov_b32_e32 v5, v1
	v_mad_u64_u32 v[8:9], s[8:9], v7, s10, v[8:9]
	v_mov_b32_e32 v1, v10
	s_cbranch_scc1 .LBB471_56
.LBB471_57:
	s_cbranch_execnz .LBB471_60
.LBB471_58:
	s_load_dwordx4 s[4:7], s[34:35], 0x4
	s_load_dwordx2 s[2:3], s[34:35], 0xc4
	s_cmp_lt_u32 s33, 2
	s_waitcnt lgkmcnt(0)
	v_mul_hi_u32 v1, s5, v3
	v_add_u32_e32 v1, v3, v1
	v_lshrrev_b32_e32 v1, s6, v1
	v_mul_lo_u32 v5, v1, s4
	v_sub_u32_e32 v3, v3, v5
	v_mul_lo_u32 v10, v3, s3
	v_mul_lo_u32 v8, v3, s2
	s_cbranch_scc1 .LBB471_60
; %bb.59:
	s_load_dwordx4 s[4:7], s[34:35], 0x10
	s_load_dwordx2 s[2:3], s[34:35], 0xcc
	s_waitcnt lgkmcnt(0)
	v_mul_hi_u32 v3, s5, v1
	v_add_u32_e32 v3, v1, v3
	v_lshrrev_b32_e32 v3, s6, v3
	v_mul_lo_u32 v3, v3, s4
	v_sub_u32_e32 v1, v1, v3
	v_mad_u64_u32 v[8:9], s[4:5], v1, s2, v[8:9]
	v_mad_u64_u32 v[10:11], s[2:3], v1, s3, v[10:11]
.LBB471_60:
	s_and_b64 vcc, exec, s[0:1]
	s_cbranch_vccnz .LBB471_66
; %bb.61:
	s_cmp_lg_u32 s33, 0
	s_waitcnt lgkmcnt(0)
	s_mov_b32 s24, 0
	s_cbranch_scc0 .LBB471_67
; %bb.62:
	s_min_u32 s25, s54, 15
	s_add_i32 s25, s25, 1
	s_cmp_eq_u32 s54, 2
	s_cbranch_scc1 .LBB471_68
; %bb.63:
	s_and_b32 s24, s25, 28
	s_add_u32 s20, s34, 0xc4
	s_addc_u32 s21, s35, 0
	s_mov_b32 s26, 0
	v_mov_b32_e32 v12, 0
	v_mov_b32_e32 v14, 0
	s_mov_b64 s[22:23], s[34:35]
	v_mov_b32_e32 v3, v16
.LBB471_64:                             ; =>This Inner Loop Header: Depth=1
	s_load_dwordx8 s[8:15], s[22:23], 0x4
	s_load_dwordx4 s[16:19], s[22:23], 0x24
	s_load_dwordx8 s[0:7], s[20:21], 0x0
	s_add_u32 s22, s22, 48
	s_addc_u32 s23, s23, 0
	s_waitcnt lgkmcnt(0)
	v_mul_hi_u32 v1, s9, v3
	v_add_u32_e32 v1, v3, v1
	v_lshrrev_b32_e32 v1, s10, v1
	v_mul_lo_u32 v5, v1, s8
	v_mul_hi_u32 v7, s12, v1
	v_sub_u32_e32 v3, v3, v5
	v_add_u32_e32 v5, v1, v7
	v_lshrrev_b32_e32 v5, s13, v5
	v_mul_lo_u32 v9, v5, s11
	v_mul_hi_u32 v11, s15, v5
	v_sub_u32_e32 v1, v1, v9
	v_add_u32_e32 v9, v5, v11
	v_mul_lo_u32 v7, v3, s1
	v_mul_lo_u32 v3, v3, s0
	;; [unrolled: 1-line block ×4, first 2 shown]
	v_lshrrev_b32_e32 v9, s16, v9
	v_add3_u32 v1, v3, v12, v1
	v_add3_u32 v7, v7, v14, v11
	v_mul_lo_u32 v3, v9, s14
	v_mul_hi_u32 v11, s18, v9
	v_sub_u32_e32 v3, v5, v3
	v_add_u32_e32 v5, v9, v11
	v_mul_lo_u32 v11, v3, s4
	v_mul_lo_u32 v12, v3, s5
	v_lshrrev_b32_e32 v3, s19, v5
	s_add_i32 s26, s26, 4
	v_mul_lo_u32 v5, v3, s17
	s_add_u32 s20, s20, 32
	v_sub_u32_e32 v5, v9, v5
	s_addc_u32 s21, s21, 0
	v_mul_lo_u32 v9, v5, s6
	v_mul_lo_u32 v5, v5, s7
	s_cmp_lg_u32 s24, s26
	v_add3_u32 v14, v12, v7, v5
	v_add3_u32 v12, v11, v1, v9
	s_cbranch_scc1 .LBB471_64
; %bb.65:
	v_mov_b32_e32 v1, v14
	s_and_b32 s4, s25, 3
	s_cmp_eq_u32 s4, 0
	s_cbranch_scc0 .LBB471_69
	s_branch .LBB471_71
.LBB471_66:
                                        ; implicit-def: $vgpr14
                                        ; implicit-def: $vgpr12
	s_branch .LBB471_72
.LBB471_67:
	v_mov_b32_e32 v14, 0
	v_mov_b32_e32 v12, 0
	s_branch .LBB471_71
.LBB471_68:
	v_mov_b32_e32 v12, 0
                                        ; implicit-def: $vgpr14
	v_mov_b32_e32 v1, v12
	v_mov_b32_e32 v3, v16
	s_and_b32 s4, s25, 3
	s_cmp_eq_u32 s4, 0
	s_cbranch_scc1 .LBB471_71
.LBB471_69:
	s_lshl_b32 s0, s24, 3
	s_add_u32 s0, s34, s0
	s_addc_u32 s1, s35, 0
	s_add_u32 s0, s0, 0xc4
	s_addc_u32 s1, s1, 0
	s_mul_i32 s2, s24, 12
	s_add_u32 s2, s34, s2
	s_addc_u32 s3, s35, 0
.LBB471_70:                             ; =>This Inner Loop Header: Depth=1
	s_load_dwordx2 s[6:7], s[2:3], 0x4
	s_load_dword s5, s[2:3], 0xc
	s_load_dwordx2 s[8:9], s[0:1], 0x0
	v_mov_b32_e32 v14, v1
	s_add_u32 s2, s2, 12
	s_waitcnt lgkmcnt(0)
	v_mul_hi_u32 v1, s7, v3
	v_add_u32_e32 v1, v3, v1
	v_lshrrev_b32_e32 v1, s5, v1
	s_addc_u32 s3, s3, 0
	v_mul_lo_u32 v5, v1, s6
	s_add_u32 s0, s0, 8
	v_sub_u32_e32 v5, v3, v5
	s_addc_u32 s1, s1, 0
	s_add_i32 s4, s4, -1
	v_mad_u64_u32 v[14:15], s[6:7], v5, s9, v[14:15]
	s_cmp_lg_u32 s4, 0
	v_mov_b32_e32 v3, v1
	v_mad_u64_u32 v[12:13], s[6:7], v5, s8, v[12:13]
	v_mov_b32_e32 v1, v14
	s_cbranch_scc1 .LBB471_70
.LBB471_71:
	s_cbranch_execnz .LBB471_74
.LBB471_72:
	s_load_dwordx4 s[0:3], s[34:35], 0x4
	s_load_dwordx2 s[4:5], s[34:35], 0xc4
	s_cmp_lt_u32 s33, 2
	s_waitcnt lgkmcnt(0)
	v_mul_hi_u32 v1, s1, v16
	v_add_u32_e32 v1, v16, v1
	v_lshrrev_b32_e32 v1, s2, v1
	v_mul_lo_u32 v3, v1, s0
	v_sub_u32_e32 v3, v16, v3
	v_mul_lo_u32 v14, v3, s5
	v_mul_lo_u32 v12, v3, s4
	s_cbranch_scc1 .LBB471_74
; %bb.73:
	s_load_dwordx4 s[0:3], s[34:35], 0x10
	s_load_dwordx2 s[4:5], s[34:35], 0xcc
	s_waitcnt lgkmcnt(0)
	v_mul_hi_u32 v3, s1, v1
	v_add_u32_e32 v3, v1, v3
	v_lshrrev_b32_e32 v3, s2, v3
	v_mul_lo_u32 v3, v3, s0
	v_sub_u32_e32 v1, v1, v3
	v_mad_u64_u32 v[12:13], s[0:1], v1, s4, v[12:13]
	v_mad_u64_u32 v[14:15], s[0:1], v1, s5, v[14:15]
.LBB471_74:
	s_load_dwordx4 s[0:3], s[34:35], 0x148
	s_load_dword s4, s[34:35], 0x158
	s_waitcnt lgkmcnt(0)
	global_load_dword v1, v2, s[2:3]
	global_load_dword v3, v6, s[2:3]
	;; [unrolled: 1-line block ×4, first 2 shown]
	v_max_f32_e64 v2, s4, s4
	s_waitcnt vmcnt(3)
	v_max_f32_e32 v6, v1, v1
	s_waitcnt vmcnt(2)
	v_max_f32_e32 v9, v3, v3
	v_min_f32_e32 v6, v6, v2
	v_cmp_u_f32_e32 vcc, v1, v1
	s_waitcnt vmcnt(1)
	v_max_f32_e32 v10, v5, v5
	v_min_f32_e32 v9, v9, v2
	v_cndmask_b32_e32 v1, v6, v1, vcc
	v_cmp_u_f32_e32 vcc, v3, v3
	s_waitcnt vmcnt(0)
	v_max_f32_e32 v11, v7, v7
	v_min_f32_e32 v10, v10, v2
	v_cndmask_b32_e32 v3, v9, v3, vcc
	v_cmp_u_f32_e32 vcc, v5, v5
	v_min_f32_e32 v2, v11, v2
	s_nop 0
	v_cndmask_b32_e32 v5, v10, v5, vcc
	v_cmp_u_f32_e32 vcc, v7, v7
	s_nop 1
	v_cndmask_b32_e32 v2, v2, v7, vcc
	global_store_dword v0, v1, s[0:1]
	global_store_dword v4, v3, s[0:1]
	;; [unrolled: 1-line block ×4, first 2 shown]
	s_endpgm
.LBB471_75:
	v_mov_b32_e32 v2, 0
	v_mov_b32_e32 v0, 0
	s_branch .LBB471_81
.LBB471_76:
	v_mov_b32_e32 v2, 0
	v_mov_b32_e32 v0, 0
	s_branch .LBB471_98
.LBB471_77:
	v_mov_b32_e32 v0, 0
	s_mov_b32 s58, 0
	v_mov_b32_e32 v1, v0
                                        ; implicit-def: $vgpr2
	v_mov_b32_e32 v4, v8
.LBB471_78:
	s_and_b32 s4, s59, 3
	s_cmp_eq_u32 s4, 0
	s_cbranch_scc1 .LBB471_81
; %bb.79:
	s_lshl_b32 s0, s58, 3
	s_add_u32 s0, s34, s0
	s_addc_u32 s1, s35, 0
	s_add_u32 s0, s0, 0xc4
	s_addc_u32 s1, s1, 0
	s_mul_i32 s2, s58, 12
	s_add_u32 s2, s34, s2
	s_addc_u32 s3, s35, 0
.LBB471_80:                             ; =>This Inner Loop Header: Depth=1
	s_load_dwordx2 s[6:7], s[2:3], 0x4
	s_load_dword s5, s[2:3], 0xc
	s_load_dwordx2 s[8:9], s[0:1], 0x0
	v_mov_b32_e32 v2, v1
	s_add_u32 s2, s2, 12
	s_waitcnt lgkmcnt(0)
	v_mul_hi_u32 v1, s7, v4
	v_add_u32_e32 v1, v4, v1
	v_lshrrev_b32_e32 v1, s5, v1
	s_addc_u32 s3, s3, 0
	v_mul_lo_u32 v3, v1, s6
	s_add_u32 s0, s0, 8
	v_sub_u32_e32 v5, v4, v3
	s_addc_u32 s1, s1, 0
	s_add_i32 s4, s4, -1
	v_mov_b32_e32 v4, v1
	v_mad_u64_u32 v[2:3], s[6:7], v5, s9, v[2:3]
	v_mad_u64_u32 v[0:1], s[6:7], v5, s8, v[0:1]
	s_cmp_lg_u32 s4, 0
	v_mov_b32_e32 v1, v2
	s_cbranch_scc1 .LBB471_80
.LBB471_81:
	s_cbranch_execnz .LBB471_84
.LBB471_82:
	s_waitcnt lgkmcnt(0)
	v_mul_hi_u32 v0, s25, v8
	v_add_u32_e32 v0, v8, v0
	v_lshrrev_b32_e32 v1, s26, v0
	v_mul_lo_u32 v0, v1, s24
	v_sub_u32_e32 v0, v8, v0
	v_mul_lo_u32 v2, v0, s21
	s_andn2_b64 vcc, exec, s[42:43]
	v_mul_lo_u32 v0, v0, s20
	s_cbranch_vccnz .LBB471_84
; %bb.83:
	v_mul_hi_u32 v3, s40, v1
	v_add_u32_e32 v3, v1, v3
	v_lshrrev_b32_e32 v3, s41, v3
	v_mul_lo_u32 v3, v3, s27
	v_sub_u32_e32 v3, v1, v3
	v_mad_u64_u32 v[0:1], s[0:1], v3, s22, v[0:1]
	v_mad_u64_u32 v[2:3], s[0:1], v3, s23, v[2:3]
.LBB471_84:
	s_waitcnt lgkmcnt(0)
	global_load_dword v1, v2, s[18:19]
	v_max_f32_e64 v2, s55, s55
	v_add_u32_e32 v8, 0x80, v8
	s_waitcnt vmcnt(0)
	v_max_f32_e32 v3, v1, v1
	v_min_f32_e32 v2, v3, v2
	v_cmp_u_f32_e32 vcc, v1, v1
	s_nop 1
	v_cndmask_b32_e32 v1, v2, v1, vcc
	global_store_dword v0, v1, s[16:17]
	s_or_b64 exec, exec, s[48:49]
	v_cmp_gt_i32_e32 vcc, s56, v8
	s_and_saveexec_b64 s[48:49], vcc
	s_cbranch_execnz .LBB471_16
.LBB471_85:
	s_or_b64 exec, exec, s[48:49]
	v_cmp_gt_i32_e32 vcc, s56, v8
	s_and_saveexec_b64 s[48:49], vcc
	s_cbranch_execz .LBB471_102
.LBB471_86:
	s_andn2_b64 vcc, exec, s[36:37]
	s_cbranch_vccnz .LBB471_92
; %bb.87:
	s_andn2_b64 vcc, exec, s[46:47]
	s_cbranch_vccnz .LBB471_93
; %bb.88:
	s_add_i32 s59, s57, 1
	s_cmp_eq_u32 s54, 2
	s_cbranch_scc1 .LBB471_105
; %bb.89:
	s_and_b32 s58, s59, 28
	s_mov_b32 s60, 0
	v_mov_b32_e32 v0, 0
	v_mov_b32_e32 v2, 0
	s_mov_b64 s[50:51], s[34:35]
	s_mov_b64 s[52:53], s[44:45]
	v_mov_b32_e32 v4, v8
.LBB471_90:                             ; =>This Inner Loop Header: Depth=1
	s_load_dwordx8 s[8:15], s[50:51], 0x4
	s_load_dwordx4 s[28:31], s[50:51], 0x24
	s_load_dwordx8 s[0:7], s[52:53], 0x0
	s_add_u32 s50, s50, 48
	s_addc_u32 s51, s51, 0
	s_waitcnt lgkmcnt(0)
	v_mul_hi_u32 v1, s9, v4
	v_add_u32_e32 v1, v4, v1
	v_lshrrev_b32_e32 v1, s10, v1
	v_mul_lo_u32 v3, v1, s8
	v_mul_hi_u32 v5, s12, v1
	v_sub_u32_e32 v3, v4, v3
	v_add_u32_e32 v4, v1, v5
	v_lshrrev_b32_e32 v4, s13, v4
	v_mul_lo_u32 v6, v4, s11
	v_mul_hi_u32 v7, s15, v4
	v_sub_u32_e32 v1, v1, v6
	v_add_u32_e32 v6, v4, v7
	v_mul_lo_u32 v5, v3, s1
	v_mul_lo_u32 v3, v3, s0
	;; [unrolled: 1-line block ×4, first 2 shown]
	v_lshrrev_b32_e32 v6, s28, v6
	v_add3_u32 v0, v3, v0, v1
	v_mul_hi_u32 v3, s30, v6
	v_add3_u32 v1, v5, v2, v7
	v_mul_lo_u32 v2, v6, s14
	v_add_u32_e32 v3, v6, v3
	v_sub_u32_e32 v2, v4, v2
	v_lshrrev_b32_e32 v4, s31, v3
	s_add_i32 s60, s60, 4
	v_mul_lo_u32 v3, v4, s29
	s_add_u32 s52, s52, 32
	v_sub_u32_e32 v3, v6, v3
	s_addc_u32 s53, s53, 0
	v_mul_lo_u32 v5, v2, s4
	v_mul_lo_u32 v2, v2, s5
	;; [unrolled: 1-line block ×4, first 2 shown]
	s_cmp_eq_u32 s58, s60
	v_add3_u32 v2, v2, v1, v3
	v_add3_u32 v0, v5, v0, v6
	s_cbranch_scc0 .LBB471_90
; %bb.91:
	v_mov_b32_e32 v1, v2
	s_branch .LBB471_106
.LBB471_92:
                                        ; implicit-def: $vgpr2
                                        ; implicit-def: $vgpr0
	s_branch .LBB471_110
.LBB471_93:
	v_mov_b32_e32 v2, 0
	v_mov_b32_e32 v0, 0
	s_branch .LBB471_109
.LBB471_94:
	v_mov_b32_e32 v0, 0
	s_mov_b32 s58, 0
	v_mov_b32_e32 v1, v0
                                        ; implicit-def: $vgpr2
	v_mov_b32_e32 v4, v8
.LBB471_95:
	s_and_b32 s4, s59, 3
	s_cmp_eq_u32 s4, 0
	s_cbranch_scc1 .LBB471_98
; %bb.96:
	s_lshl_b32 s0, s58, 3
	s_add_u32 s0, s34, s0
	s_addc_u32 s1, s35, 0
	s_add_u32 s0, s0, 0xc4
	s_addc_u32 s1, s1, 0
	s_mul_i32 s2, s58, 12
	s_add_u32 s2, s34, s2
	s_addc_u32 s3, s35, 0
.LBB471_97:                             ; =>This Inner Loop Header: Depth=1
	s_load_dwordx2 s[6:7], s[2:3], 0x4
	s_load_dword s5, s[2:3], 0xc
	s_load_dwordx2 s[8:9], s[0:1], 0x0
	v_mov_b32_e32 v2, v1
	s_add_u32 s2, s2, 12
	s_waitcnt lgkmcnt(0)
	v_mul_hi_u32 v1, s7, v4
	v_add_u32_e32 v1, v4, v1
	v_lshrrev_b32_e32 v1, s5, v1
	s_addc_u32 s3, s3, 0
	v_mul_lo_u32 v3, v1, s6
	s_add_u32 s0, s0, 8
	v_sub_u32_e32 v5, v4, v3
	s_addc_u32 s1, s1, 0
	s_add_i32 s4, s4, -1
	v_mov_b32_e32 v4, v1
	v_mad_u64_u32 v[2:3], s[6:7], v5, s9, v[2:3]
	v_mad_u64_u32 v[0:1], s[6:7], v5, s8, v[0:1]
	s_cmp_lg_u32 s4, 0
	v_mov_b32_e32 v1, v2
	s_cbranch_scc1 .LBB471_97
.LBB471_98:
	s_cbranch_execnz .LBB471_101
.LBB471_99:
	s_waitcnt lgkmcnt(0)
	v_mul_hi_u32 v0, s25, v8
	v_add_u32_e32 v0, v8, v0
	v_lshrrev_b32_e32 v1, s26, v0
	v_mul_lo_u32 v0, v1, s24
	v_sub_u32_e32 v0, v8, v0
	v_mul_lo_u32 v2, v0, s21
	s_andn2_b64 vcc, exec, s[42:43]
	v_mul_lo_u32 v0, v0, s20
	s_cbranch_vccnz .LBB471_101
; %bb.100:
	v_mul_hi_u32 v3, s40, v1
	v_add_u32_e32 v3, v1, v3
	v_lshrrev_b32_e32 v3, s41, v3
	v_mul_lo_u32 v3, v3, s27
	v_sub_u32_e32 v3, v1, v3
	v_mad_u64_u32 v[0:1], s[0:1], v3, s22, v[0:1]
	v_mad_u64_u32 v[2:3], s[0:1], v3, s23, v[2:3]
.LBB471_101:
	s_waitcnt lgkmcnt(0)
	global_load_dword v1, v2, s[18:19]
	v_max_f32_e64 v2, s55, s55
	v_add_u32_e32 v8, 0x80, v8
	s_waitcnt vmcnt(0)
	v_max_f32_e32 v3, v1, v1
	v_min_f32_e32 v2, v3, v2
	v_cmp_u_f32_e32 vcc, v1, v1
	s_nop 1
	v_cndmask_b32_e32 v1, v2, v1, vcc
	global_store_dword v0, v1, s[16:17]
	s_or_b64 exec, exec, s[48:49]
	v_cmp_gt_i32_e32 vcc, s56, v8
	s_and_saveexec_b64 s[48:49], vcc
	s_cbranch_execnz .LBB471_86
.LBB471_102:
	s_or_b64 exec, exec, s[48:49]
	v_cmp_gt_i32_e32 vcc, s56, v8
	s_and_saveexec_b64 s[48:49], vcc
	s_cbranch_execnz .LBB471_113
.LBB471_103:
	s_or_b64 exec, exec, s[48:49]
                                        ; implicit-def: $vgpr16
                                        ; implicit-def: $vgpr8
	s_andn2_saveexec_b64 s[0:1], s[38:39]
	s_cbranch_execnz .LBB471_9
.LBB471_104:
	s_endpgm
.LBB471_105:
	v_mov_b32_e32 v0, 0
	s_mov_b32 s58, 0
	v_mov_b32_e32 v1, v0
                                        ; implicit-def: $vgpr2
	v_mov_b32_e32 v4, v8
.LBB471_106:
	s_and_b32 s4, s59, 3
	s_cmp_eq_u32 s4, 0
	s_cbranch_scc1 .LBB471_109
; %bb.107:
	s_lshl_b32 s0, s58, 3
	s_add_u32 s0, s34, s0
	s_addc_u32 s1, s35, 0
	s_add_u32 s0, s0, 0xc4
	s_addc_u32 s1, s1, 0
	s_mul_i32 s2, s58, 12
	s_add_u32 s2, s34, s2
	s_addc_u32 s3, s35, 0
.LBB471_108:                            ; =>This Inner Loop Header: Depth=1
	s_load_dwordx2 s[6:7], s[2:3], 0x4
	s_load_dword s5, s[2:3], 0xc
	s_load_dwordx2 s[8:9], s[0:1], 0x0
	v_mov_b32_e32 v2, v1
	s_add_u32 s2, s2, 12
	s_waitcnt lgkmcnt(0)
	v_mul_hi_u32 v1, s7, v4
	v_add_u32_e32 v1, v4, v1
	v_lshrrev_b32_e32 v1, s5, v1
	s_addc_u32 s3, s3, 0
	v_mul_lo_u32 v3, v1, s6
	s_add_u32 s0, s0, 8
	v_sub_u32_e32 v5, v4, v3
	s_addc_u32 s1, s1, 0
	s_add_i32 s4, s4, -1
	v_mov_b32_e32 v4, v1
	v_mad_u64_u32 v[2:3], s[6:7], v5, s9, v[2:3]
	v_mad_u64_u32 v[0:1], s[6:7], v5, s8, v[0:1]
	s_cmp_lg_u32 s4, 0
	v_mov_b32_e32 v1, v2
	s_cbranch_scc1 .LBB471_108
.LBB471_109:
	s_cbranch_execnz .LBB471_112
.LBB471_110:
	s_waitcnt lgkmcnt(0)
	v_mul_hi_u32 v0, s25, v8
	v_add_u32_e32 v0, v8, v0
	v_lshrrev_b32_e32 v1, s26, v0
	v_mul_lo_u32 v0, v1, s24
	v_sub_u32_e32 v0, v8, v0
	v_mul_lo_u32 v2, v0, s21
	s_andn2_b64 vcc, exec, s[42:43]
	v_mul_lo_u32 v0, v0, s20
	s_cbranch_vccnz .LBB471_112
; %bb.111:
	v_mul_hi_u32 v3, s40, v1
	v_add_u32_e32 v3, v1, v3
	v_lshrrev_b32_e32 v3, s41, v3
	v_mul_lo_u32 v3, v3, s27
	v_sub_u32_e32 v3, v1, v3
	v_mad_u64_u32 v[0:1], s[0:1], v3, s22, v[0:1]
	v_mad_u64_u32 v[2:3], s[0:1], v3, s23, v[2:3]
.LBB471_112:
	s_waitcnt lgkmcnt(0)
	global_load_dword v1, v2, s[18:19]
	v_max_f32_e64 v2, s55, s55
	v_add_u32_e32 v8, 0x80, v8
	s_waitcnt vmcnt(0)
	v_max_f32_e32 v3, v1, v1
	v_min_f32_e32 v2, v3, v2
	v_cmp_u_f32_e32 vcc, v1, v1
	s_nop 1
	v_cndmask_b32_e32 v1, v2, v1, vcc
	global_store_dword v0, v1, s[16:17]
	s_or_b64 exec, exec, s[48:49]
	v_cmp_gt_i32_e32 vcc, s56, v8
	s_and_saveexec_b64 s[48:49], vcc
	s_cbranch_execz .LBB471_103
.LBB471_113:
	s_andn2_b64 vcc, exec, s[36:37]
	s_cbranch_vccnz .LBB471_119
; %bb.114:
	s_andn2_b64 vcc, exec, s[46:47]
	s_cbranch_vccnz .LBB471_120
; %bb.115:
	s_add_i32 s57, s57, 1
	s_cmp_eq_u32 s54, 2
	s_cbranch_scc1 .LBB471_121
; %bb.116:
	s_and_b32 s50, s57, 28
	s_mov_b32 s51, 0
	v_mov_b32_e32 v0, 0
	v_mov_b32_e32 v2, 0
	s_mov_b64 s[46:47], s[34:35]
	v_mov_b32_e32 v4, v8
.LBB471_117:                            ; =>This Inner Loop Header: Depth=1
	s_load_dwordx8 s[8:15], s[46:47], 0x4
	s_load_dwordx4 s[28:31], s[46:47], 0x24
	s_load_dwordx8 s[0:7], s[44:45], 0x0
	s_add_u32 s46, s46, 48
	s_addc_u32 s47, s47, 0
	s_waitcnt lgkmcnt(0)
	v_mul_hi_u32 v1, s9, v4
	v_add_u32_e32 v1, v4, v1
	v_lshrrev_b32_e32 v1, s10, v1
	v_mul_lo_u32 v3, v1, s8
	v_mul_hi_u32 v5, s12, v1
	v_sub_u32_e32 v3, v4, v3
	v_add_u32_e32 v4, v1, v5
	v_lshrrev_b32_e32 v4, s13, v4
	v_mul_lo_u32 v6, v4, s11
	v_mul_hi_u32 v7, s15, v4
	v_sub_u32_e32 v1, v1, v6
	v_add_u32_e32 v6, v4, v7
	v_mul_lo_u32 v5, v3, s1
	v_mul_lo_u32 v3, v3, s0
	;; [unrolled: 1-line block ×4, first 2 shown]
	v_lshrrev_b32_e32 v6, s28, v6
	v_add3_u32 v0, v3, v0, v1
	v_mul_hi_u32 v3, s30, v6
	v_add3_u32 v1, v5, v2, v7
	v_mul_lo_u32 v2, v6, s14
	v_add_u32_e32 v3, v6, v3
	v_sub_u32_e32 v2, v4, v2
	v_lshrrev_b32_e32 v4, s31, v3
	s_add_i32 s51, s51, 4
	v_mul_lo_u32 v3, v4, s29
	s_add_u32 s44, s44, 32
	v_sub_u32_e32 v3, v6, v3
	s_addc_u32 s45, s45, 0
	v_mul_lo_u32 v5, v2, s4
	v_mul_lo_u32 v2, v2, s5
	;; [unrolled: 1-line block ×4, first 2 shown]
	s_cmp_eq_u32 s50, s51
	v_add3_u32 v2, v2, v1, v3
	v_add3_u32 v0, v5, v0, v6
	s_cbranch_scc0 .LBB471_117
; %bb.118:
	v_mov_b32_e32 v1, v2
	s_branch .LBB471_122
.LBB471_119:
                                        ; implicit-def: $vgpr2
                                        ; implicit-def: $vgpr0
	s_branch .LBB471_126
.LBB471_120:
	v_mov_b32_e32 v2, 0
	v_mov_b32_e32 v0, 0
	s_branch .LBB471_125
.LBB471_121:
	v_mov_b32_e32 v0, 0
	s_mov_b32 s50, 0
	v_mov_b32_e32 v1, v0
                                        ; implicit-def: $vgpr2
	v_mov_b32_e32 v4, v8
.LBB471_122:
	s_and_b32 s4, s57, 3
	s_cmp_eq_u32 s4, 0
	s_cbranch_scc1 .LBB471_125
; %bb.123:
	s_lshl_b32 s0, s50, 3
	s_add_u32 s0, s34, s0
	s_addc_u32 s1, s35, 0
	s_add_u32 s0, s0, 0xc4
	s_addc_u32 s1, s1, 0
	s_mul_i32 s2, s50, 12
	s_add_u32 s2, s34, s2
	s_addc_u32 s3, s35, 0
.LBB471_124:                            ; =>This Inner Loop Header: Depth=1
	s_load_dwordx2 s[6:7], s[2:3], 0x4
	s_load_dword s5, s[2:3], 0xc
	s_load_dwordx2 s[8:9], s[0:1], 0x0
	v_mov_b32_e32 v2, v1
	s_add_u32 s2, s2, 12
	s_waitcnt lgkmcnt(0)
	v_mul_hi_u32 v1, s7, v4
	v_add_u32_e32 v1, v4, v1
	v_lshrrev_b32_e32 v1, s5, v1
	s_addc_u32 s3, s3, 0
	v_mul_lo_u32 v3, v1, s6
	s_add_u32 s0, s0, 8
	v_sub_u32_e32 v5, v4, v3
	s_addc_u32 s1, s1, 0
	s_add_i32 s4, s4, -1
	v_mov_b32_e32 v4, v1
	v_mad_u64_u32 v[2:3], s[6:7], v5, s9, v[2:3]
	v_mad_u64_u32 v[0:1], s[6:7], v5, s8, v[0:1]
	s_cmp_lg_u32 s4, 0
	v_mov_b32_e32 v1, v2
	s_cbranch_scc1 .LBB471_124
.LBB471_125:
	s_cbranch_execnz .LBB471_128
.LBB471_126:
	s_waitcnt lgkmcnt(0)
	v_mul_hi_u32 v0, s25, v8
	v_add_u32_e32 v0, v8, v0
	v_lshrrev_b32_e32 v1, s26, v0
	v_mul_lo_u32 v0, v1, s24
	v_sub_u32_e32 v0, v8, v0
	v_mul_lo_u32 v2, v0, s21
	s_andn2_b64 vcc, exec, s[42:43]
	v_mul_lo_u32 v0, v0, s20
	s_cbranch_vccnz .LBB471_128
; %bb.127:
	v_mul_hi_u32 v3, s40, v1
	v_add_u32_e32 v3, v1, v3
	v_lshrrev_b32_e32 v3, s41, v3
	v_mul_lo_u32 v3, v3, s27
	v_sub_u32_e32 v3, v1, v3
	v_mad_u64_u32 v[0:1], s[0:1], v3, s22, v[0:1]
	v_mad_u64_u32 v[2:3], s[0:1], v3, s23, v[2:3]
.LBB471_128:
	s_waitcnt lgkmcnt(0)
	global_load_dword v1, v2, s[18:19]
	v_max_f32_e64 v2, s55, s55
	s_waitcnt vmcnt(0)
	v_max_f32_e32 v3, v1, v1
	v_min_f32_e32 v2, v3, v2
	v_cmp_u_f32_e32 vcc, v1, v1
	s_nop 1
	v_cndmask_b32_e32 v1, v2, v1, vcc
	global_store_dword v0, v1, s[16:17]
	s_or_b64 exec, exec, s[48:49]
                                        ; implicit-def: $vgpr16
                                        ; implicit-def: $vgpr8
	s_andn2_saveexec_b64 s[0:1], s[38:39]
	s_cbranch_execz .LBB471_104
	s_branch .LBB471_9
	.section	.rodata,"a",@progbits
	.p2align	6, 0x0
	.amdhsa_kernel _ZN2at6native32elementwise_kernel_manual_unrollILi128ELi4EZNS0_22gpu_kernel_impl_nocastIZZZNS0_21clamp_max_kernel_cudaERNS_18TensorIteratorBaseERKN3c106ScalarEENKUlvE_clEvENKUlvE5_clEvEUlfE_EEvS4_RKT_EUlibE_EEviT1_
		.amdhsa_group_segment_fixed_size 0
		.amdhsa_private_segment_fixed_size 0
		.amdhsa_kernarg_size 360
		.amdhsa_user_sgpr_count 2
		.amdhsa_user_sgpr_dispatch_ptr 0
		.amdhsa_user_sgpr_queue_ptr 0
		.amdhsa_user_sgpr_kernarg_segment_ptr 1
		.amdhsa_user_sgpr_dispatch_id 0
		.amdhsa_user_sgpr_kernarg_preload_length 0
		.amdhsa_user_sgpr_kernarg_preload_offset 0
		.amdhsa_user_sgpr_private_segment_size 0
		.amdhsa_uses_dynamic_stack 0
		.amdhsa_enable_private_segment 0
		.amdhsa_system_sgpr_workgroup_id_x 1
		.amdhsa_system_sgpr_workgroup_id_y 0
		.amdhsa_system_sgpr_workgroup_id_z 0
		.amdhsa_system_sgpr_workgroup_info 0
		.amdhsa_system_vgpr_workitem_id 0
		.amdhsa_next_free_vgpr 17
		.amdhsa_next_free_sgpr 61
		.amdhsa_accum_offset 20
		.amdhsa_reserve_vcc 1
		.amdhsa_float_round_mode_32 0
		.amdhsa_float_round_mode_16_64 0
		.amdhsa_float_denorm_mode_32 3
		.amdhsa_float_denorm_mode_16_64 3
		.amdhsa_dx10_clamp 1
		.amdhsa_ieee_mode 1
		.amdhsa_fp16_overflow 0
		.amdhsa_tg_split 0
		.amdhsa_exception_fp_ieee_invalid_op 0
		.amdhsa_exception_fp_denorm_src 0
		.amdhsa_exception_fp_ieee_div_zero 0
		.amdhsa_exception_fp_ieee_overflow 0
		.amdhsa_exception_fp_ieee_underflow 0
		.amdhsa_exception_fp_ieee_inexact 0
		.amdhsa_exception_int_div_zero 0
	.end_amdhsa_kernel
	.section	.text._ZN2at6native32elementwise_kernel_manual_unrollILi128ELi4EZNS0_22gpu_kernel_impl_nocastIZZZNS0_21clamp_max_kernel_cudaERNS_18TensorIteratorBaseERKN3c106ScalarEENKUlvE_clEvENKUlvE5_clEvEUlfE_EEvS4_RKT_EUlibE_EEviT1_,"axG",@progbits,_ZN2at6native32elementwise_kernel_manual_unrollILi128ELi4EZNS0_22gpu_kernel_impl_nocastIZZZNS0_21clamp_max_kernel_cudaERNS_18TensorIteratorBaseERKN3c106ScalarEENKUlvE_clEvENKUlvE5_clEvEUlfE_EEvS4_RKT_EUlibE_EEviT1_,comdat
.Lfunc_end471:
	.size	_ZN2at6native32elementwise_kernel_manual_unrollILi128ELi4EZNS0_22gpu_kernel_impl_nocastIZZZNS0_21clamp_max_kernel_cudaERNS_18TensorIteratorBaseERKN3c106ScalarEENKUlvE_clEvENKUlvE5_clEvEUlfE_EEvS4_RKT_EUlibE_EEviT1_, .Lfunc_end471-_ZN2at6native32elementwise_kernel_manual_unrollILi128ELi4EZNS0_22gpu_kernel_impl_nocastIZZZNS0_21clamp_max_kernel_cudaERNS_18TensorIteratorBaseERKN3c106ScalarEENKUlvE_clEvENKUlvE5_clEvEUlfE_EEvS4_RKT_EUlibE_EEviT1_
                                        ; -- End function
	.set _ZN2at6native32elementwise_kernel_manual_unrollILi128ELi4EZNS0_22gpu_kernel_impl_nocastIZZZNS0_21clamp_max_kernel_cudaERNS_18TensorIteratorBaseERKN3c106ScalarEENKUlvE_clEvENKUlvE5_clEvEUlfE_EEvS4_RKT_EUlibE_EEviT1_.num_vgpr, 17
	.set _ZN2at6native32elementwise_kernel_manual_unrollILi128ELi4EZNS0_22gpu_kernel_impl_nocastIZZZNS0_21clamp_max_kernel_cudaERNS_18TensorIteratorBaseERKN3c106ScalarEENKUlvE_clEvENKUlvE5_clEvEUlfE_EEvS4_RKT_EUlibE_EEviT1_.num_agpr, 0
	.set _ZN2at6native32elementwise_kernel_manual_unrollILi128ELi4EZNS0_22gpu_kernel_impl_nocastIZZZNS0_21clamp_max_kernel_cudaERNS_18TensorIteratorBaseERKN3c106ScalarEENKUlvE_clEvENKUlvE5_clEvEUlfE_EEvS4_RKT_EUlibE_EEviT1_.numbered_sgpr, 61
	.set _ZN2at6native32elementwise_kernel_manual_unrollILi128ELi4EZNS0_22gpu_kernel_impl_nocastIZZZNS0_21clamp_max_kernel_cudaERNS_18TensorIteratorBaseERKN3c106ScalarEENKUlvE_clEvENKUlvE5_clEvEUlfE_EEvS4_RKT_EUlibE_EEviT1_.num_named_barrier, 0
	.set _ZN2at6native32elementwise_kernel_manual_unrollILi128ELi4EZNS0_22gpu_kernel_impl_nocastIZZZNS0_21clamp_max_kernel_cudaERNS_18TensorIteratorBaseERKN3c106ScalarEENKUlvE_clEvENKUlvE5_clEvEUlfE_EEvS4_RKT_EUlibE_EEviT1_.private_seg_size, 0
	.set _ZN2at6native32elementwise_kernel_manual_unrollILi128ELi4EZNS0_22gpu_kernel_impl_nocastIZZZNS0_21clamp_max_kernel_cudaERNS_18TensorIteratorBaseERKN3c106ScalarEENKUlvE_clEvENKUlvE5_clEvEUlfE_EEvS4_RKT_EUlibE_EEviT1_.uses_vcc, 1
	.set _ZN2at6native32elementwise_kernel_manual_unrollILi128ELi4EZNS0_22gpu_kernel_impl_nocastIZZZNS0_21clamp_max_kernel_cudaERNS_18TensorIteratorBaseERKN3c106ScalarEENKUlvE_clEvENKUlvE5_clEvEUlfE_EEvS4_RKT_EUlibE_EEviT1_.uses_flat_scratch, 0
	.set _ZN2at6native32elementwise_kernel_manual_unrollILi128ELi4EZNS0_22gpu_kernel_impl_nocastIZZZNS0_21clamp_max_kernel_cudaERNS_18TensorIteratorBaseERKN3c106ScalarEENKUlvE_clEvENKUlvE5_clEvEUlfE_EEvS4_RKT_EUlibE_EEviT1_.has_dyn_sized_stack, 0
	.set _ZN2at6native32elementwise_kernel_manual_unrollILi128ELi4EZNS0_22gpu_kernel_impl_nocastIZZZNS0_21clamp_max_kernel_cudaERNS_18TensorIteratorBaseERKN3c106ScalarEENKUlvE_clEvENKUlvE5_clEvEUlfE_EEvS4_RKT_EUlibE_EEviT1_.has_recursion, 0
	.set _ZN2at6native32elementwise_kernel_manual_unrollILi128ELi4EZNS0_22gpu_kernel_impl_nocastIZZZNS0_21clamp_max_kernel_cudaERNS_18TensorIteratorBaseERKN3c106ScalarEENKUlvE_clEvENKUlvE5_clEvEUlfE_EEvS4_RKT_EUlibE_EEviT1_.has_indirect_call, 0
	.section	.AMDGPU.csdata,"",@progbits
; Kernel info:
; codeLenInByte = 5984
; TotalNumSgprs: 67
; NumVgprs: 17
; NumAgprs: 0
; TotalNumVgprs: 17
; ScratchSize: 0
; MemoryBound: 0
; FloatMode: 240
; IeeeMode: 1
; LDSByteSize: 0 bytes/workgroup (compile time only)
; SGPRBlocks: 8
; VGPRBlocks: 2
; NumSGPRsForWavesPerEU: 67
; NumVGPRsForWavesPerEU: 17
; AccumOffset: 20
; Occupancy: 8
; WaveLimiterHint : 1
; COMPUTE_PGM_RSRC2:SCRATCH_EN: 0
; COMPUTE_PGM_RSRC2:USER_SGPR: 2
; COMPUTE_PGM_RSRC2:TRAP_HANDLER: 0
; COMPUTE_PGM_RSRC2:TGID_X_EN: 1
; COMPUTE_PGM_RSRC2:TGID_Y_EN: 0
; COMPUTE_PGM_RSRC2:TGID_Z_EN: 0
; COMPUTE_PGM_RSRC2:TIDIG_COMP_CNT: 0
; COMPUTE_PGM_RSRC3_GFX90A:ACCUM_OFFSET: 4
; COMPUTE_PGM_RSRC3_GFX90A:TG_SPLIT: 0
	.section	.text._ZN2at6native32elementwise_kernel_manual_unrollILi128ELi4EZNS0_15gpu_kernel_implIZZZNS0_21clamp_max_kernel_cudaERNS_18TensorIteratorBaseERKN3c106ScalarEENKUlvE_clEvENKUlvE5_clEvEUlfE_EEvS4_RKT_EUlibE_EEviT1_,"axG",@progbits,_ZN2at6native32elementwise_kernel_manual_unrollILi128ELi4EZNS0_15gpu_kernel_implIZZZNS0_21clamp_max_kernel_cudaERNS_18TensorIteratorBaseERKN3c106ScalarEENKUlvE_clEvENKUlvE5_clEvEUlfE_EEvS4_RKT_EUlibE_EEviT1_,comdat
	.globl	_ZN2at6native32elementwise_kernel_manual_unrollILi128ELi4EZNS0_15gpu_kernel_implIZZZNS0_21clamp_max_kernel_cudaERNS_18TensorIteratorBaseERKN3c106ScalarEENKUlvE_clEvENKUlvE5_clEvEUlfE_EEvS4_RKT_EUlibE_EEviT1_ ; -- Begin function _ZN2at6native32elementwise_kernel_manual_unrollILi128ELi4EZNS0_15gpu_kernel_implIZZZNS0_21clamp_max_kernel_cudaERNS_18TensorIteratorBaseERKN3c106ScalarEENKUlvE_clEvENKUlvE5_clEvEUlfE_EEvS4_RKT_EUlibE_EEviT1_
	.p2align	8
	.type	_ZN2at6native32elementwise_kernel_manual_unrollILi128ELi4EZNS0_15gpu_kernel_implIZZZNS0_21clamp_max_kernel_cudaERNS_18TensorIteratorBaseERKN3c106ScalarEENKUlvE_clEvENKUlvE5_clEvEUlfE_EEvS4_RKT_EUlibE_EEviT1_,@function
_ZN2at6native32elementwise_kernel_manual_unrollILi128ELi4EZNS0_15gpu_kernel_implIZZZNS0_21clamp_max_kernel_cudaERNS_18TensorIteratorBaseERKN3c106ScalarEENKUlvE_clEvENKUlvE5_clEvEUlfE_EEvS4_RKT_EUlibE_EEviT1_: ; @_ZN2at6native32elementwise_kernel_manual_unrollILi128ELi4EZNS0_15gpu_kernel_implIZZZNS0_21clamp_max_kernel_cudaERNS_18TensorIteratorBaseERKN3c106ScalarEENKUlvE_clEvENKUlvE5_clEvEUlfE_EEvS4_RKT_EUlibE_EEviT1_
; %bb.0:
	s_load_dword s33, s[0:1], 0x24
	s_load_dword s40, s[0:1], 0x0
	s_load_dwordx8 s[4:11], s[0:1], 0x8
	v_lshl_or_b32 v5, s2, 9, v0
	v_or_b32_e32 v0, 0x180, v5
	s_waitcnt lgkmcnt(0)
	s_bfe_u32 s11, s33, 0x80008
	v_cmp_le_i32_e32 vcc, s40, v0
	s_mov_b64 s[2:3], 0
	s_mov_b64 s[14:15], 0
	s_and_saveexec_b64 s[0:1], vcc
	s_xor_b64 s[12:13], exec, s[0:1]
	s_cbranch_execz .LBB472_1027
; %bb.1:
	v_cmp_gt_i32_e32 vcc, s40, v5
	s_mov_b64 s[20:21], -1
	s_mov_b64 s[22:23], 0
	s_mov_b64 s[16:17], 0
	s_and_saveexec_b64 s[18:19], vcc
	s_cbranch_execz .LBB472_252
; %bb.2:
	v_mul_lo_u32 v0, v5, s9
	v_ashrrev_i32_e32 v1, 31, v0
	s_and_b32 s24, 0xffff, s11
	s_cmp_lt_i32 s24, 11
	v_lshl_add_u64 v[0:1], s[6:7], 0, v[0:1]
	s_cbranch_scc1 .LBB472_9
; %bb.3:
	s_cmp_gt_i32 s24, 25
	s_cbranch_scc0 .LBB472_18
; %bb.4:
	s_cmp_gt_i32 s24, 28
	s_cbranch_scc0 .LBB472_22
	;; [unrolled: 3-line block ×4, first 2 shown]
; %bb.7:
	s_cmp_eq_u32 s24, 46
	s_cbranch_scc0 .LBB472_28
; %bb.8:
	global_load_dword v2, v[0:1], off
	s_mov_b64 s[0:1], -1
	s_waitcnt vmcnt(0)
	v_lshlrev_b32_e32 v2, 16, v2
	s_branch .LBB472_30
.LBB472_9:
                                        ; implicit-def: $vgpr2
	s_mov_b64 s[0:1], 0
	s_cbranch_execnz .LBB472_203
.LBB472_10:
	s_andn2_b64 vcc, exec, s[0:1]
	s_cbranch_vccnz .LBB472_250
.LBB472_11:
	v_max_f32_e64 v0, s10, s10
	s_waitcnt vmcnt(0)
	v_max_f32_e32 v1, v2, v2
	v_min_f32_e32 v0, v1, v0
	v_cmp_u_f32_e32 vcc, v2, v2
	s_and_b32 s26, s33, 0xff
	s_cmp_lt_i32 s26, 11
	v_cndmask_b32_e32 v2, v0, v2, vcc
	v_mul_lo_u32 v0, v5, s8
	v_ashrrev_i32_e32 v1, 31, v0
	v_lshl_add_u64 v[0:1], s[4:5], 0, v[0:1]
	s_cbranch_scc1 .LBB472_19
; %bb.12:
	s_and_b32 s27, 0xffff, s26
	s_cmp_gt_i32 s27, 25
	s_cbranch_scc0 .LBB472_23
; %bb.13:
	s_cmp_gt_i32 s27, 28
	s_cbranch_scc0 .LBB472_25
; %bb.14:
	;; [unrolled: 3-line block ×4, first 2 shown]
	s_mov_b64 s[20:21], 0
	s_mov_b64 s[0:1], -1
	s_cmp_eq_u32 s27, 46
	s_mov_b64 s[14:15], 0
	s_cbranch_scc0 .LBB472_34
; %bb.17:
	v_bfe_u32 v3, v2, 16, 1
	s_movk_i32 s0, 0x7fff
	v_add3_u32 v3, v2, v3, s0
	v_cmp_o_f32_e32 vcc, v2, v2
	v_mov_b32_e32 v4, 0x7fc0
	s_mov_b64 s[14:15], -1
	v_cndmask_b32_sdwa v3, v4, v3, vcc dst_sel:DWORD dst_unused:UNUSED_PAD src0_sel:DWORD src1_sel:WORD_1
	global_store_dword v[0:1], v3, off
	s_mov_b64 s[0:1], 0
	s_branch .LBB472_34
.LBB472_18:
	s_mov_b64 s[0:1], 0
                                        ; implicit-def: $vgpr2
	s_cbranch_execnz .LBB472_168
	s_branch .LBB472_202
.LBB472_19:
	s_mov_b64 s[0:1], 0
	s_mov_b64 s[14:15], 0
	s_cbranch_execnz .LBB472_103
.LBB472_20:
	s_andn2_b64 vcc, exec, s[14:15]
	s_cbranch_vccnz .LBB472_141
.LBB472_21:
	v_add_u32_e32 v5, 0x80, v5
	s_mov_b64 s[20:21], -1
	s_branch .LBB472_251
.LBB472_22:
	s_mov_b64 s[14:15], -1
	s_mov_b64 s[0:1], 0
                                        ; implicit-def: $vgpr2
	s_branch .LBB472_149
.LBB472_23:
	s_mov_b64 s[20:21], -1
	s_mov_b64 s[0:1], 0
	s_mov_b64 s[14:15], 0
	s_branch .LBB472_61
.LBB472_24:
	s_mov_b64 s[14:15], -1
	s_mov_b64 s[0:1], 0
                                        ; implicit-def: $vgpr2
	s_branch .LBB472_144
.LBB472_25:
	s_mov_b64 s[20:21], -1
	s_mov_b64 s[0:1], 0
	s_mov_b64 s[14:15], 0
	s_branch .LBB472_44
.LBB472_26:
	s_mov_b64 s[14:15], -1
	s_branch .LBB472_29
.LBB472_27:
	s_mov_b64 s[20:21], -1
	s_mov_b64 s[0:1], 0
	s_mov_b64 s[14:15], 0
	s_branch .LBB472_40
.LBB472_28:
	s_mov_b64 s[16:17], -1
.LBB472_29:
	s_mov_b64 s[0:1], 0
                                        ; implicit-def: $vgpr2
.LBB472_30:
	s_and_b64 vcc, exec, s[14:15]
	s_cbranch_vccz .LBB472_143
; %bb.31:
	s_cmp_eq_u32 s24, 44
	s_cbranch_scc0 .LBB472_142
; %bb.32:
	global_load_ubyte v2, v[0:1], off
	s_movk_i32 s14, 0xff
	v_mov_b32_e32 v3, 0x7f800001
	v_mov_b32_e32 v4, 0x400000
	s_mov_b64 s[0:1], -1
	s_mov_b64 s[16:17], 0
	s_waitcnt vmcnt(0)
	v_lshlrev_b32_e32 v6, 23, v2
	v_cmp_ne_u32_e32 vcc, s14, v2
	s_nop 1
	v_cndmask_b32_e32 v3, v3, v6, vcc
	v_cmp_ne_u32_e32 vcc, 0, v2
	s_nop 1
	v_cndmask_b32_e32 v2, v4, v3, vcc
	s_branch .LBB472_143
.LBB472_33:
	s_mov_b64 s[20:21], -1
	s_mov_b64 s[0:1], 0
	s_mov_b64 s[14:15], 0
.LBB472_34:
	s_and_b64 vcc, exec, s[20:21]
	s_cbranch_vccz .LBB472_39
; %bb.35:
	s_cmp_eq_u32 s27, 44
	s_mov_b64 s[0:1], -1
	s_cbranch_scc0 .LBB472_39
; %bb.36:
	v_bfe_u32 v3, v2, 23, 8
	s_movk_i32 s0, 0xff
	v_cmp_ne_u32_e32 vcc, s0, v3
	v_mov_b32_e32 v4, 0xff
	s_and_saveexec_b64 s[14:15], vcc
; %bb.37:
	s_mov_b32 s0, 0x3fffff
	v_and_b32_e32 v6, 0x400000, v2
	v_and_or_b32 v3, v2, s0, v3
	v_cmp_ne_u32_e32 vcc, 0, v6
	v_cmp_ne_u32_e64 s[0:1], 0, v3
	s_and_b64 s[0:1], vcc, s[0:1]
	v_lshrrev_b32_e32 v4, 23, v2
	v_cndmask_b32_e64 v3, 0, 1, s[0:1]
	v_add_u32_e32 v4, v4, v3
; %bb.38:
	s_or_b64 exec, exec, s[14:15]
	s_mov_b64 s[14:15], -1
	s_mov_b64 s[0:1], 0
	global_store_byte v[0:1], v4, off
.LBB472_39:
	s_mov_b64 s[20:21], 0
.LBB472_40:
	s_and_b64 vcc, exec, s[20:21]
	s_cbranch_vccz .LBB472_43
; %bb.41:
	s_cmp_eq_u32 s27, 29
	s_mov_b64 s[0:1], -1
	s_cbranch_scc0 .LBB472_43
; %bb.42:
	v_trunc_f32_e32 v3, v2
	v_mul_f32_e32 v4, 0x2f800000, v3
	v_floor_f32_e32 v4, v4
	v_fmamk_f32 v3, v4, 0xcf800000, v3
	v_cvt_u32_f32_e32 v7, v4
	v_cvt_u32_f32_e32 v6, v3
	s_mov_b64 s[14:15], -1
	s_mov_b64 s[0:1], 0
	s_mov_b64 s[20:21], 0
	global_store_dwordx2 v[0:1], v[6:7], off
	s_branch .LBB472_44
.LBB472_43:
	s_mov_b64 s[20:21], 0
.LBB472_44:
	s_and_b64 vcc, exec, s[20:21]
	s_cbranch_vccz .LBB472_60
; %bb.45:
	s_cmp_lt_i32 s27, 27
	s_mov_b64 s[14:15], -1
	s_cbranch_scc1 .LBB472_51
; %bb.46:
	v_cvt_u32_f32_e32 v3, v2
	s_cmp_gt_i32 s27, 27
	s_cbranch_scc0 .LBB472_48
; %bb.47:
	s_mov_b64 s[14:15], 0
	global_store_dword v[0:1], v3, off
.LBB472_48:
	s_andn2_b64 vcc, exec, s[14:15]
	s_cbranch_vccnz .LBB472_50
; %bb.49:
	global_store_short v[0:1], v3, off
.LBB472_50:
	s_mov_b64 s[14:15], 0
.LBB472_51:
	s_andn2_b64 vcc, exec, s[14:15]
	s_cbranch_vccnz .LBB472_59
; %bb.52:
	v_and_b32_e32 v3, 0x7fffffff, v2
	s_mov_b32 s14, 0x43800000
	v_cmp_gt_u32_e32 vcc, s14, v3
	v_mov_b32_e32 v4, 0x80
	s_and_saveexec_b64 s[14:15], vcc
	s_cbranch_execz .LBB472_58
; %bb.53:
	s_mov_b32 s20, 0x3bffffff
	v_cmp_lt_u32_e32 vcc, s20, v3
	s_mov_b64 s[20:21], 0
                                        ; implicit-def: $vgpr3
	s_and_saveexec_b64 s[24:25], vcc
	s_xor_b64 s[24:25], exec, s[24:25]
	s_cbranch_execz .LBB472_279
; %bb.54:
	v_bfe_u32 v3, v2, 20, 1
	s_mov_b32 s28, 0x487ffff
	v_add3_u32 v3, v2, v3, s28
	s_mov_b64 s[20:21], exec
	v_lshrrev_b32_e32 v3, 20, v3
	s_andn2_saveexec_b64 s[24:25], s[24:25]
	s_cbranch_execnz .LBB472_280
.LBB472_55:
	s_or_b64 exec, exec, s[24:25]
	v_mov_b32_e32 v4, 0
	s_and_saveexec_b64 s[24:25], s[20:21]
.LBB472_56:
	v_lshrrev_b32_e32 v4, 24, v2
	s_movk_i32 s20, 0x80
	v_and_or_b32 v4, v4, s20, v3
.LBB472_57:
	s_or_b64 exec, exec, s[24:25]
.LBB472_58:
	s_or_b64 exec, exec, s[14:15]
	global_store_byte v[0:1], v4, off
.LBB472_59:
	s_mov_b64 s[14:15], -1
.LBB472_60:
	s_mov_b64 s[20:21], 0
.LBB472_61:
	s_and_b64 vcc, exec, s[20:21]
	s_cbranch_vccz .LBB472_102
; %bb.62:
	s_cmp_gt_i32 s27, 22
	s_mov_b64 s[20:21], -1
	s_cbranch_scc0 .LBB472_94
; %bb.63:
	s_cmp_lt_i32 s27, 24
	s_mov_b64 s[14:15], -1
	s_cbranch_scc1 .LBB472_83
; %bb.64:
	s_cmp_gt_i32 s27, 24
	s_cbranch_scc0 .LBB472_72
; %bb.65:
	v_and_b32_e32 v3, 0x7fffffff, v2
	s_mov_b32 s14, 0x47800000
	v_cmp_gt_u32_e32 vcc, s14, v3
	v_mov_b32_e32 v4, 0x80
	s_and_saveexec_b64 s[14:15], vcc
	s_cbranch_execz .LBB472_71
; %bb.66:
	s_mov_b32 s20, 0x37ffffff
	v_cmp_lt_u32_e32 vcc, s20, v3
	s_mov_b64 s[20:21], 0
                                        ; implicit-def: $vgpr3
	s_and_saveexec_b64 s[24:25], vcc
	s_xor_b64 s[24:25], exec, s[24:25]
	s_cbranch_execz .LBB472_283
; %bb.67:
	v_bfe_u32 v3, v2, 21, 1
	s_mov_b32 s28, 0x88fffff
	v_add3_u32 v3, v2, v3, s28
	s_mov_b64 s[20:21], exec
	v_lshrrev_b32_e32 v3, 21, v3
	s_andn2_saveexec_b64 s[24:25], s[24:25]
	s_cbranch_execnz .LBB472_284
.LBB472_68:
	s_or_b64 exec, exec, s[24:25]
	v_mov_b32_e32 v4, 0
	s_and_saveexec_b64 s[24:25], s[20:21]
.LBB472_69:
	v_lshrrev_b32_e32 v4, 24, v2
	s_movk_i32 s20, 0x80
	v_and_or_b32 v4, v4, s20, v3
.LBB472_70:
	s_or_b64 exec, exec, s[24:25]
.LBB472_71:
	s_or_b64 exec, exec, s[14:15]
	s_mov_b64 s[14:15], 0
	global_store_byte v[0:1], v4, off
.LBB472_72:
	s_and_b64 vcc, exec, s[14:15]
	s_cbranch_vccz .LBB472_82
; %bb.73:
	v_and_b32_e32 v4, 0x7fffffff, v2
	s_mov_b32 s14, 0x43f00000
	v_cmp_gt_u32_e32 vcc, s14, v4
                                        ; implicit-def: $vgpr3
	s_and_saveexec_b64 s[14:15], vcc
	s_xor_b64 s[14:15], exec, s[14:15]
	s_cbranch_execz .LBB472_79
; %bb.74:
	s_mov_b32 s20, 0x3c7fffff
	v_cmp_lt_u32_e32 vcc, s20, v4
                                        ; implicit-def: $vgpr3
	s_and_saveexec_b64 s[20:21], vcc
	s_xor_b64 s[20:21], exec, s[20:21]
; %bb.75:
	v_bfe_u32 v3, v2, 20, 1
	s_mov_b32 s24, 0x407ffff
	v_add3_u32 v3, v2, v3, s24
	v_lshrrev_b32_e32 v4, 20, v3
	v_and_b32_e32 v3, 0xff00000, v3
	s_mov_b32 s24, 0x7f00000
	v_mov_b32_e32 v6, 0x7e
	v_cmp_ne_u32_e32 vcc, s24, v3
	s_nop 1
	v_cndmask_b32_e32 v3, v6, v4, vcc
; %bb.76:
	s_andn2_saveexec_b64 s[20:21], s[20:21]
; %bb.77:
	s_mov_b32 s24, 0x46800000
	v_add_f32_e64 v3, |v2|, s24
; %bb.78:
	s_or_b64 exec, exec, s[20:21]
                                        ; implicit-def: $vgpr4
.LBB472_79:
	s_andn2_saveexec_b64 s[14:15], s[14:15]
; %bb.80:
	s_mov_b32 s20, 0x7f800000
	v_mov_b32_e32 v3, 0x7e
	v_mov_b32_e32 v6, 0x7f
	v_cmp_lt_u32_e32 vcc, s20, v4
	s_nop 1
	v_cndmask_b32_e32 v3, v3, v6, vcc
; %bb.81:
	s_or_b64 exec, exec, s[14:15]
	v_lshrrev_b32_e32 v4, 24, v2
	s_movk_i32 s14, 0x80
	v_and_or_b32 v3, v4, s14, v3
	global_store_byte v[0:1], v3, off
.LBB472_82:
	s_mov_b64 s[14:15], 0
.LBB472_83:
	s_andn2_b64 vcc, exec, s[14:15]
	s_cbranch_vccnz .LBB472_93
; %bb.84:
	v_and_b32_e32 v4, 0x7fffffff, v2
	s_mov_b32 s14, 0x47800000
	v_cmp_gt_u32_e32 vcc, s14, v4
                                        ; implicit-def: $vgpr3
	s_and_saveexec_b64 s[14:15], vcc
	s_xor_b64 s[14:15], exec, s[14:15]
	s_cbranch_execz .LBB472_90
; %bb.85:
	s_mov_b32 s20, 0x387fffff
	v_cmp_lt_u32_e32 vcc, s20, v4
                                        ; implicit-def: $vgpr3
	s_and_saveexec_b64 s[20:21], vcc
	s_xor_b64 s[20:21], exec, s[20:21]
; %bb.86:
	v_bfe_u32 v3, v2, 21, 1
	s_mov_b32 s24, 0x80fffff
	v_add3_u32 v3, v2, v3, s24
	v_lshrrev_b32_e32 v3, 21, v3
; %bb.87:
	s_andn2_saveexec_b64 s[20:21], s[20:21]
; %bb.88:
	s_mov_b32 s24, 0x43000000
	v_add_f32_e64 v3, |v2|, s24
; %bb.89:
	s_or_b64 exec, exec, s[20:21]
                                        ; implicit-def: $vgpr4
.LBB472_90:
	s_andn2_saveexec_b64 s[14:15], s[14:15]
; %bb.91:
	s_mov_b32 s20, 0x7f800000
	v_mov_b32_e32 v3, 0x7c
	v_mov_b32_e32 v6, 0x7f
	v_cmp_lt_u32_e32 vcc, s20, v4
	s_nop 1
	v_cndmask_b32_e32 v3, v3, v6, vcc
; %bb.92:
	s_or_b64 exec, exec, s[14:15]
	v_lshrrev_b32_e32 v4, 24, v2
	s_movk_i32 s14, 0x80
	v_and_or_b32 v3, v4, s14, v3
	global_store_byte v[0:1], v3, off
.LBB472_93:
	s_mov_b64 s[20:21], 0
	s_mov_b64 s[14:15], -1
.LBB472_94:
	s_andn2_b64 vcc, exec, s[20:21]
	s_cbranch_vccnz .LBB472_102
; %bb.95:
	s_cmp_gt_i32 s27, 14
	s_mov_b64 s[20:21], -1
	s_cbranch_scc0 .LBB472_99
; %bb.96:
	s_cmp_eq_u32 s27, 15
	s_mov_b64 s[0:1], -1
	s_cbranch_scc0 .LBB472_98
; %bb.97:
	v_bfe_u32 v3, v2, 16, 1
	s_movk_i32 s0, 0x7fff
	v_add3_u32 v3, v2, v3, s0
	v_cmp_o_f32_e32 vcc, v2, v2
	v_mov_b32_e32 v4, 0x7fc0
	s_mov_b64 s[14:15], -1
	v_cndmask_b32_sdwa v3, v4, v3, vcc dst_sel:DWORD dst_unused:UNUSED_PAD src0_sel:DWORD src1_sel:WORD_1
	global_store_short v[0:1], v3, off
	s_mov_b64 s[0:1], 0
.LBB472_98:
	s_mov_b64 s[20:21], 0
.LBB472_99:
	s_and_b64 vcc, exec, s[20:21]
	s_cbranch_vccz .LBB472_102
; %bb.100:
	s_cmp_eq_u32 s27, 11
	s_mov_b64 s[0:1], -1
	s_cbranch_scc0 .LBB472_102
; %bb.101:
	v_cmp_neq_f32_e32 vcc, 0, v2
	s_mov_b64 s[14:15], -1
	s_mov_b64 s[0:1], 0
	v_cndmask_b32_e64 v3, 0, 1, vcc
	global_store_byte v[0:1], v3, off
.LBB472_102:
	s_branch .LBB472_20
.LBB472_103:
	s_and_b32 s20, 0xffff, s26
	s_cmp_lt_i32 s20, 5
	s_mov_b64 s[14:15], -1
	s_cbranch_scc1 .LBB472_124
; %bb.104:
	s_cmp_lt_i32 s20, 8
	s_cbranch_scc1 .LBB472_114
; %bb.105:
	s_cmp_lt_i32 s20, 9
	s_cbranch_scc1 .LBB472_111
; %bb.106:
	s_cmp_gt_i32 s20, 9
	s_cbranch_scc0 .LBB472_108
; %bb.107:
	v_mov_b32_e32 v8, 0
	v_cvt_f64_f32_e32 v[6:7], v2
	v_mov_b32_e32 v9, v8
	global_store_dwordx4 v[0:1], v[6:9], off
	s_mov_b64 s[14:15], 0
.LBB472_108:
	s_andn2_b64 vcc, exec, s[14:15]
	s_cbranch_vccnz .LBB472_110
; %bb.109:
	v_mov_b32_e32 v3, 0
	global_store_dwordx2 v[0:1], v[2:3], off
.LBB472_110:
	s_mov_b64 s[14:15], 0
.LBB472_111:
	s_andn2_b64 vcc, exec, s[14:15]
	s_cbranch_vccnz .LBB472_113
; %bb.112:
	v_cvt_f16_f32_e32 v3, v2
	global_store_dword v[0:1], v3, off
.LBB472_113:
	s_mov_b64 s[14:15], 0
.LBB472_114:
	s_andn2_b64 vcc, exec, s[14:15]
	s_cbranch_vccnz .LBB472_123
; %bb.115:
	s_cmp_lt_i32 s20, 6
	s_mov_b64 s[14:15], -1
	s_cbranch_scc1 .LBB472_121
; %bb.116:
	s_cmp_gt_i32 s20, 6
	s_cbranch_scc0 .LBB472_118
; %bb.117:
	v_cvt_f64_f32_e32 v[6:7], v2
	global_store_dwordx2 v[0:1], v[6:7], off
	s_mov_b64 s[14:15], 0
.LBB472_118:
	s_andn2_b64 vcc, exec, s[14:15]
	s_cbranch_vccnz .LBB472_120
; %bb.119:
	global_store_dword v[0:1], v2, off
.LBB472_120:
	s_mov_b64 s[14:15], 0
.LBB472_121:
	s_andn2_b64 vcc, exec, s[14:15]
	s_cbranch_vccnz .LBB472_123
; %bb.122:
	v_cvt_f16_f32_e32 v3, v2
	global_store_short v[0:1], v3, off
.LBB472_123:
	s_mov_b64 s[14:15], 0
.LBB472_124:
	s_andn2_b64 vcc, exec, s[14:15]
	s_cbranch_vccnz .LBB472_140
; %bb.125:
	s_cmp_lt_i32 s20, 2
	s_mov_b64 s[14:15], -1
	s_cbranch_scc1 .LBB472_135
; %bb.126:
	s_cmp_lt_i32 s20, 3
	s_cbranch_scc1 .LBB472_132
; %bb.127:
	s_cmp_gt_i32 s20, 3
	s_cbranch_scc0 .LBB472_129
; %bb.128:
	v_trunc_f32_e32 v3, v2
	s_mov_b32 s14, 0x2f800000
	v_mul_f32_e64 v4, |v3|, s14
	v_floor_f32_e32 v4, v4
	s_mov_b32 s14, 0xcf800000
	v_cvt_u32_f32_e32 v6, v4
	v_fma_f32 v4, v4, s14, |v3|
	v_cvt_u32_f32_e32 v4, v4
	v_ashrrev_i32_e32 v3, 31, v3
	v_xor_b32_e32 v7, v6, v3
	s_mov_b64 s[14:15], 0
	v_xor_b32_e32 v4, v4, v3
	v_sub_co_u32_e32 v6, vcc, v4, v3
	s_nop 1
	v_subb_co_u32_e32 v7, vcc, v7, v3, vcc
	global_store_dwordx2 v[0:1], v[6:7], off
.LBB472_129:
	s_andn2_b64 vcc, exec, s[14:15]
	s_cbranch_vccnz .LBB472_131
; %bb.130:
	v_cvt_i32_f32_e32 v3, v2
	global_store_dword v[0:1], v3, off
.LBB472_131:
	s_mov_b64 s[14:15], 0
.LBB472_132:
	s_andn2_b64 vcc, exec, s[14:15]
	s_cbranch_vccnz .LBB472_134
; %bb.133:
	v_cvt_i32_f32_e32 v3, v2
	global_store_short v[0:1], v3, off
.LBB472_134:
	s_mov_b64 s[14:15], 0
.LBB472_135:
	s_andn2_b64 vcc, exec, s[14:15]
	s_cbranch_vccnz .LBB472_140
; %bb.136:
	s_cmp_gt_i32 s20, 0
	s_mov_b64 s[14:15], -1
	s_cbranch_scc0 .LBB472_138
; %bb.137:
	v_cvt_i32_f32_e32 v3, v2
	s_mov_b64 s[14:15], 0
	global_store_byte v[0:1], v3, off
.LBB472_138:
	s_andn2_b64 vcc, exec, s[14:15]
	s_cbranch_vccnz .LBB472_140
; %bb.139:
	v_trunc_f32_e32 v2, v2
	s_mov_b32 s14, 0x2f800000
	v_mul_f32_e64 v3, |v2|, s14
	v_floor_f32_e32 v3, v3
	s_mov_b32 s14, 0xcf800000
	v_fma_f32 v3, v3, s14, |v2|
	v_cvt_u32_f32_e32 v3, v3
	v_ashrrev_i32_e32 v2, 31, v2
	v_xor_b32_e32 v3, v3, v2
	v_sub_u32_e32 v2, v3, v2
	global_store_byte v[0:1], v2, off
.LBB472_140:
	s_branch .LBB472_21
.LBB472_141:
	s_mov_b64 s[20:21], 0
                                        ; implicit-def: $vgpr5
	s_branch .LBB472_251
.LBB472_142:
	s_mov_b64 s[16:17], -1
                                        ; implicit-def: $vgpr2
.LBB472_143:
	s_mov_b64 s[14:15], 0
.LBB472_144:
	s_and_b64 vcc, exec, s[14:15]
	s_cbranch_vccz .LBB472_148
; %bb.145:
	s_cmp_eq_u32 s24, 29
	s_cbranch_scc0 .LBB472_147
; %bb.146:
	global_load_dwordx2 v[2:3], v[0:1], off
	s_mov_b64 s[0:1], -1
	s_mov_b64 s[16:17], 0
	s_mov_b64 s[14:15], 0
	s_waitcnt vmcnt(0)
	v_ffbh_u32_e32 v4, v3
	v_min_u32_e32 v4, 32, v4
	v_lshlrev_b64 v[2:3], v4, v[2:3]
	v_min_u32_e32 v2, 1, v2
	v_or_b32_e32 v2, v3, v2
	v_cvt_f32_u32_e32 v2, v2
	v_sub_u32_e32 v3, 32, v4
	v_ldexp_f32 v2, v2, v3
	s_branch .LBB472_149
.LBB472_147:
	s_mov_b64 s[16:17], -1
                                        ; implicit-def: $vgpr2
.LBB472_148:
	s_mov_b64 s[14:15], 0
.LBB472_149:
	s_and_b64 vcc, exec, s[14:15]
	s_cbranch_vccz .LBB472_167
; %bb.150:
	s_cmp_lt_i32 s24, 27
	s_cbranch_scc1 .LBB472_153
; %bb.151:
	s_cmp_gt_i32 s24, 27
	s_cbranch_scc0 .LBB472_154
; %bb.152:
	global_load_dword v2, v[0:1], off
	s_mov_b64 s[0:1], 0
	s_waitcnt vmcnt(0)
	v_cvt_f32_u32_e32 v2, v2
	s_branch .LBB472_155
.LBB472_153:
	s_mov_b64 s[0:1], -1
                                        ; implicit-def: $vgpr2
	s_branch .LBB472_158
.LBB472_154:
	s_mov_b64 s[0:1], -1
                                        ; implicit-def: $vgpr2
.LBB472_155:
	s_andn2_b64 vcc, exec, s[0:1]
	s_cbranch_vccnz .LBB472_157
; %bb.156:
	global_load_ushort v2, v[0:1], off
	s_waitcnt vmcnt(0)
	v_cvt_f32_u32_e32 v2, v2
.LBB472_157:
	s_mov_b64 s[0:1], 0
.LBB472_158:
	s_andn2_b64 vcc, exec, s[0:1]
	s_cbranch_vccnz .LBB472_166
; %bb.159:
	global_load_ubyte v3, v[0:1], off
	s_movk_i32 s0, 0x7f
	s_waitcnt vmcnt(0)
	v_cmp_lt_i16_e32 vcc, s0, v3
	s_mov_b64 s[0:1], 0
	s_and_saveexec_b64 s[14:15], vcc
	s_xor_b64 s[14:15], exec, s[14:15]
	s_cbranch_execz .LBB472_179
; %bb.160:
	s_movk_i32 s0, 0x80
	v_cmp_eq_u16_e32 vcc, s0, v3
	s_mov_b64 s[0:1], -1
	s_and_saveexec_b64 s[20:21], vcc
; %bb.161:
	s_xor_b64 s[0:1], exec, -1
; %bb.162:
	s_or_b64 exec, exec, s[20:21]
	s_and_b64 s[0:1], s[0:1], exec
	s_or_saveexec_b64 s[14:15], s[14:15]
	v_mov_b32_e32 v2, 0x7f800001
	s_xor_b64 exec, exec, s[14:15]
	s_cbranch_execnz .LBB472_180
.LBB472_163:
	s_or_b64 exec, exec, s[14:15]
	s_and_saveexec_b64 s[14:15], s[0:1]
	s_cbranch_execz .LBB472_165
.LBB472_164:
	v_lshlrev_b32_e32 v2, 24, v3
	v_and_b32_e32 v3, 0xffff, v3
	v_and_b32_e32 v4, 7, v3
	v_ffbh_u32_e32 v7, v4
	v_min_u32_e32 v7, 32, v7
	v_subrev_u32_e32 v8, 28, v7
	v_bfe_u32 v6, v3, 3, 4
	v_lshlrev_b32_e32 v3, v8, v3
	v_sub_u32_e32 v7, 29, v7
	v_and_b32_e32 v3, 7, v3
	v_cmp_eq_u32_e32 vcc, 0, v6
	v_and_b32_e32 v2, 0x80000000, v2
	s_nop 0
	v_cndmask_b32_e32 v6, v6, v7, vcc
	v_cndmask_b32_e32 v3, v4, v3, vcc
	v_mov_b32_e32 v4, 0x3b800000
	v_lshlrev_b32_e32 v3, 20, v3
	v_lshl_add_u32 v4, v6, 23, v4
	v_or3_b32 v2, v2, v4, v3
.LBB472_165:
	s_or_b64 exec, exec, s[14:15]
.LBB472_166:
	s_mov_b64 s[0:1], -1
.LBB472_167:
	s_branch .LBB472_202
.LBB472_168:
	s_cmp_gt_i32 s24, 22
	s_cbranch_scc0 .LBB472_178
; %bb.169:
	s_cmp_lt_i32 s24, 24
	s_cbranch_scc1 .LBB472_181
; %bb.170:
	s_cmp_gt_i32 s24, 24
	s_cbranch_scc0 .LBB472_182
; %bb.171:
	global_load_ubyte v3, v[0:1], off
	s_movk_i32 s0, 0x7f
	s_waitcnt vmcnt(0)
	v_cmp_lt_i16_e32 vcc, s0, v3
	s_mov_b64 s[0:1], 0
	s_and_saveexec_b64 s[14:15], vcc
	s_xor_b64 s[14:15], exec, s[14:15]
	s_cbranch_execz .LBB472_194
; %bb.172:
	s_movk_i32 s0, 0x80
	v_cmp_eq_u16_e32 vcc, s0, v3
	s_mov_b64 s[0:1], -1
	s_and_saveexec_b64 s[20:21], vcc
; %bb.173:
	s_xor_b64 s[0:1], exec, -1
; %bb.174:
	s_or_b64 exec, exec, s[20:21]
	s_and_b64 s[0:1], s[0:1], exec
	s_or_saveexec_b64 s[14:15], s[14:15]
	v_mov_b32_e32 v2, 0x7f800001
	s_xor_b64 exec, exec, s[14:15]
	s_cbranch_execnz .LBB472_195
.LBB472_175:
	s_or_b64 exec, exec, s[14:15]
	s_and_saveexec_b64 s[14:15], s[0:1]
	s_cbranch_execz .LBB472_177
.LBB472_176:
	v_lshlrev_b32_e32 v2, 24, v3
	v_and_b32_e32 v3, 0xffff, v3
	v_and_b32_e32 v4, 3, v3
	v_ffbh_u32_e32 v7, v4
	v_min_u32_e32 v7, 32, v7
	v_subrev_u32_e32 v8, 29, v7
	v_bfe_u32 v6, v3, 2, 5
	v_lshlrev_b32_e32 v3, v8, v3
	v_sub_u32_e32 v7, 30, v7
	v_and_b32_e32 v3, 3, v3
	v_cmp_eq_u32_e32 vcc, 0, v6
	v_and_b32_e32 v2, 0x80000000, v2
	s_nop 0
	v_cndmask_b32_e32 v6, v6, v7, vcc
	v_cndmask_b32_e32 v3, v4, v3, vcc
	v_mov_b32_e32 v4, 0x37800000
	v_lshlrev_b32_e32 v3, 21, v3
	v_lshl_add_u32 v4, v6, 23, v4
	v_or3_b32 v2, v2, v4, v3
.LBB472_177:
	s_or_b64 exec, exec, s[14:15]
	s_mov_b64 s[0:1], 0
	s_branch .LBB472_183
.LBB472_178:
	s_mov_b64 s[14:15], -1
                                        ; implicit-def: $vgpr2
	s_branch .LBB472_189
.LBB472_179:
	s_or_saveexec_b64 s[14:15], s[14:15]
	v_mov_b32_e32 v2, 0x7f800001
	s_xor_b64 exec, exec, s[14:15]
	s_cbranch_execz .LBB472_163
.LBB472_180:
	v_cmp_ne_u16_e32 vcc, 0, v3
	s_andn2_b64 s[0:1], s[0:1], exec
	s_and_b64 s[20:21], vcc, exec
	v_mov_b32_e32 v2, 0
	s_or_b64 s[0:1], s[0:1], s[20:21]
	s_or_b64 exec, exec, s[14:15]
	s_and_saveexec_b64 s[14:15], s[0:1]
	s_cbranch_execnz .LBB472_164
	s_branch .LBB472_165
.LBB472_181:
	s_mov_b64 s[0:1], -1
                                        ; implicit-def: $vgpr2
	s_branch .LBB472_186
.LBB472_182:
	s_mov_b64 s[0:1], -1
                                        ; implicit-def: $vgpr2
.LBB472_183:
	s_and_b64 vcc, exec, s[0:1]
	s_cbranch_vccz .LBB472_185
; %bb.184:
	global_load_ubyte v2, v[0:1], off
	s_mov_b32 s0, 0x7f800000
	s_waitcnt vmcnt(0)
	v_lshlrev_b32_e32 v2, 24, v2
	v_and_b32_e32 v3, 0x7f000000, v2
	v_ffbh_u32_e32 v4, v3
	v_min_u32_e32 v4, 32, v4
	v_sub_u32_e64 v4, v4, 4 clamp
	v_lshlrev_b32_e32 v7, v4, v3
	v_lshlrev_b32_e32 v4, 23, v4
	v_lshrrev_b32_e32 v7, 4, v7
	v_add_u32_e32 v6, 0x1000000, v3
	v_sub_u32_e32 v4, v7, v4
	v_ashrrev_i32_e32 v6, 8, v6
	v_add_u32_e32 v4, 0x3c000000, v4
	v_and_or_b32 v4, v6, s0, v4
	v_cmp_ne_u32_e32 vcc, 0, v3
	s_brev_b32 s0, 1
	s_nop 0
	v_cndmask_b32_e32 v3, 0, v4, vcc
	v_and_or_b32 v2, v2, s0, v3
.LBB472_185:
	s_mov_b64 s[0:1], 0
.LBB472_186:
	s_andn2_b64 vcc, exec, s[0:1]
	s_cbranch_vccnz .LBB472_188
; %bb.187:
	global_load_ubyte v2, v[0:1], off
	s_movk_i32 s0, 0x7f00
	s_brev_b32 s1, 16
	s_waitcnt vmcnt(0)
	v_lshlrev_b16_e32 v3, 8, v2
	v_lshlrev_b32_e32 v2, 25, v2
	v_lshrrev_b32_e32 v4, 4, v2
	v_and_or_b32 v6, v3, s0, 0.5
	v_or_b32_e32 v4, 0x70000000, v4
	v_add_f32_e32 v6, -0.5, v6
	v_mul_f32_e32 v4, 0x7800000, v4
	v_cmp_gt_u32_e32 vcc, s1, v2
	v_bfe_i32 v3, v3, 0, 16
	s_brev_b32 s0, 1
	v_cndmask_b32_e32 v2, v4, v6, vcc
	v_and_or_b32 v2, v3, s0, v2
.LBB472_188:
	s_mov_b64 s[14:15], 0
	s_mov_b64 s[0:1], -1
.LBB472_189:
	s_andn2_b64 vcc, exec, s[14:15]
	s_cbranch_vccnz .LBB472_202
; %bb.190:
	s_cmp_gt_i32 s24, 14
	s_cbranch_scc0 .LBB472_193
; %bb.191:
	s_cmp_eq_u32 s24, 15
	s_cbranch_scc0 .LBB472_196
; %bb.192:
	global_load_ushort v2, v[0:1], off
	s_mov_b64 s[0:1], -1
	s_mov_b64 s[16:17], 0
	s_waitcnt vmcnt(0)
	v_lshlrev_b32_e32 v2, 16, v2
	s_branch .LBB472_197
.LBB472_193:
	s_mov_b64 s[14:15], -1
                                        ; implicit-def: $vgpr2
	s_branch .LBB472_198
.LBB472_194:
	s_or_saveexec_b64 s[14:15], s[14:15]
	v_mov_b32_e32 v2, 0x7f800001
	s_xor_b64 exec, exec, s[14:15]
	s_cbranch_execz .LBB472_175
.LBB472_195:
	v_cmp_ne_u16_e32 vcc, 0, v3
	s_andn2_b64 s[0:1], s[0:1], exec
	s_and_b64 s[20:21], vcc, exec
	v_mov_b32_e32 v2, 0
	s_or_b64 s[0:1], s[0:1], s[20:21]
	s_or_b64 exec, exec, s[14:15]
	s_and_saveexec_b64 s[14:15], s[0:1]
	s_cbranch_execnz .LBB472_176
	s_branch .LBB472_177
.LBB472_196:
	s_mov_b64 s[16:17], -1
                                        ; implicit-def: $vgpr2
.LBB472_197:
	s_mov_b64 s[14:15], 0
.LBB472_198:
	s_and_b64 vcc, exec, s[14:15]
	s_cbranch_vccz .LBB472_202
; %bb.199:
	s_cmp_eq_u32 s24, 11
	s_cbranch_scc0 .LBB472_201
; %bb.200:
	global_load_ubyte v2, v[0:1], off
	s_mov_b64 s[0:1], -1
	s_mov_b64 s[16:17], 0
	s_waitcnt vmcnt(0)
	v_cmp_ne_u16_e32 vcc, 0, v2
	s_nop 1
	v_cndmask_b32_e64 v2, 0, 1.0, vcc
	s_branch .LBB472_202
.LBB472_201:
	s_mov_b64 s[16:17], -1
                                        ; implicit-def: $vgpr2
.LBB472_202:
	s_branch .LBB472_10
.LBB472_203:
	s_cmp_lt_i32 s24, 5
	s_cbranch_scc1 .LBB472_208
; %bb.204:
	s_cmp_lt_i32 s24, 8
	s_cbranch_scc1 .LBB472_209
; %bb.205:
	;; [unrolled: 3-line block ×3, first 2 shown]
	s_cmp_gt_i32 s24, 9
	s_cbranch_scc0 .LBB472_211
; %bb.207:
	global_load_dwordx2 v[2:3], v[0:1], off
	s_mov_b64 s[0:1], 0
	s_waitcnt vmcnt(0)
	v_cvt_f32_f64_e32 v2, v[2:3]
	s_branch .LBB472_212
.LBB472_208:
                                        ; implicit-def: $vgpr2
	s_branch .LBB472_230
.LBB472_209:
	s_mov_b64 s[0:1], -1
                                        ; implicit-def: $vgpr2
	s_branch .LBB472_218
.LBB472_210:
	s_mov_b64 s[0:1], -1
                                        ; implicit-def: $vgpr2
	s_branch .LBB472_215
.LBB472_211:
	s_mov_b64 s[0:1], -1
                                        ; implicit-def: $vgpr2
.LBB472_212:
	s_andn2_b64 vcc, exec, s[0:1]
	s_cbranch_vccnz .LBB472_214
; %bb.213:
	global_load_dword v2, v[0:1], off
.LBB472_214:
	s_mov_b64 s[0:1], 0
.LBB472_215:
	s_andn2_b64 vcc, exec, s[0:1]
	s_cbranch_vccnz .LBB472_217
; %bb.216:
	global_load_dword v2, v[0:1], off
	s_waitcnt vmcnt(0)
	v_cvt_f32_f16_e32 v2, v2
.LBB472_217:
	s_mov_b64 s[0:1], 0
.LBB472_218:
	s_andn2_b64 vcc, exec, s[0:1]
	s_cbranch_vccnz .LBB472_229
; %bb.219:
	s_cmp_lt_i32 s24, 6
	s_cbranch_scc1 .LBB472_222
; %bb.220:
	s_cmp_gt_i32 s24, 6
	s_cbranch_scc0 .LBB472_223
; %bb.221:
	global_load_dwordx2 v[2:3], v[0:1], off
	s_mov_b64 s[0:1], 0
	s_waitcnt vmcnt(0)
	v_cvt_f32_f64_e32 v2, v[2:3]
	s_branch .LBB472_224
.LBB472_222:
	s_mov_b64 s[0:1], -1
                                        ; implicit-def: $vgpr2
	s_branch .LBB472_227
.LBB472_223:
	s_mov_b64 s[0:1], -1
                                        ; implicit-def: $vgpr2
.LBB472_224:
	s_andn2_b64 vcc, exec, s[0:1]
	s_cbranch_vccnz .LBB472_226
; %bb.225:
	global_load_dword v2, v[0:1], off
.LBB472_226:
	s_mov_b64 s[0:1], 0
.LBB472_227:
	s_andn2_b64 vcc, exec, s[0:1]
	s_cbranch_vccnz .LBB472_229
; %bb.228:
	global_load_ushort v2, v[0:1], off
	s_waitcnt vmcnt(0)
	v_cvt_f32_f16_e32 v2, v2
.LBB472_229:
	s_cbranch_execnz .LBB472_249
.LBB472_230:
	s_cmp_lt_i32 s24, 2
	s_cbranch_scc1 .LBB472_234
; %bb.231:
	s_cmp_lt_i32 s24, 3
	s_cbranch_scc1 .LBB472_235
; %bb.232:
	s_cmp_gt_i32 s24, 3
	s_cbranch_scc0 .LBB472_236
; %bb.233:
	global_load_dwordx2 v[2:3], v[0:1], off
	s_mov_b64 s[0:1], 0
	s_waitcnt vmcnt(0)
	v_xor_b32_e32 v6, v2, v3
	v_ffbh_i32_e32 v4, v3
	v_ashrrev_i32_e32 v6, 31, v6
	v_add_u32_e32 v4, -1, v4
	v_add_u32_e32 v6, 32, v6
	v_min_u32_e32 v4, v4, v6
	v_lshlrev_b64 v[2:3], v4, v[2:3]
	v_min_u32_e32 v2, 1, v2
	v_or_b32_e32 v2, v3, v2
	v_cvt_f32_i32_e32 v2, v2
	v_sub_u32_e32 v3, 32, v4
	v_ldexp_f32 v2, v2, v3
	s_branch .LBB472_237
.LBB472_234:
	s_mov_b64 s[0:1], -1
                                        ; implicit-def: $vgpr2
	s_branch .LBB472_243
.LBB472_235:
	s_mov_b64 s[0:1], -1
                                        ; implicit-def: $vgpr2
	s_branch .LBB472_240
.LBB472_236:
	s_mov_b64 s[0:1], -1
                                        ; implicit-def: $vgpr2
.LBB472_237:
	s_andn2_b64 vcc, exec, s[0:1]
	s_cbranch_vccnz .LBB472_239
; %bb.238:
	global_load_dword v2, v[0:1], off
	s_waitcnt vmcnt(0)
	v_cvt_f32_i32_e32 v2, v2
.LBB472_239:
	s_mov_b64 s[0:1], 0
.LBB472_240:
	s_andn2_b64 vcc, exec, s[0:1]
	s_cbranch_vccnz .LBB472_242
; %bb.241:
	global_load_sshort v2, v[0:1], off
	s_waitcnt vmcnt(0)
	v_cvt_f32_i32_e32 v2, v2
.LBB472_242:
	s_mov_b64 s[0:1], 0
.LBB472_243:
	s_andn2_b64 vcc, exec, s[0:1]
	s_cbranch_vccnz .LBB472_249
; %bb.244:
	s_cmp_gt_i32 s24, 0
	s_cbranch_scc0 .LBB472_246
; %bb.245:
	global_load_sbyte v2, v[0:1], off
	s_mov_b64 s[0:1], 0
	s_waitcnt vmcnt(0)
	v_cvt_f32_i32_e32 v2, v2
	s_branch .LBB472_247
.LBB472_246:
	s_mov_b64 s[0:1], -1
                                        ; implicit-def: $vgpr2
.LBB472_247:
	s_andn2_b64 vcc, exec, s[0:1]
	s_cbranch_vccnz .LBB472_249
; %bb.248:
	global_load_ubyte v0, v[0:1], off
	s_waitcnt vmcnt(0)
	v_cvt_f32_ubyte0_e32 v2, v0
.LBB472_249:
	s_branch .LBB472_11
.LBB472_250:
	s_mov_b64 s[0:1], 0
                                        ; implicit-def: $vgpr5
	s_mov_b64 s[20:21], 0
.LBB472_251:
	s_and_b64 s[14:15], s[0:1], exec
	s_and_b64 s[16:17], s[16:17], exec
	s_orn2_b64 s[20:21], s[20:21], exec
.LBB472_252:
	s_or_b64 exec, exec, s[18:19]
	s_mov_b64 s[24:25], 0
	s_mov_b64 s[0:1], 0
                                        ; implicit-def: $vgpr0_vgpr1
                                        ; implicit-def: $vgpr3
	s_and_saveexec_b64 s[18:19], s[20:21]
	s_cbranch_execz .LBB472_261
; %bb.253:
	v_cmp_gt_i32_e32 vcc, s40, v5
	s_mov_b64 s[0:1], -1
	s_mov_b64 s[20:21], s[16:17]
	s_mov_b64 s[22:23], s[14:15]
	s_and_saveexec_b64 s[24:25], vcc
	s_cbranch_execz .LBB472_513
; %bb.254:
	v_mul_lo_u32 v0, v5, s9
	v_ashrrev_i32_e32 v1, 31, v0
	s_and_b32 s28, 0xffff, s11
	s_cmp_lt_i32 s28, 11
	v_lshl_add_u64 v[0:1], s[6:7], 0, v[0:1]
	s_cbranch_scc1 .LBB472_264
; %bb.255:
	s_cmp_gt_i32 s28, 25
	s_cbranch_scc0 .LBB472_273
; %bb.256:
	s_cmp_gt_i32 s28, 28
	s_cbranch_scc0 .LBB472_275
	;; [unrolled: 3-line block ×4, first 2 shown]
; %bb.259:
	s_cmp_eq_u32 s28, 46
	s_mov_b64 s[22:23], 0
	s_cbranch_scc0 .LBB472_285
; %bb.260:
	global_load_dword v2, v[0:1], off
	s_mov_b64 s[20:21], 0
	s_waitcnt vmcnt(0)
	v_lshlrev_b32_e32 v2, 16, v2
	s_branch .LBB472_286
.LBB472_261:
	s_or_b64 exec, exec, s[18:19]
	s_mov_b64 s[18:19], 0
	s_and_saveexec_b64 s[20:21], s[16:17]
	s_cbranch_execnz .LBB472_859
.LBB472_262:
	s_or_b64 exec, exec, s[20:21]
	s_and_saveexec_b64 s[16:17], s[22:23]
	s_xor_b64 s[16:17], exec, s[16:17]
	s_cbranch_execz .LBB472_860
.LBB472_263:
	global_load_ubyte v2, v[0:1], off
	s_or_b64 s[0:1], s[0:1], exec
	s_waitcnt vmcnt(0)
	v_cmp_ne_u16_e32 vcc, 0, v2
	s_nop 1
	v_cndmask_b32_e64 v3, 0, 1.0, vcc
	s_or_b64 exec, exec, s[16:17]
	s_and_saveexec_b64 s[16:17], s[24:25]
	s_cbranch_execz .LBB472_906
	s_branch .LBB472_861
.LBB472_264:
	s_mov_b64 s[0:1], 0
                                        ; implicit-def: $vgpr2
	s_mov_b64 s[20:21], s[16:17]
	s_cbranch_execnz .LBB472_463
.LBB472_265:
	s_andn2_b64 vcc, exec, s[0:1]
	s_cbranch_vccnz .LBB472_511
.LBB472_266:
	v_max_f32_e64 v0, s10, s10
	s_waitcnt vmcnt(0)
	v_max_f32_e32 v1, v2, v2
	v_min_f32_e32 v0, v1, v0
	v_cmp_u_f32_e32 vcc, v2, v2
	s_and_b32 s30, s33, 0xff
	s_cmp_lt_i32 s30, 11
	v_cndmask_b32_e32 v2, v0, v2, vcc
	v_mul_lo_u32 v0, v5, s8
	v_ashrrev_i32_e32 v1, 31, v0
	v_lshl_add_u64 v[0:1], s[4:5], 0, v[0:1]
	s_cbranch_scc1 .LBB472_274
; %bb.267:
	s_and_b32 s31, 0xffff, s30
	s_cmp_gt_i32 s31, 25
	s_cbranch_scc0 .LBB472_276
; %bb.268:
	s_cmp_gt_i32 s31, 28
	s_cbranch_scc0 .LBB472_278
; %bb.269:
	;; [unrolled: 3-line block ×4, first 2 shown]
	s_mov_b64 s[26:27], 0
	s_mov_b64 s[0:1], -1
	s_cmp_eq_u32 s31, 46
	s_mov_b64 s[22:23], 0
	s_cbranch_scc0 .LBB472_290
; %bb.272:
	v_bfe_u32 v3, v2, 16, 1
	s_movk_i32 s0, 0x7fff
	v_add3_u32 v3, v2, v3, s0
	v_cmp_o_f32_e32 vcc, v2, v2
	v_mov_b32_e32 v4, 0x7fc0
	s_mov_b64 s[22:23], -1
	v_cndmask_b32_sdwa v3, v4, v3, vcc dst_sel:DWORD dst_unused:UNUSED_PAD src0_sel:DWORD src1_sel:WORD_1
	global_store_dword v[0:1], v3, off
	s_mov_b64 s[0:1], 0
	s_branch .LBB472_290
.LBB472_273:
	s_mov_b64 s[22:23], -1
	s_mov_b64 s[0:1], 0
	s_mov_b64 s[20:21], s[16:17]
                                        ; implicit-def: $vgpr2
	s_branch .LBB472_427
.LBB472_274:
	s_mov_b64 s[26:27], -1
	s_mov_b64 s[22:23], 0
	s_mov_b64 s[0:1], s[14:15]
	s_branch .LBB472_359
.LBB472_275:
	s_mov_b64 s[22:23], -1
	s_mov_b64 s[0:1], 0
	s_mov_b64 s[20:21], s[16:17]
                                        ; implicit-def: $vgpr2
	s_branch .LBB472_408
.LBB472_276:
	s_mov_b64 s[26:27], -1
	s_mov_b64 s[22:23], 0
	s_mov_b64 s[0:1], s[14:15]
	s_branch .LBB472_317
.LBB472_277:
	s_mov_b64 s[22:23], -1
	s_mov_b64 s[0:1], 0
	s_mov_b64 s[20:21], s[16:17]
                                        ; implicit-def: $vgpr2
	s_branch .LBB472_403
.LBB472_278:
	s_mov_b64 s[26:27], -1
	s_mov_b64 s[22:23], 0
	s_mov_b64 s[0:1], s[14:15]
	s_branch .LBB472_300
.LBB472_279:
	s_andn2_saveexec_b64 s[24:25], s[24:25]
	s_cbranch_execz .LBB472_55
.LBB472_280:
	s_mov_b32 s28, 0x46000000
	v_add_f32_e64 v3, |v2|, s28
	v_and_b32_e32 v3, 0xff, v3
	v_cmp_ne_u32_e32 vcc, 0, v3
	s_andn2_b64 s[20:21], s[20:21], exec
	s_and_b64 s[28:29], vcc, exec
	s_or_b64 s[20:21], s[20:21], s[28:29]
	s_or_b64 exec, exec, s[24:25]
	v_mov_b32_e32 v4, 0
	s_and_saveexec_b64 s[24:25], s[20:21]
	s_cbranch_execnz .LBB472_56
	s_branch .LBB472_57
.LBB472_281:
	s_mov_b64 s[22:23], -1
	s_mov_b64 s[0:1], 0
	s_mov_b64 s[20:21], s[16:17]
                                        ; implicit-def: $vgpr2
	s_branch .LBB472_286
.LBB472_282:
	s_mov_b64 s[26:27], -1
	s_mov_b64 s[22:23], 0
	s_mov_b64 s[0:1], s[14:15]
	s_branch .LBB472_296
.LBB472_283:
	s_andn2_saveexec_b64 s[24:25], s[24:25]
	s_cbranch_execz .LBB472_68
.LBB472_284:
	s_mov_b32 s28, 0x42800000
	v_add_f32_e64 v3, |v2|, s28
	v_and_b32_e32 v3, 0xff, v3
	v_cmp_ne_u32_e32 vcc, 0, v3
	s_andn2_b64 s[20:21], s[20:21], exec
	s_and_b64 s[28:29], vcc, exec
	s_or_b64 s[20:21], s[20:21], s[28:29]
	s_or_b64 exec, exec, s[24:25]
	v_mov_b32_e32 v4, 0
	s_and_saveexec_b64 s[24:25], s[20:21]
	s_cbranch_execnz .LBB472_69
	s_branch .LBB472_70
.LBB472_285:
	s_mov_b64 s[20:21], -1
                                        ; implicit-def: $vgpr2
	s_mov_b64 s[0:1], 0
.LBB472_286:
	s_and_b64 vcc, exec, s[22:23]
	s_cbranch_vccz .LBB472_402
; %bb.287:
	s_cmp_eq_u32 s28, 44
	s_cbranch_scc0 .LBB472_401
; %bb.288:
	global_load_ubyte v2, v[0:1], off
	s_movk_i32 s20, 0xff
	v_mov_b32_e32 v3, 0x7f800001
	v_mov_b32_e32 v4, 0x400000
	s_mov_b64 s[0:1], -1
	s_waitcnt vmcnt(0)
	v_lshlrev_b32_e32 v6, 23, v2
	v_cmp_ne_u32_e32 vcc, s20, v2
	s_mov_b64 s[20:21], 0
	s_nop 0
	v_cndmask_b32_e32 v3, v3, v6, vcc
	v_cmp_ne_u32_e32 vcc, 0, v2
	s_nop 1
	v_cndmask_b32_e32 v2, v4, v3, vcc
	s_branch .LBB472_402
.LBB472_289:
	s_mov_b64 s[26:27], -1
	s_mov_b64 s[22:23], 0
	s_mov_b64 s[0:1], s[14:15]
.LBB472_290:
	s_and_b64 vcc, exec, s[26:27]
	s_cbranch_vccz .LBB472_295
; %bb.291:
	s_cmp_eq_u32 s31, 44
	s_mov_b64 s[0:1], -1
	s_cbranch_scc0 .LBB472_295
; %bb.292:
	v_bfe_u32 v3, v2, 23, 8
	s_movk_i32 s0, 0xff
	v_cmp_ne_u32_e32 vcc, s0, v3
	v_mov_b32_e32 v4, 0xff
	s_and_saveexec_b64 s[22:23], vcc
; %bb.293:
	s_mov_b32 s0, 0x3fffff
	v_and_b32_e32 v6, 0x400000, v2
	v_and_or_b32 v3, v2, s0, v3
	v_cmp_ne_u32_e32 vcc, 0, v6
	v_cmp_ne_u32_e64 s[0:1], 0, v3
	s_and_b64 s[0:1], vcc, s[0:1]
	v_lshrrev_b32_e32 v4, 23, v2
	v_cndmask_b32_e64 v3, 0, 1, s[0:1]
	v_add_u32_e32 v4, v4, v3
; %bb.294:
	s_or_b64 exec, exec, s[22:23]
	s_mov_b64 s[22:23], -1
	s_mov_b64 s[0:1], 0
	global_store_byte v[0:1], v4, off
.LBB472_295:
	s_mov_b64 s[26:27], 0
.LBB472_296:
	s_and_b64 vcc, exec, s[26:27]
	s_cbranch_vccz .LBB472_299
; %bb.297:
	s_cmp_eq_u32 s31, 29
	s_mov_b64 s[0:1], -1
	s_cbranch_scc0 .LBB472_299
; %bb.298:
	v_trunc_f32_e32 v3, v2
	v_mul_f32_e32 v4, 0x2f800000, v3
	v_floor_f32_e32 v4, v4
	v_fmamk_f32 v3, v4, 0xcf800000, v3
	v_cvt_u32_f32_e32 v7, v4
	v_cvt_u32_f32_e32 v6, v3
	s_mov_b64 s[22:23], -1
	s_mov_b64 s[0:1], 0
	s_mov_b64 s[26:27], 0
	global_store_dwordx2 v[0:1], v[6:7], off
	s_branch .LBB472_300
.LBB472_299:
	s_mov_b64 s[26:27], 0
.LBB472_300:
	s_and_b64 vcc, exec, s[26:27]
	s_cbranch_vccz .LBB472_316
; %bb.301:
	s_cmp_lt_i32 s31, 27
	s_mov_b64 s[22:23], -1
	s_cbranch_scc1 .LBB472_307
; %bb.302:
	v_cvt_u32_f32_e32 v3, v2
	s_cmp_gt_i32 s31, 27
	s_cbranch_scc0 .LBB472_304
; %bb.303:
	s_mov_b64 s[22:23], 0
	global_store_dword v[0:1], v3, off
.LBB472_304:
	s_andn2_b64 vcc, exec, s[22:23]
	s_cbranch_vccnz .LBB472_306
; %bb.305:
	global_store_short v[0:1], v3, off
.LBB472_306:
	s_mov_b64 s[22:23], 0
.LBB472_307:
	s_andn2_b64 vcc, exec, s[22:23]
	s_cbranch_vccnz .LBB472_315
; %bb.308:
	v_and_b32_e32 v3, 0x7fffffff, v2
	s_mov_b32 s22, 0x43800000
	v_cmp_gt_u32_e32 vcc, s22, v3
	v_mov_b32_e32 v4, 0x80
	s_and_saveexec_b64 s[22:23], vcc
	s_cbranch_execz .LBB472_314
; %bb.309:
	s_mov_b32 s26, 0x3bffffff
	v_cmp_lt_u32_e32 vcc, s26, v3
	s_mov_b64 s[26:27], 0
                                        ; implicit-def: $vgpr3
	s_and_saveexec_b64 s[28:29], vcc
	s_xor_b64 s[28:29], exec, s[28:29]
	s_cbranch_execz .LBB472_526
; %bb.310:
	v_bfe_u32 v3, v2, 20, 1
	s_mov_b32 s34, 0x487ffff
	v_add3_u32 v3, v2, v3, s34
	s_mov_b64 s[26:27], exec
	v_lshrrev_b32_e32 v3, 20, v3
	s_andn2_saveexec_b64 s[28:29], s[28:29]
	s_cbranch_execnz .LBB472_527
.LBB472_311:
	s_or_b64 exec, exec, s[28:29]
	v_mov_b32_e32 v4, 0
	s_and_saveexec_b64 s[28:29], s[26:27]
.LBB472_312:
	v_lshrrev_b32_e32 v4, 24, v2
	s_movk_i32 s26, 0x80
	v_and_or_b32 v4, v4, s26, v3
.LBB472_313:
	s_or_b64 exec, exec, s[28:29]
.LBB472_314:
	s_or_b64 exec, exec, s[22:23]
	global_store_byte v[0:1], v4, off
.LBB472_315:
	s_mov_b64 s[22:23], -1
.LBB472_316:
	s_mov_b64 s[26:27], 0
.LBB472_317:
	s_and_b64 vcc, exec, s[26:27]
	s_cbranch_vccz .LBB472_358
; %bb.318:
	s_cmp_gt_i32 s31, 22
	s_mov_b64 s[26:27], -1
	s_cbranch_scc0 .LBB472_350
; %bb.319:
	s_cmp_lt_i32 s31, 24
	s_mov_b64 s[22:23], -1
	s_cbranch_scc1 .LBB472_339
; %bb.320:
	s_cmp_gt_i32 s31, 24
	s_cbranch_scc0 .LBB472_328
; %bb.321:
	v_and_b32_e32 v3, 0x7fffffff, v2
	s_mov_b32 s22, 0x47800000
	v_cmp_gt_u32_e32 vcc, s22, v3
	v_mov_b32_e32 v4, 0x80
	s_and_saveexec_b64 s[22:23], vcc
	s_cbranch_execz .LBB472_327
; %bb.322:
	s_mov_b32 s26, 0x37ffffff
	v_cmp_lt_u32_e32 vcc, s26, v3
	s_mov_b64 s[26:27], 0
                                        ; implicit-def: $vgpr3
	s_and_saveexec_b64 s[28:29], vcc
	s_xor_b64 s[28:29], exec, s[28:29]
	s_cbranch_execz .LBB472_529
; %bb.323:
	v_bfe_u32 v3, v2, 21, 1
	s_mov_b32 s34, 0x88fffff
	v_add3_u32 v3, v2, v3, s34
	s_mov_b64 s[26:27], exec
	v_lshrrev_b32_e32 v3, 21, v3
	s_andn2_saveexec_b64 s[28:29], s[28:29]
	s_cbranch_execnz .LBB472_530
.LBB472_324:
	s_or_b64 exec, exec, s[28:29]
	v_mov_b32_e32 v4, 0
	s_and_saveexec_b64 s[28:29], s[26:27]
.LBB472_325:
	v_lshrrev_b32_e32 v4, 24, v2
	s_movk_i32 s26, 0x80
	v_and_or_b32 v4, v4, s26, v3
.LBB472_326:
	s_or_b64 exec, exec, s[28:29]
.LBB472_327:
	s_or_b64 exec, exec, s[22:23]
	s_mov_b64 s[22:23], 0
	global_store_byte v[0:1], v4, off
.LBB472_328:
	s_and_b64 vcc, exec, s[22:23]
	s_cbranch_vccz .LBB472_338
; %bb.329:
	v_and_b32_e32 v4, 0x7fffffff, v2
	s_mov_b32 s22, 0x43f00000
	v_cmp_gt_u32_e32 vcc, s22, v4
                                        ; implicit-def: $vgpr3
	s_and_saveexec_b64 s[22:23], vcc
	s_xor_b64 s[22:23], exec, s[22:23]
	s_cbranch_execz .LBB472_335
; %bb.330:
	s_mov_b32 s26, 0x3c7fffff
	v_cmp_lt_u32_e32 vcc, s26, v4
                                        ; implicit-def: $vgpr3
	s_and_saveexec_b64 s[26:27], vcc
	s_xor_b64 s[26:27], exec, s[26:27]
; %bb.331:
	v_bfe_u32 v3, v2, 20, 1
	s_mov_b32 s28, 0x407ffff
	v_add3_u32 v3, v2, v3, s28
	v_lshrrev_b32_e32 v4, 20, v3
	v_and_b32_e32 v3, 0xff00000, v3
	s_mov_b32 s28, 0x7f00000
	v_mov_b32_e32 v6, 0x7e
	v_cmp_ne_u32_e32 vcc, s28, v3
	s_nop 1
	v_cndmask_b32_e32 v3, v6, v4, vcc
; %bb.332:
	s_andn2_saveexec_b64 s[26:27], s[26:27]
; %bb.333:
	s_mov_b32 s28, 0x46800000
	v_add_f32_e64 v3, |v2|, s28
; %bb.334:
	s_or_b64 exec, exec, s[26:27]
                                        ; implicit-def: $vgpr4
.LBB472_335:
	s_andn2_saveexec_b64 s[22:23], s[22:23]
; %bb.336:
	s_mov_b32 s26, 0x7f800000
	v_mov_b32_e32 v3, 0x7e
	v_mov_b32_e32 v6, 0x7f
	v_cmp_lt_u32_e32 vcc, s26, v4
	s_nop 1
	v_cndmask_b32_e32 v3, v3, v6, vcc
; %bb.337:
	s_or_b64 exec, exec, s[22:23]
	v_lshrrev_b32_e32 v4, 24, v2
	s_movk_i32 s22, 0x80
	v_and_or_b32 v3, v4, s22, v3
	global_store_byte v[0:1], v3, off
.LBB472_338:
	s_mov_b64 s[22:23], 0
.LBB472_339:
	s_andn2_b64 vcc, exec, s[22:23]
	s_cbranch_vccnz .LBB472_349
; %bb.340:
	v_and_b32_e32 v4, 0x7fffffff, v2
	s_mov_b32 s22, 0x47800000
	v_cmp_gt_u32_e32 vcc, s22, v4
                                        ; implicit-def: $vgpr3
	s_and_saveexec_b64 s[22:23], vcc
	s_xor_b64 s[22:23], exec, s[22:23]
	s_cbranch_execz .LBB472_346
; %bb.341:
	s_mov_b32 s26, 0x387fffff
	v_cmp_lt_u32_e32 vcc, s26, v4
                                        ; implicit-def: $vgpr3
	s_and_saveexec_b64 s[26:27], vcc
	s_xor_b64 s[26:27], exec, s[26:27]
; %bb.342:
	v_bfe_u32 v3, v2, 21, 1
	s_mov_b32 s28, 0x80fffff
	v_add3_u32 v3, v2, v3, s28
	v_lshrrev_b32_e32 v3, 21, v3
; %bb.343:
	s_andn2_saveexec_b64 s[26:27], s[26:27]
; %bb.344:
	s_mov_b32 s28, 0x43000000
	v_add_f32_e64 v3, |v2|, s28
; %bb.345:
	s_or_b64 exec, exec, s[26:27]
                                        ; implicit-def: $vgpr4
.LBB472_346:
	s_andn2_saveexec_b64 s[22:23], s[22:23]
; %bb.347:
	s_mov_b32 s26, 0x7f800000
	v_mov_b32_e32 v3, 0x7c
	v_mov_b32_e32 v6, 0x7f
	v_cmp_lt_u32_e32 vcc, s26, v4
	s_nop 1
	v_cndmask_b32_e32 v3, v3, v6, vcc
; %bb.348:
	s_or_b64 exec, exec, s[22:23]
	v_lshrrev_b32_e32 v4, 24, v2
	s_movk_i32 s22, 0x80
	v_and_or_b32 v3, v4, s22, v3
	global_store_byte v[0:1], v3, off
.LBB472_349:
	s_mov_b64 s[26:27], 0
	s_mov_b64 s[22:23], -1
.LBB472_350:
	s_andn2_b64 vcc, exec, s[26:27]
	s_cbranch_vccnz .LBB472_358
; %bb.351:
	s_cmp_gt_i32 s31, 14
	s_mov_b64 s[26:27], -1
	s_cbranch_scc0 .LBB472_355
; %bb.352:
	s_cmp_eq_u32 s31, 15
	s_mov_b64 s[0:1], -1
	s_cbranch_scc0 .LBB472_354
; %bb.353:
	v_bfe_u32 v3, v2, 16, 1
	s_movk_i32 s0, 0x7fff
	v_add3_u32 v3, v2, v3, s0
	v_cmp_o_f32_e32 vcc, v2, v2
	v_mov_b32_e32 v4, 0x7fc0
	s_mov_b64 s[22:23], -1
	v_cndmask_b32_sdwa v3, v4, v3, vcc dst_sel:DWORD dst_unused:UNUSED_PAD src0_sel:DWORD src1_sel:WORD_1
	global_store_short v[0:1], v3, off
	s_mov_b64 s[0:1], 0
.LBB472_354:
	s_mov_b64 s[26:27], 0
.LBB472_355:
	s_and_b64 vcc, exec, s[26:27]
	s_cbranch_vccz .LBB472_358
; %bb.356:
	s_cmp_eq_u32 s31, 11
	s_mov_b64 s[0:1], -1
	s_cbranch_scc0 .LBB472_358
; %bb.357:
	v_cmp_neq_f32_e32 vcc, 0, v2
	s_mov_b64 s[22:23], -1
	s_mov_b64 s[0:1], 0
	v_cndmask_b32_e64 v3, 0, 1, vcc
	global_store_byte v[0:1], v3, off
.LBB472_358:
	s_mov_b64 s[26:27], 0
.LBB472_359:
	s_and_b64 vcc, exec, s[26:27]
	s_cbranch_vccz .LBB472_398
; %bb.360:
	s_and_b32 s26, 0xffff, s30
	s_cmp_lt_i32 s26, 5
	s_mov_b64 s[22:23], -1
	s_cbranch_scc1 .LBB472_381
; %bb.361:
	s_cmp_lt_i32 s26, 8
	s_cbranch_scc1 .LBB472_371
; %bb.362:
	s_cmp_lt_i32 s26, 9
	s_cbranch_scc1 .LBB472_368
; %bb.363:
	s_cmp_gt_i32 s26, 9
	s_cbranch_scc0 .LBB472_365
; %bb.364:
	v_mov_b32_e32 v8, 0
	v_cvt_f64_f32_e32 v[6:7], v2
	v_mov_b32_e32 v9, v8
	s_mov_b64 s[22:23], 0
	global_store_dwordx4 v[0:1], v[6:9], off
.LBB472_365:
	s_andn2_b64 vcc, exec, s[22:23]
	s_cbranch_vccnz .LBB472_367
; %bb.366:
	v_mov_b32_e32 v3, 0
	global_store_dwordx2 v[0:1], v[2:3], off
.LBB472_367:
	s_mov_b64 s[22:23], 0
.LBB472_368:
	s_andn2_b64 vcc, exec, s[22:23]
	s_cbranch_vccnz .LBB472_370
; %bb.369:
	v_cvt_f16_f32_e32 v3, v2
	global_store_dword v[0:1], v3, off
.LBB472_370:
	s_mov_b64 s[22:23], 0
.LBB472_371:
	s_andn2_b64 vcc, exec, s[22:23]
	s_cbranch_vccnz .LBB472_380
; %bb.372:
	s_cmp_lt_i32 s26, 6
	s_mov_b64 s[22:23], -1
	s_cbranch_scc1 .LBB472_378
; %bb.373:
	s_cmp_gt_i32 s26, 6
	s_cbranch_scc0 .LBB472_375
; %bb.374:
	v_cvt_f64_f32_e32 v[6:7], v2
	s_mov_b64 s[22:23], 0
	global_store_dwordx2 v[0:1], v[6:7], off
.LBB472_375:
	s_andn2_b64 vcc, exec, s[22:23]
	s_cbranch_vccnz .LBB472_377
; %bb.376:
	global_store_dword v[0:1], v2, off
.LBB472_377:
	s_mov_b64 s[22:23], 0
.LBB472_378:
	s_andn2_b64 vcc, exec, s[22:23]
	s_cbranch_vccnz .LBB472_380
; %bb.379:
	v_cvt_f16_f32_e32 v3, v2
	global_store_short v[0:1], v3, off
.LBB472_380:
	s_mov_b64 s[22:23], 0
.LBB472_381:
	s_andn2_b64 vcc, exec, s[22:23]
	s_cbranch_vccnz .LBB472_397
; %bb.382:
	s_cmp_lt_i32 s26, 2
	s_mov_b64 s[22:23], -1
	s_cbranch_scc1 .LBB472_392
; %bb.383:
	s_cmp_lt_i32 s26, 3
	s_cbranch_scc1 .LBB472_389
; %bb.384:
	s_cmp_gt_i32 s26, 3
	s_cbranch_scc0 .LBB472_386
; %bb.385:
	v_trunc_f32_e32 v3, v2
	s_mov_b32 s22, 0x2f800000
	v_mul_f32_e64 v4, |v3|, s22
	v_floor_f32_e32 v4, v4
	s_mov_b32 s22, 0xcf800000
	v_cvt_u32_f32_e32 v6, v4
	v_fma_f32 v4, v4, s22, |v3|
	v_cvt_u32_f32_e32 v4, v4
	v_ashrrev_i32_e32 v3, 31, v3
	v_xor_b32_e32 v7, v6, v3
	s_mov_b64 s[22:23], 0
	v_xor_b32_e32 v4, v4, v3
	v_sub_co_u32_e32 v6, vcc, v4, v3
	s_nop 1
	v_subb_co_u32_e32 v7, vcc, v7, v3, vcc
	global_store_dwordx2 v[0:1], v[6:7], off
.LBB472_386:
	s_andn2_b64 vcc, exec, s[22:23]
	s_cbranch_vccnz .LBB472_388
; %bb.387:
	v_cvt_i32_f32_e32 v3, v2
	global_store_dword v[0:1], v3, off
.LBB472_388:
	s_mov_b64 s[22:23], 0
.LBB472_389:
	s_andn2_b64 vcc, exec, s[22:23]
	s_cbranch_vccnz .LBB472_391
; %bb.390:
	v_cvt_i32_f32_e32 v3, v2
	global_store_short v[0:1], v3, off
.LBB472_391:
	s_mov_b64 s[22:23], 0
.LBB472_392:
	s_andn2_b64 vcc, exec, s[22:23]
	s_cbranch_vccnz .LBB472_397
; %bb.393:
	s_cmp_gt_i32 s26, 0
	s_mov_b64 s[22:23], -1
	s_cbranch_scc0 .LBB472_395
; %bb.394:
	v_cvt_i32_f32_e32 v3, v2
	s_mov_b64 s[22:23], 0
	global_store_byte v[0:1], v3, off
.LBB472_395:
	s_andn2_b64 vcc, exec, s[22:23]
	s_cbranch_vccnz .LBB472_397
; %bb.396:
	v_trunc_f32_e32 v2, v2
	s_mov_b32 s22, 0x2f800000
	v_mul_f32_e64 v3, |v2|, s22
	v_floor_f32_e32 v3, v3
	s_mov_b32 s22, 0xcf800000
	v_fma_f32 v3, v3, s22, |v2|
	v_cvt_u32_f32_e32 v3, v3
	v_ashrrev_i32_e32 v2, 31, v2
	v_xor_b32_e32 v3, v3, v2
	v_sub_u32_e32 v2, v3, v2
	global_store_byte v[0:1], v2, off
.LBB472_397:
	s_mov_b64 s[22:23], -1
.LBB472_398:
	s_andn2_b64 vcc, exec, s[22:23]
	s_cbranch_vccnz .LBB472_400
; %bb.399:
	v_add_u32_e32 v5, 0x80, v5
	s_mov_b64 s[26:27], -1
	s_branch .LBB472_512
.LBB472_400:
	s_mov_b64 s[26:27], 0
                                        ; implicit-def: $vgpr5
	s_branch .LBB472_512
.LBB472_401:
	s_mov_b64 s[20:21], -1
                                        ; implicit-def: $vgpr2
.LBB472_402:
	s_mov_b64 s[22:23], 0
.LBB472_403:
	s_and_b64 vcc, exec, s[22:23]
	s_cbranch_vccz .LBB472_407
; %bb.404:
	s_cmp_eq_u32 s28, 29
	s_cbranch_scc0 .LBB472_406
; %bb.405:
	global_load_dwordx2 v[2:3], v[0:1], off
	s_mov_b64 s[0:1], -1
	s_mov_b64 s[20:21], 0
	s_mov_b64 s[22:23], 0
	s_waitcnt vmcnt(0)
	v_ffbh_u32_e32 v4, v3
	v_min_u32_e32 v4, 32, v4
	v_lshlrev_b64 v[2:3], v4, v[2:3]
	v_min_u32_e32 v2, 1, v2
	v_or_b32_e32 v2, v3, v2
	v_cvt_f32_u32_e32 v2, v2
	v_sub_u32_e32 v3, 32, v4
	v_ldexp_f32 v2, v2, v3
	s_branch .LBB472_408
.LBB472_406:
	s_mov_b64 s[20:21], -1
                                        ; implicit-def: $vgpr2
.LBB472_407:
	s_mov_b64 s[22:23], 0
.LBB472_408:
	s_and_b64 vcc, exec, s[22:23]
	s_cbranch_vccz .LBB472_426
; %bb.409:
	s_cmp_lt_i32 s28, 27
	s_cbranch_scc1 .LBB472_412
; %bb.410:
	s_cmp_gt_i32 s28, 27
	s_cbranch_scc0 .LBB472_413
; %bb.411:
	global_load_dword v2, v[0:1], off
	s_mov_b64 s[0:1], 0
	s_waitcnt vmcnt(0)
	v_cvt_f32_u32_e32 v2, v2
	s_branch .LBB472_414
.LBB472_412:
	s_mov_b64 s[0:1], -1
                                        ; implicit-def: $vgpr2
	s_branch .LBB472_417
.LBB472_413:
	s_mov_b64 s[0:1], -1
                                        ; implicit-def: $vgpr2
.LBB472_414:
	s_andn2_b64 vcc, exec, s[0:1]
	s_cbranch_vccnz .LBB472_416
; %bb.415:
	global_load_ushort v2, v[0:1], off
	s_waitcnt vmcnt(0)
	v_cvt_f32_u32_e32 v2, v2
.LBB472_416:
	s_mov_b64 s[0:1], 0
.LBB472_417:
	s_andn2_b64 vcc, exec, s[0:1]
	s_cbranch_vccnz .LBB472_425
; %bb.418:
	global_load_ubyte v3, v[0:1], off
	s_movk_i32 s0, 0x7f
	s_waitcnt vmcnt(0)
	v_cmp_lt_i16_e32 vcc, s0, v3
	s_mov_b64 s[0:1], 0
	s_and_saveexec_b64 s[22:23], vcc
	s_xor_b64 s[22:23], exec, s[22:23]
	s_cbranch_execz .LBB472_439
; %bb.419:
	s_movk_i32 s0, 0x80
	v_cmp_eq_u16_e32 vcc, s0, v3
	s_mov_b64 s[0:1], -1
	s_and_saveexec_b64 s[26:27], vcc
; %bb.420:
	s_xor_b64 s[0:1], exec, -1
; %bb.421:
	s_or_b64 exec, exec, s[26:27]
	s_and_b64 s[0:1], s[0:1], exec
	s_or_saveexec_b64 s[22:23], s[22:23]
	v_mov_b32_e32 v2, 0x7f800001
	s_xor_b64 exec, exec, s[22:23]
	s_cbranch_execnz .LBB472_440
.LBB472_422:
	s_or_b64 exec, exec, s[22:23]
	s_and_saveexec_b64 s[22:23], s[0:1]
	s_cbranch_execz .LBB472_424
.LBB472_423:
	v_lshlrev_b32_e32 v2, 24, v3
	v_and_b32_e32 v3, 0xffff, v3
	v_and_b32_e32 v4, 7, v3
	v_ffbh_u32_e32 v7, v4
	v_min_u32_e32 v7, 32, v7
	v_subrev_u32_e32 v8, 28, v7
	v_bfe_u32 v6, v3, 3, 4
	v_lshlrev_b32_e32 v3, v8, v3
	v_sub_u32_e32 v7, 29, v7
	v_and_b32_e32 v3, 7, v3
	v_cmp_eq_u32_e32 vcc, 0, v6
	v_and_b32_e32 v2, 0x80000000, v2
	s_nop 0
	v_cndmask_b32_e32 v6, v6, v7, vcc
	v_cndmask_b32_e32 v3, v4, v3, vcc
	v_mov_b32_e32 v4, 0x3b800000
	v_lshlrev_b32_e32 v3, 20, v3
	v_lshl_add_u32 v4, v6, 23, v4
	v_or3_b32 v2, v2, v4, v3
.LBB472_424:
	s_or_b64 exec, exec, s[22:23]
.LBB472_425:
	s_mov_b64 s[0:1], -1
.LBB472_426:
	s_mov_b64 s[22:23], 0
.LBB472_427:
	s_and_b64 vcc, exec, s[22:23]
	s_cbranch_vccz .LBB472_462
; %bb.428:
	s_cmp_gt_i32 s28, 22
	s_cbranch_scc0 .LBB472_438
; %bb.429:
	s_cmp_lt_i32 s28, 24
	s_cbranch_scc1 .LBB472_441
; %bb.430:
	s_cmp_gt_i32 s28, 24
	s_cbranch_scc0 .LBB472_442
; %bb.431:
	global_load_ubyte v3, v[0:1], off
	s_movk_i32 s0, 0x7f
	s_waitcnt vmcnt(0)
	v_cmp_lt_i16_e32 vcc, s0, v3
	s_mov_b64 s[0:1], 0
	s_and_saveexec_b64 s[22:23], vcc
	s_xor_b64 s[22:23], exec, s[22:23]
	s_cbranch_execz .LBB472_454
; %bb.432:
	s_movk_i32 s0, 0x80
	v_cmp_eq_u16_e32 vcc, s0, v3
	s_mov_b64 s[0:1], -1
	s_and_saveexec_b64 s[26:27], vcc
; %bb.433:
	s_xor_b64 s[0:1], exec, -1
; %bb.434:
	s_or_b64 exec, exec, s[26:27]
	s_and_b64 s[0:1], s[0:1], exec
	s_or_saveexec_b64 s[22:23], s[22:23]
	v_mov_b32_e32 v2, 0x7f800001
	s_xor_b64 exec, exec, s[22:23]
	s_cbranch_execnz .LBB472_455
.LBB472_435:
	s_or_b64 exec, exec, s[22:23]
	s_and_saveexec_b64 s[22:23], s[0:1]
	s_cbranch_execz .LBB472_437
.LBB472_436:
	v_lshlrev_b32_e32 v2, 24, v3
	v_and_b32_e32 v3, 0xffff, v3
	v_and_b32_e32 v4, 3, v3
	v_ffbh_u32_e32 v7, v4
	v_min_u32_e32 v7, 32, v7
	v_subrev_u32_e32 v8, 29, v7
	v_bfe_u32 v6, v3, 2, 5
	v_lshlrev_b32_e32 v3, v8, v3
	v_sub_u32_e32 v7, 30, v7
	v_and_b32_e32 v3, 3, v3
	v_cmp_eq_u32_e32 vcc, 0, v6
	v_and_b32_e32 v2, 0x80000000, v2
	s_nop 0
	v_cndmask_b32_e32 v6, v6, v7, vcc
	v_cndmask_b32_e32 v3, v4, v3, vcc
	v_mov_b32_e32 v4, 0x37800000
	v_lshlrev_b32_e32 v3, 21, v3
	v_lshl_add_u32 v4, v6, 23, v4
	v_or3_b32 v2, v2, v4, v3
.LBB472_437:
	s_or_b64 exec, exec, s[22:23]
	s_mov_b64 s[0:1], 0
	s_branch .LBB472_443
.LBB472_438:
	s_mov_b64 s[22:23], -1
                                        ; implicit-def: $vgpr2
	s_branch .LBB472_449
.LBB472_439:
	s_or_saveexec_b64 s[22:23], s[22:23]
	v_mov_b32_e32 v2, 0x7f800001
	s_xor_b64 exec, exec, s[22:23]
	s_cbranch_execz .LBB472_422
.LBB472_440:
	v_cmp_ne_u16_e32 vcc, 0, v3
	s_andn2_b64 s[0:1], s[0:1], exec
	s_and_b64 s[26:27], vcc, exec
	v_mov_b32_e32 v2, 0
	s_or_b64 s[0:1], s[0:1], s[26:27]
	s_or_b64 exec, exec, s[22:23]
	s_and_saveexec_b64 s[22:23], s[0:1]
	s_cbranch_execnz .LBB472_423
	s_branch .LBB472_424
.LBB472_441:
	s_mov_b64 s[0:1], -1
                                        ; implicit-def: $vgpr2
	s_branch .LBB472_446
.LBB472_442:
	s_mov_b64 s[0:1], -1
                                        ; implicit-def: $vgpr2
.LBB472_443:
	s_and_b64 vcc, exec, s[0:1]
	s_cbranch_vccz .LBB472_445
; %bb.444:
	global_load_ubyte v2, v[0:1], off
	s_mov_b32 s0, 0x7f800000
	s_waitcnt vmcnt(0)
	v_lshlrev_b32_e32 v2, 24, v2
	v_and_b32_e32 v3, 0x7f000000, v2
	v_ffbh_u32_e32 v4, v3
	v_min_u32_e32 v4, 32, v4
	v_sub_u32_e64 v4, v4, 4 clamp
	v_lshlrev_b32_e32 v7, v4, v3
	v_lshlrev_b32_e32 v4, 23, v4
	v_lshrrev_b32_e32 v7, 4, v7
	v_add_u32_e32 v6, 0x1000000, v3
	v_sub_u32_e32 v4, v7, v4
	v_ashrrev_i32_e32 v6, 8, v6
	v_add_u32_e32 v4, 0x3c000000, v4
	v_and_or_b32 v4, v6, s0, v4
	v_cmp_ne_u32_e32 vcc, 0, v3
	s_brev_b32 s0, 1
	s_nop 0
	v_cndmask_b32_e32 v3, 0, v4, vcc
	v_and_or_b32 v2, v2, s0, v3
.LBB472_445:
	s_mov_b64 s[0:1], 0
.LBB472_446:
	s_andn2_b64 vcc, exec, s[0:1]
	s_cbranch_vccnz .LBB472_448
; %bb.447:
	global_load_ubyte v2, v[0:1], off
	s_movk_i32 s0, 0x7f00
	s_brev_b32 s1, 16
	s_waitcnt vmcnt(0)
	v_lshlrev_b16_e32 v3, 8, v2
	v_lshlrev_b32_e32 v2, 25, v2
	v_lshrrev_b32_e32 v4, 4, v2
	v_and_or_b32 v6, v3, s0, 0.5
	v_or_b32_e32 v4, 0x70000000, v4
	v_add_f32_e32 v6, -0.5, v6
	v_mul_f32_e32 v4, 0x7800000, v4
	v_cmp_gt_u32_e32 vcc, s1, v2
	v_bfe_i32 v3, v3, 0, 16
	s_brev_b32 s0, 1
	v_cndmask_b32_e32 v2, v4, v6, vcc
	v_and_or_b32 v2, v3, s0, v2
.LBB472_448:
	s_mov_b64 s[22:23], 0
	s_mov_b64 s[0:1], -1
.LBB472_449:
	s_andn2_b64 vcc, exec, s[22:23]
	s_cbranch_vccnz .LBB472_462
; %bb.450:
	s_cmp_gt_i32 s28, 14
	s_cbranch_scc0 .LBB472_453
; %bb.451:
	s_cmp_eq_u32 s28, 15
	s_cbranch_scc0 .LBB472_456
; %bb.452:
	global_load_ushort v2, v[0:1], off
	s_mov_b64 s[0:1], -1
	s_mov_b64 s[20:21], 0
	s_waitcnt vmcnt(0)
	v_lshlrev_b32_e32 v2, 16, v2
	s_branch .LBB472_457
.LBB472_453:
	s_mov_b64 s[22:23], -1
                                        ; implicit-def: $vgpr2
	s_branch .LBB472_458
.LBB472_454:
	s_or_saveexec_b64 s[22:23], s[22:23]
	v_mov_b32_e32 v2, 0x7f800001
	s_xor_b64 exec, exec, s[22:23]
	s_cbranch_execz .LBB472_435
.LBB472_455:
	v_cmp_ne_u16_e32 vcc, 0, v3
	s_andn2_b64 s[0:1], s[0:1], exec
	s_and_b64 s[26:27], vcc, exec
	v_mov_b32_e32 v2, 0
	s_or_b64 s[0:1], s[0:1], s[26:27]
	s_or_b64 exec, exec, s[22:23]
	s_and_saveexec_b64 s[22:23], s[0:1]
	s_cbranch_execnz .LBB472_436
	s_branch .LBB472_437
.LBB472_456:
	s_mov_b64 s[20:21], -1
                                        ; implicit-def: $vgpr2
.LBB472_457:
	s_mov_b64 s[22:23], 0
.LBB472_458:
	s_and_b64 vcc, exec, s[22:23]
	s_cbranch_vccz .LBB472_462
; %bb.459:
	s_cmp_eq_u32 s28, 11
	s_cbranch_scc0 .LBB472_461
; %bb.460:
	global_load_ubyte v2, v[0:1], off
	s_mov_b64 s[0:1], -1
	s_mov_b64 s[20:21], 0
	s_waitcnt vmcnt(0)
	v_cmp_ne_u16_e32 vcc, 0, v2
	s_nop 1
	v_cndmask_b32_e64 v2, 0, 1.0, vcc
	s_branch .LBB472_462
.LBB472_461:
	s_mov_b64 s[20:21], -1
                                        ; implicit-def: $vgpr2
.LBB472_462:
	s_branch .LBB472_265
.LBB472_463:
	s_cmp_lt_i32 s28, 5
	s_cbranch_scc1 .LBB472_468
; %bb.464:
	s_cmp_lt_i32 s28, 8
	s_cbranch_scc1 .LBB472_469
; %bb.465:
	;; [unrolled: 3-line block ×3, first 2 shown]
	s_cmp_gt_i32 s28, 9
	s_cbranch_scc0 .LBB472_471
; %bb.467:
	global_load_dwordx2 v[2:3], v[0:1], off
	s_mov_b64 s[0:1], 0
	s_waitcnt vmcnt(0)
	v_cvt_f32_f64_e32 v2, v[2:3]
	s_branch .LBB472_472
.LBB472_468:
	s_mov_b64 s[0:1], -1
                                        ; implicit-def: $vgpr2
	s_branch .LBB472_490
.LBB472_469:
	s_mov_b64 s[0:1], -1
                                        ; implicit-def: $vgpr2
	s_branch .LBB472_478
.LBB472_470:
	s_mov_b64 s[0:1], -1
                                        ; implicit-def: $vgpr2
	s_branch .LBB472_475
.LBB472_471:
	s_mov_b64 s[0:1], -1
                                        ; implicit-def: $vgpr2
.LBB472_472:
	s_andn2_b64 vcc, exec, s[0:1]
	s_cbranch_vccnz .LBB472_474
; %bb.473:
	global_load_dword v2, v[0:1], off
.LBB472_474:
	s_mov_b64 s[0:1], 0
.LBB472_475:
	s_andn2_b64 vcc, exec, s[0:1]
	s_cbranch_vccnz .LBB472_477
; %bb.476:
	global_load_dword v2, v[0:1], off
	s_waitcnt vmcnt(0)
	v_cvt_f32_f16_e32 v2, v2
.LBB472_477:
	s_mov_b64 s[0:1], 0
.LBB472_478:
	s_andn2_b64 vcc, exec, s[0:1]
	s_cbranch_vccnz .LBB472_489
; %bb.479:
	s_cmp_lt_i32 s28, 6
	s_cbranch_scc1 .LBB472_482
; %bb.480:
	s_cmp_gt_i32 s28, 6
	s_cbranch_scc0 .LBB472_483
; %bb.481:
	global_load_dwordx2 v[2:3], v[0:1], off
	s_mov_b64 s[0:1], 0
	s_waitcnt vmcnt(0)
	v_cvt_f32_f64_e32 v2, v[2:3]
	s_branch .LBB472_484
.LBB472_482:
	s_mov_b64 s[0:1], -1
                                        ; implicit-def: $vgpr2
	s_branch .LBB472_487
.LBB472_483:
	s_mov_b64 s[0:1], -1
                                        ; implicit-def: $vgpr2
.LBB472_484:
	s_andn2_b64 vcc, exec, s[0:1]
	s_cbranch_vccnz .LBB472_486
; %bb.485:
	global_load_dword v2, v[0:1], off
.LBB472_486:
	s_mov_b64 s[0:1], 0
.LBB472_487:
	s_andn2_b64 vcc, exec, s[0:1]
	s_cbranch_vccnz .LBB472_489
; %bb.488:
	global_load_ushort v2, v[0:1], off
	s_waitcnt vmcnt(0)
	v_cvt_f32_f16_e32 v2, v2
.LBB472_489:
	s_mov_b64 s[0:1], 0
.LBB472_490:
	s_andn2_b64 vcc, exec, s[0:1]
	s_cbranch_vccnz .LBB472_510
; %bb.491:
	s_cmp_lt_i32 s28, 2
	s_cbranch_scc1 .LBB472_495
; %bb.492:
	s_cmp_lt_i32 s28, 3
	s_cbranch_scc1 .LBB472_496
; %bb.493:
	s_cmp_gt_i32 s28, 3
	s_cbranch_scc0 .LBB472_497
; %bb.494:
	global_load_dwordx2 v[2:3], v[0:1], off
	s_mov_b64 s[0:1], 0
	s_waitcnt vmcnt(0)
	v_xor_b32_e32 v6, v2, v3
	v_ffbh_i32_e32 v4, v3
	v_ashrrev_i32_e32 v6, 31, v6
	v_add_u32_e32 v4, -1, v4
	v_add_u32_e32 v6, 32, v6
	v_min_u32_e32 v4, v4, v6
	v_lshlrev_b64 v[2:3], v4, v[2:3]
	v_min_u32_e32 v2, 1, v2
	v_or_b32_e32 v2, v3, v2
	v_cvt_f32_i32_e32 v2, v2
	v_sub_u32_e32 v3, 32, v4
	v_ldexp_f32 v2, v2, v3
	s_branch .LBB472_498
.LBB472_495:
	s_mov_b64 s[0:1], -1
                                        ; implicit-def: $vgpr2
	s_branch .LBB472_504
.LBB472_496:
	s_mov_b64 s[0:1], -1
                                        ; implicit-def: $vgpr2
	s_branch .LBB472_501
.LBB472_497:
	s_mov_b64 s[0:1], -1
                                        ; implicit-def: $vgpr2
.LBB472_498:
	s_andn2_b64 vcc, exec, s[0:1]
	s_cbranch_vccnz .LBB472_500
; %bb.499:
	global_load_dword v2, v[0:1], off
	s_waitcnt vmcnt(0)
	v_cvt_f32_i32_e32 v2, v2
.LBB472_500:
	s_mov_b64 s[0:1], 0
.LBB472_501:
	s_andn2_b64 vcc, exec, s[0:1]
	s_cbranch_vccnz .LBB472_503
; %bb.502:
	global_load_sshort v2, v[0:1], off
	s_waitcnt vmcnt(0)
	v_cvt_f32_i32_e32 v2, v2
.LBB472_503:
	s_mov_b64 s[0:1], 0
.LBB472_504:
	s_andn2_b64 vcc, exec, s[0:1]
	s_cbranch_vccnz .LBB472_510
; %bb.505:
	s_cmp_gt_i32 s28, 0
	s_cbranch_scc0 .LBB472_507
; %bb.506:
	global_load_sbyte v2, v[0:1], off
	s_mov_b64 s[0:1], 0
	s_waitcnt vmcnt(0)
	v_cvt_f32_i32_e32 v2, v2
	s_branch .LBB472_508
.LBB472_507:
	s_mov_b64 s[0:1], -1
                                        ; implicit-def: $vgpr2
.LBB472_508:
	s_andn2_b64 vcc, exec, s[0:1]
	s_cbranch_vccnz .LBB472_510
; %bb.509:
	global_load_ubyte v0, v[0:1], off
	s_waitcnt vmcnt(0)
	v_cvt_f32_ubyte0_e32 v2, v0
.LBB472_510:
	s_branch .LBB472_266
.LBB472_511:
	s_mov_b64 s[26:27], 0
                                        ; implicit-def: $vgpr5
	s_mov_b64 s[0:1], s[14:15]
.LBB472_512:
	s_andn2_b64 s[22:23], s[14:15], exec
	s_and_b64 s[0:1], s[0:1], exec
	s_or_b64 s[22:23], s[22:23], s[0:1]
	s_andn2_b64 s[0:1], s[16:17], exec
	s_and_b64 s[20:21], s[20:21], exec
	s_or_b64 s[20:21], s[0:1], s[20:21]
	s_orn2_b64 s[0:1], s[26:27], exec
.LBB472_513:
	s_or_b64 exec, exec, s[24:25]
	s_mov_b64 s[26:27], 0
	s_mov_b64 s[28:29], 0
	;; [unrolled: 1-line block ×3, first 2 shown]
                                        ; implicit-def: $vgpr0_vgpr1
                                        ; implicit-def: $vgpr3
	s_and_saveexec_b64 s[24:25], s[0:1]
	s_cbranch_execz .LBB472_858
; %bb.514:
	v_cmp_gt_i32_e32 vcc, s40, v5
	s_mov_b64 s[36:37], -1
	s_mov_b64 s[0:1], s[20:21]
	s_mov_b64 s[30:31], s[22:23]
	s_and_saveexec_b64 s[26:27], vcc
	s_cbranch_execz .LBB472_772
; %bb.515:
	v_mul_lo_u32 v0, v5, s9
	v_ashrrev_i32_e32 v1, 31, v0
	s_and_b32 s36, 0xffff, s11
	s_cmp_lt_i32 s36, 11
	v_lshl_add_u64 v[0:1], s[6:7], 0, v[0:1]
	s_cbranch_scc1 .LBB472_522
; %bb.516:
	s_cmp_gt_i32 s36, 25
	s_cbranch_scc0 .LBB472_523
; %bb.517:
	s_cmp_gt_i32 s36, 28
	s_cbranch_scc0 .LBB472_524
	;; [unrolled: 3-line block ×4, first 2 shown]
; %bb.520:
	s_cmp_eq_u32 s36, 46
	s_mov_b64 s[30:31], 0
	s_cbranch_scc0 .LBB472_531
; %bb.521:
	global_load_dword v2, v[0:1], off
	s_mov_b64 s[0:1], -1
	s_waitcnt vmcnt(0)
	v_lshlrev_b32_e32 v2, 16, v2
	s_branch .LBB472_532
.LBB472_522:
	s_mov_b64 s[30:31], -1
	s_mov_b64 s[0:1], 0
                                        ; implicit-def: $vgpr2
	s_mov_b64 s[28:29], s[20:21]
	s_branch .LBB472_597
.LBB472_523:
	s_mov_b64 s[30:31], -1
	s_mov_b64 s[0:1], 0
	s_mov_b64 s[28:29], s[20:21]
                                        ; implicit-def: $vgpr2
	s_branch .LBB472_561
.LBB472_524:
	s_mov_b64 s[30:31], -1
	s_mov_b64 s[0:1], 0
	s_mov_b64 s[28:29], s[20:21]
                                        ; implicit-def: $vgpr2
	s_branch .LBB472_542
.LBB472_525:
	s_mov_b64 s[30:31], -1
	s_mov_b64 s[0:1], 0
	s_mov_b64 s[28:29], s[20:21]
                                        ; implicit-def: $vgpr2
	s_branch .LBB472_537
.LBB472_526:
	s_andn2_saveexec_b64 s[28:29], s[28:29]
	s_cbranch_execz .LBB472_311
.LBB472_527:
	s_mov_b32 s34, 0x46000000
	v_add_f32_e64 v3, |v2|, s34
	v_and_b32_e32 v3, 0xff, v3
	v_cmp_ne_u32_e32 vcc, 0, v3
	s_andn2_b64 s[26:27], s[26:27], exec
	s_and_b64 s[34:35], vcc, exec
	s_or_b64 s[26:27], s[26:27], s[34:35]
	s_or_b64 exec, exec, s[28:29]
	v_mov_b32_e32 v4, 0
	s_and_saveexec_b64 s[28:29], s[26:27]
	s_cbranch_execnz .LBB472_312
	s_branch .LBB472_313
.LBB472_528:
	s_mov_b64 s[30:31], -1
	s_mov_b64 s[0:1], 0
	s_mov_b64 s[28:29], s[20:21]
                                        ; implicit-def: $vgpr2
	s_branch .LBB472_532
.LBB472_529:
	s_andn2_saveexec_b64 s[28:29], s[28:29]
	s_cbranch_execz .LBB472_324
.LBB472_530:
	s_mov_b32 s34, 0x42800000
	v_add_f32_e64 v3, |v2|, s34
	v_and_b32_e32 v3, 0xff, v3
	v_cmp_ne_u32_e32 vcc, 0, v3
	s_andn2_b64 s[26:27], s[26:27], exec
	s_and_b64 s[34:35], vcc, exec
	s_or_b64 s[26:27], s[26:27], s[34:35]
	s_or_b64 exec, exec, s[28:29]
	v_mov_b32_e32 v4, 0
	s_and_saveexec_b64 s[28:29], s[26:27]
	s_cbranch_execnz .LBB472_325
	s_branch .LBB472_326
.LBB472_531:
	s_mov_b64 s[28:29], -1
                                        ; implicit-def: $vgpr2
	s_mov_b64 s[0:1], 0
.LBB472_532:
	s_and_b64 vcc, exec, s[30:31]
	s_cbranch_vccz .LBB472_536
; %bb.533:
	s_cmp_eq_u32 s36, 44
	s_cbranch_scc0 .LBB472_535
; %bb.534:
	global_load_ubyte v2, v[0:1], off
	s_movk_i32 s28, 0xff
	v_mov_b32_e32 v3, 0x7f800001
	v_mov_b32_e32 v4, 0x400000
	s_mov_b64 s[0:1], -1
	s_waitcnt vmcnt(0)
	v_lshlrev_b32_e32 v6, 23, v2
	v_cmp_ne_u32_e32 vcc, s28, v2
	s_mov_b64 s[28:29], 0
	s_nop 0
	v_cndmask_b32_e32 v3, v3, v6, vcc
	v_cmp_ne_u32_e32 vcc, 0, v2
	s_nop 1
	v_cndmask_b32_e32 v2, v4, v3, vcc
	s_branch .LBB472_536
.LBB472_535:
	s_mov_b64 s[28:29], -1
                                        ; implicit-def: $vgpr2
.LBB472_536:
	s_mov_b64 s[30:31], 0
.LBB472_537:
	s_and_b64 vcc, exec, s[30:31]
	s_cbranch_vccz .LBB472_541
; %bb.538:
	s_cmp_eq_u32 s36, 29
	s_cbranch_scc0 .LBB472_540
; %bb.539:
	global_load_dwordx2 v[2:3], v[0:1], off
	s_mov_b64 s[0:1], -1
	s_mov_b64 s[28:29], 0
	s_mov_b64 s[30:31], 0
	s_waitcnt vmcnt(0)
	v_ffbh_u32_e32 v4, v3
	v_min_u32_e32 v4, 32, v4
	v_lshlrev_b64 v[2:3], v4, v[2:3]
	v_min_u32_e32 v2, 1, v2
	v_or_b32_e32 v2, v3, v2
	v_cvt_f32_u32_e32 v2, v2
	v_sub_u32_e32 v3, 32, v4
	v_ldexp_f32 v2, v2, v3
	s_branch .LBB472_542
.LBB472_540:
	s_mov_b64 s[28:29], -1
                                        ; implicit-def: $vgpr2
.LBB472_541:
	s_mov_b64 s[30:31], 0
.LBB472_542:
	s_and_b64 vcc, exec, s[30:31]
	s_cbranch_vccz .LBB472_560
; %bb.543:
	s_cmp_lt_i32 s36, 27
	s_cbranch_scc1 .LBB472_546
; %bb.544:
	s_cmp_gt_i32 s36, 27
	s_cbranch_scc0 .LBB472_547
; %bb.545:
	global_load_dword v2, v[0:1], off
	s_mov_b64 s[0:1], 0
	s_waitcnt vmcnt(0)
	v_cvt_f32_u32_e32 v2, v2
	s_branch .LBB472_548
.LBB472_546:
	s_mov_b64 s[0:1], -1
                                        ; implicit-def: $vgpr2
	s_branch .LBB472_551
.LBB472_547:
	s_mov_b64 s[0:1], -1
                                        ; implicit-def: $vgpr2
.LBB472_548:
	s_andn2_b64 vcc, exec, s[0:1]
	s_cbranch_vccnz .LBB472_550
; %bb.549:
	global_load_ushort v2, v[0:1], off
	s_waitcnt vmcnt(0)
	v_cvt_f32_u32_e32 v2, v2
.LBB472_550:
	s_mov_b64 s[0:1], 0
.LBB472_551:
	s_andn2_b64 vcc, exec, s[0:1]
	s_cbranch_vccnz .LBB472_559
; %bb.552:
	global_load_ubyte v3, v[0:1], off
	s_movk_i32 s0, 0x7f
	s_waitcnt vmcnt(0)
	v_cmp_lt_i16_e32 vcc, s0, v3
	s_mov_b64 s[0:1], 0
	s_and_saveexec_b64 s[30:31], vcc
	s_xor_b64 s[30:31], exec, s[30:31]
	s_cbranch_execz .LBB472_573
; %bb.553:
	s_movk_i32 s0, 0x80
	v_cmp_eq_u16_e32 vcc, s0, v3
	s_mov_b64 s[0:1], -1
	s_and_saveexec_b64 s[34:35], vcc
; %bb.554:
	s_xor_b64 s[0:1], exec, -1
; %bb.555:
	s_or_b64 exec, exec, s[34:35]
	s_and_b64 s[0:1], s[0:1], exec
	s_or_saveexec_b64 s[30:31], s[30:31]
	v_mov_b32_e32 v2, 0x7f800001
	s_xor_b64 exec, exec, s[30:31]
	s_cbranch_execnz .LBB472_574
.LBB472_556:
	s_or_b64 exec, exec, s[30:31]
	s_and_saveexec_b64 s[30:31], s[0:1]
	s_cbranch_execz .LBB472_558
.LBB472_557:
	v_lshlrev_b32_e32 v2, 24, v3
	v_and_b32_e32 v3, 0xffff, v3
	v_and_b32_e32 v4, 7, v3
	v_ffbh_u32_e32 v7, v4
	v_min_u32_e32 v7, 32, v7
	v_subrev_u32_e32 v8, 28, v7
	v_bfe_u32 v6, v3, 3, 4
	v_lshlrev_b32_e32 v3, v8, v3
	v_sub_u32_e32 v7, 29, v7
	v_and_b32_e32 v3, 7, v3
	v_cmp_eq_u32_e32 vcc, 0, v6
	v_and_b32_e32 v2, 0x80000000, v2
	s_nop 0
	v_cndmask_b32_e32 v6, v6, v7, vcc
	v_cndmask_b32_e32 v3, v4, v3, vcc
	v_mov_b32_e32 v4, 0x3b800000
	v_lshlrev_b32_e32 v3, 20, v3
	v_lshl_add_u32 v4, v6, 23, v4
	v_or3_b32 v2, v2, v4, v3
.LBB472_558:
	s_or_b64 exec, exec, s[30:31]
.LBB472_559:
	s_mov_b64 s[0:1], -1
.LBB472_560:
	s_mov_b64 s[30:31], 0
.LBB472_561:
	s_and_b64 vcc, exec, s[30:31]
	s_cbranch_vccz .LBB472_596
; %bb.562:
	s_cmp_gt_i32 s36, 22
	s_cbranch_scc0 .LBB472_572
; %bb.563:
	s_cmp_lt_i32 s36, 24
	s_cbranch_scc1 .LBB472_575
; %bb.564:
	s_cmp_gt_i32 s36, 24
	s_cbranch_scc0 .LBB472_576
; %bb.565:
	global_load_ubyte v3, v[0:1], off
	s_movk_i32 s0, 0x7f
	s_waitcnt vmcnt(0)
	v_cmp_lt_i16_e32 vcc, s0, v3
	s_mov_b64 s[0:1], 0
	s_and_saveexec_b64 s[30:31], vcc
	s_xor_b64 s[30:31], exec, s[30:31]
	s_cbranch_execz .LBB472_588
; %bb.566:
	s_movk_i32 s0, 0x80
	v_cmp_eq_u16_e32 vcc, s0, v3
	s_mov_b64 s[0:1], -1
	s_and_saveexec_b64 s[34:35], vcc
; %bb.567:
	s_xor_b64 s[0:1], exec, -1
; %bb.568:
	s_or_b64 exec, exec, s[34:35]
	s_and_b64 s[0:1], s[0:1], exec
	s_or_saveexec_b64 s[30:31], s[30:31]
	v_mov_b32_e32 v2, 0x7f800001
	s_xor_b64 exec, exec, s[30:31]
	s_cbranch_execnz .LBB472_589
.LBB472_569:
	s_or_b64 exec, exec, s[30:31]
	s_and_saveexec_b64 s[30:31], s[0:1]
	s_cbranch_execz .LBB472_571
.LBB472_570:
	v_lshlrev_b32_e32 v2, 24, v3
	v_and_b32_e32 v3, 0xffff, v3
	v_and_b32_e32 v4, 3, v3
	v_ffbh_u32_e32 v7, v4
	v_min_u32_e32 v7, 32, v7
	v_subrev_u32_e32 v8, 29, v7
	v_bfe_u32 v6, v3, 2, 5
	v_lshlrev_b32_e32 v3, v8, v3
	v_sub_u32_e32 v7, 30, v7
	v_and_b32_e32 v3, 3, v3
	v_cmp_eq_u32_e32 vcc, 0, v6
	v_and_b32_e32 v2, 0x80000000, v2
	s_nop 0
	v_cndmask_b32_e32 v6, v6, v7, vcc
	v_cndmask_b32_e32 v3, v4, v3, vcc
	v_mov_b32_e32 v4, 0x37800000
	v_lshlrev_b32_e32 v3, 21, v3
	v_lshl_add_u32 v4, v6, 23, v4
	v_or3_b32 v2, v2, v4, v3
.LBB472_571:
	s_or_b64 exec, exec, s[30:31]
	s_mov_b64 s[0:1], 0
	s_branch .LBB472_577
.LBB472_572:
	s_mov_b64 s[30:31], -1
                                        ; implicit-def: $vgpr2
	s_branch .LBB472_583
.LBB472_573:
	s_or_saveexec_b64 s[30:31], s[30:31]
	v_mov_b32_e32 v2, 0x7f800001
	s_xor_b64 exec, exec, s[30:31]
	s_cbranch_execz .LBB472_556
.LBB472_574:
	v_cmp_ne_u16_e32 vcc, 0, v3
	s_andn2_b64 s[0:1], s[0:1], exec
	s_and_b64 s[34:35], vcc, exec
	v_mov_b32_e32 v2, 0
	s_or_b64 s[0:1], s[0:1], s[34:35]
	s_or_b64 exec, exec, s[30:31]
	s_and_saveexec_b64 s[30:31], s[0:1]
	s_cbranch_execnz .LBB472_557
	s_branch .LBB472_558
.LBB472_575:
	s_mov_b64 s[0:1], -1
                                        ; implicit-def: $vgpr2
	s_branch .LBB472_580
.LBB472_576:
	s_mov_b64 s[0:1], -1
                                        ; implicit-def: $vgpr2
.LBB472_577:
	s_and_b64 vcc, exec, s[0:1]
	s_cbranch_vccz .LBB472_579
; %bb.578:
	global_load_ubyte v2, v[0:1], off
	s_mov_b32 s0, 0x7f800000
	s_waitcnt vmcnt(0)
	v_lshlrev_b32_e32 v2, 24, v2
	v_and_b32_e32 v3, 0x7f000000, v2
	v_ffbh_u32_e32 v4, v3
	v_min_u32_e32 v4, 32, v4
	v_sub_u32_e64 v4, v4, 4 clamp
	v_lshlrev_b32_e32 v7, v4, v3
	v_lshlrev_b32_e32 v4, 23, v4
	v_lshrrev_b32_e32 v7, 4, v7
	v_add_u32_e32 v6, 0x1000000, v3
	v_sub_u32_e32 v4, v7, v4
	v_ashrrev_i32_e32 v6, 8, v6
	v_add_u32_e32 v4, 0x3c000000, v4
	v_and_or_b32 v4, v6, s0, v4
	v_cmp_ne_u32_e32 vcc, 0, v3
	s_brev_b32 s0, 1
	s_nop 0
	v_cndmask_b32_e32 v3, 0, v4, vcc
	v_and_or_b32 v2, v2, s0, v3
.LBB472_579:
	s_mov_b64 s[0:1], 0
.LBB472_580:
	s_andn2_b64 vcc, exec, s[0:1]
	s_cbranch_vccnz .LBB472_582
; %bb.581:
	global_load_ubyte v2, v[0:1], off
	s_movk_i32 s0, 0x7f00
	s_brev_b32 s1, 16
	s_waitcnt vmcnt(0)
	v_lshlrev_b16_e32 v3, 8, v2
	v_lshlrev_b32_e32 v2, 25, v2
	v_lshrrev_b32_e32 v4, 4, v2
	v_and_or_b32 v6, v3, s0, 0.5
	v_or_b32_e32 v4, 0x70000000, v4
	v_add_f32_e32 v6, -0.5, v6
	v_mul_f32_e32 v4, 0x7800000, v4
	v_cmp_gt_u32_e32 vcc, s1, v2
	v_bfe_i32 v3, v3, 0, 16
	s_brev_b32 s0, 1
	v_cndmask_b32_e32 v2, v4, v6, vcc
	v_and_or_b32 v2, v3, s0, v2
.LBB472_582:
	s_mov_b64 s[30:31], 0
	s_mov_b64 s[0:1], -1
.LBB472_583:
	s_andn2_b64 vcc, exec, s[30:31]
	s_cbranch_vccnz .LBB472_596
; %bb.584:
	s_cmp_gt_i32 s36, 14
	s_cbranch_scc0 .LBB472_587
; %bb.585:
	s_cmp_eq_u32 s36, 15
	s_cbranch_scc0 .LBB472_590
; %bb.586:
	global_load_ushort v2, v[0:1], off
	s_mov_b64 s[0:1], -1
	s_mov_b64 s[28:29], 0
	s_waitcnt vmcnt(0)
	v_lshlrev_b32_e32 v2, 16, v2
	s_branch .LBB472_591
.LBB472_587:
	s_mov_b64 s[30:31], -1
                                        ; implicit-def: $vgpr2
	s_branch .LBB472_592
.LBB472_588:
	s_or_saveexec_b64 s[30:31], s[30:31]
	v_mov_b32_e32 v2, 0x7f800001
	s_xor_b64 exec, exec, s[30:31]
	s_cbranch_execz .LBB472_569
.LBB472_589:
	v_cmp_ne_u16_e32 vcc, 0, v3
	s_andn2_b64 s[0:1], s[0:1], exec
	s_and_b64 s[34:35], vcc, exec
	v_mov_b32_e32 v2, 0
	s_or_b64 s[0:1], s[0:1], s[34:35]
	s_or_b64 exec, exec, s[30:31]
	s_and_saveexec_b64 s[30:31], s[0:1]
	s_cbranch_execnz .LBB472_570
	s_branch .LBB472_571
.LBB472_590:
	s_mov_b64 s[28:29], -1
                                        ; implicit-def: $vgpr2
.LBB472_591:
	s_mov_b64 s[30:31], 0
.LBB472_592:
	s_and_b64 vcc, exec, s[30:31]
	s_cbranch_vccz .LBB472_596
; %bb.593:
	s_cmp_eq_u32 s36, 11
	s_cbranch_scc0 .LBB472_595
; %bb.594:
	global_load_ubyte v2, v[0:1], off
	s_mov_b64 s[0:1], -1
	s_mov_b64 s[28:29], 0
	s_waitcnt vmcnt(0)
	v_cmp_ne_u16_e32 vcc, 0, v2
	s_nop 1
	v_cndmask_b32_e64 v2, 0, 1.0, vcc
	s_branch .LBB472_596
.LBB472_595:
	s_mov_b64 s[28:29], -1
                                        ; implicit-def: $vgpr2
.LBB472_596:
	s_mov_b64 s[30:31], 0
.LBB472_597:
	s_and_b64 vcc, exec, s[30:31]
	s_cbranch_vccz .LBB472_646
; %bb.598:
	s_cmp_lt_i32 s36, 5
	s_cbranch_scc1 .LBB472_603
; %bb.599:
	s_cmp_lt_i32 s36, 8
	s_cbranch_scc1 .LBB472_604
	;; [unrolled: 3-line block ×3, first 2 shown]
; %bb.601:
	s_cmp_gt_i32 s36, 9
	s_cbranch_scc0 .LBB472_606
; %bb.602:
	global_load_dwordx2 v[2:3], v[0:1], off
	s_mov_b64 s[0:1], 0
	s_waitcnt vmcnt(0)
	v_cvt_f32_f64_e32 v2, v[2:3]
	s_branch .LBB472_607
.LBB472_603:
	s_mov_b64 s[0:1], -1
                                        ; implicit-def: $vgpr2
	s_branch .LBB472_625
.LBB472_604:
	s_mov_b64 s[0:1], -1
                                        ; implicit-def: $vgpr2
	s_branch .LBB472_613
.LBB472_605:
	s_mov_b64 s[0:1], -1
                                        ; implicit-def: $vgpr2
	s_branch .LBB472_610
.LBB472_606:
	s_mov_b64 s[0:1], -1
                                        ; implicit-def: $vgpr2
.LBB472_607:
	s_andn2_b64 vcc, exec, s[0:1]
	s_cbranch_vccnz .LBB472_609
; %bb.608:
	global_load_dword v2, v[0:1], off
.LBB472_609:
	s_mov_b64 s[0:1], 0
.LBB472_610:
	s_andn2_b64 vcc, exec, s[0:1]
	s_cbranch_vccnz .LBB472_612
; %bb.611:
	global_load_dword v2, v[0:1], off
	s_waitcnt vmcnt(0)
	v_cvt_f32_f16_e32 v2, v2
.LBB472_612:
	s_mov_b64 s[0:1], 0
.LBB472_613:
	s_andn2_b64 vcc, exec, s[0:1]
	s_cbranch_vccnz .LBB472_624
; %bb.614:
	s_cmp_lt_i32 s36, 6
	s_cbranch_scc1 .LBB472_617
; %bb.615:
	s_cmp_gt_i32 s36, 6
	s_cbranch_scc0 .LBB472_618
; %bb.616:
	global_load_dwordx2 v[2:3], v[0:1], off
	s_mov_b64 s[0:1], 0
	s_waitcnt vmcnt(0)
	v_cvt_f32_f64_e32 v2, v[2:3]
	s_branch .LBB472_619
.LBB472_617:
	s_mov_b64 s[0:1], -1
                                        ; implicit-def: $vgpr2
	s_branch .LBB472_622
.LBB472_618:
	s_mov_b64 s[0:1], -1
                                        ; implicit-def: $vgpr2
.LBB472_619:
	s_andn2_b64 vcc, exec, s[0:1]
	s_cbranch_vccnz .LBB472_621
; %bb.620:
	global_load_dword v2, v[0:1], off
.LBB472_621:
	s_mov_b64 s[0:1], 0
.LBB472_622:
	s_andn2_b64 vcc, exec, s[0:1]
	s_cbranch_vccnz .LBB472_624
; %bb.623:
	global_load_ushort v2, v[0:1], off
	s_waitcnt vmcnt(0)
	v_cvt_f32_f16_e32 v2, v2
.LBB472_624:
	s_mov_b64 s[0:1], 0
.LBB472_625:
	s_andn2_b64 vcc, exec, s[0:1]
	s_cbranch_vccnz .LBB472_645
; %bb.626:
	s_cmp_lt_i32 s36, 2
	s_cbranch_scc1 .LBB472_630
; %bb.627:
	s_cmp_lt_i32 s36, 3
	s_cbranch_scc1 .LBB472_631
; %bb.628:
	s_cmp_gt_i32 s36, 3
	s_cbranch_scc0 .LBB472_632
; %bb.629:
	global_load_dwordx2 v[2:3], v[0:1], off
	s_mov_b64 s[0:1], 0
	s_waitcnt vmcnt(0)
	v_xor_b32_e32 v6, v2, v3
	v_ffbh_i32_e32 v4, v3
	v_ashrrev_i32_e32 v6, 31, v6
	v_add_u32_e32 v4, -1, v4
	v_add_u32_e32 v6, 32, v6
	v_min_u32_e32 v4, v4, v6
	v_lshlrev_b64 v[2:3], v4, v[2:3]
	v_min_u32_e32 v2, 1, v2
	v_or_b32_e32 v2, v3, v2
	v_cvt_f32_i32_e32 v2, v2
	v_sub_u32_e32 v3, 32, v4
	v_ldexp_f32 v2, v2, v3
	s_branch .LBB472_633
.LBB472_630:
	s_mov_b64 s[0:1], -1
                                        ; implicit-def: $vgpr2
	s_branch .LBB472_639
.LBB472_631:
	s_mov_b64 s[0:1], -1
                                        ; implicit-def: $vgpr2
	s_branch .LBB472_636
.LBB472_632:
	s_mov_b64 s[0:1], -1
                                        ; implicit-def: $vgpr2
.LBB472_633:
	s_andn2_b64 vcc, exec, s[0:1]
	s_cbranch_vccnz .LBB472_635
; %bb.634:
	global_load_dword v2, v[0:1], off
	s_waitcnt vmcnt(0)
	v_cvt_f32_i32_e32 v2, v2
.LBB472_635:
	s_mov_b64 s[0:1], 0
.LBB472_636:
	s_andn2_b64 vcc, exec, s[0:1]
	s_cbranch_vccnz .LBB472_638
; %bb.637:
	global_load_sshort v2, v[0:1], off
	s_waitcnt vmcnt(0)
	v_cvt_f32_i32_e32 v2, v2
.LBB472_638:
	s_mov_b64 s[0:1], 0
.LBB472_639:
	s_andn2_b64 vcc, exec, s[0:1]
	s_cbranch_vccnz .LBB472_645
; %bb.640:
	s_cmp_gt_i32 s36, 0
	s_cbranch_scc0 .LBB472_642
; %bb.641:
	global_load_sbyte v2, v[0:1], off
	s_mov_b64 s[0:1], 0
	s_waitcnt vmcnt(0)
	v_cvt_f32_i32_e32 v2, v2
	s_branch .LBB472_643
.LBB472_642:
	s_mov_b64 s[0:1], -1
                                        ; implicit-def: $vgpr2
.LBB472_643:
	s_andn2_b64 vcc, exec, s[0:1]
	s_cbranch_vccnz .LBB472_645
; %bb.644:
	global_load_ubyte v0, v[0:1], off
	s_waitcnt vmcnt(0)
	v_cvt_f32_ubyte0_e32 v2, v0
.LBB472_645:
	s_mov_b64 s[0:1], -1
.LBB472_646:
	s_andn2_b64 vcc, exec, s[0:1]
	s_cbranch_vccnz .LBB472_654
; %bb.647:
	v_max_f32_e64 v0, s10, s10
	s_waitcnt vmcnt(0)
	v_max_f32_e32 v1, v2, v2
	v_min_f32_e32 v0, v1, v0
	v_cmp_u_f32_e32 vcc, v2, v2
	s_and_b32 s38, s33, 0xff
	s_cmp_lt_i32 s38, 11
	v_cndmask_b32_e32 v2, v0, v2, vcc
	v_mul_lo_u32 v0, v5, s8
	v_ashrrev_i32_e32 v1, 31, v0
	v_lshl_add_u64 v[0:1], s[4:5], 0, v[0:1]
	s_cbranch_scc1 .LBB472_655
; %bb.648:
	s_and_b32 s39, 0xffff, s38
	s_cmp_gt_i32 s39, 25
	s_cbranch_scc0 .LBB472_656
; %bb.649:
	s_cmp_gt_i32 s39, 28
	s_cbranch_scc0 .LBB472_657
; %bb.650:
	;; [unrolled: 3-line block ×4, first 2 shown]
	s_mov_b64 s[34:35], 0
	s_mov_b64 s[0:1], -1
	s_cmp_eq_u32 s39, 46
	s_mov_b64 s[30:31], 0
	s_cbranch_scc0 .LBB472_660
; %bb.653:
	v_bfe_u32 v3, v2, 16, 1
	s_movk_i32 s0, 0x7fff
	v_add3_u32 v3, v2, v3, s0
	v_cmp_o_f32_e32 vcc, v2, v2
	v_mov_b32_e32 v4, 0x7fc0
	s_mov_b64 s[30:31], -1
	v_cndmask_b32_sdwa v3, v4, v3, vcc dst_sel:DWORD dst_unused:UNUSED_PAD src0_sel:DWORD src1_sel:WORD_1
	global_store_dword v[0:1], v3, off
	s_mov_b64 s[0:1], 0
	s_branch .LBB472_660
.LBB472_654:
	s_mov_b64 s[34:35], 0
                                        ; implicit-def: $vgpr5
	s_mov_b64 s[0:1], s[22:23]
	s_branch .LBB472_771
.LBB472_655:
	s_mov_b64 s[34:35], -1
	s_mov_b64 s[30:31], 0
	s_mov_b64 s[0:1], s[22:23]
	s_branch .LBB472_729
.LBB472_656:
	s_mov_b64 s[34:35], -1
	s_mov_b64 s[30:31], 0
	s_mov_b64 s[0:1], s[22:23]
	s_branch .LBB472_687
.LBB472_657:
	s_mov_b64 s[34:35], -1
	s_mov_b64 s[30:31], 0
	s_mov_b64 s[0:1], s[22:23]
	s_branch .LBB472_670
.LBB472_658:
	s_mov_b64 s[34:35], -1
	s_mov_b64 s[30:31], 0
	s_mov_b64 s[0:1], s[22:23]
	s_branch .LBB472_666
.LBB472_659:
	s_mov_b64 s[34:35], -1
	s_mov_b64 s[30:31], 0
	s_mov_b64 s[0:1], s[22:23]
.LBB472_660:
	s_and_b64 vcc, exec, s[34:35]
	s_cbranch_vccz .LBB472_665
; %bb.661:
	s_cmp_eq_u32 s39, 44
	s_mov_b64 s[0:1], -1
	s_cbranch_scc0 .LBB472_665
; %bb.662:
	v_bfe_u32 v3, v2, 23, 8
	s_movk_i32 s0, 0xff
	v_cmp_ne_u32_e32 vcc, s0, v3
	v_mov_b32_e32 v4, 0xff
	s_and_saveexec_b64 s[30:31], vcc
; %bb.663:
	s_mov_b32 s0, 0x3fffff
	v_and_b32_e32 v6, 0x400000, v2
	v_and_or_b32 v3, v2, s0, v3
	v_cmp_ne_u32_e32 vcc, 0, v6
	v_cmp_ne_u32_e64 s[0:1], 0, v3
	s_and_b64 s[0:1], vcc, s[0:1]
	v_lshrrev_b32_e32 v4, 23, v2
	v_cndmask_b32_e64 v3, 0, 1, s[0:1]
	v_add_u32_e32 v4, v4, v3
; %bb.664:
	s_or_b64 exec, exec, s[30:31]
	s_mov_b64 s[30:31], -1
	s_mov_b64 s[0:1], 0
	global_store_byte v[0:1], v4, off
.LBB472_665:
	s_mov_b64 s[34:35], 0
.LBB472_666:
	s_and_b64 vcc, exec, s[34:35]
	s_cbranch_vccz .LBB472_669
; %bb.667:
	s_cmp_eq_u32 s39, 29
	s_mov_b64 s[0:1], -1
	s_cbranch_scc0 .LBB472_669
; %bb.668:
	v_trunc_f32_e32 v3, v2
	v_mul_f32_e32 v4, 0x2f800000, v3
	v_floor_f32_e32 v4, v4
	v_fmamk_f32 v3, v4, 0xcf800000, v3
	v_cvt_u32_f32_e32 v7, v4
	v_cvt_u32_f32_e32 v6, v3
	s_mov_b64 s[30:31], -1
	s_mov_b64 s[0:1], 0
	s_mov_b64 s[34:35], 0
	global_store_dwordx2 v[0:1], v[6:7], off
	s_branch .LBB472_670
.LBB472_669:
	s_mov_b64 s[34:35], 0
.LBB472_670:
	s_and_b64 vcc, exec, s[34:35]
	s_cbranch_vccz .LBB472_686
; %bb.671:
	s_cmp_lt_i32 s39, 27
	s_mov_b64 s[30:31], -1
	s_cbranch_scc1 .LBB472_677
; %bb.672:
	v_cvt_u32_f32_e32 v3, v2
	s_cmp_gt_i32 s39, 27
	s_cbranch_scc0 .LBB472_674
; %bb.673:
	s_mov_b64 s[30:31], 0
	global_store_dword v[0:1], v3, off
.LBB472_674:
	s_andn2_b64 vcc, exec, s[30:31]
	s_cbranch_vccnz .LBB472_676
; %bb.675:
	global_store_short v[0:1], v3, off
.LBB472_676:
	s_mov_b64 s[30:31], 0
.LBB472_677:
	s_andn2_b64 vcc, exec, s[30:31]
	s_cbranch_vccnz .LBB472_685
; %bb.678:
	v_and_b32_e32 v3, 0x7fffffff, v2
	s_mov_b32 s30, 0x43800000
	v_cmp_gt_u32_e32 vcc, s30, v3
	v_mov_b32_e32 v4, 0x80
	s_and_saveexec_b64 s[30:31], vcc
	s_cbranch_execz .LBB472_684
; %bb.679:
	s_mov_b32 s34, 0x3bffffff
	v_cmp_lt_u32_e32 vcc, s34, v3
	s_mov_b64 s[34:35], 0
                                        ; implicit-def: $vgpr3
	s_and_saveexec_b64 s[36:37], vcc
	s_xor_b64 s[36:37], exec, s[36:37]
	s_cbranch_execz .LBB472_785
; %bb.680:
	v_bfe_u32 v3, v2, 20, 1
	s_mov_b32 s41, 0x487ffff
	v_add3_u32 v3, v2, v3, s41
	s_mov_b64 s[34:35], exec
	v_lshrrev_b32_e32 v3, 20, v3
	s_andn2_saveexec_b64 s[36:37], s[36:37]
	s_cbranch_execnz .LBB472_786
.LBB472_681:
	s_or_b64 exec, exec, s[36:37]
	v_mov_b32_e32 v4, 0
	s_and_saveexec_b64 s[36:37], s[34:35]
.LBB472_682:
	v_lshrrev_b32_e32 v4, 24, v2
	s_movk_i32 s34, 0x80
	v_and_or_b32 v4, v4, s34, v3
.LBB472_683:
	s_or_b64 exec, exec, s[36:37]
.LBB472_684:
	s_or_b64 exec, exec, s[30:31]
	global_store_byte v[0:1], v4, off
.LBB472_685:
	s_mov_b64 s[30:31], -1
.LBB472_686:
	s_mov_b64 s[34:35], 0
.LBB472_687:
	s_and_b64 vcc, exec, s[34:35]
	s_cbranch_vccz .LBB472_728
; %bb.688:
	s_cmp_gt_i32 s39, 22
	s_mov_b64 s[34:35], -1
	s_cbranch_scc0 .LBB472_720
; %bb.689:
	s_cmp_lt_i32 s39, 24
	s_mov_b64 s[30:31], -1
	s_cbranch_scc1 .LBB472_709
; %bb.690:
	s_cmp_gt_i32 s39, 24
	s_cbranch_scc0 .LBB472_698
; %bb.691:
	v_and_b32_e32 v3, 0x7fffffff, v2
	s_mov_b32 s30, 0x47800000
	v_cmp_gt_u32_e32 vcc, s30, v3
	v_mov_b32_e32 v4, 0x80
	s_and_saveexec_b64 s[30:31], vcc
	s_cbranch_execz .LBB472_697
; %bb.692:
	s_mov_b32 s34, 0x37ffffff
	v_cmp_lt_u32_e32 vcc, s34, v3
	s_mov_b64 s[34:35], 0
                                        ; implicit-def: $vgpr3
	s_and_saveexec_b64 s[36:37], vcc
	s_xor_b64 s[36:37], exec, s[36:37]
	s_cbranch_execz .LBB472_788
; %bb.693:
	v_bfe_u32 v3, v2, 21, 1
	s_mov_b32 s41, 0x88fffff
	v_add3_u32 v3, v2, v3, s41
	s_mov_b64 s[34:35], exec
	v_lshrrev_b32_e32 v3, 21, v3
	s_andn2_saveexec_b64 s[36:37], s[36:37]
	s_cbranch_execnz .LBB472_789
.LBB472_694:
	s_or_b64 exec, exec, s[36:37]
	v_mov_b32_e32 v4, 0
	s_and_saveexec_b64 s[36:37], s[34:35]
.LBB472_695:
	v_lshrrev_b32_e32 v4, 24, v2
	s_movk_i32 s34, 0x80
	v_and_or_b32 v4, v4, s34, v3
.LBB472_696:
	s_or_b64 exec, exec, s[36:37]
.LBB472_697:
	s_or_b64 exec, exec, s[30:31]
	s_mov_b64 s[30:31], 0
	global_store_byte v[0:1], v4, off
.LBB472_698:
	s_and_b64 vcc, exec, s[30:31]
	s_cbranch_vccz .LBB472_708
; %bb.699:
	v_and_b32_e32 v4, 0x7fffffff, v2
	s_mov_b32 s30, 0x43f00000
	v_cmp_gt_u32_e32 vcc, s30, v4
                                        ; implicit-def: $vgpr3
	s_and_saveexec_b64 s[30:31], vcc
	s_xor_b64 s[30:31], exec, s[30:31]
	s_cbranch_execz .LBB472_705
; %bb.700:
	s_mov_b32 s34, 0x3c7fffff
	v_cmp_lt_u32_e32 vcc, s34, v4
                                        ; implicit-def: $vgpr3
	s_and_saveexec_b64 s[34:35], vcc
	s_xor_b64 s[34:35], exec, s[34:35]
; %bb.701:
	v_bfe_u32 v3, v2, 20, 1
	s_mov_b32 s36, 0x407ffff
	v_add3_u32 v3, v2, v3, s36
	v_lshrrev_b32_e32 v4, 20, v3
	v_and_b32_e32 v3, 0xff00000, v3
	s_mov_b32 s36, 0x7f00000
	v_mov_b32_e32 v6, 0x7e
	v_cmp_ne_u32_e32 vcc, s36, v3
	s_nop 1
	v_cndmask_b32_e32 v3, v6, v4, vcc
; %bb.702:
	s_andn2_saveexec_b64 s[34:35], s[34:35]
; %bb.703:
	s_mov_b32 s36, 0x46800000
	v_add_f32_e64 v3, |v2|, s36
; %bb.704:
	s_or_b64 exec, exec, s[34:35]
                                        ; implicit-def: $vgpr4
.LBB472_705:
	s_andn2_saveexec_b64 s[30:31], s[30:31]
; %bb.706:
	s_mov_b32 s34, 0x7f800000
	v_mov_b32_e32 v3, 0x7e
	v_mov_b32_e32 v6, 0x7f
	v_cmp_lt_u32_e32 vcc, s34, v4
	s_nop 1
	v_cndmask_b32_e32 v3, v3, v6, vcc
; %bb.707:
	s_or_b64 exec, exec, s[30:31]
	v_lshrrev_b32_e32 v4, 24, v2
	s_movk_i32 s30, 0x80
	v_and_or_b32 v3, v4, s30, v3
	global_store_byte v[0:1], v3, off
.LBB472_708:
	s_mov_b64 s[30:31], 0
.LBB472_709:
	s_andn2_b64 vcc, exec, s[30:31]
	s_cbranch_vccnz .LBB472_719
; %bb.710:
	v_and_b32_e32 v4, 0x7fffffff, v2
	s_mov_b32 s30, 0x47800000
	v_cmp_gt_u32_e32 vcc, s30, v4
                                        ; implicit-def: $vgpr3
	s_and_saveexec_b64 s[30:31], vcc
	s_xor_b64 s[30:31], exec, s[30:31]
	s_cbranch_execz .LBB472_716
; %bb.711:
	s_mov_b32 s34, 0x387fffff
	v_cmp_lt_u32_e32 vcc, s34, v4
                                        ; implicit-def: $vgpr3
	s_and_saveexec_b64 s[34:35], vcc
	s_xor_b64 s[34:35], exec, s[34:35]
; %bb.712:
	v_bfe_u32 v3, v2, 21, 1
	s_mov_b32 s36, 0x80fffff
	v_add3_u32 v3, v2, v3, s36
	v_lshrrev_b32_e32 v3, 21, v3
; %bb.713:
	s_andn2_saveexec_b64 s[34:35], s[34:35]
; %bb.714:
	s_mov_b32 s36, 0x43000000
	v_add_f32_e64 v3, |v2|, s36
; %bb.715:
	s_or_b64 exec, exec, s[34:35]
                                        ; implicit-def: $vgpr4
.LBB472_716:
	s_andn2_saveexec_b64 s[30:31], s[30:31]
; %bb.717:
	s_mov_b32 s34, 0x7f800000
	v_mov_b32_e32 v3, 0x7c
	v_mov_b32_e32 v6, 0x7f
	v_cmp_lt_u32_e32 vcc, s34, v4
	s_nop 1
	v_cndmask_b32_e32 v3, v3, v6, vcc
; %bb.718:
	s_or_b64 exec, exec, s[30:31]
	v_lshrrev_b32_e32 v4, 24, v2
	s_movk_i32 s30, 0x80
	v_and_or_b32 v3, v4, s30, v3
	global_store_byte v[0:1], v3, off
.LBB472_719:
	s_mov_b64 s[34:35], 0
	s_mov_b64 s[30:31], -1
.LBB472_720:
	s_andn2_b64 vcc, exec, s[34:35]
	s_cbranch_vccnz .LBB472_728
; %bb.721:
	s_cmp_gt_i32 s39, 14
	s_mov_b64 s[34:35], -1
	s_cbranch_scc0 .LBB472_725
; %bb.722:
	s_cmp_eq_u32 s39, 15
	s_mov_b64 s[0:1], -1
	s_cbranch_scc0 .LBB472_724
; %bb.723:
	v_bfe_u32 v3, v2, 16, 1
	s_movk_i32 s0, 0x7fff
	v_add3_u32 v3, v2, v3, s0
	v_cmp_o_f32_e32 vcc, v2, v2
	v_mov_b32_e32 v4, 0x7fc0
	s_mov_b64 s[30:31], -1
	v_cndmask_b32_sdwa v3, v4, v3, vcc dst_sel:DWORD dst_unused:UNUSED_PAD src0_sel:DWORD src1_sel:WORD_1
	global_store_short v[0:1], v3, off
	s_mov_b64 s[0:1], 0
.LBB472_724:
	s_mov_b64 s[34:35], 0
.LBB472_725:
	s_and_b64 vcc, exec, s[34:35]
	s_cbranch_vccz .LBB472_728
; %bb.726:
	s_cmp_eq_u32 s39, 11
	s_mov_b64 s[0:1], -1
	s_cbranch_scc0 .LBB472_728
; %bb.727:
	v_cmp_neq_f32_e32 vcc, 0, v2
	s_mov_b64 s[30:31], -1
	s_mov_b64 s[0:1], 0
	v_cndmask_b32_e64 v3, 0, 1, vcc
	global_store_byte v[0:1], v3, off
.LBB472_728:
	s_mov_b64 s[34:35], 0
.LBB472_729:
	s_and_b64 vcc, exec, s[34:35]
	s_cbranch_vccz .LBB472_768
; %bb.730:
	s_and_b32 s34, 0xffff, s38
	s_cmp_lt_i32 s34, 5
	s_mov_b64 s[30:31], -1
	s_cbranch_scc1 .LBB472_751
; %bb.731:
	s_cmp_lt_i32 s34, 8
	s_cbranch_scc1 .LBB472_741
; %bb.732:
	s_cmp_lt_i32 s34, 9
	s_cbranch_scc1 .LBB472_738
; %bb.733:
	s_cmp_gt_i32 s34, 9
	s_cbranch_scc0 .LBB472_735
; %bb.734:
	v_mov_b32_e32 v8, 0
	v_cvt_f64_f32_e32 v[6:7], v2
	v_mov_b32_e32 v9, v8
	s_mov_b64 s[30:31], 0
	global_store_dwordx4 v[0:1], v[6:9], off
.LBB472_735:
	s_andn2_b64 vcc, exec, s[30:31]
	s_cbranch_vccnz .LBB472_737
; %bb.736:
	v_mov_b32_e32 v3, 0
	global_store_dwordx2 v[0:1], v[2:3], off
.LBB472_737:
	s_mov_b64 s[30:31], 0
.LBB472_738:
	s_andn2_b64 vcc, exec, s[30:31]
	s_cbranch_vccnz .LBB472_740
; %bb.739:
	v_cvt_f16_f32_e32 v3, v2
	global_store_dword v[0:1], v3, off
.LBB472_740:
	s_mov_b64 s[30:31], 0
.LBB472_741:
	s_andn2_b64 vcc, exec, s[30:31]
	s_cbranch_vccnz .LBB472_750
; %bb.742:
	s_cmp_lt_i32 s34, 6
	s_mov_b64 s[30:31], -1
	s_cbranch_scc1 .LBB472_748
; %bb.743:
	s_cmp_gt_i32 s34, 6
	s_cbranch_scc0 .LBB472_745
; %bb.744:
	v_cvt_f64_f32_e32 v[6:7], v2
	s_mov_b64 s[30:31], 0
	global_store_dwordx2 v[0:1], v[6:7], off
.LBB472_745:
	s_andn2_b64 vcc, exec, s[30:31]
	s_cbranch_vccnz .LBB472_747
; %bb.746:
	global_store_dword v[0:1], v2, off
.LBB472_747:
	s_mov_b64 s[30:31], 0
.LBB472_748:
	s_andn2_b64 vcc, exec, s[30:31]
	s_cbranch_vccnz .LBB472_750
; %bb.749:
	v_cvt_f16_f32_e32 v3, v2
	global_store_short v[0:1], v3, off
.LBB472_750:
	s_mov_b64 s[30:31], 0
.LBB472_751:
	s_andn2_b64 vcc, exec, s[30:31]
	s_cbranch_vccnz .LBB472_767
; %bb.752:
	s_cmp_lt_i32 s34, 2
	s_mov_b64 s[30:31], -1
	s_cbranch_scc1 .LBB472_762
; %bb.753:
	s_cmp_lt_i32 s34, 3
	s_cbranch_scc1 .LBB472_759
; %bb.754:
	s_cmp_gt_i32 s34, 3
	s_cbranch_scc0 .LBB472_756
; %bb.755:
	v_trunc_f32_e32 v3, v2
	s_mov_b32 s30, 0x2f800000
	v_mul_f32_e64 v4, |v3|, s30
	v_floor_f32_e32 v4, v4
	s_mov_b32 s30, 0xcf800000
	v_cvt_u32_f32_e32 v6, v4
	v_fma_f32 v4, v4, s30, |v3|
	v_cvt_u32_f32_e32 v4, v4
	v_ashrrev_i32_e32 v3, 31, v3
	v_xor_b32_e32 v7, v6, v3
	s_mov_b64 s[30:31], 0
	v_xor_b32_e32 v4, v4, v3
	v_sub_co_u32_e32 v6, vcc, v4, v3
	s_nop 1
	v_subb_co_u32_e32 v7, vcc, v7, v3, vcc
	global_store_dwordx2 v[0:1], v[6:7], off
.LBB472_756:
	s_andn2_b64 vcc, exec, s[30:31]
	s_cbranch_vccnz .LBB472_758
; %bb.757:
	v_cvt_i32_f32_e32 v3, v2
	global_store_dword v[0:1], v3, off
.LBB472_758:
	s_mov_b64 s[30:31], 0
.LBB472_759:
	s_andn2_b64 vcc, exec, s[30:31]
	s_cbranch_vccnz .LBB472_761
; %bb.760:
	v_cvt_i32_f32_e32 v3, v2
	global_store_short v[0:1], v3, off
.LBB472_761:
	s_mov_b64 s[30:31], 0
.LBB472_762:
	s_andn2_b64 vcc, exec, s[30:31]
	s_cbranch_vccnz .LBB472_767
; %bb.763:
	s_cmp_gt_i32 s34, 0
	s_mov_b64 s[30:31], -1
	s_cbranch_scc0 .LBB472_765
; %bb.764:
	v_cvt_i32_f32_e32 v3, v2
	s_mov_b64 s[30:31], 0
	global_store_byte v[0:1], v3, off
.LBB472_765:
	s_andn2_b64 vcc, exec, s[30:31]
	s_cbranch_vccnz .LBB472_767
; %bb.766:
	v_trunc_f32_e32 v2, v2
	s_mov_b32 s30, 0x2f800000
	v_mul_f32_e64 v3, |v2|, s30
	v_floor_f32_e32 v3, v3
	s_mov_b32 s30, 0xcf800000
	v_fma_f32 v3, v3, s30, |v2|
	v_cvt_u32_f32_e32 v3, v3
	v_ashrrev_i32_e32 v2, 31, v2
	v_xor_b32_e32 v3, v3, v2
	v_sub_u32_e32 v2, v3, v2
	global_store_byte v[0:1], v2, off
.LBB472_767:
	s_mov_b64 s[30:31], -1
.LBB472_768:
	s_andn2_b64 vcc, exec, s[30:31]
	s_cbranch_vccnz .LBB472_770
; %bb.769:
	v_add_u32_e32 v5, 0x80, v5
	s_mov_b64 s[34:35], -1
	s_branch .LBB472_771
.LBB472_770:
	s_mov_b64 s[34:35], 0
                                        ; implicit-def: $vgpr5
.LBB472_771:
	s_andn2_b64 s[30:31], s[22:23], exec
	s_and_b64 s[0:1], s[0:1], exec
	s_or_b64 s[30:31], s[30:31], s[0:1]
	s_andn2_b64 s[0:1], s[20:21], exec
	s_and_b64 s[28:29], s[28:29], exec
	s_or_b64 s[0:1], s[0:1], s[28:29]
	s_orn2_b64 s[36:37], s[34:35], exec
.LBB472_772:
	s_or_b64 exec, exec, s[26:27]
	s_mov_b64 s[34:35], 0
	s_mov_b64 s[28:29], 0
	;; [unrolled: 1-line block ×3, first 2 shown]
                                        ; implicit-def: $vgpr0_vgpr1
                                        ; implicit-def: $vgpr3
	s_and_saveexec_b64 s[26:27], s[36:37]
	s_cbranch_execz .LBB472_857
; %bb.773:
	v_cmp_gt_i32_e32 vcc, s40, v5
	s_mov_b64 s[36:37], 0
	s_mov_b64 s[40:41], s[0:1]
	;; [unrolled: 1-line block ×3, first 2 shown]
                                        ; implicit-def: $vgpr0_vgpr1
                                        ; implicit-def: $vgpr3
	s_and_saveexec_b64 s[28:29], vcc
	s_cbranch_execz .LBB472_856
; %bb.774:
	v_mul_lo_u32 v0, v5, s9
	v_ashrrev_i32_e32 v1, 31, v0
	s_and_b32 s44, 0xffff, s11
	s_cmp_lt_i32 s44, 11
	v_lshl_add_u64 v[0:1], s[6:7], 0, v[0:1]
	s_cbranch_scc1 .LBB472_781
; %bb.775:
	s_cmp_gt_i32 s44, 25
	s_cbranch_scc0 .LBB472_782
; %bb.776:
	s_cmp_gt_i32 s44, 28
	s_cbranch_scc0 .LBB472_783
	;; [unrolled: 3-line block ×4, first 2 shown]
; %bb.779:
	s_cmp_eq_u32 s44, 46
	s_mov_b64 s[40:41], 0
	s_cbranch_scc0 .LBB472_790
; %bb.780:
	global_load_dword v2, v[0:1], off
	s_mov_b64 s[38:39], -1
	s_waitcnt vmcnt(0)
	v_lshlrev_b32_e32 v3, 16, v2
	s_branch .LBB472_792
.LBB472_781:
	s_mov_b64 s[40:41], -1
                                        ; implicit-def: $vgpr3
	s_mov_b64 s[34:35], s[0:1]
	s_branch .LBB472_855
.LBB472_782:
	s_mov_b64 s[40:41], -1
	s_mov_b64 s[34:35], s[0:1]
                                        ; implicit-def: $vgpr3
	s_branch .LBB472_821
.LBB472_783:
	s_mov_b64 s[40:41], -1
	s_mov_b64 s[34:35], s[0:1]
                                        ; implicit-def: $vgpr3
	s_branch .LBB472_802
.LBB472_784:
	s_mov_b64 s[40:41], -1
	s_mov_b64 s[34:35], s[0:1]
                                        ; implicit-def: $vgpr3
	s_branch .LBB472_797
.LBB472_785:
	s_andn2_saveexec_b64 s[36:37], s[36:37]
	s_cbranch_execz .LBB472_681
.LBB472_786:
	s_mov_b32 s41, 0x46000000
	v_add_f32_e64 v3, |v2|, s41
	v_and_b32_e32 v3, 0xff, v3
	v_cmp_ne_u32_e32 vcc, 0, v3
	s_andn2_b64 s[34:35], s[34:35], exec
	s_and_b64 s[42:43], vcc, exec
	s_or_b64 s[34:35], s[34:35], s[42:43]
	s_or_b64 exec, exec, s[36:37]
	v_mov_b32_e32 v4, 0
	s_and_saveexec_b64 s[36:37], s[34:35]
	s_cbranch_execnz .LBB472_682
	s_branch .LBB472_683
.LBB472_787:
	s_mov_b64 s[40:41], -1
	s_mov_b64 s[34:35], s[0:1]
	s_branch .LBB472_791
.LBB472_788:
	s_andn2_saveexec_b64 s[36:37], s[36:37]
	s_cbranch_execz .LBB472_694
.LBB472_789:
	s_mov_b32 s41, 0x42800000
	v_add_f32_e64 v3, |v2|, s41
	v_and_b32_e32 v3, 0xff, v3
	v_cmp_ne_u32_e32 vcc, 0, v3
	s_andn2_b64 s[34:35], s[34:35], exec
	s_and_b64 s[42:43], vcc, exec
	s_or_b64 s[34:35], s[34:35], s[42:43]
	s_or_b64 exec, exec, s[36:37]
	v_mov_b32_e32 v4, 0
	s_and_saveexec_b64 s[36:37], s[34:35]
	s_cbranch_execnz .LBB472_695
	s_branch .LBB472_696
.LBB472_790:
	s_mov_b64 s[34:35], -1
.LBB472_791:
                                        ; implicit-def: $vgpr3
.LBB472_792:
	s_and_b64 vcc, exec, s[40:41]
	s_cbranch_vccz .LBB472_796
; %bb.793:
	s_cmp_eq_u32 s44, 44
	s_cbranch_scc0 .LBB472_795
; %bb.794:
	global_load_ubyte v2, v[0:1], off
	s_movk_i32 s38, 0xff
	v_mov_b32_e32 v3, 0x7f800001
	v_mov_b32_e32 v4, 0x400000
	s_mov_b64 s[34:35], 0
	s_waitcnt vmcnt(0)
	v_lshlrev_b32_e32 v6, 23, v2
	v_cmp_ne_u32_e32 vcc, s38, v2
	s_mov_b64 s[38:39], -1
	s_nop 0
	v_cndmask_b32_e32 v3, v3, v6, vcc
	v_cmp_ne_u32_e32 vcc, 0, v2
	s_nop 1
	v_cndmask_b32_e32 v3, v4, v3, vcc
	s_branch .LBB472_796
.LBB472_795:
	s_mov_b64 s[34:35], -1
                                        ; implicit-def: $vgpr3
.LBB472_796:
	s_mov_b64 s[40:41], 0
.LBB472_797:
	s_and_b64 vcc, exec, s[40:41]
	s_cbranch_vccz .LBB472_801
; %bb.798:
	s_cmp_eq_u32 s44, 29
	s_cbranch_scc0 .LBB472_800
; %bb.799:
	global_load_dwordx2 v[2:3], v[0:1], off
	s_mov_b64 s[34:35], 0
	s_mov_b64 s[38:39], -1
	s_mov_b64 s[40:41], 0
	s_waitcnt vmcnt(0)
	v_ffbh_u32_e32 v4, v3
	v_min_u32_e32 v4, 32, v4
	v_lshlrev_b64 v[2:3], v4, v[2:3]
	v_min_u32_e32 v2, 1, v2
	v_or_b32_e32 v2, v3, v2
	v_cvt_f32_u32_e32 v2, v2
	v_sub_u32_e32 v3, 32, v4
	v_ldexp_f32 v3, v2, v3
	s_branch .LBB472_802
.LBB472_800:
	s_mov_b64 s[34:35], -1
                                        ; implicit-def: $vgpr3
.LBB472_801:
	s_mov_b64 s[40:41], 0
.LBB472_802:
	s_and_b64 vcc, exec, s[40:41]
	s_cbranch_vccz .LBB472_820
; %bb.803:
	s_cmp_lt_i32 s44, 27
	s_cbranch_scc1 .LBB472_806
; %bb.804:
	s_cmp_gt_i32 s44, 27
	s_cbranch_scc0 .LBB472_807
; %bb.805:
	global_load_dword v2, v[0:1], off
	s_mov_b64 s[38:39], 0
	s_waitcnt vmcnt(0)
	v_cvt_f32_u32_e32 v3, v2
	s_branch .LBB472_808
.LBB472_806:
	s_mov_b64 s[38:39], -1
                                        ; implicit-def: $vgpr3
	s_branch .LBB472_811
.LBB472_807:
	s_mov_b64 s[38:39], -1
                                        ; implicit-def: $vgpr3
.LBB472_808:
	s_andn2_b64 vcc, exec, s[38:39]
	s_cbranch_vccnz .LBB472_810
; %bb.809:
	global_load_ushort v2, v[0:1], off
	s_waitcnt vmcnt(0)
	v_cvt_f32_u32_e32 v3, v2
.LBB472_810:
	s_mov_b64 s[38:39], 0
.LBB472_811:
	s_andn2_b64 vcc, exec, s[38:39]
	s_cbranch_vccnz .LBB472_819
; %bb.812:
	global_load_ubyte v2, v[0:1], off
	s_movk_i32 s38, 0x7f
	s_waitcnt vmcnt(0)
	v_cmp_lt_i16_e32 vcc, s38, v2
	s_mov_b64 s[38:39], 0
	s_and_saveexec_b64 s[40:41], vcc
	s_xor_b64 s[40:41], exec, s[40:41]
	s_cbranch_execz .LBB472_833
; %bb.813:
	s_movk_i32 s38, 0x80
	v_cmp_eq_u16_e32 vcc, s38, v2
	s_mov_b64 s[38:39], -1
	s_and_saveexec_b64 s[42:43], vcc
; %bb.814:
	s_xor_b64 s[38:39], exec, -1
; %bb.815:
	s_or_b64 exec, exec, s[42:43]
	s_and_b64 s[38:39], s[38:39], exec
	s_or_saveexec_b64 s[40:41], s[40:41]
	v_mov_b32_e32 v3, 0x7f800001
	s_xor_b64 exec, exec, s[40:41]
	s_cbranch_execnz .LBB472_834
.LBB472_816:
	s_or_b64 exec, exec, s[40:41]
	s_and_saveexec_b64 s[40:41], s[38:39]
	s_cbranch_execz .LBB472_818
.LBB472_817:
	v_lshlrev_b32_e32 v3, 24, v2
	v_and_b32_e32 v2, 0xffff, v2
	v_and_b32_e32 v4, 7, v2
	v_ffbh_u32_e32 v7, v4
	v_min_u32_e32 v7, 32, v7
	v_subrev_u32_e32 v8, 28, v7
	v_bfe_u32 v6, v2, 3, 4
	v_lshlrev_b32_e32 v2, v8, v2
	v_sub_u32_e32 v7, 29, v7
	v_and_b32_e32 v2, 7, v2
	v_cmp_eq_u32_e32 vcc, 0, v6
	v_and_b32_e32 v3, 0x80000000, v3
	s_nop 0
	v_cndmask_b32_e32 v6, v6, v7, vcc
	v_cndmask_b32_e32 v2, v4, v2, vcc
	v_mov_b32_e32 v4, 0x3b800000
	v_lshlrev_b32_e32 v2, 20, v2
	v_lshl_add_u32 v4, v6, 23, v4
	v_or3_b32 v3, v3, v4, v2
.LBB472_818:
	s_or_b64 exec, exec, s[40:41]
.LBB472_819:
	s_mov_b64 s[38:39], -1
.LBB472_820:
	s_mov_b64 s[40:41], 0
.LBB472_821:
	s_and_b64 vcc, exec, s[40:41]
	s_cbranch_vccz .LBB472_854
; %bb.822:
	s_cmp_gt_i32 s44, 22
	s_cbranch_scc0 .LBB472_832
; %bb.823:
	s_cmp_lt_i32 s44, 24
	s_cbranch_scc1 .LBB472_835
; %bb.824:
	s_cmp_gt_i32 s44, 24
	s_cbranch_scc0 .LBB472_836
; %bb.825:
	global_load_ubyte v2, v[0:1], off
	s_movk_i32 s36, 0x7f
	s_waitcnt vmcnt(0)
	v_cmp_lt_i16_e32 vcc, s36, v2
	s_mov_b64 s[36:37], 0
	s_and_saveexec_b64 s[38:39], vcc
	s_xor_b64 s[38:39], exec, s[38:39]
	s_cbranch_execz .LBB472_848
; %bb.826:
	s_movk_i32 s36, 0x80
	v_cmp_eq_u16_e32 vcc, s36, v2
	s_mov_b64 s[36:37], -1
	s_and_saveexec_b64 s[40:41], vcc
; %bb.827:
	s_xor_b64 s[36:37], exec, -1
; %bb.828:
	s_or_b64 exec, exec, s[40:41]
	s_and_b64 s[36:37], s[36:37], exec
	s_or_saveexec_b64 s[38:39], s[38:39]
	v_mov_b32_e32 v3, 0x7f800001
	s_xor_b64 exec, exec, s[38:39]
	s_cbranch_execnz .LBB472_849
.LBB472_829:
	s_or_b64 exec, exec, s[38:39]
	s_and_saveexec_b64 s[38:39], s[36:37]
	s_cbranch_execz .LBB472_831
.LBB472_830:
	v_lshlrev_b32_e32 v3, 24, v2
	v_and_b32_e32 v2, 0xffff, v2
	v_and_b32_e32 v4, 3, v2
	v_ffbh_u32_e32 v7, v4
	v_min_u32_e32 v7, 32, v7
	v_subrev_u32_e32 v8, 29, v7
	v_bfe_u32 v6, v2, 2, 5
	v_lshlrev_b32_e32 v2, v8, v2
	v_sub_u32_e32 v7, 30, v7
	v_and_b32_e32 v2, 3, v2
	v_cmp_eq_u32_e32 vcc, 0, v6
	v_and_b32_e32 v3, 0x80000000, v3
	s_nop 0
	v_cndmask_b32_e32 v6, v6, v7, vcc
	v_cndmask_b32_e32 v2, v4, v2, vcc
	v_mov_b32_e32 v4, 0x37800000
	v_lshlrev_b32_e32 v2, 21, v2
	v_lshl_add_u32 v4, v6, 23, v4
	v_or3_b32 v3, v3, v4, v2
.LBB472_831:
	s_or_b64 exec, exec, s[38:39]
	s_mov_b64 s[36:37], 0
	s_branch .LBB472_837
.LBB472_832:
	s_mov_b64 s[36:37], -1
                                        ; implicit-def: $vgpr3
	s_branch .LBB472_843
.LBB472_833:
	s_or_saveexec_b64 s[40:41], s[40:41]
	v_mov_b32_e32 v3, 0x7f800001
	s_xor_b64 exec, exec, s[40:41]
	s_cbranch_execz .LBB472_816
.LBB472_834:
	v_cmp_ne_u16_e32 vcc, 0, v2
	s_andn2_b64 s[38:39], s[38:39], exec
	s_and_b64 s[42:43], vcc, exec
	v_mov_b32_e32 v3, 0
	s_or_b64 s[38:39], s[38:39], s[42:43]
	s_or_b64 exec, exec, s[40:41]
	s_and_saveexec_b64 s[40:41], s[38:39]
	s_cbranch_execnz .LBB472_817
	s_branch .LBB472_818
.LBB472_835:
	s_mov_b64 s[36:37], -1
                                        ; implicit-def: $vgpr3
	s_branch .LBB472_840
.LBB472_836:
	s_mov_b64 s[36:37], -1
                                        ; implicit-def: $vgpr3
.LBB472_837:
	s_and_b64 vcc, exec, s[36:37]
	s_cbranch_vccz .LBB472_839
; %bb.838:
	global_load_ubyte v2, v[0:1], off
	s_mov_b32 s36, 0x7f800000
	s_waitcnt vmcnt(0)
	v_lshlrev_b32_e32 v2, 24, v2
	v_and_b32_e32 v3, 0x7f000000, v2
	v_ffbh_u32_e32 v4, v3
	v_min_u32_e32 v4, 32, v4
	v_sub_u32_e64 v4, v4, 4 clamp
	v_lshlrev_b32_e32 v7, v4, v3
	v_lshlrev_b32_e32 v4, 23, v4
	v_lshrrev_b32_e32 v7, 4, v7
	v_add_u32_e32 v6, 0x1000000, v3
	v_sub_u32_e32 v4, v7, v4
	v_ashrrev_i32_e32 v6, 8, v6
	v_add_u32_e32 v4, 0x3c000000, v4
	v_and_or_b32 v4, v6, s36, v4
	v_cmp_ne_u32_e32 vcc, 0, v3
	s_brev_b32 s36, 1
	s_nop 0
	v_cndmask_b32_e32 v3, 0, v4, vcc
	v_and_or_b32 v3, v2, s36, v3
.LBB472_839:
	s_mov_b64 s[36:37], 0
.LBB472_840:
	s_andn2_b64 vcc, exec, s[36:37]
	s_cbranch_vccnz .LBB472_842
; %bb.841:
	global_load_ubyte v2, v[0:1], off
	s_movk_i32 s36, 0x7f00
	s_brev_b32 s37, 16
	s_waitcnt vmcnt(0)
	v_lshlrev_b16_e32 v3, 8, v2
	v_lshlrev_b32_e32 v2, 25, v2
	v_lshrrev_b32_e32 v4, 4, v2
	v_and_or_b32 v6, v3, s36, 0.5
	v_or_b32_e32 v4, 0x70000000, v4
	v_add_f32_e32 v6, -0.5, v6
	v_mul_f32_e32 v4, 0x7800000, v4
	v_cmp_gt_u32_e32 vcc, s37, v2
	v_bfe_i32 v3, v3, 0, 16
	s_brev_b32 s36, 1
	v_cndmask_b32_e32 v2, v4, v6, vcc
	v_and_or_b32 v3, v3, s36, v2
.LBB472_842:
	s_mov_b64 s[36:37], 0
	s_mov_b64 s[38:39], -1
.LBB472_843:
	s_andn2_b64 vcc, exec, s[36:37]
	s_mov_b64 s[36:37], 0
	s_cbranch_vccnz .LBB472_854
; %bb.844:
	s_cmp_gt_i32 s44, 14
	s_cbranch_scc0 .LBB472_847
; %bb.845:
	s_cmp_eq_u32 s44, 15
	s_cbranch_scc0 .LBB472_850
; %bb.846:
	global_load_ushort v2, v[0:1], off
	s_mov_b64 s[34:35], 0
	s_mov_b64 s[38:39], -1
	s_waitcnt vmcnt(0)
	v_lshlrev_b32_e32 v3, 16, v2
	s_branch .LBB472_851
.LBB472_847:
	s_mov_b64 s[40:41], -1
                                        ; implicit-def: $vgpr3
	s_branch .LBB472_852
.LBB472_848:
	s_or_saveexec_b64 s[38:39], s[38:39]
	v_mov_b32_e32 v3, 0x7f800001
	s_xor_b64 exec, exec, s[38:39]
	s_cbranch_execz .LBB472_829
.LBB472_849:
	v_cmp_ne_u16_e32 vcc, 0, v2
	s_andn2_b64 s[36:37], s[36:37], exec
	s_and_b64 s[40:41], vcc, exec
	v_mov_b32_e32 v3, 0
	s_or_b64 s[36:37], s[36:37], s[40:41]
	s_or_b64 exec, exec, s[38:39]
	s_and_saveexec_b64 s[38:39], s[36:37]
	s_cbranch_execnz .LBB472_830
	s_branch .LBB472_831
.LBB472_850:
	s_mov_b64 s[34:35], -1
                                        ; implicit-def: $vgpr3
.LBB472_851:
	s_mov_b64 s[40:41], 0
.LBB472_852:
	s_and_b64 vcc, exec, s[40:41]
	s_cbranch_vccz .LBB472_854
; %bb.853:
	s_cmp_lg_u32 s44, 11
	s_cselect_b64 s[40:41], -1, 0
	s_andn2_b64 s[34:35], s[34:35], exec
	s_and_b64 s[40:41], s[40:41], exec
	s_mov_b64 s[36:37], -1
	s_or_b64 s[34:35], s[34:35], s[40:41]
.LBB472_854:
	s_mov_b64 s[40:41], 0
.LBB472_855:
	s_and_b64 s[42:43], s[40:41], exec
	s_andn2_b64 s[40:41], s[0:1], exec
	s_and_b64 s[34:35], s[34:35], exec
	s_and_b64 s[38:39], s[38:39], exec
	;; [unrolled: 1-line block ×3, first 2 shown]
	s_or_b64 s[40:41], s[40:41], s[34:35]
.LBB472_856:
	s_or_b64 exec, exec, s[28:29]
	s_and_b64 s[34:35], s[36:37], exec
	s_andn2_b64 s[0:1], s[0:1], exec
	s_and_b64 s[36:37], s[40:41], exec
	s_and_b64 s[38:39], s[38:39], exec
	;; [unrolled: 1-line block ×3, first 2 shown]
	s_or_b64 s[0:1], s[0:1], s[36:37]
.LBB472_857:
	s_or_b64 exec, exec, s[26:27]
	s_andn2_b64 s[22:23], s[22:23], exec
	s_and_b64 s[26:27], s[30:31], exec
	s_andn2_b64 s[20:21], s[20:21], exec
	s_and_b64 s[0:1], s[0:1], exec
	s_or_b64 s[22:23], s[22:23], s[26:27]
	s_and_b64 s[30:31], s[38:39], exec
	s_and_b64 s[28:29], s[28:29], exec
	;; [unrolled: 1-line block ×3, first 2 shown]
	s_or_b64 s[20:21], s[20:21], s[0:1]
.LBB472_858:
	s_or_b64 exec, exec, s[24:25]
	s_andn2_b64 s[0:1], s[14:15], exec
	s_and_b64 s[14:15], s[22:23], exec
	s_andn2_b64 s[16:17], s[16:17], exec
	s_and_b64 s[20:21], s[20:21], exec
	s_or_b64 s[14:15], s[0:1], s[14:15]
	s_and_b64 s[0:1], s[30:31], exec
	s_and_b64 s[24:25], s[28:29], exec
	;; [unrolled: 1-line block ×3, first 2 shown]
	s_or_b64 s[16:17], s[16:17], s[20:21]
	s_or_b64 exec, exec, s[18:19]
	s_mov_b64 s[18:19], 0
	s_and_saveexec_b64 s[20:21], s[16:17]
	s_cbranch_execz .LBB472_262
.LBB472_859:
	s_mov_b64 s[18:19], exec
	s_andn2_b64 s[22:23], s[22:23], exec
	s_trap 2
	s_or_b64 exec, exec, s[20:21]
	s_and_saveexec_b64 s[16:17], s[22:23]
	s_xor_b64 s[16:17], exec, s[16:17]
	s_cbranch_execnz .LBB472_263
.LBB472_860:
	s_or_b64 exec, exec, s[16:17]
	s_and_saveexec_b64 s[16:17], s[24:25]
	s_cbranch_execz .LBB472_906
.LBB472_861:
	s_sext_i32_i16 s20, s11
	s_cmp_lt_i32 s20, 5
	s_cbranch_scc1 .LBB472_866
; %bb.862:
	s_cmp_lt_i32 s20, 8
	s_cbranch_scc1 .LBB472_867
; %bb.863:
	;; [unrolled: 3-line block ×3, first 2 shown]
	s_cmp_gt_i32 s20, 9
	s_cbranch_scc0 .LBB472_869
; %bb.865:
	global_load_dwordx2 v[2:3], v[0:1], off
	s_mov_b64 s[20:21], 0
	s_waitcnt vmcnt(0)
	v_cvt_f32_f64_e32 v3, v[2:3]
	s_branch .LBB472_870
.LBB472_866:
                                        ; implicit-def: $vgpr3
	s_branch .LBB472_887
.LBB472_867:
                                        ; implicit-def: $vgpr3
	s_branch .LBB472_876
.LBB472_868:
	s_mov_b64 s[20:21], -1
                                        ; implicit-def: $vgpr3
	s_branch .LBB472_873
.LBB472_869:
	s_mov_b64 s[20:21], -1
                                        ; implicit-def: $vgpr3
.LBB472_870:
	s_andn2_b64 vcc, exec, s[20:21]
	s_cbranch_vccnz .LBB472_872
; %bb.871:
	global_load_dword v3, v[0:1], off
.LBB472_872:
	s_mov_b64 s[20:21], 0
.LBB472_873:
	s_andn2_b64 vcc, exec, s[20:21]
	s_cbranch_vccnz .LBB472_875
; %bb.874:
	global_load_dword v2, v[0:1], off
	s_waitcnt vmcnt(0)
	v_cvt_f32_f16_e32 v3, v2
.LBB472_875:
	s_cbranch_execnz .LBB472_886
.LBB472_876:
	s_sext_i32_i16 s20, s11
	s_cmp_lt_i32 s20, 6
	s_cbranch_scc1 .LBB472_879
; %bb.877:
	s_cmp_gt_i32 s20, 6
	s_cbranch_scc0 .LBB472_880
; %bb.878:
	global_load_dwordx2 v[2:3], v[0:1], off
	s_mov_b64 s[20:21], 0
	s_waitcnt vmcnt(0)
	v_cvt_f32_f64_e32 v3, v[2:3]
	s_branch .LBB472_881
.LBB472_879:
	s_mov_b64 s[20:21], -1
                                        ; implicit-def: $vgpr3
	s_branch .LBB472_884
.LBB472_880:
	s_mov_b64 s[20:21], -1
                                        ; implicit-def: $vgpr3
.LBB472_881:
	s_andn2_b64 vcc, exec, s[20:21]
	s_cbranch_vccnz .LBB472_883
; %bb.882:
	global_load_dword v3, v[0:1], off
.LBB472_883:
	s_mov_b64 s[20:21], 0
.LBB472_884:
	s_andn2_b64 vcc, exec, s[20:21]
	s_cbranch_vccnz .LBB472_886
; %bb.885:
	global_load_ushort v2, v[0:1], off
	s_waitcnt vmcnt(0)
	v_cvt_f32_f16_e32 v3, v2
.LBB472_886:
	s_cbranch_execnz .LBB472_905
.LBB472_887:
	s_sext_i32_i16 s20, s11
	s_cmp_lt_i32 s20, 2
	s_cbranch_scc1 .LBB472_891
; %bb.888:
	s_cmp_lt_i32 s20, 3
	s_cbranch_scc1 .LBB472_892
; %bb.889:
	s_cmp_gt_i32 s20, 3
	s_cbranch_scc0 .LBB472_893
; %bb.890:
	global_load_dwordx2 v[2:3], v[0:1], off
	s_mov_b64 s[20:21], 0
	s_waitcnt vmcnt(0)
	v_xor_b32_e32 v6, v2, v3
	v_ffbh_i32_e32 v4, v3
	v_ashrrev_i32_e32 v6, 31, v6
	v_add_u32_e32 v4, -1, v4
	v_add_u32_e32 v6, 32, v6
	v_min_u32_e32 v4, v4, v6
	v_lshlrev_b64 v[2:3], v4, v[2:3]
	v_min_u32_e32 v2, 1, v2
	v_or_b32_e32 v2, v3, v2
	v_cvt_f32_i32_e32 v2, v2
	v_sub_u32_e32 v3, 32, v4
	v_ldexp_f32 v3, v2, v3
	s_branch .LBB472_894
.LBB472_891:
                                        ; implicit-def: $vgpr3
	s_branch .LBB472_900
.LBB472_892:
	s_mov_b64 s[20:21], -1
                                        ; implicit-def: $vgpr3
	s_branch .LBB472_897
.LBB472_893:
	s_mov_b64 s[20:21], -1
                                        ; implicit-def: $vgpr3
.LBB472_894:
	s_andn2_b64 vcc, exec, s[20:21]
	s_cbranch_vccnz .LBB472_896
; %bb.895:
	global_load_dword v2, v[0:1], off
	s_waitcnt vmcnt(0)
	v_cvt_f32_i32_e32 v3, v2
.LBB472_896:
	s_mov_b64 s[20:21], 0
.LBB472_897:
	s_andn2_b64 vcc, exec, s[20:21]
	s_cbranch_vccnz .LBB472_899
; %bb.898:
	global_load_sshort v2, v[0:1], off
	s_waitcnt vmcnt(0)
	v_cvt_f32_i32_e32 v3, v2
.LBB472_899:
	s_cbranch_execnz .LBB472_905
.LBB472_900:
	s_sext_i32_i16 s20, s11
	s_cmp_gt_i32 s20, 0
	s_cbranch_scc0 .LBB472_902
; %bb.901:
	global_load_sbyte v2, v[0:1], off
	s_mov_b64 s[20:21], 0
	s_waitcnt vmcnt(0)
	v_cvt_f32_i32_e32 v3, v2
	s_branch .LBB472_903
.LBB472_902:
	s_mov_b64 s[20:21], -1
                                        ; implicit-def: $vgpr3
.LBB472_903:
	s_andn2_b64 vcc, exec, s[20:21]
	s_cbranch_vccnz .LBB472_905
; %bb.904:
	global_load_ubyte v0, v[0:1], off
	s_waitcnt vmcnt(0)
	v_cvt_f32_ubyte0_e32 v3, v0
.LBB472_905:
	s_or_b64 s[0:1], s[0:1], exec
.LBB472_906:
	s_or_b64 exec, exec, s[16:17]
	s_mov_b64 s[22:23], 0
	s_mov_b64 s[20:21], 0
                                        ; implicit-def: $sgpr28
                                        ; implicit-def: $vgpr0_vgpr1
                                        ; implicit-def: $vgpr2
	s_and_saveexec_b64 s[16:17], s[0:1]
	s_cbranch_execz .LBB472_924
; %bb.907:
	v_max_f32_e64 v0, s10, s10
	s_waitcnt vmcnt(0)
	v_max_f32_e32 v1, v3, v3
	v_min_f32_e32 v0, v1, v0
	v_cmp_u_f32_e32 vcc, v3, v3
	s_and_b32 s28, s33, 0xff
	s_cmp_lt_i32 s28, 11
	v_cndmask_b32_e32 v2, v0, v3, vcc
	v_mul_lo_u32 v0, v5, s8
	v_ashrrev_i32_e32 v1, 31, v0
	v_lshl_add_u64 v[0:1], s[4:5], 0, v[0:1]
	s_cbranch_scc1 .LBB472_927
; %bb.908:
	s_and_b32 s29, 0xffff, s28
	s_mov_b64 s[22:23], -1
	s_cmp_gt_i32 s29, 25
	s_mov_b64 s[0:1], s[14:15]
	s_cbranch_scc0 .LBB472_945
; %bb.909:
	s_mov_b64 s[20:21], -1
	s_cmp_gt_i32 s29, 28
	s_mov_b64 s[0:1], s[14:15]
	s_cbranch_scc0 .LBB472_929
; %bb.910:
	s_cmp_gt_i32 s29, 43
	s_mov_b64 s[0:1], s[14:15]
	s_cbranch_scc0 .LBB472_921
; %bb.911:
	;; [unrolled: 4-line block ×3, first 2 shown]
	s_cmp_eq_u32 s29, 46
	s_mov_b64 s[0:1], -1
	s_cbranch_scc0 .LBB472_914
; %bb.913:
	v_bfe_u32 v3, v2, 16, 1
	s_movk_i32 s0, 0x7fff
	v_add3_u32 v3, v2, v3, s0
	v_cmp_o_f32_e32 vcc, v2, v2
	v_mov_b32_e32 v4, 0x7fc0
	s_mov_b64 s[0:1], 0
	v_cndmask_b32_sdwa v3, v4, v3, vcc dst_sel:DWORD dst_unused:UNUSED_PAD src0_sel:DWORD src1_sel:WORD_1
	global_store_dword v[0:1], v3, off
.LBB472_914:
	s_mov_b64 s[20:21], 0
.LBB472_915:
	s_and_b64 vcc, exec, s[20:21]
	s_cbranch_vccz .LBB472_920
; %bb.916:
	s_cmp_eq_u32 s29, 44
	s_mov_b64 s[0:1], -1
	s_cbranch_scc0 .LBB472_920
; %bb.917:
	v_bfe_u32 v3, v2, 23, 8
	s_movk_i32 s0, 0xff
	v_cmp_ne_u32_e32 vcc, s0, v3
	v_mov_b32_e32 v4, 0xff
	s_and_saveexec_b64 s[20:21], vcc
; %bb.918:
	s_mov_b32 s0, 0x3fffff
	v_and_b32_e32 v5, 0x400000, v2
	v_and_or_b32 v3, v2, s0, v3
	v_cmp_ne_u32_e32 vcc, 0, v5
	v_cmp_ne_u32_e64 s[0:1], 0, v3
	s_and_b64 s[0:1], vcc, s[0:1]
	v_lshrrev_b32_e32 v4, 23, v2
	v_cndmask_b32_e64 v3, 0, 1, s[0:1]
	v_add_u32_e32 v4, v4, v3
; %bb.919:
	s_or_b64 exec, exec, s[20:21]
	s_mov_b64 s[0:1], 0
	global_store_byte v[0:1], v4, off
.LBB472_920:
	s_mov_b64 s[20:21], 0
.LBB472_921:
	s_and_b64 vcc, exec, s[20:21]
	s_cbranch_vccz .LBB472_928
; %bb.922:
	s_cmp_eq_u32 s29, 29
	s_mov_b64 s[0:1], -1
	s_cbranch_scc0 .LBB472_928
; %bb.923:
	v_trunc_f32_e32 v3, v2
	v_mul_f32_e32 v4, 0x2f800000, v3
	v_floor_f32_e32 v4, v4
	v_fmamk_f32 v3, v4, 0xcf800000, v3
	v_cvt_u32_f32_e32 v5, v4
	v_cvt_u32_f32_e32 v4, v3
	s_mov_b64 s[0:1], 0
	s_mov_b64 s[20:21], 0
	global_store_dwordx2 v[0:1], v[4:5], off
	s_branch .LBB472_929
.LBB472_924:
	s_or_b64 exec, exec, s[16:17]
	s_and_saveexec_b64 s[0:1], s[14:15]
	s_cbranch_execnz .LBB472_987
.LBB472_925:
	s_or_b64 exec, exec, s[0:1]
	s_and_saveexec_b64 s[0:1], s[22:23]
	s_xor_b64 s[0:1], exec, s[0:1]
	s_cbranch_execz .LBB472_988
.LBB472_926:
	s_waitcnt vmcnt(0)
	v_cmp_neq_f32_e32 vcc, 0, v2
	s_nop 1
	v_cndmask_b32_e64 v3, 0, 1, vcc
	global_store_byte v[0:1], v3, off
	s_or_b64 exec, exec, s[0:1]
	s_and_saveexec_b64 s[0:1], s[20:21]
	s_xor_b64 s[0:1], exec, s[0:1]
	s_cbranch_execz .LBB472_1026
	s_branch .LBB472_989
.LBB472_927:
	s_mov_b64 s[20:21], -1
	s_mov_b64 s[0:1], s[14:15]
	s_branch .LBB472_986
.LBB472_928:
	s_mov_b64 s[20:21], 0
.LBB472_929:
	s_and_b64 vcc, exec, s[20:21]
	s_cbranch_vccz .LBB472_944
; %bb.930:
	s_cmp_lt_i32 s29, 27
	s_mov_b64 s[20:21], -1
	s_cbranch_scc1 .LBB472_936
; %bb.931:
	v_cvt_u32_f32_e32 v3, v2
	s_cmp_gt_i32 s29, 27
	s_cbranch_scc0 .LBB472_933
; %bb.932:
	s_mov_b64 s[20:21], 0
	global_store_dword v[0:1], v3, off
.LBB472_933:
	s_andn2_b64 vcc, exec, s[20:21]
	s_cbranch_vccnz .LBB472_935
; %bb.934:
	global_store_short v[0:1], v3, off
.LBB472_935:
	s_mov_b64 s[20:21], 0
.LBB472_936:
	s_andn2_b64 vcc, exec, s[20:21]
	s_cbranch_vccnz .LBB472_944
; %bb.937:
	v_and_b32_e32 v3, 0x7fffffff, v2
	s_mov_b32 s20, 0x43800000
	v_cmp_gt_u32_e32 vcc, s20, v3
	v_mov_b32_e32 v4, 0x80
	s_and_saveexec_b64 s[20:21], vcc
	s_cbranch_execz .LBB472_943
; %bb.938:
	s_mov_b32 s22, 0x3bffffff
	v_cmp_lt_u32_e32 vcc, s22, v3
	s_mov_b64 s[22:23], 0
                                        ; implicit-def: $vgpr3
	s_and_saveexec_b64 s[24:25], vcc
	s_xor_b64 s[24:25], exec, s[24:25]
	s_cbranch_execz .LBB472_1041
; %bb.939:
	v_bfe_u32 v3, v2, 20, 1
	s_mov_b32 s26, 0x487ffff
	v_add3_u32 v3, v2, v3, s26
	s_mov_b64 s[22:23], exec
	v_lshrrev_b32_e32 v3, 20, v3
	s_andn2_saveexec_b64 s[24:25], s[24:25]
	s_cbranch_execnz .LBB472_1042
.LBB472_940:
	s_or_b64 exec, exec, s[24:25]
	v_mov_b32_e32 v4, 0
	s_and_saveexec_b64 s[24:25], s[22:23]
.LBB472_941:
	v_lshrrev_b32_e32 v4, 24, v2
	s_movk_i32 s22, 0x80
	v_and_or_b32 v4, v4, s22, v3
.LBB472_942:
	s_or_b64 exec, exec, s[24:25]
.LBB472_943:
	s_or_b64 exec, exec, s[20:21]
	global_store_byte v[0:1], v4, off
.LBB472_944:
	s_mov_b64 s[22:23], 0
.LBB472_945:
	s_mov_b64 s[20:21], 0
	s_and_b64 vcc, exec, s[22:23]
	s_cbranch_vccz .LBB472_985
; %bb.946:
	s_cmp_gt_i32 s29, 22
	s_mov_b64 s[22:23], -1
	s_cbranch_scc0 .LBB472_978
; %bb.947:
	s_cmp_lt_i32 s29, 24
	s_cbranch_scc1 .LBB472_967
; %bb.948:
	s_cmp_gt_i32 s29, 24
	s_cbranch_scc0 .LBB472_956
; %bb.949:
	v_and_b32_e32 v3, 0x7fffffff, v2
	s_mov_b32 s22, 0x47800000
	v_cmp_gt_u32_e32 vcc, s22, v3
	v_mov_b32_e32 v4, 0x80
	s_and_saveexec_b64 s[22:23], vcc
	s_cbranch_execz .LBB472_955
; %bb.950:
	s_mov_b32 s24, 0x37ffffff
	v_cmp_lt_u32_e32 vcc, s24, v3
	s_mov_b64 s[24:25], 0
                                        ; implicit-def: $vgpr3
	s_and_saveexec_b64 s[26:27], vcc
	s_xor_b64 s[26:27], exec, s[26:27]
	s_cbranch_execz .LBB472_1166
; %bb.951:
	v_bfe_u32 v3, v2, 21, 1
	s_mov_b32 s30, 0x88fffff
	v_add3_u32 v3, v2, v3, s30
	s_mov_b64 s[24:25], exec
	v_lshrrev_b32_e32 v3, 21, v3
	s_andn2_saveexec_b64 s[26:27], s[26:27]
	s_cbranch_execnz .LBB472_1167
.LBB472_952:
	s_or_b64 exec, exec, s[26:27]
	v_mov_b32_e32 v4, 0
	s_and_saveexec_b64 s[26:27], s[24:25]
.LBB472_953:
	v_lshrrev_b32_e32 v4, 24, v2
	s_movk_i32 s24, 0x80
	v_and_or_b32 v4, v4, s24, v3
.LBB472_954:
	s_or_b64 exec, exec, s[26:27]
.LBB472_955:
	s_or_b64 exec, exec, s[22:23]
	s_mov_b64 s[22:23], 0
	global_store_byte v[0:1], v4, off
.LBB472_956:
	s_and_b64 vcc, exec, s[22:23]
	s_cbranch_vccz .LBB472_966
; %bb.957:
	v_and_b32_e32 v4, 0x7fffffff, v2
	s_mov_b32 s22, 0x43f00000
	v_cmp_gt_u32_e32 vcc, s22, v4
                                        ; implicit-def: $vgpr3
	s_and_saveexec_b64 s[22:23], vcc
	s_xor_b64 s[22:23], exec, s[22:23]
	s_cbranch_execz .LBB472_963
; %bb.958:
	s_mov_b32 s24, 0x3c7fffff
	v_cmp_lt_u32_e32 vcc, s24, v4
                                        ; implicit-def: $vgpr3
	s_and_saveexec_b64 s[24:25], vcc
	s_xor_b64 s[24:25], exec, s[24:25]
; %bb.959:
	v_bfe_u32 v3, v2, 20, 1
	s_mov_b32 s26, 0x407ffff
	v_add3_u32 v3, v2, v3, s26
	v_lshrrev_b32_e32 v4, 20, v3
	v_and_b32_e32 v3, 0xff00000, v3
	s_mov_b32 s26, 0x7f00000
	v_mov_b32_e32 v5, 0x7e
	v_cmp_ne_u32_e32 vcc, s26, v3
	s_nop 1
	v_cndmask_b32_e32 v3, v5, v4, vcc
; %bb.960:
	s_andn2_saveexec_b64 s[24:25], s[24:25]
; %bb.961:
	s_mov_b32 s26, 0x46800000
	v_add_f32_e64 v3, |v2|, s26
; %bb.962:
	s_or_b64 exec, exec, s[24:25]
                                        ; implicit-def: $vgpr4
.LBB472_963:
	s_andn2_saveexec_b64 s[22:23], s[22:23]
; %bb.964:
	s_mov_b32 s24, 0x7f800000
	v_mov_b32_e32 v3, 0x7e
	v_mov_b32_e32 v5, 0x7f
	v_cmp_lt_u32_e32 vcc, s24, v4
	s_nop 1
	v_cndmask_b32_e32 v3, v3, v5, vcc
; %bb.965:
	s_or_b64 exec, exec, s[22:23]
	v_lshrrev_b32_e32 v4, 24, v2
	s_movk_i32 s22, 0x80
	v_and_or_b32 v3, v4, s22, v3
	global_store_byte v[0:1], v3, off
.LBB472_966:
	s_mov_b64 s[22:23], 0
.LBB472_967:
	s_andn2_b64 vcc, exec, s[22:23]
	s_cbranch_vccnz .LBB472_977
; %bb.968:
	v_and_b32_e32 v4, 0x7fffffff, v2
	s_mov_b32 s22, 0x47800000
	v_cmp_gt_u32_e32 vcc, s22, v4
                                        ; implicit-def: $vgpr3
	s_and_saveexec_b64 s[22:23], vcc
	s_xor_b64 s[22:23], exec, s[22:23]
	s_cbranch_execz .LBB472_974
; %bb.969:
	s_mov_b32 s24, 0x387fffff
	v_cmp_lt_u32_e32 vcc, s24, v4
                                        ; implicit-def: $vgpr3
	s_and_saveexec_b64 s[24:25], vcc
	s_xor_b64 s[24:25], exec, s[24:25]
; %bb.970:
	v_bfe_u32 v3, v2, 21, 1
	s_mov_b32 s26, 0x80fffff
	v_add3_u32 v3, v2, v3, s26
	v_lshrrev_b32_e32 v3, 21, v3
; %bb.971:
	s_andn2_saveexec_b64 s[24:25], s[24:25]
; %bb.972:
	s_mov_b32 s26, 0x43000000
	v_add_f32_e64 v3, |v2|, s26
; %bb.973:
	s_or_b64 exec, exec, s[24:25]
                                        ; implicit-def: $vgpr4
.LBB472_974:
	s_andn2_saveexec_b64 s[22:23], s[22:23]
; %bb.975:
	s_mov_b32 s24, 0x7f800000
	v_mov_b32_e32 v3, 0x7c
	v_mov_b32_e32 v5, 0x7f
	v_cmp_lt_u32_e32 vcc, s24, v4
	s_nop 1
	v_cndmask_b32_e32 v3, v3, v5, vcc
; %bb.976:
	s_or_b64 exec, exec, s[22:23]
	v_lshrrev_b32_e32 v4, 24, v2
	s_movk_i32 s22, 0x80
	v_and_or_b32 v3, v4, s22, v3
	global_store_byte v[0:1], v3, off
.LBB472_977:
	s_mov_b64 s[22:23], 0
.LBB472_978:
	s_andn2_b64 vcc, exec, s[22:23]
	s_mov_b64 s[22:23], 0
	s_cbranch_vccnz .LBB472_986
; %bb.979:
	s_cmp_gt_i32 s29, 14
	s_mov_b64 s[24:25], -1
	s_cbranch_scc0 .LBB472_983
; %bb.980:
	s_cmp_eq_u32 s29, 15
	s_mov_b64 s[0:1], -1
	s_cbranch_scc0 .LBB472_982
; %bb.981:
	v_bfe_u32 v3, v2, 16, 1
	s_movk_i32 s0, 0x7fff
	v_add3_u32 v3, v2, v3, s0
	v_cmp_o_f32_e32 vcc, v2, v2
	v_mov_b32_e32 v4, 0x7fc0
	s_mov_b64 s[0:1], 0
	v_cndmask_b32_sdwa v3, v4, v3, vcc dst_sel:DWORD dst_unused:UNUSED_PAD src0_sel:DWORD src1_sel:WORD_1
	global_store_short v[0:1], v3, off
.LBB472_982:
	s_mov_b64 s[24:25], 0
.LBB472_983:
	s_and_b64 vcc, exec, s[24:25]
	s_cbranch_vccz .LBB472_986
; %bb.984:
	s_cmp_lg_u32 s29, 11
	s_cselect_b64 s[24:25], -1, 0
	s_andn2_b64 s[0:1], s[0:1], exec
	s_and_b64 s[24:25], s[24:25], exec
	s_mov_b64 s[22:23], -1
	s_or_b64 s[0:1], s[0:1], s[24:25]
	s_branch .LBB472_986
.LBB472_985:
	s_mov_b64 s[22:23], 0
.LBB472_986:
	s_andn2_b64 s[14:15], s[14:15], exec
	s_and_b64 s[0:1], s[0:1], exec
	s_and_b64 s[20:21], s[20:21], exec
	;; [unrolled: 1-line block ×3, first 2 shown]
	s_or_b64 s[14:15], s[14:15], s[0:1]
	s_or_b64 exec, exec, s[16:17]
	s_and_saveexec_b64 s[0:1], s[14:15]
	s_cbranch_execz .LBB472_925
.LBB472_987:
	s_or_b64 s[18:19], s[18:19], exec
	s_andn2_b64 s[22:23], s[22:23], exec
	s_trap 2
	s_or_b64 exec, exec, s[0:1]
	s_and_saveexec_b64 s[0:1], s[22:23]
	s_xor_b64 s[0:1], exec, s[0:1]
	s_cbranch_execnz .LBB472_926
.LBB472_988:
	s_or_b64 exec, exec, s[0:1]
	s_and_saveexec_b64 s[0:1], s[20:21]
	s_xor_b64 s[0:1], exec, s[0:1]
	s_cbranch_execz .LBB472_1026
.LBB472_989:
	s_sext_i32_i16 s16, s28
	s_cmp_lt_i32 s16, 5
	s_mov_b64 s[14:15], -1
	s_cbranch_scc1 .LBB472_1010
; %bb.990:
	s_cmp_lt_i32 s16, 8
	s_cbranch_scc1 .LBB472_1000
; %bb.991:
	s_cmp_lt_i32 s16, 9
	s_cbranch_scc1 .LBB472_997
; %bb.992:
	s_cmp_gt_i32 s16, 9
	s_cbranch_scc0 .LBB472_994
; %bb.993:
	v_mov_b32_e32 v6, 0
	s_waitcnt vmcnt(0)
	v_cvt_f64_f32_e32 v[4:5], v2
	v_mov_b32_e32 v7, v6
	s_mov_b64 s[14:15], 0
	global_store_dwordx4 v[0:1], v[4:7], off
.LBB472_994:
	s_andn2_b64 vcc, exec, s[14:15]
	s_cbranch_vccnz .LBB472_996
; %bb.995:
	s_waitcnt vmcnt(0)
	v_mov_b32_e32 v3, 0
	global_store_dwordx2 v[0:1], v[2:3], off
.LBB472_996:
	s_mov_b64 s[14:15], 0
.LBB472_997:
	s_andn2_b64 vcc, exec, s[14:15]
	s_cbranch_vccnz .LBB472_999
; %bb.998:
	s_waitcnt vmcnt(0)
	v_cvt_f16_f32_e32 v3, v2
	global_store_dword v[0:1], v3, off
.LBB472_999:
	s_mov_b64 s[14:15], 0
.LBB472_1000:
	s_andn2_b64 vcc, exec, s[14:15]
	s_cbranch_vccnz .LBB472_1009
; %bb.1001:
	s_sext_i32_i16 s16, s28
	s_cmp_lt_i32 s16, 6
	s_mov_b64 s[14:15], -1
	s_cbranch_scc1 .LBB472_1007
; %bb.1002:
	s_cmp_gt_i32 s16, 6
	s_cbranch_scc0 .LBB472_1004
; %bb.1003:
	s_waitcnt vmcnt(0)
	v_cvt_f64_f32_e32 v[4:5], v2
	s_mov_b64 s[14:15], 0
	global_store_dwordx2 v[0:1], v[4:5], off
.LBB472_1004:
	s_andn2_b64 vcc, exec, s[14:15]
	s_cbranch_vccnz .LBB472_1006
; %bb.1005:
	s_waitcnt vmcnt(0)
	global_store_dword v[0:1], v2, off
.LBB472_1006:
	s_mov_b64 s[14:15], 0
.LBB472_1007:
	s_andn2_b64 vcc, exec, s[14:15]
	s_cbranch_vccnz .LBB472_1009
; %bb.1008:
	s_waitcnt vmcnt(0)
	v_cvt_f16_f32_e32 v3, v2
	global_store_short v[0:1], v3, off
.LBB472_1009:
	s_mov_b64 s[14:15], 0
.LBB472_1010:
	s_andn2_b64 vcc, exec, s[14:15]
	s_cbranch_vccnz .LBB472_1026
; %bb.1011:
	s_sext_i32_i16 s16, s28
	s_cmp_lt_i32 s16, 2
	s_mov_b64 s[14:15], -1
	s_cbranch_scc1 .LBB472_1021
; %bb.1012:
	s_cmp_lt_i32 s16, 3
	s_cbranch_scc1 .LBB472_1018
; %bb.1013:
	s_cmp_gt_i32 s16, 3
	s_cbranch_scc0 .LBB472_1015
; %bb.1014:
	s_waitcnt vmcnt(0)
	v_trunc_f32_e32 v3, v2
	s_mov_b32 s14, 0x2f800000
	v_mul_f32_e64 v4, |v3|, s14
	v_floor_f32_e32 v4, v4
	s_mov_b32 s14, 0xcf800000
	v_cvt_u32_f32_e32 v5, v4
	v_fma_f32 v4, v4, s14, |v3|
	v_cvt_u32_f32_e32 v4, v4
	v_ashrrev_i32_e32 v3, 31, v3
	v_xor_b32_e32 v5, v5, v3
	s_mov_b64 s[14:15], 0
	v_xor_b32_e32 v4, v4, v3
	v_sub_co_u32_e32 v4, vcc, v4, v3
	s_nop 1
	v_subb_co_u32_e32 v5, vcc, v5, v3, vcc
	global_store_dwordx2 v[0:1], v[4:5], off
.LBB472_1015:
	s_andn2_b64 vcc, exec, s[14:15]
	s_cbranch_vccnz .LBB472_1017
; %bb.1016:
	s_waitcnt vmcnt(0)
	v_cvt_i32_f32_e32 v3, v2
	global_store_dword v[0:1], v3, off
.LBB472_1017:
	s_mov_b64 s[14:15], 0
.LBB472_1018:
	s_andn2_b64 vcc, exec, s[14:15]
	s_cbranch_vccnz .LBB472_1020
; %bb.1019:
	s_waitcnt vmcnt(0)
	v_cvt_i32_f32_e32 v3, v2
	global_store_short v[0:1], v3, off
.LBB472_1020:
	s_mov_b64 s[14:15], 0
.LBB472_1021:
	s_andn2_b64 vcc, exec, s[14:15]
	s_cbranch_vccnz .LBB472_1026
; %bb.1022:
	s_sext_i32_i16 s14, s28
	s_cmp_gt_i32 s14, 0
	s_mov_b64 s[14:15], -1
	s_cbranch_scc0 .LBB472_1024
; %bb.1023:
	s_waitcnt vmcnt(0)
	v_cvt_i32_f32_e32 v3, v2
	s_mov_b64 s[14:15], 0
	global_store_byte v[0:1], v3, off
.LBB472_1024:
	s_andn2_b64 vcc, exec, s[14:15]
	s_cbranch_vccnz .LBB472_1026
; %bb.1025:
	s_waitcnt vmcnt(0)
	v_trunc_f32_e32 v2, v2
	s_mov_b32 s14, 0x2f800000
	v_mul_f32_e64 v3, |v2|, s14
	v_floor_f32_e32 v3, v3
	s_mov_b32 s14, 0xcf800000
	v_fma_f32 v3, v3, s14, |v2|
	v_cvt_u32_f32_e32 v3, v3
	v_ashrrev_i32_e32 v2, 31, v2
	v_xor_b32_e32 v3, v3, v2
	v_sub_u32_e32 v2, v3, v2
	global_store_byte v[0:1], v2, off
.LBB472_1026:
	s_or_b64 exec, exec, s[0:1]
	s_and_b64 s[14:15], s[18:19], exec
                                        ; implicit-def: $vgpr5
.LBB472_1027:
	s_or_saveexec_b64 s[12:13], s[12:13]
	s_mov_b64 s[0:1], 0
                                        ; implicit-def: $sgpr20
                                        ; implicit-def: $vgpr0_vgpr1
                                        ; implicit-def: $vgpr2
	s_xor_b64 exec, exec, s[12:13]
	s_cbranch_execz .LBB472_1975
; %bb.1028:
	v_mul_lo_u32 v0, s9, v5
	v_ashrrev_i32_e32 v1, 31, v0
	s_and_b32 s11, 0xffff, s11
	s_cmp_lt_i32 s11, 11
	s_waitcnt vmcnt(0)
	v_lshl_add_u64 v[2:3], s[6:7], 0, v[0:1]
	s_cbranch_scc1 .LBB472_1035
; %bb.1029:
	s_cmp_gt_i32 s11, 25
	s_cbranch_scc0 .LBB472_1037
; %bb.1030:
	s_cmp_gt_i32 s11, 28
	s_cbranch_scc0 .LBB472_1038
	;; [unrolled: 3-line block ×4, first 2 shown]
; %bb.1033:
	s_cmp_eq_u32 s11, 46
	s_mov_b64 s[16:17], 0
	s_cbranch_scc0 .LBB472_1043
; %bb.1034:
	global_load_dword v1, v[2:3], off
	s_mov_b64 s[18:19], -1
	s_waitcnt vmcnt(0)
	v_lshlrev_b32_e32 v4, 16, v1
	s_branch .LBB472_1044
.LBB472_1035:
	s_mov_b64 s[18:19], 0
                                        ; implicit-def: $vgpr4
	s_mov_b64 s[16:17], s[14:15]
	s_cbranch_execnz .LBB472_1107
.LBB472_1036:
	s_andn2_b64 vcc, exec, s[18:19]
	s_cbranch_vccz .LBB472_1152
	s_branch .LBB472_1973
.LBB472_1037:
	s_mov_b64 s[18:19], 0
                                        ; implicit-def: $vgpr4
	s_cbranch_execnz .LBB472_1072
	s_branch .LBB472_1103
.LBB472_1038:
	s_mov_b64 s[16:17], -1
	s_mov_b64 s[18:19], 0
                                        ; implicit-def: $vgpr4
	s_branch .LBB472_1053
.LBB472_1039:
	s_mov_b64 s[18:19], 0
                                        ; implicit-def: $vgpr4
	s_cbranch_execnz .LBB472_1049
	s_branch .LBB472_1052
.LBB472_1040:
	s_mov_b64 s[16:17], -1
	s_mov_b64 s[18:19], 0
                                        ; implicit-def: $vgpr4
	s_branch .LBB472_1044
.LBB472_1041:
	s_andn2_saveexec_b64 s[24:25], s[24:25]
	s_cbranch_execz .LBB472_940
.LBB472_1042:
	s_mov_b32 s26, 0x46000000
	v_add_f32_e64 v3, |v2|, s26
	v_and_b32_e32 v3, 0xff, v3
	v_cmp_ne_u32_e32 vcc, 0, v3
	s_andn2_b64 s[22:23], s[22:23], exec
	s_and_b64 s[26:27], vcc, exec
	s_or_b64 s[22:23], s[22:23], s[26:27]
	s_or_b64 exec, exec, s[24:25]
	v_mov_b32_e32 v4, 0
	s_and_saveexec_b64 s[24:25], s[22:23]
	s_cbranch_execnz .LBB472_941
	s_branch .LBB472_942
.LBB472_1043:
	s_mov_b64 s[0:1], -1
                                        ; implicit-def: $vgpr4
	s_mov_b64 s[18:19], 0
.LBB472_1044:
	s_and_b64 vcc, exec, s[16:17]
	s_cbranch_vccz .LBB472_1047
; %bb.1045:
	s_cmp_eq_u32 s11, 44
	s_cbranch_scc0 .LBB472_1048
; %bb.1046:
	global_load_ubyte v1, v[2:3], off
	s_movk_i32 s16, 0xff
	v_mov_b32_e32 v4, 0x7f800001
	v_mov_b32_e32 v6, 0x400000
	s_mov_b64 s[0:1], 0
	s_mov_b64 s[18:19], -1
	s_waitcnt vmcnt(0)
	v_lshlrev_b32_e32 v7, 23, v1
	v_cmp_ne_u32_e32 vcc, s16, v1
	s_nop 1
	v_cndmask_b32_e32 v4, v4, v7, vcc
	v_cmp_ne_u32_e32 vcc, 0, v1
	s_nop 1
	v_cndmask_b32_e32 v4, v6, v4, vcc
.LBB472_1047:
	s_branch .LBB472_1052
.LBB472_1048:
	s_mov_b64 s[0:1], -1
                                        ; implicit-def: $vgpr4
	s_branch .LBB472_1052
.LBB472_1049:
	s_cmp_eq_u32 s11, 29
	s_cbranch_scc0 .LBB472_1051
; %bb.1050:
	global_load_dwordx2 v[6:7], v[2:3], off
	s_mov_b64 s[0:1], 0
	s_mov_b64 s[18:19], -1
	s_mov_b64 s[16:17], 0
	s_waitcnt vmcnt(0)
	v_ffbh_u32_e32 v1, v7
	v_min_u32_e32 v1, 32, v1
	v_lshlrev_b64 v[6:7], v1, v[6:7]
	v_min_u32_e32 v4, 1, v6
	v_or_b32_e32 v4, v7, v4
	v_cvt_f32_u32_e32 v4, v4
	v_sub_u32_e32 v1, 32, v1
	v_ldexp_f32 v4, v4, v1
	s_branch .LBB472_1053
.LBB472_1051:
	s_mov_b64 s[0:1], -1
                                        ; implicit-def: $vgpr4
.LBB472_1052:
	s_mov_b64 s[16:17], 0
.LBB472_1053:
	s_and_b64 vcc, exec, s[16:17]
	s_cbranch_vccz .LBB472_1071
; %bb.1054:
	s_cmp_lt_i32 s11, 27
	s_cbranch_scc1 .LBB472_1057
; %bb.1055:
	s_cmp_gt_i32 s11, 27
	s_cbranch_scc0 .LBB472_1058
; %bb.1056:
	global_load_dword v1, v[2:3], off
	s_mov_b64 s[16:17], 0
	s_waitcnt vmcnt(0)
	v_cvt_f32_u32_e32 v4, v1
	s_branch .LBB472_1059
.LBB472_1057:
	s_mov_b64 s[16:17], -1
                                        ; implicit-def: $vgpr4
	s_branch .LBB472_1062
.LBB472_1058:
	s_mov_b64 s[16:17], -1
                                        ; implicit-def: $vgpr4
.LBB472_1059:
	s_andn2_b64 vcc, exec, s[16:17]
	s_cbranch_vccnz .LBB472_1061
; %bb.1060:
	global_load_ushort v1, v[2:3], off
	s_waitcnt vmcnt(0)
	v_cvt_f32_u32_e32 v4, v1
.LBB472_1061:
	s_mov_b64 s[16:17], 0
.LBB472_1062:
	s_andn2_b64 vcc, exec, s[16:17]
	s_cbranch_vccnz .LBB472_1070
; %bb.1063:
	global_load_ubyte v1, v[2:3], off
	s_movk_i32 s16, 0x7f
	s_waitcnt vmcnt(0)
	v_cmp_lt_i16_e32 vcc, s16, v1
	s_mov_b64 s[16:17], 0
	s_and_saveexec_b64 s[18:19], vcc
	s_xor_b64 s[18:19], exec, s[18:19]
	s_cbranch_execz .LBB472_1083
; %bb.1064:
	s_movk_i32 s16, 0x80
	v_cmp_eq_u16_e32 vcc, s16, v1
	s_mov_b64 s[16:17], -1
	s_and_saveexec_b64 s[20:21], vcc
; %bb.1065:
	s_xor_b64 s[16:17], exec, -1
; %bb.1066:
	s_or_b64 exec, exec, s[20:21]
	s_and_b64 s[16:17], s[16:17], exec
	s_or_saveexec_b64 s[18:19], s[18:19]
	v_mov_b32_e32 v4, 0x7f800001
	s_xor_b64 exec, exec, s[18:19]
	s_cbranch_execnz .LBB472_1084
.LBB472_1067:
	s_or_b64 exec, exec, s[18:19]
	s_and_saveexec_b64 s[18:19], s[16:17]
	s_cbranch_execz .LBB472_1069
.LBB472_1068:
	v_lshlrev_b32_e32 v4, 24, v1
	v_and_b32_e32 v1, 0xffff, v1
	v_and_b32_e32 v6, 7, v1
	v_ffbh_u32_e32 v8, v6
	v_min_u32_e32 v8, 32, v8
	v_subrev_u32_e32 v9, 28, v8
	v_bfe_u32 v7, v1, 3, 4
	v_lshlrev_b32_e32 v1, v9, v1
	v_sub_u32_e32 v8, 29, v8
	v_and_b32_e32 v1, 7, v1
	v_cmp_eq_u32_e32 vcc, 0, v7
	v_and_b32_e32 v4, 0x80000000, v4
	s_nop 0
	v_cndmask_b32_e32 v7, v7, v8, vcc
	v_cndmask_b32_e32 v1, v6, v1, vcc
	v_mov_b32_e32 v6, 0x3b800000
	v_lshlrev_b32_e32 v1, 20, v1
	v_lshl_add_u32 v6, v7, 23, v6
	v_or3_b32 v4, v4, v6, v1
.LBB472_1069:
	s_or_b64 exec, exec, s[18:19]
.LBB472_1070:
	s_mov_b64 s[18:19], -1
.LBB472_1071:
	s_branch .LBB472_1103
.LBB472_1072:
	s_cmp_gt_i32 s11, 22
	s_cbranch_scc0 .LBB472_1082
; %bb.1073:
	s_cmp_lt_i32 s11, 24
	s_cbranch_scc1 .LBB472_1085
; %bb.1074:
	s_cmp_gt_i32 s11, 24
	s_cbranch_scc0 .LBB472_1086
; %bb.1075:
	global_load_ubyte v1, v[2:3], off
	s_movk_i32 s2, 0x7f
	s_waitcnt vmcnt(0)
	v_cmp_lt_i16_e32 vcc, s2, v1
	s_mov_b64 s[2:3], 0
	s_and_saveexec_b64 s[16:17], vcc
	s_xor_b64 s[16:17], exec, s[16:17]
	s_cbranch_execz .LBB472_1097
; %bb.1076:
	s_movk_i32 s2, 0x80
	v_cmp_eq_u16_e32 vcc, s2, v1
	s_mov_b64 s[2:3], -1
	s_and_saveexec_b64 s[18:19], vcc
; %bb.1077:
	s_xor_b64 s[2:3], exec, -1
; %bb.1078:
	s_or_b64 exec, exec, s[18:19]
	s_and_b64 s[2:3], s[2:3], exec
	s_or_saveexec_b64 s[16:17], s[16:17]
	v_mov_b32_e32 v4, 0x7f800001
	s_xor_b64 exec, exec, s[16:17]
	s_cbranch_execnz .LBB472_1098
.LBB472_1079:
	s_or_b64 exec, exec, s[16:17]
	s_and_saveexec_b64 s[16:17], s[2:3]
	s_cbranch_execz .LBB472_1081
.LBB472_1080:
	v_lshlrev_b32_e32 v4, 24, v1
	v_and_b32_e32 v1, 0xffff, v1
	v_and_b32_e32 v6, 3, v1
	v_ffbh_u32_e32 v8, v6
	v_min_u32_e32 v8, 32, v8
	v_subrev_u32_e32 v9, 29, v8
	v_bfe_u32 v7, v1, 2, 5
	v_lshlrev_b32_e32 v1, v9, v1
	v_sub_u32_e32 v8, 30, v8
	v_and_b32_e32 v1, 3, v1
	v_cmp_eq_u32_e32 vcc, 0, v7
	v_and_b32_e32 v4, 0x80000000, v4
	s_nop 0
	v_cndmask_b32_e32 v7, v7, v8, vcc
	v_cndmask_b32_e32 v1, v6, v1, vcc
	v_mov_b32_e32 v6, 0x37800000
	v_lshlrev_b32_e32 v1, 21, v1
	v_lshl_add_u32 v6, v7, 23, v6
	v_or3_b32 v4, v4, v6, v1
.LBB472_1081:
	s_or_b64 exec, exec, s[16:17]
	s_mov_b64 s[2:3], 0
	s_branch .LBB472_1087
.LBB472_1082:
                                        ; implicit-def: $vgpr4
	s_mov_b64 s[2:3], 0
	s_branch .LBB472_1093
.LBB472_1083:
	s_or_saveexec_b64 s[18:19], s[18:19]
	v_mov_b32_e32 v4, 0x7f800001
	s_xor_b64 exec, exec, s[18:19]
	s_cbranch_execz .LBB472_1067
.LBB472_1084:
	v_cmp_ne_u16_e32 vcc, 0, v1
	s_andn2_b64 s[16:17], s[16:17], exec
	s_and_b64 s[20:21], vcc, exec
	v_mov_b32_e32 v4, 0
	s_or_b64 s[16:17], s[16:17], s[20:21]
	s_or_b64 exec, exec, s[18:19]
	s_and_saveexec_b64 s[18:19], s[16:17]
	s_cbranch_execnz .LBB472_1068
	s_branch .LBB472_1069
.LBB472_1085:
	s_mov_b64 s[2:3], -1
                                        ; implicit-def: $vgpr4
	s_branch .LBB472_1090
.LBB472_1086:
	s_mov_b64 s[2:3], -1
                                        ; implicit-def: $vgpr4
.LBB472_1087:
	s_and_b64 vcc, exec, s[2:3]
	s_cbranch_vccz .LBB472_1089
; %bb.1088:
	global_load_ubyte v1, v[2:3], off
	s_mov_b32 s2, 0x7f800000
	s_waitcnt vmcnt(0)
	v_lshlrev_b32_e32 v1, 24, v1
	v_and_b32_e32 v4, 0x7f000000, v1
	v_ffbh_u32_e32 v6, v4
	v_min_u32_e32 v6, 32, v6
	v_sub_u32_e64 v6, v6, 4 clamp
	v_lshlrev_b32_e32 v8, v6, v4
	v_lshlrev_b32_e32 v6, 23, v6
	v_lshrrev_b32_e32 v8, 4, v8
	v_add_u32_e32 v7, 0x1000000, v4
	v_sub_u32_e32 v6, v8, v6
	v_ashrrev_i32_e32 v7, 8, v7
	v_add_u32_e32 v6, 0x3c000000, v6
	v_and_or_b32 v6, v7, s2, v6
	v_cmp_ne_u32_e32 vcc, 0, v4
	s_brev_b32 s2, 1
	s_nop 0
	v_cndmask_b32_e32 v4, 0, v6, vcc
	v_and_or_b32 v4, v1, s2, v4
.LBB472_1089:
	s_mov_b64 s[2:3], 0
.LBB472_1090:
	s_andn2_b64 vcc, exec, s[2:3]
	s_cbranch_vccnz .LBB472_1092
; %bb.1091:
	global_load_ubyte v1, v[2:3], off
	s_movk_i32 s2, 0x7f00
	s_brev_b32 s3, 16
	s_waitcnt vmcnt(0)
	v_lshlrev_b16_e32 v4, 8, v1
	v_lshlrev_b32_e32 v1, 25, v1
	v_lshrrev_b32_e32 v6, 4, v1
	v_and_or_b32 v7, v4, s2, 0.5
	v_or_b32_e32 v6, 0x70000000, v6
	v_add_f32_e32 v7, -0.5, v7
	v_mul_f32_e32 v6, 0x7800000, v6
	v_cmp_gt_u32_e32 vcc, s3, v1
	v_bfe_i32 v4, v4, 0, 16
	s_brev_b32 s2, 1
	v_cndmask_b32_e32 v1, v6, v7, vcc
	v_and_or_b32 v4, v4, s2, v1
.LBB472_1092:
	s_mov_b64 s[18:19], -1
	s_mov_b64 s[2:3], 0
	s_cbranch_execnz .LBB472_1103
.LBB472_1093:
	s_cmp_gt_i32 s11, 14
	s_cbranch_scc0 .LBB472_1096
; %bb.1094:
	s_cmp_eq_u32 s11, 15
	s_cbranch_scc0 .LBB472_1099
; %bb.1095:
	global_load_ushort v1, v[2:3], off
	s_mov_b64 s[0:1], 0
	s_mov_b64 s[18:19], -1
	s_waitcnt vmcnt(0)
	v_lshlrev_b32_e32 v4, 16, v1
	s_branch .LBB472_1100
.LBB472_1096:
	s_mov_b64 s[16:17], -1
                                        ; implicit-def: $vgpr4
	s_branch .LBB472_1101
.LBB472_1097:
	s_or_saveexec_b64 s[16:17], s[16:17]
	v_mov_b32_e32 v4, 0x7f800001
	s_xor_b64 exec, exec, s[16:17]
	s_cbranch_execz .LBB472_1079
.LBB472_1098:
	v_cmp_ne_u16_e32 vcc, 0, v1
	s_andn2_b64 s[2:3], s[2:3], exec
	s_and_b64 s[18:19], vcc, exec
	v_mov_b32_e32 v4, 0
	s_or_b64 s[2:3], s[2:3], s[18:19]
	s_or_b64 exec, exec, s[16:17]
	s_and_saveexec_b64 s[16:17], s[2:3]
	s_cbranch_execnz .LBB472_1080
	s_branch .LBB472_1081
.LBB472_1099:
	s_mov_b64 s[0:1], -1
                                        ; implicit-def: $vgpr4
.LBB472_1100:
	s_mov_b64 s[16:17], 0
.LBB472_1101:
	s_and_b64 vcc, exec, s[16:17]
	s_cbranch_vccz .LBB472_1103
; %bb.1102:
	s_cmp_lg_u32 s11, 11
	s_mov_b64 s[2:3], -1
	s_cselect_b64 s[0:1], -1, 0
.LBB472_1103:
	s_and_b64 vcc, exec, s[0:1]
	s_mov_b64 s[16:17], s[14:15]
	s_cbranch_vccnz .LBB472_1164
; %bb.1104:
	s_andn2_b64 vcc, exec, s[2:3]
	s_cbranch_vccnz .LBB472_1106
.LBB472_1105:
	global_load_ubyte v1, v[2:3], off
	s_mov_b64 s[18:19], -1
	s_waitcnt vmcnt(0)
	v_cmp_ne_u16_e32 vcc, 0, v1
	s_nop 1
	v_cndmask_b32_e64 v4, 0, 1.0, vcc
.LBB472_1106:
	s_branch .LBB472_1036
.LBB472_1107:
	s_cmp_lt_i32 s11, 5
	s_cbranch_scc1 .LBB472_1112
; %bb.1108:
	s_cmp_lt_i32 s11, 8
	s_cbranch_scc1 .LBB472_1113
; %bb.1109:
	;; [unrolled: 3-line block ×3, first 2 shown]
	s_cmp_gt_i32 s11, 9
	s_cbranch_scc0 .LBB472_1115
; %bb.1111:
	global_load_dwordx2 v[6:7], v[2:3], off
	s_mov_b64 s[0:1], 0
	s_waitcnt vmcnt(0)
	v_cvt_f32_f64_e32 v4, v[6:7]
	s_branch .LBB472_1116
.LBB472_1112:
                                        ; implicit-def: $vgpr4
	s_branch .LBB472_1133
.LBB472_1113:
                                        ; implicit-def: $vgpr4
	s_branch .LBB472_1122
.LBB472_1114:
	s_mov_b64 s[0:1], -1
                                        ; implicit-def: $vgpr4
	s_branch .LBB472_1119
.LBB472_1115:
	s_mov_b64 s[0:1], -1
                                        ; implicit-def: $vgpr4
.LBB472_1116:
	s_andn2_b64 vcc, exec, s[0:1]
	s_cbranch_vccnz .LBB472_1118
; %bb.1117:
	global_load_dword v4, v[2:3], off
.LBB472_1118:
	s_mov_b64 s[0:1], 0
.LBB472_1119:
	s_andn2_b64 vcc, exec, s[0:1]
	s_cbranch_vccnz .LBB472_1121
; %bb.1120:
	global_load_dword v1, v[2:3], off
	s_waitcnt vmcnt(0)
	v_cvt_f32_f16_e32 v4, v1
.LBB472_1121:
	s_cbranch_execnz .LBB472_1132
.LBB472_1122:
	s_cmp_lt_i32 s11, 6
	s_cbranch_scc1 .LBB472_1125
; %bb.1123:
	s_cmp_gt_i32 s11, 6
	s_cbranch_scc0 .LBB472_1126
; %bb.1124:
	global_load_dwordx2 v[6:7], v[2:3], off
	s_mov_b64 s[0:1], 0
	s_waitcnt vmcnt(0)
	v_cvt_f32_f64_e32 v4, v[6:7]
	s_branch .LBB472_1127
.LBB472_1125:
	s_mov_b64 s[0:1], -1
                                        ; implicit-def: $vgpr4
	s_branch .LBB472_1130
.LBB472_1126:
	s_mov_b64 s[0:1], -1
                                        ; implicit-def: $vgpr4
.LBB472_1127:
	s_andn2_b64 vcc, exec, s[0:1]
	s_cbranch_vccnz .LBB472_1129
; %bb.1128:
	global_load_dword v4, v[2:3], off
.LBB472_1129:
	s_mov_b64 s[0:1], 0
.LBB472_1130:
	s_andn2_b64 vcc, exec, s[0:1]
	s_cbranch_vccnz .LBB472_1132
; %bb.1131:
	global_load_ushort v1, v[2:3], off
	s_waitcnt vmcnt(0)
	v_cvt_f32_f16_e32 v4, v1
.LBB472_1132:
	s_cbranch_execnz .LBB472_1151
.LBB472_1133:
	s_cmp_lt_i32 s11, 2
	s_cbranch_scc1 .LBB472_1137
; %bb.1134:
	s_cmp_lt_i32 s11, 3
	s_cbranch_scc1 .LBB472_1138
; %bb.1135:
	s_cmp_gt_i32 s11, 3
	s_cbranch_scc0 .LBB472_1139
; %bb.1136:
	global_load_dwordx2 v[6:7], v[2:3], off
	s_mov_b64 s[0:1], 0
	s_waitcnt vmcnt(0)
	v_xor_b32_e32 v4, v6, v7
	v_ffbh_i32_e32 v1, v7
	v_ashrrev_i32_e32 v4, 31, v4
	v_add_u32_e32 v1, -1, v1
	v_add_u32_e32 v4, 32, v4
	v_min_u32_e32 v1, v1, v4
	v_lshlrev_b64 v[6:7], v1, v[6:7]
	v_min_u32_e32 v4, 1, v6
	v_or_b32_e32 v4, v7, v4
	v_cvt_f32_i32_e32 v4, v4
	v_sub_u32_e32 v1, 32, v1
	v_ldexp_f32 v4, v4, v1
	s_branch .LBB472_1140
.LBB472_1137:
                                        ; implicit-def: $vgpr4
	s_branch .LBB472_1146
.LBB472_1138:
	s_mov_b64 s[0:1], -1
                                        ; implicit-def: $vgpr4
	s_branch .LBB472_1143
.LBB472_1139:
	s_mov_b64 s[0:1], -1
                                        ; implicit-def: $vgpr4
.LBB472_1140:
	s_andn2_b64 vcc, exec, s[0:1]
	s_cbranch_vccnz .LBB472_1142
; %bb.1141:
	global_load_dword v1, v[2:3], off
	s_waitcnt vmcnt(0)
	v_cvt_f32_i32_e32 v4, v1
.LBB472_1142:
	s_mov_b64 s[0:1], 0
.LBB472_1143:
	s_andn2_b64 vcc, exec, s[0:1]
	s_cbranch_vccnz .LBB472_1145
; %bb.1144:
	global_load_sshort v1, v[2:3], off
	s_waitcnt vmcnt(0)
	v_cvt_f32_i32_e32 v4, v1
.LBB472_1145:
	s_cbranch_execnz .LBB472_1151
.LBB472_1146:
	s_cmp_gt_i32 s11, 0
	s_cbranch_scc0 .LBB472_1148
; %bb.1147:
	global_load_sbyte v1, v[2:3], off
	s_mov_b64 s[0:1], 0
	s_waitcnt vmcnt(0)
	v_cvt_f32_i32_e32 v4, v1
	s_branch .LBB472_1149
.LBB472_1148:
	s_mov_b64 s[0:1], -1
                                        ; implicit-def: $vgpr4
.LBB472_1149:
	s_andn2_b64 vcc, exec, s[0:1]
	s_cbranch_vccnz .LBB472_1151
; %bb.1150:
	global_load_ubyte v1, v[2:3], off
	s_waitcnt vmcnt(0)
	v_cvt_f32_ubyte0_e32 v4, v1
.LBB472_1151:
.LBB472_1152:
	s_lshl_b32 s9, s9, 7
	v_add_u32_e32 v0, s9, v0
	v_ashrrev_i32_e32 v1, 31, v0
	s_cmp_lt_i32 s11, 11
	v_lshl_add_u64 v[2:3], s[6:7], 0, v[0:1]
	s_cbranch_scc1 .LBB472_1159
; %bb.1153:
	s_cmp_gt_i32 s11, 25
	s_mov_b64 s[2:3], 0
	s_cbranch_scc0 .LBB472_1161
; %bb.1154:
	s_cmp_gt_i32 s11, 28
	s_cbranch_scc0 .LBB472_1162
; %bb.1155:
	s_cmp_gt_i32 s11, 43
	;; [unrolled: 3-line block ×3, first 2 shown]
	s_cbranch_scc0 .LBB472_1165
; %bb.1157:
	s_cmp_eq_u32 s11, 46
	s_mov_b64 s[20:21], 0
	s_cbranch_scc0 .LBB472_1168
; %bb.1158:
	global_load_dword v1, v[2:3], off
	s_mov_b64 s[0:1], 0
	s_mov_b64 s[18:19], -1
	s_waitcnt vmcnt(0)
	v_lshlrev_b32_e32 v6, 16, v1
	s_branch .LBB472_1169
.LBB472_1159:
	s_mov_b64 s[18:19], 0
                                        ; implicit-def: $vgpr6
	s_cbranch_execnz .LBB472_1234
.LBB472_1160:
	s_andn2_b64 vcc, exec, s[18:19]
	s_cbranch_vccnz .LBB472_1973
	s_branch .LBB472_1281
.LBB472_1161:
	s_mov_b64 s[18:19], 0
	s_mov_b64 s[0:1], 0
                                        ; implicit-def: $vgpr6
	s_cbranch_execnz .LBB472_1198
	s_branch .LBB472_1230
.LBB472_1162:
	s_mov_b64 s[20:21], -1
	s_mov_b64 s[18:19], 0
	s_mov_b64 s[0:1], 0
                                        ; implicit-def: $vgpr6
	s_branch .LBB472_1179
.LBB472_1163:
	s_mov_b64 s[20:21], -1
	s_mov_b64 s[18:19], 0
	s_mov_b64 s[0:1], 0
                                        ; implicit-def: $vgpr6
	s_branch .LBB472_1174
.LBB472_1164:
	s_or_b64 s[16:17], s[14:15], exec
	s_trap 2
	s_cbranch_execz .LBB472_1105
	s_branch .LBB472_1106
.LBB472_1165:
	s_mov_b64 s[20:21], -1
	s_mov_b64 s[18:19], 0
	s_mov_b64 s[0:1], 0
                                        ; implicit-def: $vgpr6
	s_branch .LBB472_1169
.LBB472_1166:
	s_andn2_saveexec_b64 s[26:27], s[26:27]
	s_cbranch_execz .LBB472_952
.LBB472_1167:
	s_mov_b32 s30, 0x42800000
	v_add_f32_e64 v3, |v2|, s30
	v_and_b32_e32 v3, 0xff, v3
	v_cmp_ne_u32_e32 vcc, 0, v3
	s_andn2_b64 s[24:25], s[24:25], exec
	s_and_b64 s[30:31], vcc, exec
	s_or_b64 s[24:25], s[24:25], s[30:31]
	s_or_b64 exec, exec, s[26:27]
	v_mov_b32_e32 v4, 0
	s_and_saveexec_b64 s[26:27], s[24:25]
	s_cbranch_execnz .LBB472_953
	s_branch .LBB472_954
.LBB472_1168:
	s_mov_b64 s[0:1], -1
                                        ; implicit-def: $vgpr6
	s_mov_b64 s[18:19], 0
.LBB472_1169:
	s_and_b64 vcc, exec, s[20:21]
	s_cbranch_vccz .LBB472_1173
; %bb.1170:
	s_cmp_eq_u32 s11, 44
	s_cbranch_scc0 .LBB472_1172
; %bb.1171:
	global_load_ubyte v1, v[2:3], off
	s_movk_i32 s18, 0xff
	v_mov_b32_e32 v6, 0x7f800001
	v_mov_b32_e32 v7, 0x400000
	s_mov_b64 s[0:1], 0
	s_waitcnt vmcnt(0)
	v_lshlrev_b32_e32 v8, 23, v1
	v_cmp_ne_u32_e32 vcc, s18, v1
	s_mov_b64 s[18:19], -1
	s_nop 0
	v_cndmask_b32_e32 v6, v6, v8, vcc
	v_cmp_ne_u32_e32 vcc, 0, v1
	s_nop 1
	v_cndmask_b32_e32 v6, v7, v6, vcc
	s_branch .LBB472_1173
.LBB472_1172:
	s_mov_b64 s[0:1], -1
                                        ; implicit-def: $vgpr6
.LBB472_1173:
	s_mov_b64 s[20:21], 0
.LBB472_1174:
	s_and_b64 vcc, exec, s[20:21]
	s_cbranch_vccz .LBB472_1178
; %bb.1175:
	s_cmp_eq_u32 s11, 29
	s_cbranch_scc0 .LBB472_1177
; %bb.1176:
	global_load_dwordx2 v[6:7], v[2:3], off
	s_mov_b64 s[0:1], 0
	s_mov_b64 s[18:19], -1
	s_mov_b64 s[20:21], 0
	s_waitcnt vmcnt(0)
	v_ffbh_u32_e32 v1, v7
	v_min_u32_e32 v1, 32, v1
	v_lshlrev_b64 v[6:7], v1, v[6:7]
	v_min_u32_e32 v6, 1, v6
	v_or_b32_e32 v6, v7, v6
	v_cvt_f32_u32_e32 v6, v6
	v_sub_u32_e32 v1, 32, v1
	v_ldexp_f32 v6, v6, v1
	s_branch .LBB472_1179
.LBB472_1177:
	s_mov_b64 s[0:1], -1
                                        ; implicit-def: $vgpr6
.LBB472_1178:
	s_mov_b64 s[20:21], 0
.LBB472_1179:
	s_and_b64 vcc, exec, s[20:21]
	s_cbranch_vccz .LBB472_1197
; %bb.1180:
	s_cmp_lt_i32 s11, 27
	s_cbranch_scc1 .LBB472_1183
; %bb.1181:
	s_cmp_gt_i32 s11, 27
	s_cbranch_scc0 .LBB472_1184
; %bb.1182:
	global_load_dword v1, v[2:3], off
	s_mov_b64 s[18:19], 0
	s_waitcnt vmcnt(0)
	v_cvt_f32_u32_e32 v6, v1
	s_branch .LBB472_1185
.LBB472_1183:
	s_mov_b64 s[18:19], -1
                                        ; implicit-def: $vgpr6
	s_branch .LBB472_1188
.LBB472_1184:
	s_mov_b64 s[18:19], -1
                                        ; implicit-def: $vgpr6
.LBB472_1185:
	s_andn2_b64 vcc, exec, s[18:19]
	s_cbranch_vccnz .LBB472_1187
; %bb.1186:
	global_load_ushort v1, v[2:3], off
	s_waitcnt vmcnt(0)
	v_cvt_f32_u32_e32 v6, v1
.LBB472_1187:
	s_mov_b64 s[18:19], 0
.LBB472_1188:
	s_andn2_b64 vcc, exec, s[18:19]
	s_cbranch_vccnz .LBB472_1196
; %bb.1189:
	global_load_ubyte v1, v[2:3], off
	s_movk_i32 s18, 0x7f
	s_waitcnt vmcnt(0)
	v_cmp_lt_i16_e32 vcc, s18, v1
	s_mov_b64 s[18:19], 0
	s_and_saveexec_b64 s[20:21], vcc
	s_xor_b64 s[20:21], exec, s[20:21]
	s_cbranch_execz .LBB472_1209
; %bb.1190:
	s_movk_i32 s18, 0x80
	v_cmp_eq_u16_e32 vcc, s18, v1
	s_mov_b64 s[18:19], -1
	s_and_saveexec_b64 s[22:23], vcc
; %bb.1191:
	s_xor_b64 s[18:19], exec, -1
; %bb.1192:
	s_or_b64 exec, exec, s[22:23]
	s_and_b64 s[18:19], s[18:19], exec
	s_or_saveexec_b64 s[20:21], s[20:21]
	v_mov_b32_e32 v6, 0x7f800001
	s_xor_b64 exec, exec, s[20:21]
	s_cbranch_execnz .LBB472_1210
.LBB472_1193:
	s_or_b64 exec, exec, s[20:21]
	s_and_saveexec_b64 s[20:21], s[18:19]
	s_cbranch_execz .LBB472_1195
.LBB472_1194:
	v_lshlrev_b32_e32 v6, 24, v1
	v_and_b32_e32 v1, 0xffff, v1
	v_and_b32_e32 v7, 7, v1
	v_ffbh_u32_e32 v9, v7
	v_min_u32_e32 v9, 32, v9
	v_subrev_u32_e32 v10, 28, v9
	v_bfe_u32 v8, v1, 3, 4
	v_lshlrev_b32_e32 v1, v10, v1
	v_sub_u32_e32 v9, 29, v9
	v_and_b32_e32 v1, 7, v1
	v_cmp_eq_u32_e32 vcc, 0, v8
	v_and_b32_e32 v6, 0x80000000, v6
	s_nop 0
	v_cndmask_b32_e32 v8, v8, v9, vcc
	v_cndmask_b32_e32 v1, v7, v1, vcc
	v_mov_b32_e32 v7, 0x3b800000
	v_lshlrev_b32_e32 v1, 20, v1
	v_lshl_add_u32 v7, v8, 23, v7
	v_or3_b32 v6, v6, v7, v1
.LBB472_1195:
	s_or_b64 exec, exec, s[20:21]
.LBB472_1196:
	s_mov_b64 s[18:19], -1
.LBB472_1197:
	s_branch .LBB472_1230
.LBB472_1198:
	s_cmp_gt_i32 s11, 22
	s_cbranch_scc0 .LBB472_1208
; %bb.1199:
	s_cmp_lt_i32 s11, 24
	s_cbranch_scc1 .LBB472_1211
; %bb.1200:
	s_cmp_gt_i32 s11, 24
	s_cbranch_scc0 .LBB472_1212
; %bb.1201:
	global_load_ubyte v1, v[2:3], off
	s_movk_i32 s2, 0x7f
	s_waitcnt vmcnt(0)
	v_cmp_lt_i16_e32 vcc, s2, v1
	s_mov_b64 s[2:3], 0
	s_and_saveexec_b64 s[18:19], vcc
	s_xor_b64 s[18:19], exec, s[18:19]
	s_cbranch_execz .LBB472_1224
; %bb.1202:
	s_movk_i32 s2, 0x80
	v_cmp_eq_u16_e32 vcc, s2, v1
	s_mov_b64 s[2:3], -1
	s_and_saveexec_b64 s[20:21], vcc
; %bb.1203:
	s_xor_b64 s[2:3], exec, -1
; %bb.1204:
	s_or_b64 exec, exec, s[20:21]
	s_and_b64 s[2:3], s[2:3], exec
	s_or_saveexec_b64 s[18:19], s[18:19]
	v_mov_b32_e32 v6, 0x7f800001
	s_xor_b64 exec, exec, s[18:19]
	s_cbranch_execnz .LBB472_1225
.LBB472_1205:
	s_or_b64 exec, exec, s[18:19]
	s_and_saveexec_b64 s[18:19], s[2:3]
	s_cbranch_execz .LBB472_1207
.LBB472_1206:
	v_lshlrev_b32_e32 v6, 24, v1
	v_and_b32_e32 v1, 0xffff, v1
	v_and_b32_e32 v7, 3, v1
	v_ffbh_u32_e32 v9, v7
	v_min_u32_e32 v9, 32, v9
	v_subrev_u32_e32 v10, 29, v9
	v_bfe_u32 v8, v1, 2, 5
	v_lshlrev_b32_e32 v1, v10, v1
	v_sub_u32_e32 v9, 30, v9
	v_and_b32_e32 v1, 3, v1
	v_cmp_eq_u32_e32 vcc, 0, v8
	v_and_b32_e32 v6, 0x80000000, v6
	s_nop 0
	v_cndmask_b32_e32 v8, v8, v9, vcc
	v_cndmask_b32_e32 v1, v7, v1, vcc
	v_mov_b32_e32 v7, 0x37800000
	v_lshlrev_b32_e32 v1, 21, v1
	v_lshl_add_u32 v7, v8, 23, v7
	v_or3_b32 v6, v6, v7, v1
.LBB472_1207:
	s_or_b64 exec, exec, s[18:19]
	s_mov_b64 s[2:3], 0
	s_branch .LBB472_1213
.LBB472_1208:
	s_mov_b64 s[2:3], -1
                                        ; implicit-def: $vgpr6
	s_branch .LBB472_1219
.LBB472_1209:
	s_or_saveexec_b64 s[20:21], s[20:21]
	v_mov_b32_e32 v6, 0x7f800001
	s_xor_b64 exec, exec, s[20:21]
	s_cbranch_execz .LBB472_1193
.LBB472_1210:
	v_cmp_ne_u16_e32 vcc, 0, v1
	s_andn2_b64 s[18:19], s[18:19], exec
	s_and_b64 s[22:23], vcc, exec
	v_mov_b32_e32 v6, 0
	s_or_b64 s[18:19], s[18:19], s[22:23]
	s_or_b64 exec, exec, s[20:21]
	s_and_saveexec_b64 s[20:21], s[18:19]
	s_cbranch_execnz .LBB472_1194
	s_branch .LBB472_1195
.LBB472_1211:
	s_mov_b64 s[2:3], -1
                                        ; implicit-def: $vgpr6
	s_branch .LBB472_1216
.LBB472_1212:
	s_mov_b64 s[2:3], -1
                                        ; implicit-def: $vgpr6
.LBB472_1213:
	s_and_b64 vcc, exec, s[2:3]
	s_cbranch_vccz .LBB472_1215
; %bb.1214:
	global_load_ubyte v1, v[2:3], off
	s_mov_b32 s2, 0x7f800000
	s_waitcnt vmcnt(0)
	v_lshlrev_b32_e32 v1, 24, v1
	v_and_b32_e32 v6, 0x7f000000, v1
	v_ffbh_u32_e32 v7, v6
	v_min_u32_e32 v7, 32, v7
	v_sub_u32_e64 v7, v7, 4 clamp
	v_lshlrev_b32_e32 v9, v7, v6
	v_lshlrev_b32_e32 v7, 23, v7
	v_lshrrev_b32_e32 v9, 4, v9
	v_add_u32_e32 v8, 0x1000000, v6
	v_sub_u32_e32 v7, v9, v7
	v_ashrrev_i32_e32 v8, 8, v8
	v_add_u32_e32 v7, 0x3c000000, v7
	v_and_or_b32 v7, v8, s2, v7
	v_cmp_ne_u32_e32 vcc, 0, v6
	s_brev_b32 s2, 1
	s_nop 0
	v_cndmask_b32_e32 v6, 0, v7, vcc
	v_and_or_b32 v6, v1, s2, v6
.LBB472_1215:
	s_mov_b64 s[2:3], 0
.LBB472_1216:
	s_andn2_b64 vcc, exec, s[2:3]
	s_cbranch_vccnz .LBB472_1218
; %bb.1217:
	global_load_ubyte v1, v[2:3], off
	s_movk_i32 s2, 0x7f00
	s_brev_b32 s3, 16
	s_waitcnt vmcnt(0)
	v_lshlrev_b16_e32 v6, 8, v1
	v_lshlrev_b32_e32 v1, 25, v1
	v_lshrrev_b32_e32 v7, 4, v1
	v_and_or_b32 v8, v6, s2, 0.5
	v_or_b32_e32 v7, 0x70000000, v7
	v_add_f32_e32 v8, -0.5, v8
	v_mul_f32_e32 v7, 0x7800000, v7
	v_cmp_gt_u32_e32 vcc, s3, v1
	v_bfe_i32 v6, v6, 0, 16
	s_brev_b32 s2, 1
	v_cndmask_b32_e32 v1, v7, v8, vcc
	v_and_or_b32 v6, v6, s2, v1
.LBB472_1218:
	s_mov_b64 s[2:3], 0
	s_mov_b64 s[18:19], -1
.LBB472_1219:
	s_andn2_b64 vcc, exec, s[2:3]
	s_mov_b64 s[2:3], 0
	s_cbranch_vccnz .LBB472_1230
; %bb.1220:
	s_cmp_gt_i32 s11, 14
	s_cbranch_scc0 .LBB472_1223
; %bb.1221:
	s_cmp_eq_u32 s11, 15
	s_cbranch_scc0 .LBB472_1226
; %bb.1222:
	global_load_ushort v1, v[2:3], off
	s_mov_b64 s[0:1], 0
	s_mov_b64 s[18:19], -1
	s_waitcnt vmcnt(0)
	v_lshlrev_b32_e32 v6, 16, v1
	s_branch .LBB472_1227
.LBB472_1223:
	s_mov_b64 s[20:21], -1
                                        ; implicit-def: $vgpr6
	s_branch .LBB472_1228
.LBB472_1224:
	s_or_saveexec_b64 s[18:19], s[18:19]
	v_mov_b32_e32 v6, 0x7f800001
	s_xor_b64 exec, exec, s[18:19]
	s_cbranch_execz .LBB472_1205
.LBB472_1225:
	v_cmp_ne_u16_e32 vcc, 0, v1
	s_andn2_b64 s[2:3], s[2:3], exec
	s_and_b64 s[20:21], vcc, exec
	v_mov_b32_e32 v6, 0
	s_or_b64 s[2:3], s[2:3], s[20:21]
	s_or_b64 exec, exec, s[18:19]
	s_and_saveexec_b64 s[18:19], s[2:3]
	s_cbranch_execnz .LBB472_1206
	s_branch .LBB472_1207
.LBB472_1226:
	s_mov_b64 s[0:1], -1
                                        ; implicit-def: $vgpr6
.LBB472_1227:
	s_mov_b64 s[20:21], 0
.LBB472_1228:
	s_and_b64 vcc, exec, s[20:21]
	s_cbranch_vccz .LBB472_1230
; %bb.1229:
	s_cmp_lg_u32 s11, 11
	s_mov_b64 s[2:3], -1
	s_cselect_b64 s[0:1], -1, 0
.LBB472_1230:
	s_and_b64 vcc, exec, s[0:1]
	s_cbranch_vccnz .LBB472_1293
; %bb.1231:
	s_andn2_b64 vcc, exec, s[2:3]
	s_cbranch_vccnz .LBB472_1233
.LBB472_1232:
	global_load_ubyte v1, v[2:3], off
	s_mov_b64 s[18:19], -1
	s_waitcnt vmcnt(0)
	v_cmp_ne_u16_e32 vcc, 0, v1
	s_nop 1
	v_cndmask_b32_e64 v6, 0, 1.0, vcc
.LBB472_1233:
	s_branch .LBB472_1160
.LBB472_1234:
	s_cmp_lt_i32 s11, 5
	s_cbranch_scc1 .LBB472_1239
; %bb.1235:
	s_cmp_lt_i32 s11, 8
	s_cbranch_scc1 .LBB472_1240
; %bb.1236:
	;; [unrolled: 3-line block ×3, first 2 shown]
	s_cmp_gt_i32 s11, 9
	s_cbranch_scc0 .LBB472_1242
; %bb.1238:
	global_load_dwordx2 v[6:7], v[2:3], off
	s_mov_b64 s[0:1], 0
	s_waitcnt vmcnt(0)
	v_cvt_f32_f64_e32 v6, v[6:7]
	s_branch .LBB472_1243
.LBB472_1239:
                                        ; implicit-def: $vgpr6
	s_branch .LBB472_1261
.LBB472_1240:
	s_mov_b64 s[0:1], -1
                                        ; implicit-def: $vgpr6
	s_branch .LBB472_1249
.LBB472_1241:
	s_mov_b64 s[0:1], -1
                                        ; implicit-def: $vgpr6
	s_branch .LBB472_1246
.LBB472_1242:
	s_mov_b64 s[0:1], -1
                                        ; implicit-def: $vgpr6
.LBB472_1243:
	s_andn2_b64 vcc, exec, s[0:1]
	s_cbranch_vccnz .LBB472_1245
; %bb.1244:
	global_load_dword v6, v[2:3], off
.LBB472_1245:
	s_mov_b64 s[0:1], 0
.LBB472_1246:
	s_andn2_b64 vcc, exec, s[0:1]
	s_cbranch_vccnz .LBB472_1248
; %bb.1247:
	global_load_dword v1, v[2:3], off
	s_waitcnt vmcnt(0)
	v_cvt_f32_f16_e32 v6, v1
.LBB472_1248:
	s_mov_b64 s[0:1], 0
.LBB472_1249:
	s_andn2_b64 vcc, exec, s[0:1]
	s_cbranch_vccnz .LBB472_1260
; %bb.1250:
	s_cmp_lt_i32 s11, 6
	s_cbranch_scc1 .LBB472_1253
; %bb.1251:
	s_cmp_gt_i32 s11, 6
	s_cbranch_scc0 .LBB472_1254
; %bb.1252:
	global_load_dwordx2 v[6:7], v[2:3], off
	s_mov_b64 s[0:1], 0
	s_waitcnt vmcnt(0)
	v_cvt_f32_f64_e32 v6, v[6:7]
	s_branch .LBB472_1255
.LBB472_1253:
	s_mov_b64 s[0:1], -1
                                        ; implicit-def: $vgpr6
	s_branch .LBB472_1258
.LBB472_1254:
	s_mov_b64 s[0:1], -1
                                        ; implicit-def: $vgpr6
.LBB472_1255:
	s_andn2_b64 vcc, exec, s[0:1]
	s_cbranch_vccnz .LBB472_1257
; %bb.1256:
	global_load_dword v6, v[2:3], off
.LBB472_1257:
	s_mov_b64 s[0:1], 0
.LBB472_1258:
	s_andn2_b64 vcc, exec, s[0:1]
	s_cbranch_vccnz .LBB472_1260
; %bb.1259:
	global_load_ushort v1, v[2:3], off
	s_waitcnt vmcnt(0)
	v_cvt_f32_f16_e32 v6, v1
.LBB472_1260:
	s_cbranch_execnz .LBB472_1280
.LBB472_1261:
	s_cmp_lt_i32 s11, 2
	s_cbranch_scc1 .LBB472_1265
; %bb.1262:
	s_cmp_lt_i32 s11, 3
	s_cbranch_scc1 .LBB472_1266
; %bb.1263:
	s_cmp_gt_i32 s11, 3
	s_cbranch_scc0 .LBB472_1267
; %bb.1264:
	global_load_dwordx2 v[6:7], v[2:3], off
	s_mov_b64 s[0:1], 0
	s_waitcnt vmcnt(0)
	v_xor_b32_e32 v8, v6, v7
	v_ffbh_i32_e32 v1, v7
	v_ashrrev_i32_e32 v8, 31, v8
	v_add_u32_e32 v1, -1, v1
	v_add_u32_e32 v8, 32, v8
	v_min_u32_e32 v1, v1, v8
	v_lshlrev_b64 v[6:7], v1, v[6:7]
	v_min_u32_e32 v6, 1, v6
	v_or_b32_e32 v6, v7, v6
	v_cvt_f32_i32_e32 v6, v6
	v_sub_u32_e32 v1, 32, v1
	v_ldexp_f32 v6, v6, v1
	s_branch .LBB472_1268
.LBB472_1265:
	s_mov_b64 s[0:1], -1
                                        ; implicit-def: $vgpr6
	s_branch .LBB472_1274
.LBB472_1266:
	s_mov_b64 s[0:1], -1
                                        ; implicit-def: $vgpr6
	s_branch .LBB472_1271
.LBB472_1267:
	s_mov_b64 s[0:1], -1
                                        ; implicit-def: $vgpr6
.LBB472_1268:
	s_andn2_b64 vcc, exec, s[0:1]
	s_cbranch_vccnz .LBB472_1270
; %bb.1269:
	global_load_dword v1, v[2:3], off
	s_waitcnt vmcnt(0)
	v_cvt_f32_i32_e32 v6, v1
.LBB472_1270:
	s_mov_b64 s[0:1], 0
.LBB472_1271:
	s_andn2_b64 vcc, exec, s[0:1]
	s_cbranch_vccnz .LBB472_1273
; %bb.1272:
	global_load_sshort v1, v[2:3], off
	s_waitcnt vmcnt(0)
	v_cvt_f32_i32_e32 v6, v1
.LBB472_1273:
	s_mov_b64 s[0:1], 0
.LBB472_1274:
	s_andn2_b64 vcc, exec, s[0:1]
	s_cbranch_vccnz .LBB472_1280
; %bb.1275:
	s_cmp_gt_i32 s11, 0
	s_cbranch_scc0 .LBB472_1277
; %bb.1276:
	global_load_sbyte v1, v[2:3], off
	s_mov_b64 s[0:1], 0
	s_waitcnt vmcnt(0)
	v_cvt_f32_i32_e32 v6, v1
	s_branch .LBB472_1278
.LBB472_1277:
	s_mov_b64 s[0:1], -1
                                        ; implicit-def: $vgpr6
.LBB472_1278:
	s_andn2_b64 vcc, exec, s[0:1]
	s_cbranch_vccnz .LBB472_1280
; %bb.1279:
	global_load_ubyte v1, v[2:3], off
	s_waitcnt vmcnt(0)
	v_cvt_f32_ubyte0_e32 v6, v1
.LBB472_1280:
.LBB472_1281:
	v_add_u32_e32 v0, s9, v0
	v_ashrrev_i32_e32 v1, 31, v0
	s_cmp_lt_i32 s11, 11
	v_lshl_add_u64 v[2:3], s[6:7], 0, v[0:1]
	s_cbranch_scc1 .LBB472_1288
; %bb.1282:
	s_cmp_gt_i32 s11, 25
	s_mov_b64 s[2:3], 0
	s_cbranch_scc0 .LBB472_1290
; %bb.1283:
	s_cmp_gt_i32 s11, 28
	s_cbranch_scc0 .LBB472_1291
; %bb.1284:
	s_cmp_gt_i32 s11, 43
	s_cbranch_scc0 .LBB472_1292
; %bb.1285:
	s_cmp_gt_i32 s11, 45
	s_cbranch_scc0 .LBB472_1294
; %bb.1286:
	s_cmp_eq_u32 s11, 46
	s_mov_b64 s[20:21], 0
	s_cbranch_scc0 .LBB472_1295
; %bb.1287:
	global_load_dword v1, v[2:3], off
	s_mov_b64 s[0:1], 0
	s_mov_b64 s[18:19], -1
	s_waitcnt vmcnt(0)
	v_lshlrev_b32_e32 v7, 16, v1
	s_branch .LBB472_1296
.LBB472_1288:
	s_mov_b64 s[18:19], 0
                                        ; implicit-def: $vgpr7
	s_cbranch_execnz .LBB472_1362
.LBB472_1289:
	s_andn2_b64 vcc, exec, s[18:19]
	s_cbranch_vccnz .LBB472_1973
	s_branch .LBB472_1410
.LBB472_1290:
	s_mov_b64 s[20:21], -1
	s_mov_b64 s[18:19], 0
	s_mov_b64 s[0:1], 0
                                        ; implicit-def: $vgpr7
	s_branch .LBB472_1325
.LBB472_1291:
	s_mov_b64 s[20:21], -1
	s_mov_b64 s[18:19], 0
	s_mov_b64 s[0:1], 0
                                        ; implicit-def: $vgpr7
	s_branch .LBB472_1306
.LBB472_1292:
	s_mov_b64 s[20:21], -1
	s_mov_b64 s[18:19], 0
	s_mov_b64 s[0:1], 0
                                        ; implicit-def: $vgpr7
	s_branch .LBB472_1301
.LBB472_1293:
	s_trap 2
	s_or_b64 s[16:17], s[16:17], exec
	s_cbranch_execz .LBB472_1232
	s_branch .LBB472_1233
.LBB472_1294:
	s_mov_b64 s[20:21], -1
	s_mov_b64 s[18:19], 0
	s_mov_b64 s[0:1], 0
                                        ; implicit-def: $vgpr7
	s_branch .LBB472_1296
.LBB472_1295:
	s_mov_b64 s[0:1], -1
                                        ; implicit-def: $vgpr7
	s_mov_b64 s[18:19], 0
.LBB472_1296:
	s_and_b64 vcc, exec, s[20:21]
	s_cbranch_vccz .LBB472_1300
; %bb.1297:
	s_cmp_eq_u32 s11, 44
	s_cbranch_scc0 .LBB472_1299
; %bb.1298:
	global_load_ubyte v1, v[2:3], off
	s_movk_i32 s18, 0xff
	v_mov_b32_e32 v7, 0x7f800001
	v_mov_b32_e32 v8, 0x400000
	s_mov_b64 s[0:1], 0
	s_waitcnt vmcnt(0)
	v_lshlrev_b32_e32 v9, 23, v1
	v_cmp_ne_u32_e32 vcc, s18, v1
	s_mov_b64 s[18:19], -1
	s_nop 0
	v_cndmask_b32_e32 v7, v7, v9, vcc
	v_cmp_ne_u32_e32 vcc, 0, v1
	s_nop 1
	v_cndmask_b32_e32 v7, v8, v7, vcc
	s_branch .LBB472_1300
.LBB472_1299:
	s_mov_b64 s[0:1], -1
                                        ; implicit-def: $vgpr7
.LBB472_1300:
	s_mov_b64 s[20:21], 0
.LBB472_1301:
	s_and_b64 vcc, exec, s[20:21]
	s_cbranch_vccz .LBB472_1305
; %bb.1302:
	s_cmp_eq_u32 s11, 29
	s_cbranch_scc0 .LBB472_1304
; %bb.1303:
	global_load_dwordx2 v[8:9], v[2:3], off
	s_mov_b64 s[0:1], 0
	s_mov_b64 s[18:19], -1
	s_mov_b64 s[20:21], 0
	s_waitcnt vmcnt(0)
	v_ffbh_u32_e32 v1, v9
	v_min_u32_e32 v1, 32, v1
	v_lshlrev_b64 v[8:9], v1, v[8:9]
	v_min_u32_e32 v7, 1, v8
	v_or_b32_e32 v7, v9, v7
	v_cvt_f32_u32_e32 v7, v7
	v_sub_u32_e32 v1, 32, v1
	v_ldexp_f32 v7, v7, v1
	s_branch .LBB472_1306
.LBB472_1304:
	s_mov_b64 s[0:1], -1
                                        ; implicit-def: $vgpr7
.LBB472_1305:
	s_mov_b64 s[20:21], 0
.LBB472_1306:
	s_and_b64 vcc, exec, s[20:21]
	s_cbranch_vccz .LBB472_1324
; %bb.1307:
	s_cmp_lt_i32 s11, 27
	s_cbranch_scc1 .LBB472_1310
; %bb.1308:
	s_cmp_gt_i32 s11, 27
	s_cbranch_scc0 .LBB472_1311
; %bb.1309:
	global_load_dword v1, v[2:3], off
	s_mov_b64 s[18:19], 0
	s_waitcnt vmcnt(0)
	v_cvt_f32_u32_e32 v7, v1
	s_branch .LBB472_1312
.LBB472_1310:
	s_mov_b64 s[18:19], -1
                                        ; implicit-def: $vgpr7
	s_branch .LBB472_1315
.LBB472_1311:
	s_mov_b64 s[18:19], -1
                                        ; implicit-def: $vgpr7
.LBB472_1312:
	s_andn2_b64 vcc, exec, s[18:19]
	s_cbranch_vccnz .LBB472_1314
; %bb.1313:
	global_load_ushort v1, v[2:3], off
	s_waitcnt vmcnt(0)
	v_cvt_f32_u32_e32 v7, v1
.LBB472_1314:
	s_mov_b64 s[18:19], 0
.LBB472_1315:
	s_andn2_b64 vcc, exec, s[18:19]
	s_cbranch_vccnz .LBB472_1323
; %bb.1316:
	global_load_ubyte v1, v[2:3], off
	s_movk_i32 s18, 0x7f
	s_waitcnt vmcnt(0)
	v_cmp_lt_i16_e32 vcc, s18, v1
	s_mov_b64 s[18:19], 0
	s_and_saveexec_b64 s[20:21], vcc
	s_xor_b64 s[20:21], exec, s[20:21]
	s_cbranch_execz .LBB472_1337
; %bb.1317:
	s_movk_i32 s18, 0x80
	v_cmp_eq_u16_e32 vcc, s18, v1
	s_mov_b64 s[18:19], -1
	s_and_saveexec_b64 s[22:23], vcc
; %bb.1318:
	s_xor_b64 s[18:19], exec, -1
; %bb.1319:
	s_or_b64 exec, exec, s[22:23]
	s_and_b64 s[18:19], s[18:19], exec
	s_or_saveexec_b64 s[20:21], s[20:21]
	v_mov_b32_e32 v7, 0x7f800001
	s_xor_b64 exec, exec, s[20:21]
	s_cbranch_execnz .LBB472_1338
.LBB472_1320:
	s_or_b64 exec, exec, s[20:21]
	s_and_saveexec_b64 s[20:21], s[18:19]
	s_cbranch_execz .LBB472_1322
.LBB472_1321:
	v_lshlrev_b32_e32 v7, 24, v1
	v_and_b32_e32 v1, 0xffff, v1
	v_and_b32_e32 v8, 7, v1
	v_ffbh_u32_e32 v10, v8
	v_min_u32_e32 v10, 32, v10
	v_subrev_u32_e32 v11, 28, v10
	v_bfe_u32 v9, v1, 3, 4
	v_lshlrev_b32_e32 v1, v11, v1
	v_sub_u32_e32 v10, 29, v10
	v_and_b32_e32 v1, 7, v1
	v_cmp_eq_u32_e32 vcc, 0, v9
	v_and_b32_e32 v7, 0x80000000, v7
	s_nop 0
	v_cndmask_b32_e32 v9, v9, v10, vcc
	v_cndmask_b32_e32 v1, v8, v1, vcc
	v_mov_b32_e32 v8, 0x3b800000
	v_lshlrev_b32_e32 v1, 20, v1
	v_lshl_add_u32 v8, v9, 23, v8
	v_or3_b32 v7, v7, v8, v1
.LBB472_1322:
	s_or_b64 exec, exec, s[20:21]
.LBB472_1323:
	s_mov_b64 s[18:19], -1
.LBB472_1324:
	s_mov_b64 s[20:21], 0
.LBB472_1325:
	s_and_b64 vcc, exec, s[20:21]
	s_cbranch_vccz .LBB472_1358
; %bb.1326:
	s_cmp_gt_i32 s11, 22
	s_cbranch_scc0 .LBB472_1336
; %bb.1327:
	s_cmp_lt_i32 s11, 24
	s_cbranch_scc1 .LBB472_1339
; %bb.1328:
	s_cmp_gt_i32 s11, 24
	s_cbranch_scc0 .LBB472_1340
; %bb.1329:
	global_load_ubyte v1, v[2:3], off
	s_movk_i32 s2, 0x7f
	s_waitcnt vmcnt(0)
	v_cmp_lt_i16_e32 vcc, s2, v1
	s_mov_b64 s[2:3], 0
	s_and_saveexec_b64 s[18:19], vcc
	s_xor_b64 s[18:19], exec, s[18:19]
	s_cbranch_execz .LBB472_1352
; %bb.1330:
	s_movk_i32 s2, 0x80
	v_cmp_eq_u16_e32 vcc, s2, v1
	s_mov_b64 s[2:3], -1
	s_and_saveexec_b64 s[20:21], vcc
; %bb.1331:
	s_xor_b64 s[2:3], exec, -1
; %bb.1332:
	s_or_b64 exec, exec, s[20:21]
	s_and_b64 s[2:3], s[2:3], exec
	s_or_saveexec_b64 s[18:19], s[18:19]
	v_mov_b32_e32 v7, 0x7f800001
	s_xor_b64 exec, exec, s[18:19]
	s_cbranch_execnz .LBB472_1353
.LBB472_1333:
	s_or_b64 exec, exec, s[18:19]
	s_and_saveexec_b64 s[18:19], s[2:3]
	s_cbranch_execz .LBB472_1335
.LBB472_1334:
	v_lshlrev_b32_e32 v7, 24, v1
	v_and_b32_e32 v1, 0xffff, v1
	v_and_b32_e32 v8, 3, v1
	v_ffbh_u32_e32 v10, v8
	v_min_u32_e32 v10, 32, v10
	v_subrev_u32_e32 v11, 29, v10
	v_bfe_u32 v9, v1, 2, 5
	v_lshlrev_b32_e32 v1, v11, v1
	v_sub_u32_e32 v10, 30, v10
	v_and_b32_e32 v1, 3, v1
	v_cmp_eq_u32_e32 vcc, 0, v9
	v_and_b32_e32 v7, 0x80000000, v7
	s_nop 0
	v_cndmask_b32_e32 v9, v9, v10, vcc
	v_cndmask_b32_e32 v1, v8, v1, vcc
	v_mov_b32_e32 v8, 0x37800000
	v_lshlrev_b32_e32 v1, 21, v1
	v_lshl_add_u32 v8, v9, 23, v8
	v_or3_b32 v7, v7, v8, v1
.LBB472_1335:
	s_or_b64 exec, exec, s[18:19]
	s_mov_b64 s[2:3], 0
	s_branch .LBB472_1341
.LBB472_1336:
	s_mov_b64 s[2:3], -1
                                        ; implicit-def: $vgpr7
	s_branch .LBB472_1347
.LBB472_1337:
	s_or_saveexec_b64 s[20:21], s[20:21]
	v_mov_b32_e32 v7, 0x7f800001
	s_xor_b64 exec, exec, s[20:21]
	s_cbranch_execz .LBB472_1320
.LBB472_1338:
	v_cmp_ne_u16_e32 vcc, 0, v1
	s_andn2_b64 s[18:19], s[18:19], exec
	s_and_b64 s[22:23], vcc, exec
	v_mov_b32_e32 v7, 0
	s_or_b64 s[18:19], s[18:19], s[22:23]
	s_or_b64 exec, exec, s[20:21]
	s_and_saveexec_b64 s[20:21], s[18:19]
	s_cbranch_execnz .LBB472_1321
	s_branch .LBB472_1322
.LBB472_1339:
	s_mov_b64 s[2:3], -1
                                        ; implicit-def: $vgpr7
	s_branch .LBB472_1344
.LBB472_1340:
	s_mov_b64 s[2:3], -1
                                        ; implicit-def: $vgpr7
.LBB472_1341:
	s_and_b64 vcc, exec, s[2:3]
	s_cbranch_vccz .LBB472_1343
; %bb.1342:
	global_load_ubyte v1, v[2:3], off
	s_mov_b32 s2, 0x7f800000
	s_waitcnt vmcnt(0)
	v_lshlrev_b32_e32 v1, 24, v1
	v_and_b32_e32 v7, 0x7f000000, v1
	v_ffbh_u32_e32 v8, v7
	v_min_u32_e32 v8, 32, v8
	v_sub_u32_e64 v8, v8, 4 clamp
	v_lshlrev_b32_e32 v10, v8, v7
	v_lshlrev_b32_e32 v8, 23, v8
	v_lshrrev_b32_e32 v10, 4, v10
	v_add_u32_e32 v9, 0x1000000, v7
	v_sub_u32_e32 v8, v10, v8
	v_ashrrev_i32_e32 v9, 8, v9
	v_add_u32_e32 v8, 0x3c000000, v8
	v_and_or_b32 v8, v9, s2, v8
	v_cmp_ne_u32_e32 vcc, 0, v7
	s_brev_b32 s2, 1
	s_nop 0
	v_cndmask_b32_e32 v7, 0, v8, vcc
	v_and_or_b32 v7, v1, s2, v7
.LBB472_1343:
	s_mov_b64 s[2:3], 0
.LBB472_1344:
	s_andn2_b64 vcc, exec, s[2:3]
	s_cbranch_vccnz .LBB472_1346
; %bb.1345:
	global_load_ubyte v1, v[2:3], off
	s_movk_i32 s2, 0x7f00
	s_brev_b32 s3, 16
	s_waitcnt vmcnt(0)
	v_lshlrev_b16_e32 v7, 8, v1
	v_lshlrev_b32_e32 v1, 25, v1
	v_lshrrev_b32_e32 v8, 4, v1
	v_and_or_b32 v9, v7, s2, 0.5
	v_or_b32_e32 v8, 0x70000000, v8
	v_add_f32_e32 v9, -0.5, v9
	v_mul_f32_e32 v8, 0x7800000, v8
	v_cmp_gt_u32_e32 vcc, s3, v1
	v_bfe_i32 v7, v7, 0, 16
	s_brev_b32 s2, 1
	v_cndmask_b32_e32 v1, v8, v9, vcc
	v_and_or_b32 v7, v7, s2, v1
.LBB472_1346:
	s_mov_b64 s[2:3], 0
	s_mov_b64 s[18:19], -1
.LBB472_1347:
	s_andn2_b64 vcc, exec, s[2:3]
	s_mov_b64 s[2:3], 0
	s_cbranch_vccnz .LBB472_1358
; %bb.1348:
	s_cmp_gt_i32 s11, 14
	s_cbranch_scc0 .LBB472_1351
; %bb.1349:
	s_cmp_eq_u32 s11, 15
	s_cbranch_scc0 .LBB472_1354
; %bb.1350:
	global_load_ushort v1, v[2:3], off
	s_mov_b64 s[0:1], 0
	s_mov_b64 s[18:19], -1
	s_waitcnt vmcnt(0)
	v_lshlrev_b32_e32 v7, 16, v1
	s_branch .LBB472_1355
.LBB472_1351:
	s_mov_b64 s[20:21], -1
                                        ; implicit-def: $vgpr7
	s_branch .LBB472_1356
.LBB472_1352:
	s_or_saveexec_b64 s[18:19], s[18:19]
	v_mov_b32_e32 v7, 0x7f800001
	s_xor_b64 exec, exec, s[18:19]
	s_cbranch_execz .LBB472_1333
.LBB472_1353:
	v_cmp_ne_u16_e32 vcc, 0, v1
	s_andn2_b64 s[2:3], s[2:3], exec
	s_and_b64 s[20:21], vcc, exec
	v_mov_b32_e32 v7, 0
	s_or_b64 s[2:3], s[2:3], s[20:21]
	s_or_b64 exec, exec, s[18:19]
	s_and_saveexec_b64 s[18:19], s[2:3]
	s_cbranch_execnz .LBB472_1334
	s_branch .LBB472_1335
.LBB472_1354:
	s_mov_b64 s[0:1], -1
                                        ; implicit-def: $vgpr7
.LBB472_1355:
	s_mov_b64 s[20:21], 0
.LBB472_1356:
	s_and_b64 vcc, exec, s[20:21]
	s_cbranch_vccz .LBB472_1358
; %bb.1357:
	s_cmp_lg_u32 s11, 11
	s_mov_b64 s[2:3], -1
	s_cselect_b64 s[0:1], -1, 0
.LBB472_1358:
	s_and_b64 vcc, exec, s[0:1]
	s_cbranch_vccnz .LBB472_1421
; %bb.1359:
	s_andn2_b64 vcc, exec, s[2:3]
	s_cbranch_vccnz .LBB472_1361
.LBB472_1360:
	global_load_ubyte v1, v[2:3], off
	s_mov_b64 s[18:19], -1
	s_waitcnt vmcnt(0)
	v_cmp_ne_u16_e32 vcc, 0, v1
	s_nop 1
	v_cndmask_b32_e64 v7, 0, 1.0, vcc
.LBB472_1361:
	s_branch .LBB472_1289
.LBB472_1362:
	s_cmp_lt_i32 s11, 5
	s_cbranch_scc1 .LBB472_1367
; %bb.1363:
	s_cmp_lt_i32 s11, 8
	s_cbranch_scc1 .LBB472_1368
; %bb.1364:
	;; [unrolled: 3-line block ×3, first 2 shown]
	s_cmp_gt_i32 s11, 9
	s_cbranch_scc0 .LBB472_1370
; %bb.1366:
	global_load_dwordx2 v[8:9], v[2:3], off
	s_mov_b64 s[0:1], 0
	s_waitcnt vmcnt(0)
	v_cvt_f32_f64_e32 v7, v[8:9]
	s_branch .LBB472_1371
.LBB472_1367:
	s_mov_b64 s[0:1], -1
                                        ; implicit-def: $vgpr7
	s_branch .LBB472_1389
.LBB472_1368:
	s_mov_b64 s[0:1], -1
                                        ; implicit-def: $vgpr7
	s_branch .LBB472_1377
.LBB472_1369:
	s_mov_b64 s[0:1], -1
                                        ; implicit-def: $vgpr7
	s_branch .LBB472_1374
.LBB472_1370:
	s_mov_b64 s[0:1], -1
                                        ; implicit-def: $vgpr7
.LBB472_1371:
	s_andn2_b64 vcc, exec, s[0:1]
	s_cbranch_vccnz .LBB472_1373
; %bb.1372:
	global_load_dword v7, v[2:3], off
.LBB472_1373:
	s_mov_b64 s[0:1], 0
.LBB472_1374:
	s_andn2_b64 vcc, exec, s[0:1]
	s_cbranch_vccnz .LBB472_1376
; %bb.1375:
	global_load_dword v1, v[2:3], off
	s_waitcnt vmcnt(0)
	v_cvt_f32_f16_e32 v7, v1
.LBB472_1376:
	s_mov_b64 s[0:1], 0
.LBB472_1377:
	s_andn2_b64 vcc, exec, s[0:1]
	s_cbranch_vccnz .LBB472_1388
; %bb.1378:
	s_cmp_lt_i32 s11, 6
	s_cbranch_scc1 .LBB472_1381
; %bb.1379:
	s_cmp_gt_i32 s11, 6
	s_cbranch_scc0 .LBB472_1382
; %bb.1380:
	global_load_dwordx2 v[8:9], v[2:3], off
	s_mov_b64 s[0:1], 0
	s_waitcnt vmcnt(0)
	v_cvt_f32_f64_e32 v7, v[8:9]
	s_branch .LBB472_1383
.LBB472_1381:
	s_mov_b64 s[0:1], -1
                                        ; implicit-def: $vgpr7
	s_branch .LBB472_1386
.LBB472_1382:
	s_mov_b64 s[0:1], -1
                                        ; implicit-def: $vgpr7
.LBB472_1383:
	s_andn2_b64 vcc, exec, s[0:1]
	s_cbranch_vccnz .LBB472_1385
; %bb.1384:
	global_load_dword v7, v[2:3], off
.LBB472_1385:
	s_mov_b64 s[0:1], 0
.LBB472_1386:
	s_andn2_b64 vcc, exec, s[0:1]
	s_cbranch_vccnz .LBB472_1388
; %bb.1387:
	global_load_ushort v1, v[2:3], off
	s_waitcnt vmcnt(0)
	v_cvt_f32_f16_e32 v7, v1
.LBB472_1388:
	s_mov_b64 s[0:1], 0
.LBB472_1389:
	s_andn2_b64 vcc, exec, s[0:1]
	s_cbranch_vccnz .LBB472_1409
; %bb.1390:
	s_cmp_lt_i32 s11, 2
	s_cbranch_scc1 .LBB472_1394
; %bb.1391:
	s_cmp_lt_i32 s11, 3
	s_cbranch_scc1 .LBB472_1395
; %bb.1392:
	s_cmp_gt_i32 s11, 3
	s_cbranch_scc0 .LBB472_1396
; %bb.1393:
	global_load_dwordx2 v[8:9], v[2:3], off
	s_mov_b64 s[0:1], 0
	s_waitcnt vmcnt(0)
	v_xor_b32_e32 v7, v8, v9
	v_ffbh_i32_e32 v1, v9
	v_ashrrev_i32_e32 v7, 31, v7
	v_add_u32_e32 v1, -1, v1
	v_add_u32_e32 v7, 32, v7
	v_min_u32_e32 v1, v1, v7
	v_lshlrev_b64 v[8:9], v1, v[8:9]
	v_min_u32_e32 v7, 1, v8
	v_or_b32_e32 v7, v9, v7
	v_cvt_f32_i32_e32 v7, v7
	v_sub_u32_e32 v1, 32, v1
	v_ldexp_f32 v7, v7, v1
	s_branch .LBB472_1397
.LBB472_1394:
	s_mov_b64 s[0:1], -1
                                        ; implicit-def: $vgpr7
	s_branch .LBB472_1403
.LBB472_1395:
	s_mov_b64 s[0:1], -1
                                        ; implicit-def: $vgpr7
	s_branch .LBB472_1400
.LBB472_1396:
	s_mov_b64 s[0:1], -1
                                        ; implicit-def: $vgpr7
.LBB472_1397:
	s_andn2_b64 vcc, exec, s[0:1]
	s_cbranch_vccnz .LBB472_1399
; %bb.1398:
	global_load_dword v1, v[2:3], off
	s_waitcnt vmcnt(0)
	v_cvt_f32_i32_e32 v7, v1
.LBB472_1399:
	s_mov_b64 s[0:1], 0
.LBB472_1400:
	s_andn2_b64 vcc, exec, s[0:1]
	s_cbranch_vccnz .LBB472_1402
; %bb.1401:
	global_load_sshort v1, v[2:3], off
	s_waitcnt vmcnt(0)
	v_cvt_f32_i32_e32 v7, v1
.LBB472_1402:
	s_mov_b64 s[0:1], 0
.LBB472_1403:
	s_andn2_b64 vcc, exec, s[0:1]
	s_cbranch_vccnz .LBB472_1409
; %bb.1404:
	s_cmp_gt_i32 s11, 0
	s_cbranch_scc0 .LBB472_1406
; %bb.1405:
	global_load_sbyte v1, v[2:3], off
	s_mov_b64 s[0:1], 0
	s_waitcnt vmcnt(0)
	v_cvt_f32_i32_e32 v7, v1
	s_branch .LBB472_1407
.LBB472_1406:
	s_mov_b64 s[0:1], -1
                                        ; implicit-def: $vgpr7
.LBB472_1407:
	s_andn2_b64 vcc, exec, s[0:1]
	s_cbranch_vccnz .LBB472_1409
; %bb.1408:
	global_load_ubyte v1, v[2:3], off
	s_waitcnt vmcnt(0)
	v_cvt_f32_ubyte0_e32 v7, v1
.LBB472_1409:
.LBB472_1410:
	v_add_u32_e32 v0, s9, v0
	v_ashrrev_i32_e32 v1, 31, v0
	s_cmp_lt_i32 s11, 11
	v_lshl_add_u64 v[0:1], s[6:7], 0, v[0:1]
	s_cbranch_scc1 .LBB472_1417
; %bb.1411:
	s_cmp_gt_i32 s11, 25
	s_mov_b64 s[2:3], 0
	s_cbranch_scc0 .LBB472_1418
; %bb.1412:
	s_cmp_gt_i32 s11, 28
	s_cbranch_scc0 .LBB472_1419
; %bb.1413:
	s_cmp_gt_i32 s11, 43
	;; [unrolled: 3-line block ×3, first 2 shown]
	s_cbranch_scc0 .LBB472_1422
; %bb.1415:
	s_cmp_eq_u32 s11, 46
	s_mov_b64 s[18:19], 0
	s_cbranch_scc0 .LBB472_1423
; %bb.1416:
	global_load_dword v2, v[0:1], off
	s_mov_b64 s[0:1], 0
	s_mov_b64 s[6:7], -1
	s_waitcnt vmcnt(0)
	v_lshlrev_b32_e32 v8, 16, v2
	s_branch .LBB472_1424
.LBB472_1417:
	s_mov_b64 s[0:1], -1
	s_mov_b64 s[6:7], 0
                                        ; implicit-def: $vgpr8
	s_branch .LBB472_1490
.LBB472_1418:
	s_mov_b64 s[18:19], -1
	s_mov_b64 s[6:7], 0
	s_mov_b64 s[0:1], 0
                                        ; implicit-def: $vgpr8
	s_branch .LBB472_1453
.LBB472_1419:
	s_mov_b64 s[18:19], -1
	s_mov_b64 s[6:7], 0
	s_mov_b64 s[0:1], 0
                                        ; implicit-def: $vgpr8
	s_branch .LBB472_1434
.LBB472_1420:
	s_mov_b64 s[18:19], -1
	s_mov_b64 s[6:7], 0
	s_mov_b64 s[0:1], 0
                                        ; implicit-def: $vgpr8
	s_branch .LBB472_1429
.LBB472_1421:
	s_trap 2
	s_or_b64 s[16:17], s[16:17], exec
	s_cbranch_execz .LBB472_1360
	s_branch .LBB472_1361
.LBB472_1422:
	s_mov_b64 s[18:19], -1
	s_mov_b64 s[6:7], 0
	s_mov_b64 s[0:1], 0
                                        ; implicit-def: $vgpr8
	s_branch .LBB472_1424
.LBB472_1423:
	s_mov_b64 s[0:1], -1
                                        ; implicit-def: $vgpr8
	s_mov_b64 s[6:7], 0
.LBB472_1424:
	s_and_b64 vcc, exec, s[18:19]
	s_cbranch_vccz .LBB472_1428
; %bb.1425:
	s_cmp_eq_u32 s11, 44
	s_cbranch_scc0 .LBB472_1427
; %bb.1426:
	global_load_ubyte v2, v[0:1], off
	s_movk_i32 s6, 0xff
	v_mov_b32_e32 v3, 0x7f800001
	v_mov_b32_e32 v8, 0x400000
	s_mov_b64 s[0:1], 0
	s_waitcnt vmcnt(0)
	v_lshlrev_b32_e32 v9, 23, v2
	v_cmp_ne_u32_e32 vcc, s6, v2
	s_mov_b64 s[6:7], -1
	s_nop 0
	v_cndmask_b32_e32 v3, v3, v9, vcc
	v_cmp_ne_u32_e32 vcc, 0, v2
	s_nop 1
	v_cndmask_b32_e32 v8, v8, v3, vcc
	s_branch .LBB472_1428
.LBB472_1427:
	s_mov_b64 s[0:1], -1
                                        ; implicit-def: $vgpr8
.LBB472_1428:
	s_mov_b64 s[18:19], 0
.LBB472_1429:
	s_and_b64 vcc, exec, s[18:19]
	s_cbranch_vccz .LBB472_1433
; %bb.1430:
	s_cmp_eq_u32 s11, 29
	s_cbranch_scc0 .LBB472_1432
; %bb.1431:
	global_load_dwordx2 v[2:3], v[0:1], off
	s_mov_b64 s[0:1], 0
	s_mov_b64 s[6:7], -1
	s_mov_b64 s[18:19], 0
	s_waitcnt vmcnt(0)
	v_ffbh_u32_e32 v8, v3
	v_min_u32_e32 v8, 32, v8
	v_lshlrev_b64 v[2:3], v8, v[2:3]
	v_min_u32_e32 v2, 1, v2
	v_or_b32_e32 v2, v3, v2
	v_cvt_f32_u32_e32 v2, v2
	v_sub_u32_e32 v3, 32, v8
	v_ldexp_f32 v8, v2, v3
	s_branch .LBB472_1434
.LBB472_1432:
	s_mov_b64 s[0:1], -1
                                        ; implicit-def: $vgpr8
.LBB472_1433:
	s_mov_b64 s[18:19], 0
.LBB472_1434:
	s_and_b64 vcc, exec, s[18:19]
	s_cbranch_vccz .LBB472_1452
; %bb.1435:
	s_cmp_lt_i32 s11, 27
	s_cbranch_scc1 .LBB472_1438
; %bb.1436:
	s_cmp_gt_i32 s11, 27
	s_cbranch_scc0 .LBB472_1439
; %bb.1437:
	global_load_dword v2, v[0:1], off
	s_mov_b64 s[6:7], 0
	s_waitcnt vmcnt(0)
	v_cvt_f32_u32_e32 v8, v2
	s_branch .LBB472_1440
.LBB472_1438:
	s_mov_b64 s[6:7], -1
                                        ; implicit-def: $vgpr8
	s_branch .LBB472_1443
.LBB472_1439:
	s_mov_b64 s[6:7], -1
                                        ; implicit-def: $vgpr8
.LBB472_1440:
	s_andn2_b64 vcc, exec, s[6:7]
	s_cbranch_vccnz .LBB472_1442
; %bb.1441:
	global_load_ushort v2, v[0:1], off
	s_waitcnt vmcnt(0)
	v_cvt_f32_u32_e32 v8, v2
.LBB472_1442:
	s_mov_b64 s[6:7], 0
.LBB472_1443:
	s_andn2_b64 vcc, exec, s[6:7]
	s_cbranch_vccnz .LBB472_1451
; %bb.1444:
	global_load_ubyte v2, v[0:1], off
	s_movk_i32 s6, 0x7f
	s_waitcnt vmcnt(0)
	v_cmp_lt_i16_e32 vcc, s6, v2
	s_mov_b64 s[6:7], 0
	s_and_saveexec_b64 s[18:19], vcc
	s_xor_b64 s[18:19], exec, s[18:19]
	s_cbranch_execz .LBB472_1465
; %bb.1445:
	s_movk_i32 s6, 0x80
	v_cmp_eq_u16_e32 vcc, s6, v2
	s_mov_b64 s[6:7], -1
	s_and_saveexec_b64 s[20:21], vcc
; %bb.1446:
	s_xor_b64 s[6:7], exec, -1
; %bb.1447:
	s_or_b64 exec, exec, s[20:21]
	s_and_b64 s[6:7], s[6:7], exec
	s_or_saveexec_b64 s[18:19], s[18:19]
	v_mov_b32_e32 v8, 0x7f800001
	s_xor_b64 exec, exec, s[18:19]
	s_cbranch_execnz .LBB472_1466
.LBB472_1448:
	s_or_b64 exec, exec, s[18:19]
	s_and_saveexec_b64 s[18:19], s[6:7]
	s_cbranch_execz .LBB472_1450
.LBB472_1449:
	v_lshlrev_b32_e32 v3, 24, v2
	v_and_b32_e32 v2, 0xffff, v2
	v_and_b32_e32 v8, 7, v2
	v_ffbh_u32_e32 v10, v8
	v_min_u32_e32 v10, 32, v10
	v_subrev_u32_e32 v11, 28, v10
	v_bfe_u32 v9, v2, 3, 4
	v_lshlrev_b32_e32 v2, v11, v2
	v_sub_u32_e32 v10, 29, v10
	v_and_b32_e32 v2, 7, v2
	v_cmp_eq_u32_e32 vcc, 0, v9
	v_and_b32_e32 v3, 0x80000000, v3
	s_nop 0
	v_cndmask_b32_e32 v9, v9, v10, vcc
	v_cndmask_b32_e32 v2, v8, v2, vcc
	v_mov_b32_e32 v8, 0x3b800000
	v_lshlrev_b32_e32 v2, 20, v2
	v_lshl_add_u32 v8, v9, 23, v8
	v_or3_b32 v8, v3, v8, v2
.LBB472_1450:
	s_or_b64 exec, exec, s[18:19]
.LBB472_1451:
	s_mov_b64 s[6:7], -1
.LBB472_1452:
	s_mov_b64 s[18:19], 0
.LBB472_1453:
	s_and_b64 vcc, exec, s[18:19]
	s_cbranch_vccz .LBB472_1486
; %bb.1454:
	s_cmp_gt_i32 s11, 22
	s_cbranch_scc0 .LBB472_1464
; %bb.1455:
	s_cmp_lt_i32 s11, 24
	s_cbranch_scc1 .LBB472_1467
; %bb.1456:
	s_cmp_gt_i32 s11, 24
	s_cbranch_scc0 .LBB472_1468
; %bb.1457:
	global_load_ubyte v2, v[0:1], off
	s_movk_i32 s2, 0x7f
	s_waitcnt vmcnt(0)
	v_cmp_lt_i16_e32 vcc, s2, v2
	s_mov_b64 s[2:3], 0
	s_and_saveexec_b64 s[6:7], vcc
	s_xor_b64 s[6:7], exec, s[6:7]
	s_cbranch_execz .LBB472_1480
; %bb.1458:
	s_movk_i32 s2, 0x80
	v_cmp_eq_u16_e32 vcc, s2, v2
	s_mov_b64 s[2:3], -1
	s_and_saveexec_b64 s[18:19], vcc
; %bb.1459:
	s_xor_b64 s[2:3], exec, -1
; %bb.1460:
	s_or_b64 exec, exec, s[18:19]
	s_and_b64 s[2:3], s[2:3], exec
	s_or_saveexec_b64 s[6:7], s[6:7]
	v_mov_b32_e32 v8, 0x7f800001
	s_xor_b64 exec, exec, s[6:7]
	s_cbranch_execnz .LBB472_1481
.LBB472_1461:
	s_or_b64 exec, exec, s[6:7]
	s_and_saveexec_b64 s[6:7], s[2:3]
	s_cbranch_execz .LBB472_1463
.LBB472_1462:
	v_lshlrev_b32_e32 v3, 24, v2
	v_and_b32_e32 v2, 0xffff, v2
	v_and_b32_e32 v8, 3, v2
	v_ffbh_u32_e32 v10, v8
	v_min_u32_e32 v10, 32, v10
	v_subrev_u32_e32 v11, 29, v10
	v_bfe_u32 v9, v2, 2, 5
	v_lshlrev_b32_e32 v2, v11, v2
	v_sub_u32_e32 v10, 30, v10
	v_and_b32_e32 v2, 3, v2
	v_cmp_eq_u32_e32 vcc, 0, v9
	v_and_b32_e32 v3, 0x80000000, v3
	s_nop 0
	v_cndmask_b32_e32 v9, v9, v10, vcc
	v_cndmask_b32_e32 v2, v8, v2, vcc
	v_mov_b32_e32 v8, 0x37800000
	v_lshlrev_b32_e32 v2, 21, v2
	v_lshl_add_u32 v8, v9, 23, v8
	v_or3_b32 v8, v3, v8, v2
.LBB472_1463:
	s_or_b64 exec, exec, s[6:7]
	s_mov_b64 s[2:3], 0
	s_branch .LBB472_1469
.LBB472_1464:
	s_mov_b64 s[2:3], -1
                                        ; implicit-def: $vgpr8
	s_branch .LBB472_1475
.LBB472_1465:
	s_or_saveexec_b64 s[18:19], s[18:19]
	v_mov_b32_e32 v8, 0x7f800001
	s_xor_b64 exec, exec, s[18:19]
	s_cbranch_execz .LBB472_1448
.LBB472_1466:
	v_cmp_ne_u16_e32 vcc, 0, v2
	s_andn2_b64 s[6:7], s[6:7], exec
	s_and_b64 s[20:21], vcc, exec
	v_mov_b32_e32 v8, 0
	s_or_b64 s[6:7], s[6:7], s[20:21]
	s_or_b64 exec, exec, s[18:19]
	s_and_saveexec_b64 s[18:19], s[6:7]
	s_cbranch_execnz .LBB472_1449
	s_branch .LBB472_1450
.LBB472_1467:
	s_mov_b64 s[2:3], -1
                                        ; implicit-def: $vgpr8
	s_branch .LBB472_1472
.LBB472_1468:
	s_mov_b64 s[2:3], -1
                                        ; implicit-def: $vgpr8
.LBB472_1469:
	s_and_b64 vcc, exec, s[2:3]
	s_cbranch_vccz .LBB472_1471
; %bb.1470:
	global_load_ubyte v2, v[0:1], off
	s_mov_b32 s2, 0x7f800000
	s_waitcnt vmcnt(0)
	v_lshlrev_b32_e32 v2, 24, v2
	v_and_b32_e32 v3, 0x7f000000, v2
	v_ffbh_u32_e32 v8, v3
	v_min_u32_e32 v8, 32, v8
	v_sub_u32_e64 v8, v8, 4 clamp
	v_lshlrev_b32_e32 v10, v8, v3
	v_lshlrev_b32_e32 v8, 23, v8
	v_lshrrev_b32_e32 v10, 4, v10
	v_add_u32_e32 v9, 0x1000000, v3
	v_sub_u32_e32 v8, v10, v8
	v_ashrrev_i32_e32 v9, 8, v9
	v_add_u32_e32 v8, 0x3c000000, v8
	v_and_or_b32 v8, v9, s2, v8
	v_cmp_ne_u32_e32 vcc, 0, v3
	s_brev_b32 s2, 1
	s_nop 0
	v_cndmask_b32_e32 v3, 0, v8, vcc
	v_and_or_b32 v8, v2, s2, v3
.LBB472_1471:
	s_mov_b64 s[2:3], 0
.LBB472_1472:
	s_andn2_b64 vcc, exec, s[2:3]
	s_cbranch_vccnz .LBB472_1474
; %bb.1473:
	global_load_ubyte v2, v[0:1], off
	s_movk_i32 s2, 0x7f00
	s_brev_b32 s3, 16
	s_waitcnt vmcnt(0)
	v_lshlrev_b16_e32 v3, 8, v2
	v_lshlrev_b32_e32 v2, 25, v2
	v_lshrrev_b32_e32 v8, 4, v2
	v_and_or_b32 v9, v3, s2, 0.5
	v_or_b32_e32 v8, 0x70000000, v8
	v_add_f32_e32 v9, -0.5, v9
	v_mul_f32_e32 v8, 0x7800000, v8
	v_cmp_gt_u32_e32 vcc, s3, v2
	v_bfe_i32 v3, v3, 0, 16
	s_brev_b32 s2, 1
	v_cndmask_b32_e32 v2, v8, v9, vcc
	v_and_or_b32 v8, v3, s2, v2
.LBB472_1474:
	s_mov_b64 s[2:3], 0
	s_mov_b64 s[6:7], -1
.LBB472_1475:
	s_andn2_b64 vcc, exec, s[2:3]
	s_mov_b64 s[2:3], 0
	s_cbranch_vccnz .LBB472_1486
; %bb.1476:
	s_cmp_gt_i32 s11, 14
	s_cbranch_scc0 .LBB472_1479
; %bb.1477:
	s_cmp_eq_u32 s11, 15
	s_cbranch_scc0 .LBB472_1482
; %bb.1478:
	global_load_ushort v2, v[0:1], off
	s_mov_b64 s[0:1], 0
	s_mov_b64 s[6:7], -1
	s_waitcnt vmcnt(0)
	v_lshlrev_b32_e32 v8, 16, v2
	s_branch .LBB472_1483
.LBB472_1479:
	s_mov_b64 s[18:19], -1
                                        ; implicit-def: $vgpr8
	s_branch .LBB472_1484
.LBB472_1480:
	s_or_saveexec_b64 s[6:7], s[6:7]
	v_mov_b32_e32 v8, 0x7f800001
	s_xor_b64 exec, exec, s[6:7]
	s_cbranch_execz .LBB472_1461
.LBB472_1481:
	v_cmp_ne_u16_e32 vcc, 0, v2
	s_andn2_b64 s[2:3], s[2:3], exec
	s_and_b64 s[18:19], vcc, exec
	v_mov_b32_e32 v8, 0
	s_or_b64 s[2:3], s[2:3], s[18:19]
	s_or_b64 exec, exec, s[6:7]
	s_and_saveexec_b64 s[6:7], s[2:3]
	s_cbranch_execnz .LBB472_1462
	s_branch .LBB472_1463
.LBB472_1482:
	s_mov_b64 s[0:1], -1
                                        ; implicit-def: $vgpr8
.LBB472_1483:
	s_mov_b64 s[18:19], 0
.LBB472_1484:
	s_and_b64 vcc, exec, s[18:19]
	s_cbranch_vccz .LBB472_1486
; %bb.1485:
	s_cmp_lg_u32 s11, 11
	s_mov_b64 s[2:3], -1
	s_cselect_b64 s[0:1], -1, 0
.LBB472_1486:
	s_and_b64 vcc, exec, s[0:1]
	s_cbranch_vccnz .LBB472_2019
; %bb.1487:
	s_andn2_b64 vcc, exec, s[2:3]
	s_cbranch_vccnz .LBB472_1489
.LBB472_1488:
	global_load_ubyte v2, v[0:1], off
	s_mov_b64 s[6:7], -1
	s_waitcnt vmcnt(0)
	v_cmp_ne_u16_e32 vcc, 0, v2
	s_nop 1
	v_cndmask_b32_e64 v8, 0, 1.0, vcc
.LBB472_1489:
	s_mov_b64 s[0:1], 0
.LBB472_1490:
	s_and_b64 vcc, exec, s[0:1]
	s_cbranch_vccz .LBB472_1539
; %bb.1491:
	s_cmp_lt_i32 s11, 5
	s_cbranch_scc1 .LBB472_1496
; %bb.1492:
	s_cmp_lt_i32 s11, 8
	s_cbranch_scc1 .LBB472_1497
	;; [unrolled: 3-line block ×3, first 2 shown]
; %bb.1494:
	s_cmp_gt_i32 s11, 9
	s_cbranch_scc0 .LBB472_1499
; %bb.1495:
	global_load_dwordx2 v[2:3], v[0:1], off
	s_mov_b64 s[0:1], 0
	s_waitcnt vmcnt(0)
	v_cvt_f32_f64_e32 v8, v[2:3]
	s_branch .LBB472_1500
.LBB472_1496:
	s_mov_b64 s[0:1], -1
                                        ; implicit-def: $vgpr8
	s_branch .LBB472_1518
.LBB472_1497:
	s_mov_b64 s[0:1], -1
                                        ; implicit-def: $vgpr8
	s_branch .LBB472_1506
.LBB472_1498:
	s_mov_b64 s[0:1], -1
                                        ; implicit-def: $vgpr8
	s_branch .LBB472_1503
.LBB472_1499:
	s_mov_b64 s[0:1], -1
                                        ; implicit-def: $vgpr8
.LBB472_1500:
	s_andn2_b64 vcc, exec, s[0:1]
	s_cbranch_vccnz .LBB472_1502
; %bb.1501:
	global_load_dword v8, v[0:1], off
.LBB472_1502:
	s_mov_b64 s[0:1], 0
.LBB472_1503:
	s_andn2_b64 vcc, exec, s[0:1]
	s_cbranch_vccnz .LBB472_1505
; %bb.1504:
	global_load_dword v2, v[0:1], off
	s_waitcnt vmcnt(0)
	v_cvt_f32_f16_e32 v8, v2
.LBB472_1505:
	s_mov_b64 s[0:1], 0
.LBB472_1506:
	s_andn2_b64 vcc, exec, s[0:1]
	s_cbranch_vccnz .LBB472_1517
; %bb.1507:
	s_cmp_lt_i32 s11, 6
	s_cbranch_scc1 .LBB472_1510
; %bb.1508:
	s_cmp_gt_i32 s11, 6
	s_cbranch_scc0 .LBB472_1511
; %bb.1509:
	global_load_dwordx2 v[2:3], v[0:1], off
	s_mov_b64 s[0:1], 0
	s_waitcnt vmcnt(0)
	v_cvt_f32_f64_e32 v8, v[2:3]
	s_branch .LBB472_1512
.LBB472_1510:
	s_mov_b64 s[0:1], -1
                                        ; implicit-def: $vgpr8
	s_branch .LBB472_1515
.LBB472_1511:
	s_mov_b64 s[0:1], -1
                                        ; implicit-def: $vgpr8
.LBB472_1512:
	s_andn2_b64 vcc, exec, s[0:1]
	s_cbranch_vccnz .LBB472_1514
; %bb.1513:
	global_load_dword v8, v[0:1], off
.LBB472_1514:
	s_mov_b64 s[0:1], 0
.LBB472_1515:
	s_andn2_b64 vcc, exec, s[0:1]
	s_cbranch_vccnz .LBB472_1517
; %bb.1516:
	global_load_ushort v2, v[0:1], off
	s_waitcnt vmcnt(0)
	v_cvt_f32_f16_e32 v8, v2
.LBB472_1517:
	s_mov_b64 s[0:1], 0
.LBB472_1518:
	s_andn2_b64 vcc, exec, s[0:1]
	s_cbranch_vccnz .LBB472_1538
; %bb.1519:
	s_cmp_lt_i32 s11, 2
	s_cbranch_scc1 .LBB472_1523
; %bb.1520:
	s_cmp_lt_i32 s11, 3
	s_cbranch_scc1 .LBB472_1524
; %bb.1521:
	s_cmp_gt_i32 s11, 3
	s_cbranch_scc0 .LBB472_1525
; %bb.1522:
	global_load_dwordx2 v[2:3], v[0:1], off
	s_mov_b64 s[0:1], 0
	s_waitcnt vmcnt(0)
	v_xor_b32_e32 v9, v2, v3
	v_ffbh_i32_e32 v8, v3
	v_ashrrev_i32_e32 v9, 31, v9
	v_add_u32_e32 v8, -1, v8
	v_add_u32_e32 v9, 32, v9
	v_min_u32_e32 v8, v8, v9
	v_lshlrev_b64 v[2:3], v8, v[2:3]
	v_min_u32_e32 v2, 1, v2
	v_or_b32_e32 v2, v3, v2
	v_cvt_f32_i32_e32 v2, v2
	v_sub_u32_e32 v3, 32, v8
	v_ldexp_f32 v8, v2, v3
	s_branch .LBB472_1526
.LBB472_1523:
	s_mov_b64 s[0:1], -1
                                        ; implicit-def: $vgpr8
	s_branch .LBB472_1532
.LBB472_1524:
	s_mov_b64 s[0:1], -1
                                        ; implicit-def: $vgpr8
	s_branch .LBB472_1529
.LBB472_1525:
	s_mov_b64 s[0:1], -1
                                        ; implicit-def: $vgpr8
.LBB472_1526:
	s_andn2_b64 vcc, exec, s[0:1]
	s_cbranch_vccnz .LBB472_1528
; %bb.1527:
	global_load_dword v2, v[0:1], off
	s_waitcnt vmcnt(0)
	v_cvt_f32_i32_e32 v8, v2
.LBB472_1528:
	s_mov_b64 s[0:1], 0
.LBB472_1529:
	s_andn2_b64 vcc, exec, s[0:1]
	s_cbranch_vccnz .LBB472_1531
; %bb.1530:
	global_load_sshort v2, v[0:1], off
	s_waitcnt vmcnt(0)
	v_cvt_f32_i32_e32 v8, v2
.LBB472_1531:
	s_mov_b64 s[0:1], 0
.LBB472_1532:
	s_andn2_b64 vcc, exec, s[0:1]
	s_cbranch_vccnz .LBB472_1538
; %bb.1533:
	s_cmp_gt_i32 s11, 0
	s_cbranch_scc0 .LBB472_1535
; %bb.1534:
	global_load_sbyte v2, v[0:1], off
	s_mov_b64 s[0:1], 0
	s_waitcnt vmcnt(0)
	v_cvt_f32_i32_e32 v8, v2
	s_branch .LBB472_1536
.LBB472_1535:
	s_mov_b64 s[0:1], -1
                                        ; implicit-def: $vgpr8
.LBB472_1536:
	s_andn2_b64 vcc, exec, s[0:1]
	s_cbranch_vccnz .LBB472_1538
; %bb.1537:
	global_load_ubyte v0, v[0:1], off
	s_waitcnt vmcnt(0)
	v_cvt_f32_ubyte0_e32 v8, v0
.LBB472_1538:
	s_mov_b64 s[6:7], -1
.LBB472_1539:
	s_andn2_b64 vcc, exec, s[6:7]
	s_cbranch_vccnz .LBB472_1973
; %bb.1540:
	v_max_f32_e64 v9, s10, s10
	s_waitcnt vmcnt(0)
	v_max_f32_e32 v0, v4, v4
	v_min_f32_e32 v0, v0, v9
	v_cmp_u_f32_e32 vcc, v4, v4
	s_and_b32 s20, s33, 0xff
	s_cmp_lt_i32 s20, 11
	v_cndmask_b32_e32 v4, v0, v4, vcc
	v_mul_lo_u32 v0, s8, v5
	v_ashrrev_i32_e32 v1, 31, v0
	v_lshl_add_u64 v[2:3], s[4:5], 0, v[0:1]
	s_cbranch_scc1 .LBB472_1618
; %bb.1541:
	s_and_b32 s9, 0xffff, s20
	s_mov_b64 s[10:11], -1
	s_mov_b64 s[2:3], 0
	s_cmp_gt_i32 s9, 25
	s_mov_b64 s[6:7], 0
	s_mov_b64 s[0:1], 0
	s_cbranch_scc0 .LBB472_1574
; %bb.1542:
	s_cmp_gt_i32 s9, 28
	s_cbranch_scc0 .LBB472_1557
; %bb.1543:
	s_cmp_gt_i32 s9, 43
	;; [unrolled: 3-line block ×3, first 2 shown]
	s_cbranch_scc0 .LBB472_1547
; %bb.1545:
	s_mov_b64 s[0:1], -1
	s_mov_b64 s[10:11], 0
	s_cmp_eq_u32 s9, 46
	s_cbranch_scc0 .LBB472_1547
; %bb.1546:
	v_bfe_u32 v1, v4, 16, 1
	s_movk_i32 s0, 0x7fff
	v_add3_u32 v1, v4, v1, s0
	v_cmp_o_f32_e32 vcc, v4, v4
	v_mov_b32_e32 v5, 0x7fc0
	s_mov_b64 s[0:1], 0
	v_cndmask_b32_sdwa v1, v5, v1, vcc dst_sel:DWORD dst_unused:UNUSED_PAD src0_sel:DWORD src1_sel:WORD_1
	global_store_dword v[2:3], v1, off
	s_mov_b64 s[6:7], -1
.LBB472_1547:
	s_and_b64 vcc, exec, s[10:11]
	s_cbranch_vccz .LBB472_1552
; %bb.1548:
	s_cmp_eq_u32 s9, 44
	s_mov_b64 s[0:1], -1
	s_cbranch_scc0 .LBB472_1552
; %bb.1549:
	v_bfe_u32 v1, v4, 23, 8
	s_movk_i32 s0, 0xff
	v_cmp_ne_u32_e32 vcc, s0, v1
	v_mov_b32_e32 v5, 0xff
	s_and_saveexec_b64 s[6:7], vcc
; %bb.1550:
	s_mov_b32 s0, 0x3fffff
	v_and_b32_e32 v10, 0x400000, v4
	v_and_or_b32 v1, v4, s0, v1
	v_cmp_ne_u32_e32 vcc, 0, v10
	v_cmp_ne_u32_e64 s[0:1], 0, v1
	s_and_b64 s[0:1], vcc, s[0:1]
	v_lshrrev_b32_e32 v5, 23, v4
	v_cndmask_b32_e64 v1, 0, 1, s[0:1]
	v_add_u32_e32 v5, v5, v1
; %bb.1551:
	s_or_b64 exec, exec, s[6:7]
	s_mov_b64 s[0:1], 0
	s_mov_b64 s[6:7], -1
	global_store_byte v[2:3], v5, off
.LBB472_1552:
	s_mov_b64 s[10:11], 0
.LBB472_1553:
	s_and_b64 vcc, exec, s[10:11]
	s_cbranch_vccz .LBB472_1556
; %bb.1554:
	s_cmp_eq_u32 s9, 29
	s_mov_b64 s[0:1], -1
	s_cbranch_scc0 .LBB472_1556
; %bb.1555:
	v_trunc_f32_e32 v1, v4
	v_mul_f32_e32 v5, 0x2f800000, v1
	v_floor_f32_e32 v5, v5
	v_fmamk_f32 v1, v5, 0xcf800000, v1
	v_cvt_u32_f32_e32 v11, v5
	v_cvt_u32_f32_e32 v10, v1
	s_mov_b64 s[0:1], 0
	s_mov_b64 s[6:7], -1
	global_store_dwordx2 v[2:3], v[10:11], off
.LBB472_1556:
	s_mov_b64 s[10:11], 0
.LBB472_1557:
	s_and_b64 vcc, exec, s[10:11]
	s_cbranch_vccz .LBB472_1573
; %bb.1558:
	s_cmp_lt_i32 s9, 27
	s_mov_b64 s[6:7], -1
	s_cbranch_scc1 .LBB472_1564
; %bb.1559:
	v_cvt_u32_f32_e32 v1, v4
	s_cmp_gt_i32 s9, 27
	s_cbranch_scc0 .LBB472_1561
; %bb.1560:
	s_mov_b64 s[6:7], 0
	global_store_dword v[2:3], v1, off
.LBB472_1561:
	s_andn2_b64 vcc, exec, s[6:7]
	s_cbranch_vccnz .LBB472_1563
; %bb.1562:
	global_store_short v[2:3], v1, off
.LBB472_1563:
	s_mov_b64 s[6:7], 0
.LBB472_1564:
	s_andn2_b64 vcc, exec, s[6:7]
	s_cbranch_vccnz .LBB472_1572
; %bb.1565:
	v_and_b32_e32 v1, 0x7fffffff, v4
	s_mov_b32 s6, 0x43800000
	v_cmp_gt_u32_e32 vcc, s6, v1
	v_mov_b32_e32 v5, 0x80
	s_and_saveexec_b64 s[6:7], vcc
	s_cbranch_execz .LBB472_1571
; %bb.1566:
	s_mov_b32 s10, 0x3bffffff
	v_cmp_lt_u32_e32 vcc, s10, v1
	s_mov_b64 s[10:11], 0
                                        ; implicit-def: $vgpr1
	s_and_saveexec_b64 s[18:19], vcc
	s_xor_b64 s[18:19], exec, s[18:19]
	s_cbranch_execz .LBB472_2020
; %bb.1567:
	v_bfe_u32 v1, v4, 20, 1
	s_mov_b32 s21, 0x487ffff
	v_add3_u32 v1, v4, v1, s21
	s_mov_b64 s[10:11], exec
	v_lshrrev_b32_e32 v1, 20, v1
	s_andn2_saveexec_b64 s[18:19], s[18:19]
	s_cbranch_execnz .LBB472_2021
.LBB472_1568:
	s_or_b64 exec, exec, s[18:19]
	v_mov_b32_e32 v5, 0
	s_and_saveexec_b64 s[18:19], s[10:11]
.LBB472_1569:
	v_lshrrev_b32_e32 v5, 24, v4
	s_movk_i32 s10, 0x80
	v_and_or_b32 v5, v5, s10, v1
.LBB472_1570:
	s_or_b64 exec, exec, s[18:19]
.LBB472_1571:
	s_or_b64 exec, exec, s[6:7]
	global_store_byte v[2:3], v5, off
.LBB472_1572:
	s_mov_b64 s[6:7], -1
.LBB472_1573:
	s_mov_b64 s[10:11], 0
.LBB472_1574:
	s_and_b64 vcc, exec, s[10:11]
	s_cbranch_vccz .LBB472_1614
; %bb.1575:
	s_cmp_gt_i32 s9, 22
	s_mov_b64 s[2:3], -1
	s_cbranch_scc0 .LBB472_1607
; %bb.1576:
	s_cmp_lt_i32 s9, 24
	s_cbranch_scc1 .LBB472_1596
; %bb.1577:
	s_cmp_gt_i32 s9, 24
	s_cbranch_scc0 .LBB472_1585
; %bb.1578:
	v_and_b32_e32 v1, 0x7fffffff, v4
	s_mov_b32 s2, 0x47800000
	v_cmp_gt_u32_e32 vcc, s2, v1
	v_mov_b32_e32 v5, 0x80
	s_and_saveexec_b64 s[2:3], vcc
	s_cbranch_execz .LBB472_1584
; %bb.1579:
	s_mov_b32 s6, 0x37ffffff
	v_cmp_lt_u32_e32 vcc, s6, v1
	s_mov_b64 s[6:7], 0
                                        ; implicit-def: $vgpr1
	s_and_saveexec_b64 s[10:11], vcc
	s_xor_b64 s[10:11], exec, s[10:11]
	s_cbranch_execz .LBB472_2023
; %bb.1580:
	v_bfe_u32 v1, v4, 21, 1
	s_mov_b32 s18, 0x88fffff
	v_add3_u32 v1, v4, v1, s18
	s_mov_b64 s[6:7], exec
	v_lshrrev_b32_e32 v1, 21, v1
	s_andn2_saveexec_b64 s[10:11], s[10:11]
	s_cbranch_execnz .LBB472_2024
.LBB472_1581:
	s_or_b64 exec, exec, s[10:11]
	v_mov_b32_e32 v5, 0
	s_and_saveexec_b64 s[10:11], s[6:7]
.LBB472_1582:
	v_lshrrev_b32_e32 v5, 24, v4
	s_movk_i32 s6, 0x80
	v_and_or_b32 v5, v5, s6, v1
.LBB472_1583:
	s_or_b64 exec, exec, s[10:11]
.LBB472_1584:
	s_or_b64 exec, exec, s[2:3]
	s_mov_b64 s[2:3], 0
	global_store_byte v[2:3], v5, off
.LBB472_1585:
	s_and_b64 vcc, exec, s[2:3]
	s_cbranch_vccz .LBB472_1595
; %bb.1586:
	v_and_b32_e32 v5, 0x7fffffff, v4
	s_mov_b32 s2, 0x43f00000
	v_cmp_gt_u32_e32 vcc, s2, v5
                                        ; implicit-def: $vgpr1
	s_and_saveexec_b64 s[2:3], vcc
	s_xor_b64 s[2:3], exec, s[2:3]
	s_cbranch_execz .LBB472_1592
; %bb.1587:
	s_mov_b32 s6, 0x3c7fffff
	v_cmp_lt_u32_e32 vcc, s6, v5
                                        ; implicit-def: $vgpr1
	s_and_saveexec_b64 s[6:7], vcc
	s_xor_b64 s[6:7], exec, s[6:7]
; %bb.1588:
	v_bfe_u32 v1, v4, 20, 1
	s_mov_b32 s10, 0x407ffff
	v_add3_u32 v1, v4, v1, s10
	v_lshrrev_b32_e32 v5, 20, v1
	v_and_b32_e32 v1, 0xff00000, v1
	s_mov_b32 s10, 0x7f00000
	v_mov_b32_e32 v10, 0x7e
	v_cmp_ne_u32_e32 vcc, s10, v1
	s_nop 1
	v_cndmask_b32_e32 v1, v10, v5, vcc
; %bb.1589:
	s_andn2_saveexec_b64 s[6:7], s[6:7]
; %bb.1590:
	s_mov_b32 s10, 0x46800000
	v_add_f32_e64 v1, |v4|, s10
; %bb.1591:
	s_or_b64 exec, exec, s[6:7]
                                        ; implicit-def: $vgpr5
.LBB472_1592:
	s_andn2_saveexec_b64 s[2:3], s[2:3]
; %bb.1593:
	s_mov_b32 s6, 0x7f800000
	v_mov_b32_e32 v1, 0x7e
	v_mov_b32_e32 v10, 0x7f
	v_cmp_lt_u32_e32 vcc, s6, v5
	s_nop 1
	v_cndmask_b32_e32 v1, v1, v10, vcc
; %bb.1594:
	s_or_b64 exec, exec, s[2:3]
	v_lshrrev_b32_e32 v5, 24, v4
	s_movk_i32 s2, 0x80
	v_and_or_b32 v1, v5, s2, v1
	global_store_byte v[2:3], v1, off
.LBB472_1595:
	s_mov_b64 s[2:3], 0
.LBB472_1596:
	s_andn2_b64 vcc, exec, s[2:3]
	s_cbranch_vccnz .LBB472_1606
; %bb.1597:
	v_and_b32_e32 v5, 0x7fffffff, v4
	s_mov_b32 s2, 0x47800000
	v_cmp_gt_u32_e32 vcc, s2, v5
                                        ; implicit-def: $vgpr1
	s_and_saveexec_b64 s[2:3], vcc
	s_xor_b64 s[2:3], exec, s[2:3]
	s_cbranch_execz .LBB472_1603
; %bb.1598:
	s_mov_b32 s6, 0x387fffff
	v_cmp_lt_u32_e32 vcc, s6, v5
                                        ; implicit-def: $vgpr1
	s_and_saveexec_b64 s[6:7], vcc
	s_xor_b64 s[6:7], exec, s[6:7]
; %bb.1599:
	v_bfe_u32 v1, v4, 21, 1
	s_mov_b32 s10, 0x80fffff
	v_add3_u32 v1, v4, v1, s10
	v_lshrrev_b32_e32 v1, 21, v1
; %bb.1600:
	s_andn2_saveexec_b64 s[6:7], s[6:7]
; %bb.1601:
	s_mov_b32 s10, 0x43000000
	v_add_f32_e64 v1, |v4|, s10
; %bb.1602:
	s_or_b64 exec, exec, s[6:7]
                                        ; implicit-def: $vgpr5
.LBB472_1603:
	s_andn2_saveexec_b64 s[2:3], s[2:3]
; %bb.1604:
	s_mov_b32 s6, 0x7f800000
	v_mov_b32_e32 v1, 0x7c
	v_mov_b32_e32 v10, 0x7f
	v_cmp_lt_u32_e32 vcc, s6, v5
	s_nop 1
	v_cndmask_b32_e32 v1, v1, v10, vcc
; %bb.1605:
	s_or_b64 exec, exec, s[2:3]
	v_lshrrev_b32_e32 v5, 24, v4
	s_movk_i32 s2, 0x80
	v_and_or_b32 v1, v5, s2, v1
	global_store_byte v[2:3], v1, off
.LBB472_1606:
	s_mov_b64 s[2:3], 0
	s_mov_b64 s[6:7], -1
.LBB472_1607:
	s_andn2_b64 vcc, exec, s[2:3]
	s_mov_b64 s[2:3], 0
	s_cbranch_vccnz .LBB472_1614
; %bb.1608:
	s_cmp_gt_i32 s9, 14
	s_mov_b64 s[10:11], -1
	s_cbranch_scc0 .LBB472_1612
; %bb.1609:
	s_cmp_eq_u32 s9, 15
	s_mov_b64 s[0:1], -1
	s_cbranch_scc0 .LBB472_1611
; %bb.1610:
	v_bfe_u32 v1, v4, 16, 1
	s_movk_i32 s0, 0x7fff
	v_add3_u32 v1, v4, v1, s0
	v_cmp_o_f32_e32 vcc, v4, v4
	v_mov_b32_e32 v5, 0x7fc0
	s_mov_b64 s[0:1], 0
	v_cndmask_b32_sdwa v1, v5, v1, vcc dst_sel:DWORD dst_unused:UNUSED_PAD src0_sel:DWORD src1_sel:WORD_1
	global_store_short v[2:3], v1, off
	s_mov_b64 s[6:7], -1
.LBB472_1611:
	s_mov_b64 s[10:11], 0
.LBB472_1612:
	s_and_b64 vcc, exec, s[10:11]
	s_cbranch_vccz .LBB472_1614
; %bb.1613:
	s_cmp_lg_u32 s9, 11
	s_mov_b64 s[2:3], -1
	s_cselect_b64 s[0:1], -1, 0
.LBB472_1614:
	s_and_b64 vcc, exec, s[0:1]
	s_cbranch_vccnz .LBB472_2022
; %bb.1615:
	s_andn2_b64 vcc, exec, s[2:3]
	s_cbranch_vccnz .LBB472_1617
.LBB472_1616:
	v_cmp_neq_f32_e32 vcc, 0, v4
	s_mov_b64 s[6:7], -1
	s_nop 0
	v_cndmask_b32_e64 v1, 0, 1, vcc
	global_store_byte v[2:3], v1, off
.LBB472_1617:
	s_mov_b64 s[0:1], 0
	s_branch .LBB472_1619
.LBB472_1618:
	s_mov_b64 s[0:1], -1
	s_mov_b64 s[6:7], 0
.LBB472_1619:
	s_and_b64 vcc, exec, s[0:1]
	s_cbranch_vccz .LBB472_1658
; %bb.1620:
	s_and_b32 s2, 0xffff, s20
	s_cmp_lt_i32 s2, 5
	s_mov_b64 s[0:1], -1
	s_cbranch_scc1 .LBB472_1641
; %bb.1621:
	s_cmp_lt_i32 s2, 8
	s_cbranch_scc1 .LBB472_1631
; %bb.1622:
	s_cmp_lt_i32 s2, 9
	s_cbranch_scc1 .LBB472_1628
; %bb.1623:
	s_cmp_gt_i32 s2, 9
	s_cbranch_scc0 .LBB472_1625
; %bb.1624:
	v_mov_b32_e32 v12, 0
	v_cvt_f64_f32_e32 v[10:11], v4
	v_mov_b32_e32 v13, v12
	global_store_dwordx4 v[2:3], v[10:13], off
	s_mov_b64 s[0:1], 0
.LBB472_1625:
	s_andn2_b64 vcc, exec, s[0:1]
	s_cbranch_vccnz .LBB472_1627
; %bb.1626:
	v_mov_b32_e32 v5, 0
	global_store_dwordx2 v[2:3], v[4:5], off
.LBB472_1627:
	s_mov_b64 s[0:1], 0
.LBB472_1628:
	s_andn2_b64 vcc, exec, s[0:1]
	s_cbranch_vccnz .LBB472_1630
; %bb.1629:
	v_cvt_f16_f32_e32 v1, v4
	global_store_dword v[2:3], v1, off
.LBB472_1630:
	s_mov_b64 s[0:1], 0
.LBB472_1631:
	s_andn2_b64 vcc, exec, s[0:1]
	s_cbranch_vccnz .LBB472_1640
; %bb.1632:
	s_cmp_lt_i32 s2, 6
	s_mov_b64 s[0:1], -1
	s_cbranch_scc1 .LBB472_1638
; %bb.1633:
	s_cmp_gt_i32 s2, 6
	s_cbranch_scc0 .LBB472_1635
; %bb.1634:
	v_cvt_f64_f32_e32 v[10:11], v4
	global_store_dwordx2 v[2:3], v[10:11], off
	s_mov_b64 s[0:1], 0
.LBB472_1635:
	s_andn2_b64 vcc, exec, s[0:1]
	s_cbranch_vccnz .LBB472_1637
; %bb.1636:
	global_store_dword v[2:3], v4, off
.LBB472_1637:
	s_mov_b64 s[0:1], 0
.LBB472_1638:
	s_andn2_b64 vcc, exec, s[0:1]
	s_cbranch_vccnz .LBB472_1640
; %bb.1639:
	v_cvt_f16_f32_e32 v1, v4
	global_store_short v[2:3], v1, off
.LBB472_1640:
	s_mov_b64 s[0:1], 0
.LBB472_1641:
	s_andn2_b64 vcc, exec, s[0:1]
	s_cbranch_vccnz .LBB472_1657
; %bb.1642:
	s_cmp_lt_i32 s2, 2
	s_mov_b64 s[0:1], -1
	s_cbranch_scc1 .LBB472_1652
; %bb.1643:
	s_cmp_lt_i32 s2, 3
	s_cbranch_scc1 .LBB472_1649
; %bb.1644:
	s_cmp_gt_i32 s2, 3
	s_cbranch_scc0 .LBB472_1646
; %bb.1645:
	v_trunc_f32_e32 v1, v4
	s_mov_b32 s0, 0x2f800000
	v_mul_f32_e64 v5, |v1|, s0
	v_floor_f32_e32 v5, v5
	s_mov_b32 s0, 0xcf800000
	v_cvt_u32_f32_e32 v10, v5
	v_fma_f32 v5, v5, s0, |v1|
	v_cvt_u32_f32_e32 v5, v5
	v_ashrrev_i32_e32 v1, 31, v1
	v_xor_b32_e32 v11, v10, v1
	s_mov_b64 s[0:1], 0
	v_xor_b32_e32 v5, v5, v1
	v_sub_co_u32_e32 v10, vcc, v5, v1
	s_nop 1
	v_subb_co_u32_e32 v11, vcc, v11, v1, vcc
	global_store_dwordx2 v[2:3], v[10:11], off
.LBB472_1646:
	s_andn2_b64 vcc, exec, s[0:1]
	s_cbranch_vccnz .LBB472_1648
; %bb.1647:
	v_cvt_i32_f32_e32 v1, v4
	global_store_dword v[2:3], v1, off
.LBB472_1648:
	s_mov_b64 s[0:1], 0
.LBB472_1649:
	s_andn2_b64 vcc, exec, s[0:1]
	s_cbranch_vccnz .LBB472_1651
; %bb.1650:
	v_cvt_i32_f32_e32 v1, v4
	global_store_short v[2:3], v1, off
.LBB472_1651:
	s_mov_b64 s[0:1], 0
.LBB472_1652:
	s_andn2_b64 vcc, exec, s[0:1]
	s_cbranch_vccnz .LBB472_1657
; %bb.1653:
	s_cmp_gt_i32 s2, 0
	s_mov_b64 s[0:1], -1
	s_cbranch_scc0 .LBB472_1655
; %bb.1654:
	v_cvt_i32_f32_e32 v1, v4
	s_mov_b64 s[0:1], 0
	global_store_byte v[2:3], v1, off
.LBB472_1655:
	s_andn2_b64 vcc, exec, s[0:1]
	s_cbranch_vccnz .LBB472_1657
; %bb.1656:
	v_trunc_f32_e32 v1, v4
	s_mov_b32 s0, 0x2f800000
	v_mul_f32_e64 v4, |v1|, s0
	v_floor_f32_e32 v4, v4
	s_mov_b32 s0, 0xcf800000
	v_fma_f32 v4, v4, s0, |v1|
	v_cvt_u32_f32_e32 v4, v4
	v_ashrrev_i32_e32 v1, 31, v1
	v_xor_b32_e32 v4, v4, v1
	v_sub_u32_e32 v1, v4, v1
	global_store_byte v[2:3], v1, off
.LBB472_1657:
	s_mov_b64 s[6:7], -1
.LBB472_1658:
	s_andn2_b64 vcc, exec, s[6:7]
	s_cbranch_vccnz .LBB472_1973
; %bb.1659:
	v_max_f32_e32 v1, v6, v6
	s_lshl_b32 s18, s8, 7
	v_min_f32_e32 v1, v1, v9
	v_cmp_u_f32_e32 vcc, v6, v6
	v_add_u32_e32 v0, s18, v0
	s_cmp_lt_i32 s20, 11
	v_cndmask_b32_e32 v4, v1, v6, vcc
	v_ashrrev_i32_e32 v1, 31, v0
	v_lshl_add_u64 v[2:3], s[4:5], 0, v[0:1]
	s_cbranch_scc1 .LBB472_1737
; %bb.1660:
	s_and_b32 s19, 0xffff, s20
	s_mov_b64 s[8:9], -1
	s_mov_b64 s[2:3], 0
	s_cmp_gt_i32 s19, 25
	s_mov_b64 s[6:7], 0
	s_mov_b64 s[0:1], 0
	s_cbranch_scc0 .LBB472_1693
; %bb.1661:
	s_cmp_gt_i32 s19, 28
	s_cbranch_scc0 .LBB472_1676
; %bb.1662:
	s_cmp_gt_i32 s19, 43
	;; [unrolled: 3-line block ×3, first 2 shown]
	s_cbranch_scc0 .LBB472_1666
; %bb.1664:
	s_mov_b64 s[0:1], -1
	s_mov_b64 s[8:9], 0
	s_cmp_eq_u32 s19, 46
	s_cbranch_scc0 .LBB472_1666
; %bb.1665:
	v_bfe_u32 v1, v4, 16, 1
	s_movk_i32 s0, 0x7fff
	v_add3_u32 v1, v4, v1, s0
	v_cmp_o_f32_e32 vcc, v4, v4
	v_mov_b32_e32 v5, 0x7fc0
	s_mov_b64 s[0:1], 0
	v_cndmask_b32_sdwa v1, v5, v1, vcc dst_sel:DWORD dst_unused:UNUSED_PAD src0_sel:DWORD src1_sel:WORD_1
	global_store_dword v[2:3], v1, off
	s_mov_b64 s[6:7], -1
.LBB472_1666:
	s_and_b64 vcc, exec, s[8:9]
	s_cbranch_vccz .LBB472_1671
; %bb.1667:
	s_cmp_eq_u32 s19, 44
	s_mov_b64 s[0:1], -1
	s_cbranch_scc0 .LBB472_1671
; %bb.1668:
	v_bfe_u32 v1, v4, 23, 8
	s_movk_i32 s0, 0xff
	v_cmp_ne_u32_e32 vcc, s0, v1
	v_mov_b32_e32 v5, 0xff
	s_and_saveexec_b64 s[6:7], vcc
; %bb.1669:
	s_mov_b32 s0, 0x3fffff
	v_and_b32_e32 v6, 0x400000, v4
	v_and_or_b32 v1, v4, s0, v1
	v_cmp_ne_u32_e32 vcc, 0, v6
	v_cmp_ne_u32_e64 s[0:1], 0, v1
	s_and_b64 s[0:1], vcc, s[0:1]
	v_lshrrev_b32_e32 v5, 23, v4
	v_cndmask_b32_e64 v1, 0, 1, s[0:1]
	v_add_u32_e32 v5, v5, v1
; %bb.1670:
	s_or_b64 exec, exec, s[6:7]
	s_mov_b64 s[0:1], 0
	s_mov_b64 s[6:7], -1
	global_store_byte v[2:3], v5, off
.LBB472_1671:
	s_mov_b64 s[8:9], 0
.LBB472_1672:
	s_and_b64 vcc, exec, s[8:9]
	s_cbranch_vccz .LBB472_1675
; %bb.1673:
	s_cmp_eq_u32 s19, 29
	s_mov_b64 s[0:1], -1
	s_cbranch_scc0 .LBB472_1675
; %bb.1674:
	v_trunc_f32_e32 v1, v4
	v_mul_f32_e32 v5, 0x2f800000, v1
	v_floor_f32_e32 v5, v5
	v_fmamk_f32 v1, v5, 0xcf800000, v1
	v_cvt_u32_f32_e32 v11, v5
	v_cvt_u32_f32_e32 v10, v1
	s_mov_b64 s[0:1], 0
	s_mov_b64 s[6:7], -1
	global_store_dwordx2 v[2:3], v[10:11], off
.LBB472_1675:
	s_mov_b64 s[8:9], 0
.LBB472_1676:
	s_and_b64 vcc, exec, s[8:9]
	s_cbranch_vccz .LBB472_1692
; %bb.1677:
	s_cmp_lt_i32 s19, 27
	s_mov_b64 s[6:7], -1
	s_cbranch_scc1 .LBB472_1683
; %bb.1678:
	v_cvt_u32_f32_e32 v1, v4
	s_cmp_gt_i32 s19, 27
	s_cbranch_scc0 .LBB472_1680
; %bb.1679:
	s_mov_b64 s[6:7], 0
	global_store_dword v[2:3], v1, off
.LBB472_1680:
	s_andn2_b64 vcc, exec, s[6:7]
	s_cbranch_vccnz .LBB472_1682
; %bb.1681:
	global_store_short v[2:3], v1, off
.LBB472_1682:
	s_mov_b64 s[6:7], 0
.LBB472_1683:
	s_andn2_b64 vcc, exec, s[6:7]
	s_cbranch_vccnz .LBB472_1691
; %bb.1684:
	v_and_b32_e32 v1, 0x7fffffff, v4
	s_mov_b32 s6, 0x43800000
	v_cmp_gt_u32_e32 vcc, s6, v1
	v_mov_b32_e32 v5, 0x80
	s_and_saveexec_b64 s[6:7], vcc
	s_cbranch_execz .LBB472_1690
; %bb.1685:
	s_mov_b32 s8, 0x3bffffff
	v_cmp_lt_u32_e32 vcc, s8, v1
	s_mov_b64 s[8:9], 0
                                        ; implicit-def: $vgpr1
	s_and_saveexec_b64 s[10:11], vcc
	s_xor_b64 s[10:11], exec, s[10:11]
	s_cbranch_execz .LBB472_2025
; %bb.1686:
	v_bfe_u32 v1, v4, 20, 1
	s_mov_b32 s21, 0x487ffff
	v_add3_u32 v1, v4, v1, s21
	s_mov_b64 s[8:9], exec
	v_lshrrev_b32_e32 v1, 20, v1
	s_andn2_saveexec_b64 s[10:11], s[10:11]
	s_cbranch_execnz .LBB472_2026
.LBB472_1687:
	s_or_b64 exec, exec, s[10:11]
	v_mov_b32_e32 v5, 0
	s_and_saveexec_b64 s[10:11], s[8:9]
.LBB472_1688:
	v_lshrrev_b32_e32 v5, 24, v4
	s_movk_i32 s8, 0x80
	v_and_or_b32 v5, v5, s8, v1
.LBB472_1689:
	s_or_b64 exec, exec, s[10:11]
.LBB472_1690:
	s_or_b64 exec, exec, s[6:7]
	global_store_byte v[2:3], v5, off
.LBB472_1691:
	s_mov_b64 s[6:7], -1
.LBB472_1692:
	s_mov_b64 s[8:9], 0
.LBB472_1693:
	s_and_b64 vcc, exec, s[8:9]
	s_cbranch_vccz .LBB472_1733
; %bb.1694:
	s_cmp_gt_i32 s19, 22
	s_mov_b64 s[2:3], -1
	s_cbranch_scc0 .LBB472_1726
; %bb.1695:
	s_cmp_lt_i32 s19, 24
	s_cbranch_scc1 .LBB472_1715
; %bb.1696:
	s_cmp_gt_i32 s19, 24
	s_cbranch_scc0 .LBB472_1704
; %bb.1697:
	v_and_b32_e32 v1, 0x7fffffff, v4
	s_mov_b32 s2, 0x47800000
	v_cmp_gt_u32_e32 vcc, s2, v1
	v_mov_b32_e32 v5, 0x80
	s_and_saveexec_b64 s[2:3], vcc
	s_cbranch_execz .LBB472_1703
; %bb.1698:
	s_mov_b32 s6, 0x37ffffff
	v_cmp_lt_u32_e32 vcc, s6, v1
	s_mov_b64 s[6:7], 0
                                        ; implicit-def: $vgpr1
	s_and_saveexec_b64 s[8:9], vcc
	s_xor_b64 s[8:9], exec, s[8:9]
	s_cbranch_execz .LBB472_2028
; %bb.1699:
	v_bfe_u32 v1, v4, 21, 1
	s_mov_b32 s10, 0x88fffff
	v_add3_u32 v1, v4, v1, s10
	s_mov_b64 s[6:7], exec
	v_lshrrev_b32_e32 v1, 21, v1
	s_andn2_saveexec_b64 s[8:9], s[8:9]
	s_cbranch_execnz .LBB472_2029
.LBB472_1700:
	s_or_b64 exec, exec, s[8:9]
	v_mov_b32_e32 v5, 0
	s_and_saveexec_b64 s[8:9], s[6:7]
.LBB472_1701:
	v_lshrrev_b32_e32 v5, 24, v4
	s_movk_i32 s6, 0x80
	v_and_or_b32 v5, v5, s6, v1
.LBB472_1702:
	s_or_b64 exec, exec, s[8:9]
.LBB472_1703:
	s_or_b64 exec, exec, s[2:3]
	s_mov_b64 s[2:3], 0
	global_store_byte v[2:3], v5, off
.LBB472_1704:
	s_and_b64 vcc, exec, s[2:3]
	s_cbranch_vccz .LBB472_1714
; %bb.1705:
	v_and_b32_e32 v5, 0x7fffffff, v4
	s_mov_b32 s2, 0x43f00000
	v_cmp_gt_u32_e32 vcc, s2, v5
                                        ; implicit-def: $vgpr1
	s_and_saveexec_b64 s[2:3], vcc
	s_xor_b64 s[2:3], exec, s[2:3]
	s_cbranch_execz .LBB472_1711
; %bb.1706:
	s_mov_b32 s6, 0x3c7fffff
	v_cmp_lt_u32_e32 vcc, s6, v5
                                        ; implicit-def: $vgpr1
	s_and_saveexec_b64 s[6:7], vcc
	s_xor_b64 s[6:7], exec, s[6:7]
; %bb.1707:
	v_bfe_u32 v1, v4, 20, 1
	s_mov_b32 s8, 0x407ffff
	v_add3_u32 v1, v4, v1, s8
	v_lshrrev_b32_e32 v5, 20, v1
	v_and_b32_e32 v1, 0xff00000, v1
	s_mov_b32 s8, 0x7f00000
	v_mov_b32_e32 v6, 0x7e
	v_cmp_ne_u32_e32 vcc, s8, v1
	s_nop 1
	v_cndmask_b32_e32 v1, v6, v5, vcc
; %bb.1708:
	s_andn2_saveexec_b64 s[6:7], s[6:7]
; %bb.1709:
	s_mov_b32 s8, 0x46800000
	v_add_f32_e64 v1, |v4|, s8
; %bb.1710:
	s_or_b64 exec, exec, s[6:7]
                                        ; implicit-def: $vgpr5
.LBB472_1711:
	s_andn2_saveexec_b64 s[2:3], s[2:3]
; %bb.1712:
	s_mov_b32 s6, 0x7f800000
	v_mov_b32_e32 v1, 0x7e
	v_mov_b32_e32 v6, 0x7f
	v_cmp_lt_u32_e32 vcc, s6, v5
	s_nop 1
	v_cndmask_b32_e32 v1, v1, v6, vcc
; %bb.1713:
	s_or_b64 exec, exec, s[2:3]
	v_lshrrev_b32_e32 v5, 24, v4
	s_movk_i32 s2, 0x80
	v_and_or_b32 v1, v5, s2, v1
	global_store_byte v[2:3], v1, off
.LBB472_1714:
	s_mov_b64 s[2:3], 0
.LBB472_1715:
	s_andn2_b64 vcc, exec, s[2:3]
	s_cbranch_vccnz .LBB472_1725
; %bb.1716:
	v_and_b32_e32 v5, 0x7fffffff, v4
	s_mov_b32 s2, 0x47800000
	v_cmp_gt_u32_e32 vcc, s2, v5
                                        ; implicit-def: $vgpr1
	s_and_saveexec_b64 s[2:3], vcc
	s_xor_b64 s[2:3], exec, s[2:3]
	s_cbranch_execz .LBB472_1722
; %bb.1717:
	s_mov_b32 s6, 0x387fffff
	v_cmp_lt_u32_e32 vcc, s6, v5
                                        ; implicit-def: $vgpr1
	s_and_saveexec_b64 s[6:7], vcc
	s_xor_b64 s[6:7], exec, s[6:7]
; %bb.1718:
	v_bfe_u32 v1, v4, 21, 1
	s_mov_b32 s8, 0x80fffff
	v_add3_u32 v1, v4, v1, s8
	v_lshrrev_b32_e32 v1, 21, v1
; %bb.1719:
	s_andn2_saveexec_b64 s[6:7], s[6:7]
; %bb.1720:
	s_mov_b32 s8, 0x43000000
	v_add_f32_e64 v1, |v4|, s8
; %bb.1721:
	s_or_b64 exec, exec, s[6:7]
                                        ; implicit-def: $vgpr5
.LBB472_1722:
	s_andn2_saveexec_b64 s[2:3], s[2:3]
; %bb.1723:
	s_mov_b32 s6, 0x7f800000
	v_mov_b32_e32 v1, 0x7c
	v_mov_b32_e32 v6, 0x7f
	v_cmp_lt_u32_e32 vcc, s6, v5
	s_nop 1
	v_cndmask_b32_e32 v1, v1, v6, vcc
; %bb.1724:
	s_or_b64 exec, exec, s[2:3]
	v_lshrrev_b32_e32 v5, 24, v4
	s_movk_i32 s2, 0x80
	v_and_or_b32 v1, v5, s2, v1
	global_store_byte v[2:3], v1, off
.LBB472_1725:
	s_mov_b64 s[2:3], 0
	s_mov_b64 s[6:7], -1
.LBB472_1726:
	s_andn2_b64 vcc, exec, s[2:3]
	s_mov_b64 s[2:3], 0
	s_cbranch_vccnz .LBB472_1733
; %bb.1727:
	s_cmp_gt_i32 s19, 14
	s_mov_b64 s[8:9], -1
	s_cbranch_scc0 .LBB472_1731
; %bb.1728:
	s_cmp_eq_u32 s19, 15
	s_mov_b64 s[0:1], -1
	s_cbranch_scc0 .LBB472_1730
; %bb.1729:
	v_bfe_u32 v1, v4, 16, 1
	s_movk_i32 s0, 0x7fff
	v_add3_u32 v1, v4, v1, s0
	v_cmp_o_f32_e32 vcc, v4, v4
	v_mov_b32_e32 v5, 0x7fc0
	s_mov_b64 s[0:1], 0
	v_cndmask_b32_sdwa v1, v5, v1, vcc dst_sel:DWORD dst_unused:UNUSED_PAD src0_sel:DWORD src1_sel:WORD_1
	global_store_short v[2:3], v1, off
	s_mov_b64 s[6:7], -1
.LBB472_1730:
	s_mov_b64 s[8:9], 0
.LBB472_1731:
	s_and_b64 vcc, exec, s[8:9]
	s_cbranch_vccz .LBB472_1733
; %bb.1732:
	s_cmp_lg_u32 s19, 11
	s_mov_b64 s[2:3], -1
	s_cselect_b64 s[0:1], -1, 0
.LBB472_1733:
	s_and_b64 vcc, exec, s[0:1]
	s_cbranch_vccnz .LBB472_2027
; %bb.1734:
	s_andn2_b64 vcc, exec, s[2:3]
	s_cbranch_vccnz .LBB472_1736
.LBB472_1735:
	v_cmp_neq_f32_e32 vcc, 0, v4
	s_mov_b64 s[6:7], -1
	s_nop 0
	v_cndmask_b32_e64 v1, 0, 1, vcc
	global_store_byte v[2:3], v1, off
.LBB472_1736:
	s_mov_b64 s[0:1], 0
	s_branch .LBB472_1738
.LBB472_1737:
	s_mov_b64 s[0:1], -1
	s_mov_b64 s[6:7], 0
.LBB472_1738:
	s_and_b64 vcc, exec, s[0:1]
	s_cbranch_vccz .LBB472_1777
; %bb.1739:
	s_and_b32 s2, 0xffff, s20
	s_cmp_lt_i32 s2, 5
	s_mov_b64 s[0:1], -1
	s_cbranch_scc1 .LBB472_1760
; %bb.1740:
	s_cmp_lt_i32 s2, 8
	s_cbranch_scc1 .LBB472_1750
; %bb.1741:
	s_cmp_lt_i32 s2, 9
	s_cbranch_scc1 .LBB472_1747
; %bb.1742:
	s_cmp_gt_i32 s2, 9
	s_cbranch_scc0 .LBB472_1744
; %bb.1743:
	v_mov_b32_e32 v12, 0
	v_cvt_f64_f32_e32 v[10:11], v4
	v_mov_b32_e32 v13, v12
	global_store_dwordx4 v[2:3], v[10:13], off
	s_mov_b64 s[0:1], 0
.LBB472_1744:
	s_andn2_b64 vcc, exec, s[0:1]
	s_cbranch_vccnz .LBB472_1746
; %bb.1745:
	v_mov_b32_e32 v5, 0
	global_store_dwordx2 v[2:3], v[4:5], off
.LBB472_1746:
	s_mov_b64 s[0:1], 0
.LBB472_1747:
	s_andn2_b64 vcc, exec, s[0:1]
	s_cbranch_vccnz .LBB472_1749
; %bb.1748:
	v_cvt_f16_f32_e32 v1, v4
	global_store_dword v[2:3], v1, off
.LBB472_1749:
	s_mov_b64 s[0:1], 0
.LBB472_1750:
	s_andn2_b64 vcc, exec, s[0:1]
	s_cbranch_vccnz .LBB472_1759
; %bb.1751:
	s_cmp_lt_i32 s2, 6
	s_mov_b64 s[0:1], -1
	s_cbranch_scc1 .LBB472_1757
; %bb.1752:
	s_cmp_gt_i32 s2, 6
	s_cbranch_scc0 .LBB472_1754
; %bb.1753:
	v_cvt_f64_f32_e32 v[10:11], v4
	global_store_dwordx2 v[2:3], v[10:11], off
	s_mov_b64 s[0:1], 0
.LBB472_1754:
	s_andn2_b64 vcc, exec, s[0:1]
	s_cbranch_vccnz .LBB472_1756
; %bb.1755:
	global_store_dword v[2:3], v4, off
.LBB472_1756:
	s_mov_b64 s[0:1], 0
.LBB472_1757:
	s_andn2_b64 vcc, exec, s[0:1]
	s_cbranch_vccnz .LBB472_1759
; %bb.1758:
	v_cvt_f16_f32_e32 v1, v4
	global_store_short v[2:3], v1, off
.LBB472_1759:
	s_mov_b64 s[0:1], 0
.LBB472_1760:
	s_andn2_b64 vcc, exec, s[0:1]
	s_cbranch_vccnz .LBB472_1776
; %bb.1761:
	s_cmp_lt_i32 s2, 2
	s_mov_b64 s[0:1], -1
	s_cbranch_scc1 .LBB472_1771
; %bb.1762:
	s_cmp_lt_i32 s2, 3
	s_cbranch_scc1 .LBB472_1768
; %bb.1763:
	s_cmp_gt_i32 s2, 3
	s_cbranch_scc0 .LBB472_1765
; %bb.1764:
	v_trunc_f32_e32 v1, v4
	s_mov_b32 s0, 0x2f800000
	v_mul_f32_e64 v5, |v1|, s0
	v_floor_f32_e32 v5, v5
	s_mov_b32 s0, 0xcf800000
	v_cvt_u32_f32_e32 v6, v5
	v_fma_f32 v5, v5, s0, |v1|
	v_cvt_u32_f32_e32 v5, v5
	v_ashrrev_i32_e32 v1, 31, v1
	v_xor_b32_e32 v6, v6, v1
	s_mov_b64 s[0:1], 0
	v_xor_b32_e32 v5, v5, v1
	v_sub_co_u32_e32 v10, vcc, v5, v1
	s_nop 1
	v_subb_co_u32_e32 v11, vcc, v6, v1, vcc
	global_store_dwordx2 v[2:3], v[10:11], off
.LBB472_1765:
	s_andn2_b64 vcc, exec, s[0:1]
	s_cbranch_vccnz .LBB472_1767
; %bb.1766:
	v_cvt_i32_f32_e32 v1, v4
	global_store_dword v[2:3], v1, off
.LBB472_1767:
	s_mov_b64 s[0:1], 0
.LBB472_1768:
	s_andn2_b64 vcc, exec, s[0:1]
	s_cbranch_vccnz .LBB472_1770
; %bb.1769:
	v_cvt_i32_f32_e32 v1, v4
	global_store_short v[2:3], v1, off
.LBB472_1770:
	s_mov_b64 s[0:1], 0
.LBB472_1771:
	s_andn2_b64 vcc, exec, s[0:1]
	s_cbranch_vccnz .LBB472_1776
; %bb.1772:
	s_cmp_gt_i32 s2, 0
	s_mov_b64 s[0:1], -1
	s_cbranch_scc0 .LBB472_1774
; %bb.1773:
	v_cvt_i32_f32_e32 v1, v4
	s_mov_b64 s[0:1], 0
	global_store_byte v[2:3], v1, off
.LBB472_1774:
	s_andn2_b64 vcc, exec, s[0:1]
	s_cbranch_vccnz .LBB472_1776
; %bb.1775:
	v_trunc_f32_e32 v1, v4
	s_mov_b32 s0, 0x2f800000
	v_mul_f32_e64 v4, |v1|, s0
	v_floor_f32_e32 v4, v4
	s_mov_b32 s0, 0xcf800000
	v_fma_f32 v4, v4, s0, |v1|
	v_cvt_u32_f32_e32 v4, v4
	v_ashrrev_i32_e32 v1, 31, v1
	v_xor_b32_e32 v4, v4, v1
	v_sub_u32_e32 v1, v4, v1
	global_store_byte v[2:3], v1, off
.LBB472_1776:
	s_mov_b64 s[6:7], -1
.LBB472_1777:
	s_andn2_b64 vcc, exec, s[6:7]
	s_cbranch_vccnz .LBB472_1973
; %bb.1778:
	v_max_f32_e32 v1, v7, v7
	v_min_f32_e32 v1, v1, v9
	v_cmp_u_f32_e32 vcc, v7, v7
	v_add_u32_e32 v0, s18, v0
	s_cmp_lt_i32 s20, 11
	v_cndmask_b32_e32 v4, v1, v7, vcc
	v_ashrrev_i32_e32 v1, 31, v0
	v_lshl_add_u64 v[2:3], s[4:5], 0, v[0:1]
	s_cbranch_scc1 .LBB472_1856
; %bb.1779:
	s_and_b32 s19, 0xffff, s20
	s_mov_b64 s[8:9], -1
	s_mov_b64 s[2:3], 0
	s_cmp_gt_i32 s19, 25
	s_mov_b64 s[6:7], 0
	s_mov_b64 s[0:1], 0
	s_cbranch_scc0 .LBB472_1812
; %bb.1780:
	s_cmp_gt_i32 s19, 28
	s_cbranch_scc0 .LBB472_1795
; %bb.1781:
	s_cmp_gt_i32 s19, 43
	;; [unrolled: 3-line block ×3, first 2 shown]
	s_cbranch_scc0 .LBB472_1785
; %bb.1783:
	s_mov_b64 s[0:1], -1
	s_mov_b64 s[8:9], 0
	s_cmp_eq_u32 s19, 46
	s_cbranch_scc0 .LBB472_1785
; %bb.1784:
	v_bfe_u32 v1, v4, 16, 1
	s_movk_i32 s0, 0x7fff
	v_add3_u32 v1, v4, v1, s0
	v_cmp_o_f32_e32 vcc, v4, v4
	v_mov_b32_e32 v5, 0x7fc0
	s_mov_b64 s[0:1], 0
	v_cndmask_b32_sdwa v1, v5, v1, vcc dst_sel:DWORD dst_unused:UNUSED_PAD src0_sel:DWORD src1_sel:WORD_1
	global_store_dword v[2:3], v1, off
	s_mov_b64 s[6:7], -1
.LBB472_1785:
	s_and_b64 vcc, exec, s[8:9]
	s_cbranch_vccz .LBB472_1790
; %bb.1786:
	s_cmp_eq_u32 s19, 44
	s_mov_b64 s[0:1], -1
	s_cbranch_scc0 .LBB472_1790
; %bb.1787:
	v_bfe_u32 v1, v4, 23, 8
	s_movk_i32 s0, 0xff
	v_cmp_ne_u32_e32 vcc, s0, v1
	v_mov_b32_e32 v5, 0xff
	s_and_saveexec_b64 s[6:7], vcc
; %bb.1788:
	s_mov_b32 s0, 0x3fffff
	v_and_b32_e32 v6, 0x400000, v4
	v_and_or_b32 v1, v4, s0, v1
	v_cmp_ne_u32_e32 vcc, 0, v6
	v_cmp_ne_u32_e64 s[0:1], 0, v1
	s_and_b64 s[0:1], vcc, s[0:1]
	v_lshrrev_b32_e32 v5, 23, v4
	v_cndmask_b32_e64 v1, 0, 1, s[0:1]
	v_add_u32_e32 v5, v5, v1
; %bb.1789:
	s_or_b64 exec, exec, s[6:7]
	s_mov_b64 s[0:1], 0
	s_mov_b64 s[6:7], -1
	global_store_byte v[2:3], v5, off
.LBB472_1790:
	s_mov_b64 s[8:9], 0
.LBB472_1791:
	s_and_b64 vcc, exec, s[8:9]
	s_cbranch_vccz .LBB472_1794
; %bb.1792:
	s_cmp_eq_u32 s19, 29
	s_mov_b64 s[0:1], -1
	s_cbranch_scc0 .LBB472_1794
; %bb.1793:
	v_trunc_f32_e32 v1, v4
	v_mul_f32_e32 v5, 0x2f800000, v1
	v_floor_f32_e32 v5, v5
	v_fmamk_f32 v1, v5, 0xcf800000, v1
	v_cvt_u32_f32_e32 v7, v5
	v_cvt_u32_f32_e32 v6, v1
	s_mov_b64 s[0:1], 0
	s_mov_b64 s[6:7], -1
	global_store_dwordx2 v[2:3], v[6:7], off
.LBB472_1794:
	s_mov_b64 s[8:9], 0
.LBB472_1795:
	s_and_b64 vcc, exec, s[8:9]
	s_cbranch_vccz .LBB472_1811
; %bb.1796:
	s_cmp_lt_i32 s19, 27
	s_mov_b64 s[6:7], -1
	s_cbranch_scc1 .LBB472_1802
; %bb.1797:
	v_cvt_u32_f32_e32 v1, v4
	s_cmp_gt_i32 s19, 27
	s_cbranch_scc0 .LBB472_1799
; %bb.1798:
	s_mov_b64 s[6:7], 0
	global_store_dword v[2:3], v1, off
.LBB472_1799:
	s_andn2_b64 vcc, exec, s[6:7]
	s_cbranch_vccnz .LBB472_1801
; %bb.1800:
	global_store_short v[2:3], v1, off
.LBB472_1801:
	s_mov_b64 s[6:7], 0
.LBB472_1802:
	s_andn2_b64 vcc, exec, s[6:7]
	s_cbranch_vccnz .LBB472_1810
; %bb.1803:
	v_and_b32_e32 v1, 0x7fffffff, v4
	s_mov_b32 s6, 0x43800000
	v_cmp_gt_u32_e32 vcc, s6, v1
	v_mov_b32_e32 v5, 0x80
	s_and_saveexec_b64 s[6:7], vcc
	s_cbranch_execz .LBB472_1809
; %bb.1804:
	s_mov_b32 s8, 0x3bffffff
	v_cmp_lt_u32_e32 vcc, s8, v1
	s_mov_b64 s[8:9], 0
                                        ; implicit-def: $vgpr1
	s_and_saveexec_b64 s[10:11], vcc
	s_xor_b64 s[10:11], exec, s[10:11]
	s_cbranch_execz .LBB472_2030
; %bb.1805:
	v_bfe_u32 v1, v4, 20, 1
	s_mov_b32 s21, 0x487ffff
	v_add3_u32 v1, v4, v1, s21
	s_mov_b64 s[8:9], exec
	v_lshrrev_b32_e32 v1, 20, v1
	s_andn2_saveexec_b64 s[10:11], s[10:11]
	s_cbranch_execnz .LBB472_2031
.LBB472_1806:
	s_or_b64 exec, exec, s[10:11]
	v_mov_b32_e32 v5, 0
	s_and_saveexec_b64 s[10:11], s[8:9]
.LBB472_1807:
	v_lshrrev_b32_e32 v5, 24, v4
	s_movk_i32 s8, 0x80
	v_and_or_b32 v5, v5, s8, v1
.LBB472_1808:
	s_or_b64 exec, exec, s[10:11]
.LBB472_1809:
	s_or_b64 exec, exec, s[6:7]
	global_store_byte v[2:3], v5, off
.LBB472_1810:
	s_mov_b64 s[6:7], -1
.LBB472_1811:
	s_mov_b64 s[8:9], 0
.LBB472_1812:
	s_and_b64 vcc, exec, s[8:9]
	s_cbranch_vccz .LBB472_1852
; %bb.1813:
	s_cmp_gt_i32 s19, 22
	s_mov_b64 s[2:3], -1
	s_cbranch_scc0 .LBB472_1845
; %bb.1814:
	s_cmp_lt_i32 s19, 24
	s_cbranch_scc1 .LBB472_1834
; %bb.1815:
	s_cmp_gt_i32 s19, 24
	s_cbranch_scc0 .LBB472_1823
; %bb.1816:
	v_and_b32_e32 v1, 0x7fffffff, v4
	s_mov_b32 s2, 0x47800000
	v_cmp_gt_u32_e32 vcc, s2, v1
	v_mov_b32_e32 v5, 0x80
	s_and_saveexec_b64 s[2:3], vcc
	s_cbranch_execz .LBB472_1822
; %bb.1817:
	s_mov_b32 s6, 0x37ffffff
	v_cmp_lt_u32_e32 vcc, s6, v1
	s_mov_b64 s[6:7], 0
                                        ; implicit-def: $vgpr1
	s_and_saveexec_b64 s[8:9], vcc
	s_xor_b64 s[8:9], exec, s[8:9]
	s_cbranch_execz .LBB472_2033
; %bb.1818:
	v_bfe_u32 v1, v4, 21, 1
	s_mov_b32 s10, 0x88fffff
	v_add3_u32 v1, v4, v1, s10
	s_mov_b64 s[6:7], exec
	v_lshrrev_b32_e32 v1, 21, v1
	s_andn2_saveexec_b64 s[8:9], s[8:9]
	s_cbranch_execnz .LBB472_2034
.LBB472_1819:
	s_or_b64 exec, exec, s[8:9]
	v_mov_b32_e32 v5, 0
	s_and_saveexec_b64 s[8:9], s[6:7]
.LBB472_1820:
	v_lshrrev_b32_e32 v5, 24, v4
	s_movk_i32 s6, 0x80
	v_and_or_b32 v5, v5, s6, v1
.LBB472_1821:
	s_or_b64 exec, exec, s[8:9]
.LBB472_1822:
	s_or_b64 exec, exec, s[2:3]
	s_mov_b64 s[2:3], 0
	global_store_byte v[2:3], v5, off
.LBB472_1823:
	s_and_b64 vcc, exec, s[2:3]
	s_cbranch_vccz .LBB472_1833
; %bb.1824:
	v_and_b32_e32 v5, 0x7fffffff, v4
	s_mov_b32 s2, 0x43f00000
	v_cmp_gt_u32_e32 vcc, s2, v5
                                        ; implicit-def: $vgpr1
	s_and_saveexec_b64 s[2:3], vcc
	s_xor_b64 s[2:3], exec, s[2:3]
	s_cbranch_execz .LBB472_1830
; %bb.1825:
	s_mov_b32 s6, 0x3c7fffff
	v_cmp_lt_u32_e32 vcc, s6, v5
                                        ; implicit-def: $vgpr1
	s_and_saveexec_b64 s[6:7], vcc
	s_xor_b64 s[6:7], exec, s[6:7]
; %bb.1826:
	v_bfe_u32 v1, v4, 20, 1
	s_mov_b32 s8, 0x407ffff
	v_add3_u32 v1, v4, v1, s8
	v_lshrrev_b32_e32 v5, 20, v1
	v_and_b32_e32 v1, 0xff00000, v1
	s_mov_b32 s8, 0x7f00000
	v_mov_b32_e32 v6, 0x7e
	v_cmp_ne_u32_e32 vcc, s8, v1
	s_nop 1
	v_cndmask_b32_e32 v1, v6, v5, vcc
; %bb.1827:
	s_andn2_saveexec_b64 s[6:7], s[6:7]
; %bb.1828:
	s_mov_b32 s8, 0x46800000
	v_add_f32_e64 v1, |v4|, s8
; %bb.1829:
	s_or_b64 exec, exec, s[6:7]
                                        ; implicit-def: $vgpr5
.LBB472_1830:
	s_andn2_saveexec_b64 s[2:3], s[2:3]
; %bb.1831:
	s_mov_b32 s6, 0x7f800000
	v_mov_b32_e32 v1, 0x7e
	v_mov_b32_e32 v6, 0x7f
	v_cmp_lt_u32_e32 vcc, s6, v5
	s_nop 1
	v_cndmask_b32_e32 v1, v1, v6, vcc
; %bb.1832:
	s_or_b64 exec, exec, s[2:3]
	v_lshrrev_b32_e32 v5, 24, v4
	s_movk_i32 s2, 0x80
	v_and_or_b32 v1, v5, s2, v1
	global_store_byte v[2:3], v1, off
.LBB472_1833:
	s_mov_b64 s[2:3], 0
.LBB472_1834:
	s_andn2_b64 vcc, exec, s[2:3]
	s_cbranch_vccnz .LBB472_1844
; %bb.1835:
	v_and_b32_e32 v5, 0x7fffffff, v4
	s_mov_b32 s2, 0x47800000
	v_cmp_gt_u32_e32 vcc, s2, v5
                                        ; implicit-def: $vgpr1
	s_and_saveexec_b64 s[2:3], vcc
	s_xor_b64 s[2:3], exec, s[2:3]
	s_cbranch_execz .LBB472_1841
; %bb.1836:
	s_mov_b32 s6, 0x387fffff
	v_cmp_lt_u32_e32 vcc, s6, v5
                                        ; implicit-def: $vgpr1
	s_and_saveexec_b64 s[6:7], vcc
	s_xor_b64 s[6:7], exec, s[6:7]
; %bb.1837:
	v_bfe_u32 v1, v4, 21, 1
	s_mov_b32 s8, 0x80fffff
	v_add3_u32 v1, v4, v1, s8
	v_lshrrev_b32_e32 v1, 21, v1
; %bb.1838:
	s_andn2_saveexec_b64 s[6:7], s[6:7]
; %bb.1839:
	s_mov_b32 s8, 0x43000000
	v_add_f32_e64 v1, |v4|, s8
; %bb.1840:
	s_or_b64 exec, exec, s[6:7]
                                        ; implicit-def: $vgpr5
.LBB472_1841:
	s_andn2_saveexec_b64 s[2:3], s[2:3]
; %bb.1842:
	s_mov_b32 s6, 0x7f800000
	v_mov_b32_e32 v1, 0x7c
	v_mov_b32_e32 v6, 0x7f
	v_cmp_lt_u32_e32 vcc, s6, v5
	s_nop 1
	v_cndmask_b32_e32 v1, v1, v6, vcc
; %bb.1843:
	s_or_b64 exec, exec, s[2:3]
	v_lshrrev_b32_e32 v5, 24, v4
	s_movk_i32 s2, 0x80
	v_and_or_b32 v1, v5, s2, v1
	global_store_byte v[2:3], v1, off
.LBB472_1844:
	s_mov_b64 s[2:3], 0
	s_mov_b64 s[6:7], -1
.LBB472_1845:
	s_andn2_b64 vcc, exec, s[2:3]
	s_mov_b64 s[2:3], 0
	s_cbranch_vccnz .LBB472_1852
; %bb.1846:
	s_cmp_gt_i32 s19, 14
	s_mov_b64 s[8:9], -1
	s_cbranch_scc0 .LBB472_1850
; %bb.1847:
	s_cmp_eq_u32 s19, 15
	s_mov_b64 s[0:1], -1
	s_cbranch_scc0 .LBB472_1849
; %bb.1848:
	v_bfe_u32 v1, v4, 16, 1
	s_movk_i32 s0, 0x7fff
	v_add3_u32 v1, v4, v1, s0
	v_cmp_o_f32_e32 vcc, v4, v4
	v_mov_b32_e32 v5, 0x7fc0
	s_mov_b64 s[0:1], 0
	v_cndmask_b32_sdwa v1, v5, v1, vcc dst_sel:DWORD dst_unused:UNUSED_PAD src0_sel:DWORD src1_sel:WORD_1
	global_store_short v[2:3], v1, off
	s_mov_b64 s[6:7], -1
.LBB472_1849:
	s_mov_b64 s[8:9], 0
.LBB472_1850:
	s_and_b64 vcc, exec, s[8:9]
	s_cbranch_vccz .LBB472_1852
; %bb.1851:
	s_cmp_lg_u32 s19, 11
	s_mov_b64 s[2:3], -1
	s_cselect_b64 s[0:1], -1, 0
.LBB472_1852:
	s_and_b64 vcc, exec, s[0:1]
	s_cbranch_vccnz .LBB472_2032
; %bb.1853:
	s_andn2_b64 vcc, exec, s[2:3]
	s_cbranch_vccnz .LBB472_1855
.LBB472_1854:
	v_cmp_neq_f32_e32 vcc, 0, v4
	s_mov_b64 s[6:7], -1
	s_nop 0
	v_cndmask_b32_e64 v1, 0, 1, vcc
	global_store_byte v[2:3], v1, off
.LBB472_1855:
	s_mov_b64 s[0:1], 0
	s_branch .LBB472_1857
.LBB472_1856:
	s_mov_b64 s[0:1], -1
	s_mov_b64 s[6:7], 0
.LBB472_1857:
	s_and_b64 vcc, exec, s[0:1]
	s_cbranch_vccz .LBB472_1896
; %bb.1858:
	s_and_b32 s2, 0xffff, s20
	s_cmp_lt_i32 s2, 5
	s_mov_b64 s[0:1], -1
	s_cbranch_scc1 .LBB472_1879
; %bb.1859:
	s_cmp_lt_i32 s2, 8
	s_cbranch_scc1 .LBB472_1869
; %bb.1860:
	s_cmp_lt_i32 s2, 9
	s_cbranch_scc1 .LBB472_1866
; %bb.1861:
	s_cmp_gt_i32 s2, 9
	s_cbranch_scc0 .LBB472_1863
; %bb.1862:
	v_mov_b32_e32 v12, 0
	v_cvt_f64_f32_e32 v[10:11], v4
	v_mov_b32_e32 v13, v12
	global_store_dwordx4 v[2:3], v[10:13], off
	s_mov_b64 s[0:1], 0
.LBB472_1863:
	s_andn2_b64 vcc, exec, s[0:1]
	s_cbranch_vccnz .LBB472_1865
; %bb.1864:
	v_mov_b32_e32 v5, 0
	global_store_dwordx2 v[2:3], v[4:5], off
.LBB472_1865:
	s_mov_b64 s[0:1], 0
.LBB472_1866:
	s_andn2_b64 vcc, exec, s[0:1]
	s_cbranch_vccnz .LBB472_1868
; %bb.1867:
	v_cvt_f16_f32_e32 v1, v4
	global_store_dword v[2:3], v1, off
.LBB472_1868:
	s_mov_b64 s[0:1], 0
.LBB472_1869:
	s_andn2_b64 vcc, exec, s[0:1]
	s_cbranch_vccnz .LBB472_1878
; %bb.1870:
	s_cmp_lt_i32 s2, 6
	s_mov_b64 s[0:1], -1
	s_cbranch_scc1 .LBB472_1876
; %bb.1871:
	s_cmp_gt_i32 s2, 6
	s_cbranch_scc0 .LBB472_1873
; %bb.1872:
	v_cvt_f64_f32_e32 v[6:7], v4
	global_store_dwordx2 v[2:3], v[6:7], off
	s_mov_b64 s[0:1], 0
.LBB472_1873:
	s_andn2_b64 vcc, exec, s[0:1]
	s_cbranch_vccnz .LBB472_1875
; %bb.1874:
	global_store_dword v[2:3], v4, off
.LBB472_1875:
	s_mov_b64 s[0:1], 0
.LBB472_1876:
	s_andn2_b64 vcc, exec, s[0:1]
	s_cbranch_vccnz .LBB472_1878
; %bb.1877:
	v_cvt_f16_f32_e32 v1, v4
	global_store_short v[2:3], v1, off
.LBB472_1878:
	s_mov_b64 s[0:1], 0
.LBB472_1879:
	s_andn2_b64 vcc, exec, s[0:1]
	s_cbranch_vccnz .LBB472_1895
; %bb.1880:
	s_cmp_lt_i32 s2, 2
	s_mov_b64 s[0:1], -1
	s_cbranch_scc1 .LBB472_1890
; %bb.1881:
	s_cmp_lt_i32 s2, 3
	s_cbranch_scc1 .LBB472_1887
; %bb.1882:
	s_cmp_gt_i32 s2, 3
	s_cbranch_scc0 .LBB472_1884
; %bb.1883:
	v_trunc_f32_e32 v1, v4
	s_mov_b32 s0, 0x2f800000
	v_mul_f32_e64 v5, |v1|, s0
	v_floor_f32_e32 v5, v5
	s_mov_b32 s0, 0xcf800000
	v_cvt_u32_f32_e32 v6, v5
	v_fma_f32 v5, v5, s0, |v1|
	v_cvt_u32_f32_e32 v5, v5
	v_ashrrev_i32_e32 v1, 31, v1
	v_xor_b32_e32 v7, v6, v1
	s_mov_b64 s[0:1], 0
	v_xor_b32_e32 v5, v5, v1
	v_sub_co_u32_e32 v6, vcc, v5, v1
	s_nop 1
	v_subb_co_u32_e32 v7, vcc, v7, v1, vcc
	global_store_dwordx2 v[2:3], v[6:7], off
.LBB472_1884:
	s_andn2_b64 vcc, exec, s[0:1]
	s_cbranch_vccnz .LBB472_1886
; %bb.1885:
	v_cvt_i32_f32_e32 v1, v4
	global_store_dword v[2:3], v1, off
.LBB472_1886:
	s_mov_b64 s[0:1], 0
.LBB472_1887:
	s_andn2_b64 vcc, exec, s[0:1]
	s_cbranch_vccnz .LBB472_1889
; %bb.1888:
	v_cvt_i32_f32_e32 v1, v4
	global_store_short v[2:3], v1, off
.LBB472_1889:
	s_mov_b64 s[0:1], 0
.LBB472_1890:
	s_andn2_b64 vcc, exec, s[0:1]
	s_cbranch_vccnz .LBB472_1895
; %bb.1891:
	s_cmp_gt_i32 s2, 0
	s_mov_b64 s[0:1], -1
	s_cbranch_scc0 .LBB472_1893
; %bb.1892:
	v_cvt_i32_f32_e32 v1, v4
	s_mov_b64 s[0:1], 0
	global_store_byte v[2:3], v1, off
.LBB472_1893:
	s_andn2_b64 vcc, exec, s[0:1]
	s_cbranch_vccnz .LBB472_1895
; %bb.1894:
	v_trunc_f32_e32 v1, v4
	s_mov_b32 s0, 0x2f800000
	v_mul_f32_e64 v4, |v1|, s0
	v_floor_f32_e32 v4, v4
	s_mov_b32 s0, 0xcf800000
	v_fma_f32 v4, v4, s0, |v1|
	v_cvt_u32_f32_e32 v4, v4
	v_ashrrev_i32_e32 v1, 31, v1
	v_xor_b32_e32 v4, v4, v1
	v_sub_u32_e32 v1, v4, v1
	global_store_byte v[2:3], v1, off
.LBB472_1895:
	s_mov_b64 s[6:7], -1
.LBB472_1896:
	s_andn2_b64 vcc, exec, s[6:7]
	s_cbranch_vccnz .LBB472_1973
; %bb.1897:
	v_max_f32_e32 v1, v8, v8
	v_min_f32_e32 v1, v1, v9
	v_cmp_u_f32_e32 vcc, v8, v8
	v_add_u32_e32 v0, s18, v0
	s_cmp_lt_i32 s20, 11
	v_cndmask_b32_e32 v2, v1, v8, vcc
	v_ashrrev_i32_e32 v1, 31, v0
	v_lshl_add_u64 v[0:1], s[4:5], 0, v[0:1]
	s_cbranch_scc1 .LBB472_2018
; %bb.1898:
	s_and_b32 s10, 0xffff, s20
	s_mov_b64 s[4:5], -1
	s_mov_b64 s[2:3], 0
	s_cmp_gt_i32 s10, 25
	s_mov_b64 s[0:1], 0
	s_cbranch_scc0 .LBB472_1931
; %bb.1899:
	s_cmp_gt_i32 s10, 28
	s_cbranch_scc0 .LBB472_1915
; %bb.1900:
	s_cmp_gt_i32 s10, 43
	s_cbranch_scc0 .LBB472_1911
; %bb.1901:
	s_cmp_gt_i32 s10, 45
	s_cbranch_scc0 .LBB472_1905
; %bb.1902:
	s_cmp_eq_u32 s10, 46
	s_mov_b64 s[0:1], -1
	s_cbranch_scc0 .LBB472_1904
; %bb.1903:
	v_bfe_u32 v3, v2, 16, 1
	s_movk_i32 s0, 0x7fff
	v_add3_u32 v3, v2, v3, s0
	v_cmp_o_f32_e32 vcc, v2, v2
	v_mov_b32_e32 v4, 0x7fc0
	s_mov_b64 s[0:1], 0
	v_cndmask_b32_sdwa v3, v4, v3, vcc dst_sel:DWORD dst_unused:UNUSED_PAD src0_sel:DWORD src1_sel:WORD_1
	global_store_dword v[0:1], v3, off
.LBB472_1904:
	s_mov_b64 s[4:5], 0
.LBB472_1905:
	s_and_b64 vcc, exec, s[4:5]
	s_cbranch_vccz .LBB472_1910
; %bb.1906:
	s_cmp_eq_u32 s10, 44
	s_mov_b64 s[0:1], -1
	s_cbranch_scc0 .LBB472_1910
; %bb.1907:
	v_bfe_u32 v3, v2, 23, 8
	s_movk_i32 s0, 0xff
	v_cmp_ne_u32_e32 vcc, s0, v3
	v_mov_b32_e32 v4, 0xff
	s_and_saveexec_b64 s[4:5], vcc
; %bb.1908:
	s_mov_b32 s0, 0x3fffff
	v_and_b32_e32 v5, 0x400000, v2
	v_and_or_b32 v3, v2, s0, v3
	v_cmp_ne_u32_e32 vcc, 0, v5
	v_cmp_ne_u32_e64 s[0:1], 0, v3
	s_and_b64 s[0:1], vcc, s[0:1]
	v_lshrrev_b32_e32 v4, 23, v2
	v_cndmask_b32_e64 v3, 0, 1, s[0:1]
	v_add_u32_e32 v4, v4, v3
; %bb.1909:
	s_or_b64 exec, exec, s[4:5]
	s_mov_b64 s[0:1], 0
	global_store_byte v[0:1], v4, off
.LBB472_1910:
	s_mov_b64 s[4:5], 0
.LBB472_1911:
	s_and_b64 vcc, exec, s[4:5]
	s_cbranch_vccz .LBB472_1914
; %bb.1912:
	s_cmp_eq_u32 s10, 29
	s_mov_b64 s[0:1], -1
	s_cbranch_scc0 .LBB472_1914
; %bb.1913:
	v_trunc_f32_e32 v3, v2
	v_mul_f32_e32 v4, 0x2f800000, v3
	v_floor_f32_e32 v4, v4
	v_fmamk_f32 v3, v4, 0xcf800000, v3
	v_cvt_u32_f32_e32 v5, v4
	v_cvt_u32_f32_e32 v4, v3
	s_mov_b64 s[0:1], 0
	global_store_dwordx2 v[0:1], v[4:5], off
.LBB472_1914:
	s_mov_b64 s[4:5], 0
.LBB472_1915:
	s_and_b64 vcc, exec, s[4:5]
	s_cbranch_vccz .LBB472_1930
; %bb.1916:
	s_cmp_lt_i32 s10, 27
	s_mov_b64 s[4:5], -1
	s_cbranch_scc1 .LBB472_1922
; %bb.1917:
	v_cvt_u32_f32_e32 v3, v2
	s_cmp_gt_i32 s10, 27
	s_cbranch_scc0 .LBB472_1919
; %bb.1918:
	global_store_dword v[0:1], v3, off
	s_mov_b64 s[4:5], 0
.LBB472_1919:
	s_andn2_b64 vcc, exec, s[4:5]
	s_cbranch_vccnz .LBB472_1921
; %bb.1920:
	global_store_short v[0:1], v3, off
.LBB472_1921:
	s_mov_b64 s[4:5], 0
.LBB472_1922:
	s_andn2_b64 vcc, exec, s[4:5]
	s_cbranch_vccnz .LBB472_1930
; %bb.1923:
	v_and_b32_e32 v3, 0x7fffffff, v2
	s_mov_b32 s4, 0x43800000
	v_cmp_gt_u32_e32 vcc, s4, v3
	v_mov_b32_e32 v4, 0x80
	s_and_saveexec_b64 s[4:5], vcc
	s_cbranch_execz .LBB472_1929
; %bb.1924:
	s_mov_b32 s6, 0x3bffffff
	v_cmp_lt_u32_e32 vcc, s6, v3
	s_mov_b64 s[6:7], 0
                                        ; implicit-def: $vgpr3
	s_and_saveexec_b64 s[8:9], vcc
	s_xor_b64 s[8:9], exec, s[8:9]
	s_cbranch_execz .LBB472_2035
; %bb.1925:
	v_bfe_u32 v3, v2, 20, 1
	s_mov_b32 s11, 0x487ffff
	v_add3_u32 v3, v2, v3, s11
	s_mov_b64 s[6:7], exec
	v_lshrrev_b32_e32 v3, 20, v3
	s_andn2_saveexec_b64 s[8:9], s[8:9]
	s_cbranch_execnz .LBB472_2036
.LBB472_1926:
	s_or_b64 exec, exec, s[8:9]
	v_mov_b32_e32 v4, 0
	s_and_saveexec_b64 s[8:9], s[6:7]
.LBB472_1927:
	v_lshrrev_b32_e32 v4, 24, v2
	s_movk_i32 s6, 0x80
	v_and_or_b32 v4, v4, s6, v3
.LBB472_1928:
	s_or_b64 exec, exec, s[8:9]
.LBB472_1929:
	s_or_b64 exec, exec, s[4:5]
	global_store_byte v[0:1], v4, off
.LBB472_1930:
	s_mov_b64 s[4:5], 0
.LBB472_1931:
	s_and_b64 vcc, exec, s[4:5]
	s_cbranch_vccz .LBB472_1971
; %bb.1932:
	s_cmp_gt_i32 s10, 22
	s_mov_b64 s[2:3], -1
	s_cbranch_scc0 .LBB472_1964
; %bb.1933:
	s_cmp_lt_i32 s10, 24
	s_cbranch_scc1 .LBB472_1953
; %bb.1934:
	s_cmp_gt_i32 s10, 24
	s_cbranch_scc0 .LBB472_1942
; %bb.1935:
	v_and_b32_e32 v3, 0x7fffffff, v2
	s_mov_b32 s2, 0x47800000
	v_cmp_gt_u32_e32 vcc, s2, v3
	v_mov_b32_e32 v4, 0x80
	s_and_saveexec_b64 s[2:3], vcc
	s_cbranch_execz .LBB472_1941
; %bb.1936:
	s_mov_b32 s4, 0x37ffffff
	v_cmp_lt_u32_e32 vcc, s4, v3
	s_mov_b64 s[4:5], 0
                                        ; implicit-def: $vgpr3
	s_and_saveexec_b64 s[6:7], vcc
	s_xor_b64 s[6:7], exec, s[6:7]
	s_cbranch_execz .LBB472_2038
; %bb.1937:
	v_bfe_u32 v3, v2, 21, 1
	s_mov_b32 s8, 0x88fffff
	v_add3_u32 v3, v2, v3, s8
	s_mov_b64 s[4:5], exec
	v_lshrrev_b32_e32 v3, 21, v3
	s_andn2_saveexec_b64 s[6:7], s[6:7]
	s_cbranch_execnz .LBB472_2039
.LBB472_1938:
	s_or_b64 exec, exec, s[6:7]
	v_mov_b32_e32 v4, 0
	s_and_saveexec_b64 s[6:7], s[4:5]
.LBB472_1939:
	v_lshrrev_b32_e32 v4, 24, v2
	s_movk_i32 s4, 0x80
	v_and_or_b32 v4, v4, s4, v3
.LBB472_1940:
	s_or_b64 exec, exec, s[6:7]
.LBB472_1941:
	s_or_b64 exec, exec, s[2:3]
	s_mov_b64 s[2:3], 0
	global_store_byte v[0:1], v4, off
.LBB472_1942:
	s_and_b64 vcc, exec, s[2:3]
	s_cbranch_vccz .LBB472_1952
; %bb.1943:
	v_and_b32_e32 v4, 0x7fffffff, v2
	s_mov_b32 s2, 0x43f00000
	v_cmp_gt_u32_e32 vcc, s2, v4
                                        ; implicit-def: $vgpr3
	s_and_saveexec_b64 s[2:3], vcc
	s_xor_b64 s[2:3], exec, s[2:3]
	s_cbranch_execz .LBB472_1949
; %bb.1944:
	s_mov_b32 s4, 0x3c7fffff
	v_cmp_lt_u32_e32 vcc, s4, v4
                                        ; implicit-def: $vgpr3
	s_and_saveexec_b64 s[4:5], vcc
	s_xor_b64 s[4:5], exec, s[4:5]
; %bb.1945:
	v_bfe_u32 v3, v2, 20, 1
	s_mov_b32 s6, 0x407ffff
	v_add3_u32 v3, v2, v3, s6
	v_lshrrev_b32_e32 v4, 20, v3
	v_and_b32_e32 v3, 0xff00000, v3
	s_mov_b32 s6, 0x7f00000
	v_mov_b32_e32 v5, 0x7e
	v_cmp_ne_u32_e32 vcc, s6, v3
	s_nop 1
	v_cndmask_b32_e32 v3, v5, v4, vcc
; %bb.1946:
	s_andn2_saveexec_b64 s[4:5], s[4:5]
; %bb.1947:
	s_mov_b32 s6, 0x46800000
	v_add_f32_e64 v3, |v2|, s6
; %bb.1948:
	s_or_b64 exec, exec, s[4:5]
                                        ; implicit-def: $vgpr4
.LBB472_1949:
	s_andn2_saveexec_b64 s[2:3], s[2:3]
; %bb.1950:
	s_mov_b32 s4, 0x7f800000
	v_mov_b32_e32 v3, 0x7e
	v_mov_b32_e32 v5, 0x7f
	v_cmp_lt_u32_e32 vcc, s4, v4
	s_nop 1
	v_cndmask_b32_e32 v3, v3, v5, vcc
; %bb.1951:
	s_or_b64 exec, exec, s[2:3]
	v_lshrrev_b32_e32 v4, 24, v2
	s_movk_i32 s2, 0x80
	v_and_or_b32 v3, v4, s2, v3
	global_store_byte v[0:1], v3, off
.LBB472_1952:
	s_mov_b64 s[2:3], 0
.LBB472_1953:
	s_andn2_b64 vcc, exec, s[2:3]
	s_cbranch_vccnz .LBB472_1963
; %bb.1954:
	v_and_b32_e32 v4, 0x7fffffff, v2
	s_mov_b32 s2, 0x47800000
	v_cmp_gt_u32_e32 vcc, s2, v4
                                        ; implicit-def: $vgpr3
	s_and_saveexec_b64 s[2:3], vcc
	s_xor_b64 s[2:3], exec, s[2:3]
	s_cbranch_execz .LBB472_1960
; %bb.1955:
	s_mov_b32 s4, 0x387fffff
	v_cmp_lt_u32_e32 vcc, s4, v4
                                        ; implicit-def: $vgpr3
	s_and_saveexec_b64 s[4:5], vcc
	s_xor_b64 s[4:5], exec, s[4:5]
; %bb.1956:
	v_bfe_u32 v3, v2, 21, 1
	s_mov_b32 s6, 0x80fffff
	v_add3_u32 v3, v2, v3, s6
	v_lshrrev_b32_e32 v3, 21, v3
; %bb.1957:
	s_andn2_saveexec_b64 s[4:5], s[4:5]
; %bb.1958:
	s_mov_b32 s6, 0x43000000
	v_add_f32_e64 v3, |v2|, s6
; %bb.1959:
	s_or_b64 exec, exec, s[4:5]
                                        ; implicit-def: $vgpr4
.LBB472_1960:
	s_andn2_saveexec_b64 s[2:3], s[2:3]
; %bb.1961:
	s_mov_b32 s4, 0x7f800000
	v_mov_b32_e32 v3, 0x7c
	v_mov_b32_e32 v5, 0x7f
	v_cmp_lt_u32_e32 vcc, s4, v4
	s_nop 1
	v_cndmask_b32_e32 v3, v3, v5, vcc
; %bb.1962:
	s_or_b64 exec, exec, s[2:3]
	v_lshrrev_b32_e32 v4, 24, v2
	s_movk_i32 s2, 0x80
	v_and_or_b32 v3, v4, s2, v3
	global_store_byte v[0:1], v3, off
.LBB472_1963:
	s_mov_b64 s[2:3], 0
.LBB472_1964:
	s_andn2_b64 vcc, exec, s[2:3]
	s_mov_b64 s[2:3], 0
	s_cbranch_vccnz .LBB472_1971
; %bb.1965:
	s_cmp_gt_i32 s10, 14
	s_mov_b64 s[4:5], -1
	s_cbranch_scc0 .LBB472_1969
; %bb.1966:
	s_cmp_eq_u32 s10, 15
	s_mov_b64 s[0:1], -1
	s_cbranch_scc0 .LBB472_1968
; %bb.1967:
	v_bfe_u32 v3, v2, 16, 1
	s_movk_i32 s0, 0x7fff
	v_add3_u32 v3, v2, v3, s0
	v_cmp_o_f32_e32 vcc, v2, v2
	v_mov_b32_e32 v4, 0x7fc0
	s_mov_b64 s[0:1], 0
	v_cndmask_b32_sdwa v3, v4, v3, vcc dst_sel:DWORD dst_unused:UNUSED_PAD src0_sel:DWORD src1_sel:WORD_1
	global_store_short v[0:1], v3, off
.LBB472_1968:
	s_mov_b64 s[4:5], 0
.LBB472_1969:
	s_and_b64 vcc, exec, s[4:5]
	s_cbranch_vccz .LBB472_1971
; %bb.1970:
	s_cmp_lg_u32 s10, 11
	s_mov_b64 s[2:3], -1
	s_cselect_b64 s[0:1], -1, 0
.LBB472_1971:
	s_and_b64 vcc, exec, s[0:1]
	s_cbranch_vccnz .LBB472_2037
.LBB472_1972:
	s_mov_b64 s[0:1], 0
	s_branch .LBB472_1974
.LBB472_1973:
	s_mov_b64 s[0:1], 0
	s_mov_b64 s[2:3], 0
                                        ; implicit-def: $sgpr20
                                        ; implicit-def: $vgpr0_vgpr1
                                        ; implicit-def: $vgpr2
.LBB472_1974:
	s_andn2_b64 s[4:5], s[14:15], exec
	s_and_b64 s[6:7], s[16:17], exec
	s_and_b64 s[0:1], s[0:1], exec
	;; [unrolled: 1-line block ×3, first 2 shown]
	s_or_b64 s[14:15], s[4:5], s[6:7]
.LBB472_1975:
	s_or_b64 exec, exec, s[12:13]
	s_and_saveexec_b64 s[4:5], s[14:15]
	s_cbranch_execz .LBB472_1978
; %bb.1976:
	; divergent unreachable
	s_or_b64 exec, exec, s[4:5]
	s_and_saveexec_b64 s[4:5], s[2:3]
	s_xor_b64 s[2:3], exec, s[4:5]
	s_cbranch_execnz .LBB472_1979
.LBB472_1977:
	s_or_b64 exec, exec, s[2:3]
	s_and_saveexec_b64 s[2:3], s[0:1]
	s_cbranch_execnz .LBB472_1980
	s_branch .LBB472_2017
.LBB472_1978:
	s_or_b64 exec, exec, s[4:5]
	s_and_saveexec_b64 s[4:5], s[2:3]
	s_xor_b64 s[2:3], exec, s[4:5]
	s_cbranch_execz .LBB472_1977
.LBB472_1979:
	s_waitcnt vmcnt(0)
	v_cmp_neq_f32_e32 vcc, 0, v2
	s_nop 1
	v_cndmask_b32_e64 v3, 0, 1, vcc
	global_store_byte v[0:1], v3, off
	s_or_b64 exec, exec, s[2:3]
	s_and_saveexec_b64 s[2:3], s[0:1]
	s_cbranch_execz .LBB472_2017
.LBB472_1980:
	s_sext_i32_i16 s2, s20
	s_cmp_lt_i32 s2, 5
	s_mov_b64 s[0:1], -1
	s_cbranch_scc1 .LBB472_2001
; %bb.1981:
	s_cmp_lt_i32 s2, 8
	s_cbranch_scc1 .LBB472_1991
; %bb.1982:
	s_cmp_lt_i32 s2, 9
	s_cbranch_scc1 .LBB472_1988
; %bb.1983:
	s_cmp_gt_i32 s2, 9
	s_cbranch_scc0 .LBB472_1985
; %bb.1984:
	s_waitcnt vmcnt(0)
	v_mov_b32_e32 v6, 0
	v_cvt_f64_f32_e32 v[4:5], v2
	v_mov_b32_e32 v7, v6
	global_store_dwordx4 v[0:1], v[4:7], off
	s_mov_b64 s[0:1], 0
.LBB472_1985:
	s_andn2_b64 vcc, exec, s[0:1]
	s_cbranch_vccnz .LBB472_1987
; %bb.1986:
	s_waitcnt vmcnt(0)
	v_mov_b32_e32 v3, 0
	global_store_dwordx2 v[0:1], v[2:3], off
.LBB472_1987:
	s_mov_b64 s[0:1], 0
.LBB472_1988:
	s_andn2_b64 vcc, exec, s[0:1]
	s_cbranch_vccnz .LBB472_1990
; %bb.1989:
	s_waitcnt vmcnt(0)
	v_cvt_f16_f32_e32 v3, v2
	global_store_dword v[0:1], v3, off
.LBB472_1990:
	s_mov_b64 s[0:1], 0
.LBB472_1991:
	s_andn2_b64 vcc, exec, s[0:1]
	s_cbranch_vccnz .LBB472_2000
; %bb.1992:
	s_sext_i32_i16 s2, s20
	s_cmp_lt_i32 s2, 6
	s_mov_b64 s[0:1], -1
	s_cbranch_scc1 .LBB472_1998
; %bb.1993:
	s_cmp_gt_i32 s2, 6
	s_cbranch_scc0 .LBB472_1995
; %bb.1994:
	s_waitcnt vmcnt(0)
	v_cvt_f64_f32_e32 v[4:5], v2
	global_store_dwordx2 v[0:1], v[4:5], off
	s_mov_b64 s[0:1], 0
.LBB472_1995:
	s_andn2_b64 vcc, exec, s[0:1]
	s_cbranch_vccnz .LBB472_1997
; %bb.1996:
	s_waitcnt vmcnt(0)
	global_store_dword v[0:1], v2, off
.LBB472_1997:
	s_mov_b64 s[0:1], 0
.LBB472_1998:
	s_andn2_b64 vcc, exec, s[0:1]
	s_cbranch_vccnz .LBB472_2000
; %bb.1999:
	s_waitcnt vmcnt(0)
	v_cvt_f16_f32_e32 v3, v2
	global_store_short v[0:1], v3, off
.LBB472_2000:
	s_mov_b64 s[0:1], 0
.LBB472_2001:
	s_andn2_b64 vcc, exec, s[0:1]
	s_cbranch_vccnz .LBB472_2017
; %bb.2002:
	s_sext_i32_i16 s2, s20
	s_cmp_lt_i32 s2, 2
	s_mov_b64 s[0:1], -1
	s_cbranch_scc1 .LBB472_2012
; %bb.2003:
	s_cmp_lt_i32 s2, 3
	s_cbranch_scc1 .LBB472_2009
; %bb.2004:
	s_cmp_gt_i32 s2, 3
	s_cbranch_scc0 .LBB472_2006
; %bb.2005:
	s_waitcnt vmcnt(0)
	v_trunc_f32_e32 v3, v2
	s_mov_b32 s0, 0x2f800000
	v_mul_f32_e64 v4, |v3|, s0
	v_floor_f32_e32 v4, v4
	s_mov_b32 s0, 0xcf800000
	v_cvt_u32_f32_e32 v5, v4
	v_fma_f32 v4, v4, s0, |v3|
	v_cvt_u32_f32_e32 v4, v4
	v_ashrrev_i32_e32 v3, 31, v3
	v_xor_b32_e32 v5, v5, v3
	s_mov_b64 s[0:1], 0
	v_xor_b32_e32 v4, v4, v3
	v_sub_co_u32_e32 v4, vcc, v4, v3
	s_nop 1
	v_subb_co_u32_e32 v5, vcc, v5, v3, vcc
	global_store_dwordx2 v[0:1], v[4:5], off
.LBB472_2006:
	s_andn2_b64 vcc, exec, s[0:1]
	s_cbranch_vccnz .LBB472_2008
; %bb.2007:
	s_waitcnt vmcnt(0)
	v_cvt_i32_f32_e32 v3, v2
	global_store_dword v[0:1], v3, off
.LBB472_2008:
	s_mov_b64 s[0:1], 0
.LBB472_2009:
	s_andn2_b64 vcc, exec, s[0:1]
	s_cbranch_vccnz .LBB472_2011
; %bb.2010:
	s_waitcnt vmcnt(0)
	v_cvt_i32_f32_e32 v3, v2
	global_store_short v[0:1], v3, off
.LBB472_2011:
	s_mov_b64 s[0:1], 0
.LBB472_2012:
	s_andn2_b64 vcc, exec, s[0:1]
	s_cbranch_vccnz .LBB472_2017
; %bb.2013:
	s_sext_i32_i16 s0, s20
	s_cmp_gt_i32 s0, 0
	s_mov_b64 s[0:1], -1
	s_cbranch_scc0 .LBB472_2015
; %bb.2014:
	s_waitcnt vmcnt(0)
	v_cvt_i32_f32_e32 v3, v2
	s_mov_b64 s[0:1], 0
	global_store_byte v[0:1], v3, off
.LBB472_2015:
	s_andn2_b64 vcc, exec, s[0:1]
	s_cbranch_vccnz .LBB472_2017
; %bb.2016:
	s_waitcnt vmcnt(0)
	v_trunc_f32_e32 v2, v2
	s_mov_b32 s0, 0x2f800000
	v_mul_f32_e64 v3, |v2|, s0
	v_floor_f32_e32 v3, v3
	s_mov_b32 s0, 0xcf800000
	v_fma_f32 v3, v3, s0, |v2|
	v_cvt_u32_f32_e32 v3, v3
	v_ashrrev_i32_e32 v2, 31, v2
	v_xor_b32_e32 v3, v3, v2
	v_sub_u32_e32 v2, v3, v2
	global_store_byte v[0:1], v2, off
	s_endpgm
.LBB472_2017:
	s_endpgm
.LBB472_2018:
	s_mov_b64 s[2:3], 0
	s_mov_b64 s[0:1], -1
	s_branch .LBB472_1974
.LBB472_2019:
	s_trap 2
	s_or_b64 s[16:17], s[16:17], exec
	s_cbranch_execz .LBB472_1488
	s_branch .LBB472_1489
.LBB472_2020:
	s_andn2_saveexec_b64 s[18:19], s[18:19]
	s_cbranch_execz .LBB472_1568
.LBB472_2021:
	s_mov_b32 s21, 0x46000000
	v_add_f32_e64 v1, |v4|, s21
	v_and_b32_e32 v1, 0xff, v1
	v_cmp_ne_u32_e32 vcc, 0, v1
	s_andn2_b64 s[10:11], s[10:11], exec
	s_and_b64 s[22:23], vcc, exec
	s_or_b64 s[10:11], s[10:11], s[22:23]
	s_or_b64 exec, exec, s[18:19]
	v_mov_b32_e32 v5, 0
	s_and_saveexec_b64 s[18:19], s[10:11]
	s_cbranch_execnz .LBB472_1569
	s_branch .LBB472_1570
.LBB472_2022:
	s_trap 2
	s_or_b64 s[16:17], s[16:17], exec
	s_cbranch_execz .LBB472_1616
	s_branch .LBB472_1617
.LBB472_2023:
	s_andn2_saveexec_b64 s[10:11], s[10:11]
	s_cbranch_execz .LBB472_1581
.LBB472_2024:
	s_mov_b32 s18, 0x42800000
	v_add_f32_e64 v1, |v4|, s18
	v_and_b32_e32 v1, 0xff, v1
	v_cmp_ne_u32_e32 vcc, 0, v1
	s_andn2_b64 s[6:7], s[6:7], exec
	s_and_b64 s[18:19], vcc, exec
	s_or_b64 s[6:7], s[6:7], s[18:19]
	s_or_b64 exec, exec, s[10:11]
	v_mov_b32_e32 v5, 0
	s_and_saveexec_b64 s[10:11], s[6:7]
	s_cbranch_execnz .LBB472_1582
	s_branch .LBB472_1583
.LBB472_2025:
	s_andn2_saveexec_b64 s[10:11], s[10:11]
	s_cbranch_execz .LBB472_1687
.LBB472_2026:
	s_mov_b32 s21, 0x46000000
	v_add_f32_e64 v1, |v4|, s21
	v_and_b32_e32 v1, 0xff, v1
	v_cmp_ne_u32_e32 vcc, 0, v1
	s_andn2_b64 s[8:9], s[8:9], exec
	s_and_b64 s[22:23], vcc, exec
	s_or_b64 s[8:9], s[8:9], s[22:23]
	s_or_b64 exec, exec, s[10:11]
	v_mov_b32_e32 v5, 0
	s_and_saveexec_b64 s[10:11], s[8:9]
	s_cbranch_execnz .LBB472_1688
	s_branch .LBB472_1689
.LBB472_2027:
	s_trap 2
	s_or_b64 s[16:17], s[16:17], exec
	s_cbranch_execz .LBB472_1735
	s_branch .LBB472_1736
.LBB472_2028:
	s_andn2_saveexec_b64 s[8:9], s[8:9]
	s_cbranch_execz .LBB472_1700
.LBB472_2029:
	s_mov_b32 s10, 0x42800000
	v_add_f32_e64 v1, |v4|, s10
	v_and_b32_e32 v1, 0xff, v1
	v_cmp_ne_u32_e32 vcc, 0, v1
	s_andn2_b64 s[6:7], s[6:7], exec
	s_and_b64 s[10:11], vcc, exec
	s_or_b64 s[6:7], s[6:7], s[10:11]
	s_or_b64 exec, exec, s[8:9]
	v_mov_b32_e32 v5, 0
	s_and_saveexec_b64 s[8:9], s[6:7]
	s_cbranch_execnz .LBB472_1701
	s_branch .LBB472_1702
.LBB472_2030:
	s_andn2_saveexec_b64 s[10:11], s[10:11]
	s_cbranch_execz .LBB472_1806
.LBB472_2031:
	s_mov_b32 s21, 0x46000000
	v_add_f32_e64 v1, |v4|, s21
	v_and_b32_e32 v1, 0xff, v1
	v_cmp_ne_u32_e32 vcc, 0, v1
	s_andn2_b64 s[8:9], s[8:9], exec
	s_and_b64 s[22:23], vcc, exec
	s_or_b64 s[8:9], s[8:9], s[22:23]
	s_or_b64 exec, exec, s[10:11]
	v_mov_b32_e32 v5, 0
	s_and_saveexec_b64 s[10:11], s[8:9]
	s_cbranch_execnz .LBB472_1807
	s_branch .LBB472_1808
.LBB472_2032:
	s_trap 2
	s_or_b64 s[16:17], s[16:17], exec
	s_cbranch_execz .LBB472_1854
	s_branch .LBB472_1855
.LBB472_2033:
	s_andn2_saveexec_b64 s[8:9], s[8:9]
	s_cbranch_execz .LBB472_1819
.LBB472_2034:
	s_mov_b32 s10, 0x42800000
	v_add_f32_e64 v1, |v4|, s10
	v_and_b32_e32 v1, 0xff, v1
	v_cmp_ne_u32_e32 vcc, 0, v1
	s_andn2_b64 s[6:7], s[6:7], exec
	s_and_b64 s[10:11], vcc, exec
	s_or_b64 s[6:7], s[6:7], s[10:11]
	s_or_b64 exec, exec, s[8:9]
	v_mov_b32_e32 v5, 0
	s_and_saveexec_b64 s[8:9], s[6:7]
	s_cbranch_execnz .LBB472_1820
	s_branch .LBB472_1821
.LBB472_2035:
	s_andn2_saveexec_b64 s[8:9], s[8:9]
	s_cbranch_execz .LBB472_1926
.LBB472_2036:
	s_mov_b32 s11, 0x46000000
	v_add_f32_e64 v3, |v2|, s11
	v_and_b32_e32 v3, 0xff, v3
	v_cmp_ne_u32_e32 vcc, 0, v3
	s_andn2_b64 s[6:7], s[6:7], exec
	s_and_b64 s[18:19], vcc, exec
	s_or_b64 s[6:7], s[6:7], s[18:19]
	s_or_b64 exec, exec, s[8:9]
	v_mov_b32_e32 v4, 0
	s_and_saveexec_b64 s[8:9], s[6:7]
	s_cbranch_execnz .LBB472_1927
	s_branch .LBB472_1928
.LBB472_2037:
	s_mov_b64 s[2:3], 0
	s_or_b64 s[16:17], s[16:17], exec
	s_trap 2
	s_branch .LBB472_1972
.LBB472_2038:
	s_andn2_saveexec_b64 s[6:7], s[6:7]
	s_cbranch_execz .LBB472_1938
.LBB472_2039:
	s_mov_b32 s8, 0x42800000
	v_add_f32_e64 v3, |v2|, s8
	v_and_b32_e32 v3, 0xff, v3
	v_cmp_ne_u32_e32 vcc, 0, v3
	s_andn2_b64 s[4:5], s[4:5], exec
	s_and_b64 s[8:9], vcc, exec
	s_or_b64 s[4:5], s[4:5], s[8:9]
	s_or_b64 exec, exec, s[6:7]
	v_mov_b32_e32 v4, 0
	s_and_saveexec_b64 s[6:7], s[4:5]
	s_cbranch_execnz .LBB472_1939
	s_branch .LBB472_1940
	.section	.rodata,"a",@progbits
	.p2align	6, 0x0
	.amdhsa_kernel _ZN2at6native32elementwise_kernel_manual_unrollILi128ELi4EZNS0_15gpu_kernel_implIZZZNS0_21clamp_max_kernel_cudaERNS_18TensorIteratorBaseERKN3c106ScalarEENKUlvE_clEvENKUlvE5_clEvEUlfE_EEvS4_RKT_EUlibE_EEviT1_
		.amdhsa_group_segment_fixed_size 0
		.amdhsa_private_segment_fixed_size 0
		.amdhsa_kernarg_size 40
		.amdhsa_user_sgpr_count 2
		.amdhsa_user_sgpr_dispatch_ptr 0
		.amdhsa_user_sgpr_queue_ptr 0
		.amdhsa_user_sgpr_kernarg_segment_ptr 1
		.amdhsa_user_sgpr_dispatch_id 0
		.amdhsa_user_sgpr_kernarg_preload_length 0
		.amdhsa_user_sgpr_kernarg_preload_offset 0
		.amdhsa_user_sgpr_private_segment_size 0
		.amdhsa_uses_dynamic_stack 0
		.amdhsa_enable_private_segment 0
		.amdhsa_system_sgpr_workgroup_id_x 1
		.amdhsa_system_sgpr_workgroup_id_y 0
		.amdhsa_system_sgpr_workgroup_id_z 0
		.amdhsa_system_sgpr_workgroup_info 0
		.amdhsa_system_vgpr_workitem_id 0
		.amdhsa_next_free_vgpr 14
		.amdhsa_next_free_sgpr 45
		.amdhsa_accum_offset 16
		.amdhsa_reserve_vcc 1
		.amdhsa_float_round_mode_32 0
		.amdhsa_float_round_mode_16_64 0
		.amdhsa_float_denorm_mode_32 3
		.amdhsa_float_denorm_mode_16_64 3
		.amdhsa_dx10_clamp 1
		.amdhsa_ieee_mode 1
		.amdhsa_fp16_overflow 0
		.amdhsa_tg_split 0
		.amdhsa_exception_fp_ieee_invalid_op 0
		.amdhsa_exception_fp_denorm_src 0
		.amdhsa_exception_fp_ieee_div_zero 0
		.amdhsa_exception_fp_ieee_overflow 0
		.amdhsa_exception_fp_ieee_underflow 0
		.amdhsa_exception_fp_ieee_inexact 0
		.amdhsa_exception_int_div_zero 0
	.end_amdhsa_kernel
	.section	.text._ZN2at6native32elementwise_kernel_manual_unrollILi128ELi4EZNS0_15gpu_kernel_implIZZZNS0_21clamp_max_kernel_cudaERNS_18TensorIteratorBaseERKN3c106ScalarEENKUlvE_clEvENKUlvE5_clEvEUlfE_EEvS4_RKT_EUlibE_EEviT1_,"axG",@progbits,_ZN2at6native32elementwise_kernel_manual_unrollILi128ELi4EZNS0_15gpu_kernel_implIZZZNS0_21clamp_max_kernel_cudaERNS_18TensorIteratorBaseERKN3c106ScalarEENKUlvE_clEvENKUlvE5_clEvEUlfE_EEvS4_RKT_EUlibE_EEviT1_,comdat
.Lfunc_end472:
	.size	_ZN2at6native32elementwise_kernel_manual_unrollILi128ELi4EZNS0_15gpu_kernel_implIZZZNS0_21clamp_max_kernel_cudaERNS_18TensorIteratorBaseERKN3c106ScalarEENKUlvE_clEvENKUlvE5_clEvEUlfE_EEvS4_RKT_EUlibE_EEviT1_, .Lfunc_end472-_ZN2at6native32elementwise_kernel_manual_unrollILi128ELi4EZNS0_15gpu_kernel_implIZZZNS0_21clamp_max_kernel_cudaERNS_18TensorIteratorBaseERKN3c106ScalarEENKUlvE_clEvENKUlvE5_clEvEUlfE_EEvS4_RKT_EUlibE_EEviT1_
                                        ; -- End function
	.set _ZN2at6native32elementwise_kernel_manual_unrollILi128ELi4EZNS0_15gpu_kernel_implIZZZNS0_21clamp_max_kernel_cudaERNS_18TensorIteratorBaseERKN3c106ScalarEENKUlvE_clEvENKUlvE5_clEvEUlfE_EEvS4_RKT_EUlibE_EEviT1_.num_vgpr, 14
	.set _ZN2at6native32elementwise_kernel_manual_unrollILi128ELi4EZNS0_15gpu_kernel_implIZZZNS0_21clamp_max_kernel_cudaERNS_18TensorIteratorBaseERKN3c106ScalarEENKUlvE_clEvENKUlvE5_clEvEUlfE_EEvS4_RKT_EUlibE_EEviT1_.num_agpr, 0
	.set _ZN2at6native32elementwise_kernel_manual_unrollILi128ELi4EZNS0_15gpu_kernel_implIZZZNS0_21clamp_max_kernel_cudaERNS_18TensorIteratorBaseERKN3c106ScalarEENKUlvE_clEvENKUlvE5_clEvEUlfE_EEvS4_RKT_EUlibE_EEviT1_.numbered_sgpr, 45
	.set _ZN2at6native32elementwise_kernel_manual_unrollILi128ELi4EZNS0_15gpu_kernel_implIZZZNS0_21clamp_max_kernel_cudaERNS_18TensorIteratorBaseERKN3c106ScalarEENKUlvE_clEvENKUlvE5_clEvEUlfE_EEvS4_RKT_EUlibE_EEviT1_.num_named_barrier, 0
	.set _ZN2at6native32elementwise_kernel_manual_unrollILi128ELi4EZNS0_15gpu_kernel_implIZZZNS0_21clamp_max_kernel_cudaERNS_18TensorIteratorBaseERKN3c106ScalarEENKUlvE_clEvENKUlvE5_clEvEUlfE_EEvS4_RKT_EUlibE_EEviT1_.private_seg_size, 0
	.set _ZN2at6native32elementwise_kernel_manual_unrollILi128ELi4EZNS0_15gpu_kernel_implIZZZNS0_21clamp_max_kernel_cudaERNS_18TensorIteratorBaseERKN3c106ScalarEENKUlvE_clEvENKUlvE5_clEvEUlfE_EEvS4_RKT_EUlibE_EEviT1_.uses_vcc, 1
	.set _ZN2at6native32elementwise_kernel_manual_unrollILi128ELi4EZNS0_15gpu_kernel_implIZZZNS0_21clamp_max_kernel_cudaERNS_18TensorIteratorBaseERKN3c106ScalarEENKUlvE_clEvENKUlvE5_clEvEUlfE_EEvS4_RKT_EUlibE_EEviT1_.uses_flat_scratch, 0
	.set _ZN2at6native32elementwise_kernel_manual_unrollILi128ELi4EZNS0_15gpu_kernel_implIZZZNS0_21clamp_max_kernel_cudaERNS_18TensorIteratorBaseERKN3c106ScalarEENKUlvE_clEvENKUlvE5_clEvEUlfE_EEvS4_RKT_EUlibE_EEviT1_.has_dyn_sized_stack, 0
	.set _ZN2at6native32elementwise_kernel_manual_unrollILi128ELi4EZNS0_15gpu_kernel_implIZZZNS0_21clamp_max_kernel_cudaERNS_18TensorIteratorBaseERKN3c106ScalarEENKUlvE_clEvENKUlvE5_clEvEUlfE_EEvS4_RKT_EUlibE_EEviT1_.has_recursion, 0
	.set _ZN2at6native32elementwise_kernel_manual_unrollILi128ELi4EZNS0_15gpu_kernel_implIZZZNS0_21clamp_max_kernel_cudaERNS_18TensorIteratorBaseERKN3c106ScalarEENKUlvE_clEvENKUlvE5_clEvEUlfE_EEvS4_RKT_EUlibE_EEviT1_.has_indirect_call, 0
	.section	.AMDGPU.csdata,"",@progbits
; Kernel info:
; codeLenInByte = 32596
; TotalNumSgprs: 51
; NumVgprs: 14
; NumAgprs: 0
; TotalNumVgprs: 14
; ScratchSize: 0
; MemoryBound: 1
; FloatMode: 240
; IeeeMode: 1
; LDSByteSize: 0 bytes/workgroup (compile time only)
; SGPRBlocks: 6
; VGPRBlocks: 1
; NumSGPRsForWavesPerEU: 51
; NumVGPRsForWavesPerEU: 14
; AccumOffset: 16
; Occupancy: 8
; WaveLimiterHint : 0
; COMPUTE_PGM_RSRC2:SCRATCH_EN: 0
; COMPUTE_PGM_RSRC2:USER_SGPR: 2
; COMPUTE_PGM_RSRC2:TRAP_HANDLER: 0
; COMPUTE_PGM_RSRC2:TGID_X_EN: 1
; COMPUTE_PGM_RSRC2:TGID_Y_EN: 0
; COMPUTE_PGM_RSRC2:TGID_Z_EN: 0
; COMPUTE_PGM_RSRC2:TIDIG_COMP_CNT: 0
; COMPUTE_PGM_RSRC3_GFX90A:ACCUM_OFFSET: 3
; COMPUTE_PGM_RSRC3_GFX90A:TG_SPLIT: 0
	.section	.text._ZN2at6native32elementwise_kernel_manual_unrollILi128ELi4EZNS0_15gpu_kernel_implIZZZNS0_21clamp_max_kernel_cudaERNS_18TensorIteratorBaseERKN3c106ScalarEENKUlvE_clEvENKUlvE5_clEvEUlfE_EEvS4_RKT_EUlibE0_EEviT1_,"axG",@progbits,_ZN2at6native32elementwise_kernel_manual_unrollILi128ELi4EZNS0_15gpu_kernel_implIZZZNS0_21clamp_max_kernel_cudaERNS_18TensorIteratorBaseERKN3c106ScalarEENKUlvE_clEvENKUlvE5_clEvEUlfE_EEvS4_RKT_EUlibE0_EEviT1_,comdat
	.globl	_ZN2at6native32elementwise_kernel_manual_unrollILi128ELi4EZNS0_15gpu_kernel_implIZZZNS0_21clamp_max_kernel_cudaERNS_18TensorIteratorBaseERKN3c106ScalarEENKUlvE_clEvENKUlvE5_clEvEUlfE_EEvS4_RKT_EUlibE0_EEviT1_ ; -- Begin function _ZN2at6native32elementwise_kernel_manual_unrollILi128ELi4EZNS0_15gpu_kernel_implIZZZNS0_21clamp_max_kernel_cudaERNS_18TensorIteratorBaseERKN3c106ScalarEENKUlvE_clEvENKUlvE5_clEvEUlfE_EEvS4_RKT_EUlibE0_EEviT1_
	.p2align	8
	.type	_ZN2at6native32elementwise_kernel_manual_unrollILi128ELi4EZNS0_15gpu_kernel_implIZZZNS0_21clamp_max_kernel_cudaERNS_18TensorIteratorBaseERKN3c106ScalarEENKUlvE_clEvENKUlvE5_clEvEUlfE_EEvS4_RKT_EUlibE0_EEviT1_,@function
_ZN2at6native32elementwise_kernel_manual_unrollILi128ELi4EZNS0_15gpu_kernel_implIZZZNS0_21clamp_max_kernel_cudaERNS_18TensorIteratorBaseERKN3c106ScalarEENKUlvE_clEvENKUlvE5_clEvEUlfE_EEvS4_RKT_EUlibE0_EEviT1_: ; @_ZN2at6native32elementwise_kernel_manual_unrollILi128ELi4EZNS0_15gpu_kernel_implIZZZNS0_21clamp_max_kernel_cudaERNS_18TensorIteratorBaseERKN3c106ScalarEENKUlvE_clEvENKUlvE5_clEvEUlfE_EEvS4_RKT_EUlibE0_EEviT1_
; %bb.0:
	s_load_dword s72, s[0:1], 0x0
	s_load_dword s33, s[0:1], 0x8
	s_add_u32 s34, s0, 8
	s_addc_u32 s35, s1, 0
	v_lshl_or_b32 v8, s2, 9, v0
	v_or_b32_e32 v16, 0x180, v8
	s_waitcnt lgkmcnt(0)
	s_add_i32 s74, s33, -1
	s_cmp_gt_u32 s74, 1
	v_cmp_le_i32_e32 vcc, s72, v16
	s_cselect_b64 s[42:43], -1, 0
	s_mov_b64 s[40:41], 0
	s_mov_b64 s[24:25], 0
	s_and_saveexec_b64 s[2:3], vcc
	s_xor_b64 s[44:45], exec, s[2:3]
	s_cbranch_execz .LBB473_1090
; %bb.1:
	s_load_dwordx4 s[24:27], s[34:35], 0x4
	s_load_dwordx2 s[48:49], s[34:35], 0x14
	s_load_dwordx2 s[46:47], s[34:35], 0x158
	s_cmp_lg_u32 s33, 0
	s_load_dwordx4 s[28:31], s[34:35], 0xc4
	s_load_dwordx4 s[20:23], s[34:35], 0x148
	s_cselect_b64 s[54:55], -1, 0
	s_add_u32 s52, s34, 0xc4
	s_addc_u32 s53, s35, 0
	s_min_u32 s76, s74, 15
	s_cmp_gt_u32 s33, 1
	s_cselect_b64 s[50:51], -1, 0
	s_waitcnt lgkmcnt(0)
	s_bfe_u32 s75, s47, 0x80008
	v_cmp_gt_i32_e32 vcc, s72, v8
	s_mov_b64 s[4:5], -1
	s_mov_b64 s[64:65], 0
	s_mov_b64 s[58:59], 0
	s_mov_b64 s[56:57], 0
	s_and_saveexec_b64 s[60:61], vcc
	s_cbranch_execz .LBB473_267
; %bb.2:
	s_andn2_b64 vcc, exec, s[42:43]
	s_cbranch_vccnz .LBB473_8
; %bb.3:
	s_andn2_b64 vcc, exec, s[54:55]
	s_cbranch_vccnz .LBB473_9
; %bb.4:
	s_add_i32 s59, s76, 1
	s_cmp_eq_u32 s74, 2
	s_cbranch_scc1 .LBB473_10
; %bb.5:
	s_and_b32 s58, s59, 28
	s_mov_b32 s62, 0
	v_mov_b32_e32 v0, 0
	v_mov_b32_e32 v2, 0
	s_mov_b64 s[2:3], s[34:35]
	s_mov_b64 s[56:57], s[52:53]
	v_mov_b32_e32 v4, v8
.LBB473_6:                              ; =>This Inner Loop Header: Depth=1
	s_load_dwordx8 s[12:19], s[2:3], 0x4
	s_load_dwordx4 s[36:39], s[2:3], 0x24
	s_load_dwordx8 s[4:11], s[56:57], 0x0
	s_add_u32 s2, s2, 48
	s_addc_u32 s3, s3, 0
	s_waitcnt lgkmcnt(0)
	v_mul_hi_u32 v1, s13, v4
	v_add_u32_e32 v1, v4, v1
	v_lshrrev_b32_e32 v1, s14, v1
	v_mul_lo_u32 v3, v1, s12
	v_mul_hi_u32 v5, s16, v1
	v_sub_u32_e32 v3, v4, v3
	v_add_u32_e32 v4, v1, v5
	v_lshrrev_b32_e32 v4, s17, v4
	v_mul_lo_u32 v6, v4, s15
	v_mul_hi_u32 v7, s19, v4
	v_sub_u32_e32 v1, v1, v6
	v_add_u32_e32 v6, v4, v7
	v_mul_lo_u32 v5, v3, s5
	v_mul_lo_u32 v3, v3, s4
	;; [unrolled: 1-line block ×4, first 2 shown]
	v_lshrrev_b32_e32 v6, s36, v6
	v_add3_u32 v0, v3, v0, v1
	v_mul_hi_u32 v3, s38, v6
	v_add3_u32 v1, v5, v2, v7
	v_mul_lo_u32 v2, v6, s18
	v_add_u32_e32 v3, v6, v3
	v_sub_u32_e32 v2, v4, v2
	v_lshrrev_b32_e32 v4, s39, v3
	s_add_i32 s62, s62, 4
	v_mul_lo_u32 v3, v4, s37
	s_add_u32 s56, s56, 32
	v_sub_u32_e32 v3, v6, v3
	s_addc_u32 s57, s57, 0
	v_mul_lo_u32 v5, v2, s8
	v_mul_lo_u32 v2, v2, s9
	;; [unrolled: 1-line block ×4, first 2 shown]
	s_cmp_lg_u32 s58, s62
	v_add3_u32 v2, v2, v1, v3
	v_add3_u32 v0, v5, v0, v6
	s_cbranch_scc1 .LBB473_6
; %bb.7:
	v_mov_b32_e32 v1, v2
	s_branch .LBB473_11
.LBB473_8:
                                        ; implicit-def: $vgpr2
                                        ; implicit-def: $vgpr0
	s_branch .LBB473_15
.LBB473_9:
	v_mov_b32_e32 v2, 0
	v_mov_b32_e32 v0, 0
	s_branch .LBB473_14
.LBB473_10:
	v_mov_b32_e32 v0, 0
	s_mov_b32 s58, 0
	v_mov_b32_e32 v1, v0
                                        ; implicit-def: $vgpr2
	v_mov_b32_e32 v4, v8
.LBB473_11:
	s_and_b32 s6, s59, 3
	s_cmp_eq_u32 s6, 0
	s_cbranch_scc1 .LBB473_14
; %bb.12:
	s_lshl_b32 s2, s58, 3
	s_add_u32 s2, s34, s2
	s_addc_u32 s3, s35, 0
	s_add_u32 s2, s2, 0xc4
	s_addc_u32 s3, s3, 0
	s_mul_i32 s4, s58, 12
	s_add_u32 s4, s34, s4
	s_addc_u32 s5, s35, 0
.LBB473_13:                             ; =>This Inner Loop Header: Depth=1
	s_load_dwordx2 s[8:9], s[4:5], 0x4
	s_load_dword s7, s[4:5], 0xc
	s_load_dwordx2 s[10:11], s[2:3], 0x0
	v_mov_b32_e32 v2, v1
	s_add_u32 s4, s4, 12
	s_waitcnt lgkmcnt(0)
	v_mul_hi_u32 v1, s9, v4
	v_add_u32_e32 v1, v4, v1
	v_lshrrev_b32_e32 v1, s7, v1
	s_addc_u32 s5, s5, 0
	v_mul_lo_u32 v3, v1, s8
	s_add_u32 s2, s2, 8
	v_sub_u32_e32 v5, v4, v3
	s_addc_u32 s3, s3, 0
	s_add_i32 s6, s6, -1
	v_mov_b32_e32 v4, v1
	v_mad_u64_u32 v[2:3], s[8:9], v5, s11, v[2:3]
	v_mad_u64_u32 v[0:1], s[8:9], v5, s10, v[0:1]
	s_cmp_lg_u32 s6, 0
	v_mov_b32_e32 v1, v2
	s_cbranch_scc1 .LBB473_13
.LBB473_14:
	s_cbranch_execnz .LBB473_17
.LBB473_15:
	v_mul_hi_u32 v0, s25, v8
	v_add_u32_e32 v0, v8, v0
	v_lshrrev_b32_e32 v1, s26, v0
	v_mul_lo_u32 v0, v1, s24
	v_sub_u32_e32 v0, v8, v0
	v_mul_lo_u32 v2, v0, s29
	s_andn2_b64 vcc, exec, s[50:51]
	v_mul_lo_u32 v0, v0, s28
	s_cbranch_vccnz .LBB473_17
; %bb.16:
	v_mul_hi_u32 v3, s48, v1
	v_add_u32_e32 v3, v1, v3
	v_lshrrev_b32_e32 v3, s49, v3
	v_mul_lo_u32 v3, v3, s27
	v_sub_u32_e32 v3, v1, v3
	v_mad_u64_u32 v[0:1], s[2:3], v3, s30, v[0:1]
	v_mad_u64_u32 v[2:3], s[2:3], v3, s31, v[2:3]
.LBB473_17:
	v_mov_b32_e32 v3, 0
	s_and_b32 s10, 0xffff, s75
	s_cmp_lt_i32 s10, 11
	v_lshl_add_u64 v[2:3], s[22:23], 0, v[2:3]
	s_cbranch_scc1 .LBB473_24
; %bb.18:
	s_cmp_gt_i32 s10, 25
	s_cbranch_scc0 .LBB473_33
; %bb.19:
	s_cmp_gt_i32 s10, 28
	s_cbranch_scc0 .LBB473_36
	;; [unrolled: 3-line block ×4, first 2 shown]
; %bb.22:
	s_cmp_eq_u32 s10, 46
	s_mov_b64 s[6:7], 0
	s_cbranch_scc0 .LBB473_42
; %bb.23:
	global_load_dword v1, v[2:3], off
	s_mov_b64 s[2:3], -1
	s_mov_b64 s[4:5], 0
	s_waitcnt vmcnt(0)
	v_lshlrev_b32_e32 v1, 16, v1
	s_branch .LBB473_44
.LBB473_24:
	s_mov_b64 s[4:5], 0
                                        ; implicit-def: $vgpr1
	s_mov_b64 s[2:3], 0
	s_cbranch_execnz .LBB473_217
.LBB473_25:
	s_andn2_b64 vcc, exec, s[2:3]
	s_cbranch_vccnz .LBB473_264
.LBB473_26:
	v_max_f32_e64 v2, s46, s46
	s_waitcnt vmcnt(0)
	v_max_f32_e32 v3, v1, v1
	v_min_f32_e32 v2, v3, v2
	v_cmp_u_f32_e32 vcc, v1, v1
	s_and_b32 s12, s47, 0xff
	s_cmp_lt_i32 s12, 11
	v_cndmask_b32_e32 v2, v2, v1, vcc
	v_mov_b32_e32 v1, 0
	v_lshl_add_u64 v[0:1], s[20:21], 0, v[0:1]
	s_cbranch_scc1 .LBB473_34
; %bb.27:
	s_and_b32 s13, 0xffff, s12
	s_cmp_gt_i32 s13, 25
	s_cbranch_scc0 .LBB473_37
; %bb.28:
	s_cmp_gt_i32 s13, 28
	s_cbranch_scc0 .LBB473_39
; %bb.29:
	;; [unrolled: 3-line block ×4, first 2 shown]
	s_mov_b64 s[8:9], 0
	s_mov_b64 s[2:3], -1
	s_cmp_eq_u32 s13, 46
	s_mov_b64 s[6:7], 0
	s_cbranch_scc0 .LBB473_48
; %bb.32:
	v_bfe_u32 v3, v2, 16, 1
	s_movk_i32 s2, 0x7fff
	v_add3_u32 v3, v2, v3, s2
	v_cmp_o_f32_e32 vcc, v2, v2
	v_mov_b32_e32 v4, 0x7fc0
	s_mov_b64 s[6:7], -1
	v_cndmask_b32_sdwa v3, v4, v3, vcc dst_sel:DWORD dst_unused:UNUSED_PAD src0_sel:DWORD src1_sel:WORD_1
	global_store_dword v[0:1], v3, off
	s_mov_b64 s[2:3], 0
	s_branch .LBB473_48
.LBB473_33:
	s_mov_b64 s[4:5], 0
	s_mov_b64 s[2:3], 0
                                        ; implicit-def: $vgpr1
	s_cbranch_execnz .LBB473_182
	s_branch .LBB473_216
.LBB473_34:
	s_mov_b64 s[2:3], 0
	s_mov_b64 s[6:7], 0
	s_cbranch_execnz .LBB473_117
.LBB473_35:
	s_andn2_b64 vcc, exec, s[6:7]
	s_cbranch_vccnz .LBB473_265
	s_branch .LBB473_155
.LBB473_36:
	s_mov_b64 s[6:7], -1
	s_mov_b64 s[4:5], 0
	s_mov_b64 s[2:3], 0
                                        ; implicit-def: $vgpr1
	s_branch .LBB473_163
.LBB473_37:
	s_mov_b64 s[8:9], -1
	s_mov_b64 s[2:3], 0
	s_mov_b64 s[6:7], 0
	s_branch .LBB473_75
.LBB473_38:
	s_mov_b64 s[6:7], -1
	s_mov_b64 s[4:5], 0
	s_mov_b64 s[2:3], 0
                                        ; implicit-def: $vgpr1
	s_branch .LBB473_158
.LBB473_39:
	s_mov_b64 s[8:9], -1
	s_mov_b64 s[2:3], 0
	s_mov_b64 s[6:7], 0
	s_branch .LBB473_58
.LBB473_40:
	s_mov_b64 s[6:7], -1
	s_mov_b64 s[4:5], 0
	s_branch .LBB473_43
.LBB473_41:
	s_mov_b64 s[8:9], -1
	s_mov_b64 s[2:3], 0
	s_mov_b64 s[6:7], 0
	s_branch .LBB473_54
.LBB473_42:
	s_mov_b64 s[4:5], -1
.LBB473_43:
	s_mov_b64 s[2:3], 0
                                        ; implicit-def: $vgpr1
.LBB473_44:
	s_and_b64 vcc, exec, s[6:7]
	s_cbranch_vccz .LBB473_157
; %bb.45:
	s_cmp_eq_u32 s10, 44
	s_cbranch_scc0 .LBB473_156
; %bb.46:
	global_load_ubyte v1, v[2:3], off
	s_movk_i32 s4, 0xff
	v_mov_b32_e32 v4, 0x7f800001
	v_mov_b32_e32 v5, 0x400000
	s_mov_b64 s[2:3], -1
	s_waitcnt vmcnt(0)
	v_lshlrev_b32_e32 v6, 23, v1
	v_cmp_ne_u32_e32 vcc, s4, v1
	s_mov_b64 s[4:5], 0
	s_nop 0
	v_cndmask_b32_e32 v4, v4, v6, vcc
	v_cmp_ne_u32_e32 vcc, 0, v1
	s_nop 1
	v_cndmask_b32_e32 v1, v5, v4, vcc
	s_branch .LBB473_157
.LBB473_47:
	s_mov_b64 s[8:9], -1
	s_mov_b64 s[2:3], 0
	s_mov_b64 s[6:7], 0
.LBB473_48:
	s_and_b64 vcc, exec, s[8:9]
	s_cbranch_vccz .LBB473_53
; %bb.49:
	s_cmp_eq_u32 s13, 44
	s_mov_b64 s[2:3], -1
	s_cbranch_scc0 .LBB473_53
; %bb.50:
	v_bfe_u32 v3, v2, 23, 8
	s_movk_i32 s2, 0xff
	v_cmp_ne_u32_e32 vcc, s2, v3
	v_mov_b32_e32 v4, 0xff
	s_and_saveexec_b64 s[6:7], vcc
; %bb.51:
	s_mov_b32 s2, 0x3fffff
	v_and_b32_e32 v5, 0x400000, v2
	v_and_or_b32 v3, v2, s2, v3
	v_cmp_ne_u32_e32 vcc, 0, v5
	v_cmp_ne_u32_e64 s[2:3], 0, v3
	s_and_b64 s[2:3], vcc, s[2:3]
	v_lshrrev_b32_e32 v4, 23, v2
	v_cndmask_b32_e64 v3, 0, 1, s[2:3]
	v_add_u32_e32 v4, v4, v3
; %bb.52:
	s_or_b64 exec, exec, s[6:7]
	s_mov_b64 s[6:7], -1
	s_mov_b64 s[2:3], 0
	global_store_byte v[0:1], v4, off
.LBB473_53:
	s_mov_b64 s[8:9], 0
.LBB473_54:
	s_and_b64 vcc, exec, s[8:9]
	s_cbranch_vccz .LBB473_57
; %bb.55:
	s_cmp_eq_u32 s13, 29
	s_mov_b64 s[2:3], -1
	s_cbranch_scc0 .LBB473_57
; %bb.56:
	v_trunc_f32_e32 v3, v2
	v_mul_f32_e32 v4, 0x2f800000, v3
	v_floor_f32_e32 v4, v4
	v_fmamk_f32 v3, v4, 0xcf800000, v3
	v_cvt_u32_f32_e32 v5, v4
	v_cvt_u32_f32_e32 v4, v3
	s_mov_b64 s[6:7], -1
	s_mov_b64 s[2:3], 0
	s_mov_b64 s[8:9], 0
	global_store_dwordx2 v[0:1], v[4:5], off
	s_branch .LBB473_58
.LBB473_57:
	s_mov_b64 s[8:9], 0
.LBB473_58:
	s_and_b64 vcc, exec, s[8:9]
	s_cbranch_vccz .LBB473_74
; %bb.59:
	s_cmp_lt_i32 s13, 27
	s_mov_b64 s[6:7], -1
	s_cbranch_scc1 .LBB473_65
; %bb.60:
	v_cvt_u32_f32_e32 v3, v2
	s_cmp_gt_i32 s13, 27
	s_cbranch_scc0 .LBB473_62
; %bb.61:
	s_mov_b64 s[6:7], 0
	global_store_dword v[0:1], v3, off
.LBB473_62:
	s_andn2_b64 vcc, exec, s[6:7]
	s_cbranch_vccnz .LBB473_64
; %bb.63:
	global_store_short v[0:1], v3, off
.LBB473_64:
	s_mov_b64 s[6:7], 0
.LBB473_65:
	s_andn2_b64 vcc, exec, s[6:7]
	s_cbranch_vccnz .LBB473_73
; %bb.66:
	v_and_b32_e32 v3, 0x7fffffff, v2
	s_mov_b32 s6, 0x43800000
	v_cmp_gt_u32_e32 vcc, s6, v3
	v_mov_b32_e32 v4, 0x80
	s_and_saveexec_b64 s[6:7], vcc
	s_cbranch_execz .LBB473_72
; %bb.67:
	s_mov_b32 s8, 0x3bffffff
	v_cmp_lt_u32_e32 vcc, s8, v3
	s_mov_b64 s[8:9], 0
                                        ; implicit-def: $vgpr3
	s_and_saveexec_b64 s[10:11], vcc
	s_xor_b64 s[10:11], exec, s[10:11]
	s_cbranch_execz .LBB473_309
; %bb.68:
	v_bfe_u32 v3, v2, 20, 1
	s_mov_b32 s14, 0x487ffff
	v_add3_u32 v3, v2, v3, s14
	s_mov_b64 s[8:9], exec
	v_lshrrev_b32_e32 v3, 20, v3
	s_andn2_saveexec_b64 s[10:11], s[10:11]
	s_cbranch_execnz .LBB473_310
.LBB473_69:
	s_or_b64 exec, exec, s[10:11]
	v_mov_b32_e32 v4, 0
	s_and_saveexec_b64 s[10:11], s[8:9]
.LBB473_70:
	v_lshrrev_b32_e32 v4, 24, v2
	s_movk_i32 s8, 0x80
	v_and_or_b32 v4, v4, s8, v3
.LBB473_71:
	s_or_b64 exec, exec, s[10:11]
.LBB473_72:
	s_or_b64 exec, exec, s[6:7]
	global_store_byte v[0:1], v4, off
.LBB473_73:
	s_mov_b64 s[6:7], -1
.LBB473_74:
	s_mov_b64 s[8:9], 0
.LBB473_75:
	s_and_b64 vcc, exec, s[8:9]
	s_cbranch_vccz .LBB473_116
; %bb.76:
	s_cmp_gt_i32 s13, 22
	s_mov_b64 s[8:9], -1
	s_cbranch_scc0 .LBB473_108
; %bb.77:
	s_cmp_lt_i32 s13, 24
	s_mov_b64 s[6:7], -1
	s_cbranch_scc1 .LBB473_97
; %bb.78:
	s_cmp_gt_i32 s13, 24
	s_cbranch_scc0 .LBB473_86
; %bb.79:
	v_and_b32_e32 v3, 0x7fffffff, v2
	s_mov_b32 s6, 0x47800000
	v_cmp_gt_u32_e32 vcc, s6, v3
	v_mov_b32_e32 v4, 0x80
	s_and_saveexec_b64 s[6:7], vcc
	s_cbranch_execz .LBB473_85
; %bb.80:
	s_mov_b32 s8, 0x37ffffff
	v_cmp_lt_u32_e32 vcc, s8, v3
	s_mov_b64 s[8:9], 0
                                        ; implicit-def: $vgpr3
	s_and_saveexec_b64 s[10:11], vcc
	s_xor_b64 s[10:11], exec, s[10:11]
	s_cbranch_execz .LBB473_313
; %bb.81:
	v_bfe_u32 v3, v2, 21, 1
	s_mov_b32 s14, 0x88fffff
	v_add3_u32 v3, v2, v3, s14
	s_mov_b64 s[8:9], exec
	v_lshrrev_b32_e32 v3, 21, v3
	s_andn2_saveexec_b64 s[10:11], s[10:11]
	s_cbranch_execnz .LBB473_314
.LBB473_82:
	s_or_b64 exec, exec, s[10:11]
	v_mov_b32_e32 v4, 0
	s_and_saveexec_b64 s[10:11], s[8:9]
.LBB473_83:
	v_lshrrev_b32_e32 v4, 24, v2
	s_movk_i32 s8, 0x80
	v_and_or_b32 v4, v4, s8, v3
.LBB473_84:
	s_or_b64 exec, exec, s[10:11]
.LBB473_85:
	s_or_b64 exec, exec, s[6:7]
	s_mov_b64 s[6:7], 0
	global_store_byte v[0:1], v4, off
.LBB473_86:
	s_and_b64 vcc, exec, s[6:7]
	s_cbranch_vccz .LBB473_96
; %bb.87:
	v_and_b32_e32 v4, 0x7fffffff, v2
	s_mov_b32 s6, 0x43f00000
	v_cmp_gt_u32_e32 vcc, s6, v4
                                        ; implicit-def: $vgpr3
	s_and_saveexec_b64 s[6:7], vcc
	s_xor_b64 s[6:7], exec, s[6:7]
	s_cbranch_execz .LBB473_93
; %bb.88:
	s_mov_b32 s8, 0x3c7fffff
	v_cmp_lt_u32_e32 vcc, s8, v4
                                        ; implicit-def: $vgpr3
	s_and_saveexec_b64 s[8:9], vcc
	s_xor_b64 s[8:9], exec, s[8:9]
; %bb.89:
	v_bfe_u32 v3, v2, 20, 1
	s_mov_b32 s10, 0x407ffff
	v_add3_u32 v3, v2, v3, s10
	v_lshrrev_b32_e32 v4, 20, v3
	v_and_b32_e32 v3, 0xff00000, v3
	s_mov_b32 s10, 0x7f00000
	v_mov_b32_e32 v5, 0x7e
	v_cmp_ne_u32_e32 vcc, s10, v3
	s_nop 1
	v_cndmask_b32_e32 v3, v5, v4, vcc
; %bb.90:
	s_andn2_saveexec_b64 s[8:9], s[8:9]
; %bb.91:
	s_mov_b32 s10, 0x46800000
	v_add_f32_e64 v3, |v2|, s10
; %bb.92:
	s_or_b64 exec, exec, s[8:9]
                                        ; implicit-def: $vgpr4
.LBB473_93:
	s_andn2_saveexec_b64 s[6:7], s[6:7]
; %bb.94:
	s_mov_b32 s8, 0x7f800000
	v_mov_b32_e32 v3, 0x7e
	v_mov_b32_e32 v5, 0x7f
	v_cmp_lt_u32_e32 vcc, s8, v4
	s_nop 1
	v_cndmask_b32_e32 v3, v3, v5, vcc
; %bb.95:
	s_or_b64 exec, exec, s[6:7]
	v_lshrrev_b32_e32 v4, 24, v2
	s_movk_i32 s6, 0x80
	v_and_or_b32 v3, v4, s6, v3
	global_store_byte v[0:1], v3, off
.LBB473_96:
	s_mov_b64 s[6:7], 0
.LBB473_97:
	s_andn2_b64 vcc, exec, s[6:7]
	s_cbranch_vccnz .LBB473_107
; %bb.98:
	v_and_b32_e32 v4, 0x7fffffff, v2
	s_mov_b32 s6, 0x47800000
	v_cmp_gt_u32_e32 vcc, s6, v4
                                        ; implicit-def: $vgpr3
	s_and_saveexec_b64 s[6:7], vcc
	s_xor_b64 s[6:7], exec, s[6:7]
	s_cbranch_execz .LBB473_104
; %bb.99:
	s_mov_b32 s8, 0x387fffff
	v_cmp_lt_u32_e32 vcc, s8, v4
                                        ; implicit-def: $vgpr3
	s_and_saveexec_b64 s[8:9], vcc
	s_xor_b64 s[8:9], exec, s[8:9]
; %bb.100:
	v_bfe_u32 v3, v2, 21, 1
	s_mov_b32 s10, 0x80fffff
	v_add3_u32 v3, v2, v3, s10
	v_lshrrev_b32_e32 v3, 21, v3
; %bb.101:
	s_andn2_saveexec_b64 s[8:9], s[8:9]
; %bb.102:
	s_mov_b32 s10, 0x43000000
	v_add_f32_e64 v3, |v2|, s10
; %bb.103:
	s_or_b64 exec, exec, s[8:9]
                                        ; implicit-def: $vgpr4
.LBB473_104:
	s_andn2_saveexec_b64 s[6:7], s[6:7]
; %bb.105:
	s_mov_b32 s8, 0x7f800000
	v_mov_b32_e32 v3, 0x7c
	v_mov_b32_e32 v5, 0x7f
	v_cmp_lt_u32_e32 vcc, s8, v4
	s_nop 1
	v_cndmask_b32_e32 v3, v3, v5, vcc
; %bb.106:
	s_or_b64 exec, exec, s[6:7]
	v_lshrrev_b32_e32 v4, 24, v2
	s_movk_i32 s6, 0x80
	v_and_or_b32 v3, v4, s6, v3
	global_store_byte v[0:1], v3, off
.LBB473_107:
	s_mov_b64 s[8:9], 0
	s_mov_b64 s[6:7], -1
.LBB473_108:
	s_andn2_b64 vcc, exec, s[8:9]
	s_cbranch_vccnz .LBB473_116
; %bb.109:
	s_cmp_gt_i32 s13, 14
	s_mov_b64 s[8:9], -1
	s_cbranch_scc0 .LBB473_113
; %bb.110:
	s_cmp_eq_u32 s13, 15
	s_mov_b64 s[2:3], -1
	s_cbranch_scc0 .LBB473_112
; %bb.111:
	v_bfe_u32 v3, v2, 16, 1
	s_movk_i32 s2, 0x7fff
	v_add3_u32 v3, v2, v3, s2
	v_cmp_o_f32_e32 vcc, v2, v2
	v_mov_b32_e32 v4, 0x7fc0
	s_mov_b64 s[6:7], -1
	v_cndmask_b32_sdwa v3, v4, v3, vcc dst_sel:DWORD dst_unused:UNUSED_PAD src0_sel:DWORD src1_sel:WORD_1
	global_store_short v[0:1], v3, off
	s_mov_b64 s[2:3], 0
.LBB473_112:
	s_mov_b64 s[8:9], 0
.LBB473_113:
	s_and_b64 vcc, exec, s[8:9]
	s_cbranch_vccz .LBB473_116
; %bb.114:
	s_cmp_eq_u32 s13, 11
	s_mov_b64 s[2:3], -1
	s_cbranch_scc0 .LBB473_116
; %bb.115:
	v_cmp_neq_f32_e32 vcc, 0, v2
	s_mov_b64 s[6:7], -1
	s_mov_b64 s[2:3], 0
	v_cndmask_b32_e64 v3, 0, 1, vcc
	global_store_byte v[0:1], v3, off
.LBB473_116:
	s_branch .LBB473_35
.LBB473_117:
	s_and_b32 s8, 0xffff, s12
	s_cmp_lt_i32 s8, 5
	s_mov_b64 s[6:7], -1
	s_cbranch_scc1 .LBB473_138
; %bb.118:
	s_cmp_lt_i32 s8, 8
	s_cbranch_scc1 .LBB473_128
; %bb.119:
	s_cmp_lt_i32 s8, 9
	s_cbranch_scc1 .LBB473_125
; %bb.120:
	s_cmp_gt_i32 s8, 9
	s_cbranch_scc0 .LBB473_122
; %bb.121:
	v_mov_b32_e32 v6, 0
	v_cvt_f64_f32_e32 v[4:5], v2
	v_mov_b32_e32 v7, v6
	global_store_dwordx4 v[0:1], v[4:7], off
	s_mov_b64 s[6:7], 0
.LBB473_122:
	s_andn2_b64 vcc, exec, s[6:7]
	s_cbranch_vccnz .LBB473_124
; %bb.123:
	v_mov_b32_e32 v3, 0
	global_store_dwordx2 v[0:1], v[2:3], off
.LBB473_124:
	s_mov_b64 s[6:7], 0
.LBB473_125:
	s_andn2_b64 vcc, exec, s[6:7]
	s_cbranch_vccnz .LBB473_127
; %bb.126:
	v_cvt_f16_f32_e32 v3, v2
	global_store_dword v[0:1], v3, off
.LBB473_127:
	s_mov_b64 s[6:7], 0
.LBB473_128:
	s_andn2_b64 vcc, exec, s[6:7]
	s_cbranch_vccnz .LBB473_137
; %bb.129:
	s_cmp_lt_i32 s8, 6
	s_mov_b64 s[6:7], -1
	s_cbranch_scc1 .LBB473_135
; %bb.130:
	s_cmp_gt_i32 s8, 6
	s_cbranch_scc0 .LBB473_132
; %bb.131:
	v_cvt_f64_f32_e32 v[4:5], v2
	global_store_dwordx2 v[0:1], v[4:5], off
	s_mov_b64 s[6:7], 0
.LBB473_132:
	s_andn2_b64 vcc, exec, s[6:7]
	s_cbranch_vccnz .LBB473_134
; %bb.133:
	global_store_dword v[0:1], v2, off
.LBB473_134:
	s_mov_b64 s[6:7], 0
.LBB473_135:
	s_andn2_b64 vcc, exec, s[6:7]
	s_cbranch_vccnz .LBB473_137
; %bb.136:
	v_cvt_f16_f32_e32 v3, v2
	global_store_short v[0:1], v3, off
.LBB473_137:
	s_mov_b64 s[6:7], 0
.LBB473_138:
	s_andn2_b64 vcc, exec, s[6:7]
	s_cbranch_vccnz .LBB473_154
; %bb.139:
	s_cmp_lt_i32 s8, 2
	s_mov_b64 s[6:7], -1
	s_cbranch_scc1 .LBB473_149
; %bb.140:
	s_cmp_lt_i32 s8, 3
	s_cbranch_scc1 .LBB473_146
; %bb.141:
	s_cmp_gt_i32 s8, 3
	s_cbranch_scc0 .LBB473_143
; %bb.142:
	v_trunc_f32_e32 v3, v2
	s_mov_b32 s6, 0x2f800000
	v_mul_f32_e64 v4, |v3|, s6
	v_floor_f32_e32 v4, v4
	s_mov_b32 s6, 0xcf800000
	v_cvt_u32_f32_e32 v5, v4
	v_fma_f32 v4, v4, s6, |v3|
	v_cvt_u32_f32_e32 v4, v4
	v_ashrrev_i32_e32 v3, 31, v3
	v_xor_b32_e32 v5, v5, v3
	s_mov_b64 s[6:7], 0
	v_xor_b32_e32 v4, v4, v3
	v_sub_co_u32_e32 v4, vcc, v4, v3
	s_nop 1
	v_subb_co_u32_e32 v5, vcc, v5, v3, vcc
	global_store_dwordx2 v[0:1], v[4:5], off
.LBB473_143:
	s_andn2_b64 vcc, exec, s[6:7]
	s_cbranch_vccnz .LBB473_145
; %bb.144:
	v_cvt_i32_f32_e32 v3, v2
	global_store_dword v[0:1], v3, off
.LBB473_145:
	s_mov_b64 s[6:7], 0
.LBB473_146:
	s_andn2_b64 vcc, exec, s[6:7]
	s_cbranch_vccnz .LBB473_148
; %bb.147:
	v_cvt_i32_f32_e32 v3, v2
	global_store_short v[0:1], v3, off
.LBB473_148:
	s_mov_b64 s[6:7], 0
.LBB473_149:
	s_andn2_b64 vcc, exec, s[6:7]
	s_cbranch_vccnz .LBB473_154
; %bb.150:
	s_cmp_gt_i32 s8, 0
	s_mov_b64 s[6:7], -1
	s_cbranch_scc0 .LBB473_152
; %bb.151:
	v_cvt_i32_f32_e32 v3, v2
	s_mov_b64 s[6:7], 0
	global_store_byte v[0:1], v3, off
.LBB473_152:
	s_andn2_b64 vcc, exec, s[6:7]
	s_cbranch_vccnz .LBB473_154
; %bb.153:
	v_trunc_f32_e32 v2, v2
	s_mov_b32 s6, 0x2f800000
	v_mul_f32_e64 v3, |v2|, s6
	v_floor_f32_e32 v3, v3
	s_mov_b32 s6, 0xcf800000
	v_fma_f32 v3, v3, s6, |v2|
	v_cvt_u32_f32_e32 v3, v3
	v_ashrrev_i32_e32 v2, 31, v2
	v_xor_b32_e32 v3, v3, v2
	v_sub_u32_e32 v2, v3, v2
	global_store_byte v[0:1], v2, off
.LBB473_154:
.LBB473_155:
	v_add_u32_e32 v8, 0x80, v8
	s_mov_b64 s[6:7], -1
	s_branch .LBB473_266
.LBB473_156:
	s_mov_b64 s[4:5], -1
                                        ; implicit-def: $vgpr1
.LBB473_157:
	s_mov_b64 s[6:7], 0
.LBB473_158:
	s_and_b64 vcc, exec, s[6:7]
	s_cbranch_vccz .LBB473_162
; %bb.159:
	s_cmp_eq_u32 s10, 29
	s_cbranch_scc0 .LBB473_161
; %bb.160:
	global_load_dwordx2 v[4:5], v[2:3], off
	s_mov_b64 s[2:3], -1
	s_mov_b64 s[4:5], 0
	s_mov_b64 s[6:7], 0
	s_waitcnt vmcnt(0)
	v_ffbh_u32_e32 v1, v5
	v_min_u32_e32 v1, 32, v1
	v_lshlrev_b64 v[4:5], v1, v[4:5]
	v_min_u32_e32 v4, 1, v4
	v_or_b32_e32 v4, v5, v4
	v_cvt_f32_u32_e32 v4, v4
	v_sub_u32_e32 v1, 32, v1
	v_ldexp_f32 v1, v4, v1
	s_branch .LBB473_163
.LBB473_161:
	s_mov_b64 s[4:5], -1
                                        ; implicit-def: $vgpr1
.LBB473_162:
	s_mov_b64 s[6:7], 0
.LBB473_163:
	s_and_b64 vcc, exec, s[6:7]
	s_cbranch_vccz .LBB473_181
; %bb.164:
	s_cmp_lt_i32 s10, 27
	s_cbranch_scc1 .LBB473_167
; %bb.165:
	s_cmp_gt_i32 s10, 27
	s_cbranch_scc0 .LBB473_168
; %bb.166:
	global_load_dword v1, v[2:3], off
	s_mov_b64 s[2:3], 0
	s_waitcnt vmcnt(0)
	v_cvt_f32_u32_e32 v1, v1
	s_branch .LBB473_169
.LBB473_167:
	s_mov_b64 s[2:3], -1
                                        ; implicit-def: $vgpr1
	s_branch .LBB473_172
.LBB473_168:
	s_mov_b64 s[2:3], -1
                                        ; implicit-def: $vgpr1
.LBB473_169:
	s_andn2_b64 vcc, exec, s[2:3]
	s_cbranch_vccnz .LBB473_171
; %bb.170:
	global_load_ushort v1, v[2:3], off
	s_waitcnt vmcnt(0)
	v_cvt_f32_u32_e32 v1, v1
.LBB473_171:
	s_mov_b64 s[2:3], 0
.LBB473_172:
	s_andn2_b64 vcc, exec, s[2:3]
	s_cbranch_vccnz .LBB473_180
; %bb.173:
	global_load_ubyte v4, v[2:3], off
	s_movk_i32 s2, 0x7f
	s_waitcnt vmcnt(0)
	v_cmp_lt_i16_e32 vcc, s2, v4
	s_mov_b64 s[2:3], 0
	s_and_saveexec_b64 s[6:7], vcc
	s_xor_b64 s[6:7], exec, s[6:7]
	s_cbranch_execz .LBB473_193
; %bb.174:
	s_movk_i32 s2, 0x80
	v_cmp_eq_u16_e32 vcc, s2, v4
	s_mov_b64 s[2:3], -1
	s_and_saveexec_b64 s[8:9], vcc
; %bb.175:
	s_xor_b64 s[2:3], exec, -1
; %bb.176:
	s_or_b64 exec, exec, s[8:9]
	s_and_b64 s[2:3], s[2:3], exec
	s_or_saveexec_b64 s[6:7], s[6:7]
	v_mov_b32_e32 v1, 0x7f800001
	s_xor_b64 exec, exec, s[6:7]
	s_cbranch_execnz .LBB473_194
.LBB473_177:
	s_or_b64 exec, exec, s[6:7]
	s_and_saveexec_b64 s[6:7], s[2:3]
	s_cbranch_execz .LBB473_179
.LBB473_178:
	v_lshlrev_b32_e32 v1, 24, v4
	v_and_b32_e32 v4, 0xffff, v4
	v_and_b32_e32 v5, 7, v4
	v_ffbh_u32_e32 v7, v5
	v_min_u32_e32 v7, 32, v7
	v_subrev_u32_e32 v9, 28, v7
	v_bfe_u32 v6, v4, 3, 4
	v_lshlrev_b32_e32 v4, v9, v4
	v_sub_u32_e32 v7, 29, v7
	v_and_b32_e32 v4, 7, v4
	v_cmp_eq_u32_e32 vcc, 0, v6
	v_and_b32_e32 v1, 0x80000000, v1
	s_nop 0
	v_cndmask_b32_e32 v6, v6, v7, vcc
	v_cndmask_b32_e32 v4, v5, v4, vcc
	v_mov_b32_e32 v5, 0x3b800000
	v_lshlrev_b32_e32 v4, 20, v4
	v_lshl_add_u32 v5, v6, 23, v5
	v_or3_b32 v1, v1, v5, v4
.LBB473_179:
	s_or_b64 exec, exec, s[6:7]
.LBB473_180:
	s_mov_b64 s[2:3], -1
.LBB473_181:
	s_branch .LBB473_216
.LBB473_182:
	s_cmp_gt_i32 s10, 22
	s_cbranch_scc0 .LBB473_192
; %bb.183:
	s_cmp_lt_i32 s10, 24
	s_cbranch_scc1 .LBB473_195
; %bb.184:
	s_cmp_gt_i32 s10, 24
	s_cbranch_scc0 .LBB473_196
; %bb.185:
	global_load_ubyte v4, v[2:3], off
	s_movk_i32 s2, 0x7f
	s_waitcnt vmcnt(0)
	v_cmp_lt_i16_e32 vcc, s2, v4
	s_mov_b64 s[2:3], 0
	s_and_saveexec_b64 s[6:7], vcc
	s_xor_b64 s[6:7], exec, s[6:7]
	s_cbranch_execz .LBB473_208
; %bb.186:
	s_movk_i32 s2, 0x80
	v_cmp_eq_u16_e32 vcc, s2, v4
	s_mov_b64 s[2:3], -1
	s_and_saveexec_b64 s[8:9], vcc
; %bb.187:
	s_xor_b64 s[2:3], exec, -1
; %bb.188:
	s_or_b64 exec, exec, s[8:9]
	s_and_b64 s[2:3], s[2:3], exec
	s_or_saveexec_b64 s[6:7], s[6:7]
	v_mov_b32_e32 v1, 0x7f800001
	s_xor_b64 exec, exec, s[6:7]
	s_cbranch_execnz .LBB473_209
.LBB473_189:
	s_or_b64 exec, exec, s[6:7]
	s_and_saveexec_b64 s[6:7], s[2:3]
	s_cbranch_execz .LBB473_191
.LBB473_190:
	v_lshlrev_b32_e32 v1, 24, v4
	v_and_b32_e32 v4, 0xffff, v4
	v_and_b32_e32 v5, 3, v4
	v_ffbh_u32_e32 v7, v5
	v_min_u32_e32 v7, 32, v7
	v_subrev_u32_e32 v9, 29, v7
	v_bfe_u32 v6, v4, 2, 5
	v_lshlrev_b32_e32 v4, v9, v4
	v_sub_u32_e32 v7, 30, v7
	v_and_b32_e32 v4, 3, v4
	v_cmp_eq_u32_e32 vcc, 0, v6
	v_and_b32_e32 v1, 0x80000000, v1
	s_nop 0
	v_cndmask_b32_e32 v6, v6, v7, vcc
	v_cndmask_b32_e32 v4, v5, v4, vcc
	v_mov_b32_e32 v5, 0x37800000
	v_lshlrev_b32_e32 v4, 21, v4
	v_lshl_add_u32 v5, v6, 23, v5
	v_or3_b32 v1, v1, v5, v4
.LBB473_191:
	s_or_b64 exec, exec, s[6:7]
	s_mov_b64 s[2:3], 0
	s_branch .LBB473_197
.LBB473_192:
	s_mov_b64 s[6:7], -1
                                        ; implicit-def: $vgpr1
	s_branch .LBB473_203
.LBB473_193:
	s_or_saveexec_b64 s[6:7], s[6:7]
	v_mov_b32_e32 v1, 0x7f800001
	s_xor_b64 exec, exec, s[6:7]
	s_cbranch_execz .LBB473_177
.LBB473_194:
	v_cmp_ne_u16_e32 vcc, 0, v4
	s_andn2_b64 s[2:3], s[2:3], exec
	s_and_b64 s[8:9], vcc, exec
	v_mov_b32_e32 v1, 0
	s_or_b64 s[2:3], s[2:3], s[8:9]
	s_or_b64 exec, exec, s[6:7]
	s_and_saveexec_b64 s[6:7], s[2:3]
	s_cbranch_execnz .LBB473_178
	s_branch .LBB473_179
.LBB473_195:
	s_mov_b64 s[2:3], -1
                                        ; implicit-def: $vgpr1
	s_branch .LBB473_200
.LBB473_196:
	s_mov_b64 s[2:3], -1
                                        ; implicit-def: $vgpr1
.LBB473_197:
	s_and_b64 vcc, exec, s[2:3]
	s_cbranch_vccz .LBB473_199
; %bb.198:
	global_load_ubyte v1, v[2:3], off
	s_mov_b32 s2, 0x7f800000
	s_waitcnt vmcnt(0)
	v_lshlrev_b32_e32 v1, 24, v1
	v_and_b32_e32 v4, 0x7f000000, v1
	v_ffbh_u32_e32 v5, v4
	v_min_u32_e32 v5, 32, v5
	v_sub_u32_e64 v5, v5, 4 clamp
	v_lshlrev_b32_e32 v7, v5, v4
	v_lshlrev_b32_e32 v5, 23, v5
	v_lshrrev_b32_e32 v7, 4, v7
	v_add_u32_e32 v6, 0x1000000, v4
	v_sub_u32_e32 v5, v7, v5
	v_ashrrev_i32_e32 v6, 8, v6
	v_add_u32_e32 v5, 0x3c000000, v5
	v_and_or_b32 v5, v6, s2, v5
	v_cmp_ne_u32_e32 vcc, 0, v4
	s_brev_b32 s2, 1
	s_nop 0
	v_cndmask_b32_e32 v4, 0, v5, vcc
	v_and_or_b32 v1, v1, s2, v4
.LBB473_199:
	s_mov_b64 s[2:3], 0
.LBB473_200:
	s_andn2_b64 vcc, exec, s[2:3]
	s_cbranch_vccnz .LBB473_202
; %bb.201:
	global_load_ubyte v1, v[2:3], off
	s_movk_i32 s2, 0x7f00
	s_brev_b32 s3, 16
	s_waitcnt vmcnt(0)
	v_lshlrev_b16_e32 v4, 8, v1
	v_lshlrev_b32_e32 v1, 25, v1
	v_lshrrev_b32_e32 v5, 4, v1
	v_and_or_b32 v6, v4, s2, 0.5
	v_or_b32_e32 v5, 0x70000000, v5
	v_add_f32_e32 v6, -0.5, v6
	v_mul_f32_e32 v5, 0x7800000, v5
	v_cmp_gt_u32_e32 vcc, s3, v1
	v_bfe_i32 v4, v4, 0, 16
	s_brev_b32 s2, 1
	v_cndmask_b32_e32 v1, v5, v6, vcc
	v_and_or_b32 v1, v4, s2, v1
.LBB473_202:
	s_mov_b64 s[6:7], 0
	s_mov_b64 s[2:3], -1
.LBB473_203:
	s_andn2_b64 vcc, exec, s[6:7]
	s_cbranch_vccnz .LBB473_216
; %bb.204:
	s_cmp_gt_i32 s10, 14
	s_cbranch_scc0 .LBB473_207
; %bb.205:
	s_cmp_eq_u32 s10, 15
	s_cbranch_scc0 .LBB473_210
; %bb.206:
	global_load_ushort v1, v[2:3], off
	s_mov_b64 s[2:3], -1
	s_mov_b64 s[4:5], 0
	s_waitcnt vmcnt(0)
	v_lshlrev_b32_e32 v1, 16, v1
	s_branch .LBB473_211
.LBB473_207:
	s_mov_b64 s[6:7], -1
                                        ; implicit-def: $vgpr1
	s_branch .LBB473_212
.LBB473_208:
	s_or_saveexec_b64 s[6:7], s[6:7]
	v_mov_b32_e32 v1, 0x7f800001
	s_xor_b64 exec, exec, s[6:7]
	s_cbranch_execz .LBB473_189
.LBB473_209:
	v_cmp_ne_u16_e32 vcc, 0, v4
	s_andn2_b64 s[2:3], s[2:3], exec
	s_and_b64 s[8:9], vcc, exec
	v_mov_b32_e32 v1, 0
	s_or_b64 s[2:3], s[2:3], s[8:9]
	s_or_b64 exec, exec, s[6:7]
	s_and_saveexec_b64 s[6:7], s[2:3]
	s_cbranch_execnz .LBB473_190
	s_branch .LBB473_191
.LBB473_210:
	s_mov_b64 s[4:5], -1
                                        ; implicit-def: $vgpr1
.LBB473_211:
	s_mov_b64 s[6:7], 0
.LBB473_212:
	s_and_b64 vcc, exec, s[6:7]
	s_cbranch_vccz .LBB473_216
; %bb.213:
	s_cmp_eq_u32 s10, 11
	s_cbranch_scc0 .LBB473_215
; %bb.214:
	global_load_ubyte v1, v[2:3], off
	s_mov_b64 s[2:3], -1
	s_mov_b64 s[4:5], 0
	s_waitcnt vmcnt(0)
	v_cmp_ne_u16_e32 vcc, 0, v1
	s_nop 1
	v_cndmask_b32_e64 v1, 0, 1.0, vcc
	s_branch .LBB473_216
.LBB473_215:
	s_mov_b64 s[4:5], -1
                                        ; implicit-def: $vgpr1
.LBB473_216:
	s_branch .LBB473_25
.LBB473_217:
	s_cmp_lt_i32 s10, 5
	s_cbranch_scc1 .LBB473_222
; %bb.218:
	s_cmp_lt_i32 s10, 8
	s_cbranch_scc1 .LBB473_223
; %bb.219:
	;; [unrolled: 3-line block ×3, first 2 shown]
	s_cmp_gt_i32 s10, 9
	s_cbranch_scc0 .LBB473_225
; %bb.221:
	global_load_dwordx2 v[4:5], v[2:3], off
	s_mov_b64 s[2:3], 0
	s_waitcnt vmcnt(0)
	v_cvt_f32_f64_e32 v1, v[4:5]
	s_branch .LBB473_226
.LBB473_222:
                                        ; implicit-def: $vgpr1
	s_branch .LBB473_244
.LBB473_223:
	s_mov_b64 s[2:3], -1
                                        ; implicit-def: $vgpr1
	s_branch .LBB473_232
.LBB473_224:
	s_mov_b64 s[2:3], -1
                                        ; implicit-def: $vgpr1
	s_branch .LBB473_229
.LBB473_225:
	s_mov_b64 s[2:3], -1
                                        ; implicit-def: $vgpr1
.LBB473_226:
	s_andn2_b64 vcc, exec, s[2:3]
	s_cbranch_vccnz .LBB473_228
; %bb.227:
	global_load_dword v1, v[2:3], off
.LBB473_228:
	s_mov_b64 s[2:3], 0
.LBB473_229:
	s_andn2_b64 vcc, exec, s[2:3]
	s_cbranch_vccnz .LBB473_231
; %bb.230:
	global_load_dword v1, v[2:3], off
	s_waitcnt vmcnt(0)
	v_cvt_f32_f16_e32 v1, v1
.LBB473_231:
	s_mov_b64 s[2:3], 0
.LBB473_232:
	s_andn2_b64 vcc, exec, s[2:3]
	s_cbranch_vccnz .LBB473_243
; %bb.233:
	s_cmp_lt_i32 s10, 6
	s_cbranch_scc1 .LBB473_236
; %bb.234:
	s_cmp_gt_i32 s10, 6
	s_cbranch_scc0 .LBB473_237
; %bb.235:
	global_load_dwordx2 v[4:5], v[2:3], off
	s_mov_b64 s[2:3], 0
	s_waitcnt vmcnt(0)
	v_cvt_f32_f64_e32 v1, v[4:5]
	s_branch .LBB473_238
.LBB473_236:
	s_mov_b64 s[2:3], -1
                                        ; implicit-def: $vgpr1
	s_branch .LBB473_241
.LBB473_237:
	s_mov_b64 s[2:3], -1
                                        ; implicit-def: $vgpr1
.LBB473_238:
	s_andn2_b64 vcc, exec, s[2:3]
	s_cbranch_vccnz .LBB473_240
; %bb.239:
	global_load_dword v1, v[2:3], off
.LBB473_240:
	s_mov_b64 s[2:3], 0
.LBB473_241:
	s_andn2_b64 vcc, exec, s[2:3]
	s_cbranch_vccnz .LBB473_243
; %bb.242:
	global_load_ushort v1, v[2:3], off
	s_waitcnt vmcnt(0)
	v_cvt_f32_f16_e32 v1, v1
.LBB473_243:
	s_cbranch_execnz .LBB473_263
.LBB473_244:
	s_cmp_lt_i32 s10, 2
	s_cbranch_scc1 .LBB473_248
; %bb.245:
	s_cmp_lt_i32 s10, 3
	s_cbranch_scc1 .LBB473_249
; %bb.246:
	s_cmp_gt_i32 s10, 3
	s_cbranch_scc0 .LBB473_250
; %bb.247:
	global_load_dwordx2 v[4:5], v[2:3], off
	s_mov_b64 s[2:3], 0
	s_waitcnt vmcnt(0)
	v_xor_b32_e32 v6, v4, v5
	v_ffbh_i32_e32 v1, v5
	v_ashrrev_i32_e32 v6, 31, v6
	v_add_u32_e32 v1, -1, v1
	v_add_u32_e32 v6, 32, v6
	v_min_u32_e32 v1, v1, v6
	v_lshlrev_b64 v[4:5], v1, v[4:5]
	v_min_u32_e32 v4, 1, v4
	v_or_b32_e32 v4, v5, v4
	v_cvt_f32_i32_e32 v4, v4
	v_sub_u32_e32 v1, 32, v1
	v_ldexp_f32 v1, v4, v1
	s_branch .LBB473_251
.LBB473_248:
	s_mov_b64 s[2:3], -1
                                        ; implicit-def: $vgpr1
	s_branch .LBB473_257
.LBB473_249:
	s_mov_b64 s[2:3], -1
                                        ; implicit-def: $vgpr1
	s_branch .LBB473_254
.LBB473_250:
	s_mov_b64 s[2:3], -1
                                        ; implicit-def: $vgpr1
.LBB473_251:
	s_andn2_b64 vcc, exec, s[2:3]
	s_cbranch_vccnz .LBB473_253
; %bb.252:
	global_load_dword v1, v[2:3], off
	s_waitcnt vmcnt(0)
	v_cvt_f32_i32_e32 v1, v1
.LBB473_253:
	s_mov_b64 s[2:3], 0
.LBB473_254:
	s_andn2_b64 vcc, exec, s[2:3]
	s_cbranch_vccnz .LBB473_256
; %bb.255:
	global_load_sshort v1, v[2:3], off
	s_waitcnt vmcnt(0)
	v_cvt_f32_i32_e32 v1, v1
.LBB473_256:
	s_mov_b64 s[2:3], 0
.LBB473_257:
	s_andn2_b64 vcc, exec, s[2:3]
	s_cbranch_vccnz .LBB473_263
; %bb.258:
	s_cmp_gt_i32 s10, 0
	s_cbranch_scc0 .LBB473_260
; %bb.259:
	global_load_sbyte v1, v[2:3], off
	s_mov_b64 s[2:3], 0
	s_waitcnt vmcnt(0)
	v_cvt_f32_i32_e32 v1, v1
	s_branch .LBB473_261
.LBB473_260:
	s_mov_b64 s[2:3], -1
                                        ; implicit-def: $vgpr1
.LBB473_261:
	s_andn2_b64 vcc, exec, s[2:3]
	s_cbranch_vccnz .LBB473_263
; %bb.262:
	global_load_ubyte v1, v[2:3], off
	s_waitcnt vmcnt(0)
	v_cvt_f32_ubyte0_e32 v1, v1
.LBB473_263:
	s_branch .LBB473_26
.LBB473_264:
	s_mov_b64 s[2:3], 0
.LBB473_265:
	s_mov_b64 s[6:7], 0
                                        ; implicit-def: $vgpr8
.LBB473_266:
	s_and_b64 s[56:57], s[2:3], exec
	s_and_b64 s[58:59], s[4:5], exec
	s_orn2_b64 s[4:5], s[6:7], exec
.LBB473_267:
	s_or_b64 exec, exec, s[60:61]
	s_mov_b64 s[8:9], 0
	s_mov_b64 s[2:3], 0
                                        ; implicit-def: $vgpr2_vgpr3
                                        ; implicit-def: $vgpr0
                                        ; implicit-def: $vgpr1
	s_and_saveexec_b64 s[60:61], s[4:5]
	s_cbranch_execz .LBB473_275
; %bb.268:
	v_cmp_gt_i32_e32 vcc, s72, v8
	s_mov_b64 s[2:3], -1
	s_mov_b64 s[62:63], s[58:59]
	s_mov_b64 s[64:65], s[56:57]
	s_and_saveexec_b64 s[66:67], vcc
	s_cbranch_execz .LBB473_544
; %bb.269:
	s_andn2_b64 vcc, exec, s[42:43]
	s_cbranch_vccnz .LBB473_278
; %bb.270:
	s_andn2_b64 vcc, exec, s[54:55]
	s_cbranch_vccnz .LBB473_279
; %bb.271:
	s_add_i32 s65, s76, 1
	s_cmp_eq_u32 s74, 2
	s_cbranch_scc1 .LBB473_280
; %bb.272:
	s_and_b32 s64, s65, 28
	s_mov_b32 s68, 0
	v_mov_b32_e32 v0, 0
	v_mov_b32_e32 v2, 0
	s_mov_b64 s[2:3], s[34:35]
	s_mov_b64 s[62:63], s[52:53]
	v_mov_b32_e32 v4, v8
.LBB473_273:                            ; =>This Inner Loop Header: Depth=1
	s_load_dwordx8 s[12:19], s[2:3], 0x4
	s_load_dwordx4 s[36:39], s[2:3], 0x24
	s_load_dwordx8 s[4:11], s[62:63], 0x0
	s_add_u32 s2, s2, 48
	s_addc_u32 s3, s3, 0
	s_waitcnt vmcnt(0) lgkmcnt(0)
	v_mul_hi_u32 v1, s13, v4
	v_add_u32_e32 v1, v4, v1
	v_lshrrev_b32_e32 v1, s14, v1
	v_mul_lo_u32 v3, v1, s12
	v_mul_hi_u32 v5, s16, v1
	v_sub_u32_e32 v3, v4, v3
	v_add_u32_e32 v4, v1, v5
	v_lshrrev_b32_e32 v4, s17, v4
	v_mul_lo_u32 v6, v4, s15
	v_mul_hi_u32 v7, s19, v4
	v_sub_u32_e32 v1, v1, v6
	v_add_u32_e32 v6, v4, v7
	v_mul_lo_u32 v5, v3, s5
	v_mul_lo_u32 v3, v3, s4
	;; [unrolled: 1-line block ×4, first 2 shown]
	v_lshrrev_b32_e32 v6, s36, v6
	v_add3_u32 v0, v3, v0, v1
	v_mul_hi_u32 v3, s38, v6
	v_add3_u32 v1, v5, v2, v7
	v_mul_lo_u32 v2, v6, s18
	v_add_u32_e32 v3, v6, v3
	v_sub_u32_e32 v2, v4, v2
	v_lshrrev_b32_e32 v4, s39, v3
	s_add_i32 s68, s68, 4
	v_mul_lo_u32 v3, v4, s37
	s_add_u32 s62, s62, 32
	v_sub_u32_e32 v3, v6, v3
	s_addc_u32 s63, s63, 0
	v_mul_lo_u32 v5, v2, s8
	v_mul_lo_u32 v2, v2, s9
	;; [unrolled: 1-line block ×4, first 2 shown]
	s_cmp_eq_u32 s64, s68
	v_add3_u32 v2, v2, v1, v3
	v_add3_u32 v0, v5, v0, v6
	s_cbranch_scc0 .LBB473_273
; %bb.274:
	v_mov_b32_e32 v1, v2
	s_branch .LBB473_281
.LBB473_275:
	s_or_b64 exec, exec, s[60:61]
	s_mov_b64 s[4:5], 0
	s_and_saveexec_b64 s[6:7], s[58:59]
	s_cbranch_execnz .LBB473_922
.LBB473_276:
	s_or_b64 exec, exec, s[6:7]
	s_and_saveexec_b64 s[6:7], s[64:65]
	s_xor_b64 s[6:7], exec, s[6:7]
	s_cbranch_execz .LBB473_923
.LBB473_277:
	global_load_ubyte v1, v[2:3], off
	s_or_b64 s[2:3], s[2:3], exec
	s_waitcnt vmcnt(0)
	v_cmp_ne_u16_e32 vcc, 0, v1
	s_nop 1
	v_cndmask_b32_e64 v1, 0, 1.0, vcc
	s_or_b64 exec, exec, s[6:7]
	s_and_saveexec_b64 s[6:7], s[8:9]
	s_cbranch_execz .LBB473_969
	s_branch .LBB473_924
.LBB473_278:
                                        ; implicit-def: $vgpr2
                                        ; implicit-def: $vgpr0
	s_andn2_b64 vcc, exec, s[2:3]
	s_cbranch_vccz .LBB473_285
	s_branch .LBB473_287
.LBB473_279:
	v_mov_b32_e32 v2, 0
	v_mov_b32_e32 v0, 0
	s_branch .LBB473_284
.LBB473_280:
	v_mov_b32_e32 v0, 0
	s_mov_b32 s64, 0
	s_waitcnt vmcnt(0)
	v_mov_b32_e32 v1, v0
                                        ; implicit-def: $vgpr2
	v_mov_b32_e32 v4, v8
.LBB473_281:
	s_and_b32 s6, s65, 3
	s_cmp_eq_u32 s6, 0
	s_cbranch_scc1 .LBB473_284
; %bb.282:
	s_lshl_b32 s2, s64, 3
	s_add_u32 s2, s34, s2
	s_addc_u32 s3, s35, 0
	s_add_u32 s2, s2, 0xc4
	s_addc_u32 s3, s3, 0
	s_mul_i32 s4, s64, 12
	s_add_u32 s4, s34, s4
	s_addc_u32 s5, s35, 0
.LBB473_283:                            ; =>This Inner Loop Header: Depth=1
	s_load_dwordx2 s[8:9], s[4:5], 0x4
	s_load_dword s7, s[4:5], 0xc
	s_load_dwordx2 s[10:11], s[2:3], 0x0
	v_mov_b32_e32 v2, v1
	s_add_u32 s4, s4, 12
	s_waitcnt lgkmcnt(0)
	v_mul_hi_u32 v1, s9, v4
	v_add_u32_e32 v1, v4, v1
	v_lshrrev_b32_e32 v1, s7, v1
	s_addc_u32 s5, s5, 0
	v_mul_lo_u32 v3, v1, s8
	s_add_u32 s2, s2, 8
	v_sub_u32_e32 v5, v4, v3
	s_addc_u32 s3, s3, 0
	s_add_i32 s6, s6, -1
	v_mov_b32_e32 v4, v1
	v_mad_u64_u32 v[2:3], s[8:9], v5, s11, v[2:3]
	v_mad_u64_u32 v[0:1], s[8:9], v5, s10, v[0:1]
	s_cmp_lg_u32 s6, 0
	v_mov_b32_e32 v1, v2
	s_cbranch_scc1 .LBB473_283
.LBB473_284:
	s_cbranch_execnz .LBB473_287
.LBB473_285:
	v_mul_hi_u32 v0, s25, v8
	v_add_u32_e32 v0, v8, v0
	s_waitcnt vmcnt(0)
	v_lshrrev_b32_e32 v1, s26, v0
	v_mul_lo_u32 v0, v1, s24
	v_sub_u32_e32 v0, v8, v0
	v_mul_lo_u32 v2, v0, s29
	s_andn2_b64 vcc, exec, s[50:51]
	v_mul_lo_u32 v0, v0, s28
	s_cbranch_vccnz .LBB473_287
; %bb.286:
	v_mul_hi_u32 v3, s48, v1
	v_add_u32_e32 v3, v1, v3
	v_lshrrev_b32_e32 v3, s49, v3
	v_mul_lo_u32 v3, v3, s27
	v_sub_u32_e32 v3, v1, v3
	v_mad_u64_u32 v[0:1], s[2:3], v3, s30, v[0:1]
	v_mad_u64_u32 v[2:3], s[2:3], v3, s31, v[2:3]
.LBB473_287:
	v_mov_b32_e32 v3, 0
	s_and_b32 s10, 0xffff, s75
	s_cmp_lt_i32 s10, 11
	v_lshl_add_u64 v[2:3], s[22:23], 0, v[2:3]
	s_cbranch_scc1 .LBB473_294
; %bb.288:
	s_cmp_gt_i32 s10, 25
	s_cbranch_scc0 .LBB473_303
; %bb.289:
	s_cmp_gt_i32 s10, 28
	s_cbranch_scc0 .LBB473_305
	;; [unrolled: 3-line block ×4, first 2 shown]
; %bb.292:
	s_cmp_eq_u32 s10, 46
	s_mov_b64 s[6:7], 0
	s_cbranch_scc0 .LBB473_315
; %bb.293:
	global_load_dword v1, v[2:3], off
	s_mov_b64 s[2:3], -1
	s_mov_b64 s[4:5], 0
	s_waitcnt vmcnt(0)
	v_lshlrev_b32_e32 v1, 16, v1
	s_branch .LBB473_316
.LBB473_294:
	s_mov_b64 s[2:3], 0
                                        ; implicit-def: $vgpr1
	s_mov_b64 s[4:5], s[58:59]
	s_cbranch_execnz .LBB473_493
.LBB473_295:
	s_andn2_b64 vcc, exec, s[2:3]
	s_cbranch_vccnz .LBB473_541
.LBB473_296:
	v_max_f32_e64 v2, s46, s46
	s_waitcnt vmcnt(0)
	v_max_f32_e32 v3, v1, v1
	v_min_f32_e32 v2, v3, v2
	v_cmp_u_f32_e32 vcc, v1, v1
	s_and_b32 s12, s47, 0xff
	s_cmp_lt_i32 s12, 11
	v_cndmask_b32_e32 v2, v2, v1, vcc
	v_mov_b32_e32 v1, 0
	v_lshl_add_u64 v[0:1], s[20:21], 0, v[0:1]
	s_cbranch_scc1 .LBB473_304
; %bb.297:
	s_and_b32 s13, 0xffff, s12
	s_cmp_gt_i32 s13, 25
	s_cbranch_scc0 .LBB473_306
; %bb.298:
	s_cmp_gt_i32 s13, 28
	s_cbranch_scc0 .LBB473_308
; %bb.299:
	;; [unrolled: 3-line block ×4, first 2 shown]
	s_mov_b64 s[8:9], 0
	s_mov_b64 s[2:3], -1
	s_cmp_eq_u32 s13, 46
	s_mov_b64 s[6:7], 0
	s_cbranch_scc0 .LBB473_320
; %bb.302:
	v_bfe_u32 v3, v2, 16, 1
	s_movk_i32 s2, 0x7fff
	v_add3_u32 v3, v2, v3, s2
	v_cmp_o_f32_e32 vcc, v2, v2
	v_mov_b32_e32 v4, 0x7fc0
	s_mov_b64 s[6:7], -1
	v_cndmask_b32_sdwa v3, v4, v3, vcc dst_sel:DWORD dst_unused:UNUSED_PAD src0_sel:DWORD src1_sel:WORD_1
	global_store_dword v[0:1], v3, off
	s_mov_b64 s[2:3], 0
	s_branch .LBB473_320
.LBB473_303:
	s_mov_b64 s[6:7], -1
	s_mov_b64 s[2:3], 0
	s_mov_b64 s[4:5], s[58:59]
                                        ; implicit-def: $vgpr1
	s_branch .LBB473_457
.LBB473_304:
	s_mov_b64 s[8:9], -1
	s_mov_b64 s[6:7], 0
	s_mov_b64 s[2:3], s[56:57]
	s_branch .LBB473_389
.LBB473_305:
	s_mov_b64 s[6:7], -1
	s_mov_b64 s[2:3], 0
	s_mov_b64 s[4:5], s[58:59]
                                        ; implicit-def: $vgpr1
	s_branch .LBB473_438
.LBB473_306:
	s_mov_b64 s[8:9], -1
	s_mov_b64 s[6:7], 0
	s_mov_b64 s[2:3], s[56:57]
	s_branch .LBB473_347
.LBB473_307:
	s_mov_b64 s[6:7], -1
	s_mov_b64 s[2:3], 0
	s_mov_b64 s[4:5], s[58:59]
                                        ; implicit-def: $vgpr1
	s_branch .LBB473_433
.LBB473_308:
	s_mov_b64 s[8:9], -1
	s_mov_b64 s[6:7], 0
	s_mov_b64 s[2:3], s[56:57]
	s_branch .LBB473_330
.LBB473_309:
	s_andn2_saveexec_b64 s[10:11], s[10:11]
	s_cbranch_execz .LBB473_69
.LBB473_310:
	s_mov_b32 s14, 0x46000000
	v_add_f32_e64 v3, |v2|, s14
	v_and_b32_e32 v3, 0xff, v3
	v_cmp_ne_u32_e32 vcc, 0, v3
	s_andn2_b64 s[8:9], s[8:9], exec
	s_and_b64 s[14:15], vcc, exec
	s_or_b64 s[8:9], s[8:9], s[14:15]
	s_or_b64 exec, exec, s[10:11]
	v_mov_b32_e32 v4, 0
	s_and_saveexec_b64 s[10:11], s[8:9]
	s_cbranch_execnz .LBB473_70
	s_branch .LBB473_71
.LBB473_311:
	s_mov_b64 s[6:7], -1
	s_mov_b64 s[2:3], 0
	s_mov_b64 s[4:5], s[58:59]
                                        ; implicit-def: $vgpr1
	s_branch .LBB473_316
.LBB473_312:
	s_mov_b64 s[8:9], -1
	s_mov_b64 s[6:7], 0
	s_mov_b64 s[2:3], s[56:57]
	s_branch .LBB473_326
.LBB473_313:
	s_andn2_saveexec_b64 s[10:11], s[10:11]
	s_cbranch_execz .LBB473_82
.LBB473_314:
	s_mov_b32 s14, 0x42800000
	v_add_f32_e64 v3, |v2|, s14
	v_and_b32_e32 v3, 0xff, v3
	v_cmp_ne_u32_e32 vcc, 0, v3
	s_andn2_b64 s[8:9], s[8:9], exec
	s_and_b64 s[14:15], vcc, exec
	s_or_b64 s[8:9], s[8:9], s[14:15]
	s_or_b64 exec, exec, s[10:11]
	v_mov_b32_e32 v4, 0
	s_and_saveexec_b64 s[10:11], s[8:9]
	s_cbranch_execnz .LBB473_83
	s_branch .LBB473_84
.LBB473_315:
	s_mov_b64 s[4:5], -1
                                        ; implicit-def: $vgpr1
	s_mov_b64 s[2:3], 0
.LBB473_316:
	s_and_b64 vcc, exec, s[6:7]
	s_cbranch_vccz .LBB473_432
; %bb.317:
	s_cmp_eq_u32 s10, 44
	s_cbranch_scc0 .LBB473_431
; %bb.318:
	global_load_ubyte v1, v[2:3], off
	s_movk_i32 s4, 0xff
	v_mov_b32_e32 v4, 0x7f800001
	v_mov_b32_e32 v5, 0x400000
	s_mov_b64 s[2:3], -1
	s_waitcnt vmcnt(0)
	v_lshlrev_b32_e32 v6, 23, v1
	v_cmp_ne_u32_e32 vcc, s4, v1
	s_mov_b64 s[4:5], 0
	s_nop 0
	v_cndmask_b32_e32 v4, v4, v6, vcc
	v_cmp_ne_u32_e32 vcc, 0, v1
	s_nop 1
	v_cndmask_b32_e32 v1, v5, v4, vcc
	s_branch .LBB473_432
.LBB473_319:
	s_mov_b64 s[8:9], -1
	s_mov_b64 s[6:7], 0
	s_mov_b64 s[2:3], s[56:57]
.LBB473_320:
	s_and_b64 vcc, exec, s[8:9]
	s_cbranch_vccz .LBB473_325
; %bb.321:
	s_cmp_eq_u32 s13, 44
	s_mov_b64 s[2:3], -1
	s_cbranch_scc0 .LBB473_325
; %bb.322:
	v_bfe_u32 v3, v2, 23, 8
	s_movk_i32 s2, 0xff
	v_cmp_ne_u32_e32 vcc, s2, v3
	v_mov_b32_e32 v4, 0xff
	s_and_saveexec_b64 s[6:7], vcc
; %bb.323:
	s_mov_b32 s2, 0x3fffff
	v_and_b32_e32 v5, 0x400000, v2
	v_and_or_b32 v3, v2, s2, v3
	v_cmp_ne_u32_e32 vcc, 0, v5
	v_cmp_ne_u32_e64 s[2:3], 0, v3
	s_and_b64 s[2:3], vcc, s[2:3]
	v_lshrrev_b32_e32 v4, 23, v2
	v_cndmask_b32_e64 v3, 0, 1, s[2:3]
	v_add_u32_e32 v4, v4, v3
; %bb.324:
	s_or_b64 exec, exec, s[6:7]
	s_mov_b64 s[6:7], -1
	s_mov_b64 s[2:3], 0
	global_store_byte v[0:1], v4, off
.LBB473_325:
	s_mov_b64 s[8:9], 0
.LBB473_326:
	s_and_b64 vcc, exec, s[8:9]
	s_cbranch_vccz .LBB473_329
; %bb.327:
	s_cmp_eq_u32 s13, 29
	s_mov_b64 s[2:3], -1
	s_cbranch_scc0 .LBB473_329
; %bb.328:
	v_trunc_f32_e32 v3, v2
	v_mul_f32_e32 v4, 0x2f800000, v3
	v_floor_f32_e32 v4, v4
	v_fmamk_f32 v3, v4, 0xcf800000, v3
	v_cvt_u32_f32_e32 v5, v4
	v_cvt_u32_f32_e32 v4, v3
	s_mov_b64 s[6:7], -1
	s_mov_b64 s[2:3], 0
	s_mov_b64 s[8:9], 0
	global_store_dwordx2 v[0:1], v[4:5], off
	s_branch .LBB473_330
.LBB473_329:
	s_mov_b64 s[8:9], 0
.LBB473_330:
	s_and_b64 vcc, exec, s[8:9]
	s_cbranch_vccz .LBB473_346
; %bb.331:
	s_cmp_lt_i32 s13, 27
	s_mov_b64 s[6:7], -1
	s_cbranch_scc1 .LBB473_337
; %bb.332:
	v_cvt_u32_f32_e32 v3, v2
	s_cmp_gt_i32 s13, 27
	s_cbranch_scc0 .LBB473_334
; %bb.333:
	s_mov_b64 s[6:7], 0
	global_store_dword v[0:1], v3, off
.LBB473_334:
	s_andn2_b64 vcc, exec, s[6:7]
	s_cbranch_vccnz .LBB473_336
; %bb.335:
	global_store_short v[0:1], v3, off
.LBB473_336:
	s_mov_b64 s[6:7], 0
.LBB473_337:
	s_andn2_b64 vcc, exec, s[6:7]
	s_cbranch_vccnz .LBB473_345
; %bb.338:
	v_and_b32_e32 v3, 0x7fffffff, v2
	s_mov_b32 s6, 0x43800000
	v_cmp_gt_u32_e32 vcc, s6, v3
	v_mov_b32_e32 v4, 0x80
	s_and_saveexec_b64 s[6:7], vcc
	s_cbranch_execz .LBB473_344
; %bb.339:
	s_mov_b32 s8, 0x3bffffff
	v_cmp_lt_u32_e32 vcc, s8, v3
	s_mov_b64 s[8:9], 0
                                        ; implicit-def: $vgpr3
	s_and_saveexec_b64 s[10:11], vcc
	s_xor_b64 s[10:11], exec, s[10:11]
	s_cbranch_execz .LBB473_573
; %bb.340:
	v_bfe_u32 v3, v2, 20, 1
	s_mov_b32 s14, 0x487ffff
	v_add3_u32 v3, v2, v3, s14
	s_mov_b64 s[8:9], exec
	v_lshrrev_b32_e32 v3, 20, v3
	s_andn2_saveexec_b64 s[10:11], s[10:11]
	s_cbranch_execnz .LBB473_574
.LBB473_341:
	s_or_b64 exec, exec, s[10:11]
	v_mov_b32_e32 v4, 0
	s_and_saveexec_b64 s[10:11], s[8:9]
.LBB473_342:
	v_lshrrev_b32_e32 v4, 24, v2
	s_movk_i32 s8, 0x80
	v_and_or_b32 v4, v4, s8, v3
.LBB473_343:
	s_or_b64 exec, exec, s[10:11]
.LBB473_344:
	s_or_b64 exec, exec, s[6:7]
	global_store_byte v[0:1], v4, off
.LBB473_345:
	s_mov_b64 s[6:7], -1
.LBB473_346:
	s_mov_b64 s[8:9], 0
.LBB473_347:
	s_and_b64 vcc, exec, s[8:9]
	s_cbranch_vccz .LBB473_388
; %bb.348:
	s_cmp_gt_i32 s13, 22
	s_mov_b64 s[8:9], -1
	s_cbranch_scc0 .LBB473_380
; %bb.349:
	s_cmp_lt_i32 s13, 24
	s_mov_b64 s[6:7], -1
	s_cbranch_scc1 .LBB473_369
; %bb.350:
	s_cmp_gt_i32 s13, 24
	s_cbranch_scc0 .LBB473_358
; %bb.351:
	v_and_b32_e32 v3, 0x7fffffff, v2
	s_mov_b32 s6, 0x47800000
	v_cmp_gt_u32_e32 vcc, s6, v3
	v_mov_b32_e32 v4, 0x80
	s_and_saveexec_b64 s[6:7], vcc
	s_cbranch_execz .LBB473_357
; %bb.352:
	s_mov_b32 s8, 0x37ffffff
	v_cmp_lt_u32_e32 vcc, s8, v3
	s_mov_b64 s[8:9], 0
                                        ; implicit-def: $vgpr3
	s_and_saveexec_b64 s[10:11], vcc
	s_xor_b64 s[10:11], exec, s[10:11]
	s_cbranch_execz .LBB473_576
; %bb.353:
	v_bfe_u32 v3, v2, 21, 1
	s_mov_b32 s14, 0x88fffff
	v_add3_u32 v3, v2, v3, s14
	s_mov_b64 s[8:9], exec
	v_lshrrev_b32_e32 v3, 21, v3
	s_andn2_saveexec_b64 s[10:11], s[10:11]
	s_cbranch_execnz .LBB473_577
.LBB473_354:
	s_or_b64 exec, exec, s[10:11]
	v_mov_b32_e32 v4, 0
	s_and_saveexec_b64 s[10:11], s[8:9]
.LBB473_355:
	v_lshrrev_b32_e32 v4, 24, v2
	s_movk_i32 s8, 0x80
	v_and_or_b32 v4, v4, s8, v3
.LBB473_356:
	s_or_b64 exec, exec, s[10:11]
.LBB473_357:
	s_or_b64 exec, exec, s[6:7]
	s_mov_b64 s[6:7], 0
	global_store_byte v[0:1], v4, off
.LBB473_358:
	s_and_b64 vcc, exec, s[6:7]
	s_cbranch_vccz .LBB473_368
; %bb.359:
	v_and_b32_e32 v4, 0x7fffffff, v2
	s_mov_b32 s6, 0x43f00000
	v_cmp_gt_u32_e32 vcc, s6, v4
                                        ; implicit-def: $vgpr3
	s_and_saveexec_b64 s[6:7], vcc
	s_xor_b64 s[6:7], exec, s[6:7]
	s_cbranch_execz .LBB473_365
; %bb.360:
	s_mov_b32 s8, 0x3c7fffff
	v_cmp_lt_u32_e32 vcc, s8, v4
                                        ; implicit-def: $vgpr3
	s_and_saveexec_b64 s[8:9], vcc
	s_xor_b64 s[8:9], exec, s[8:9]
; %bb.361:
	v_bfe_u32 v3, v2, 20, 1
	s_mov_b32 s10, 0x407ffff
	v_add3_u32 v3, v2, v3, s10
	v_lshrrev_b32_e32 v4, 20, v3
	v_and_b32_e32 v3, 0xff00000, v3
	s_mov_b32 s10, 0x7f00000
	v_mov_b32_e32 v5, 0x7e
	v_cmp_ne_u32_e32 vcc, s10, v3
	s_nop 1
	v_cndmask_b32_e32 v3, v5, v4, vcc
; %bb.362:
	s_andn2_saveexec_b64 s[8:9], s[8:9]
; %bb.363:
	s_mov_b32 s10, 0x46800000
	v_add_f32_e64 v3, |v2|, s10
; %bb.364:
	s_or_b64 exec, exec, s[8:9]
                                        ; implicit-def: $vgpr4
.LBB473_365:
	s_andn2_saveexec_b64 s[6:7], s[6:7]
; %bb.366:
	s_mov_b32 s8, 0x7f800000
	v_mov_b32_e32 v3, 0x7e
	v_mov_b32_e32 v5, 0x7f
	v_cmp_lt_u32_e32 vcc, s8, v4
	s_nop 1
	v_cndmask_b32_e32 v3, v3, v5, vcc
; %bb.367:
	s_or_b64 exec, exec, s[6:7]
	v_lshrrev_b32_e32 v4, 24, v2
	s_movk_i32 s6, 0x80
	v_and_or_b32 v3, v4, s6, v3
	global_store_byte v[0:1], v3, off
.LBB473_368:
	s_mov_b64 s[6:7], 0
.LBB473_369:
	s_andn2_b64 vcc, exec, s[6:7]
	s_cbranch_vccnz .LBB473_379
; %bb.370:
	v_and_b32_e32 v4, 0x7fffffff, v2
	s_mov_b32 s6, 0x47800000
	v_cmp_gt_u32_e32 vcc, s6, v4
                                        ; implicit-def: $vgpr3
	s_and_saveexec_b64 s[6:7], vcc
	s_xor_b64 s[6:7], exec, s[6:7]
	s_cbranch_execz .LBB473_376
; %bb.371:
	s_mov_b32 s8, 0x387fffff
	v_cmp_lt_u32_e32 vcc, s8, v4
                                        ; implicit-def: $vgpr3
	s_and_saveexec_b64 s[8:9], vcc
	s_xor_b64 s[8:9], exec, s[8:9]
; %bb.372:
	v_bfe_u32 v3, v2, 21, 1
	s_mov_b32 s10, 0x80fffff
	v_add3_u32 v3, v2, v3, s10
	v_lshrrev_b32_e32 v3, 21, v3
; %bb.373:
	s_andn2_saveexec_b64 s[8:9], s[8:9]
; %bb.374:
	s_mov_b32 s10, 0x43000000
	v_add_f32_e64 v3, |v2|, s10
; %bb.375:
	s_or_b64 exec, exec, s[8:9]
                                        ; implicit-def: $vgpr4
.LBB473_376:
	s_andn2_saveexec_b64 s[6:7], s[6:7]
; %bb.377:
	s_mov_b32 s8, 0x7f800000
	v_mov_b32_e32 v3, 0x7c
	v_mov_b32_e32 v5, 0x7f
	v_cmp_lt_u32_e32 vcc, s8, v4
	s_nop 1
	v_cndmask_b32_e32 v3, v3, v5, vcc
; %bb.378:
	s_or_b64 exec, exec, s[6:7]
	v_lshrrev_b32_e32 v4, 24, v2
	s_movk_i32 s6, 0x80
	v_and_or_b32 v3, v4, s6, v3
	global_store_byte v[0:1], v3, off
.LBB473_379:
	s_mov_b64 s[8:9], 0
	s_mov_b64 s[6:7], -1
.LBB473_380:
	s_andn2_b64 vcc, exec, s[8:9]
	s_cbranch_vccnz .LBB473_388
; %bb.381:
	s_cmp_gt_i32 s13, 14
	s_mov_b64 s[8:9], -1
	s_cbranch_scc0 .LBB473_385
; %bb.382:
	s_cmp_eq_u32 s13, 15
	s_mov_b64 s[2:3], -1
	s_cbranch_scc0 .LBB473_384
; %bb.383:
	v_bfe_u32 v3, v2, 16, 1
	s_movk_i32 s2, 0x7fff
	v_add3_u32 v3, v2, v3, s2
	v_cmp_o_f32_e32 vcc, v2, v2
	v_mov_b32_e32 v4, 0x7fc0
	s_mov_b64 s[6:7], -1
	v_cndmask_b32_sdwa v3, v4, v3, vcc dst_sel:DWORD dst_unused:UNUSED_PAD src0_sel:DWORD src1_sel:WORD_1
	global_store_short v[0:1], v3, off
	s_mov_b64 s[2:3], 0
.LBB473_384:
	s_mov_b64 s[8:9], 0
.LBB473_385:
	s_and_b64 vcc, exec, s[8:9]
	s_cbranch_vccz .LBB473_388
; %bb.386:
	s_cmp_eq_u32 s13, 11
	s_mov_b64 s[2:3], -1
	s_cbranch_scc0 .LBB473_388
; %bb.387:
	v_cmp_neq_f32_e32 vcc, 0, v2
	s_mov_b64 s[6:7], -1
	s_mov_b64 s[2:3], 0
	v_cndmask_b32_e64 v3, 0, 1, vcc
	global_store_byte v[0:1], v3, off
.LBB473_388:
	s_mov_b64 s[8:9], 0
.LBB473_389:
	s_and_b64 vcc, exec, s[8:9]
	s_cbranch_vccz .LBB473_428
; %bb.390:
	s_and_b32 s8, 0xffff, s12
	s_cmp_lt_i32 s8, 5
	s_mov_b64 s[6:7], -1
	s_cbranch_scc1 .LBB473_411
; %bb.391:
	s_cmp_lt_i32 s8, 8
	s_cbranch_scc1 .LBB473_401
; %bb.392:
	s_cmp_lt_i32 s8, 9
	s_cbranch_scc1 .LBB473_398
; %bb.393:
	s_cmp_gt_i32 s8, 9
	s_cbranch_scc0 .LBB473_395
; %bb.394:
	v_mov_b32_e32 v6, 0
	v_cvt_f64_f32_e32 v[4:5], v2
	v_mov_b32_e32 v7, v6
	s_mov_b64 s[6:7], 0
	global_store_dwordx4 v[0:1], v[4:7], off
.LBB473_395:
	s_andn2_b64 vcc, exec, s[6:7]
	s_cbranch_vccnz .LBB473_397
; %bb.396:
	v_mov_b32_e32 v3, 0
	global_store_dwordx2 v[0:1], v[2:3], off
.LBB473_397:
	s_mov_b64 s[6:7], 0
.LBB473_398:
	s_andn2_b64 vcc, exec, s[6:7]
	s_cbranch_vccnz .LBB473_400
; %bb.399:
	v_cvt_f16_f32_e32 v3, v2
	global_store_dword v[0:1], v3, off
.LBB473_400:
	s_mov_b64 s[6:7], 0
.LBB473_401:
	s_andn2_b64 vcc, exec, s[6:7]
	s_cbranch_vccnz .LBB473_410
; %bb.402:
	s_cmp_lt_i32 s8, 6
	s_mov_b64 s[6:7], -1
	s_cbranch_scc1 .LBB473_408
; %bb.403:
	s_cmp_gt_i32 s8, 6
	s_cbranch_scc0 .LBB473_405
; %bb.404:
	v_cvt_f64_f32_e32 v[4:5], v2
	s_mov_b64 s[6:7], 0
	global_store_dwordx2 v[0:1], v[4:5], off
.LBB473_405:
	s_andn2_b64 vcc, exec, s[6:7]
	s_cbranch_vccnz .LBB473_407
; %bb.406:
	global_store_dword v[0:1], v2, off
.LBB473_407:
	s_mov_b64 s[6:7], 0
.LBB473_408:
	s_andn2_b64 vcc, exec, s[6:7]
	s_cbranch_vccnz .LBB473_410
; %bb.409:
	v_cvt_f16_f32_e32 v3, v2
	global_store_short v[0:1], v3, off
.LBB473_410:
	s_mov_b64 s[6:7], 0
.LBB473_411:
	s_andn2_b64 vcc, exec, s[6:7]
	s_cbranch_vccnz .LBB473_427
; %bb.412:
	s_cmp_lt_i32 s8, 2
	s_mov_b64 s[6:7], -1
	s_cbranch_scc1 .LBB473_422
; %bb.413:
	s_cmp_lt_i32 s8, 3
	s_cbranch_scc1 .LBB473_419
; %bb.414:
	s_cmp_gt_i32 s8, 3
	s_cbranch_scc0 .LBB473_416
; %bb.415:
	v_trunc_f32_e32 v3, v2
	s_mov_b32 s6, 0x2f800000
	v_mul_f32_e64 v4, |v3|, s6
	v_floor_f32_e32 v4, v4
	s_mov_b32 s6, 0xcf800000
	v_cvt_u32_f32_e32 v5, v4
	v_fma_f32 v4, v4, s6, |v3|
	v_cvt_u32_f32_e32 v4, v4
	v_ashrrev_i32_e32 v3, 31, v3
	v_xor_b32_e32 v5, v5, v3
	s_mov_b64 s[6:7], 0
	v_xor_b32_e32 v4, v4, v3
	v_sub_co_u32_e32 v4, vcc, v4, v3
	s_nop 1
	v_subb_co_u32_e32 v5, vcc, v5, v3, vcc
	global_store_dwordx2 v[0:1], v[4:5], off
.LBB473_416:
	s_andn2_b64 vcc, exec, s[6:7]
	s_cbranch_vccnz .LBB473_418
; %bb.417:
	v_cvt_i32_f32_e32 v3, v2
	global_store_dword v[0:1], v3, off
.LBB473_418:
	s_mov_b64 s[6:7], 0
.LBB473_419:
	s_andn2_b64 vcc, exec, s[6:7]
	s_cbranch_vccnz .LBB473_421
; %bb.420:
	v_cvt_i32_f32_e32 v3, v2
	global_store_short v[0:1], v3, off
.LBB473_421:
	s_mov_b64 s[6:7], 0
.LBB473_422:
	s_andn2_b64 vcc, exec, s[6:7]
	s_cbranch_vccnz .LBB473_427
; %bb.423:
	s_cmp_gt_i32 s8, 0
	s_mov_b64 s[6:7], -1
	s_cbranch_scc0 .LBB473_425
; %bb.424:
	v_cvt_i32_f32_e32 v3, v2
	s_mov_b64 s[6:7], 0
	global_store_byte v[0:1], v3, off
.LBB473_425:
	s_andn2_b64 vcc, exec, s[6:7]
	s_cbranch_vccnz .LBB473_427
; %bb.426:
	v_trunc_f32_e32 v2, v2
	s_mov_b32 s6, 0x2f800000
	v_mul_f32_e64 v3, |v2|, s6
	v_floor_f32_e32 v3, v3
	s_mov_b32 s6, 0xcf800000
	v_fma_f32 v3, v3, s6, |v2|
	v_cvt_u32_f32_e32 v3, v3
	v_ashrrev_i32_e32 v2, 31, v2
	v_xor_b32_e32 v3, v3, v2
	v_sub_u32_e32 v2, v3, v2
	global_store_byte v[0:1], v2, off
.LBB473_427:
	s_mov_b64 s[6:7], -1
.LBB473_428:
	s_andn2_b64 vcc, exec, s[6:7]
	s_cbranch_vccnz .LBB473_430
; %bb.429:
	v_add_u32_e32 v8, 0x80, v8
	s_mov_b64 s[6:7], -1
	s_branch .LBB473_543
.LBB473_430:
	s_mov_b64 s[6:7], 0
	s_branch .LBB473_542
.LBB473_431:
	s_mov_b64 s[4:5], -1
                                        ; implicit-def: $vgpr1
.LBB473_432:
	s_mov_b64 s[6:7], 0
.LBB473_433:
	s_and_b64 vcc, exec, s[6:7]
	s_cbranch_vccz .LBB473_437
; %bb.434:
	s_cmp_eq_u32 s10, 29
	s_cbranch_scc0 .LBB473_436
; %bb.435:
	global_load_dwordx2 v[4:5], v[2:3], off
	s_mov_b64 s[2:3], -1
	s_mov_b64 s[4:5], 0
	s_mov_b64 s[6:7], 0
	s_waitcnt vmcnt(0)
	v_ffbh_u32_e32 v1, v5
	v_min_u32_e32 v1, 32, v1
	v_lshlrev_b64 v[4:5], v1, v[4:5]
	v_min_u32_e32 v4, 1, v4
	v_or_b32_e32 v4, v5, v4
	v_cvt_f32_u32_e32 v4, v4
	v_sub_u32_e32 v1, 32, v1
	v_ldexp_f32 v1, v4, v1
	s_branch .LBB473_438
.LBB473_436:
	s_mov_b64 s[4:5], -1
                                        ; implicit-def: $vgpr1
.LBB473_437:
	s_mov_b64 s[6:7], 0
.LBB473_438:
	s_and_b64 vcc, exec, s[6:7]
	s_cbranch_vccz .LBB473_456
; %bb.439:
	s_cmp_lt_i32 s10, 27
	s_cbranch_scc1 .LBB473_442
; %bb.440:
	s_cmp_gt_i32 s10, 27
	s_cbranch_scc0 .LBB473_443
; %bb.441:
	global_load_dword v1, v[2:3], off
	s_mov_b64 s[2:3], 0
	s_waitcnt vmcnt(0)
	v_cvt_f32_u32_e32 v1, v1
	s_branch .LBB473_444
.LBB473_442:
	s_mov_b64 s[2:3], -1
                                        ; implicit-def: $vgpr1
	s_branch .LBB473_447
.LBB473_443:
	s_mov_b64 s[2:3], -1
                                        ; implicit-def: $vgpr1
.LBB473_444:
	s_andn2_b64 vcc, exec, s[2:3]
	s_cbranch_vccnz .LBB473_446
; %bb.445:
	global_load_ushort v1, v[2:3], off
	s_waitcnt vmcnt(0)
	v_cvt_f32_u32_e32 v1, v1
.LBB473_446:
	s_mov_b64 s[2:3], 0
.LBB473_447:
	s_andn2_b64 vcc, exec, s[2:3]
	s_cbranch_vccnz .LBB473_455
; %bb.448:
	global_load_ubyte v4, v[2:3], off
	s_movk_i32 s2, 0x7f
	s_waitcnt vmcnt(0)
	v_cmp_lt_i16_e32 vcc, s2, v4
	s_mov_b64 s[2:3], 0
	s_and_saveexec_b64 s[6:7], vcc
	s_xor_b64 s[6:7], exec, s[6:7]
	s_cbranch_execz .LBB473_469
; %bb.449:
	s_movk_i32 s2, 0x80
	v_cmp_eq_u16_e32 vcc, s2, v4
	s_mov_b64 s[2:3], -1
	s_and_saveexec_b64 s[8:9], vcc
; %bb.450:
	s_xor_b64 s[2:3], exec, -1
; %bb.451:
	s_or_b64 exec, exec, s[8:9]
	s_and_b64 s[2:3], s[2:3], exec
	s_or_saveexec_b64 s[6:7], s[6:7]
	v_mov_b32_e32 v1, 0x7f800001
	s_xor_b64 exec, exec, s[6:7]
	s_cbranch_execnz .LBB473_470
.LBB473_452:
	s_or_b64 exec, exec, s[6:7]
	s_and_saveexec_b64 s[6:7], s[2:3]
	s_cbranch_execz .LBB473_454
.LBB473_453:
	v_lshlrev_b32_e32 v1, 24, v4
	v_and_b32_e32 v4, 0xffff, v4
	v_and_b32_e32 v5, 7, v4
	v_ffbh_u32_e32 v7, v5
	v_min_u32_e32 v7, 32, v7
	v_subrev_u32_e32 v9, 28, v7
	v_bfe_u32 v6, v4, 3, 4
	v_lshlrev_b32_e32 v4, v9, v4
	v_sub_u32_e32 v7, 29, v7
	v_and_b32_e32 v4, 7, v4
	v_cmp_eq_u32_e32 vcc, 0, v6
	v_and_b32_e32 v1, 0x80000000, v1
	s_nop 0
	v_cndmask_b32_e32 v6, v6, v7, vcc
	v_cndmask_b32_e32 v4, v5, v4, vcc
	v_mov_b32_e32 v5, 0x3b800000
	v_lshlrev_b32_e32 v4, 20, v4
	v_lshl_add_u32 v5, v6, 23, v5
	v_or3_b32 v1, v1, v5, v4
.LBB473_454:
	s_or_b64 exec, exec, s[6:7]
.LBB473_455:
	s_mov_b64 s[2:3], -1
.LBB473_456:
	s_mov_b64 s[6:7], 0
.LBB473_457:
	s_and_b64 vcc, exec, s[6:7]
	s_cbranch_vccz .LBB473_492
; %bb.458:
	s_cmp_gt_i32 s10, 22
	s_cbranch_scc0 .LBB473_468
; %bb.459:
	s_cmp_lt_i32 s10, 24
	s_cbranch_scc1 .LBB473_471
; %bb.460:
	s_cmp_gt_i32 s10, 24
	s_cbranch_scc0 .LBB473_472
; %bb.461:
	global_load_ubyte v4, v[2:3], off
	s_movk_i32 s2, 0x7f
	s_waitcnt vmcnt(0)
	v_cmp_lt_i16_e32 vcc, s2, v4
	s_mov_b64 s[2:3], 0
	s_and_saveexec_b64 s[6:7], vcc
	s_xor_b64 s[6:7], exec, s[6:7]
	s_cbranch_execz .LBB473_484
; %bb.462:
	s_movk_i32 s2, 0x80
	v_cmp_eq_u16_e32 vcc, s2, v4
	s_mov_b64 s[2:3], -1
	s_and_saveexec_b64 s[8:9], vcc
; %bb.463:
	s_xor_b64 s[2:3], exec, -1
; %bb.464:
	s_or_b64 exec, exec, s[8:9]
	s_and_b64 s[2:3], s[2:3], exec
	s_or_saveexec_b64 s[6:7], s[6:7]
	v_mov_b32_e32 v1, 0x7f800001
	s_xor_b64 exec, exec, s[6:7]
	s_cbranch_execnz .LBB473_485
.LBB473_465:
	s_or_b64 exec, exec, s[6:7]
	s_and_saveexec_b64 s[6:7], s[2:3]
	s_cbranch_execz .LBB473_467
.LBB473_466:
	v_lshlrev_b32_e32 v1, 24, v4
	v_and_b32_e32 v4, 0xffff, v4
	v_and_b32_e32 v5, 3, v4
	v_ffbh_u32_e32 v7, v5
	v_min_u32_e32 v7, 32, v7
	v_subrev_u32_e32 v9, 29, v7
	v_bfe_u32 v6, v4, 2, 5
	v_lshlrev_b32_e32 v4, v9, v4
	v_sub_u32_e32 v7, 30, v7
	v_and_b32_e32 v4, 3, v4
	v_cmp_eq_u32_e32 vcc, 0, v6
	v_and_b32_e32 v1, 0x80000000, v1
	s_nop 0
	v_cndmask_b32_e32 v6, v6, v7, vcc
	v_cndmask_b32_e32 v4, v5, v4, vcc
	v_mov_b32_e32 v5, 0x37800000
	v_lshlrev_b32_e32 v4, 21, v4
	v_lshl_add_u32 v5, v6, 23, v5
	v_or3_b32 v1, v1, v5, v4
.LBB473_467:
	s_or_b64 exec, exec, s[6:7]
	s_mov_b64 s[2:3], 0
	s_branch .LBB473_473
.LBB473_468:
	s_mov_b64 s[6:7], -1
                                        ; implicit-def: $vgpr1
	s_branch .LBB473_479
.LBB473_469:
	s_or_saveexec_b64 s[6:7], s[6:7]
	v_mov_b32_e32 v1, 0x7f800001
	s_xor_b64 exec, exec, s[6:7]
	s_cbranch_execz .LBB473_452
.LBB473_470:
	v_cmp_ne_u16_e32 vcc, 0, v4
	s_andn2_b64 s[2:3], s[2:3], exec
	s_and_b64 s[8:9], vcc, exec
	v_mov_b32_e32 v1, 0
	s_or_b64 s[2:3], s[2:3], s[8:9]
	s_or_b64 exec, exec, s[6:7]
	s_and_saveexec_b64 s[6:7], s[2:3]
	s_cbranch_execnz .LBB473_453
	s_branch .LBB473_454
.LBB473_471:
	s_mov_b64 s[2:3], -1
                                        ; implicit-def: $vgpr1
	s_branch .LBB473_476
.LBB473_472:
	s_mov_b64 s[2:3], -1
                                        ; implicit-def: $vgpr1
.LBB473_473:
	s_and_b64 vcc, exec, s[2:3]
	s_cbranch_vccz .LBB473_475
; %bb.474:
	global_load_ubyte v1, v[2:3], off
	s_mov_b32 s2, 0x7f800000
	s_waitcnt vmcnt(0)
	v_lshlrev_b32_e32 v1, 24, v1
	v_and_b32_e32 v4, 0x7f000000, v1
	v_ffbh_u32_e32 v5, v4
	v_min_u32_e32 v5, 32, v5
	v_sub_u32_e64 v5, v5, 4 clamp
	v_lshlrev_b32_e32 v7, v5, v4
	v_lshlrev_b32_e32 v5, 23, v5
	v_lshrrev_b32_e32 v7, 4, v7
	v_add_u32_e32 v6, 0x1000000, v4
	v_sub_u32_e32 v5, v7, v5
	v_ashrrev_i32_e32 v6, 8, v6
	v_add_u32_e32 v5, 0x3c000000, v5
	v_and_or_b32 v5, v6, s2, v5
	v_cmp_ne_u32_e32 vcc, 0, v4
	s_brev_b32 s2, 1
	s_nop 0
	v_cndmask_b32_e32 v4, 0, v5, vcc
	v_and_or_b32 v1, v1, s2, v4
.LBB473_475:
	s_mov_b64 s[2:3], 0
.LBB473_476:
	s_andn2_b64 vcc, exec, s[2:3]
	s_cbranch_vccnz .LBB473_478
; %bb.477:
	global_load_ubyte v1, v[2:3], off
	s_movk_i32 s2, 0x7f00
	s_brev_b32 s3, 16
	s_waitcnt vmcnt(0)
	v_lshlrev_b16_e32 v4, 8, v1
	v_lshlrev_b32_e32 v1, 25, v1
	v_lshrrev_b32_e32 v5, 4, v1
	v_and_or_b32 v6, v4, s2, 0.5
	v_or_b32_e32 v5, 0x70000000, v5
	v_add_f32_e32 v6, -0.5, v6
	v_mul_f32_e32 v5, 0x7800000, v5
	v_cmp_gt_u32_e32 vcc, s3, v1
	v_bfe_i32 v4, v4, 0, 16
	s_brev_b32 s2, 1
	v_cndmask_b32_e32 v1, v5, v6, vcc
	v_and_or_b32 v1, v4, s2, v1
.LBB473_478:
	s_mov_b64 s[6:7], 0
	s_mov_b64 s[2:3], -1
.LBB473_479:
	s_andn2_b64 vcc, exec, s[6:7]
	s_cbranch_vccnz .LBB473_492
; %bb.480:
	s_cmp_gt_i32 s10, 14
	s_cbranch_scc0 .LBB473_483
; %bb.481:
	s_cmp_eq_u32 s10, 15
	s_cbranch_scc0 .LBB473_486
; %bb.482:
	global_load_ushort v1, v[2:3], off
	s_mov_b64 s[2:3], -1
	s_mov_b64 s[4:5], 0
	s_waitcnt vmcnt(0)
	v_lshlrev_b32_e32 v1, 16, v1
	s_branch .LBB473_487
.LBB473_483:
	s_mov_b64 s[6:7], -1
                                        ; implicit-def: $vgpr1
	s_branch .LBB473_488
.LBB473_484:
	s_or_saveexec_b64 s[6:7], s[6:7]
	v_mov_b32_e32 v1, 0x7f800001
	s_xor_b64 exec, exec, s[6:7]
	s_cbranch_execz .LBB473_465
.LBB473_485:
	v_cmp_ne_u16_e32 vcc, 0, v4
	s_andn2_b64 s[2:3], s[2:3], exec
	s_and_b64 s[8:9], vcc, exec
	v_mov_b32_e32 v1, 0
	s_or_b64 s[2:3], s[2:3], s[8:9]
	s_or_b64 exec, exec, s[6:7]
	s_and_saveexec_b64 s[6:7], s[2:3]
	s_cbranch_execnz .LBB473_466
	s_branch .LBB473_467
.LBB473_486:
	s_mov_b64 s[4:5], -1
                                        ; implicit-def: $vgpr1
.LBB473_487:
	s_mov_b64 s[6:7], 0
.LBB473_488:
	s_and_b64 vcc, exec, s[6:7]
	s_cbranch_vccz .LBB473_492
; %bb.489:
	s_cmp_eq_u32 s10, 11
	s_cbranch_scc0 .LBB473_491
; %bb.490:
	global_load_ubyte v1, v[2:3], off
	s_mov_b64 s[2:3], -1
	s_mov_b64 s[4:5], 0
	s_waitcnt vmcnt(0)
	v_cmp_ne_u16_e32 vcc, 0, v1
	s_nop 1
	v_cndmask_b32_e64 v1, 0, 1.0, vcc
	s_branch .LBB473_492
.LBB473_491:
	s_mov_b64 s[4:5], -1
                                        ; implicit-def: $vgpr1
.LBB473_492:
	s_branch .LBB473_295
.LBB473_493:
	s_cmp_lt_i32 s10, 5
	s_cbranch_scc1 .LBB473_498
; %bb.494:
	s_cmp_lt_i32 s10, 8
	s_cbranch_scc1 .LBB473_499
; %bb.495:
	;; [unrolled: 3-line block ×3, first 2 shown]
	s_cmp_gt_i32 s10, 9
	s_cbranch_scc0 .LBB473_501
; %bb.497:
	global_load_dwordx2 v[4:5], v[2:3], off
	s_mov_b64 s[2:3], 0
	s_waitcnt vmcnt(0)
	v_cvt_f32_f64_e32 v1, v[4:5]
	s_branch .LBB473_502
.LBB473_498:
	s_mov_b64 s[2:3], -1
                                        ; implicit-def: $vgpr1
	s_branch .LBB473_520
.LBB473_499:
	s_mov_b64 s[2:3], -1
                                        ; implicit-def: $vgpr1
	s_branch .LBB473_508
.LBB473_500:
	s_mov_b64 s[2:3], -1
                                        ; implicit-def: $vgpr1
	s_branch .LBB473_505
.LBB473_501:
	s_mov_b64 s[2:3], -1
                                        ; implicit-def: $vgpr1
.LBB473_502:
	s_andn2_b64 vcc, exec, s[2:3]
	s_cbranch_vccnz .LBB473_504
; %bb.503:
	global_load_dword v1, v[2:3], off
.LBB473_504:
	s_mov_b64 s[2:3], 0
.LBB473_505:
	s_andn2_b64 vcc, exec, s[2:3]
	s_cbranch_vccnz .LBB473_507
; %bb.506:
	global_load_dword v1, v[2:3], off
	s_waitcnt vmcnt(0)
	v_cvt_f32_f16_e32 v1, v1
.LBB473_507:
	s_mov_b64 s[2:3], 0
.LBB473_508:
	s_andn2_b64 vcc, exec, s[2:3]
	s_cbranch_vccnz .LBB473_519
; %bb.509:
	s_cmp_lt_i32 s10, 6
	s_cbranch_scc1 .LBB473_512
; %bb.510:
	s_cmp_gt_i32 s10, 6
	s_cbranch_scc0 .LBB473_513
; %bb.511:
	global_load_dwordx2 v[4:5], v[2:3], off
	s_mov_b64 s[2:3], 0
	s_waitcnt vmcnt(0)
	v_cvt_f32_f64_e32 v1, v[4:5]
	s_branch .LBB473_514
.LBB473_512:
	s_mov_b64 s[2:3], -1
                                        ; implicit-def: $vgpr1
	s_branch .LBB473_517
.LBB473_513:
	s_mov_b64 s[2:3], -1
                                        ; implicit-def: $vgpr1
.LBB473_514:
	s_andn2_b64 vcc, exec, s[2:3]
	s_cbranch_vccnz .LBB473_516
; %bb.515:
	global_load_dword v1, v[2:3], off
.LBB473_516:
	s_mov_b64 s[2:3], 0
.LBB473_517:
	s_andn2_b64 vcc, exec, s[2:3]
	s_cbranch_vccnz .LBB473_519
; %bb.518:
	global_load_ushort v1, v[2:3], off
	s_waitcnt vmcnt(0)
	v_cvt_f32_f16_e32 v1, v1
.LBB473_519:
	s_mov_b64 s[2:3], 0
.LBB473_520:
	s_andn2_b64 vcc, exec, s[2:3]
	s_cbranch_vccnz .LBB473_540
; %bb.521:
	s_cmp_lt_i32 s10, 2
	s_cbranch_scc1 .LBB473_525
; %bb.522:
	s_cmp_lt_i32 s10, 3
	s_cbranch_scc1 .LBB473_526
; %bb.523:
	s_cmp_gt_i32 s10, 3
	s_cbranch_scc0 .LBB473_527
; %bb.524:
	global_load_dwordx2 v[4:5], v[2:3], off
	s_mov_b64 s[2:3], 0
	s_waitcnt vmcnt(0)
	v_xor_b32_e32 v6, v4, v5
	v_ffbh_i32_e32 v1, v5
	v_ashrrev_i32_e32 v6, 31, v6
	v_add_u32_e32 v1, -1, v1
	v_add_u32_e32 v6, 32, v6
	v_min_u32_e32 v1, v1, v6
	v_lshlrev_b64 v[4:5], v1, v[4:5]
	v_min_u32_e32 v4, 1, v4
	v_or_b32_e32 v4, v5, v4
	v_cvt_f32_i32_e32 v4, v4
	v_sub_u32_e32 v1, 32, v1
	v_ldexp_f32 v1, v4, v1
	s_branch .LBB473_528
.LBB473_525:
	s_mov_b64 s[2:3], -1
                                        ; implicit-def: $vgpr1
	s_branch .LBB473_534
.LBB473_526:
	s_mov_b64 s[2:3], -1
                                        ; implicit-def: $vgpr1
	s_branch .LBB473_531
.LBB473_527:
	s_mov_b64 s[2:3], -1
                                        ; implicit-def: $vgpr1
.LBB473_528:
	s_andn2_b64 vcc, exec, s[2:3]
	s_cbranch_vccnz .LBB473_530
; %bb.529:
	global_load_dword v1, v[2:3], off
	s_waitcnt vmcnt(0)
	v_cvt_f32_i32_e32 v1, v1
.LBB473_530:
	s_mov_b64 s[2:3], 0
.LBB473_531:
	s_andn2_b64 vcc, exec, s[2:3]
	s_cbranch_vccnz .LBB473_533
; %bb.532:
	global_load_sshort v1, v[2:3], off
	s_waitcnt vmcnt(0)
	v_cvt_f32_i32_e32 v1, v1
.LBB473_533:
	s_mov_b64 s[2:3], 0
.LBB473_534:
	s_andn2_b64 vcc, exec, s[2:3]
	s_cbranch_vccnz .LBB473_540
; %bb.535:
	s_cmp_gt_i32 s10, 0
	s_cbranch_scc0 .LBB473_537
; %bb.536:
	global_load_sbyte v1, v[2:3], off
	s_mov_b64 s[2:3], 0
	s_waitcnt vmcnt(0)
	v_cvt_f32_i32_e32 v1, v1
	s_branch .LBB473_538
.LBB473_537:
	s_mov_b64 s[2:3], -1
                                        ; implicit-def: $vgpr1
.LBB473_538:
	s_andn2_b64 vcc, exec, s[2:3]
	s_cbranch_vccnz .LBB473_540
; %bb.539:
	global_load_ubyte v1, v[2:3], off
	s_waitcnt vmcnt(0)
	v_cvt_f32_ubyte0_e32 v1, v1
.LBB473_540:
	s_branch .LBB473_296
.LBB473_541:
	s_mov_b64 s[6:7], 0
	s_mov_b64 s[2:3], s[56:57]
.LBB473_542:
                                        ; implicit-def: $vgpr8
.LBB473_543:
	s_andn2_b64 s[8:9], s[56:57], exec
	s_and_b64 s[2:3], s[2:3], exec
	s_or_b64 s[64:65], s[8:9], s[2:3]
	s_andn2_b64 s[2:3], s[58:59], exec
	s_and_b64 s[4:5], s[4:5], exec
	s_or_b64 s[62:63], s[2:3], s[4:5]
	s_orn2_b64 s[2:3], s[6:7], exec
.LBB473_544:
	s_or_b64 exec, exec, s[66:67]
	s_mov_b64 s[4:5], 0
	s_mov_b64 s[6:7], 0
	;; [unrolled: 1-line block ×3, first 2 shown]
                                        ; implicit-def: $vgpr2_vgpr3
                                        ; implicit-def: $vgpr0
                                        ; implicit-def: $vgpr1
	s_and_saveexec_b64 s[66:67], s[2:3]
	s_cbranch_execz .LBB473_921
; %bb.545:
	v_cmp_gt_i32_e32 vcc, s72, v8
	s_mov_b64 s[6:7], -1
	s_mov_b64 s[2:3], s[62:63]
	s_mov_b64 s[70:71], s[64:65]
	s_and_saveexec_b64 s[68:69], vcc
	s_cbranch_execz .LBB473_820
; %bb.546:
	s_andn2_b64 vcc, exec, s[42:43]
	s_cbranch_vccnz .LBB473_552
; %bb.547:
	s_andn2_b64 vcc, exec, s[54:55]
	s_cbranch_vccnz .LBB473_553
; %bb.548:
	s_add_i32 s77, s76, 1
	s_cmp_eq_u32 s74, 2
	s_cbranch_scc1 .LBB473_554
; %bb.549:
	s_and_b32 s73, s77, 28
	s_mov_b32 s78, 0
	v_mov_b32_e32 v0, 0
	v_mov_b32_e32 v2, 0
	s_mov_b64 s[2:3], s[34:35]
	s_mov_b64 s[70:71], s[52:53]
	v_mov_b32_e32 v4, v8
.LBB473_550:                            ; =>This Inner Loop Header: Depth=1
	s_load_dwordx8 s[12:19], s[2:3], 0x4
	s_load_dwordx4 s[36:39], s[2:3], 0x24
	s_load_dwordx8 s[4:11], s[70:71], 0x0
	s_add_u32 s2, s2, 48
	s_addc_u32 s3, s3, 0
	s_waitcnt vmcnt(0) lgkmcnt(0)
	v_mul_hi_u32 v1, s13, v4
	v_add_u32_e32 v1, v4, v1
	v_lshrrev_b32_e32 v1, s14, v1
	v_mul_lo_u32 v3, v1, s12
	v_mul_hi_u32 v5, s16, v1
	v_sub_u32_e32 v3, v4, v3
	v_add_u32_e32 v4, v1, v5
	v_lshrrev_b32_e32 v4, s17, v4
	v_mul_lo_u32 v6, v4, s15
	v_mul_hi_u32 v7, s19, v4
	v_sub_u32_e32 v1, v1, v6
	v_add_u32_e32 v6, v4, v7
	v_mul_lo_u32 v5, v3, s5
	v_mul_lo_u32 v3, v3, s4
	;; [unrolled: 1-line block ×4, first 2 shown]
	v_lshrrev_b32_e32 v6, s36, v6
	v_add3_u32 v0, v3, v0, v1
	v_mul_hi_u32 v3, s38, v6
	v_add3_u32 v1, v5, v2, v7
	v_mul_lo_u32 v2, v6, s18
	v_add_u32_e32 v3, v6, v3
	v_sub_u32_e32 v2, v4, v2
	v_lshrrev_b32_e32 v4, s39, v3
	s_add_i32 s78, s78, 4
	v_mul_lo_u32 v3, v4, s37
	s_add_u32 s70, s70, 32
	v_sub_u32_e32 v3, v6, v3
	s_addc_u32 s71, s71, 0
	v_mul_lo_u32 v5, v2, s8
	v_mul_lo_u32 v2, v2, s9
	;; [unrolled: 1-line block ×4, first 2 shown]
	s_cmp_eq_u32 s73, s78
	v_add3_u32 v2, v2, v1, v3
	v_add3_u32 v0, v5, v0, v6
	s_cbranch_scc0 .LBB473_550
; %bb.551:
	v_mov_b32_e32 v1, v2
	s_branch .LBB473_555
.LBB473_552:
	s_mov_b64 s[2:3], -1
                                        ; implicit-def: $vgpr2
                                        ; implicit-def: $vgpr0
	s_branch .LBB473_559
.LBB473_553:
	v_mov_b32_e32 v2, 0
	v_mov_b32_e32 v0, 0
	s_branch .LBB473_558
.LBB473_554:
	v_mov_b32_e32 v0, 0
	s_mov_b32 s73, 0
	s_waitcnt vmcnt(0)
	v_mov_b32_e32 v1, v0
                                        ; implicit-def: $vgpr2
	v_mov_b32_e32 v4, v8
.LBB473_555:
	s_and_b32 s6, s77, 3
	s_cmp_eq_u32 s6, 0
	s_cbranch_scc1 .LBB473_558
; %bb.556:
	s_lshl_b32 s2, s73, 3
	s_add_u32 s2, s34, s2
	s_addc_u32 s3, s35, 0
	s_add_u32 s2, s2, 0xc4
	s_addc_u32 s3, s3, 0
	s_mul_i32 s4, s73, 12
	s_add_u32 s4, s34, s4
	s_addc_u32 s5, s35, 0
.LBB473_557:                            ; =>This Inner Loop Header: Depth=1
	s_load_dwordx2 s[8:9], s[4:5], 0x4
	s_load_dword s7, s[4:5], 0xc
	s_load_dwordx2 s[10:11], s[2:3], 0x0
	v_mov_b32_e32 v2, v1
	s_add_u32 s4, s4, 12
	s_waitcnt lgkmcnt(0)
	v_mul_hi_u32 v1, s9, v4
	v_add_u32_e32 v1, v4, v1
	v_lshrrev_b32_e32 v1, s7, v1
	s_addc_u32 s5, s5, 0
	v_mul_lo_u32 v3, v1, s8
	s_add_u32 s2, s2, 8
	v_sub_u32_e32 v5, v4, v3
	s_addc_u32 s3, s3, 0
	s_add_i32 s6, s6, -1
	v_mov_b32_e32 v4, v1
	v_mad_u64_u32 v[2:3], s[8:9], v5, s11, v[2:3]
	v_mad_u64_u32 v[0:1], s[8:9], v5, s10, v[0:1]
	s_cmp_lg_u32 s6, 0
	v_mov_b32_e32 v1, v2
	s_cbranch_scc1 .LBB473_557
.LBB473_558:
	s_mov_b64 s[2:3], 0
.LBB473_559:
	s_andn2_b64 vcc, exec, s[2:3]
	s_cbranch_vccnz .LBB473_562
; %bb.560:
	v_mul_hi_u32 v0, s25, v8
	v_add_u32_e32 v0, v8, v0
	s_waitcnt vmcnt(0)
	v_lshrrev_b32_e32 v1, s26, v0
	v_mul_lo_u32 v0, v1, s24
	v_sub_u32_e32 v0, v8, v0
	v_mul_lo_u32 v2, v0, s29
	s_andn2_b64 vcc, exec, s[50:51]
	v_mul_lo_u32 v0, v0, s28
	s_cbranch_vccnz .LBB473_562
; %bb.561:
	v_mul_hi_u32 v3, s48, v1
	v_add_u32_e32 v3, v1, v3
	v_lshrrev_b32_e32 v3, s49, v3
	v_mul_lo_u32 v3, v3, s27
	v_sub_u32_e32 v3, v1, v3
	v_mad_u64_u32 v[0:1], s[2:3], v3, s30, v[0:1]
	v_mad_u64_u32 v[2:3], s[2:3], v3, s31, v[2:3]
.LBB473_562:
	v_mov_b32_e32 v3, 0
	s_and_b32 s10, 0xffff, s75
	s_cmp_lt_i32 s10, 11
	v_lshl_add_u64 v[2:3], s[22:23], 0, v[2:3]
	s_cbranch_scc1 .LBB473_569
; %bb.563:
	s_cmp_gt_i32 s10, 25
	s_cbranch_scc0 .LBB473_570
; %bb.564:
	s_cmp_gt_i32 s10, 28
	s_cbranch_scc0 .LBB473_571
; %bb.565:
	s_cmp_gt_i32 s10, 43
	s_cbranch_scc0 .LBB473_572
; %bb.566:
	s_cmp_gt_i32 s10, 45
	s_cbranch_scc0 .LBB473_575
; %bb.567:
	s_cmp_eq_u32 s10, 46
	s_mov_b64 s[6:7], 0
	s_cbranch_scc0 .LBB473_578
; %bb.568:
	global_load_dword v1, v[2:3], off
	s_mov_b64 s[2:3], -1
	s_mov_b64 s[4:5], 0
	s_waitcnt vmcnt(0)
	v_lshlrev_b32_e32 v1, 16, v1
	s_branch .LBB473_579
.LBB473_569:
	s_mov_b64 s[6:7], -1
	s_mov_b64 s[2:3], 0
                                        ; implicit-def: $vgpr1
	s_mov_b64 s[4:5], s[62:63]
	s_branch .LBB473_644
.LBB473_570:
	s_mov_b64 s[6:7], -1
	s_mov_b64 s[2:3], 0
	s_mov_b64 s[4:5], s[62:63]
                                        ; implicit-def: $vgpr1
	s_branch .LBB473_608
.LBB473_571:
	s_mov_b64 s[6:7], -1
	s_mov_b64 s[2:3], 0
	s_mov_b64 s[4:5], s[62:63]
                                        ; implicit-def: $vgpr1
	s_branch .LBB473_589
.LBB473_572:
	s_mov_b64 s[6:7], -1
	s_mov_b64 s[2:3], 0
	s_mov_b64 s[4:5], s[62:63]
                                        ; implicit-def: $vgpr1
	s_branch .LBB473_584
.LBB473_573:
	s_andn2_saveexec_b64 s[10:11], s[10:11]
	s_cbranch_execz .LBB473_341
.LBB473_574:
	s_mov_b32 s14, 0x46000000
	v_add_f32_e64 v3, |v2|, s14
	v_and_b32_e32 v3, 0xff, v3
	v_cmp_ne_u32_e32 vcc, 0, v3
	s_andn2_b64 s[8:9], s[8:9], exec
	s_and_b64 s[14:15], vcc, exec
	s_or_b64 s[8:9], s[8:9], s[14:15]
	s_or_b64 exec, exec, s[10:11]
	v_mov_b32_e32 v4, 0
	s_and_saveexec_b64 s[10:11], s[8:9]
	s_cbranch_execnz .LBB473_342
	s_branch .LBB473_343
.LBB473_575:
	s_mov_b64 s[6:7], -1
	s_mov_b64 s[2:3], 0
	s_mov_b64 s[4:5], s[62:63]
                                        ; implicit-def: $vgpr1
	s_branch .LBB473_579
.LBB473_576:
	s_andn2_saveexec_b64 s[10:11], s[10:11]
	s_cbranch_execz .LBB473_354
.LBB473_577:
	s_mov_b32 s14, 0x42800000
	v_add_f32_e64 v3, |v2|, s14
	v_and_b32_e32 v3, 0xff, v3
	v_cmp_ne_u32_e32 vcc, 0, v3
	s_andn2_b64 s[8:9], s[8:9], exec
	s_and_b64 s[14:15], vcc, exec
	s_or_b64 s[8:9], s[8:9], s[14:15]
	s_or_b64 exec, exec, s[10:11]
	v_mov_b32_e32 v4, 0
	s_and_saveexec_b64 s[10:11], s[8:9]
	s_cbranch_execnz .LBB473_355
	s_branch .LBB473_356
.LBB473_578:
	s_mov_b64 s[4:5], -1
                                        ; implicit-def: $vgpr1
	s_mov_b64 s[2:3], 0
.LBB473_579:
	s_and_b64 vcc, exec, s[6:7]
	s_cbranch_vccz .LBB473_583
; %bb.580:
	s_cmp_eq_u32 s10, 44
	s_cbranch_scc0 .LBB473_582
; %bb.581:
	global_load_ubyte v1, v[2:3], off
	s_movk_i32 s4, 0xff
	v_mov_b32_e32 v4, 0x7f800001
	v_mov_b32_e32 v5, 0x400000
	s_mov_b64 s[2:3], -1
	s_waitcnt vmcnt(0)
	v_lshlrev_b32_e32 v6, 23, v1
	v_cmp_ne_u32_e32 vcc, s4, v1
	s_mov_b64 s[4:5], 0
	s_nop 0
	v_cndmask_b32_e32 v4, v4, v6, vcc
	v_cmp_ne_u32_e32 vcc, 0, v1
	s_nop 1
	v_cndmask_b32_e32 v1, v5, v4, vcc
	s_branch .LBB473_583
.LBB473_582:
	s_mov_b64 s[4:5], -1
                                        ; implicit-def: $vgpr1
.LBB473_583:
	s_mov_b64 s[6:7], 0
.LBB473_584:
	s_and_b64 vcc, exec, s[6:7]
	s_cbranch_vccz .LBB473_588
; %bb.585:
	s_cmp_eq_u32 s10, 29
	s_cbranch_scc0 .LBB473_587
; %bb.586:
	global_load_dwordx2 v[4:5], v[2:3], off
	s_mov_b64 s[2:3], -1
	s_mov_b64 s[4:5], 0
	s_mov_b64 s[6:7], 0
	s_waitcnt vmcnt(0)
	v_ffbh_u32_e32 v1, v5
	v_min_u32_e32 v1, 32, v1
	v_lshlrev_b64 v[4:5], v1, v[4:5]
	v_min_u32_e32 v4, 1, v4
	v_or_b32_e32 v4, v5, v4
	v_cvt_f32_u32_e32 v4, v4
	v_sub_u32_e32 v1, 32, v1
	v_ldexp_f32 v1, v4, v1
	s_branch .LBB473_589
.LBB473_587:
	s_mov_b64 s[4:5], -1
                                        ; implicit-def: $vgpr1
.LBB473_588:
	s_mov_b64 s[6:7], 0
.LBB473_589:
	s_and_b64 vcc, exec, s[6:7]
	s_cbranch_vccz .LBB473_607
; %bb.590:
	s_cmp_lt_i32 s10, 27
	s_cbranch_scc1 .LBB473_593
; %bb.591:
	s_cmp_gt_i32 s10, 27
	s_cbranch_scc0 .LBB473_594
; %bb.592:
	global_load_dword v1, v[2:3], off
	s_mov_b64 s[2:3], 0
	s_waitcnt vmcnt(0)
	v_cvt_f32_u32_e32 v1, v1
	s_branch .LBB473_595
.LBB473_593:
	s_mov_b64 s[2:3], -1
                                        ; implicit-def: $vgpr1
	s_branch .LBB473_598
.LBB473_594:
	s_mov_b64 s[2:3], -1
                                        ; implicit-def: $vgpr1
.LBB473_595:
	s_andn2_b64 vcc, exec, s[2:3]
	s_cbranch_vccnz .LBB473_597
; %bb.596:
	global_load_ushort v1, v[2:3], off
	s_waitcnt vmcnt(0)
	v_cvt_f32_u32_e32 v1, v1
.LBB473_597:
	s_mov_b64 s[2:3], 0
.LBB473_598:
	s_andn2_b64 vcc, exec, s[2:3]
	s_cbranch_vccnz .LBB473_606
; %bb.599:
	global_load_ubyte v4, v[2:3], off
	s_movk_i32 s2, 0x7f
	s_waitcnt vmcnt(0)
	v_cmp_lt_i16_e32 vcc, s2, v4
	s_mov_b64 s[2:3], 0
	s_and_saveexec_b64 s[6:7], vcc
	s_xor_b64 s[6:7], exec, s[6:7]
	s_cbranch_execz .LBB473_620
; %bb.600:
	s_movk_i32 s2, 0x80
	v_cmp_eq_u16_e32 vcc, s2, v4
	s_mov_b64 s[2:3], -1
	s_and_saveexec_b64 s[8:9], vcc
; %bb.601:
	s_xor_b64 s[2:3], exec, -1
; %bb.602:
	s_or_b64 exec, exec, s[8:9]
	s_and_b64 s[2:3], s[2:3], exec
	s_or_saveexec_b64 s[6:7], s[6:7]
	v_mov_b32_e32 v1, 0x7f800001
	s_xor_b64 exec, exec, s[6:7]
	s_cbranch_execnz .LBB473_621
.LBB473_603:
	s_or_b64 exec, exec, s[6:7]
	s_and_saveexec_b64 s[6:7], s[2:3]
	s_cbranch_execz .LBB473_605
.LBB473_604:
	v_lshlrev_b32_e32 v1, 24, v4
	v_and_b32_e32 v4, 0xffff, v4
	v_and_b32_e32 v5, 7, v4
	v_ffbh_u32_e32 v7, v5
	v_min_u32_e32 v7, 32, v7
	v_subrev_u32_e32 v9, 28, v7
	v_bfe_u32 v6, v4, 3, 4
	v_lshlrev_b32_e32 v4, v9, v4
	v_sub_u32_e32 v7, 29, v7
	v_and_b32_e32 v4, 7, v4
	v_cmp_eq_u32_e32 vcc, 0, v6
	v_and_b32_e32 v1, 0x80000000, v1
	s_nop 0
	v_cndmask_b32_e32 v6, v6, v7, vcc
	v_cndmask_b32_e32 v4, v5, v4, vcc
	v_mov_b32_e32 v5, 0x3b800000
	v_lshlrev_b32_e32 v4, 20, v4
	v_lshl_add_u32 v5, v6, 23, v5
	v_or3_b32 v1, v1, v5, v4
.LBB473_605:
	s_or_b64 exec, exec, s[6:7]
.LBB473_606:
	s_mov_b64 s[2:3], -1
.LBB473_607:
	s_mov_b64 s[6:7], 0
.LBB473_608:
	s_and_b64 vcc, exec, s[6:7]
	s_cbranch_vccz .LBB473_643
; %bb.609:
	s_cmp_gt_i32 s10, 22
	s_cbranch_scc0 .LBB473_619
; %bb.610:
	s_cmp_lt_i32 s10, 24
	s_cbranch_scc1 .LBB473_622
; %bb.611:
	s_cmp_gt_i32 s10, 24
	s_cbranch_scc0 .LBB473_623
; %bb.612:
	global_load_ubyte v4, v[2:3], off
	s_movk_i32 s2, 0x7f
	s_waitcnt vmcnt(0)
	v_cmp_lt_i16_e32 vcc, s2, v4
	s_mov_b64 s[2:3], 0
	s_and_saveexec_b64 s[6:7], vcc
	s_xor_b64 s[6:7], exec, s[6:7]
	s_cbranch_execz .LBB473_635
; %bb.613:
	s_movk_i32 s2, 0x80
	v_cmp_eq_u16_e32 vcc, s2, v4
	s_mov_b64 s[2:3], -1
	s_and_saveexec_b64 s[8:9], vcc
; %bb.614:
	s_xor_b64 s[2:3], exec, -1
; %bb.615:
	s_or_b64 exec, exec, s[8:9]
	s_and_b64 s[2:3], s[2:3], exec
	s_or_saveexec_b64 s[6:7], s[6:7]
	v_mov_b32_e32 v1, 0x7f800001
	s_xor_b64 exec, exec, s[6:7]
	s_cbranch_execnz .LBB473_636
.LBB473_616:
	s_or_b64 exec, exec, s[6:7]
	s_and_saveexec_b64 s[6:7], s[2:3]
	s_cbranch_execz .LBB473_618
.LBB473_617:
	v_lshlrev_b32_e32 v1, 24, v4
	v_and_b32_e32 v4, 0xffff, v4
	v_and_b32_e32 v5, 3, v4
	v_ffbh_u32_e32 v7, v5
	v_min_u32_e32 v7, 32, v7
	v_subrev_u32_e32 v9, 29, v7
	v_bfe_u32 v6, v4, 2, 5
	v_lshlrev_b32_e32 v4, v9, v4
	v_sub_u32_e32 v7, 30, v7
	v_and_b32_e32 v4, 3, v4
	v_cmp_eq_u32_e32 vcc, 0, v6
	v_and_b32_e32 v1, 0x80000000, v1
	s_nop 0
	v_cndmask_b32_e32 v6, v6, v7, vcc
	v_cndmask_b32_e32 v4, v5, v4, vcc
	v_mov_b32_e32 v5, 0x37800000
	v_lshlrev_b32_e32 v4, 21, v4
	v_lshl_add_u32 v5, v6, 23, v5
	v_or3_b32 v1, v1, v5, v4
.LBB473_618:
	s_or_b64 exec, exec, s[6:7]
	s_mov_b64 s[2:3], 0
	s_branch .LBB473_624
.LBB473_619:
	s_mov_b64 s[6:7], -1
                                        ; implicit-def: $vgpr1
	s_branch .LBB473_630
.LBB473_620:
	s_or_saveexec_b64 s[6:7], s[6:7]
	v_mov_b32_e32 v1, 0x7f800001
	s_xor_b64 exec, exec, s[6:7]
	s_cbranch_execz .LBB473_603
.LBB473_621:
	v_cmp_ne_u16_e32 vcc, 0, v4
	s_andn2_b64 s[2:3], s[2:3], exec
	s_and_b64 s[8:9], vcc, exec
	v_mov_b32_e32 v1, 0
	s_or_b64 s[2:3], s[2:3], s[8:9]
	s_or_b64 exec, exec, s[6:7]
	s_and_saveexec_b64 s[6:7], s[2:3]
	s_cbranch_execnz .LBB473_604
	s_branch .LBB473_605
.LBB473_622:
	s_mov_b64 s[2:3], -1
                                        ; implicit-def: $vgpr1
	s_branch .LBB473_627
.LBB473_623:
	s_mov_b64 s[2:3], -1
                                        ; implicit-def: $vgpr1
.LBB473_624:
	s_and_b64 vcc, exec, s[2:3]
	s_cbranch_vccz .LBB473_626
; %bb.625:
	global_load_ubyte v1, v[2:3], off
	s_mov_b32 s2, 0x7f800000
	s_waitcnt vmcnt(0)
	v_lshlrev_b32_e32 v1, 24, v1
	v_and_b32_e32 v4, 0x7f000000, v1
	v_ffbh_u32_e32 v5, v4
	v_min_u32_e32 v5, 32, v5
	v_sub_u32_e64 v5, v5, 4 clamp
	v_lshlrev_b32_e32 v7, v5, v4
	v_lshlrev_b32_e32 v5, 23, v5
	v_lshrrev_b32_e32 v7, 4, v7
	v_add_u32_e32 v6, 0x1000000, v4
	v_sub_u32_e32 v5, v7, v5
	v_ashrrev_i32_e32 v6, 8, v6
	v_add_u32_e32 v5, 0x3c000000, v5
	v_and_or_b32 v5, v6, s2, v5
	v_cmp_ne_u32_e32 vcc, 0, v4
	s_brev_b32 s2, 1
	s_nop 0
	v_cndmask_b32_e32 v4, 0, v5, vcc
	v_and_or_b32 v1, v1, s2, v4
.LBB473_626:
	s_mov_b64 s[2:3], 0
.LBB473_627:
	s_andn2_b64 vcc, exec, s[2:3]
	s_cbranch_vccnz .LBB473_629
; %bb.628:
	global_load_ubyte v1, v[2:3], off
	s_movk_i32 s2, 0x7f00
	s_brev_b32 s3, 16
	s_waitcnt vmcnt(0)
	v_lshlrev_b16_e32 v4, 8, v1
	v_lshlrev_b32_e32 v1, 25, v1
	v_lshrrev_b32_e32 v5, 4, v1
	v_and_or_b32 v6, v4, s2, 0.5
	v_or_b32_e32 v5, 0x70000000, v5
	v_add_f32_e32 v6, -0.5, v6
	v_mul_f32_e32 v5, 0x7800000, v5
	v_cmp_gt_u32_e32 vcc, s3, v1
	v_bfe_i32 v4, v4, 0, 16
	s_brev_b32 s2, 1
	v_cndmask_b32_e32 v1, v5, v6, vcc
	v_and_or_b32 v1, v4, s2, v1
.LBB473_629:
	s_mov_b64 s[6:7], 0
	s_mov_b64 s[2:3], -1
.LBB473_630:
	s_andn2_b64 vcc, exec, s[6:7]
	s_cbranch_vccnz .LBB473_643
; %bb.631:
	s_cmp_gt_i32 s10, 14
	s_cbranch_scc0 .LBB473_634
; %bb.632:
	s_cmp_eq_u32 s10, 15
	s_cbranch_scc0 .LBB473_637
; %bb.633:
	global_load_ushort v1, v[2:3], off
	s_mov_b64 s[2:3], -1
	s_mov_b64 s[4:5], 0
	s_waitcnt vmcnt(0)
	v_lshlrev_b32_e32 v1, 16, v1
	s_branch .LBB473_638
.LBB473_634:
	s_mov_b64 s[6:7], -1
                                        ; implicit-def: $vgpr1
	s_branch .LBB473_639
.LBB473_635:
	s_or_saveexec_b64 s[6:7], s[6:7]
	v_mov_b32_e32 v1, 0x7f800001
	s_xor_b64 exec, exec, s[6:7]
	s_cbranch_execz .LBB473_616
.LBB473_636:
	v_cmp_ne_u16_e32 vcc, 0, v4
	s_andn2_b64 s[2:3], s[2:3], exec
	s_and_b64 s[8:9], vcc, exec
	v_mov_b32_e32 v1, 0
	s_or_b64 s[2:3], s[2:3], s[8:9]
	s_or_b64 exec, exec, s[6:7]
	s_and_saveexec_b64 s[6:7], s[2:3]
	s_cbranch_execnz .LBB473_617
	s_branch .LBB473_618
.LBB473_637:
	s_mov_b64 s[4:5], -1
                                        ; implicit-def: $vgpr1
.LBB473_638:
	s_mov_b64 s[6:7], 0
.LBB473_639:
	s_and_b64 vcc, exec, s[6:7]
	s_cbranch_vccz .LBB473_643
; %bb.640:
	s_cmp_eq_u32 s10, 11
	s_cbranch_scc0 .LBB473_642
; %bb.641:
	global_load_ubyte v1, v[2:3], off
	s_mov_b64 s[2:3], -1
	s_mov_b64 s[4:5], 0
	s_waitcnt vmcnt(0)
	v_cmp_ne_u16_e32 vcc, 0, v1
	s_nop 1
	v_cndmask_b32_e64 v1, 0, 1.0, vcc
	s_branch .LBB473_643
.LBB473_642:
	s_mov_b64 s[4:5], -1
                                        ; implicit-def: $vgpr1
.LBB473_643:
	s_mov_b64 s[6:7], 0
.LBB473_644:
	s_and_b64 vcc, exec, s[6:7]
	s_cbranch_vccz .LBB473_693
; %bb.645:
	s_cmp_lt_i32 s10, 5
	s_cbranch_scc1 .LBB473_650
; %bb.646:
	s_cmp_lt_i32 s10, 8
	s_cbranch_scc1 .LBB473_651
	;; [unrolled: 3-line block ×3, first 2 shown]
; %bb.648:
	s_cmp_gt_i32 s10, 9
	s_cbranch_scc0 .LBB473_653
; %bb.649:
	global_load_dwordx2 v[4:5], v[2:3], off
	s_mov_b64 s[2:3], 0
	s_waitcnt vmcnt(0)
	v_cvt_f32_f64_e32 v1, v[4:5]
	s_branch .LBB473_654
.LBB473_650:
	s_mov_b64 s[2:3], -1
                                        ; implicit-def: $vgpr1
	s_branch .LBB473_672
.LBB473_651:
	s_mov_b64 s[2:3], -1
                                        ; implicit-def: $vgpr1
	s_branch .LBB473_660
.LBB473_652:
	s_mov_b64 s[2:3], -1
                                        ; implicit-def: $vgpr1
	s_branch .LBB473_657
.LBB473_653:
	s_mov_b64 s[2:3], -1
                                        ; implicit-def: $vgpr1
.LBB473_654:
	s_andn2_b64 vcc, exec, s[2:3]
	s_cbranch_vccnz .LBB473_656
; %bb.655:
	global_load_dword v1, v[2:3], off
.LBB473_656:
	s_mov_b64 s[2:3], 0
.LBB473_657:
	s_andn2_b64 vcc, exec, s[2:3]
	s_cbranch_vccnz .LBB473_659
; %bb.658:
	global_load_dword v1, v[2:3], off
	s_waitcnt vmcnt(0)
	v_cvt_f32_f16_e32 v1, v1
.LBB473_659:
	s_mov_b64 s[2:3], 0
.LBB473_660:
	s_andn2_b64 vcc, exec, s[2:3]
	s_cbranch_vccnz .LBB473_671
; %bb.661:
	s_cmp_lt_i32 s10, 6
	s_cbranch_scc1 .LBB473_664
; %bb.662:
	s_cmp_gt_i32 s10, 6
	s_cbranch_scc0 .LBB473_665
; %bb.663:
	global_load_dwordx2 v[4:5], v[2:3], off
	s_mov_b64 s[2:3], 0
	s_waitcnt vmcnt(0)
	v_cvt_f32_f64_e32 v1, v[4:5]
	s_branch .LBB473_666
.LBB473_664:
	s_mov_b64 s[2:3], -1
                                        ; implicit-def: $vgpr1
	s_branch .LBB473_669
.LBB473_665:
	s_mov_b64 s[2:3], -1
                                        ; implicit-def: $vgpr1
.LBB473_666:
	s_andn2_b64 vcc, exec, s[2:3]
	s_cbranch_vccnz .LBB473_668
; %bb.667:
	global_load_dword v1, v[2:3], off
.LBB473_668:
	s_mov_b64 s[2:3], 0
.LBB473_669:
	s_andn2_b64 vcc, exec, s[2:3]
	s_cbranch_vccnz .LBB473_671
; %bb.670:
	global_load_ushort v1, v[2:3], off
	s_waitcnt vmcnt(0)
	v_cvt_f32_f16_e32 v1, v1
.LBB473_671:
	s_mov_b64 s[2:3], 0
.LBB473_672:
	s_andn2_b64 vcc, exec, s[2:3]
	s_cbranch_vccnz .LBB473_692
; %bb.673:
	s_cmp_lt_i32 s10, 2
	s_cbranch_scc1 .LBB473_677
; %bb.674:
	s_cmp_lt_i32 s10, 3
	s_cbranch_scc1 .LBB473_678
; %bb.675:
	s_cmp_gt_i32 s10, 3
	s_cbranch_scc0 .LBB473_679
; %bb.676:
	global_load_dwordx2 v[4:5], v[2:3], off
	s_mov_b64 s[2:3], 0
	s_waitcnt vmcnt(0)
	v_xor_b32_e32 v6, v4, v5
	v_ffbh_i32_e32 v1, v5
	v_ashrrev_i32_e32 v6, 31, v6
	v_add_u32_e32 v1, -1, v1
	v_add_u32_e32 v6, 32, v6
	v_min_u32_e32 v1, v1, v6
	v_lshlrev_b64 v[4:5], v1, v[4:5]
	v_min_u32_e32 v4, 1, v4
	v_or_b32_e32 v4, v5, v4
	v_cvt_f32_i32_e32 v4, v4
	v_sub_u32_e32 v1, 32, v1
	v_ldexp_f32 v1, v4, v1
	s_branch .LBB473_680
.LBB473_677:
	s_mov_b64 s[2:3], -1
                                        ; implicit-def: $vgpr1
	s_branch .LBB473_686
.LBB473_678:
	s_mov_b64 s[2:3], -1
                                        ; implicit-def: $vgpr1
	s_branch .LBB473_683
.LBB473_679:
	s_mov_b64 s[2:3], -1
                                        ; implicit-def: $vgpr1
.LBB473_680:
	s_andn2_b64 vcc, exec, s[2:3]
	s_cbranch_vccnz .LBB473_682
; %bb.681:
	global_load_dword v1, v[2:3], off
	s_waitcnt vmcnt(0)
	v_cvt_f32_i32_e32 v1, v1
.LBB473_682:
	s_mov_b64 s[2:3], 0
.LBB473_683:
	s_andn2_b64 vcc, exec, s[2:3]
	s_cbranch_vccnz .LBB473_685
; %bb.684:
	global_load_sshort v1, v[2:3], off
	s_waitcnt vmcnt(0)
	v_cvt_f32_i32_e32 v1, v1
.LBB473_685:
	s_mov_b64 s[2:3], 0
.LBB473_686:
	s_andn2_b64 vcc, exec, s[2:3]
	s_cbranch_vccnz .LBB473_692
; %bb.687:
	s_cmp_gt_i32 s10, 0
	s_cbranch_scc0 .LBB473_689
; %bb.688:
	global_load_sbyte v1, v[2:3], off
	s_mov_b64 s[2:3], 0
	s_waitcnt vmcnt(0)
	v_cvt_f32_i32_e32 v1, v1
	s_branch .LBB473_690
.LBB473_689:
	s_mov_b64 s[2:3], -1
                                        ; implicit-def: $vgpr1
.LBB473_690:
	s_andn2_b64 vcc, exec, s[2:3]
	s_cbranch_vccnz .LBB473_692
; %bb.691:
	global_load_ubyte v1, v[2:3], off
	s_waitcnt vmcnt(0)
	v_cvt_f32_ubyte0_e32 v1, v1
.LBB473_692:
	s_mov_b64 s[2:3], -1
.LBB473_693:
	s_andn2_b64 vcc, exec, s[2:3]
	s_cbranch_vccnz .LBB473_701
; %bb.694:
	v_max_f32_e64 v2, s46, s46
	s_waitcnt vmcnt(0)
	v_max_f32_e32 v3, v1, v1
	v_min_f32_e32 v2, v3, v2
	v_cmp_u_f32_e32 vcc, v1, v1
	s_and_b32 s12, s47, 0xff
	s_cmp_lt_i32 s12, 11
	v_cndmask_b32_e32 v2, v2, v1, vcc
	v_mov_b32_e32 v1, 0
	v_lshl_add_u64 v[0:1], s[20:21], 0, v[0:1]
	s_cbranch_scc1 .LBB473_702
; %bb.695:
	s_and_b32 s13, 0xffff, s12
	s_cmp_gt_i32 s13, 25
	s_cbranch_scc0 .LBB473_703
; %bb.696:
	s_cmp_gt_i32 s13, 28
	s_cbranch_scc0 .LBB473_704
; %bb.697:
	s_cmp_gt_i32 s13, 43
	s_cbranch_scc0 .LBB473_705
; %bb.698:
	s_cmp_gt_i32 s13, 45
	s_cbranch_scc0 .LBB473_706
; %bb.699:
	s_mov_b64 s[8:9], 0
	s_mov_b64 s[2:3], -1
	s_cmp_eq_u32 s13, 46
	s_mov_b64 s[6:7], 0
	s_cbranch_scc0 .LBB473_707
; %bb.700:
	v_bfe_u32 v3, v2, 16, 1
	s_movk_i32 s2, 0x7fff
	v_add3_u32 v3, v2, v3, s2
	v_cmp_o_f32_e32 vcc, v2, v2
	v_mov_b32_e32 v4, 0x7fc0
	s_mov_b64 s[6:7], -1
	v_cndmask_b32_sdwa v3, v4, v3, vcc dst_sel:DWORD dst_unused:UNUSED_PAD src0_sel:DWORD src1_sel:WORD_1
	global_store_dword v[0:1], v3, off
	s_mov_b64 s[2:3], 0
	s_branch .LBB473_707
.LBB473_701:
	s_mov_b64 s[6:7], 0
	s_mov_b64 s[2:3], s[64:65]
	s_branch .LBB473_818
.LBB473_702:
	s_mov_b64 s[8:9], -1
	s_mov_b64 s[6:7], 0
	s_mov_b64 s[2:3], s[64:65]
	s_branch .LBB473_776
.LBB473_703:
	s_mov_b64 s[8:9], -1
	s_mov_b64 s[6:7], 0
	s_mov_b64 s[2:3], s[64:65]
	s_branch .LBB473_734
.LBB473_704:
	s_mov_b64 s[8:9], -1
	s_mov_b64 s[6:7], 0
	s_mov_b64 s[2:3], s[64:65]
	s_branch .LBB473_717
.LBB473_705:
	s_mov_b64 s[8:9], -1
	s_mov_b64 s[6:7], 0
	s_mov_b64 s[2:3], s[64:65]
	s_branch .LBB473_713
.LBB473_706:
	s_mov_b64 s[8:9], -1
	s_mov_b64 s[6:7], 0
	s_mov_b64 s[2:3], s[64:65]
.LBB473_707:
	s_and_b64 vcc, exec, s[8:9]
	s_cbranch_vccz .LBB473_712
; %bb.708:
	s_cmp_eq_u32 s13, 44
	s_mov_b64 s[2:3], -1
	s_cbranch_scc0 .LBB473_712
; %bb.709:
	v_bfe_u32 v3, v2, 23, 8
	s_movk_i32 s2, 0xff
	v_cmp_ne_u32_e32 vcc, s2, v3
	v_mov_b32_e32 v4, 0xff
	s_and_saveexec_b64 s[6:7], vcc
; %bb.710:
	s_mov_b32 s2, 0x3fffff
	v_and_b32_e32 v5, 0x400000, v2
	v_and_or_b32 v3, v2, s2, v3
	v_cmp_ne_u32_e32 vcc, 0, v5
	v_cmp_ne_u32_e64 s[2:3], 0, v3
	s_and_b64 s[2:3], vcc, s[2:3]
	v_lshrrev_b32_e32 v4, 23, v2
	v_cndmask_b32_e64 v3, 0, 1, s[2:3]
	v_add_u32_e32 v4, v4, v3
; %bb.711:
	s_or_b64 exec, exec, s[6:7]
	s_mov_b64 s[6:7], -1
	s_mov_b64 s[2:3], 0
	global_store_byte v[0:1], v4, off
.LBB473_712:
	s_mov_b64 s[8:9], 0
.LBB473_713:
	s_and_b64 vcc, exec, s[8:9]
	s_cbranch_vccz .LBB473_716
; %bb.714:
	s_cmp_eq_u32 s13, 29
	s_mov_b64 s[2:3], -1
	s_cbranch_scc0 .LBB473_716
; %bb.715:
	v_trunc_f32_e32 v3, v2
	v_mul_f32_e32 v4, 0x2f800000, v3
	v_floor_f32_e32 v4, v4
	v_fmamk_f32 v3, v4, 0xcf800000, v3
	v_cvt_u32_f32_e32 v5, v4
	v_cvt_u32_f32_e32 v4, v3
	s_mov_b64 s[6:7], -1
	s_mov_b64 s[2:3], 0
	s_mov_b64 s[8:9], 0
	global_store_dwordx2 v[0:1], v[4:5], off
	s_branch .LBB473_717
.LBB473_716:
	s_mov_b64 s[8:9], 0
.LBB473_717:
	s_and_b64 vcc, exec, s[8:9]
	s_cbranch_vccz .LBB473_733
; %bb.718:
	s_cmp_lt_i32 s13, 27
	s_mov_b64 s[6:7], -1
	s_cbranch_scc1 .LBB473_724
; %bb.719:
	v_cvt_u32_f32_e32 v3, v2
	s_cmp_gt_i32 s13, 27
	s_cbranch_scc0 .LBB473_721
; %bb.720:
	s_mov_b64 s[6:7], 0
	global_store_dword v[0:1], v3, off
.LBB473_721:
	s_andn2_b64 vcc, exec, s[6:7]
	s_cbranch_vccnz .LBB473_723
; %bb.722:
	global_store_short v[0:1], v3, off
.LBB473_723:
	s_mov_b64 s[6:7], 0
.LBB473_724:
	s_andn2_b64 vcc, exec, s[6:7]
	s_cbranch_vccnz .LBB473_732
; %bb.725:
	v_and_b32_e32 v3, 0x7fffffff, v2
	s_mov_b32 s6, 0x43800000
	v_cmp_gt_u32_e32 vcc, s6, v3
	v_mov_b32_e32 v4, 0x80
	s_and_saveexec_b64 s[6:7], vcc
	s_cbranch_execz .LBB473_731
; %bb.726:
	s_mov_b32 s8, 0x3bffffff
	v_cmp_lt_u32_e32 vcc, s8, v3
	s_mov_b64 s[8:9], 0
                                        ; implicit-def: $vgpr3
	s_and_saveexec_b64 s[10:11], vcc
	s_xor_b64 s[10:11], exec, s[10:11]
	s_cbranch_execz .LBB473_849
; %bb.727:
	v_bfe_u32 v3, v2, 20, 1
	s_mov_b32 s14, 0x487ffff
	v_add3_u32 v3, v2, v3, s14
	s_mov_b64 s[8:9], exec
	v_lshrrev_b32_e32 v3, 20, v3
	s_andn2_saveexec_b64 s[10:11], s[10:11]
	s_cbranch_execnz .LBB473_850
.LBB473_728:
	s_or_b64 exec, exec, s[10:11]
	v_mov_b32_e32 v4, 0
	s_and_saveexec_b64 s[10:11], s[8:9]
.LBB473_729:
	v_lshrrev_b32_e32 v4, 24, v2
	s_movk_i32 s8, 0x80
	v_and_or_b32 v4, v4, s8, v3
.LBB473_730:
	s_or_b64 exec, exec, s[10:11]
.LBB473_731:
	s_or_b64 exec, exec, s[6:7]
	global_store_byte v[0:1], v4, off
.LBB473_732:
	s_mov_b64 s[6:7], -1
.LBB473_733:
	s_mov_b64 s[8:9], 0
.LBB473_734:
	s_and_b64 vcc, exec, s[8:9]
	s_cbranch_vccz .LBB473_775
; %bb.735:
	s_cmp_gt_i32 s13, 22
	s_mov_b64 s[8:9], -1
	s_cbranch_scc0 .LBB473_767
; %bb.736:
	s_cmp_lt_i32 s13, 24
	s_mov_b64 s[6:7], -1
	s_cbranch_scc1 .LBB473_756
; %bb.737:
	s_cmp_gt_i32 s13, 24
	s_cbranch_scc0 .LBB473_745
; %bb.738:
	v_and_b32_e32 v3, 0x7fffffff, v2
	s_mov_b32 s6, 0x47800000
	v_cmp_gt_u32_e32 vcc, s6, v3
	v_mov_b32_e32 v4, 0x80
	s_and_saveexec_b64 s[6:7], vcc
	s_cbranch_execz .LBB473_744
; %bb.739:
	s_mov_b32 s8, 0x37ffffff
	v_cmp_lt_u32_e32 vcc, s8, v3
	s_mov_b64 s[8:9], 0
                                        ; implicit-def: $vgpr3
	s_and_saveexec_b64 s[10:11], vcc
	s_xor_b64 s[10:11], exec, s[10:11]
	s_cbranch_execz .LBB473_852
; %bb.740:
	v_bfe_u32 v3, v2, 21, 1
	s_mov_b32 s14, 0x88fffff
	v_add3_u32 v3, v2, v3, s14
	s_mov_b64 s[8:9], exec
	v_lshrrev_b32_e32 v3, 21, v3
	s_andn2_saveexec_b64 s[10:11], s[10:11]
	s_cbranch_execnz .LBB473_853
.LBB473_741:
	s_or_b64 exec, exec, s[10:11]
	v_mov_b32_e32 v4, 0
	s_and_saveexec_b64 s[10:11], s[8:9]
.LBB473_742:
	v_lshrrev_b32_e32 v4, 24, v2
	s_movk_i32 s8, 0x80
	v_and_or_b32 v4, v4, s8, v3
.LBB473_743:
	s_or_b64 exec, exec, s[10:11]
.LBB473_744:
	s_or_b64 exec, exec, s[6:7]
	s_mov_b64 s[6:7], 0
	global_store_byte v[0:1], v4, off
.LBB473_745:
	s_and_b64 vcc, exec, s[6:7]
	s_cbranch_vccz .LBB473_755
; %bb.746:
	v_and_b32_e32 v4, 0x7fffffff, v2
	s_mov_b32 s6, 0x43f00000
	v_cmp_gt_u32_e32 vcc, s6, v4
                                        ; implicit-def: $vgpr3
	s_and_saveexec_b64 s[6:7], vcc
	s_xor_b64 s[6:7], exec, s[6:7]
	s_cbranch_execz .LBB473_752
; %bb.747:
	s_mov_b32 s8, 0x3c7fffff
	v_cmp_lt_u32_e32 vcc, s8, v4
                                        ; implicit-def: $vgpr3
	s_and_saveexec_b64 s[8:9], vcc
	s_xor_b64 s[8:9], exec, s[8:9]
; %bb.748:
	v_bfe_u32 v3, v2, 20, 1
	s_mov_b32 s10, 0x407ffff
	v_add3_u32 v3, v2, v3, s10
	v_lshrrev_b32_e32 v4, 20, v3
	v_and_b32_e32 v3, 0xff00000, v3
	s_mov_b32 s10, 0x7f00000
	v_mov_b32_e32 v5, 0x7e
	v_cmp_ne_u32_e32 vcc, s10, v3
	s_nop 1
	v_cndmask_b32_e32 v3, v5, v4, vcc
; %bb.749:
	s_andn2_saveexec_b64 s[8:9], s[8:9]
; %bb.750:
	s_mov_b32 s10, 0x46800000
	v_add_f32_e64 v3, |v2|, s10
; %bb.751:
	s_or_b64 exec, exec, s[8:9]
                                        ; implicit-def: $vgpr4
.LBB473_752:
	s_andn2_saveexec_b64 s[6:7], s[6:7]
; %bb.753:
	s_mov_b32 s8, 0x7f800000
	v_mov_b32_e32 v3, 0x7e
	v_mov_b32_e32 v5, 0x7f
	v_cmp_lt_u32_e32 vcc, s8, v4
	s_nop 1
	v_cndmask_b32_e32 v3, v3, v5, vcc
; %bb.754:
	s_or_b64 exec, exec, s[6:7]
	v_lshrrev_b32_e32 v4, 24, v2
	s_movk_i32 s6, 0x80
	v_and_or_b32 v3, v4, s6, v3
	global_store_byte v[0:1], v3, off
.LBB473_755:
	s_mov_b64 s[6:7], 0
.LBB473_756:
	s_andn2_b64 vcc, exec, s[6:7]
	s_cbranch_vccnz .LBB473_766
; %bb.757:
	v_and_b32_e32 v4, 0x7fffffff, v2
	s_mov_b32 s6, 0x47800000
	v_cmp_gt_u32_e32 vcc, s6, v4
                                        ; implicit-def: $vgpr3
	s_and_saveexec_b64 s[6:7], vcc
	s_xor_b64 s[6:7], exec, s[6:7]
	s_cbranch_execz .LBB473_763
; %bb.758:
	s_mov_b32 s8, 0x387fffff
	v_cmp_lt_u32_e32 vcc, s8, v4
                                        ; implicit-def: $vgpr3
	s_and_saveexec_b64 s[8:9], vcc
	s_xor_b64 s[8:9], exec, s[8:9]
; %bb.759:
	v_bfe_u32 v3, v2, 21, 1
	s_mov_b32 s10, 0x80fffff
	v_add3_u32 v3, v2, v3, s10
	v_lshrrev_b32_e32 v3, 21, v3
; %bb.760:
	s_andn2_saveexec_b64 s[8:9], s[8:9]
; %bb.761:
	s_mov_b32 s10, 0x43000000
	v_add_f32_e64 v3, |v2|, s10
; %bb.762:
	s_or_b64 exec, exec, s[8:9]
                                        ; implicit-def: $vgpr4
.LBB473_763:
	s_andn2_saveexec_b64 s[6:7], s[6:7]
; %bb.764:
	s_mov_b32 s8, 0x7f800000
	v_mov_b32_e32 v3, 0x7c
	v_mov_b32_e32 v5, 0x7f
	v_cmp_lt_u32_e32 vcc, s8, v4
	s_nop 1
	v_cndmask_b32_e32 v3, v3, v5, vcc
; %bb.765:
	s_or_b64 exec, exec, s[6:7]
	v_lshrrev_b32_e32 v4, 24, v2
	s_movk_i32 s6, 0x80
	v_and_or_b32 v3, v4, s6, v3
	global_store_byte v[0:1], v3, off
.LBB473_766:
	s_mov_b64 s[8:9], 0
	s_mov_b64 s[6:7], -1
.LBB473_767:
	s_andn2_b64 vcc, exec, s[8:9]
	s_cbranch_vccnz .LBB473_775
; %bb.768:
	s_cmp_gt_i32 s13, 14
	s_mov_b64 s[8:9], -1
	s_cbranch_scc0 .LBB473_772
; %bb.769:
	s_cmp_eq_u32 s13, 15
	s_mov_b64 s[2:3], -1
	s_cbranch_scc0 .LBB473_771
; %bb.770:
	v_bfe_u32 v3, v2, 16, 1
	s_movk_i32 s2, 0x7fff
	v_add3_u32 v3, v2, v3, s2
	v_cmp_o_f32_e32 vcc, v2, v2
	v_mov_b32_e32 v4, 0x7fc0
	s_mov_b64 s[6:7], -1
	v_cndmask_b32_sdwa v3, v4, v3, vcc dst_sel:DWORD dst_unused:UNUSED_PAD src0_sel:DWORD src1_sel:WORD_1
	global_store_short v[0:1], v3, off
	s_mov_b64 s[2:3], 0
.LBB473_771:
	s_mov_b64 s[8:9], 0
.LBB473_772:
	s_and_b64 vcc, exec, s[8:9]
	s_cbranch_vccz .LBB473_775
; %bb.773:
	s_cmp_eq_u32 s13, 11
	s_mov_b64 s[2:3], -1
	s_cbranch_scc0 .LBB473_775
; %bb.774:
	v_cmp_neq_f32_e32 vcc, 0, v2
	s_mov_b64 s[6:7], -1
	s_mov_b64 s[2:3], 0
	v_cndmask_b32_e64 v3, 0, 1, vcc
	global_store_byte v[0:1], v3, off
.LBB473_775:
	s_mov_b64 s[8:9], 0
.LBB473_776:
	s_and_b64 vcc, exec, s[8:9]
	s_cbranch_vccz .LBB473_815
; %bb.777:
	s_and_b32 s8, 0xffff, s12
	s_cmp_lt_i32 s8, 5
	s_mov_b64 s[6:7], -1
	s_cbranch_scc1 .LBB473_798
; %bb.778:
	s_cmp_lt_i32 s8, 8
	s_cbranch_scc1 .LBB473_788
; %bb.779:
	s_cmp_lt_i32 s8, 9
	s_cbranch_scc1 .LBB473_785
; %bb.780:
	s_cmp_gt_i32 s8, 9
	s_cbranch_scc0 .LBB473_782
; %bb.781:
	v_mov_b32_e32 v6, 0
	v_cvt_f64_f32_e32 v[4:5], v2
	v_mov_b32_e32 v7, v6
	s_mov_b64 s[6:7], 0
	global_store_dwordx4 v[0:1], v[4:7], off
.LBB473_782:
	s_andn2_b64 vcc, exec, s[6:7]
	s_cbranch_vccnz .LBB473_784
; %bb.783:
	v_mov_b32_e32 v3, 0
	global_store_dwordx2 v[0:1], v[2:3], off
.LBB473_784:
	s_mov_b64 s[6:7], 0
.LBB473_785:
	s_andn2_b64 vcc, exec, s[6:7]
	s_cbranch_vccnz .LBB473_787
; %bb.786:
	v_cvt_f16_f32_e32 v3, v2
	global_store_dword v[0:1], v3, off
.LBB473_787:
	s_mov_b64 s[6:7], 0
.LBB473_788:
	s_andn2_b64 vcc, exec, s[6:7]
	s_cbranch_vccnz .LBB473_797
; %bb.789:
	s_cmp_lt_i32 s8, 6
	s_mov_b64 s[6:7], -1
	s_cbranch_scc1 .LBB473_795
; %bb.790:
	s_cmp_gt_i32 s8, 6
	s_cbranch_scc0 .LBB473_792
; %bb.791:
	v_cvt_f64_f32_e32 v[4:5], v2
	s_mov_b64 s[6:7], 0
	global_store_dwordx2 v[0:1], v[4:5], off
.LBB473_792:
	s_andn2_b64 vcc, exec, s[6:7]
	s_cbranch_vccnz .LBB473_794
; %bb.793:
	global_store_dword v[0:1], v2, off
.LBB473_794:
	s_mov_b64 s[6:7], 0
.LBB473_795:
	s_andn2_b64 vcc, exec, s[6:7]
	s_cbranch_vccnz .LBB473_797
; %bb.796:
	v_cvt_f16_f32_e32 v3, v2
	global_store_short v[0:1], v3, off
.LBB473_797:
	s_mov_b64 s[6:7], 0
.LBB473_798:
	s_andn2_b64 vcc, exec, s[6:7]
	s_cbranch_vccnz .LBB473_814
; %bb.799:
	s_cmp_lt_i32 s8, 2
	s_mov_b64 s[6:7], -1
	s_cbranch_scc1 .LBB473_809
; %bb.800:
	s_cmp_lt_i32 s8, 3
	s_cbranch_scc1 .LBB473_806
; %bb.801:
	s_cmp_gt_i32 s8, 3
	s_cbranch_scc0 .LBB473_803
; %bb.802:
	v_trunc_f32_e32 v3, v2
	s_mov_b32 s6, 0x2f800000
	v_mul_f32_e64 v4, |v3|, s6
	v_floor_f32_e32 v4, v4
	s_mov_b32 s6, 0xcf800000
	v_cvt_u32_f32_e32 v5, v4
	v_fma_f32 v4, v4, s6, |v3|
	v_cvt_u32_f32_e32 v4, v4
	v_ashrrev_i32_e32 v3, 31, v3
	v_xor_b32_e32 v5, v5, v3
	s_mov_b64 s[6:7], 0
	v_xor_b32_e32 v4, v4, v3
	v_sub_co_u32_e32 v4, vcc, v4, v3
	s_nop 1
	v_subb_co_u32_e32 v5, vcc, v5, v3, vcc
	global_store_dwordx2 v[0:1], v[4:5], off
.LBB473_803:
	s_andn2_b64 vcc, exec, s[6:7]
	s_cbranch_vccnz .LBB473_805
; %bb.804:
	v_cvt_i32_f32_e32 v3, v2
	global_store_dword v[0:1], v3, off
.LBB473_805:
	s_mov_b64 s[6:7], 0
.LBB473_806:
	s_andn2_b64 vcc, exec, s[6:7]
	s_cbranch_vccnz .LBB473_808
; %bb.807:
	v_cvt_i32_f32_e32 v3, v2
	global_store_short v[0:1], v3, off
.LBB473_808:
	s_mov_b64 s[6:7], 0
.LBB473_809:
	s_andn2_b64 vcc, exec, s[6:7]
	s_cbranch_vccnz .LBB473_814
; %bb.810:
	s_cmp_gt_i32 s8, 0
	s_mov_b64 s[6:7], -1
	s_cbranch_scc0 .LBB473_812
; %bb.811:
	v_cvt_i32_f32_e32 v3, v2
	s_mov_b64 s[6:7], 0
	global_store_byte v[0:1], v3, off
.LBB473_812:
	s_andn2_b64 vcc, exec, s[6:7]
	s_cbranch_vccnz .LBB473_814
; %bb.813:
	v_trunc_f32_e32 v2, v2
	s_mov_b32 s6, 0x2f800000
	v_mul_f32_e64 v3, |v2|, s6
	v_floor_f32_e32 v3, v3
	s_mov_b32 s6, 0xcf800000
	v_fma_f32 v3, v3, s6, |v2|
	v_cvt_u32_f32_e32 v3, v3
	v_ashrrev_i32_e32 v2, 31, v2
	v_xor_b32_e32 v3, v3, v2
	v_sub_u32_e32 v2, v3, v2
	global_store_byte v[0:1], v2, off
.LBB473_814:
	s_mov_b64 s[6:7], -1
.LBB473_815:
	s_andn2_b64 vcc, exec, s[6:7]
	s_cbranch_vccnz .LBB473_817
; %bb.816:
	v_add_u32_e32 v8, 0x80, v8
	s_mov_b64 s[6:7], -1
	s_branch .LBB473_819
.LBB473_817:
	s_mov_b64 s[6:7], 0
.LBB473_818:
                                        ; implicit-def: $vgpr8
.LBB473_819:
	s_andn2_b64 s[8:9], s[64:65], exec
	s_and_b64 s[2:3], s[2:3], exec
	s_or_b64 s[70:71], s[8:9], s[2:3]
	s_andn2_b64 s[2:3], s[62:63], exec
	s_and_b64 s[4:5], s[4:5], exec
	s_or_b64 s[2:3], s[2:3], s[4:5]
	s_orn2_b64 s[6:7], s[6:7], exec
.LBB473_820:
	s_or_b64 exec, exec, s[68:69]
	s_mov_b64 s[4:5], 0
	s_mov_b64 s[10:11], 0
	;; [unrolled: 1-line block ×3, first 2 shown]
                                        ; implicit-def: $vgpr2_vgpr3
                                        ; implicit-def: $vgpr0
                                        ; implicit-def: $vgpr1
	s_and_saveexec_b64 s[68:69], s[6:7]
	s_cbranch_execz .LBB473_920
; %bb.821:
	v_cmp_gt_i32_e32 vcc, s72, v8
	s_mov_b64 s[6:7], 0
	s_mov_b64 s[12:13], s[2:3]
                                        ; implicit-def: $vgpr2_vgpr3
                                        ; implicit-def: $vgpr0
                                        ; implicit-def: $vgpr1
	s_and_saveexec_b64 s[72:73], vcc
	s_cbranch_execz .LBB473_919
; %bb.822:
	s_andn2_b64 vcc, exec, s[42:43]
	s_cbranch_vccnz .LBB473_828
; %bb.823:
	s_andn2_b64 vcc, exec, s[54:55]
	s_cbranch_vccnz .LBB473_829
; %bb.824:
	s_add_i32 s77, s76, 1
	s_cmp_eq_u32 s74, 2
	s_cbranch_scc1 .LBB473_830
; %bb.825:
	s_and_b32 s76, s77, 28
	s_mov_b32 s78, 0
	v_mov_b32_e32 v0, 0
	v_mov_b32_e32 v2, 0
	s_mov_b64 s[54:55], s[34:35]
	v_mov_b32_e32 v4, v8
.LBB473_826:                            ; =>This Inner Loop Header: Depth=1
	s_load_dwordx8 s[12:19], s[54:55], 0x4
	s_load_dwordx4 s[36:39], s[54:55], 0x24
	s_load_dwordx8 s[4:11], s[52:53], 0x0
	s_add_u32 s54, s54, 48
	s_addc_u32 s55, s55, 0
	s_waitcnt vmcnt(0) lgkmcnt(0)
	v_mul_hi_u32 v1, s13, v4
	v_add_u32_e32 v1, v4, v1
	v_lshrrev_b32_e32 v1, s14, v1
	v_mul_lo_u32 v3, v1, s12
	v_mul_hi_u32 v5, s16, v1
	v_sub_u32_e32 v3, v4, v3
	v_add_u32_e32 v4, v1, v5
	v_lshrrev_b32_e32 v4, s17, v4
	v_mul_lo_u32 v6, v4, s15
	v_mul_hi_u32 v7, s19, v4
	v_sub_u32_e32 v1, v1, v6
	v_add_u32_e32 v6, v4, v7
	v_mul_lo_u32 v5, v3, s5
	v_mul_lo_u32 v3, v3, s4
	;; [unrolled: 1-line block ×4, first 2 shown]
	v_lshrrev_b32_e32 v6, s36, v6
	v_add3_u32 v0, v3, v0, v1
	v_mul_hi_u32 v3, s38, v6
	v_add3_u32 v1, v5, v2, v7
	v_mul_lo_u32 v2, v6, s18
	v_add_u32_e32 v3, v6, v3
	v_sub_u32_e32 v2, v4, v2
	v_lshrrev_b32_e32 v4, s39, v3
	s_add_i32 s78, s78, 4
	v_mul_lo_u32 v3, v4, s37
	s_add_u32 s52, s52, 32
	v_sub_u32_e32 v3, v6, v3
	s_addc_u32 s53, s53, 0
	v_mul_lo_u32 v5, v2, s8
	v_mul_lo_u32 v2, v2, s9
	;; [unrolled: 1-line block ×4, first 2 shown]
	s_cmp_eq_u32 s76, s78
	v_add3_u32 v2, v2, v1, v3
	v_add3_u32 v0, v5, v0, v6
	s_cbranch_scc0 .LBB473_826
; %bb.827:
	v_mov_b32_e32 v1, v2
	s_branch .LBB473_831
.LBB473_828:
	s_mov_b64 s[4:5], -1
                                        ; implicit-def: $vgpr2
                                        ; implicit-def: $vgpr0
	s_branch .LBB473_835
.LBB473_829:
	v_mov_b32_e32 v2, 0
	v_mov_b32_e32 v0, 0
	s_branch .LBB473_834
.LBB473_830:
	v_mov_b32_e32 v0, 0
	s_mov_b32 s76, 0
	s_waitcnt vmcnt(0)
	v_mov_b32_e32 v1, v0
                                        ; implicit-def: $vgpr2
	v_mov_b32_e32 v4, v8
.LBB473_831:
	s_and_b32 s8, s77, 3
	s_cmp_eq_u32 s8, 0
	s_cbranch_scc1 .LBB473_834
; %bb.832:
	s_lshl_b32 s4, s76, 3
	s_add_u32 s4, s34, s4
	s_addc_u32 s5, s35, 0
	s_add_u32 s4, s4, 0xc4
	s_addc_u32 s5, s5, 0
	s_mul_i32 s6, s76, 12
	s_add_u32 s6, s34, s6
	s_addc_u32 s7, s35, 0
.LBB473_833:                            ; =>This Inner Loop Header: Depth=1
	s_load_dwordx2 s[10:11], s[6:7], 0x4
	s_load_dword s9, s[6:7], 0xc
	s_load_dwordx2 s[12:13], s[4:5], 0x0
	v_mov_b32_e32 v2, v1
	s_add_u32 s6, s6, 12
	s_waitcnt lgkmcnt(0)
	v_mul_hi_u32 v1, s11, v4
	v_add_u32_e32 v1, v4, v1
	v_lshrrev_b32_e32 v1, s9, v1
	s_addc_u32 s7, s7, 0
	v_mul_lo_u32 v3, v1, s10
	s_add_u32 s4, s4, 8
	v_sub_u32_e32 v5, v4, v3
	s_addc_u32 s5, s5, 0
	s_add_i32 s8, s8, -1
	v_mov_b32_e32 v4, v1
	v_mad_u64_u32 v[2:3], s[10:11], v5, s13, v[2:3]
	v_mad_u64_u32 v[0:1], s[10:11], v5, s12, v[0:1]
	s_cmp_lg_u32 s8, 0
	v_mov_b32_e32 v1, v2
	s_cbranch_scc1 .LBB473_833
.LBB473_834:
	s_mov_b64 s[4:5], 0
.LBB473_835:
	s_andn2_b64 vcc, exec, s[4:5]
	s_cbranch_vccnz .LBB473_838
; %bb.836:
	v_mul_hi_u32 v0, s25, v8
	v_add_u32_e32 v0, v8, v0
	s_waitcnt vmcnt(0)
	v_lshrrev_b32_e32 v1, s26, v0
	v_mul_lo_u32 v0, v1, s24
	v_sub_u32_e32 v0, v8, v0
	v_mul_lo_u32 v2, v0, s29
	s_andn2_b64 vcc, exec, s[50:51]
	v_mul_lo_u32 v0, v0, s28
	s_cbranch_vccnz .LBB473_838
; %bb.837:
	v_mul_hi_u32 v3, s48, v1
	v_add_u32_e32 v3, v1, v3
	v_lshrrev_b32_e32 v3, s49, v3
	v_mul_lo_u32 v3, v3, s27
	v_sub_u32_e32 v3, v1, v3
	v_mad_u64_u32 v[0:1], s[4:5], v3, s30, v[0:1]
	v_mad_u64_u32 v[2:3], s[4:5], v3, s31, v[2:3]
.LBB473_838:
	v_mov_b32_e32 v3, 0
	s_and_b32 s14, 0xffff, s75
	s_cmp_lt_i32 s14, 11
	v_lshl_add_u64 v[2:3], s[22:23], 0, v[2:3]
	s_cbranch_scc1 .LBB473_845
; %bb.839:
	s_cmp_gt_i32 s14, 25
	s_mov_b64 s[6:7], 0
	s_cbranch_scc0 .LBB473_846
; %bb.840:
	s_cmp_gt_i32 s14, 28
	s_cbranch_scc0 .LBB473_847
; %bb.841:
	s_cmp_gt_i32 s14, 43
	;; [unrolled: 3-line block ×3, first 2 shown]
	s_cbranch_scc0 .LBB473_851
; %bb.843:
	s_cmp_eq_u32 s14, 46
	s_mov_b64 s[10:11], 0
	s_cbranch_scc0 .LBB473_854
; %bb.844:
	global_load_dword v1, v[2:3], off
	s_mov_b64 s[4:5], 0
	s_mov_b64 s[8:9], -1
	s_waitcnt vmcnt(0)
	v_lshlrev_b32_e32 v1, 16, v1
	s_branch .LBB473_855
.LBB473_845:
	s_mov_b64 s[10:11], -1
	s_mov_b64 s[8:9], 0
	s_mov_b64 s[6:7], 0
	;; [unrolled: 1-line block ×3, first 2 shown]
                                        ; implicit-def: $vgpr1
	s_branch .LBB473_918
.LBB473_846:
	s_mov_b64 s[10:11], -1
	s_mov_b64 s[8:9], 0
	s_mov_b64 s[4:5], s[2:3]
                                        ; implicit-def: $vgpr1
	s_branch .LBB473_884
.LBB473_847:
	s_mov_b64 s[10:11], -1
	s_mov_b64 s[8:9], 0
	s_mov_b64 s[4:5], s[2:3]
                                        ; implicit-def: $vgpr1
	s_branch .LBB473_865
.LBB473_848:
	s_mov_b64 s[10:11], -1
	s_mov_b64 s[8:9], 0
	s_mov_b64 s[4:5], s[2:3]
                                        ; implicit-def: $vgpr1
	s_branch .LBB473_860
.LBB473_849:
	s_andn2_saveexec_b64 s[10:11], s[10:11]
	s_cbranch_execz .LBB473_728
.LBB473_850:
	s_mov_b32 s14, 0x46000000
	v_add_f32_e64 v3, |v2|, s14
	v_and_b32_e32 v3, 0xff, v3
	v_cmp_ne_u32_e32 vcc, 0, v3
	s_andn2_b64 s[8:9], s[8:9], exec
	s_and_b64 s[14:15], vcc, exec
	s_or_b64 s[8:9], s[8:9], s[14:15]
	s_or_b64 exec, exec, s[10:11]
	v_mov_b32_e32 v4, 0
	s_and_saveexec_b64 s[10:11], s[8:9]
	s_cbranch_execnz .LBB473_729
	s_branch .LBB473_730
.LBB473_851:
	s_mov_b64 s[10:11], -1
	s_mov_b64 s[8:9], 0
	s_mov_b64 s[4:5], s[2:3]
                                        ; implicit-def: $vgpr1
	s_branch .LBB473_855
.LBB473_852:
	s_andn2_saveexec_b64 s[10:11], s[10:11]
	s_cbranch_execz .LBB473_741
.LBB473_853:
	s_mov_b32 s14, 0x42800000
	v_add_f32_e64 v3, |v2|, s14
	v_and_b32_e32 v3, 0xff, v3
	v_cmp_ne_u32_e32 vcc, 0, v3
	s_andn2_b64 s[8:9], s[8:9], exec
	s_and_b64 s[14:15], vcc, exec
	s_or_b64 s[8:9], s[8:9], s[14:15]
	s_or_b64 exec, exec, s[10:11]
	v_mov_b32_e32 v4, 0
	s_and_saveexec_b64 s[10:11], s[8:9]
	s_cbranch_execnz .LBB473_742
	s_branch .LBB473_743
.LBB473_854:
	s_mov_b64 s[4:5], -1
                                        ; implicit-def: $vgpr1
	s_mov_b64 s[8:9], 0
.LBB473_855:
	s_and_b64 vcc, exec, s[10:11]
	s_cbranch_vccz .LBB473_859
; %bb.856:
	s_cmp_eq_u32 s14, 44
	s_cbranch_scc0 .LBB473_858
; %bb.857:
	global_load_ubyte v1, v[2:3], off
	s_movk_i32 s8, 0xff
	v_mov_b32_e32 v4, 0x7f800001
	v_mov_b32_e32 v5, 0x400000
	s_mov_b64 s[4:5], 0
	s_waitcnt vmcnt(0)
	v_lshlrev_b32_e32 v6, 23, v1
	v_cmp_ne_u32_e32 vcc, s8, v1
	s_mov_b64 s[8:9], -1
	s_nop 0
	v_cndmask_b32_e32 v4, v4, v6, vcc
	v_cmp_ne_u32_e32 vcc, 0, v1
	s_nop 1
	v_cndmask_b32_e32 v1, v5, v4, vcc
	s_branch .LBB473_859
.LBB473_858:
	s_mov_b64 s[4:5], -1
                                        ; implicit-def: $vgpr1
.LBB473_859:
	s_mov_b64 s[10:11], 0
.LBB473_860:
	s_and_b64 vcc, exec, s[10:11]
	s_cbranch_vccz .LBB473_864
; %bb.861:
	s_cmp_eq_u32 s14, 29
	s_cbranch_scc0 .LBB473_863
; %bb.862:
	global_load_dwordx2 v[4:5], v[2:3], off
	s_mov_b64 s[4:5], 0
	s_mov_b64 s[8:9], -1
	s_mov_b64 s[10:11], 0
	s_waitcnt vmcnt(0)
	v_ffbh_u32_e32 v1, v5
	v_min_u32_e32 v1, 32, v1
	v_lshlrev_b64 v[4:5], v1, v[4:5]
	v_min_u32_e32 v4, 1, v4
	v_or_b32_e32 v4, v5, v4
	v_cvt_f32_u32_e32 v4, v4
	v_sub_u32_e32 v1, 32, v1
	v_ldexp_f32 v1, v4, v1
	s_branch .LBB473_865
.LBB473_863:
	s_mov_b64 s[4:5], -1
                                        ; implicit-def: $vgpr1
.LBB473_864:
	s_mov_b64 s[10:11], 0
.LBB473_865:
	s_and_b64 vcc, exec, s[10:11]
	s_cbranch_vccz .LBB473_883
; %bb.866:
	s_cmp_lt_i32 s14, 27
	s_cbranch_scc1 .LBB473_869
; %bb.867:
	s_cmp_gt_i32 s14, 27
	s_cbranch_scc0 .LBB473_870
; %bb.868:
	global_load_dword v1, v[2:3], off
	s_mov_b64 s[8:9], 0
	s_waitcnt vmcnt(0)
	v_cvt_f32_u32_e32 v1, v1
	s_branch .LBB473_871
.LBB473_869:
	s_mov_b64 s[8:9], -1
                                        ; implicit-def: $vgpr1
	s_branch .LBB473_874
.LBB473_870:
	s_mov_b64 s[8:9], -1
                                        ; implicit-def: $vgpr1
.LBB473_871:
	s_andn2_b64 vcc, exec, s[8:9]
	s_cbranch_vccnz .LBB473_873
; %bb.872:
	global_load_ushort v1, v[2:3], off
	s_waitcnt vmcnt(0)
	v_cvt_f32_u32_e32 v1, v1
.LBB473_873:
	s_mov_b64 s[8:9], 0
.LBB473_874:
	s_andn2_b64 vcc, exec, s[8:9]
	s_cbranch_vccnz .LBB473_882
; %bb.875:
	global_load_ubyte v4, v[2:3], off
	s_movk_i32 s8, 0x7f
	s_waitcnt vmcnt(0)
	v_cmp_lt_i16_e32 vcc, s8, v4
	s_mov_b64 s[8:9], 0
	s_and_saveexec_b64 s[10:11], vcc
	s_xor_b64 s[10:11], exec, s[10:11]
	s_cbranch_execz .LBB473_896
; %bb.876:
	s_movk_i32 s8, 0x80
	v_cmp_eq_u16_e32 vcc, s8, v4
	s_mov_b64 s[8:9], -1
	s_and_saveexec_b64 s[12:13], vcc
; %bb.877:
	s_xor_b64 s[8:9], exec, -1
; %bb.878:
	s_or_b64 exec, exec, s[12:13]
	s_and_b64 s[8:9], s[8:9], exec
	s_or_saveexec_b64 s[10:11], s[10:11]
	v_mov_b32_e32 v1, 0x7f800001
	s_xor_b64 exec, exec, s[10:11]
	s_cbranch_execnz .LBB473_897
.LBB473_879:
	s_or_b64 exec, exec, s[10:11]
	s_and_saveexec_b64 s[10:11], s[8:9]
	s_cbranch_execz .LBB473_881
.LBB473_880:
	v_lshlrev_b32_e32 v1, 24, v4
	v_and_b32_e32 v4, 0xffff, v4
	v_and_b32_e32 v5, 7, v4
	v_ffbh_u32_e32 v7, v5
	v_min_u32_e32 v7, 32, v7
	v_subrev_u32_e32 v8, 28, v7
	v_bfe_u32 v6, v4, 3, 4
	v_lshlrev_b32_e32 v4, v8, v4
	v_sub_u32_e32 v7, 29, v7
	v_and_b32_e32 v4, 7, v4
	v_cmp_eq_u32_e32 vcc, 0, v6
	v_and_b32_e32 v1, 0x80000000, v1
	s_nop 0
	v_cndmask_b32_e32 v6, v6, v7, vcc
	v_cndmask_b32_e32 v4, v5, v4, vcc
	v_mov_b32_e32 v5, 0x3b800000
	v_lshlrev_b32_e32 v4, 20, v4
	v_lshl_add_u32 v5, v6, 23, v5
	v_or3_b32 v1, v1, v5, v4
.LBB473_881:
	s_or_b64 exec, exec, s[10:11]
.LBB473_882:
	s_mov_b64 s[8:9], -1
.LBB473_883:
	s_mov_b64 s[10:11], 0
.LBB473_884:
	s_and_b64 vcc, exec, s[10:11]
	s_cbranch_vccz .LBB473_917
; %bb.885:
	s_cmp_gt_i32 s14, 22
	s_cbranch_scc0 .LBB473_895
; %bb.886:
	s_cmp_lt_i32 s14, 24
	s_cbranch_scc1 .LBB473_898
; %bb.887:
	s_cmp_gt_i32 s14, 24
	s_cbranch_scc0 .LBB473_899
; %bb.888:
	global_load_ubyte v4, v[2:3], off
	s_movk_i32 s6, 0x7f
	s_waitcnt vmcnt(0)
	v_cmp_lt_i16_e32 vcc, s6, v4
	s_mov_b64 s[6:7], 0
	s_and_saveexec_b64 s[8:9], vcc
	s_xor_b64 s[8:9], exec, s[8:9]
	s_cbranch_execz .LBB473_911
; %bb.889:
	s_movk_i32 s6, 0x80
	v_cmp_eq_u16_e32 vcc, s6, v4
	s_mov_b64 s[6:7], -1
	s_and_saveexec_b64 s[10:11], vcc
; %bb.890:
	s_xor_b64 s[6:7], exec, -1
; %bb.891:
	s_or_b64 exec, exec, s[10:11]
	s_and_b64 s[6:7], s[6:7], exec
	s_or_saveexec_b64 s[8:9], s[8:9]
	v_mov_b32_e32 v1, 0x7f800001
	s_xor_b64 exec, exec, s[8:9]
	s_cbranch_execnz .LBB473_912
.LBB473_892:
	s_or_b64 exec, exec, s[8:9]
	s_and_saveexec_b64 s[8:9], s[6:7]
	s_cbranch_execz .LBB473_894
.LBB473_893:
	v_lshlrev_b32_e32 v1, 24, v4
	v_and_b32_e32 v4, 0xffff, v4
	v_and_b32_e32 v5, 3, v4
	v_ffbh_u32_e32 v7, v5
	v_min_u32_e32 v7, 32, v7
	v_subrev_u32_e32 v8, 29, v7
	v_bfe_u32 v6, v4, 2, 5
	v_lshlrev_b32_e32 v4, v8, v4
	v_sub_u32_e32 v7, 30, v7
	v_and_b32_e32 v4, 3, v4
	v_cmp_eq_u32_e32 vcc, 0, v6
	v_and_b32_e32 v1, 0x80000000, v1
	s_nop 0
	v_cndmask_b32_e32 v6, v6, v7, vcc
	v_cndmask_b32_e32 v4, v5, v4, vcc
	v_mov_b32_e32 v5, 0x37800000
	v_lshlrev_b32_e32 v4, 21, v4
	v_lshl_add_u32 v5, v6, 23, v5
	v_or3_b32 v1, v1, v5, v4
.LBB473_894:
	s_or_b64 exec, exec, s[8:9]
	s_mov_b64 s[6:7], 0
	s_branch .LBB473_900
.LBB473_895:
	s_mov_b64 s[6:7], -1
                                        ; implicit-def: $vgpr1
	s_branch .LBB473_906
.LBB473_896:
	s_or_saveexec_b64 s[10:11], s[10:11]
	v_mov_b32_e32 v1, 0x7f800001
	s_xor_b64 exec, exec, s[10:11]
	s_cbranch_execz .LBB473_879
.LBB473_897:
	v_cmp_ne_u16_e32 vcc, 0, v4
	s_andn2_b64 s[8:9], s[8:9], exec
	s_and_b64 s[12:13], vcc, exec
	v_mov_b32_e32 v1, 0
	s_or_b64 s[8:9], s[8:9], s[12:13]
	s_or_b64 exec, exec, s[10:11]
	s_and_saveexec_b64 s[10:11], s[8:9]
	s_cbranch_execnz .LBB473_880
	s_branch .LBB473_881
.LBB473_898:
	s_mov_b64 s[6:7], -1
                                        ; implicit-def: $vgpr1
	s_branch .LBB473_903
.LBB473_899:
	s_mov_b64 s[6:7], -1
                                        ; implicit-def: $vgpr1
.LBB473_900:
	s_and_b64 vcc, exec, s[6:7]
	s_cbranch_vccz .LBB473_902
; %bb.901:
	global_load_ubyte v1, v[2:3], off
	s_mov_b32 s6, 0x7f800000
	s_waitcnt vmcnt(0)
	v_lshlrev_b32_e32 v1, 24, v1
	v_and_b32_e32 v4, 0x7f000000, v1
	v_ffbh_u32_e32 v5, v4
	v_min_u32_e32 v5, 32, v5
	v_sub_u32_e64 v5, v5, 4 clamp
	v_lshlrev_b32_e32 v7, v5, v4
	v_lshlrev_b32_e32 v5, 23, v5
	v_lshrrev_b32_e32 v7, 4, v7
	v_add_u32_e32 v6, 0x1000000, v4
	v_sub_u32_e32 v5, v7, v5
	v_ashrrev_i32_e32 v6, 8, v6
	v_add_u32_e32 v5, 0x3c000000, v5
	v_and_or_b32 v5, v6, s6, v5
	v_cmp_ne_u32_e32 vcc, 0, v4
	s_brev_b32 s6, 1
	s_nop 0
	v_cndmask_b32_e32 v4, 0, v5, vcc
	v_and_or_b32 v1, v1, s6, v4
.LBB473_902:
	s_mov_b64 s[6:7], 0
.LBB473_903:
	s_andn2_b64 vcc, exec, s[6:7]
	s_cbranch_vccnz .LBB473_905
; %bb.904:
	global_load_ubyte v1, v[2:3], off
	s_movk_i32 s6, 0x7f00
	s_brev_b32 s7, 16
	s_waitcnt vmcnt(0)
	v_lshlrev_b16_e32 v4, 8, v1
	v_lshlrev_b32_e32 v1, 25, v1
	v_lshrrev_b32_e32 v5, 4, v1
	v_and_or_b32 v6, v4, s6, 0.5
	v_or_b32_e32 v5, 0x70000000, v5
	v_add_f32_e32 v6, -0.5, v6
	v_mul_f32_e32 v5, 0x7800000, v5
	v_cmp_gt_u32_e32 vcc, s7, v1
	v_bfe_i32 v4, v4, 0, 16
	s_brev_b32 s6, 1
	v_cndmask_b32_e32 v1, v5, v6, vcc
	v_and_or_b32 v1, v4, s6, v1
.LBB473_905:
	s_mov_b64 s[6:7], 0
	s_mov_b64 s[8:9], -1
.LBB473_906:
	s_andn2_b64 vcc, exec, s[6:7]
	s_mov_b64 s[6:7], 0
	s_cbranch_vccnz .LBB473_917
; %bb.907:
	s_cmp_gt_i32 s14, 14
	s_cbranch_scc0 .LBB473_910
; %bb.908:
	s_cmp_eq_u32 s14, 15
	s_cbranch_scc0 .LBB473_913
; %bb.909:
	global_load_ushort v1, v[2:3], off
	s_mov_b64 s[4:5], 0
	s_mov_b64 s[8:9], -1
	s_waitcnt vmcnt(0)
	v_lshlrev_b32_e32 v1, 16, v1
	s_branch .LBB473_914
.LBB473_910:
	s_mov_b64 s[10:11], -1
                                        ; implicit-def: $vgpr1
	s_branch .LBB473_915
.LBB473_911:
	s_or_saveexec_b64 s[8:9], s[8:9]
	v_mov_b32_e32 v1, 0x7f800001
	s_xor_b64 exec, exec, s[8:9]
	s_cbranch_execz .LBB473_892
.LBB473_912:
	v_cmp_ne_u16_e32 vcc, 0, v4
	s_andn2_b64 s[6:7], s[6:7], exec
	s_and_b64 s[10:11], vcc, exec
	v_mov_b32_e32 v1, 0
	s_or_b64 s[6:7], s[6:7], s[10:11]
	s_or_b64 exec, exec, s[8:9]
	s_and_saveexec_b64 s[8:9], s[6:7]
	s_cbranch_execnz .LBB473_893
	s_branch .LBB473_894
.LBB473_913:
	s_mov_b64 s[4:5], -1
                                        ; implicit-def: $vgpr1
.LBB473_914:
	s_mov_b64 s[10:11], 0
.LBB473_915:
	s_and_b64 vcc, exec, s[10:11]
	s_cbranch_vccz .LBB473_917
; %bb.916:
	s_cmp_lg_u32 s14, 11
	s_cselect_b64 s[10:11], -1, 0
	s_andn2_b64 s[4:5], s[4:5], exec
	s_and_b64 s[10:11], s[10:11], exec
	s_mov_b64 s[6:7], -1
	s_or_b64 s[4:5], s[4:5], s[10:11]
.LBB473_917:
	s_mov_b64 s[10:11], 0
.LBB473_918:
	s_andn2_b64 s[12:13], s[2:3], exec
	s_and_b64 s[4:5], s[4:5], exec
	s_and_b64 s[8:9], s[8:9], exec
	;; [unrolled: 1-line block ×4, first 2 shown]
	s_or_b64 s[12:13], s[12:13], s[4:5]
.LBB473_919:
	s_or_b64 exec, exec, s[72:73]
	s_and_b64 s[4:5], s[6:7], exec
	s_andn2_b64 s[2:3], s[2:3], exec
	s_and_b64 s[6:7], s[12:13], exec
	s_and_b64 s[8:9], s[8:9], exec
	;; [unrolled: 1-line block ×3, first 2 shown]
	s_or_b64 s[2:3], s[2:3], s[6:7]
.LBB473_920:
	s_or_b64 exec, exec, s[68:69]
	s_andn2_b64 s[6:7], s[64:65], exec
	s_and_b64 s[12:13], s[70:71], exec
	s_or_b64 s[64:65], s[6:7], s[12:13]
	s_and_b64 s[6:7], s[10:11], exec
	s_andn2_b64 s[10:11], s[62:63], exec
	s_and_b64 s[2:3], s[2:3], exec
	s_and_b64 s[8:9], s[8:9], exec
	;; [unrolled: 1-line block ×3, first 2 shown]
	s_or_b64 s[62:63], s[10:11], s[2:3]
.LBB473_921:
	s_or_b64 exec, exec, s[66:67]
	s_andn2_b64 s[2:3], s[56:57], exec
	s_and_b64 s[10:11], s[64:65], exec
	s_or_b64 s[56:57], s[2:3], s[10:11]
	s_and_b64 s[2:3], s[8:9], exec
	s_and_b64 s[8:9], s[6:7], exec
	;; [unrolled: 1-line block ×3, first 2 shown]
	s_andn2_b64 s[4:5], s[58:59], exec
	s_and_b64 s[6:7], s[62:63], exec
	s_or_b64 s[58:59], s[4:5], s[6:7]
	s_or_b64 exec, exec, s[60:61]
	s_mov_b64 s[4:5], 0
	s_and_saveexec_b64 s[6:7], s[58:59]
	s_cbranch_execz .LBB473_276
.LBB473_922:
	s_mov_b64 s[4:5], exec
	s_andn2_b64 s[64:65], s[64:65], exec
	s_trap 2
	s_or_b64 exec, exec, s[6:7]
	s_and_saveexec_b64 s[6:7], s[64:65]
	s_xor_b64 s[6:7], exec, s[6:7]
	s_cbranch_execnz .LBB473_277
.LBB473_923:
	s_or_b64 exec, exec, s[6:7]
	s_and_saveexec_b64 s[6:7], s[8:9]
	s_cbranch_execz .LBB473_969
.LBB473_924:
	s_sext_i32_i16 s8, s75
	s_cmp_lt_i32 s8, 5
	s_cbranch_scc1 .LBB473_929
; %bb.925:
	s_cmp_lt_i32 s8, 8
	s_cbranch_scc1 .LBB473_930
; %bb.926:
	;; [unrolled: 3-line block ×3, first 2 shown]
	s_cmp_gt_i32 s8, 9
	s_cbranch_scc0 .LBB473_932
; %bb.928:
	global_load_dwordx2 v[4:5], v[2:3], off
	s_mov_b64 s[8:9], 0
	s_waitcnt vmcnt(0)
	v_cvt_f32_f64_e32 v1, v[4:5]
	s_branch .LBB473_933
.LBB473_929:
                                        ; implicit-def: $vgpr1
	s_branch .LBB473_950
.LBB473_930:
                                        ; implicit-def: $vgpr1
	s_branch .LBB473_939
.LBB473_931:
	s_mov_b64 s[8:9], -1
                                        ; implicit-def: $vgpr1
	s_branch .LBB473_936
.LBB473_932:
	s_mov_b64 s[8:9], -1
                                        ; implicit-def: $vgpr1
.LBB473_933:
	s_andn2_b64 vcc, exec, s[8:9]
	s_cbranch_vccnz .LBB473_935
; %bb.934:
	global_load_dword v1, v[2:3], off
.LBB473_935:
	s_mov_b64 s[8:9], 0
.LBB473_936:
	s_andn2_b64 vcc, exec, s[8:9]
	s_cbranch_vccnz .LBB473_938
; %bb.937:
	global_load_dword v1, v[2:3], off
	s_waitcnt vmcnt(0)
	v_cvt_f32_f16_e32 v1, v1
.LBB473_938:
	s_cbranch_execnz .LBB473_949
.LBB473_939:
	s_sext_i32_i16 s8, s75
	s_cmp_lt_i32 s8, 6
	s_cbranch_scc1 .LBB473_942
; %bb.940:
	s_cmp_gt_i32 s8, 6
	s_cbranch_scc0 .LBB473_943
; %bb.941:
	global_load_dwordx2 v[4:5], v[2:3], off
	s_mov_b64 s[8:9], 0
	s_waitcnt vmcnt(0)
	v_cvt_f32_f64_e32 v1, v[4:5]
	s_branch .LBB473_944
.LBB473_942:
	s_mov_b64 s[8:9], -1
                                        ; implicit-def: $vgpr1
	s_branch .LBB473_947
.LBB473_943:
	s_mov_b64 s[8:9], -1
                                        ; implicit-def: $vgpr1
.LBB473_944:
	s_andn2_b64 vcc, exec, s[8:9]
	s_cbranch_vccnz .LBB473_946
; %bb.945:
	global_load_dword v1, v[2:3], off
.LBB473_946:
	s_mov_b64 s[8:9], 0
.LBB473_947:
	s_andn2_b64 vcc, exec, s[8:9]
	s_cbranch_vccnz .LBB473_949
; %bb.948:
	global_load_ushort v1, v[2:3], off
	s_waitcnt vmcnt(0)
	v_cvt_f32_f16_e32 v1, v1
.LBB473_949:
	s_cbranch_execnz .LBB473_968
.LBB473_950:
	s_sext_i32_i16 s8, s75
	s_cmp_lt_i32 s8, 2
	s_cbranch_scc1 .LBB473_954
; %bb.951:
	s_cmp_lt_i32 s8, 3
	s_cbranch_scc1 .LBB473_955
; %bb.952:
	s_cmp_gt_i32 s8, 3
	s_cbranch_scc0 .LBB473_956
; %bb.953:
	global_load_dwordx2 v[4:5], v[2:3], off
	s_mov_b64 s[8:9], 0
	s_waitcnt vmcnt(0)
	v_xor_b32_e32 v6, v4, v5
	v_ffbh_i32_e32 v1, v5
	v_ashrrev_i32_e32 v6, 31, v6
	v_add_u32_e32 v1, -1, v1
	v_add_u32_e32 v6, 32, v6
	v_min_u32_e32 v1, v1, v6
	v_lshlrev_b64 v[4:5], v1, v[4:5]
	v_min_u32_e32 v4, 1, v4
	v_or_b32_e32 v4, v5, v4
	v_cvt_f32_i32_e32 v4, v4
	v_sub_u32_e32 v1, 32, v1
	v_ldexp_f32 v1, v4, v1
	s_branch .LBB473_957
.LBB473_954:
                                        ; implicit-def: $vgpr1
	s_branch .LBB473_963
.LBB473_955:
	s_mov_b64 s[8:9], -1
                                        ; implicit-def: $vgpr1
	s_branch .LBB473_960
.LBB473_956:
	s_mov_b64 s[8:9], -1
                                        ; implicit-def: $vgpr1
.LBB473_957:
	s_andn2_b64 vcc, exec, s[8:9]
	s_cbranch_vccnz .LBB473_959
; %bb.958:
	global_load_dword v1, v[2:3], off
	s_waitcnt vmcnt(0)
	v_cvt_f32_i32_e32 v1, v1
.LBB473_959:
	s_mov_b64 s[8:9], 0
.LBB473_960:
	s_andn2_b64 vcc, exec, s[8:9]
	s_cbranch_vccnz .LBB473_962
; %bb.961:
	global_load_sshort v1, v[2:3], off
	s_waitcnt vmcnt(0)
	v_cvt_f32_i32_e32 v1, v1
.LBB473_962:
	s_cbranch_execnz .LBB473_968
.LBB473_963:
	s_sext_i32_i16 s8, s75
	s_cmp_gt_i32 s8, 0
	s_cbranch_scc0 .LBB473_965
; %bb.964:
	global_load_sbyte v1, v[2:3], off
	s_mov_b64 s[8:9], 0
	s_waitcnt vmcnt(0)
	v_cvt_f32_i32_e32 v1, v1
	s_branch .LBB473_966
.LBB473_965:
	s_mov_b64 s[8:9], -1
                                        ; implicit-def: $vgpr1
.LBB473_966:
	s_andn2_b64 vcc, exec, s[8:9]
	s_cbranch_vccnz .LBB473_968
; %bb.967:
	global_load_ubyte v1, v[2:3], off
	s_waitcnt vmcnt(0)
	v_cvt_f32_ubyte0_e32 v1, v1
.LBB473_968:
	s_or_b64 s[2:3], s[2:3], exec
.LBB473_969:
	s_or_b64 exec, exec, s[6:7]
	s_mov_b64 s[10:11], 0
	s_mov_b64 s[8:9], 0
                                        ; implicit-def: $sgpr16
                                        ; implicit-def: $vgpr2_vgpr3
                                        ; implicit-def: $vgpr4
	s_and_saveexec_b64 s[6:7], s[2:3]
	s_cbranch_execz .LBB473_987
; %bb.970:
	v_max_f32_e64 v2, s46, s46
	s_waitcnt vmcnt(0)
	v_max_f32_e32 v3, v1, v1
	v_min_f32_e32 v2, v3, v2
	v_cmp_u_f32_e32 vcc, v1, v1
	s_and_b32 s16, s47, 0xff
	s_cmp_lt_i32 s16, 11
	v_cndmask_b32_e32 v4, v2, v1, vcc
	v_mov_b32_e32 v1, 0
	v_lshl_add_u64 v[2:3], s[20:21], 0, v[0:1]
	s_cbranch_scc1 .LBB473_990
; %bb.971:
	s_and_b32 s17, 0xffff, s16
	s_mov_b64 s[10:11], -1
	s_cmp_gt_i32 s17, 25
	s_mov_b64 s[2:3], s[56:57]
	s_cbranch_scc0 .LBB473_1008
; %bb.972:
	s_mov_b64 s[8:9], -1
	s_cmp_gt_i32 s17, 28
	s_mov_b64 s[2:3], s[56:57]
	s_cbranch_scc0 .LBB473_992
; %bb.973:
	s_cmp_gt_i32 s17, 43
	s_mov_b64 s[2:3], s[56:57]
	s_cbranch_scc0 .LBB473_984
; %bb.974:
	;; [unrolled: 4-line block ×3, first 2 shown]
	s_cmp_eq_u32 s17, 46
	s_mov_b64 s[2:3], -1
	s_cbranch_scc0 .LBB473_977
; %bb.976:
	v_bfe_u32 v0, v4, 16, 1
	s_movk_i32 s2, 0x7fff
	v_add3_u32 v0, v4, v0, s2
	v_cmp_o_f32_e32 vcc, v4, v4
	v_mov_b32_e32 v1, 0x7fc0
	s_mov_b64 s[2:3], 0
	v_cndmask_b32_sdwa v0, v1, v0, vcc dst_sel:DWORD dst_unused:UNUSED_PAD src0_sel:DWORD src1_sel:WORD_1
	global_store_dword v[2:3], v0, off
.LBB473_977:
	s_mov_b64 s[8:9], 0
.LBB473_978:
	s_and_b64 vcc, exec, s[8:9]
	s_cbranch_vccz .LBB473_983
; %bb.979:
	s_cmp_eq_u32 s17, 44
	s_mov_b64 s[2:3], -1
	s_cbranch_scc0 .LBB473_983
; %bb.980:
	v_bfe_u32 v0, v4, 23, 8
	s_movk_i32 s2, 0xff
	v_cmp_ne_u32_e32 vcc, s2, v0
	v_mov_b32_e32 v1, 0xff
	s_and_saveexec_b64 s[8:9], vcc
; %bb.981:
	s_mov_b32 s2, 0x3fffff
	v_and_b32_e32 v5, 0x400000, v4
	v_and_or_b32 v0, v4, s2, v0
	v_cmp_ne_u32_e32 vcc, 0, v5
	v_cmp_ne_u32_e64 s[2:3], 0, v0
	s_and_b64 s[2:3], vcc, s[2:3]
	v_lshrrev_b32_e32 v1, 23, v4
	v_cndmask_b32_e64 v0, 0, 1, s[2:3]
	v_add_u32_e32 v1, v1, v0
; %bb.982:
	s_or_b64 exec, exec, s[8:9]
	s_mov_b64 s[2:3], 0
	global_store_byte v[2:3], v1, off
.LBB473_983:
	s_mov_b64 s[8:9], 0
.LBB473_984:
	s_and_b64 vcc, exec, s[8:9]
	s_cbranch_vccz .LBB473_991
; %bb.985:
	s_cmp_eq_u32 s17, 29
	s_mov_b64 s[2:3], -1
	s_cbranch_scc0 .LBB473_991
; %bb.986:
	v_trunc_f32_e32 v0, v4
	v_mul_f32_e32 v1, 0x2f800000, v0
	v_floor_f32_e32 v5, v1
	v_fmamk_f32 v0, v5, 0xcf800000, v0
	v_cvt_u32_f32_e32 v1, v5
	v_cvt_u32_f32_e32 v0, v0
	s_mov_b64 s[2:3], 0
	s_mov_b64 s[8:9], 0
	global_store_dwordx2 v[2:3], v[0:1], off
	s_branch .LBB473_992
.LBB473_987:
	s_or_b64 exec, exec, s[6:7]
	s_and_saveexec_b64 s[2:3], s[56:57]
	s_cbranch_execnz .LBB473_1050
.LBB473_988:
	s_or_b64 exec, exec, s[2:3]
	s_and_saveexec_b64 s[2:3], s[10:11]
	s_xor_b64 s[2:3], exec, s[2:3]
	s_cbranch_execz .LBB473_1051
.LBB473_989:
	v_cmp_neq_f32_e32 vcc, 0, v4
	s_nop 1
	v_cndmask_b32_e64 v0, 0, 1, vcc
	global_store_byte v[2:3], v0, off
	s_or_b64 exec, exec, s[2:3]
	s_and_saveexec_b64 s[2:3], s[8:9]
	s_xor_b64 s[2:3], exec, s[2:3]
	s_cbranch_execz .LBB473_1089
	s_branch .LBB473_1052
.LBB473_990:
	s_mov_b64 s[8:9], -1
	s_mov_b64 s[2:3], s[56:57]
	s_branch .LBB473_1049
.LBB473_991:
	s_mov_b64 s[8:9], 0
.LBB473_992:
	s_and_b64 vcc, exec, s[8:9]
	s_cbranch_vccz .LBB473_1007
; %bb.993:
	s_cmp_lt_i32 s17, 27
	s_mov_b64 s[8:9], -1
	s_cbranch_scc1 .LBB473_999
; %bb.994:
	s_cmp_gt_i32 s17, 27
	s_cbranch_scc0 .LBB473_996
; %bb.995:
	v_cvt_u32_f32_e32 v0, v4
	s_mov_b64 s[8:9], 0
	global_store_dword v[2:3], v0, off
.LBB473_996:
	s_andn2_b64 vcc, exec, s[8:9]
	s_cbranch_vccnz .LBB473_998
; %bb.997:
	v_cvt_u32_f32_e32 v0, v4
	global_store_short v[2:3], v0, off
.LBB473_998:
	s_mov_b64 s[8:9], 0
.LBB473_999:
	s_andn2_b64 vcc, exec, s[8:9]
	s_cbranch_vccnz .LBB473_1007
; %bb.1000:
	v_and_b32_e32 v0, 0x7fffffff, v4
	s_mov_b32 s8, 0x43800000
	v_cmp_gt_u32_e32 vcc, s8, v0
	v_mov_b32_e32 v1, 0x80
	s_and_saveexec_b64 s[8:9], vcc
	s_cbranch_execz .LBB473_1006
; %bb.1001:
	s_mov_b32 s10, 0x3bffffff
	v_cmp_lt_u32_e32 vcc, s10, v0
	s_mov_b64 s[10:11], 0
                                        ; implicit-def: $vgpr0
	s_and_saveexec_b64 s[12:13], vcc
	s_xor_b64 s[12:13], exec, s[12:13]
	s_cbranch_execz .LBB473_1160
; %bb.1002:
	v_bfe_u32 v0, v4, 20, 1
	s_mov_b32 s14, 0x487ffff
	v_add3_u32 v0, v4, v0, s14
	s_mov_b64 s[10:11], exec
	v_lshrrev_b32_e32 v0, 20, v0
	s_andn2_saveexec_b64 s[12:13], s[12:13]
	s_cbranch_execnz .LBB473_1161
.LBB473_1003:
	s_or_b64 exec, exec, s[12:13]
	v_mov_b32_e32 v1, 0
	s_and_saveexec_b64 s[12:13], s[10:11]
.LBB473_1004:
	v_lshrrev_b32_e32 v1, 24, v4
	s_movk_i32 s10, 0x80
	v_and_or_b32 v1, v1, s10, v0
.LBB473_1005:
	s_or_b64 exec, exec, s[12:13]
.LBB473_1006:
	s_or_b64 exec, exec, s[8:9]
	global_store_byte v[2:3], v1, off
.LBB473_1007:
	s_mov_b64 s[10:11], 0
.LBB473_1008:
	s_mov_b64 s[8:9], 0
	s_and_b64 vcc, exec, s[10:11]
	s_cbranch_vccz .LBB473_1048
; %bb.1009:
	s_cmp_gt_i32 s17, 22
	s_mov_b64 s[10:11], -1
	s_cbranch_scc0 .LBB473_1041
; %bb.1010:
	s_cmp_lt_i32 s17, 24
	s_cbranch_scc1 .LBB473_1030
; %bb.1011:
	s_cmp_gt_i32 s17, 24
	s_cbranch_scc0 .LBB473_1019
; %bb.1012:
	v_and_b32_e32 v0, 0x7fffffff, v4
	s_mov_b32 s10, 0x47800000
	v_cmp_gt_u32_e32 vcc, s10, v0
	v_mov_b32_e32 v1, 0x80
	s_and_saveexec_b64 s[10:11], vcc
	s_cbranch_execz .LBB473_1018
; %bb.1013:
	s_mov_b32 s12, 0x37ffffff
	v_cmp_lt_u32_e32 vcc, s12, v0
	s_mov_b64 s[12:13], 0
                                        ; implicit-def: $vgpr0
	s_and_saveexec_b64 s[14:15], vcc
	s_xor_b64 s[14:15], exec, s[14:15]
	s_cbranch_execz .LBB473_1285
; %bb.1014:
	v_bfe_u32 v0, v4, 21, 1
	s_mov_b32 s18, 0x88fffff
	v_add3_u32 v0, v4, v0, s18
	s_mov_b64 s[12:13], exec
	v_lshrrev_b32_e32 v0, 21, v0
	s_andn2_saveexec_b64 s[14:15], s[14:15]
	s_cbranch_execnz .LBB473_1286
.LBB473_1015:
	s_or_b64 exec, exec, s[14:15]
	v_mov_b32_e32 v1, 0
	s_and_saveexec_b64 s[14:15], s[12:13]
.LBB473_1016:
	v_lshrrev_b32_e32 v1, 24, v4
	s_movk_i32 s12, 0x80
	v_and_or_b32 v1, v1, s12, v0
.LBB473_1017:
	s_or_b64 exec, exec, s[14:15]
.LBB473_1018:
	s_or_b64 exec, exec, s[10:11]
	s_mov_b64 s[10:11], 0
	global_store_byte v[2:3], v1, off
.LBB473_1019:
	s_and_b64 vcc, exec, s[10:11]
	s_cbranch_vccz .LBB473_1029
; %bb.1020:
	v_and_b32_e32 v1, 0x7fffffff, v4
	s_mov_b32 s10, 0x43f00000
	v_cmp_gt_u32_e32 vcc, s10, v1
                                        ; implicit-def: $vgpr0
	s_and_saveexec_b64 s[10:11], vcc
	s_xor_b64 s[10:11], exec, s[10:11]
	s_cbranch_execz .LBB473_1026
; %bb.1021:
	s_mov_b32 s12, 0x3c7fffff
	v_cmp_lt_u32_e32 vcc, s12, v1
                                        ; implicit-def: $vgpr0
	s_and_saveexec_b64 s[12:13], vcc
	s_xor_b64 s[12:13], exec, s[12:13]
; %bb.1022:
	v_bfe_u32 v0, v4, 20, 1
	s_mov_b32 s14, 0x407ffff
	v_add3_u32 v0, v4, v0, s14
	v_lshrrev_b32_e32 v1, 20, v0
	v_and_b32_e32 v0, 0xff00000, v0
	s_mov_b32 s14, 0x7f00000
	v_mov_b32_e32 v5, 0x7e
	v_cmp_ne_u32_e32 vcc, s14, v0
	s_nop 1
	v_cndmask_b32_e32 v0, v5, v1, vcc
; %bb.1023:
	s_andn2_saveexec_b64 s[12:13], s[12:13]
; %bb.1024:
	s_mov_b32 s14, 0x46800000
	v_add_f32_e64 v0, |v4|, s14
; %bb.1025:
	s_or_b64 exec, exec, s[12:13]
                                        ; implicit-def: $vgpr1
.LBB473_1026:
	s_andn2_saveexec_b64 s[10:11], s[10:11]
; %bb.1027:
	s_mov_b32 s12, 0x7f800000
	v_mov_b32_e32 v0, 0x7e
	v_mov_b32_e32 v5, 0x7f
	v_cmp_lt_u32_e32 vcc, s12, v1
	s_nop 1
	v_cndmask_b32_e32 v0, v0, v5, vcc
; %bb.1028:
	s_or_b64 exec, exec, s[10:11]
	v_lshrrev_b32_e32 v1, 24, v4
	s_movk_i32 s10, 0x80
	v_and_or_b32 v0, v1, s10, v0
	global_store_byte v[2:3], v0, off
.LBB473_1029:
	s_mov_b64 s[10:11], 0
.LBB473_1030:
	s_andn2_b64 vcc, exec, s[10:11]
	s_cbranch_vccnz .LBB473_1040
; %bb.1031:
	v_and_b32_e32 v1, 0x7fffffff, v4
	s_mov_b32 s10, 0x47800000
	v_cmp_gt_u32_e32 vcc, s10, v1
                                        ; implicit-def: $vgpr0
	s_and_saveexec_b64 s[10:11], vcc
	s_xor_b64 s[10:11], exec, s[10:11]
	s_cbranch_execz .LBB473_1037
; %bb.1032:
	s_mov_b32 s12, 0x387fffff
	v_cmp_lt_u32_e32 vcc, s12, v1
                                        ; implicit-def: $vgpr0
	s_and_saveexec_b64 s[12:13], vcc
	s_xor_b64 s[12:13], exec, s[12:13]
; %bb.1033:
	v_bfe_u32 v0, v4, 21, 1
	s_mov_b32 s14, 0x80fffff
	v_add3_u32 v0, v4, v0, s14
	v_lshrrev_b32_e32 v0, 21, v0
; %bb.1034:
	s_andn2_saveexec_b64 s[12:13], s[12:13]
; %bb.1035:
	s_mov_b32 s14, 0x43000000
	v_add_f32_e64 v0, |v4|, s14
; %bb.1036:
	s_or_b64 exec, exec, s[12:13]
                                        ; implicit-def: $vgpr1
.LBB473_1037:
	s_andn2_saveexec_b64 s[10:11], s[10:11]
; %bb.1038:
	s_mov_b32 s12, 0x7f800000
	v_mov_b32_e32 v0, 0x7c
	v_mov_b32_e32 v5, 0x7f
	v_cmp_lt_u32_e32 vcc, s12, v1
	s_nop 1
	v_cndmask_b32_e32 v0, v0, v5, vcc
; %bb.1039:
	s_or_b64 exec, exec, s[10:11]
	v_lshrrev_b32_e32 v1, 24, v4
	s_movk_i32 s10, 0x80
	v_and_or_b32 v0, v1, s10, v0
	global_store_byte v[2:3], v0, off
.LBB473_1040:
	s_mov_b64 s[10:11], 0
.LBB473_1041:
	s_andn2_b64 vcc, exec, s[10:11]
	s_mov_b64 s[10:11], 0
	s_cbranch_vccnz .LBB473_1049
; %bb.1042:
	s_cmp_gt_i32 s17, 14
	s_mov_b64 s[12:13], -1
	s_cbranch_scc0 .LBB473_1046
; %bb.1043:
	s_cmp_eq_u32 s17, 15
	s_mov_b64 s[2:3], -1
	s_cbranch_scc0 .LBB473_1045
; %bb.1044:
	v_bfe_u32 v0, v4, 16, 1
	s_movk_i32 s2, 0x7fff
	v_add3_u32 v0, v4, v0, s2
	v_cmp_o_f32_e32 vcc, v4, v4
	v_mov_b32_e32 v1, 0x7fc0
	s_mov_b64 s[2:3], 0
	v_cndmask_b32_sdwa v0, v1, v0, vcc dst_sel:DWORD dst_unused:UNUSED_PAD src0_sel:DWORD src1_sel:WORD_1
	global_store_short v[2:3], v0, off
.LBB473_1045:
	s_mov_b64 s[12:13], 0
.LBB473_1046:
	s_and_b64 vcc, exec, s[12:13]
	s_cbranch_vccz .LBB473_1049
; %bb.1047:
	s_cmp_lg_u32 s17, 11
	s_cselect_b64 s[12:13], -1, 0
	s_andn2_b64 s[2:3], s[2:3], exec
	s_and_b64 s[12:13], s[12:13], exec
	s_mov_b64 s[10:11], -1
	s_or_b64 s[2:3], s[2:3], s[12:13]
	s_branch .LBB473_1049
.LBB473_1048:
	s_mov_b64 s[10:11], 0
.LBB473_1049:
	s_andn2_b64 s[12:13], s[56:57], exec
	s_and_b64 s[2:3], s[2:3], exec
	s_and_b64 s[8:9], s[8:9], exec
	;; [unrolled: 1-line block ×3, first 2 shown]
	s_or_b64 s[56:57], s[12:13], s[2:3]
	s_or_b64 exec, exec, s[6:7]
	s_and_saveexec_b64 s[2:3], s[56:57]
	s_cbranch_execz .LBB473_988
.LBB473_1050:
	s_or_b64 s[4:5], s[4:5], exec
	s_andn2_b64 s[10:11], s[10:11], exec
	s_trap 2
	s_or_b64 exec, exec, s[2:3]
	s_and_saveexec_b64 s[2:3], s[10:11]
	s_xor_b64 s[2:3], exec, s[2:3]
	s_cbranch_execnz .LBB473_989
.LBB473_1051:
	s_or_b64 exec, exec, s[2:3]
	s_and_saveexec_b64 s[2:3], s[8:9]
	s_xor_b64 s[2:3], exec, s[2:3]
	s_cbranch_execz .LBB473_1089
.LBB473_1052:
	s_sext_i32_i16 s8, s16
	s_cmp_lt_i32 s8, 5
	s_mov_b64 s[6:7], -1
	s_cbranch_scc1 .LBB473_1073
; %bb.1053:
	s_cmp_lt_i32 s8, 8
	s_cbranch_scc1 .LBB473_1063
; %bb.1054:
	s_cmp_lt_i32 s8, 9
	s_cbranch_scc1 .LBB473_1060
; %bb.1055:
	s_cmp_gt_i32 s8, 9
	s_cbranch_scc0 .LBB473_1057
; %bb.1056:
	v_mov_b32_e32 v8, 0
	v_cvt_f64_f32_e32 v[6:7], v4
	v_mov_b32_e32 v9, v8
	s_mov_b64 s[6:7], 0
	global_store_dwordx4 v[2:3], v[6:9], off
.LBB473_1057:
	s_andn2_b64 vcc, exec, s[6:7]
	s_cbranch_vccnz .LBB473_1059
; %bb.1058:
	v_mov_b32_e32 v5, 0
	global_store_dwordx2 v[2:3], v[4:5], off
.LBB473_1059:
	s_mov_b64 s[6:7], 0
.LBB473_1060:
	s_andn2_b64 vcc, exec, s[6:7]
	s_cbranch_vccnz .LBB473_1062
; %bb.1061:
	v_cvt_f16_f32_e32 v0, v4
	global_store_dword v[2:3], v0, off
.LBB473_1062:
	s_mov_b64 s[6:7], 0
.LBB473_1063:
	s_andn2_b64 vcc, exec, s[6:7]
	s_cbranch_vccnz .LBB473_1072
; %bb.1064:
	s_sext_i32_i16 s8, s16
	s_cmp_lt_i32 s8, 6
	s_mov_b64 s[6:7], -1
	s_cbranch_scc1 .LBB473_1070
; %bb.1065:
	s_cmp_gt_i32 s8, 6
	s_cbranch_scc0 .LBB473_1067
; %bb.1066:
	s_waitcnt vmcnt(0)
	v_cvt_f64_f32_e32 v[0:1], v4
	s_mov_b64 s[6:7], 0
	global_store_dwordx2 v[2:3], v[0:1], off
.LBB473_1067:
	s_andn2_b64 vcc, exec, s[6:7]
	s_cbranch_vccnz .LBB473_1069
; %bb.1068:
	global_store_dword v[2:3], v4, off
.LBB473_1069:
	s_mov_b64 s[6:7], 0
.LBB473_1070:
	s_andn2_b64 vcc, exec, s[6:7]
	s_cbranch_vccnz .LBB473_1072
; %bb.1071:
	v_cvt_f16_f32_e32 v0, v4
	global_store_short v[2:3], v0, off
.LBB473_1072:
	s_mov_b64 s[6:7], 0
.LBB473_1073:
	s_andn2_b64 vcc, exec, s[6:7]
	s_cbranch_vccnz .LBB473_1089
; %bb.1074:
	s_sext_i32_i16 s8, s16
	s_cmp_lt_i32 s8, 2
	s_mov_b64 s[6:7], -1
	s_cbranch_scc1 .LBB473_1084
; %bb.1075:
	s_cmp_lt_i32 s8, 3
	s_cbranch_scc1 .LBB473_1081
; %bb.1076:
	s_cmp_gt_i32 s8, 3
	s_cbranch_scc0 .LBB473_1078
; %bb.1077:
	v_trunc_f32_e32 v0, v4
	s_mov_b32 s6, 0x2f800000
	s_waitcnt vmcnt(0)
	v_mul_f32_e64 v1, |v0|, s6
	v_floor_f32_e32 v1, v1
	s_mov_b32 s6, 0xcf800000
	v_cvt_u32_f32_e32 v5, v1
	v_fma_f32 v1, v1, s6, |v0|
	v_cvt_u32_f32_e32 v1, v1
	v_ashrrev_i32_e32 v6, 31, v0
	v_xor_b32_e32 v5, v5, v6
	s_mov_b64 s[6:7], 0
	v_xor_b32_e32 v0, v1, v6
	v_sub_co_u32_e32 v0, vcc, v0, v6
	s_nop 1
	v_subb_co_u32_e32 v1, vcc, v5, v6, vcc
	global_store_dwordx2 v[2:3], v[0:1], off
.LBB473_1078:
	s_andn2_b64 vcc, exec, s[6:7]
	s_cbranch_vccnz .LBB473_1080
; %bb.1079:
	v_cvt_i32_f32_e32 v0, v4
	global_store_dword v[2:3], v0, off
.LBB473_1080:
	s_mov_b64 s[6:7], 0
.LBB473_1081:
	s_andn2_b64 vcc, exec, s[6:7]
	s_cbranch_vccnz .LBB473_1083
; %bb.1082:
	v_cvt_i32_f32_e32 v0, v4
	global_store_short v[2:3], v0, off
.LBB473_1083:
	s_mov_b64 s[6:7], 0
.LBB473_1084:
	s_andn2_b64 vcc, exec, s[6:7]
	s_cbranch_vccnz .LBB473_1089
; %bb.1085:
	s_sext_i32_i16 s6, s16
	s_cmp_gt_i32 s6, 0
	s_mov_b64 s[6:7], -1
	s_cbranch_scc0 .LBB473_1087
; %bb.1086:
	v_cvt_i32_f32_e32 v0, v4
	s_mov_b64 s[6:7], 0
	global_store_byte v[2:3], v0, off
.LBB473_1087:
	s_andn2_b64 vcc, exec, s[6:7]
	s_cbranch_vccnz .LBB473_1089
; %bb.1088:
	v_trunc_f32_e32 v0, v4
	s_mov_b32 s6, 0x2f800000
	s_waitcnt vmcnt(0)
	v_mul_f32_e64 v1, |v0|, s6
	v_floor_f32_e32 v1, v1
	s_mov_b32 s6, 0xcf800000
	v_fma_f32 v1, v1, s6, |v0|
	v_cvt_u32_f32_e32 v1, v1
	v_ashrrev_i32_e32 v0, 31, v0
	v_xor_b32_e32 v1, v1, v0
	v_sub_u32_e32 v0, v1, v0
	global_store_byte v[2:3], v0, off
.LBB473_1089:
	s_or_b64 exec, exec, s[2:3]
	s_and_b64 s[24:25], s[4:5], exec
                                        ; implicit-def: $vgpr16
                                        ; implicit-def: $vgpr8
.LBB473_1090:
	s_or_saveexec_b64 s[26:27], s[44:45]
	s_mov_b64 s[6:7], 0
                                        ; implicit-def: $vgpr0_vgpr1
                                        ; implicit-def: $sgpr14
                                        ; implicit-def: $vgpr2
	s_xor_b64 exec, exec, s[26:27]
	s_cbranch_execz .LBB473_2094
; %bb.1091:
	v_cndmask_b32_e64 v0, 0, 1, s[42:43]
	v_cmp_ne_u32_e64 s[2:3], 1, v0
	s_andn2_b64 vcc, exec, s[42:43]
	s_cbranch_vccnz .LBB473_1097
; %bb.1092:
	s_cmp_lg_u32 s33, 0
	s_mov_b32 s36, 0
	s_cbranch_scc0 .LBB473_1098
; %bb.1093:
	s_min_u32 s37, s74, 15
	s_add_i32 s37, s37, 1
	s_cmp_eq_u32 s74, 2
	s_cbranch_scc1 .LBB473_1099
; %bb.1094:
	s_and_b32 s36, s37, 28
	s_add_u32 s28, s34, 0xc4
	s_addc_u32 s29, s35, 0
	s_mov_b32 s38, 0
	v_mov_b32_e32 v6, 0
	v_mov_b32_e32 v14, 0
	s_mov_b64 s[30:31], s[34:35]
	v_mov_b32_e32 v0, v8
.LBB473_1095:                           ; =>This Inner Loop Header: Depth=1
	s_load_dwordx8 s[12:19], s[30:31], 0x4
	s_load_dwordx4 s[20:23], s[30:31], 0x24
	s_load_dwordx8 s[4:11], s[28:29], 0x0
	s_add_u32 s30, s30, 48
	s_addc_u32 s31, s31, 0
	s_waitcnt vmcnt(0) lgkmcnt(0)
	v_mul_hi_u32 v1, s13, v0
	v_add_u32_e32 v1, v0, v1
	v_lshrrev_b32_e32 v1, s14, v1
	v_mul_lo_u32 v2, v1, s12
	v_mul_hi_u32 v3, s16, v1
	v_sub_u32_e32 v0, v0, v2
	v_add_u32_e32 v2, v1, v3
	v_lshrrev_b32_e32 v2, s17, v2
	v_mul_lo_u32 v4, v2, s15
	v_mul_hi_u32 v5, s19, v2
	v_sub_u32_e32 v1, v1, v4
	v_add_u32_e32 v4, v2, v5
	v_mul_lo_u32 v3, v0, s5
	v_mul_lo_u32 v0, v0, s4
	;; [unrolled: 1-line block ×4, first 2 shown]
	v_lshrrev_b32_e32 v4, s20, v4
	v_add3_u32 v1, v0, v6, v1
	v_add3_u32 v3, v3, v14, v5
	v_mul_lo_u32 v0, v4, s18
	v_mul_hi_u32 v5, s22, v4
	v_sub_u32_e32 v0, v2, v0
	v_add_u32_e32 v2, v4, v5
	v_mul_lo_u32 v5, v0, s8
	v_mul_lo_u32 v6, v0, s9
	v_lshrrev_b32_e32 v0, s23, v2
	s_add_i32 s38, s38, 4
	v_mul_lo_u32 v2, v0, s21
	s_add_u32 s28, s28, 32
	v_sub_u32_e32 v2, v4, v2
	s_addc_u32 s29, s29, 0
	v_mul_lo_u32 v4, v2, s10
	v_mul_lo_u32 v2, v2, s11
	s_cmp_lg_u32 s36, s38
	v_add3_u32 v14, v6, v3, v2
	v_add3_u32 v6, v5, v1, v4
	s_cbranch_scc1 .LBB473_1095
; %bb.1096:
	v_mov_b32_e32 v1, v14
	s_and_b32 s8, s37, 3
	s_cmp_eq_u32 s8, 0
	s_cbranch_scc0 .LBB473_1100
	s_branch .LBB473_1102
.LBB473_1097:
                                        ; implicit-def: $vgpr14
                                        ; implicit-def: $vgpr6
	s_branch .LBB473_1103
.LBB473_1098:
	v_mov_b32_e32 v14, 0
	v_mov_b32_e32 v6, 0
	s_branch .LBB473_1102
.LBB473_1099:
	v_mov_b32_e32 v6, 0
                                        ; implicit-def: $vgpr14
	s_waitcnt vmcnt(0)
	v_mov_b32_e32 v1, v6
	v_mov_b32_e32 v0, v8
	s_and_b32 s8, s37, 3
	s_cmp_eq_u32 s8, 0
	s_cbranch_scc1 .LBB473_1102
.LBB473_1100:
	s_lshl_b32 s4, s36, 3
	s_add_u32 s4, s34, s4
	s_addc_u32 s5, s35, 0
	s_add_u32 s4, s4, 0xc4
	s_addc_u32 s5, s5, 0
	s_mul_i32 s6, s36, 12
	s_add_u32 s6, s34, s6
	s_addc_u32 s7, s35, 0
.LBB473_1101:                           ; =>This Inner Loop Header: Depth=1
	s_load_dwordx2 s[10:11], s[6:7], 0x4
	s_load_dword s9, s[6:7], 0xc
	s_load_dwordx2 s[12:13], s[4:5], 0x0
	v_mov_b32_e32 v2, v1
	s_add_u32 s6, s6, 12
	s_waitcnt lgkmcnt(0)
	v_mul_hi_u32 v1, s11, v0
	v_add_u32_e32 v1, v0, v1
	v_lshrrev_b32_e32 v1, s9, v1
	s_addc_u32 s7, s7, 0
	v_mul_lo_u32 v3, v1, s10
	s_add_u32 s4, s4, 8
	v_sub_u32_e32 v3, v0, v3
	s_addc_u32 s5, s5, 0
	s_add_i32 s8, s8, -1
	v_mad_u64_u32 v[14:15], s[10:11], v3, s13, v[2:3]
	s_cmp_lg_u32 s8, 0
	v_mov_b32_e32 v0, v1
	v_mad_u64_u32 v[6:7], s[10:11], v3, s12, v[6:7]
	v_mov_b32_e32 v1, v14
	s_cbranch_scc1 .LBB473_1101
.LBB473_1102:
	s_cbranch_execnz .LBB473_1105
.LBB473_1103:
	s_load_dwordx4 s[4:7], s[34:35], 0x4
	s_load_dwordx2 s[8:9], s[34:35], 0xc4
	s_cmp_lt_u32 s33, 2
	s_waitcnt lgkmcnt(0)
	v_mul_hi_u32 v0, s5, v8
	v_add_u32_e32 v0, v8, v0
	v_lshrrev_b32_e32 v0, s6, v0
	s_waitcnt vmcnt(0)
	v_mul_lo_u32 v1, v0, s4
	v_sub_u32_e32 v1, v8, v1
	v_mul_lo_u32 v14, v1, s9
	v_mul_lo_u32 v6, v1, s8
	s_cbranch_scc1 .LBB473_1105
; %bb.1104:
	s_load_dwordx4 s[4:7], s[34:35], 0x10
	s_load_dwordx2 s[8:9], s[34:35], 0xcc
	s_waitcnt lgkmcnt(0)
	v_mul_hi_u32 v1, s5, v0
	v_add_u32_e32 v1, v0, v1
	v_lshrrev_b32_e32 v1, s6, v1
	v_mul_lo_u32 v1, v1, s4
	v_sub_u32_e32 v0, v0, v1
	v_mad_u64_u32 v[6:7], s[4:5], v0, s8, v[6:7]
	v_mad_u64_u32 v[14:15], s[4:5], v0, s9, v[14:15]
.LBB473_1105:
	s_and_b64 vcc, exec, s[2:3]
	v_add_u32_e32 v0, 0x80, v8
	s_cbranch_vccnz .LBB473_1111
; %bb.1106:
	s_cmp_lg_u32 s33, 0
	s_mov_b32 s36, 0
	s_cbranch_scc0 .LBB473_1112
; %bb.1107:
	s_min_u32 s37, s74, 15
	s_add_i32 s37, s37, 1
	s_cmp_eq_u32 s74, 2
	s_cbranch_scc1 .LBB473_1113
; %bb.1108:
	s_and_b32 s36, s37, 28
	s_add_u32 s28, s34, 0xc4
	s_addc_u32 s29, s35, 0
	s_mov_b32 s38, 0
	v_mov_b32_e32 v4, 0
	v_mov_b32_e32 v12, 0
	s_mov_b64 s[30:31], s[34:35]
	v_mov_b32_e32 v2, v0
.LBB473_1109:                           ; =>This Inner Loop Header: Depth=1
	s_load_dwordx8 s[12:19], s[30:31], 0x4
	s_load_dwordx4 s[20:23], s[30:31], 0x24
	s_load_dwordx8 s[4:11], s[28:29], 0x0
	s_add_u32 s30, s30, 48
	s_addc_u32 s31, s31, 0
	s_waitcnt vmcnt(0) lgkmcnt(0)
	v_mul_hi_u32 v1, s13, v2
	v_add_u32_e32 v1, v2, v1
	v_lshrrev_b32_e32 v1, s14, v1
	v_mul_lo_u32 v3, v1, s12
	v_mul_hi_u32 v5, s16, v1
	v_sub_u32_e32 v2, v2, v3
	v_add_u32_e32 v3, v1, v5
	v_lshrrev_b32_e32 v3, s17, v3
	v_mul_lo_u32 v7, v3, s15
	v_mul_hi_u32 v9, s19, v3
	v_sub_u32_e32 v1, v1, v7
	v_add_u32_e32 v7, v3, v9
	v_mul_lo_u32 v5, v2, s5
	v_mul_lo_u32 v2, v2, s4
	;; [unrolled: 1-line block ×4, first 2 shown]
	v_lshrrev_b32_e32 v7, s20, v7
	v_add3_u32 v1, v2, v4, v1
	v_add3_u32 v4, v5, v12, v9
	v_mul_lo_u32 v2, v7, s18
	v_mul_hi_u32 v5, s22, v7
	v_sub_u32_e32 v2, v3, v2
	v_add_u32_e32 v3, v7, v5
	v_mul_lo_u32 v5, v2, s8
	v_mul_lo_u32 v9, v2, s9
	v_lshrrev_b32_e32 v2, s23, v3
	s_add_i32 s38, s38, 4
	v_mul_lo_u32 v3, v2, s21
	s_add_u32 s28, s28, 32
	v_sub_u32_e32 v3, v7, v3
	s_addc_u32 s29, s29, 0
	v_mul_lo_u32 v7, v3, s10
	v_mul_lo_u32 v3, v3, s11
	s_cmp_lg_u32 s36, s38
	v_add3_u32 v12, v9, v4, v3
	v_add3_u32 v4, v5, v1, v7
	s_cbranch_scc1 .LBB473_1109
; %bb.1110:
	v_mov_b32_e32 v1, v12
	s_and_b32 s8, s37, 3
	s_cmp_eq_u32 s8, 0
	s_cbranch_scc0 .LBB473_1114
	s_branch .LBB473_1116
.LBB473_1111:
                                        ; implicit-def: $vgpr12
                                        ; implicit-def: $vgpr4
	s_branch .LBB473_1117
.LBB473_1112:
	v_mov_b32_e32 v12, 0
	v_mov_b32_e32 v4, 0
	s_branch .LBB473_1116
.LBB473_1113:
	v_mov_b32_e32 v4, 0
                                        ; implicit-def: $vgpr12
	s_waitcnt vmcnt(0)
	v_mov_b32_e32 v1, v4
	v_mov_b32_e32 v2, v0
	s_and_b32 s8, s37, 3
	s_cmp_eq_u32 s8, 0
	s_cbranch_scc1 .LBB473_1116
.LBB473_1114:
	s_lshl_b32 s4, s36, 3
	s_add_u32 s4, s34, s4
	s_addc_u32 s5, s35, 0
	s_add_u32 s4, s4, 0xc4
	s_addc_u32 s5, s5, 0
	s_mul_i32 s6, s36, 12
	s_add_u32 s6, s34, s6
	s_addc_u32 s7, s35, 0
.LBB473_1115:                           ; =>This Inner Loop Header: Depth=1
	s_load_dwordx2 s[10:11], s[6:7], 0x4
	s_load_dword s9, s[6:7], 0xc
	s_load_dwordx2 s[12:13], s[4:5], 0x0
	v_mov_b32_e32 v10, v1
	s_add_u32 s6, s6, 12
	s_waitcnt lgkmcnt(0)
	v_mul_hi_u32 v1, s11, v2
	v_add_u32_e32 v1, v2, v1
	v_lshrrev_b32_e32 v1, s9, v1
	s_addc_u32 s7, s7, 0
	v_mul_lo_u32 v3, v1, s10
	s_add_u32 s4, s4, 8
	v_sub_u32_e32 v3, v2, v3
	s_addc_u32 s5, s5, 0
	s_add_i32 s8, s8, -1
	v_mad_u64_u32 v[12:13], s[10:11], v3, s13, v[10:11]
	s_cmp_lg_u32 s8, 0
	v_mov_b32_e32 v2, v1
	v_mad_u64_u32 v[4:5], s[10:11], v3, s12, v[4:5]
	v_mov_b32_e32 v1, v12
	s_cbranch_scc1 .LBB473_1115
.LBB473_1116:
	s_cbranch_execnz .LBB473_1119
.LBB473_1117:
	s_load_dwordx4 s[4:7], s[34:35], 0x4
	s_load_dwordx2 s[8:9], s[34:35], 0xc4
	s_cmp_lt_u32 s33, 2
	s_waitcnt vmcnt(0) lgkmcnt(0)
	v_mul_hi_u32 v1, s5, v0
	v_add_u32_e32 v1, v0, v1
	v_lshrrev_b32_e32 v1, s6, v1
	v_mul_lo_u32 v2, v1, s4
	v_sub_u32_e32 v0, v0, v2
	v_mul_lo_u32 v12, v0, s9
	v_mul_lo_u32 v4, v0, s8
	s_cbranch_scc1 .LBB473_1119
; %bb.1118:
	s_load_dwordx4 s[4:7], s[34:35], 0x10
	s_load_dwordx2 s[8:9], s[34:35], 0xcc
	s_waitcnt lgkmcnt(0)
	v_mul_hi_u32 v0, s5, v1
	v_add_u32_e32 v0, v1, v0
	v_lshrrev_b32_e32 v0, s6, v0
	v_mul_lo_u32 v0, v0, s4
	v_sub_u32_e32 v0, v1, v0
	v_mad_u64_u32 v[4:5], s[4:5], v0, s8, v[4:5]
	v_mad_u64_u32 v[12:13], s[4:5], v0, s9, v[12:13]
.LBB473_1119:
	s_and_b64 vcc, exec, s[2:3]
	v_add_u32_e32 v0, 0x100, v8
	s_cbranch_vccnz .LBB473_1125
; %bb.1120:
	s_cmp_lg_u32 s33, 0
	s_mov_b32 s36, 0
	s_cbranch_scc0 .LBB473_1126
; %bb.1121:
	s_min_u32 s37, s74, 15
	s_add_i32 s37, s37, 1
	s_cmp_eq_u32 s74, 2
	s_cbranch_scc1 .LBB473_1127
; %bb.1122:
	s_and_b32 s36, s37, 28
	s_add_u32 s28, s34, 0xc4
	s_addc_u32 s29, s35, 0
	s_mov_b32 s38, 0
	v_mov_b32_e32 v2, 0
	v_mov_b32_e32 v10, 0
	s_mov_b64 s[30:31], s[34:35]
	v_mov_b32_e32 v5, v0
.LBB473_1123:                           ; =>This Inner Loop Header: Depth=1
	s_load_dwordx8 s[12:19], s[30:31], 0x4
	s_load_dwordx4 s[20:23], s[30:31], 0x24
	s_load_dwordx8 s[4:11], s[28:29], 0x0
	s_add_u32 s30, s30, 48
	s_addc_u32 s31, s31, 0
	s_waitcnt vmcnt(0) lgkmcnt(0)
	v_mul_hi_u32 v1, s13, v5
	v_add_u32_e32 v1, v5, v1
	v_lshrrev_b32_e32 v1, s14, v1
	v_mul_lo_u32 v3, v1, s12
	v_mul_hi_u32 v7, s16, v1
	v_sub_u32_e32 v3, v5, v3
	v_add_u32_e32 v5, v1, v7
	v_lshrrev_b32_e32 v5, s17, v5
	v_mul_lo_u32 v8, v5, s15
	v_mul_hi_u32 v9, s19, v5
	v_sub_u32_e32 v1, v1, v8
	v_add_u32_e32 v8, v5, v9
	v_mul_lo_u32 v7, v3, s5
	v_mul_lo_u32 v3, v3, s4
	;; [unrolled: 1-line block ×4, first 2 shown]
	v_lshrrev_b32_e32 v8, s20, v8
	v_add3_u32 v1, v3, v2, v1
	v_add3_u32 v2, v7, v10, v9
	v_mul_lo_u32 v3, v8, s18
	v_mul_hi_u32 v7, s22, v8
	v_sub_u32_e32 v3, v5, v3
	v_add_u32_e32 v5, v8, v7
	v_lshrrev_b32_e32 v5, s23, v5
	s_add_i32 s38, s38, 4
	v_mul_lo_u32 v9, v5, s21
	s_add_u32 s28, s28, 32
	v_sub_u32_e32 v8, v8, v9
	s_addc_u32 s29, s29, 0
	v_mul_lo_u32 v7, v3, s8
	v_mul_lo_u32 v3, v3, s9
	;; [unrolled: 1-line block ×4, first 2 shown]
	s_cmp_lg_u32 s36, s38
	v_add3_u32 v10, v3, v2, v8
	v_add3_u32 v2, v7, v1, v9
	s_cbranch_scc1 .LBB473_1123
; %bb.1124:
	v_mov_b32_e32 v1, v10
	s_and_b32 s8, s37, 3
	s_cmp_eq_u32 s8, 0
	s_cbranch_scc0 .LBB473_1128
	s_branch .LBB473_1130
.LBB473_1125:
                                        ; implicit-def: $vgpr10
                                        ; implicit-def: $vgpr2
	s_branch .LBB473_1131
.LBB473_1126:
	v_mov_b32_e32 v10, 0
	v_mov_b32_e32 v2, 0
	s_branch .LBB473_1130
.LBB473_1127:
	v_mov_b32_e32 v2, 0
                                        ; implicit-def: $vgpr10
	s_waitcnt vmcnt(0)
	v_mov_b32_e32 v1, v2
	v_mov_b32_e32 v5, v0
	s_and_b32 s8, s37, 3
	s_cmp_eq_u32 s8, 0
	s_cbranch_scc1 .LBB473_1130
.LBB473_1128:
	s_lshl_b32 s4, s36, 3
	s_add_u32 s4, s34, s4
	s_addc_u32 s5, s35, 0
	s_add_u32 s4, s4, 0xc4
	s_addc_u32 s5, s5, 0
	s_mul_i32 s6, s36, 12
	s_add_u32 s6, s34, s6
	s_addc_u32 s7, s35, 0
.LBB473_1129:                           ; =>This Inner Loop Header: Depth=1
	s_load_dwordx2 s[10:11], s[6:7], 0x4
	s_load_dword s9, s[6:7], 0xc
	s_load_dwordx2 s[12:13], s[4:5], 0x0
	v_mov_b32_e32 v8, v1
	s_add_u32 s6, s6, 12
	s_waitcnt lgkmcnt(0)
	v_mul_hi_u32 v1, s11, v5
	v_add_u32_e32 v1, v5, v1
	v_lshrrev_b32_e32 v1, s9, v1
	s_addc_u32 s7, s7, 0
	v_mul_lo_u32 v3, v1, s10
	s_add_u32 s4, s4, 8
	v_sub_u32_e32 v3, v5, v3
	s_addc_u32 s5, s5, 0
	s_add_i32 s8, s8, -1
	v_mad_u64_u32 v[10:11], s[10:11], v3, s13, v[8:9]
	s_cmp_lg_u32 s8, 0
	v_mov_b32_e32 v5, v1
	v_mad_u64_u32 v[2:3], s[10:11], v3, s12, v[2:3]
	v_mov_b32_e32 v1, v10
	s_cbranch_scc1 .LBB473_1129
.LBB473_1130:
	s_cbranch_execnz .LBB473_1133
.LBB473_1131:
	s_load_dwordx4 s[4:7], s[34:35], 0x4
	s_load_dwordx2 s[8:9], s[34:35], 0xc4
	s_cmp_lt_u32 s33, 2
	s_waitcnt vmcnt(0) lgkmcnt(0)
	v_mul_hi_u32 v1, s5, v0
	v_add_u32_e32 v1, v0, v1
	v_lshrrev_b32_e32 v1, s6, v1
	v_mul_lo_u32 v2, v1, s4
	v_sub_u32_e32 v0, v0, v2
	v_mul_lo_u32 v10, v0, s9
	v_mul_lo_u32 v2, v0, s8
	s_cbranch_scc1 .LBB473_1133
; %bb.1132:
	s_load_dwordx4 s[4:7], s[34:35], 0x10
	s_load_dwordx2 s[8:9], s[34:35], 0xcc
	s_waitcnt lgkmcnt(0)
	v_mul_hi_u32 v0, s5, v1
	v_add_u32_e32 v0, v1, v0
	v_lshrrev_b32_e32 v0, s6, v0
	v_mul_lo_u32 v0, v0, s4
	v_sub_u32_e32 v0, v1, v0
	v_mad_u64_u32 v[2:3], s[4:5], v0, s8, v[2:3]
	v_mad_u64_u32 v[10:11], s[4:5], v0, s9, v[10:11]
.LBB473_1133:
	s_and_b64 vcc, exec, s[2:3]
	s_cbranch_vccnz .LBB473_1139
; %bb.1134:
	s_cmp_lg_u32 s33, 0
	s_mov_b32 s30, 0
	s_cbranch_scc0 .LBB473_1140
; %bb.1135:
	s_min_u32 s31, s74, 15
	s_add_i32 s31, s31, 1
	s_cmp_eq_u32 s74, 2
	s_cbranch_scc1 .LBB473_1141
; %bb.1136:
	s_and_b32 s30, s31, 28
	s_add_u32 s2, s34, 0xc4
	s_addc_u32 s3, s35, 0
	s_mov_b32 s36, 0
	v_mov_b32_e32 v0, 0
	v_mov_b32_e32 v8, 0
	s_mov_b64 s[28:29], s[34:35]
	v_mov_b32_e32 v3, v16
.LBB473_1137:                           ; =>This Inner Loop Header: Depth=1
	s_load_dwordx8 s[12:19], s[28:29], 0x4
	s_load_dwordx4 s[20:23], s[28:29], 0x24
	s_load_dwordx8 s[4:11], s[2:3], 0x0
	s_add_u32 s28, s28, 48
	s_addc_u32 s29, s29, 0
	s_waitcnt vmcnt(0) lgkmcnt(0)
	v_mul_hi_u32 v1, s13, v3
	v_add_u32_e32 v1, v3, v1
	v_lshrrev_b32_e32 v1, s14, v1
	v_mul_lo_u32 v5, v1, s12
	v_mul_hi_u32 v7, s16, v1
	v_sub_u32_e32 v3, v3, v5
	v_add_u32_e32 v5, v1, v7
	v_lshrrev_b32_e32 v5, s17, v5
	v_mul_lo_u32 v9, v5, s15
	v_mul_hi_u32 v11, s19, v5
	v_sub_u32_e32 v1, v1, v9
	v_add_u32_e32 v9, v5, v11
	v_mul_lo_u32 v7, v3, s5
	v_mul_lo_u32 v3, v3, s4
	;; [unrolled: 1-line block ×4, first 2 shown]
	v_lshrrev_b32_e32 v9, s20, v9
	v_add3_u32 v0, v3, v0, v1
	v_add3_u32 v1, v7, v8, v11
	v_mul_lo_u32 v3, v9, s18
	v_mul_hi_u32 v7, s22, v9
	v_sub_u32_e32 v3, v5, v3
	v_add_u32_e32 v5, v9, v7
	v_mul_lo_u32 v7, v3, s8
	v_mul_lo_u32 v8, v3, s9
	v_lshrrev_b32_e32 v3, s23, v5
	s_add_i32 s36, s36, 4
	v_mul_lo_u32 v5, v3, s21
	s_add_u32 s2, s2, 32
	v_sub_u32_e32 v5, v9, v5
	s_addc_u32 s3, s3, 0
	v_mul_lo_u32 v9, v5, s10
	v_mul_lo_u32 v5, v5, s11
	s_cmp_lg_u32 s30, s36
	v_add3_u32 v8, v8, v1, v5
	v_add3_u32 v0, v7, v0, v9
	s_cbranch_scc1 .LBB473_1137
; %bb.1138:
	v_mov_b32_e32 v1, v8
	s_and_b32 s6, s31, 3
	s_cmp_eq_u32 s6, 0
	s_cbranch_scc0 .LBB473_1142
	s_branch .LBB473_1144
.LBB473_1139:
                                        ; implicit-def: $vgpr8
                                        ; implicit-def: $vgpr0
	s_branch .LBB473_1145
.LBB473_1140:
	v_mov_b32_e32 v8, 0
	v_mov_b32_e32 v0, 0
	s_branch .LBB473_1144
.LBB473_1141:
	v_mov_b32_e32 v0, 0
                                        ; implicit-def: $vgpr8
	s_waitcnt vmcnt(0)
	v_mov_b32_e32 v1, v0
	v_mov_b32_e32 v3, v16
	s_and_b32 s6, s31, 3
	s_cmp_eq_u32 s6, 0
	s_cbranch_scc1 .LBB473_1144
.LBB473_1142:
	s_lshl_b32 s2, s30, 3
	s_add_u32 s2, s34, s2
	s_addc_u32 s3, s35, 0
	s_add_u32 s2, s2, 0xc4
	s_addc_u32 s3, s3, 0
	s_mul_i32 s4, s30, 12
	s_add_u32 s4, s34, s4
	s_addc_u32 s5, s35, 0
.LBB473_1143:                           ; =>This Inner Loop Header: Depth=1
	s_load_dwordx2 s[8:9], s[4:5], 0x4
	s_load_dword s7, s[4:5], 0xc
	s_load_dwordx2 s[10:11], s[2:3], 0x0
	v_mov_b32_e32 v8, v1
	s_add_u32 s4, s4, 12
	s_waitcnt lgkmcnt(0)
	v_mul_hi_u32 v1, s9, v3
	v_add_u32_e32 v1, v3, v1
	v_lshrrev_b32_e32 v1, s7, v1
	s_addc_u32 s5, s5, 0
	v_mul_lo_u32 v5, v1, s8
	s_add_u32 s2, s2, 8
	v_sub_u32_e32 v5, v3, v5
	s_addc_u32 s3, s3, 0
	s_add_i32 s6, s6, -1
	v_mov_b32_e32 v3, v1
	v_mad_u64_u32 v[8:9], s[8:9], v5, s11, v[8:9]
	v_mad_u64_u32 v[0:1], s[8:9], v5, s10, v[0:1]
	s_cmp_lg_u32 s6, 0
	v_mov_b32_e32 v1, v8
	s_cbranch_scc1 .LBB473_1143
.LBB473_1144:
	s_cbranch_execnz .LBB473_1147
.LBB473_1145:
	s_load_dwordx4 s[4:7], s[34:35], 0x4
	s_load_dwordx2 s[2:3], s[34:35], 0xc4
	s_cmp_lt_u32 s33, 2
	s_waitcnt lgkmcnt(0)
	v_mul_hi_u32 v0, s5, v16
	v_add_u32_e32 v0, v16, v0
	s_waitcnt vmcnt(0)
	v_lshrrev_b32_e32 v1, s6, v0
	v_mul_lo_u32 v0, v1, s4
	v_sub_u32_e32 v0, v16, v0
	v_mul_lo_u32 v8, v0, s3
	v_mul_lo_u32 v0, v0, s2
	s_cbranch_scc1 .LBB473_1147
; %bb.1146:
	s_load_dwordx4 s[4:7], s[34:35], 0x10
	s_load_dwordx2 s[2:3], s[34:35], 0xcc
	s_waitcnt lgkmcnt(0)
	v_mul_hi_u32 v3, s5, v1
	v_add_u32_e32 v3, v1, v3
	v_lshrrev_b32_e32 v3, s6, v3
	v_mul_lo_u32 v3, v3, s4
	v_sub_u32_e32 v3, v1, v3
	v_mad_u64_u32 v[0:1], s[4:5], v3, s2, v[0:1]
	v_mad_u64_u32 v[8:9], s[2:3], v3, s3, v[8:9]
.LBB473_1147:
	s_load_dword s14, s[0:1], 0x164
	s_load_dwordx4 s[4:7], s[34:35], 0x148
	v_mov_b32_e32 v15, 0
	s_waitcnt lgkmcnt(0)
	s_bfe_u32 s15, s14, 0x80008
	s_cmp_lt_i32 s15, 11
	v_lshl_add_u64 v[14:15], s[6:7], 0, v[14:15]
	s_cbranch_scc1 .LBB473_1154
; %bb.1148:
	s_and_b32 s16, 0xffff, s15
	s_cmp_gt_i32 s16, 25
	s_mov_b64 s[8:9], 0
	s_cbranch_scc0 .LBB473_1156
; %bb.1149:
	s_cmp_gt_i32 s16, 28
	s_cbranch_scc0 .LBB473_1157
; %bb.1150:
	s_cmp_gt_i32 s16, 43
	;; [unrolled: 3-line block ×3, first 2 shown]
	s_cbranch_scc0 .LBB473_1159
; %bb.1152:
	s_cmp_eq_u32 s16, 46
	s_mov_b64 s[2:3], 0
	s_cbranch_scc0 .LBB473_1162
; %bb.1153:
	global_load_dword v1, v[14:15], off
	s_mov_b64 s[0:1], 0
	s_mov_b64 s[10:11], -1
	s_waitcnt vmcnt(0)
	v_lshlrev_b32_e32 v1, 16, v1
	s_branch .LBB473_1163
.LBB473_1154:
	s_mov_b64 s[10:11], 0
                                        ; implicit-def: $vgpr1
	s_mov_b64 s[2:3], s[24:25]
	s_cbranch_execnz .LBB473_1226
.LBB473_1155:
	s_andn2_b64 vcc, exec, s[10:11]
	s_cbranch_vccz .LBB473_1271
	s_branch .LBB473_2092
.LBB473_1156:
	s_mov_b64 s[10:11], 0
	s_mov_b64 s[0:1], 0
                                        ; implicit-def: $vgpr1
	s_cbranch_execnz .LBB473_1191
	s_branch .LBB473_1222
.LBB473_1157:
	s_mov_b64 s[2:3], -1
	s_mov_b64 s[10:11], 0
	s_mov_b64 s[0:1], 0
                                        ; implicit-def: $vgpr1
	s_branch .LBB473_1172
.LBB473_1158:
	s_mov_b64 s[10:11], 0
	s_mov_b64 s[0:1], 0
                                        ; implicit-def: $vgpr1
	s_cbranch_execnz .LBB473_1168
	s_branch .LBB473_1171
.LBB473_1159:
	s_mov_b64 s[2:3], -1
	s_mov_b64 s[10:11], 0
	s_mov_b64 s[0:1], 0
                                        ; implicit-def: $vgpr1
	s_branch .LBB473_1163
.LBB473_1160:
	s_andn2_saveexec_b64 s[12:13], s[12:13]
	s_cbranch_execz .LBB473_1003
.LBB473_1161:
	s_mov_b32 s14, 0x46000000
	v_add_f32_e64 v0, |v4|, s14
	v_and_b32_e32 v0, 0xff, v0
	v_cmp_ne_u32_e32 vcc, 0, v0
	s_andn2_b64 s[10:11], s[10:11], exec
	s_and_b64 s[14:15], vcc, exec
	s_or_b64 s[10:11], s[10:11], s[14:15]
	s_or_b64 exec, exec, s[12:13]
	v_mov_b32_e32 v1, 0
	s_and_saveexec_b64 s[12:13], s[10:11]
	s_cbranch_execnz .LBB473_1004
	s_branch .LBB473_1005
.LBB473_1162:
	s_mov_b64 s[0:1], -1
                                        ; implicit-def: $vgpr1
	s_mov_b64 s[10:11], 0
.LBB473_1163:
	s_and_b64 vcc, exec, s[2:3]
	s_cbranch_vccz .LBB473_1166
; %bb.1164:
	s_cmp_eq_u32 s16, 44
	s_cbranch_scc0 .LBB473_1167
; %bb.1165:
	global_load_ubyte v1, v[14:15], off
	s_movk_i32 s2, 0xff
	v_mov_b32_e32 v3, 0x7f800001
	v_mov_b32_e32 v5, 0x400000
	s_mov_b64 s[0:1], 0
	s_mov_b64 s[10:11], -1
	s_waitcnt vmcnt(0)
	v_lshlrev_b32_e32 v7, 23, v1
	v_cmp_ne_u32_e32 vcc, s2, v1
	s_nop 1
	v_cndmask_b32_e32 v3, v3, v7, vcc
	v_cmp_ne_u32_e32 vcc, 0, v1
	s_nop 1
	v_cndmask_b32_e32 v1, v5, v3, vcc
.LBB473_1166:
	s_branch .LBB473_1171
.LBB473_1167:
	s_mov_b64 s[0:1], -1
                                        ; implicit-def: $vgpr1
	s_branch .LBB473_1171
.LBB473_1168:
	s_cmp_eq_u32 s16, 29
	s_cbranch_scc0 .LBB473_1170
; %bb.1169:
	global_load_dwordx2 v[16:17], v[14:15], off
	s_mov_b64 s[0:1], 0
	s_mov_b64 s[10:11], -1
	s_mov_b64 s[2:3], 0
	s_waitcnt vmcnt(0)
	v_ffbh_u32_e32 v1, v17
	v_min_u32_e32 v1, 32, v1
	v_lshlrev_b64 v[16:17], v1, v[16:17]
	v_min_u32_e32 v3, 1, v16
	v_or_b32_e32 v3, v17, v3
	v_cvt_f32_u32_e32 v3, v3
	v_sub_u32_e32 v1, 32, v1
	v_ldexp_f32 v1, v3, v1
	s_branch .LBB473_1172
.LBB473_1170:
	s_mov_b64 s[0:1], -1
                                        ; implicit-def: $vgpr1
.LBB473_1171:
	s_mov_b64 s[2:3], 0
.LBB473_1172:
	s_and_b64 vcc, exec, s[2:3]
	s_cbranch_vccz .LBB473_1190
; %bb.1173:
	s_cmp_lt_i32 s16, 27
	s_cbranch_scc1 .LBB473_1176
; %bb.1174:
	s_cmp_gt_i32 s16, 27
	s_cbranch_scc0 .LBB473_1177
; %bb.1175:
	global_load_dword v1, v[14:15], off
	s_mov_b64 s[2:3], 0
	s_waitcnt vmcnt(0)
	v_cvt_f32_u32_e32 v1, v1
	s_branch .LBB473_1178
.LBB473_1176:
	s_mov_b64 s[2:3], -1
                                        ; implicit-def: $vgpr1
	s_branch .LBB473_1181
.LBB473_1177:
	s_mov_b64 s[2:3], -1
                                        ; implicit-def: $vgpr1
.LBB473_1178:
	s_andn2_b64 vcc, exec, s[2:3]
	s_cbranch_vccnz .LBB473_1180
; %bb.1179:
	global_load_ushort v1, v[14:15], off
	s_waitcnt vmcnt(0)
	v_cvt_f32_u32_e32 v1, v1
.LBB473_1180:
	s_mov_b64 s[2:3], 0
.LBB473_1181:
	s_andn2_b64 vcc, exec, s[2:3]
	s_cbranch_vccnz .LBB473_1189
; %bb.1182:
	global_load_ubyte v3, v[14:15], off
	s_movk_i32 s2, 0x7f
	s_waitcnt vmcnt(0)
	v_cmp_lt_i16_e32 vcc, s2, v3
	s_mov_b64 s[2:3], 0
	s_and_saveexec_b64 s[10:11], vcc
	s_xor_b64 s[10:11], exec, s[10:11]
	s_cbranch_execz .LBB473_1202
; %bb.1183:
	s_movk_i32 s2, 0x80
	v_cmp_eq_u16_e32 vcc, s2, v3
	s_mov_b64 s[2:3], -1
	s_and_saveexec_b64 s[12:13], vcc
; %bb.1184:
	s_xor_b64 s[2:3], exec, -1
; %bb.1185:
	s_or_b64 exec, exec, s[12:13]
	s_and_b64 s[2:3], s[2:3], exec
	s_or_saveexec_b64 s[10:11], s[10:11]
	v_mov_b32_e32 v1, 0x7f800001
	s_xor_b64 exec, exec, s[10:11]
	s_cbranch_execnz .LBB473_1203
.LBB473_1186:
	s_or_b64 exec, exec, s[10:11]
	s_and_saveexec_b64 s[10:11], s[2:3]
	s_cbranch_execz .LBB473_1188
.LBB473_1187:
	v_lshlrev_b32_e32 v1, 24, v3
	v_and_b32_e32 v3, 0xffff, v3
	v_and_b32_e32 v5, 7, v3
	v_ffbh_u32_e32 v9, v5
	v_min_u32_e32 v9, 32, v9
	v_subrev_u32_e32 v11, 28, v9
	v_bfe_u32 v7, v3, 3, 4
	v_lshlrev_b32_e32 v3, v11, v3
	v_sub_u32_e32 v9, 29, v9
	v_and_b32_e32 v3, 7, v3
	v_cmp_eq_u32_e32 vcc, 0, v7
	v_and_b32_e32 v1, 0x80000000, v1
	s_nop 0
	v_cndmask_b32_e32 v7, v7, v9, vcc
	v_cndmask_b32_e32 v3, v5, v3, vcc
	v_mov_b32_e32 v5, 0x3b800000
	v_lshlrev_b32_e32 v3, 20, v3
	v_lshl_add_u32 v5, v7, 23, v5
	v_or3_b32 v1, v1, v5, v3
.LBB473_1188:
	s_or_b64 exec, exec, s[10:11]
.LBB473_1189:
	s_mov_b64 s[10:11], -1
.LBB473_1190:
	s_branch .LBB473_1222
.LBB473_1191:
	s_cmp_gt_i32 s16, 22
	s_cbranch_scc0 .LBB473_1201
; %bb.1192:
	s_cmp_lt_i32 s16, 24
	s_cbranch_scc1 .LBB473_1204
; %bb.1193:
	s_cmp_gt_i32 s16, 24
	s_cbranch_scc0 .LBB473_1205
; %bb.1194:
	global_load_ubyte v3, v[14:15], off
	s_movk_i32 s2, 0x7f
	s_waitcnt vmcnt(0)
	v_cmp_lt_i16_e32 vcc, s2, v3
	s_mov_b64 s[2:3], 0
	s_and_saveexec_b64 s[8:9], vcc
	s_xor_b64 s[8:9], exec, s[8:9]
	s_cbranch_execz .LBB473_1216
; %bb.1195:
	s_movk_i32 s2, 0x80
	v_cmp_eq_u16_e32 vcc, s2, v3
	s_mov_b64 s[2:3], -1
	s_and_saveexec_b64 s[10:11], vcc
; %bb.1196:
	s_xor_b64 s[2:3], exec, -1
; %bb.1197:
	s_or_b64 exec, exec, s[10:11]
	s_and_b64 s[2:3], s[2:3], exec
	s_or_saveexec_b64 s[8:9], s[8:9]
	v_mov_b32_e32 v1, 0x7f800001
	s_xor_b64 exec, exec, s[8:9]
	s_cbranch_execnz .LBB473_1217
.LBB473_1198:
	s_or_b64 exec, exec, s[8:9]
	s_and_saveexec_b64 s[8:9], s[2:3]
	s_cbranch_execz .LBB473_1200
.LBB473_1199:
	v_lshlrev_b32_e32 v1, 24, v3
	v_and_b32_e32 v3, 0xffff, v3
	v_and_b32_e32 v5, 3, v3
	v_ffbh_u32_e32 v9, v5
	v_min_u32_e32 v9, 32, v9
	v_subrev_u32_e32 v11, 29, v9
	v_bfe_u32 v7, v3, 2, 5
	v_lshlrev_b32_e32 v3, v11, v3
	v_sub_u32_e32 v9, 30, v9
	v_and_b32_e32 v3, 3, v3
	v_cmp_eq_u32_e32 vcc, 0, v7
	v_and_b32_e32 v1, 0x80000000, v1
	s_nop 0
	v_cndmask_b32_e32 v7, v7, v9, vcc
	v_cndmask_b32_e32 v3, v5, v3, vcc
	v_mov_b32_e32 v5, 0x37800000
	v_lshlrev_b32_e32 v3, 21, v3
	v_lshl_add_u32 v5, v7, 23, v5
	v_or3_b32 v1, v1, v5, v3
.LBB473_1200:
	s_or_b64 exec, exec, s[8:9]
	s_mov_b64 s[2:3], 0
	s_branch .LBB473_1206
.LBB473_1201:
                                        ; implicit-def: $vgpr1
	s_mov_b64 s[8:9], 0
	s_branch .LBB473_1212
.LBB473_1202:
	s_or_saveexec_b64 s[10:11], s[10:11]
	v_mov_b32_e32 v1, 0x7f800001
	s_xor_b64 exec, exec, s[10:11]
	s_cbranch_execz .LBB473_1186
.LBB473_1203:
	v_cmp_ne_u16_e32 vcc, 0, v3
	s_andn2_b64 s[2:3], s[2:3], exec
	s_and_b64 s[12:13], vcc, exec
	v_mov_b32_e32 v1, 0
	s_or_b64 s[2:3], s[2:3], s[12:13]
	s_or_b64 exec, exec, s[10:11]
	s_and_saveexec_b64 s[10:11], s[2:3]
	s_cbranch_execnz .LBB473_1187
	s_branch .LBB473_1188
.LBB473_1204:
	s_mov_b64 s[2:3], -1
                                        ; implicit-def: $vgpr1
	s_branch .LBB473_1209
.LBB473_1205:
	s_mov_b64 s[2:3], -1
                                        ; implicit-def: $vgpr1
.LBB473_1206:
	s_and_b64 vcc, exec, s[2:3]
	s_cbranch_vccz .LBB473_1208
; %bb.1207:
	global_load_ubyte v1, v[14:15], off
	s_mov_b32 s2, 0x7f800000
	s_waitcnt vmcnt(0)
	v_lshlrev_b32_e32 v1, 24, v1
	v_and_b32_e32 v3, 0x7f000000, v1
	v_ffbh_u32_e32 v5, v3
	v_min_u32_e32 v5, 32, v5
	v_sub_u32_e64 v5, v5, 4 clamp
	v_lshlrev_b32_e32 v9, v5, v3
	v_lshlrev_b32_e32 v5, 23, v5
	v_lshrrev_b32_e32 v9, 4, v9
	v_add_u32_e32 v7, 0x1000000, v3
	v_sub_u32_e32 v5, v9, v5
	v_ashrrev_i32_e32 v7, 8, v7
	v_add_u32_e32 v5, 0x3c000000, v5
	v_and_or_b32 v5, v7, s2, v5
	v_cmp_ne_u32_e32 vcc, 0, v3
	s_brev_b32 s2, 1
	s_nop 0
	v_cndmask_b32_e32 v3, 0, v5, vcc
	v_and_or_b32 v1, v1, s2, v3
.LBB473_1208:
	s_mov_b64 s[2:3], 0
.LBB473_1209:
	s_andn2_b64 vcc, exec, s[2:3]
	s_cbranch_vccnz .LBB473_1211
; %bb.1210:
	global_load_ubyte v1, v[14:15], off
	s_movk_i32 s2, 0x7f00
	s_brev_b32 s3, 16
	s_waitcnt vmcnt(0)
	v_lshlrev_b16_e32 v3, 8, v1
	v_lshlrev_b32_e32 v1, 25, v1
	v_lshrrev_b32_e32 v5, 4, v1
	v_and_or_b32 v7, v3, s2, 0.5
	v_or_b32_e32 v5, 0x70000000, v5
	v_add_f32_e32 v7, -0.5, v7
	v_mul_f32_e32 v5, 0x7800000, v5
	v_cmp_gt_u32_e32 vcc, s3, v1
	v_bfe_i32 v3, v3, 0, 16
	s_brev_b32 s2, 1
	v_cndmask_b32_e32 v1, v5, v7, vcc
	v_and_or_b32 v1, v3, s2, v1
.LBB473_1211:
	s_mov_b64 s[10:11], -1
	s_mov_b64 s[8:9], 0
	s_cbranch_execnz .LBB473_1222
.LBB473_1212:
	s_cmp_gt_i32 s16, 14
	s_cbranch_scc0 .LBB473_1215
; %bb.1213:
	s_cmp_eq_u32 s16, 15
	s_cbranch_scc0 .LBB473_1218
; %bb.1214:
	global_load_ushort v1, v[14:15], off
	s_mov_b64 s[0:1], 0
	s_mov_b64 s[10:11], -1
	s_waitcnt vmcnt(0)
	v_lshlrev_b32_e32 v1, 16, v1
	s_branch .LBB473_1219
.LBB473_1215:
	s_mov_b64 s[2:3], -1
                                        ; implicit-def: $vgpr1
	s_branch .LBB473_1220
.LBB473_1216:
	s_or_saveexec_b64 s[8:9], s[8:9]
	v_mov_b32_e32 v1, 0x7f800001
	s_xor_b64 exec, exec, s[8:9]
	s_cbranch_execz .LBB473_1198
.LBB473_1217:
	v_cmp_ne_u16_e32 vcc, 0, v3
	s_andn2_b64 s[2:3], s[2:3], exec
	s_and_b64 s[10:11], vcc, exec
	v_mov_b32_e32 v1, 0
	s_or_b64 s[2:3], s[2:3], s[10:11]
	s_or_b64 exec, exec, s[8:9]
	s_and_saveexec_b64 s[8:9], s[2:3]
	s_cbranch_execnz .LBB473_1199
	s_branch .LBB473_1200
.LBB473_1218:
	s_mov_b64 s[0:1], -1
                                        ; implicit-def: $vgpr1
.LBB473_1219:
	s_mov_b64 s[2:3], 0
.LBB473_1220:
	s_and_b64 vcc, exec, s[2:3]
	s_cbranch_vccz .LBB473_1222
; %bb.1221:
	s_cmp_lg_u32 s16, 11
	s_mov_b64 s[8:9], -1
	s_cselect_b64 s[0:1], -1, 0
.LBB473_1222:
	s_and_b64 vcc, exec, s[0:1]
	s_mov_b64 s[2:3], s[24:25]
	s_cbranch_vccnz .LBB473_1283
; %bb.1223:
	s_andn2_b64 vcc, exec, s[8:9]
	s_cbranch_vccnz .LBB473_1225
.LBB473_1224:
	global_load_ubyte v1, v[14:15], off
	s_mov_b64 s[10:11], -1
	s_waitcnt vmcnt(0)
	v_cmp_ne_u16_e32 vcc, 0, v1
	s_nop 1
	v_cndmask_b32_e64 v1, 0, 1.0, vcc
.LBB473_1225:
	s_branch .LBB473_1155
.LBB473_1226:
	s_and_b32 s8, 0xffff, s15
	s_cmp_lt_i32 s8, 5
	s_cbranch_scc1 .LBB473_1231
; %bb.1227:
	s_cmp_lt_i32 s8, 8
	s_cbranch_scc1 .LBB473_1232
; %bb.1228:
	;; [unrolled: 3-line block ×3, first 2 shown]
	s_cmp_gt_i32 s8, 9
	s_cbranch_scc0 .LBB473_1234
; %bb.1230:
	global_load_dwordx2 v[16:17], v[14:15], off
	s_mov_b64 s[0:1], 0
	s_waitcnt vmcnt(0)
	v_cvt_f32_f64_e32 v1, v[16:17]
	s_branch .LBB473_1235
.LBB473_1231:
                                        ; implicit-def: $vgpr1
	s_branch .LBB473_1252
.LBB473_1232:
                                        ; implicit-def: $vgpr1
	s_branch .LBB473_1241
.LBB473_1233:
	s_mov_b64 s[0:1], -1
                                        ; implicit-def: $vgpr1
	s_branch .LBB473_1238
.LBB473_1234:
	s_mov_b64 s[0:1], -1
                                        ; implicit-def: $vgpr1
.LBB473_1235:
	s_andn2_b64 vcc, exec, s[0:1]
	s_cbranch_vccnz .LBB473_1237
; %bb.1236:
	global_load_dword v1, v[14:15], off
.LBB473_1237:
	s_mov_b64 s[0:1], 0
.LBB473_1238:
	s_andn2_b64 vcc, exec, s[0:1]
	s_cbranch_vccnz .LBB473_1240
; %bb.1239:
	global_load_dword v1, v[14:15], off
	s_waitcnt vmcnt(0)
	v_cvt_f32_f16_e32 v1, v1
.LBB473_1240:
	s_cbranch_execnz .LBB473_1251
.LBB473_1241:
	s_cmp_lt_i32 s8, 6
	s_cbranch_scc1 .LBB473_1244
; %bb.1242:
	s_cmp_gt_i32 s8, 6
	s_cbranch_scc0 .LBB473_1245
; %bb.1243:
	global_load_dwordx2 v[16:17], v[14:15], off
	s_mov_b64 s[0:1], 0
	s_waitcnt vmcnt(0)
	v_cvt_f32_f64_e32 v1, v[16:17]
	s_branch .LBB473_1246
.LBB473_1244:
	s_mov_b64 s[0:1], -1
                                        ; implicit-def: $vgpr1
	s_branch .LBB473_1249
.LBB473_1245:
	s_mov_b64 s[0:1], -1
                                        ; implicit-def: $vgpr1
.LBB473_1246:
	s_andn2_b64 vcc, exec, s[0:1]
	s_cbranch_vccnz .LBB473_1248
; %bb.1247:
	global_load_dword v1, v[14:15], off
.LBB473_1248:
	s_mov_b64 s[0:1], 0
.LBB473_1249:
	s_andn2_b64 vcc, exec, s[0:1]
	s_cbranch_vccnz .LBB473_1251
; %bb.1250:
	global_load_ushort v1, v[14:15], off
	s_waitcnt vmcnt(0)
	v_cvt_f32_f16_e32 v1, v1
.LBB473_1251:
	s_cbranch_execnz .LBB473_1270
.LBB473_1252:
	s_cmp_lt_i32 s8, 2
	s_cbranch_scc1 .LBB473_1256
; %bb.1253:
	s_cmp_lt_i32 s8, 3
	s_cbranch_scc1 .LBB473_1257
; %bb.1254:
	s_cmp_gt_i32 s8, 3
	s_cbranch_scc0 .LBB473_1258
; %bb.1255:
	global_load_dwordx2 v[16:17], v[14:15], off
	s_mov_b64 s[0:1], 0
	s_waitcnt vmcnt(0)
	v_xor_b32_e32 v3, v16, v17
	v_ffbh_i32_e32 v1, v17
	v_ashrrev_i32_e32 v3, 31, v3
	v_add_u32_e32 v1, -1, v1
	v_add_u32_e32 v3, 32, v3
	v_min_u32_e32 v1, v1, v3
	v_lshlrev_b64 v[16:17], v1, v[16:17]
	v_min_u32_e32 v3, 1, v16
	v_or_b32_e32 v3, v17, v3
	v_cvt_f32_i32_e32 v3, v3
	v_sub_u32_e32 v1, 32, v1
	v_ldexp_f32 v1, v3, v1
	s_branch .LBB473_1259
.LBB473_1256:
                                        ; implicit-def: $vgpr1
	s_branch .LBB473_1265
.LBB473_1257:
	s_mov_b64 s[0:1], -1
                                        ; implicit-def: $vgpr1
	s_branch .LBB473_1262
.LBB473_1258:
	s_mov_b64 s[0:1], -1
                                        ; implicit-def: $vgpr1
.LBB473_1259:
	s_andn2_b64 vcc, exec, s[0:1]
	s_cbranch_vccnz .LBB473_1261
; %bb.1260:
	global_load_dword v1, v[14:15], off
	s_waitcnt vmcnt(0)
	v_cvt_f32_i32_e32 v1, v1
.LBB473_1261:
	s_mov_b64 s[0:1], 0
.LBB473_1262:
	s_andn2_b64 vcc, exec, s[0:1]
	s_cbranch_vccnz .LBB473_1264
; %bb.1263:
	global_load_sshort v1, v[14:15], off
	s_waitcnt vmcnt(0)
	v_cvt_f32_i32_e32 v1, v1
.LBB473_1264:
	s_cbranch_execnz .LBB473_1270
.LBB473_1265:
	s_cmp_gt_i32 s8, 0
	s_cbranch_scc0 .LBB473_1267
; %bb.1266:
	global_load_sbyte v1, v[14:15], off
	s_mov_b64 s[0:1], 0
	s_waitcnt vmcnt(0)
	v_cvt_f32_i32_e32 v1, v1
	s_branch .LBB473_1268
.LBB473_1267:
	s_mov_b64 s[0:1], -1
                                        ; implicit-def: $vgpr1
.LBB473_1268:
	s_andn2_b64 vcc, exec, s[0:1]
	s_cbranch_vccnz .LBB473_1270
; %bb.1269:
	global_load_ubyte v1, v[14:15], off
	s_waitcnt vmcnt(0)
	v_cvt_f32_ubyte0_e32 v1, v1
.LBB473_1270:
.LBB473_1271:
	s_lshr_b32 s0, s14, 8
	v_mov_b32_e32 v13, 0
	s_and_b32 s16, s0, 0xff
	s_cmp_lt_i32 s16, 11
	v_lshl_add_u64 v[12:13], s[6:7], 0, v[12:13]
	s_cbranch_scc1 .LBB473_1278
; %bb.1272:
	s_and_b32 s17, 0xffff, s16
	s_cmp_gt_i32 s17, 25
	s_mov_b64 s[8:9], 0
	s_cbranch_scc0 .LBB473_1280
; %bb.1273:
	s_cmp_gt_i32 s17, 28
	s_cbranch_scc0 .LBB473_1281
; %bb.1274:
	s_cmp_gt_i32 s17, 43
	;; [unrolled: 3-line block ×3, first 2 shown]
	s_cbranch_scc0 .LBB473_1284
; %bb.1276:
	s_cmp_eq_u32 s17, 46
	s_mov_b64 s[12:13], 0
	s_cbranch_scc0 .LBB473_1287
; %bb.1277:
	global_load_dword v3, v[12:13], off
	s_mov_b64 s[0:1], 0
	s_mov_b64 s[10:11], -1
	s_waitcnt vmcnt(0)
	v_lshlrev_b32_e32 v3, 16, v3
	s_branch .LBB473_1288
.LBB473_1278:
	s_mov_b64 s[10:11], 0
                                        ; implicit-def: $vgpr3
	s_cbranch_execnz .LBB473_1353
.LBB473_1279:
	s_andn2_b64 vcc, exec, s[10:11]
	s_cbranch_vccnz .LBB473_2092
	s_branch .LBB473_1400
.LBB473_1280:
	s_mov_b64 s[10:11], 0
	s_mov_b64 s[0:1], 0
                                        ; implicit-def: $vgpr3
	s_cbranch_execnz .LBB473_1317
	s_branch .LBB473_1349
.LBB473_1281:
	s_mov_b64 s[12:13], -1
	s_mov_b64 s[10:11], 0
	s_mov_b64 s[0:1], 0
                                        ; implicit-def: $vgpr3
	s_branch .LBB473_1298
.LBB473_1282:
	s_mov_b64 s[12:13], -1
	s_mov_b64 s[10:11], 0
	s_mov_b64 s[0:1], 0
                                        ; implicit-def: $vgpr3
	s_branch .LBB473_1293
.LBB473_1283:
	s_or_b64 s[2:3], s[24:25], exec
	s_trap 2
	s_cbranch_execz .LBB473_1224
	s_branch .LBB473_1225
.LBB473_1284:
	s_mov_b64 s[12:13], -1
	s_mov_b64 s[10:11], 0
	s_mov_b64 s[0:1], 0
                                        ; implicit-def: $vgpr3
	s_branch .LBB473_1288
.LBB473_1285:
	s_andn2_saveexec_b64 s[14:15], s[14:15]
	s_cbranch_execz .LBB473_1015
.LBB473_1286:
	s_mov_b32 s18, 0x42800000
	v_add_f32_e64 v0, |v4|, s18
	v_and_b32_e32 v0, 0xff, v0
	v_cmp_ne_u32_e32 vcc, 0, v0
	s_andn2_b64 s[12:13], s[12:13], exec
	s_and_b64 s[18:19], vcc, exec
	s_or_b64 s[12:13], s[12:13], s[18:19]
	s_or_b64 exec, exec, s[14:15]
	v_mov_b32_e32 v1, 0
	s_and_saveexec_b64 s[14:15], s[12:13]
	s_cbranch_execnz .LBB473_1016
	s_branch .LBB473_1017
.LBB473_1287:
	s_mov_b64 s[0:1], -1
                                        ; implicit-def: $vgpr3
	s_mov_b64 s[10:11], 0
.LBB473_1288:
	s_and_b64 vcc, exec, s[12:13]
	s_cbranch_vccz .LBB473_1292
; %bb.1289:
	s_cmp_eq_u32 s17, 44
	s_cbranch_scc0 .LBB473_1291
; %bb.1290:
	global_load_ubyte v3, v[12:13], off
	s_movk_i32 s10, 0xff
	v_mov_b32_e32 v5, 0x7f800001
	v_mov_b32_e32 v7, 0x400000
	s_mov_b64 s[0:1], 0
	s_waitcnt vmcnt(0)
	v_lshlrev_b32_e32 v9, 23, v3
	v_cmp_ne_u32_e32 vcc, s10, v3
	s_mov_b64 s[10:11], -1
	s_nop 0
	v_cndmask_b32_e32 v5, v5, v9, vcc
	v_cmp_ne_u32_e32 vcc, 0, v3
	s_nop 1
	v_cndmask_b32_e32 v3, v7, v5, vcc
	s_branch .LBB473_1292
.LBB473_1291:
	s_mov_b64 s[0:1], -1
                                        ; implicit-def: $vgpr3
.LBB473_1292:
	s_mov_b64 s[12:13], 0
.LBB473_1293:
	s_and_b64 vcc, exec, s[12:13]
	s_cbranch_vccz .LBB473_1297
; %bb.1294:
	s_cmp_eq_u32 s17, 29
	s_cbranch_scc0 .LBB473_1296
; %bb.1295:
	global_load_dwordx2 v[14:15], v[12:13], off
	s_mov_b64 s[0:1], 0
	s_mov_b64 s[10:11], -1
	s_mov_b64 s[12:13], 0
	s_waitcnt vmcnt(0)
	v_ffbh_u32_e32 v3, v15
	v_min_u32_e32 v3, 32, v3
	v_lshlrev_b64 v[14:15], v3, v[14:15]
	v_min_u32_e32 v5, 1, v14
	v_or_b32_e32 v5, v15, v5
	v_cvt_f32_u32_e32 v5, v5
	v_sub_u32_e32 v3, 32, v3
	v_ldexp_f32 v3, v5, v3
	s_branch .LBB473_1298
.LBB473_1296:
	s_mov_b64 s[0:1], -1
                                        ; implicit-def: $vgpr3
.LBB473_1297:
	s_mov_b64 s[12:13], 0
.LBB473_1298:
	s_and_b64 vcc, exec, s[12:13]
	s_cbranch_vccz .LBB473_1316
; %bb.1299:
	s_cmp_lt_i32 s17, 27
	s_cbranch_scc1 .LBB473_1302
; %bb.1300:
	s_cmp_gt_i32 s17, 27
	s_cbranch_scc0 .LBB473_1303
; %bb.1301:
	global_load_dword v3, v[12:13], off
	s_mov_b64 s[10:11], 0
	s_waitcnt vmcnt(0)
	v_cvt_f32_u32_e32 v3, v3
	s_branch .LBB473_1304
.LBB473_1302:
	s_mov_b64 s[10:11], -1
                                        ; implicit-def: $vgpr3
	s_branch .LBB473_1307
.LBB473_1303:
	s_mov_b64 s[10:11], -1
                                        ; implicit-def: $vgpr3
.LBB473_1304:
	s_andn2_b64 vcc, exec, s[10:11]
	s_cbranch_vccnz .LBB473_1306
; %bb.1305:
	global_load_ushort v3, v[12:13], off
	s_waitcnt vmcnt(0)
	v_cvt_f32_u32_e32 v3, v3
.LBB473_1306:
	s_mov_b64 s[10:11], 0
.LBB473_1307:
	s_andn2_b64 vcc, exec, s[10:11]
	s_cbranch_vccnz .LBB473_1315
; %bb.1308:
	global_load_ubyte v5, v[12:13], off
	s_movk_i32 s10, 0x7f
	s_waitcnt vmcnt(0)
	v_cmp_lt_i16_e32 vcc, s10, v5
	s_mov_b64 s[10:11], 0
	s_and_saveexec_b64 s[12:13], vcc
	s_xor_b64 s[12:13], exec, s[12:13]
	s_cbranch_execz .LBB473_1328
; %bb.1309:
	s_movk_i32 s10, 0x80
	v_cmp_eq_u16_e32 vcc, s10, v5
	s_mov_b64 s[10:11], -1
	s_and_saveexec_b64 s[14:15], vcc
; %bb.1310:
	s_xor_b64 s[10:11], exec, -1
; %bb.1311:
	s_or_b64 exec, exec, s[14:15]
	s_and_b64 s[10:11], s[10:11], exec
	s_or_saveexec_b64 s[12:13], s[12:13]
	v_mov_b32_e32 v3, 0x7f800001
	s_xor_b64 exec, exec, s[12:13]
	s_cbranch_execnz .LBB473_1329
.LBB473_1312:
	s_or_b64 exec, exec, s[12:13]
	s_and_saveexec_b64 s[12:13], s[10:11]
	s_cbranch_execz .LBB473_1314
.LBB473_1313:
	v_lshlrev_b32_e32 v3, 24, v5
	v_and_b32_e32 v5, 0xffff, v5
	v_and_b32_e32 v7, 7, v5
	v_ffbh_u32_e32 v11, v7
	v_min_u32_e32 v11, 32, v11
	v_subrev_u32_e32 v14, 28, v11
	v_bfe_u32 v9, v5, 3, 4
	v_lshlrev_b32_e32 v5, v14, v5
	v_sub_u32_e32 v11, 29, v11
	v_and_b32_e32 v5, 7, v5
	v_cmp_eq_u32_e32 vcc, 0, v9
	v_and_b32_e32 v3, 0x80000000, v3
	s_nop 0
	v_cndmask_b32_e32 v9, v9, v11, vcc
	v_cndmask_b32_e32 v5, v7, v5, vcc
	v_mov_b32_e32 v7, 0x3b800000
	v_lshlrev_b32_e32 v5, 20, v5
	v_lshl_add_u32 v7, v9, 23, v7
	v_or3_b32 v3, v3, v7, v5
.LBB473_1314:
	s_or_b64 exec, exec, s[12:13]
.LBB473_1315:
	s_mov_b64 s[10:11], -1
.LBB473_1316:
	s_branch .LBB473_1349
.LBB473_1317:
	s_cmp_gt_i32 s17, 22
	s_cbranch_scc0 .LBB473_1327
; %bb.1318:
	s_cmp_lt_i32 s17, 24
	s_cbranch_scc1 .LBB473_1330
; %bb.1319:
	s_cmp_gt_i32 s17, 24
	s_cbranch_scc0 .LBB473_1331
; %bb.1320:
	global_load_ubyte v5, v[12:13], off
	s_movk_i32 s8, 0x7f
	s_waitcnt vmcnt(0)
	v_cmp_lt_i16_e32 vcc, s8, v5
	s_mov_b64 s[8:9], 0
	s_and_saveexec_b64 s[10:11], vcc
	s_xor_b64 s[10:11], exec, s[10:11]
	s_cbranch_execz .LBB473_1343
; %bb.1321:
	s_movk_i32 s8, 0x80
	v_cmp_eq_u16_e32 vcc, s8, v5
	s_mov_b64 s[8:9], -1
	s_and_saveexec_b64 s[12:13], vcc
; %bb.1322:
	s_xor_b64 s[8:9], exec, -1
; %bb.1323:
	s_or_b64 exec, exec, s[12:13]
	s_and_b64 s[8:9], s[8:9], exec
	s_or_saveexec_b64 s[10:11], s[10:11]
	v_mov_b32_e32 v3, 0x7f800001
	s_xor_b64 exec, exec, s[10:11]
	s_cbranch_execnz .LBB473_1344
.LBB473_1324:
	s_or_b64 exec, exec, s[10:11]
	s_and_saveexec_b64 s[10:11], s[8:9]
	s_cbranch_execz .LBB473_1326
.LBB473_1325:
	v_lshlrev_b32_e32 v3, 24, v5
	v_and_b32_e32 v5, 0xffff, v5
	v_and_b32_e32 v7, 3, v5
	v_ffbh_u32_e32 v11, v7
	v_min_u32_e32 v11, 32, v11
	v_subrev_u32_e32 v14, 29, v11
	v_bfe_u32 v9, v5, 2, 5
	v_lshlrev_b32_e32 v5, v14, v5
	v_sub_u32_e32 v11, 30, v11
	v_and_b32_e32 v5, 3, v5
	v_cmp_eq_u32_e32 vcc, 0, v9
	v_and_b32_e32 v3, 0x80000000, v3
	s_nop 0
	v_cndmask_b32_e32 v9, v9, v11, vcc
	v_cndmask_b32_e32 v5, v7, v5, vcc
	v_mov_b32_e32 v7, 0x37800000
	v_lshlrev_b32_e32 v5, 21, v5
	v_lshl_add_u32 v7, v9, 23, v7
	v_or3_b32 v3, v3, v7, v5
.LBB473_1326:
	s_or_b64 exec, exec, s[10:11]
	s_mov_b64 s[8:9], 0
	s_branch .LBB473_1332
.LBB473_1327:
	s_mov_b64 s[8:9], -1
                                        ; implicit-def: $vgpr3
	s_branch .LBB473_1338
.LBB473_1328:
	s_or_saveexec_b64 s[12:13], s[12:13]
	v_mov_b32_e32 v3, 0x7f800001
	s_xor_b64 exec, exec, s[12:13]
	s_cbranch_execz .LBB473_1312
.LBB473_1329:
	v_cmp_ne_u16_e32 vcc, 0, v5
	s_andn2_b64 s[10:11], s[10:11], exec
	s_and_b64 s[14:15], vcc, exec
	v_mov_b32_e32 v3, 0
	s_or_b64 s[10:11], s[10:11], s[14:15]
	s_or_b64 exec, exec, s[12:13]
	s_and_saveexec_b64 s[12:13], s[10:11]
	s_cbranch_execnz .LBB473_1313
	s_branch .LBB473_1314
.LBB473_1330:
	s_mov_b64 s[8:9], -1
                                        ; implicit-def: $vgpr3
	s_branch .LBB473_1335
.LBB473_1331:
	s_mov_b64 s[8:9], -1
                                        ; implicit-def: $vgpr3
.LBB473_1332:
	s_and_b64 vcc, exec, s[8:9]
	s_cbranch_vccz .LBB473_1334
; %bb.1333:
	global_load_ubyte v3, v[12:13], off
	s_mov_b32 s8, 0x7f800000
	s_waitcnt vmcnt(0)
	v_lshlrev_b32_e32 v3, 24, v3
	v_and_b32_e32 v5, 0x7f000000, v3
	v_ffbh_u32_e32 v7, v5
	v_min_u32_e32 v7, 32, v7
	v_sub_u32_e64 v7, v7, 4 clamp
	v_lshlrev_b32_e32 v11, v7, v5
	v_lshlrev_b32_e32 v7, 23, v7
	v_lshrrev_b32_e32 v11, 4, v11
	v_add_u32_e32 v9, 0x1000000, v5
	v_sub_u32_e32 v7, v11, v7
	v_ashrrev_i32_e32 v9, 8, v9
	v_add_u32_e32 v7, 0x3c000000, v7
	v_and_or_b32 v7, v9, s8, v7
	v_cmp_ne_u32_e32 vcc, 0, v5
	s_brev_b32 s8, 1
	s_nop 0
	v_cndmask_b32_e32 v5, 0, v7, vcc
	v_and_or_b32 v3, v3, s8, v5
.LBB473_1334:
	s_mov_b64 s[8:9], 0
.LBB473_1335:
	s_andn2_b64 vcc, exec, s[8:9]
	s_cbranch_vccnz .LBB473_1337
; %bb.1336:
	global_load_ubyte v3, v[12:13], off
	s_movk_i32 s8, 0x7f00
	s_brev_b32 s9, 16
	s_waitcnt vmcnt(0)
	v_lshlrev_b16_e32 v5, 8, v3
	v_lshlrev_b32_e32 v3, 25, v3
	v_lshrrev_b32_e32 v7, 4, v3
	v_and_or_b32 v9, v5, s8, 0.5
	v_or_b32_e32 v7, 0x70000000, v7
	v_add_f32_e32 v9, -0.5, v9
	v_mul_f32_e32 v7, 0x7800000, v7
	v_cmp_gt_u32_e32 vcc, s9, v3
	v_bfe_i32 v5, v5, 0, 16
	s_brev_b32 s8, 1
	v_cndmask_b32_e32 v3, v7, v9, vcc
	v_and_or_b32 v3, v5, s8, v3
.LBB473_1337:
	s_mov_b64 s[8:9], 0
	s_mov_b64 s[10:11], -1
.LBB473_1338:
	s_andn2_b64 vcc, exec, s[8:9]
	s_mov_b64 s[8:9], 0
	s_cbranch_vccnz .LBB473_1349
; %bb.1339:
	s_cmp_gt_i32 s17, 14
	s_cbranch_scc0 .LBB473_1342
; %bb.1340:
	s_cmp_eq_u32 s17, 15
	s_cbranch_scc0 .LBB473_1345
; %bb.1341:
	global_load_ushort v3, v[12:13], off
	s_mov_b64 s[0:1], 0
	s_mov_b64 s[10:11], -1
	s_waitcnt vmcnt(0)
	v_lshlrev_b32_e32 v3, 16, v3
	s_branch .LBB473_1346
.LBB473_1342:
	s_mov_b64 s[12:13], -1
                                        ; implicit-def: $vgpr3
	s_branch .LBB473_1347
.LBB473_1343:
	s_or_saveexec_b64 s[10:11], s[10:11]
	v_mov_b32_e32 v3, 0x7f800001
	s_xor_b64 exec, exec, s[10:11]
	s_cbranch_execz .LBB473_1324
.LBB473_1344:
	v_cmp_ne_u16_e32 vcc, 0, v5
	s_andn2_b64 s[8:9], s[8:9], exec
	s_and_b64 s[12:13], vcc, exec
	v_mov_b32_e32 v3, 0
	s_or_b64 s[8:9], s[8:9], s[12:13]
	s_or_b64 exec, exec, s[10:11]
	s_and_saveexec_b64 s[10:11], s[8:9]
	s_cbranch_execnz .LBB473_1325
	s_branch .LBB473_1326
.LBB473_1345:
	s_mov_b64 s[0:1], -1
                                        ; implicit-def: $vgpr3
.LBB473_1346:
	s_mov_b64 s[12:13], 0
.LBB473_1347:
	s_and_b64 vcc, exec, s[12:13]
	s_cbranch_vccz .LBB473_1349
; %bb.1348:
	s_cmp_lg_u32 s17, 11
	s_mov_b64 s[8:9], -1
	s_cselect_b64 s[0:1], -1, 0
.LBB473_1349:
	s_and_b64 vcc, exec, s[0:1]
	s_cbranch_vccnz .LBB473_1412
; %bb.1350:
	s_andn2_b64 vcc, exec, s[8:9]
	s_cbranch_vccnz .LBB473_1352
.LBB473_1351:
	global_load_ubyte v3, v[12:13], off
	s_mov_b64 s[10:11], -1
	s_waitcnt vmcnt(0)
	v_cmp_ne_u16_e32 vcc, 0, v3
	s_nop 1
	v_cndmask_b32_e64 v3, 0, 1.0, vcc
.LBB473_1352:
	s_branch .LBB473_1279
.LBB473_1353:
	s_and_b32 s8, 0xffff, s16
	s_cmp_lt_i32 s8, 5
	s_cbranch_scc1 .LBB473_1358
; %bb.1354:
	s_cmp_lt_i32 s8, 8
	s_cbranch_scc1 .LBB473_1359
; %bb.1355:
	;; [unrolled: 3-line block ×3, first 2 shown]
	s_cmp_gt_i32 s8, 9
	s_cbranch_scc0 .LBB473_1361
; %bb.1357:
	global_load_dwordx2 v[14:15], v[12:13], off
	s_mov_b64 s[0:1], 0
	s_waitcnt vmcnt(0)
	v_cvt_f32_f64_e32 v3, v[14:15]
	s_branch .LBB473_1362
.LBB473_1358:
                                        ; implicit-def: $vgpr3
	s_branch .LBB473_1380
.LBB473_1359:
	s_mov_b64 s[0:1], -1
                                        ; implicit-def: $vgpr3
	s_branch .LBB473_1368
.LBB473_1360:
	s_mov_b64 s[0:1], -1
                                        ; implicit-def: $vgpr3
	s_branch .LBB473_1365
.LBB473_1361:
	s_mov_b64 s[0:1], -1
                                        ; implicit-def: $vgpr3
.LBB473_1362:
	s_andn2_b64 vcc, exec, s[0:1]
	s_cbranch_vccnz .LBB473_1364
; %bb.1363:
	global_load_dword v3, v[12:13], off
.LBB473_1364:
	s_mov_b64 s[0:1], 0
.LBB473_1365:
	s_andn2_b64 vcc, exec, s[0:1]
	s_cbranch_vccnz .LBB473_1367
; %bb.1366:
	global_load_dword v3, v[12:13], off
	s_waitcnt vmcnt(0)
	v_cvt_f32_f16_e32 v3, v3
.LBB473_1367:
	s_mov_b64 s[0:1], 0
.LBB473_1368:
	s_andn2_b64 vcc, exec, s[0:1]
	s_cbranch_vccnz .LBB473_1379
; %bb.1369:
	s_cmp_lt_i32 s8, 6
	s_cbranch_scc1 .LBB473_1372
; %bb.1370:
	s_cmp_gt_i32 s8, 6
	s_cbranch_scc0 .LBB473_1373
; %bb.1371:
	global_load_dwordx2 v[14:15], v[12:13], off
	s_mov_b64 s[0:1], 0
	s_waitcnt vmcnt(0)
	v_cvt_f32_f64_e32 v3, v[14:15]
	s_branch .LBB473_1374
.LBB473_1372:
	s_mov_b64 s[0:1], -1
                                        ; implicit-def: $vgpr3
	s_branch .LBB473_1377
.LBB473_1373:
	s_mov_b64 s[0:1], -1
                                        ; implicit-def: $vgpr3
.LBB473_1374:
	s_andn2_b64 vcc, exec, s[0:1]
	s_cbranch_vccnz .LBB473_1376
; %bb.1375:
	global_load_dword v3, v[12:13], off
.LBB473_1376:
	s_mov_b64 s[0:1], 0
.LBB473_1377:
	s_andn2_b64 vcc, exec, s[0:1]
	s_cbranch_vccnz .LBB473_1379
; %bb.1378:
	global_load_ushort v3, v[12:13], off
	s_waitcnt vmcnt(0)
	v_cvt_f32_f16_e32 v3, v3
.LBB473_1379:
	s_cbranch_execnz .LBB473_1399
.LBB473_1380:
	s_cmp_lt_i32 s8, 2
	s_cbranch_scc1 .LBB473_1384
; %bb.1381:
	s_cmp_lt_i32 s8, 3
	s_cbranch_scc1 .LBB473_1385
; %bb.1382:
	s_cmp_gt_i32 s8, 3
	s_cbranch_scc0 .LBB473_1386
; %bb.1383:
	global_load_dwordx2 v[14:15], v[12:13], off
	s_mov_b64 s[0:1], 0
	s_waitcnt vmcnt(0)
	v_xor_b32_e32 v5, v14, v15
	v_ffbh_i32_e32 v3, v15
	v_ashrrev_i32_e32 v5, 31, v5
	v_add_u32_e32 v3, -1, v3
	v_add_u32_e32 v5, 32, v5
	v_min_u32_e32 v3, v3, v5
	v_lshlrev_b64 v[14:15], v3, v[14:15]
	v_min_u32_e32 v5, 1, v14
	v_or_b32_e32 v5, v15, v5
	v_cvt_f32_i32_e32 v5, v5
	v_sub_u32_e32 v3, 32, v3
	v_ldexp_f32 v3, v5, v3
	s_branch .LBB473_1387
.LBB473_1384:
	s_mov_b64 s[0:1], -1
                                        ; implicit-def: $vgpr3
	s_branch .LBB473_1393
.LBB473_1385:
	s_mov_b64 s[0:1], -1
                                        ; implicit-def: $vgpr3
	s_branch .LBB473_1390
.LBB473_1386:
	s_mov_b64 s[0:1], -1
                                        ; implicit-def: $vgpr3
.LBB473_1387:
	s_andn2_b64 vcc, exec, s[0:1]
	s_cbranch_vccnz .LBB473_1389
; %bb.1388:
	global_load_dword v3, v[12:13], off
	s_waitcnt vmcnt(0)
	v_cvt_f32_i32_e32 v3, v3
.LBB473_1389:
	s_mov_b64 s[0:1], 0
.LBB473_1390:
	s_andn2_b64 vcc, exec, s[0:1]
	s_cbranch_vccnz .LBB473_1392
; %bb.1391:
	global_load_sshort v3, v[12:13], off
	s_waitcnt vmcnt(0)
	v_cvt_f32_i32_e32 v3, v3
.LBB473_1392:
	s_mov_b64 s[0:1], 0
.LBB473_1393:
	s_andn2_b64 vcc, exec, s[0:1]
	s_cbranch_vccnz .LBB473_1399
; %bb.1394:
	s_cmp_gt_i32 s8, 0
	s_cbranch_scc0 .LBB473_1396
; %bb.1395:
	global_load_sbyte v3, v[12:13], off
	s_mov_b64 s[0:1], 0
	s_waitcnt vmcnt(0)
	v_cvt_f32_i32_e32 v3, v3
	s_branch .LBB473_1397
.LBB473_1396:
	s_mov_b64 s[0:1], -1
                                        ; implicit-def: $vgpr3
.LBB473_1397:
	s_andn2_b64 vcc, exec, s[0:1]
	s_cbranch_vccnz .LBB473_1399
; %bb.1398:
	global_load_ubyte v3, v[12:13], off
	s_waitcnt vmcnt(0)
	v_cvt_f32_ubyte0_e32 v3, v3
.LBB473_1399:
.LBB473_1400:
	v_mov_b32_e32 v11, 0
	s_cmp_lt_i32 s16, 11
	v_lshl_add_u64 v[10:11], s[6:7], 0, v[10:11]
	s_cbranch_scc1 .LBB473_1407
; %bb.1401:
	s_and_b32 s17, 0xffff, s16
	s_cmp_gt_i32 s17, 25
	s_mov_b64 s[8:9], 0
	s_cbranch_scc0 .LBB473_1409
; %bb.1402:
	s_cmp_gt_i32 s17, 28
	s_cbranch_scc0 .LBB473_1410
; %bb.1403:
	s_cmp_gt_i32 s17, 43
	;; [unrolled: 3-line block ×3, first 2 shown]
	s_cbranch_scc0 .LBB473_1413
; %bb.1405:
	s_cmp_eq_u32 s17, 46
	s_mov_b64 s[12:13], 0
	s_cbranch_scc0 .LBB473_1414
; %bb.1406:
	global_load_dword v5, v[10:11], off
	s_mov_b64 s[0:1], 0
	s_mov_b64 s[10:11], -1
	s_waitcnt vmcnt(0)
	v_lshlrev_b32_e32 v12, 16, v5
	s_branch .LBB473_1415
.LBB473_1407:
	s_mov_b64 s[10:11], 0
                                        ; implicit-def: $vgpr12
	s_cbranch_execnz .LBB473_1481
.LBB473_1408:
	s_andn2_b64 vcc, exec, s[10:11]
	s_cbranch_vccnz .LBB473_2092
	s_branch .LBB473_1529
.LBB473_1409:
	s_mov_b64 s[12:13], -1
	s_mov_b64 s[10:11], 0
	s_mov_b64 s[0:1], 0
                                        ; implicit-def: $vgpr12
	s_branch .LBB473_1444
.LBB473_1410:
	s_mov_b64 s[12:13], -1
	s_mov_b64 s[10:11], 0
	s_mov_b64 s[0:1], 0
                                        ; implicit-def: $vgpr12
	s_branch .LBB473_1425
.LBB473_1411:
	s_mov_b64 s[12:13], -1
	s_mov_b64 s[10:11], 0
	s_mov_b64 s[0:1], 0
                                        ; implicit-def: $vgpr12
	s_branch .LBB473_1420
.LBB473_1412:
	s_trap 2
	s_or_b64 s[2:3], s[2:3], exec
	s_cbranch_execz .LBB473_1351
	s_branch .LBB473_1352
.LBB473_1413:
	s_mov_b64 s[12:13], -1
	s_mov_b64 s[10:11], 0
	s_mov_b64 s[0:1], 0
                                        ; implicit-def: $vgpr12
	s_branch .LBB473_1415
.LBB473_1414:
	s_mov_b64 s[0:1], -1
                                        ; implicit-def: $vgpr12
	s_mov_b64 s[10:11], 0
.LBB473_1415:
	s_and_b64 vcc, exec, s[12:13]
	s_cbranch_vccz .LBB473_1419
; %bb.1416:
	s_cmp_eq_u32 s17, 44
	s_cbranch_scc0 .LBB473_1418
; %bb.1417:
	global_load_ubyte v5, v[10:11], off
	s_movk_i32 s10, 0xff
	v_mov_b32_e32 v7, 0x7f800001
	v_mov_b32_e32 v9, 0x400000
	s_mov_b64 s[0:1], 0
	s_waitcnt vmcnt(0)
	v_lshlrev_b32_e32 v12, 23, v5
	v_cmp_ne_u32_e32 vcc, s10, v5
	s_mov_b64 s[10:11], -1
	s_nop 0
	v_cndmask_b32_e32 v7, v7, v12, vcc
	v_cmp_ne_u32_e32 vcc, 0, v5
	s_nop 1
	v_cndmask_b32_e32 v12, v9, v7, vcc
	s_branch .LBB473_1419
.LBB473_1418:
	s_mov_b64 s[0:1], -1
                                        ; implicit-def: $vgpr12
.LBB473_1419:
	s_mov_b64 s[12:13], 0
.LBB473_1420:
	s_and_b64 vcc, exec, s[12:13]
	s_cbranch_vccz .LBB473_1424
; %bb.1421:
	s_cmp_eq_u32 s17, 29
	s_cbranch_scc0 .LBB473_1423
; %bb.1422:
	global_load_dwordx2 v[12:13], v[10:11], off
	s_mov_b64 s[0:1], 0
	s_mov_b64 s[10:11], -1
	s_mov_b64 s[12:13], 0
	s_waitcnt vmcnt(0)
	v_ffbh_u32_e32 v5, v13
	v_min_u32_e32 v5, 32, v5
	v_lshlrev_b64 v[12:13], v5, v[12:13]
	v_min_u32_e32 v7, 1, v12
	v_or_b32_e32 v7, v13, v7
	v_cvt_f32_u32_e32 v7, v7
	v_sub_u32_e32 v5, 32, v5
	v_ldexp_f32 v12, v7, v5
	s_branch .LBB473_1425
.LBB473_1423:
	s_mov_b64 s[0:1], -1
                                        ; implicit-def: $vgpr12
.LBB473_1424:
	s_mov_b64 s[12:13], 0
.LBB473_1425:
	s_and_b64 vcc, exec, s[12:13]
	s_cbranch_vccz .LBB473_1443
; %bb.1426:
	s_cmp_lt_i32 s17, 27
	s_cbranch_scc1 .LBB473_1429
; %bb.1427:
	s_cmp_gt_i32 s17, 27
	s_cbranch_scc0 .LBB473_1430
; %bb.1428:
	global_load_dword v5, v[10:11], off
	s_mov_b64 s[10:11], 0
	s_waitcnt vmcnt(0)
	v_cvt_f32_u32_e32 v12, v5
	s_branch .LBB473_1431
.LBB473_1429:
	s_mov_b64 s[10:11], -1
                                        ; implicit-def: $vgpr12
	s_branch .LBB473_1434
.LBB473_1430:
	s_mov_b64 s[10:11], -1
                                        ; implicit-def: $vgpr12
.LBB473_1431:
	s_andn2_b64 vcc, exec, s[10:11]
	s_cbranch_vccnz .LBB473_1433
; %bb.1432:
	global_load_ushort v5, v[10:11], off
	s_waitcnt vmcnt(0)
	v_cvt_f32_u32_e32 v12, v5
.LBB473_1433:
	s_mov_b64 s[10:11], 0
.LBB473_1434:
	s_andn2_b64 vcc, exec, s[10:11]
	s_cbranch_vccnz .LBB473_1442
; %bb.1435:
	global_load_ubyte v5, v[10:11], off
	s_movk_i32 s10, 0x7f
	s_waitcnt vmcnt(0)
	v_cmp_lt_i16_e32 vcc, s10, v5
	s_mov_b64 s[10:11], 0
	s_and_saveexec_b64 s[12:13], vcc
	s_xor_b64 s[12:13], exec, s[12:13]
	s_cbranch_execz .LBB473_1456
; %bb.1436:
	s_movk_i32 s10, 0x80
	v_cmp_eq_u16_e32 vcc, s10, v5
	s_mov_b64 s[10:11], -1
	s_and_saveexec_b64 s[14:15], vcc
; %bb.1437:
	s_xor_b64 s[10:11], exec, -1
; %bb.1438:
	s_or_b64 exec, exec, s[14:15]
	s_and_b64 s[10:11], s[10:11], exec
	s_or_saveexec_b64 s[12:13], s[12:13]
	v_mov_b32_e32 v12, 0x7f800001
	s_xor_b64 exec, exec, s[12:13]
	s_cbranch_execnz .LBB473_1457
.LBB473_1439:
	s_or_b64 exec, exec, s[12:13]
	s_and_saveexec_b64 s[12:13], s[10:11]
	s_cbranch_execz .LBB473_1441
.LBB473_1440:
	v_lshlrev_b32_e32 v7, 24, v5
	v_and_b32_e32 v5, 0xffff, v5
	v_and_b32_e32 v9, 7, v5
	v_ffbh_u32_e32 v13, v9
	v_min_u32_e32 v13, 32, v13
	v_subrev_u32_e32 v14, 28, v13
	v_bfe_u32 v12, v5, 3, 4
	v_lshlrev_b32_e32 v5, v14, v5
	v_sub_u32_e32 v13, 29, v13
	v_and_b32_e32 v5, 7, v5
	v_cmp_eq_u32_e32 vcc, 0, v12
	v_and_b32_e32 v7, 0x80000000, v7
	s_nop 0
	v_cndmask_b32_e32 v12, v12, v13, vcc
	v_cndmask_b32_e32 v5, v9, v5, vcc
	v_mov_b32_e32 v9, 0x3b800000
	v_lshlrev_b32_e32 v5, 20, v5
	v_lshl_add_u32 v9, v12, 23, v9
	v_or3_b32 v12, v7, v9, v5
.LBB473_1441:
	s_or_b64 exec, exec, s[12:13]
.LBB473_1442:
	s_mov_b64 s[10:11], -1
.LBB473_1443:
	s_mov_b64 s[12:13], 0
.LBB473_1444:
	s_and_b64 vcc, exec, s[12:13]
	s_cbranch_vccz .LBB473_1477
; %bb.1445:
	s_cmp_gt_i32 s17, 22
	s_cbranch_scc0 .LBB473_1455
; %bb.1446:
	s_cmp_lt_i32 s17, 24
	s_cbranch_scc1 .LBB473_1458
; %bb.1447:
	s_cmp_gt_i32 s17, 24
	s_cbranch_scc0 .LBB473_1459
; %bb.1448:
	global_load_ubyte v5, v[10:11], off
	s_movk_i32 s8, 0x7f
	s_waitcnt vmcnt(0)
	v_cmp_lt_i16_e32 vcc, s8, v5
	s_mov_b64 s[8:9], 0
	s_and_saveexec_b64 s[10:11], vcc
	s_xor_b64 s[10:11], exec, s[10:11]
	s_cbranch_execz .LBB473_1471
; %bb.1449:
	s_movk_i32 s8, 0x80
	v_cmp_eq_u16_e32 vcc, s8, v5
	s_mov_b64 s[8:9], -1
	s_and_saveexec_b64 s[12:13], vcc
; %bb.1450:
	s_xor_b64 s[8:9], exec, -1
; %bb.1451:
	s_or_b64 exec, exec, s[12:13]
	s_and_b64 s[8:9], s[8:9], exec
	s_or_saveexec_b64 s[10:11], s[10:11]
	v_mov_b32_e32 v12, 0x7f800001
	s_xor_b64 exec, exec, s[10:11]
	s_cbranch_execnz .LBB473_1472
.LBB473_1452:
	s_or_b64 exec, exec, s[10:11]
	s_and_saveexec_b64 s[10:11], s[8:9]
	s_cbranch_execz .LBB473_1454
.LBB473_1453:
	v_lshlrev_b32_e32 v7, 24, v5
	v_and_b32_e32 v5, 0xffff, v5
	v_and_b32_e32 v9, 3, v5
	v_ffbh_u32_e32 v13, v9
	v_min_u32_e32 v13, 32, v13
	v_subrev_u32_e32 v14, 29, v13
	v_bfe_u32 v12, v5, 2, 5
	v_lshlrev_b32_e32 v5, v14, v5
	v_sub_u32_e32 v13, 30, v13
	v_and_b32_e32 v5, 3, v5
	v_cmp_eq_u32_e32 vcc, 0, v12
	v_and_b32_e32 v7, 0x80000000, v7
	s_nop 0
	v_cndmask_b32_e32 v12, v12, v13, vcc
	v_cndmask_b32_e32 v5, v9, v5, vcc
	v_mov_b32_e32 v9, 0x37800000
	v_lshlrev_b32_e32 v5, 21, v5
	v_lshl_add_u32 v9, v12, 23, v9
	v_or3_b32 v12, v7, v9, v5
.LBB473_1454:
	s_or_b64 exec, exec, s[10:11]
	s_mov_b64 s[8:9], 0
	s_branch .LBB473_1460
.LBB473_1455:
	s_mov_b64 s[8:9], -1
                                        ; implicit-def: $vgpr12
	s_branch .LBB473_1466
.LBB473_1456:
	s_or_saveexec_b64 s[12:13], s[12:13]
	v_mov_b32_e32 v12, 0x7f800001
	s_xor_b64 exec, exec, s[12:13]
	s_cbranch_execz .LBB473_1439
.LBB473_1457:
	v_cmp_ne_u16_e32 vcc, 0, v5
	s_andn2_b64 s[10:11], s[10:11], exec
	s_and_b64 s[14:15], vcc, exec
	v_mov_b32_e32 v12, 0
	s_or_b64 s[10:11], s[10:11], s[14:15]
	s_or_b64 exec, exec, s[12:13]
	s_and_saveexec_b64 s[12:13], s[10:11]
	s_cbranch_execnz .LBB473_1440
	s_branch .LBB473_1441
.LBB473_1458:
	s_mov_b64 s[8:9], -1
                                        ; implicit-def: $vgpr12
	s_branch .LBB473_1463
.LBB473_1459:
	s_mov_b64 s[8:9], -1
                                        ; implicit-def: $vgpr12
.LBB473_1460:
	s_and_b64 vcc, exec, s[8:9]
	s_cbranch_vccz .LBB473_1462
; %bb.1461:
	global_load_ubyte v5, v[10:11], off
	s_mov_b32 s8, 0x7f800000
	s_waitcnt vmcnt(0)
	v_lshlrev_b32_e32 v5, 24, v5
	v_and_b32_e32 v7, 0x7f000000, v5
	v_ffbh_u32_e32 v9, v7
	v_min_u32_e32 v9, 32, v9
	v_sub_u32_e64 v9, v9, 4 clamp
	v_lshlrev_b32_e32 v13, v9, v7
	v_lshlrev_b32_e32 v9, 23, v9
	v_lshrrev_b32_e32 v13, 4, v13
	v_add_u32_e32 v12, 0x1000000, v7
	v_sub_u32_e32 v9, v13, v9
	v_ashrrev_i32_e32 v12, 8, v12
	v_add_u32_e32 v9, 0x3c000000, v9
	v_and_or_b32 v9, v12, s8, v9
	v_cmp_ne_u32_e32 vcc, 0, v7
	s_brev_b32 s8, 1
	s_nop 0
	v_cndmask_b32_e32 v7, 0, v9, vcc
	v_and_or_b32 v12, v5, s8, v7
.LBB473_1462:
	s_mov_b64 s[8:9], 0
.LBB473_1463:
	s_andn2_b64 vcc, exec, s[8:9]
	s_cbranch_vccnz .LBB473_1465
; %bb.1464:
	global_load_ubyte v5, v[10:11], off
	s_movk_i32 s8, 0x7f00
	s_brev_b32 s9, 16
	s_waitcnt vmcnt(0)
	v_lshlrev_b16_e32 v7, 8, v5
	v_lshlrev_b32_e32 v5, 25, v5
	v_lshrrev_b32_e32 v9, 4, v5
	v_and_or_b32 v12, v7, s8, 0.5
	v_or_b32_e32 v9, 0x70000000, v9
	v_add_f32_e32 v12, -0.5, v12
	v_mul_f32_e32 v9, 0x7800000, v9
	v_cmp_gt_u32_e32 vcc, s9, v5
	v_bfe_i32 v7, v7, 0, 16
	s_brev_b32 s8, 1
	v_cndmask_b32_e32 v5, v9, v12, vcc
	v_and_or_b32 v12, v7, s8, v5
.LBB473_1465:
	s_mov_b64 s[8:9], 0
	s_mov_b64 s[10:11], -1
.LBB473_1466:
	s_andn2_b64 vcc, exec, s[8:9]
	s_mov_b64 s[8:9], 0
	s_cbranch_vccnz .LBB473_1477
; %bb.1467:
	s_cmp_gt_i32 s17, 14
	s_cbranch_scc0 .LBB473_1470
; %bb.1468:
	s_cmp_eq_u32 s17, 15
	s_cbranch_scc0 .LBB473_1473
; %bb.1469:
	global_load_ushort v5, v[10:11], off
	s_mov_b64 s[0:1], 0
	s_mov_b64 s[10:11], -1
	s_waitcnt vmcnt(0)
	v_lshlrev_b32_e32 v12, 16, v5
	s_branch .LBB473_1474
.LBB473_1470:
	s_mov_b64 s[12:13], -1
                                        ; implicit-def: $vgpr12
	s_branch .LBB473_1475
.LBB473_1471:
	s_or_saveexec_b64 s[10:11], s[10:11]
	v_mov_b32_e32 v12, 0x7f800001
	s_xor_b64 exec, exec, s[10:11]
	s_cbranch_execz .LBB473_1452
.LBB473_1472:
	v_cmp_ne_u16_e32 vcc, 0, v5
	s_andn2_b64 s[8:9], s[8:9], exec
	s_and_b64 s[12:13], vcc, exec
	v_mov_b32_e32 v12, 0
	s_or_b64 s[8:9], s[8:9], s[12:13]
	s_or_b64 exec, exec, s[10:11]
	s_and_saveexec_b64 s[10:11], s[8:9]
	s_cbranch_execnz .LBB473_1453
	s_branch .LBB473_1454
.LBB473_1473:
	s_mov_b64 s[0:1], -1
                                        ; implicit-def: $vgpr12
.LBB473_1474:
	s_mov_b64 s[12:13], 0
.LBB473_1475:
	s_and_b64 vcc, exec, s[12:13]
	s_cbranch_vccz .LBB473_1477
; %bb.1476:
	s_cmp_lg_u32 s17, 11
	s_mov_b64 s[8:9], -1
	s_cselect_b64 s[0:1], -1, 0
.LBB473_1477:
	s_and_b64 vcc, exec, s[0:1]
	s_cbranch_vccnz .LBB473_1540
; %bb.1478:
	s_andn2_b64 vcc, exec, s[8:9]
	s_cbranch_vccnz .LBB473_1480
.LBB473_1479:
	global_load_ubyte v5, v[10:11], off
	s_mov_b64 s[10:11], -1
	s_waitcnt vmcnt(0)
	v_cmp_ne_u16_e32 vcc, 0, v5
	s_nop 1
	v_cndmask_b32_e64 v12, 0, 1.0, vcc
.LBB473_1480:
	s_branch .LBB473_1408
.LBB473_1481:
	s_and_b32 s8, 0xffff, s16
	s_cmp_lt_i32 s8, 5
	s_cbranch_scc1 .LBB473_1486
; %bb.1482:
	s_cmp_lt_i32 s8, 8
	s_cbranch_scc1 .LBB473_1487
; %bb.1483:
	;; [unrolled: 3-line block ×3, first 2 shown]
	s_cmp_gt_i32 s8, 9
	s_cbranch_scc0 .LBB473_1489
; %bb.1485:
	global_load_dwordx2 v[12:13], v[10:11], off
	s_mov_b64 s[0:1], 0
	s_waitcnt vmcnt(0)
	v_cvt_f32_f64_e32 v12, v[12:13]
	s_branch .LBB473_1490
.LBB473_1486:
	s_mov_b64 s[0:1], -1
                                        ; implicit-def: $vgpr12
	s_branch .LBB473_1508
.LBB473_1487:
	s_mov_b64 s[0:1], -1
                                        ; implicit-def: $vgpr12
	s_branch .LBB473_1496
.LBB473_1488:
	s_mov_b64 s[0:1], -1
                                        ; implicit-def: $vgpr12
	s_branch .LBB473_1493
.LBB473_1489:
	s_mov_b64 s[0:1], -1
                                        ; implicit-def: $vgpr12
.LBB473_1490:
	s_andn2_b64 vcc, exec, s[0:1]
	s_cbranch_vccnz .LBB473_1492
; %bb.1491:
	global_load_dword v12, v[10:11], off
.LBB473_1492:
	s_mov_b64 s[0:1], 0
.LBB473_1493:
	s_andn2_b64 vcc, exec, s[0:1]
	s_cbranch_vccnz .LBB473_1495
; %bb.1494:
	global_load_dword v5, v[10:11], off
	s_waitcnt vmcnt(0)
	v_cvt_f32_f16_e32 v12, v5
.LBB473_1495:
	s_mov_b64 s[0:1], 0
.LBB473_1496:
	s_andn2_b64 vcc, exec, s[0:1]
	s_cbranch_vccnz .LBB473_1507
; %bb.1497:
	s_cmp_lt_i32 s8, 6
	s_cbranch_scc1 .LBB473_1500
; %bb.1498:
	s_cmp_gt_i32 s8, 6
	s_cbranch_scc0 .LBB473_1501
; %bb.1499:
	global_load_dwordx2 v[12:13], v[10:11], off
	s_mov_b64 s[0:1], 0
	s_waitcnt vmcnt(0)
	v_cvt_f32_f64_e32 v12, v[12:13]
	s_branch .LBB473_1502
.LBB473_1500:
	s_mov_b64 s[0:1], -1
                                        ; implicit-def: $vgpr12
	s_branch .LBB473_1505
.LBB473_1501:
	s_mov_b64 s[0:1], -1
                                        ; implicit-def: $vgpr12
.LBB473_1502:
	s_andn2_b64 vcc, exec, s[0:1]
	s_cbranch_vccnz .LBB473_1504
; %bb.1503:
	global_load_dword v12, v[10:11], off
.LBB473_1504:
	s_mov_b64 s[0:1], 0
.LBB473_1505:
	s_andn2_b64 vcc, exec, s[0:1]
	s_cbranch_vccnz .LBB473_1507
; %bb.1506:
	global_load_ushort v5, v[10:11], off
	s_waitcnt vmcnt(0)
	v_cvt_f32_f16_e32 v12, v5
.LBB473_1507:
	s_mov_b64 s[0:1], 0
.LBB473_1508:
	s_andn2_b64 vcc, exec, s[0:1]
	s_cbranch_vccnz .LBB473_1528
; %bb.1509:
	s_cmp_lt_i32 s8, 2
	s_cbranch_scc1 .LBB473_1513
; %bb.1510:
	s_cmp_lt_i32 s8, 3
	s_cbranch_scc1 .LBB473_1514
; %bb.1511:
	s_cmp_gt_i32 s8, 3
	s_cbranch_scc0 .LBB473_1515
; %bb.1512:
	global_load_dwordx2 v[12:13], v[10:11], off
	s_mov_b64 s[0:1], 0
	s_waitcnt vmcnt(0)
	v_xor_b32_e32 v7, v12, v13
	v_ffbh_i32_e32 v5, v13
	v_ashrrev_i32_e32 v7, 31, v7
	v_add_u32_e32 v5, -1, v5
	v_add_u32_e32 v7, 32, v7
	v_min_u32_e32 v5, v5, v7
	v_lshlrev_b64 v[12:13], v5, v[12:13]
	v_min_u32_e32 v7, 1, v12
	v_or_b32_e32 v7, v13, v7
	v_cvt_f32_i32_e32 v7, v7
	v_sub_u32_e32 v5, 32, v5
	v_ldexp_f32 v12, v7, v5
	s_branch .LBB473_1516
.LBB473_1513:
	s_mov_b64 s[0:1], -1
                                        ; implicit-def: $vgpr12
	s_branch .LBB473_1522
.LBB473_1514:
	s_mov_b64 s[0:1], -1
                                        ; implicit-def: $vgpr12
	s_branch .LBB473_1519
.LBB473_1515:
	s_mov_b64 s[0:1], -1
                                        ; implicit-def: $vgpr12
.LBB473_1516:
	s_andn2_b64 vcc, exec, s[0:1]
	s_cbranch_vccnz .LBB473_1518
; %bb.1517:
	global_load_dword v5, v[10:11], off
	s_waitcnt vmcnt(0)
	v_cvt_f32_i32_e32 v12, v5
.LBB473_1518:
	s_mov_b64 s[0:1], 0
.LBB473_1519:
	s_andn2_b64 vcc, exec, s[0:1]
	s_cbranch_vccnz .LBB473_1521
; %bb.1520:
	global_load_sshort v5, v[10:11], off
	s_waitcnt vmcnt(0)
	v_cvt_f32_i32_e32 v12, v5
.LBB473_1521:
	s_mov_b64 s[0:1], 0
.LBB473_1522:
	s_andn2_b64 vcc, exec, s[0:1]
	s_cbranch_vccnz .LBB473_1528
; %bb.1523:
	s_cmp_gt_i32 s8, 0
	s_cbranch_scc0 .LBB473_1525
; %bb.1524:
	global_load_sbyte v5, v[10:11], off
	s_mov_b64 s[0:1], 0
	s_waitcnt vmcnt(0)
	v_cvt_f32_i32_e32 v12, v5
	s_branch .LBB473_1526
.LBB473_1525:
	s_mov_b64 s[0:1], -1
                                        ; implicit-def: $vgpr12
.LBB473_1526:
	s_andn2_b64 vcc, exec, s[0:1]
	s_cbranch_vccnz .LBB473_1528
; %bb.1527:
	global_load_ubyte v5, v[10:11], off
	s_waitcnt vmcnt(0)
	v_cvt_f32_ubyte0_e32 v12, v5
.LBB473_1528:
.LBB473_1529:
	v_mov_b32_e32 v9, 0
	s_cmp_lt_i32 s16, 11
	v_lshl_add_u64 v[8:9], s[6:7], 0, v[8:9]
	s_cbranch_scc1 .LBB473_1536
; %bb.1530:
	s_and_b32 s14, 0xffff, s16
	s_cmp_gt_i32 s14, 25
	s_mov_b64 s[6:7], 0
	s_cbranch_scc0 .LBB473_1537
; %bb.1531:
	s_cmp_gt_i32 s14, 28
	s_cbranch_scc0 .LBB473_1538
; %bb.1532:
	s_cmp_gt_i32 s14, 43
	;; [unrolled: 3-line block ×3, first 2 shown]
	s_cbranch_scc0 .LBB473_1541
; %bb.1534:
	s_cmp_eq_u32 s14, 46
	s_mov_b64 s[10:11], 0
	s_cbranch_scc0 .LBB473_1542
; %bb.1535:
	global_load_dword v5, v[8:9], off
	s_mov_b64 s[0:1], 0
	s_mov_b64 s[8:9], -1
	s_waitcnt vmcnt(0)
	v_lshlrev_b32_e32 v10, 16, v5
	s_branch .LBB473_1543
.LBB473_1536:
	s_mov_b64 s[0:1], -1
	s_mov_b64 s[8:9], 0
                                        ; implicit-def: $vgpr10
	s_branch .LBB473_1609
.LBB473_1537:
	s_mov_b64 s[10:11], -1
	s_mov_b64 s[8:9], 0
	s_mov_b64 s[0:1], 0
                                        ; implicit-def: $vgpr10
	s_branch .LBB473_1572
.LBB473_1538:
	s_mov_b64 s[10:11], -1
	s_mov_b64 s[8:9], 0
	s_mov_b64 s[0:1], 0
                                        ; implicit-def: $vgpr10
	s_branch .LBB473_1553
.LBB473_1539:
	s_mov_b64 s[10:11], -1
	s_mov_b64 s[8:9], 0
	s_mov_b64 s[0:1], 0
                                        ; implicit-def: $vgpr10
	s_branch .LBB473_1548
.LBB473_1540:
	s_trap 2
	s_or_b64 s[2:3], s[2:3], exec
	s_cbranch_execz .LBB473_1479
	s_branch .LBB473_1480
.LBB473_1541:
	s_mov_b64 s[10:11], -1
	s_mov_b64 s[8:9], 0
	s_mov_b64 s[0:1], 0
                                        ; implicit-def: $vgpr10
	s_branch .LBB473_1543
.LBB473_1542:
	s_mov_b64 s[0:1], -1
                                        ; implicit-def: $vgpr10
	s_mov_b64 s[8:9], 0
.LBB473_1543:
	s_and_b64 vcc, exec, s[10:11]
	s_cbranch_vccz .LBB473_1547
; %bb.1544:
	s_cmp_eq_u32 s14, 44
	s_cbranch_scc0 .LBB473_1546
; %bb.1545:
	global_load_ubyte v5, v[8:9], off
	s_movk_i32 s8, 0xff
	v_mov_b32_e32 v7, 0x7f800001
	v_mov_b32_e32 v10, 0x400000
	s_mov_b64 s[0:1], 0
	s_waitcnt vmcnt(0)
	v_lshlrev_b32_e32 v11, 23, v5
	v_cmp_ne_u32_e32 vcc, s8, v5
	s_mov_b64 s[8:9], -1
	s_nop 0
	v_cndmask_b32_e32 v7, v7, v11, vcc
	v_cmp_ne_u32_e32 vcc, 0, v5
	s_nop 1
	v_cndmask_b32_e32 v10, v10, v7, vcc
	s_branch .LBB473_1547
.LBB473_1546:
	s_mov_b64 s[0:1], -1
                                        ; implicit-def: $vgpr10
.LBB473_1547:
	s_mov_b64 s[10:11], 0
.LBB473_1548:
	s_and_b64 vcc, exec, s[10:11]
	s_cbranch_vccz .LBB473_1552
; %bb.1549:
	s_cmp_eq_u32 s14, 29
	s_cbranch_scc0 .LBB473_1551
; %bb.1550:
	global_load_dwordx2 v[10:11], v[8:9], off
	s_mov_b64 s[0:1], 0
	s_mov_b64 s[8:9], -1
	s_mov_b64 s[10:11], 0
	s_waitcnt vmcnt(0)
	v_ffbh_u32_e32 v5, v11
	v_min_u32_e32 v5, 32, v5
	v_lshlrev_b64 v[10:11], v5, v[10:11]
	v_min_u32_e32 v7, 1, v10
	v_or_b32_e32 v7, v11, v7
	v_cvt_f32_u32_e32 v7, v7
	v_sub_u32_e32 v5, 32, v5
	v_ldexp_f32 v10, v7, v5
	s_branch .LBB473_1553
.LBB473_1551:
	s_mov_b64 s[0:1], -1
                                        ; implicit-def: $vgpr10
.LBB473_1552:
	s_mov_b64 s[10:11], 0
.LBB473_1553:
	s_and_b64 vcc, exec, s[10:11]
	s_cbranch_vccz .LBB473_1571
; %bb.1554:
	s_cmp_lt_i32 s14, 27
	s_cbranch_scc1 .LBB473_1557
; %bb.1555:
	s_cmp_gt_i32 s14, 27
	s_cbranch_scc0 .LBB473_1558
; %bb.1556:
	global_load_dword v5, v[8:9], off
	s_mov_b64 s[8:9], 0
	s_waitcnt vmcnt(0)
	v_cvt_f32_u32_e32 v10, v5
	s_branch .LBB473_1559
.LBB473_1557:
	s_mov_b64 s[8:9], -1
                                        ; implicit-def: $vgpr10
	s_branch .LBB473_1562
.LBB473_1558:
	s_mov_b64 s[8:9], -1
                                        ; implicit-def: $vgpr10
.LBB473_1559:
	s_andn2_b64 vcc, exec, s[8:9]
	s_cbranch_vccnz .LBB473_1561
; %bb.1560:
	global_load_ushort v5, v[8:9], off
	s_waitcnt vmcnt(0)
	v_cvt_f32_u32_e32 v10, v5
.LBB473_1561:
	s_mov_b64 s[8:9], 0
.LBB473_1562:
	s_andn2_b64 vcc, exec, s[8:9]
	s_cbranch_vccnz .LBB473_1570
; %bb.1563:
	global_load_ubyte v5, v[8:9], off
	s_movk_i32 s8, 0x7f
	s_waitcnt vmcnt(0)
	v_cmp_lt_i16_e32 vcc, s8, v5
	s_mov_b64 s[8:9], 0
	s_and_saveexec_b64 s[10:11], vcc
	s_xor_b64 s[10:11], exec, s[10:11]
	s_cbranch_execz .LBB473_1584
; %bb.1564:
	s_movk_i32 s8, 0x80
	v_cmp_eq_u16_e32 vcc, s8, v5
	s_mov_b64 s[8:9], -1
	s_and_saveexec_b64 s[12:13], vcc
; %bb.1565:
	s_xor_b64 s[8:9], exec, -1
; %bb.1566:
	s_or_b64 exec, exec, s[12:13]
	s_and_b64 s[8:9], s[8:9], exec
	s_or_saveexec_b64 s[10:11], s[10:11]
	v_mov_b32_e32 v10, 0x7f800001
	s_xor_b64 exec, exec, s[10:11]
	s_cbranch_execnz .LBB473_1585
.LBB473_1567:
	s_or_b64 exec, exec, s[10:11]
	s_and_saveexec_b64 s[10:11], s[8:9]
	s_cbranch_execz .LBB473_1569
.LBB473_1568:
	v_lshlrev_b32_e32 v7, 24, v5
	v_and_b32_e32 v5, 0xffff, v5
	v_and_b32_e32 v10, 7, v5
	v_ffbh_u32_e32 v13, v10
	v_min_u32_e32 v13, 32, v13
	v_subrev_u32_e32 v14, 28, v13
	v_bfe_u32 v11, v5, 3, 4
	v_lshlrev_b32_e32 v5, v14, v5
	v_sub_u32_e32 v13, 29, v13
	v_and_b32_e32 v5, 7, v5
	v_cmp_eq_u32_e32 vcc, 0, v11
	v_and_b32_e32 v7, 0x80000000, v7
	s_nop 0
	v_cndmask_b32_e32 v11, v11, v13, vcc
	v_cndmask_b32_e32 v5, v10, v5, vcc
	v_mov_b32_e32 v10, 0x3b800000
	v_lshlrev_b32_e32 v5, 20, v5
	v_lshl_add_u32 v10, v11, 23, v10
	v_or3_b32 v10, v7, v10, v5
.LBB473_1569:
	s_or_b64 exec, exec, s[10:11]
.LBB473_1570:
	s_mov_b64 s[8:9], -1
.LBB473_1571:
	s_mov_b64 s[10:11], 0
.LBB473_1572:
	s_and_b64 vcc, exec, s[10:11]
	s_cbranch_vccz .LBB473_1605
; %bb.1573:
	s_cmp_gt_i32 s14, 22
	s_cbranch_scc0 .LBB473_1583
; %bb.1574:
	s_cmp_lt_i32 s14, 24
	s_cbranch_scc1 .LBB473_1586
; %bb.1575:
	s_cmp_gt_i32 s14, 24
	s_cbranch_scc0 .LBB473_1587
; %bb.1576:
	global_load_ubyte v5, v[8:9], off
	s_movk_i32 s6, 0x7f
	s_waitcnt vmcnt(0)
	v_cmp_lt_i16_e32 vcc, s6, v5
	s_mov_b64 s[6:7], 0
	s_and_saveexec_b64 s[8:9], vcc
	s_xor_b64 s[8:9], exec, s[8:9]
	s_cbranch_execz .LBB473_1599
; %bb.1577:
	s_movk_i32 s6, 0x80
	v_cmp_eq_u16_e32 vcc, s6, v5
	s_mov_b64 s[6:7], -1
	s_and_saveexec_b64 s[10:11], vcc
; %bb.1578:
	s_xor_b64 s[6:7], exec, -1
; %bb.1579:
	s_or_b64 exec, exec, s[10:11]
	s_and_b64 s[6:7], s[6:7], exec
	s_or_saveexec_b64 s[8:9], s[8:9]
	v_mov_b32_e32 v10, 0x7f800001
	s_xor_b64 exec, exec, s[8:9]
	s_cbranch_execnz .LBB473_1600
.LBB473_1580:
	s_or_b64 exec, exec, s[8:9]
	s_and_saveexec_b64 s[8:9], s[6:7]
	s_cbranch_execz .LBB473_1582
.LBB473_1581:
	v_lshlrev_b32_e32 v7, 24, v5
	v_and_b32_e32 v5, 0xffff, v5
	v_and_b32_e32 v10, 3, v5
	v_ffbh_u32_e32 v13, v10
	v_min_u32_e32 v13, 32, v13
	v_subrev_u32_e32 v14, 29, v13
	v_bfe_u32 v11, v5, 2, 5
	v_lshlrev_b32_e32 v5, v14, v5
	v_sub_u32_e32 v13, 30, v13
	v_and_b32_e32 v5, 3, v5
	v_cmp_eq_u32_e32 vcc, 0, v11
	v_and_b32_e32 v7, 0x80000000, v7
	s_nop 0
	v_cndmask_b32_e32 v11, v11, v13, vcc
	v_cndmask_b32_e32 v5, v10, v5, vcc
	v_mov_b32_e32 v10, 0x37800000
	v_lshlrev_b32_e32 v5, 21, v5
	v_lshl_add_u32 v10, v11, 23, v10
	v_or3_b32 v10, v7, v10, v5
.LBB473_1582:
	s_or_b64 exec, exec, s[8:9]
	s_mov_b64 s[6:7], 0
	s_branch .LBB473_1588
.LBB473_1583:
	s_mov_b64 s[6:7], -1
                                        ; implicit-def: $vgpr10
	s_branch .LBB473_1594
.LBB473_1584:
	s_or_saveexec_b64 s[10:11], s[10:11]
	v_mov_b32_e32 v10, 0x7f800001
	s_xor_b64 exec, exec, s[10:11]
	s_cbranch_execz .LBB473_1567
.LBB473_1585:
	v_cmp_ne_u16_e32 vcc, 0, v5
	s_andn2_b64 s[8:9], s[8:9], exec
	s_and_b64 s[12:13], vcc, exec
	v_mov_b32_e32 v10, 0
	s_or_b64 s[8:9], s[8:9], s[12:13]
	s_or_b64 exec, exec, s[10:11]
	s_and_saveexec_b64 s[10:11], s[8:9]
	s_cbranch_execnz .LBB473_1568
	s_branch .LBB473_1569
.LBB473_1586:
	s_mov_b64 s[6:7], -1
                                        ; implicit-def: $vgpr10
	s_branch .LBB473_1591
.LBB473_1587:
	s_mov_b64 s[6:7], -1
                                        ; implicit-def: $vgpr10
.LBB473_1588:
	s_and_b64 vcc, exec, s[6:7]
	s_cbranch_vccz .LBB473_1590
; %bb.1589:
	global_load_ubyte v5, v[8:9], off
	s_mov_b32 s6, 0x7f800000
	s_waitcnt vmcnt(0)
	v_lshlrev_b32_e32 v5, 24, v5
	v_and_b32_e32 v7, 0x7f000000, v5
	v_ffbh_u32_e32 v10, v7
	v_min_u32_e32 v10, 32, v10
	v_sub_u32_e64 v10, v10, 4 clamp
	v_lshlrev_b32_e32 v13, v10, v7
	v_lshlrev_b32_e32 v10, 23, v10
	v_lshrrev_b32_e32 v13, 4, v13
	v_add_u32_e32 v11, 0x1000000, v7
	v_sub_u32_e32 v10, v13, v10
	v_ashrrev_i32_e32 v11, 8, v11
	v_add_u32_e32 v10, 0x3c000000, v10
	v_and_or_b32 v10, v11, s6, v10
	v_cmp_ne_u32_e32 vcc, 0, v7
	s_brev_b32 s6, 1
	s_nop 0
	v_cndmask_b32_e32 v7, 0, v10, vcc
	v_and_or_b32 v10, v5, s6, v7
.LBB473_1590:
	s_mov_b64 s[6:7], 0
.LBB473_1591:
	s_andn2_b64 vcc, exec, s[6:7]
	s_cbranch_vccnz .LBB473_1593
; %bb.1592:
	global_load_ubyte v5, v[8:9], off
	s_movk_i32 s6, 0x7f00
	s_brev_b32 s7, 16
	s_waitcnt vmcnt(0)
	v_lshlrev_b16_e32 v7, 8, v5
	v_lshlrev_b32_e32 v5, 25, v5
	v_lshrrev_b32_e32 v10, 4, v5
	v_and_or_b32 v11, v7, s6, 0.5
	v_or_b32_e32 v10, 0x70000000, v10
	v_add_f32_e32 v11, -0.5, v11
	v_mul_f32_e32 v10, 0x7800000, v10
	v_cmp_gt_u32_e32 vcc, s7, v5
	v_bfe_i32 v7, v7, 0, 16
	s_brev_b32 s6, 1
	v_cndmask_b32_e32 v5, v10, v11, vcc
	v_and_or_b32 v10, v7, s6, v5
.LBB473_1593:
	s_mov_b64 s[6:7], 0
	s_mov_b64 s[8:9], -1
.LBB473_1594:
	s_andn2_b64 vcc, exec, s[6:7]
	s_mov_b64 s[6:7], 0
	s_cbranch_vccnz .LBB473_1605
; %bb.1595:
	s_cmp_gt_i32 s14, 14
	s_cbranch_scc0 .LBB473_1598
; %bb.1596:
	s_cmp_eq_u32 s14, 15
	s_cbranch_scc0 .LBB473_1601
; %bb.1597:
	global_load_ushort v5, v[8:9], off
	s_mov_b64 s[0:1], 0
	s_mov_b64 s[8:9], -1
	s_waitcnt vmcnt(0)
	v_lshlrev_b32_e32 v10, 16, v5
	s_branch .LBB473_1602
.LBB473_1598:
	s_mov_b64 s[10:11], -1
                                        ; implicit-def: $vgpr10
	s_branch .LBB473_1603
.LBB473_1599:
	s_or_saveexec_b64 s[8:9], s[8:9]
	v_mov_b32_e32 v10, 0x7f800001
	s_xor_b64 exec, exec, s[8:9]
	s_cbranch_execz .LBB473_1580
.LBB473_1600:
	v_cmp_ne_u16_e32 vcc, 0, v5
	s_andn2_b64 s[6:7], s[6:7], exec
	s_and_b64 s[10:11], vcc, exec
	v_mov_b32_e32 v10, 0
	s_or_b64 s[6:7], s[6:7], s[10:11]
	s_or_b64 exec, exec, s[8:9]
	s_and_saveexec_b64 s[8:9], s[6:7]
	s_cbranch_execnz .LBB473_1581
	s_branch .LBB473_1582
.LBB473_1601:
	s_mov_b64 s[0:1], -1
                                        ; implicit-def: $vgpr10
.LBB473_1602:
	s_mov_b64 s[10:11], 0
.LBB473_1603:
	s_and_b64 vcc, exec, s[10:11]
	s_cbranch_vccz .LBB473_1605
; %bb.1604:
	s_cmp_lg_u32 s14, 11
	s_mov_b64 s[6:7], -1
	s_cselect_b64 s[0:1], -1, 0
.LBB473_1605:
	s_and_b64 vcc, exec, s[0:1]
	s_cbranch_vccnz .LBB473_2138
; %bb.1606:
	s_andn2_b64 vcc, exec, s[6:7]
	s_cbranch_vccnz .LBB473_1608
.LBB473_1607:
	global_load_ubyte v5, v[8:9], off
	s_mov_b64 s[8:9], -1
	s_waitcnt vmcnt(0)
	v_cmp_ne_u16_e32 vcc, 0, v5
	s_nop 1
	v_cndmask_b32_e64 v10, 0, 1.0, vcc
.LBB473_1608:
	s_mov_b64 s[0:1], 0
.LBB473_1609:
	s_and_b64 vcc, exec, s[0:1]
	s_cbranch_vccz .LBB473_1658
; %bb.1610:
	s_and_b32 s6, 0xffff, s16
	s_cmp_lt_i32 s6, 5
	s_cbranch_scc1 .LBB473_1615
; %bb.1611:
	s_cmp_lt_i32 s6, 8
	s_cbranch_scc1 .LBB473_1616
; %bb.1612:
	s_cmp_lt_i32 s6, 9
	s_cbranch_scc1 .LBB473_1617
; %bb.1613:
	s_cmp_gt_i32 s6, 9
	s_cbranch_scc0 .LBB473_1618
; %bb.1614:
	global_load_dwordx2 v[10:11], v[8:9], off
	s_mov_b64 s[0:1], 0
	s_waitcnt vmcnt(0)
	v_cvt_f32_f64_e32 v10, v[10:11]
	s_branch .LBB473_1619
.LBB473_1615:
	s_mov_b64 s[0:1], -1
                                        ; implicit-def: $vgpr10
	s_branch .LBB473_1637
.LBB473_1616:
	s_mov_b64 s[0:1], -1
                                        ; implicit-def: $vgpr10
	s_branch .LBB473_1625
.LBB473_1617:
	s_mov_b64 s[0:1], -1
                                        ; implicit-def: $vgpr10
	s_branch .LBB473_1622
.LBB473_1618:
	s_mov_b64 s[0:1], -1
                                        ; implicit-def: $vgpr10
.LBB473_1619:
	s_andn2_b64 vcc, exec, s[0:1]
	s_cbranch_vccnz .LBB473_1621
; %bb.1620:
	global_load_dword v10, v[8:9], off
.LBB473_1621:
	s_mov_b64 s[0:1], 0
.LBB473_1622:
	s_andn2_b64 vcc, exec, s[0:1]
	s_cbranch_vccnz .LBB473_1624
; %bb.1623:
	global_load_dword v5, v[8:9], off
	s_waitcnt vmcnt(0)
	v_cvt_f32_f16_e32 v10, v5
.LBB473_1624:
	s_mov_b64 s[0:1], 0
.LBB473_1625:
	s_andn2_b64 vcc, exec, s[0:1]
	s_cbranch_vccnz .LBB473_1636
; %bb.1626:
	s_cmp_lt_i32 s6, 6
	s_cbranch_scc1 .LBB473_1629
; %bb.1627:
	s_cmp_gt_i32 s6, 6
	s_cbranch_scc0 .LBB473_1630
; %bb.1628:
	global_load_dwordx2 v[10:11], v[8:9], off
	s_mov_b64 s[0:1], 0
	s_waitcnt vmcnt(0)
	v_cvt_f32_f64_e32 v10, v[10:11]
	s_branch .LBB473_1631
.LBB473_1629:
	s_mov_b64 s[0:1], -1
                                        ; implicit-def: $vgpr10
	s_branch .LBB473_1634
.LBB473_1630:
	s_mov_b64 s[0:1], -1
                                        ; implicit-def: $vgpr10
.LBB473_1631:
	s_andn2_b64 vcc, exec, s[0:1]
	s_cbranch_vccnz .LBB473_1633
; %bb.1632:
	global_load_dword v10, v[8:9], off
.LBB473_1633:
	s_mov_b64 s[0:1], 0
.LBB473_1634:
	s_andn2_b64 vcc, exec, s[0:1]
	s_cbranch_vccnz .LBB473_1636
; %bb.1635:
	global_load_ushort v5, v[8:9], off
	s_waitcnt vmcnt(0)
	v_cvt_f32_f16_e32 v10, v5
.LBB473_1636:
	s_mov_b64 s[0:1], 0
.LBB473_1637:
	s_andn2_b64 vcc, exec, s[0:1]
	s_cbranch_vccnz .LBB473_1657
; %bb.1638:
	s_cmp_lt_i32 s6, 2
	s_cbranch_scc1 .LBB473_1642
; %bb.1639:
	s_cmp_lt_i32 s6, 3
	s_cbranch_scc1 .LBB473_1643
; %bb.1640:
	s_cmp_gt_i32 s6, 3
	s_cbranch_scc0 .LBB473_1644
; %bb.1641:
	global_load_dwordx2 v[10:11], v[8:9], off
	s_mov_b64 s[0:1], 0
	s_waitcnt vmcnt(0)
	v_xor_b32_e32 v7, v10, v11
	v_ffbh_i32_e32 v5, v11
	v_ashrrev_i32_e32 v7, 31, v7
	v_add_u32_e32 v5, -1, v5
	v_add_u32_e32 v7, 32, v7
	v_min_u32_e32 v5, v5, v7
	v_lshlrev_b64 v[10:11], v5, v[10:11]
	v_min_u32_e32 v7, 1, v10
	v_or_b32_e32 v7, v11, v7
	v_cvt_f32_i32_e32 v7, v7
	v_sub_u32_e32 v5, 32, v5
	v_ldexp_f32 v10, v7, v5
	s_branch .LBB473_1645
.LBB473_1642:
	s_mov_b64 s[0:1], -1
                                        ; implicit-def: $vgpr10
	s_branch .LBB473_1651
.LBB473_1643:
	s_mov_b64 s[0:1], -1
                                        ; implicit-def: $vgpr10
	s_branch .LBB473_1648
.LBB473_1644:
	s_mov_b64 s[0:1], -1
                                        ; implicit-def: $vgpr10
.LBB473_1645:
	s_andn2_b64 vcc, exec, s[0:1]
	s_cbranch_vccnz .LBB473_1647
; %bb.1646:
	global_load_dword v5, v[8:9], off
	s_waitcnt vmcnt(0)
	v_cvt_f32_i32_e32 v10, v5
.LBB473_1647:
	s_mov_b64 s[0:1], 0
.LBB473_1648:
	s_andn2_b64 vcc, exec, s[0:1]
	s_cbranch_vccnz .LBB473_1650
; %bb.1649:
	global_load_sshort v5, v[8:9], off
	s_waitcnt vmcnt(0)
	v_cvt_f32_i32_e32 v10, v5
.LBB473_1650:
	s_mov_b64 s[0:1], 0
.LBB473_1651:
	s_andn2_b64 vcc, exec, s[0:1]
	s_cbranch_vccnz .LBB473_1657
; %bb.1652:
	s_cmp_gt_i32 s6, 0
	s_cbranch_scc0 .LBB473_1654
; %bb.1653:
	global_load_sbyte v5, v[8:9], off
	s_mov_b64 s[0:1], 0
	s_waitcnt vmcnt(0)
	v_cvt_f32_i32_e32 v10, v5
	s_branch .LBB473_1655
.LBB473_1654:
	s_mov_b64 s[0:1], -1
                                        ; implicit-def: $vgpr10
.LBB473_1655:
	s_andn2_b64 vcc, exec, s[0:1]
	s_cbranch_vccnz .LBB473_1657
; %bb.1656:
	global_load_ubyte v5, v[8:9], off
	s_waitcnt vmcnt(0)
	v_cvt_f32_ubyte0_e32 v10, v5
.LBB473_1657:
	s_mov_b64 s[8:9], -1
.LBB473_1658:
	s_andn2_b64 vcc, exec, s[8:9]
	s_cbranch_vccnz .LBB473_2092
; %bb.1659:
	s_load_dwordx2 s[0:1], s[34:35], 0x158
	s_waitcnt vmcnt(0)
	v_max_f32_e32 v5, v1, v1
	v_mov_b32_e32 v7, 0
	v_cmp_u_f32_e32 vcc, v1, v1
	v_lshl_add_u64 v[6:7], s[4:5], 0, v[6:7]
	s_waitcnt lgkmcnt(0)
	v_max_f32_e64 v11, s0, s0
	s_and_b32 s14, s1, 0xff
	v_min_f32_e32 v5, v5, v11
	v_cndmask_b32_e32 v8, v5, v1, vcc
	s_cmp_lt_i32 s14, 11
	s_cbranch_scc1 .LBB473_1737
; %bb.1660:
	s_and_b32 s15, 0xffff, s14
	s_mov_b64 s[10:11], -1
	s_mov_b64 s[6:7], 0
	s_cmp_gt_i32 s15, 25
	s_mov_b64 s[8:9], 0
	s_mov_b64 s[0:1], 0
	s_cbranch_scc0 .LBB473_1693
; %bb.1661:
	s_cmp_gt_i32 s15, 28
	s_cbranch_scc0 .LBB473_1676
; %bb.1662:
	s_cmp_gt_i32 s15, 43
	;; [unrolled: 3-line block ×3, first 2 shown]
	s_cbranch_scc0 .LBB473_1666
; %bb.1664:
	s_mov_b64 s[0:1], -1
	s_mov_b64 s[10:11], 0
	s_cmp_eq_u32 s15, 46
	s_cbranch_scc0 .LBB473_1666
; %bb.1665:
	v_bfe_u32 v1, v8, 16, 1
	s_movk_i32 s0, 0x7fff
	v_add3_u32 v1, v8, v1, s0
	v_cmp_o_f32_e32 vcc, v8, v8
	v_mov_b32_e32 v5, 0x7fc0
	s_mov_b64 s[0:1], 0
	v_cndmask_b32_sdwa v1, v5, v1, vcc dst_sel:DWORD dst_unused:UNUSED_PAD src0_sel:DWORD src1_sel:WORD_1
	global_store_dword v[6:7], v1, off
	s_mov_b64 s[8:9], -1
.LBB473_1666:
	s_and_b64 vcc, exec, s[10:11]
	s_cbranch_vccz .LBB473_1671
; %bb.1667:
	s_cmp_eq_u32 s15, 44
	s_mov_b64 s[0:1], -1
	s_cbranch_scc0 .LBB473_1671
; %bb.1668:
	v_bfe_u32 v1, v8, 23, 8
	s_movk_i32 s0, 0xff
	v_cmp_ne_u32_e32 vcc, s0, v1
	v_mov_b32_e32 v5, 0xff
	s_and_saveexec_b64 s[8:9], vcc
; %bb.1669:
	s_mov_b32 s0, 0x3fffff
	v_and_b32_e32 v9, 0x400000, v8
	v_and_or_b32 v1, v8, s0, v1
	v_cmp_ne_u32_e32 vcc, 0, v9
	v_cmp_ne_u32_e64 s[0:1], 0, v1
	s_and_b64 s[0:1], vcc, s[0:1]
	v_lshrrev_b32_e32 v5, 23, v8
	v_cndmask_b32_e64 v1, 0, 1, s[0:1]
	v_add_u32_e32 v5, v5, v1
; %bb.1670:
	s_or_b64 exec, exec, s[8:9]
	s_mov_b64 s[0:1], 0
	s_mov_b64 s[8:9], -1
	global_store_byte v[6:7], v5, off
.LBB473_1671:
	s_mov_b64 s[10:11], 0
.LBB473_1672:
	s_and_b64 vcc, exec, s[10:11]
	s_cbranch_vccz .LBB473_1675
; %bb.1673:
	s_cmp_eq_u32 s15, 29
	s_mov_b64 s[0:1], -1
	s_cbranch_scc0 .LBB473_1675
; %bb.1674:
	v_trunc_f32_e32 v1, v8
	v_mul_f32_e32 v5, 0x2f800000, v1
	v_floor_f32_e32 v5, v5
	v_fmamk_f32 v1, v5, 0xcf800000, v1
	v_cvt_u32_f32_e32 v15, v5
	v_cvt_u32_f32_e32 v14, v1
	s_mov_b64 s[0:1], 0
	s_mov_b64 s[8:9], -1
	global_store_dwordx2 v[6:7], v[14:15], off
.LBB473_1675:
	s_mov_b64 s[10:11], 0
.LBB473_1676:
	s_and_b64 vcc, exec, s[10:11]
	s_cbranch_vccz .LBB473_1692
; %bb.1677:
	s_cmp_lt_i32 s15, 27
	s_mov_b64 s[8:9], -1
	s_cbranch_scc1 .LBB473_1683
; %bb.1678:
	v_cvt_u32_f32_e32 v1, v8
	s_cmp_gt_i32 s15, 27
	s_cbranch_scc0 .LBB473_1680
; %bb.1679:
	s_mov_b64 s[8:9], 0
	global_store_dword v[6:7], v1, off
.LBB473_1680:
	s_andn2_b64 vcc, exec, s[8:9]
	s_cbranch_vccnz .LBB473_1682
; %bb.1681:
	global_store_short v[6:7], v1, off
.LBB473_1682:
	s_mov_b64 s[8:9], 0
.LBB473_1683:
	s_andn2_b64 vcc, exec, s[8:9]
	s_cbranch_vccnz .LBB473_1691
; %bb.1684:
	v_and_b32_e32 v1, 0x7fffffff, v8
	s_mov_b32 s8, 0x43800000
	v_cmp_gt_u32_e32 vcc, s8, v1
	v_mov_b32_e32 v5, 0x80
	s_and_saveexec_b64 s[8:9], vcc
	s_cbranch_execz .LBB473_1690
; %bb.1685:
	s_mov_b32 s10, 0x3bffffff
	v_cmp_lt_u32_e32 vcc, s10, v1
	s_mov_b64 s[10:11], 0
                                        ; implicit-def: $vgpr1
	s_and_saveexec_b64 s[12:13], vcc
	s_xor_b64 s[12:13], exec, s[12:13]
	s_cbranch_execz .LBB473_2139
; %bb.1686:
	v_bfe_u32 v1, v8, 20, 1
	s_mov_b32 s16, 0x487ffff
	v_add3_u32 v1, v8, v1, s16
	s_mov_b64 s[10:11], exec
	v_lshrrev_b32_e32 v1, 20, v1
	s_andn2_saveexec_b64 s[12:13], s[12:13]
	s_cbranch_execnz .LBB473_2140
.LBB473_1687:
	s_or_b64 exec, exec, s[12:13]
	v_mov_b32_e32 v5, 0
	s_and_saveexec_b64 s[12:13], s[10:11]
.LBB473_1688:
	v_lshrrev_b32_e32 v5, 24, v8
	s_movk_i32 s10, 0x80
	v_and_or_b32 v5, v5, s10, v1
.LBB473_1689:
	s_or_b64 exec, exec, s[12:13]
.LBB473_1690:
	s_or_b64 exec, exec, s[8:9]
	global_store_byte v[6:7], v5, off
.LBB473_1691:
	s_mov_b64 s[8:9], -1
.LBB473_1692:
	s_mov_b64 s[10:11], 0
.LBB473_1693:
	s_and_b64 vcc, exec, s[10:11]
	s_cbranch_vccz .LBB473_1733
; %bb.1694:
	s_cmp_gt_i32 s15, 22
	s_mov_b64 s[6:7], -1
	s_cbranch_scc0 .LBB473_1726
; %bb.1695:
	s_cmp_lt_i32 s15, 24
	s_cbranch_scc1 .LBB473_1715
; %bb.1696:
	s_cmp_gt_i32 s15, 24
	s_cbranch_scc0 .LBB473_1704
; %bb.1697:
	v_and_b32_e32 v1, 0x7fffffff, v8
	s_mov_b32 s6, 0x47800000
	v_cmp_gt_u32_e32 vcc, s6, v1
	v_mov_b32_e32 v5, 0x80
	s_and_saveexec_b64 s[6:7], vcc
	s_cbranch_execz .LBB473_1703
; %bb.1698:
	s_mov_b32 s8, 0x37ffffff
	v_cmp_lt_u32_e32 vcc, s8, v1
	s_mov_b64 s[8:9], 0
                                        ; implicit-def: $vgpr1
	s_and_saveexec_b64 s[10:11], vcc
	s_xor_b64 s[10:11], exec, s[10:11]
	s_cbranch_execz .LBB473_2142
; %bb.1699:
	v_bfe_u32 v1, v8, 21, 1
	s_mov_b32 s12, 0x88fffff
	v_add3_u32 v1, v8, v1, s12
	s_mov_b64 s[8:9], exec
	v_lshrrev_b32_e32 v1, 21, v1
	s_andn2_saveexec_b64 s[10:11], s[10:11]
	s_cbranch_execnz .LBB473_2143
.LBB473_1700:
	s_or_b64 exec, exec, s[10:11]
	v_mov_b32_e32 v5, 0
	s_and_saveexec_b64 s[10:11], s[8:9]
.LBB473_1701:
	v_lshrrev_b32_e32 v5, 24, v8
	s_movk_i32 s8, 0x80
	v_and_or_b32 v5, v5, s8, v1
.LBB473_1702:
	s_or_b64 exec, exec, s[10:11]
.LBB473_1703:
	s_or_b64 exec, exec, s[6:7]
	s_mov_b64 s[6:7], 0
	global_store_byte v[6:7], v5, off
.LBB473_1704:
	s_and_b64 vcc, exec, s[6:7]
	s_cbranch_vccz .LBB473_1714
; %bb.1705:
	v_and_b32_e32 v5, 0x7fffffff, v8
	s_mov_b32 s6, 0x43f00000
	v_cmp_gt_u32_e32 vcc, s6, v5
                                        ; implicit-def: $vgpr1
	s_and_saveexec_b64 s[6:7], vcc
	s_xor_b64 s[6:7], exec, s[6:7]
	s_cbranch_execz .LBB473_1711
; %bb.1706:
	s_mov_b32 s8, 0x3c7fffff
	v_cmp_lt_u32_e32 vcc, s8, v5
                                        ; implicit-def: $vgpr1
	s_and_saveexec_b64 s[8:9], vcc
	s_xor_b64 s[8:9], exec, s[8:9]
; %bb.1707:
	v_bfe_u32 v1, v8, 20, 1
	s_mov_b32 s10, 0x407ffff
	v_add3_u32 v1, v8, v1, s10
	v_lshrrev_b32_e32 v5, 20, v1
	v_and_b32_e32 v1, 0xff00000, v1
	s_mov_b32 s10, 0x7f00000
	v_mov_b32_e32 v9, 0x7e
	v_cmp_ne_u32_e32 vcc, s10, v1
	s_nop 1
	v_cndmask_b32_e32 v1, v9, v5, vcc
; %bb.1708:
	s_andn2_saveexec_b64 s[8:9], s[8:9]
; %bb.1709:
	s_mov_b32 s10, 0x46800000
	v_add_f32_e64 v1, |v8|, s10
; %bb.1710:
	s_or_b64 exec, exec, s[8:9]
                                        ; implicit-def: $vgpr5
.LBB473_1711:
	s_andn2_saveexec_b64 s[6:7], s[6:7]
; %bb.1712:
	s_mov_b32 s8, 0x7f800000
	v_mov_b32_e32 v1, 0x7e
	v_mov_b32_e32 v9, 0x7f
	v_cmp_lt_u32_e32 vcc, s8, v5
	s_nop 1
	v_cndmask_b32_e32 v1, v1, v9, vcc
; %bb.1713:
	s_or_b64 exec, exec, s[6:7]
	v_lshrrev_b32_e32 v5, 24, v8
	s_movk_i32 s6, 0x80
	v_and_or_b32 v1, v5, s6, v1
	global_store_byte v[6:7], v1, off
.LBB473_1714:
	s_mov_b64 s[6:7], 0
.LBB473_1715:
	s_andn2_b64 vcc, exec, s[6:7]
	s_cbranch_vccnz .LBB473_1725
; %bb.1716:
	v_and_b32_e32 v5, 0x7fffffff, v8
	s_mov_b32 s6, 0x47800000
	v_cmp_gt_u32_e32 vcc, s6, v5
                                        ; implicit-def: $vgpr1
	s_and_saveexec_b64 s[6:7], vcc
	s_xor_b64 s[6:7], exec, s[6:7]
	s_cbranch_execz .LBB473_1722
; %bb.1717:
	s_mov_b32 s8, 0x387fffff
	v_cmp_lt_u32_e32 vcc, s8, v5
                                        ; implicit-def: $vgpr1
	s_and_saveexec_b64 s[8:9], vcc
	s_xor_b64 s[8:9], exec, s[8:9]
; %bb.1718:
	v_bfe_u32 v1, v8, 21, 1
	s_mov_b32 s10, 0x80fffff
	v_add3_u32 v1, v8, v1, s10
	v_lshrrev_b32_e32 v1, 21, v1
; %bb.1719:
	s_andn2_saveexec_b64 s[8:9], s[8:9]
; %bb.1720:
	s_mov_b32 s10, 0x43000000
	v_add_f32_e64 v1, |v8|, s10
; %bb.1721:
	s_or_b64 exec, exec, s[8:9]
                                        ; implicit-def: $vgpr5
.LBB473_1722:
	s_andn2_saveexec_b64 s[6:7], s[6:7]
; %bb.1723:
	s_mov_b32 s8, 0x7f800000
	v_mov_b32_e32 v1, 0x7c
	v_mov_b32_e32 v9, 0x7f
	v_cmp_lt_u32_e32 vcc, s8, v5
	s_nop 1
	v_cndmask_b32_e32 v1, v1, v9, vcc
; %bb.1724:
	s_or_b64 exec, exec, s[6:7]
	v_lshrrev_b32_e32 v5, 24, v8
	s_movk_i32 s6, 0x80
	v_and_or_b32 v1, v5, s6, v1
	global_store_byte v[6:7], v1, off
.LBB473_1725:
	s_mov_b64 s[6:7], 0
	s_mov_b64 s[8:9], -1
.LBB473_1726:
	s_andn2_b64 vcc, exec, s[6:7]
	s_mov_b64 s[6:7], 0
	s_cbranch_vccnz .LBB473_1733
; %bb.1727:
	s_cmp_gt_i32 s15, 14
	s_mov_b64 s[10:11], -1
	s_cbranch_scc0 .LBB473_1731
; %bb.1728:
	s_cmp_eq_u32 s15, 15
	s_mov_b64 s[0:1], -1
	s_cbranch_scc0 .LBB473_1730
; %bb.1729:
	v_bfe_u32 v1, v8, 16, 1
	s_movk_i32 s0, 0x7fff
	v_add3_u32 v1, v8, v1, s0
	v_cmp_o_f32_e32 vcc, v8, v8
	v_mov_b32_e32 v5, 0x7fc0
	s_mov_b64 s[0:1], 0
	v_cndmask_b32_sdwa v1, v5, v1, vcc dst_sel:DWORD dst_unused:UNUSED_PAD src0_sel:DWORD src1_sel:WORD_1
	global_store_short v[6:7], v1, off
	s_mov_b64 s[8:9], -1
.LBB473_1730:
	s_mov_b64 s[10:11], 0
.LBB473_1731:
	s_and_b64 vcc, exec, s[10:11]
	s_cbranch_vccz .LBB473_1733
; %bb.1732:
	s_cmp_lg_u32 s15, 11
	s_mov_b64 s[6:7], -1
	s_cselect_b64 s[0:1], -1, 0
.LBB473_1733:
	s_and_b64 vcc, exec, s[0:1]
	s_cbranch_vccnz .LBB473_2141
; %bb.1734:
	s_andn2_b64 vcc, exec, s[6:7]
	s_cbranch_vccnz .LBB473_1736
.LBB473_1735:
	v_cmp_neq_f32_e32 vcc, 0, v8
	s_mov_b64 s[8:9], -1
	s_nop 0
	v_cndmask_b32_e64 v1, 0, 1, vcc
	global_store_byte v[6:7], v1, off
.LBB473_1736:
	s_mov_b64 s[0:1], 0
	s_branch .LBB473_1738
.LBB473_1737:
	s_mov_b64 s[0:1], -1
	s_mov_b64 s[8:9], 0
.LBB473_1738:
	s_and_b64 vcc, exec, s[0:1]
	s_cbranch_vccz .LBB473_1777
; %bb.1739:
	s_and_b32 s6, 0xffff, s14
	s_cmp_lt_i32 s6, 5
	s_mov_b64 s[0:1], -1
	s_cbranch_scc1 .LBB473_1760
; %bb.1740:
	s_cmp_lt_i32 s6, 8
	s_cbranch_scc1 .LBB473_1750
; %bb.1741:
	s_cmp_lt_i32 s6, 9
	s_cbranch_scc1 .LBB473_1747
; %bb.1742:
	s_cmp_gt_i32 s6, 9
	s_cbranch_scc0 .LBB473_1744
; %bb.1743:
	v_mov_b32_e32 v16, 0
	v_cvt_f64_f32_e32 v[14:15], v8
	v_mov_b32_e32 v17, v16
	global_store_dwordx4 v[6:7], v[14:17], off
	s_mov_b64 s[0:1], 0
.LBB473_1744:
	s_andn2_b64 vcc, exec, s[0:1]
	s_cbranch_vccnz .LBB473_1746
; %bb.1745:
	v_mov_b32_e32 v9, 0
	global_store_dwordx2 v[6:7], v[8:9], off
.LBB473_1746:
	s_mov_b64 s[0:1], 0
.LBB473_1747:
	s_andn2_b64 vcc, exec, s[0:1]
	s_cbranch_vccnz .LBB473_1749
; %bb.1748:
	v_cvt_f16_f32_e32 v1, v8
	global_store_dword v[6:7], v1, off
.LBB473_1749:
	s_mov_b64 s[0:1], 0
.LBB473_1750:
	s_andn2_b64 vcc, exec, s[0:1]
	s_cbranch_vccnz .LBB473_1759
; %bb.1751:
	s_cmp_lt_i32 s6, 6
	s_mov_b64 s[0:1], -1
	s_cbranch_scc1 .LBB473_1757
; %bb.1752:
	s_cmp_gt_i32 s6, 6
	s_cbranch_scc0 .LBB473_1754
; %bb.1753:
	v_cvt_f64_f32_e32 v[14:15], v8
	global_store_dwordx2 v[6:7], v[14:15], off
	s_mov_b64 s[0:1], 0
.LBB473_1754:
	s_andn2_b64 vcc, exec, s[0:1]
	s_cbranch_vccnz .LBB473_1756
; %bb.1755:
	global_store_dword v[6:7], v8, off
.LBB473_1756:
	s_mov_b64 s[0:1], 0
.LBB473_1757:
	s_andn2_b64 vcc, exec, s[0:1]
	s_cbranch_vccnz .LBB473_1759
; %bb.1758:
	v_cvt_f16_f32_e32 v1, v8
	global_store_short v[6:7], v1, off
.LBB473_1759:
	s_mov_b64 s[0:1], 0
.LBB473_1760:
	s_andn2_b64 vcc, exec, s[0:1]
	s_cbranch_vccnz .LBB473_1776
; %bb.1761:
	s_cmp_lt_i32 s6, 2
	s_mov_b64 s[0:1], -1
	s_cbranch_scc1 .LBB473_1771
; %bb.1762:
	s_cmp_lt_i32 s6, 3
	s_cbranch_scc1 .LBB473_1768
; %bb.1763:
	s_cmp_gt_i32 s6, 3
	s_cbranch_scc0 .LBB473_1765
; %bb.1764:
	v_trunc_f32_e32 v1, v8
	s_mov_b32 s0, 0x2f800000
	v_mul_f32_e64 v5, |v1|, s0
	v_floor_f32_e32 v5, v5
	s_mov_b32 s0, 0xcf800000
	v_cvt_u32_f32_e32 v9, v5
	v_fma_f32 v5, v5, s0, |v1|
	v_cvt_u32_f32_e32 v5, v5
	v_ashrrev_i32_e32 v1, 31, v1
	v_xor_b32_e32 v9, v9, v1
	s_mov_b64 s[0:1], 0
	v_xor_b32_e32 v5, v5, v1
	v_sub_co_u32_e32 v14, vcc, v5, v1
	s_nop 1
	v_subb_co_u32_e32 v15, vcc, v9, v1, vcc
	global_store_dwordx2 v[6:7], v[14:15], off
.LBB473_1765:
	s_andn2_b64 vcc, exec, s[0:1]
	s_cbranch_vccnz .LBB473_1767
; %bb.1766:
	v_cvt_i32_f32_e32 v1, v8
	global_store_dword v[6:7], v1, off
.LBB473_1767:
	s_mov_b64 s[0:1], 0
.LBB473_1768:
	s_andn2_b64 vcc, exec, s[0:1]
	s_cbranch_vccnz .LBB473_1770
; %bb.1769:
	v_cvt_i32_f32_e32 v1, v8
	global_store_short v[6:7], v1, off
.LBB473_1770:
	s_mov_b64 s[0:1], 0
.LBB473_1771:
	s_andn2_b64 vcc, exec, s[0:1]
	s_cbranch_vccnz .LBB473_1776
; %bb.1772:
	s_cmp_gt_i32 s6, 0
	s_mov_b64 s[0:1], -1
	s_cbranch_scc0 .LBB473_1774
; %bb.1773:
	v_cvt_i32_f32_e32 v1, v8
	s_mov_b64 s[0:1], 0
	global_store_byte v[6:7], v1, off
.LBB473_1774:
	s_andn2_b64 vcc, exec, s[0:1]
	s_cbranch_vccnz .LBB473_1776
; %bb.1775:
	v_trunc_f32_e32 v1, v8
	s_mov_b32 s0, 0x2f800000
	v_mul_f32_e64 v5, |v1|, s0
	v_floor_f32_e32 v5, v5
	s_mov_b32 s0, 0xcf800000
	v_fma_f32 v5, v5, s0, |v1|
	v_cvt_u32_f32_e32 v5, v5
	v_ashrrev_i32_e32 v1, 31, v1
	v_xor_b32_e32 v5, v5, v1
	v_sub_u32_e32 v1, v5, v1
	global_store_byte v[6:7], v1, off
.LBB473_1776:
	s_mov_b64 s[8:9], -1
.LBB473_1777:
	s_andn2_b64 vcc, exec, s[8:9]
	s_cbranch_vccnz .LBB473_2092
; %bb.1778:
	v_max_f32_e32 v1, v3, v3
	v_min_f32_e32 v1, v1, v11
	v_cmp_u_f32_e32 vcc, v3, v3
	v_mov_b32_e32 v5, 0
	s_and_b32 s15, 0xffff, s14
	v_cndmask_b32_e32 v6, v1, v3, vcc
	s_cmp_lt_i32 s15, 11
	v_lshl_add_u64 v[4:5], s[4:5], 0, v[4:5]
	s_cbranch_scc1 .LBB473_1856
; %bb.1779:
	s_mov_b64 s[10:11], -1
	s_mov_b64 s[6:7], 0
	s_cmp_gt_i32 s15, 25
	s_mov_b64 s[8:9], 0
	s_mov_b64 s[0:1], 0
	s_cbranch_scc0 .LBB473_1812
; %bb.1780:
	s_cmp_gt_i32 s15, 28
	s_cbranch_scc0 .LBB473_1795
; %bb.1781:
	s_cmp_gt_i32 s15, 43
	s_cbranch_scc0 .LBB473_1791
; %bb.1782:
	s_cmp_gt_i32 s15, 45
	s_cbranch_scc0 .LBB473_1785
; %bb.1783:
	s_mov_b64 s[0:1], -1
	s_mov_b64 s[10:11], 0
	s_cmp_eq_u32 s15, 46
	s_cbranch_scc0 .LBB473_1785
; %bb.1784:
	v_bfe_u32 v1, v6, 16, 1
	s_movk_i32 s0, 0x7fff
	v_add3_u32 v1, v6, v1, s0
	v_cmp_o_f32_e32 vcc, v6, v6
	v_mov_b32_e32 v3, 0x7fc0
	s_mov_b64 s[0:1], 0
	v_cndmask_b32_sdwa v1, v3, v1, vcc dst_sel:DWORD dst_unused:UNUSED_PAD src0_sel:DWORD src1_sel:WORD_1
	global_store_dword v[4:5], v1, off
	s_mov_b64 s[8:9], -1
.LBB473_1785:
	s_and_b64 vcc, exec, s[10:11]
	s_cbranch_vccz .LBB473_1790
; %bb.1786:
	s_cmp_eq_u32 s15, 44
	s_mov_b64 s[0:1], -1
	s_cbranch_scc0 .LBB473_1790
; %bb.1787:
	v_bfe_u32 v1, v6, 23, 8
	s_movk_i32 s0, 0xff
	v_cmp_ne_u32_e32 vcc, s0, v1
	v_mov_b32_e32 v3, 0xff
	s_and_saveexec_b64 s[8:9], vcc
; %bb.1788:
	s_mov_b32 s0, 0x3fffff
	v_and_b32_e32 v7, 0x400000, v6
	v_and_or_b32 v1, v6, s0, v1
	v_cmp_ne_u32_e32 vcc, 0, v7
	v_cmp_ne_u32_e64 s[0:1], 0, v1
	s_and_b64 s[0:1], vcc, s[0:1]
	v_lshrrev_b32_e32 v3, 23, v6
	v_cndmask_b32_e64 v1, 0, 1, s[0:1]
	v_add_u32_e32 v3, v3, v1
; %bb.1789:
	s_or_b64 exec, exec, s[8:9]
	s_mov_b64 s[0:1], 0
	s_mov_b64 s[8:9], -1
	global_store_byte v[4:5], v3, off
.LBB473_1790:
	s_mov_b64 s[10:11], 0
.LBB473_1791:
	s_and_b64 vcc, exec, s[10:11]
	s_cbranch_vccz .LBB473_1794
; %bb.1792:
	s_cmp_eq_u32 s15, 29
	s_mov_b64 s[0:1], -1
	s_cbranch_scc0 .LBB473_1794
; %bb.1793:
	v_trunc_f32_e32 v1, v6
	v_mul_f32_e32 v3, 0x2f800000, v1
	v_floor_f32_e32 v3, v3
	v_fmamk_f32 v1, v3, 0xcf800000, v1
	v_cvt_u32_f32_e32 v9, v3
	v_cvt_u32_f32_e32 v8, v1
	s_mov_b64 s[0:1], 0
	s_mov_b64 s[8:9], -1
	global_store_dwordx2 v[4:5], v[8:9], off
.LBB473_1794:
	s_mov_b64 s[10:11], 0
.LBB473_1795:
	s_and_b64 vcc, exec, s[10:11]
	s_cbranch_vccz .LBB473_1811
; %bb.1796:
	s_cmp_lt_i32 s15, 27
	s_mov_b64 s[8:9], -1
	s_cbranch_scc1 .LBB473_1802
; %bb.1797:
	s_cmp_gt_i32 s15, 27
	s_cbranch_scc0 .LBB473_1799
; %bb.1798:
	v_cvt_u32_f32_e32 v1, v6
	s_mov_b64 s[8:9], 0
	global_store_dword v[4:5], v1, off
.LBB473_1799:
	s_andn2_b64 vcc, exec, s[8:9]
	s_cbranch_vccnz .LBB473_1801
; %bb.1800:
	v_cvt_u32_f32_e32 v1, v6
	global_store_short v[4:5], v1, off
.LBB473_1801:
	s_mov_b64 s[8:9], 0
.LBB473_1802:
	s_andn2_b64 vcc, exec, s[8:9]
	s_cbranch_vccnz .LBB473_1810
; %bb.1803:
	v_and_b32_e32 v1, 0x7fffffff, v6
	s_mov_b32 s8, 0x43800000
	v_cmp_gt_u32_e32 vcc, s8, v1
	v_mov_b32_e32 v3, 0x80
	s_and_saveexec_b64 s[8:9], vcc
	s_cbranch_execz .LBB473_1809
; %bb.1804:
	s_mov_b32 s10, 0x3bffffff
	v_cmp_lt_u32_e32 vcc, s10, v1
	s_mov_b64 s[10:11], 0
                                        ; implicit-def: $vgpr1
	s_and_saveexec_b64 s[12:13], vcc
	s_xor_b64 s[12:13], exec, s[12:13]
	s_cbranch_execz .LBB473_2144
; %bb.1805:
	v_bfe_u32 v1, v6, 20, 1
	s_mov_b32 s16, 0x487ffff
	v_add3_u32 v1, v6, v1, s16
	s_mov_b64 s[10:11], exec
	v_lshrrev_b32_e32 v1, 20, v1
	s_andn2_saveexec_b64 s[12:13], s[12:13]
	s_cbranch_execnz .LBB473_2145
.LBB473_1806:
	s_or_b64 exec, exec, s[12:13]
	v_mov_b32_e32 v3, 0
	s_and_saveexec_b64 s[12:13], s[10:11]
.LBB473_1807:
	v_lshrrev_b32_e32 v3, 24, v6
	s_movk_i32 s10, 0x80
	v_and_or_b32 v3, v3, s10, v1
.LBB473_1808:
	s_or_b64 exec, exec, s[12:13]
.LBB473_1809:
	s_or_b64 exec, exec, s[8:9]
	global_store_byte v[4:5], v3, off
.LBB473_1810:
	s_mov_b64 s[8:9], -1
.LBB473_1811:
	s_mov_b64 s[10:11], 0
.LBB473_1812:
	s_and_b64 vcc, exec, s[10:11]
	s_cbranch_vccz .LBB473_1852
; %bb.1813:
	s_cmp_gt_i32 s15, 22
	s_mov_b64 s[6:7], -1
	s_cbranch_scc0 .LBB473_1845
; %bb.1814:
	s_cmp_lt_i32 s15, 24
	s_cbranch_scc1 .LBB473_1834
; %bb.1815:
	s_cmp_gt_i32 s15, 24
	s_cbranch_scc0 .LBB473_1823
; %bb.1816:
	v_and_b32_e32 v1, 0x7fffffff, v6
	s_mov_b32 s6, 0x47800000
	v_cmp_gt_u32_e32 vcc, s6, v1
	v_mov_b32_e32 v3, 0x80
	s_and_saveexec_b64 s[6:7], vcc
	s_cbranch_execz .LBB473_1822
; %bb.1817:
	s_mov_b32 s8, 0x37ffffff
	v_cmp_lt_u32_e32 vcc, s8, v1
	s_mov_b64 s[8:9], 0
                                        ; implicit-def: $vgpr1
	s_and_saveexec_b64 s[10:11], vcc
	s_xor_b64 s[10:11], exec, s[10:11]
	s_cbranch_execz .LBB473_2147
; %bb.1818:
	v_bfe_u32 v1, v6, 21, 1
	s_mov_b32 s12, 0x88fffff
	v_add3_u32 v1, v6, v1, s12
	s_mov_b64 s[8:9], exec
	v_lshrrev_b32_e32 v1, 21, v1
	s_andn2_saveexec_b64 s[10:11], s[10:11]
	s_cbranch_execnz .LBB473_2148
.LBB473_1819:
	s_or_b64 exec, exec, s[10:11]
	v_mov_b32_e32 v3, 0
	s_and_saveexec_b64 s[10:11], s[8:9]
.LBB473_1820:
	v_lshrrev_b32_e32 v3, 24, v6
	s_movk_i32 s8, 0x80
	v_and_or_b32 v3, v3, s8, v1
.LBB473_1821:
	s_or_b64 exec, exec, s[10:11]
.LBB473_1822:
	s_or_b64 exec, exec, s[6:7]
	s_mov_b64 s[6:7], 0
	global_store_byte v[4:5], v3, off
.LBB473_1823:
	s_and_b64 vcc, exec, s[6:7]
	s_cbranch_vccz .LBB473_1833
; %bb.1824:
	v_and_b32_e32 v3, 0x7fffffff, v6
	s_mov_b32 s6, 0x43f00000
	v_cmp_gt_u32_e32 vcc, s6, v3
                                        ; implicit-def: $vgpr1
	s_and_saveexec_b64 s[6:7], vcc
	s_xor_b64 s[6:7], exec, s[6:7]
	s_cbranch_execz .LBB473_1830
; %bb.1825:
	s_mov_b32 s8, 0x3c7fffff
	v_cmp_lt_u32_e32 vcc, s8, v3
                                        ; implicit-def: $vgpr1
	s_and_saveexec_b64 s[8:9], vcc
	s_xor_b64 s[8:9], exec, s[8:9]
; %bb.1826:
	v_bfe_u32 v1, v6, 20, 1
	s_mov_b32 s10, 0x407ffff
	v_add3_u32 v1, v6, v1, s10
	v_lshrrev_b32_e32 v3, 20, v1
	v_and_b32_e32 v1, 0xff00000, v1
	s_mov_b32 s10, 0x7f00000
	v_mov_b32_e32 v7, 0x7e
	v_cmp_ne_u32_e32 vcc, s10, v1
	s_nop 1
	v_cndmask_b32_e32 v1, v7, v3, vcc
; %bb.1827:
	s_andn2_saveexec_b64 s[8:9], s[8:9]
; %bb.1828:
	s_mov_b32 s10, 0x46800000
	v_add_f32_e64 v1, |v6|, s10
; %bb.1829:
	s_or_b64 exec, exec, s[8:9]
                                        ; implicit-def: $vgpr3
.LBB473_1830:
	s_andn2_saveexec_b64 s[6:7], s[6:7]
; %bb.1831:
	s_mov_b32 s8, 0x7f800000
	v_mov_b32_e32 v1, 0x7e
	v_mov_b32_e32 v7, 0x7f
	v_cmp_lt_u32_e32 vcc, s8, v3
	s_nop 1
	v_cndmask_b32_e32 v1, v1, v7, vcc
; %bb.1832:
	s_or_b64 exec, exec, s[6:7]
	v_lshrrev_b32_e32 v3, 24, v6
	s_movk_i32 s6, 0x80
	v_and_or_b32 v1, v3, s6, v1
	global_store_byte v[4:5], v1, off
.LBB473_1833:
	s_mov_b64 s[6:7], 0
.LBB473_1834:
	s_andn2_b64 vcc, exec, s[6:7]
	s_cbranch_vccnz .LBB473_1844
; %bb.1835:
	v_and_b32_e32 v3, 0x7fffffff, v6
	s_mov_b32 s6, 0x47800000
	v_cmp_gt_u32_e32 vcc, s6, v3
                                        ; implicit-def: $vgpr1
	s_and_saveexec_b64 s[6:7], vcc
	s_xor_b64 s[6:7], exec, s[6:7]
	s_cbranch_execz .LBB473_1841
; %bb.1836:
	s_mov_b32 s8, 0x387fffff
	v_cmp_lt_u32_e32 vcc, s8, v3
                                        ; implicit-def: $vgpr1
	s_and_saveexec_b64 s[8:9], vcc
	s_xor_b64 s[8:9], exec, s[8:9]
; %bb.1837:
	v_bfe_u32 v1, v6, 21, 1
	s_mov_b32 s10, 0x80fffff
	v_add3_u32 v1, v6, v1, s10
	v_lshrrev_b32_e32 v1, 21, v1
; %bb.1838:
	s_andn2_saveexec_b64 s[8:9], s[8:9]
; %bb.1839:
	s_mov_b32 s10, 0x43000000
	v_add_f32_e64 v1, |v6|, s10
; %bb.1840:
	s_or_b64 exec, exec, s[8:9]
                                        ; implicit-def: $vgpr3
.LBB473_1841:
	s_andn2_saveexec_b64 s[6:7], s[6:7]
; %bb.1842:
	s_mov_b32 s8, 0x7f800000
	v_mov_b32_e32 v1, 0x7c
	v_mov_b32_e32 v7, 0x7f
	v_cmp_lt_u32_e32 vcc, s8, v3
	s_nop 1
	v_cndmask_b32_e32 v1, v1, v7, vcc
; %bb.1843:
	s_or_b64 exec, exec, s[6:7]
	v_lshrrev_b32_e32 v3, 24, v6
	s_movk_i32 s6, 0x80
	v_and_or_b32 v1, v3, s6, v1
	global_store_byte v[4:5], v1, off
.LBB473_1844:
	s_mov_b64 s[6:7], 0
	s_mov_b64 s[8:9], -1
.LBB473_1845:
	s_andn2_b64 vcc, exec, s[6:7]
	s_mov_b64 s[6:7], 0
	s_cbranch_vccnz .LBB473_1852
; %bb.1846:
	s_cmp_gt_i32 s15, 14
	s_mov_b64 s[10:11], -1
	s_cbranch_scc0 .LBB473_1850
; %bb.1847:
	s_cmp_eq_u32 s15, 15
	s_mov_b64 s[0:1], -1
	s_cbranch_scc0 .LBB473_1849
; %bb.1848:
	v_bfe_u32 v1, v6, 16, 1
	s_movk_i32 s0, 0x7fff
	v_add3_u32 v1, v6, v1, s0
	v_cmp_o_f32_e32 vcc, v6, v6
	v_mov_b32_e32 v3, 0x7fc0
	s_mov_b64 s[0:1], 0
	v_cndmask_b32_sdwa v1, v3, v1, vcc dst_sel:DWORD dst_unused:UNUSED_PAD src0_sel:DWORD src1_sel:WORD_1
	global_store_short v[4:5], v1, off
	s_mov_b64 s[8:9], -1
.LBB473_1849:
	s_mov_b64 s[10:11], 0
.LBB473_1850:
	s_and_b64 vcc, exec, s[10:11]
	s_cbranch_vccz .LBB473_1852
; %bb.1851:
	s_cmp_lg_u32 s15, 11
	s_mov_b64 s[6:7], -1
	s_cselect_b64 s[0:1], -1, 0
.LBB473_1852:
	s_and_b64 vcc, exec, s[0:1]
	s_cbranch_vccnz .LBB473_2146
; %bb.1853:
	s_andn2_b64 vcc, exec, s[6:7]
	s_cbranch_vccnz .LBB473_1855
.LBB473_1854:
	v_cmp_neq_f32_e32 vcc, 0, v6
	s_mov_b64 s[8:9], -1
	s_nop 0
	v_cndmask_b32_e64 v1, 0, 1, vcc
	global_store_byte v[4:5], v1, off
.LBB473_1855:
	s_mov_b64 s[0:1], 0
	s_branch .LBB473_1857
.LBB473_1856:
	s_mov_b64 s[0:1], -1
	s_mov_b64 s[8:9], 0
.LBB473_1857:
	s_and_b64 vcc, exec, s[0:1]
	s_cbranch_vccz .LBB473_1896
; %bb.1858:
	s_cmp_lt_i32 s15, 5
	s_mov_b64 s[0:1], -1
	s_cbranch_scc1 .LBB473_1879
; %bb.1859:
	s_cmp_lt_i32 s15, 8
	s_cbranch_scc1 .LBB473_1869
; %bb.1860:
	s_cmp_lt_i32 s15, 9
	s_cbranch_scc1 .LBB473_1866
; %bb.1861:
	s_cmp_gt_i32 s15, 9
	s_cbranch_scc0 .LBB473_1863
; %bb.1862:
	v_mov_b32_e32 v16, 0
	v_cvt_f64_f32_e32 v[14:15], v6
	v_mov_b32_e32 v17, v16
	global_store_dwordx4 v[4:5], v[14:17], off
	s_mov_b64 s[0:1], 0
.LBB473_1863:
	s_andn2_b64 vcc, exec, s[0:1]
	s_cbranch_vccnz .LBB473_1865
; %bb.1864:
	v_mov_b32_e32 v7, 0
	global_store_dwordx2 v[4:5], v[6:7], off
.LBB473_1865:
	s_mov_b64 s[0:1], 0
.LBB473_1866:
	s_andn2_b64 vcc, exec, s[0:1]
	s_cbranch_vccnz .LBB473_1868
; %bb.1867:
	v_cvt_f16_f32_e32 v1, v6
	global_store_dword v[4:5], v1, off
.LBB473_1868:
	s_mov_b64 s[0:1], 0
.LBB473_1869:
	s_andn2_b64 vcc, exec, s[0:1]
	s_cbranch_vccnz .LBB473_1878
; %bb.1870:
	s_cmp_lt_i32 s15, 6
	s_mov_b64 s[0:1], -1
	s_cbranch_scc1 .LBB473_1876
; %bb.1871:
	s_cmp_gt_i32 s15, 6
	s_cbranch_scc0 .LBB473_1873
; %bb.1872:
	v_cvt_f64_f32_e32 v[8:9], v6
	global_store_dwordx2 v[4:5], v[8:9], off
	s_mov_b64 s[0:1], 0
.LBB473_1873:
	s_andn2_b64 vcc, exec, s[0:1]
	s_cbranch_vccnz .LBB473_1875
; %bb.1874:
	global_store_dword v[4:5], v6, off
.LBB473_1875:
	s_mov_b64 s[0:1], 0
.LBB473_1876:
	s_andn2_b64 vcc, exec, s[0:1]
	s_cbranch_vccnz .LBB473_1878
; %bb.1877:
	v_cvt_f16_f32_e32 v1, v6
	global_store_short v[4:5], v1, off
.LBB473_1878:
	s_mov_b64 s[0:1], 0
.LBB473_1879:
	s_andn2_b64 vcc, exec, s[0:1]
	s_cbranch_vccnz .LBB473_1895
; %bb.1880:
	s_cmp_lt_i32 s15, 2
	s_mov_b64 s[0:1], -1
	s_cbranch_scc1 .LBB473_1890
; %bb.1881:
	s_cmp_lt_i32 s15, 3
	s_cbranch_scc1 .LBB473_1887
; %bb.1882:
	s_cmp_gt_i32 s15, 3
	s_cbranch_scc0 .LBB473_1884
; %bb.1883:
	v_trunc_f32_e32 v1, v6
	s_mov_b32 s0, 0x2f800000
	v_mul_f32_e64 v3, |v1|, s0
	v_floor_f32_e32 v3, v3
	s_mov_b32 s0, 0xcf800000
	v_cvt_u32_f32_e32 v7, v3
	v_fma_f32 v3, v3, s0, |v1|
	v_cvt_u32_f32_e32 v3, v3
	v_ashrrev_i32_e32 v1, 31, v1
	v_xor_b32_e32 v7, v7, v1
	s_mov_b64 s[0:1], 0
	v_xor_b32_e32 v3, v3, v1
	v_sub_co_u32_e32 v8, vcc, v3, v1
	s_nop 1
	v_subb_co_u32_e32 v9, vcc, v7, v1, vcc
	global_store_dwordx2 v[4:5], v[8:9], off
.LBB473_1884:
	s_andn2_b64 vcc, exec, s[0:1]
	s_cbranch_vccnz .LBB473_1886
; %bb.1885:
	v_cvt_i32_f32_e32 v1, v6
	global_store_dword v[4:5], v1, off
.LBB473_1886:
	s_mov_b64 s[0:1], 0
.LBB473_1887:
	s_andn2_b64 vcc, exec, s[0:1]
	s_cbranch_vccnz .LBB473_1889
; %bb.1888:
	v_cvt_i32_f32_e32 v1, v6
	global_store_short v[4:5], v1, off
.LBB473_1889:
	s_mov_b64 s[0:1], 0
.LBB473_1890:
	s_andn2_b64 vcc, exec, s[0:1]
	s_cbranch_vccnz .LBB473_1895
; %bb.1891:
	s_cmp_gt_i32 s15, 0
	s_mov_b64 s[0:1], -1
	s_cbranch_scc0 .LBB473_1893
; %bb.1892:
	v_cvt_i32_f32_e32 v1, v6
	s_mov_b64 s[0:1], 0
	global_store_byte v[4:5], v1, off
.LBB473_1893:
	s_andn2_b64 vcc, exec, s[0:1]
	s_cbranch_vccnz .LBB473_1895
; %bb.1894:
	v_trunc_f32_e32 v1, v6
	s_mov_b32 s0, 0x2f800000
	v_mul_f32_e64 v3, |v1|, s0
	v_floor_f32_e32 v3, v3
	s_mov_b32 s0, 0xcf800000
	v_fma_f32 v3, v3, s0, |v1|
	v_cvt_u32_f32_e32 v3, v3
	v_ashrrev_i32_e32 v1, 31, v1
	v_xor_b32_e32 v3, v3, v1
	v_sub_u32_e32 v1, v3, v1
	global_store_byte v[4:5], v1, off
.LBB473_1895:
	s_mov_b64 s[8:9], -1
.LBB473_1896:
	s_andn2_b64 vcc, exec, s[8:9]
	s_cbranch_vccnz .LBB473_2092
; %bb.1897:
	v_max_f32_e32 v1, v12, v12
	v_min_f32_e32 v1, v1, v11
	v_cmp_u_f32_e32 vcc, v12, v12
	v_mov_b32_e32 v3, 0
	s_cmp_lt_i32 s15, 11
	v_cndmask_b32_e32 v4, v1, v12, vcc
	v_lshl_add_u64 v[2:3], s[4:5], 0, v[2:3]
	s_cbranch_scc1 .LBB473_1975
; %bb.1898:
	s_mov_b64 s[10:11], -1
	s_mov_b64 s[6:7], 0
	s_cmp_gt_i32 s15, 25
	s_mov_b64 s[8:9], 0
	s_mov_b64 s[0:1], 0
	s_cbranch_scc0 .LBB473_1931
; %bb.1899:
	s_cmp_gt_i32 s15, 28
	s_cbranch_scc0 .LBB473_1914
; %bb.1900:
	s_cmp_gt_i32 s15, 43
	s_cbranch_scc0 .LBB473_1910
; %bb.1901:
	s_cmp_gt_i32 s15, 45
	s_cbranch_scc0 .LBB473_1904
; %bb.1902:
	s_mov_b64 s[0:1], -1
	s_mov_b64 s[10:11], 0
	s_cmp_eq_u32 s15, 46
	s_cbranch_scc0 .LBB473_1904
; %bb.1903:
	v_bfe_u32 v1, v4, 16, 1
	s_movk_i32 s0, 0x7fff
	v_add3_u32 v1, v4, v1, s0
	v_cmp_o_f32_e32 vcc, v4, v4
	v_mov_b32_e32 v5, 0x7fc0
	s_mov_b64 s[0:1], 0
	v_cndmask_b32_sdwa v1, v5, v1, vcc dst_sel:DWORD dst_unused:UNUSED_PAD src0_sel:DWORD src1_sel:WORD_1
	global_store_dword v[2:3], v1, off
	s_mov_b64 s[8:9], -1
.LBB473_1904:
	s_and_b64 vcc, exec, s[10:11]
	s_cbranch_vccz .LBB473_1909
; %bb.1905:
	s_cmp_eq_u32 s15, 44
	s_mov_b64 s[0:1], -1
	s_cbranch_scc0 .LBB473_1909
; %bb.1906:
	v_bfe_u32 v1, v4, 23, 8
	s_movk_i32 s0, 0xff
	v_cmp_ne_u32_e32 vcc, s0, v1
	v_mov_b32_e32 v5, 0xff
	s_and_saveexec_b64 s[8:9], vcc
; %bb.1907:
	s_mov_b32 s0, 0x3fffff
	v_and_b32_e32 v6, 0x400000, v4
	v_and_or_b32 v1, v4, s0, v1
	v_cmp_ne_u32_e32 vcc, 0, v6
	v_cmp_ne_u32_e64 s[0:1], 0, v1
	s_and_b64 s[0:1], vcc, s[0:1]
	v_lshrrev_b32_e32 v5, 23, v4
	v_cndmask_b32_e64 v1, 0, 1, s[0:1]
	v_add_u32_e32 v5, v5, v1
; %bb.1908:
	s_or_b64 exec, exec, s[8:9]
	s_mov_b64 s[0:1], 0
	s_mov_b64 s[8:9], -1
	global_store_byte v[2:3], v5, off
.LBB473_1909:
	s_mov_b64 s[10:11], 0
.LBB473_1910:
	s_and_b64 vcc, exec, s[10:11]
	s_cbranch_vccz .LBB473_1913
; %bb.1911:
	s_cmp_eq_u32 s15, 29
	s_mov_b64 s[0:1], -1
	s_cbranch_scc0 .LBB473_1913
; %bb.1912:
	v_trunc_f32_e32 v1, v4
	v_mul_f32_e32 v5, 0x2f800000, v1
	v_floor_f32_e32 v5, v5
	v_fmamk_f32 v1, v5, 0xcf800000, v1
	v_cvt_u32_f32_e32 v7, v5
	v_cvt_u32_f32_e32 v6, v1
	s_mov_b64 s[0:1], 0
	s_mov_b64 s[8:9], -1
	global_store_dwordx2 v[2:3], v[6:7], off
.LBB473_1913:
	s_mov_b64 s[10:11], 0
.LBB473_1914:
	s_and_b64 vcc, exec, s[10:11]
	s_cbranch_vccz .LBB473_1930
; %bb.1915:
	s_cmp_lt_i32 s15, 27
	s_mov_b64 s[8:9], -1
	s_cbranch_scc1 .LBB473_1921
; %bb.1916:
	v_cvt_u32_f32_e32 v1, v4
	s_cmp_gt_i32 s15, 27
	s_cbranch_scc0 .LBB473_1918
; %bb.1917:
	s_mov_b64 s[8:9], 0
	global_store_dword v[2:3], v1, off
.LBB473_1918:
	s_andn2_b64 vcc, exec, s[8:9]
	s_cbranch_vccnz .LBB473_1920
; %bb.1919:
	global_store_short v[2:3], v1, off
.LBB473_1920:
	s_mov_b64 s[8:9], 0
.LBB473_1921:
	s_andn2_b64 vcc, exec, s[8:9]
	s_cbranch_vccnz .LBB473_1929
; %bb.1922:
	v_and_b32_e32 v1, 0x7fffffff, v4
	s_mov_b32 s8, 0x43800000
	v_cmp_gt_u32_e32 vcc, s8, v1
	v_mov_b32_e32 v5, 0x80
	s_and_saveexec_b64 s[8:9], vcc
	s_cbranch_execz .LBB473_1928
; %bb.1923:
	s_mov_b32 s10, 0x3bffffff
	v_cmp_lt_u32_e32 vcc, s10, v1
	s_mov_b64 s[10:11], 0
                                        ; implicit-def: $vgpr1
	s_and_saveexec_b64 s[12:13], vcc
	s_xor_b64 s[12:13], exec, s[12:13]
	s_cbranch_execz .LBB473_2149
; %bb.1924:
	v_bfe_u32 v1, v4, 20, 1
	s_mov_b32 s16, 0x487ffff
	v_add3_u32 v1, v4, v1, s16
	s_mov_b64 s[10:11], exec
	v_lshrrev_b32_e32 v1, 20, v1
	s_andn2_saveexec_b64 s[12:13], s[12:13]
	s_cbranch_execnz .LBB473_2150
.LBB473_1925:
	s_or_b64 exec, exec, s[12:13]
	v_mov_b32_e32 v5, 0
	s_and_saveexec_b64 s[12:13], s[10:11]
.LBB473_1926:
	v_lshrrev_b32_e32 v5, 24, v4
	s_movk_i32 s10, 0x80
	v_and_or_b32 v5, v5, s10, v1
.LBB473_1927:
	s_or_b64 exec, exec, s[12:13]
.LBB473_1928:
	s_or_b64 exec, exec, s[8:9]
	global_store_byte v[2:3], v5, off
.LBB473_1929:
	s_mov_b64 s[8:9], -1
.LBB473_1930:
	s_mov_b64 s[10:11], 0
.LBB473_1931:
	s_and_b64 vcc, exec, s[10:11]
	s_cbranch_vccz .LBB473_1971
; %bb.1932:
	s_cmp_gt_i32 s15, 22
	s_mov_b64 s[6:7], -1
	s_cbranch_scc0 .LBB473_1964
; %bb.1933:
	s_cmp_lt_i32 s15, 24
	s_cbranch_scc1 .LBB473_1953
; %bb.1934:
	s_cmp_gt_i32 s15, 24
	s_cbranch_scc0 .LBB473_1942
; %bb.1935:
	v_and_b32_e32 v1, 0x7fffffff, v4
	s_mov_b32 s6, 0x47800000
	v_cmp_gt_u32_e32 vcc, s6, v1
	v_mov_b32_e32 v5, 0x80
	s_and_saveexec_b64 s[6:7], vcc
	s_cbranch_execz .LBB473_1941
; %bb.1936:
	s_mov_b32 s8, 0x37ffffff
	v_cmp_lt_u32_e32 vcc, s8, v1
	s_mov_b64 s[8:9], 0
                                        ; implicit-def: $vgpr1
	s_and_saveexec_b64 s[10:11], vcc
	s_xor_b64 s[10:11], exec, s[10:11]
	s_cbranch_execz .LBB473_2152
; %bb.1937:
	v_bfe_u32 v1, v4, 21, 1
	s_mov_b32 s12, 0x88fffff
	v_add3_u32 v1, v4, v1, s12
	s_mov_b64 s[8:9], exec
	v_lshrrev_b32_e32 v1, 21, v1
	s_andn2_saveexec_b64 s[10:11], s[10:11]
	s_cbranch_execnz .LBB473_2153
.LBB473_1938:
	s_or_b64 exec, exec, s[10:11]
	v_mov_b32_e32 v5, 0
	s_and_saveexec_b64 s[10:11], s[8:9]
.LBB473_1939:
	v_lshrrev_b32_e32 v5, 24, v4
	s_movk_i32 s8, 0x80
	v_and_or_b32 v5, v5, s8, v1
.LBB473_1940:
	s_or_b64 exec, exec, s[10:11]
.LBB473_1941:
	s_or_b64 exec, exec, s[6:7]
	s_mov_b64 s[6:7], 0
	global_store_byte v[2:3], v5, off
.LBB473_1942:
	s_and_b64 vcc, exec, s[6:7]
	s_cbranch_vccz .LBB473_1952
; %bb.1943:
	v_and_b32_e32 v5, 0x7fffffff, v4
	s_mov_b32 s6, 0x43f00000
	v_cmp_gt_u32_e32 vcc, s6, v5
                                        ; implicit-def: $vgpr1
	s_and_saveexec_b64 s[6:7], vcc
	s_xor_b64 s[6:7], exec, s[6:7]
	s_cbranch_execz .LBB473_1949
; %bb.1944:
	s_mov_b32 s8, 0x3c7fffff
	v_cmp_lt_u32_e32 vcc, s8, v5
                                        ; implicit-def: $vgpr1
	s_and_saveexec_b64 s[8:9], vcc
	s_xor_b64 s[8:9], exec, s[8:9]
; %bb.1945:
	v_bfe_u32 v1, v4, 20, 1
	s_mov_b32 s10, 0x407ffff
	v_add3_u32 v1, v4, v1, s10
	v_lshrrev_b32_e32 v5, 20, v1
	v_and_b32_e32 v1, 0xff00000, v1
	s_mov_b32 s10, 0x7f00000
	v_mov_b32_e32 v6, 0x7e
	v_cmp_ne_u32_e32 vcc, s10, v1
	s_nop 1
	v_cndmask_b32_e32 v1, v6, v5, vcc
; %bb.1946:
	s_andn2_saveexec_b64 s[8:9], s[8:9]
; %bb.1947:
	s_mov_b32 s10, 0x46800000
	v_add_f32_e64 v1, |v4|, s10
; %bb.1948:
	s_or_b64 exec, exec, s[8:9]
                                        ; implicit-def: $vgpr5
.LBB473_1949:
	s_andn2_saveexec_b64 s[6:7], s[6:7]
; %bb.1950:
	s_mov_b32 s8, 0x7f800000
	v_mov_b32_e32 v1, 0x7e
	v_mov_b32_e32 v6, 0x7f
	v_cmp_lt_u32_e32 vcc, s8, v5
	s_nop 1
	v_cndmask_b32_e32 v1, v1, v6, vcc
; %bb.1951:
	s_or_b64 exec, exec, s[6:7]
	v_lshrrev_b32_e32 v5, 24, v4
	s_movk_i32 s6, 0x80
	v_and_or_b32 v1, v5, s6, v1
	global_store_byte v[2:3], v1, off
.LBB473_1952:
	s_mov_b64 s[6:7], 0
.LBB473_1953:
	s_andn2_b64 vcc, exec, s[6:7]
	s_cbranch_vccnz .LBB473_1963
; %bb.1954:
	v_and_b32_e32 v5, 0x7fffffff, v4
	s_mov_b32 s6, 0x47800000
	v_cmp_gt_u32_e32 vcc, s6, v5
                                        ; implicit-def: $vgpr1
	s_and_saveexec_b64 s[6:7], vcc
	s_xor_b64 s[6:7], exec, s[6:7]
	s_cbranch_execz .LBB473_1960
; %bb.1955:
	s_mov_b32 s8, 0x387fffff
	v_cmp_lt_u32_e32 vcc, s8, v5
                                        ; implicit-def: $vgpr1
	s_and_saveexec_b64 s[8:9], vcc
	s_xor_b64 s[8:9], exec, s[8:9]
; %bb.1956:
	v_bfe_u32 v1, v4, 21, 1
	s_mov_b32 s10, 0x80fffff
	v_add3_u32 v1, v4, v1, s10
	v_lshrrev_b32_e32 v1, 21, v1
; %bb.1957:
	s_andn2_saveexec_b64 s[8:9], s[8:9]
; %bb.1958:
	s_mov_b32 s10, 0x43000000
	v_add_f32_e64 v1, |v4|, s10
; %bb.1959:
	s_or_b64 exec, exec, s[8:9]
                                        ; implicit-def: $vgpr5
.LBB473_1960:
	s_andn2_saveexec_b64 s[6:7], s[6:7]
; %bb.1961:
	s_mov_b32 s8, 0x7f800000
	v_mov_b32_e32 v1, 0x7c
	v_mov_b32_e32 v6, 0x7f
	v_cmp_lt_u32_e32 vcc, s8, v5
	s_nop 1
	v_cndmask_b32_e32 v1, v1, v6, vcc
; %bb.1962:
	s_or_b64 exec, exec, s[6:7]
	v_lshrrev_b32_e32 v5, 24, v4
	s_movk_i32 s6, 0x80
	v_and_or_b32 v1, v5, s6, v1
	global_store_byte v[2:3], v1, off
.LBB473_1963:
	s_mov_b64 s[6:7], 0
	s_mov_b64 s[8:9], -1
.LBB473_1964:
	s_andn2_b64 vcc, exec, s[6:7]
	s_mov_b64 s[6:7], 0
	s_cbranch_vccnz .LBB473_1971
; %bb.1965:
	s_cmp_gt_i32 s15, 14
	s_mov_b64 s[10:11], -1
	s_cbranch_scc0 .LBB473_1969
; %bb.1966:
	s_cmp_eq_u32 s15, 15
	s_mov_b64 s[0:1], -1
	s_cbranch_scc0 .LBB473_1968
; %bb.1967:
	v_bfe_u32 v1, v4, 16, 1
	s_movk_i32 s0, 0x7fff
	v_add3_u32 v1, v4, v1, s0
	v_cmp_o_f32_e32 vcc, v4, v4
	v_mov_b32_e32 v5, 0x7fc0
	s_mov_b64 s[0:1], 0
	v_cndmask_b32_sdwa v1, v5, v1, vcc dst_sel:DWORD dst_unused:UNUSED_PAD src0_sel:DWORD src1_sel:WORD_1
	global_store_short v[2:3], v1, off
	s_mov_b64 s[8:9], -1
.LBB473_1968:
	s_mov_b64 s[10:11], 0
.LBB473_1969:
	s_and_b64 vcc, exec, s[10:11]
	s_cbranch_vccz .LBB473_1971
; %bb.1970:
	s_cmp_lg_u32 s15, 11
	s_mov_b64 s[6:7], -1
	s_cselect_b64 s[0:1], -1, 0
.LBB473_1971:
	s_and_b64 vcc, exec, s[0:1]
	s_cbranch_vccnz .LBB473_2151
; %bb.1972:
	s_andn2_b64 vcc, exec, s[6:7]
	s_cbranch_vccnz .LBB473_1974
.LBB473_1973:
	v_cmp_neq_f32_e32 vcc, 0, v4
	s_mov_b64 s[8:9], -1
	s_nop 0
	v_cndmask_b32_e64 v1, 0, 1, vcc
	global_store_byte v[2:3], v1, off
.LBB473_1974:
	s_mov_b64 s[0:1], 0
	s_branch .LBB473_1976
.LBB473_1975:
	s_mov_b64 s[0:1], -1
	s_mov_b64 s[8:9], 0
.LBB473_1976:
	s_and_b64 vcc, exec, s[0:1]
	s_cbranch_vccz .LBB473_2015
; %bb.1977:
	s_cmp_lt_i32 s15, 5
	s_mov_b64 s[0:1], -1
	s_cbranch_scc1 .LBB473_1998
; %bb.1978:
	s_cmp_lt_i32 s15, 8
	s_cbranch_scc1 .LBB473_1988
; %bb.1979:
	s_cmp_lt_i32 s15, 9
	s_cbranch_scc1 .LBB473_1985
; %bb.1980:
	s_cmp_gt_i32 s15, 9
	s_cbranch_scc0 .LBB473_1982
; %bb.1981:
	v_mov_b32_e32 v8, 0
	v_cvt_f64_f32_e32 v[6:7], v4
	v_mov_b32_e32 v9, v8
	global_store_dwordx4 v[2:3], v[6:9], off
	s_mov_b64 s[0:1], 0
.LBB473_1982:
	s_andn2_b64 vcc, exec, s[0:1]
	s_cbranch_vccnz .LBB473_1984
; %bb.1983:
	v_mov_b32_e32 v5, 0
	global_store_dwordx2 v[2:3], v[4:5], off
.LBB473_1984:
	s_mov_b64 s[0:1], 0
.LBB473_1985:
	s_andn2_b64 vcc, exec, s[0:1]
	s_cbranch_vccnz .LBB473_1987
; %bb.1986:
	v_cvt_f16_f32_e32 v1, v4
	global_store_dword v[2:3], v1, off
.LBB473_1987:
	s_mov_b64 s[0:1], 0
.LBB473_1988:
	s_andn2_b64 vcc, exec, s[0:1]
	s_cbranch_vccnz .LBB473_1997
; %bb.1989:
	s_cmp_lt_i32 s15, 6
	s_mov_b64 s[0:1], -1
	s_cbranch_scc1 .LBB473_1995
; %bb.1990:
	s_cmp_gt_i32 s15, 6
	s_cbranch_scc0 .LBB473_1992
; %bb.1991:
	v_cvt_f64_f32_e32 v[6:7], v4
	global_store_dwordx2 v[2:3], v[6:7], off
	s_mov_b64 s[0:1], 0
.LBB473_1992:
	s_andn2_b64 vcc, exec, s[0:1]
	s_cbranch_vccnz .LBB473_1994
; %bb.1993:
	global_store_dword v[2:3], v4, off
.LBB473_1994:
	s_mov_b64 s[0:1], 0
.LBB473_1995:
	s_andn2_b64 vcc, exec, s[0:1]
	s_cbranch_vccnz .LBB473_1997
; %bb.1996:
	v_cvt_f16_f32_e32 v1, v4
	global_store_short v[2:3], v1, off
.LBB473_1997:
	s_mov_b64 s[0:1], 0
.LBB473_1998:
	s_andn2_b64 vcc, exec, s[0:1]
	s_cbranch_vccnz .LBB473_2014
; %bb.1999:
	s_cmp_lt_i32 s15, 2
	s_mov_b64 s[0:1], -1
	s_cbranch_scc1 .LBB473_2009
; %bb.2000:
	s_cmp_lt_i32 s15, 3
	s_cbranch_scc1 .LBB473_2006
; %bb.2001:
	s_cmp_gt_i32 s15, 3
	s_cbranch_scc0 .LBB473_2003
; %bb.2002:
	v_trunc_f32_e32 v1, v4
	s_mov_b32 s0, 0x2f800000
	v_mul_f32_e64 v5, |v1|, s0
	v_floor_f32_e32 v5, v5
	s_mov_b32 s0, 0xcf800000
	v_cvt_u32_f32_e32 v6, v5
	v_fma_f32 v5, v5, s0, |v1|
	v_cvt_u32_f32_e32 v5, v5
	v_ashrrev_i32_e32 v1, 31, v1
	v_xor_b32_e32 v7, v6, v1
	s_mov_b64 s[0:1], 0
	v_xor_b32_e32 v5, v5, v1
	v_sub_co_u32_e32 v6, vcc, v5, v1
	s_nop 1
	v_subb_co_u32_e32 v7, vcc, v7, v1, vcc
	global_store_dwordx2 v[2:3], v[6:7], off
.LBB473_2003:
	s_andn2_b64 vcc, exec, s[0:1]
	s_cbranch_vccnz .LBB473_2005
; %bb.2004:
	v_cvt_i32_f32_e32 v1, v4
	global_store_dword v[2:3], v1, off
.LBB473_2005:
	s_mov_b64 s[0:1], 0
.LBB473_2006:
	s_andn2_b64 vcc, exec, s[0:1]
	s_cbranch_vccnz .LBB473_2008
; %bb.2007:
	v_cvt_i32_f32_e32 v1, v4
	global_store_short v[2:3], v1, off
.LBB473_2008:
	s_mov_b64 s[0:1], 0
.LBB473_2009:
	s_andn2_b64 vcc, exec, s[0:1]
	s_cbranch_vccnz .LBB473_2014
; %bb.2010:
	s_cmp_gt_i32 s15, 0
	s_mov_b64 s[0:1], -1
	s_cbranch_scc0 .LBB473_2012
; %bb.2011:
	v_cvt_i32_f32_e32 v1, v4
	s_mov_b64 s[0:1], 0
	global_store_byte v[2:3], v1, off
.LBB473_2012:
	s_andn2_b64 vcc, exec, s[0:1]
	s_cbranch_vccnz .LBB473_2014
; %bb.2013:
	v_trunc_f32_e32 v1, v4
	s_mov_b32 s0, 0x2f800000
	v_mul_f32_e64 v4, |v1|, s0
	v_floor_f32_e32 v4, v4
	s_mov_b32 s0, 0xcf800000
	v_fma_f32 v4, v4, s0, |v1|
	v_cvt_u32_f32_e32 v4, v4
	v_ashrrev_i32_e32 v1, 31, v1
	v_xor_b32_e32 v4, v4, v1
	v_sub_u32_e32 v1, v4, v1
	global_store_byte v[2:3], v1, off
.LBB473_2014:
	s_mov_b64 s[8:9], -1
.LBB473_2015:
	s_andn2_b64 vcc, exec, s[8:9]
	s_cbranch_vccnz .LBB473_2092
; %bb.2016:
	v_max_f32_e32 v1, v10, v10
	v_min_f32_e32 v1, v1, v11
	v_cmp_u_f32_e32 vcc, v10, v10
	s_cmp_lt_i32 s15, 11
	s_nop 0
	v_cndmask_b32_e32 v2, v1, v10, vcc
	v_mov_b32_e32 v1, 0
	v_lshl_add_u64 v[0:1], s[4:5], 0, v[0:1]
	s_cbranch_scc1 .LBB473_2137
; %bb.2017:
	s_mov_b64 s[6:7], -1
	s_mov_b64 s[4:5], 0
	s_cmp_gt_i32 s15, 25
	s_mov_b64 s[0:1], 0
	s_cbranch_scc0 .LBB473_2050
; %bb.2018:
	s_cmp_gt_i32 s15, 28
	s_cbranch_scc0 .LBB473_2034
; %bb.2019:
	s_cmp_gt_i32 s15, 43
	;; [unrolled: 3-line block ×3, first 2 shown]
	s_cbranch_scc0 .LBB473_2024
; %bb.2021:
	s_cmp_eq_u32 s15, 46
	s_mov_b64 s[0:1], -1
	s_cbranch_scc0 .LBB473_2023
; %bb.2022:
	v_bfe_u32 v3, v2, 16, 1
	s_movk_i32 s0, 0x7fff
	v_add3_u32 v3, v2, v3, s0
	v_cmp_o_f32_e32 vcc, v2, v2
	v_mov_b32_e32 v4, 0x7fc0
	s_mov_b64 s[0:1], 0
	v_cndmask_b32_sdwa v3, v4, v3, vcc dst_sel:DWORD dst_unused:UNUSED_PAD src0_sel:DWORD src1_sel:WORD_1
	global_store_dword v[0:1], v3, off
.LBB473_2023:
	s_mov_b64 s[6:7], 0
.LBB473_2024:
	s_and_b64 vcc, exec, s[6:7]
	s_cbranch_vccz .LBB473_2029
; %bb.2025:
	s_cmp_eq_u32 s15, 44
	s_mov_b64 s[0:1], -1
	s_cbranch_scc0 .LBB473_2029
; %bb.2026:
	v_bfe_u32 v3, v2, 23, 8
	s_movk_i32 s0, 0xff
	v_cmp_ne_u32_e32 vcc, s0, v3
	v_mov_b32_e32 v4, 0xff
	s_and_saveexec_b64 s[6:7], vcc
; %bb.2027:
	s_mov_b32 s0, 0x3fffff
	v_and_b32_e32 v5, 0x400000, v2
	v_and_or_b32 v3, v2, s0, v3
	v_cmp_ne_u32_e32 vcc, 0, v5
	v_cmp_ne_u32_e64 s[0:1], 0, v3
	s_and_b64 s[0:1], vcc, s[0:1]
	v_lshrrev_b32_e32 v4, 23, v2
	v_cndmask_b32_e64 v3, 0, 1, s[0:1]
	v_add_u32_e32 v4, v4, v3
; %bb.2028:
	s_or_b64 exec, exec, s[6:7]
	s_mov_b64 s[0:1], 0
	global_store_byte v[0:1], v4, off
.LBB473_2029:
	s_mov_b64 s[6:7], 0
.LBB473_2030:
	s_and_b64 vcc, exec, s[6:7]
	s_cbranch_vccz .LBB473_2033
; %bb.2031:
	s_cmp_eq_u32 s15, 29
	s_mov_b64 s[0:1], -1
	s_cbranch_scc0 .LBB473_2033
; %bb.2032:
	v_trunc_f32_e32 v3, v2
	v_mul_f32_e32 v4, 0x2f800000, v3
	v_floor_f32_e32 v4, v4
	v_fmamk_f32 v3, v4, 0xcf800000, v3
	v_cvt_u32_f32_e32 v5, v4
	v_cvt_u32_f32_e32 v4, v3
	s_mov_b64 s[0:1], 0
	global_store_dwordx2 v[0:1], v[4:5], off
.LBB473_2033:
	s_mov_b64 s[6:7], 0
.LBB473_2034:
	s_and_b64 vcc, exec, s[6:7]
	s_cbranch_vccz .LBB473_2049
; %bb.2035:
	s_cmp_lt_i32 s15, 27
	s_mov_b64 s[6:7], -1
	s_cbranch_scc1 .LBB473_2041
; %bb.2036:
	s_cmp_gt_i32 s15, 27
	s_cbranch_scc0 .LBB473_2038
; %bb.2037:
	v_cvt_u32_f32_e32 v3, v2
	s_mov_b64 s[6:7], 0
	global_store_dword v[0:1], v3, off
.LBB473_2038:
	s_andn2_b64 vcc, exec, s[6:7]
	s_cbranch_vccnz .LBB473_2040
; %bb.2039:
	v_cvt_u32_f32_e32 v3, v2
	global_store_short v[0:1], v3, off
.LBB473_2040:
	s_mov_b64 s[6:7], 0
.LBB473_2041:
	s_andn2_b64 vcc, exec, s[6:7]
	s_cbranch_vccnz .LBB473_2049
; %bb.2042:
	v_and_b32_e32 v3, 0x7fffffff, v2
	s_mov_b32 s6, 0x43800000
	v_cmp_gt_u32_e32 vcc, s6, v3
	v_mov_b32_e32 v4, 0x80
	s_and_saveexec_b64 s[6:7], vcc
	s_cbranch_execz .LBB473_2048
; %bb.2043:
	s_mov_b32 s8, 0x3bffffff
	v_cmp_lt_u32_e32 vcc, s8, v3
	s_mov_b64 s[8:9], 0
                                        ; implicit-def: $vgpr3
	s_and_saveexec_b64 s[10:11], vcc
	s_xor_b64 s[10:11], exec, s[10:11]
	s_cbranch_execz .LBB473_2154
; %bb.2044:
	v_bfe_u32 v3, v2, 20, 1
	s_mov_b32 s12, 0x487ffff
	v_add3_u32 v3, v2, v3, s12
	s_mov_b64 s[8:9], exec
	v_lshrrev_b32_e32 v3, 20, v3
	s_andn2_saveexec_b64 s[10:11], s[10:11]
	s_cbranch_execnz .LBB473_2155
.LBB473_2045:
	s_or_b64 exec, exec, s[10:11]
	v_mov_b32_e32 v4, 0
	s_and_saveexec_b64 s[10:11], s[8:9]
.LBB473_2046:
	v_lshrrev_b32_e32 v4, 24, v2
	s_movk_i32 s8, 0x80
	v_and_or_b32 v4, v4, s8, v3
.LBB473_2047:
	s_or_b64 exec, exec, s[10:11]
.LBB473_2048:
	s_or_b64 exec, exec, s[6:7]
	global_store_byte v[0:1], v4, off
.LBB473_2049:
	s_mov_b64 s[6:7], 0
.LBB473_2050:
	s_and_b64 vcc, exec, s[6:7]
	s_cbranch_vccz .LBB473_2090
; %bb.2051:
	s_cmp_gt_i32 s15, 22
	s_mov_b64 s[4:5], -1
	s_cbranch_scc0 .LBB473_2083
; %bb.2052:
	s_cmp_lt_i32 s15, 24
	s_cbranch_scc1 .LBB473_2072
; %bb.2053:
	s_cmp_gt_i32 s15, 24
	s_cbranch_scc0 .LBB473_2061
; %bb.2054:
	v_and_b32_e32 v3, 0x7fffffff, v2
	s_mov_b32 s4, 0x47800000
	v_cmp_gt_u32_e32 vcc, s4, v3
	v_mov_b32_e32 v4, 0x80
	s_and_saveexec_b64 s[4:5], vcc
	s_cbranch_execz .LBB473_2060
; %bb.2055:
	s_mov_b32 s6, 0x37ffffff
	v_cmp_lt_u32_e32 vcc, s6, v3
	s_mov_b64 s[6:7], 0
                                        ; implicit-def: $vgpr3
	s_and_saveexec_b64 s[8:9], vcc
	s_xor_b64 s[8:9], exec, s[8:9]
	s_cbranch_execz .LBB473_2157
; %bb.2056:
	v_bfe_u32 v3, v2, 21, 1
	s_mov_b32 s10, 0x88fffff
	v_add3_u32 v3, v2, v3, s10
	s_mov_b64 s[6:7], exec
	v_lshrrev_b32_e32 v3, 21, v3
	s_andn2_saveexec_b64 s[8:9], s[8:9]
	s_cbranch_execnz .LBB473_2158
.LBB473_2057:
	s_or_b64 exec, exec, s[8:9]
	v_mov_b32_e32 v4, 0
	s_and_saveexec_b64 s[8:9], s[6:7]
.LBB473_2058:
	v_lshrrev_b32_e32 v4, 24, v2
	s_movk_i32 s6, 0x80
	v_and_or_b32 v4, v4, s6, v3
.LBB473_2059:
	s_or_b64 exec, exec, s[8:9]
.LBB473_2060:
	s_or_b64 exec, exec, s[4:5]
	s_mov_b64 s[4:5], 0
	global_store_byte v[0:1], v4, off
.LBB473_2061:
	s_and_b64 vcc, exec, s[4:5]
	s_cbranch_vccz .LBB473_2071
; %bb.2062:
	v_and_b32_e32 v4, 0x7fffffff, v2
	s_mov_b32 s4, 0x43f00000
	v_cmp_gt_u32_e32 vcc, s4, v4
                                        ; implicit-def: $vgpr3
	s_and_saveexec_b64 s[4:5], vcc
	s_xor_b64 s[4:5], exec, s[4:5]
	s_cbranch_execz .LBB473_2068
; %bb.2063:
	s_mov_b32 s6, 0x3c7fffff
	v_cmp_lt_u32_e32 vcc, s6, v4
                                        ; implicit-def: $vgpr3
	s_and_saveexec_b64 s[6:7], vcc
	s_xor_b64 s[6:7], exec, s[6:7]
; %bb.2064:
	v_bfe_u32 v3, v2, 20, 1
	s_mov_b32 s8, 0x407ffff
	v_add3_u32 v3, v2, v3, s8
	v_lshrrev_b32_e32 v4, 20, v3
	v_and_b32_e32 v3, 0xff00000, v3
	s_mov_b32 s8, 0x7f00000
	v_mov_b32_e32 v5, 0x7e
	v_cmp_ne_u32_e32 vcc, s8, v3
	s_nop 1
	v_cndmask_b32_e32 v3, v5, v4, vcc
; %bb.2065:
	s_andn2_saveexec_b64 s[6:7], s[6:7]
; %bb.2066:
	s_mov_b32 s8, 0x46800000
	v_add_f32_e64 v3, |v2|, s8
; %bb.2067:
	s_or_b64 exec, exec, s[6:7]
                                        ; implicit-def: $vgpr4
.LBB473_2068:
	s_andn2_saveexec_b64 s[4:5], s[4:5]
; %bb.2069:
	s_mov_b32 s6, 0x7f800000
	v_mov_b32_e32 v3, 0x7e
	v_mov_b32_e32 v5, 0x7f
	v_cmp_lt_u32_e32 vcc, s6, v4
	s_nop 1
	v_cndmask_b32_e32 v3, v3, v5, vcc
; %bb.2070:
	s_or_b64 exec, exec, s[4:5]
	v_lshrrev_b32_e32 v4, 24, v2
	s_movk_i32 s4, 0x80
	v_and_or_b32 v3, v4, s4, v3
	global_store_byte v[0:1], v3, off
.LBB473_2071:
	s_mov_b64 s[4:5], 0
.LBB473_2072:
	s_andn2_b64 vcc, exec, s[4:5]
	s_cbranch_vccnz .LBB473_2082
; %bb.2073:
	v_and_b32_e32 v4, 0x7fffffff, v2
	s_mov_b32 s4, 0x47800000
	v_cmp_gt_u32_e32 vcc, s4, v4
                                        ; implicit-def: $vgpr3
	s_and_saveexec_b64 s[4:5], vcc
	s_xor_b64 s[4:5], exec, s[4:5]
	s_cbranch_execz .LBB473_2079
; %bb.2074:
	s_mov_b32 s6, 0x387fffff
	v_cmp_lt_u32_e32 vcc, s6, v4
                                        ; implicit-def: $vgpr3
	s_and_saveexec_b64 s[6:7], vcc
	s_xor_b64 s[6:7], exec, s[6:7]
; %bb.2075:
	v_bfe_u32 v3, v2, 21, 1
	s_mov_b32 s8, 0x80fffff
	v_add3_u32 v3, v2, v3, s8
	v_lshrrev_b32_e32 v3, 21, v3
; %bb.2076:
	s_andn2_saveexec_b64 s[6:7], s[6:7]
; %bb.2077:
	s_mov_b32 s8, 0x43000000
	v_add_f32_e64 v3, |v2|, s8
; %bb.2078:
	s_or_b64 exec, exec, s[6:7]
                                        ; implicit-def: $vgpr4
.LBB473_2079:
	s_andn2_saveexec_b64 s[4:5], s[4:5]
; %bb.2080:
	s_mov_b32 s6, 0x7f800000
	v_mov_b32_e32 v3, 0x7c
	v_mov_b32_e32 v5, 0x7f
	v_cmp_lt_u32_e32 vcc, s6, v4
	s_nop 1
	v_cndmask_b32_e32 v3, v3, v5, vcc
; %bb.2081:
	s_or_b64 exec, exec, s[4:5]
	v_lshrrev_b32_e32 v4, 24, v2
	s_movk_i32 s4, 0x80
	v_and_or_b32 v3, v4, s4, v3
	global_store_byte v[0:1], v3, off
.LBB473_2082:
	s_mov_b64 s[4:5], 0
.LBB473_2083:
	s_andn2_b64 vcc, exec, s[4:5]
	s_mov_b64 s[4:5], 0
	s_cbranch_vccnz .LBB473_2090
; %bb.2084:
	s_cmp_gt_i32 s15, 14
	s_mov_b64 s[6:7], -1
	s_cbranch_scc0 .LBB473_2088
; %bb.2085:
	s_cmp_eq_u32 s15, 15
	s_mov_b64 s[0:1], -1
	s_cbranch_scc0 .LBB473_2087
; %bb.2086:
	v_bfe_u32 v3, v2, 16, 1
	s_movk_i32 s0, 0x7fff
	v_add3_u32 v3, v2, v3, s0
	v_cmp_o_f32_e32 vcc, v2, v2
	v_mov_b32_e32 v4, 0x7fc0
	s_mov_b64 s[0:1], 0
	v_cndmask_b32_sdwa v3, v4, v3, vcc dst_sel:DWORD dst_unused:UNUSED_PAD src0_sel:DWORD src1_sel:WORD_1
	global_store_short v[0:1], v3, off
.LBB473_2087:
	s_mov_b64 s[6:7], 0
.LBB473_2088:
	s_and_b64 vcc, exec, s[6:7]
	s_cbranch_vccz .LBB473_2090
; %bb.2089:
	s_cmp_lg_u32 s15, 11
	s_mov_b64 s[4:5], -1
	s_cselect_b64 s[0:1], -1, 0
.LBB473_2090:
	s_and_b64 vcc, exec, s[0:1]
	s_cbranch_vccnz .LBB473_2156
.LBB473_2091:
	s_mov_b64 s[0:1], 0
	s_branch .LBB473_2093
.LBB473_2092:
	s_mov_b64 s[0:1], 0
	s_mov_b64 s[4:5], 0
                                        ; implicit-def: $vgpr0_vgpr1
                                        ; implicit-def: $sgpr14
                                        ; implicit-def: $vgpr2
.LBB473_2093:
	s_and_b64 s[6:7], s[0:1], exec
	s_andn2_b64 s[0:1], s[24:25], exec
	s_and_b64 s[2:3], s[2:3], exec
	s_and_b64 s[40:41], s[4:5], exec
	s_or_b64 s[24:25], s[0:1], s[2:3]
.LBB473_2094:
	s_or_b64 exec, exec, s[26:27]
	s_and_saveexec_b64 s[0:1], s[24:25]
	s_cbranch_execz .LBB473_2097
; %bb.2095:
	; divergent unreachable
	s_or_b64 exec, exec, s[0:1]
	s_and_saveexec_b64 s[0:1], s[40:41]
	s_xor_b64 s[0:1], exec, s[0:1]
	s_cbranch_execnz .LBB473_2098
.LBB473_2096:
	s_or_b64 exec, exec, s[0:1]
	s_and_saveexec_b64 s[0:1], s[6:7]
	s_cbranch_execnz .LBB473_2099
	s_branch .LBB473_2136
.LBB473_2097:
	s_or_b64 exec, exec, s[0:1]
	s_and_saveexec_b64 s[0:1], s[40:41]
	s_xor_b64 s[0:1], exec, s[0:1]
	s_cbranch_execz .LBB473_2096
.LBB473_2098:
	v_cmp_neq_f32_e32 vcc, 0, v2
	s_waitcnt vmcnt(0)
	s_nop 0
	v_cndmask_b32_e64 v3, 0, 1, vcc
	global_store_byte v[0:1], v3, off
	s_or_b64 exec, exec, s[0:1]
	s_and_saveexec_b64 s[0:1], s[6:7]
	s_cbranch_execz .LBB473_2136
.LBB473_2099:
	s_sext_i32_i16 s2, s14
	s_cmp_lt_i32 s2, 5
	s_mov_b64 s[0:1], -1
	s_cbranch_scc1 .LBB473_2120
; %bb.2100:
	s_cmp_lt_i32 s2, 8
	s_cbranch_scc1 .LBB473_2110
; %bb.2101:
	s_cmp_lt_i32 s2, 9
	s_cbranch_scc1 .LBB473_2107
; %bb.2102:
	s_cmp_gt_i32 s2, 9
	s_cbranch_scc0 .LBB473_2104
; %bb.2103:
	v_mov_b32_e32 v6, 0
	v_cvt_f64_f32_e32 v[4:5], v2
	v_mov_b32_e32 v7, v6
	s_waitcnt vmcnt(0)
	global_store_dwordx4 v[0:1], v[4:7], off
	s_mov_b64 s[0:1], 0
.LBB473_2104:
	s_andn2_b64 vcc, exec, s[0:1]
	s_cbranch_vccnz .LBB473_2106
; %bb.2105:
	s_waitcnt vmcnt(0)
	v_mov_b32_e32 v3, 0
	global_store_dwordx2 v[0:1], v[2:3], off
.LBB473_2106:
	s_mov_b64 s[0:1], 0
.LBB473_2107:
	s_andn2_b64 vcc, exec, s[0:1]
	s_cbranch_vccnz .LBB473_2109
; %bb.2108:
	s_waitcnt vmcnt(0)
	v_cvt_f16_f32_e32 v3, v2
	global_store_dword v[0:1], v3, off
.LBB473_2109:
	s_mov_b64 s[0:1], 0
.LBB473_2110:
	s_andn2_b64 vcc, exec, s[0:1]
	s_cbranch_vccnz .LBB473_2119
; %bb.2111:
	s_sext_i32_i16 s2, s14
	s_cmp_lt_i32 s2, 6
	s_mov_b64 s[0:1], -1
	s_cbranch_scc1 .LBB473_2117
; %bb.2112:
	s_cmp_gt_i32 s2, 6
	s_cbranch_scc0 .LBB473_2114
; %bb.2113:
	v_cvt_f64_f32_e32 v[4:5], v2
	s_waitcnt vmcnt(0)
	global_store_dwordx2 v[0:1], v[4:5], off
	s_mov_b64 s[0:1], 0
.LBB473_2114:
	s_andn2_b64 vcc, exec, s[0:1]
	s_cbranch_vccnz .LBB473_2116
; %bb.2115:
	s_waitcnt vmcnt(0)
	global_store_dword v[0:1], v2, off
.LBB473_2116:
	s_mov_b64 s[0:1], 0
.LBB473_2117:
	s_andn2_b64 vcc, exec, s[0:1]
	s_cbranch_vccnz .LBB473_2119
; %bb.2118:
	s_waitcnt vmcnt(0)
	v_cvt_f16_f32_e32 v3, v2
	global_store_short v[0:1], v3, off
.LBB473_2119:
	s_mov_b64 s[0:1], 0
.LBB473_2120:
	s_andn2_b64 vcc, exec, s[0:1]
	s_cbranch_vccnz .LBB473_2136
; %bb.2121:
	s_sext_i32_i16 s2, s14
	s_cmp_lt_i32 s2, 2
	s_mov_b64 s[0:1], -1
	s_cbranch_scc1 .LBB473_2131
; %bb.2122:
	s_cmp_lt_i32 s2, 3
	s_cbranch_scc1 .LBB473_2128
; %bb.2123:
	s_cmp_gt_i32 s2, 3
	s_cbranch_scc0 .LBB473_2125
; %bb.2124:
	s_waitcnt vmcnt(0)
	v_trunc_f32_e32 v3, v2
	s_mov_b32 s0, 0x2f800000
	v_mul_f32_e64 v4, |v3|, s0
	v_floor_f32_e32 v4, v4
	s_mov_b32 s0, 0xcf800000
	v_cvt_u32_f32_e32 v5, v4
	v_fma_f32 v4, v4, s0, |v3|
	v_cvt_u32_f32_e32 v4, v4
	v_ashrrev_i32_e32 v3, 31, v3
	v_xor_b32_e32 v5, v5, v3
	s_mov_b64 s[0:1], 0
	v_xor_b32_e32 v4, v4, v3
	v_sub_co_u32_e32 v4, vcc, v4, v3
	s_nop 1
	v_subb_co_u32_e32 v5, vcc, v5, v3, vcc
	global_store_dwordx2 v[0:1], v[4:5], off
.LBB473_2125:
	s_andn2_b64 vcc, exec, s[0:1]
	s_cbranch_vccnz .LBB473_2127
; %bb.2126:
	s_waitcnt vmcnt(0)
	v_cvt_i32_f32_e32 v3, v2
	global_store_dword v[0:1], v3, off
.LBB473_2127:
	s_mov_b64 s[0:1], 0
.LBB473_2128:
	s_andn2_b64 vcc, exec, s[0:1]
	s_cbranch_vccnz .LBB473_2130
; %bb.2129:
	s_waitcnt vmcnt(0)
	v_cvt_i32_f32_e32 v3, v2
	global_store_short v[0:1], v3, off
.LBB473_2130:
	s_mov_b64 s[0:1], 0
.LBB473_2131:
	s_andn2_b64 vcc, exec, s[0:1]
	s_cbranch_vccnz .LBB473_2136
; %bb.2132:
	s_sext_i32_i16 s0, s14
	s_cmp_gt_i32 s0, 0
	s_mov_b64 s[0:1], -1
	s_cbranch_scc0 .LBB473_2134
; %bb.2133:
	s_waitcnt vmcnt(0)
	v_cvt_i32_f32_e32 v3, v2
	s_mov_b64 s[0:1], 0
	global_store_byte v[0:1], v3, off
.LBB473_2134:
	s_andn2_b64 vcc, exec, s[0:1]
	s_cbranch_vccnz .LBB473_2136
; %bb.2135:
	v_trunc_f32_e32 v2, v2
	s_mov_b32 s0, 0x2f800000
	s_waitcnt vmcnt(0)
	v_mul_f32_e64 v3, |v2|, s0
	v_floor_f32_e32 v3, v3
	s_mov_b32 s0, 0xcf800000
	v_fma_f32 v3, v3, s0, |v2|
	v_cvt_u32_f32_e32 v3, v3
	v_ashrrev_i32_e32 v2, 31, v2
	v_xor_b32_e32 v3, v3, v2
	v_sub_u32_e32 v2, v3, v2
	global_store_byte v[0:1], v2, off
	s_endpgm
.LBB473_2136:
	s_endpgm
.LBB473_2137:
	s_mov_b64 s[4:5], 0
	s_mov_b64 s[0:1], -1
	s_branch .LBB473_2093
.LBB473_2138:
	s_trap 2
	s_or_b64 s[2:3], s[2:3], exec
	s_cbranch_execz .LBB473_1607
	s_branch .LBB473_1608
.LBB473_2139:
	s_andn2_saveexec_b64 s[12:13], s[12:13]
	s_cbranch_execz .LBB473_1687
.LBB473_2140:
	s_mov_b32 s16, 0x46000000
	v_add_f32_e64 v1, |v8|, s16
	v_and_b32_e32 v1, 0xff, v1
	v_cmp_ne_u32_e32 vcc, 0, v1
	s_andn2_b64 s[10:11], s[10:11], exec
	s_and_b64 s[16:17], vcc, exec
	s_or_b64 s[10:11], s[10:11], s[16:17]
	s_or_b64 exec, exec, s[12:13]
	v_mov_b32_e32 v5, 0
	s_and_saveexec_b64 s[12:13], s[10:11]
	s_cbranch_execnz .LBB473_1688
	s_branch .LBB473_1689
.LBB473_2141:
	s_trap 2
	s_or_b64 s[2:3], s[2:3], exec
	s_cbranch_execz .LBB473_1735
	s_branch .LBB473_1736
.LBB473_2142:
	s_andn2_saveexec_b64 s[10:11], s[10:11]
	s_cbranch_execz .LBB473_1700
.LBB473_2143:
	s_mov_b32 s12, 0x42800000
	v_add_f32_e64 v1, |v8|, s12
	v_and_b32_e32 v1, 0xff, v1
	v_cmp_ne_u32_e32 vcc, 0, v1
	s_andn2_b64 s[8:9], s[8:9], exec
	s_and_b64 s[12:13], vcc, exec
	s_or_b64 s[8:9], s[8:9], s[12:13]
	s_or_b64 exec, exec, s[10:11]
	v_mov_b32_e32 v5, 0
	s_and_saveexec_b64 s[10:11], s[8:9]
	s_cbranch_execnz .LBB473_1701
	s_branch .LBB473_1702
.LBB473_2144:
	s_andn2_saveexec_b64 s[12:13], s[12:13]
	s_cbranch_execz .LBB473_1806
.LBB473_2145:
	s_mov_b32 s16, 0x46000000
	v_add_f32_e64 v1, |v6|, s16
	v_and_b32_e32 v1, 0xff, v1
	v_cmp_ne_u32_e32 vcc, 0, v1
	s_andn2_b64 s[10:11], s[10:11], exec
	s_and_b64 s[16:17], vcc, exec
	s_or_b64 s[10:11], s[10:11], s[16:17]
	s_or_b64 exec, exec, s[12:13]
	v_mov_b32_e32 v3, 0
	s_and_saveexec_b64 s[12:13], s[10:11]
	s_cbranch_execnz .LBB473_1807
	s_branch .LBB473_1808
.LBB473_2146:
	s_trap 2
	s_or_b64 s[2:3], s[2:3], exec
	s_cbranch_execz .LBB473_1854
	s_branch .LBB473_1855
.LBB473_2147:
	s_andn2_saveexec_b64 s[10:11], s[10:11]
	s_cbranch_execz .LBB473_1819
.LBB473_2148:
	s_mov_b32 s12, 0x42800000
	v_add_f32_e64 v1, |v6|, s12
	v_and_b32_e32 v1, 0xff, v1
	v_cmp_ne_u32_e32 vcc, 0, v1
	s_andn2_b64 s[8:9], s[8:9], exec
	s_and_b64 s[12:13], vcc, exec
	s_or_b64 s[8:9], s[8:9], s[12:13]
	s_or_b64 exec, exec, s[10:11]
	v_mov_b32_e32 v3, 0
	s_and_saveexec_b64 s[10:11], s[8:9]
	s_cbranch_execnz .LBB473_1820
	s_branch .LBB473_1821
.LBB473_2149:
	s_andn2_saveexec_b64 s[12:13], s[12:13]
	s_cbranch_execz .LBB473_1925
.LBB473_2150:
	s_mov_b32 s16, 0x46000000
	v_add_f32_e64 v1, |v4|, s16
	v_and_b32_e32 v1, 0xff, v1
	v_cmp_ne_u32_e32 vcc, 0, v1
	s_andn2_b64 s[10:11], s[10:11], exec
	s_and_b64 s[16:17], vcc, exec
	s_or_b64 s[10:11], s[10:11], s[16:17]
	s_or_b64 exec, exec, s[12:13]
	v_mov_b32_e32 v5, 0
	s_and_saveexec_b64 s[12:13], s[10:11]
	s_cbranch_execnz .LBB473_1926
	s_branch .LBB473_1927
.LBB473_2151:
	s_trap 2
	s_or_b64 s[2:3], s[2:3], exec
	s_cbranch_execz .LBB473_1973
	s_branch .LBB473_1974
.LBB473_2152:
	s_andn2_saveexec_b64 s[10:11], s[10:11]
	s_cbranch_execz .LBB473_1938
.LBB473_2153:
	s_mov_b32 s12, 0x42800000
	v_add_f32_e64 v1, |v4|, s12
	v_and_b32_e32 v1, 0xff, v1
	v_cmp_ne_u32_e32 vcc, 0, v1
	s_andn2_b64 s[8:9], s[8:9], exec
	s_and_b64 s[12:13], vcc, exec
	s_or_b64 s[8:9], s[8:9], s[12:13]
	s_or_b64 exec, exec, s[10:11]
	v_mov_b32_e32 v5, 0
	s_and_saveexec_b64 s[10:11], s[8:9]
	s_cbranch_execnz .LBB473_1939
	s_branch .LBB473_1940
.LBB473_2154:
	s_andn2_saveexec_b64 s[10:11], s[10:11]
	s_cbranch_execz .LBB473_2045
.LBB473_2155:
	s_mov_b32 s12, 0x46000000
	v_add_f32_e64 v3, |v2|, s12
	v_and_b32_e32 v3, 0xff, v3
	v_cmp_ne_u32_e32 vcc, 0, v3
	s_andn2_b64 s[8:9], s[8:9], exec
	s_and_b64 s[12:13], vcc, exec
	s_or_b64 s[8:9], s[8:9], s[12:13]
	s_or_b64 exec, exec, s[10:11]
	v_mov_b32_e32 v4, 0
	s_and_saveexec_b64 s[10:11], s[8:9]
	s_cbranch_execnz .LBB473_2046
	s_branch .LBB473_2047
.LBB473_2156:
	s_mov_b64 s[4:5], 0
	s_or_b64 s[2:3], s[2:3], exec
	s_trap 2
	s_branch .LBB473_2091
.LBB473_2157:
	s_andn2_saveexec_b64 s[8:9], s[8:9]
	s_cbranch_execz .LBB473_2057
.LBB473_2158:
	s_mov_b32 s10, 0x42800000
	v_add_f32_e64 v3, |v2|, s10
	v_and_b32_e32 v3, 0xff, v3
	v_cmp_ne_u32_e32 vcc, 0, v3
	s_andn2_b64 s[6:7], s[6:7], exec
	s_and_b64 s[10:11], vcc, exec
	s_or_b64 s[6:7], s[6:7], s[10:11]
	s_or_b64 exec, exec, s[8:9]
	v_mov_b32_e32 v4, 0
	s_and_saveexec_b64 s[8:9], s[6:7]
	s_cbranch_execnz .LBB473_2058
	s_branch .LBB473_2059
	.section	.rodata,"a",@progbits
	.p2align	6, 0x0
	.amdhsa_kernel _ZN2at6native32elementwise_kernel_manual_unrollILi128ELi4EZNS0_15gpu_kernel_implIZZZNS0_21clamp_max_kernel_cudaERNS_18TensorIteratorBaseERKN3c106ScalarEENKUlvE_clEvENKUlvE5_clEvEUlfE_EEvS4_RKT_EUlibE0_EEviT1_
		.amdhsa_group_segment_fixed_size 0
		.amdhsa_private_segment_fixed_size 0
		.amdhsa_kernarg_size 360
		.amdhsa_user_sgpr_count 2
		.amdhsa_user_sgpr_dispatch_ptr 0
		.amdhsa_user_sgpr_queue_ptr 0
		.amdhsa_user_sgpr_kernarg_segment_ptr 1
		.amdhsa_user_sgpr_dispatch_id 0
		.amdhsa_user_sgpr_kernarg_preload_length 0
		.amdhsa_user_sgpr_kernarg_preload_offset 0
		.amdhsa_user_sgpr_private_segment_size 0
		.amdhsa_uses_dynamic_stack 0
		.amdhsa_enable_private_segment 0
		.amdhsa_system_sgpr_workgroup_id_x 1
		.amdhsa_system_sgpr_workgroup_id_y 0
		.amdhsa_system_sgpr_workgroup_id_z 0
		.amdhsa_system_sgpr_workgroup_info 0
		.amdhsa_system_vgpr_workitem_id 0
		.amdhsa_next_free_vgpr 18
		.amdhsa_next_free_sgpr 79
		.amdhsa_accum_offset 20
		.amdhsa_reserve_vcc 1
		.amdhsa_float_round_mode_32 0
		.amdhsa_float_round_mode_16_64 0
		.amdhsa_float_denorm_mode_32 3
		.amdhsa_float_denorm_mode_16_64 3
		.amdhsa_dx10_clamp 1
		.amdhsa_ieee_mode 1
		.amdhsa_fp16_overflow 0
		.amdhsa_tg_split 0
		.amdhsa_exception_fp_ieee_invalid_op 0
		.amdhsa_exception_fp_denorm_src 0
		.amdhsa_exception_fp_ieee_div_zero 0
		.amdhsa_exception_fp_ieee_overflow 0
		.amdhsa_exception_fp_ieee_underflow 0
		.amdhsa_exception_fp_ieee_inexact 0
		.amdhsa_exception_int_div_zero 0
	.end_amdhsa_kernel
	.section	.text._ZN2at6native32elementwise_kernel_manual_unrollILi128ELi4EZNS0_15gpu_kernel_implIZZZNS0_21clamp_max_kernel_cudaERNS_18TensorIteratorBaseERKN3c106ScalarEENKUlvE_clEvENKUlvE5_clEvEUlfE_EEvS4_RKT_EUlibE0_EEviT1_,"axG",@progbits,_ZN2at6native32elementwise_kernel_manual_unrollILi128ELi4EZNS0_15gpu_kernel_implIZZZNS0_21clamp_max_kernel_cudaERNS_18TensorIteratorBaseERKN3c106ScalarEENKUlvE_clEvENKUlvE5_clEvEUlfE_EEvS4_RKT_EUlibE0_EEviT1_,comdat
.Lfunc_end473:
	.size	_ZN2at6native32elementwise_kernel_manual_unrollILi128ELi4EZNS0_15gpu_kernel_implIZZZNS0_21clamp_max_kernel_cudaERNS_18TensorIteratorBaseERKN3c106ScalarEENKUlvE_clEvENKUlvE5_clEvEUlfE_EEvS4_RKT_EUlibE0_EEviT1_, .Lfunc_end473-_ZN2at6native32elementwise_kernel_manual_unrollILi128ELi4EZNS0_15gpu_kernel_implIZZZNS0_21clamp_max_kernel_cudaERNS_18TensorIteratorBaseERKN3c106ScalarEENKUlvE_clEvENKUlvE5_clEvEUlfE_EEvS4_RKT_EUlibE0_EEviT1_
                                        ; -- End function
	.set _ZN2at6native32elementwise_kernel_manual_unrollILi128ELi4EZNS0_15gpu_kernel_implIZZZNS0_21clamp_max_kernel_cudaERNS_18TensorIteratorBaseERKN3c106ScalarEENKUlvE_clEvENKUlvE5_clEvEUlfE_EEvS4_RKT_EUlibE0_EEviT1_.num_vgpr, 18
	.set _ZN2at6native32elementwise_kernel_manual_unrollILi128ELi4EZNS0_15gpu_kernel_implIZZZNS0_21clamp_max_kernel_cudaERNS_18TensorIteratorBaseERKN3c106ScalarEENKUlvE_clEvENKUlvE5_clEvEUlfE_EEvS4_RKT_EUlibE0_EEviT1_.num_agpr, 0
	.set _ZN2at6native32elementwise_kernel_manual_unrollILi128ELi4EZNS0_15gpu_kernel_implIZZZNS0_21clamp_max_kernel_cudaERNS_18TensorIteratorBaseERKN3c106ScalarEENKUlvE_clEvENKUlvE5_clEvEUlfE_EEvS4_RKT_EUlibE0_EEviT1_.numbered_sgpr, 79
	.set _ZN2at6native32elementwise_kernel_manual_unrollILi128ELi4EZNS0_15gpu_kernel_implIZZZNS0_21clamp_max_kernel_cudaERNS_18TensorIteratorBaseERKN3c106ScalarEENKUlvE_clEvENKUlvE5_clEvEUlfE_EEvS4_RKT_EUlibE0_EEviT1_.num_named_barrier, 0
	.set _ZN2at6native32elementwise_kernel_manual_unrollILi128ELi4EZNS0_15gpu_kernel_implIZZZNS0_21clamp_max_kernel_cudaERNS_18TensorIteratorBaseERKN3c106ScalarEENKUlvE_clEvENKUlvE5_clEvEUlfE_EEvS4_RKT_EUlibE0_EEviT1_.private_seg_size, 0
	.set _ZN2at6native32elementwise_kernel_manual_unrollILi128ELi4EZNS0_15gpu_kernel_implIZZZNS0_21clamp_max_kernel_cudaERNS_18TensorIteratorBaseERKN3c106ScalarEENKUlvE_clEvENKUlvE5_clEvEUlfE_EEvS4_RKT_EUlibE0_EEviT1_.uses_vcc, 1
	.set _ZN2at6native32elementwise_kernel_manual_unrollILi128ELi4EZNS0_15gpu_kernel_implIZZZNS0_21clamp_max_kernel_cudaERNS_18TensorIteratorBaseERKN3c106ScalarEENKUlvE_clEvENKUlvE5_clEvEUlfE_EEvS4_RKT_EUlibE0_EEviT1_.uses_flat_scratch, 0
	.set _ZN2at6native32elementwise_kernel_manual_unrollILi128ELi4EZNS0_15gpu_kernel_implIZZZNS0_21clamp_max_kernel_cudaERNS_18TensorIteratorBaseERKN3c106ScalarEENKUlvE_clEvENKUlvE5_clEvEUlfE_EEvS4_RKT_EUlibE0_EEviT1_.has_dyn_sized_stack, 0
	.set _ZN2at6native32elementwise_kernel_manual_unrollILi128ELi4EZNS0_15gpu_kernel_implIZZZNS0_21clamp_max_kernel_cudaERNS_18TensorIteratorBaseERKN3c106ScalarEENKUlvE_clEvENKUlvE5_clEvEUlfE_EEvS4_RKT_EUlibE0_EEviT1_.has_recursion, 0
	.set _ZN2at6native32elementwise_kernel_manual_unrollILi128ELi4EZNS0_15gpu_kernel_implIZZZNS0_21clamp_max_kernel_cudaERNS_18TensorIteratorBaseERKN3c106ScalarEENKUlvE_clEvENKUlvE5_clEvEUlfE_EEvS4_RKT_EUlibE0_EEviT1_.has_indirect_call, 0
	.section	.AMDGPU.csdata,"",@progbits
; Kernel info:
; codeLenInByte = 38036
; TotalNumSgprs: 85
; NumVgprs: 18
; NumAgprs: 0
; TotalNumVgprs: 18
; ScratchSize: 0
; MemoryBound: 1
; FloatMode: 240
; IeeeMode: 1
; LDSByteSize: 0 bytes/workgroup (compile time only)
; SGPRBlocks: 10
; VGPRBlocks: 2
; NumSGPRsForWavesPerEU: 85
; NumVGPRsForWavesPerEU: 18
; AccumOffset: 20
; Occupancy: 8
; WaveLimiterHint : 1
; COMPUTE_PGM_RSRC2:SCRATCH_EN: 0
; COMPUTE_PGM_RSRC2:USER_SGPR: 2
; COMPUTE_PGM_RSRC2:TRAP_HANDLER: 0
; COMPUTE_PGM_RSRC2:TGID_X_EN: 1
; COMPUTE_PGM_RSRC2:TGID_Y_EN: 0
; COMPUTE_PGM_RSRC2:TGID_Z_EN: 0
; COMPUTE_PGM_RSRC2:TIDIG_COMP_CNT: 0
; COMPUTE_PGM_RSRC3_GFX90A:ACCUM_OFFSET: 4
; COMPUTE_PGM_RSRC3_GFX90A:TG_SPLIT: 0
	.section	.text._ZN2at6native29vectorized_elementwise_kernelILi16EZZZNS0_21clamp_max_kernel_cudaERNS_18TensorIteratorBaseERKN3c106ScalarEENKUlvE_clEvENKUlvE6_clEvEUlNS4_4HalfEE_St5arrayIPcLm2EEEEviT0_T1_,"axG",@progbits,_ZN2at6native29vectorized_elementwise_kernelILi16EZZZNS0_21clamp_max_kernel_cudaERNS_18TensorIteratorBaseERKN3c106ScalarEENKUlvE_clEvENKUlvE6_clEvEUlNS4_4HalfEE_St5arrayIPcLm2EEEEviT0_T1_,comdat
	.globl	_ZN2at6native29vectorized_elementwise_kernelILi16EZZZNS0_21clamp_max_kernel_cudaERNS_18TensorIteratorBaseERKN3c106ScalarEENKUlvE_clEvENKUlvE6_clEvEUlNS4_4HalfEE_St5arrayIPcLm2EEEEviT0_T1_ ; -- Begin function _ZN2at6native29vectorized_elementwise_kernelILi16EZZZNS0_21clamp_max_kernel_cudaERNS_18TensorIteratorBaseERKN3c106ScalarEENKUlvE_clEvENKUlvE6_clEvEUlNS4_4HalfEE_St5arrayIPcLm2EEEEviT0_T1_
	.p2align	8
	.type	_ZN2at6native29vectorized_elementwise_kernelILi16EZZZNS0_21clamp_max_kernel_cudaERNS_18TensorIteratorBaseERKN3c106ScalarEENKUlvE_clEvENKUlvE6_clEvEUlNS4_4HalfEE_St5arrayIPcLm2EEEEviT0_T1_,@function
_ZN2at6native29vectorized_elementwise_kernelILi16EZZZNS0_21clamp_max_kernel_cudaERNS_18TensorIteratorBaseERKN3c106ScalarEENKUlvE_clEvENKUlvE6_clEvEUlNS4_4HalfEE_St5arrayIPcLm2EEEEviT0_T1_: ; @_ZN2at6native29vectorized_elementwise_kernelILi16EZZZNS0_21clamp_max_kernel_cudaERNS_18TensorIteratorBaseERKN3c106ScalarEENKUlvE_clEvENKUlvE6_clEvEUlNS4_4HalfEE_St5arrayIPcLm2EEEEviT0_T1_
; %bb.0:
	s_load_dwordx2 s[14:15], s[0:1], 0x0
	s_load_dwordx4 s[16:19], s[0:1], 0x8
	s_lshl_b32 s20, s2, 11
	s_mov_b64 s[0:1], -1
	s_waitcnt lgkmcnt(0)
	s_sub_i32 s14, s14, s20
	s_cmpk_gt_i32 s14, 0x7ff
	s_cbranch_scc0 .LBB474_2
; %bb.1:
	s_ashr_i32 s21, s20, 31
	s_lshl_b64 s[22:23], s[20:21], 1
	s_add_u32 s0, s18, s22
	s_addc_u32 s1, s19, s23
	v_lshlrev_b32_e32 v1, 4, v0
	global_load_dwordx4 v[2:5], v1, s[0:1]
	v_mov_b32_e32 v6, s15
	s_mov_b32 s21, 0x5040100
	s_waitcnt vmcnt(0)
	v_cmp_u_f16_e32 vcc, v2, v2
	v_cmp_gt_f16_e64 s[0:1], s15, v2
	v_lshrrev_b32_e32 v7, 16, v2
	v_cmp_u_f16_e64 s[2:3], v3, v3
	v_cmp_gt_f16_e64 s[4:5], s15, v3
	s_or_b64 vcc, vcc, s[0:1]
	v_lshrrev_b32_e32 v8, 16, v3
	v_cmp_u_f16_e64 s[6:7], v4, v4
	v_cmp_gt_f16_e64 s[8:9], s15, v4
	v_cndmask_b32_e32 v2, v6, v2, vcc
	v_cmp_u_f16_e32 vcc, v7, v7
	v_cmp_gt_f16_e64 s[0:1], s15, v7
	s_or_b64 s[2:3], s[2:3], s[4:5]
	v_lshrrev_b32_e32 v9, 16, v4
	v_cmp_u_f16_e64 s[10:11], v5, v5
	v_cmp_gt_f16_e64 s[12:13], s15, v5
	v_cndmask_b32_e64 v3, v6, v3, s[2:3]
	v_cmp_u_f16_e64 s[2:3], v8, v8
	v_cmp_gt_f16_e64 s[4:5], s15, v8
	s_or_b64 s[6:7], s[6:7], s[8:9]
	s_or_b64 vcc, vcc, s[0:1]
	v_lshrrev_b32_e32 v10, 16, v5
	v_cndmask_b32_e64 v4, v6, v4, s[6:7]
	v_cmp_u_f16_e64 s[6:7], v9, v9
	v_cmp_gt_f16_e64 s[8:9], s15, v9
	s_or_b64 s[10:11], s[10:11], s[12:13]
	v_cndmask_b32_e32 v7, v6, v7, vcc
	s_or_b64 vcc, s[2:3], s[4:5]
	v_cndmask_b32_e64 v5, v6, v5, s[10:11]
	v_cmp_u_f16_e64 s[10:11], v10, v10
	v_cmp_gt_f16_e64 s[12:13], s15, v10
	v_cndmask_b32_e32 v8, v6, v8, vcc
	s_or_b64 vcc, s[6:7], s[8:9]
	v_cndmask_b32_e32 v9, v6, v9, vcc
	s_or_b64 vcc, s[10:11], s[12:13]
	v_cndmask_b32_e32 v6, v6, v10, vcc
	s_add_u32 s0, s16, s22
	v_perm_b32 v5, v6, v5, s21
	v_perm_b32 v4, v9, v4, s21
	;; [unrolled: 1-line block ×4, first 2 shown]
	s_addc_u32 s1, s17, s23
	global_store_dwordx4 v1, v[2:5], s[0:1]
	s_mov_b64 s[0:1], 0
.LBB474_2:
	s_andn2_b64 vcc, exec, s[0:1]
	s_cbranch_vccnz .LBB474_26
; %bb.3:
	v_cmp_gt_i32_e32 vcc, s14, v0
	v_mov_b32_e32 v6, 0
	v_or_b32_e32 v2, s20, v0
	v_mov_b32_e32 v8, 0
	v_mov_b32_e32 v3, v0
	s_and_saveexec_b64 s[0:1], vcc
	s_cbranch_execz .LBB474_5
; %bb.4:
	v_mov_b32_e32 v3, 0
	v_lshl_add_u64 v[4:5], v[2:3], 1, s[18:19]
	global_load_ushort v8, v[4:5], off
	v_or_b32_e32 v3, 0x100, v0
.LBB474_5:
	s_or_b64 exec, exec, s[0:1]
	v_cmp_gt_i32_e64 s[0:1], s14, v3
	s_and_saveexec_b64 s[2:3], s[0:1]
	s_cbranch_execz .LBB474_7
; %bb.6:
	v_add_u32_e32 v4, s20, v3
	v_mov_b32_e32 v5, 0
	v_lshl_add_u64 v[4:5], v[4:5], 1, s[18:19]
	global_load_ushort v6, v[4:5], off
	v_add_u32_e32 v3, 0x100, v3
.LBB474_7:
	s_or_b64 exec, exec, s[2:3]
	v_cmp_gt_i32_e64 s[0:1], s14, v3
	v_mov_b32_e32 v5, 0
	v_mov_b32_e32 v10, 0
	s_and_saveexec_b64 s[2:3], s[0:1]
	s_cbranch_execz .LBB474_9
; %bb.8:
	v_add_u32_e32 v10, s20, v3
	v_mov_b32_e32 v11, 0
	v_lshl_add_u64 v[10:11], v[10:11], 1, s[18:19]
	global_load_ushort v10, v[10:11], off
	v_add_u32_e32 v3, 0x100, v3
.LBB474_9:
	s_or_b64 exec, exec, s[2:3]
	v_cmp_gt_i32_e64 s[0:1], s14, v3
	s_and_saveexec_b64 s[2:3], s[0:1]
	s_cbranch_execz .LBB474_11
; %bb.10:
	v_add_u32_e32 v4, s20, v3
	v_mov_b32_e32 v5, 0
	v_lshl_add_u64 v[4:5], v[4:5], 1, s[18:19]
	global_load_ushort v5, v[4:5], off
	v_add_u32_e32 v3, 0x100, v3
.LBB474_11:
	s_or_b64 exec, exec, s[2:3]
	v_cmp_gt_i32_e64 s[0:1], s14, v3
	v_mov_b32_e32 v4, 0
	v_mov_b32_e32 v9, 0
	s_and_saveexec_b64 s[2:3], s[0:1]
	s_cbranch_execz .LBB474_13
; %bb.12:
	v_add_u32_e32 v12, s20, v3
	v_mov_b32_e32 v13, 0
	v_lshl_add_u64 v[12:13], v[12:13], 1, s[18:19]
	global_load_ushort v9, v[12:13], off
	v_add_u32_e32 v3, 0x100, v3
.LBB474_13:
	s_or_b64 exec, exec, s[2:3]
	v_cmp_gt_i32_e64 s[0:1], s14, v3
	s_and_saveexec_b64 s[2:3], s[0:1]
	s_cbranch_execz .LBB474_15
; %bb.14:
	v_add_u32_e32 v12, s20, v3
	v_mov_b32_e32 v13, 0
	v_lshl_add_u64 v[12:13], v[12:13], 1, s[18:19]
	global_load_ushort v4, v[12:13], off
	v_add_u32_e32 v3, 0x100, v3
.LBB474_15:
	s_or_b64 exec, exec, s[2:3]
	v_cmp_gt_i32_e64 s[0:1], s14, v3
	v_mov_b32_e32 v1, 0
	v_mov_b32_e32 v7, 0
	s_and_saveexec_b64 s[2:3], s[0:1]
	s_cbranch_execnz .LBB474_27
; %bb.16:
	s_or_b64 exec, exec, s[2:3]
	v_cmp_gt_i32_e64 s[0:1], s14, v3
	s_and_saveexec_b64 s[2:3], s[0:1]
	s_cbranch_execnz .LBB474_28
.LBB474_17:
	s_or_b64 exec, exec, s[2:3]
	s_and_saveexec_b64 s[2:3], vcc
	s_cbranch_execnz .LBB474_29
.LBB474_18:
	s_or_b64 exec, exec, s[2:3]
	v_cmp_gt_i32_e32 vcc, s14, v0
	s_and_saveexec_b64 s[2:3], vcc
	s_cbranch_execnz .LBB474_30
.LBB474_19:
	s_or_b64 exec, exec, s[2:3]
	v_cmp_gt_i32_e32 vcc, s14, v0
	s_and_saveexec_b64 s[2:3], vcc
	s_cbranch_execnz .LBB474_31
.LBB474_20:
	s_or_b64 exec, exec, s[2:3]
	v_cmp_gt_i32_e32 vcc, s14, v0
	s_and_saveexec_b64 s[2:3], vcc
	s_cbranch_execnz .LBB474_32
.LBB474_21:
	s_or_b64 exec, exec, s[2:3]
	v_cmp_gt_i32_e32 vcc, s14, v0
	s_and_saveexec_b64 s[2:3], vcc
	s_cbranch_execnz .LBB474_33
.LBB474_22:
	s_or_b64 exec, exec, s[2:3]
	v_cmp_gt_i32_e32 vcc, s14, v0
	s_and_saveexec_b64 s[2:3], vcc
	s_cbranch_execnz .LBB474_34
.LBB474_23:
	s_or_b64 exec, exec, s[2:3]
	v_cmp_gt_i32_e32 vcc, s14, v0
	s_and_saveexec_b64 s[2:3], vcc
	s_cbranch_execnz .LBB474_35
.LBB474_24:
	s_or_b64 exec, exec, s[2:3]
	v_cmp_gt_i32_e32 vcc, s14, v0
	s_and_saveexec_b64 s[0:1], vcc
	s_cbranch_execz .LBB474_26
.LBB474_25:
	s_waitcnt vmcnt(0)
	v_cmp_u_f16_e32 vcc, v1, v1
	v_cmp_gt_f16_e64 s[0:1], s15, v1
	v_mov_b32_e32 v2, s15
	s_or_b64 vcc, vcc, s[0:1]
	v_cndmask_b32_e32 v2, v2, v1, vcc
	v_add_u32_e32 v0, s20, v0
	v_mov_b32_e32 v1, 0
	v_lshl_add_u64 v[0:1], v[0:1], 1, s[16:17]
	global_store_short v[0:1], v2, off
.LBB474_26:
	s_endpgm
.LBB474_27:
	v_add_u32_e32 v12, s20, v3
	v_mov_b32_e32 v13, 0
	v_lshl_add_u64 v[12:13], v[12:13], 1, s[18:19]
	global_load_ushort v7, v[12:13], off
	v_add_u32_e32 v3, 0x100, v3
	s_or_b64 exec, exec, s[2:3]
	v_cmp_gt_i32_e64 s[0:1], s14, v3
	s_and_saveexec_b64 s[2:3], s[0:1]
	s_cbranch_execz .LBB474_17
.LBB474_28:
	v_add_u32_e32 v12, s20, v3
	v_mov_b32_e32 v13, 0
	v_lshl_add_u64 v[12:13], v[12:13], 1, s[18:19]
	global_load_ushort v1, v[12:13], off
	s_or_b64 exec, exec, s[2:3]
	s_and_saveexec_b64 s[2:3], vcc
	s_cbranch_execz .LBB474_18
.LBB474_29:
	s_waitcnt vmcnt(0)
	v_cmp_u_f16_e32 vcc, v8, v8
	v_cmp_gt_f16_e64 s[0:1], s15, v8
	v_mov_b32_e32 v3, 0
	v_mov_b32_e32 v11, s15
	s_or_b64 vcc, vcc, s[0:1]
	v_lshl_add_u64 v[2:3], v[2:3], 1, s[16:17]
	v_or_b32_e32 v0, 0x100, v0
	v_cndmask_b32_e32 v8, v11, v8, vcc
	global_store_short v[2:3], v8, off
	s_or_b64 exec, exec, s[2:3]
	v_cmp_gt_i32_e32 vcc, s14, v0
	s_and_saveexec_b64 s[2:3], vcc
	s_cbranch_execz .LBB474_19
.LBB474_30:
	s_waitcnt vmcnt(0)
	v_cmp_u_f16_e32 vcc, v6, v6
	v_cmp_gt_f16_e64 s[0:1], s15, v6
	v_mov_b32_e32 v2, s15
	s_or_b64 vcc, vcc, s[0:1]
	v_cndmask_b32_e32 v6, v2, v6, vcc
	v_add_u32_e32 v2, s20, v0
	v_mov_b32_e32 v3, 0
	v_lshl_add_u64 v[2:3], v[2:3], 1, s[16:17]
	v_add_u32_e32 v0, 0x100, v0
	global_store_short v[2:3], v6, off
	s_or_b64 exec, exec, s[2:3]
	v_cmp_gt_i32_e32 vcc, s14, v0
	s_and_saveexec_b64 s[2:3], vcc
	s_cbranch_execz .LBB474_20
.LBB474_31:
	s_waitcnt vmcnt(0)
	v_cmp_u_f16_e32 vcc, v10, v10
	v_cmp_gt_f16_e64 s[0:1], s15, v10
	v_mov_b32_e32 v2, s15
	s_or_b64 vcc, vcc, s[0:1]
	v_cndmask_b32_e32 v6, v2, v10, vcc
	v_add_u32_e32 v2, s20, v0
	v_mov_b32_e32 v3, 0
	v_lshl_add_u64 v[2:3], v[2:3], 1, s[16:17]
	v_add_u32_e32 v0, 0x100, v0
	global_store_short v[2:3], v6, off
	s_or_b64 exec, exec, s[2:3]
	v_cmp_gt_i32_e32 vcc, s14, v0
	s_and_saveexec_b64 s[2:3], vcc
	s_cbranch_execz .LBB474_21
.LBB474_32:
	s_waitcnt vmcnt(0)
	v_cmp_u_f16_e32 vcc, v5, v5
	v_cmp_gt_f16_e64 s[0:1], s15, v5
	v_mov_b32_e32 v2, s15
	s_or_b64 vcc, vcc, s[0:1]
	v_cndmask_b32_e32 v5, v2, v5, vcc
	v_add_u32_e32 v2, s20, v0
	v_mov_b32_e32 v3, 0
	v_lshl_add_u64 v[2:3], v[2:3], 1, s[16:17]
	v_add_u32_e32 v0, 0x100, v0
	global_store_short v[2:3], v5, off
	s_or_b64 exec, exec, s[2:3]
	v_cmp_gt_i32_e32 vcc, s14, v0
	s_and_saveexec_b64 s[2:3], vcc
	s_cbranch_execz .LBB474_22
.LBB474_33:
	s_waitcnt vmcnt(0)
	v_cmp_u_f16_e32 vcc, v9, v9
	v_cmp_gt_f16_e64 s[0:1], s15, v9
	v_mov_b32_e32 v2, s15
	s_or_b64 vcc, vcc, s[0:1]
	v_cndmask_b32_e32 v5, v2, v9, vcc
	v_add_u32_e32 v2, s20, v0
	v_mov_b32_e32 v3, 0
	v_lshl_add_u64 v[2:3], v[2:3], 1, s[16:17]
	v_add_u32_e32 v0, 0x100, v0
	global_store_short v[2:3], v5, off
	s_or_b64 exec, exec, s[2:3]
	v_cmp_gt_i32_e32 vcc, s14, v0
	s_and_saveexec_b64 s[2:3], vcc
	s_cbranch_execz .LBB474_23
.LBB474_34:
	s_waitcnt vmcnt(0)
	v_cmp_u_f16_e32 vcc, v4, v4
	v_cmp_gt_f16_e64 s[0:1], s15, v4
	v_mov_b32_e32 v2, s15
	s_or_b64 vcc, vcc, s[0:1]
	v_cndmask_b32_e32 v4, v2, v4, vcc
	v_add_u32_e32 v2, s20, v0
	v_mov_b32_e32 v3, 0
	v_lshl_add_u64 v[2:3], v[2:3], 1, s[16:17]
	v_add_u32_e32 v0, 0x100, v0
	global_store_short v[2:3], v4, off
	s_or_b64 exec, exec, s[2:3]
	v_cmp_gt_i32_e32 vcc, s14, v0
	s_and_saveexec_b64 s[2:3], vcc
	s_cbranch_execz .LBB474_24
.LBB474_35:
	s_waitcnt vmcnt(0)
	v_cmp_u_f16_e32 vcc, v7, v7
	v_cmp_gt_f16_e64 s[0:1], s15, v7
	v_mov_b32_e32 v2, s15
	s_or_b64 vcc, vcc, s[0:1]
	v_cndmask_b32_e32 v4, v2, v7, vcc
	v_add_u32_e32 v2, s20, v0
	v_mov_b32_e32 v3, 0
	v_lshl_add_u64 v[2:3], v[2:3], 1, s[16:17]
	v_add_u32_e32 v0, 0x100, v0
	global_store_short v[2:3], v4, off
	s_or_b64 exec, exec, s[2:3]
	v_cmp_gt_i32_e32 vcc, s14, v0
	s_and_saveexec_b64 s[0:1], vcc
	s_cbranch_execnz .LBB474_25
	s_branch .LBB474_26
	.section	.rodata,"a",@progbits
	.p2align	6, 0x0
	.amdhsa_kernel _ZN2at6native29vectorized_elementwise_kernelILi16EZZZNS0_21clamp_max_kernel_cudaERNS_18TensorIteratorBaseERKN3c106ScalarEENKUlvE_clEvENKUlvE6_clEvEUlNS4_4HalfEE_St5arrayIPcLm2EEEEviT0_T1_
		.amdhsa_group_segment_fixed_size 0
		.amdhsa_private_segment_fixed_size 0
		.amdhsa_kernarg_size 24
		.amdhsa_user_sgpr_count 2
		.amdhsa_user_sgpr_dispatch_ptr 0
		.amdhsa_user_sgpr_queue_ptr 0
		.amdhsa_user_sgpr_kernarg_segment_ptr 1
		.amdhsa_user_sgpr_dispatch_id 0
		.amdhsa_user_sgpr_kernarg_preload_length 0
		.amdhsa_user_sgpr_kernarg_preload_offset 0
		.amdhsa_user_sgpr_private_segment_size 0
		.amdhsa_uses_dynamic_stack 0
		.amdhsa_enable_private_segment 0
		.amdhsa_system_sgpr_workgroup_id_x 1
		.amdhsa_system_sgpr_workgroup_id_y 0
		.amdhsa_system_sgpr_workgroup_id_z 0
		.amdhsa_system_sgpr_workgroup_info 0
		.amdhsa_system_vgpr_workitem_id 0
		.amdhsa_next_free_vgpr 14
		.amdhsa_next_free_sgpr 24
		.amdhsa_accum_offset 16
		.amdhsa_reserve_vcc 1
		.amdhsa_float_round_mode_32 0
		.amdhsa_float_round_mode_16_64 0
		.amdhsa_float_denorm_mode_32 3
		.amdhsa_float_denorm_mode_16_64 3
		.amdhsa_dx10_clamp 1
		.amdhsa_ieee_mode 1
		.amdhsa_fp16_overflow 0
		.amdhsa_tg_split 0
		.amdhsa_exception_fp_ieee_invalid_op 0
		.amdhsa_exception_fp_denorm_src 0
		.amdhsa_exception_fp_ieee_div_zero 0
		.amdhsa_exception_fp_ieee_overflow 0
		.amdhsa_exception_fp_ieee_underflow 0
		.amdhsa_exception_fp_ieee_inexact 0
		.amdhsa_exception_int_div_zero 0
	.end_amdhsa_kernel
	.section	.text._ZN2at6native29vectorized_elementwise_kernelILi16EZZZNS0_21clamp_max_kernel_cudaERNS_18TensorIteratorBaseERKN3c106ScalarEENKUlvE_clEvENKUlvE6_clEvEUlNS4_4HalfEE_St5arrayIPcLm2EEEEviT0_T1_,"axG",@progbits,_ZN2at6native29vectorized_elementwise_kernelILi16EZZZNS0_21clamp_max_kernel_cudaERNS_18TensorIteratorBaseERKN3c106ScalarEENKUlvE_clEvENKUlvE6_clEvEUlNS4_4HalfEE_St5arrayIPcLm2EEEEviT0_T1_,comdat
.Lfunc_end474:
	.size	_ZN2at6native29vectorized_elementwise_kernelILi16EZZZNS0_21clamp_max_kernel_cudaERNS_18TensorIteratorBaseERKN3c106ScalarEENKUlvE_clEvENKUlvE6_clEvEUlNS4_4HalfEE_St5arrayIPcLm2EEEEviT0_T1_, .Lfunc_end474-_ZN2at6native29vectorized_elementwise_kernelILi16EZZZNS0_21clamp_max_kernel_cudaERNS_18TensorIteratorBaseERKN3c106ScalarEENKUlvE_clEvENKUlvE6_clEvEUlNS4_4HalfEE_St5arrayIPcLm2EEEEviT0_T1_
                                        ; -- End function
	.set _ZN2at6native29vectorized_elementwise_kernelILi16EZZZNS0_21clamp_max_kernel_cudaERNS_18TensorIteratorBaseERKN3c106ScalarEENKUlvE_clEvENKUlvE6_clEvEUlNS4_4HalfEE_St5arrayIPcLm2EEEEviT0_T1_.num_vgpr, 14
	.set _ZN2at6native29vectorized_elementwise_kernelILi16EZZZNS0_21clamp_max_kernel_cudaERNS_18TensorIteratorBaseERKN3c106ScalarEENKUlvE_clEvENKUlvE6_clEvEUlNS4_4HalfEE_St5arrayIPcLm2EEEEviT0_T1_.num_agpr, 0
	.set _ZN2at6native29vectorized_elementwise_kernelILi16EZZZNS0_21clamp_max_kernel_cudaERNS_18TensorIteratorBaseERKN3c106ScalarEENKUlvE_clEvENKUlvE6_clEvEUlNS4_4HalfEE_St5arrayIPcLm2EEEEviT0_T1_.numbered_sgpr, 24
	.set _ZN2at6native29vectorized_elementwise_kernelILi16EZZZNS0_21clamp_max_kernel_cudaERNS_18TensorIteratorBaseERKN3c106ScalarEENKUlvE_clEvENKUlvE6_clEvEUlNS4_4HalfEE_St5arrayIPcLm2EEEEviT0_T1_.num_named_barrier, 0
	.set _ZN2at6native29vectorized_elementwise_kernelILi16EZZZNS0_21clamp_max_kernel_cudaERNS_18TensorIteratorBaseERKN3c106ScalarEENKUlvE_clEvENKUlvE6_clEvEUlNS4_4HalfEE_St5arrayIPcLm2EEEEviT0_T1_.private_seg_size, 0
	.set _ZN2at6native29vectorized_elementwise_kernelILi16EZZZNS0_21clamp_max_kernel_cudaERNS_18TensorIteratorBaseERKN3c106ScalarEENKUlvE_clEvENKUlvE6_clEvEUlNS4_4HalfEE_St5arrayIPcLm2EEEEviT0_T1_.uses_vcc, 1
	.set _ZN2at6native29vectorized_elementwise_kernelILi16EZZZNS0_21clamp_max_kernel_cudaERNS_18TensorIteratorBaseERKN3c106ScalarEENKUlvE_clEvENKUlvE6_clEvEUlNS4_4HalfEE_St5arrayIPcLm2EEEEviT0_T1_.uses_flat_scratch, 0
	.set _ZN2at6native29vectorized_elementwise_kernelILi16EZZZNS0_21clamp_max_kernel_cudaERNS_18TensorIteratorBaseERKN3c106ScalarEENKUlvE_clEvENKUlvE6_clEvEUlNS4_4HalfEE_St5arrayIPcLm2EEEEviT0_T1_.has_dyn_sized_stack, 0
	.set _ZN2at6native29vectorized_elementwise_kernelILi16EZZZNS0_21clamp_max_kernel_cudaERNS_18TensorIteratorBaseERKN3c106ScalarEENKUlvE_clEvENKUlvE6_clEvEUlNS4_4HalfEE_St5arrayIPcLm2EEEEviT0_T1_.has_recursion, 0
	.set _ZN2at6native29vectorized_elementwise_kernelILi16EZZZNS0_21clamp_max_kernel_cudaERNS_18TensorIteratorBaseERKN3c106ScalarEENKUlvE_clEvENKUlvE6_clEvEUlNS4_4HalfEE_St5arrayIPcLm2EEEEviT0_T1_.has_indirect_call, 0
	.section	.AMDGPU.csdata,"",@progbits
; Kernel info:
; codeLenInByte = 1536
; TotalNumSgprs: 30
; NumVgprs: 14
; NumAgprs: 0
; TotalNumVgprs: 14
; ScratchSize: 0
; MemoryBound: 0
; FloatMode: 240
; IeeeMode: 1
; LDSByteSize: 0 bytes/workgroup (compile time only)
; SGPRBlocks: 3
; VGPRBlocks: 1
; NumSGPRsForWavesPerEU: 30
; NumVGPRsForWavesPerEU: 14
; AccumOffset: 16
; Occupancy: 8
; WaveLimiterHint : 0
; COMPUTE_PGM_RSRC2:SCRATCH_EN: 0
; COMPUTE_PGM_RSRC2:USER_SGPR: 2
; COMPUTE_PGM_RSRC2:TRAP_HANDLER: 0
; COMPUTE_PGM_RSRC2:TGID_X_EN: 1
; COMPUTE_PGM_RSRC2:TGID_Y_EN: 0
; COMPUTE_PGM_RSRC2:TGID_Z_EN: 0
; COMPUTE_PGM_RSRC2:TIDIG_COMP_CNT: 0
; COMPUTE_PGM_RSRC3_GFX90A:ACCUM_OFFSET: 3
; COMPUTE_PGM_RSRC3_GFX90A:TG_SPLIT: 0
	.section	.text._ZN2at6native29vectorized_elementwise_kernelILi8EZZZNS0_21clamp_max_kernel_cudaERNS_18TensorIteratorBaseERKN3c106ScalarEENKUlvE_clEvENKUlvE6_clEvEUlNS4_4HalfEE_St5arrayIPcLm2EEEEviT0_T1_,"axG",@progbits,_ZN2at6native29vectorized_elementwise_kernelILi8EZZZNS0_21clamp_max_kernel_cudaERNS_18TensorIteratorBaseERKN3c106ScalarEENKUlvE_clEvENKUlvE6_clEvEUlNS4_4HalfEE_St5arrayIPcLm2EEEEviT0_T1_,comdat
	.globl	_ZN2at6native29vectorized_elementwise_kernelILi8EZZZNS0_21clamp_max_kernel_cudaERNS_18TensorIteratorBaseERKN3c106ScalarEENKUlvE_clEvENKUlvE6_clEvEUlNS4_4HalfEE_St5arrayIPcLm2EEEEviT0_T1_ ; -- Begin function _ZN2at6native29vectorized_elementwise_kernelILi8EZZZNS0_21clamp_max_kernel_cudaERNS_18TensorIteratorBaseERKN3c106ScalarEENKUlvE_clEvENKUlvE6_clEvEUlNS4_4HalfEE_St5arrayIPcLm2EEEEviT0_T1_
	.p2align	8
	.type	_ZN2at6native29vectorized_elementwise_kernelILi8EZZZNS0_21clamp_max_kernel_cudaERNS_18TensorIteratorBaseERKN3c106ScalarEENKUlvE_clEvENKUlvE6_clEvEUlNS4_4HalfEE_St5arrayIPcLm2EEEEviT0_T1_,@function
_ZN2at6native29vectorized_elementwise_kernelILi8EZZZNS0_21clamp_max_kernel_cudaERNS_18TensorIteratorBaseERKN3c106ScalarEENKUlvE_clEvENKUlvE6_clEvEUlNS4_4HalfEE_St5arrayIPcLm2EEEEviT0_T1_: ; @_ZN2at6native29vectorized_elementwise_kernelILi8EZZZNS0_21clamp_max_kernel_cudaERNS_18TensorIteratorBaseERKN3c106ScalarEENKUlvE_clEvENKUlvE6_clEvEUlNS4_4HalfEE_St5arrayIPcLm2EEEEviT0_T1_
; %bb.0:
	s_load_dwordx2 s[14:15], s[0:1], 0x0
	s_load_dwordx4 s[16:19], s[0:1], 0x8
	s_lshl_b32 s20, s2, 11
	s_mov_b64 s[0:1], -1
	s_waitcnt lgkmcnt(0)
	s_sub_i32 s14, s14, s20
	s_cmpk_gt_i32 s14, 0x7ff
	s_cbranch_scc0 .LBB475_2
; %bb.1:
	s_ashr_i32 s21, s20, 31
	s_lshl_b64 s[22:23], s[20:21], 1
	s_add_u32 s0, s18, s22
	s_addc_u32 s1, s19, s23
	v_lshlrev_b32_e32 v1, 4, v0
	global_load_dwordx4 v[2:5], v1, s[0:1]
	v_mov_b32_e32 v6, s15
	s_mov_b32 s21, 0x5040100
	s_waitcnt vmcnt(0)
	v_cmp_u_f16_e32 vcc, v2, v2
	v_cmp_gt_f16_e64 s[0:1], s15, v2
	v_lshrrev_b32_e32 v7, 16, v2
	v_cmp_u_f16_e64 s[2:3], v3, v3
	v_cmp_gt_f16_e64 s[4:5], s15, v3
	s_or_b64 vcc, vcc, s[0:1]
	v_lshrrev_b32_e32 v8, 16, v3
	v_cmp_u_f16_e64 s[6:7], v4, v4
	v_cmp_gt_f16_e64 s[8:9], s15, v4
	v_cndmask_b32_e32 v2, v6, v2, vcc
	v_cmp_u_f16_e32 vcc, v7, v7
	v_cmp_gt_f16_e64 s[0:1], s15, v7
	s_or_b64 s[2:3], s[2:3], s[4:5]
	v_lshrrev_b32_e32 v9, 16, v4
	v_cmp_u_f16_e64 s[10:11], v5, v5
	v_cmp_gt_f16_e64 s[12:13], s15, v5
	v_cndmask_b32_e64 v3, v6, v3, s[2:3]
	v_cmp_u_f16_e64 s[2:3], v8, v8
	v_cmp_gt_f16_e64 s[4:5], s15, v8
	s_or_b64 s[6:7], s[6:7], s[8:9]
	s_or_b64 vcc, vcc, s[0:1]
	v_lshrrev_b32_e32 v10, 16, v5
	v_cndmask_b32_e64 v4, v6, v4, s[6:7]
	v_cmp_u_f16_e64 s[6:7], v9, v9
	v_cmp_gt_f16_e64 s[8:9], s15, v9
	s_or_b64 s[10:11], s[10:11], s[12:13]
	v_cndmask_b32_e32 v7, v6, v7, vcc
	s_or_b64 vcc, s[2:3], s[4:5]
	v_cndmask_b32_e64 v5, v6, v5, s[10:11]
	v_cmp_u_f16_e64 s[10:11], v10, v10
	v_cmp_gt_f16_e64 s[12:13], s15, v10
	v_cndmask_b32_e32 v8, v6, v8, vcc
	s_or_b64 vcc, s[6:7], s[8:9]
	v_cndmask_b32_e32 v9, v6, v9, vcc
	s_or_b64 vcc, s[10:11], s[12:13]
	v_cndmask_b32_e32 v6, v6, v10, vcc
	s_add_u32 s0, s16, s22
	v_perm_b32 v5, v6, v5, s21
	v_perm_b32 v4, v9, v4, s21
	;; [unrolled: 1-line block ×4, first 2 shown]
	s_addc_u32 s1, s17, s23
	global_store_dwordx4 v1, v[2:5], s[0:1]
	s_mov_b64 s[0:1], 0
.LBB475_2:
	s_andn2_b64 vcc, exec, s[0:1]
	s_cbranch_vccnz .LBB475_26
; %bb.3:
	v_cmp_gt_i32_e32 vcc, s14, v0
	v_mov_b32_e32 v6, 0
	v_or_b32_e32 v2, s20, v0
	v_mov_b32_e32 v8, 0
	v_mov_b32_e32 v3, v0
	s_and_saveexec_b64 s[0:1], vcc
	s_cbranch_execz .LBB475_5
; %bb.4:
	v_mov_b32_e32 v3, 0
	v_lshl_add_u64 v[4:5], v[2:3], 1, s[18:19]
	global_load_ushort v8, v[4:5], off
	v_or_b32_e32 v3, 0x100, v0
.LBB475_5:
	s_or_b64 exec, exec, s[0:1]
	v_cmp_gt_i32_e64 s[0:1], s14, v3
	s_and_saveexec_b64 s[2:3], s[0:1]
	s_cbranch_execz .LBB475_7
; %bb.6:
	v_add_u32_e32 v4, s20, v3
	v_mov_b32_e32 v5, 0
	v_lshl_add_u64 v[4:5], v[4:5], 1, s[18:19]
	global_load_ushort v6, v[4:5], off
	v_add_u32_e32 v3, 0x100, v3
.LBB475_7:
	s_or_b64 exec, exec, s[2:3]
	v_cmp_gt_i32_e64 s[0:1], s14, v3
	v_mov_b32_e32 v5, 0
	v_mov_b32_e32 v10, 0
	s_and_saveexec_b64 s[2:3], s[0:1]
	s_cbranch_execz .LBB475_9
; %bb.8:
	v_add_u32_e32 v10, s20, v3
	v_mov_b32_e32 v11, 0
	v_lshl_add_u64 v[10:11], v[10:11], 1, s[18:19]
	global_load_ushort v10, v[10:11], off
	v_add_u32_e32 v3, 0x100, v3
.LBB475_9:
	s_or_b64 exec, exec, s[2:3]
	v_cmp_gt_i32_e64 s[0:1], s14, v3
	s_and_saveexec_b64 s[2:3], s[0:1]
	s_cbranch_execz .LBB475_11
; %bb.10:
	v_add_u32_e32 v4, s20, v3
	v_mov_b32_e32 v5, 0
	v_lshl_add_u64 v[4:5], v[4:5], 1, s[18:19]
	global_load_ushort v5, v[4:5], off
	v_add_u32_e32 v3, 0x100, v3
.LBB475_11:
	s_or_b64 exec, exec, s[2:3]
	v_cmp_gt_i32_e64 s[0:1], s14, v3
	v_mov_b32_e32 v4, 0
	v_mov_b32_e32 v9, 0
	s_and_saveexec_b64 s[2:3], s[0:1]
	s_cbranch_execz .LBB475_13
; %bb.12:
	v_add_u32_e32 v12, s20, v3
	v_mov_b32_e32 v13, 0
	v_lshl_add_u64 v[12:13], v[12:13], 1, s[18:19]
	global_load_ushort v9, v[12:13], off
	v_add_u32_e32 v3, 0x100, v3
.LBB475_13:
	s_or_b64 exec, exec, s[2:3]
	v_cmp_gt_i32_e64 s[0:1], s14, v3
	s_and_saveexec_b64 s[2:3], s[0:1]
	s_cbranch_execz .LBB475_15
; %bb.14:
	v_add_u32_e32 v12, s20, v3
	v_mov_b32_e32 v13, 0
	v_lshl_add_u64 v[12:13], v[12:13], 1, s[18:19]
	global_load_ushort v4, v[12:13], off
	v_add_u32_e32 v3, 0x100, v3
.LBB475_15:
	s_or_b64 exec, exec, s[2:3]
	v_cmp_gt_i32_e64 s[0:1], s14, v3
	v_mov_b32_e32 v1, 0
	v_mov_b32_e32 v7, 0
	s_and_saveexec_b64 s[2:3], s[0:1]
	s_cbranch_execnz .LBB475_27
; %bb.16:
	s_or_b64 exec, exec, s[2:3]
	v_cmp_gt_i32_e64 s[0:1], s14, v3
	s_and_saveexec_b64 s[2:3], s[0:1]
	s_cbranch_execnz .LBB475_28
.LBB475_17:
	s_or_b64 exec, exec, s[2:3]
	s_and_saveexec_b64 s[2:3], vcc
	s_cbranch_execnz .LBB475_29
.LBB475_18:
	s_or_b64 exec, exec, s[2:3]
	v_cmp_gt_i32_e32 vcc, s14, v0
	s_and_saveexec_b64 s[2:3], vcc
	s_cbranch_execnz .LBB475_30
.LBB475_19:
	s_or_b64 exec, exec, s[2:3]
	v_cmp_gt_i32_e32 vcc, s14, v0
	s_and_saveexec_b64 s[2:3], vcc
	s_cbranch_execnz .LBB475_31
.LBB475_20:
	s_or_b64 exec, exec, s[2:3]
	v_cmp_gt_i32_e32 vcc, s14, v0
	s_and_saveexec_b64 s[2:3], vcc
	s_cbranch_execnz .LBB475_32
.LBB475_21:
	s_or_b64 exec, exec, s[2:3]
	v_cmp_gt_i32_e32 vcc, s14, v0
	s_and_saveexec_b64 s[2:3], vcc
	s_cbranch_execnz .LBB475_33
.LBB475_22:
	s_or_b64 exec, exec, s[2:3]
	v_cmp_gt_i32_e32 vcc, s14, v0
	s_and_saveexec_b64 s[2:3], vcc
	s_cbranch_execnz .LBB475_34
.LBB475_23:
	s_or_b64 exec, exec, s[2:3]
	v_cmp_gt_i32_e32 vcc, s14, v0
	s_and_saveexec_b64 s[2:3], vcc
	s_cbranch_execnz .LBB475_35
.LBB475_24:
	s_or_b64 exec, exec, s[2:3]
	v_cmp_gt_i32_e32 vcc, s14, v0
	s_and_saveexec_b64 s[0:1], vcc
	s_cbranch_execz .LBB475_26
.LBB475_25:
	s_waitcnt vmcnt(0)
	v_cmp_u_f16_e32 vcc, v1, v1
	v_cmp_gt_f16_e64 s[0:1], s15, v1
	v_mov_b32_e32 v2, s15
	s_or_b64 vcc, vcc, s[0:1]
	v_cndmask_b32_e32 v2, v2, v1, vcc
	v_add_u32_e32 v0, s20, v0
	v_mov_b32_e32 v1, 0
	v_lshl_add_u64 v[0:1], v[0:1], 1, s[16:17]
	global_store_short v[0:1], v2, off
.LBB475_26:
	s_endpgm
.LBB475_27:
	v_add_u32_e32 v12, s20, v3
	v_mov_b32_e32 v13, 0
	v_lshl_add_u64 v[12:13], v[12:13], 1, s[18:19]
	global_load_ushort v7, v[12:13], off
	v_add_u32_e32 v3, 0x100, v3
	s_or_b64 exec, exec, s[2:3]
	v_cmp_gt_i32_e64 s[0:1], s14, v3
	s_and_saveexec_b64 s[2:3], s[0:1]
	s_cbranch_execz .LBB475_17
.LBB475_28:
	v_add_u32_e32 v12, s20, v3
	v_mov_b32_e32 v13, 0
	v_lshl_add_u64 v[12:13], v[12:13], 1, s[18:19]
	global_load_ushort v1, v[12:13], off
	s_or_b64 exec, exec, s[2:3]
	s_and_saveexec_b64 s[2:3], vcc
	s_cbranch_execz .LBB475_18
.LBB475_29:
	s_waitcnt vmcnt(0)
	v_cmp_u_f16_e32 vcc, v8, v8
	v_cmp_gt_f16_e64 s[0:1], s15, v8
	v_mov_b32_e32 v3, 0
	v_mov_b32_e32 v11, s15
	s_or_b64 vcc, vcc, s[0:1]
	v_lshl_add_u64 v[2:3], v[2:3], 1, s[16:17]
	v_or_b32_e32 v0, 0x100, v0
	v_cndmask_b32_e32 v8, v11, v8, vcc
	global_store_short v[2:3], v8, off
	s_or_b64 exec, exec, s[2:3]
	v_cmp_gt_i32_e32 vcc, s14, v0
	s_and_saveexec_b64 s[2:3], vcc
	s_cbranch_execz .LBB475_19
.LBB475_30:
	s_waitcnt vmcnt(0)
	v_cmp_u_f16_e32 vcc, v6, v6
	v_cmp_gt_f16_e64 s[0:1], s15, v6
	v_mov_b32_e32 v2, s15
	s_or_b64 vcc, vcc, s[0:1]
	v_cndmask_b32_e32 v6, v2, v6, vcc
	v_add_u32_e32 v2, s20, v0
	v_mov_b32_e32 v3, 0
	v_lshl_add_u64 v[2:3], v[2:3], 1, s[16:17]
	v_add_u32_e32 v0, 0x100, v0
	global_store_short v[2:3], v6, off
	s_or_b64 exec, exec, s[2:3]
	v_cmp_gt_i32_e32 vcc, s14, v0
	s_and_saveexec_b64 s[2:3], vcc
	s_cbranch_execz .LBB475_20
.LBB475_31:
	s_waitcnt vmcnt(0)
	v_cmp_u_f16_e32 vcc, v10, v10
	v_cmp_gt_f16_e64 s[0:1], s15, v10
	v_mov_b32_e32 v2, s15
	s_or_b64 vcc, vcc, s[0:1]
	v_cndmask_b32_e32 v6, v2, v10, vcc
	v_add_u32_e32 v2, s20, v0
	v_mov_b32_e32 v3, 0
	v_lshl_add_u64 v[2:3], v[2:3], 1, s[16:17]
	v_add_u32_e32 v0, 0x100, v0
	global_store_short v[2:3], v6, off
	s_or_b64 exec, exec, s[2:3]
	v_cmp_gt_i32_e32 vcc, s14, v0
	s_and_saveexec_b64 s[2:3], vcc
	s_cbranch_execz .LBB475_21
.LBB475_32:
	s_waitcnt vmcnt(0)
	v_cmp_u_f16_e32 vcc, v5, v5
	v_cmp_gt_f16_e64 s[0:1], s15, v5
	v_mov_b32_e32 v2, s15
	s_or_b64 vcc, vcc, s[0:1]
	v_cndmask_b32_e32 v5, v2, v5, vcc
	v_add_u32_e32 v2, s20, v0
	v_mov_b32_e32 v3, 0
	v_lshl_add_u64 v[2:3], v[2:3], 1, s[16:17]
	v_add_u32_e32 v0, 0x100, v0
	global_store_short v[2:3], v5, off
	s_or_b64 exec, exec, s[2:3]
	v_cmp_gt_i32_e32 vcc, s14, v0
	s_and_saveexec_b64 s[2:3], vcc
	s_cbranch_execz .LBB475_22
.LBB475_33:
	s_waitcnt vmcnt(0)
	v_cmp_u_f16_e32 vcc, v9, v9
	v_cmp_gt_f16_e64 s[0:1], s15, v9
	v_mov_b32_e32 v2, s15
	s_or_b64 vcc, vcc, s[0:1]
	v_cndmask_b32_e32 v5, v2, v9, vcc
	v_add_u32_e32 v2, s20, v0
	v_mov_b32_e32 v3, 0
	v_lshl_add_u64 v[2:3], v[2:3], 1, s[16:17]
	v_add_u32_e32 v0, 0x100, v0
	global_store_short v[2:3], v5, off
	s_or_b64 exec, exec, s[2:3]
	v_cmp_gt_i32_e32 vcc, s14, v0
	s_and_saveexec_b64 s[2:3], vcc
	s_cbranch_execz .LBB475_23
.LBB475_34:
	s_waitcnt vmcnt(0)
	v_cmp_u_f16_e32 vcc, v4, v4
	v_cmp_gt_f16_e64 s[0:1], s15, v4
	v_mov_b32_e32 v2, s15
	s_or_b64 vcc, vcc, s[0:1]
	v_cndmask_b32_e32 v4, v2, v4, vcc
	v_add_u32_e32 v2, s20, v0
	v_mov_b32_e32 v3, 0
	v_lshl_add_u64 v[2:3], v[2:3], 1, s[16:17]
	v_add_u32_e32 v0, 0x100, v0
	global_store_short v[2:3], v4, off
	s_or_b64 exec, exec, s[2:3]
	v_cmp_gt_i32_e32 vcc, s14, v0
	s_and_saveexec_b64 s[2:3], vcc
	s_cbranch_execz .LBB475_24
.LBB475_35:
	s_waitcnt vmcnt(0)
	v_cmp_u_f16_e32 vcc, v7, v7
	v_cmp_gt_f16_e64 s[0:1], s15, v7
	v_mov_b32_e32 v2, s15
	s_or_b64 vcc, vcc, s[0:1]
	v_cndmask_b32_e32 v4, v2, v7, vcc
	v_add_u32_e32 v2, s20, v0
	v_mov_b32_e32 v3, 0
	v_lshl_add_u64 v[2:3], v[2:3], 1, s[16:17]
	v_add_u32_e32 v0, 0x100, v0
	global_store_short v[2:3], v4, off
	s_or_b64 exec, exec, s[2:3]
	v_cmp_gt_i32_e32 vcc, s14, v0
	s_and_saveexec_b64 s[0:1], vcc
	s_cbranch_execnz .LBB475_25
	s_branch .LBB475_26
	.section	.rodata,"a",@progbits
	.p2align	6, 0x0
	.amdhsa_kernel _ZN2at6native29vectorized_elementwise_kernelILi8EZZZNS0_21clamp_max_kernel_cudaERNS_18TensorIteratorBaseERKN3c106ScalarEENKUlvE_clEvENKUlvE6_clEvEUlNS4_4HalfEE_St5arrayIPcLm2EEEEviT0_T1_
		.amdhsa_group_segment_fixed_size 0
		.amdhsa_private_segment_fixed_size 0
		.amdhsa_kernarg_size 24
		.amdhsa_user_sgpr_count 2
		.amdhsa_user_sgpr_dispatch_ptr 0
		.amdhsa_user_sgpr_queue_ptr 0
		.amdhsa_user_sgpr_kernarg_segment_ptr 1
		.amdhsa_user_sgpr_dispatch_id 0
		.amdhsa_user_sgpr_kernarg_preload_length 0
		.amdhsa_user_sgpr_kernarg_preload_offset 0
		.amdhsa_user_sgpr_private_segment_size 0
		.amdhsa_uses_dynamic_stack 0
		.amdhsa_enable_private_segment 0
		.amdhsa_system_sgpr_workgroup_id_x 1
		.amdhsa_system_sgpr_workgroup_id_y 0
		.amdhsa_system_sgpr_workgroup_id_z 0
		.amdhsa_system_sgpr_workgroup_info 0
		.amdhsa_system_vgpr_workitem_id 0
		.amdhsa_next_free_vgpr 14
		.amdhsa_next_free_sgpr 24
		.amdhsa_accum_offset 16
		.amdhsa_reserve_vcc 1
		.amdhsa_float_round_mode_32 0
		.amdhsa_float_round_mode_16_64 0
		.amdhsa_float_denorm_mode_32 3
		.amdhsa_float_denorm_mode_16_64 3
		.amdhsa_dx10_clamp 1
		.amdhsa_ieee_mode 1
		.amdhsa_fp16_overflow 0
		.amdhsa_tg_split 0
		.amdhsa_exception_fp_ieee_invalid_op 0
		.amdhsa_exception_fp_denorm_src 0
		.amdhsa_exception_fp_ieee_div_zero 0
		.amdhsa_exception_fp_ieee_overflow 0
		.amdhsa_exception_fp_ieee_underflow 0
		.amdhsa_exception_fp_ieee_inexact 0
		.amdhsa_exception_int_div_zero 0
	.end_amdhsa_kernel
	.section	.text._ZN2at6native29vectorized_elementwise_kernelILi8EZZZNS0_21clamp_max_kernel_cudaERNS_18TensorIteratorBaseERKN3c106ScalarEENKUlvE_clEvENKUlvE6_clEvEUlNS4_4HalfEE_St5arrayIPcLm2EEEEviT0_T1_,"axG",@progbits,_ZN2at6native29vectorized_elementwise_kernelILi8EZZZNS0_21clamp_max_kernel_cudaERNS_18TensorIteratorBaseERKN3c106ScalarEENKUlvE_clEvENKUlvE6_clEvEUlNS4_4HalfEE_St5arrayIPcLm2EEEEviT0_T1_,comdat
.Lfunc_end475:
	.size	_ZN2at6native29vectorized_elementwise_kernelILi8EZZZNS0_21clamp_max_kernel_cudaERNS_18TensorIteratorBaseERKN3c106ScalarEENKUlvE_clEvENKUlvE6_clEvEUlNS4_4HalfEE_St5arrayIPcLm2EEEEviT0_T1_, .Lfunc_end475-_ZN2at6native29vectorized_elementwise_kernelILi8EZZZNS0_21clamp_max_kernel_cudaERNS_18TensorIteratorBaseERKN3c106ScalarEENKUlvE_clEvENKUlvE6_clEvEUlNS4_4HalfEE_St5arrayIPcLm2EEEEviT0_T1_
                                        ; -- End function
	.set _ZN2at6native29vectorized_elementwise_kernelILi8EZZZNS0_21clamp_max_kernel_cudaERNS_18TensorIteratorBaseERKN3c106ScalarEENKUlvE_clEvENKUlvE6_clEvEUlNS4_4HalfEE_St5arrayIPcLm2EEEEviT0_T1_.num_vgpr, 14
	.set _ZN2at6native29vectorized_elementwise_kernelILi8EZZZNS0_21clamp_max_kernel_cudaERNS_18TensorIteratorBaseERKN3c106ScalarEENKUlvE_clEvENKUlvE6_clEvEUlNS4_4HalfEE_St5arrayIPcLm2EEEEviT0_T1_.num_agpr, 0
	.set _ZN2at6native29vectorized_elementwise_kernelILi8EZZZNS0_21clamp_max_kernel_cudaERNS_18TensorIteratorBaseERKN3c106ScalarEENKUlvE_clEvENKUlvE6_clEvEUlNS4_4HalfEE_St5arrayIPcLm2EEEEviT0_T1_.numbered_sgpr, 24
	.set _ZN2at6native29vectorized_elementwise_kernelILi8EZZZNS0_21clamp_max_kernel_cudaERNS_18TensorIteratorBaseERKN3c106ScalarEENKUlvE_clEvENKUlvE6_clEvEUlNS4_4HalfEE_St5arrayIPcLm2EEEEviT0_T1_.num_named_barrier, 0
	.set _ZN2at6native29vectorized_elementwise_kernelILi8EZZZNS0_21clamp_max_kernel_cudaERNS_18TensorIteratorBaseERKN3c106ScalarEENKUlvE_clEvENKUlvE6_clEvEUlNS4_4HalfEE_St5arrayIPcLm2EEEEviT0_T1_.private_seg_size, 0
	.set _ZN2at6native29vectorized_elementwise_kernelILi8EZZZNS0_21clamp_max_kernel_cudaERNS_18TensorIteratorBaseERKN3c106ScalarEENKUlvE_clEvENKUlvE6_clEvEUlNS4_4HalfEE_St5arrayIPcLm2EEEEviT0_T1_.uses_vcc, 1
	.set _ZN2at6native29vectorized_elementwise_kernelILi8EZZZNS0_21clamp_max_kernel_cudaERNS_18TensorIteratorBaseERKN3c106ScalarEENKUlvE_clEvENKUlvE6_clEvEUlNS4_4HalfEE_St5arrayIPcLm2EEEEviT0_T1_.uses_flat_scratch, 0
	.set _ZN2at6native29vectorized_elementwise_kernelILi8EZZZNS0_21clamp_max_kernel_cudaERNS_18TensorIteratorBaseERKN3c106ScalarEENKUlvE_clEvENKUlvE6_clEvEUlNS4_4HalfEE_St5arrayIPcLm2EEEEviT0_T1_.has_dyn_sized_stack, 0
	.set _ZN2at6native29vectorized_elementwise_kernelILi8EZZZNS0_21clamp_max_kernel_cudaERNS_18TensorIteratorBaseERKN3c106ScalarEENKUlvE_clEvENKUlvE6_clEvEUlNS4_4HalfEE_St5arrayIPcLm2EEEEviT0_T1_.has_recursion, 0
	.set _ZN2at6native29vectorized_elementwise_kernelILi8EZZZNS0_21clamp_max_kernel_cudaERNS_18TensorIteratorBaseERKN3c106ScalarEENKUlvE_clEvENKUlvE6_clEvEUlNS4_4HalfEE_St5arrayIPcLm2EEEEviT0_T1_.has_indirect_call, 0
	.section	.AMDGPU.csdata,"",@progbits
; Kernel info:
; codeLenInByte = 1536
; TotalNumSgprs: 30
; NumVgprs: 14
; NumAgprs: 0
; TotalNumVgprs: 14
; ScratchSize: 0
; MemoryBound: 0
; FloatMode: 240
; IeeeMode: 1
; LDSByteSize: 0 bytes/workgroup (compile time only)
; SGPRBlocks: 3
; VGPRBlocks: 1
; NumSGPRsForWavesPerEU: 30
; NumVGPRsForWavesPerEU: 14
; AccumOffset: 16
; Occupancy: 8
; WaveLimiterHint : 0
; COMPUTE_PGM_RSRC2:SCRATCH_EN: 0
; COMPUTE_PGM_RSRC2:USER_SGPR: 2
; COMPUTE_PGM_RSRC2:TRAP_HANDLER: 0
; COMPUTE_PGM_RSRC2:TGID_X_EN: 1
; COMPUTE_PGM_RSRC2:TGID_Y_EN: 0
; COMPUTE_PGM_RSRC2:TGID_Z_EN: 0
; COMPUTE_PGM_RSRC2:TIDIG_COMP_CNT: 0
; COMPUTE_PGM_RSRC3_GFX90A:ACCUM_OFFSET: 3
; COMPUTE_PGM_RSRC3_GFX90A:TG_SPLIT: 0
	.section	.text._ZN2at6native29vectorized_elementwise_kernelILi4EZZZNS0_21clamp_max_kernel_cudaERNS_18TensorIteratorBaseERKN3c106ScalarEENKUlvE_clEvENKUlvE6_clEvEUlNS4_4HalfEE_St5arrayIPcLm2EEEEviT0_T1_,"axG",@progbits,_ZN2at6native29vectorized_elementwise_kernelILi4EZZZNS0_21clamp_max_kernel_cudaERNS_18TensorIteratorBaseERKN3c106ScalarEENKUlvE_clEvENKUlvE6_clEvEUlNS4_4HalfEE_St5arrayIPcLm2EEEEviT0_T1_,comdat
	.globl	_ZN2at6native29vectorized_elementwise_kernelILi4EZZZNS0_21clamp_max_kernel_cudaERNS_18TensorIteratorBaseERKN3c106ScalarEENKUlvE_clEvENKUlvE6_clEvEUlNS4_4HalfEE_St5arrayIPcLm2EEEEviT0_T1_ ; -- Begin function _ZN2at6native29vectorized_elementwise_kernelILi4EZZZNS0_21clamp_max_kernel_cudaERNS_18TensorIteratorBaseERKN3c106ScalarEENKUlvE_clEvENKUlvE6_clEvEUlNS4_4HalfEE_St5arrayIPcLm2EEEEviT0_T1_
	.p2align	8
	.type	_ZN2at6native29vectorized_elementwise_kernelILi4EZZZNS0_21clamp_max_kernel_cudaERNS_18TensorIteratorBaseERKN3c106ScalarEENKUlvE_clEvENKUlvE6_clEvEUlNS4_4HalfEE_St5arrayIPcLm2EEEEviT0_T1_,@function
_ZN2at6native29vectorized_elementwise_kernelILi4EZZZNS0_21clamp_max_kernel_cudaERNS_18TensorIteratorBaseERKN3c106ScalarEENKUlvE_clEvENKUlvE6_clEvEUlNS4_4HalfEE_St5arrayIPcLm2EEEEviT0_T1_: ; @_ZN2at6native29vectorized_elementwise_kernelILi4EZZZNS0_21clamp_max_kernel_cudaERNS_18TensorIteratorBaseERKN3c106ScalarEENKUlvE_clEvENKUlvE6_clEvEUlNS4_4HalfEE_St5arrayIPcLm2EEEEviT0_T1_
; %bb.0:
	s_load_dwordx2 s[14:15], s[0:1], 0x0
	s_load_dwordx4 s[16:19], s[0:1], 0x8
	s_lshl_b32 s20, s2, 11
	s_mov_b64 s[0:1], -1
	s_waitcnt lgkmcnt(0)
	s_sub_i32 s14, s14, s20
	s_cmpk_gt_i32 s14, 0x7ff
	s_cbranch_scc0 .LBB476_2
; %bb.1:
	s_ashr_i32 s21, s20, 31
	s_lshl_b64 s[22:23], s[20:21], 1
	s_add_u32 s0, s18, s22
	s_addc_u32 s1, s19, s23
	v_lshlrev_b32_e32 v1, 3, v0
	global_load_dwordx2 v[2:3], v1, s[0:1]
	global_load_dwordx2 v[4:5], v1, s[0:1] offset:2048
	v_mov_b32_e32 v6, s15
	s_waitcnt vmcnt(1)
	v_cmp_u_f16_e32 vcc, v2, v2
	v_cmp_gt_f16_e64 s[0:1], s15, v2
	v_lshrrev_b32_e32 v7, 16, v2
	v_cmp_u_f16_e64 s[2:3], v3, v3
	v_cmp_gt_f16_e64 s[4:5], s15, v3
	s_or_b64 vcc, vcc, s[0:1]
	v_lshrrev_b32_e32 v8, 16, v3
	s_waitcnt vmcnt(0)
	v_cmp_u_f16_e64 s[6:7], v4, v4
	v_cmp_gt_f16_e64 s[8:9], s15, v4
	v_cndmask_b32_e32 v2, v6, v2, vcc
	v_cmp_u_f16_e32 vcc, v7, v7
	v_cmp_gt_f16_e64 s[0:1], s15, v7
	s_or_b64 s[2:3], s[2:3], s[4:5]
	v_lshrrev_b32_e32 v9, 16, v4
	v_cmp_u_f16_e64 s[10:11], v5, v5
	v_cmp_gt_f16_e64 s[12:13], s15, v5
	v_cndmask_b32_e64 v3, v6, v3, s[2:3]
	v_cmp_u_f16_e64 s[2:3], v8, v8
	v_cmp_gt_f16_e64 s[4:5], s15, v8
	s_or_b64 s[6:7], s[6:7], s[8:9]
	s_or_b64 vcc, vcc, s[0:1]
	v_lshrrev_b32_e32 v10, 16, v5
	v_cndmask_b32_e64 v4, v6, v4, s[6:7]
	v_cmp_u_f16_e64 s[6:7], v9, v9
	v_cmp_gt_f16_e64 s[8:9], s15, v9
	s_or_b64 s[10:11], s[10:11], s[12:13]
	v_cndmask_b32_e32 v7, v6, v7, vcc
	s_or_b64 vcc, s[2:3], s[4:5]
	v_cndmask_b32_e64 v5, v6, v5, s[10:11]
	v_cmp_u_f16_e64 s[10:11], v10, v10
	v_cmp_gt_f16_e64 s[12:13], s15, v10
	v_cndmask_b32_e32 v8, v6, v8, vcc
	s_or_b64 vcc, s[6:7], s[8:9]
	v_and_b32_e32 v2, 0xffff, v2
	v_cndmask_b32_e32 v9, v6, v9, vcc
	s_or_b64 vcc, s[10:11], s[12:13]
	v_lshlrev_b32_e32 v7, 16, v7
	v_and_b32_e32 v3, 0xffff, v3
	v_and_b32_e32 v4, 0xffff, v4
	v_cndmask_b32_e32 v6, v6, v10, vcc
	v_lshlrev_b32_e32 v8, 16, v8
	v_lshlrev_b32_e32 v9, 16, v9
	s_add_u32 s0, s16, s22
	v_or_b32_e32 v2, v7, v2
	v_and_b32_e32 v5, 0xffff, v5
	v_lshlrev_b32_e32 v6, 16, v6
	v_or3_b32 v3, 0, v3, v8
	v_or_b32_e32 v4, v9, v4
	s_addc_u32 s1, s17, s23
	v_or3_b32 v2, v2, 0, 0
	v_or3_b32 v5, 0, v5, v6
	;; [unrolled: 1-line block ×3, first 2 shown]
	global_store_dwordx2 v1, v[2:3], s[0:1]
	global_store_dwordx2 v1, v[4:5], s[0:1] offset:2048
	s_mov_b64 s[0:1], 0
.LBB476_2:
	s_andn2_b64 vcc, exec, s[0:1]
	s_cbranch_vccnz .LBB476_26
; %bb.3:
	v_cmp_gt_i32_e32 vcc, s14, v0
	v_mov_b32_e32 v6, 0
	v_or_b32_e32 v2, s20, v0
	v_mov_b32_e32 v8, 0
	v_mov_b32_e32 v3, v0
	s_and_saveexec_b64 s[0:1], vcc
	s_cbranch_execz .LBB476_5
; %bb.4:
	v_mov_b32_e32 v3, 0
	v_lshl_add_u64 v[4:5], v[2:3], 1, s[18:19]
	global_load_ushort v8, v[4:5], off
	v_or_b32_e32 v3, 0x100, v0
.LBB476_5:
	s_or_b64 exec, exec, s[0:1]
	v_cmp_gt_i32_e64 s[0:1], s14, v3
	s_and_saveexec_b64 s[2:3], s[0:1]
	s_cbranch_execz .LBB476_7
; %bb.6:
	v_add_u32_e32 v4, s20, v3
	v_mov_b32_e32 v5, 0
	v_lshl_add_u64 v[4:5], v[4:5], 1, s[18:19]
	global_load_ushort v6, v[4:5], off
	v_add_u32_e32 v3, 0x100, v3
.LBB476_7:
	s_or_b64 exec, exec, s[2:3]
	v_cmp_gt_i32_e64 s[0:1], s14, v3
	v_mov_b32_e32 v5, 0
	v_mov_b32_e32 v10, 0
	s_and_saveexec_b64 s[2:3], s[0:1]
	s_cbranch_execz .LBB476_9
; %bb.8:
	v_add_u32_e32 v10, s20, v3
	v_mov_b32_e32 v11, 0
	v_lshl_add_u64 v[10:11], v[10:11], 1, s[18:19]
	global_load_ushort v10, v[10:11], off
	v_add_u32_e32 v3, 0x100, v3
.LBB476_9:
	s_or_b64 exec, exec, s[2:3]
	v_cmp_gt_i32_e64 s[0:1], s14, v3
	s_and_saveexec_b64 s[2:3], s[0:1]
	s_cbranch_execz .LBB476_11
; %bb.10:
	v_add_u32_e32 v4, s20, v3
	v_mov_b32_e32 v5, 0
	v_lshl_add_u64 v[4:5], v[4:5], 1, s[18:19]
	global_load_ushort v5, v[4:5], off
	v_add_u32_e32 v3, 0x100, v3
.LBB476_11:
	s_or_b64 exec, exec, s[2:3]
	v_cmp_gt_i32_e64 s[0:1], s14, v3
	v_mov_b32_e32 v4, 0
	v_mov_b32_e32 v9, 0
	s_and_saveexec_b64 s[2:3], s[0:1]
	s_cbranch_execz .LBB476_13
; %bb.12:
	v_add_u32_e32 v12, s20, v3
	v_mov_b32_e32 v13, 0
	v_lshl_add_u64 v[12:13], v[12:13], 1, s[18:19]
	global_load_ushort v9, v[12:13], off
	v_add_u32_e32 v3, 0x100, v3
.LBB476_13:
	s_or_b64 exec, exec, s[2:3]
	v_cmp_gt_i32_e64 s[0:1], s14, v3
	s_and_saveexec_b64 s[2:3], s[0:1]
	s_cbranch_execz .LBB476_15
; %bb.14:
	v_add_u32_e32 v12, s20, v3
	v_mov_b32_e32 v13, 0
	v_lshl_add_u64 v[12:13], v[12:13], 1, s[18:19]
	global_load_ushort v4, v[12:13], off
	v_add_u32_e32 v3, 0x100, v3
.LBB476_15:
	s_or_b64 exec, exec, s[2:3]
	v_cmp_gt_i32_e64 s[0:1], s14, v3
	v_mov_b32_e32 v1, 0
	v_mov_b32_e32 v7, 0
	s_and_saveexec_b64 s[2:3], s[0:1]
	s_cbranch_execnz .LBB476_27
; %bb.16:
	s_or_b64 exec, exec, s[2:3]
	v_cmp_gt_i32_e64 s[0:1], s14, v3
	s_and_saveexec_b64 s[2:3], s[0:1]
	s_cbranch_execnz .LBB476_28
.LBB476_17:
	s_or_b64 exec, exec, s[2:3]
	s_and_saveexec_b64 s[2:3], vcc
	s_cbranch_execnz .LBB476_29
.LBB476_18:
	s_or_b64 exec, exec, s[2:3]
	v_cmp_gt_i32_e32 vcc, s14, v0
	s_and_saveexec_b64 s[2:3], vcc
	s_cbranch_execnz .LBB476_30
.LBB476_19:
	s_or_b64 exec, exec, s[2:3]
	v_cmp_gt_i32_e32 vcc, s14, v0
	s_and_saveexec_b64 s[2:3], vcc
	s_cbranch_execnz .LBB476_31
.LBB476_20:
	s_or_b64 exec, exec, s[2:3]
	v_cmp_gt_i32_e32 vcc, s14, v0
	s_and_saveexec_b64 s[2:3], vcc
	s_cbranch_execnz .LBB476_32
.LBB476_21:
	s_or_b64 exec, exec, s[2:3]
	v_cmp_gt_i32_e32 vcc, s14, v0
	s_and_saveexec_b64 s[2:3], vcc
	s_cbranch_execnz .LBB476_33
.LBB476_22:
	s_or_b64 exec, exec, s[2:3]
	v_cmp_gt_i32_e32 vcc, s14, v0
	s_and_saveexec_b64 s[2:3], vcc
	s_cbranch_execnz .LBB476_34
.LBB476_23:
	s_or_b64 exec, exec, s[2:3]
	v_cmp_gt_i32_e32 vcc, s14, v0
	s_and_saveexec_b64 s[2:3], vcc
	s_cbranch_execnz .LBB476_35
.LBB476_24:
	s_or_b64 exec, exec, s[2:3]
	v_cmp_gt_i32_e32 vcc, s14, v0
	s_and_saveexec_b64 s[0:1], vcc
	s_cbranch_execz .LBB476_26
.LBB476_25:
	s_waitcnt vmcnt(0)
	v_cmp_u_f16_e32 vcc, v1, v1
	v_cmp_gt_f16_e64 s[0:1], s15, v1
	v_mov_b32_e32 v2, s15
	s_or_b64 vcc, vcc, s[0:1]
	v_cndmask_b32_e32 v2, v2, v1, vcc
	v_add_u32_e32 v0, s20, v0
	v_mov_b32_e32 v1, 0
	v_lshl_add_u64 v[0:1], v[0:1], 1, s[16:17]
	global_store_short v[0:1], v2, off
.LBB476_26:
	s_endpgm
.LBB476_27:
	v_add_u32_e32 v12, s20, v3
	v_mov_b32_e32 v13, 0
	v_lshl_add_u64 v[12:13], v[12:13], 1, s[18:19]
	global_load_ushort v7, v[12:13], off
	v_add_u32_e32 v3, 0x100, v3
	s_or_b64 exec, exec, s[2:3]
	v_cmp_gt_i32_e64 s[0:1], s14, v3
	s_and_saveexec_b64 s[2:3], s[0:1]
	s_cbranch_execz .LBB476_17
.LBB476_28:
	v_add_u32_e32 v12, s20, v3
	v_mov_b32_e32 v13, 0
	v_lshl_add_u64 v[12:13], v[12:13], 1, s[18:19]
	global_load_ushort v1, v[12:13], off
	s_or_b64 exec, exec, s[2:3]
	s_and_saveexec_b64 s[2:3], vcc
	s_cbranch_execz .LBB476_18
.LBB476_29:
	s_waitcnt vmcnt(0)
	v_cmp_u_f16_e32 vcc, v8, v8
	v_cmp_gt_f16_e64 s[0:1], s15, v8
	v_mov_b32_e32 v3, 0
	v_mov_b32_e32 v11, s15
	s_or_b64 vcc, vcc, s[0:1]
	v_lshl_add_u64 v[2:3], v[2:3], 1, s[16:17]
	v_or_b32_e32 v0, 0x100, v0
	v_cndmask_b32_e32 v8, v11, v8, vcc
	global_store_short v[2:3], v8, off
	s_or_b64 exec, exec, s[2:3]
	v_cmp_gt_i32_e32 vcc, s14, v0
	s_and_saveexec_b64 s[2:3], vcc
	s_cbranch_execz .LBB476_19
.LBB476_30:
	s_waitcnt vmcnt(0)
	v_cmp_u_f16_e32 vcc, v6, v6
	v_cmp_gt_f16_e64 s[0:1], s15, v6
	v_mov_b32_e32 v2, s15
	s_or_b64 vcc, vcc, s[0:1]
	v_cndmask_b32_e32 v6, v2, v6, vcc
	v_add_u32_e32 v2, s20, v0
	v_mov_b32_e32 v3, 0
	v_lshl_add_u64 v[2:3], v[2:3], 1, s[16:17]
	v_add_u32_e32 v0, 0x100, v0
	global_store_short v[2:3], v6, off
	s_or_b64 exec, exec, s[2:3]
	v_cmp_gt_i32_e32 vcc, s14, v0
	s_and_saveexec_b64 s[2:3], vcc
	s_cbranch_execz .LBB476_20
.LBB476_31:
	s_waitcnt vmcnt(0)
	v_cmp_u_f16_e32 vcc, v10, v10
	v_cmp_gt_f16_e64 s[0:1], s15, v10
	v_mov_b32_e32 v2, s15
	s_or_b64 vcc, vcc, s[0:1]
	v_cndmask_b32_e32 v6, v2, v10, vcc
	v_add_u32_e32 v2, s20, v0
	v_mov_b32_e32 v3, 0
	v_lshl_add_u64 v[2:3], v[2:3], 1, s[16:17]
	v_add_u32_e32 v0, 0x100, v0
	global_store_short v[2:3], v6, off
	s_or_b64 exec, exec, s[2:3]
	v_cmp_gt_i32_e32 vcc, s14, v0
	s_and_saveexec_b64 s[2:3], vcc
	s_cbranch_execz .LBB476_21
.LBB476_32:
	s_waitcnt vmcnt(0)
	v_cmp_u_f16_e32 vcc, v5, v5
	v_cmp_gt_f16_e64 s[0:1], s15, v5
	v_mov_b32_e32 v2, s15
	s_or_b64 vcc, vcc, s[0:1]
	v_cndmask_b32_e32 v5, v2, v5, vcc
	v_add_u32_e32 v2, s20, v0
	v_mov_b32_e32 v3, 0
	v_lshl_add_u64 v[2:3], v[2:3], 1, s[16:17]
	v_add_u32_e32 v0, 0x100, v0
	global_store_short v[2:3], v5, off
	s_or_b64 exec, exec, s[2:3]
	v_cmp_gt_i32_e32 vcc, s14, v0
	s_and_saveexec_b64 s[2:3], vcc
	s_cbranch_execz .LBB476_22
.LBB476_33:
	s_waitcnt vmcnt(0)
	v_cmp_u_f16_e32 vcc, v9, v9
	v_cmp_gt_f16_e64 s[0:1], s15, v9
	v_mov_b32_e32 v2, s15
	s_or_b64 vcc, vcc, s[0:1]
	v_cndmask_b32_e32 v5, v2, v9, vcc
	v_add_u32_e32 v2, s20, v0
	v_mov_b32_e32 v3, 0
	v_lshl_add_u64 v[2:3], v[2:3], 1, s[16:17]
	v_add_u32_e32 v0, 0x100, v0
	global_store_short v[2:3], v5, off
	s_or_b64 exec, exec, s[2:3]
	v_cmp_gt_i32_e32 vcc, s14, v0
	s_and_saveexec_b64 s[2:3], vcc
	s_cbranch_execz .LBB476_23
.LBB476_34:
	s_waitcnt vmcnt(0)
	v_cmp_u_f16_e32 vcc, v4, v4
	v_cmp_gt_f16_e64 s[0:1], s15, v4
	v_mov_b32_e32 v2, s15
	s_or_b64 vcc, vcc, s[0:1]
	v_cndmask_b32_e32 v4, v2, v4, vcc
	v_add_u32_e32 v2, s20, v0
	v_mov_b32_e32 v3, 0
	v_lshl_add_u64 v[2:3], v[2:3], 1, s[16:17]
	v_add_u32_e32 v0, 0x100, v0
	global_store_short v[2:3], v4, off
	s_or_b64 exec, exec, s[2:3]
	v_cmp_gt_i32_e32 vcc, s14, v0
	s_and_saveexec_b64 s[2:3], vcc
	s_cbranch_execz .LBB476_24
.LBB476_35:
	s_waitcnt vmcnt(0)
	v_cmp_u_f16_e32 vcc, v7, v7
	v_cmp_gt_f16_e64 s[0:1], s15, v7
	v_mov_b32_e32 v2, s15
	s_or_b64 vcc, vcc, s[0:1]
	v_cndmask_b32_e32 v4, v2, v7, vcc
	v_add_u32_e32 v2, s20, v0
	v_mov_b32_e32 v3, 0
	v_lshl_add_u64 v[2:3], v[2:3], 1, s[16:17]
	v_add_u32_e32 v0, 0x100, v0
	global_store_short v[2:3], v4, off
	s_or_b64 exec, exec, s[2:3]
	v_cmp_gt_i32_e32 vcc, s14, v0
	s_and_saveexec_b64 s[0:1], vcc
	s_cbranch_execnz .LBB476_25
	s_branch .LBB476_26
	.section	.rodata,"a",@progbits
	.p2align	6, 0x0
	.amdhsa_kernel _ZN2at6native29vectorized_elementwise_kernelILi4EZZZNS0_21clamp_max_kernel_cudaERNS_18TensorIteratorBaseERKN3c106ScalarEENKUlvE_clEvENKUlvE6_clEvEUlNS4_4HalfEE_St5arrayIPcLm2EEEEviT0_T1_
		.amdhsa_group_segment_fixed_size 0
		.amdhsa_private_segment_fixed_size 0
		.amdhsa_kernarg_size 24
		.amdhsa_user_sgpr_count 2
		.amdhsa_user_sgpr_dispatch_ptr 0
		.amdhsa_user_sgpr_queue_ptr 0
		.amdhsa_user_sgpr_kernarg_segment_ptr 1
		.amdhsa_user_sgpr_dispatch_id 0
		.amdhsa_user_sgpr_kernarg_preload_length 0
		.amdhsa_user_sgpr_kernarg_preload_offset 0
		.amdhsa_user_sgpr_private_segment_size 0
		.amdhsa_uses_dynamic_stack 0
		.amdhsa_enable_private_segment 0
		.amdhsa_system_sgpr_workgroup_id_x 1
		.amdhsa_system_sgpr_workgroup_id_y 0
		.amdhsa_system_sgpr_workgroup_id_z 0
		.amdhsa_system_sgpr_workgroup_info 0
		.amdhsa_system_vgpr_workitem_id 0
		.amdhsa_next_free_vgpr 14
		.amdhsa_next_free_sgpr 24
		.amdhsa_accum_offset 16
		.amdhsa_reserve_vcc 1
		.amdhsa_float_round_mode_32 0
		.amdhsa_float_round_mode_16_64 0
		.amdhsa_float_denorm_mode_32 3
		.amdhsa_float_denorm_mode_16_64 3
		.amdhsa_dx10_clamp 1
		.amdhsa_ieee_mode 1
		.amdhsa_fp16_overflow 0
		.amdhsa_tg_split 0
		.amdhsa_exception_fp_ieee_invalid_op 0
		.amdhsa_exception_fp_denorm_src 0
		.amdhsa_exception_fp_ieee_div_zero 0
		.amdhsa_exception_fp_ieee_overflow 0
		.amdhsa_exception_fp_ieee_underflow 0
		.amdhsa_exception_fp_ieee_inexact 0
		.amdhsa_exception_int_div_zero 0
	.end_amdhsa_kernel
	.section	.text._ZN2at6native29vectorized_elementwise_kernelILi4EZZZNS0_21clamp_max_kernel_cudaERNS_18TensorIteratorBaseERKN3c106ScalarEENKUlvE_clEvENKUlvE6_clEvEUlNS4_4HalfEE_St5arrayIPcLm2EEEEviT0_T1_,"axG",@progbits,_ZN2at6native29vectorized_elementwise_kernelILi4EZZZNS0_21clamp_max_kernel_cudaERNS_18TensorIteratorBaseERKN3c106ScalarEENKUlvE_clEvENKUlvE6_clEvEUlNS4_4HalfEE_St5arrayIPcLm2EEEEviT0_T1_,comdat
.Lfunc_end476:
	.size	_ZN2at6native29vectorized_elementwise_kernelILi4EZZZNS0_21clamp_max_kernel_cudaERNS_18TensorIteratorBaseERKN3c106ScalarEENKUlvE_clEvENKUlvE6_clEvEUlNS4_4HalfEE_St5arrayIPcLm2EEEEviT0_T1_, .Lfunc_end476-_ZN2at6native29vectorized_elementwise_kernelILi4EZZZNS0_21clamp_max_kernel_cudaERNS_18TensorIteratorBaseERKN3c106ScalarEENKUlvE_clEvENKUlvE6_clEvEUlNS4_4HalfEE_St5arrayIPcLm2EEEEviT0_T1_
                                        ; -- End function
	.set _ZN2at6native29vectorized_elementwise_kernelILi4EZZZNS0_21clamp_max_kernel_cudaERNS_18TensorIteratorBaseERKN3c106ScalarEENKUlvE_clEvENKUlvE6_clEvEUlNS4_4HalfEE_St5arrayIPcLm2EEEEviT0_T1_.num_vgpr, 14
	.set _ZN2at6native29vectorized_elementwise_kernelILi4EZZZNS0_21clamp_max_kernel_cudaERNS_18TensorIteratorBaseERKN3c106ScalarEENKUlvE_clEvENKUlvE6_clEvEUlNS4_4HalfEE_St5arrayIPcLm2EEEEviT0_T1_.num_agpr, 0
	.set _ZN2at6native29vectorized_elementwise_kernelILi4EZZZNS0_21clamp_max_kernel_cudaERNS_18TensorIteratorBaseERKN3c106ScalarEENKUlvE_clEvENKUlvE6_clEvEUlNS4_4HalfEE_St5arrayIPcLm2EEEEviT0_T1_.numbered_sgpr, 24
	.set _ZN2at6native29vectorized_elementwise_kernelILi4EZZZNS0_21clamp_max_kernel_cudaERNS_18TensorIteratorBaseERKN3c106ScalarEENKUlvE_clEvENKUlvE6_clEvEUlNS4_4HalfEE_St5arrayIPcLm2EEEEviT0_T1_.num_named_barrier, 0
	.set _ZN2at6native29vectorized_elementwise_kernelILi4EZZZNS0_21clamp_max_kernel_cudaERNS_18TensorIteratorBaseERKN3c106ScalarEENKUlvE_clEvENKUlvE6_clEvEUlNS4_4HalfEE_St5arrayIPcLm2EEEEviT0_T1_.private_seg_size, 0
	.set _ZN2at6native29vectorized_elementwise_kernelILi4EZZZNS0_21clamp_max_kernel_cudaERNS_18TensorIteratorBaseERKN3c106ScalarEENKUlvE_clEvENKUlvE6_clEvEUlNS4_4HalfEE_St5arrayIPcLm2EEEEviT0_T1_.uses_vcc, 1
	.set _ZN2at6native29vectorized_elementwise_kernelILi4EZZZNS0_21clamp_max_kernel_cudaERNS_18TensorIteratorBaseERKN3c106ScalarEENKUlvE_clEvENKUlvE6_clEvEUlNS4_4HalfEE_St5arrayIPcLm2EEEEviT0_T1_.uses_flat_scratch, 0
	.set _ZN2at6native29vectorized_elementwise_kernelILi4EZZZNS0_21clamp_max_kernel_cudaERNS_18TensorIteratorBaseERKN3c106ScalarEENKUlvE_clEvENKUlvE6_clEvEUlNS4_4HalfEE_St5arrayIPcLm2EEEEviT0_T1_.has_dyn_sized_stack, 0
	.set _ZN2at6native29vectorized_elementwise_kernelILi4EZZZNS0_21clamp_max_kernel_cudaERNS_18TensorIteratorBaseERKN3c106ScalarEENKUlvE_clEvENKUlvE6_clEvEUlNS4_4HalfEE_St5arrayIPcLm2EEEEviT0_T1_.has_recursion, 0
	.set _ZN2at6native29vectorized_elementwise_kernelILi4EZZZNS0_21clamp_max_kernel_cudaERNS_18TensorIteratorBaseERKN3c106ScalarEENKUlvE_clEvENKUlvE6_clEvEUlNS4_4HalfEE_St5arrayIPcLm2EEEEviT0_T1_.has_indirect_call, 0
	.section	.AMDGPU.csdata,"",@progbits
; Kernel info:
; codeLenInByte = 1604
; TotalNumSgprs: 30
; NumVgprs: 14
; NumAgprs: 0
; TotalNumVgprs: 14
; ScratchSize: 0
; MemoryBound: 0
; FloatMode: 240
; IeeeMode: 1
; LDSByteSize: 0 bytes/workgroup (compile time only)
; SGPRBlocks: 3
; VGPRBlocks: 1
; NumSGPRsForWavesPerEU: 30
; NumVGPRsForWavesPerEU: 14
; AccumOffset: 16
; Occupancy: 8
; WaveLimiterHint : 1
; COMPUTE_PGM_RSRC2:SCRATCH_EN: 0
; COMPUTE_PGM_RSRC2:USER_SGPR: 2
; COMPUTE_PGM_RSRC2:TRAP_HANDLER: 0
; COMPUTE_PGM_RSRC2:TGID_X_EN: 1
; COMPUTE_PGM_RSRC2:TGID_Y_EN: 0
; COMPUTE_PGM_RSRC2:TGID_Z_EN: 0
; COMPUTE_PGM_RSRC2:TIDIG_COMP_CNT: 0
; COMPUTE_PGM_RSRC3_GFX90A:ACCUM_OFFSET: 3
; COMPUTE_PGM_RSRC3_GFX90A:TG_SPLIT: 0
	.section	.text._ZN2at6native29vectorized_elementwise_kernelILi2EZZZNS0_21clamp_max_kernel_cudaERNS_18TensorIteratorBaseERKN3c106ScalarEENKUlvE_clEvENKUlvE6_clEvEUlNS4_4HalfEE_St5arrayIPcLm2EEEEviT0_T1_,"axG",@progbits,_ZN2at6native29vectorized_elementwise_kernelILi2EZZZNS0_21clamp_max_kernel_cudaERNS_18TensorIteratorBaseERKN3c106ScalarEENKUlvE_clEvENKUlvE6_clEvEUlNS4_4HalfEE_St5arrayIPcLm2EEEEviT0_T1_,comdat
	.globl	_ZN2at6native29vectorized_elementwise_kernelILi2EZZZNS0_21clamp_max_kernel_cudaERNS_18TensorIteratorBaseERKN3c106ScalarEENKUlvE_clEvENKUlvE6_clEvEUlNS4_4HalfEE_St5arrayIPcLm2EEEEviT0_T1_ ; -- Begin function _ZN2at6native29vectorized_elementwise_kernelILi2EZZZNS0_21clamp_max_kernel_cudaERNS_18TensorIteratorBaseERKN3c106ScalarEENKUlvE_clEvENKUlvE6_clEvEUlNS4_4HalfEE_St5arrayIPcLm2EEEEviT0_T1_
	.p2align	8
	.type	_ZN2at6native29vectorized_elementwise_kernelILi2EZZZNS0_21clamp_max_kernel_cudaERNS_18TensorIteratorBaseERKN3c106ScalarEENKUlvE_clEvENKUlvE6_clEvEUlNS4_4HalfEE_St5arrayIPcLm2EEEEviT0_T1_,@function
_ZN2at6native29vectorized_elementwise_kernelILi2EZZZNS0_21clamp_max_kernel_cudaERNS_18TensorIteratorBaseERKN3c106ScalarEENKUlvE_clEvENKUlvE6_clEvEUlNS4_4HalfEE_St5arrayIPcLm2EEEEviT0_T1_: ; @_ZN2at6native29vectorized_elementwise_kernelILi2EZZZNS0_21clamp_max_kernel_cudaERNS_18TensorIteratorBaseERKN3c106ScalarEENKUlvE_clEvENKUlvE6_clEvEUlNS4_4HalfEE_St5arrayIPcLm2EEEEviT0_T1_
; %bb.0:
	s_load_dwordx2 s[14:15], s[0:1], 0x0
	s_load_dwordx4 s[16:19], s[0:1], 0x8
	s_lshl_b32 s20, s2, 11
	s_mov_b64 s[0:1], -1
	s_waitcnt lgkmcnt(0)
	s_sub_i32 s14, s14, s20
	s_cmpk_gt_i32 s14, 0x7ff
	s_cbranch_scc0 .LBB477_2
; %bb.1:
	s_ashr_i32 s21, s20, 31
	s_lshl_b64 s[22:23], s[20:21], 1
	s_add_u32 s0, s18, s22
	s_addc_u32 s1, s19, s23
	v_lshlrev_b32_e32 v1, 2, v0
	global_load_dword v2, v1, s[0:1]
	global_load_dword v3, v1, s[0:1] offset:1024
	global_load_dword v4, v1, s[0:1] offset:2048
	;; [unrolled: 1-line block ×3, first 2 shown]
	v_mov_b32_e32 v6, s15
	s_waitcnt vmcnt(3)
	v_cmp_u_f16_e32 vcc, v2, v2
	v_cmp_gt_f16_e64 s[0:1], s15, v2
	v_lshrrev_b32_e32 v7, 16, v2
	s_waitcnt vmcnt(2)
	v_cmp_u_f16_e64 s[2:3], v3, v3
	v_cmp_gt_f16_e64 s[4:5], s15, v3
	s_or_b64 vcc, vcc, s[0:1]
	v_lshrrev_b32_e32 v8, 16, v3
	s_waitcnt vmcnt(1)
	v_cmp_u_f16_e64 s[6:7], v4, v4
	v_cmp_gt_f16_e64 s[8:9], s15, v4
	v_cndmask_b32_e32 v2, v6, v2, vcc
	v_cmp_u_f16_e32 vcc, v7, v7
	v_cmp_gt_f16_e64 s[0:1], s15, v7
	s_or_b64 s[2:3], s[2:3], s[4:5]
	v_lshrrev_b32_e32 v9, 16, v4
	s_waitcnt vmcnt(0)
	v_cmp_u_f16_e64 s[10:11], v5, v5
	v_cmp_gt_f16_e64 s[12:13], s15, v5
	v_cndmask_b32_e64 v3, v6, v3, s[2:3]
	v_cmp_u_f16_e64 s[2:3], v8, v8
	v_cmp_gt_f16_e64 s[4:5], s15, v8
	s_or_b64 s[6:7], s[6:7], s[8:9]
	s_or_b64 vcc, vcc, s[0:1]
	v_lshrrev_b32_e32 v10, 16, v5
	v_cndmask_b32_e64 v4, v6, v4, s[6:7]
	v_cmp_u_f16_e64 s[6:7], v9, v9
	v_cmp_gt_f16_e64 s[8:9], s15, v9
	s_or_b64 s[10:11], s[10:11], s[12:13]
	v_cndmask_b32_e32 v7, v6, v7, vcc
	s_or_b64 vcc, s[2:3], s[4:5]
	v_cndmask_b32_e64 v5, v6, v5, s[10:11]
	v_cmp_u_f16_e64 s[10:11], v10, v10
	v_cmp_gt_f16_e64 s[12:13], s15, v10
	v_cndmask_b32_e32 v8, v6, v8, vcc
	s_or_b64 vcc, s[6:7], s[8:9]
	v_cndmask_b32_e32 v9, v6, v9, vcc
	s_or_b64 vcc, s[10:11], s[12:13]
	v_cndmask_b32_e32 v6, v6, v10, vcc
	v_lshlrev_b32_e32 v7, 16, v7
	s_add_u32 s0, s16, s22
	v_lshlrev_b32_e32 v8, 16, v8
	v_lshlrev_b32_e32 v9, 16, v9
	;; [unrolled: 1-line block ×3, first 2 shown]
	v_or_b32_sdwa v2, v7, v2 dst_sel:DWORD dst_unused:UNUSED_PAD src0_sel:DWORD src1_sel:WORD_0
	s_addc_u32 s1, s17, s23
	v_or_b32_sdwa v3, v8, v3 dst_sel:DWORD dst_unused:UNUSED_PAD src0_sel:DWORD src1_sel:WORD_0
	v_or_b32_sdwa v4, v9, v4 dst_sel:DWORD dst_unused:UNUSED_PAD src0_sel:DWORD src1_sel:WORD_0
	;; [unrolled: 1-line block ×3, first 2 shown]
	global_store_dword v1, v2, s[0:1]
	global_store_dword v1, v3, s[0:1] offset:1024
	global_store_dword v1, v4, s[0:1] offset:2048
	;; [unrolled: 1-line block ×3, first 2 shown]
	s_mov_b64 s[0:1], 0
.LBB477_2:
	s_andn2_b64 vcc, exec, s[0:1]
	s_cbranch_vccnz .LBB477_26
; %bb.3:
	v_cmp_gt_i32_e32 vcc, s14, v0
	v_mov_b32_e32 v6, 0
	v_or_b32_e32 v2, s20, v0
	v_mov_b32_e32 v8, 0
	v_mov_b32_e32 v3, v0
	s_and_saveexec_b64 s[0:1], vcc
	s_cbranch_execz .LBB477_5
; %bb.4:
	v_mov_b32_e32 v3, 0
	v_lshl_add_u64 v[4:5], v[2:3], 1, s[18:19]
	global_load_ushort v8, v[4:5], off
	v_or_b32_e32 v3, 0x100, v0
.LBB477_5:
	s_or_b64 exec, exec, s[0:1]
	v_cmp_gt_i32_e64 s[0:1], s14, v3
	s_and_saveexec_b64 s[2:3], s[0:1]
	s_cbranch_execz .LBB477_7
; %bb.6:
	v_add_u32_e32 v4, s20, v3
	v_mov_b32_e32 v5, 0
	v_lshl_add_u64 v[4:5], v[4:5], 1, s[18:19]
	global_load_ushort v6, v[4:5], off
	v_add_u32_e32 v3, 0x100, v3
.LBB477_7:
	s_or_b64 exec, exec, s[2:3]
	v_cmp_gt_i32_e64 s[0:1], s14, v3
	v_mov_b32_e32 v5, 0
	v_mov_b32_e32 v10, 0
	s_and_saveexec_b64 s[2:3], s[0:1]
	s_cbranch_execz .LBB477_9
; %bb.8:
	v_add_u32_e32 v10, s20, v3
	v_mov_b32_e32 v11, 0
	v_lshl_add_u64 v[10:11], v[10:11], 1, s[18:19]
	global_load_ushort v10, v[10:11], off
	v_add_u32_e32 v3, 0x100, v3
.LBB477_9:
	s_or_b64 exec, exec, s[2:3]
	v_cmp_gt_i32_e64 s[0:1], s14, v3
	s_and_saveexec_b64 s[2:3], s[0:1]
	s_cbranch_execz .LBB477_11
; %bb.10:
	v_add_u32_e32 v4, s20, v3
	v_mov_b32_e32 v5, 0
	v_lshl_add_u64 v[4:5], v[4:5], 1, s[18:19]
	global_load_ushort v5, v[4:5], off
	v_add_u32_e32 v3, 0x100, v3
.LBB477_11:
	s_or_b64 exec, exec, s[2:3]
	v_cmp_gt_i32_e64 s[0:1], s14, v3
	v_mov_b32_e32 v4, 0
	v_mov_b32_e32 v9, 0
	s_and_saveexec_b64 s[2:3], s[0:1]
	s_cbranch_execz .LBB477_13
; %bb.12:
	v_add_u32_e32 v12, s20, v3
	v_mov_b32_e32 v13, 0
	v_lshl_add_u64 v[12:13], v[12:13], 1, s[18:19]
	global_load_ushort v9, v[12:13], off
	v_add_u32_e32 v3, 0x100, v3
.LBB477_13:
	s_or_b64 exec, exec, s[2:3]
	v_cmp_gt_i32_e64 s[0:1], s14, v3
	s_and_saveexec_b64 s[2:3], s[0:1]
	s_cbranch_execz .LBB477_15
; %bb.14:
	v_add_u32_e32 v12, s20, v3
	v_mov_b32_e32 v13, 0
	v_lshl_add_u64 v[12:13], v[12:13], 1, s[18:19]
	global_load_ushort v4, v[12:13], off
	v_add_u32_e32 v3, 0x100, v3
.LBB477_15:
	s_or_b64 exec, exec, s[2:3]
	v_cmp_gt_i32_e64 s[0:1], s14, v3
	v_mov_b32_e32 v1, 0
	v_mov_b32_e32 v7, 0
	s_and_saveexec_b64 s[2:3], s[0:1]
	s_cbranch_execnz .LBB477_27
; %bb.16:
	s_or_b64 exec, exec, s[2:3]
	v_cmp_gt_i32_e64 s[0:1], s14, v3
	s_and_saveexec_b64 s[2:3], s[0:1]
	s_cbranch_execnz .LBB477_28
.LBB477_17:
	s_or_b64 exec, exec, s[2:3]
	s_and_saveexec_b64 s[2:3], vcc
	s_cbranch_execnz .LBB477_29
.LBB477_18:
	s_or_b64 exec, exec, s[2:3]
	v_cmp_gt_i32_e32 vcc, s14, v0
	s_and_saveexec_b64 s[2:3], vcc
	s_cbranch_execnz .LBB477_30
.LBB477_19:
	s_or_b64 exec, exec, s[2:3]
	v_cmp_gt_i32_e32 vcc, s14, v0
	s_and_saveexec_b64 s[2:3], vcc
	s_cbranch_execnz .LBB477_31
.LBB477_20:
	s_or_b64 exec, exec, s[2:3]
	v_cmp_gt_i32_e32 vcc, s14, v0
	s_and_saveexec_b64 s[2:3], vcc
	s_cbranch_execnz .LBB477_32
.LBB477_21:
	s_or_b64 exec, exec, s[2:3]
	v_cmp_gt_i32_e32 vcc, s14, v0
	s_and_saveexec_b64 s[2:3], vcc
	s_cbranch_execnz .LBB477_33
.LBB477_22:
	s_or_b64 exec, exec, s[2:3]
	v_cmp_gt_i32_e32 vcc, s14, v0
	s_and_saveexec_b64 s[2:3], vcc
	s_cbranch_execnz .LBB477_34
.LBB477_23:
	s_or_b64 exec, exec, s[2:3]
	v_cmp_gt_i32_e32 vcc, s14, v0
	s_and_saveexec_b64 s[2:3], vcc
	s_cbranch_execnz .LBB477_35
.LBB477_24:
	s_or_b64 exec, exec, s[2:3]
	v_cmp_gt_i32_e32 vcc, s14, v0
	s_and_saveexec_b64 s[0:1], vcc
	s_cbranch_execz .LBB477_26
.LBB477_25:
	s_waitcnt vmcnt(0)
	v_cmp_u_f16_e32 vcc, v1, v1
	v_cmp_gt_f16_e64 s[0:1], s15, v1
	v_mov_b32_e32 v2, s15
	s_or_b64 vcc, vcc, s[0:1]
	v_cndmask_b32_e32 v2, v2, v1, vcc
	v_add_u32_e32 v0, s20, v0
	v_mov_b32_e32 v1, 0
	v_lshl_add_u64 v[0:1], v[0:1], 1, s[16:17]
	global_store_short v[0:1], v2, off
.LBB477_26:
	s_endpgm
.LBB477_27:
	v_add_u32_e32 v12, s20, v3
	v_mov_b32_e32 v13, 0
	v_lshl_add_u64 v[12:13], v[12:13], 1, s[18:19]
	global_load_ushort v7, v[12:13], off
	v_add_u32_e32 v3, 0x100, v3
	s_or_b64 exec, exec, s[2:3]
	v_cmp_gt_i32_e64 s[0:1], s14, v3
	s_and_saveexec_b64 s[2:3], s[0:1]
	s_cbranch_execz .LBB477_17
.LBB477_28:
	v_add_u32_e32 v12, s20, v3
	v_mov_b32_e32 v13, 0
	v_lshl_add_u64 v[12:13], v[12:13], 1, s[18:19]
	global_load_ushort v1, v[12:13], off
	s_or_b64 exec, exec, s[2:3]
	s_and_saveexec_b64 s[2:3], vcc
	s_cbranch_execz .LBB477_18
.LBB477_29:
	s_waitcnt vmcnt(0)
	v_cmp_u_f16_e32 vcc, v8, v8
	v_cmp_gt_f16_e64 s[0:1], s15, v8
	v_mov_b32_e32 v3, 0
	v_mov_b32_e32 v11, s15
	s_or_b64 vcc, vcc, s[0:1]
	v_lshl_add_u64 v[2:3], v[2:3], 1, s[16:17]
	v_or_b32_e32 v0, 0x100, v0
	v_cndmask_b32_e32 v8, v11, v8, vcc
	global_store_short v[2:3], v8, off
	s_or_b64 exec, exec, s[2:3]
	v_cmp_gt_i32_e32 vcc, s14, v0
	s_and_saveexec_b64 s[2:3], vcc
	s_cbranch_execz .LBB477_19
.LBB477_30:
	s_waitcnt vmcnt(0)
	v_cmp_u_f16_e32 vcc, v6, v6
	v_cmp_gt_f16_e64 s[0:1], s15, v6
	v_mov_b32_e32 v2, s15
	s_or_b64 vcc, vcc, s[0:1]
	v_cndmask_b32_e32 v6, v2, v6, vcc
	v_add_u32_e32 v2, s20, v0
	v_mov_b32_e32 v3, 0
	v_lshl_add_u64 v[2:3], v[2:3], 1, s[16:17]
	v_add_u32_e32 v0, 0x100, v0
	global_store_short v[2:3], v6, off
	s_or_b64 exec, exec, s[2:3]
	v_cmp_gt_i32_e32 vcc, s14, v0
	s_and_saveexec_b64 s[2:3], vcc
	s_cbranch_execz .LBB477_20
.LBB477_31:
	s_waitcnt vmcnt(0)
	v_cmp_u_f16_e32 vcc, v10, v10
	v_cmp_gt_f16_e64 s[0:1], s15, v10
	v_mov_b32_e32 v2, s15
	s_or_b64 vcc, vcc, s[0:1]
	v_cndmask_b32_e32 v6, v2, v10, vcc
	v_add_u32_e32 v2, s20, v0
	v_mov_b32_e32 v3, 0
	v_lshl_add_u64 v[2:3], v[2:3], 1, s[16:17]
	v_add_u32_e32 v0, 0x100, v0
	global_store_short v[2:3], v6, off
	s_or_b64 exec, exec, s[2:3]
	v_cmp_gt_i32_e32 vcc, s14, v0
	s_and_saveexec_b64 s[2:3], vcc
	s_cbranch_execz .LBB477_21
.LBB477_32:
	s_waitcnt vmcnt(0)
	v_cmp_u_f16_e32 vcc, v5, v5
	v_cmp_gt_f16_e64 s[0:1], s15, v5
	v_mov_b32_e32 v2, s15
	s_or_b64 vcc, vcc, s[0:1]
	v_cndmask_b32_e32 v5, v2, v5, vcc
	v_add_u32_e32 v2, s20, v0
	v_mov_b32_e32 v3, 0
	v_lshl_add_u64 v[2:3], v[2:3], 1, s[16:17]
	v_add_u32_e32 v0, 0x100, v0
	global_store_short v[2:3], v5, off
	s_or_b64 exec, exec, s[2:3]
	v_cmp_gt_i32_e32 vcc, s14, v0
	s_and_saveexec_b64 s[2:3], vcc
	s_cbranch_execz .LBB477_22
.LBB477_33:
	s_waitcnt vmcnt(0)
	v_cmp_u_f16_e32 vcc, v9, v9
	v_cmp_gt_f16_e64 s[0:1], s15, v9
	v_mov_b32_e32 v2, s15
	s_or_b64 vcc, vcc, s[0:1]
	v_cndmask_b32_e32 v5, v2, v9, vcc
	v_add_u32_e32 v2, s20, v0
	v_mov_b32_e32 v3, 0
	v_lshl_add_u64 v[2:3], v[2:3], 1, s[16:17]
	v_add_u32_e32 v0, 0x100, v0
	global_store_short v[2:3], v5, off
	s_or_b64 exec, exec, s[2:3]
	v_cmp_gt_i32_e32 vcc, s14, v0
	s_and_saveexec_b64 s[2:3], vcc
	s_cbranch_execz .LBB477_23
.LBB477_34:
	s_waitcnt vmcnt(0)
	v_cmp_u_f16_e32 vcc, v4, v4
	v_cmp_gt_f16_e64 s[0:1], s15, v4
	v_mov_b32_e32 v2, s15
	s_or_b64 vcc, vcc, s[0:1]
	v_cndmask_b32_e32 v4, v2, v4, vcc
	v_add_u32_e32 v2, s20, v0
	v_mov_b32_e32 v3, 0
	v_lshl_add_u64 v[2:3], v[2:3], 1, s[16:17]
	v_add_u32_e32 v0, 0x100, v0
	global_store_short v[2:3], v4, off
	s_or_b64 exec, exec, s[2:3]
	v_cmp_gt_i32_e32 vcc, s14, v0
	s_and_saveexec_b64 s[2:3], vcc
	s_cbranch_execz .LBB477_24
.LBB477_35:
	s_waitcnt vmcnt(0)
	v_cmp_u_f16_e32 vcc, v7, v7
	v_cmp_gt_f16_e64 s[0:1], s15, v7
	v_mov_b32_e32 v2, s15
	s_or_b64 vcc, vcc, s[0:1]
	v_cndmask_b32_e32 v4, v2, v7, vcc
	v_add_u32_e32 v2, s20, v0
	v_mov_b32_e32 v3, 0
	v_lshl_add_u64 v[2:3], v[2:3], 1, s[16:17]
	v_add_u32_e32 v0, 0x100, v0
	global_store_short v[2:3], v4, off
	s_or_b64 exec, exec, s[2:3]
	v_cmp_gt_i32_e32 vcc, s14, v0
	s_and_saveexec_b64 s[0:1], vcc
	s_cbranch_execnz .LBB477_25
	s_branch .LBB477_26
	.section	.rodata,"a",@progbits
	.p2align	6, 0x0
	.amdhsa_kernel _ZN2at6native29vectorized_elementwise_kernelILi2EZZZNS0_21clamp_max_kernel_cudaERNS_18TensorIteratorBaseERKN3c106ScalarEENKUlvE_clEvENKUlvE6_clEvEUlNS4_4HalfEE_St5arrayIPcLm2EEEEviT0_T1_
		.amdhsa_group_segment_fixed_size 0
		.amdhsa_private_segment_fixed_size 0
		.amdhsa_kernarg_size 24
		.amdhsa_user_sgpr_count 2
		.amdhsa_user_sgpr_dispatch_ptr 0
		.amdhsa_user_sgpr_queue_ptr 0
		.amdhsa_user_sgpr_kernarg_segment_ptr 1
		.amdhsa_user_sgpr_dispatch_id 0
		.amdhsa_user_sgpr_kernarg_preload_length 0
		.amdhsa_user_sgpr_kernarg_preload_offset 0
		.amdhsa_user_sgpr_private_segment_size 0
		.amdhsa_uses_dynamic_stack 0
		.amdhsa_enable_private_segment 0
		.amdhsa_system_sgpr_workgroup_id_x 1
		.amdhsa_system_sgpr_workgroup_id_y 0
		.amdhsa_system_sgpr_workgroup_id_z 0
		.amdhsa_system_sgpr_workgroup_info 0
		.amdhsa_system_vgpr_workitem_id 0
		.amdhsa_next_free_vgpr 14
		.amdhsa_next_free_sgpr 24
		.amdhsa_accum_offset 16
		.amdhsa_reserve_vcc 1
		.amdhsa_float_round_mode_32 0
		.amdhsa_float_round_mode_16_64 0
		.amdhsa_float_denorm_mode_32 3
		.amdhsa_float_denorm_mode_16_64 3
		.amdhsa_dx10_clamp 1
		.amdhsa_ieee_mode 1
		.amdhsa_fp16_overflow 0
		.amdhsa_tg_split 0
		.amdhsa_exception_fp_ieee_invalid_op 0
		.amdhsa_exception_fp_denorm_src 0
		.amdhsa_exception_fp_ieee_div_zero 0
		.amdhsa_exception_fp_ieee_overflow 0
		.amdhsa_exception_fp_ieee_underflow 0
		.amdhsa_exception_fp_ieee_inexact 0
		.amdhsa_exception_int_div_zero 0
	.end_amdhsa_kernel
	.section	.text._ZN2at6native29vectorized_elementwise_kernelILi2EZZZNS0_21clamp_max_kernel_cudaERNS_18TensorIteratorBaseERKN3c106ScalarEENKUlvE_clEvENKUlvE6_clEvEUlNS4_4HalfEE_St5arrayIPcLm2EEEEviT0_T1_,"axG",@progbits,_ZN2at6native29vectorized_elementwise_kernelILi2EZZZNS0_21clamp_max_kernel_cudaERNS_18TensorIteratorBaseERKN3c106ScalarEENKUlvE_clEvENKUlvE6_clEvEUlNS4_4HalfEE_St5arrayIPcLm2EEEEviT0_T1_,comdat
.Lfunc_end477:
	.size	_ZN2at6native29vectorized_elementwise_kernelILi2EZZZNS0_21clamp_max_kernel_cudaERNS_18TensorIteratorBaseERKN3c106ScalarEENKUlvE_clEvENKUlvE6_clEvEUlNS4_4HalfEE_St5arrayIPcLm2EEEEviT0_T1_, .Lfunc_end477-_ZN2at6native29vectorized_elementwise_kernelILi2EZZZNS0_21clamp_max_kernel_cudaERNS_18TensorIteratorBaseERKN3c106ScalarEENKUlvE_clEvENKUlvE6_clEvEUlNS4_4HalfEE_St5arrayIPcLm2EEEEviT0_T1_
                                        ; -- End function
	.set _ZN2at6native29vectorized_elementwise_kernelILi2EZZZNS0_21clamp_max_kernel_cudaERNS_18TensorIteratorBaseERKN3c106ScalarEENKUlvE_clEvENKUlvE6_clEvEUlNS4_4HalfEE_St5arrayIPcLm2EEEEviT0_T1_.num_vgpr, 14
	.set _ZN2at6native29vectorized_elementwise_kernelILi2EZZZNS0_21clamp_max_kernel_cudaERNS_18TensorIteratorBaseERKN3c106ScalarEENKUlvE_clEvENKUlvE6_clEvEUlNS4_4HalfEE_St5arrayIPcLm2EEEEviT0_T1_.num_agpr, 0
	.set _ZN2at6native29vectorized_elementwise_kernelILi2EZZZNS0_21clamp_max_kernel_cudaERNS_18TensorIteratorBaseERKN3c106ScalarEENKUlvE_clEvENKUlvE6_clEvEUlNS4_4HalfEE_St5arrayIPcLm2EEEEviT0_T1_.numbered_sgpr, 24
	.set _ZN2at6native29vectorized_elementwise_kernelILi2EZZZNS0_21clamp_max_kernel_cudaERNS_18TensorIteratorBaseERKN3c106ScalarEENKUlvE_clEvENKUlvE6_clEvEUlNS4_4HalfEE_St5arrayIPcLm2EEEEviT0_T1_.num_named_barrier, 0
	.set _ZN2at6native29vectorized_elementwise_kernelILi2EZZZNS0_21clamp_max_kernel_cudaERNS_18TensorIteratorBaseERKN3c106ScalarEENKUlvE_clEvENKUlvE6_clEvEUlNS4_4HalfEE_St5arrayIPcLm2EEEEviT0_T1_.private_seg_size, 0
	.set _ZN2at6native29vectorized_elementwise_kernelILi2EZZZNS0_21clamp_max_kernel_cudaERNS_18TensorIteratorBaseERKN3c106ScalarEENKUlvE_clEvENKUlvE6_clEvEUlNS4_4HalfEE_St5arrayIPcLm2EEEEviT0_T1_.uses_vcc, 1
	.set _ZN2at6native29vectorized_elementwise_kernelILi2EZZZNS0_21clamp_max_kernel_cudaERNS_18TensorIteratorBaseERKN3c106ScalarEENKUlvE_clEvENKUlvE6_clEvEUlNS4_4HalfEE_St5arrayIPcLm2EEEEviT0_T1_.uses_flat_scratch, 0
	.set _ZN2at6native29vectorized_elementwise_kernelILi2EZZZNS0_21clamp_max_kernel_cudaERNS_18TensorIteratorBaseERKN3c106ScalarEENKUlvE_clEvENKUlvE6_clEvEUlNS4_4HalfEE_St5arrayIPcLm2EEEEviT0_T1_.has_dyn_sized_stack, 0
	.set _ZN2at6native29vectorized_elementwise_kernelILi2EZZZNS0_21clamp_max_kernel_cudaERNS_18TensorIteratorBaseERKN3c106ScalarEENKUlvE_clEvENKUlvE6_clEvEUlNS4_4HalfEE_St5arrayIPcLm2EEEEviT0_T1_.has_recursion, 0
	.set _ZN2at6native29vectorized_elementwise_kernelILi2EZZZNS0_21clamp_max_kernel_cudaERNS_18TensorIteratorBaseERKN3c106ScalarEENKUlvE_clEvENKUlvE6_clEvEUlNS4_4HalfEE_St5arrayIPcLm2EEEEviT0_T1_.has_indirect_call, 0
	.section	.AMDGPU.csdata,"",@progbits
; Kernel info:
; codeLenInByte = 1604
; TotalNumSgprs: 30
; NumVgprs: 14
; NumAgprs: 0
; TotalNumVgprs: 14
; ScratchSize: 0
; MemoryBound: 0
; FloatMode: 240
; IeeeMode: 1
; LDSByteSize: 0 bytes/workgroup (compile time only)
; SGPRBlocks: 3
; VGPRBlocks: 1
; NumSGPRsForWavesPerEU: 30
; NumVGPRsForWavesPerEU: 14
; AccumOffset: 16
; Occupancy: 8
; WaveLimiterHint : 1
; COMPUTE_PGM_RSRC2:SCRATCH_EN: 0
; COMPUTE_PGM_RSRC2:USER_SGPR: 2
; COMPUTE_PGM_RSRC2:TRAP_HANDLER: 0
; COMPUTE_PGM_RSRC2:TGID_X_EN: 1
; COMPUTE_PGM_RSRC2:TGID_Y_EN: 0
; COMPUTE_PGM_RSRC2:TGID_Z_EN: 0
; COMPUTE_PGM_RSRC2:TIDIG_COMP_CNT: 0
; COMPUTE_PGM_RSRC3_GFX90A:ACCUM_OFFSET: 3
; COMPUTE_PGM_RSRC3_GFX90A:TG_SPLIT: 0
	.section	.text._ZN2at6native27unrolled_elementwise_kernelIZZZNS0_21clamp_max_kernel_cudaERNS_18TensorIteratorBaseERKN3c106ScalarEENKUlvE_clEvENKUlvE6_clEvEUlNS4_4HalfEE_St5arrayIPcLm2EELi4E23TrivialOffsetCalculatorILi1EjESG_NS0_6memory15LoadWithoutCastENSH_16StoreWithoutCastEEEviT_T0_T2_T3_T4_T5_,"axG",@progbits,_ZN2at6native27unrolled_elementwise_kernelIZZZNS0_21clamp_max_kernel_cudaERNS_18TensorIteratorBaseERKN3c106ScalarEENKUlvE_clEvENKUlvE6_clEvEUlNS4_4HalfEE_St5arrayIPcLm2EELi4E23TrivialOffsetCalculatorILi1EjESG_NS0_6memory15LoadWithoutCastENSH_16StoreWithoutCastEEEviT_T0_T2_T3_T4_T5_,comdat
	.globl	_ZN2at6native27unrolled_elementwise_kernelIZZZNS0_21clamp_max_kernel_cudaERNS_18TensorIteratorBaseERKN3c106ScalarEENKUlvE_clEvENKUlvE6_clEvEUlNS4_4HalfEE_St5arrayIPcLm2EELi4E23TrivialOffsetCalculatorILi1EjESG_NS0_6memory15LoadWithoutCastENSH_16StoreWithoutCastEEEviT_T0_T2_T3_T4_T5_ ; -- Begin function _ZN2at6native27unrolled_elementwise_kernelIZZZNS0_21clamp_max_kernel_cudaERNS_18TensorIteratorBaseERKN3c106ScalarEENKUlvE_clEvENKUlvE6_clEvEUlNS4_4HalfEE_St5arrayIPcLm2EELi4E23TrivialOffsetCalculatorILi1EjESG_NS0_6memory15LoadWithoutCastENSH_16StoreWithoutCastEEEviT_T0_T2_T3_T4_T5_
	.p2align	8
	.type	_ZN2at6native27unrolled_elementwise_kernelIZZZNS0_21clamp_max_kernel_cudaERNS_18TensorIteratorBaseERKN3c106ScalarEENKUlvE_clEvENKUlvE6_clEvEUlNS4_4HalfEE_St5arrayIPcLm2EELi4E23TrivialOffsetCalculatorILi1EjESG_NS0_6memory15LoadWithoutCastENSH_16StoreWithoutCastEEEviT_T0_T2_T3_T4_T5_,@function
_ZN2at6native27unrolled_elementwise_kernelIZZZNS0_21clamp_max_kernel_cudaERNS_18TensorIteratorBaseERKN3c106ScalarEENKUlvE_clEvENKUlvE6_clEvEUlNS4_4HalfEE_St5arrayIPcLm2EELi4E23TrivialOffsetCalculatorILi1EjESG_NS0_6memory15LoadWithoutCastENSH_16StoreWithoutCastEEEviT_T0_T2_T3_T4_T5_: ; @_ZN2at6native27unrolled_elementwise_kernelIZZZNS0_21clamp_max_kernel_cudaERNS_18TensorIteratorBaseERKN3c106ScalarEENKUlvE_clEvENKUlvE6_clEvEUlNS4_4HalfEE_St5arrayIPcLm2EELi4E23TrivialOffsetCalculatorILi1EjESG_NS0_6memory15LoadWithoutCastENSH_16StoreWithoutCastEEEviT_T0_T2_T3_T4_T5_
; %bb.0:
	s_load_dwordx2 s[8:9], s[0:1], 0x0
	s_load_dwordx4 s[4:7], s[0:1], 0x8
	s_lshl_b32 s10, s2, 10
	v_mov_b32_e32 v4, 0
	v_or_b32_e32 v2, s10, v0
	s_waitcnt lgkmcnt(0)
	s_sub_i32 s8, s8, s10
	v_cmp_gt_i32_e32 vcc, s8, v0
	v_mov_b32_e32 v5, 0
	v_mov_b32_e32 v3, v0
	s_and_saveexec_b64 s[0:1], vcc
	s_cbranch_execz .LBB478_2
; %bb.1:
	v_mov_b32_e32 v3, 0
	v_lshl_add_u64 v[6:7], v[2:3], 1, s[6:7]
	global_load_ushort v5, v[6:7], off
	v_or_b32_e32 v3, 0x100, v0
.LBB478_2:
	s_or_b64 exec, exec, s[0:1]
	v_cmp_gt_i32_e64 s[0:1], s8, v3
	s_and_saveexec_b64 s[2:3], s[0:1]
	s_cbranch_execz .LBB478_4
; %bb.3:
	v_add_u32_e32 v6, s10, v3
	v_mov_b32_e32 v7, 0
	v_lshl_add_u64 v[6:7], v[6:7], 1, s[6:7]
	global_load_ushort v4, v[6:7], off
	v_add_u32_e32 v3, 0x100, v3
.LBB478_4:
	s_or_b64 exec, exec, s[2:3]
	v_cmp_gt_i32_e64 s[0:1], s8, v3
	v_mov_b32_e32 v1, 0
	v_mov_b32_e32 v6, 0
	s_and_saveexec_b64 s[2:3], s[0:1]
	s_cbranch_execnz .LBB478_11
; %bb.5:
	s_or_b64 exec, exec, s[2:3]
	v_cmp_gt_i32_e64 s[0:1], s8, v3
	s_and_saveexec_b64 s[2:3], s[0:1]
	s_cbranch_execnz .LBB478_12
.LBB478_6:
	s_or_b64 exec, exec, s[2:3]
	s_and_saveexec_b64 s[2:3], vcc
	s_cbranch_execnz .LBB478_13
.LBB478_7:
	s_or_b64 exec, exec, s[2:3]
	v_cmp_gt_i32_e32 vcc, s8, v0
	s_and_saveexec_b64 s[2:3], vcc
	s_cbranch_execnz .LBB478_14
.LBB478_8:
	s_or_b64 exec, exec, s[2:3]
	v_cmp_gt_i32_e32 vcc, s8, v0
	s_and_saveexec_b64 s[2:3], vcc
	s_cbranch_execnz .LBB478_15
.LBB478_9:
	s_or_b64 exec, exec, s[2:3]
	v_cmp_gt_i32_e32 vcc, s8, v0
	s_and_saveexec_b64 s[0:1], vcc
	s_cbranch_execnz .LBB478_16
.LBB478_10:
	s_endpgm
.LBB478_11:
	v_add_u32_e32 v6, s10, v3
	v_mov_b32_e32 v7, 0
	v_lshl_add_u64 v[6:7], v[6:7], 1, s[6:7]
	global_load_ushort v6, v[6:7], off
	v_add_u32_e32 v3, 0x100, v3
	s_or_b64 exec, exec, s[2:3]
	v_cmp_gt_i32_e64 s[0:1], s8, v3
	s_and_saveexec_b64 s[2:3], s[0:1]
	s_cbranch_execz .LBB478_6
.LBB478_12:
	v_add_u32_e32 v8, s10, v3
	v_mov_b32_e32 v9, 0
	v_lshl_add_u64 v[8:9], v[8:9], 1, s[6:7]
	global_load_ushort v1, v[8:9], off
	s_or_b64 exec, exec, s[2:3]
	s_and_saveexec_b64 s[2:3], vcc
	s_cbranch_execz .LBB478_7
.LBB478_13:
	s_waitcnt vmcnt(0)
	v_cmp_u_f16_e32 vcc, v5, v5
	v_cmp_gt_f16_e64 s[0:1], s9, v5
	v_mov_b32_e32 v3, 0
	v_mov_b32_e32 v7, s9
	s_or_b64 vcc, vcc, s[0:1]
	v_lshl_add_u64 v[2:3], v[2:3], 1, s[4:5]
	v_or_b32_e32 v0, 0x100, v0
	v_cndmask_b32_e32 v5, v7, v5, vcc
	global_store_short v[2:3], v5, off
	s_or_b64 exec, exec, s[2:3]
	v_cmp_gt_i32_e32 vcc, s8, v0
	s_and_saveexec_b64 s[2:3], vcc
	s_cbranch_execz .LBB478_8
.LBB478_14:
	s_waitcnt vmcnt(0)
	v_cmp_u_f16_e32 vcc, v4, v4
	v_cmp_gt_f16_e64 s[0:1], s9, v4
	v_mov_b32_e32 v2, s9
	s_or_b64 vcc, vcc, s[0:1]
	v_cndmask_b32_e32 v4, v2, v4, vcc
	v_add_u32_e32 v5, 0x100, v0
	v_add_u32_e32 v2, s10, v0
	v_mov_b32_e32 v3, 0
	v_lshl_add_u64 v[2:3], v[2:3], 1, s[4:5]
	v_mov_b32_e32 v0, v5
	global_store_short v[2:3], v4, off
	s_or_b64 exec, exec, s[2:3]
	v_cmp_gt_i32_e32 vcc, s8, v0
	s_and_saveexec_b64 s[2:3], vcc
	s_cbranch_execz .LBB478_9
.LBB478_15:
	s_waitcnt vmcnt(0)
	v_cmp_u_f16_e32 vcc, v6, v6
	v_cmp_gt_f16_e64 s[0:1], s9, v6
	v_mov_b32_e32 v2, s9
	s_or_b64 vcc, vcc, s[0:1]
	v_cndmask_b32_e32 v4, v2, v6, vcc
	v_add_u32_e32 v5, 0x100, v0
	v_add_u32_e32 v2, s10, v0
	v_mov_b32_e32 v3, 0
	v_lshl_add_u64 v[2:3], v[2:3], 1, s[4:5]
	v_mov_b32_e32 v0, v5
	global_store_short v[2:3], v4, off
	s_or_b64 exec, exec, s[2:3]
	v_cmp_gt_i32_e32 vcc, s8, v0
	s_and_saveexec_b64 s[0:1], vcc
	s_cbranch_execz .LBB478_10
.LBB478_16:
	s_waitcnt vmcnt(0)
	v_cmp_u_f16_e32 vcc, v1, v1
	v_cmp_gt_f16_e64 s[0:1], s9, v1
	v_mov_b32_e32 v2, s9
	s_or_b64 vcc, vcc, s[0:1]
	v_cndmask_b32_e32 v2, v2, v1, vcc
	v_add_u32_e32 v0, s10, v0
	v_mov_b32_e32 v1, 0
	v_lshl_add_u64 v[0:1], v[0:1], 1, s[4:5]
	global_store_short v[0:1], v2, off
	s_endpgm
	.section	.rodata,"a",@progbits
	.p2align	6, 0x0
	.amdhsa_kernel _ZN2at6native27unrolled_elementwise_kernelIZZZNS0_21clamp_max_kernel_cudaERNS_18TensorIteratorBaseERKN3c106ScalarEENKUlvE_clEvENKUlvE6_clEvEUlNS4_4HalfEE_St5arrayIPcLm2EELi4E23TrivialOffsetCalculatorILi1EjESG_NS0_6memory15LoadWithoutCastENSH_16StoreWithoutCastEEEviT_T0_T2_T3_T4_T5_
		.amdhsa_group_segment_fixed_size 0
		.amdhsa_private_segment_fixed_size 0
		.amdhsa_kernarg_size 28
		.amdhsa_user_sgpr_count 2
		.amdhsa_user_sgpr_dispatch_ptr 0
		.amdhsa_user_sgpr_queue_ptr 0
		.amdhsa_user_sgpr_kernarg_segment_ptr 1
		.amdhsa_user_sgpr_dispatch_id 0
		.amdhsa_user_sgpr_kernarg_preload_length 0
		.amdhsa_user_sgpr_kernarg_preload_offset 0
		.amdhsa_user_sgpr_private_segment_size 0
		.amdhsa_uses_dynamic_stack 0
		.amdhsa_enable_private_segment 0
		.amdhsa_system_sgpr_workgroup_id_x 1
		.amdhsa_system_sgpr_workgroup_id_y 0
		.amdhsa_system_sgpr_workgroup_id_z 0
		.amdhsa_system_sgpr_workgroup_info 0
		.amdhsa_system_vgpr_workitem_id 0
		.amdhsa_next_free_vgpr 10
		.amdhsa_next_free_sgpr 11
		.amdhsa_accum_offset 12
		.amdhsa_reserve_vcc 1
		.amdhsa_float_round_mode_32 0
		.amdhsa_float_round_mode_16_64 0
		.amdhsa_float_denorm_mode_32 3
		.amdhsa_float_denorm_mode_16_64 3
		.amdhsa_dx10_clamp 1
		.amdhsa_ieee_mode 1
		.amdhsa_fp16_overflow 0
		.amdhsa_tg_split 0
		.amdhsa_exception_fp_ieee_invalid_op 0
		.amdhsa_exception_fp_denorm_src 0
		.amdhsa_exception_fp_ieee_div_zero 0
		.amdhsa_exception_fp_ieee_overflow 0
		.amdhsa_exception_fp_ieee_underflow 0
		.amdhsa_exception_fp_ieee_inexact 0
		.amdhsa_exception_int_div_zero 0
	.end_amdhsa_kernel
	.section	.text._ZN2at6native27unrolled_elementwise_kernelIZZZNS0_21clamp_max_kernel_cudaERNS_18TensorIteratorBaseERKN3c106ScalarEENKUlvE_clEvENKUlvE6_clEvEUlNS4_4HalfEE_St5arrayIPcLm2EELi4E23TrivialOffsetCalculatorILi1EjESG_NS0_6memory15LoadWithoutCastENSH_16StoreWithoutCastEEEviT_T0_T2_T3_T4_T5_,"axG",@progbits,_ZN2at6native27unrolled_elementwise_kernelIZZZNS0_21clamp_max_kernel_cudaERNS_18TensorIteratorBaseERKN3c106ScalarEENKUlvE_clEvENKUlvE6_clEvEUlNS4_4HalfEE_St5arrayIPcLm2EELi4E23TrivialOffsetCalculatorILi1EjESG_NS0_6memory15LoadWithoutCastENSH_16StoreWithoutCastEEEviT_T0_T2_T3_T4_T5_,comdat
.Lfunc_end478:
	.size	_ZN2at6native27unrolled_elementwise_kernelIZZZNS0_21clamp_max_kernel_cudaERNS_18TensorIteratorBaseERKN3c106ScalarEENKUlvE_clEvENKUlvE6_clEvEUlNS4_4HalfEE_St5arrayIPcLm2EELi4E23TrivialOffsetCalculatorILi1EjESG_NS0_6memory15LoadWithoutCastENSH_16StoreWithoutCastEEEviT_T0_T2_T3_T4_T5_, .Lfunc_end478-_ZN2at6native27unrolled_elementwise_kernelIZZZNS0_21clamp_max_kernel_cudaERNS_18TensorIteratorBaseERKN3c106ScalarEENKUlvE_clEvENKUlvE6_clEvEUlNS4_4HalfEE_St5arrayIPcLm2EELi4E23TrivialOffsetCalculatorILi1EjESG_NS0_6memory15LoadWithoutCastENSH_16StoreWithoutCastEEEviT_T0_T2_T3_T4_T5_
                                        ; -- End function
	.set _ZN2at6native27unrolled_elementwise_kernelIZZZNS0_21clamp_max_kernel_cudaERNS_18TensorIteratorBaseERKN3c106ScalarEENKUlvE_clEvENKUlvE6_clEvEUlNS4_4HalfEE_St5arrayIPcLm2EELi4E23TrivialOffsetCalculatorILi1EjESG_NS0_6memory15LoadWithoutCastENSH_16StoreWithoutCastEEEviT_T0_T2_T3_T4_T5_.num_vgpr, 10
	.set _ZN2at6native27unrolled_elementwise_kernelIZZZNS0_21clamp_max_kernel_cudaERNS_18TensorIteratorBaseERKN3c106ScalarEENKUlvE_clEvENKUlvE6_clEvEUlNS4_4HalfEE_St5arrayIPcLm2EELi4E23TrivialOffsetCalculatorILi1EjESG_NS0_6memory15LoadWithoutCastENSH_16StoreWithoutCastEEEviT_T0_T2_T3_T4_T5_.num_agpr, 0
	.set _ZN2at6native27unrolled_elementwise_kernelIZZZNS0_21clamp_max_kernel_cudaERNS_18TensorIteratorBaseERKN3c106ScalarEENKUlvE_clEvENKUlvE6_clEvEUlNS4_4HalfEE_St5arrayIPcLm2EELi4E23TrivialOffsetCalculatorILi1EjESG_NS0_6memory15LoadWithoutCastENSH_16StoreWithoutCastEEEviT_T0_T2_T3_T4_T5_.numbered_sgpr, 11
	.set _ZN2at6native27unrolled_elementwise_kernelIZZZNS0_21clamp_max_kernel_cudaERNS_18TensorIteratorBaseERKN3c106ScalarEENKUlvE_clEvENKUlvE6_clEvEUlNS4_4HalfEE_St5arrayIPcLm2EELi4E23TrivialOffsetCalculatorILi1EjESG_NS0_6memory15LoadWithoutCastENSH_16StoreWithoutCastEEEviT_T0_T2_T3_T4_T5_.num_named_barrier, 0
	.set _ZN2at6native27unrolled_elementwise_kernelIZZZNS0_21clamp_max_kernel_cudaERNS_18TensorIteratorBaseERKN3c106ScalarEENKUlvE_clEvENKUlvE6_clEvEUlNS4_4HalfEE_St5arrayIPcLm2EELi4E23TrivialOffsetCalculatorILi1EjESG_NS0_6memory15LoadWithoutCastENSH_16StoreWithoutCastEEEviT_T0_T2_T3_T4_T5_.private_seg_size, 0
	.set _ZN2at6native27unrolled_elementwise_kernelIZZZNS0_21clamp_max_kernel_cudaERNS_18TensorIteratorBaseERKN3c106ScalarEENKUlvE_clEvENKUlvE6_clEvEUlNS4_4HalfEE_St5arrayIPcLm2EELi4E23TrivialOffsetCalculatorILi1EjESG_NS0_6memory15LoadWithoutCastENSH_16StoreWithoutCastEEEviT_T0_T2_T3_T4_T5_.uses_vcc, 1
	.set _ZN2at6native27unrolled_elementwise_kernelIZZZNS0_21clamp_max_kernel_cudaERNS_18TensorIteratorBaseERKN3c106ScalarEENKUlvE_clEvENKUlvE6_clEvEUlNS4_4HalfEE_St5arrayIPcLm2EELi4E23TrivialOffsetCalculatorILi1EjESG_NS0_6memory15LoadWithoutCastENSH_16StoreWithoutCastEEEviT_T0_T2_T3_T4_T5_.uses_flat_scratch, 0
	.set _ZN2at6native27unrolled_elementwise_kernelIZZZNS0_21clamp_max_kernel_cudaERNS_18TensorIteratorBaseERKN3c106ScalarEENKUlvE_clEvENKUlvE6_clEvEUlNS4_4HalfEE_St5arrayIPcLm2EELi4E23TrivialOffsetCalculatorILi1EjESG_NS0_6memory15LoadWithoutCastENSH_16StoreWithoutCastEEEviT_T0_T2_T3_T4_T5_.has_dyn_sized_stack, 0
	.set _ZN2at6native27unrolled_elementwise_kernelIZZZNS0_21clamp_max_kernel_cudaERNS_18TensorIteratorBaseERKN3c106ScalarEENKUlvE_clEvENKUlvE6_clEvEUlNS4_4HalfEE_St5arrayIPcLm2EELi4E23TrivialOffsetCalculatorILi1EjESG_NS0_6memory15LoadWithoutCastENSH_16StoreWithoutCastEEEviT_T0_T2_T3_T4_T5_.has_recursion, 0
	.set _ZN2at6native27unrolled_elementwise_kernelIZZZNS0_21clamp_max_kernel_cudaERNS_18TensorIteratorBaseERKN3c106ScalarEENKUlvE_clEvENKUlvE6_clEvEUlNS4_4HalfEE_St5arrayIPcLm2EELi4E23TrivialOffsetCalculatorILi1EjESG_NS0_6memory15LoadWithoutCastENSH_16StoreWithoutCastEEEviT_T0_T2_T3_T4_T5_.has_indirect_call, 0
	.section	.AMDGPU.csdata,"",@progbits
; Kernel info:
; codeLenInByte = 624
; TotalNumSgprs: 17
; NumVgprs: 10
; NumAgprs: 0
; TotalNumVgprs: 10
; ScratchSize: 0
; MemoryBound: 0
; FloatMode: 240
; IeeeMode: 1
; LDSByteSize: 0 bytes/workgroup (compile time only)
; SGPRBlocks: 2
; VGPRBlocks: 1
; NumSGPRsForWavesPerEU: 17
; NumVGPRsForWavesPerEU: 10
; AccumOffset: 12
; Occupancy: 8
; WaveLimiterHint : 0
; COMPUTE_PGM_RSRC2:SCRATCH_EN: 0
; COMPUTE_PGM_RSRC2:USER_SGPR: 2
; COMPUTE_PGM_RSRC2:TRAP_HANDLER: 0
; COMPUTE_PGM_RSRC2:TGID_X_EN: 1
; COMPUTE_PGM_RSRC2:TGID_Y_EN: 0
; COMPUTE_PGM_RSRC2:TGID_Z_EN: 0
; COMPUTE_PGM_RSRC2:TIDIG_COMP_CNT: 0
; COMPUTE_PGM_RSRC3_GFX90A:ACCUM_OFFSET: 2
; COMPUTE_PGM_RSRC3_GFX90A:TG_SPLIT: 0
	.section	.text._ZN2at6native32elementwise_kernel_manual_unrollILi128ELi8EZNS0_22gpu_kernel_impl_nocastIZZZNS0_21clamp_max_kernel_cudaERNS_18TensorIteratorBaseERKN3c106ScalarEENKUlvE_clEvENKUlvE6_clEvEUlNS5_4HalfEE_EEvS4_RKT_EUlibE_EEviT1_,"axG",@progbits,_ZN2at6native32elementwise_kernel_manual_unrollILi128ELi8EZNS0_22gpu_kernel_impl_nocastIZZZNS0_21clamp_max_kernel_cudaERNS_18TensorIteratorBaseERKN3c106ScalarEENKUlvE_clEvENKUlvE6_clEvEUlNS5_4HalfEE_EEvS4_RKT_EUlibE_EEviT1_,comdat
	.globl	_ZN2at6native32elementwise_kernel_manual_unrollILi128ELi8EZNS0_22gpu_kernel_impl_nocastIZZZNS0_21clamp_max_kernel_cudaERNS_18TensorIteratorBaseERKN3c106ScalarEENKUlvE_clEvENKUlvE6_clEvEUlNS5_4HalfEE_EEvS4_RKT_EUlibE_EEviT1_ ; -- Begin function _ZN2at6native32elementwise_kernel_manual_unrollILi128ELi8EZNS0_22gpu_kernel_impl_nocastIZZZNS0_21clamp_max_kernel_cudaERNS_18TensorIteratorBaseERKN3c106ScalarEENKUlvE_clEvENKUlvE6_clEvEUlNS5_4HalfEE_EEvS4_RKT_EUlibE_EEviT1_
	.p2align	8
	.type	_ZN2at6native32elementwise_kernel_manual_unrollILi128ELi8EZNS0_22gpu_kernel_impl_nocastIZZZNS0_21clamp_max_kernel_cudaERNS_18TensorIteratorBaseERKN3c106ScalarEENKUlvE_clEvENKUlvE6_clEvEUlNS5_4HalfEE_EEvS4_RKT_EUlibE_EEviT1_,@function
_ZN2at6native32elementwise_kernel_manual_unrollILi128ELi8EZNS0_22gpu_kernel_impl_nocastIZZZNS0_21clamp_max_kernel_cudaERNS_18TensorIteratorBaseERKN3c106ScalarEENKUlvE_clEvENKUlvE6_clEvEUlNS5_4HalfEE_EEvS4_RKT_EUlibE_EEviT1_: ; @_ZN2at6native32elementwise_kernel_manual_unrollILi128ELi8EZNS0_22gpu_kernel_impl_nocastIZZZNS0_21clamp_max_kernel_cudaERNS_18TensorIteratorBaseERKN3c106ScalarEENKUlvE_clEvENKUlvE6_clEvEUlNS5_4HalfEE_EEvS4_RKT_EUlibE_EEviT1_
; %bb.0:
	s_load_dword s56, s[0:1], 0x0
	s_load_dword s33, s[0:1], 0x8
	s_add_u32 s34, s0, 8
	s_addc_u32 s35, s1, 0
	v_lshl_or_b32 v24, s2, 10, v0
	v_or_b32_e32 v32, 0x380, v24
	s_waitcnt lgkmcnt(0)
	s_add_i32 s54, s33, -1
	s_cmp_gt_u32 s54, 1
	v_cmp_le_i32_e32 vcc, s56, v32
	s_cselect_b64 s[36:37], -1, 0
	s_and_saveexec_b64 s[0:1], vcc
	s_xor_b64 s[38:39], exec, s[0:1]
	s_cbranch_execz .LBB479_8
; %bb.1:
	s_load_dwordx4 s[24:27], s[34:35], 0x4
	s_load_dwordx2 s[40:41], s[34:35], 0x14
	s_load_dwordx4 s[20:23], s[34:35], 0xc4
	s_load_dwordx4 s[16:19], s[34:35], 0x148
	s_load_dword s55, s[34:35], 0x158
	s_cmp_lg_u32 s33, 0
	s_cselect_b64 s[46:47], -1, 0
	s_add_u32 s44, s34, 0xc4
	s_addc_u32 s45, s35, 0
	s_min_u32 s57, s54, 15
	s_cmp_gt_u32 s33, 1
	s_cselect_b64 s[42:43], -1, 0
	v_cmp_gt_i32_e32 vcc, s56, v24
	s_and_saveexec_b64 s[48:49], vcc
	s_cbranch_execz .LBB479_15
; %bb.2:
	s_andn2_b64 vcc, exec, s[36:37]
	s_cbranch_vccnz .LBB479_23
; %bb.3:
	s_andn2_b64 vcc, exec, s[46:47]
	s_cbranch_vccnz .LBB479_131
; %bb.4:
	s_add_i32 s59, s57, 1
	s_cmp_eq_u32 s54, 2
	s_cbranch_scc1 .LBB479_133
; %bb.5:
	s_and_b32 s58, s59, 28
	s_mov_b32 s60, 0
	v_mov_b32_e32 v0, 0
	v_mov_b32_e32 v2, 0
	s_mov_b64 s[50:51], s[34:35]
	s_mov_b64 s[52:53], s[44:45]
	v_mov_b32_e32 v4, v24
.LBB479_6:                              ; =>This Inner Loop Header: Depth=1
	s_load_dwordx8 s[8:15], s[50:51], 0x4
	s_load_dwordx4 s[28:31], s[50:51], 0x24
	s_load_dwordx8 s[0:7], s[52:53], 0x0
	s_add_u32 s50, s50, 48
	s_addc_u32 s51, s51, 0
	s_waitcnt lgkmcnt(0)
	v_mul_hi_u32 v1, s9, v4
	v_add_u32_e32 v1, v4, v1
	v_lshrrev_b32_e32 v1, s10, v1
	v_mul_lo_u32 v3, v1, s8
	v_mul_hi_u32 v5, s12, v1
	v_sub_u32_e32 v3, v4, v3
	v_add_u32_e32 v4, v1, v5
	v_lshrrev_b32_e32 v4, s13, v4
	v_mul_lo_u32 v6, v4, s11
	v_mul_hi_u32 v7, s15, v4
	v_sub_u32_e32 v1, v1, v6
	v_add_u32_e32 v6, v4, v7
	v_mul_lo_u32 v5, v3, s1
	v_mul_lo_u32 v3, v3, s0
	;; [unrolled: 1-line block ×4, first 2 shown]
	v_lshrrev_b32_e32 v6, s28, v6
	v_add3_u32 v0, v3, v0, v1
	v_mul_hi_u32 v3, s30, v6
	v_add3_u32 v1, v5, v2, v7
	v_mul_lo_u32 v2, v6, s14
	v_add_u32_e32 v3, v6, v3
	v_sub_u32_e32 v2, v4, v2
	v_lshrrev_b32_e32 v4, s31, v3
	s_add_i32 s60, s60, 4
	v_mul_lo_u32 v3, v4, s29
	s_add_u32 s52, s52, 32
	v_sub_u32_e32 v3, v6, v3
	s_addc_u32 s53, s53, 0
	v_mul_lo_u32 v5, v2, s4
	v_mul_lo_u32 v2, v2, s5
	;; [unrolled: 1-line block ×4, first 2 shown]
	s_cmp_lg_u32 s58, s60
	v_add3_u32 v2, v2, v1, v3
	v_add3_u32 v0, v5, v0, v6
	s_cbranch_scc1 .LBB479_6
; %bb.7:
	v_mov_b32_e32 v1, v2
	s_branch .LBB479_134
.LBB479_8:
	s_andn2_saveexec_b64 s[0:1], s[38:39]
	s_cbranch_execz .LBB479_228
.LBB479_9:
	v_cndmask_b32_e64 v0, 0, 1, s[36:37]
	v_cmp_ne_u32_e64 s[0:1], 1, v0
	s_andn2_b64 vcc, exec, s[36:37]
	s_cbranch_vccnz .LBB479_22
; %bb.10:
	s_cmp_lg_u32 s33, 0
	s_waitcnt lgkmcnt(0)
	s_mov_b32 s26, 0
	s_cbranch_scc0 .LBB479_25
; %bb.11:
	s_min_u32 s27, s54, 15
	s_add_i32 s27, s27, 1
	s_cmp_eq_u32 s54, 2
	s_cbranch_scc1 .LBB479_26
; %bb.12:
	s_and_b32 s26, s27, 28
	s_add_u32 s2, s34, 0xc4
	s_addc_u32 s3, s35, 0
	s_mov_b32 s28, 0
	v_mov_b32_e32 v0, 0
	v_mov_b32_e32 v2, 0
	s_mov_b64 s[24:25], s[34:35]
	v_mov_b32_e32 v4, v24
.LBB479_13:                             ; =>This Inner Loop Header: Depth=1
	s_load_dwordx8 s[12:19], s[24:25], 0x4
	s_load_dwordx4 s[20:23], s[24:25], 0x24
	s_load_dwordx8 s[4:11], s[2:3], 0x0
	s_add_u32 s24, s24, 48
	s_addc_u32 s25, s25, 0
	s_waitcnt lgkmcnt(0)
	v_mul_hi_u32 v1, s13, v4
	v_add_u32_e32 v1, v4, v1
	v_lshrrev_b32_e32 v1, s14, v1
	v_mul_lo_u32 v3, v1, s12
	v_mul_hi_u32 v5, s16, v1
	v_sub_u32_e32 v3, v4, v3
	v_add_u32_e32 v4, v1, v5
	v_lshrrev_b32_e32 v4, s17, v4
	v_mul_lo_u32 v6, v4, s15
	v_mul_hi_u32 v7, s19, v4
	v_sub_u32_e32 v1, v1, v6
	v_add_u32_e32 v6, v4, v7
	v_mul_lo_u32 v5, v3, s5
	v_mul_lo_u32 v3, v3, s4
	;; [unrolled: 1-line block ×4, first 2 shown]
	v_lshrrev_b32_e32 v6, s20, v6
	v_add3_u32 v0, v3, v0, v1
	v_mul_hi_u32 v3, s22, v6
	v_add3_u32 v1, v5, v2, v7
	v_mul_lo_u32 v2, v6, s18
	v_add_u32_e32 v3, v6, v3
	v_sub_u32_e32 v2, v4, v2
	v_lshrrev_b32_e32 v4, s23, v3
	s_add_i32 s28, s28, 4
	v_mul_lo_u32 v3, v4, s21
	s_add_u32 s2, s2, 32
	v_sub_u32_e32 v3, v6, v3
	s_addc_u32 s3, s3, 0
	v_mul_lo_u32 v5, v2, s8
	v_mul_lo_u32 v2, v2, s9
	;; [unrolled: 1-line block ×4, first 2 shown]
	s_cmp_lg_u32 s26, s28
	v_add3_u32 v2, v2, v1, v3
	v_add3_u32 v0, v5, v0, v6
	s_cbranch_scc1 .LBB479_13
; %bb.14:
	v_mov_b32_e32 v1, v2
	s_and_b32 s6, s27, 3
	s_cmp_eq_u32 s6, 0
	s_cbranch_scc0 .LBB479_27
	s_branch .LBB479_29
.LBB479_15:
	s_or_b64 exec, exec, s[48:49]
	v_cmp_gt_i32_e32 vcc, s56, v24
	s_and_saveexec_b64 s[48:49], vcc
	s_cbranch_execz .LBB479_141
.LBB479_16:
	s_andn2_b64 vcc, exec, s[36:37]
	s_cbranch_vccnz .LBB479_24
; %bb.17:
	s_andn2_b64 vcc, exec, s[46:47]
	s_cbranch_vccnz .LBB479_132
; %bb.18:
	s_add_i32 s59, s57, 1
	s_cmp_eq_u32 s54, 2
	s_cbranch_scc1 .LBB479_150
; %bb.19:
	s_and_b32 s58, s59, 28
	s_mov_b32 s60, 0
	v_mov_b32_e32 v0, 0
	v_mov_b32_e32 v2, 0
	s_mov_b64 s[50:51], s[34:35]
	s_mov_b64 s[52:53], s[44:45]
	v_mov_b32_e32 v4, v24
.LBB479_20:                             ; =>This Inner Loop Header: Depth=1
	s_load_dwordx8 s[8:15], s[50:51], 0x4
	s_load_dwordx4 s[28:31], s[50:51], 0x24
	s_load_dwordx8 s[0:7], s[52:53], 0x0
	s_add_u32 s50, s50, 48
	s_addc_u32 s51, s51, 0
	s_waitcnt lgkmcnt(0)
	v_mul_hi_u32 v1, s9, v4
	v_add_u32_e32 v1, v4, v1
	v_lshrrev_b32_e32 v1, s10, v1
	v_mul_lo_u32 v3, v1, s8
	v_mul_hi_u32 v5, s12, v1
	v_sub_u32_e32 v3, v4, v3
	v_add_u32_e32 v4, v1, v5
	v_lshrrev_b32_e32 v4, s13, v4
	v_mul_lo_u32 v6, v4, s11
	v_mul_hi_u32 v7, s15, v4
	v_sub_u32_e32 v1, v1, v6
	v_add_u32_e32 v6, v4, v7
	v_mul_lo_u32 v5, v3, s1
	v_mul_lo_u32 v3, v3, s0
	v_mul_lo_u32 v7, v1, s3
	v_mul_lo_u32 v1, v1, s2
	v_lshrrev_b32_e32 v6, s28, v6
	v_add3_u32 v0, v3, v0, v1
	v_mul_hi_u32 v3, s30, v6
	v_add3_u32 v1, v5, v2, v7
	v_mul_lo_u32 v2, v6, s14
	v_add_u32_e32 v3, v6, v3
	v_sub_u32_e32 v2, v4, v2
	v_lshrrev_b32_e32 v4, s31, v3
	s_add_i32 s60, s60, 4
	v_mul_lo_u32 v3, v4, s29
	s_add_u32 s52, s52, 32
	v_sub_u32_e32 v3, v6, v3
	s_addc_u32 s53, s53, 0
	v_mul_lo_u32 v5, v2, s4
	v_mul_lo_u32 v2, v2, s5
	;; [unrolled: 1-line block ×4, first 2 shown]
	s_cmp_eq_u32 s58, s60
	v_add3_u32 v2, v2, v1, v3
	v_add3_u32 v0, v5, v0, v6
	s_cbranch_scc0 .LBB479_20
; %bb.21:
	v_mov_b32_e32 v1, v2
	s_branch .LBB479_151
.LBB479_22:
                                        ; implicit-def: $vgpr2
                                        ; implicit-def: $vgpr0
	s_branch .LBB479_30
.LBB479_23:
                                        ; implicit-def: $vgpr2
                                        ; implicit-def: $vgpr0
	s_branch .LBB479_138
.LBB479_24:
                                        ; implicit-def: $vgpr2
                                        ; implicit-def: $vgpr0
	s_branch .LBB479_155
.LBB479_25:
	v_mov_b32_e32 v2, 0
	v_mov_b32_e32 v0, 0
	s_branch .LBB479_29
.LBB479_26:
	v_mov_b32_e32 v0, 0
                                        ; implicit-def: $vgpr2
	v_mov_b32_e32 v1, v0
	v_mov_b32_e32 v4, v24
	s_and_b32 s6, s27, 3
	s_cmp_eq_u32 s6, 0
	s_cbranch_scc1 .LBB479_29
.LBB479_27:
	s_lshl_b32 s2, s26, 3
	s_add_u32 s2, s34, s2
	s_addc_u32 s3, s35, 0
	s_add_u32 s2, s2, 0xc4
	s_addc_u32 s3, s3, 0
	s_mul_i32 s4, s26, 12
	s_add_u32 s4, s34, s4
	s_addc_u32 s5, s35, 0
.LBB479_28:                             ; =>This Inner Loop Header: Depth=1
	s_load_dwordx2 s[8:9], s[4:5], 0x4
	s_load_dword s7, s[4:5], 0xc
	s_load_dwordx2 s[10:11], s[2:3], 0x0
	v_mov_b32_e32 v2, v1
	s_add_u32 s4, s4, 12
	s_waitcnt lgkmcnt(0)
	v_mul_hi_u32 v1, s9, v4
	v_add_u32_e32 v1, v4, v1
	v_lshrrev_b32_e32 v1, s7, v1
	s_addc_u32 s5, s5, 0
	v_mul_lo_u32 v3, v1, s8
	s_add_u32 s2, s2, 8
	v_sub_u32_e32 v5, v4, v3
	s_addc_u32 s3, s3, 0
	s_add_i32 s6, s6, -1
	v_mov_b32_e32 v4, v1
	v_mad_u64_u32 v[2:3], s[8:9], v5, s11, v[2:3]
	v_mad_u64_u32 v[0:1], s[8:9], v5, s10, v[0:1]
	s_cmp_lg_u32 s6, 0
	v_mov_b32_e32 v1, v2
	s_cbranch_scc1 .LBB479_28
.LBB479_29:
	s_cbranch_execnz .LBB479_32
.LBB479_30:
	s_load_dwordx4 s[4:7], s[34:35], 0x4
	s_load_dwordx2 s[2:3], s[34:35], 0xc4
	s_cmp_lt_u32 s33, 2
	s_waitcnt lgkmcnt(0)
	v_mul_hi_u32 v0, s5, v24
	v_add_u32_e32 v0, v24, v0
	v_lshrrev_b32_e32 v1, s6, v0
	v_mul_lo_u32 v0, v1, s4
	v_sub_u32_e32 v0, v24, v0
	v_mul_lo_u32 v2, v0, s3
	v_mul_lo_u32 v0, v0, s2
	s_cbranch_scc1 .LBB479_32
; %bb.31:
	s_load_dwordx4 s[4:7], s[34:35], 0x10
	s_load_dwordx2 s[2:3], s[34:35], 0xcc
	s_waitcnt lgkmcnt(0)
	v_mul_hi_u32 v3, s5, v1
	v_add_u32_e32 v3, v1, v3
	v_lshrrev_b32_e32 v3, s6, v3
	v_mul_lo_u32 v3, v3, s4
	v_sub_u32_e32 v3, v1, v3
	v_mad_u64_u32 v[0:1], s[4:5], v3, s2, v[0:1]
	v_mad_u64_u32 v[2:3], s[2:3], v3, s3, v[2:3]
.LBB479_32:
	s_and_b64 vcc, exec, s[0:1]
	v_add_u32_e32 v3, 0x80, v24
	s_cbranch_vccnz .LBB479_38
; %bb.33:
	s_cmp_lg_u32 s33, 0
	s_waitcnt lgkmcnt(0)
	s_mov_b32 s26, 0
	s_cbranch_scc0 .LBB479_39
; %bb.34:
	s_min_u32 s27, s54, 15
	s_add_i32 s27, s27, 1
	s_cmp_eq_u32 s54, 2
	s_cbranch_scc1 .LBB479_40
; %bb.35:
	s_and_b32 s26, s27, 28
	s_add_u32 s2, s34, 0xc4
	s_addc_u32 s3, s35, 0
	s_mov_b32 s28, 0
	v_mov_b32_e32 v4, 0
	v_mov_b32_e32 v6, 0
	s_mov_b64 s[24:25], s[34:35]
	v_mov_b32_e32 v8, v3
.LBB479_36:                             ; =>This Inner Loop Header: Depth=1
	s_load_dwordx8 s[12:19], s[24:25], 0x4
	s_load_dwordx4 s[20:23], s[24:25], 0x24
	s_load_dwordx8 s[4:11], s[2:3], 0x0
	s_add_u32 s24, s24, 48
	s_addc_u32 s25, s25, 0
	s_waitcnt lgkmcnt(0)
	v_mul_hi_u32 v1, s13, v8
	v_add_u32_e32 v1, v8, v1
	v_lshrrev_b32_e32 v1, s14, v1
	v_mul_hi_u32 v7, s16, v1
	v_add_u32_e32 v7, v1, v7
	v_lshrrev_b32_e32 v7, s17, v7
	v_mul_lo_u32 v5, v1, s12
	v_mul_lo_u32 v9, v7, s15
	v_mul_hi_u32 v10, s19, v7
	v_sub_u32_e32 v5, v8, v5
	v_sub_u32_e32 v1, v1, v9
	v_add_u32_e32 v9, v7, v10
	v_mul_lo_u32 v8, v5, s5
	v_mul_lo_u32 v5, v5, s4
	;; [unrolled: 1-line block ×4, first 2 shown]
	v_lshrrev_b32_e32 v9, s20, v9
	v_add3_u32 v1, v5, v4, v1
	v_add3_u32 v4, v8, v6, v10
	v_mul_hi_u32 v6, s22, v9
	v_add_u32_e32 v6, v9, v6
	v_lshrrev_b32_e32 v8, s23, v6
	s_add_i32 s28, s28, 4
	v_mul_lo_u32 v5, v9, s18
	v_mul_lo_u32 v6, v8, s21
	s_add_u32 s2, s2, 32
	v_sub_u32_e32 v5, v7, v5
	v_sub_u32_e32 v6, v9, v6
	s_addc_u32 s3, s3, 0
	v_mul_lo_u32 v7, v5, s8
	v_mul_lo_u32 v5, v5, s9
	;; [unrolled: 1-line block ×4, first 2 shown]
	s_cmp_lg_u32 s26, s28
	v_add3_u32 v6, v5, v4, v6
	v_add3_u32 v4, v7, v1, v9
	s_cbranch_scc1 .LBB479_36
; %bb.37:
	v_mov_b32_e32 v1, v6
	s_and_b32 s6, s27, 3
	s_cmp_eq_u32 s6, 0
	s_cbranch_scc0 .LBB479_41
	s_branch .LBB479_43
.LBB479_38:
                                        ; implicit-def: $vgpr6
                                        ; implicit-def: $vgpr4
	s_branch .LBB479_44
.LBB479_39:
	v_mov_b32_e32 v6, 0
	v_mov_b32_e32 v4, 0
	s_branch .LBB479_43
.LBB479_40:
	v_mov_b32_e32 v4, 0
                                        ; implicit-def: $vgpr6
	v_mov_b32_e32 v1, v4
	v_mov_b32_e32 v8, v3
	s_and_b32 s6, s27, 3
	s_cmp_eq_u32 s6, 0
	s_cbranch_scc1 .LBB479_43
.LBB479_41:
	s_lshl_b32 s2, s26, 3
	s_add_u32 s2, s34, s2
	s_addc_u32 s3, s35, 0
	s_add_u32 s2, s2, 0xc4
	s_addc_u32 s3, s3, 0
	s_mul_i32 s4, s26, 12
	s_add_u32 s4, s34, s4
	s_addc_u32 s5, s35, 0
.LBB479_42:                             ; =>This Inner Loop Header: Depth=1
	s_load_dwordx2 s[8:9], s[4:5], 0x4
	s_load_dword s7, s[4:5], 0xc
	s_load_dwordx2 s[10:11], s[2:3], 0x0
	v_mov_b32_e32 v6, v1
	s_add_u32 s4, s4, 12
	s_waitcnt lgkmcnt(0)
	v_mul_hi_u32 v1, s9, v8
	v_add_u32_e32 v1, v8, v1
	v_lshrrev_b32_e32 v1, s7, v1
	s_addc_u32 s5, s5, 0
	v_mul_lo_u32 v5, v1, s8
	s_add_u32 s2, s2, 8
	v_sub_u32_e32 v5, v8, v5
	s_addc_u32 s3, s3, 0
	s_add_i32 s6, s6, -1
	v_mad_u64_u32 v[6:7], s[8:9], v5, s11, v[6:7]
	s_cmp_lg_u32 s6, 0
	v_mov_b32_e32 v8, v1
	v_mad_u64_u32 v[4:5], s[8:9], v5, s10, v[4:5]
	v_mov_b32_e32 v1, v6
	s_cbranch_scc1 .LBB479_42
.LBB479_43:
	s_cbranch_execnz .LBB479_46
.LBB479_44:
	s_load_dwordx4 s[4:7], s[34:35], 0x4
	s_load_dwordx2 s[2:3], s[34:35], 0xc4
	s_cmp_lt_u32 s33, 2
	s_waitcnt lgkmcnt(0)
	v_mul_hi_u32 v1, s5, v3
	v_add_u32_e32 v1, v3, v1
	v_lshrrev_b32_e32 v1, s6, v1
	v_mul_lo_u32 v4, v1, s4
	v_sub_u32_e32 v3, v3, v4
	v_mul_lo_u32 v6, v3, s3
	v_mul_lo_u32 v4, v3, s2
	s_cbranch_scc1 .LBB479_46
; %bb.45:
	s_load_dwordx4 s[4:7], s[34:35], 0x10
	s_load_dwordx2 s[2:3], s[34:35], 0xcc
	s_waitcnt lgkmcnt(0)
	v_mul_hi_u32 v3, s5, v1
	v_add_u32_e32 v3, v1, v3
	v_lshrrev_b32_e32 v3, s6, v3
	v_mul_lo_u32 v3, v3, s4
	v_sub_u32_e32 v1, v1, v3
	v_mad_u64_u32 v[4:5], s[4:5], v1, s2, v[4:5]
	v_mad_u64_u32 v[6:7], s[2:3], v1, s3, v[6:7]
.LBB479_46:
	s_and_b64 vcc, exec, s[0:1]
	v_add_u32_e32 v3, 0x100, v24
	s_cbranch_vccnz .LBB479_52
; %bb.47:
	s_cmp_lg_u32 s33, 0
	s_waitcnt lgkmcnt(0)
	s_mov_b32 s26, 0
	s_cbranch_scc0 .LBB479_53
; %bb.48:
	s_min_u32 s27, s54, 15
	s_add_i32 s27, s27, 1
	s_cmp_eq_u32 s54, 2
	s_cbranch_scc1 .LBB479_54
; %bb.49:
	s_and_b32 s26, s27, 28
	s_add_u32 s2, s34, 0xc4
	s_addc_u32 s3, s35, 0
	s_mov_b32 s28, 0
	v_mov_b32_e32 v8, 0
	v_mov_b32_e32 v10, 0
	s_mov_b64 s[24:25], s[34:35]
	v_mov_b32_e32 v5, v3
.LBB479_50:                             ; =>This Inner Loop Header: Depth=1
	s_load_dwordx8 s[12:19], s[24:25], 0x4
	s_load_dwordx4 s[20:23], s[24:25], 0x24
	s_load_dwordx8 s[4:11], s[2:3], 0x0
	s_add_u32 s24, s24, 48
	s_addc_u32 s25, s25, 0
	s_waitcnt lgkmcnt(0)
	v_mul_hi_u32 v1, s13, v5
	v_add_u32_e32 v1, v5, v1
	v_lshrrev_b32_e32 v1, s14, v1
	v_mul_lo_u32 v7, v1, s12
	v_mul_hi_u32 v9, s16, v1
	v_sub_u32_e32 v5, v5, v7
	v_add_u32_e32 v7, v1, v9
	v_lshrrev_b32_e32 v7, s17, v7
	v_mul_lo_u32 v11, v7, s15
	v_mul_hi_u32 v12, s19, v7
	v_sub_u32_e32 v1, v1, v11
	v_add_u32_e32 v11, v7, v12
	v_mul_lo_u32 v9, v5, s5
	v_mul_lo_u32 v5, v5, s4
	;; [unrolled: 1-line block ×4, first 2 shown]
	v_lshrrev_b32_e32 v11, s20, v11
	v_add3_u32 v1, v5, v8, v1
	v_add3_u32 v8, v9, v10, v12
	v_mul_lo_u32 v5, v11, s18
	v_mul_hi_u32 v9, s22, v11
	v_sub_u32_e32 v5, v7, v5
	v_add_u32_e32 v7, v11, v9
	v_mul_lo_u32 v9, v5, s8
	v_mul_lo_u32 v10, v5, s9
	v_lshrrev_b32_e32 v5, s23, v7
	s_add_i32 s28, s28, 4
	v_mul_lo_u32 v7, v5, s21
	s_add_u32 s2, s2, 32
	v_sub_u32_e32 v7, v11, v7
	s_addc_u32 s3, s3, 0
	v_mul_lo_u32 v11, v7, s10
	v_mul_lo_u32 v7, v7, s11
	s_cmp_lg_u32 s26, s28
	v_add3_u32 v10, v10, v8, v7
	v_add3_u32 v8, v9, v1, v11
	s_cbranch_scc1 .LBB479_50
; %bb.51:
	v_mov_b32_e32 v1, v10
	s_and_b32 s6, s27, 3
	s_cmp_eq_u32 s6, 0
	s_cbranch_scc0 .LBB479_55
	s_branch .LBB479_57
.LBB479_52:
                                        ; implicit-def: $vgpr10
                                        ; implicit-def: $vgpr8
	s_branch .LBB479_58
.LBB479_53:
	v_mov_b32_e32 v10, 0
	v_mov_b32_e32 v8, 0
	s_branch .LBB479_57
.LBB479_54:
	v_mov_b32_e32 v8, 0
                                        ; implicit-def: $vgpr10
	v_mov_b32_e32 v1, v8
	v_mov_b32_e32 v5, v3
	s_and_b32 s6, s27, 3
	s_cmp_eq_u32 s6, 0
	s_cbranch_scc1 .LBB479_57
.LBB479_55:
	s_lshl_b32 s2, s26, 3
	s_add_u32 s2, s34, s2
	s_addc_u32 s3, s35, 0
	s_add_u32 s2, s2, 0xc4
	s_addc_u32 s3, s3, 0
	s_mul_i32 s4, s26, 12
	s_add_u32 s4, s34, s4
	s_addc_u32 s5, s35, 0
.LBB479_56:                             ; =>This Inner Loop Header: Depth=1
	s_load_dwordx2 s[8:9], s[4:5], 0x4
	s_load_dword s7, s[4:5], 0xc
	s_load_dwordx2 s[10:11], s[2:3], 0x0
	v_mov_b32_e32 v10, v1
	s_add_u32 s4, s4, 12
	s_waitcnt lgkmcnt(0)
	v_mul_hi_u32 v1, s9, v5
	v_add_u32_e32 v1, v5, v1
	v_lshrrev_b32_e32 v1, s7, v1
	s_addc_u32 s5, s5, 0
	v_mul_lo_u32 v7, v1, s8
	s_add_u32 s2, s2, 8
	v_sub_u32_e32 v7, v5, v7
	s_addc_u32 s3, s3, 0
	s_add_i32 s6, s6, -1
	v_mad_u64_u32 v[10:11], s[8:9], v7, s11, v[10:11]
	s_cmp_lg_u32 s6, 0
	v_mov_b32_e32 v5, v1
	v_mad_u64_u32 v[8:9], s[8:9], v7, s10, v[8:9]
	v_mov_b32_e32 v1, v10
	s_cbranch_scc1 .LBB479_56
.LBB479_57:
	s_cbranch_execnz .LBB479_60
.LBB479_58:
	s_load_dwordx4 s[4:7], s[34:35], 0x4
	s_load_dwordx2 s[2:3], s[34:35], 0xc4
	s_cmp_lt_u32 s33, 2
	s_waitcnt lgkmcnt(0)
	v_mul_hi_u32 v1, s5, v3
	v_add_u32_e32 v1, v3, v1
	v_lshrrev_b32_e32 v1, s6, v1
	v_mul_lo_u32 v5, v1, s4
	v_sub_u32_e32 v3, v3, v5
	v_mul_lo_u32 v10, v3, s3
	v_mul_lo_u32 v8, v3, s2
	s_cbranch_scc1 .LBB479_60
; %bb.59:
	s_load_dwordx4 s[4:7], s[34:35], 0x10
	s_load_dwordx2 s[2:3], s[34:35], 0xcc
	s_waitcnt lgkmcnt(0)
	v_mul_hi_u32 v3, s5, v1
	v_add_u32_e32 v3, v1, v3
	v_lshrrev_b32_e32 v3, s6, v3
	v_mul_lo_u32 v3, v3, s4
	v_sub_u32_e32 v1, v1, v3
	v_mad_u64_u32 v[8:9], s[4:5], v1, s2, v[8:9]
	v_mad_u64_u32 v[10:11], s[2:3], v1, s3, v[10:11]
.LBB479_60:
	s_and_b64 vcc, exec, s[0:1]
	v_add_u32_e32 v3, 0x180, v24
	s_cbranch_vccnz .LBB479_66
; %bb.61:
	s_cmp_lg_u32 s33, 0
	s_waitcnt lgkmcnt(0)
	s_mov_b32 s26, 0
	s_cbranch_scc0 .LBB479_67
; %bb.62:
	s_min_u32 s27, s54, 15
	s_add_i32 s27, s27, 1
	s_cmp_eq_u32 s54, 2
	s_cbranch_scc1 .LBB479_68
; %bb.63:
	s_and_b32 s26, s27, 28
	s_add_u32 s2, s34, 0xc4
	s_addc_u32 s3, s35, 0
	s_mov_b32 s28, 0
	v_mov_b32_e32 v12, 0
	v_mov_b32_e32 v14, 0
	s_mov_b64 s[24:25], s[34:35]
	v_mov_b32_e32 v5, v3
.LBB479_64:                             ; =>This Inner Loop Header: Depth=1
	s_load_dwordx8 s[12:19], s[24:25], 0x4
	s_load_dwordx4 s[20:23], s[24:25], 0x24
	s_load_dwordx8 s[4:11], s[2:3], 0x0
	s_add_u32 s24, s24, 48
	s_addc_u32 s25, s25, 0
	s_waitcnt lgkmcnt(0)
	v_mul_hi_u32 v1, s13, v5
	v_add_u32_e32 v1, v5, v1
	v_lshrrev_b32_e32 v1, s14, v1
	v_mul_lo_u32 v7, v1, s12
	v_mul_hi_u32 v9, s16, v1
	v_sub_u32_e32 v5, v5, v7
	v_add_u32_e32 v7, v1, v9
	v_lshrrev_b32_e32 v7, s17, v7
	v_mul_lo_u32 v11, v7, s15
	v_mul_hi_u32 v13, s19, v7
	v_sub_u32_e32 v1, v1, v11
	v_add_u32_e32 v11, v7, v13
	v_mul_lo_u32 v9, v5, s5
	v_mul_lo_u32 v5, v5, s4
	;; [unrolled: 1-line block ×4, first 2 shown]
	v_lshrrev_b32_e32 v11, s20, v11
	v_add3_u32 v1, v5, v12, v1
	v_mul_lo_u32 v5, v11, s18
	v_mul_hi_u32 v12, s22, v11
	v_sub_u32_e32 v5, v7, v5
	v_add_u32_e32 v7, v11, v12
	v_add3_u32 v9, v9, v14, v13
	v_mul_lo_u32 v12, v5, s8
	v_mul_lo_u32 v13, v5, s9
	v_lshrrev_b32_e32 v5, s23, v7
	s_add_i32 s28, s28, 4
	v_mul_lo_u32 v7, v5, s21
	s_add_u32 s2, s2, 32
	v_sub_u32_e32 v7, v11, v7
	s_addc_u32 s3, s3, 0
	v_mul_lo_u32 v11, v7, s10
	v_mul_lo_u32 v7, v7, s11
	s_cmp_lg_u32 s26, s28
	v_add3_u32 v14, v13, v9, v7
	v_add3_u32 v12, v12, v1, v11
	s_cbranch_scc1 .LBB479_64
; %bb.65:
	v_mov_b32_e32 v1, v14
	s_and_b32 s6, s27, 3
	s_cmp_eq_u32 s6, 0
	s_cbranch_scc0 .LBB479_69
	s_branch .LBB479_71
.LBB479_66:
                                        ; implicit-def: $vgpr14
                                        ; implicit-def: $vgpr12
	s_branch .LBB479_72
.LBB479_67:
	v_mov_b32_e32 v14, 0
	v_mov_b32_e32 v12, 0
	s_branch .LBB479_71
.LBB479_68:
	v_mov_b32_e32 v12, 0
                                        ; implicit-def: $vgpr14
	v_mov_b32_e32 v1, v12
	v_mov_b32_e32 v5, v3
	s_and_b32 s6, s27, 3
	s_cmp_eq_u32 s6, 0
	s_cbranch_scc1 .LBB479_71
.LBB479_69:
	s_lshl_b32 s2, s26, 3
	s_add_u32 s2, s34, s2
	s_addc_u32 s3, s35, 0
	s_add_u32 s2, s2, 0xc4
	s_addc_u32 s3, s3, 0
	s_mul_i32 s4, s26, 12
	s_add_u32 s4, s34, s4
	s_addc_u32 s5, s35, 0
.LBB479_70:                             ; =>This Inner Loop Header: Depth=1
	s_load_dwordx2 s[8:9], s[4:5], 0x4
	s_load_dword s7, s[4:5], 0xc
	s_load_dwordx2 s[10:11], s[2:3], 0x0
	v_mov_b32_e32 v14, v1
	s_add_u32 s4, s4, 12
	s_waitcnt lgkmcnt(0)
	v_mul_hi_u32 v1, s9, v5
	v_add_u32_e32 v1, v5, v1
	v_lshrrev_b32_e32 v1, s7, v1
	s_addc_u32 s5, s5, 0
	v_mul_lo_u32 v7, v1, s8
	s_add_u32 s2, s2, 8
	v_sub_u32_e32 v7, v5, v7
	s_addc_u32 s3, s3, 0
	s_add_i32 s6, s6, -1
	v_mad_u64_u32 v[14:15], s[8:9], v7, s11, v[14:15]
	s_cmp_lg_u32 s6, 0
	v_mov_b32_e32 v5, v1
	v_mad_u64_u32 v[12:13], s[8:9], v7, s10, v[12:13]
	v_mov_b32_e32 v1, v14
	s_cbranch_scc1 .LBB479_70
.LBB479_71:
	s_cbranch_execnz .LBB479_74
.LBB479_72:
	s_load_dwordx4 s[4:7], s[34:35], 0x4
	s_load_dwordx2 s[2:3], s[34:35], 0xc4
	s_cmp_lt_u32 s33, 2
	s_waitcnt lgkmcnt(0)
	v_mul_hi_u32 v1, s5, v3
	v_add_u32_e32 v1, v3, v1
	v_lshrrev_b32_e32 v1, s6, v1
	v_mul_lo_u32 v5, v1, s4
	v_sub_u32_e32 v3, v3, v5
	v_mul_lo_u32 v14, v3, s3
	v_mul_lo_u32 v12, v3, s2
	s_cbranch_scc1 .LBB479_74
; %bb.73:
	s_load_dwordx4 s[4:7], s[34:35], 0x10
	s_load_dwordx2 s[2:3], s[34:35], 0xcc
	s_waitcnt lgkmcnt(0)
	v_mul_hi_u32 v3, s5, v1
	v_add_u32_e32 v3, v1, v3
	v_lshrrev_b32_e32 v3, s6, v3
	v_mul_lo_u32 v3, v3, s4
	v_sub_u32_e32 v1, v1, v3
	v_mad_u64_u32 v[12:13], s[4:5], v1, s2, v[12:13]
	v_mad_u64_u32 v[14:15], s[2:3], v1, s3, v[14:15]
.LBB479_74:
	s_and_b64 vcc, exec, s[0:1]
	v_add_u32_e32 v3, 0x200, v24
	s_cbranch_vccnz .LBB479_80
; %bb.75:
	s_cmp_lg_u32 s33, 0
	s_waitcnt lgkmcnt(0)
	s_mov_b32 s26, 0
	s_cbranch_scc0 .LBB479_81
; %bb.76:
	s_min_u32 s27, s54, 15
	s_add_i32 s27, s27, 1
	s_cmp_eq_u32 s54, 2
	s_cbranch_scc1 .LBB479_82
; %bb.77:
	s_and_b32 s26, s27, 28
	s_add_u32 s2, s34, 0xc4
	s_addc_u32 s3, s35, 0
	s_mov_b32 s28, 0
	v_mov_b32_e32 v16, 0
	v_mov_b32_e32 v18, 0
	s_mov_b64 s[24:25], s[34:35]
	v_mov_b32_e32 v5, v3
.LBB479_78:                             ; =>This Inner Loop Header: Depth=1
	s_load_dwordx8 s[12:19], s[24:25], 0x4
	s_load_dwordx4 s[20:23], s[24:25], 0x24
	s_load_dwordx8 s[4:11], s[2:3], 0x0
	s_add_u32 s24, s24, 48
	s_addc_u32 s25, s25, 0
	s_waitcnt lgkmcnt(0)
	v_mul_hi_u32 v1, s13, v5
	v_add_u32_e32 v1, v5, v1
	v_lshrrev_b32_e32 v1, s14, v1
	v_mul_lo_u32 v7, v1, s12
	v_mul_hi_u32 v9, s16, v1
	v_sub_u32_e32 v5, v5, v7
	v_add_u32_e32 v7, v1, v9
	v_lshrrev_b32_e32 v7, s17, v7
	v_mul_lo_u32 v11, v7, s15
	v_mul_hi_u32 v13, s19, v7
	v_sub_u32_e32 v1, v1, v11
	v_add_u32_e32 v11, v7, v13
	v_mul_lo_u32 v9, v5, s5
	v_mul_lo_u32 v5, v5, s4
	;; [unrolled: 1-line block ×4, first 2 shown]
	v_lshrrev_b32_e32 v11, s20, v11
	v_add3_u32 v1, v5, v16, v1
	v_add3_u32 v9, v9, v18, v13
	v_mul_lo_u32 v5, v11, s18
	v_mul_hi_u32 v13, s22, v11
	v_sub_u32_e32 v5, v7, v5
	v_add_u32_e32 v7, v11, v13
	v_mul_lo_u32 v13, v5, s8
	v_mul_lo_u32 v15, v5, s9
	v_lshrrev_b32_e32 v5, s23, v7
	s_add_i32 s28, s28, 4
	v_mul_lo_u32 v7, v5, s21
	s_add_u32 s2, s2, 32
	v_sub_u32_e32 v7, v11, v7
	s_addc_u32 s3, s3, 0
	v_mul_lo_u32 v11, v7, s10
	v_mul_lo_u32 v7, v7, s11
	s_cmp_lg_u32 s26, s28
	v_add3_u32 v18, v15, v9, v7
	v_add3_u32 v16, v13, v1, v11
	s_cbranch_scc1 .LBB479_78
; %bb.79:
	v_mov_b32_e32 v1, v18
	s_and_b32 s6, s27, 3
	s_cmp_eq_u32 s6, 0
	s_cbranch_scc0 .LBB479_83
	s_branch .LBB479_85
.LBB479_80:
                                        ; implicit-def: $vgpr18
                                        ; implicit-def: $vgpr16
	s_branch .LBB479_86
.LBB479_81:
	v_mov_b32_e32 v18, 0
	v_mov_b32_e32 v16, 0
	s_branch .LBB479_85
.LBB479_82:
	v_mov_b32_e32 v16, 0
                                        ; implicit-def: $vgpr18
	v_mov_b32_e32 v1, v16
	v_mov_b32_e32 v5, v3
	s_and_b32 s6, s27, 3
	s_cmp_eq_u32 s6, 0
	s_cbranch_scc1 .LBB479_85
.LBB479_83:
	s_lshl_b32 s2, s26, 3
	s_add_u32 s2, s34, s2
	s_addc_u32 s3, s35, 0
	s_add_u32 s2, s2, 0xc4
	s_addc_u32 s3, s3, 0
	s_mul_i32 s4, s26, 12
	s_add_u32 s4, s34, s4
	s_addc_u32 s5, s35, 0
.LBB479_84:                             ; =>This Inner Loop Header: Depth=1
	s_load_dwordx2 s[8:9], s[4:5], 0x4
	s_load_dword s7, s[4:5], 0xc
	s_load_dwordx2 s[10:11], s[2:3], 0x0
	v_mov_b32_e32 v18, v1
	s_add_u32 s4, s4, 12
	s_waitcnt lgkmcnt(0)
	v_mul_hi_u32 v1, s9, v5
	v_add_u32_e32 v1, v5, v1
	v_lshrrev_b32_e32 v1, s7, v1
	s_addc_u32 s5, s5, 0
	v_mul_lo_u32 v7, v1, s8
	s_add_u32 s2, s2, 8
	v_sub_u32_e32 v7, v5, v7
	s_addc_u32 s3, s3, 0
	s_add_i32 s6, s6, -1
	v_mad_u64_u32 v[18:19], s[8:9], v7, s11, v[18:19]
	s_cmp_lg_u32 s6, 0
	v_mov_b32_e32 v5, v1
	v_mad_u64_u32 v[16:17], s[8:9], v7, s10, v[16:17]
	v_mov_b32_e32 v1, v18
	s_cbranch_scc1 .LBB479_84
.LBB479_85:
	s_cbranch_execnz .LBB479_88
.LBB479_86:
	s_load_dwordx4 s[4:7], s[34:35], 0x4
	s_load_dwordx2 s[2:3], s[34:35], 0xc4
	s_cmp_lt_u32 s33, 2
	s_waitcnt lgkmcnt(0)
	v_mul_hi_u32 v1, s5, v3
	v_add_u32_e32 v1, v3, v1
	v_lshrrev_b32_e32 v1, s6, v1
	v_mul_lo_u32 v5, v1, s4
	v_sub_u32_e32 v3, v3, v5
	v_mul_lo_u32 v18, v3, s3
	v_mul_lo_u32 v16, v3, s2
	s_cbranch_scc1 .LBB479_88
; %bb.87:
	s_load_dwordx4 s[4:7], s[34:35], 0x10
	s_load_dwordx2 s[2:3], s[34:35], 0xcc
	s_waitcnt lgkmcnt(0)
	v_mul_hi_u32 v3, s5, v1
	v_add_u32_e32 v3, v1, v3
	v_lshrrev_b32_e32 v3, s6, v3
	v_mul_lo_u32 v3, v3, s4
	v_sub_u32_e32 v1, v1, v3
	v_mad_u64_u32 v[16:17], s[4:5], v1, s2, v[16:17]
	v_mad_u64_u32 v[18:19], s[2:3], v1, s3, v[18:19]
.LBB479_88:
	s_and_b64 vcc, exec, s[0:1]
	v_add_u32_e32 v3, 0x280, v24
	s_cbranch_vccnz .LBB479_94
; %bb.89:
	s_cmp_lg_u32 s33, 0
	s_waitcnt lgkmcnt(0)
	s_mov_b32 s26, 0
	s_cbranch_scc0 .LBB479_95
; %bb.90:
	s_min_u32 s27, s54, 15
	s_add_i32 s27, s27, 1
	s_cmp_eq_u32 s54, 2
	s_cbranch_scc1 .LBB479_96
; %bb.91:
	s_and_b32 s26, s27, 28
	s_add_u32 s2, s34, 0xc4
	s_addc_u32 s3, s35, 0
	s_mov_b32 s28, 0
	v_mov_b32_e32 v20, 0
	v_mov_b32_e32 v22, 0
	s_mov_b64 s[24:25], s[34:35]
	v_mov_b32_e32 v5, v3
.LBB479_92:                             ; =>This Inner Loop Header: Depth=1
	s_load_dwordx8 s[12:19], s[24:25], 0x4
	s_load_dwordx4 s[20:23], s[24:25], 0x24
	s_load_dwordx8 s[4:11], s[2:3], 0x0
	s_add_u32 s24, s24, 48
	s_addc_u32 s25, s25, 0
	s_waitcnt lgkmcnt(0)
	v_mul_hi_u32 v1, s13, v5
	v_add_u32_e32 v1, v5, v1
	v_lshrrev_b32_e32 v1, s14, v1
	v_mul_lo_u32 v7, v1, s12
	v_mul_hi_u32 v9, s16, v1
	v_sub_u32_e32 v5, v5, v7
	v_add_u32_e32 v7, v1, v9
	v_lshrrev_b32_e32 v7, s17, v7
	v_mul_lo_u32 v11, v7, s15
	v_mul_hi_u32 v13, s19, v7
	v_sub_u32_e32 v1, v1, v11
	v_add_u32_e32 v11, v7, v13
	v_mul_lo_u32 v9, v5, s5
	v_mul_lo_u32 v5, v5, s4
	;; [unrolled: 1-line block ×4, first 2 shown]
	v_lshrrev_b32_e32 v11, s20, v11
	v_add3_u32 v1, v5, v20, v1
	v_add3_u32 v9, v9, v22, v13
	v_mul_lo_u32 v5, v11, s18
	v_mul_hi_u32 v13, s22, v11
	v_sub_u32_e32 v5, v7, v5
	v_add_u32_e32 v7, v11, v13
	v_mul_lo_u32 v13, v5, s8
	v_mul_lo_u32 v15, v5, s9
	v_lshrrev_b32_e32 v5, s23, v7
	s_add_i32 s28, s28, 4
	v_mul_lo_u32 v7, v5, s21
	s_add_u32 s2, s2, 32
	v_sub_u32_e32 v7, v11, v7
	s_addc_u32 s3, s3, 0
	v_mul_lo_u32 v11, v7, s10
	v_mul_lo_u32 v7, v7, s11
	s_cmp_lg_u32 s26, s28
	v_add3_u32 v22, v15, v9, v7
	v_add3_u32 v20, v13, v1, v11
	s_cbranch_scc1 .LBB479_92
; %bb.93:
	v_mov_b32_e32 v1, v22
	s_and_b32 s6, s27, 3
	s_cmp_eq_u32 s6, 0
	s_cbranch_scc0 .LBB479_97
	s_branch .LBB479_99
.LBB479_94:
                                        ; implicit-def: $vgpr22
                                        ; implicit-def: $vgpr20
	s_branch .LBB479_100
.LBB479_95:
	v_mov_b32_e32 v22, 0
	v_mov_b32_e32 v20, 0
	s_branch .LBB479_99
.LBB479_96:
	v_mov_b32_e32 v20, 0
                                        ; implicit-def: $vgpr22
	v_mov_b32_e32 v1, v20
	v_mov_b32_e32 v5, v3
	s_and_b32 s6, s27, 3
	s_cmp_eq_u32 s6, 0
	s_cbranch_scc1 .LBB479_99
.LBB479_97:
	s_lshl_b32 s2, s26, 3
	s_add_u32 s2, s34, s2
	s_addc_u32 s3, s35, 0
	s_add_u32 s2, s2, 0xc4
	s_addc_u32 s3, s3, 0
	s_mul_i32 s4, s26, 12
	s_add_u32 s4, s34, s4
	s_addc_u32 s5, s35, 0
.LBB479_98:                             ; =>This Inner Loop Header: Depth=1
	s_load_dwordx2 s[8:9], s[4:5], 0x4
	s_load_dword s7, s[4:5], 0xc
	s_load_dwordx2 s[10:11], s[2:3], 0x0
	v_mov_b32_e32 v22, v1
	s_add_u32 s4, s4, 12
	s_waitcnt lgkmcnt(0)
	v_mul_hi_u32 v1, s9, v5
	v_add_u32_e32 v1, v5, v1
	v_lshrrev_b32_e32 v1, s7, v1
	s_addc_u32 s5, s5, 0
	v_mul_lo_u32 v7, v1, s8
	s_add_u32 s2, s2, 8
	v_sub_u32_e32 v7, v5, v7
	s_addc_u32 s3, s3, 0
	s_add_i32 s6, s6, -1
	v_mad_u64_u32 v[22:23], s[8:9], v7, s11, v[22:23]
	s_cmp_lg_u32 s6, 0
	v_mov_b32_e32 v5, v1
	v_mad_u64_u32 v[20:21], s[8:9], v7, s10, v[20:21]
	v_mov_b32_e32 v1, v22
	s_cbranch_scc1 .LBB479_98
.LBB479_99:
	s_cbranch_execnz .LBB479_102
.LBB479_100:
	s_load_dwordx4 s[4:7], s[34:35], 0x4
	s_load_dwordx2 s[2:3], s[34:35], 0xc4
	s_cmp_lt_u32 s33, 2
	s_waitcnt lgkmcnt(0)
	v_mul_hi_u32 v1, s5, v3
	v_add_u32_e32 v1, v3, v1
	v_lshrrev_b32_e32 v1, s6, v1
	v_mul_lo_u32 v5, v1, s4
	v_sub_u32_e32 v3, v3, v5
	v_mul_lo_u32 v22, v3, s3
	v_mul_lo_u32 v20, v3, s2
	s_cbranch_scc1 .LBB479_102
; %bb.101:
	s_load_dwordx4 s[4:7], s[34:35], 0x10
	s_load_dwordx2 s[2:3], s[34:35], 0xcc
	s_waitcnt lgkmcnt(0)
	v_mul_hi_u32 v3, s5, v1
	v_add_u32_e32 v3, v1, v3
	v_lshrrev_b32_e32 v3, s6, v3
	v_mul_lo_u32 v3, v3, s4
	v_sub_u32_e32 v1, v1, v3
	v_mad_u64_u32 v[20:21], s[4:5], v1, s2, v[20:21]
	v_mad_u64_u32 v[22:23], s[2:3], v1, s3, v[22:23]
.LBB479_102:
	s_and_b64 vcc, exec, s[0:1]
	v_add_u32_e32 v3, 0x300, v24
	s_cbranch_vccnz .LBB479_108
; %bb.103:
	s_cmp_lg_u32 s33, 0
	s_waitcnt lgkmcnt(0)
	s_mov_b32 s26, 0
	s_cbranch_scc0 .LBB479_109
; %bb.104:
	s_min_u32 s27, s54, 15
	s_add_i32 s27, s27, 1
	s_cmp_eq_u32 s54, 2
	s_cbranch_scc1 .LBB479_110
; %bb.105:
	s_and_b32 s26, s27, 28
	s_add_u32 s2, s34, 0xc4
	s_addc_u32 s3, s35, 0
	s_mov_b32 s28, 0
	v_mov_b32_e32 v24, 0
	v_mov_b32_e32 v26, 0
	s_mov_b64 s[24:25], s[34:35]
	v_mov_b32_e32 v5, v3
.LBB479_106:                            ; =>This Inner Loop Header: Depth=1
	s_load_dwordx8 s[12:19], s[24:25], 0x4
	s_load_dwordx4 s[20:23], s[24:25], 0x24
	s_load_dwordx8 s[4:11], s[2:3], 0x0
	s_add_u32 s24, s24, 48
	s_addc_u32 s25, s25, 0
	s_waitcnt lgkmcnt(0)
	v_mul_hi_u32 v1, s13, v5
	v_add_u32_e32 v1, v5, v1
	v_lshrrev_b32_e32 v1, s14, v1
	v_mul_lo_u32 v7, v1, s12
	v_mul_hi_u32 v9, s16, v1
	v_sub_u32_e32 v5, v5, v7
	v_add_u32_e32 v7, v1, v9
	v_lshrrev_b32_e32 v7, s17, v7
	v_mul_lo_u32 v11, v7, s15
	v_mul_hi_u32 v13, s19, v7
	v_sub_u32_e32 v1, v1, v11
	v_add_u32_e32 v11, v7, v13
	v_mul_lo_u32 v9, v5, s5
	v_mul_lo_u32 v5, v5, s4
	;; [unrolled: 1-line block ×4, first 2 shown]
	v_lshrrev_b32_e32 v11, s20, v11
	v_add3_u32 v1, v5, v24, v1
	v_add3_u32 v9, v9, v26, v13
	v_mul_lo_u32 v5, v11, s18
	v_mul_hi_u32 v13, s22, v11
	v_sub_u32_e32 v5, v7, v5
	v_add_u32_e32 v7, v11, v13
	v_mul_lo_u32 v13, v5, s8
	v_mul_lo_u32 v15, v5, s9
	v_lshrrev_b32_e32 v5, s23, v7
	s_add_i32 s28, s28, 4
	v_mul_lo_u32 v7, v5, s21
	s_add_u32 s2, s2, 32
	v_sub_u32_e32 v7, v11, v7
	s_addc_u32 s3, s3, 0
	v_mul_lo_u32 v11, v7, s10
	v_mul_lo_u32 v7, v7, s11
	s_cmp_lg_u32 s26, s28
	v_add3_u32 v26, v15, v9, v7
	v_add3_u32 v24, v13, v1, v11
	s_cbranch_scc1 .LBB479_106
; %bb.107:
	v_mov_b32_e32 v1, v26
	s_and_b32 s6, s27, 3
	s_cmp_eq_u32 s6, 0
	s_cbranch_scc0 .LBB479_111
	s_branch .LBB479_113
.LBB479_108:
                                        ; implicit-def: $vgpr26
                                        ; implicit-def: $vgpr24
	s_branch .LBB479_114
.LBB479_109:
	v_mov_b32_e32 v26, 0
	v_mov_b32_e32 v24, 0
	s_branch .LBB479_113
.LBB479_110:
	v_mov_b32_e32 v24, 0
                                        ; implicit-def: $vgpr26
	v_mov_b32_e32 v1, v24
	v_mov_b32_e32 v5, v3
	s_and_b32 s6, s27, 3
	s_cmp_eq_u32 s6, 0
	s_cbranch_scc1 .LBB479_113
.LBB479_111:
	s_lshl_b32 s2, s26, 3
	s_add_u32 s2, s34, s2
	s_addc_u32 s3, s35, 0
	s_add_u32 s2, s2, 0xc4
	s_addc_u32 s3, s3, 0
	s_mul_i32 s4, s26, 12
	s_add_u32 s4, s34, s4
	s_addc_u32 s5, s35, 0
.LBB479_112:                            ; =>This Inner Loop Header: Depth=1
	s_load_dwordx2 s[8:9], s[4:5], 0x4
	s_load_dword s7, s[4:5], 0xc
	s_load_dwordx2 s[10:11], s[2:3], 0x0
	v_mov_b32_e32 v26, v1
	s_add_u32 s4, s4, 12
	s_waitcnt lgkmcnt(0)
	v_mul_hi_u32 v1, s9, v5
	v_add_u32_e32 v1, v5, v1
	v_lshrrev_b32_e32 v1, s7, v1
	s_addc_u32 s5, s5, 0
	v_mul_lo_u32 v7, v1, s8
	s_add_u32 s2, s2, 8
	v_sub_u32_e32 v7, v5, v7
	s_addc_u32 s3, s3, 0
	s_add_i32 s6, s6, -1
	v_mad_u64_u32 v[26:27], s[8:9], v7, s11, v[26:27]
	s_cmp_lg_u32 s6, 0
	v_mov_b32_e32 v5, v1
	v_mad_u64_u32 v[24:25], s[8:9], v7, s10, v[24:25]
	v_mov_b32_e32 v1, v26
	s_cbranch_scc1 .LBB479_112
.LBB479_113:
	s_cbranch_execnz .LBB479_116
.LBB479_114:
	s_load_dwordx4 s[4:7], s[34:35], 0x4
	s_load_dwordx2 s[2:3], s[34:35], 0xc4
	s_cmp_lt_u32 s33, 2
	s_waitcnt lgkmcnt(0)
	v_mul_hi_u32 v1, s5, v3
	v_add_u32_e32 v1, v3, v1
	v_lshrrev_b32_e32 v1, s6, v1
	v_mul_lo_u32 v5, v1, s4
	v_sub_u32_e32 v3, v3, v5
	v_mul_lo_u32 v26, v3, s3
	v_mul_lo_u32 v24, v3, s2
	s_cbranch_scc1 .LBB479_116
; %bb.115:
	s_load_dwordx4 s[4:7], s[34:35], 0x10
	s_load_dwordx2 s[2:3], s[34:35], 0xcc
	s_waitcnt lgkmcnt(0)
	v_mul_hi_u32 v3, s5, v1
	v_add_u32_e32 v3, v1, v3
	v_lshrrev_b32_e32 v3, s6, v3
	v_mul_lo_u32 v3, v3, s4
	v_sub_u32_e32 v1, v1, v3
	v_mad_u64_u32 v[24:25], s[4:5], v1, s2, v[24:25]
	v_mad_u64_u32 v[26:27], s[2:3], v1, s3, v[26:27]
.LBB479_116:
	s_and_b64 vcc, exec, s[0:1]
	s_cbranch_vccnz .LBB479_122
; %bb.117:
	s_cmp_lg_u32 s33, 0
	s_waitcnt lgkmcnt(0)
	s_mov_b32 s24, 0
	s_cbranch_scc0 .LBB479_123
; %bb.118:
	s_min_u32 s25, s54, 15
	s_add_i32 s25, s25, 1
	s_cmp_eq_u32 s54, 2
	s_cbranch_scc1 .LBB479_124
; %bb.119:
	s_and_b32 s24, s25, 28
	s_add_u32 s20, s34, 0xc4
	s_addc_u32 s21, s35, 0
	s_mov_b32 s26, 0
	v_mov_b32_e32 v28, 0
	v_mov_b32_e32 v30, 0
	s_mov_b64 s[22:23], s[34:35]
	v_mov_b32_e32 v3, v32
.LBB479_120:                            ; =>This Inner Loop Header: Depth=1
	s_load_dwordx8 s[8:15], s[22:23], 0x4
	s_load_dwordx4 s[16:19], s[22:23], 0x24
	s_load_dwordx8 s[0:7], s[20:21], 0x0
	s_add_u32 s22, s22, 48
	s_addc_u32 s23, s23, 0
	s_waitcnt lgkmcnt(0)
	v_mul_hi_u32 v1, s9, v3
	v_add_u32_e32 v1, v3, v1
	v_lshrrev_b32_e32 v1, s10, v1
	v_mul_lo_u32 v5, v1, s8
	v_mul_hi_u32 v7, s12, v1
	v_sub_u32_e32 v3, v3, v5
	v_add_u32_e32 v5, v1, v7
	v_lshrrev_b32_e32 v5, s13, v5
	v_mul_lo_u32 v9, v5, s11
	v_mul_hi_u32 v11, s15, v5
	v_sub_u32_e32 v1, v1, v9
	v_add_u32_e32 v9, v5, v11
	v_mul_lo_u32 v7, v3, s1
	v_mul_lo_u32 v3, v3, s0
	;; [unrolled: 1-line block ×4, first 2 shown]
	v_lshrrev_b32_e32 v9, s16, v9
	v_add3_u32 v1, v3, v28, v1
	v_add3_u32 v7, v7, v30, v11
	v_mul_lo_u32 v3, v9, s14
	v_mul_hi_u32 v11, s18, v9
	v_sub_u32_e32 v3, v5, v3
	v_add_u32_e32 v5, v9, v11
	v_mul_lo_u32 v11, v3, s4
	v_mul_lo_u32 v13, v3, s5
	v_lshrrev_b32_e32 v3, s19, v5
	s_add_i32 s26, s26, 4
	v_mul_lo_u32 v5, v3, s17
	s_add_u32 s20, s20, 32
	v_sub_u32_e32 v5, v9, v5
	s_addc_u32 s21, s21, 0
	v_mul_lo_u32 v9, v5, s6
	v_mul_lo_u32 v5, v5, s7
	s_cmp_lg_u32 s24, s26
	v_add3_u32 v30, v13, v7, v5
	v_add3_u32 v28, v11, v1, v9
	s_cbranch_scc1 .LBB479_120
; %bb.121:
	v_mov_b32_e32 v1, v30
	s_and_b32 s4, s25, 3
	s_cmp_eq_u32 s4, 0
	s_cbranch_scc0 .LBB479_125
	s_branch .LBB479_127
.LBB479_122:
                                        ; implicit-def: $vgpr30
                                        ; implicit-def: $vgpr28
	s_branch .LBB479_128
.LBB479_123:
	v_mov_b32_e32 v30, 0
	v_mov_b32_e32 v28, 0
	s_branch .LBB479_127
.LBB479_124:
	v_mov_b32_e32 v28, 0
                                        ; implicit-def: $vgpr30
	v_mov_b32_e32 v1, v28
	v_mov_b32_e32 v3, v32
	s_and_b32 s4, s25, 3
	s_cmp_eq_u32 s4, 0
	s_cbranch_scc1 .LBB479_127
.LBB479_125:
	s_lshl_b32 s0, s24, 3
	s_add_u32 s0, s34, s0
	s_addc_u32 s1, s35, 0
	s_add_u32 s0, s0, 0xc4
	s_addc_u32 s1, s1, 0
	s_mul_i32 s2, s24, 12
	s_add_u32 s2, s34, s2
	s_addc_u32 s3, s35, 0
.LBB479_126:                            ; =>This Inner Loop Header: Depth=1
	s_load_dwordx2 s[6:7], s[2:3], 0x4
	s_load_dword s5, s[2:3], 0xc
	s_load_dwordx2 s[8:9], s[0:1], 0x0
	v_mov_b32_e32 v30, v1
	s_add_u32 s2, s2, 12
	s_waitcnt lgkmcnt(0)
	v_mul_hi_u32 v1, s7, v3
	v_add_u32_e32 v1, v3, v1
	v_lshrrev_b32_e32 v1, s5, v1
	s_addc_u32 s3, s3, 0
	v_mul_lo_u32 v5, v1, s6
	s_add_u32 s0, s0, 8
	v_sub_u32_e32 v5, v3, v5
	s_addc_u32 s1, s1, 0
	s_add_i32 s4, s4, -1
	v_mad_u64_u32 v[30:31], s[6:7], v5, s9, v[30:31]
	s_cmp_lg_u32 s4, 0
	v_mov_b32_e32 v3, v1
	v_mad_u64_u32 v[28:29], s[6:7], v5, s8, v[28:29]
	v_mov_b32_e32 v1, v30
	s_cbranch_scc1 .LBB479_126
.LBB479_127:
	s_cbranch_execnz .LBB479_130
.LBB479_128:
	s_load_dwordx4 s[0:3], s[34:35], 0x4
	s_load_dwordx2 s[4:5], s[34:35], 0xc4
	s_cmp_lt_u32 s33, 2
	s_waitcnt lgkmcnt(0)
	v_mul_hi_u32 v1, s1, v32
	v_add_u32_e32 v1, v32, v1
	v_lshrrev_b32_e32 v1, s2, v1
	v_mul_lo_u32 v3, v1, s0
	v_sub_u32_e32 v3, v32, v3
	v_mul_lo_u32 v30, v3, s5
	v_mul_lo_u32 v28, v3, s4
	s_cbranch_scc1 .LBB479_130
; %bb.129:
	s_load_dwordx4 s[0:3], s[34:35], 0x10
	s_load_dwordx2 s[4:5], s[34:35], 0xcc
	s_waitcnt lgkmcnt(0)
	v_mul_hi_u32 v3, s1, v1
	v_add_u32_e32 v3, v1, v3
	v_lshrrev_b32_e32 v3, s2, v3
	v_mul_lo_u32 v3, v3, s0
	v_sub_u32_e32 v1, v1, v3
	v_mad_u64_u32 v[28:29], s[0:1], v1, s4, v[28:29]
	v_mad_u64_u32 v[30:31], s[0:1], v1, s5, v[30:31]
.LBB479_130:
	s_load_dwordx4 s[36:39], s[34:35], 0x148
	s_load_dword s28, s[34:35], 0x158
	s_waitcnt lgkmcnt(0)
	global_load_ushort v1, v2, s[38:39]
	global_load_ushort v3, v6, s[38:39]
	;; [unrolled: 1-line block ×8, first 2 shown]
	v_mov_b32_e32 v2, s28
	s_waitcnt vmcnt(7)
	v_cmp_u_f16_e32 vcc, v1, v1
	v_cmp_gt_f16_e64 s[0:1], s28, v1
	s_waitcnt vmcnt(6)
	v_cmp_u_f16_e64 s[2:3], v3, v3
	v_cmp_gt_f16_e64 s[4:5], s28, v3
	s_or_b64 vcc, vcc, s[0:1]
	s_waitcnt vmcnt(5)
	v_cmp_u_f16_e64 s[6:7], v5, v5
	v_cmp_gt_f16_e64 s[8:9], s28, v5
	v_cndmask_b32_e32 v1, v2, v1, vcc
	s_or_b64 vcc, s[2:3], s[4:5]
	s_waitcnt vmcnt(4)
	v_cmp_u_f16_e64 s[10:11], v7, v7
	v_cmp_gt_f16_e64 s[12:13], s28, v7
	v_cndmask_b32_e32 v3, v2, v3, vcc
	s_or_b64 vcc, s[6:7], s[8:9]
	;; [unrolled: 5-line block ×6, first 2 shown]
	v_cndmask_b32_e32 v10, v2, v13, vcc
	s_or_b64 vcc, s[26:27], s[28:29]
	v_cndmask_b32_e32 v2, v2, v15, vcc
	global_store_short v0, v1, s[36:37]
	global_store_short v4, v3, s[36:37]
	;; [unrolled: 1-line block ×8, first 2 shown]
	s_endpgm
.LBB479_131:
	v_mov_b32_e32 v2, 0
	v_mov_b32_e32 v0, 0
	s_branch .LBB479_137
.LBB479_132:
	v_mov_b32_e32 v2, 0
	v_mov_b32_e32 v0, 0
	s_branch .LBB479_154
.LBB479_133:
	v_mov_b32_e32 v0, 0
	s_mov_b32 s58, 0
	v_mov_b32_e32 v1, v0
                                        ; implicit-def: $vgpr2
	v_mov_b32_e32 v4, v24
.LBB479_134:
	s_and_b32 s4, s59, 3
	s_cmp_eq_u32 s4, 0
	s_cbranch_scc1 .LBB479_137
; %bb.135:
	s_lshl_b32 s0, s58, 3
	s_add_u32 s0, s34, s0
	s_addc_u32 s1, s35, 0
	s_add_u32 s0, s0, 0xc4
	s_addc_u32 s1, s1, 0
	s_mul_i32 s2, s58, 12
	s_add_u32 s2, s34, s2
	s_addc_u32 s3, s35, 0
.LBB479_136:                            ; =>This Inner Loop Header: Depth=1
	s_load_dwordx2 s[6:7], s[2:3], 0x4
	s_load_dword s5, s[2:3], 0xc
	s_load_dwordx2 s[8:9], s[0:1], 0x0
	v_mov_b32_e32 v2, v1
	s_add_u32 s2, s2, 12
	s_waitcnt lgkmcnt(0)
	v_mul_hi_u32 v1, s7, v4
	v_add_u32_e32 v1, v4, v1
	v_lshrrev_b32_e32 v1, s5, v1
	s_addc_u32 s3, s3, 0
	v_mul_lo_u32 v3, v1, s6
	s_add_u32 s0, s0, 8
	v_sub_u32_e32 v5, v4, v3
	s_addc_u32 s1, s1, 0
	s_add_i32 s4, s4, -1
	v_mov_b32_e32 v4, v1
	v_mad_u64_u32 v[2:3], s[6:7], v5, s9, v[2:3]
	v_mad_u64_u32 v[0:1], s[6:7], v5, s8, v[0:1]
	s_cmp_lg_u32 s4, 0
	v_mov_b32_e32 v1, v2
	s_cbranch_scc1 .LBB479_136
.LBB479_137:
	s_cbranch_execnz .LBB479_140
.LBB479_138:
	s_waitcnt lgkmcnt(0)
	v_mul_hi_u32 v0, s25, v24
	v_add_u32_e32 v0, v24, v0
	v_lshrrev_b32_e32 v1, s26, v0
	v_mul_lo_u32 v0, v1, s24
	v_sub_u32_e32 v0, v24, v0
	v_mul_lo_u32 v2, v0, s21
	s_andn2_b64 vcc, exec, s[42:43]
	v_mul_lo_u32 v0, v0, s20
	s_cbranch_vccnz .LBB479_140
; %bb.139:
	v_mul_hi_u32 v3, s40, v1
	v_add_u32_e32 v3, v1, v3
	v_lshrrev_b32_e32 v3, s41, v3
	v_mul_lo_u32 v3, v3, s27
	v_sub_u32_e32 v3, v1, v3
	v_mad_u64_u32 v[0:1], s[0:1], v3, s22, v[0:1]
	v_mad_u64_u32 v[2:3], s[0:1], v3, s23, v[2:3]
.LBB479_140:
	s_waitcnt lgkmcnt(0)
	global_load_ushort v1, v2, s[18:19]
	v_mov_b32_e32 v2, s55
	v_add_u32_e32 v24, 0x80, v24
	s_waitcnt vmcnt(0)
	v_cmp_u_f16_e32 vcc, v1, v1
	v_cmp_gt_f16_e64 s[0:1], s55, v1
	s_or_b64 vcc, vcc, s[0:1]
	v_cndmask_b32_e32 v1, v2, v1, vcc
	global_store_short v0, v1, s[16:17]
	s_or_b64 exec, exec, s[48:49]
	v_cmp_gt_i32_e32 vcc, s56, v24
	s_and_saveexec_b64 s[48:49], vcc
	s_cbranch_execnz .LBB479_16
.LBB479_141:
	s_or_b64 exec, exec, s[48:49]
	v_cmp_gt_i32_e32 vcc, s56, v24
	s_and_saveexec_b64 s[48:49], vcc
	s_cbranch_execz .LBB479_158
.LBB479_142:
	s_andn2_b64 vcc, exec, s[36:37]
	s_cbranch_vccnz .LBB479_148
; %bb.143:
	s_andn2_b64 vcc, exec, s[46:47]
	s_cbranch_vccnz .LBB479_149
; %bb.144:
	s_add_i32 s59, s57, 1
	s_cmp_eq_u32 s54, 2
	s_cbranch_scc1 .LBB479_167
; %bb.145:
	s_and_b32 s58, s59, 28
	s_mov_b32 s60, 0
	v_mov_b32_e32 v0, 0
	v_mov_b32_e32 v2, 0
	s_mov_b64 s[50:51], s[34:35]
	s_mov_b64 s[52:53], s[44:45]
	v_mov_b32_e32 v4, v24
.LBB479_146:                            ; =>This Inner Loop Header: Depth=1
	s_load_dwordx8 s[8:15], s[50:51], 0x4
	s_load_dwordx4 s[28:31], s[50:51], 0x24
	s_load_dwordx8 s[0:7], s[52:53], 0x0
	s_add_u32 s50, s50, 48
	s_addc_u32 s51, s51, 0
	s_waitcnt lgkmcnt(0)
	v_mul_hi_u32 v1, s9, v4
	v_add_u32_e32 v1, v4, v1
	v_lshrrev_b32_e32 v1, s10, v1
	v_mul_lo_u32 v3, v1, s8
	v_mul_hi_u32 v5, s12, v1
	v_sub_u32_e32 v3, v4, v3
	v_add_u32_e32 v4, v1, v5
	v_lshrrev_b32_e32 v4, s13, v4
	v_mul_lo_u32 v6, v4, s11
	v_mul_hi_u32 v7, s15, v4
	v_sub_u32_e32 v1, v1, v6
	v_add_u32_e32 v6, v4, v7
	v_mul_lo_u32 v5, v3, s1
	v_mul_lo_u32 v3, v3, s0
	;; [unrolled: 1-line block ×4, first 2 shown]
	v_lshrrev_b32_e32 v6, s28, v6
	v_add3_u32 v0, v3, v0, v1
	v_mul_hi_u32 v3, s30, v6
	v_add3_u32 v1, v5, v2, v7
	v_mul_lo_u32 v2, v6, s14
	v_add_u32_e32 v3, v6, v3
	v_sub_u32_e32 v2, v4, v2
	v_lshrrev_b32_e32 v4, s31, v3
	s_add_i32 s60, s60, 4
	v_mul_lo_u32 v3, v4, s29
	s_add_u32 s52, s52, 32
	v_sub_u32_e32 v3, v6, v3
	s_addc_u32 s53, s53, 0
	v_mul_lo_u32 v5, v2, s4
	v_mul_lo_u32 v2, v2, s5
	v_mul_lo_u32 v6, v3, s6
	v_mul_lo_u32 v3, v3, s7
	s_cmp_eq_u32 s58, s60
	v_add3_u32 v2, v2, v1, v3
	v_add3_u32 v0, v5, v0, v6
	s_cbranch_scc0 .LBB479_146
; %bb.147:
	v_mov_b32_e32 v1, v2
	s_branch .LBB479_168
.LBB479_148:
                                        ; implicit-def: $vgpr2
                                        ; implicit-def: $vgpr0
	s_branch .LBB479_172
.LBB479_149:
	v_mov_b32_e32 v2, 0
	v_mov_b32_e32 v0, 0
	s_branch .LBB479_171
.LBB479_150:
	v_mov_b32_e32 v0, 0
	s_mov_b32 s58, 0
	v_mov_b32_e32 v1, v0
                                        ; implicit-def: $vgpr2
	v_mov_b32_e32 v4, v24
.LBB479_151:
	s_and_b32 s4, s59, 3
	s_cmp_eq_u32 s4, 0
	s_cbranch_scc1 .LBB479_154
; %bb.152:
	s_lshl_b32 s0, s58, 3
	s_add_u32 s0, s34, s0
	s_addc_u32 s1, s35, 0
	s_add_u32 s0, s0, 0xc4
	s_addc_u32 s1, s1, 0
	s_mul_i32 s2, s58, 12
	s_add_u32 s2, s34, s2
	s_addc_u32 s3, s35, 0
.LBB479_153:                            ; =>This Inner Loop Header: Depth=1
	s_load_dwordx2 s[6:7], s[2:3], 0x4
	s_load_dword s5, s[2:3], 0xc
	s_load_dwordx2 s[8:9], s[0:1], 0x0
	v_mov_b32_e32 v2, v1
	s_add_u32 s2, s2, 12
	s_waitcnt lgkmcnt(0)
	v_mul_hi_u32 v1, s7, v4
	v_add_u32_e32 v1, v4, v1
	v_lshrrev_b32_e32 v1, s5, v1
	s_addc_u32 s3, s3, 0
	v_mul_lo_u32 v3, v1, s6
	s_add_u32 s0, s0, 8
	v_sub_u32_e32 v5, v4, v3
	s_addc_u32 s1, s1, 0
	s_add_i32 s4, s4, -1
	v_mov_b32_e32 v4, v1
	v_mad_u64_u32 v[2:3], s[6:7], v5, s9, v[2:3]
	v_mad_u64_u32 v[0:1], s[6:7], v5, s8, v[0:1]
	s_cmp_lg_u32 s4, 0
	v_mov_b32_e32 v1, v2
	s_cbranch_scc1 .LBB479_153
.LBB479_154:
	s_cbranch_execnz .LBB479_157
.LBB479_155:
	s_waitcnt lgkmcnt(0)
	v_mul_hi_u32 v0, s25, v24
	v_add_u32_e32 v0, v24, v0
	v_lshrrev_b32_e32 v1, s26, v0
	v_mul_lo_u32 v0, v1, s24
	v_sub_u32_e32 v0, v24, v0
	v_mul_lo_u32 v2, v0, s21
	s_andn2_b64 vcc, exec, s[42:43]
	v_mul_lo_u32 v0, v0, s20
	s_cbranch_vccnz .LBB479_157
; %bb.156:
	v_mul_hi_u32 v3, s40, v1
	v_add_u32_e32 v3, v1, v3
	v_lshrrev_b32_e32 v3, s41, v3
	v_mul_lo_u32 v3, v3, s27
	v_sub_u32_e32 v3, v1, v3
	v_mad_u64_u32 v[0:1], s[0:1], v3, s22, v[0:1]
	v_mad_u64_u32 v[2:3], s[0:1], v3, s23, v[2:3]
.LBB479_157:
	s_waitcnt lgkmcnt(0)
	global_load_ushort v1, v2, s[18:19]
	v_mov_b32_e32 v2, s55
	v_add_u32_e32 v24, 0x80, v24
	s_waitcnt vmcnt(0)
	v_cmp_u_f16_e32 vcc, v1, v1
	v_cmp_gt_f16_e64 s[0:1], s55, v1
	s_or_b64 vcc, vcc, s[0:1]
	v_cndmask_b32_e32 v1, v2, v1, vcc
	global_store_short v0, v1, s[16:17]
	s_or_b64 exec, exec, s[48:49]
	v_cmp_gt_i32_e32 vcc, s56, v24
	s_and_saveexec_b64 s[48:49], vcc
	s_cbranch_execnz .LBB479_142
.LBB479_158:
	s_or_b64 exec, exec, s[48:49]
	v_cmp_gt_i32_e32 vcc, s56, v24
	s_and_saveexec_b64 s[48:49], vcc
	s_cbranch_execz .LBB479_175
.LBB479_159:
	s_andn2_b64 vcc, exec, s[36:37]
	s_cbranch_vccnz .LBB479_165
; %bb.160:
	s_andn2_b64 vcc, exec, s[46:47]
	s_cbranch_vccnz .LBB479_166
; %bb.161:
	s_add_i32 s59, s57, 1
	s_cmp_eq_u32 s54, 2
	s_cbranch_scc1 .LBB479_184
; %bb.162:
	s_and_b32 s58, s59, 28
	s_mov_b32 s60, 0
	v_mov_b32_e32 v0, 0
	v_mov_b32_e32 v2, 0
	s_mov_b64 s[50:51], s[34:35]
	s_mov_b64 s[52:53], s[44:45]
	v_mov_b32_e32 v4, v24
.LBB479_163:                            ; =>This Inner Loop Header: Depth=1
	s_load_dwordx8 s[8:15], s[50:51], 0x4
	s_load_dwordx4 s[28:31], s[50:51], 0x24
	s_load_dwordx8 s[0:7], s[52:53], 0x0
	s_add_u32 s50, s50, 48
	s_addc_u32 s51, s51, 0
	s_waitcnt lgkmcnt(0)
	v_mul_hi_u32 v1, s9, v4
	v_add_u32_e32 v1, v4, v1
	v_lshrrev_b32_e32 v1, s10, v1
	v_mul_lo_u32 v3, v1, s8
	v_mul_hi_u32 v5, s12, v1
	v_sub_u32_e32 v3, v4, v3
	v_add_u32_e32 v4, v1, v5
	v_lshrrev_b32_e32 v4, s13, v4
	v_mul_lo_u32 v6, v4, s11
	v_mul_hi_u32 v7, s15, v4
	v_sub_u32_e32 v1, v1, v6
	v_add_u32_e32 v6, v4, v7
	v_mul_lo_u32 v5, v3, s1
	v_mul_lo_u32 v3, v3, s0
	v_mul_lo_u32 v7, v1, s3
	v_mul_lo_u32 v1, v1, s2
	v_lshrrev_b32_e32 v6, s28, v6
	v_add3_u32 v0, v3, v0, v1
	v_mul_hi_u32 v3, s30, v6
	v_add3_u32 v1, v5, v2, v7
	v_mul_lo_u32 v2, v6, s14
	v_add_u32_e32 v3, v6, v3
	v_sub_u32_e32 v2, v4, v2
	v_lshrrev_b32_e32 v4, s31, v3
	s_add_i32 s60, s60, 4
	v_mul_lo_u32 v3, v4, s29
	s_add_u32 s52, s52, 32
	v_sub_u32_e32 v3, v6, v3
	s_addc_u32 s53, s53, 0
	v_mul_lo_u32 v5, v2, s4
	v_mul_lo_u32 v2, v2, s5
	;; [unrolled: 1-line block ×4, first 2 shown]
	s_cmp_eq_u32 s58, s60
	v_add3_u32 v2, v2, v1, v3
	v_add3_u32 v0, v5, v0, v6
	s_cbranch_scc0 .LBB479_163
; %bb.164:
	v_mov_b32_e32 v1, v2
	s_branch .LBB479_185
.LBB479_165:
                                        ; implicit-def: $vgpr2
                                        ; implicit-def: $vgpr0
	s_branch .LBB479_189
.LBB479_166:
	v_mov_b32_e32 v2, 0
	v_mov_b32_e32 v0, 0
	s_branch .LBB479_188
.LBB479_167:
	v_mov_b32_e32 v0, 0
	s_mov_b32 s58, 0
	v_mov_b32_e32 v1, v0
                                        ; implicit-def: $vgpr2
	v_mov_b32_e32 v4, v24
.LBB479_168:
	s_and_b32 s4, s59, 3
	s_cmp_eq_u32 s4, 0
	s_cbranch_scc1 .LBB479_171
; %bb.169:
	s_lshl_b32 s0, s58, 3
	s_add_u32 s0, s34, s0
	s_addc_u32 s1, s35, 0
	s_add_u32 s0, s0, 0xc4
	s_addc_u32 s1, s1, 0
	s_mul_i32 s2, s58, 12
	s_add_u32 s2, s34, s2
	s_addc_u32 s3, s35, 0
.LBB479_170:                            ; =>This Inner Loop Header: Depth=1
	s_load_dwordx2 s[6:7], s[2:3], 0x4
	s_load_dword s5, s[2:3], 0xc
	s_load_dwordx2 s[8:9], s[0:1], 0x0
	v_mov_b32_e32 v2, v1
	s_add_u32 s2, s2, 12
	s_waitcnt lgkmcnt(0)
	v_mul_hi_u32 v1, s7, v4
	v_add_u32_e32 v1, v4, v1
	v_lshrrev_b32_e32 v1, s5, v1
	s_addc_u32 s3, s3, 0
	v_mul_lo_u32 v3, v1, s6
	s_add_u32 s0, s0, 8
	v_sub_u32_e32 v5, v4, v3
	s_addc_u32 s1, s1, 0
	s_add_i32 s4, s4, -1
	v_mov_b32_e32 v4, v1
	v_mad_u64_u32 v[2:3], s[6:7], v5, s9, v[2:3]
	v_mad_u64_u32 v[0:1], s[6:7], v5, s8, v[0:1]
	s_cmp_lg_u32 s4, 0
	v_mov_b32_e32 v1, v2
	s_cbranch_scc1 .LBB479_170
.LBB479_171:
	s_cbranch_execnz .LBB479_174
.LBB479_172:
	s_waitcnt lgkmcnt(0)
	v_mul_hi_u32 v0, s25, v24
	v_add_u32_e32 v0, v24, v0
	v_lshrrev_b32_e32 v1, s26, v0
	v_mul_lo_u32 v0, v1, s24
	v_sub_u32_e32 v0, v24, v0
	v_mul_lo_u32 v2, v0, s21
	s_andn2_b64 vcc, exec, s[42:43]
	v_mul_lo_u32 v0, v0, s20
	s_cbranch_vccnz .LBB479_174
; %bb.173:
	v_mul_hi_u32 v3, s40, v1
	v_add_u32_e32 v3, v1, v3
	v_lshrrev_b32_e32 v3, s41, v3
	v_mul_lo_u32 v3, v3, s27
	v_sub_u32_e32 v3, v1, v3
	v_mad_u64_u32 v[0:1], s[0:1], v3, s22, v[0:1]
	v_mad_u64_u32 v[2:3], s[0:1], v3, s23, v[2:3]
.LBB479_174:
	s_waitcnt lgkmcnt(0)
	global_load_ushort v1, v2, s[18:19]
	v_mov_b32_e32 v2, s55
	v_add_u32_e32 v24, 0x80, v24
	s_waitcnt vmcnt(0)
	v_cmp_u_f16_e32 vcc, v1, v1
	v_cmp_gt_f16_e64 s[0:1], s55, v1
	s_or_b64 vcc, vcc, s[0:1]
	v_cndmask_b32_e32 v1, v2, v1, vcc
	global_store_short v0, v1, s[16:17]
	s_or_b64 exec, exec, s[48:49]
	v_cmp_gt_i32_e32 vcc, s56, v24
	s_and_saveexec_b64 s[48:49], vcc
	s_cbranch_execnz .LBB479_159
.LBB479_175:
	s_or_b64 exec, exec, s[48:49]
	v_cmp_gt_i32_e32 vcc, s56, v24
	s_and_saveexec_b64 s[48:49], vcc
	s_cbranch_execz .LBB479_192
.LBB479_176:
	s_andn2_b64 vcc, exec, s[36:37]
	s_cbranch_vccnz .LBB479_182
; %bb.177:
	s_andn2_b64 vcc, exec, s[46:47]
	s_cbranch_vccnz .LBB479_183
; %bb.178:
	s_add_i32 s59, s57, 1
	s_cmp_eq_u32 s54, 2
	s_cbranch_scc1 .LBB479_201
; %bb.179:
	s_and_b32 s58, s59, 28
	s_mov_b32 s60, 0
	v_mov_b32_e32 v0, 0
	v_mov_b32_e32 v2, 0
	s_mov_b64 s[50:51], s[34:35]
	s_mov_b64 s[52:53], s[44:45]
	v_mov_b32_e32 v4, v24
.LBB479_180:                            ; =>This Inner Loop Header: Depth=1
	s_load_dwordx8 s[8:15], s[50:51], 0x4
	s_load_dwordx4 s[28:31], s[50:51], 0x24
	s_load_dwordx8 s[0:7], s[52:53], 0x0
	s_add_u32 s50, s50, 48
	s_addc_u32 s51, s51, 0
	s_waitcnt lgkmcnt(0)
	v_mul_hi_u32 v1, s9, v4
	v_add_u32_e32 v1, v4, v1
	v_lshrrev_b32_e32 v1, s10, v1
	v_mul_lo_u32 v3, v1, s8
	v_mul_hi_u32 v5, s12, v1
	v_sub_u32_e32 v3, v4, v3
	v_add_u32_e32 v4, v1, v5
	v_lshrrev_b32_e32 v4, s13, v4
	v_mul_lo_u32 v6, v4, s11
	v_mul_hi_u32 v7, s15, v4
	v_sub_u32_e32 v1, v1, v6
	v_add_u32_e32 v6, v4, v7
	v_mul_lo_u32 v5, v3, s1
	v_mul_lo_u32 v3, v3, s0
	;; [unrolled: 1-line block ×4, first 2 shown]
	v_lshrrev_b32_e32 v6, s28, v6
	v_add3_u32 v0, v3, v0, v1
	v_mul_hi_u32 v3, s30, v6
	v_add3_u32 v1, v5, v2, v7
	v_mul_lo_u32 v2, v6, s14
	v_add_u32_e32 v3, v6, v3
	v_sub_u32_e32 v2, v4, v2
	v_lshrrev_b32_e32 v4, s31, v3
	s_add_i32 s60, s60, 4
	v_mul_lo_u32 v3, v4, s29
	s_add_u32 s52, s52, 32
	v_sub_u32_e32 v3, v6, v3
	s_addc_u32 s53, s53, 0
	v_mul_lo_u32 v5, v2, s4
	v_mul_lo_u32 v2, v2, s5
	v_mul_lo_u32 v6, v3, s6
	v_mul_lo_u32 v3, v3, s7
	s_cmp_eq_u32 s58, s60
	v_add3_u32 v2, v2, v1, v3
	v_add3_u32 v0, v5, v0, v6
	s_cbranch_scc0 .LBB479_180
; %bb.181:
	v_mov_b32_e32 v1, v2
	s_branch .LBB479_202
.LBB479_182:
                                        ; implicit-def: $vgpr2
                                        ; implicit-def: $vgpr0
	s_branch .LBB479_206
.LBB479_183:
	v_mov_b32_e32 v2, 0
	v_mov_b32_e32 v0, 0
	s_branch .LBB479_205
.LBB479_184:
	v_mov_b32_e32 v0, 0
	s_mov_b32 s58, 0
	v_mov_b32_e32 v1, v0
                                        ; implicit-def: $vgpr2
	v_mov_b32_e32 v4, v24
.LBB479_185:
	s_and_b32 s4, s59, 3
	s_cmp_eq_u32 s4, 0
	s_cbranch_scc1 .LBB479_188
; %bb.186:
	s_lshl_b32 s0, s58, 3
	s_add_u32 s0, s34, s0
	s_addc_u32 s1, s35, 0
	s_add_u32 s0, s0, 0xc4
	s_addc_u32 s1, s1, 0
	s_mul_i32 s2, s58, 12
	s_add_u32 s2, s34, s2
	s_addc_u32 s3, s35, 0
.LBB479_187:                            ; =>This Inner Loop Header: Depth=1
	s_load_dwordx2 s[6:7], s[2:3], 0x4
	s_load_dword s5, s[2:3], 0xc
	s_load_dwordx2 s[8:9], s[0:1], 0x0
	v_mov_b32_e32 v2, v1
	s_add_u32 s2, s2, 12
	s_waitcnt lgkmcnt(0)
	v_mul_hi_u32 v1, s7, v4
	v_add_u32_e32 v1, v4, v1
	v_lshrrev_b32_e32 v1, s5, v1
	s_addc_u32 s3, s3, 0
	v_mul_lo_u32 v3, v1, s6
	s_add_u32 s0, s0, 8
	v_sub_u32_e32 v5, v4, v3
	s_addc_u32 s1, s1, 0
	s_add_i32 s4, s4, -1
	v_mov_b32_e32 v4, v1
	v_mad_u64_u32 v[2:3], s[6:7], v5, s9, v[2:3]
	v_mad_u64_u32 v[0:1], s[6:7], v5, s8, v[0:1]
	s_cmp_lg_u32 s4, 0
	v_mov_b32_e32 v1, v2
	s_cbranch_scc1 .LBB479_187
.LBB479_188:
	s_cbranch_execnz .LBB479_191
.LBB479_189:
	s_waitcnt lgkmcnt(0)
	v_mul_hi_u32 v0, s25, v24
	v_add_u32_e32 v0, v24, v0
	v_lshrrev_b32_e32 v1, s26, v0
	v_mul_lo_u32 v0, v1, s24
	v_sub_u32_e32 v0, v24, v0
	v_mul_lo_u32 v2, v0, s21
	s_andn2_b64 vcc, exec, s[42:43]
	v_mul_lo_u32 v0, v0, s20
	s_cbranch_vccnz .LBB479_191
; %bb.190:
	v_mul_hi_u32 v3, s40, v1
	v_add_u32_e32 v3, v1, v3
	v_lshrrev_b32_e32 v3, s41, v3
	v_mul_lo_u32 v3, v3, s27
	v_sub_u32_e32 v3, v1, v3
	v_mad_u64_u32 v[0:1], s[0:1], v3, s22, v[0:1]
	v_mad_u64_u32 v[2:3], s[0:1], v3, s23, v[2:3]
.LBB479_191:
	s_waitcnt lgkmcnt(0)
	global_load_ushort v1, v2, s[18:19]
	v_mov_b32_e32 v2, s55
	v_add_u32_e32 v24, 0x80, v24
	s_waitcnt vmcnt(0)
	v_cmp_u_f16_e32 vcc, v1, v1
	v_cmp_gt_f16_e64 s[0:1], s55, v1
	s_or_b64 vcc, vcc, s[0:1]
	v_cndmask_b32_e32 v1, v2, v1, vcc
	global_store_short v0, v1, s[16:17]
	s_or_b64 exec, exec, s[48:49]
	v_cmp_gt_i32_e32 vcc, s56, v24
	s_and_saveexec_b64 s[48:49], vcc
	s_cbranch_execnz .LBB479_176
.LBB479_192:
	s_or_b64 exec, exec, s[48:49]
	v_cmp_gt_i32_e32 vcc, s56, v24
	s_and_saveexec_b64 s[48:49], vcc
	s_cbranch_execz .LBB479_209
.LBB479_193:
	s_andn2_b64 vcc, exec, s[36:37]
	s_cbranch_vccnz .LBB479_199
; %bb.194:
	s_andn2_b64 vcc, exec, s[46:47]
	s_cbranch_vccnz .LBB479_200
; %bb.195:
	s_add_i32 s59, s57, 1
	s_cmp_eq_u32 s54, 2
	s_cbranch_scc1 .LBB479_218
; %bb.196:
	s_and_b32 s58, s59, 28
	s_mov_b32 s60, 0
	v_mov_b32_e32 v0, 0
	v_mov_b32_e32 v2, 0
	s_mov_b64 s[50:51], s[34:35]
	s_mov_b64 s[52:53], s[44:45]
	v_mov_b32_e32 v4, v24
.LBB479_197:                            ; =>This Inner Loop Header: Depth=1
	s_load_dwordx8 s[8:15], s[50:51], 0x4
	s_load_dwordx4 s[28:31], s[50:51], 0x24
	s_load_dwordx8 s[0:7], s[52:53], 0x0
	s_add_u32 s50, s50, 48
	s_addc_u32 s51, s51, 0
	s_waitcnt lgkmcnt(0)
	v_mul_hi_u32 v1, s9, v4
	v_add_u32_e32 v1, v4, v1
	v_lshrrev_b32_e32 v1, s10, v1
	v_mul_lo_u32 v3, v1, s8
	v_mul_hi_u32 v5, s12, v1
	v_sub_u32_e32 v3, v4, v3
	v_add_u32_e32 v4, v1, v5
	v_lshrrev_b32_e32 v4, s13, v4
	v_mul_lo_u32 v6, v4, s11
	v_mul_hi_u32 v7, s15, v4
	v_sub_u32_e32 v1, v1, v6
	v_add_u32_e32 v6, v4, v7
	v_mul_lo_u32 v5, v3, s1
	v_mul_lo_u32 v3, v3, s0
	;; [unrolled: 1-line block ×4, first 2 shown]
	v_lshrrev_b32_e32 v6, s28, v6
	v_add3_u32 v0, v3, v0, v1
	v_mul_hi_u32 v3, s30, v6
	v_add3_u32 v1, v5, v2, v7
	v_mul_lo_u32 v2, v6, s14
	v_add_u32_e32 v3, v6, v3
	v_sub_u32_e32 v2, v4, v2
	v_lshrrev_b32_e32 v4, s31, v3
	s_add_i32 s60, s60, 4
	v_mul_lo_u32 v3, v4, s29
	s_add_u32 s52, s52, 32
	v_sub_u32_e32 v3, v6, v3
	s_addc_u32 s53, s53, 0
	v_mul_lo_u32 v5, v2, s4
	v_mul_lo_u32 v2, v2, s5
	;; [unrolled: 1-line block ×4, first 2 shown]
	s_cmp_eq_u32 s58, s60
	v_add3_u32 v2, v2, v1, v3
	v_add3_u32 v0, v5, v0, v6
	s_cbranch_scc0 .LBB479_197
; %bb.198:
	v_mov_b32_e32 v1, v2
	s_branch .LBB479_219
.LBB479_199:
                                        ; implicit-def: $vgpr2
                                        ; implicit-def: $vgpr0
	s_branch .LBB479_223
.LBB479_200:
	v_mov_b32_e32 v2, 0
	v_mov_b32_e32 v0, 0
	s_branch .LBB479_222
.LBB479_201:
	v_mov_b32_e32 v0, 0
	s_mov_b32 s58, 0
	v_mov_b32_e32 v1, v0
                                        ; implicit-def: $vgpr2
	v_mov_b32_e32 v4, v24
.LBB479_202:
	s_and_b32 s4, s59, 3
	s_cmp_eq_u32 s4, 0
	s_cbranch_scc1 .LBB479_205
; %bb.203:
	s_lshl_b32 s0, s58, 3
	s_add_u32 s0, s34, s0
	s_addc_u32 s1, s35, 0
	s_add_u32 s0, s0, 0xc4
	s_addc_u32 s1, s1, 0
	s_mul_i32 s2, s58, 12
	s_add_u32 s2, s34, s2
	s_addc_u32 s3, s35, 0
.LBB479_204:                            ; =>This Inner Loop Header: Depth=1
	s_load_dwordx2 s[6:7], s[2:3], 0x4
	s_load_dword s5, s[2:3], 0xc
	s_load_dwordx2 s[8:9], s[0:1], 0x0
	v_mov_b32_e32 v2, v1
	s_add_u32 s2, s2, 12
	s_waitcnt lgkmcnt(0)
	v_mul_hi_u32 v1, s7, v4
	v_add_u32_e32 v1, v4, v1
	v_lshrrev_b32_e32 v1, s5, v1
	s_addc_u32 s3, s3, 0
	v_mul_lo_u32 v3, v1, s6
	s_add_u32 s0, s0, 8
	v_sub_u32_e32 v5, v4, v3
	s_addc_u32 s1, s1, 0
	s_add_i32 s4, s4, -1
	v_mov_b32_e32 v4, v1
	v_mad_u64_u32 v[2:3], s[6:7], v5, s9, v[2:3]
	v_mad_u64_u32 v[0:1], s[6:7], v5, s8, v[0:1]
	s_cmp_lg_u32 s4, 0
	v_mov_b32_e32 v1, v2
	s_cbranch_scc1 .LBB479_204
.LBB479_205:
	s_cbranch_execnz .LBB479_208
.LBB479_206:
	s_waitcnt lgkmcnt(0)
	v_mul_hi_u32 v0, s25, v24
	v_add_u32_e32 v0, v24, v0
	v_lshrrev_b32_e32 v1, s26, v0
	v_mul_lo_u32 v0, v1, s24
	v_sub_u32_e32 v0, v24, v0
	v_mul_lo_u32 v2, v0, s21
	s_andn2_b64 vcc, exec, s[42:43]
	v_mul_lo_u32 v0, v0, s20
	s_cbranch_vccnz .LBB479_208
; %bb.207:
	v_mul_hi_u32 v3, s40, v1
	v_add_u32_e32 v3, v1, v3
	v_lshrrev_b32_e32 v3, s41, v3
	v_mul_lo_u32 v3, v3, s27
	v_sub_u32_e32 v3, v1, v3
	v_mad_u64_u32 v[0:1], s[0:1], v3, s22, v[0:1]
	v_mad_u64_u32 v[2:3], s[0:1], v3, s23, v[2:3]
.LBB479_208:
	s_waitcnt lgkmcnt(0)
	global_load_ushort v1, v2, s[18:19]
	v_mov_b32_e32 v2, s55
	v_add_u32_e32 v24, 0x80, v24
	s_waitcnt vmcnt(0)
	v_cmp_u_f16_e32 vcc, v1, v1
	v_cmp_gt_f16_e64 s[0:1], s55, v1
	s_or_b64 vcc, vcc, s[0:1]
	v_cndmask_b32_e32 v1, v2, v1, vcc
	global_store_short v0, v1, s[16:17]
	s_or_b64 exec, exec, s[48:49]
	v_cmp_gt_i32_e32 vcc, s56, v24
	s_and_saveexec_b64 s[48:49], vcc
	s_cbranch_execnz .LBB479_193
.LBB479_209:
	s_or_b64 exec, exec, s[48:49]
	v_cmp_gt_i32_e32 vcc, s56, v24
	s_and_saveexec_b64 s[48:49], vcc
	s_cbranch_execz .LBB479_226
.LBB479_210:
	s_andn2_b64 vcc, exec, s[36:37]
	s_cbranch_vccnz .LBB479_216
; %bb.211:
	s_andn2_b64 vcc, exec, s[46:47]
	s_cbranch_vccnz .LBB479_217
; %bb.212:
	s_add_i32 s59, s57, 1
	s_cmp_eq_u32 s54, 2
	s_cbranch_scc1 .LBB479_229
; %bb.213:
	s_and_b32 s58, s59, 28
	s_mov_b32 s60, 0
	v_mov_b32_e32 v0, 0
	v_mov_b32_e32 v2, 0
	s_mov_b64 s[50:51], s[34:35]
	s_mov_b64 s[52:53], s[44:45]
	v_mov_b32_e32 v4, v24
.LBB479_214:                            ; =>This Inner Loop Header: Depth=1
	s_load_dwordx8 s[8:15], s[50:51], 0x4
	s_load_dwordx4 s[28:31], s[50:51], 0x24
	s_load_dwordx8 s[0:7], s[52:53], 0x0
	s_add_u32 s50, s50, 48
	s_addc_u32 s51, s51, 0
	s_waitcnt lgkmcnt(0)
	v_mul_hi_u32 v1, s9, v4
	v_add_u32_e32 v1, v4, v1
	v_lshrrev_b32_e32 v1, s10, v1
	v_mul_lo_u32 v3, v1, s8
	v_mul_hi_u32 v5, s12, v1
	v_sub_u32_e32 v3, v4, v3
	v_add_u32_e32 v4, v1, v5
	v_lshrrev_b32_e32 v4, s13, v4
	v_mul_lo_u32 v6, v4, s11
	v_mul_hi_u32 v7, s15, v4
	v_sub_u32_e32 v1, v1, v6
	v_add_u32_e32 v6, v4, v7
	v_mul_lo_u32 v5, v3, s1
	v_mul_lo_u32 v3, v3, s0
	;; [unrolled: 1-line block ×4, first 2 shown]
	v_lshrrev_b32_e32 v6, s28, v6
	v_add3_u32 v0, v3, v0, v1
	v_mul_hi_u32 v3, s30, v6
	v_add3_u32 v1, v5, v2, v7
	v_mul_lo_u32 v2, v6, s14
	v_add_u32_e32 v3, v6, v3
	v_sub_u32_e32 v2, v4, v2
	v_lshrrev_b32_e32 v4, s31, v3
	s_add_i32 s60, s60, 4
	v_mul_lo_u32 v3, v4, s29
	s_add_u32 s52, s52, 32
	v_sub_u32_e32 v3, v6, v3
	s_addc_u32 s53, s53, 0
	v_mul_lo_u32 v5, v2, s4
	v_mul_lo_u32 v2, v2, s5
	;; [unrolled: 1-line block ×4, first 2 shown]
	s_cmp_eq_u32 s58, s60
	v_add3_u32 v2, v2, v1, v3
	v_add3_u32 v0, v5, v0, v6
	s_cbranch_scc0 .LBB479_214
; %bb.215:
	v_mov_b32_e32 v1, v2
	s_branch .LBB479_230
.LBB479_216:
                                        ; implicit-def: $vgpr2
                                        ; implicit-def: $vgpr0
	s_branch .LBB479_234
.LBB479_217:
	v_mov_b32_e32 v2, 0
	v_mov_b32_e32 v0, 0
	s_branch .LBB479_233
.LBB479_218:
	v_mov_b32_e32 v0, 0
	s_mov_b32 s58, 0
	v_mov_b32_e32 v1, v0
                                        ; implicit-def: $vgpr2
	v_mov_b32_e32 v4, v24
.LBB479_219:
	s_and_b32 s4, s59, 3
	s_cmp_eq_u32 s4, 0
	s_cbranch_scc1 .LBB479_222
; %bb.220:
	s_lshl_b32 s0, s58, 3
	s_add_u32 s0, s34, s0
	s_addc_u32 s1, s35, 0
	s_add_u32 s0, s0, 0xc4
	s_addc_u32 s1, s1, 0
	s_mul_i32 s2, s58, 12
	s_add_u32 s2, s34, s2
	s_addc_u32 s3, s35, 0
.LBB479_221:                            ; =>This Inner Loop Header: Depth=1
	s_load_dwordx2 s[6:7], s[2:3], 0x4
	s_load_dword s5, s[2:3], 0xc
	s_load_dwordx2 s[8:9], s[0:1], 0x0
	v_mov_b32_e32 v2, v1
	s_add_u32 s2, s2, 12
	s_waitcnt lgkmcnt(0)
	v_mul_hi_u32 v1, s7, v4
	v_add_u32_e32 v1, v4, v1
	v_lshrrev_b32_e32 v1, s5, v1
	s_addc_u32 s3, s3, 0
	v_mul_lo_u32 v3, v1, s6
	s_add_u32 s0, s0, 8
	v_sub_u32_e32 v5, v4, v3
	s_addc_u32 s1, s1, 0
	s_add_i32 s4, s4, -1
	v_mov_b32_e32 v4, v1
	v_mad_u64_u32 v[2:3], s[6:7], v5, s9, v[2:3]
	v_mad_u64_u32 v[0:1], s[6:7], v5, s8, v[0:1]
	s_cmp_lg_u32 s4, 0
	v_mov_b32_e32 v1, v2
	s_cbranch_scc1 .LBB479_221
.LBB479_222:
	s_cbranch_execnz .LBB479_225
.LBB479_223:
	s_waitcnt lgkmcnt(0)
	v_mul_hi_u32 v0, s25, v24
	v_add_u32_e32 v0, v24, v0
	v_lshrrev_b32_e32 v1, s26, v0
	v_mul_lo_u32 v0, v1, s24
	v_sub_u32_e32 v0, v24, v0
	v_mul_lo_u32 v2, v0, s21
	s_andn2_b64 vcc, exec, s[42:43]
	v_mul_lo_u32 v0, v0, s20
	s_cbranch_vccnz .LBB479_225
; %bb.224:
	v_mul_hi_u32 v3, s40, v1
	v_add_u32_e32 v3, v1, v3
	v_lshrrev_b32_e32 v3, s41, v3
	v_mul_lo_u32 v3, v3, s27
	v_sub_u32_e32 v3, v1, v3
	v_mad_u64_u32 v[0:1], s[0:1], v3, s22, v[0:1]
	v_mad_u64_u32 v[2:3], s[0:1], v3, s23, v[2:3]
.LBB479_225:
	s_waitcnt lgkmcnt(0)
	global_load_ushort v1, v2, s[18:19]
	v_mov_b32_e32 v2, s55
	v_add_u32_e32 v24, 0x80, v24
	s_waitcnt vmcnt(0)
	v_cmp_u_f16_e32 vcc, v1, v1
	v_cmp_gt_f16_e64 s[0:1], s55, v1
	s_or_b64 vcc, vcc, s[0:1]
	v_cndmask_b32_e32 v1, v2, v1, vcc
	global_store_short v0, v1, s[16:17]
	s_or_b64 exec, exec, s[48:49]
	v_cmp_gt_i32_e32 vcc, s56, v24
	s_and_saveexec_b64 s[48:49], vcc
	s_cbranch_execnz .LBB479_210
.LBB479_226:
	s_or_b64 exec, exec, s[48:49]
	v_cmp_gt_i32_e32 vcc, s56, v24
	s_and_saveexec_b64 s[48:49], vcc
	s_cbranch_execnz .LBB479_237
.LBB479_227:
	s_or_b64 exec, exec, s[48:49]
                                        ; implicit-def: $vgpr32
                                        ; implicit-def: $vgpr24
	s_andn2_saveexec_b64 s[0:1], s[38:39]
	s_cbranch_execnz .LBB479_9
.LBB479_228:
	s_endpgm
.LBB479_229:
	v_mov_b32_e32 v0, 0
	s_mov_b32 s58, 0
	v_mov_b32_e32 v1, v0
                                        ; implicit-def: $vgpr2
	v_mov_b32_e32 v4, v24
.LBB479_230:
	s_and_b32 s4, s59, 3
	s_cmp_eq_u32 s4, 0
	s_cbranch_scc1 .LBB479_233
; %bb.231:
	s_lshl_b32 s0, s58, 3
	s_add_u32 s0, s34, s0
	s_addc_u32 s1, s35, 0
	s_add_u32 s0, s0, 0xc4
	s_addc_u32 s1, s1, 0
	s_mul_i32 s2, s58, 12
	s_add_u32 s2, s34, s2
	s_addc_u32 s3, s35, 0
.LBB479_232:                            ; =>This Inner Loop Header: Depth=1
	s_load_dwordx2 s[6:7], s[2:3], 0x4
	s_load_dword s5, s[2:3], 0xc
	s_load_dwordx2 s[8:9], s[0:1], 0x0
	v_mov_b32_e32 v2, v1
	s_add_u32 s2, s2, 12
	s_waitcnt lgkmcnt(0)
	v_mul_hi_u32 v1, s7, v4
	v_add_u32_e32 v1, v4, v1
	v_lshrrev_b32_e32 v1, s5, v1
	s_addc_u32 s3, s3, 0
	v_mul_lo_u32 v3, v1, s6
	s_add_u32 s0, s0, 8
	v_sub_u32_e32 v5, v4, v3
	s_addc_u32 s1, s1, 0
	s_add_i32 s4, s4, -1
	v_mov_b32_e32 v4, v1
	v_mad_u64_u32 v[2:3], s[6:7], v5, s9, v[2:3]
	v_mad_u64_u32 v[0:1], s[6:7], v5, s8, v[0:1]
	s_cmp_lg_u32 s4, 0
	v_mov_b32_e32 v1, v2
	s_cbranch_scc1 .LBB479_232
.LBB479_233:
	s_cbranch_execnz .LBB479_236
.LBB479_234:
	s_waitcnt lgkmcnt(0)
	v_mul_hi_u32 v0, s25, v24
	v_add_u32_e32 v0, v24, v0
	v_lshrrev_b32_e32 v1, s26, v0
	v_mul_lo_u32 v0, v1, s24
	v_sub_u32_e32 v0, v24, v0
	v_mul_lo_u32 v2, v0, s21
	s_andn2_b64 vcc, exec, s[42:43]
	v_mul_lo_u32 v0, v0, s20
	s_cbranch_vccnz .LBB479_236
; %bb.235:
	v_mul_hi_u32 v3, s40, v1
	v_add_u32_e32 v3, v1, v3
	v_lshrrev_b32_e32 v3, s41, v3
	v_mul_lo_u32 v3, v3, s27
	v_sub_u32_e32 v3, v1, v3
	v_mad_u64_u32 v[0:1], s[0:1], v3, s22, v[0:1]
	v_mad_u64_u32 v[2:3], s[0:1], v3, s23, v[2:3]
.LBB479_236:
	s_waitcnt lgkmcnt(0)
	global_load_ushort v1, v2, s[18:19]
	v_mov_b32_e32 v2, s55
	v_add_u32_e32 v24, 0x80, v24
	s_waitcnt vmcnt(0)
	v_cmp_u_f16_e32 vcc, v1, v1
	v_cmp_gt_f16_e64 s[0:1], s55, v1
	s_or_b64 vcc, vcc, s[0:1]
	v_cndmask_b32_e32 v1, v2, v1, vcc
	global_store_short v0, v1, s[16:17]
	s_or_b64 exec, exec, s[48:49]
	v_cmp_gt_i32_e32 vcc, s56, v24
	s_and_saveexec_b64 s[48:49], vcc
	s_cbranch_execz .LBB479_227
.LBB479_237:
	s_andn2_b64 vcc, exec, s[36:37]
	s_cbranch_vccnz .LBB479_243
; %bb.238:
	s_andn2_b64 vcc, exec, s[46:47]
	s_cbranch_vccnz .LBB479_244
; %bb.239:
	s_add_i32 s57, s57, 1
	s_cmp_eq_u32 s54, 2
	s_cbranch_scc1 .LBB479_245
; %bb.240:
	s_and_b32 s50, s57, 28
	s_mov_b32 s51, 0
	v_mov_b32_e32 v0, 0
	v_mov_b32_e32 v2, 0
	s_mov_b64 s[46:47], s[34:35]
	v_mov_b32_e32 v4, v24
.LBB479_241:                            ; =>This Inner Loop Header: Depth=1
	s_load_dwordx8 s[8:15], s[46:47], 0x4
	s_load_dwordx4 s[28:31], s[46:47], 0x24
	s_load_dwordx8 s[0:7], s[44:45], 0x0
	s_add_u32 s46, s46, 48
	s_addc_u32 s47, s47, 0
	s_waitcnt lgkmcnt(0)
	v_mul_hi_u32 v1, s9, v4
	v_add_u32_e32 v1, v4, v1
	v_lshrrev_b32_e32 v1, s10, v1
	v_mul_lo_u32 v3, v1, s8
	v_mul_hi_u32 v5, s12, v1
	v_sub_u32_e32 v3, v4, v3
	v_add_u32_e32 v4, v1, v5
	v_lshrrev_b32_e32 v4, s13, v4
	v_mul_lo_u32 v6, v4, s11
	v_mul_hi_u32 v7, s15, v4
	v_sub_u32_e32 v1, v1, v6
	v_add_u32_e32 v6, v4, v7
	v_mul_lo_u32 v5, v3, s1
	v_mul_lo_u32 v3, v3, s0
	;; [unrolled: 1-line block ×4, first 2 shown]
	v_lshrrev_b32_e32 v6, s28, v6
	v_add3_u32 v0, v3, v0, v1
	v_mul_hi_u32 v3, s30, v6
	v_add3_u32 v1, v5, v2, v7
	v_mul_lo_u32 v2, v6, s14
	v_add_u32_e32 v3, v6, v3
	v_sub_u32_e32 v2, v4, v2
	v_lshrrev_b32_e32 v4, s31, v3
	s_add_i32 s51, s51, 4
	v_mul_lo_u32 v3, v4, s29
	s_add_u32 s44, s44, 32
	v_sub_u32_e32 v3, v6, v3
	s_addc_u32 s45, s45, 0
	v_mul_lo_u32 v5, v2, s4
	v_mul_lo_u32 v2, v2, s5
	;; [unrolled: 1-line block ×4, first 2 shown]
	s_cmp_eq_u32 s50, s51
	v_add3_u32 v2, v2, v1, v3
	v_add3_u32 v0, v5, v0, v6
	s_cbranch_scc0 .LBB479_241
; %bb.242:
	v_mov_b32_e32 v1, v2
	s_branch .LBB479_246
.LBB479_243:
                                        ; implicit-def: $vgpr2
                                        ; implicit-def: $vgpr0
	s_branch .LBB479_250
.LBB479_244:
	v_mov_b32_e32 v2, 0
	v_mov_b32_e32 v0, 0
	s_branch .LBB479_249
.LBB479_245:
	v_mov_b32_e32 v0, 0
	s_mov_b32 s50, 0
	v_mov_b32_e32 v1, v0
                                        ; implicit-def: $vgpr2
	v_mov_b32_e32 v4, v24
.LBB479_246:
	s_and_b32 s4, s57, 3
	s_cmp_eq_u32 s4, 0
	s_cbranch_scc1 .LBB479_249
; %bb.247:
	s_lshl_b32 s0, s50, 3
	s_add_u32 s0, s34, s0
	s_addc_u32 s1, s35, 0
	s_add_u32 s0, s0, 0xc4
	s_addc_u32 s1, s1, 0
	s_mul_i32 s2, s50, 12
	s_add_u32 s2, s34, s2
	s_addc_u32 s3, s35, 0
.LBB479_248:                            ; =>This Inner Loop Header: Depth=1
	s_load_dwordx2 s[6:7], s[2:3], 0x4
	s_load_dword s5, s[2:3], 0xc
	s_load_dwordx2 s[8:9], s[0:1], 0x0
	v_mov_b32_e32 v2, v1
	s_add_u32 s2, s2, 12
	s_waitcnt lgkmcnt(0)
	v_mul_hi_u32 v1, s7, v4
	v_add_u32_e32 v1, v4, v1
	v_lshrrev_b32_e32 v1, s5, v1
	s_addc_u32 s3, s3, 0
	v_mul_lo_u32 v3, v1, s6
	s_add_u32 s0, s0, 8
	v_sub_u32_e32 v5, v4, v3
	s_addc_u32 s1, s1, 0
	s_add_i32 s4, s4, -1
	v_mov_b32_e32 v4, v1
	v_mad_u64_u32 v[2:3], s[6:7], v5, s9, v[2:3]
	v_mad_u64_u32 v[0:1], s[6:7], v5, s8, v[0:1]
	s_cmp_lg_u32 s4, 0
	v_mov_b32_e32 v1, v2
	s_cbranch_scc1 .LBB479_248
.LBB479_249:
	s_cbranch_execnz .LBB479_252
.LBB479_250:
	s_waitcnt lgkmcnt(0)
	v_mul_hi_u32 v0, s25, v24
	v_add_u32_e32 v0, v24, v0
	v_lshrrev_b32_e32 v1, s26, v0
	v_mul_lo_u32 v0, v1, s24
	v_sub_u32_e32 v0, v24, v0
	v_mul_lo_u32 v2, v0, s21
	s_andn2_b64 vcc, exec, s[42:43]
	v_mul_lo_u32 v0, v0, s20
	s_cbranch_vccnz .LBB479_252
; %bb.251:
	v_mul_hi_u32 v3, s40, v1
	v_add_u32_e32 v3, v1, v3
	v_lshrrev_b32_e32 v3, s41, v3
	v_mul_lo_u32 v3, v3, s27
	v_sub_u32_e32 v3, v1, v3
	v_mad_u64_u32 v[0:1], s[0:1], v3, s22, v[0:1]
	v_mad_u64_u32 v[2:3], s[0:1], v3, s23, v[2:3]
.LBB479_252:
	s_waitcnt lgkmcnt(0)
	global_load_ushort v1, v2, s[18:19]
	v_mov_b32_e32 v2, s55
	s_waitcnt vmcnt(0)
	v_cmp_u_f16_e32 vcc, v1, v1
	v_cmp_gt_f16_e64 s[0:1], s55, v1
	s_or_b64 vcc, vcc, s[0:1]
	v_cndmask_b32_e32 v1, v2, v1, vcc
	global_store_short v0, v1, s[16:17]
	s_or_b64 exec, exec, s[48:49]
                                        ; implicit-def: $vgpr32
                                        ; implicit-def: $vgpr24
	s_andn2_saveexec_b64 s[0:1], s[38:39]
	s_cbranch_execz .LBB479_228
	s_branch .LBB479_9
	.section	.rodata,"a",@progbits
	.p2align	6, 0x0
	.amdhsa_kernel _ZN2at6native32elementwise_kernel_manual_unrollILi128ELi8EZNS0_22gpu_kernel_impl_nocastIZZZNS0_21clamp_max_kernel_cudaERNS_18TensorIteratorBaseERKN3c106ScalarEENKUlvE_clEvENKUlvE6_clEvEUlNS5_4HalfEE_EEvS4_RKT_EUlibE_EEviT1_
		.amdhsa_group_segment_fixed_size 0
		.amdhsa_private_segment_fixed_size 0
		.amdhsa_kernarg_size 360
		.amdhsa_user_sgpr_count 2
		.amdhsa_user_sgpr_dispatch_ptr 0
		.amdhsa_user_sgpr_queue_ptr 0
		.amdhsa_user_sgpr_kernarg_segment_ptr 1
		.amdhsa_user_sgpr_dispatch_id 0
		.amdhsa_user_sgpr_kernarg_preload_length 0
		.amdhsa_user_sgpr_kernarg_preload_offset 0
		.amdhsa_user_sgpr_private_segment_size 0
		.amdhsa_uses_dynamic_stack 0
		.amdhsa_enable_private_segment 0
		.amdhsa_system_sgpr_workgroup_id_x 1
		.amdhsa_system_sgpr_workgroup_id_y 0
		.amdhsa_system_sgpr_workgroup_id_z 0
		.amdhsa_system_sgpr_workgroup_info 0
		.amdhsa_system_vgpr_workitem_id 0
		.amdhsa_next_free_vgpr 33
		.amdhsa_next_free_sgpr 61
		.amdhsa_accum_offset 36
		.amdhsa_reserve_vcc 1
		.amdhsa_float_round_mode_32 0
		.amdhsa_float_round_mode_16_64 0
		.amdhsa_float_denorm_mode_32 3
		.amdhsa_float_denorm_mode_16_64 3
		.amdhsa_dx10_clamp 1
		.amdhsa_ieee_mode 1
		.amdhsa_fp16_overflow 0
		.amdhsa_tg_split 0
		.amdhsa_exception_fp_ieee_invalid_op 0
		.amdhsa_exception_fp_denorm_src 0
		.amdhsa_exception_fp_ieee_div_zero 0
		.amdhsa_exception_fp_ieee_overflow 0
		.amdhsa_exception_fp_ieee_underflow 0
		.amdhsa_exception_fp_ieee_inexact 0
		.amdhsa_exception_int_div_zero 0
	.end_amdhsa_kernel
	.section	.text._ZN2at6native32elementwise_kernel_manual_unrollILi128ELi8EZNS0_22gpu_kernel_impl_nocastIZZZNS0_21clamp_max_kernel_cudaERNS_18TensorIteratorBaseERKN3c106ScalarEENKUlvE_clEvENKUlvE6_clEvEUlNS5_4HalfEE_EEvS4_RKT_EUlibE_EEviT1_,"axG",@progbits,_ZN2at6native32elementwise_kernel_manual_unrollILi128ELi8EZNS0_22gpu_kernel_impl_nocastIZZZNS0_21clamp_max_kernel_cudaERNS_18TensorIteratorBaseERKN3c106ScalarEENKUlvE_clEvENKUlvE6_clEvEUlNS5_4HalfEE_EEvS4_RKT_EUlibE_EEviT1_,comdat
.Lfunc_end479:
	.size	_ZN2at6native32elementwise_kernel_manual_unrollILi128ELi8EZNS0_22gpu_kernel_impl_nocastIZZZNS0_21clamp_max_kernel_cudaERNS_18TensorIteratorBaseERKN3c106ScalarEENKUlvE_clEvENKUlvE6_clEvEUlNS5_4HalfEE_EEvS4_RKT_EUlibE_EEviT1_, .Lfunc_end479-_ZN2at6native32elementwise_kernel_manual_unrollILi128ELi8EZNS0_22gpu_kernel_impl_nocastIZZZNS0_21clamp_max_kernel_cudaERNS_18TensorIteratorBaseERKN3c106ScalarEENKUlvE_clEvENKUlvE6_clEvEUlNS5_4HalfEE_EEvS4_RKT_EUlibE_EEviT1_
                                        ; -- End function
	.set _ZN2at6native32elementwise_kernel_manual_unrollILi128ELi8EZNS0_22gpu_kernel_impl_nocastIZZZNS0_21clamp_max_kernel_cudaERNS_18TensorIteratorBaseERKN3c106ScalarEENKUlvE_clEvENKUlvE6_clEvEUlNS5_4HalfEE_EEvS4_RKT_EUlibE_EEviT1_.num_vgpr, 33
	.set _ZN2at6native32elementwise_kernel_manual_unrollILi128ELi8EZNS0_22gpu_kernel_impl_nocastIZZZNS0_21clamp_max_kernel_cudaERNS_18TensorIteratorBaseERKN3c106ScalarEENKUlvE_clEvENKUlvE6_clEvEUlNS5_4HalfEE_EEvS4_RKT_EUlibE_EEviT1_.num_agpr, 0
	.set _ZN2at6native32elementwise_kernel_manual_unrollILi128ELi8EZNS0_22gpu_kernel_impl_nocastIZZZNS0_21clamp_max_kernel_cudaERNS_18TensorIteratorBaseERKN3c106ScalarEENKUlvE_clEvENKUlvE6_clEvEUlNS5_4HalfEE_EEvS4_RKT_EUlibE_EEviT1_.numbered_sgpr, 61
	.set _ZN2at6native32elementwise_kernel_manual_unrollILi128ELi8EZNS0_22gpu_kernel_impl_nocastIZZZNS0_21clamp_max_kernel_cudaERNS_18TensorIteratorBaseERKN3c106ScalarEENKUlvE_clEvENKUlvE6_clEvEUlNS5_4HalfEE_EEvS4_RKT_EUlibE_EEviT1_.num_named_barrier, 0
	.set _ZN2at6native32elementwise_kernel_manual_unrollILi128ELi8EZNS0_22gpu_kernel_impl_nocastIZZZNS0_21clamp_max_kernel_cudaERNS_18TensorIteratorBaseERKN3c106ScalarEENKUlvE_clEvENKUlvE6_clEvEUlNS5_4HalfEE_EEvS4_RKT_EUlibE_EEviT1_.private_seg_size, 0
	.set _ZN2at6native32elementwise_kernel_manual_unrollILi128ELi8EZNS0_22gpu_kernel_impl_nocastIZZZNS0_21clamp_max_kernel_cudaERNS_18TensorIteratorBaseERKN3c106ScalarEENKUlvE_clEvENKUlvE6_clEvEUlNS5_4HalfEE_EEvS4_RKT_EUlibE_EEviT1_.uses_vcc, 1
	.set _ZN2at6native32elementwise_kernel_manual_unrollILi128ELi8EZNS0_22gpu_kernel_impl_nocastIZZZNS0_21clamp_max_kernel_cudaERNS_18TensorIteratorBaseERKN3c106ScalarEENKUlvE_clEvENKUlvE6_clEvEUlNS5_4HalfEE_EEvS4_RKT_EUlibE_EEviT1_.uses_flat_scratch, 0
	.set _ZN2at6native32elementwise_kernel_manual_unrollILi128ELi8EZNS0_22gpu_kernel_impl_nocastIZZZNS0_21clamp_max_kernel_cudaERNS_18TensorIteratorBaseERKN3c106ScalarEENKUlvE_clEvENKUlvE6_clEvEUlNS5_4HalfEE_EEvS4_RKT_EUlibE_EEviT1_.has_dyn_sized_stack, 0
	.set _ZN2at6native32elementwise_kernel_manual_unrollILi128ELi8EZNS0_22gpu_kernel_impl_nocastIZZZNS0_21clamp_max_kernel_cudaERNS_18TensorIteratorBaseERKN3c106ScalarEENKUlvE_clEvENKUlvE6_clEvEUlNS5_4HalfEE_EEvS4_RKT_EUlibE_EEviT1_.has_recursion, 0
	.set _ZN2at6native32elementwise_kernel_manual_unrollILi128ELi8EZNS0_22gpu_kernel_impl_nocastIZZZNS0_21clamp_max_kernel_cudaERNS_18TensorIteratorBaseERKN3c106ScalarEENKUlvE_clEvENKUlvE6_clEvEUlNS5_4HalfEE_EEvS4_RKT_EUlibE_EEviT1_.has_indirect_call, 0
	.section	.AMDGPU.csdata,"",@progbits
; Kernel info:
; codeLenInByte = 11792
; TotalNumSgprs: 67
; NumVgprs: 33
; NumAgprs: 0
; TotalNumVgprs: 33
; ScratchSize: 0
; MemoryBound: 0
; FloatMode: 240
; IeeeMode: 1
; LDSByteSize: 0 bytes/workgroup (compile time only)
; SGPRBlocks: 8
; VGPRBlocks: 4
; NumSGPRsForWavesPerEU: 67
; NumVGPRsForWavesPerEU: 33
; AccumOffset: 36
; Occupancy: 8
; WaveLimiterHint : 1
; COMPUTE_PGM_RSRC2:SCRATCH_EN: 0
; COMPUTE_PGM_RSRC2:USER_SGPR: 2
; COMPUTE_PGM_RSRC2:TRAP_HANDLER: 0
; COMPUTE_PGM_RSRC2:TGID_X_EN: 1
; COMPUTE_PGM_RSRC2:TGID_Y_EN: 0
; COMPUTE_PGM_RSRC2:TGID_Z_EN: 0
; COMPUTE_PGM_RSRC2:TIDIG_COMP_CNT: 0
; COMPUTE_PGM_RSRC3_GFX90A:ACCUM_OFFSET: 8
; COMPUTE_PGM_RSRC3_GFX90A:TG_SPLIT: 0
	.section	.text._ZN2at6native32elementwise_kernel_manual_unrollILi128ELi4EZNS0_15gpu_kernel_implIZZZNS0_21clamp_max_kernel_cudaERNS_18TensorIteratorBaseERKN3c106ScalarEENKUlvE_clEvENKUlvE6_clEvEUlNS5_4HalfEE_EEvS4_RKT_EUlibE_EEviT1_,"axG",@progbits,_ZN2at6native32elementwise_kernel_manual_unrollILi128ELi4EZNS0_15gpu_kernel_implIZZZNS0_21clamp_max_kernel_cudaERNS_18TensorIteratorBaseERKN3c106ScalarEENKUlvE_clEvENKUlvE6_clEvEUlNS5_4HalfEE_EEvS4_RKT_EUlibE_EEviT1_,comdat
	.globl	_ZN2at6native32elementwise_kernel_manual_unrollILi128ELi4EZNS0_15gpu_kernel_implIZZZNS0_21clamp_max_kernel_cudaERNS_18TensorIteratorBaseERKN3c106ScalarEENKUlvE_clEvENKUlvE6_clEvEUlNS5_4HalfEE_EEvS4_RKT_EUlibE_EEviT1_ ; -- Begin function _ZN2at6native32elementwise_kernel_manual_unrollILi128ELi4EZNS0_15gpu_kernel_implIZZZNS0_21clamp_max_kernel_cudaERNS_18TensorIteratorBaseERKN3c106ScalarEENKUlvE_clEvENKUlvE6_clEvEUlNS5_4HalfEE_EEvS4_RKT_EUlibE_EEviT1_
	.p2align	8
	.type	_ZN2at6native32elementwise_kernel_manual_unrollILi128ELi4EZNS0_15gpu_kernel_implIZZZNS0_21clamp_max_kernel_cudaERNS_18TensorIteratorBaseERKN3c106ScalarEENKUlvE_clEvENKUlvE6_clEvEUlNS5_4HalfEE_EEvS4_RKT_EUlibE_EEviT1_,@function
_ZN2at6native32elementwise_kernel_manual_unrollILi128ELi4EZNS0_15gpu_kernel_implIZZZNS0_21clamp_max_kernel_cudaERNS_18TensorIteratorBaseERKN3c106ScalarEENKUlvE_clEvENKUlvE6_clEvEUlNS5_4HalfEE_EEvS4_RKT_EUlibE_EEviT1_: ; @_ZN2at6native32elementwise_kernel_manual_unrollILi128ELi4EZNS0_15gpu_kernel_implIZZZNS0_21clamp_max_kernel_cudaERNS_18TensorIteratorBaseERKN3c106ScalarEENKUlvE_clEvENKUlvE6_clEvEUlNS5_4HalfEE_EEvS4_RKT_EUlibE_EEviT1_
; %bb.0:
	s_load_dword s33, s[0:1], 0x20
	s_load_dwordx2 s[8:9], s[0:1], 0x18
	s_load_dword s38, s[0:1], 0x0
	s_load_dwordx4 s[4:7], s[0:1], 0x8
	v_lshl_or_b32 v4, s2, 9, v0
	v_or_b32_e32 v0, 0x180, v4
	s_waitcnt lgkmcnt(0)
	s_lshr_b32 s42, s33, 16
	s_lshr_b32 s43, s33, 24
	v_cmp_le_i32_e32 vcc, s38, v0
	s_mov_b64 s[2:3], 0
	s_mov_b64 s[12:13], 0
	s_and_saveexec_b64 s[0:1], vcc
	s_xor_b64 s[10:11], exec, s[0:1]
	s_cbranch_execz .LBB480_1027
; %bb.1:
	v_cmp_gt_i32_e32 vcc, s38, v4
	s_mov_b64 s[18:19], -1
	s_mov_b64 s[20:21], 0
	s_mov_b64 s[14:15], 0
	s_and_saveexec_b64 s[16:17], vcc
	s_cbranch_execz .LBB480_252
; %bb.2:
	v_mul_lo_u32 v0, v4, s9
	v_ashrrev_i32_e32 v1, 31, v0
	s_and_b32 s22, 0xffff, s43
	s_cmp_lt_i32 s22, 11
	v_lshl_add_u64 v[0:1], s[6:7], 0, v[0:1]
	s_cbranch_scc1 .LBB480_9
; %bb.3:
	s_cmp_gt_i32 s22, 25
	s_cbranch_scc0 .LBB480_18
; %bb.4:
	s_cmp_gt_i32 s22, 28
	s_cbranch_scc0 .LBB480_22
	;; [unrolled: 3-line block ×4, first 2 shown]
; %bb.7:
	s_cmp_eq_u32 s22, 46
	s_cbranch_scc0 .LBB480_28
; %bb.8:
	global_load_dword v2, v[0:1], off
	s_mov_b64 s[0:1], -1
	s_waitcnt vmcnt(0)
	v_lshlrev_b32_e32 v2, 16, v2
	v_cvt_f16_f32_e32 v2, v2
	s_branch .LBB480_30
.LBB480_9:
                                        ; implicit-def: $vgpr2
	s_mov_b64 s[0:1], 0
	s_cbranch_execnz .LBB480_203
.LBB480_10:
	s_andn2_b64 vcc, exec, s[0:1]
	s_cbranch_vccnz .LBB480_250
.LBB480_11:
	s_waitcnt vmcnt(0)
	v_cmp_u_f16_e32 vcc, v2, v2
	v_cmp_gt_f16_e64 s[0:1], s33, v2
	v_mov_b32_e32 v0, s33
	s_or_b64 vcc, vcc, s[0:1]
	v_cndmask_b32_e32 v2, v0, v2, vcc
	v_mul_lo_u32 v0, v4, s8
	v_ashrrev_i32_e32 v1, 31, v0
	s_and_b32 s24, s42, 0xff
	s_cmp_lt_i32 s24, 11
	v_lshl_add_u64 v[0:1], s[4:5], 0, v[0:1]
	s_cbranch_scc1 .LBB480_19
; %bb.12:
	s_and_b32 s25, 0xffff, s24
	s_cmp_gt_i32 s25, 25
	s_cbranch_scc0 .LBB480_23
; %bb.13:
	s_cmp_gt_i32 s25, 28
	s_cbranch_scc0 .LBB480_25
; %bb.14:
	;; [unrolled: 3-line block ×4, first 2 shown]
	s_mov_b64 s[18:19], 0
	s_mov_b64 s[0:1], -1
	s_cmp_eq_u32 s25, 46
	s_mov_b64 s[12:13], 0
	s_cbranch_scc0 .LBB480_34
; %bb.17:
	v_cvt_f32_f16_e32 v3, v2
	s_movk_i32 s0, 0x7fff
	v_cmp_o_f16_e32 vcc, v2, v2
	v_mov_b32_e32 v5, 0x7fc0
	v_bfe_u32 v6, v3, 16, 1
	v_add3_u32 v3, v3, v6, s0
	v_cndmask_b32_sdwa v3, v5, v3, vcc dst_sel:DWORD dst_unused:UNUSED_PAD src0_sel:DWORD src1_sel:WORD_1
	global_store_dword v[0:1], v3, off
	s_mov_b64 s[12:13], -1
	s_mov_b64 s[0:1], 0
	s_branch .LBB480_34
.LBB480_18:
	s_mov_b64 s[0:1], 0
                                        ; implicit-def: $vgpr2
	s_cbranch_execnz .LBB480_168
	s_branch .LBB480_202
.LBB480_19:
	s_mov_b64 s[0:1], 0
	s_mov_b64 s[12:13], 0
	s_cbranch_execnz .LBB480_103
.LBB480_20:
	s_andn2_b64 vcc, exec, s[12:13]
	s_cbranch_vccnz .LBB480_141
.LBB480_21:
	v_add_u32_e32 v4, 0x80, v4
	s_mov_b64 s[18:19], -1
	s_branch .LBB480_251
.LBB480_22:
	s_mov_b64 s[12:13], -1
	s_mov_b64 s[0:1], 0
                                        ; implicit-def: $vgpr2
	s_branch .LBB480_149
.LBB480_23:
	s_mov_b64 s[18:19], -1
	s_mov_b64 s[0:1], 0
	s_mov_b64 s[12:13], 0
	s_branch .LBB480_61
.LBB480_24:
	s_mov_b64 s[12:13], -1
	s_mov_b64 s[0:1], 0
                                        ; implicit-def: $vgpr2
	s_branch .LBB480_144
.LBB480_25:
	s_mov_b64 s[18:19], -1
	s_mov_b64 s[0:1], 0
	s_mov_b64 s[12:13], 0
	s_branch .LBB480_44
.LBB480_26:
	s_mov_b64 s[12:13], -1
	s_branch .LBB480_29
.LBB480_27:
	s_mov_b64 s[18:19], -1
	s_mov_b64 s[0:1], 0
	s_mov_b64 s[12:13], 0
	s_branch .LBB480_40
.LBB480_28:
	s_mov_b64 s[14:15], -1
.LBB480_29:
	s_mov_b64 s[0:1], 0
                                        ; implicit-def: $vgpr2
.LBB480_30:
	s_and_b64 vcc, exec, s[12:13]
	s_cbranch_vccz .LBB480_143
; %bb.31:
	s_cmp_eq_u32 s22, 44
	s_cbranch_scc0 .LBB480_142
; %bb.32:
	global_load_ubyte v2, v[0:1], off
	s_movk_i32 s12, 0xff
	v_mov_b32_e32 v5, 0x7e00
	s_mov_b64 s[0:1], -1
	s_mov_b64 s[14:15], 0
	s_waitcnt vmcnt(0)
	v_lshlrev_b32_e32 v3, 23, v2
	v_cvt_f16_f32_e32 v3, v3
	v_cmp_ne_u32_e32 vcc, s12, v2
	s_nop 1
	v_cndmask_b32_e32 v3, v5, v3, vcc
	v_cmp_ne_u32_e32 vcc, 0, v2
	s_nop 1
	v_cndmask_b32_e32 v2, 0, v3, vcc
	s_branch .LBB480_143
.LBB480_33:
	s_mov_b64 s[18:19], -1
	s_mov_b64 s[0:1], 0
	s_mov_b64 s[12:13], 0
.LBB480_34:
	s_and_b64 vcc, exec, s[18:19]
	s_cbranch_vccz .LBB480_39
; %bb.35:
	s_cmp_eq_u32 s25, 44
	s_mov_b64 s[0:1], -1
	s_cbranch_scc0 .LBB480_39
; %bb.36:
	v_cvt_f32_f16_e32 v3, v2
	s_movk_i32 s0, 0xff
	v_mov_b32_e32 v6, 0xff
	v_bfe_u32 v5, v3, 23, 8
	v_cmp_ne_u32_e32 vcc, s0, v5
	s_and_saveexec_b64 s[12:13], vcc
; %bb.37:
	s_mov_b32 s0, 0x3fffff
	v_lshrrev_b32_e32 v6, 23, v3
	v_and_b32_e32 v7, 0x400000, v3
	v_and_or_b32 v3, v3, s0, v5
	v_cmp_ne_u32_e32 vcc, 0, v7
	v_cmp_ne_u32_e64 s[0:1], 0, v3
	s_and_b64 s[0:1], vcc, s[0:1]
	s_nop 0
	v_cndmask_b32_e64 v3, 0, 1, s[0:1]
	v_add_u32_e32 v6, v6, v3
; %bb.38:
	s_or_b64 exec, exec, s[12:13]
	s_mov_b64 s[12:13], -1
	s_mov_b64 s[0:1], 0
	global_store_byte v[0:1], v6, off
.LBB480_39:
	s_mov_b64 s[18:19], 0
.LBB480_40:
	s_and_b64 vcc, exec, s[18:19]
	s_cbranch_vccz .LBB480_43
; %bb.41:
	s_cmp_eq_u32 s25, 29
	s_mov_b64 s[0:1], -1
	s_cbranch_scc0 .LBB480_43
; %bb.42:
	v_cvt_f32_f16_e32 v3, v2
	v_mov_b32_e32 v7, 0
	s_mov_b64 s[12:13], -1
	s_mov_b64 s[0:1], 0
	v_cvt_u32_f32_e32 v6, v3
	s_mov_b64 s[18:19], 0
	global_store_dwordx2 v[0:1], v[6:7], off
	s_branch .LBB480_44
.LBB480_43:
	s_mov_b64 s[18:19], 0
.LBB480_44:
	s_and_b64 vcc, exec, s[18:19]
	s_cbranch_vccz .LBB480_60
; %bb.45:
	s_cmp_lt_i32 s25, 27
	s_mov_b64 s[12:13], -1
	s_cbranch_scc1 .LBB480_51
; %bb.46:
	s_cmp_gt_i32 s25, 27
	s_cbranch_scc0 .LBB480_48
; %bb.47:
	v_cvt_f32_f16_e32 v3, v2
	s_mov_b64 s[12:13], 0
	v_cvt_u32_f32_e32 v3, v3
	global_store_dword v[0:1], v3, off
.LBB480_48:
	s_andn2_b64 vcc, exec, s[12:13]
	s_cbranch_vccnz .LBB480_50
; %bb.49:
	v_cvt_u16_f16_e32 v3, v2
	global_store_short v[0:1], v3, off
.LBB480_50:
	s_mov_b64 s[12:13], 0
.LBB480_51:
	s_andn2_b64 vcc, exec, s[12:13]
	s_cbranch_vccnz .LBB480_59
; %bb.52:
	v_cvt_f32_f16_e32 v3, v2
	s_mov_b32 s12, 0x43800000
	v_mov_b32_e32 v6, 0x80
	v_and_b32_e32 v5, 0x7fffffff, v3
	v_cmp_gt_u32_e32 vcc, s12, v5
	s_and_saveexec_b64 s[12:13], vcc
	s_cbranch_execz .LBB480_58
; %bb.53:
	s_mov_b32 s18, 0x3bffffff
	v_cmp_lt_u32_e32 vcc, s18, v5
	s_mov_b64 s[18:19], 0
                                        ; implicit-def: $vgpr5
	s_and_saveexec_b64 s[22:23], vcc
	s_xor_b64 s[22:23], exec, s[22:23]
	s_cbranch_execz .LBB480_279
; %bb.54:
	v_bfe_u32 v5, v3, 20, 1
	s_mov_b32 s26, 0x487ffff
	v_add3_u32 v5, v3, v5, s26
	s_mov_b64 s[18:19], exec
	v_lshrrev_b32_e32 v5, 20, v5
	s_andn2_saveexec_b64 s[22:23], s[22:23]
	s_cbranch_execnz .LBB480_280
.LBB480_55:
	s_or_b64 exec, exec, s[22:23]
	v_mov_b32_e32 v6, 0
	s_and_saveexec_b64 s[22:23], s[18:19]
.LBB480_56:
	v_lshrrev_b32_e32 v3, 24, v3
	s_movk_i32 s18, 0x80
	v_and_or_b32 v6, v3, s18, v5
.LBB480_57:
	s_or_b64 exec, exec, s[22:23]
.LBB480_58:
	s_or_b64 exec, exec, s[12:13]
	global_store_byte v[0:1], v6, off
.LBB480_59:
	s_mov_b64 s[12:13], -1
.LBB480_60:
	s_mov_b64 s[18:19], 0
.LBB480_61:
	s_and_b64 vcc, exec, s[18:19]
	s_cbranch_vccz .LBB480_102
; %bb.62:
	s_cmp_gt_i32 s25, 22
	s_mov_b64 s[18:19], -1
	s_cbranch_scc0 .LBB480_94
; %bb.63:
	s_cmp_lt_i32 s25, 24
	s_mov_b64 s[12:13], -1
	s_cbranch_scc1 .LBB480_83
; %bb.64:
	s_cmp_gt_i32 s25, 24
	s_cbranch_scc0 .LBB480_72
; %bb.65:
	v_cvt_f32_f16_e32 v3, v2
	s_mov_b32 s12, 0x47800000
	v_mov_b32_e32 v6, 0x80
	v_and_b32_e32 v5, 0x7fffffff, v3
	v_cmp_gt_u32_e32 vcc, s12, v5
	s_and_saveexec_b64 s[12:13], vcc
	s_cbranch_execz .LBB480_71
; %bb.66:
	s_mov_b32 s18, 0x37ffffff
	v_cmp_lt_u32_e32 vcc, s18, v5
	s_mov_b64 s[18:19], 0
                                        ; implicit-def: $vgpr5
	s_and_saveexec_b64 s[22:23], vcc
	s_xor_b64 s[22:23], exec, s[22:23]
	s_cbranch_execz .LBB480_283
; %bb.67:
	v_bfe_u32 v5, v3, 21, 1
	s_mov_b32 s26, 0x88fffff
	v_add3_u32 v5, v3, v5, s26
	s_mov_b64 s[18:19], exec
	v_lshrrev_b32_e32 v5, 21, v5
	s_andn2_saveexec_b64 s[22:23], s[22:23]
	s_cbranch_execnz .LBB480_284
.LBB480_68:
	s_or_b64 exec, exec, s[22:23]
	v_mov_b32_e32 v6, 0
	s_and_saveexec_b64 s[22:23], s[18:19]
.LBB480_69:
	v_lshrrev_b32_e32 v3, 24, v3
	s_movk_i32 s18, 0x80
	v_and_or_b32 v6, v3, s18, v5
.LBB480_70:
	s_or_b64 exec, exec, s[22:23]
.LBB480_71:
	s_or_b64 exec, exec, s[12:13]
	s_mov_b64 s[12:13], 0
	global_store_byte v[0:1], v6, off
.LBB480_72:
	s_and_b64 vcc, exec, s[12:13]
	s_cbranch_vccz .LBB480_82
; %bb.73:
	v_cvt_f32_f16_e32 v3, v2
	s_mov_b32 s12, 0x43f00000
                                        ; implicit-def: $vgpr5
	v_and_b32_e32 v6, 0x7fffffff, v3
	v_cmp_gt_u32_e32 vcc, s12, v6
	s_and_saveexec_b64 s[12:13], vcc
	s_xor_b64 s[12:13], exec, s[12:13]
	s_cbranch_execz .LBB480_79
; %bb.74:
	s_mov_b32 s18, 0x3c7fffff
	v_cmp_lt_u32_e32 vcc, s18, v6
                                        ; implicit-def: $vgpr5
	s_and_saveexec_b64 s[18:19], vcc
	s_xor_b64 s[18:19], exec, s[18:19]
; %bb.75:
	v_bfe_u32 v5, v3, 20, 1
	s_mov_b32 s22, 0x407ffff
	v_add3_u32 v5, v3, v5, s22
	v_lshrrev_b32_e32 v6, 20, v5
	v_and_b32_e32 v5, 0xff00000, v5
	s_mov_b32 s22, 0x7f00000
	v_mov_b32_e32 v7, 0x7e
	v_cmp_ne_u32_e32 vcc, s22, v5
	s_nop 1
	v_cndmask_b32_e32 v5, v7, v6, vcc
; %bb.76:
	s_andn2_saveexec_b64 s[18:19], s[18:19]
; %bb.77:
	s_mov_b32 s22, 0x46800000
	v_add_f32_e64 v5, |v3|, s22
; %bb.78:
	s_or_b64 exec, exec, s[18:19]
                                        ; implicit-def: $vgpr6
.LBB480_79:
	s_andn2_saveexec_b64 s[12:13], s[12:13]
; %bb.80:
	s_mov_b32 s18, 0x7f800000
	v_mov_b32_e32 v5, 0x7e
	v_mov_b32_e32 v7, 0x7f
	v_cmp_lt_u32_e32 vcc, s18, v6
	s_nop 1
	v_cndmask_b32_e32 v5, v5, v7, vcc
; %bb.81:
	s_or_b64 exec, exec, s[12:13]
	v_lshrrev_b32_e32 v3, 24, v3
	s_movk_i32 s12, 0x80
	v_and_or_b32 v3, v3, s12, v5
	global_store_byte v[0:1], v3, off
.LBB480_82:
	s_mov_b64 s[12:13], 0
.LBB480_83:
	s_andn2_b64 vcc, exec, s[12:13]
	s_cbranch_vccnz .LBB480_93
; %bb.84:
	v_cvt_f32_f16_e32 v3, v2
	s_mov_b32 s12, 0x47800000
                                        ; implicit-def: $vgpr5
	v_and_b32_e32 v6, 0x7fffffff, v3
	v_cmp_gt_u32_e32 vcc, s12, v6
	s_and_saveexec_b64 s[12:13], vcc
	s_xor_b64 s[12:13], exec, s[12:13]
	s_cbranch_execz .LBB480_90
; %bb.85:
	s_mov_b32 s18, 0x387fffff
	v_cmp_lt_u32_e32 vcc, s18, v6
                                        ; implicit-def: $vgpr5
	s_and_saveexec_b64 s[18:19], vcc
	s_xor_b64 s[18:19], exec, s[18:19]
; %bb.86:
	v_bfe_u32 v5, v3, 21, 1
	s_mov_b32 s22, 0x80fffff
	v_add3_u32 v5, v3, v5, s22
	v_lshrrev_b32_e32 v5, 21, v5
; %bb.87:
	s_andn2_saveexec_b64 s[18:19], s[18:19]
; %bb.88:
	s_mov_b32 s22, 0x43000000
	v_add_f32_e64 v5, |v3|, s22
; %bb.89:
	s_or_b64 exec, exec, s[18:19]
                                        ; implicit-def: $vgpr6
.LBB480_90:
	s_andn2_saveexec_b64 s[12:13], s[12:13]
; %bb.91:
	s_mov_b32 s18, 0x7f800000
	v_mov_b32_e32 v5, 0x7c
	v_mov_b32_e32 v7, 0x7f
	v_cmp_lt_u32_e32 vcc, s18, v6
	s_nop 1
	v_cndmask_b32_e32 v5, v5, v7, vcc
; %bb.92:
	s_or_b64 exec, exec, s[12:13]
	v_lshrrev_b32_e32 v3, 24, v3
	s_movk_i32 s12, 0x80
	v_and_or_b32 v3, v3, s12, v5
	global_store_byte v[0:1], v3, off
.LBB480_93:
	s_mov_b64 s[18:19], 0
	s_mov_b64 s[12:13], -1
.LBB480_94:
	s_andn2_b64 vcc, exec, s[18:19]
	s_cbranch_vccnz .LBB480_102
; %bb.95:
	s_cmp_gt_i32 s25, 14
	s_mov_b64 s[18:19], -1
	s_cbranch_scc0 .LBB480_99
; %bb.96:
	s_cmp_eq_u32 s25, 15
	s_mov_b64 s[0:1], -1
	s_cbranch_scc0 .LBB480_98
; %bb.97:
	v_cvt_f32_f16_e32 v3, v2
	s_movk_i32 s0, 0x7fff
	v_cmp_o_f16_e32 vcc, v2, v2
	v_mov_b32_e32 v5, 0x7fc0
	v_bfe_u32 v6, v3, 16, 1
	v_add3_u32 v3, v3, v6, s0
	v_cndmask_b32_sdwa v3, v5, v3, vcc dst_sel:DWORD dst_unused:UNUSED_PAD src0_sel:DWORD src1_sel:WORD_1
	global_store_short v[0:1], v3, off
	s_mov_b64 s[12:13], -1
	s_mov_b64 s[0:1], 0
.LBB480_98:
	s_mov_b64 s[18:19], 0
.LBB480_99:
	s_and_b64 vcc, exec, s[18:19]
	s_cbranch_vccz .LBB480_102
; %bb.100:
	s_cmp_eq_u32 s25, 11
	s_mov_b64 s[0:1], -1
	s_cbranch_scc0 .LBB480_102
; %bb.101:
	v_and_b32_e32 v3, 0x7fff, v2
	v_cmp_ne_u16_e32 vcc, 0, v3
	s_mov_b64 s[12:13], -1
	s_mov_b64 s[0:1], 0
	v_cndmask_b32_e64 v3, 0, 1, vcc
	global_store_byte v[0:1], v3, off
.LBB480_102:
	s_branch .LBB480_20
.LBB480_103:
	s_and_b32 s18, 0xffff, s24
	s_cmp_lt_i32 s18, 5
	s_mov_b64 s[12:13], -1
	s_cbranch_scc1 .LBB480_124
; %bb.104:
	s_cmp_lt_i32 s18, 8
	s_cbranch_scc1 .LBB480_114
; %bb.105:
	s_cmp_lt_i32 s18, 9
	s_cbranch_scc1 .LBB480_111
; %bb.106:
	s_cmp_gt_i32 s18, 9
	s_cbranch_scc0 .LBB480_108
; %bb.107:
	v_cvt_f32_f16_e32 v3, v2
	v_mov_b32_e32 v8, 0
	v_mov_b32_e32 v9, v8
	s_mov_b64 s[12:13], 0
	v_cvt_f64_f32_e32 v[6:7], v3
	global_store_dwordx4 v[0:1], v[6:9], off
.LBB480_108:
	s_andn2_b64 vcc, exec, s[12:13]
	s_cbranch_vccnz .LBB480_110
; %bb.109:
	v_cvt_f32_f16_e32 v6, v2
	v_mov_b32_e32 v7, 0
	global_store_dwordx2 v[0:1], v[6:7], off
.LBB480_110:
	s_mov_b64 s[12:13], 0
.LBB480_111:
	s_andn2_b64 vcc, exec, s[12:13]
	s_cbranch_vccnz .LBB480_113
; %bb.112:
	v_and_b32_e32 v3, 0xffff, v2
	global_store_dword v[0:1], v3, off
.LBB480_113:
	s_mov_b64 s[12:13], 0
.LBB480_114:
	s_andn2_b64 vcc, exec, s[12:13]
	s_cbranch_vccnz .LBB480_123
; %bb.115:
	s_cmp_lt_i32 s18, 6
	s_mov_b64 s[12:13], -1
	s_cbranch_scc1 .LBB480_121
; %bb.116:
	s_cmp_gt_i32 s18, 6
	s_cbranch_scc0 .LBB480_118
; %bb.117:
	v_cvt_f32_f16_e32 v3, v2
	s_mov_b64 s[12:13], 0
	v_cvt_f64_f32_e32 v[6:7], v3
	global_store_dwordx2 v[0:1], v[6:7], off
.LBB480_118:
	s_andn2_b64 vcc, exec, s[12:13]
	s_cbranch_vccnz .LBB480_120
; %bb.119:
	v_cvt_f32_f16_e32 v3, v2
	global_store_dword v[0:1], v3, off
.LBB480_120:
	s_mov_b64 s[12:13], 0
.LBB480_121:
	s_andn2_b64 vcc, exec, s[12:13]
	s_cbranch_vccnz .LBB480_123
; %bb.122:
	global_store_short v[0:1], v2, off
.LBB480_123:
	s_mov_b64 s[12:13], 0
.LBB480_124:
	s_andn2_b64 vcc, exec, s[12:13]
	s_cbranch_vccnz .LBB480_140
; %bb.125:
	s_cmp_lt_i32 s18, 2
	s_mov_b64 s[12:13], -1
	s_cbranch_scc1 .LBB480_135
; %bb.126:
	s_cmp_lt_i32 s18, 3
	s_cbranch_scc1 .LBB480_132
; %bb.127:
	s_cmp_gt_i32 s18, 3
	s_cbranch_scc0 .LBB480_129
; %bb.128:
	v_cvt_f32_f16_e32 v3, v2
	s_mov_b64 s[12:13], 0
	v_cvt_i32_f32_e32 v6, v3
	v_ashrrev_i32_e32 v7, 31, v6
	global_store_dwordx2 v[0:1], v[6:7], off
.LBB480_129:
	s_andn2_b64 vcc, exec, s[12:13]
	s_cbranch_vccnz .LBB480_131
; %bb.130:
	v_cvt_f32_f16_e32 v3, v2
	v_cvt_i32_f32_e32 v3, v3
	global_store_dword v[0:1], v3, off
.LBB480_131:
	s_mov_b64 s[12:13], 0
.LBB480_132:
	s_andn2_b64 vcc, exec, s[12:13]
	s_cbranch_vccnz .LBB480_134
; %bb.133:
	v_cvt_i16_f16_e32 v3, v2
	global_store_short v[0:1], v3, off
.LBB480_134:
	s_mov_b64 s[12:13], 0
.LBB480_135:
	s_andn2_b64 vcc, exec, s[12:13]
	s_cbranch_vccnz .LBB480_140
; %bb.136:
	s_cmp_gt_i32 s18, 0
	s_mov_b64 s[12:13], -1
	s_cbranch_scc0 .LBB480_138
; %bb.137:
	v_cvt_i16_f16_e32 v3, v2
	global_store_byte v[0:1], v3, off
	s_mov_b64 s[12:13], 0
.LBB480_138:
	s_andn2_b64 vcc, exec, s[12:13]
	s_cbranch_vccnz .LBB480_140
; %bb.139:
	v_cvt_f32_f16_e32 v2, v2
	v_cvt_i32_f32_e32 v2, v2
	global_store_byte v[0:1], v2, off
.LBB480_140:
	s_branch .LBB480_21
.LBB480_141:
	s_mov_b64 s[18:19], 0
                                        ; implicit-def: $vgpr4
	s_branch .LBB480_251
.LBB480_142:
	s_mov_b64 s[14:15], -1
                                        ; implicit-def: $vgpr2
.LBB480_143:
	s_mov_b64 s[12:13], 0
.LBB480_144:
	s_and_b64 vcc, exec, s[12:13]
	s_cbranch_vccz .LBB480_148
; %bb.145:
	s_cmp_eq_u32 s22, 29
	s_cbranch_scc0 .LBB480_147
; %bb.146:
	global_load_dwordx2 v[2:3], v[0:1], off
	s_mov_b64 s[0:1], -1
	s_mov_b64 s[14:15], 0
	s_mov_b64 s[12:13], 0
	s_waitcnt vmcnt(0)
	v_ffbh_u32_e32 v5, v3
	v_min_u32_e32 v5, 32, v5
	v_lshlrev_b64 v[2:3], v5, v[2:3]
	v_min_u32_e32 v2, 1, v2
	v_or_b32_e32 v2, v3, v2
	v_cvt_f32_u32_e32 v2, v2
	v_sub_u32_e32 v3, 32, v5
	v_ldexp_f32 v2, v2, v3
	v_cvt_f16_f32_e32 v2, v2
	s_branch .LBB480_149
.LBB480_147:
	s_mov_b64 s[14:15], -1
                                        ; implicit-def: $vgpr2
.LBB480_148:
	s_mov_b64 s[12:13], 0
.LBB480_149:
	s_and_b64 vcc, exec, s[12:13]
	s_cbranch_vccz .LBB480_167
; %bb.150:
	s_cmp_lt_i32 s22, 27
	s_cbranch_scc1 .LBB480_153
; %bb.151:
	s_cmp_gt_i32 s22, 27
	s_cbranch_scc0 .LBB480_154
; %bb.152:
	global_load_dword v2, v[0:1], off
	s_mov_b64 s[0:1], 0
	s_waitcnt vmcnt(0)
	v_cvt_f32_u32_e32 v2, v2
	v_cvt_f16_f32_e32 v2, v2
	s_branch .LBB480_155
.LBB480_153:
	s_mov_b64 s[0:1], -1
                                        ; implicit-def: $vgpr2
	s_branch .LBB480_158
.LBB480_154:
	s_mov_b64 s[0:1], -1
                                        ; implicit-def: $vgpr2
.LBB480_155:
	s_andn2_b64 vcc, exec, s[0:1]
	s_cbranch_vccnz .LBB480_157
; %bb.156:
	global_load_ushort v2, v[0:1], off
	s_waitcnt vmcnt(0)
	v_cvt_f16_u16_e32 v2, v2
.LBB480_157:
	s_mov_b64 s[0:1], 0
.LBB480_158:
	s_andn2_b64 vcc, exec, s[0:1]
	s_cbranch_vccnz .LBB480_166
; %bb.159:
	global_load_ubyte v3, v[0:1], off
	s_movk_i32 s0, 0x7f
	s_waitcnt vmcnt(0)
	v_cmp_lt_i16_e32 vcc, s0, v3
	s_mov_b64 s[0:1], 0
	s_and_saveexec_b64 s[12:13], vcc
	s_xor_b64 s[12:13], exec, s[12:13]
	s_cbranch_execz .LBB480_179
; %bb.160:
	s_movk_i32 s0, 0x80
	v_cmp_eq_u16_e32 vcc, s0, v3
	s_mov_b64 s[0:1], -1
	s_and_saveexec_b64 s[18:19], vcc
; %bb.161:
	s_xor_b64 s[0:1], exec, -1
; %bb.162:
	s_or_b64 exec, exec, s[18:19]
	s_and_b64 s[0:1], s[0:1], exec
	s_or_saveexec_b64 s[12:13], s[12:13]
	v_mov_b32_e32 v2, 0x7e00
	s_xor_b64 exec, exec, s[12:13]
	s_cbranch_execnz .LBB480_180
.LBB480_163:
	s_or_b64 exec, exec, s[12:13]
	s_and_saveexec_b64 s[12:13], s[0:1]
	s_cbranch_execz .LBB480_165
.LBB480_164:
	v_lshlrev_b32_e32 v2, 24, v3
	v_and_b32_e32 v3, 0xffff, v3
	v_and_b32_e32 v5, 7, v3
	v_ffbh_u32_e32 v7, v5
	v_min_u32_e32 v7, 32, v7
	v_subrev_u32_e32 v8, 28, v7
	v_bfe_u32 v6, v3, 3, 4
	v_lshlrev_b32_e32 v3, v8, v3
	v_sub_u32_e32 v7, 29, v7
	v_and_b32_e32 v3, 7, v3
	v_cmp_eq_u32_e32 vcc, 0, v6
	v_and_b32_e32 v2, 0x80000000, v2
	s_nop 0
	v_cndmask_b32_e32 v6, v6, v7, vcc
	v_cndmask_b32_e32 v3, v5, v3, vcc
	v_mov_b32_e32 v5, 0x3b800000
	v_lshlrev_b32_e32 v3, 20, v3
	v_lshl_add_u32 v5, v6, 23, v5
	v_or3_b32 v2, v2, v5, v3
	v_cvt_f16_f32_e32 v2, v2
.LBB480_165:
	s_or_b64 exec, exec, s[12:13]
.LBB480_166:
	s_mov_b64 s[0:1], -1
.LBB480_167:
	s_branch .LBB480_202
.LBB480_168:
	s_cmp_gt_i32 s22, 22
	s_cbranch_scc0 .LBB480_178
; %bb.169:
	s_cmp_lt_i32 s22, 24
	s_cbranch_scc1 .LBB480_181
; %bb.170:
	s_cmp_gt_i32 s22, 24
	s_cbranch_scc0 .LBB480_182
; %bb.171:
	global_load_ubyte v3, v[0:1], off
	s_movk_i32 s0, 0x7f
	s_waitcnt vmcnt(0)
	v_cmp_lt_i16_e32 vcc, s0, v3
	s_mov_b64 s[0:1], 0
	s_and_saveexec_b64 s[12:13], vcc
	s_xor_b64 s[12:13], exec, s[12:13]
	s_cbranch_execz .LBB480_194
; %bb.172:
	s_movk_i32 s0, 0x80
	v_cmp_eq_u16_e32 vcc, s0, v3
	s_mov_b64 s[0:1], -1
	s_and_saveexec_b64 s[18:19], vcc
; %bb.173:
	s_xor_b64 s[0:1], exec, -1
; %bb.174:
	s_or_b64 exec, exec, s[18:19]
	s_and_b64 s[0:1], s[0:1], exec
	s_or_saveexec_b64 s[12:13], s[12:13]
	v_mov_b32_e32 v2, 0x7e00
	s_xor_b64 exec, exec, s[12:13]
	s_cbranch_execnz .LBB480_195
.LBB480_175:
	s_or_b64 exec, exec, s[12:13]
	s_and_saveexec_b64 s[12:13], s[0:1]
	s_cbranch_execz .LBB480_177
.LBB480_176:
	v_lshlrev_b32_e32 v2, 24, v3
	v_and_b32_e32 v3, 0xffff, v3
	v_and_b32_e32 v5, 3, v3
	v_ffbh_u32_e32 v7, v5
	v_min_u32_e32 v7, 32, v7
	v_subrev_u32_e32 v8, 29, v7
	v_bfe_u32 v6, v3, 2, 5
	v_lshlrev_b32_e32 v3, v8, v3
	v_sub_u32_e32 v7, 30, v7
	v_and_b32_e32 v3, 3, v3
	v_cmp_eq_u32_e32 vcc, 0, v6
	v_and_b32_e32 v2, 0x80000000, v2
	s_nop 0
	v_cndmask_b32_e32 v6, v6, v7, vcc
	v_cndmask_b32_e32 v3, v5, v3, vcc
	v_mov_b32_e32 v5, 0x37800000
	v_lshlrev_b32_e32 v3, 21, v3
	v_lshl_add_u32 v5, v6, 23, v5
	v_or3_b32 v2, v2, v5, v3
	v_cvt_f16_f32_e32 v2, v2
.LBB480_177:
	s_or_b64 exec, exec, s[12:13]
	s_mov_b64 s[0:1], 0
	s_branch .LBB480_183
.LBB480_178:
	s_mov_b64 s[12:13], -1
                                        ; implicit-def: $vgpr2
	s_branch .LBB480_189
.LBB480_179:
	s_or_saveexec_b64 s[12:13], s[12:13]
	v_mov_b32_e32 v2, 0x7e00
	s_xor_b64 exec, exec, s[12:13]
	s_cbranch_execz .LBB480_163
.LBB480_180:
	v_cmp_ne_u16_e32 vcc, 0, v3
	s_andn2_b64 s[0:1], s[0:1], exec
	s_and_b64 s[18:19], vcc, exec
	s_or_b64 s[0:1], s[0:1], s[18:19]
	v_mov_b32_e32 v2, v3
	s_or_b64 exec, exec, s[12:13]
	s_and_saveexec_b64 s[12:13], s[0:1]
	s_cbranch_execnz .LBB480_164
	s_branch .LBB480_165
.LBB480_181:
	s_mov_b64 s[0:1], -1
                                        ; implicit-def: $vgpr2
	s_branch .LBB480_186
.LBB480_182:
	s_mov_b64 s[0:1], -1
                                        ; implicit-def: $vgpr2
.LBB480_183:
	s_and_b64 vcc, exec, s[0:1]
	s_cbranch_vccz .LBB480_185
; %bb.184:
	global_load_ubyte v2, v[0:1], off
	s_mov_b32 s0, 0x7f800000
	s_waitcnt vmcnt(0)
	v_lshlrev_b32_e32 v2, 24, v2
	v_and_b32_e32 v3, 0x7f000000, v2
	v_ffbh_u32_e32 v5, v3
	v_min_u32_e32 v5, 32, v5
	v_sub_u32_e64 v5, v5, 4 clamp
	v_lshlrev_b32_e32 v7, v5, v3
	v_lshlrev_b32_e32 v5, 23, v5
	v_lshrrev_b32_e32 v7, 4, v7
	v_add_u32_e32 v6, 0x1000000, v3
	v_sub_u32_e32 v5, v7, v5
	v_ashrrev_i32_e32 v6, 8, v6
	v_add_u32_e32 v5, 0x3c000000, v5
	v_and_or_b32 v5, v6, s0, v5
	v_cmp_ne_u32_e32 vcc, 0, v3
	s_brev_b32 s0, 1
	s_nop 0
	v_cndmask_b32_e32 v3, 0, v5, vcc
	v_and_or_b32 v2, v2, s0, v3
	v_cvt_f16_f32_e32 v2, v2
.LBB480_185:
	s_mov_b64 s[0:1], 0
.LBB480_186:
	s_andn2_b64 vcc, exec, s[0:1]
	s_cbranch_vccnz .LBB480_188
; %bb.187:
	global_load_ubyte v2, v[0:1], off
	s_movk_i32 s0, 0x7f00
	s_brev_b32 s1, 16
	s_waitcnt vmcnt(0)
	v_lshlrev_b16_e32 v3, 8, v2
	v_lshlrev_b32_e32 v2, 25, v2
	v_lshrrev_b32_e32 v5, 4, v2
	v_and_or_b32 v6, v3, s0, 0.5
	v_or_b32_e32 v5, 0x70000000, v5
	v_add_f32_e32 v6, -0.5, v6
	v_mul_f32_e32 v5, 0x7800000, v5
	v_cmp_gt_u32_e32 vcc, s1, v2
	v_bfe_i32 v3, v3, 0, 16
	s_brev_b32 s0, 1
	v_cndmask_b32_e32 v2, v5, v6, vcc
	v_and_or_b32 v2, v3, s0, v2
	v_cvt_f16_f32_e32 v2, v2
.LBB480_188:
	s_mov_b64 s[12:13], 0
	s_mov_b64 s[0:1], -1
.LBB480_189:
	s_andn2_b64 vcc, exec, s[12:13]
	s_cbranch_vccnz .LBB480_202
; %bb.190:
	s_cmp_gt_i32 s22, 14
	s_cbranch_scc0 .LBB480_193
; %bb.191:
	s_cmp_eq_u32 s22, 15
	s_cbranch_scc0 .LBB480_196
; %bb.192:
	global_load_ushort v2, v[0:1], off
	s_mov_b64 s[0:1], -1
	s_mov_b64 s[14:15], 0
	s_waitcnt vmcnt(0)
	v_lshlrev_b32_e32 v2, 16, v2
	v_cvt_f16_f32_e32 v2, v2
	s_branch .LBB480_197
.LBB480_193:
	s_mov_b64 s[12:13], -1
                                        ; implicit-def: $vgpr2
	s_branch .LBB480_198
.LBB480_194:
	s_or_saveexec_b64 s[12:13], s[12:13]
	v_mov_b32_e32 v2, 0x7e00
	s_xor_b64 exec, exec, s[12:13]
	s_cbranch_execz .LBB480_175
.LBB480_195:
	v_cmp_ne_u16_e32 vcc, 0, v3
	s_andn2_b64 s[0:1], s[0:1], exec
	s_and_b64 s[18:19], vcc, exec
	s_or_b64 s[0:1], s[0:1], s[18:19]
	v_mov_b32_e32 v2, v3
	s_or_b64 exec, exec, s[12:13]
	s_and_saveexec_b64 s[12:13], s[0:1]
	s_cbranch_execnz .LBB480_176
	s_branch .LBB480_177
.LBB480_196:
	s_mov_b64 s[14:15], -1
                                        ; implicit-def: $vgpr2
.LBB480_197:
	s_mov_b64 s[12:13], 0
.LBB480_198:
	s_and_b64 vcc, exec, s[12:13]
	s_cbranch_vccz .LBB480_202
; %bb.199:
	s_cmp_eq_u32 s22, 11
	s_cbranch_scc0 .LBB480_201
; %bb.200:
	global_load_ubyte v2, v[0:1], off
	v_mov_b32_e32 v3, 0x3c00
	s_mov_b64 s[0:1], -1
	s_mov_b64 s[14:15], 0
	s_waitcnt vmcnt(0)
	v_cmp_ne_u16_e32 vcc, 0, v2
	s_nop 1
	v_cndmask_b32_e32 v2, 0, v3, vcc
	s_branch .LBB480_202
.LBB480_201:
	s_mov_b64 s[14:15], -1
                                        ; implicit-def: $vgpr2
.LBB480_202:
	s_branch .LBB480_10
.LBB480_203:
	s_cmp_lt_i32 s22, 5
	s_cbranch_scc1 .LBB480_208
; %bb.204:
	s_cmp_lt_i32 s22, 8
	s_cbranch_scc1 .LBB480_209
; %bb.205:
	;; [unrolled: 3-line block ×3, first 2 shown]
	s_cmp_gt_i32 s22, 9
	s_cbranch_scc0 .LBB480_211
; %bb.207:
	global_load_dwordx2 v[2:3], v[0:1], off
	s_movk_i32 s0, 0x1ff
	s_movk_i32 s1, 0xffe
	v_mov_b32_e32 v5, 0x7c00
	v_mov_b32_e32 v6, 0x7e00
	s_movk_i32 s12, 0x40f
	s_mov_b32 s13, 0x8000
	s_waitcnt vmcnt(0)
	v_and_or_b32 v2, v3, s0, v2
	v_cmp_ne_u32_e32 vcc, 0, v2
	v_lshrrev_b32_e32 v7, 8, v3
	v_bfe_u32 v8, v3, 20, 11
	v_cndmask_b32_e64 v2, 0, 1, vcc
	v_sub_u32_e32 v9, 0x3f1, v8
	v_and_or_b32 v2, v7, s1, v2
	v_add_u32_e32 v8, 0xfffffc10, v8
	v_med3_i32 v7, v9, 0, 13
	v_or_b32_e32 v9, 0x1000, v2
	v_cmp_ne_u32_e32 vcc, 0, v2
	v_lshl_or_b32 v10, v8, 12, v2
	v_lshrrev_b32_e32 v3, 16, v3
	v_cndmask_b32_e32 v2, v5, v6, vcc
	v_lshrrev_b32_e32 v6, v7, v9
	v_lshlrev_b32_e32 v7, v7, v6
	v_cmp_ne_u32_e32 vcc, v7, v9
	s_mov_b64 s[0:1], 0
	s_nop 0
	v_cndmask_b32_e64 v7, 0, 1, vcc
	v_or_b32_e32 v6, v6, v7
	v_cmp_gt_i32_e32 vcc, 1, v8
	s_nop 1
	v_cndmask_b32_e32 v6, v10, v6, vcc
	v_and_b32_e32 v7, 7, v6
	v_cmp_lt_i32_e32 vcc, 5, v7
	v_lshrrev_b32_e32 v6, 2, v6
	s_nop 0
	v_cndmask_b32_e64 v9, 0, 1, vcc
	v_cmp_eq_u32_e32 vcc, 3, v7
	s_nop 1
	v_cndmask_b32_e64 v7, 0, 1, vcc
	v_or_b32_e32 v7, v7, v9
	v_add_u32_e32 v6, v6, v7
	v_cmp_gt_i32_e32 vcc, 31, v8
	s_nop 1
	v_cndmask_b32_e32 v5, v5, v6, vcc
	v_cmp_eq_u32_e32 vcc, s12, v8
	s_nop 1
	v_cndmask_b32_e32 v2, v5, v2, vcc
	v_and_or_b32 v2, v3, s13, v2
	s_branch .LBB480_212
.LBB480_208:
                                        ; implicit-def: $vgpr2
	s_branch .LBB480_230
.LBB480_209:
	s_mov_b64 s[0:1], -1
                                        ; implicit-def: $vgpr2
	s_branch .LBB480_218
.LBB480_210:
	s_mov_b64 s[0:1], -1
                                        ; implicit-def: $vgpr2
	s_branch .LBB480_215
.LBB480_211:
	s_mov_b64 s[0:1], -1
                                        ; implicit-def: $vgpr2
.LBB480_212:
	s_andn2_b64 vcc, exec, s[0:1]
	s_cbranch_vccnz .LBB480_214
; %bb.213:
	global_load_dword v2, v[0:1], off
	s_waitcnt vmcnt(0)
	v_cvt_f16_f32_e32 v2, v2
.LBB480_214:
	s_mov_b64 s[0:1], 0
.LBB480_215:
	s_andn2_b64 vcc, exec, s[0:1]
	s_cbranch_vccnz .LBB480_217
; %bb.216:
	global_load_dword v2, v[0:1], off
.LBB480_217:
	s_mov_b64 s[0:1], 0
.LBB480_218:
	s_andn2_b64 vcc, exec, s[0:1]
	s_cbranch_vccnz .LBB480_229
; %bb.219:
	s_cmp_lt_i32 s22, 6
	s_cbranch_scc1 .LBB480_222
; %bb.220:
	s_cmp_gt_i32 s22, 6
	s_cbranch_scc0 .LBB480_223
; %bb.221:
	global_load_dwordx2 v[2:3], v[0:1], off
	s_movk_i32 s0, 0x1ff
	s_movk_i32 s1, 0xffe
	v_mov_b32_e32 v5, 0x7c00
	v_mov_b32_e32 v6, 0x7e00
	s_movk_i32 s12, 0x40f
	s_mov_b32 s13, 0x8000
	s_waitcnt vmcnt(0)
	v_and_or_b32 v2, v3, s0, v2
	v_cmp_ne_u32_e32 vcc, 0, v2
	v_lshrrev_b32_e32 v7, 8, v3
	v_bfe_u32 v8, v3, 20, 11
	v_cndmask_b32_e64 v2, 0, 1, vcc
	v_sub_u32_e32 v9, 0x3f1, v8
	v_and_or_b32 v2, v7, s1, v2
	v_add_u32_e32 v8, 0xfffffc10, v8
	v_med3_i32 v7, v9, 0, 13
	v_or_b32_e32 v9, 0x1000, v2
	v_cmp_ne_u32_e32 vcc, 0, v2
	v_lshl_or_b32 v10, v8, 12, v2
	v_lshrrev_b32_e32 v3, 16, v3
	v_cndmask_b32_e32 v2, v5, v6, vcc
	v_lshrrev_b32_e32 v6, v7, v9
	v_lshlrev_b32_e32 v7, v7, v6
	v_cmp_ne_u32_e32 vcc, v7, v9
	s_mov_b64 s[0:1], 0
	s_nop 0
	v_cndmask_b32_e64 v7, 0, 1, vcc
	v_or_b32_e32 v6, v6, v7
	v_cmp_gt_i32_e32 vcc, 1, v8
	s_nop 1
	v_cndmask_b32_e32 v6, v10, v6, vcc
	v_and_b32_e32 v7, 7, v6
	v_cmp_lt_i32_e32 vcc, 5, v7
	v_lshrrev_b32_e32 v6, 2, v6
	s_nop 0
	v_cndmask_b32_e64 v9, 0, 1, vcc
	v_cmp_eq_u32_e32 vcc, 3, v7
	s_nop 1
	v_cndmask_b32_e64 v7, 0, 1, vcc
	v_or_b32_e32 v7, v7, v9
	v_add_u32_e32 v6, v6, v7
	v_cmp_gt_i32_e32 vcc, 31, v8
	s_nop 1
	v_cndmask_b32_e32 v5, v5, v6, vcc
	v_cmp_eq_u32_e32 vcc, s12, v8
	s_nop 1
	v_cndmask_b32_e32 v2, v5, v2, vcc
	v_and_or_b32 v2, v3, s13, v2
	s_branch .LBB480_224
.LBB480_222:
	s_mov_b64 s[0:1], -1
                                        ; implicit-def: $vgpr2
	s_branch .LBB480_227
.LBB480_223:
	s_mov_b64 s[0:1], -1
                                        ; implicit-def: $vgpr2
.LBB480_224:
	s_andn2_b64 vcc, exec, s[0:1]
	s_cbranch_vccnz .LBB480_226
; %bb.225:
	global_load_dword v2, v[0:1], off
	s_waitcnt vmcnt(0)
	v_cvt_f16_f32_e32 v2, v2
.LBB480_226:
	s_mov_b64 s[0:1], 0
.LBB480_227:
	s_andn2_b64 vcc, exec, s[0:1]
	s_cbranch_vccnz .LBB480_229
; %bb.228:
	global_load_ushort v2, v[0:1], off
.LBB480_229:
	s_cbranch_execnz .LBB480_249
.LBB480_230:
	s_cmp_lt_i32 s22, 2
	s_cbranch_scc1 .LBB480_234
; %bb.231:
	s_cmp_lt_i32 s22, 3
	s_cbranch_scc1 .LBB480_235
; %bb.232:
	s_cmp_gt_i32 s22, 3
	s_cbranch_scc0 .LBB480_236
; %bb.233:
	global_load_dwordx2 v[2:3], v[0:1], off
	s_mov_b64 s[0:1], 0
	s_waitcnt vmcnt(0)
	v_xor_b32_e32 v6, v2, v3
	v_ffbh_i32_e32 v5, v3
	v_ashrrev_i32_e32 v6, 31, v6
	v_add_u32_e32 v5, -1, v5
	v_add_u32_e32 v6, 32, v6
	v_min_u32_e32 v5, v5, v6
	v_lshlrev_b64 v[2:3], v5, v[2:3]
	v_min_u32_e32 v2, 1, v2
	v_or_b32_e32 v2, v3, v2
	v_cvt_f32_i32_e32 v2, v2
	v_sub_u32_e32 v3, 32, v5
	v_ldexp_f32 v2, v2, v3
	v_cvt_f16_f32_e32 v2, v2
	s_branch .LBB480_237
.LBB480_234:
	s_mov_b64 s[0:1], -1
                                        ; implicit-def: $vgpr2
	s_branch .LBB480_243
.LBB480_235:
	s_mov_b64 s[0:1], -1
                                        ; implicit-def: $vgpr2
	s_branch .LBB480_240
.LBB480_236:
	s_mov_b64 s[0:1], -1
                                        ; implicit-def: $vgpr2
.LBB480_237:
	s_andn2_b64 vcc, exec, s[0:1]
	s_cbranch_vccnz .LBB480_239
; %bb.238:
	global_load_dword v2, v[0:1], off
	s_waitcnt vmcnt(0)
	v_cvt_f32_i32_e32 v2, v2
	v_cvt_f16_f32_e32 v2, v2
.LBB480_239:
	s_mov_b64 s[0:1], 0
.LBB480_240:
	s_andn2_b64 vcc, exec, s[0:1]
	s_cbranch_vccnz .LBB480_242
; %bb.241:
	global_load_ushort v2, v[0:1], off
	s_waitcnt vmcnt(0)
	v_cvt_f16_i16_e32 v2, v2
.LBB480_242:
	s_mov_b64 s[0:1], 0
.LBB480_243:
	s_andn2_b64 vcc, exec, s[0:1]
	s_cbranch_vccnz .LBB480_249
; %bb.244:
	s_cmp_gt_i32 s22, 0
	s_cbranch_scc0 .LBB480_246
; %bb.245:
	global_load_sbyte v2, v[0:1], off
	s_mov_b64 s[0:1], 0
	s_waitcnt vmcnt(0)
	v_cvt_f16_i16_e32 v2, v2
	s_branch .LBB480_247
.LBB480_246:
	s_mov_b64 s[0:1], -1
                                        ; implicit-def: $vgpr2
.LBB480_247:
	s_andn2_b64 vcc, exec, s[0:1]
	s_cbranch_vccnz .LBB480_249
; %bb.248:
	global_load_ubyte v0, v[0:1], off
	s_waitcnt vmcnt(0)
	v_cvt_f16_u16_e32 v2, v0
.LBB480_249:
	s_branch .LBB480_11
.LBB480_250:
	s_mov_b64 s[0:1], 0
                                        ; implicit-def: $vgpr4
	s_mov_b64 s[18:19], 0
.LBB480_251:
	s_and_b64 s[12:13], s[0:1], exec
	s_and_b64 s[14:15], s[14:15], exec
	s_orn2_b64 s[18:19], s[18:19], exec
.LBB480_252:
	s_or_b64 exec, exec, s[16:17]
	s_mov_b64 s[22:23], 0
	s_mov_b64 s[0:1], 0
                                        ; implicit-def: $vgpr0_vgpr1
                                        ; implicit-def: $vgpr3
	s_and_saveexec_b64 s[16:17], s[18:19]
	s_cbranch_execz .LBB480_261
; %bb.253:
	v_cmp_gt_i32_e32 vcc, s38, v4
	s_mov_b64 s[0:1], -1
	s_mov_b64 s[18:19], s[14:15]
	s_mov_b64 s[20:21], s[12:13]
	s_and_saveexec_b64 s[22:23], vcc
	s_cbranch_execz .LBB480_513
; %bb.254:
	v_mul_lo_u32 v0, v4, s9
	v_ashrrev_i32_e32 v1, 31, v0
	s_and_b32 s26, 0xffff, s43
	s_cmp_lt_i32 s26, 11
	v_lshl_add_u64 v[0:1], s[6:7], 0, v[0:1]
	s_cbranch_scc1 .LBB480_264
; %bb.255:
	s_cmp_gt_i32 s26, 25
	s_cbranch_scc0 .LBB480_273
; %bb.256:
	s_cmp_gt_i32 s26, 28
	s_cbranch_scc0 .LBB480_275
	;; [unrolled: 3-line block ×4, first 2 shown]
; %bb.259:
	s_cmp_eq_u32 s26, 46
	s_mov_b64 s[20:21], 0
	s_cbranch_scc0 .LBB480_285
; %bb.260:
	global_load_dword v2, v[0:1], off
	s_mov_b64 s[18:19], 0
	s_waitcnt vmcnt(0)
	v_lshlrev_b32_e32 v2, 16, v2
	v_cvt_f16_f32_e32 v2, v2
	s_branch .LBB480_286
.LBB480_261:
	s_or_b64 exec, exec, s[16:17]
	s_mov_b64 s[16:17], 0
	s_and_saveexec_b64 s[18:19], s[14:15]
	s_cbranch_execnz .LBB480_859
.LBB480_262:
	s_or_b64 exec, exec, s[18:19]
	s_and_saveexec_b64 s[14:15], s[20:21]
	s_xor_b64 s[14:15], exec, s[14:15]
	s_cbranch_execz .LBB480_860
.LBB480_263:
	global_load_ubyte v2, v[0:1], off
	v_mov_b32_e32 v3, 0x3c00
	s_or_b64 s[0:1], s[0:1], exec
	s_waitcnt vmcnt(0)
	v_cmp_ne_u16_e32 vcc, 0, v2
	s_nop 1
	v_cndmask_b32_e32 v3, 0, v3, vcc
	s_or_b64 exec, exec, s[14:15]
	s_and_saveexec_b64 s[14:15], s[22:23]
	s_cbranch_execz .LBB480_906
	s_branch .LBB480_861
.LBB480_264:
	s_mov_b64 s[0:1], 0
                                        ; implicit-def: $vgpr2
	s_mov_b64 s[18:19], s[14:15]
	s_cbranch_execnz .LBB480_463
.LBB480_265:
	s_andn2_b64 vcc, exec, s[0:1]
	s_cbranch_vccnz .LBB480_511
.LBB480_266:
	s_waitcnt vmcnt(0)
	v_cmp_u_f16_e32 vcc, v2, v2
	v_cmp_gt_f16_e64 s[0:1], s33, v2
	v_mov_b32_e32 v0, s33
	s_or_b64 vcc, vcc, s[0:1]
	v_cndmask_b32_e32 v2, v0, v2, vcc
	v_mul_lo_u32 v0, v4, s8
	v_ashrrev_i32_e32 v1, 31, v0
	s_and_b32 s28, s42, 0xff
	s_cmp_lt_i32 s28, 11
	v_lshl_add_u64 v[0:1], s[4:5], 0, v[0:1]
	s_cbranch_scc1 .LBB480_274
; %bb.267:
	s_and_b32 s29, 0xffff, s28
	s_cmp_gt_i32 s29, 25
	s_cbranch_scc0 .LBB480_276
; %bb.268:
	s_cmp_gt_i32 s29, 28
	s_cbranch_scc0 .LBB480_278
; %bb.269:
	;; [unrolled: 3-line block ×4, first 2 shown]
	s_mov_b64 s[24:25], 0
	s_mov_b64 s[0:1], -1
	s_cmp_eq_u32 s29, 46
	s_mov_b64 s[20:21], 0
	s_cbranch_scc0 .LBB480_290
; %bb.272:
	v_cvt_f32_f16_e32 v3, v2
	s_movk_i32 s0, 0x7fff
	v_cmp_o_f16_e32 vcc, v2, v2
	v_mov_b32_e32 v5, 0x7fc0
	v_bfe_u32 v6, v3, 16, 1
	v_add3_u32 v3, v3, v6, s0
	v_cndmask_b32_sdwa v3, v5, v3, vcc dst_sel:DWORD dst_unused:UNUSED_PAD src0_sel:DWORD src1_sel:WORD_1
	global_store_dword v[0:1], v3, off
	s_mov_b64 s[20:21], -1
	s_mov_b64 s[0:1], 0
	s_branch .LBB480_290
.LBB480_273:
	s_mov_b64 s[20:21], -1
	s_mov_b64 s[0:1], 0
	s_mov_b64 s[18:19], s[14:15]
                                        ; implicit-def: $vgpr2
	s_branch .LBB480_427
.LBB480_274:
	s_mov_b64 s[24:25], -1
	s_mov_b64 s[20:21], 0
	s_mov_b64 s[0:1], s[12:13]
	s_branch .LBB480_359
.LBB480_275:
	s_mov_b64 s[20:21], -1
	s_mov_b64 s[0:1], 0
	s_mov_b64 s[18:19], s[14:15]
                                        ; implicit-def: $vgpr2
	s_branch .LBB480_408
.LBB480_276:
	s_mov_b64 s[24:25], -1
	s_mov_b64 s[20:21], 0
	s_mov_b64 s[0:1], s[12:13]
	s_branch .LBB480_317
.LBB480_277:
	s_mov_b64 s[20:21], -1
	s_mov_b64 s[0:1], 0
	s_mov_b64 s[18:19], s[14:15]
                                        ; implicit-def: $vgpr2
	s_branch .LBB480_403
.LBB480_278:
	s_mov_b64 s[24:25], -1
	s_mov_b64 s[20:21], 0
	s_mov_b64 s[0:1], s[12:13]
	s_branch .LBB480_300
.LBB480_279:
	s_andn2_saveexec_b64 s[22:23], s[22:23]
	s_cbranch_execz .LBB480_55
.LBB480_280:
	s_mov_b32 s26, 0x46000000
	v_add_f32_e64 v5, |v3|, s26
	v_and_b32_e32 v5, 0xff, v5
	v_cmp_ne_u32_e32 vcc, 0, v5
	s_andn2_b64 s[18:19], s[18:19], exec
	s_and_b64 s[26:27], vcc, exec
	s_or_b64 s[18:19], s[18:19], s[26:27]
	s_or_b64 exec, exec, s[22:23]
	v_mov_b32_e32 v6, 0
	s_and_saveexec_b64 s[22:23], s[18:19]
	s_cbranch_execnz .LBB480_56
	s_branch .LBB480_57
.LBB480_281:
	s_mov_b64 s[20:21], -1
	s_mov_b64 s[0:1], 0
	s_mov_b64 s[18:19], s[14:15]
                                        ; implicit-def: $vgpr2
	s_branch .LBB480_286
.LBB480_282:
	s_mov_b64 s[24:25], -1
	s_mov_b64 s[20:21], 0
	s_mov_b64 s[0:1], s[12:13]
	s_branch .LBB480_296
.LBB480_283:
	s_andn2_saveexec_b64 s[22:23], s[22:23]
	s_cbranch_execz .LBB480_68
.LBB480_284:
	s_mov_b32 s26, 0x42800000
	v_add_f32_e64 v5, |v3|, s26
	v_and_b32_e32 v5, 0xff, v5
	v_cmp_ne_u32_e32 vcc, 0, v5
	s_andn2_b64 s[18:19], s[18:19], exec
	s_and_b64 s[26:27], vcc, exec
	s_or_b64 s[18:19], s[18:19], s[26:27]
	s_or_b64 exec, exec, s[22:23]
	v_mov_b32_e32 v6, 0
	s_and_saveexec_b64 s[22:23], s[18:19]
	s_cbranch_execnz .LBB480_69
	s_branch .LBB480_70
.LBB480_285:
	s_mov_b64 s[18:19], -1
                                        ; implicit-def: $vgpr2
	s_mov_b64 s[0:1], 0
.LBB480_286:
	s_and_b64 vcc, exec, s[20:21]
	s_cbranch_vccz .LBB480_402
; %bb.287:
	s_cmp_eq_u32 s26, 44
	s_cbranch_scc0 .LBB480_401
; %bb.288:
	global_load_ubyte v2, v[0:1], off
	s_movk_i32 s18, 0xff
	v_mov_b32_e32 v5, 0x7e00
	s_mov_b64 s[0:1], -1
	s_waitcnt vmcnt(0)
	v_lshlrev_b32_e32 v3, 23, v2
	v_cvt_f16_f32_e32 v3, v3
	v_cmp_ne_u32_e32 vcc, s18, v2
	s_mov_b64 s[18:19], 0
	s_nop 0
	v_cndmask_b32_e32 v3, v5, v3, vcc
	v_cmp_ne_u32_e32 vcc, 0, v2
	s_nop 1
	v_cndmask_b32_e32 v2, 0, v3, vcc
	s_branch .LBB480_402
.LBB480_289:
	s_mov_b64 s[24:25], -1
	s_mov_b64 s[20:21], 0
	s_mov_b64 s[0:1], s[12:13]
.LBB480_290:
	s_and_b64 vcc, exec, s[24:25]
	s_cbranch_vccz .LBB480_295
; %bb.291:
	s_cmp_eq_u32 s29, 44
	s_mov_b64 s[0:1], -1
	s_cbranch_scc0 .LBB480_295
; %bb.292:
	v_cvt_f32_f16_e32 v3, v2
	s_movk_i32 s0, 0xff
	v_mov_b32_e32 v6, 0xff
	v_bfe_u32 v5, v3, 23, 8
	v_cmp_ne_u32_e32 vcc, s0, v5
	s_and_saveexec_b64 s[20:21], vcc
; %bb.293:
	s_mov_b32 s0, 0x3fffff
	v_lshrrev_b32_e32 v6, 23, v3
	v_and_b32_e32 v7, 0x400000, v3
	v_and_or_b32 v3, v3, s0, v5
	v_cmp_ne_u32_e32 vcc, 0, v7
	v_cmp_ne_u32_e64 s[0:1], 0, v3
	s_and_b64 s[0:1], vcc, s[0:1]
	s_nop 0
	v_cndmask_b32_e64 v3, 0, 1, s[0:1]
	v_add_u32_e32 v6, v6, v3
; %bb.294:
	s_or_b64 exec, exec, s[20:21]
	s_mov_b64 s[20:21], -1
	s_mov_b64 s[0:1], 0
	global_store_byte v[0:1], v6, off
.LBB480_295:
	s_mov_b64 s[24:25], 0
.LBB480_296:
	s_and_b64 vcc, exec, s[24:25]
	s_cbranch_vccz .LBB480_299
; %bb.297:
	s_cmp_eq_u32 s29, 29
	s_mov_b64 s[0:1], -1
	s_cbranch_scc0 .LBB480_299
; %bb.298:
	v_cvt_f32_f16_e32 v3, v2
	v_mov_b32_e32 v7, 0
	s_mov_b64 s[20:21], -1
	s_mov_b64 s[0:1], 0
	v_cvt_u32_f32_e32 v6, v3
	s_mov_b64 s[24:25], 0
	global_store_dwordx2 v[0:1], v[6:7], off
	s_branch .LBB480_300
.LBB480_299:
	s_mov_b64 s[24:25], 0
.LBB480_300:
	s_and_b64 vcc, exec, s[24:25]
	s_cbranch_vccz .LBB480_316
; %bb.301:
	s_cmp_lt_i32 s29, 27
	s_mov_b64 s[20:21], -1
	s_cbranch_scc1 .LBB480_307
; %bb.302:
	s_cmp_gt_i32 s29, 27
	s_cbranch_scc0 .LBB480_304
; %bb.303:
	v_cvt_f32_f16_e32 v3, v2
	s_mov_b64 s[20:21], 0
	v_cvt_u32_f32_e32 v3, v3
	global_store_dword v[0:1], v3, off
.LBB480_304:
	s_andn2_b64 vcc, exec, s[20:21]
	s_cbranch_vccnz .LBB480_306
; %bb.305:
	v_cvt_u16_f16_e32 v3, v2
	global_store_short v[0:1], v3, off
.LBB480_306:
	s_mov_b64 s[20:21], 0
.LBB480_307:
	s_andn2_b64 vcc, exec, s[20:21]
	s_cbranch_vccnz .LBB480_315
; %bb.308:
	v_cvt_f32_f16_e32 v3, v2
	s_mov_b32 s20, 0x43800000
	v_mov_b32_e32 v6, 0x80
	v_and_b32_e32 v5, 0x7fffffff, v3
	v_cmp_gt_u32_e32 vcc, s20, v5
	s_and_saveexec_b64 s[20:21], vcc
	s_cbranch_execz .LBB480_314
; %bb.309:
	s_mov_b32 s24, 0x3bffffff
	v_cmp_lt_u32_e32 vcc, s24, v5
	s_mov_b64 s[24:25], 0
                                        ; implicit-def: $vgpr5
	s_and_saveexec_b64 s[26:27], vcc
	s_xor_b64 s[26:27], exec, s[26:27]
	s_cbranch_execz .LBB480_526
; %bb.310:
	v_bfe_u32 v5, v3, 20, 1
	s_mov_b32 s30, 0x487ffff
	v_add3_u32 v5, v3, v5, s30
	s_mov_b64 s[24:25], exec
	v_lshrrev_b32_e32 v5, 20, v5
	s_andn2_saveexec_b64 s[26:27], s[26:27]
	s_cbranch_execnz .LBB480_527
.LBB480_311:
	s_or_b64 exec, exec, s[26:27]
	v_mov_b32_e32 v6, 0
	s_and_saveexec_b64 s[26:27], s[24:25]
.LBB480_312:
	v_lshrrev_b32_e32 v3, 24, v3
	s_movk_i32 s24, 0x80
	v_and_or_b32 v6, v3, s24, v5
.LBB480_313:
	s_or_b64 exec, exec, s[26:27]
.LBB480_314:
	s_or_b64 exec, exec, s[20:21]
	global_store_byte v[0:1], v6, off
.LBB480_315:
	s_mov_b64 s[20:21], -1
.LBB480_316:
	s_mov_b64 s[24:25], 0
.LBB480_317:
	s_and_b64 vcc, exec, s[24:25]
	s_cbranch_vccz .LBB480_358
; %bb.318:
	s_cmp_gt_i32 s29, 22
	s_mov_b64 s[24:25], -1
	s_cbranch_scc0 .LBB480_350
; %bb.319:
	s_cmp_lt_i32 s29, 24
	s_mov_b64 s[20:21], -1
	s_cbranch_scc1 .LBB480_339
; %bb.320:
	s_cmp_gt_i32 s29, 24
	s_cbranch_scc0 .LBB480_328
; %bb.321:
	v_cvt_f32_f16_e32 v3, v2
	s_mov_b32 s20, 0x47800000
	v_mov_b32_e32 v6, 0x80
	v_and_b32_e32 v5, 0x7fffffff, v3
	v_cmp_gt_u32_e32 vcc, s20, v5
	s_and_saveexec_b64 s[20:21], vcc
	s_cbranch_execz .LBB480_327
; %bb.322:
	s_mov_b32 s24, 0x37ffffff
	v_cmp_lt_u32_e32 vcc, s24, v5
	s_mov_b64 s[24:25], 0
                                        ; implicit-def: $vgpr5
	s_and_saveexec_b64 s[26:27], vcc
	s_xor_b64 s[26:27], exec, s[26:27]
	s_cbranch_execz .LBB480_529
; %bb.323:
	v_bfe_u32 v5, v3, 21, 1
	s_mov_b32 s30, 0x88fffff
	v_add3_u32 v5, v3, v5, s30
	s_mov_b64 s[24:25], exec
	v_lshrrev_b32_e32 v5, 21, v5
	s_andn2_saveexec_b64 s[26:27], s[26:27]
	s_cbranch_execnz .LBB480_530
.LBB480_324:
	s_or_b64 exec, exec, s[26:27]
	v_mov_b32_e32 v6, 0
	s_and_saveexec_b64 s[26:27], s[24:25]
.LBB480_325:
	v_lshrrev_b32_e32 v3, 24, v3
	s_movk_i32 s24, 0x80
	v_and_or_b32 v6, v3, s24, v5
.LBB480_326:
	s_or_b64 exec, exec, s[26:27]
.LBB480_327:
	s_or_b64 exec, exec, s[20:21]
	s_mov_b64 s[20:21], 0
	global_store_byte v[0:1], v6, off
.LBB480_328:
	s_and_b64 vcc, exec, s[20:21]
	s_cbranch_vccz .LBB480_338
; %bb.329:
	v_cvt_f32_f16_e32 v3, v2
	s_mov_b32 s20, 0x43f00000
                                        ; implicit-def: $vgpr5
	v_and_b32_e32 v6, 0x7fffffff, v3
	v_cmp_gt_u32_e32 vcc, s20, v6
	s_and_saveexec_b64 s[20:21], vcc
	s_xor_b64 s[20:21], exec, s[20:21]
	s_cbranch_execz .LBB480_335
; %bb.330:
	s_mov_b32 s24, 0x3c7fffff
	v_cmp_lt_u32_e32 vcc, s24, v6
                                        ; implicit-def: $vgpr5
	s_and_saveexec_b64 s[24:25], vcc
	s_xor_b64 s[24:25], exec, s[24:25]
; %bb.331:
	v_bfe_u32 v5, v3, 20, 1
	s_mov_b32 s26, 0x407ffff
	v_add3_u32 v5, v3, v5, s26
	v_lshrrev_b32_e32 v6, 20, v5
	v_and_b32_e32 v5, 0xff00000, v5
	s_mov_b32 s26, 0x7f00000
	v_mov_b32_e32 v7, 0x7e
	v_cmp_ne_u32_e32 vcc, s26, v5
	s_nop 1
	v_cndmask_b32_e32 v5, v7, v6, vcc
; %bb.332:
	s_andn2_saveexec_b64 s[24:25], s[24:25]
; %bb.333:
	s_mov_b32 s26, 0x46800000
	v_add_f32_e64 v5, |v3|, s26
; %bb.334:
	s_or_b64 exec, exec, s[24:25]
                                        ; implicit-def: $vgpr6
.LBB480_335:
	s_andn2_saveexec_b64 s[20:21], s[20:21]
; %bb.336:
	s_mov_b32 s24, 0x7f800000
	v_mov_b32_e32 v5, 0x7e
	v_mov_b32_e32 v7, 0x7f
	v_cmp_lt_u32_e32 vcc, s24, v6
	s_nop 1
	v_cndmask_b32_e32 v5, v5, v7, vcc
; %bb.337:
	s_or_b64 exec, exec, s[20:21]
	v_lshrrev_b32_e32 v3, 24, v3
	s_movk_i32 s20, 0x80
	v_and_or_b32 v3, v3, s20, v5
	global_store_byte v[0:1], v3, off
.LBB480_338:
	s_mov_b64 s[20:21], 0
.LBB480_339:
	s_andn2_b64 vcc, exec, s[20:21]
	s_cbranch_vccnz .LBB480_349
; %bb.340:
	v_cvt_f32_f16_e32 v3, v2
	s_mov_b32 s20, 0x47800000
                                        ; implicit-def: $vgpr5
	v_and_b32_e32 v6, 0x7fffffff, v3
	v_cmp_gt_u32_e32 vcc, s20, v6
	s_and_saveexec_b64 s[20:21], vcc
	s_xor_b64 s[20:21], exec, s[20:21]
	s_cbranch_execz .LBB480_346
; %bb.341:
	s_mov_b32 s24, 0x387fffff
	v_cmp_lt_u32_e32 vcc, s24, v6
                                        ; implicit-def: $vgpr5
	s_and_saveexec_b64 s[24:25], vcc
	s_xor_b64 s[24:25], exec, s[24:25]
; %bb.342:
	v_bfe_u32 v5, v3, 21, 1
	s_mov_b32 s26, 0x80fffff
	v_add3_u32 v5, v3, v5, s26
	v_lshrrev_b32_e32 v5, 21, v5
; %bb.343:
	s_andn2_saveexec_b64 s[24:25], s[24:25]
; %bb.344:
	s_mov_b32 s26, 0x43000000
	v_add_f32_e64 v5, |v3|, s26
; %bb.345:
	s_or_b64 exec, exec, s[24:25]
                                        ; implicit-def: $vgpr6
.LBB480_346:
	s_andn2_saveexec_b64 s[20:21], s[20:21]
; %bb.347:
	s_mov_b32 s24, 0x7f800000
	v_mov_b32_e32 v5, 0x7c
	v_mov_b32_e32 v7, 0x7f
	v_cmp_lt_u32_e32 vcc, s24, v6
	s_nop 1
	v_cndmask_b32_e32 v5, v5, v7, vcc
; %bb.348:
	s_or_b64 exec, exec, s[20:21]
	v_lshrrev_b32_e32 v3, 24, v3
	s_movk_i32 s20, 0x80
	v_and_or_b32 v3, v3, s20, v5
	global_store_byte v[0:1], v3, off
.LBB480_349:
	s_mov_b64 s[24:25], 0
	s_mov_b64 s[20:21], -1
.LBB480_350:
	s_andn2_b64 vcc, exec, s[24:25]
	s_cbranch_vccnz .LBB480_358
; %bb.351:
	s_cmp_gt_i32 s29, 14
	s_mov_b64 s[24:25], -1
	s_cbranch_scc0 .LBB480_355
; %bb.352:
	s_cmp_eq_u32 s29, 15
	s_mov_b64 s[0:1], -1
	s_cbranch_scc0 .LBB480_354
; %bb.353:
	v_cvt_f32_f16_e32 v3, v2
	s_movk_i32 s0, 0x7fff
	v_cmp_o_f16_e32 vcc, v2, v2
	v_mov_b32_e32 v5, 0x7fc0
	v_bfe_u32 v6, v3, 16, 1
	v_add3_u32 v3, v3, v6, s0
	v_cndmask_b32_sdwa v3, v5, v3, vcc dst_sel:DWORD dst_unused:UNUSED_PAD src0_sel:DWORD src1_sel:WORD_1
	global_store_short v[0:1], v3, off
	s_mov_b64 s[20:21], -1
	s_mov_b64 s[0:1], 0
.LBB480_354:
	s_mov_b64 s[24:25], 0
.LBB480_355:
	s_and_b64 vcc, exec, s[24:25]
	s_cbranch_vccz .LBB480_358
; %bb.356:
	s_cmp_eq_u32 s29, 11
	s_mov_b64 s[0:1], -1
	s_cbranch_scc0 .LBB480_358
; %bb.357:
	v_and_b32_e32 v3, 0x7fff, v2
	v_cmp_ne_u16_e32 vcc, 0, v3
	s_mov_b64 s[20:21], -1
	s_mov_b64 s[0:1], 0
	v_cndmask_b32_e64 v3, 0, 1, vcc
	global_store_byte v[0:1], v3, off
.LBB480_358:
	s_mov_b64 s[24:25], 0
.LBB480_359:
	s_and_b64 vcc, exec, s[24:25]
	s_cbranch_vccz .LBB480_398
; %bb.360:
	s_and_b32 s24, 0xffff, s28
	s_cmp_lt_i32 s24, 5
	s_mov_b64 s[20:21], -1
	s_cbranch_scc1 .LBB480_381
; %bb.361:
	s_cmp_lt_i32 s24, 8
	s_cbranch_scc1 .LBB480_371
; %bb.362:
	s_cmp_lt_i32 s24, 9
	s_cbranch_scc1 .LBB480_368
; %bb.363:
	s_cmp_gt_i32 s24, 9
	s_cbranch_scc0 .LBB480_365
; %bb.364:
	v_cvt_f32_f16_e32 v3, v2
	v_mov_b32_e32 v8, 0
	v_mov_b32_e32 v9, v8
	s_mov_b64 s[20:21], 0
	v_cvt_f64_f32_e32 v[6:7], v3
	global_store_dwordx4 v[0:1], v[6:9], off
.LBB480_365:
	s_andn2_b64 vcc, exec, s[20:21]
	s_cbranch_vccnz .LBB480_367
; %bb.366:
	v_cvt_f32_f16_e32 v6, v2
	v_mov_b32_e32 v7, 0
	global_store_dwordx2 v[0:1], v[6:7], off
.LBB480_367:
	s_mov_b64 s[20:21], 0
.LBB480_368:
	s_andn2_b64 vcc, exec, s[20:21]
	s_cbranch_vccnz .LBB480_370
; %bb.369:
	v_and_b32_e32 v3, 0xffff, v2
	global_store_dword v[0:1], v3, off
.LBB480_370:
	s_mov_b64 s[20:21], 0
.LBB480_371:
	s_andn2_b64 vcc, exec, s[20:21]
	s_cbranch_vccnz .LBB480_380
; %bb.372:
	s_cmp_lt_i32 s24, 6
	s_mov_b64 s[20:21], -1
	s_cbranch_scc1 .LBB480_378
; %bb.373:
	s_cmp_gt_i32 s24, 6
	s_cbranch_scc0 .LBB480_375
; %bb.374:
	v_cvt_f32_f16_e32 v3, v2
	s_mov_b64 s[20:21], 0
	v_cvt_f64_f32_e32 v[6:7], v3
	global_store_dwordx2 v[0:1], v[6:7], off
.LBB480_375:
	s_andn2_b64 vcc, exec, s[20:21]
	s_cbranch_vccnz .LBB480_377
; %bb.376:
	v_cvt_f32_f16_e32 v3, v2
	global_store_dword v[0:1], v3, off
.LBB480_377:
	s_mov_b64 s[20:21], 0
.LBB480_378:
	s_andn2_b64 vcc, exec, s[20:21]
	s_cbranch_vccnz .LBB480_380
; %bb.379:
	global_store_short v[0:1], v2, off
.LBB480_380:
	s_mov_b64 s[20:21], 0
.LBB480_381:
	s_andn2_b64 vcc, exec, s[20:21]
	s_cbranch_vccnz .LBB480_397
; %bb.382:
	s_cmp_lt_i32 s24, 2
	s_mov_b64 s[20:21], -1
	s_cbranch_scc1 .LBB480_392
; %bb.383:
	s_cmp_lt_i32 s24, 3
	s_cbranch_scc1 .LBB480_389
; %bb.384:
	s_cmp_gt_i32 s24, 3
	s_cbranch_scc0 .LBB480_386
; %bb.385:
	v_cvt_f32_f16_e32 v3, v2
	s_mov_b64 s[20:21], 0
	v_cvt_i32_f32_e32 v6, v3
	v_ashrrev_i32_e32 v7, 31, v6
	global_store_dwordx2 v[0:1], v[6:7], off
.LBB480_386:
	s_andn2_b64 vcc, exec, s[20:21]
	s_cbranch_vccnz .LBB480_388
; %bb.387:
	v_cvt_f32_f16_e32 v3, v2
	v_cvt_i32_f32_e32 v3, v3
	global_store_dword v[0:1], v3, off
.LBB480_388:
	s_mov_b64 s[20:21], 0
.LBB480_389:
	s_andn2_b64 vcc, exec, s[20:21]
	s_cbranch_vccnz .LBB480_391
; %bb.390:
	v_cvt_i16_f16_e32 v3, v2
	global_store_short v[0:1], v3, off
.LBB480_391:
	s_mov_b64 s[20:21], 0
.LBB480_392:
	s_andn2_b64 vcc, exec, s[20:21]
	s_cbranch_vccnz .LBB480_397
; %bb.393:
	s_cmp_gt_i32 s24, 0
	s_mov_b64 s[20:21], -1
	s_cbranch_scc0 .LBB480_395
; %bb.394:
	v_cvt_i16_f16_e32 v3, v2
	s_mov_b64 s[20:21], 0
	global_store_byte v[0:1], v3, off
.LBB480_395:
	s_andn2_b64 vcc, exec, s[20:21]
	s_cbranch_vccnz .LBB480_397
; %bb.396:
	v_cvt_f32_f16_e32 v2, v2
	v_cvt_i32_f32_e32 v2, v2
	global_store_byte v[0:1], v2, off
.LBB480_397:
	s_mov_b64 s[20:21], -1
.LBB480_398:
	s_andn2_b64 vcc, exec, s[20:21]
	s_cbranch_vccnz .LBB480_400
; %bb.399:
	v_add_u32_e32 v4, 0x80, v4
	s_mov_b64 s[24:25], -1
	s_branch .LBB480_512
.LBB480_400:
	s_mov_b64 s[24:25], 0
                                        ; implicit-def: $vgpr4
	s_branch .LBB480_512
.LBB480_401:
	s_mov_b64 s[18:19], -1
                                        ; implicit-def: $vgpr2
.LBB480_402:
	s_mov_b64 s[20:21], 0
.LBB480_403:
	s_and_b64 vcc, exec, s[20:21]
	s_cbranch_vccz .LBB480_407
; %bb.404:
	s_cmp_eq_u32 s26, 29
	s_cbranch_scc0 .LBB480_406
; %bb.405:
	global_load_dwordx2 v[2:3], v[0:1], off
	s_mov_b64 s[0:1], -1
	s_mov_b64 s[18:19], 0
	s_mov_b64 s[20:21], 0
	s_waitcnt vmcnt(0)
	v_ffbh_u32_e32 v5, v3
	v_min_u32_e32 v5, 32, v5
	v_lshlrev_b64 v[2:3], v5, v[2:3]
	v_min_u32_e32 v2, 1, v2
	v_or_b32_e32 v2, v3, v2
	v_cvt_f32_u32_e32 v2, v2
	v_sub_u32_e32 v3, 32, v5
	v_ldexp_f32 v2, v2, v3
	v_cvt_f16_f32_e32 v2, v2
	s_branch .LBB480_408
.LBB480_406:
	s_mov_b64 s[18:19], -1
                                        ; implicit-def: $vgpr2
.LBB480_407:
	s_mov_b64 s[20:21], 0
.LBB480_408:
	s_and_b64 vcc, exec, s[20:21]
	s_cbranch_vccz .LBB480_426
; %bb.409:
	s_cmp_lt_i32 s26, 27
	s_cbranch_scc1 .LBB480_412
; %bb.410:
	s_cmp_gt_i32 s26, 27
	s_cbranch_scc0 .LBB480_413
; %bb.411:
	global_load_dword v2, v[0:1], off
	s_mov_b64 s[0:1], 0
	s_waitcnt vmcnt(0)
	v_cvt_f32_u32_e32 v2, v2
	v_cvt_f16_f32_e32 v2, v2
	s_branch .LBB480_414
.LBB480_412:
	s_mov_b64 s[0:1], -1
                                        ; implicit-def: $vgpr2
	s_branch .LBB480_417
.LBB480_413:
	s_mov_b64 s[0:1], -1
                                        ; implicit-def: $vgpr2
.LBB480_414:
	s_andn2_b64 vcc, exec, s[0:1]
	s_cbranch_vccnz .LBB480_416
; %bb.415:
	global_load_ushort v2, v[0:1], off
	s_waitcnt vmcnt(0)
	v_cvt_f16_u16_e32 v2, v2
.LBB480_416:
	s_mov_b64 s[0:1], 0
.LBB480_417:
	s_andn2_b64 vcc, exec, s[0:1]
	s_cbranch_vccnz .LBB480_425
; %bb.418:
	global_load_ubyte v3, v[0:1], off
	s_movk_i32 s0, 0x7f
	s_waitcnt vmcnt(0)
	v_cmp_lt_i16_e32 vcc, s0, v3
	s_mov_b64 s[0:1], 0
	s_and_saveexec_b64 s[20:21], vcc
	s_xor_b64 s[20:21], exec, s[20:21]
	s_cbranch_execz .LBB480_439
; %bb.419:
	s_movk_i32 s0, 0x80
	v_cmp_eq_u16_e32 vcc, s0, v3
	s_mov_b64 s[0:1], -1
	s_and_saveexec_b64 s[24:25], vcc
; %bb.420:
	s_xor_b64 s[0:1], exec, -1
; %bb.421:
	s_or_b64 exec, exec, s[24:25]
	s_and_b64 s[0:1], s[0:1], exec
	s_or_saveexec_b64 s[20:21], s[20:21]
	v_mov_b32_e32 v2, 0x7e00
	s_xor_b64 exec, exec, s[20:21]
	s_cbranch_execnz .LBB480_440
.LBB480_422:
	s_or_b64 exec, exec, s[20:21]
	s_and_saveexec_b64 s[20:21], s[0:1]
	s_cbranch_execz .LBB480_424
.LBB480_423:
	v_lshlrev_b32_e32 v2, 24, v3
	v_and_b32_e32 v3, 0xffff, v3
	v_and_b32_e32 v5, 7, v3
	v_ffbh_u32_e32 v7, v5
	v_min_u32_e32 v7, 32, v7
	v_subrev_u32_e32 v8, 28, v7
	v_bfe_u32 v6, v3, 3, 4
	v_lshlrev_b32_e32 v3, v8, v3
	v_sub_u32_e32 v7, 29, v7
	v_and_b32_e32 v3, 7, v3
	v_cmp_eq_u32_e32 vcc, 0, v6
	v_and_b32_e32 v2, 0x80000000, v2
	s_nop 0
	v_cndmask_b32_e32 v6, v6, v7, vcc
	v_cndmask_b32_e32 v3, v5, v3, vcc
	v_mov_b32_e32 v5, 0x3b800000
	v_lshlrev_b32_e32 v3, 20, v3
	v_lshl_add_u32 v5, v6, 23, v5
	v_or3_b32 v2, v2, v5, v3
	v_cvt_f16_f32_e32 v2, v2
.LBB480_424:
	s_or_b64 exec, exec, s[20:21]
.LBB480_425:
	s_mov_b64 s[0:1], -1
.LBB480_426:
	s_mov_b64 s[20:21], 0
.LBB480_427:
	s_and_b64 vcc, exec, s[20:21]
	s_cbranch_vccz .LBB480_462
; %bb.428:
	s_cmp_gt_i32 s26, 22
	s_cbranch_scc0 .LBB480_438
; %bb.429:
	s_cmp_lt_i32 s26, 24
	s_cbranch_scc1 .LBB480_441
; %bb.430:
	s_cmp_gt_i32 s26, 24
	s_cbranch_scc0 .LBB480_442
; %bb.431:
	global_load_ubyte v3, v[0:1], off
	s_movk_i32 s0, 0x7f
	s_waitcnt vmcnt(0)
	v_cmp_lt_i16_e32 vcc, s0, v3
	s_mov_b64 s[0:1], 0
	s_and_saveexec_b64 s[20:21], vcc
	s_xor_b64 s[20:21], exec, s[20:21]
	s_cbranch_execz .LBB480_454
; %bb.432:
	s_movk_i32 s0, 0x80
	v_cmp_eq_u16_e32 vcc, s0, v3
	s_mov_b64 s[0:1], -1
	s_and_saveexec_b64 s[24:25], vcc
; %bb.433:
	s_xor_b64 s[0:1], exec, -1
; %bb.434:
	s_or_b64 exec, exec, s[24:25]
	s_and_b64 s[0:1], s[0:1], exec
	s_or_saveexec_b64 s[20:21], s[20:21]
	v_mov_b32_e32 v2, 0x7e00
	s_xor_b64 exec, exec, s[20:21]
	s_cbranch_execnz .LBB480_455
.LBB480_435:
	s_or_b64 exec, exec, s[20:21]
	s_and_saveexec_b64 s[20:21], s[0:1]
	s_cbranch_execz .LBB480_437
.LBB480_436:
	v_lshlrev_b32_e32 v2, 24, v3
	v_and_b32_e32 v3, 0xffff, v3
	v_and_b32_e32 v5, 3, v3
	v_ffbh_u32_e32 v7, v5
	v_min_u32_e32 v7, 32, v7
	v_subrev_u32_e32 v8, 29, v7
	v_bfe_u32 v6, v3, 2, 5
	v_lshlrev_b32_e32 v3, v8, v3
	v_sub_u32_e32 v7, 30, v7
	v_and_b32_e32 v3, 3, v3
	v_cmp_eq_u32_e32 vcc, 0, v6
	v_and_b32_e32 v2, 0x80000000, v2
	s_nop 0
	v_cndmask_b32_e32 v6, v6, v7, vcc
	v_cndmask_b32_e32 v3, v5, v3, vcc
	v_mov_b32_e32 v5, 0x37800000
	v_lshlrev_b32_e32 v3, 21, v3
	v_lshl_add_u32 v5, v6, 23, v5
	v_or3_b32 v2, v2, v5, v3
	v_cvt_f16_f32_e32 v2, v2
.LBB480_437:
	s_or_b64 exec, exec, s[20:21]
	s_mov_b64 s[0:1], 0
	s_branch .LBB480_443
.LBB480_438:
	s_mov_b64 s[20:21], -1
                                        ; implicit-def: $vgpr2
	s_branch .LBB480_449
.LBB480_439:
	s_or_saveexec_b64 s[20:21], s[20:21]
	v_mov_b32_e32 v2, 0x7e00
	s_xor_b64 exec, exec, s[20:21]
	s_cbranch_execz .LBB480_422
.LBB480_440:
	v_cmp_ne_u16_e32 vcc, 0, v3
	s_andn2_b64 s[0:1], s[0:1], exec
	s_and_b64 s[24:25], vcc, exec
	s_or_b64 s[0:1], s[0:1], s[24:25]
	v_mov_b32_e32 v2, v3
	s_or_b64 exec, exec, s[20:21]
	s_and_saveexec_b64 s[20:21], s[0:1]
	s_cbranch_execnz .LBB480_423
	s_branch .LBB480_424
.LBB480_441:
	s_mov_b64 s[0:1], -1
                                        ; implicit-def: $vgpr2
	s_branch .LBB480_446
.LBB480_442:
	s_mov_b64 s[0:1], -1
                                        ; implicit-def: $vgpr2
.LBB480_443:
	s_and_b64 vcc, exec, s[0:1]
	s_cbranch_vccz .LBB480_445
; %bb.444:
	global_load_ubyte v2, v[0:1], off
	s_mov_b32 s0, 0x7f800000
	s_waitcnt vmcnt(0)
	v_lshlrev_b32_e32 v2, 24, v2
	v_and_b32_e32 v3, 0x7f000000, v2
	v_ffbh_u32_e32 v5, v3
	v_min_u32_e32 v5, 32, v5
	v_sub_u32_e64 v5, v5, 4 clamp
	v_lshlrev_b32_e32 v7, v5, v3
	v_lshlrev_b32_e32 v5, 23, v5
	v_lshrrev_b32_e32 v7, 4, v7
	v_add_u32_e32 v6, 0x1000000, v3
	v_sub_u32_e32 v5, v7, v5
	v_ashrrev_i32_e32 v6, 8, v6
	v_add_u32_e32 v5, 0x3c000000, v5
	v_and_or_b32 v5, v6, s0, v5
	v_cmp_ne_u32_e32 vcc, 0, v3
	s_brev_b32 s0, 1
	s_nop 0
	v_cndmask_b32_e32 v3, 0, v5, vcc
	v_and_or_b32 v2, v2, s0, v3
	v_cvt_f16_f32_e32 v2, v2
.LBB480_445:
	s_mov_b64 s[0:1], 0
.LBB480_446:
	s_andn2_b64 vcc, exec, s[0:1]
	s_cbranch_vccnz .LBB480_448
; %bb.447:
	global_load_ubyte v2, v[0:1], off
	s_movk_i32 s0, 0x7f00
	s_brev_b32 s1, 16
	s_waitcnt vmcnt(0)
	v_lshlrev_b16_e32 v3, 8, v2
	v_lshlrev_b32_e32 v2, 25, v2
	v_lshrrev_b32_e32 v5, 4, v2
	v_and_or_b32 v6, v3, s0, 0.5
	v_or_b32_e32 v5, 0x70000000, v5
	v_add_f32_e32 v6, -0.5, v6
	v_mul_f32_e32 v5, 0x7800000, v5
	v_cmp_gt_u32_e32 vcc, s1, v2
	v_bfe_i32 v3, v3, 0, 16
	s_brev_b32 s0, 1
	v_cndmask_b32_e32 v2, v5, v6, vcc
	v_and_or_b32 v2, v3, s0, v2
	v_cvt_f16_f32_e32 v2, v2
.LBB480_448:
	s_mov_b64 s[20:21], 0
	s_mov_b64 s[0:1], -1
.LBB480_449:
	s_andn2_b64 vcc, exec, s[20:21]
	s_cbranch_vccnz .LBB480_462
; %bb.450:
	s_cmp_gt_i32 s26, 14
	s_cbranch_scc0 .LBB480_453
; %bb.451:
	s_cmp_eq_u32 s26, 15
	s_cbranch_scc0 .LBB480_456
; %bb.452:
	global_load_ushort v2, v[0:1], off
	s_mov_b64 s[0:1], -1
	s_mov_b64 s[18:19], 0
	s_waitcnt vmcnt(0)
	v_lshlrev_b32_e32 v2, 16, v2
	v_cvt_f16_f32_e32 v2, v2
	s_branch .LBB480_457
.LBB480_453:
	s_mov_b64 s[20:21], -1
                                        ; implicit-def: $vgpr2
	s_branch .LBB480_458
.LBB480_454:
	s_or_saveexec_b64 s[20:21], s[20:21]
	v_mov_b32_e32 v2, 0x7e00
	s_xor_b64 exec, exec, s[20:21]
	s_cbranch_execz .LBB480_435
.LBB480_455:
	v_cmp_ne_u16_e32 vcc, 0, v3
	s_andn2_b64 s[0:1], s[0:1], exec
	s_and_b64 s[24:25], vcc, exec
	s_or_b64 s[0:1], s[0:1], s[24:25]
	v_mov_b32_e32 v2, v3
	s_or_b64 exec, exec, s[20:21]
	s_and_saveexec_b64 s[20:21], s[0:1]
	s_cbranch_execnz .LBB480_436
	s_branch .LBB480_437
.LBB480_456:
	s_mov_b64 s[18:19], -1
                                        ; implicit-def: $vgpr2
.LBB480_457:
	s_mov_b64 s[20:21], 0
.LBB480_458:
	s_and_b64 vcc, exec, s[20:21]
	s_cbranch_vccz .LBB480_462
; %bb.459:
	s_cmp_eq_u32 s26, 11
	s_cbranch_scc0 .LBB480_461
; %bb.460:
	global_load_ubyte v2, v[0:1], off
	v_mov_b32_e32 v3, 0x3c00
	s_mov_b64 s[0:1], -1
	s_mov_b64 s[18:19], 0
	s_waitcnt vmcnt(0)
	v_cmp_ne_u16_e32 vcc, 0, v2
	s_nop 1
	v_cndmask_b32_e32 v2, 0, v3, vcc
	s_branch .LBB480_462
.LBB480_461:
	s_mov_b64 s[18:19], -1
                                        ; implicit-def: $vgpr2
.LBB480_462:
	s_branch .LBB480_265
.LBB480_463:
	s_cmp_lt_i32 s26, 5
	s_cbranch_scc1 .LBB480_468
; %bb.464:
	s_cmp_lt_i32 s26, 8
	s_cbranch_scc1 .LBB480_469
; %bb.465:
	;; [unrolled: 3-line block ×3, first 2 shown]
	s_cmp_gt_i32 s26, 9
	s_cbranch_scc0 .LBB480_471
; %bb.467:
	global_load_dwordx2 v[2:3], v[0:1], off
	s_movk_i32 s0, 0x1ff
	s_movk_i32 s1, 0xffe
	v_mov_b32_e32 v5, 0x7c00
	v_mov_b32_e32 v6, 0x7e00
	s_movk_i32 s20, 0x40f
	s_mov_b32 s21, 0x8000
	s_waitcnt vmcnt(0)
	v_and_or_b32 v2, v3, s0, v2
	v_cmp_ne_u32_e32 vcc, 0, v2
	v_lshrrev_b32_e32 v7, 8, v3
	v_bfe_u32 v8, v3, 20, 11
	v_cndmask_b32_e64 v2, 0, 1, vcc
	v_sub_u32_e32 v9, 0x3f1, v8
	v_and_or_b32 v2, v7, s1, v2
	v_add_u32_e32 v8, 0xfffffc10, v8
	v_med3_i32 v7, v9, 0, 13
	v_or_b32_e32 v9, 0x1000, v2
	v_cmp_ne_u32_e32 vcc, 0, v2
	v_lshl_or_b32 v10, v8, 12, v2
	v_lshrrev_b32_e32 v3, 16, v3
	v_cndmask_b32_e32 v2, v5, v6, vcc
	v_lshrrev_b32_e32 v6, v7, v9
	v_lshlrev_b32_e32 v7, v7, v6
	v_cmp_ne_u32_e32 vcc, v7, v9
	s_mov_b64 s[0:1], 0
	s_nop 0
	v_cndmask_b32_e64 v7, 0, 1, vcc
	v_or_b32_e32 v6, v6, v7
	v_cmp_gt_i32_e32 vcc, 1, v8
	s_nop 1
	v_cndmask_b32_e32 v6, v10, v6, vcc
	v_and_b32_e32 v7, 7, v6
	v_cmp_lt_i32_e32 vcc, 5, v7
	v_lshrrev_b32_e32 v6, 2, v6
	s_nop 0
	v_cndmask_b32_e64 v9, 0, 1, vcc
	v_cmp_eq_u32_e32 vcc, 3, v7
	s_nop 1
	v_cndmask_b32_e64 v7, 0, 1, vcc
	v_or_b32_e32 v7, v7, v9
	v_add_u32_e32 v6, v6, v7
	v_cmp_gt_i32_e32 vcc, 31, v8
	s_nop 1
	v_cndmask_b32_e32 v5, v5, v6, vcc
	v_cmp_eq_u32_e32 vcc, s20, v8
	s_nop 1
	v_cndmask_b32_e32 v2, v5, v2, vcc
	v_and_or_b32 v2, v3, s21, v2
	s_branch .LBB480_472
.LBB480_468:
	s_mov_b64 s[0:1], -1
                                        ; implicit-def: $vgpr2
	s_branch .LBB480_490
.LBB480_469:
	s_mov_b64 s[0:1], -1
                                        ; implicit-def: $vgpr2
	s_branch .LBB480_478
.LBB480_470:
	s_mov_b64 s[0:1], -1
                                        ; implicit-def: $vgpr2
	s_branch .LBB480_475
.LBB480_471:
	s_mov_b64 s[0:1], -1
                                        ; implicit-def: $vgpr2
.LBB480_472:
	s_andn2_b64 vcc, exec, s[0:1]
	s_cbranch_vccnz .LBB480_474
; %bb.473:
	global_load_dword v2, v[0:1], off
	s_waitcnt vmcnt(0)
	v_cvt_f16_f32_e32 v2, v2
.LBB480_474:
	s_mov_b64 s[0:1], 0
.LBB480_475:
	s_andn2_b64 vcc, exec, s[0:1]
	s_cbranch_vccnz .LBB480_477
; %bb.476:
	global_load_dword v2, v[0:1], off
.LBB480_477:
	s_mov_b64 s[0:1], 0
.LBB480_478:
	s_andn2_b64 vcc, exec, s[0:1]
	s_cbranch_vccnz .LBB480_489
; %bb.479:
	s_cmp_lt_i32 s26, 6
	s_cbranch_scc1 .LBB480_482
; %bb.480:
	s_cmp_gt_i32 s26, 6
	s_cbranch_scc0 .LBB480_483
; %bb.481:
	global_load_dwordx2 v[2:3], v[0:1], off
	s_movk_i32 s0, 0x1ff
	s_movk_i32 s1, 0xffe
	v_mov_b32_e32 v5, 0x7c00
	v_mov_b32_e32 v6, 0x7e00
	s_movk_i32 s20, 0x40f
	s_mov_b32 s21, 0x8000
	s_waitcnt vmcnt(0)
	v_and_or_b32 v2, v3, s0, v2
	v_cmp_ne_u32_e32 vcc, 0, v2
	v_lshrrev_b32_e32 v7, 8, v3
	v_bfe_u32 v8, v3, 20, 11
	v_cndmask_b32_e64 v2, 0, 1, vcc
	v_sub_u32_e32 v9, 0x3f1, v8
	v_and_or_b32 v2, v7, s1, v2
	v_add_u32_e32 v8, 0xfffffc10, v8
	v_med3_i32 v7, v9, 0, 13
	v_or_b32_e32 v9, 0x1000, v2
	v_cmp_ne_u32_e32 vcc, 0, v2
	v_lshl_or_b32 v10, v8, 12, v2
	v_lshrrev_b32_e32 v3, 16, v3
	v_cndmask_b32_e32 v2, v5, v6, vcc
	v_lshrrev_b32_e32 v6, v7, v9
	v_lshlrev_b32_e32 v7, v7, v6
	v_cmp_ne_u32_e32 vcc, v7, v9
	s_mov_b64 s[0:1], 0
	s_nop 0
	v_cndmask_b32_e64 v7, 0, 1, vcc
	v_or_b32_e32 v6, v6, v7
	v_cmp_gt_i32_e32 vcc, 1, v8
	s_nop 1
	v_cndmask_b32_e32 v6, v10, v6, vcc
	v_and_b32_e32 v7, 7, v6
	v_cmp_lt_i32_e32 vcc, 5, v7
	v_lshrrev_b32_e32 v6, 2, v6
	s_nop 0
	v_cndmask_b32_e64 v9, 0, 1, vcc
	v_cmp_eq_u32_e32 vcc, 3, v7
	s_nop 1
	v_cndmask_b32_e64 v7, 0, 1, vcc
	v_or_b32_e32 v7, v7, v9
	v_add_u32_e32 v6, v6, v7
	v_cmp_gt_i32_e32 vcc, 31, v8
	s_nop 1
	v_cndmask_b32_e32 v5, v5, v6, vcc
	v_cmp_eq_u32_e32 vcc, s20, v8
	s_nop 1
	v_cndmask_b32_e32 v2, v5, v2, vcc
	v_and_or_b32 v2, v3, s21, v2
	s_branch .LBB480_484
.LBB480_482:
	s_mov_b64 s[0:1], -1
                                        ; implicit-def: $vgpr2
	s_branch .LBB480_487
.LBB480_483:
	s_mov_b64 s[0:1], -1
                                        ; implicit-def: $vgpr2
.LBB480_484:
	s_andn2_b64 vcc, exec, s[0:1]
	s_cbranch_vccnz .LBB480_486
; %bb.485:
	global_load_dword v2, v[0:1], off
	s_waitcnt vmcnt(0)
	v_cvt_f16_f32_e32 v2, v2
.LBB480_486:
	s_mov_b64 s[0:1], 0
.LBB480_487:
	s_andn2_b64 vcc, exec, s[0:1]
	s_cbranch_vccnz .LBB480_489
; %bb.488:
	global_load_ushort v2, v[0:1], off
.LBB480_489:
	s_mov_b64 s[0:1], 0
.LBB480_490:
	s_andn2_b64 vcc, exec, s[0:1]
	s_cbranch_vccnz .LBB480_510
; %bb.491:
	s_cmp_lt_i32 s26, 2
	s_cbranch_scc1 .LBB480_495
; %bb.492:
	s_cmp_lt_i32 s26, 3
	s_cbranch_scc1 .LBB480_496
; %bb.493:
	s_cmp_gt_i32 s26, 3
	s_cbranch_scc0 .LBB480_497
; %bb.494:
	global_load_dwordx2 v[2:3], v[0:1], off
	s_mov_b64 s[0:1], 0
	s_waitcnt vmcnt(0)
	v_xor_b32_e32 v6, v2, v3
	v_ffbh_i32_e32 v5, v3
	v_ashrrev_i32_e32 v6, 31, v6
	v_add_u32_e32 v5, -1, v5
	v_add_u32_e32 v6, 32, v6
	v_min_u32_e32 v5, v5, v6
	v_lshlrev_b64 v[2:3], v5, v[2:3]
	v_min_u32_e32 v2, 1, v2
	v_or_b32_e32 v2, v3, v2
	v_cvt_f32_i32_e32 v2, v2
	v_sub_u32_e32 v3, 32, v5
	v_ldexp_f32 v2, v2, v3
	v_cvt_f16_f32_e32 v2, v2
	s_branch .LBB480_498
.LBB480_495:
	s_mov_b64 s[0:1], -1
                                        ; implicit-def: $vgpr2
	s_branch .LBB480_504
.LBB480_496:
	s_mov_b64 s[0:1], -1
                                        ; implicit-def: $vgpr2
	s_branch .LBB480_501
.LBB480_497:
	s_mov_b64 s[0:1], -1
                                        ; implicit-def: $vgpr2
.LBB480_498:
	s_andn2_b64 vcc, exec, s[0:1]
	s_cbranch_vccnz .LBB480_500
; %bb.499:
	global_load_dword v2, v[0:1], off
	s_waitcnt vmcnt(0)
	v_cvt_f32_i32_e32 v2, v2
	v_cvt_f16_f32_e32 v2, v2
.LBB480_500:
	s_mov_b64 s[0:1], 0
.LBB480_501:
	s_andn2_b64 vcc, exec, s[0:1]
	s_cbranch_vccnz .LBB480_503
; %bb.502:
	global_load_ushort v2, v[0:1], off
	s_waitcnt vmcnt(0)
	v_cvt_f16_i16_e32 v2, v2
.LBB480_503:
	s_mov_b64 s[0:1], 0
.LBB480_504:
	s_andn2_b64 vcc, exec, s[0:1]
	s_cbranch_vccnz .LBB480_510
; %bb.505:
	s_cmp_gt_i32 s26, 0
	s_cbranch_scc0 .LBB480_507
; %bb.506:
	global_load_sbyte v2, v[0:1], off
	s_mov_b64 s[0:1], 0
	s_waitcnt vmcnt(0)
	v_cvt_f16_i16_e32 v2, v2
	s_branch .LBB480_508
.LBB480_507:
	s_mov_b64 s[0:1], -1
                                        ; implicit-def: $vgpr2
.LBB480_508:
	s_andn2_b64 vcc, exec, s[0:1]
	s_cbranch_vccnz .LBB480_510
; %bb.509:
	global_load_ubyte v0, v[0:1], off
	s_waitcnt vmcnt(0)
	v_cvt_f16_u16_e32 v2, v0
.LBB480_510:
	s_branch .LBB480_266
.LBB480_511:
	s_mov_b64 s[24:25], 0
                                        ; implicit-def: $vgpr4
	s_mov_b64 s[0:1], s[12:13]
.LBB480_512:
	s_andn2_b64 s[20:21], s[12:13], exec
	s_and_b64 s[0:1], s[0:1], exec
	s_or_b64 s[20:21], s[20:21], s[0:1]
	s_andn2_b64 s[0:1], s[14:15], exec
	s_and_b64 s[18:19], s[18:19], exec
	s_or_b64 s[18:19], s[0:1], s[18:19]
	s_orn2_b64 s[0:1], s[24:25], exec
.LBB480_513:
	s_or_b64 exec, exec, s[22:23]
	s_mov_b64 s[24:25], 0
	s_mov_b64 s[26:27], 0
	;; [unrolled: 1-line block ×3, first 2 shown]
                                        ; implicit-def: $vgpr0_vgpr1
                                        ; implicit-def: $vgpr3
	s_and_saveexec_b64 s[22:23], s[0:1]
	s_cbranch_execz .LBB480_858
; %bb.514:
	v_cmp_gt_i32_e32 vcc, s38, v4
	s_mov_b64 s[34:35], -1
	s_mov_b64 s[0:1], s[18:19]
	s_mov_b64 s[28:29], s[20:21]
	s_and_saveexec_b64 s[24:25], vcc
	s_cbranch_execz .LBB480_772
; %bb.515:
	v_mul_lo_u32 v0, v4, s9
	v_ashrrev_i32_e32 v1, 31, v0
	s_and_b32 s34, 0xffff, s43
	s_cmp_lt_i32 s34, 11
	v_lshl_add_u64 v[0:1], s[6:7], 0, v[0:1]
	s_cbranch_scc1 .LBB480_522
; %bb.516:
	s_cmp_gt_i32 s34, 25
	s_cbranch_scc0 .LBB480_523
; %bb.517:
	s_cmp_gt_i32 s34, 28
	s_cbranch_scc0 .LBB480_524
	;; [unrolled: 3-line block ×4, first 2 shown]
; %bb.520:
	s_cmp_eq_u32 s34, 46
	s_mov_b64 s[28:29], 0
	s_cbranch_scc0 .LBB480_531
; %bb.521:
	global_load_dword v2, v[0:1], off
	s_mov_b64 s[0:1], -1
	s_waitcnt vmcnt(0)
	v_lshlrev_b32_e32 v2, 16, v2
	v_cvt_f16_f32_e32 v2, v2
	s_branch .LBB480_532
.LBB480_522:
	s_mov_b64 s[28:29], -1
	s_mov_b64 s[0:1], 0
                                        ; implicit-def: $vgpr2
	s_mov_b64 s[26:27], s[18:19]
	s_branch .LBB480_597
.LBB480_523:
	s_mov_b64 s[28:29], -1
	s_mov_b64 s[0:1], 0
	s_mov_b64 s[26:27], s[18:19]
                                        ; implicit-def: $vgpr2
	s_branch .LBB480_561
.LBB480_524:
	s_mov_b64 s[28:29], -1
	s_mov_b64 s[0:1], 0
	s_mov_b64 s[26:27], s[18:19]
                                        ; implicit-def: $vgpr2
	s_branch .LBB480_542
.LBB480_525:
	s_mov_b64 s[28:29], -1
	s_mov_b64 s[0:1], 0
	s_mov_b64 s[26:27], s[18:19]
                                        ; implicit-def: $vgpr2
	s_branch .LBB480_537
.LBB480_526:
	s_andn2_saveexec_b64 s[26:27], s[26:27]
	s_cbranch_execz .LBB480_311
.LBB480_527:
	s_mov_b32 s30, 0x46000000
	v_add_f32_e64 v5, |v3|, s30
	v_and_b32_e32 v5, 0xff, v5
	v_cmp_ne_u32_e32 vcc, 0, v5
	s_andn2_b64 s[24:25], s[24:25], exec
	s_and_b64 s[30:31], vcc, exec
	s_or_b64 s[24:25], s[24:25], s[30:31]
	s_or_b64 exec, exec, s[26:27]
	v_mov_b32_e32 v6, 0
	s_and_saveexec_b64 s[26:27], s[24:25]
	s_cbranch_execnz .LBB480_312
	s_branch .LBB480_313
.LBB480_528:
	s_mov_b64 s[28:29], -1
	s_mov_b64 s[0:1], 0
	s_mov_b64 s[26:27], s[18:19]
                                        ; implicit-def: $vgpr2
	s_branch .LBB480_532
.LBB480_529:
	s_andn2_saveexec_b64 s[26:27], s[26:27]
	s_cbranch_execz .LBB480_324
.LBB480_530:
	s_mov_b32 s30, 0x42800000
	v_add_f32_e64 v5, |v3|, s30
	v_and_b32_e32 v5, 0xff, v5
	v_cmp_ne_u32_e32 vcc, 0, v5
	s_andn2_b64 s[24:25], s[24:25], exec
	s_and_b64 s[30:31], vcc, exec
	s_or_b64 s[24:25], s[24:25], s[30:31]
	s_or_b64 exec, exec, s[26:27]
	v_mov_b32_e32 v6, 0
	s_and_saveexec_b64 s[26:27], s[24:25]
	s_cbranch_execnz .LBB480_325
	s_branch .LBB480_326
.LBB480_531:
	s_mov_b64 s[26:27], -1
                                        ; implicit-def: $vgpr2
	s_mov_b64 s[0:1], 0
.LBB480_532:
	s_and_b64 vcc, exec, s[28:29]
	s_cbranch_vccz .LBB480_536
; %bb.533:
	s_cmp_eq_u32 s34, 44
	s_cbranch_scc0 .LBB480_535
; %bb.534:
	global_load_ubyte v2, v[0:1], off
	s_movk_i32 s26, 0xff
	v_mov_b32_e32 v5, 0x7e00
	s_mov_b64 s[0:1], -1
	s_waitcnt vmcnt(0)
	v_lshlrev_b32_e32 v3, 23, v2
	v_cvt_f16_f32_e32 v3, v3
	v_cmp_ne_u32_e32 vcc, s26, v2
	s_mov_b64 s[26:27], 0
	s_nop 0
	v_cndmask_b32_e32 v3, v5, v3, vcc
	v_cmp_ne_u32_e32 vcc, 0, v2
	s_nop 1
	v_cndmask_b32_e32 v2, 0, v3, vcc
	s_branch .LBB480_536
.LBB480_535:
	s_mov_b64 s[26:27], -1
                                        ; implicit-def: $vgpr2
.LBB480_536:
	s_mov_b64 s[28:29], 0
.LBB480_537:
	s_and_b64 vcc, exec, s[28:29]
	s_cbranch_vccz .LBB480_541
; %bb.538:
	s_cmp_eq_u32 s34, 29
	s_cbranch_scc0 .LBB480_540
; %bb.539:
	global_load_dwordx2 v[2:3], v[0:1], off
	s_mov_b64 s[0:1], -1
	s_mov_b64 s[26:27], 0
	s_mov_b64 s[28:29], 0
	s_waitcnt vmcnt(0)
	v_ffbh_u32_e32 v5, v3
	v_min_u32_e32 v5, 32, v5
	v_lshlrev_b64 v[2:3], v5, v[2:3]
	v_min_u32_e32 v2, 1, v2
	v_or_b32_e32 v2, v3, v2
	v_cvt_f32_u32_e32 v2, v2
	v_sub_u32_e32 v3, 32, v5
	v_ldexp_f32 v2, v2, v3
	v_cvt_f16_f32_e32 v2, v2
	s_branch .LBB480_542
.LBB480_540:
	s_mov_b64 s[26:27], -1
                                        ; implicit-def: $vgpr2
.LBB480_541:
	s_mov_b64 s[28:29], 0
.LBB480_542:
	s_and_b64 vcc, exec, s[28:29]
	s_cbranch_vccz .LBB480_560
; %bb.543:
	s_cmp_lt_i32 s34, 27
	s_cbranch_scc1 .LBB480_546
; %bb.544:
	s_cmp_gt_i32 s34, 27
	s_cbranch_scc0 .LBB480_547
; %bb.545:
	global_load_dword v2, v[0:1], off
	s_mov_b64 s[0:1], 0
	s_waitcnt vmcnt(0)
	v_cvt_f32_u32_e32 v2, v2
	v_cvt_f16_f32_e32 v2, v2
	s_branch .LBB480_548
.LBB480_546:
	s_mov_b64 s[0:1], -1
                                        ; implicit-def: $vgpr2
	s_branch .LBB480_551
.LBB480_547:
	s_mov_b64 s[0:1], -1
                                        ; implicit-def: $vgpr2
.LBB480_548:
	s_andn2_b64 vcc, exec, s[0:1]
	s_cbranch_vccnz .LBB480_550
; %bb.549:
	global_load_ushort v2, v[0:1], off
	s_waitcnt vmcnt(0)
	v_cvt_f16_u16_e32 v2, v2
.LBB480_550:
	s_mov_b64 s[0:1], 0
.LBB480_551:
	s_andn2_b64 vcc, exec, s[0:1]
	s_cbranch_vccnz .LBB480_559
; %bb.552:
	global_load_ubyte v3, v[0:1], off
	s_movk_i32 s0, 0x7f
	s_waitcnt vmcnt(0)
	v_cmp_lt_i16_e32 vcc, s0, v3
	s_mov_b64 s[0:1], 0
	s_and_saveexec_b64 s[28:29], vcc
	s_xor_b64 s[28:29], exec, s[28:29]
	s_cbranch_execz .LBB480_573
; %bb.553:
	s_movk_i32 s0, 0x80
	v_cmp_eq_u16_e32 vcc, s0, v3
	s_mov_b64 s[0:1], -1
	s_and_saveexec_b64 s[30:31], vcc
; %bb.554:
	s_xor_b64 s[0:1], exec, -1
; %bb.555:
	s_or_b64 exec, exec, s[30:31]
	s_and_b64 s[0:1], s[0:1], exec
	s_or_saveexec_b64 s[28:29], s[28:29]
	v_mov_b32_e32 v2, 0x7e00
	s_xor_b64 exec, exec, s[28:29]
	s_cbranch_execnz .LBB480_574
.LBB480_556:
	s_or_b64 exec, exec, s[28:29]
	s_and_saveexec_b64 s[28:29], s[0:1]
	s_cbranch_execz .LBB480_558
.LBB480_557:
	v_lshlrev_b32_e32 v2, 24, v3
	v_and_b32_e32 v3, 0xffff, v3
	v_and_b32_e32 v5, 7, v3
	v_ffbh_u32_e32 v7, v5
	v_min_u32_e32 v7, 32, v7
	v_subrev_u32_e32 v8, 28, v7
	v_bfe_u32 v6, v3, 3, 4
	v_lshlrev_b32_e32 v3, v8, v3
	v_sub_u32_e32 v7, 29, v7
	v_and_b32_e32 v3, 7, v3
	v_cmp_eq_u32_e32 vcc, 0, v6
	v_and_b32_e32 v2, 0x80000000, v2
	s_nop 0
	v_cndmask_b32_e32 v6, v6, v7, vcc
	v_cndmask_b32_e32 v3, v5, v3, vcc
	v_mov_b32_e32 v5, 0x3b800000
	v_lshlrev_b32_e32 v3, 20, v3
	v_lshl_add_u32 v5, v6, 23, v5
	v_or3_b32 v2, v2, v5, v3
	v_cvt_f16_f32_e32 v2, v2
.LBB480_558:
	s_or_b64 exec, exec, s[28:29]
.LBB480_559:
	s_mov_b64 s[0:1], -1
.LBB480_560:
	s_mov_b64 s[28:29], 0
.LBB480_561:
	s_and_b64 vcc, exec, s[28:29]
	s_cbranch_vccz .LBB480_596
; %bb.562:
	s_cmp_gt_i32 s34, 22
	s_cbranch_scc0 .LBB480_572
; %bb.563:
	s_cmp_lt_i32 s34, 24
	s_cbranch_scc1 .LBB480_575
; %bb.564:
	s_cmp_gt_i32 s34, 24
	s_cbranch_scc0 .LBB480_576
; %bb.565:
	global_load_ubyte v3, v[0:1], off
	s_movk_i32 s0, 0x7f
	s_waitcnt vmcnt(0)
	v_cmp_lt_i16_e32 vcc, s0, v3
	s_mov_b64 s[0:1], 0
	s_and_saveexec_b64 s[28:29], vcc
	s_xor_b64 s[28:29], exec, s[28:29]
	s_cbranch_execz .LBB480_588
; %bb.566:
	s_movk_i32 s0, 0x80
	v_cmp_eq_u16_e32 vcc, s0, v3
	s_mov_b64 s[0:1], -1
	s_and_saveexec_b64 s[30:31], vcc
; %bb.567:
	s_xor_b64 s[0:1], exec, -1
; %bb.568:
	s_or_b64 exec, exec, s[30:31]
	s_and_b64 s[0:1], s[0:1], exec
	s_or_saveexec_b64 s[28:29], s[28:29]
	v_mov_b32_e32 v2, 0x7e00
	s_xor_b64 exec, exec, s[28:29]
	s_cbranch_execnz .LBB480_589
.LBB480_569:
	s_or_b64 exec, exec, s[28:29]
	s_and_saveexec_b64 s[28:29], s[0:1]
	s_cbranch_execz .LBB480_571
.LBB480_570:
	v_lshlrev_b32_e32 v2, 24, v3
	v_and_b32_e32 v3, 0xffff, v3
	v_and_b32_e32 v5, 3, v3
	v_ffbh_u32_e32 v7, v5
	v_min_u32_e32 v7, 32, v7
	v_subrev_u32_e32 v8, 29, v7
	v_bfe_u32 v6, v3, 2, 5
	v_lshlrev_b32_e32 v3, v8, v3
	v_sub_u32_e32 v7, 30, v7
	v_and_b32_e32 v3, 3, v3
	v_cmp_eq_u32_e32 vcc, 0, v6
	v_and_b32_e32 v2, 0x80000000, v2
	s_nop 0
	v_cndmask_b32_e32 v6, v6, v7, vcc
	v_cndmask_b32_e32 v3, v5, v3, vcc
	v_mov_b32_e32 v5, 0x37800000
	v_lshlrev_b32_e32 v3, 21, v3
	v_lshl_add_u32 v5, v6, 23, v5
	v_or3_b32 v2, v2, v5, v3
	v_cvt_f16_f32_e32 v2, v2
.LBB480_571:
	s_or_b64 exec, exec, s[28:29]
	s_mov_b64 s[0:1], 0
	s_branch .LBB480_577
.LBB480_572:
	s_mov_b64 s[28:29], -1
                                        ; implicit-def: $vgpr2
	s_branch .LBB480_583
.LBB480_573:
	s_or_saveexec_b64 s[28:29], s[28:29]
	v_mov_b32_e32 v2, 0x7e00
	s_xor_b64 exec, exec, s[28:29]
	s_cbranch_execz .LBB480_556
.LBB480_574:
	v_cmp_ne_u16_e32 vcc, 0, v3
	s_andn2_b64 s[0:1], s[0:1], exec
	s_and_b64 s[30:31], vcc, exec
	s_or_b64 s[0:1], s[0:1], s[30:31]
	v_mov_b32_e32 v2, v3
	s_or_b64 exec, exec, s[28:29]
	s_and_saveexec_b64 s[28:29], s[0:1]
	s_cbranch_execnz .LBB480_557
	s_branch .LBB480_558
.LBB480_575:
	s_mov_b64 s[0:1], -1
                                        ; implicit-def: $vgpr2
	s_branch .LBB480_580
.LBB480_576:
	s_mov_b64 s[0:1], -1
                                        ; implicit-def: $vgpr2
.LBB480_577:
	s_and_b64 vcc, exec, s[0:1]
	s_cbranch_vccz .LBB480_579
; %bb.578:
	global_load_ubyte v2, v[0:1], off
	s_mov_b32 s0, 0x7f800000
	s_waitcnt vmcnt(0)
	v_lshlrev_b32_e32 v2, 24, v2
	v_and_b32_e32 v3, 0x7f000000, v2
	v_ffbh_u32_e32 v5, v3
	v_min_u32_e32 v5, 32, v5
	v_sub_u32_e64 v5, v5, 4 clamp
	v_lshlrev_b32_e32 v7, v5, v3
	v_lshlrev_b32_e32 v5, 23, v5
	v_lshrrev_b32_e32 v7, 4, v7
	v_add_u32_e32 v6, 0x1000000, v3
	v_sub_u32_e32 v5, v7, v5
	v_ashrrev_i32_e32 v6, 8, v6
	v_add_u32_e32 v5, 0x3c000000, v5
	v_and_or_b32 v5, v6, s0, v5
	v_cmp_ne_u32_e32 vcc, 0, v3
	s_brev_b32 s0, 1
	s_nop 0
	v_cndmask_b32_e32 v3, 0, v5, vcc
	v_and_or_b32 v2, v2, s0, v3
	v_cvt_f16_f32_e32 v2, v2
.LBB480_579:
	s_mov_b64 s[0:1], 0
.LBB480_580:
	s_andn2_b64 vcc, exec, s[0:1]
	s_cbranch_vccnz .LBB480_582
; %bb.581:
	global_load_ubyte v2, v[0:1], off
	s_movk_i32 s0, 0x7f00
	s_brev_b32 s1, 16
	s_waitcnt vmcnt(0)
	v_lshlrev_b16_e32 v3, 8, v2
	v_lshlrev_b32_e32 v2, 25, v2
	v_lshrrev_b32_e32 v5, 4, v2
	v_and_or_b32 v6, v3, s0, 0.5
	v_or_b32_e32 v5, 0x70000000, v5
	v_add_f32_e32 v6, -0.5, v6
	v_mul_f32_e32 v5, 0x7800000, v5
	v_cmp_gt_u32_e32 vcc, s1, v2
	v_bfe_i32 v3, v3, 0, 16
	s_brev_b32 s0, 1
	v_cndmask_b32_e32 v2, v5, v6, vcc
	v_and_or_b32 v2, v3, s0, v2
	v_cvt_f16_f32_e32 v2, v2
.LBB480_582:
	s_mov_b64 s[28:29], 0
	s_mov_b64 s[0:1], -1
.LBB480_583:
	s_andn2_b64 vcc, exec, s[28:29]
	s_cbranch_vccnz .LBB480_596
; %bb.584:
	s_cmp_gt_i32 s34, 14
	s_cbranch_scc0 .LBB480_587
; %bb.585:
	s_cmp_eq_u32 s34, 15
	s_cbranch_scc0 .LBB480_590
; %bb.586:
	global_load_ushort v2, v[0:1], off
	s_mov_b64 s[0:1], -1
	s_mov_b64 s[26:27], 0
	s_waitcnt vmcnt(0)
	v_lshlrev_b32_e32 v2, 16, v2
	v_cvt_f16_f32_e32 v2, v2
	s_branch .LBB480_591
.LBB480_587:
	s_mov_b64 s[28:29], -1
                                        ; implicit-def: $vgpr2
	s_branch .LBB480_592
.LBB480_588:
	s_or_saveexec_b64 s[28:29], s[28:29]
	v_mov_b32_e32 v2, 0x7e00
	s_xor_b64 exec, exec, s[28:29]
	s_cbranch_execz .LBB480_569
.LBB480_589:
	v_cmp_ne_u16_e32 vcc, 0, v3
	s_andn2_b64 s[0:1], s[0:1], exec
	s_and_b64 s[30:31], vcc, exec
	s_or_b64 s[0:1], s[0:1], s[30:31]
	v_mov_b32_e32 v2, v3
	s_or_b64 exec, exec, s[28:29]
	s_and_saveexec_b64 s[28:29], s[0:1]
	s_cbranch_execnz .LBB480_570
	s_branch .LBB480_571
.LBB480_590:
	s_mov_b64 s[26:27], -1
                                        ; implicit-def: $vgpr2
.LBB480_591:
	s_mov_b64 s[28:29], 0
.LBB480_592:
	s_and_b64 vcc, exec, s[28:29]
	s_cbranch_vccz .LBB480_596
; %bb.593:
	s_cmp_eq_u32 s34, 11
	s_cbranch_scc0 .LBB480_595
; %bb.594:
	global_load_ubyte v2, v[0:1], off
	v_mov_b32_e32 v3, 0x3c00
	s_mov_b64 s[0:1], -1
	s_mov_b64 s[26:27], 0
	s_waitcnt vmcnt(0)
	v_cmp_ne_u16_e32 vcc, 0, v2
	s_nop 1
	v_cndmask_b32_e32 v2, 0, v3, vcc
	s_branch .LBB480_596
.LBB480_595:
	s_mov_b64 s[26:27], -1
                                        ; implicit-def: $vgpr2
.LBB480_596:
	s_mov_b64 s[28:29], 0
.LBB480_597:
	s_and_b64 vcc, exec, s[28:29]
	s_cbranch_vccz .LBB480_646
; %bb.598:
	s_cmp_lt_i32 s34, 5
	s_cbranch_scc1 .LBB480_603
; %bb.599:
	s_cmp_lt_i32 s34, 8
	s_cbranch_scc1 .LBB480_604
	;; [unrolled: 3-line block ×3, first 2 shown]
; %bb.601:
	s_cmp_gt_i32 s34, 9
	s_cbranch_scc0 .LBB480_606
; %bb.602:
	global_load_dwordx2 v[2:3], v[0:1], off
	s_movk_i32 s0, 0x1ff
	s_movk_i32 s1, 0xffe
	v_mov_b32_e32 v5, 0x7c00
	v_mov_b32_e32 v6, 0x7e00
	s_movk_i32 s28, 0x40f
	s_mov_b32 s29, 0x8000
	s_waitcnt vmcnt(0)
	v_and_or_b32 v2, v3, s0, v2
	v_cmp_ne_u32_e32 vcc, 0, v2
	v_lshrrev_b32_e32 v7, 8, v3
	v_bfe_u32 v8, v3, 20, 11
	v_cndmask_b32_e64 v2, 0, 1, vcc
	v_sub_u32_e32 v9, 0x3f1, v8
	v_and_or_b32 v2, v7, s1, v2
	v_add_u32_e32 v8, 0xfffffc10, v8
	v_med3_i32 v7, v9, 0, 13
	v_or_b32_e32 v9, 0x1000, v2
	v_cmp_ne_u32_e32 vcc, 0, v2
	v_lshl_or_b32 v10, v8, 12, v2
	v_lshrrev_b32_e32 v3, 16, v3
	v_cndmask_b32_e32 v2, v5, v6, vcc
	v_lshrrev_b32_e32 v6, v7, v9
	v_lshlrev_b32_e32 v7, v7, v6
	v_cmp_ne_u32_e32 vcc, v7, v9
	s_mov_b64 s[0:1], 0
	s_nop 0
	v_cndmask_b32_e64 v7, 0, 1, vcc
	v_or_b32_e32 v6, v6, v7
	v_cmp_gt_i32_e32 vcc, 1, v8
	s_nop 1
	v_cndmask_b32_e32 v6, v10, v6, vcc
	v_and_b32_e32 v7, 7, v6
	v_cmp_lt_i32_e32 vcc, 5, v7
	v_lshrrev_b32_e32 v6, 2, v6
	s_nop 0
	v_cndmask_b32_e64 v9, 0, 1, vcc
	v_cmp_eq_u32_e32 vcc, 3, v7
	s_nop 1
	v_cndmask_b32_e64 v7, 0, 1, vcc
	v_or_b32_e32 v7, v7, v9
	v_add_u32_e32 v6, v6, v7
	v_cmp_gt_i32_e32 vcc, 31, v8
	s_nop 1
	v_cndmask_b32_e32 v5, v5, v6, vcc
	v_cmp_eq_u32_e32 vcc, s28, v8
	s_nop 1
	v_cndmask_b32_e32 v2, v5, v2, vcc
	v_and_or_b32 v2, v3, s29, v2
	s_branch .LBB480_607
.LBB480_603:
	s_mov_b64 s[0:1], -1
                                        ; implicit-def: $vgpr2
	s_branch .LBB480_625
.LBB480_604:
	s_mov_b64 s[0:1], -1
                                        ; implicit-def: $vgpr2
	s_branch .LBB480_613
.LBB480_605:
	s_mov_b64 s[0:1], -1
                                        ; implicit-def: $vgpr2
	s_branch .LBB480_610
.LBB480_606:
	s_mov_b64 s[0:1], -1
                                        ; implicit-def: $vgpr2
.LBB480_607:
	s_andn2_b64 vcc, exec, s[0:1]
	s_cbranch_vccnz .LBB480_609
; %bb.608:
	global_load_dword v2, v[0:1], off
	s_waitcnt vmcnt(0)
	v_cvt_f16_f32_e32 v2, v2
.LBB480_609:
	s_mov_b64 s[0:1], 0
.LBB480_610:
	s_andn2_b64 vcc, exec, s[0:1]
	s_cbranch_vccnz .LBB480_612
; %bb.611:
	global_load_dword v2, v[0:1], off
.LBB480_612:
	s_mov_b64 s[0:1], 0
.LBB480_613:
	s_andn2_b64 vcc, exec, s[0:1]
	s_cbranch_vccnz .LBB480_624
; %bb.614:
	s_cmp_lt_i32 s34, 6
	s_cbranch_scc1 .LBB480_617
; %bb.615:
	s_cmp_gt_i32 s34, 6
	s_cbranch_scc0 .LBB480_618
; %bb.616:
	global_load_dwordx2 v[2:3], v[0:1], off
	s_movk_i32 s0, 0x1ff
	s_movk_i32 s1, 0xffe
	v_mov_b32_e32 v5, 0x7c00
	v_mov_b32_e32 v6, 0x7e00
	s_movk_i32 s28, 0x40f
	s_mov_b32 s29, 0x8000
	s_waitcnt vmcnt(0)
	v_and_or_b32 v2, v3, s0, v2
	v_cmp_ne_u32_e32 vcc, 0, v2
	v_lshrrev_b32_e32 v7, 8, v3
	v_bfe_u32 v8, v3, 20, 11
	v_cndmask_b32_e64 v2, 0, 1, vcc
	v_sub_u32_e32 v9, 0x3f1, v8
	v_and_or_b32 v2, v7, s1, v2
	v_add_u32_e32 v8, 0xfffffc10, v8
	v_med3_i32 v7, v9, 0, 13
	v_or_b32_e32 v9, 0x1000, v2
	v_cmp_ne_u32_e32 vcc, 0, v2
	v_lshl_or_b32 v10, v8, 12, v2
	v_lshrrev_b32_e32 v3, 16, v3
	v_cndmask_b32_e32 v2, v5, v6, vcc
	v_lshrrev_b32_e32 v6, v7, v9
	v_lshlrev_b32_e32 v7, v7, v6
	v_cmp_ne_u32_e32 vcc, v7, v9
	s_mov_b64 s[0:1], 0
	s_nop 0
	v_cndmask_b32_e64 v7, 0, 1, vcc
	v_or_b32_e32 v6, v6, v7
	v_cmp_gt_i32_e32 vcc, 1, v8
	s_nop 1
	v_cndmask_b32_e32 v6, v10, v6, vcc
	v_and_b32_e32 v7, 7, v6
	v_cmp_lt_i32_e32 vcc, 5, v7
	v_lshrrev_b32_e32 v6, 2, v6
	s_nop 0
	v_cndmask_b32_e64 v9, 0, 1, vcc
	v_cmp_eq_u32_e32 vcc, 3, v7
	s_nop 1
	v_cndmask_b32_e64 v7, 0, 1, vcc
	v_or_b32_e32 v7, v7, v9
	v_add_u32_e32 v6, v6, v7
	v_cmp_gt_i32_e32 vcc, 31, v8
	s_nop 1
	v_cndmask_b32_e32 v5, v5, v6, vcc
	v_cmp_eq_u32_e32 vcc, s28, v8
	s_nop 1
	v_cndmask_b32_e32 v2, v5, v2, vcc
	v_and_or_b32 v2, v3, s29, v2
	s_branch .LBB480_619
.LBB480_617:
	s_mov_b64 s[0:1], -1
                                        ; implicit-def: $vgpr2
	s_branch .LBB480_622
.LBB480_618:
	s_mov_b64 s[0:1], -1
                                        ; implicit-def: $vgpr2
.LBB480_619:
	s_andn2_b64 vcc, exec, s[0:1]
	s_cbranch_vccnz .LBB480_621
; %bb.620:
	global_load_dword v2, v[0:1], off
	s_waitcnt vmcnt(0)
	v_cvt_f16_f32_e32 v2, v2
.LBB480_621:
	s_mov_b64 s[0:1], 0
.LBB480_622:
	s_andn2_b64 vcc, exec, s[0:1]
	s_cbranch_vccnz .LBB480_624
; %bb.623:
	global_load_ushort v2, v[0:1], off
.LBB480_624:
	s_mov_b64 s[0:1], 0
.LBB480_625:
	s_andn2_b64 vcc, exec, s[0:1]
	s_cbranch_vccnz .LBB480_645
; %bb.626:
	s_cmp_lt_i32 s34, 2
	s_cbranch_scc1 .LBB480_630
; %bb.627:
	s_cmp_lt_i32 s34, 3
	s_cbranch_scc1 .LBB480_631
; %bb.628:
	s_cmp_gt_i32 s34, 3
	s_cbranch_scc0 .LBB480_632
; %bb.629:
	global_load_dwordx2 v[2:3], v[0:1], off
	s_mov_b64 s[0:1], 0
	s_waitcnt vmcnt(0)
	v_xor_b32_e32 v6, v2, v3
	v_ffbh_i32_e32 v5, v3
	v_ashrrev_i32_e32 v6, 31, v6
	v_add_u32_e32 v5, -1, v5
	v_add_u32_e32 v6, 32, v6
	v_min_u32_e32 v5, v5, v6
	v_lshlrev_b64 v[2:3], v5, v[2:3]
	v_min_u32_e32 v2, 1, v2
	v_or_b32_e32 v2, v3, v2
	v_cvt_f32_i32_e32 v2, v2
	v_sub_u32_e32 v3, 32, v5
	v_ldexp_f32 v2, v2, v3
	v_cvt_f16_f32_e32 v2, v2
	s_branch .LBB480_633
.LBB480_630:
	s_mov_b64 s[0:1], -1
                                        ; implicit-def: $vgpr2
	s_branch .LBB480_639
.LBB480_631:
	s_mov_b64 s[0:1], -1
                                        ; implicit-def: $vgpr2
	s_branch .LBB480_636
.LBB480_632:
	s_mov_b64 s[0:1], -1
                                        ; implicit-def: $vgpr2
.LBB480_633:
	s_andn2_b64 vcc, exec, s[0:1]
	s_cbranch_vccnz .LBB480_635
; %bb.634:
	global_load_dword v2, v[0:1], off
	s_waitcnt vmcnt(0)
	v_cvt_f32_i32_e32 v2, v2
	v_cvt_f16_f32_e32 v2, v2
.LBB480_635:
	s_mov_b64 s[0:1], 0
.LBB480_636:
	s_andn2_b64 vcc, exec, s[0:1]
	s_cbranch_vccnz .LBB480_638
; %bb.637:
	global_load_ushort v2, v[0:1], off
	s_waitcnt vmcnt(0)
	v_cvt_f16_i16_e32 v2, v2
.LBB480_638:
	s_mov_b64 s[0:1], 0
.LBB480_639:
	s_andn2_b64 vcc, exec, s[0:1]
	s_cbranch_vccnz .LBB480_645
; %bb.640:
	s_cmp_gt_i32 s34, 0
	s_cbranch_scc0 .LBB480_642
; %bb.641:
	global_load_sbyte v2, v[0:1], off
	s_mov_b64 s[0:1], 0
	s_waitcnt vmcnt(0)
	v_cvt_f16_i16_e32 v2, v2
	s_branch .LBB480_643
.LBB480_642:
	s_mov_b64 s[0:1], -1
                                        ; implicit-def: $vgpr2
.LBB480_643:
	s_andn2_b64 vcc, exec, s[0:1]
	s_cbranch_vccnz .LBB480_645
; %bb.644:
	global_load_ubyte v0, v[0:1], off
	s_waitcnt vmcnt(0)
	v_cvt_f16_u16_e32 v2, v0
.LBB480_645:
	s_mov_b64 s[0:1], -1
.LBB480_646:
	s_andn2_b64 vcc, exec, s[0:1]
	s_cbranch_vccnz .LBB480_654
; %bb.647:
	s_waitcnt vmcnt(0)
	v_cmp_u_f16_e32 vcc, v2, v2
	v_cmp_gt_f16_e64 s[0:1], s33, v2
	v_mov_b32_e32 v0, s33
	s_or_b64 vcc, vcc, s[0:1]
	v_cndmask_b32_e32 v2, v0, v2, vcc
	v_mul_lo_u32 v0, v4, s8
	v_ashrrev_i32_e32 v1, 31, v0
	s_and_b32 s36, s42, 0xff
	s_cmp_lt_i32 s36, 11
	v_lshl_add_u64 v[0:1], s[4:5], 0, v[0:1]
	s_cbranch_scc1 .LBB480_655
; %bb.648:
	s_and_b32 s37, 0xffff, s36
	s_cmp_gt_i32 s37, 25
	s_cbranch_scc0 .LBB480_656
; %bb.649:
	s_cmp_gt_i32 s37, 28
	s_cbranch_scc0 .LBB480_657
; %bb.650:
	;; [unrolled: 3-line block ×4, first 2 shown]
	s_mov_b64 s[30:31], 0
	s_mov_b64 s[0:1], -1
	s_cmp_eq_u32 s37, 46
	s_mov_b64 s[28:29], 0
	s_cbranch_scc0 .LBB480_660
; %bb.653:
	v_cvt_f32_f16_e32 v3, v2
	s_movk_i32 s0, 0x7fff
	v_cmp_o_f16_e32 vcc, v2, v2
	v_mov_b32_e32 v5, 0x7fc0
	v_bfe_u32 v6, v3, 16, 1
	v_add3_u32 v3, v3, v6, s0
	v_cndmask_b32_sdwa v3, v5, v3, vcc dst_sel:DWORD dst_unused:UNUSED_PAD src0_sel:DWORD src1_sel:WORD_1
	global_store_dword v[0:1], v3, off
	s_mov_b64 s[28:29], -1
	s_mov_b64 s[0:1], 0
	s_branch .LBB480_660
.LBB480_654:
	s_mov_b64 s[30:31], 0
                                        ; implicit-def: $vgpr4
	s_mov_b64 s[0:1], s[20:21]
	s_branch .LBB480_771
.LBB480_655:
	s_mov_b64 s[30:31], -1
	s_mov_b64 s[28:29], 0
	s_mov_b64 s[0:1], s[20:21]
	s_branch .LBB480_729
.LBB480_656:
	s_mov_b64 s[30:31], -1
	s_mov_b64 s[28:29], 0
	s_mov_b64 s[0:1], s[20:21]
	s_branch .LBB480_687
.LBB480_657:
	s_mov_b64 s[30:31], -1
	s_mov_b64 s[28:29], 0
	s_mov_b64 s[0:1], s[20:21]
	s_branch .LBB480_670
.LBB480_658:
	s_mov_b64 s[30:31], -1
	s_mov_b64 s[28:29], 0
	s_mov_b64 s[0:1], s[20:21]
	s_branch .LBB480_666
.LBB480_659:
	s_mov_b64 s[30:31], -1
	s_mov_b64 s[28:29], 0
	s_mov_b64 s[0:1], s[20:21]
.LBB480_660:
	s_and_b64 vcc, exec, s[30:31]
	s_cbranch_vccz .LBB480_665
; %bb.661:
	s_cmp_eq_u32 s37, 44
	s_mov_b64 s[0:1], -1
	s_cbranch_scc0 .LBB480_665
; %bb.662:
	v_cvt_f32_f16_e32 v3, v2
	s_movk_i32 s0, 0xff
	v_mov_b32_e32 v6, 0xff
	v_bfe_u32 v5, v3, 23, 8
	v_cmp_ne_u32_e32 vcc, s0, v5
	s_and_saveexec_b64 s[28:29], vcc
; %bb.663:
	s_mov_b32 s0, 0x3fffff
	v_lshrrev_b32_e32 v6, 23, v3
	v_and_b32_e32 v7, 0x400000, v3
	v_and_or_b32 v3, v3, s0, v5
	v_cmp_ne_u32_e32 vcc, 0, v7
	v_cmp_ne_u32_e64 s[0:1], 0, v3
	s_and_b64 s[0:1], vcc, s[0:1]
	s_nop 0
	v_cndmask_b32_e64 v3, 0, 1, s[0:1]
	v_add_u32_e32 v6, v6, v3
; %bb.664:
	s_or_b64 exec, exec, s[28:29]
	s_mov_b64 s[28:29], -1
	s_mov_b64 s[0:1], 0
	global_store_byte v[0:1], v6, off
.LBB480_665:
	s_mov_b64 s[30:31], 0
.LBB480_666:
	s_and_b64 vcc, exec, s[30:31]
	s_cbranch_vccz .LBB480_669
; %bb.667:
	s_cmp_eq_u32 s37, 29
	s_mov_b64 s[0:1], -1
	s_cbranch_scc0 .LBB480_669
; %bb.668:
	v_cvt_f32_f16_e32 v3, v2
	v_mov_b32_e32 v7, 0
	s_mov_b64 s[28:29], -1
	s_mov_b64 s[0:1], 0
	v_cvt_u32_f32_e32 v6, v3
	s_mov_b64 s[30:31], 0
	global_store_dwordx2 v[0:1], v[6:7], off
	s_branch .LBB480_670
.LBB480_669:
	s_mov_b64 s[30:31], 0
.LBB480_670:
	s_and_b64 vcc, exec, s[30:31]
	s_cbranch_vccz .LBB480_686
; %bb.671:
	s_cmp_lt_i32 s37, 27
	s_mov_b64 s[28:29], -1
	s_cbranch_scc1 .LBB480_677
; %bb.672:
	s_cmp_gt_i32 s37, 27
	s_cbranch_scc0 .LBB480_674
; %bb.673:
	v_cvt_f32_f16_e32 v3, v2
	s_mov_b64 s[28:29], 0
	v_cvt_u32_f32_e32 v3, v3
	global_store_dword v[0:1], v3, off
.LBB480_674:
	s_andn2_b64 vcc, exec, s[28:29]
	s_cbranch_vccnz .LBB480_676
; %bb.675:
	v_cvt_u16_f16_e32 v3, v2
	global_store_short v[0:1], v3, off
.LBB480_676:
	s_mov_b64 s[28:29], 0
.LBB480_677:
	s_andn2_b64 vcc, exec, s[28:29]
	s_cbranch_vccnz .LBB480_685
; %bb.678:
	v_cvt_f32_f16_e32 v3, v2
	s_mov_b32 s28, 0x43800000
	v_mov_b32_e32 v6, 0x80
	v_and_b32_e32 v5, 0x7fffffff, v3
	v_cmp_gt_u32_e32 vcc, s28, v5
	s_and_saveexec_b64 s[28:29], vcc
	s_cbranch_execz .LBB480_684
; %bb.679:
	s_mov_b32 s30, 0x3bffffff
	v_cmp_lt_u32_e32 vcc, s30, v5
	s_mov_b64 s[30:31], 0
                                        ; implicit-def: $vgpr5
	s_and_saveexec_b64 s[34:35], vcc
	s_xor_b64 s[34:35], exec, s[34:35]
	s_cbranch_execz .LBB480_785
; %bb.680:
	v_bfe_u32 v5, v3, 20, 1
	s_mov_b32 s39, 0x487ffff
	v_add3_u32 v5, v3, v5, s39
	s_mov_b64 s[30:31], exec
	v_lshrrev_b32_e32 v5, 20, v5
	s_andn2_saveexec_b64 s[34:35], s[34:35]
	s_cbranch_execnz .LBB480_786
.LBB480_681:
	s_or_b64 exec, exec, s[34:35]
	v_mov_b32_e32 v6, 0
	s_and_saveexec_b64 s[34:35], s[30:31]
.LBB480_682:
	v_lshrrev_b32_e32 v3, 24, v3
	s_movk_i32 s30, 0x80
	v_and_or_b32 v6, v3, s30, v5
.LBB480_683:
	s_or_b64 exec, exec, s[34:35]
.LBB480_684:
	s_or_b64 exec, exec, s[28:29]
	global_store_byte v[0:1], v6, off
.LBB480_685:
	s_mov_b64 s[28:29], -1
.LBB480_686:
	s_mov_b64 s[30:31], 0
.LBB480_687:
	s_and_b64 vcc, exec, s[30:31]
	s_cbranch_vccz .LBB480_728
; %bb.688:
	s_cmp_gt_i32 s37, 22
	s_mov_b64 s[30:31], -1
	s_cbranch_scc0 .LBB480_720
; %bb.689:
	s_cmp_lt_i32 s37, 24
	s_mov_b64 s[28:29], -1
	s_cbranch_scc1 .LBB480_709
; %bb.690:
	s_cmp_gt_i32 s37, 24
	s_cbranch_scc0 .LBB480_698
; %bb.691:
	v_cvt_f32_f16_e32 v3, v2
	s_mov_b32 s28, 0x47800000
	v_mov_b32_e32 v6, 0x80
	v_and_b32_e32 v5, 0x7fffffff, v3
	v_cmp_gt_u32_e32 vcc, s28, v5
	s_and_saveexec_b64 s[28:29], vcc
	s_cbranch_execz .LBB480_697
; %bb.692:
	s_mov_b32 s30, 0x37ffffff
	v_cmp_lt_u32_e32 vcc, s30, v5
	s_mov_b64 s[30:31], 0
                                        ; implicit-def: $vgpr5
	s_and_saveexec_b64 s[34:35], vcc
	s_xor_b64 s[34:35], exec, s[34:35]
	s_cbranch_execz .LBB480_788
; %bb.693:
	v_bfe_u32 v5, v3, 21, 1
	s_mov_b32 s39, 0x88fffff
	v_add3_u32 v5, v3, v5, s39
	s_mov_b64 s[30:31], exec
	v_lshrrev_b32_e32 v5, 21, v5
	s_andn2_saveexec_b64 s[34:35], s[34:35]
	s_cbranch_execnz .LBB480_789
.LBB480_694:
	s_or_b64 exec, exec, s[34:35]
	v_mov_b32_e32 v6, 0
	s_and_saveexec_b64 s[34:35], s[30:31]
.LBB480_695:
	v_lshrrev_b32_e32 v3, 24, v3
	s_movk_i32 s30, 0x80
	v_and_or_b32 v6, v3, s30, v5
.LBB480_696:
	s_or_b64 exec, exec, s[34:35]
.LBB480_697:
	s_or_b64 exec, exec, s[28:29]
	s_mov_b64 s[28:29], 0
	global_store_byte v[0:1], v6, off
.LBB480_698:
	s_and_b64 vcc, exec, s[28:29]
	s_cbranch_vccz .LBB480_708
; %bb.699:
	v_cvt_f32_f16_e32 v3, v2
	s_mov_b32 s28, 0x43f00000
                                        ; implicit-def: $vgpr5
	v_and_b32_e32 v6, 0x7fffffff, v3
	v_cmp_gt_u32_e32 vcc, s28, v6
	s_and_saveexec_b64 s[28:29], vcc
	s_xor_b64 s[28:29], exec, s[28:29]
	s_cbranch_execz .LBB480_705
; %bb.700:
	s_mov_b32 s30, 0x3c7fffff
	v_cmp_lt_u32_e32 vcc, s30, v6
                                        ; implicit-def: $vgpr5
	s_and_saveexec_b64 s[30:31], vcc
	s_xor_b64 s[30:31], exec, s[30:31]
; %bb.701:
	v_bfe_u32 v5, v3, 20, 1
	s_mov_b32 s34, 0x407ffff
	v_add3_u32 v5, v3, v5, s34
	v_lshrrev_b32_e32 v6, 20, v5
	v_and_b32_e32 v5, 0xff00000, v5
	s_mov_b32 s34, 0x7f00000
	v_mov_b32_e32 v7, 0x7e
	v_cmp_ne_u32_e32 vcc, s34, v5
	s_nop 1
	v_cndmask_b32_e32 v5, v7, v6, vcc
; %bb.702:
	s_andn2_saveexec_b64 s[30:31], s[30:31]
; %bb.703:
	s_mov_b32 s34, 0x46800000
	v_add_f32_e64 v5, |v3|, s34
; %bb.704:
	s_or_b64 exec, exec, s[30:31]
                                        ; implicit-def: $vgpr6
.LBB480_705:
	s_andn2_saveexec_b64 s[28:29], s[28:29]
; %bb.706:
	s_mov_b32 s30, 0x7f800000
	v_mov_b32_e32 v5, 0x7e
	v_mov_b32_e32 v7, 0x7f
	v_cmp_lt_u32_e32 vcc, s30, v6
	s_nop 1
	v_cndmask_b32_e32 v5, v5, v7, vcc
; %bb.707:
	s_or_b64 exec, exec, s[28:29]
	v_lshrrev_b32_e32 v3, 24, v3
	s_movk_i32 s28, 0x80
	v_and_or_b32 v3, v3, s28, v5
	global_store_byte v[0:1], v3, off
.LBB480_708:
	s_mov_b64 s[28:29], 0
.LBB480_709:
	s_andn2_b64 vcc, exec, s[28:29]
	s_cbranch_vccnz .LBB480_719
; %bb.710:
	v_cvt_f32_f16_e32 v3, v2
	s_mov_b32 s28, 0x47800000
                                        ; implicit-def: $vgpr5
	v_and_b32_e32 v6, 0x7fffffff, v3
	v_cmp_gt_u32_e32 vcc, s28, v6
	s_and_saveexec_b64 s[28:29], vcc
	s_xor_b64 s[28:29], exec, s[28:29]
	s_cbranch_execz .LBB480_716
; %bb.711:
	s_mov_b32 s30, 0x387fffff
	v_cmp_lt_u32_e32 vcc, s30, v6
                                        ; implicit-def: $vgpr5
	s_and_saveexec_b64 s[30:31], vcc
	s_xor_b64 s[30:31], exec, s[30:31]
; %bb.712:
	v_bfe_u32 v5, v3, 21, 1
	s_mov_b32 s34, 0x80fffff
	v_add3_u32 v5, v3, v5, s34
	v_lshrrev_b32_e32 v5, 21, v5
; %bb.713:
	s_andn2_saveexec_b64 s[30:31], s[30:31]
; %bb.714:
	s_mov_b32 s34, 0x43000000
	v_add_f32_e64 v5, |v3|, s34
; %bb.715:
	s_or_b64 exec, exec, s[30:31]
                                        ; implicit-def: $vgpr6
.LBB480_716:
	s_andn2_saveexec_b64 s[28:29], s[28:29]
; %bb.717:
	s_mov_b32 s30, 0x7f800000
	v_mov_b32_e32 v5, 0x7c
	v_mov_b32_e32 v7, 0x7f
	v_cmp_lt_u32_e32 vcc, s30, v6
	s_nop 1
	v_cndmask_b32_e32 v5, v5, v7, vcc
; %bb.718:
	s_or_b64 exec, exec, s[28:29]
	v_lshrrev_b32_e32 v3, 24, v3
	s_movk_i32 s28, 0x80
	v_and_or_b32 v3, v3, s28, v5
	global_store_byte v[0:1], v3, off
.LBB480_719:
	s_mov_b64 s[30:31], 0
	s_mov_b64 s[28:29], -1
.LBB480_720:
	s_andn2_b64 vcc, exec, s[30:31]
	s_cbranch_vccnz .LBB480_728
; %bb.721:
	s_cmp_gt_i32 s37, 14
	s_mov_b64 s[30:31], -1
	s_cbranch_scc0 .LBB480_725
; %bb.722:
	s_cmp_eq_u32 s37, 15
	s_mov_b64 s[0:1], -1
	s_cbranch_scc0 .LBB480_724
; %bb.723:
	v_cvt_f32_f16_e32 v3, v2
	s_movk_i32 s0, 0x7fff
	v_cmp_o_f16_e32 vcc, v2, v2
	v_mov_b32_e32 v5, 0x7fc0
	v_bfe_u32 v6, v3, 16, 1
	v_add3_u32 v3, v3, v6, s0
	v_cndmask_b32_sdwa v3, v5, v3, vcc dst_sel:DWORD dst_unused:UNUSED_PAD src0_sel:DWORD src1_sel:WORD_1
	global_store_short v[0:1], v3, off
	s_mov_b64 s[28:29], -1
	s_mov_b64 s[0:1], 0
.LBB480_724:
	s_mov_b64 s[30:31], 0
.LBB480_725:
	s_and_b64 vcc, exec, s[30:31]
	s_cbranch_vccz .LBB480_728
; %bb.726:
	s_cmp_eq_u32 s37, 11
	s_mov_b64 s[0:1], -1
	s_cbranch_scc0 .LBB480_728
; %bb.727:
	v_and_b32_e32 v3, 0x7fff, v2
	v_cmp_ne_u16_e32 vcc, 0, v3
	s_mov_b64 s[28:29], -1
	s_mov_b64 s[0:1], 0
	v_cndmask_b32_e64 v3, 0, 1, vcc
	global_store_byte v[0:1], v3, off
.LBB480_728:
	s_mov_b64 s[30:31], 0
.LBB480_729:
	s_and_b64 vcc, exec, s[30:31]
	s_cbranch_vccz .LBB480_768
; %bb.730:
	s_and_b32 s30, 0xffff, s36
	s_cmp_lt_i32 s30, 5
	s_mov_b64 s[28:29], -1
	s_cbranch_scc1 .LBB480_751
; %bb.731:
	s_cmp_lt_i32 s30, 8
	s_cbranch_scc1 .LBB480_741
; %bb.732:
	s_cmp_lt_i32 s30, 9
	s_cbranch_scc1 .LBB480_738
; %bb.733:
	s_cmp_gt_i32 s30, 9
	s_cbranch_scc0 .LBB480_735
; %bb.734:
	v_cvt_f32_f16_e32 v3, v2
	v_mov_b32_e32 v8, 0
	v_mov_b32_e32 v9, v8
	s_mov_b64 s[28:29], 0
	v_cvt_f64_f32_e32 v[6:7], v3
	global_store_dwordx4 v[0:1], v[6:9], off
.LBB480_735:
	s_andn2_b64 vcc, exec, s[28:29]
	s_cbranch_vccnz .LBB480_737
; %bb.736:
	v_cvt_f32_f16_e32 v6, v2
	v_mov_b32_e32 v7, 0
	global_store_dwordx2 v[0:1], v[6:7], off
.LBB480_737:
	s_mov_b64 s[28:29], 0
.LBB480_738:
	s_andn2_b64 vcc, exec, s[28:29]
	s_cbranch_vccnz .LBB480_740
; %bb.739:
	v_and_b32_e32 v3, 0xffff, v2
	global_store_dword v[0:1], v3, off
.LBB480_740:
	s_mov_b64 s[28:29], 0
.LBB480_741:
	s_andn2_b64 vcc, exec, s[28:29]
	s_cbranch_vccnz .LBB480_750
; %bb.742:
	s_cmp_lt_i32 s30, 6
	s_mov_b64 s[28:29], -1
	s_cbranch_scc1 .LBB480_748
; %bb.743:
	s_cmp_gt_i32 s30, 6
	s_cbranch_scc0 .LBB480_745
; %bb.744:
	v_cvt_f32_f16_e32 v3, v2
	s_mov_b64 s[28:29], 0
	v_cvt_f64_f32_e32 v[6:7], v3
	global_store_dwordx2 v[0:1], v[6:7], off
.LBB480_745:
	s_andn2_b64 vcc, exec, s[28:29]
	s_cbranch_vccnz .LBB480_747
; %bb.746:
	v_cvt_f32_f16_e32 v3, v2
	global_store_dword v[0:1], v3, off
.LBB480_747:
	s_mov_b64 s[28:29], 0
.LBB480_748:
	s_andn2_b64 vcc, exec, s[28:29]
	s_cbranch_vccnz .LBB480_750
; %bb.749:
	global_store_short v[0:1], v2, off
.LBB480_750:
	s_mov_b64 s[28:29], 0
.LBB480_751:
	s_andn2_b64 vcc, exec, s[28:29]
	s_cbranch_vccnz .LBB480_767
; %bb.752:
	s_cmp_lt_i32 s30, 2
	s_mov_b64 s[28:29], -1
	s_cbranch_scc1 .LBB480_762
; %bb.753:
	s_cmp_lt_i32 s30, 3
	s_cbranch_scc1 .LBB480_759
; %bb.754:
	s_cmp_gt_i32 s30, 3
	s_cbranch_scc0 .LBB480_756
; %bb.755:
	v_cvt_f32_f16_e32 v3, v2
	s_mov_b64 s[28:29], 0
	v_cvt_i32_f32_e32 v6, v3
	v_ashrrev_i32_e32 v7, 31, v6
	global_store_dwordx2 v[0:1], v[6:7], off
.LBB480_756:
	s_andn2_b64 vcc, exec, s[28:29]
	s_cbranch_vccnz .LBB480_758
; %bb.757:
	v_cvt_f32_f16_e32 v3, v2
	v_cvt_i32_f32_e32 v3, v3
	global_store_dword v[0:1], v3, off
.LBB480_758:
	s_mov_b64 s[28:29], 0
.LBB480_759:
	s_andn2_b64 vcc, exec, s[28:29]
	s_cbranch_vccnz .LBB480_761
; %bb.760:
	v_cvt_i16_f16_e32 v3, v2
	global_store_short v[0:1], v3, off
.LBB480_761:
	s_mov_b64 s[28:29], 0
.LBB480_762:
	s_andn2_b64 vcc, exec, s[28:29]
	s_cbranch_vccnz .LBB480_767
; %bb.763:
	s_cmp_gt_i32 s30, 0
	s_mov_b64 s[28:29], -1
	s_cbranch_scc0 .LBB480_765
; %bb.764:
	v_cvt_i16_f16_e32 v3, v2
	s_mov_b64 s[28:29], 0
	global_store_byte v[0:1], v3, off
.LBB480_765:
	s_andn2_b64 vcc, exec, s[28:29]
	s_cbranch_vccnz .LBB480_767
; %bb.766:
	v_cvt_f32_f16_e32 v2, v2
	v_cvt_i32_f32_e32 v2, v2
	global_store_byte v[0:1], v2, off
.LBB480_767:
	s_mov_b64 s[28:29], -1
.LBB480_768:
	s_andn2_b64 vcc, exec, s[28:29]
	s_cbranch_vccnz .LBB480_770
; %bb.769:
	v_add_u32_e32 v4, 0x80, v4
	s_mov_b64 s[30:31], -1
	s_branch .LBB480_771
.LBB480_770:
	s_mov_b64 s[30:31], 0
                                        ; implicit-def: $vgpr4
.LBB480_771:
	s_andn2_b64 s[28:29], s[20:21], exec
	s_and_b64 s[0:1], s[0:1], exec
	s_or_b64 s[28:29], s[28:29], s[0:1]
	s_andn2_b64 s[0:1], s[18:19], exec
	s_and_b64 s[26:27], s[26:27], exec
	s_or_b64 s[0:1], s[0:1], s[26:27]
	s_orn2_b64 s[34:35], s[30:31], exec
.LBB480_772:
	s_or_b64 exec, exec, s[24:25]
	s_mov_b64 s[30:31], 0
	s_mov_b64 s[26:27], 0
	;; [unrolled: 1-line block ×3, first 2 shown]
                                        ; implicit-def: $vgpr0_vgpr1
                                        ; implicit-def: $vgpr3
	s_and_saveexec_b64 s[24:25], s[34:35]
	s_cbranch_execz .LBB480_857
; %bb.773:
	v_cmp_gt_i32_e32 vcc, s38, v4
	s_mov_b64 s[34:35], 0
	s_mov_b64 s[38:39], s[0:1]
	;; [unrolled: 1-line block ×3, first 2 shown]
                                        ; implicit-def: $vgpr0_vgpr1
                                        ; implicit-def: $vgpr3
	s_and_saveexec_b64 s[26:27], vcc
	s_cbranch_execz .LBB480_856
; %bb.774:
	v_mul_lo_u32 v0, v4, s9
	v_ashrrev_i32_e32 v1, 31, v0
	s_and_b32 s44, 0xffff, s43
	s_cmp_lt_i32 s44, 11
	v_lshl_add_u64 v[0:1], s[6:7], 0, v[0:1]
	s_cbranch_scc1 .LBB480_781
; %bb.775:
	s_cmp_gt_i32 s44, 25
	s_cbranch_scc0 .LBB480_782
; %bb.776:
	s_cmp_gt_i32 s44, 28
	s_cbranch_scc0 .LBB480_783
	;; [unrolled: 3-line block ×4, first 2 shown]
; %bb.779:
	s_cmp_eq_u32 s44, 46
	s_mov_b64 s[38:39], 0
	s_cbranch_scc0 .LBB480_790
; %bb.780:
	global_load_dword v2, v[0:1], off
	s_mov_b64 s[36:37], -1
	s_waitcnt vmcnt(0)
	v_lshlrev_b32_e32 v2, 16, v2
	v_cvt_f16_f32_e32 v3, v2
	s_branch .LBB480_792
.LBB480_781:
	s_mov_b64 s[38:39], -1
                                        ; implicit-def: $vgpr3
	s_mov_b64 s[30:31], s[0:1]
	s_branch .LBB480_855
.LBB480_782:
	s_mov_b64 s[38:39], -1
	s_mov_b64 s[30:31], s[0:1]
                                        ; implicit-def: $vgpr3
	s_branch .LBB480_821
.LBB480_783:
	s_mov_b64 s[38:39], -1
	s_mov_b64 s[30:31], s[0:1]
                                        ; implicit-def: $vgpr3
	s_branch .LBB480_802
.LBB480_784:
	s_mov_b64 s[38:39], -1
	s_mov_b64 s[30:31], s[0:1]
                                        ; implicit-def: $vgpr3
	s_branch .LBB480_797
.LBB480_785:
	s_andn2_saveexec_b64 s[34:35], s[34:35]
	s_cbranch_execz .LBB480_681
.LBB480_786:
	s_mov_b32 s39, 0x46000000
	v_add_f32_e64 v5, |v3|, s39
	v_and_b32_e32 v5, 0xff, v5
	v_cmp_ne_u32_e32 vcc, 0, v5
	s_andn2_b64 s[30:31], s[30:31], exec
	s_and_b64 s[40:41], vcc, exec
	s_or_b64 s[30:31], s[30:31], s[40:41]
	s_or_b64 exec, exec, s[34:35]
	v_mov_b32_e32 v6, 0
	s_and_saveexec_b64 s[34:35], s[30:31]
	s_cbranch_execnz .LBB480_682
	s_branch .LBB480_683
.LBB480_787:
	s_mov_b64 s[38:39], -1
	s_mov_b64 s[30:31], s[0:1]
	s_branch .LBB480_791
.LBB480_788:
	s_andn2_saveexec_b64 s[34:35], s[34:35]
	s_cbranch_execz .LBB480_694
.LBB480_789:
	s_mov_b32 s39, 0x42800000
	v_add_f32_e64 v5, |v3|, s39
	v_and_b32_e32 v5, 0xff, v5
	v_cmp_ne_u32_e32 vcc, 0, v5
	s_andn2_b64 s[30:31], s[30:31], exec
	s_and_b64 s[40:41], vcc, exec
	s_or_b64 s[30:31], s[30:31], s[40:41]
	s_or_b64 exec, exec, s[34:35]
	v_mov_b32_e32 v6, 0
	s_and_saveexec_b64 s[34:35], s[30:31]
	s_cbranch_execnz .LBB480_695
	s_branch .LBB480_696
.LBB480_790:
	s_mov_b64 s[30:31], -1
.LBB480_791:
                                        ; implicit-def: $vgpr3
.LBB480_792:
	s_and_b64 vcc, exec, s[38:39]
	s_cbranch_vccz .LBB480_796
; %bb.793:
	s_cmp_eq_u32 s44, 44
	s_cbranch_scc0 .LBB480_795
; %bb.794:
	global_load_ubyte v2, v[0:1], off
	s_movk_i32 s36, 0xff
	v_mov_b32_e32 v5, 0x7e00
	s_mov_b64 s[30:31], 0
	s_waitcnt vmcnt(0)
	v_lshlrev_b32_e32 v3, 23, v2
	v_cvt_f16_f32_e32 v3, v3
	v_cmp_ne_u32_e32 vcc, s36, v2
	s_mov_b64 s[36:37], -1
	s_nop 0
	v_cndmask_b32_e32 v3, v5, v3, vcc
	v_cmp_ne_u32_e32 vcc, 0, v2
	s_nop 1
	v_cndmask_b32_e32 v3, 0, v3, vcc
	s_branch .LBB480_796
.LBB480_795:
	s_mov_b64 s[30:31], -1
                                        ; implicit-def: $vgpr3
.LBB480_796:
	s_mov_b64 s[38:39], 0
.LBB480_797:
	s_and_b64 vcc, exec, s[38:39]
	s_cbranch_vccz .LBB480_801
; %bb.798:
	s_cmp_eq_u32 s44, 29
	s_cbranch_scc0 .LBB480_800
; %bb.799:
	global_load_dwordx2 v[2:3], v[0:1], off
	s_mov_b64 s[30:31], 0
	s_mov_b64 s[36:37], -1
	s_mov_b64 s[38:39], 0
	s_waitcnt vmcnt(0)
	v_ffbh_u32_e32 v5, v3
	v_min_u32_e32 v5, 32, v5
	v_lshlrev_b64 v[2:3], v5, v[2:3]
	v_min_u32_e32 v2, 1, v2
	v_or_b32_e32 v2, v3, v2
	v_cvt_f32_u32_e32 v2, v2
	v_sub_u32_e32 v3, 32, v5
	v_ldexp_f32 v2, v2, v3
	v_cvt_f16_f32_e32 v3, v2
	s_branch .LBB480_802
.LBB480_800:
	s_mov_b64 s[30:31], -1
                                        ; implicit-def: $vgpr3
.LBB480_801:
	s_mov_b64 s[38:39], 0
.LBB480_802:
	s_and_b64 vcc, exec, s[38:39]
	s_cbranch_vccz .LBB480_820
; %bb.803:
	s_cmp_lt_i32 s44, 27
	s_cbranch_scc1 .LBB480_806
; %bb.804:
	s_cmp_gt_i32 s44, 27
	s_cbranch_scc0 .LBB480_807
; %bb.805:
	global_load_dword v2, v[0:1], off
	s_mov_b64 s[36:37], 0
	s_waitcnt vmcnt(0)
	v_cvt_f32_u32_e32 v2, v2
	v_cvt_f16_f32_e32 v3, v2
	s_branch .LBB480_808
.LBB480_806:
	s_mov_b64 s[36:37], -1
                                        ; implicit-def: $vgpr3
	s_branch .LBB480_811
.LBB480_807:
	s_mov_b64 s[36:37], -1
                                        ; implicit-def: $vgpr3
.LBB480_808:
	s_andn2_b64 vcc, exec, s[36:37]
	s_cbranch_vccnz .LBB480_810
; %bb.809:
	global_load_ushort v2, v[0:1], off
	s_waitcnt vmcnt(0)
	v_cvt_f16_u16_e32 v3, v2
.LBB480_810:
	s_mov_b64 s[36:37], 0
.LBB480_811:
	s_andn2_b64 vcc, exec, s[36:37]
	s_cbranch_vccnz .LBB480_819
; %bb.812:
	global_load_ubyte v2, v[0:1], off
	s_movk_i32 s36, 0x7f
	s_waitcnt vmcnt(0)
	v_cmp_lt_i16_e32 vcc, s36, v2
	s_mov_b64 s[36:37], 0
	s_and_saveexec_b64 s[38:39], vcc
	s_xor_b64 s[38:39], exec, s[38:39]
	s_cbranch_execz .LBB480_833
; %bb.813:
	s_movk_i32 s36, 0x80
	v_cmp_eq_u16_e32 vcc, s36, v2
	s_mov_b64 s[36:37], -1
	s_and_saveexec_b64 s[40:41], vcc
; %bb.814:
	s_xor_b64 s[36:37], exec, -1
; %bb.815:
	s_or_b64 exec, exec, s[40:41]
	s_and_b64 s[36:37], s[36:37], exec
	s_or_saveexec_b64 s[38:39], s[38:39]
	v_mov_b32_e32 v3, 0x7e00
	s_xor_b64 exec, exec, s[38:39]
	s_cbranch_execnz .LBB480_834
.LBB480_816:
	s_or_b64 exec, exec, s[38:39]
	s_and_saveexec_b64 s[38:39], s[36:37]
	s_cbranch_execz .LBB480_818
.LBB480_817:
	v_lshlrev_b32_e32 v3, 24, v2
	v_and_b32_e32 v2, 0xffff, v2
	v_and_b32_e32 v5, 7, v2
	v_ffbh_u32_e32 v7, v5
	v_min_u32_e32 v7, 32, v7
	v_subrev_u32_e32 v8, 28, v7
	v_bfe_u32 v6, v2, 3, 4
	v_lshlrev_b32_e32 v2, v8, v2
	v_sub_u32_e32 v7, 29, v7
	v_and_b32_e32 v2, 7, v2
	v_cmp_eq_u32_e32 vcc, 0, v6
	v_and_b32_e32 v3, 0x80000000, v3
	s_nop 0
	v_cndmask_b32_e32 v6, v6, v7, vcc
	v_cndmask_b32_e32 v2, v5, v2, vcc
	v_mov_b32_e32 v5, 0x3b800000
	v_lshlrev_b32_e32 v2, 20, v2
	v_lshl_add_u32 v5, v6, 23, v5
	v_or3_b32 v2, v3, v5, v2
	v_cvt_f16_f32_e32 v3, v2
.LBB480_818:
	s_or_b64 exec, exec, s[38:39]
.LBB480_819:
	s_mov_b64 s[36:37], -1
.LBB480_820:
	s_mov_b64 s[38:39], 0
.LBB480_821:
	s_and_b64 vcc, exec, s[38:39]
	s_cbranch_vccz .LBB480_854
; %bb.822:
	s_cmp_gt_i32 s44, 22
	s_cbranch_scc0 .LBB480_832
; %bb.823:
	s_cmp_lt_i32 s44, 24
	s_cbranch_scc1 .LBB480_835
; %bb.824:
	s_cmp_gt_i32 s44, 24
	s_cbranch_scc0 .LBB480_836
; %bb.825:
	global_load_ubyte v2, v[0:1], off
	s_movk_i32 s34, 0x7f
	s_waitcnt vmcnt(0)
	v_cmp_lt_i16_e32 vcc, s34, v2
	s_mov_b64 s[34:35], 0
	s_and_saveexec_b64 s[36:37], vcc
	s_xor_b64 s[36:37], exec, s[36:37]
	s_cbranch_execz .LBB480_848
; %bb.826:
	s_movk_i32 s34, 0x80
	v_cmp_eq_u16_e32 vcc, s34, v2
	s_mov_b64 s[34:35], -1
	s_and_saveexec_b64 s[38:39], vcc
; %bb.827:
	s_xor_b64 s[34:35], exec, -1
; %bb.828:
	s_or_b64 exec, exec, s[38:39]
	s_and_b64 s[34:35], s[34:35], exec
	s_or_saveexec_b64 s[36:37], s[36:37]
	v_mov_b32_e32 v3, 0x7e00
	s_xor_b64 exec, exec, s[36:37]
	s_cbranch_execnz .LBB480_849
.LBB480_829:
	s_or_b64 exec, exec, s[36:37]
	s_and_saveexec_b64 s[36:37], s[34:35]
	s_cbranch_execz .LBB480_831
.LBB480_830:
	v_lshlrev_b32_e32 v3, 24, v2
	v_and_b32_e32 v2, 0xffff, v2
	v_and_b32_e32 v5, 3, v2
	v_ffbh_u32_e32 v7, v5
	v_min_u32_e32 v7, 32, v7
	v_subrev_u32_e32 v8, 29, v7
	v_bfe_u32 v6, v2, 2, 5
	v_lshlrev_b32_e32 v2, v8, v2
	v_sub_u32_e32 v7, 30, v7
	v_and_b32_e32 v2, 3, v2
	v_cmp_eq_u32_e32 vcc, 0, v6
	v_and_b32_e32 v3, 0x80000000, v3
	s_nop 0
	v_cndmask_b32_e32 v6, v6, v7, vcc
	v_cndmask_b32_e32 v2, v5, v2, vcc
	v_mov_b32_e32 v5, 0x37800000
	v_lshlrev_b32_e32 v2, 21, v2
	v_lshl_add_u32 v5, v6, 23, v5
	v_or3_b32 v2, v3, v5, v2
	v_cvt_f16_f32_e32 v3, v2
.LBB480_831:
	s_or_b64 exec, exec, s[36:37]
	s_mov_b64 s[34:35], 0
	s_branch .LBB480_837
.LBB480_832:
	s_mov_b64 s[34:35], -1
                                        ; implicit-def: $vgpr3
	s_branch .LBB480_843
.LBB480_833:
	s_or_saveexec_b64 s[38:39], s[38:39]
	v_mov_b32_e32 v3, 0x7e00
	s_xor_b64 exec, exec, s[38:39]
	s_cbranch_execz .LBB480_816
.LBB480_834:
	v_cmp_ne_u16_e32 vcc, 0, v2
	s_andn2_b64 s[36:37], s[36:37], exec
	s_and_b64 s[40:41], vcc, exec
	s_or_b64 s[36:37], s[36:37], s[40:41]
	v_mov_b32_e32 v3, v2
	s_or_b64 exec, exec, s[38:39]
	s_and_saveexec_b64 s[38:39], s[36:37]
	s_cbranch_execnz .LBB480_817
	s_branch .LBB480_818
.LBB480_835:
	s_mov_b64 s[34:35], -1
                                        ; implicit-def: $vgpr3
	s_branch .LBB480_840
.LBB480_836:
	s_mov_b64 s[34:35], -1
                                        ; implicit-def: $vgpr3
.LBB480_837:
	s_and_b64 vcc, exec, s[34:35]
	s_cbranch_vccz .LBB480_839
; %bb.838:
	global_load_ubyte v2, v[0:1], off
	s_mov_b32 s34, 0x7f800000
	s_waitcnt vmcnt(0)
	v_lshlrev_b32_e32 v2, 24, v2
	v_and_b32_e32 v3, 0x7f000000, v2
	v_ffbh_u32_e32 v5, v3
	v_min_u32_e32 v5, 32, v5
	v_sub_u32_e64 v5, v5, 4 clamp
	v_lshlrev_b32_e32 v7, v5, v3
	v_lshlrev_b32_e32 v5, 23, v5
	v_lshrrev_b32_e32 v7, 4, v7
	v_add_u32_e32 v6, 0x1000000, v3
	v_sub_u32_e32 v5, v7, v5
	v_ashrrev_i32_e32 v6, 8, v6
	v_add_u32_e32 v5, 0x3c000000, v5
	v_and_or_b32 v5, v6, s34, v5
	v_cmp_ne_u32_e32 vcc, 0, v3
	s_brev_b32 s34, 1
	s_nop 0
	v_cndmask_b32_e32 v3, 0, v5, vcc
	v_and_or_b32 v2, v2, s34, v3
	v_cvt_f16_f32_e32 v3, v2
.LBB480_839:
	s_mov_b64 s[34:35], 0
.LBB480_840:
	s_andn2_b64 vcc, exec, s[34:35]
	s_cbranch_vccnz .LBB480_842
; %bb.841:
	global_load_ubyte v2, v[0:1], off
	s_movk_i32 s34, 0x7f00
	s_brev_b32 s35, 16
	s_waitcnt vmcnt(0)
	v_lshlrev_b16_e32 v3, 8, v2
	v_lshlrev_b32_e32 v2, 25, v2
	v_lshrrev_b32_e32 v5, 4, v2
	v_and_or_b32 v6, v3, s34, 0.5
	v_or_b32_e32 v5, 0x70000000, v5
	v_add_f32_e32 v6, -0.5, v6
	v_mul_f32_e32 v5, 0x7800000, v5
	v_cmp_gt_u32_e32 vcc, s35, v2
	v_bfe_i32 v3, v3, 0, 16
	s_brev_b32 s34, 1
	v_cndmask_b32_e32 v2, v5, v6, vcc
	v_and_or_b32 v2, v3, s34, v2
	v_cvt_f16_f32_e32 v3, v2
.LBB480_842:
	s_mov_b64 s[34:35], 0
	s_mov_b64 s[36:37], -1
.LBB480_843:
	s_andn2_b64 vcc, exec, s[34:35]
	s_mov_b64 s[34:35], 0
	s_cbranch_vccnz .LBB480_854
; %bb.844:
	s_cmp_gt_i32 s44, 14
	s_cbranch_scc0 .LBB480_847
; %bb.845:
	s_cmp_eq_u32 s44, 15
	s_cbranch_scc0 .LBB480_850
; %bb.846:
	global_load_ushort v2, v[0:1], off
	s_mov_b64 s[30:31], 0
	s_mov_b64 s[36:37], -1
	s_waitcnt vmcnt(0)
	v_lshlrev_b32_e32 v2, 16, v2
	v_cvt_f16_f32_e32 v3, v2
	s_branch .LBB480_851
.LBB480_847:
	s_mov_b64 s[38:39], -1
                                        ; implicit-def: $vgpr3
	s_branch .LBB480_852
.LBB480_848:
	s_or_saveexec_b64 s[36:37], s[36:37]
	v_mov_b32_e32 v3, 0x7e00
	s_xor_b64 exec, exec, s[36:37]
	s_cbranch_execz .LBB480_829
.LBB480_849:
	v_cmp_ne_u16_e32 vcc, 0, v2
	s_andn2_b64 s[34:35], s[34:35], exec
	s_and_b64 s[38:39], vcc, exec
	s_or_b64 s[34:35], s[34:35], s[38:39]
	v_mov_b32_e32 v3, v2
	s_or_b64 exec, exec, s[36:37]
	s_and_saveexec_b64 s[36:37], s[34:35]
	s_cbranch_execnz .LBB480_830
	s_branch .LBB480_831
.LBB480_850:
	s_mov_b64 s[30:31], -1
                                        ; implicit-def: $vgpr3
.LBB480_851:
	s_mov_b64 s[38:39], 0
.LBB480_852:
	s_and_b64 vcc, exec, s[38:39]
	s_cbranch_vccz .LBB480_854
; %bb.853:
	s_cmp_lg_u32 s44, 11
	s_cselect_b64 s[38:39], -1, 0
	s_andn2_b64 s[30:31], s[30:31], exec
	s_and_b64 s[38:39], s[38:39], exec
	s_mov_b64 s[34:35], -1
	s_or_b64 s[30:31], s[30:31], s[38:39]
.LBB480_854:
	s_mov_b64 s[38:39], 0
.LBB480_855:
	s_and_b64 s[40:41], s[38:39], exec
	s_andn2_b64 s[38:39], s[0:1], exec
	s_and_b64 s[30:31], s[30:31], exec
	s_and_b64 s[36:37], s[36:37], exec
	s_and_b64 s[34:35], s[34:35], exec
	s_or_b64 s[38:39], s[38:39], s[30:31]
.LBB480_856:
	s_or_b64 exec, exec, s[26:27]
	s_and_b64 s[30:31], s[34:35], exec
	s_andn2_b64 s[0:1], s[0:1], exec
	s_and_b64 s[34:35], s[38:39], exec
	s_and_b64 s[36:37], s[36:37], exec
	;; [unrolled: 1-line block ×3, first 2 shown]
	s_or_b64 s[0:1], s[0:1], s[34:35]
.LBB480_857:
	s_or_b64 exec, exec, s[24:25]
	s_andn2_b64 s[20:21], s[20:21], exec
	s_and_b64 s[24:25], s[28:29], exec
	s_andn2_b64 s[18:19], s[18:19], exec
	s_and_b64 s[0:1], s[0:1], exec
	s_or_b64 s[20:21], s[20:21], s[24:25]
	s_and_b64 s[28:29], s[36:37], exec
	s_and_b64 s[26:27], s[26:27], exec
	;; [unrolled: 1-line block ×3, first 2 shown]
	s_or_b64 s[18:19], s[18:19], s[0:1]
.LBB480_858:
	s_or_b64 exec, exec, s[22:23]
	s_andn2_b64 s[0:1], s[12:13], exec
	s_and_b64 s[12:13], s[20:21], exec
	s_andn2_b64 s[14:15], s[14:15], exec
	s_and_b64 s[18:19], s[18:19], exec
	s_or_b64 s[12:13], s[0:1], s[12:13]
	s_and_b64 s[0:1], s[28:29], exec
	s_and_b64 s[22:23], s[26:27], exec
	;; [unrolled: 1-line block ×3, first 2 shown]
	s_or_b64 s[14:15], s[14:15], s[18:19]
	s_or_b64 exec, exec, s[16:17]
	s_mov_b64 s[16:17], 0
	s_and_saveexec_b64 s[18:19], s[14:15]
	s_cbranch_execz .LBB480_262
.LBB480_859:
	s_mov_b64 s[16:17], exec
	s_andn2_b64 s[20:21], s[20:21], exec
	s_trap 2
	s_or_b64 exec, exec, s[18:19]
	s_and_saveexec_b64 s[14:15], s[20:21]
	s_xor_b64 s[14:15], exec, s[14:15]
	s_cbranch_execnz .LBB480_263
.LBB480_860:
	s_or_b64 exec, exec, s[14:15]
	s_and_saveexec_b64 s[14:15], s[22:23]
	s_cbranch_execz .LBB480_906
.LBB480_861:
	s_sext_i32_i16 s18, s43
	s_cmp_lt_i32 s18, 5
	s_cbranch_scc1 .LBB480_866
; %bb.862:
	s_cmp_lt_i32 s18, 8
	s_cbranch_scc1 .LBB480_867
; %bb.863:
	;; [unrolled: 3-line block ×3, first 2 shown]
	s_cmp_gt_i32 s18, 9
	s_cbranch_scc0 .LBB480_869
; %bb.865:
	global_load_dwordx2 v[2:3], v[0:1], off
	s_movk_i32 s18, 0x1ff
	s_movk_i32 s19, 0xffe
	v_mov_b32_e32 v5, 0x7c00
	v_mov_b32_e32 v6, 0x7e00
	s_movk_i32 s20, 0x40f
	s_mov_b32 s21, 0x8000
	s_waitcnt vmcnt(0)
	v_and_or_b32 v2, v3, s18, v2
	v_cmp_ne_u32_e32 vcc, 0, v2
	v_lshrrev_b32_e32 v7, 8, v3
	v_bfe_u32 v8, v3, 20, 11
	v_cndmask_b32_e64 v2, 0, 1, vcc
	v_sub_u32_e32 v9, 0x3f1, v8
	v_and_or_b32 v2, v7, s19, v2
	v_add_u32_e32 v8, 0xfffffc10, v8
	v_med3_i32 v7, v9, 0, 13
	v_or_b32_e32 v9, 0x1000, v2
	v_cmp_ne_u32_e32 vcc, 0, v2
	v_lshl_or_b32 v10, v8, 12, v2
	v_lshrrev_b32_e32 v3, 16, v3
	v_cndmask_b32_e32 v2, v5, v6, vcc
	v_lshrrev_b32_e32 v6, v7, v9
	v_lshlrev_b32_e32 v7, v7, v6
	v_cmp_ne_u32_e32 vcc, v7, v9
	s_mov_b64 s[18:19], 0
	s_nop 0
	v_cndmask_b32_e64 v7, 0, 1, vcc
	v_or_b32_e32 v6, v6, v7
	v_cmp_gt_i32_e32 vcc, 1, v8
	s_nop 1
	v_cndmask_b32_e32 v6, v10, v6, vcc
	v_and_b32_e32 v7, 7, v6
	v_cmp_lt_i32_e32 vcc, 5, v7
	v_lshrrev_b32_e32 v6, 2, v6
	s_nop 0
	v_cndmask_b32_e64 v9, 0, 1, vcc
	v_cmp_eq_u32_e32 vcc, 3, v7
	s_nop 1
	v_cndmask_b32_e64 v7, 0, 1, vcc
	v_or_b32_e32 v7, v7, v9
	v_add_u32_e32 v6, v6, v7
	v_cmp_gt_i32_e32 vcc, 31, v8
	s_nop 1
	v_cndmask_b32_e32 v5, v5, v6, vcc
	v_cmp_eq_u32_e32 vcc, s20, v8
	s_nop 1
	v_cndmask_b32_e32 v2, v5, v2, vcc
	v_and_or_b32 v3, v3, s21, v2
	s_branch .LBB480_870
.LBB480_866:
                                        ; implicit-def: $vgpr3
	s_branch .LBB480_887
.LBB480_867:
                                        ; implicit-def: $vgpr3
	s_branch .LBB480_876
.LBB480_868:
	s_mov_b64 s[18:19], -1
                                        ; implicit-def: $vgpr3
	s_branch .LBB480_873
.LBB480_869:
	s_mov_b64 s[18:19], -1
                                        ; implicit-def: $vgpr3
.LBB480_870:
	s_andn2_b64 vcc, exec, s[18:19]
	s_cbranch_vccnz .LBB480_872
; %bb.871:
	global_load_dword v2, v[0:1], off
	s_waitcnt vmcnt(0)
	v_cvt_f16_f32_e32 v3, v2
.LBB480_872:
	s_mov_b64 s[18:19], 0
.LBB480_873:
	s_andn2_b64 vcc, exec, s[18:19]
	s_cbranch_vccnz .LBB480_875
; %bb.874:
	global_load_dword v3, v[0:1], off
.LBB480_875:
	s_cbranch_execnz .LBB480_886
.LBB480_876:
	s_sext_i32_i16 s18, s43
	s_cmp_lt_i32 s18, 6
	s_cbranch_scc1 .LBB480_879
; %bb.877:
	s_cmp_gt_i32 s18, 6
	s_cbranch_scc0 .LBB480_880
; %bb.878:
	global_load_dwordx2 v[2:3], v[0:1], off
	s_movk_i32 s18, 0x1ff
	s_movk_i32 s19, 0xffe
	v_mov_b32_e32 v5, 0x7c00
	v_mov_b32_e32 v6, 0x7e00
	s_movk_i32 s20, 0x40f
	s_mov_b32 s21, 0x8000
	s_waitcnt vmcnt(0)
	v_and_or_b32 v2, v3, s18, v2
	v_cmp_ne_u32_e32 vcc, 0, v2
	v_lshrrev_b32_e32 v7, 8, v3
	v_bfe_u32 v8, v3, 20, 11
	v_cndmask_b32_e64 v2, 0, 1, vcc
	v_sub_u32_e32 v9, 0x3f1, v8
	v_and_or_b32 v2, v7, s19, v2
	v_add_u32_e32 v8, 0xfffffc10, v8
	v_med3_i32 v7, v9, 0, 13
	v_or_b32_e32 v9, 0x1000, v2
	v_cmp_ne_u32_e32 vcc, 0, v2
	v_lshl_or_b32 v10, v8, 12, v2
	v_lshrrev_b32_e32 v3, 16, v3
	v_cndmask_b32_e32 v2, v5, v6, vcc
	v_lshrrev_b32_e32 v6, v7, v9
	v_lshlrev_b32_e32 v7, v7, v6
	v_cmp_ne_u32_e32 vcc, v7, v9
	s_mov_b64 s[18:19], 0
	s_nop 0
	v_cndmask_b32_e64 v7, 0, 1, vcc
	v_or_b32_e32 v6, v6, v7
	v_cmp_gt_i32_e32 vcc, 1, v8
	s_nop 1
	v_cndmask_b32_e32 v6, v10, v6, vcc
	v_and_b32_e32 v7, 7, v6
	v_cmp_lt_i32_e32 vcc, 5, v7
	v_lshrrev_b32_e32 v6, 2, v6
	s_nop 0
	v_cndmask_b32_e64 v9, 0, 1, vcc
	v_cmp_eq_u32_e32 vcc, 3, v7
	s_nop 1
	v_cndmask_b32_e64 v7, 0, 1, vcc
	v_or_b32_e32 v7, v7, v9
	v_add_u32_e32 v6, v6, v7
	v_cmp_gt_i32_e32 vcc, 31, v8
	s_nop 1
	v_cndmask_b32_e32 v5, v5, v6, vcc
	v_cmp_eq_u32_e32 vcc, s20, v8
	s_nop 1
	v_cndmask_b32_e32 v2, v5, v2, vcc
	v_and_or_b32 v3, v3, s21, v2
	s_branch .LBB480_881
.LBB480_879:
	s_mov_b64 s[18:19], -1
                                        ; implicit-def: $vgpr3
	s_branch .LBB480_884
.LBB480_880:
	s_mov_b64 s[18:19], -1
                                        ; implicit-def: $vgpr3
.LBB480_881:
	s_andn2_b64 vcc, exec, s[18:19]
	s_cbranch_vccnz .LBB480_883
; %bb.882:
	global_load_dword v2, v[0:1], off
	s_waitcnt vmcnt(0)
	v_cvt_f16_f32_e32 v3, v2
.LBB480_883:
	s_mov_b64 s[18:19], 0
.LBB480_884:
	s_andn2_b64 vcc, exec, s[18:19]
	s_cbranch_vccnz .LBB480_886
; %bb.885:
	global_load_ushort v3, v[0:1], off
.LBB480_886:
	s_cbranch_execnz .LBB480_905
.LBB480_887:
	s_sext_i32_i16 s18, s43
	s_cmp_lt_i32 s18, 2
	s_cbranch_scc1 .LBB480_891
; %bb.888:
	s_cmp_lt_i32 s18, 3
	s_cbranch_scc1 .LBB480_892
; %bb.889:
	s_cmp_gt_i32 s18, 3
	s_cbranch_scc0 .LBB480_893
; %bb.890:
	global_load_dwordx2 v[2:3], v[0:1], off
	s_mov_b64 s[18:19], 0
	s_waitcnt vmcnt(0)
	v_xor_b32_e32 v6, v2, v3
	v_ffbh_i32_e32 v5, v3
	v_ashrrev_i32_e32 v6, 31, v6
	v_add_u32_e32 v5, -1, v5
	v_add_u32_e32 v6, 32, v6
	v_min_u32_e32 v5, v5, v6
	v_lshlrev_b64 v[2:3], v5, v[2:3]
	v_min_u32_e32 v2, 1, v2
	v_or_b32_e32 v2, v3, v2
	v_cvt_f32_i32_e32 v2, v2
	v_sub_u32_e32 v3, 32, v5
	v_ldexp_f32 v2, v2, v3
	v_cvt_f16_f32_e32 v3, v2
	s_branch .LBB480_894
.LBB480_891:
                                        ; implicit-def: $vgpr3
	s_branch .LBB480_900
.LBB480_892:
	s_mov_b64 s[18:19], -1
                                        ; implicit-def: $vgpr3
	s_branch .LBB480_897
.LBB480_893:
	s_mov_b64 s[18:19], -1
                                        ; implicit-def: $vgpr3
.LBB480_894:
	s_andn2_b64 vcc, exec, s[18:19]
	s_cbranch_vccnz .LBB480_896
; %bb.895:
	global_load_dword v2, v[0:1], off
	s_waitcnt vmcnt(0)
	v_cvt_f32_i32_e32 v2, v2
	v_cvt_f16_f32_e32 v3, v2
.LBB480_896:
	s_mov_b64 s[18:19], 0
.LBB480_897:
	s_andn2_b64 vcc, exec, s[18:19]
	s_cbranch_vccnz .LBB480_899
; %bb.898:
	global_load_ushort v2, v[0:1], off
	s_waitcnt vmcnt(0)
	v_cvt_f16_i16_e32 v3, v2
.LBB480_899:
	s_cbranch_execnz .LBB480_905
.LBB480_900:
	s_sext_i32_i16 s18, s43
	s_cmp_gt_i32 s18, 0
	s_cbranch_scc0 .LBB480_902
; %bb.901:
	global_load_sbyte v2, v[0:1], off
	s_mov_b64 s[18:19], 0
	s_waitcnt vmcnt(0)
	v_cvt_f16_i16_e32 v3, v2
	s_branch .LBB480_903
.LBB480_902:
	s_mov_b64 s[18:19], -1
                                        ; implicit-def: $vgpr3
.LBB480_903:
	s_andn2_b64 vcc, exec, s[18:19]
	s_cbranch_vccnz .LBB480_905
; %bb.904:
	global_load_ubyte v0, v[0:1], off
	s_waitcnt vmcnt(0)
	v_cvt_f16_u16_e32 v3, v0
.LBB480_905:
	s_or_b64 s[0:1], s[0:1], exec
.LBB480_906:
	s_or_b64 exec, exec, s[14:15]
	s_mov_b64 s[20:21], 0
	s_mov_b64 s[18:19], 0
                                        ; implicit-def: $sgpr26
                                        ; implicit-def: $vgpr0_vgpr1
                                        ; implicit-def: $vgpr2
	s_and_saveexec_b64 s[14:15], s[0:1]
	s_cbranch_execz .LBB480_924
; %bb.907:
	s_waitcnt vmcnt(0)
	v_cmp_u_f16_e32 vcc, v3, v3
	v_cmp_gt_f16_e64 s[0:1], s33, v3
	v_mov_b32_e32 v0, s33
	s_or_b64 vcc, vcc, s[0:1]
	v_cndmask_b32_e32 v2, v0, v3, vcc
	v_mul_lo_u32 v0, v4, s8
	v_ashrrev_i32_e32 v1, 31, v0
	s_and_b32 s26, s42, 0xff
	s_cmp_lt_i32 s26, 11
	v_lshl_add_u64 v[0:1], s[4:5], 0, v[0:1]
	s_cbranch_scc1 .LBB480_927
; %bb.908:
	s_and_b32 s27, 0xffff, s26
	s_mov_b64 s[20:21], -1
	s_cmp_gt_i32 s27, 25
	s_mov_b64 s[0:1], s[12:13]
	s_cbranch_scc0 .LBB480_945
; %bb.909:
	s_mov_b64 s[18:19], -1
	s_cmp_gt_i32 s27, 28
	s_mov_b64 s[0:1], s[12:13]
	s_cbranch_scc0 .LBB480_929
; %bb.910:
	s_cmp_gt_i32 s27, 43
	s_mov_b64 s[0:1], s[12:13]
	s_cbranch_scc0 .LBB480_921
; %bb.911:
	;; [unrolled: 4-line block ×3, first 2 shown]
	s_cmp_eq_u32 s27, 46
	s_mov_b64 s[0:1], -1
	s_cbranch_scc0 .LBB480_914
; %bb.913:
	v_cvt_f32_f16_e32 v3, v2
	s_movk_i32 s0, 0x7fff
	v_cmp_o_f16_e32 vcc, v2, v2
	v_mov_b32_e32 v4, 0x7fc0
	v_bfe_u32 v5, v3, 16, 1
	v_add3_u32 v3, v3, v5, s0
	v_cndmask_b32_sdwa v3, v4, v3, vcc dst_sel:DWORD dst_unused:UNUSED_PAD src0_sel:DWORD src1_sel:WORD_1
	global_store_dword v[0:1], v3, off
	s_mov_b64 s[0:1], 0
.LBB480_914:
	s_mov_b64 s[18:19], 0
.LBB480_915:
	s_and_b64 vcc, exec, s[18:19]
	s_cbranch_vccz .LBB480_920
; %bb.916:
	s_cmp_eq_u32 s27, 44
	s_mov_b64 s[0:1], -1
	s_cbranch_scc0 .LBB480_920
; %bb.917:
	v_cvt_f32_f16_e32 v3, v2
	s_movk_i32 s0, 0xff
	v_mov_b32_e32 v5, 0xff
	v_bfe_u32 v4, v3, 23, 8
	v_cmp_ne_u32_e32 vcc, s0, v4
	s_and_saveexec_b64 s[18:19], vcc
; %bb.918:
	s_mov_b32 s0, 0x3fffff
	v_lshrrev_b32_e32 v5, 23, v3
	v_and_b32_e32 v6, 0x400000, v3
	v_and_or_b32 v3, v3, s0, v4
	v_cmp_ne_u32_e32 vcc, 0, v6
	v_cmp_ne_u32_e64 s[0:1], 0, v3
	s_and_b64 s[0:1], vcc, s[0:1]
	s_nop 0
	v_cndmask_b32_e64 v3, 0, 1, s[0:1]
	v_add_u32_e32 v5, v5, v3
; %bb.919:
	s_or_b64 exec, exec, s[18:19]
	s_mov_b64 s[0:1], 0
	global_store_byte v[0:1], v5, off
.LBB480_920:
	s_mov_b64 s[18:19], 0
.LBB480_921:
	s_and_b64 vcc, exec, s[18:19]
	s_cbranch_vccz .LBB480_928
; %bb.922:
	s_cmp_eq_u32 s27, 29
	s_mov_b64 s[0:1], -1
	s_cbranch_scc0 .LBB480_928
; %bb.923:
	v_cvt_f32_f16_e32 v3, v2
	v_mov_b32_e32 v5, 0
	s_mov_b64 s[0:1], 0
	s_mov_b64 s[18:19], 0
	v_cvt_u32_f32_e32 v4, v3
	global_store_dwordx2 v[0:1], v[4:5], off
	s_branch .LBB480_929
.LBB480_924:
	s_or_b64 exec, exec, s[14:15]
	s_and_saveexec_b64 s[0:1], s[12:13]
	s_cbranch_execnz .LBB480_987
.LBB480_925:
	s_or_b64 exec, exec, s[0:1]
	s_and_saveexec_b64 s[0:1], s[20:21]
	s_xor_b64 s[0:1], exec, s[0:1]
	s_cbranch_execz .LBB480_988
.LBB480_926:
	s_waitcnt vmcnt(0)
	v_and_b32_e32 v3, 0x7fff, v2
	v_cmp_ne_u16_e32 vcc, 0, v3
	s_nop 1
	v_cndmask_b32_e64 v3, 0, 1, vcc
	global_store_byte v[0:1], v3, off
	s_or_b64 exec, exec, s[0:1]
	s_and_saveexec_b64 s[0:1], s[18:19]
	s_xor_b64 s[0:1], exec, s[0:1]
	s_cbranch_execz .LBB480_1026
	s_branch .LBB480_989
.LBB480_927:
	s_mov_b64 s[18:19], -1
	s_mov_b64 s[0:1], s[12:13]
	s_branch .LBB480_986
.LBB480_928:
	s_mov_b64 s[18:19], 0
.LBB480_929:
	s_and_b64 vcc, exec, s[18:19]
	s_cbranch_vccz .LBB480_944
; %bb.930:
	s_cmp_lt_i32 s27, 27
	s_mov_b64 s[18:19], -1
	s_cbranch_scc1 .LBB480_936
; %bb.931:
	s_cmp_gt_i32 s27, 27
	s_cbranch_scc0 .LBB480_933
; %bb.932:
	v_cvt_f32_f16_e32 v3, v2
	s_mov_b64 s[18:19], 0
	v_cvt_u32_f32_e32 v3, v3
	global_store_dword v[0:1], v3, off
.LBB480_933:
	s_andn2_b64 vcc, exec, s[18:19]
	s_cbranch_vccnz .LBB480_935
; %bb.934:
	v_cvt_u16_f16_e32 v3, v2
	global_store_short v[0:1], v3, off
.LBB480_935:
	s_mov_b64 s[18:19], 0
.LBB480_936:
	s_andn2_b64 vcc, exec, s[18:19]
	s_cbranch_vccnz .LBB480_944
; %bb.937:
	v_cvt_f32_f16_e32 v3, v2
	s_mov_b32 s18, 0x43800000
	v_mov_b32_e32 v5, 0x80
	v_and_b32_e32 v4, 0x7fffffff, v3
	v_cmp_gt_u32_e32 vcc, s18, v4
	s_and_saveexec_b64 s[18:19], vcc
	s_cbranch_execz .LBB480_943
; %bb.938:
	s_mov_b32 s20, 0x3bffffff
	v_cmp_lt_u32_e32 vcc, s20, v4
	s_mov_b64 s[20:21], 0
                                        ; implicit-def: $vgpr4
	s_and_saveexec_b64 s[22:23], vcc
	s_xor_b64 s[22:23], exec, s[22:23]
	s_cbranch_execz .LBB480_1041
; %bb.939:
	v_bfe_u32 v4, v3, 20, 1
	s_mov_b32 s24, 0x487ffff
	v_add3_u32 v4, v3, v4, s24
	s_mov_b64 s[20:21], exec
	v_lshrrev_b32_e32 v4, 20, v4
	s_andn2_saveexec_b64 s[22:23], s[22:23]
	s_cbranch_execnz .LBB480_1042
.LBB480_940:
	s_or_b64 exec, exec, s[22:23]
	v_mov_b32_e32 v5, 0
	s_and_saveexec_b64 s[22:23], s[20:21]
.LBB480_941:
	v_lshrrev_b32_e32 v3, 24, v3
	s_movk_i32 s20, 0x80
	v_and_or_b32 v5, v3, s20, v4
.LBB480_942:
	s_or_b64 exec, exec, s[22:23]
.LBB480_943:
	s_or_b64 exec, exec, s[18:19]
	global_store_byte v[0:1], v5, off
.LBB480_944:
	s_mov_b64 s[20:21], 0
.LBB480_945:
	s_mov_b64 s[18:19], 0
	s_and_b64 vcc, exec, s[20:21]
	s_cbranch_vccz .LBB480_985
; %bb.946:
	s_cmp_gt_i32 s27, 22
	s_mov_b64 s[20:21], -1
	s_cbranch_scc0 .LBB480_978
; %bb.947:
	s_cmp_lt_i32 s27, 24
	s_cbranch_scc1 .LBB480_967
; %bb.948:
	s_cmp_gt_i32 s27, 24
	s_cbranch_scc0 .LBB480_956
; %bb.949:
	v_cvt_f32_f16_e32 v3, v2
	s_mov_b32 s20, 0x47800000
	v_mov_b32_e32 v5, 0x80
	v_and_b32_e32 v4, 0x7fffffff, v3
	v_cmp_gt_u32_e32 vcc, s20, v4
	s_and_saveexec_b64 s[20:21], vcc
	s_cbranch_execz .LBB480_955
; %bb.950:
	s_mov_b32 s22, 0x37ffffff
	v_cmp_lt_u32_e32 vcc, s22, v4
	s_mov_b64 s[22:23], 0
                                        ; implicit-def: $vgpr4
	s_and_saveexec_b64 s[24:25], vcc
	s_xor_b64 s[24:25], exec, s[24:25]
	s_cbranch_execz .LBB480_1166
; %bb.951:
	v_bfe_u32 v4, v3, 21, 1
	s_mov_b32 s28, 0x88fffff
	v_add3_u32 v4, v3, v4, s28
	s_mov_b64 s[22:23], exec
	v_lshrrev_b32_e32 v4, 21, v4
	s_andn2_saveexec_b64 s[24:25], s[24:25]
	s_cbranch_execnz .LBB480_1167
.LBB480_952:
	s_or_b64 exec, exec, s[24:25]
	v_mov_b32_e32 v5, 0
	s_and_saveexec_b64 s[24:25], s[22:23]
.LBB480_953:
	v_lshrrev_b32_e32 v3, 24, v3
	s_movk_i32 s22, 0x80
	v_and_or_b32 v5, v3, s22, v4
.LBB480_954:
	s_or_b64 exec, exec, s[24:25]
.LBB480_955:
	s_or_b64 exec, exec, s[20:21]
	s_mov_b64 s[20:21], 0
	global_store_byte v[0:1], v5, off
.LBB480_956:
	s_and_b64 vcc, exec, s[20:21]
	s_cbranch_vccz .LBB480_966
; %bb.957:
	v_cvt_f32_f16_e32 v3, v2
	s_mov_b32 s20, 0x43f00000
                                        ; implicit-def: $vgpr4
	v_and_b32_e32 v5, 0x7fffffff, v3
	v_cmp_gt_u32_e32 vcc, s20, v5
	s_and_saveexec_b64 s[20:21], vcc
	s_xor_b64 s[20:21], exec, s[20:21]
	s_cbranch_execz .LBB480_963
; %bb.958:
	s_mov_b32 s22, 0x3c7fffff
	v_cmp_lt_u32_e32 vcc, s22, v5
                                        ; implicit-def: $vgpr4
	s_and_saveexec_b64 s[22:23], vcc
	s_xor_b64 s[22:23], exec, s[22:23]
; %bb.959:
	v_bfe_u32 v4, v3, 20, 1
	s_mov_b32 s24, 0x407ffff
	v_add3_u32 v4, v3, v4, s24
	v_lshrrev_b32_e32 v5, 20, v4
	v_and_b32_e32 v4, 0xff00000, v4
	s_mov_b32 s24, 0x7f00000
	v_mov_b32_e32 v6, 0x7e
	v_cmp_ne_u32_e32 vcc, s24, v4
	s_nop 1
	v_cndmask_b32_e32 v4, v6, v5, vcc
; %bb.960:
	s_andn2_saveexec_b64 s[22:23], s[22:23]
; %bb.961:
	s_mov_b32 s24, 0x46800000
	v_add_f32_e64 v4, |v3|, s24
; %bb.962:
	s_or_b64 exec, exec, s[22:23]
                                        ; implicit-def: $vgpr5
.LBB480_963:
	s_andn2_saveexec_b64 s[20:21], s[20:21]
; %bb.964:
	s_mov_b32 s22, 0x7f800000
	v_mov_b32_e32 v4, 0x7e
	v_mov_b32_e32 v6, 0x7f
	v_cmp_lt_u32_e32 vcc, s22, v5
	s_nop 1
	v_cndmask_b32_e32 v4, v4, v6, vcc
; %bb.965:
	s_or_b64 exec, exec, s[20:21]
	v_lshrrev_b32_e32 v3, 24, v3
	s_movk_i32 s20, 0x80
	v_and_or_b32 v3, v3, s20, v4
	global_store_byte v[0:1], v3, off
.LBB480_966:
	s_mov_b64 s[20:21], 0
.LBB480_967:
	s_andn2_b64 vcc, exec, s[20:21]
	s_cbranch_vccnz .LBB480_977
; %bb.968:
	v_cvt_f32_f16_e32 v3, v2
	s_mov_b32 s20, 0x47800000
                                        ; implicit-def: $vgpr4
	v_and_b32_e32 v5, 0x7fffffff, v3
	v_cmp_gt_u32_e32 vcc, s20, v5
	s_and_saveexec_b64 s[20:21], vcc
	s_xor_b64 s[20:21], exec, s[20:21]
	s_cbranch_execz .LBB480_974
; %bb.969:
	s_mov_b32 s22, 0x387fffff
	v_cmp_lt_u32_e32 vcc, s22, v5
                                        ; implicit-def: $vgpr4
	s_and_saveexec_b64 s[22:23], vcc
	s_xor_b64 s[22:23], exec, s[22:23]
; %bb.970:
	v_bfe_u32 v4, v3, 21, 1
	s_mov_b32 s24, 0x80fffff
	v_add3_u32 v4, v3, v4, s24
	v_lshrrev_b32_e32 v4, 21, v4
; %bb.971:
	s_andn2_saveexec_b64 s[22:23], s[22:23]
; %bb.972:
	s_mov_b32 s24, 0x43000000
	v_add_f32_e64 v4, |v3|, s24
; %bb.973:
	s_or_b64 exec, exec, s[22:23]
                                        ; implicit-def: $vgpr5
.LBB480_974:
	s_andn2_saveexec_b64 s[20:21], s[20:21]
; %bb.975:
	s_mov_b32 s22, 0x7f800000
	v_mov_b32_e32 v4, 0x7c
	v_mov_b32_e32 v6, 0x7f
	v_cmp_lt_u32_e32 vcc, s22, v5
	s_nop 1
	v_cndmask_b32_e32 v4, v4, v6, vcc
; %bb.976:
	s_or_b64 exec, exec, s[20:21]
	v_lshrrev_b32_e32 v3, 24, v3
	s_movk_i32 s20, 0x80
	v_and_or_b32 v3, v3, s20, v4
	global_store_byte v[0:1], v3, off
.LBB480_977:
	s_mov_b64 s[20:21], 0
.LBB480_978:
	s_andn2_b64 vcc, exec, s[20:21]
	s_mov_b64 s[20:21], 0
	s_cbranch_vccnz .LBB480_986
; %bb.979:
	s_cmp_gt_i32 s27, 14
	s_mov_b64 s[22:23], -1
	s_cbranch_scc0 .LBB480_983
; %bb.980:
	s_cmp_eq_u32 s27, 15
	s_mov_b64 s[0:1], -1
	s_cbranch_scc0 .LBB480_982
; %bb.981:
	v_cvt_f32_f16_e32 v3, v2
	s_movk_i32 s0, 0x7fff
	v_cmp_o_f16_e32 vcc, v2, v2
	v_mov_b32_e32 v4, 0x7fc0
	v_bfe_u32 v5, v3, 16, 1
	v_add3_u32 v3, v3, v5, s0
	v_cndmask_b32_sdwa v3, v4, v3, vcc dst_sel:DWORD dst_unused:UNUSED_PAD src0_sel:DWORD src1_sel:WORD_1
	global_store_short v[0:1], v3, off
	s_mov_b64 s[0:1], 0
.LBB480_982:
	s_mov_b64 s[22:23], 0
.LBB480_983:
	s_and_b64 vcc, exec, s[22:23]
	s_cbranch_vccz .LBB480_986
; %bb.984:
	s_cmp_lg_u32 s27, 11
	s_cselect_b64 s[22:23], -1, 0
	s_andn2_b64 s[0:1], s[0:1], exec
	s_and_b64 s[22:23], s[22:23], exec
	s_mov_b64 s[20:21], -1
	s_or_b64 s[0:1], s[0:1], s[22:23]
	s_branch .LBB480_986
.LBB480_985:
	s_mov_b64 s[20:21], 0
.LBB480_986:
	s_andn2_b64 s[12:13], s[12:13], exec
	s_and_b64 s[0:1], s[0:1], exec
	s_and_b64 s[18:19], s[18:19], exec
	;; [unrolled: 1-line block ×3, first 2 shown]
	s_or_b64 s[12:13], s[12:13], s[0:1]
	s_or_b64 exec, exec, s[14:15]
	s_and_saveexec_b64 s[0:1], s[12:13]
	s_cbranch_execz .LBB480_925
.LBB480_987:
	s_or_b64 s[16:17], s[16:17], exec
	s_andn2_b64 s[20:21], s[20:21], exec
	s_trap 2
	s_or_b64 exec, exec, s[0:1]
	s_and_saveexec_b64 s[0:1], s[20:21]
	s_xor_b64 s[0:1], exec, s[0:1]
	s_cbranch_execnz .LBB480_926
.LBB480_988:
	s_or_b64 exec, exec, s[0:1]
	s_and_saveexec_b64 s[0:1], s[18:19]
	s_xor_b64 s[0:1], exec, s[0:1]
	s_cbranch_execz .LBB480_1026
.LBB480_989:
	s_sext_i32_i16 s14, s26
	s_cmp_lt_i32 s14, 5
	s_mov_b64 s[12:13], -1
	s_cbranch_scc1 .LBB480_1010
; %bb.990:
	s_cmp_lt_i32 s14, 8
	s_cbranch_scc1 .LBB480_1000
; %bb.991:
	s_cmp_lt_i32 s14, 9
	s_cbranch_scc1 .LBB480_997
; %bb.992:
	s_cmp_gt_i32 s14, 9
	s_cbranch_scc0 .LBB480_994
; %bb.993:
	s_waitcnt vmcnt(0)
	v_cvt_f32_f16_e32 v3, v2
	v_mov_b32_e32 v6, 0
	v_mov_b32_e32 v7, v6
	s_mov_b64 s[12:13], 0
	v_cvt_f64_f32_e32 v[4:5], v3
	global_store_dwordx4 v[0:1], v[4:7], off
.LBB480_994:
	s_andn2_b64 vcc, exec, s[12:13]
	s_cbranch_vccnz .LBB480_996
; %bb.995:
	s_waitcnt vmcnt(0)
	v_cvt_f32_f16_e32 v4, v2
	v_mov_b32_e32 v5, 0
	global_store_dwordx2 v[0:1], v[4:5], off
.LBB480_996:
	s_mov_b64 s[12:13], 0
.LBB480_997:
	s_andn2_b64 vcc, exec, s[12:13]
	s_cbranch_vccnz .LBB480_999
; %bb.998:
	s_waitcnt vmcnt(0)
	v_and_b32_e32 v3, 0xffff, v2
	global_store_dword v[0:1], v3, off
.LBB480_999:
	s_mov_b64 s[12:13], 0
.LBB480_1000:
	s_andn2_b64 vcc, exec, s[12:13]
	s_cbranch_vccnz .LBB480_1009
; %bb.1001:
	s_sext_i32_i16 s14, s26
	s_cmp_lt_i32 s14, 6
	s_mov_b64 s[12:13], -1
	s_cbranch_scc1 .LBB480_1007
; %bb.1002:
	s_cmp_gt_i32 s14, 6
	s_cbranch_scc0 .LBB480_1004
; %bb.1003:
	s_waitcnt vmcnt(0)
	v_cvt_f32_f16_e32 v3, v2
	s_mov_b64 s[12:13], 0
	v_cvt_f64_f32_e32 v[4:5], v3
	global_store_dwordx2 v[0:1], v[4:5], off
.LBB480_1004:
	s_andn2_b64 vcc, exec, s[12:13]
	s_cbranch_vccnz .LBB480_1006
; %bb.1005:
	s_waitcnt vmcnt(0)
	v_cvt_f32_f16_e32 v3, v2
	global_store_dword v[0:1], v3, off
.LBB480_1006:
	s_mov_b64 s[12:13], 0
.LBB480_1007:
	s_andn2_b64 vcc, exec, s[12:13]
	s_cbranch_vccnz .LBB480_1009
; %bb.1008:
	s_waitcnt vmcnt(0)
	global_store_short v[0:1], v2, off
.LBB480_1009:
	s_mov_b64 s[12:13], 0
.LBB480_1010:
	s_andn2_b64 vcc, exec, s[12:13]
	s_cbranch_vccnz .LBB480_1026
; %bb.1011:
	s_sext_i32_i16 s14, s26
	s_cmp_lt_i32 s14, 2
	s_mov_b64 s[12:13], -1
	s_cbranch_scc1 .LBB480_1021
; %bb.1012:
	s_cmp_lt_i32 s14, 3
	s_cbranch_scc1 .LBB480_1018
; %bb.1013:
	s_cmp_gt_i32 s14, 3
	s_cbranch_scc0 .LBB480_1015
; %bb.1014:
	s_waitcnt vmcnt(0)
	v_cvt_f32_f16_e32 v3, v2
	s_mov_b64 s[12:13], 0
	v_cvt_i32_f32_e32 v4, v3
	v_ashrrev_i32_e32 v5, 31, v4
	global_store_dwordx2 v[0:1], v[4:5], off
.LBB480_1015:
	s_andn2_b64 vcc, exec, s[12:13]
	s_cbranch_vccnz .LBB480_1017
; %bb.1016:
	s_waitcnt vmcnt(0)
	v_cvt_f32_f16_e32 v3, v2
	v_cvt_i32_f32_e32 v3, v3
	global_store_dword v[0:1], v3, off
.LBB480_1017:
	s_mov_b64 s[12:13], 0
.LBB480_1018:
	s_andn2_b64 vcc, exec, s[12:13]
	s_cbranch_vccnz .LBB480_1020
; %bb.1019:
	s_waitcnt vmcnt(0)
	v_cvt_i16_f16_e32 v3, v2
	global_store_short v[0:1], v3, off
.LBB480_1020:
	s_mov_b64 s[12:13], 0
.LBB480_1021:
	s_andn2_b64 vcc, exec, s[12:13]
	s_cbranch_vccnz .LBB480_1026
; %bb.1022:
	s_sext_i32_i16 s12, s26
	s_cmp_gt_i32 s12, 0
	s_mov_b64 s[12:13], -1
	s_cbranch_scc0 .LBB480_1024
; %bb.1023:
	s_waitcnt vmcnt(0)
	v_cvt_i16_f16_e32 v3, v2
	s_mov_b64 s[12:13], 0
	global_store_byte v[0:1], v3, off
.LBB480_1024:
	s_andn2_b64 vcc, exec, s[12:13]
	s_cbranch_vccnz .LBB480_1026
; %bb.1025:
	s_waitcnt vmcnt(0)
	v_cvt_f32_f16_e32 v2, v2
	v_cvt_i32_f32_e32 v2, v2
	global_store_byte v[0:1], v2, off
.LBB480_1026:
	s_or_b64 exec, exec, s[0:1]
	s_and_b64 s[12:13], s[16:17], exec
                                        ; implicit-def: $vgpr4
.LBB480_1027:
	s_or_saveexec_b64 s[10:11], s[10:11]
	s_mov_b64 s[0:1], 0
                                        ; implicit-def: $sgpr20
                                        ; implicit-def: $vgpr0_vgpr1
                                        ; implicit-def: $vgpr2
	s_xor_b64 exec, exec, s[10:11]
	s_cbranch_execz .LBB480_1975
; %bb.1028:
	v_mul_lo_u32 v0, s9, v4
	v_ashrrev_i32_e32 v1, 31, v0
	s_and_b32 s22, 0xffff, s43
	s_cmp_lt_i32 s22, 11
	s_waitcnt vmcnt(0)
	v_lshl_add_u64 v[2:3], s[6:7], 0, v[0:1]
	s_cbranch_scc1 .LBB480_1035
; %bb.1029:
	s_cmp_gt_i32 s22, 25
	s_cbranch_scc0 .LBB480_1037
; %bb.1030:
	s_cmp_gt_i32 s22, 28
	s_cbranch_scc0 .LBB480_1038
	;; [unrolled: 3-line block ×4, first 2 shown]
; %bb.1033:
	s_cmp_eq_u32 s22, 46
	s_mov_b64 s[14:15], 0
	s_cbranch_scc0 .LBB480_1043
; %bb.1034:
	global_load_dword v1, v[2:3], off
	s_mov_b64 s[16:17], -1
	s_waitcnt vmcnt(0)
	v_lshlrev_b32_e32 v1, 16, v1
	v_cvt_f16_f32_e32 v5, v1
	s_branch .LBB480_1044
.LBB480_1035:
	s_mov_b64 s[16:17], 0
                                        ; implicit-def: $vgpr5
	s_mov_b64 s[14:15], s[12:13]
	s_cbranch_execnz .LBB480_1107
.LBB480_1036:
	s_andn2_b64 vcc, exec, s[16:17]
	s_cbranch_vccz .LBB480_1152
	s_branch .LBB480_1973
.LBB480_1037:
	s_mov_b64 s[16:17], 0
                                        ; implicit-def: $vgpr5
	s_cbranch_execnz .LBB480_1072
	s_branch .LBB480_1103
.LBB480_1038:
	s_mov_b64 s[14:15], -1
	s_mov_b64 s[16:17], 0
                                        ; implicit-def: $vgpr5
	s_branch .LBB480_1053
.LBB480_1039:
	s_mov_b64 s[16:17], 0
                                        ; implicit-def: $vgpr5
	s_cbranch_execnz .LBB480_1049
	s_branch .LBB480_1052
.LBB480_1040:
	s_mov_b64 s[14:15], -1
	s_mov_b64 s[16:17], 0
                                        ; implicit-def: $vgpr5
	s_branch .LBB480_1044
.LBB480_1041:
	s_andn2_saveexec_b64 s[22:23], s[22:23]
	s_cbranch_execz .LBB480_940
.LBB480_1042:
	s_mov_b32 s24, 0x46000000
	v_add_f32_e64 v4, |v3|, s24
	v_and_b32_e32 v4, 0xff, v4
	v_cmp_ne_u32_e32 vcc, 0, v4
	s_andn2_b64 s[20:21], s[20:21], exec
	s_and_b64 s[24:25], vcc, exec
	s_or_b64 s[20:21], s[20:21], s[24:25]
	s_or_b64 exec, exec, s[22:23]
	v_mov_b32_e32 v5, 0
	s_and_saveexec_b64 s[22:23], s[20:21]
	s_cbranch_execnz .LBB480_941
	s_branch .LBB480_942
.LBB480_1043:
	s_mov_b64 s[0:1], -1
                                        ; implicit-def: $vgpr5
	s_mov_b64 s[16:17], 0
.LBB480_1044:
	s_and_b64 vcc, exec, s[14:15]
	s_cbranch_vccz .LBB480_1047
; %bb.1045:
	s_cmp_eq_u32 s22, 44
	s_cbranch_scc0 .LBB480_1048
; %bb.1046:
	global_load_ubyte v1, v[2:3], off
	s_movk_i32 s14, 0xff
	v_mov_b32_e32 v6, 0x7e00
	s_mov_b64 s[0:1], 0
	s_mov_b64 s[16:17], -1
	s_waitcnt vmcnt(0)
	v_lshlrev_b32_e32 v5, 23, v1
	v_cvt_f16_f32_e32 v5, v5
	v_cmp_ne_u32_e32 vcc, s14, v1
	s_nop 1
	v_cndmask_b32_e32 v5, v6, v5, vcc
	v_cmp_ne_u32_e32 vcc, 0, v1
	s_nop 1
	v_cndmask_b32_e32 v5, 0, v5, vcc
.LBB480_1047:
	s_branch .LBB480_1052
.LBB480_1048:
	s_mov_b64 s[0:1], -1
                                        ; implicit-def: $vgpr5
	s_branch .LBB480_1052
.LBB480_1049:
	s_cmp_eq_u32 s22, 29
	s_cbranch_scc0 .LBB480_1051
; %bb.1050:
	global_load_dwordx2 v[6:7], v[2:3], off
	s_mov_b64 s[0:1], 0
	s_mov_b64 s[16:17], -1
	s_mov_b64 s[14:15], 0
	s_waitcnt vmcnt(0)
	v_ffbh_u32_e32 v1, v7
	v_min_u32_e32 v1, 32, v1
	v_lshlrev_b64 v[6:7], v1, v[6:7]
	v_min_u32_e32 v5, 1, v6
	v_or_b32_e32 v5, v7, v5
	v_cvt_f32_u32_e32 v5, v5
	v_sub_u32_e32 v1, 32, v1
	v_ldexp_f32 v1, v5, v1
	v_cvt_f16_f32_e32 v5, v1
	s_branch .LBB480_1053
.LBB480_1051:
	s_mov_b64 s[0:1], -1
                                        ; implicit-def: $vgpr5
.LBB480_1052:
	s_mov_b64 s[14:15], 0
.LBB480_1053:
	s_and_b64 vcc, exec, s[14:15]
	s_cbranch_vccz .LBB480_1071
; %bb.1054:
	s_cmp_lt_i32 s22, 27
	s_cbranch_scc1 .LBB480_1057
; %bb.1055:
	s_cmp_gt_i32 s22, 27
	s_cbranch_scc0 .LBB480_1058
; %bb.1056:
	global_load_dword v1, v[2:3], off
	s_mov_b64 s[14:15], 0
	s_waitcnt vmcnt(0)
	v_cvt_f32_u32_e32 v1, v1
	v_cvt_f16_f32_e32 v5, v1
	s_branch .LBB480_1059
.LBB480_1057:
	s_mov_b64 s[14:15], -1
                                        ; implicit-def: $vgpr5
	s_branch .LBB480_1062
.LBB480_1058:
	s_mov_b64 s[14:15], -1
                                        ; implicit-def: $vgpr5
.LBB480_1059:
	s_andn2_b64 vcc, exec, s[14:15]
	s_cbranch_vccnz .LBB480_1061
; %bb.1060:
	global_load_ushort v1, v[2:3], off
	s_waitcnt vmcnt(0)
	v_cvt_f16_u16_e32 v5, v1
.LBB480_1061:
	s_mov_b64 s[14:15], 0
.LBB480_1062:
	s_andn2_b64 vcc, exec, s[14:15]
	s_cbranch_vccnz .LBB480_1070
; %bb.1063:
	global_load_ubyte v1, v[2:3], off
	s_movk_i32 s14, 0x7f
	s_waitcnt vmcnt(0)
	v_cmp_lt_i16_e32 vcc, s14, v1
	s_mov_b64 s[14:15], 0
	s_and_saveexec_b64 s[16:17], vcc
	s_xor_b64 s[16:17], exec, s[16:17]
	s_cbranch_execz .LBB480_1083
; %bb.1064:
	s_movk_i32 s14, 0x80
	v_cmp_eq_u16_e32 vcc, s14, v1
	s_mov_b64 s[14:15], -1
	s_and_saveexec_b64 s[18:19], vcc
; %bb.1065:
	s_xor_b64 s[14:15], exec, -1
; %bb.1066:
	s_or_b64 exec, exec, s[18:19]
	s_and_b64 s[14:15], s[14:15], exec
	s_or_saveexec_b64 s[16:17], s[16:17]
	v_mov_b32_e32 v5, 0x7e00
	s_xor_b64 exec, exec, s[16:17]
	s_cbranch_execnz .LBB480_1084
.LBB480_1067:
	s_or_b64 exec, exec, s[16:17]
	s_and_saveexec_b64 s[16:17], s[14:15]
	s_cbranch_execz .LBB480_1069
.LBB480_1068:
	v_lshlrev_b32_e32 v5, 24, v1
	v_and_b32_e32 v1, 0xffff, v1
	v_and_b32_e32 v6, 7, v1
	v_ffbh_u32_e32 v8, v6
	v_min_u32_e32 v8, 32, v8
	v_subrev_u32_e32 v9, 28, v8
	v_bfe_u32 v7, v1, 3, 4
	v_lshlrev_b32_e32 v1, v9, v1
	v_sub_u32_e32 v8, 29, v8
	v_and_b32_e32 v1, 7, v1
	v_cmp_eq_u32_e32 vcc, 0, v7
	v_and_b32_e32 v5, 0x80000000, v5
	s_nop 0
	v_cndmask_b32_e32 v7, v7, v8, vcc
	v_cndmask_b32_e32 v1, v6, v1, vcc
	v_mov_b32_e32 v6, 0x3b800000
	v_lshlrev_b32_e32 v1, 20, v1
	v_lshl_add_u32 v6, v7, 23, v6
	v_or3_b32 v1, v5, v6, v1
	v_cvt_f16_f32_e32 v5, v1
.LBB480_1069:
	s_or_b64 exec, exec, s[16:17]
.LBB480_1070:
	s_mov_b64 s[16:17], -1
.LBB480_1071:
	s_branch .LBB480_1103
.LBB480_1072:
	s_cmp_gt_i32 s22, 22
	s_cbranch_scc0 .LBB480_1082
; %bb.1073:
	s_cmp_lt_i32 s22, 24
	s_cbranch_scc1 .LBB480_1085
; %bb.1074:
	s_cmp_gt_i32 s22, 24
	s_cbranch_scc0 .LBB480_1086
; %bb.1075:
	global_load_ubyte v1, v[2:3], off
	s_movk_i32 s2, 0x7f
	s_waitcnt vmcnt(0)
	v_cmp_lt_i16_e32 vcc, s2, v1
	s_mov_b64 s[2:3], 0
	s_and_saveexec_b64 s[14:15], vcc
	s_xor_b64 s[14:15], exec, s[14:15]
	s_cbranch_execz .LBB480_1097
; %bb.1076:
	s_movk_i32 s2, 0x80
	v_cmp_eq_u16_e32 vcc, s2, v1
	s_mov_b64 s[2:3], -1
	s_and_saveexec_b64 s[16:17], vcc
; %bb.1077:
	s_xor_b64 s[2:3], exec, -1
; %bb.1078:
	s_or_b64 exec, exec, s[16:17]
	s_and_b64 s[2:3], s[2:3], exec
	s_or_saveexec_b64 s[14:15], s[14:15]
	v_mov_b32_e32 v5, 0x7e00
	s_xor_b64 exec, exec, s[14:15]
	s_cbranch_execnz .LBB480_1098
.LBB480_1079:
	s_or_b64 exec, exec, s[14:15]
	s_and_saveexec_b64 s[14:15], s[2:3]
	s_cbranch_execz .LBB480_1081
.LBB480_1080:
	v_lshlrev_b32_e32 v5, 24, v1
	v_and_b32_e32 v1, 0xffff, v1
	v_and_b32_e32 v6, 3, v1
	v_ffbh_u32_e32 v8, v6
	v_min_u32_e32 v8, 32, v8
	v_subrev_u32_e32 v9, 29, v8
	v_bfe_u32 v7, v1, 2, 5
	v_lshlrev_b32_e32 v1, v9, v1
	v_sub_u32_e32 v8, 30, v8
	v_and_b32_e32 v1, 3, v1
	v_cmp_eq_u32_e32 vcc, 0, v7
	v_and_b32_e32 v5, 0x80000000, v5
	s_nop 0
	v_cndmask_b32_e32 v7, v7, v8, vcc
	v_cndmask_b32_e32 v1, v6, v1, vcc
	v_mov_b32_e32 v6, 0x37800000
	v_lshlrev_b32_e32 v1, 21, v1
	v_lshl_add_u32 v6, v7, 23, v6
	v_or3_b32 v1, v5, v6, v1
	v_cvt_f16_f32_e32 v5, v1
.LBB480_1081:
	s_or_b64 exec, exec, s[14:15]
	s_mov_b64 s[2:3], 0
	s_branch .LBB480_1087
.LBB480_1082:
                                        ; implicit-def: $vgpr5
	s_mov_b64 s[2:3], 0
	s_branch .LBB480_1093
.LBB480_1083:
	s_or_saveexec_b64 s[16:17], s[16:17]
	v_mov_b32_e32 v5, 0x7e00
	s_xor_b64 exec, exec, s[16:17]
	s_cbranch_execz .LBB480_1067
.LBB480_1084:
	v_cmp_ne_u16_e32 vcc, 0, v1
	s_andn2_b64 s[14:15], s[14:15], exec
	s_and_b64 s[18:19], vcc, exec
	s_or_b64 s[14:15], s[14:15], s[18:19]
	v_mov_b32_e32 v5, v1
	s_or_b64 exec, exec, s[16:17]
	s_and_saveexec_b64 s[16:17], s[14:15]
	s_cbranch_execnz .LBB480_1068
	s_branch .LBB480_1069
.LBB480_1085:
	s_mov_b64 s[2:3], -1
                                        ; implicit-def: $vgpr5
	s_branch .LBB480_1090
.LBB480_1086:
	s_mov_b64 s[2:3], -1
                                        ; implicit-def: $vgpr5
.LBB480_1087:
	s_and_b64 vcc, exec, s[2:3]
	s_cbranch_vccz .LBB480_1089
; %bb.1088:
	global_load_ubyte v1, v[2:3], off
	s_mov_b32 s2, 0x7f800000
	s_waitcnt vmcnt(0)
	v_lshlrev_b32_e32 v1, 24, v1
	v_and_b32_e32 v5, 0x7f000000, v1
	v_ffbh_u32_e32 v6, v5
	v_min_u32_e32 v6, 32, v6
	v_sub_u32_e64 v6, v6, 4 clamp
	v_lshlrev_b32_e32 v8, v6, v5
	v_lshlrev_b32_e32 v6, 23, v6
	v_lshrrev_b32_e32 v8, 4, v8
	v_add_u32_e32 v7, 0x1000000, v5
	v_sub_u32_e32 v6, v8, v6
	v_ashrrev_i32_e32 v7, 8, v7
	v_add_u32_e32 v6, 0x3c000000, v6
	v_and_or_b32 v6, v7, s2, v6
	v_cmp_ne_u32_e32 vcc, 0, v5
	s_brev_b32 s2, 1
	s_nop 0
	v_cndmask_b32_e32 v5, 0, v6, vcc
	v_and_or_b32 v1, v1, s2, v5
	v_cvt_f16_f32_e32 v5, v1
.LBB480_1089:
	s_mov_b64 s[2:3], 0
.LBB480_1090:
	s_andn2_b64 vcc, exec, s[2:3]
	s_cbranch_vccnz .LBB480_1092
; %bb.1091:
	global_load_ubyte v1, v[2:3], off
	s_movk_i32 s2, 0x7f00
	s_brev_b32 s3, 16
	s_waitcnt vmcnt(0)
	v_lshlrev_b16_e32 v5, 8, v1
	v_lshlrev_b32_e32 v1, 25, v1
	v_lshrrev_b32_e32 v6, 4, v1
	v_and_or_b32 v7, v5, s2, 0.5
	v_or_b32_e32 v6, 0x70000000, v6
	v_add_f32_e32 v7, -0.5, v7
	v_mul_f32_e32 v6, 0x7800000, v6
	v_cmp_gt_u32_e32 vcc, s3, v1
	v_bfe_i32 v5, v5, 0, 16
	s_brev_b32 s2, 1
	v_cndmask_b32_e32 v1, v6, v7, vcc
	v_and_or_b32 v1, v5, s2, v1
	v_cvt_f16_f32_e32 v5, v1
.LBB480_1092:
	s_mov_b64 s[16:17], -1
	s_mov_b64 s[2:3], 0
	s_cbranch_execnz .LBB480_1103
.LBB480_1093:
	s_cmp_gt_i32 s22, 14
	s_cbranch_scc0 .LBB480_1096
; %bb.1094:
	s_cmp_eq_u32 s22, 15
	s_cbranch_scc0 .LBB480_1099
; %bb.1095:
	global_load_ushort v1, v[2:3], off
	s_mov_b64 s[0:1], 0
	s_mov_b64 s[16:17], -1
	s_waitcnt vmcnt(0)
	v_lshlrev_b32_e32 v1, 16, v1
	v_cvt_f16_f32_e32 v5, v1
	s_branch .LBB480_1100
.LBB480_1096:
	s_mov_b64 s[14:15], -1
                                        ; implicit-def: $vgpr5
	s_branch .LBB480_1101
.LBB480_1097:
	s_or_saveexec_b64 s[14:15], s[14:15]
	v_mov_b32_e32 v5, 0x7e00
	s_xor_b64 exec, exec, s[14:15]
	s_cbranch_execz .LBB480_1079
.LBB480_1098:
	v_cmp_ne_u16_e32 vcc, 0, v1
	s_andn2_b64 s[2:3], s[2:3], exec
	s_and_b64 s[16:17], vcc, exec
	s_or_b64 s[2:3], s[2:3], s[16:17]
	v_mov_b32_e32 v5, v1
	s_or_b64 exec, exec, s[14:15]
	s_and_saveexec_b64 s[14:15], s[2:3]
	s_cbranch_execnz .LBB480_1080
	s_branch .LBB480_1081
.LBB480_1099:
	s_mov_b64 s[0:1], -1
                                        ; implicit-def: $vgpr5
.LBB480_1100:
	s_mov_b64 s[14:15], 0
.LBB480_1101:
	s_and_b64 vcc, exec, s[14:15]
	s_cbranch_vccz .LBB480_1103
; %bb.1102:
	s_cmp_lg_u32 s22, 11
	s_mov_b64 s[2:3], -1
	s_cselect_b64 s[0:1], -1, 0
.LBB480_1103:
	s_and_b64 vcc, exec, s[0:1]
	s_mov_b64 s[14:15], s[12:13]
	s_cbranch_vccnz .LBB480_1164
; %bb.1104:
	s_andn2_b64 vcc, exec, s[2:3]
	s_cbranch_vccnz .LBB480_1106
.LBB480_1105:
	global_load_ubyte v1, v[2:3], off
	v_mov_b32_e32 v5, 0x3c00
	s_mov_b64 s[16:17], -1
	s_waitcnt vmcnt(0)
	v_cmp_ne_u16_e32 vcc, 0, v1
	s_nop 1
	v_cndmask_b32_e32 v5, 0, v5, vcc
.LBB480_1106:
	s_branch .LBB480_1036
.LBB480_1107:
	s_cmp_lt_i32 s22, 5
	s_cbranch_scc1 .LBB480_1112
; %bb.1108:
	s_cmp_lt_i32 s22, 8
	s_cbranch_scc1 .LBB480_1113
; %bb.1109:
	;; [unrolled: 3-line block ×3, first 2 shown]
	s_cmp_gt_i32 s22, 9
	s_cbranch_scc0 .LBB480_1115
; %bb.1111:
	global_load_dwordx2 v[6:7], v[2:3], off
	s_movk_i32 s0, 0x1ff
	s_movk_i32 s1, 0xffe
	v_mov_b32_e32 v1, 0x7c00
	v_mov_b32_e32 v5, 0x7e00
	s_movk_i32 s2, 0x40f
	s_mov_b32 s3, 0x8000
	s_waitcnt vmcnt(0)
	v_and_or_b32 v6, v7, s0, v6
	v_cmp_ne_u32_e32 vcc, 0, v6
	v_lshrrev_b32_e32 v8, 8, v7
	v_bfe_u32 v9, v7, 20, 11
	v_cndmask_b32_e64 v6, 0, 1, vcc
	v_sub_u32_e32 v10, 0x3f1, v9
	v_and_or_b32 v6, v8, s1, v6
	v_add_u32_e32 v9, 0xfffffc10, v9
	v_med3_i32 v8, v10, 0, 13
	v_or_b32_e32 v10, 0x1000, v6
	v_lshl_or_b32 v11, v9, 12, v6
	v_cmp_ne_u32_e32 vcc, 0, v6
	v_lshrrev_b32_e32 v6, v8, v10
	v_lshlrev_b32_e32 v8, v8, v6
	v_cndmask_b32_e32 v5, v1, v5, vcc
	v_cmp_ne_u32_e32 vcc, v8, v10
	v_lshrrev_b32_e32 v7, 16, v7
	s_mov_b64 s[0:1], 0
	v_cndmask_b32_e64 v8, 0, 1, vcc
	v_or_b32_e32 v6, v6, v8
	v_cmp_gt_i32_e32 vcc, 1, v9
	s_nop 1
	v_cndmask_b32_e32 v6, v11, v6, vcc
	v_and_b32_e32 v8, 7, v6
	v_cmp_lt_i32_e32 vcc, 5, v8
	v_lshrrev_b32_e32 v6, 2, v6
	s_nop 0
	v_cndmask_b32_e64 v10, 0, 1, vcc
	v_cmp_eq_u32_e32 vcc, 3, v8
	s_nop 1
	v_cndmask_b32_e64 v8, 0, 1, vcc
	v_or_b32_e32 v8, v8, v10
	v_add_u32_e32 v6, v6, v8
	v_cmp_gt_i32_e32 vcc, 31, v9
	s_nop 1
	v_cndmask_b32_e32 v1, v1, v6, vcc
	v_cmp_eq_u32_e32 vcc, s2, v9
	s_nop 1
	v_cndmask_b32_e32 v1, v1, v5, vcc
	v_and_or_b32 v5, v7, s3, v1
	s_branch .LBB480_1116
.LBB480_1112:
                                        ; implicit-def: $vgpr5
	s_branch .LBB480_1133
.LBB480_1113:
                                        ; implicit-def: $vgpr5
	s_branch .LBB480_1122
.LBB480_1114:
	s_mov_b64 s[0:1], -1
                                        ; implicit-def: $vgpr5
	s_branch .LBB480_1119
.LBB480_1115:
	s_mov_b64 s[0:1], -1
                                        ; implicit-def: $vgpr5
.LBB480_1116:
	s_andn2_b64 vcc, exec, s[0:1]
	s_cbranch_vccnz .LBB480_1118
; %bb.1117:
	global_load_dword v1, v[2:3], off
	s_waitcnt vmcnt(0)
	v_cvt_f16_f32_e32 v5, v1
.LBB480_1118:
	s_mov_b64 s[0:1], 0
.LBB480_1119:
	s_andn2_b64 vcc, exec, s[0:1]
	s_cbranch_vccnz .LBB480_1121
; %bb.1120:
	global_load_dword v5, v[2:3], off
.LBB480_1121:
	s_cbranch_execnz .LBB480_1132
.LBB480_1122:
	s_cmp_lt_i32 s22, 6
	s_cbranch_scc1 .LBB480_1125
; %bb.1123:
	s_cmp_gt_i32 s22, 6
	s_cbranch_scc0 .LBB480_1126
; %bb.1124:
	global_load_dwordx2 v[6:7], v[2:3], off
	s_movk_i32 s0, 0x1ff
	s_movk_i32 s1, 0xffe
	v_mov_b32_e32 v1, 0x7c00
	s_waitcnt vmcnt(1)
	v_mov_b32_e32 v5, 0x7e00
	s_movk_i32 s2, 0x40f
	s_mov_b32 s3, 0x8000
	s_waitcnt vmcnt(0)
	v_and_or_b32 v6, v7, s0, v6
	v_cmp_ne_u32_e32 vcc, 0, v6
	v_lshrrev_b32_e32 v8, 8, v7
	v_bfe_u32 v9, v7, 20, 11
	v_cndmask_b32_e64 v6, 0, 1, vcc
	v_sub_u32_e32 v10, 0x3f1, v9
	v_and_or_b32 v6, v8, s1, v6
	v_add_u32_e32 v9, 0xfffffc10, v9
	v_med3_i32 v8, v10, 0, 13
	v_or_b32_e32 v10, 0x1000, v6
	v_lshl_or_b32 v11, v9, 12, v6
	v_cmp_ne_u32_e32 vcc, 0, v6
	v_lshrrev_b32_e32 v6, v8, v10
	v_lshlrev_b32_e32 v8, v8, v6
	v_cndmask_b32_e32 v5, v1, v5, vcc
	v_cmp_ne_u32_e32 vcc, v8, v10
	v_lshrrev_b32_e32 v7, 16, v7
	s_mov_b64 s[0:1], 0
	v_cndmask_b32_e64 v8, 0, 1, vcc
	v_or_b32_e32 v6, v6, v8
	v_cmp_gt_i32_e32 vcc, 1, v9
	s_nop 1
	v_cndmask_b32_e32 v6, v11, v6, vcc
	v_and_b32_e32 v8, 7, v6
	v_cmp_lt_i32_e32 vcc, 5, v8
	v_lshrrev_b32_e32 v6, 2, v6
	s_nop 0
	v_cndmask_b32_e64 v10, 0, 1, vcc
	v_cmp_eq_u32_e32 vcc, 3, v8
	s_nop 1
	v_cndmask_b32_e64 v8, 0, 1, vcc
	v_or_b32_e32 v8, v8, v10
	v_add_u32_e32 v6, v6, v8
	v_cmp_gt_i32_e32 vcc, 31, v9
	s_nop 1
	v_cndmask_b32_e32 v1, v1, v6, vcc
	v_cmp_eq_u32_e32 vcc, s2, v9
	s_nop 1
	v_cndmask_b32_e32 v1, v1, v5, vcc
	v_and_or_b32 v5, v7, s3, v1
	s_branch .LBB480_1127
.LBB480_1125:
	s_mov_b64 s[0:1], -1
                                        ; implicit-def: $vgpr5
	s_branch .LBB480_1130
.LBB480_1126:
	s_mov_b64 s[0:1], -1
                                        ; implicit-def: $vgpr5
.LBB480_1127:
	s_andn2_b64 vcc, exec, s[0:1]
	s_cbranch_vccnz .LBB480_1129
; %bb.1128:
	global_load_dword v1, v[2:3], off
	s_waitcnt vmcnt(0)
	v_cvt_f16_f32_e32 v5, v1
.LBB480_1129:
	s_mov_b64 s[0:1], 0
.LBB480_1130:
	s_andn2_b64 vcc, exec, s[0:1]
	s_cbranch_vccnz .LBB480_1132
; %bb.1131:
	global_load_ushort v5, v[2:3], off
.LBB480_1132:
	s_cbranch_execnz .LBB480_1151
.LBB480_1133:
	s_cmp_lt_i32 s22, 2
	s_cbranch_scc1 .LBB480_1137
; %bb.1134:
	s_cmp_lt_i32 s22, 3
	s_cbranch_scc1 .LBB480_1138
; %bb.1135:
	s_cmp_gt_i32 s22, 3
	s_cbranch_scc0 .LBB480_1139
; %bb.1136:
	global_load_dwordx2 v[6:7], v[2:3], off
	s_mov_b64 s[0:1], 0
	s_waitcnt vmcnt(0)
	v_xor_b32_e32 v5, v6, v7
	v_ffbh_i32_e32 v1, v7
	v_ashrrev_i32_e32 v5, 31, v5
	v_add_u32_e32 v1, -1, v1
	v_add_u32_e32 v5, 32, v5
	v_min_u32_e32 v1, v1, v5
	v_lshlrev_b64 v[6:7], v1, v[6:7]
	v_min_u32_e32 v5, 1, v6
	v_or_b32_e32 v5, v7, v5
	v_cvt_f32_i32_e32 v5, v5
	v_sub_u32_e32 v1, 32, v1
	v_ldexp_f32 v1, v5, v1
	v_cvt_f16_f32_e32 v5, v1
	s_branch .LBB480_1140
.LBB480_1137:
                                        ; implicit-def: $vgpr5
	s_branch .LBB480_1146
.LBB480_1138:
	s_mov_b64 s[0:1], -1
                                        ; implicit-def: $vgpr5
	s_branch .LBB480_1143
.LBB480_1139:
	s_mov_b64 s[0:1], -1
                                        ; implicit-def: $vgpr5
.LBB480_1140:
	s_andn2_b64 vcc, exec, s[0:1]
	s_cbranch_vccnz .LBB480_1142
; %bb.1141:
	global_load_dword v1, v[2:3], off
	s_waitcnt vmcnt(0)
	v_cvt_f32_i32_e32 v1, v1
	v_cvt_f16_f32_e32 v5, v1
.LBB480_1142:
	s_mov_b64 s[0:1], 0
.LBB480_1143:
	s_andn2_b64 vcc, exec, s[0:1]
	s_cbranch_vccnz .LBB480_1145
; %bb.1144:
	global_load_ushort v1, v[2:3], off
	s_waitcnt vmcnt(0)
	v_cvt_f16_i16_e32 v5, v1
.LBB480_1145:
	s_cbranch_execnz .LBB480_1151
.LBB480_1146:
	s_cmp_gt_i32 s22, 0
	s_cbranch_scc0 .LBB480_1148
; %bb.1147:
	global_load_sbyte v1, v[2:3], off
	s_mov_b64 s[0:1], 0
	s_waitcnt vmcnt(0)
	v_cvt_f16_i16_e32 v5, v1
	s_branch .LBB480_1149
.LBB480_1148:
	s_mov_b64 s[0:1], -1
                                        ; implicit-def: $vgpr5
.LBB480_1149:
	s_andn2_b64 vcc, exec, s[0:1]
	s_cbranch_vccnz .LBB480_1151
; %bb.1150:
	global_load_ubyte v1, v[2:3], off
	s_waitcnt vmcnt(0)
	v_cvt_f16_u16_e32 v5, v1
.LBB480_1151:
.LBB480_1152:
	s_lshl_b32 s9, s9, 7
	v_add_u32_e32 v0, s9, v0
	v_ashrrev_i32_e32 v1, 31, v0
	s_cmp_lt_i32 s22, 11
	v_lshl_add_u64 v[2:3], s[6:7], 0, v[0:1]
	s_cbranch_scc1 .LBB480_1159
; %bb.1153:
	s_cmp_gt_i32 s22, 25
	s_mov_b64 s[2:3], 0
	s_cbranch_scc0 .LBB480_1161
; %bb.1154:
	s_cmp_gt_i32 s22, 28
	s_cbranch_scc0 .LBB480_1162
; %bb.1155:
	s_cmp_gt_i32 s22, 43
	;; [unrolled: 3-line block ×3, first 2 shown]
	s_cbranch_scc0 .LBB480_1165
; %bb.1157:
	s_cmp_eq_u32 s22, 46
	s_mov_b64 s[18:19], 0
	s_cbranch_scc0 .LBB480_1168
; %bb.1158:
	global_load_dword v1, v[2:3], off
	s_mov_b64 s[0:1], 0
	s_mov_b64 s[16:17], -1
	s_waitcnt vmcnt(0)
	v_lshlrev_b32_e32 v1, 16, v1
	v_cvt_f16_f32_e32 v6, v1
	s_branch .LBB480_1169
.LBB480_1159:
	s_mov_b64 s[16:17], 0
                                        ; implicit-def: $vgpr6
	s_cbranch_execnz .LBB480_1234
.LBB480_1160:
	s_andn2_b64 vcc, exec, s[16:17]
	s_cbranch_vccnz .LBB480_1973
	s_branch .LBB480_1281
.LBB480_1161:
	s_mov_b64 s[16:17], 0
	s_mov_b64 s[0:1], 0
                                        ; implicit-def: $vgpr6
	s_cbranch_execnz .LBB480_1198
	s_branch .LBB480_1230
.LBB480_1162:
	s_mov_b64 s[18:19], -1
	s_mov_b64 s[16:17], 0
	s_mov_b64 s[0:1], 0
                                        ; implicit-def: $vgpr6
	s_branch .LBB480_1179
.LBB480_1163:
	s_mov_b64 s[18:19], -1
	s_mov_b64 s[16:17], 0
	s_mov_b64 s[0:1], 0
                                        ; implicit-def: $vgpr6
	s_branch .LBB480_1174
.LBB480_1164:
	s_or_b64 s[14:15], s[12:13], exec
	s_trap 2
	s_cbranch_execz .LBB480_1105
	s_branch .LBB480_1106
.LBB480_1165:
	s_mov_b64 s[18:19], -1
	s_mov_b64 s[16:17], 0
	s_mov_b64 s[0:1], 0
                                        ; implicit-def: $vgpr6
	s_branch .LBB480_1169
.LBB480_1166:
	s_andn2_saveexec_b64 s[24:25], s[24:25]
	s_cbranch_execz .LBB480_952
.LBB480_1167:
	s_mov_b32 s28, 0x42800000
	v_add_f32_e64 v4, |v3|, s28
	v_and_b32_e32 v4, 0xff, v4
	v_cmp_ne_u32_e32 vcc, 0, v4
	s_andn2_b64 s[22:23], s[22:23], exec
	s_and_b64 s[28:29], vcc, exec
	s_or_b64 s[22:23], s[22:23], s[28:29]
	s_or_b64 exec, exec, s[24:25]
	v_mov_b32_e32 v5, 0
	s_and_saveexec_b64 s[24:25], s[22:23]
	s_cbranch_execnz .LBB480_953
	s_branch .LBB480_954
.LBB480_1168:
	s_mov_b64 s[0:1], -1
                                        ; implicit-def: $vgpr6
	s_mov_b64 s[16:17], 0
.LBB480_1169:
	s_and_b64 vcc, exec, s[18:19]
	s_cbranch_vccz .LBB480_1173
; %bb.1170:
	s_cmp_eq_u32 s22, 44
	s_cbranch_scc0 .LBB480_1172
; %bb.1171:
	global_load_ubyte v1, v[2:3], off
	s_movk_i32 s16, 0xff
	v_mov_b32_e32 v7, 0x7e00
	s_mov_b64 s[0:1], 0
	s_waitcnt vmcnt(0)
	v_lshlrev_b32_e32 v6, 23, v1
	v_cvt_f16_f32_e32 v6, v6
	v_cmp_ne_u32_e32 vcc, s16, v1
	s_mov_b64 s[16:17], -1
	s_nop 0
	v_cndmask_b32_e32 v6, v7, v6, vcc
	v_cmp_ne_u32_e32 vcc, 0, v1
	s_nop 1
	v_cndmask_b32_e32 v6, 0, v6, vcc
	s_branch .LBB480_1173
.LBB480_1172:
	s_mov_b64 s[0:1], -1
                                        ; implicit-def: $vgpr6
.LBB480_1173:
	s_mov_b64 s[18:19], 0
.LBB480_1174:
	s_and_b64 vcc, exec, s[18:19]
	s_cbranch_vccz .LBB480_1178
; %bb.1175:
	s_cmp_eq_u32 s22, 29
	s_cbranch_scc0 .LBB480_1177
; %bb.1176:
	global_load_dwordx2 v[6:7], v[2:3], off
	s_mov_b64 s[0:1], 0
	s_mov_b64 s[16:17], -1
	s_mov_b64 s[18:19], 0
	s_waitcnt vmcnt(0)
	v_ffbh_u32_e32 v1, v7
	v_min_u32_e32 v1, 32, v1
	v_lshlrev_b64 v[6:7], v1, v[6:7]
	v_min_u32_e32 v6, 1, v6
	v_or_b32_e32 v6, v7, v6
	v_cvt_f32_u32_e32 v6, v6
	v_sub_u32_e32 v1, 32, v1
	v_ldexp_f32 v1, v6, v1
	v_cvt_f16_f32_e32 v6, v1
	s_branch .LBB480_1179
.LBB480_1177:
	s_mov_b64 s[0:1], -1
                                        ; implicit-def: $vgpr6
.LBB480_1178:
	s_mov_b64 s[18:19], 0
.LBB480_1179:
	s_and_b64 vcc, exec, s[18:19]
	s_cbranch_vccz .LBB480_1197
; %bb.1180:
	s_cmp_lt_i32 s22, 27
	s_cbranch_scc1 .LBB480_1183
; %bb.1181:
	s_cmp_gt_i32 s22, 27
	s_cbranch_scc0 .LBB480_1184
; %bb.1182:
	global_load_dword v1, v[2:3], off
	s_mov_b64 s[16:17], 0
	s_waitcnt vmcnt(0)
	v_cvt_f32_u32_e32 v1, v1
	v_cvt_f16_f32_e32 v6, v1
	s_branch .LBB480_1185
.LBB480_1183:
	s_mov_b64 s[16:17], -1
                                        ; implicit-def: $vgpr6
	s_branch .LBB480_1188
.LBB480_1184:
	s_mov_b64 s[16:17], -1
                                        ; implicit-def: $vgpr6
.LBB480_1185:
	s_andn2_b64 vcc, exec, s[16:17]
	s_cbranch_vccnz .LBB480_1187
; %bb.1186:
	global_load_ushort v1, v[2:3], off
	s_waitcnt vmcnt(0)
	v_cvt_f16_u16_e32 v6, v1
.LBB480_1187:
	s_mov_b64 s[16:17], 0
.LBB480_1188:
	s_andn2_b64 vcc, exec, s[16:17]
	s_cbranch_vccnz .LBB480_1196
; %bb.1189:
	global_load_ubyte v1, v[2:3], off
	s_movk_i32 s16, 0x7f
	s_waitcnt vmcnt(0)
	v_cmp_lt_i16_e32 vcc, s16, v1
	s_mov_b64 s[16:17], 0
	s_and_saveexec_b64 s[18:19], vcc
	s_xor_b64 s[18:19], exec, s[18:19]
	s_cbranch_execz .LBB480_1209
; %bb.1190:
	s_movk_i32 s16, 0x80
	v_cmp_eq_u16_e32 vcc, s16, v1
	s_mov_b64 s[16:17], -1
	s_and_saveexec_b64 s[20:21], vcc
; %bb.1191:
	s_xor_b64 s[16:17], exec, -1
; %bb.1192:
	s_or_b64 exec, exec, s[20:21]
	s_and_b64 s[16:17], s[16:17], exec
	s_or_saveexec_b64 s[18:19], s[18:19]
	v_mov_b32_e32 v6, 0x7e00
	s_xor_b64 exec, exec, s[18:19]
	s_cbranch_execnz .LBB480_1210
.LBB480_1193:
	s_or_b64 exec, exec, s[18:19]
	s_and_saveexec_b64 s[18:19], s[16:17]
	s_cbranch_execz .LBB480_1195
.LBB480_1194:
	v_lshlrev_b32_e32 v6, 24, v1
	v_and_b32_e32 v1, 0xffff, v1
	v_and_b32_e32 v7, 7, v1
	v_ffbh_u32_e32 v9, v7
	v_min_u32_e32 v9, 32, v9
	v_subrev_u32_e32 v10, 28, v9
	v_bfe_u32 v8, v1, 3, 4
	v_lshlrev_b32_e32 v1, v10, v1
	v_sub_u32_e32 v9, 29, v9
	v_and_b32_e32 v1, 7, v1
	v_cmp_eq_u32_e32 vcc, 0, v8
	v_and_b32_e32 v6, 0x80000000, v6
	s_nop 0
	v_cndmask_b32_e32 v8, v8, v9, vcc
	v_cndmask_b32_e32 v1, v7, v1, vcc
	v_mov_b32_e32 v7, 0x3b800000
	v_lshlrev_b32_e32 v1, 20, v1
	v_lshl_add_u32 v7, v8, 23, v7
	v_or3_b32 v1, v6, v7, v1
	v_cvt_f16_f32_e32 v6, v1
.LBB480_1195:
	s_or_b64 exec, exec, s[18:19]
.LBB480_1196:
	s_mov_b64 s[16:17], -1
.LBB480_1197:
	s_branch .LBB480_1230
.LBB480_1198:
	s_cmp_gt_i32 s22, 22
	s_cbranch_scc0 .LBB480_1208
; %bb.1199:
	s_cmp_lt_i32 s22, 24
	s_cbranch_scc1 .LBB480_1211
; %bb.1200:
	s_cmp_gt_i32 s22, 24
	s_cbranch_scc0 .LBB480_1212
; %bb.1201:
	global_load_ubyte v1, v[2:3], off
	s_movk_i32 s2, 0x7f
	s_waitcnt vmcnt(0)
	v_cmp_lt_i16_e32 vcc, s2, v1
	s_mov_b64 s[2:3], 0
	s_and_saveexec_b64 s[16:17], vcc
	s_xor_b64 s[16:17], exec, s[16:17]
	s_cbranch_execz .LBB480_1224
; %bb.1202:
	s_movk_i32 s2, 0x80
	v_cmp_eq_u16_e32 vcc, s2, v1
	s_mov_b64 s[2:3], -1
	s_and_saveexec_b64 s[18:19], vcc
; %bb.1203:
	s_xor_b64 s[2:3], exec, -1
; %bb.1204:
	s_or_b64 exec, exec, s[18:19]
	s_and_b64 s[2:3], s[2:3], exec
	s_or_saveexec_b64 s[16:17], s[16:17]
	v_mov_b32_e32 v6, 0x7e00
	s_xor_b64 exec, exec, s[16:17]
	s_cbranch_execnz .LBB480_1225
.LBB480_1205:
	s_or_b64 exec, exec, s[16:17]
	s_and_saveexec_b64 s[16:17], s[2:3]
	s_cbranch_execz .LBB480_1207
.LBB480_1206:
	v_lshlrev_b32_e32 v6, 24, v1
	v_and_b32_e32 v1, 0xffff, v1
	v_and_b32_e32 v7, 3, v1
	v_ffbh_u32_e32 v9, v7
	v_min_u32_e32 v9, 32, v9
	v_subrev_u32_e32 v10, 29, v9
	v_bfe_u32 v8, v1, 2, 5
	v_lshlrev_b32_e32 v1, v10, v1
	v_sub_u32_e32 v9, 30, v9
	v_and_b32_e32 v1, 3, v1
	v_cmp_eq_u32_e32 vcc, 0, v8
	v_and_b32_e32 v6, 0x80000000, v6
	s_nop 0
	v_cndmask_b32_e32 v8, v8, v9, vcc
	v_cndmask_b32_e32 v1, v7, v1, vcc
	v_mov_b32_e32 v7, 0x37800000
	v_lshlrev_b32_e32 v1, 21, v1
	v_lshl_add_u32 v7, v8, 23, v7
	v_or3_b32 v1, v6, v7, v1
	v_cvt_f16_f32_e32 v6, v1
.LBB480_1207:
	s_or_b64 exec, exec, s[16:17]
	s_mov_b64 s[2:3], 0
	s_branch .LBB480_1213
.LBB480_1208:
	s_mov_b64 s[2:3], -1
                                        ; implicit-def: $vgpr6
	s_branch .LBB480_1219
.LBB480_1209:
	s_or_saveexec_b64 s[18:19], s[18:19]
	v_mov_b32_e32 v6, 0x7e00
	s_xor_b64 exec, exec, s[18:19]
	s_cbranch_execz .LBB480_1193
.LBB480_1210:
	v_cmp_ne_u16_e32 vcc, 0, v1
	s_andn2_b64 s[16:17], s[16:17], exec
	s_and_b64 s[20:21], vcc, exec
	s_or_b64 s[16:17], s[16:17], s[20:21]
	v_mov_b32_e32 v6, v1
	s_or_b64 exec, exec, s[18:19]
	s_and_saveexec_b64 s[18:19], s[16:17]
	s_cbranch_execnz .LBB480_1194
	s_branch .LBB480_1195
.LBB480_1211:
	s_mov_b64 s[2:3], -1
                                        ; implicit-def: $vgpr6
	s_branch .LBB480_1216
.LBB480_1212:
	s_mov_b64 s[2:3], -1
                                        ; implicit-def: $vgpr6
.LBB480_1213:
	s_and_b64 vcc, exec, s[2:3]
	s_cbranch_vccz .LBB480_1215
; %bb.1214:
	global_load_ubyte v1, v[2:3], off
	s_mov_b32 s2, 0x7f800000
	s_waitcnt vmcnt(0)
	v_lshlrev_b32_e32 v1, 24, v1
	v_and_b32_e32 v6, 0x7f000000, v1
	v_ffbh_u32_e32 v7, v6
	v_min_u32_e32 v7, 32, v7
	v_sub_u32_e64 v7, v7, 4 clamp
	v_lshlrev_b32_e32 v9, v7, v6
	v_lshlrev_b32_e32 v7, 23, v7
	v_lshrrev_b32_e32 v9, 4, v9
	v_add_u32_e32 v8, 0x1000000, v6
	v_sub_u32_e32 v7, v9, v7
	v_ashrrev_i32_e32 v8, 8, v8
	v_add_u32_e32 v7, 0x3c000000, v7
	v_and_or_b32 v7, v8, s2, v7
	v_cmp_ne_u32_e32 vcc, 0, v6
	s_brev_b32 s2, 1
	s_nop 0
	v_cndmask_b32_e32 v6, 0, v7, vcc
	v_and_or_b32 v1, v1, s2, v6
	v_cvt_f16_f32_e32 v6, v1
.LBB480_1215:
	s_mov_b64 s[2:3], 0
.LBB480_1216:
	s_andn2_b64 vcc, exec, s[2:3]
	s_cbranch_vccnz .LBB480_1218
; %bb.1217:
	global_load_ubyte v1, v[2:3], off
	s_movk_i32 s2, 0x7f00
	s_brev_b32 s3, 16
	s_waitcnt vmcnt(0)
	v_lshlrev_b16_e32 v6, 8, v1
	v_lshlrev_b32_e32 v1, 25, v1
	v_lshrrev_b32_e32 v7, 4, v1
	v_and_or_b32 v8, v6, s2, 0.5
	v_or_b32_e32 v7, 0x70000000, v7
	v_add_f32_e32 v8, -0.5, v8
	v_mul_f32_e32 v7, 0x7800000, v7
	v_cmp_gt_u32_e32 vcc, s3, v1
	v_bfe_i32 v6, v6, 0, 16
	s_brev_b32 s2, 1
	v_cndmask_b32_e32 v1, v7, v8, vcc
	v_and_or_b32 v1, v6, s2, v1
	v_cvt_f16_f32_e32 v6, v1
.LBB480_1218:
	s_mov_b64 s[2:3], 0
	s_mov_b64 s[16:17], -1
.LBB480_1219:
	s_andn2_b64 vcc, exec, s[2:3]
	s_mov_b64 s[2:3], 0
	s_cbranch_vccnz .LBB480_1230
; %bb.1220:
	s_cmp_gt_i32 s22, 14
	s_cbranch_scc0 .LBB480_1223
; %bb.1221:
	s_cmp_eq_u32 s22, 15
	s_cbranch_scc0 .LBB480_1226
; %bb.1222:
	global_load_ushort v1, v[2:3], off
	s_mov_b64 s[0:1], 0
	s_mov_b64 s[16:17], -1
	s_waitcnt vmcnt(0)
	v_lshlrev_b32_e32 v1, 16, v1
	v_cvt_f16_f32_e32 v6, v1
	s_branch .LBB480_1227
.LBB480_1223:
	s_mov_b64 s[18:19], -1
                                        ; implicit-def: $vgpr6
	s_branch .LBB480_1228
.LBB480_1224:
	s_or_saveexec_b64 s[16:17], s[16:17]
	v_mov_b32_e32 v6, 0x7e00
	s_xor_b64 exec, exec, s[16:17]
	s_cbranch_execz .LBB480_1205
.LBB480_1225:
	v_cmp_ne_u16_e32 vcc, 0, v1
	s_andn2_b64 s[2:3], s[2:3], exec
	s_and_b64 s[18:19], vcc, exec
	s_or_b64 s[2:3], s[2:3], s[18:19]
	v_mov_b32_e32 v6, v1
	s_or_b64 exec, exec, s[16:17]
	s_and_saveexec_b64 s[16:17], s[2:3]
	s_cbranch_execnz .LBB480_1206
	s_branch .LBB480_1207
.LBB480_1226:
	s_mov_b64 s[0:1], -1
                                        ; implicit-def: $vgpr6
.LBB480_1227:
	s_mov_b64 s[18:19], 0
.LBB480_1228:
	s_and_b64 vcc, exec, s[18:19]
	s_cbranch_vccz .LBB480_1230
; %bb.1229:
	s_cmp_lg_u32 s22, 11
	s_mov_b64 s[2:3], -1
	s_cselect_b64 s[0:1], -1, 0
.LBB480_1230:
	s_and_b64 vcc, exec, s[0:1]
	s_cbranch_vccnz .LBB480_1293
; %bb.1231:
	s_andn2_b64 vcc, exec, s[2:3]
	s_cbranch_vccnz .LBB480_1233
.LBB480_1232:
	global_load_ubyte v1, v[2:3], off
	v_mov_b32_e32 v6, 0x3c00
	s_mov_b64 s[16:17], -1
	s_waitcnt vmcnt(0)
	v_cmp_ne_u16_e32 vcc, 0, v1
	s_nop 1
	v_cndmask_b32_e32 v6, 0, v6, vcc
.LBB480_1233:
	s_branch .LBB480_1160
.LBB480_1234:
	s_cmp_lt_i32 s22, 5
	s_cbranch_scc1 .LBB480_1239
; %bb.1235:
	s_cmp_lt_i32 s22, 8
	s_cbranch_scc1 .LBB480_1240
; %bb.1236:
	s_cmp_lt_i32 s22, 9
	s_cbranch_scc1 .LBB480_1241
; %bb.1237:
	s_cmp_gt_i32 s22, 9
	s_cbranch_scc0 .LBB480_1242
; %bb.1238:
	global_load_dwordx2 v[6:7], v[2:3], off
	s_movk_i32 s0, 0x1ff
	s_movk_i32 s1, 0xffe
	v_mov_b32_e32 v1, 0x7c00
	v_mov_b32_e32 v8, 0x7e00
	s_movk_i32 s2, 0x40f
	s_mov_b32 s3, 0x8000
	s_waitcnt vmcnt(0)
	v_and_or_b32 v6, v7, s0, v6
	v_cmp_ne_u32_e32 vcc, 0, v6
	v_lshrrev_b32_e32 v9, 8, v7
	v_bfe_u32 v10, v7, 20, 11
	v_cndmask_b32_e64 v6, 0, 1, vcc
	v_sub_u32_e32 v11, 0x3f1, v10
	v_and_or_b32 v6, v9, s1, v6
	v_add_u32_e32 v10, 0xfffffc10, v10
	v_med3_i32 v9, v11, 0, 13
	v_or_b32_e32 v11, 0x1000, v6
	v_cmp_ne_u32_e32 vcc, 0, v6
	v_lshl_or_b32 v12, v10, 12, v6
	v_lshrrev_b32_e32 v7, 16, v7
	v_cndmask_b32_e32 v6, v1, v8, vcc
	v_lshrrev_b32_e32 v8, v9, v11
	v_lshlrev_b32_e32 v9, v9, v8
	v_cmp_ne_u32_e32 vcc, v9, v11
	s_mov_b64 s[0:1], 0
	s_nop 0
	v_cndmask_b32_e64 v9, 0, 1, vcc
	v_or_b32_e32 v8, v8, v9
	v_cmp_gt_i32_e32 vcc, 1, v10
	s_nop 1
	v_cndmask_b32_e32 v8, v12, v8, vcc
	v_and_b32_e32 v9, 7, v8
	v_cmp_lt_i32_e32 vcc, 5, v9
	v_lshrrev_b32_e32 v8, 2, v8
	s_nop 0
	v_cndmask_b32_e64 v11, 0, 1, vcc
	v_cmp_eq_u32_e32 vcc, 3, v9
	s_nop 1
	v_cndmask_b32_e64 v9, 0, 1, vcc
	v_or_b32_e32 v9, v9, v11
	v_add_u32_e32 v8, v8, v9
	v_cmp_gt_i32_e32 vcc, 31, v10
	s_nop 1
	v_cndmask_b32_e32 v1, v1, v8, vcc
	v_cmp_eq_u32_e32 vcc, s2, v10
	s_nop 1
	v_cndmask_b32_e32 v1, v1, v6, vcc
	v_and_or_b32 v6, v7, s3, v1
	s_branch .LBB480_1243
.LBB480_1239:
                                        ; implicit-def: $vgpr6
	s_branch .LBB480_1261
.LBB480_1240:
	s_mov_b64 s[0:1], -1
                                        ; implicit-def: $vgpr6
	s_branch .LBB480_1249
.LBB480_1241:
	s_mov_b64 s[0:1], -1
                                        ; implicit-def: $vgpr6
	s_branch .LBB480_1246
.LBB480_1242:
	s_mov_b64 s[0:1], -1
                                        ; implicit-def: $vgpr6
.LBB480_1243:
	s_andn2_b64 vcc, exec, s[0:1]
	s_cbranch_vccnz .LBB480_1245
; %bb.1244:
	global_load_dword v1, v[2:3], off
	s_waitcnt vmcnt(0)
	v_cvt_f16_f32_e32 v6, v1
.LBB480_1245:
	s_mov_b64 s[0:1], 0
.LBB480_1246:
	s_andn2_b64 vcc, exec, s[0:1]
	s_cbranch_vccnz .LBB480_1248
; %bb.1247:
	global_load_dword v6, v[2:3], off
.LBB480_1248:
	s_mov_b64 s[0:1], 0
.LBB480_1249:
	s_andn2_b64 vcc, exec, s[0:1]
	s_cbranch_vccnz .LBB480_1260
; %bb.1250:
	s_cmp_lt_i32 s22, 6
	s_cbranch_scc1 .LBB480_1253
; %bb.1251:
	s_cmp_gt_i32 s22, 6
	s_cbranch_scc0 .LBB480_1254
; %bb.1252:
	global_load_dwordx2 v[6:7], v[2:3], off
	s_movk_i32 s0, 0x1ff
	s_movk_i32 s1, 0xffe
	v_mov_b32_e32 v1, 0x7c00
	v_mov_b32_e32 v8, 0x7e00
	s_movk_i32 s2, 0x40f
	s_mov_b32 s3, 0x8000
	s_waitcnt vmcnt(0)
	v_and_or_b32 v6, v7, s0, v6
	v_cmp_ne_u32_e32 vcc, 0, v6
	v_lshrrev_b32_e32 v9, 8, v7
	v_bfe_u32 v10, v7, 20, 11
	v_cndmask_b32_e64 v6, 0, 1, vcc
	v_sub_u32_e32 v11, 0x3f1, v10
	v_and_or_b32 v6, v9, s1, v6
	v_add_u32_e32 v10, 0xfffffc10, v10
	v_med3_i32 v9, v11, 0, 13
	v_or_b32_e32 v11, 0x1000, v6
	v_cmp_ne_u32_e32 vcc, 0, v6
	v_lshl_or_b32 v12, v10, 12, v6
	v_lshrrev_b32_e32 v7, 16, v7
	v_cndmask_b32_e32 v6, v1, v8, vcc
	v_lshrrev_b32_e32 v8, v9, v11
	v_lshlrev_b32_e32 v9, v9, v8
	v_cmp_ne_u32_e32 vcc, v9, v11
	s_mov_b64 s[0:1], 0
	s_nop 0
	v_cndmask_b32_e64 v9, 0, 1, vcc
	v_or_b32_e32 v8, v8, v9
	v_cmp_gt_i32_e32 vcc, 1, v10
	s_nop 1
	v_cndmask_b32_e32 v8, v12, v8, vcc
	v_and_b32_e32 v9, 7, v8
	v_cmp_lt_i32_e32 vcc, 5, v9
	v_lshrrev_b32_e32 v8, 2, v8
	s_nop 0
	v_cndmask_b32_e64 v11, 0, 1, vcc
	v_cmp_eq_u32_e32 vcc, 3, v9
	s_nop 1
	v_cndmask_b32_e64 v9, 0, 1, vcc
	v_or_b32_e32 v9, v9, v11
	v_add_u32_e32 v8, v8, v9
	v_cmp_gt_i32_e32 vcc, 31, v10
	s_nop 1
	v_cndmask_b32_e32 v1, v1, v8, vcc
	v_cmp_eq_u32_e32 vcc, s2, v10
	s_nop 1
	v_cndmask_b32_e32 v1, v1, v6, vcc
	v_and_or_b32 v6, v7, s3, v1
	s_branch .LBB480_1255
.LBB480_1253:
	s_mov_b64 s[0:1], -1
                                        ; implicit-def: $vgpr6
	s_branch .LBB480_1258
.LBB480_1254:
	s_mov_b64 s[0:1], -1
                                        ; implicit-def: $vgpr6
.LBB480_1255:
	s_andn2_b64 vcc, exec, s[0:1]
	s_cbranch_vccnz .LBB480_1257
; %bb.1256:
	global_load_dword v1, v[2:3], off
	s_waitcnt vmcnt(0)
	v_cvt_f16_f32_e32 v6, v1
.LBB480_1257:
	s_mov_b64 s[0:1], 0
.LBB480_1258:
	s_andn2_b64 vcc, exec, s[0:1]
	s_cbranch_vccnz .LBB480_1260
; %bb.1259:
	global_load_ushort v6, v[2:3], off
.LBB480_1260:
	s_cbranch_execnz .LBB480_1280
.LBB480_1261:
	s_cmp_lt_i32 s22, 2
	s_cbranch_scc1 .LBB480_1265
; %bb.1262:
	s_cmp_lt_i32 s22, 3
	s_cbranch_scc1 .LBB480_1266
; %bb.1263:
	s_cmp_gt_i32 s22, 3
	s_cbranch_scc0 .LBB480_1267
; %bb.1264:
	global_load_dwordx2 v[6:7], v[2:3], off
	s_mov_b64 s[0:1], 0
	s_waitcnt vmcnt(0)
	v_xor_b32_e32 v8, v6, v7
	v_ffbh_i32_e32 v1, v7
	v_ashrrev_i32_e32 v8, 31, v8
	v_add_u32_e32 v1, -1, v1
	v_add_u32_e32 v8, 32, v8
	v_min_u32_e32 v1, v1, v8
	v_lshlrev_b64 v[6:7], v1, v[6:7]
	v_min_u32_e32 v6, 1, v6
	v_or_b32_e32 v6, v7, v6
	v_cvt_f32_i32_e32 v6, v6
	v_sub_u32_e32 v1, 32, v1
	v_ldexp_f32 v1, v6, v1
	v_cvt_f16_f32_e32 v6, v1
	s_branch .LBB480_1268
.LBB480_1265:
	s_mov_b64 s[0:1], -1
                                        ; implicit-def: $vgpr6
	s_branch .LBB480_1274
.LBB480_1266:
	s_mov_b64 s[0:1], -1
                                        ; implicit-def: $vgpr6
	s_branch .LBB480_1271
.LBB480_1267:
	s_mov_b64 s[0:1], -1
                                        ; implicit-def: $vgpr6
.LBB480_1268:
	s_andn2_b64 vcc, exec, s[0:1]
	s_cbranch_vccnz .LBB480_1270
; %bb.1269:
	global_load_dword v1, v[2:3], off
	s_waitcnt vmcnt(0)
	v_cvt_f32_i32_e32 v1, v1
	v_cvt_f16_f32_e32 v6, v1
.LBB480_1270:
	s_mov_b64 s[0:1], 0
.LBB480_1271:
	s_andn2_b64 vcc, exec, s[0:1]
	s_cbranch_vccnz .LBB480_1273
; %bb.1272:
	global_load_ushort v1, v[2:3], off
	s_waitcnt vmcnt(0)
	v_cvt_f16_i16_e32 v6, v1
.LBB480_1273:
	s_mov_b64 s[0:1], 0
.LBB480_1274:
	s_andn2_b64 vcc, exec, s[0:1]
	s_cbranch_vccnz .LBB480_1280
; %bb.1275:
	s_cmp_gt_i32 s22, 0
	s_cbranch_scc0 .LBB480_1277
; %bb.1276:
	global_load_sbyte v1, v[2:3], off
	s_mov_b64 s[0:1], 0
	s_waitcnt vmcnt(0)
	v_cvt_f16_i16_e32 v6, v1
	s_branch .LBB480_1278
.LBB480_1277:
	s_mov_b64 s[0:1], -1
                                        ; implicit-def: $vgpr6
.LBB480_1278:
	s_andn2_b64 vcc, exec, s[0:1]
	s_cbranch_vccnz .LBB480_1280
; %bb.1279:
	global_load_ubyte v1, v[2:3], off
	s_waitcnt vmcnt(0)
	v_cvt_f16_u16_e32 v6, v1
.LBB480_1280:
.LBB480_1281:
	v_add_u32_e32 v0, s9, v0
	v_ashrrev_i32_e32 v1, 31, v0
	s_cmp_lt_i32 s22, 11
	v_lshl_add_u64 v[2:3], s[6:7], 0, v[0:1]
	s_cbranch_scc1 .LBB480_1288
; %bb.1282:
	s_cmp_gt_i32 s22, 25
	s_mov_b64 s[2:3], 0
	s_cbranch_scc0 .LBB480_1290
; %bb.1283:
	s_cmp_gt_i32 s22, 28
	s_cbranch_scc0 .LBB480_1291
; %bb.1284:
	s_cmp_gt_i32 s22, 43
	;; [unrolled: 3-line block ×3, first 2 shown]
	s_cbranch_scc0 .LBB480_1294
; %bb.1286:
	s_cmp_eq_u32 s22, 46
	s_mov_b64 s[18:19], 0
	s_cbranch_scc0 .LBB480_1295
; %bb.1287:
	global_load_dword v1, v[2:3], off
	s_mov_b64 s[0:1], 0
	s_mov_b64 s[16:17], -1
	s_waitcnt vmcnt(0)
	v_lshlrev_b32_e32 v1, 16, v1
	v_cvt_f16_f32_e32 v7, v1
	s_branch .LBB480_1296
.LBB480_1288:
	s_mov_b64 s[16:17], 0
                                        ; implicit-def: $vgpr7
	s_cbranch_execnz .LBB480_1362
.LBB480_1289:
	s_andn2_b64 vcc, exec, s[16:17]
	s_cbranch_vccnz .LBB480_1973
	s_branch .LBB480_1410
.LBB480_1290:
	s_mov_b64 s[18:19], -1
	s_mov_b64 s[16:17], 0
	s_mov_b64 s[0:1], 0
                                        ; implicit-def: $vgpr7
	s_branch .LBB480_1325
.LBB480_1291:
	s_mov_b64 s[18:19], -1
	s_mov_b64 s[16:17], 0
	s_mov_b64 s[0:1], 0
                                        ; implicit-def: $vgpr7
	s_branch .LBB480_1306
.LBB480_1292:
	s_mov_b64 s[18:19], -1
	s_mov_b64 s[16:17], 0
	s_mov_b64 s[0:1], 0
                                        ; implicit-def: $vgpr7
	s_branch .LBB480_1301
.LBB480_1293:
	s_trap 2
	s_or_b64 s[14:15], s[14:15], exec
	s_cbranch_execz .LBB480_1232
	s_branch .LBB480_1233
.LBB480_1294:
	s_mov_b64 s[18:19], -1
	s_mov_b64 s[16:17], 0
	s_mov_b64 s[0:1], 0
                                        ; implicit-def: $vgpr7
	s_branch .LBB480_1296
.LBB480_1295:
	s_mov_b64 s[0:1], -1
                                        ; implicit-def: $vgpr7
	s_mov_b64 s[16:17], 0
.LBB480_1296:
	s_and_b64 vcc, exec, s[18:19]
	s_cbranch_vccz .LBB480_1300
; %bb.1297:
	s_cmp_eq_u32 s22, 44
	s_cbranch_scc0 .LBB480_1299
; %bb.1298:
	global_load_ubyte v1, v[2:3], off
	s_movk_i32 s16, 0xff
	v_mov_b32_e32 v8, 0x7e00
	s_mov_b64 s[0:1], 0
	s_waitcnt vmcnt(0)
	v_lshlrev_b32_e32 v7, 23, v1
	v_cvt_f16_f32_e32 v7, v7
	v_cmp_ne_u32_e32 vcc, s16, v1
	s_mov_b64 s[16:17], -1
	s_nop 0
	v_cndmask_b32_e32 v7, v8, v7, vcc
	v_cmp_ne_u32_e32 vcc, 0, v1
	s_nop 1
	v_cndmask_b32_e32 v7, 0, v7, vcc
	s_branch .LBB480_1300
.LBB480_1299:
	s_mov_b64 s[0:1], -1
                                        ; implicit-def: $vgpr7
.LBB480_1300:
	s_mov_b64 s[18:19], 0
.LBB480_1301:
	s_and_b64 vcc, exec, s[18:19]
	s_cbranch_vccz .LBB480_1305
; %bb.1302:
	s_cmp_eq_u32 s22, 29
	s_cbranch_scc0 .LBB480_1304
; %bb.1303:
	global_load_dwordx2 v[8:9], v[2:3], off
	s_mov_b64 s[0:1], 0
	s_mov_b64 s[16:17], -1
	s_mov_b64 s[18:19], 0
	s_waitcnt vmcnt(0)
	v_ffbh_u32_e32 v1, v9
	v_min_u32_e32 v1, 32, v1
	v_lshlrev_b64 v[8:9], v1, v[8:9]
	v_min_u32_e32 v7, 1, v8
	v_or_b32_e32 v7, v9, v7
	v_cvt_f32_u32_e32 v7, v7
	v_sub_u32_e32 v1, 32, v1
	v_ldexp_f32 v1, v7, v1
	v_cvt_f16_f32_e32 v7, v1
	s_branch .LBB480_1306
.LBB480_1304:
	s_mov_b64 s[0:1], -1
                                        ; implicit-def: $vgpr7
.LBB480_1305:
	s_mov_b64 s[18:19], 0
.LBB480_1306:
	s_and_b64 vcc, exec, s[18:19]
	s_cbranch_vccz .LBB480_1324
; %bb.1307:
	s_cmp_lt_i32 s22, 27
	s_cbranch_scc1 .LBB480_1310
; %bb.1308:
	s_cmp_gt_i32 s22, 27
	s_cbranch_scc0 .LBB480_1311
; %bb.1309:
	global_load_dword v1, v[2:3], off
	s_mov_b64 s[16:17], 0
	s_waitcnt vmcnt(0)
	v_cvt_f32_u32_e32 v1, v1
	v_cvt_f16_f32_e32 v7, v1
	s_branch .LBB480_1312
.LBB480_1310:
	s_mov_b64 s[16:17], -1
                                        ; implicit-def: $vgpr7
	s_branch .LBB480_1315
.LBB480_1311:
	s_mov_b64 s[16:17], -1
                                        ; implicit-def: $vgpr7
.LBB480_1312:
	s_andn2_b64 vcc, exec, s[16:17]
	s_cbranch_vccnz .LBB480_1314
; %bb.1313:
	global_load_ushort v1, v[2:3], off
	s_waitcnt vmcnt(0)
	v_cvt_f16_u16_e32 v7, v1
.LBB480_1314:
	s_mov_b64 s[16:17], 0
.LBB480_1315:
	s_andn2_b64 vcc, exec, s[16:17]
	s_cbranch_vccnz .LBB480_1323
; %bb.1316:
	global_load_ubyte v1, v[2:3], off
	s_movk_i32 s16, 0x7f
	s_waitcnt vmcnt(0)
	v_cmp_lt_i16_e32 vcc, s16, v1
	s_mov_b64 s[16:17], 0
	s_and_saveexec_b64 s[18:19], vcc
	s_xor_b64 s[18:19], exec, s[18:19]
	s_cbranch_execz .LBB480_1337
; %bb.1317:
	s_movk_i32 s16, 0x80
	v_cmp_eq_u16_e32 vcc, s16, v1
	s_mov_b64 s[16:17], -1
	s_and_saveexec_b64 s[20:21], vcc
; %bb.1318:
	s_xor_b64 s[16:17], exec, -1
; %bb.1319:
	s_or_b64 exec, exec, s[20:21]
	s_and_b64 s[16:17], s[16:17], exec
	s_or_saveexec_b64 s[18:19], s[18:19]
	v_mov_b32_e32 v7, 0x7e00
	s_xor_b64 exec, exec, s[18:19]
	s_cbranch_execnz .LBB480_1338
.LBB480_1320:
	s_or_b64 exec, exec, s[18:19]
	s_and_saveexec_b64 s[18:19], s[16:17]
	s_cbranch_execz .LBB480_1322
.LBB480_1321:
	v_lshlrev_b32_e32 v7, 24, v1
	v_and_b32_e32 v1, 0xffff, v1
	v_and_b32_e32 v8, 7, v1
	v_ffbh_u32_e32 v10, v8
	v_min_u32_e32 v10, 32, v10
	v_subrev_u32_e32 v11, 28, v10
	v_bfe_u32 v9, v1, 3, 4
	v_lshlrev_b32_e32 v1, v11, v1
	v_sub_u32_e32 v10, 29, v10
	v_and_b32_e32 v1, 7, v1
	v_cmp_eq_u32_e32 vcc, 0, v9
	v_and_b32_e32 v7, 0x80000000, v7
	s_nop 0
	v_cndmask_b32_e32 v9, v9, v10, vcc
	v_cndmask_b32_e32 v1, v8, v1, vcc
	v_mov_b32_e32 v8, 0x3b800000
	v_lshlrev_b32_e32 v1, 20, v1
	v_lshl_add_u32 v8, v9, 23, v8
	v_or3_b32 v1, v7, v8, v1
	v_cvt_f16_f32_e32 v7, v1
.LBB480_1322:
	s_or_b64 exec, exec, s[18:19]
.LBB480_1323:
	s_mov_b64 s[16:17], -1
.LBB480_1324:
	s_mov_b64 s[18:19], 0
.LBB480_1325:
	s_and_b64 vcc, exec, s[18:19]
	s_cbranch_vccz .LBB480_1358
; %bb.1326:
	s_cmp_gt_i32 s22, 22
	s_cbranch_scc0 .LBB480_1336
; %bb.1327:
	s_cmp_lt_i32 s22, 24
	s_cbranch_scc1 .LBB480_1339
; %bb.1328:
	s_cmp_gt_i32 s22, 24
	s_cbranch_scc0 .LBB480_1340
; %bb.1329:
	global_load_ubyte v1, v[2:3], off
	s_movk_i32 s2, 0x7f
	s_waitcnt vmcnt(0)
	v_cmp_lt_i16_e32 vcc, s2, v1
	s_mov_b64 s[2:3], 0
	s_and_saveexec_b64 s[16:17], vcc
	s_xor_b64 s[16:17], exec, s[16:17]
	s_cbranch_execz .LBB480_1352
; %bb.1330:
	s_movk_i32 s2, 0x80
	v_cmp_eq_u16_e32 vcc, s2, v1
	s_mov_b64 s[2:3], -1
	s_and_saveexec_b64 s[18:19], vcc
; %bb.1331:
	s_xor_b64 s[2:3], exec, -1
; %bb.1332:
	s_or_b64 exec, exec, s[18:19]
	s_and_b64 s[2:3], s[2:3], exec
	s_or_saveexec_b64 s[16:17], s[16:17]
	v_mov_b32_e32 v7, 0x7e00
	s_xor_b64 exec, exec, s[16:17]
	s_cbranch_execnz .LBB480_1353
.LBB480_1333:
	s_or_b64 exec, exec, s[16:17]
	s_and_saveexec_b64 s[16:17], s[2:3]
	s_cbranch_execz .LBB480_1335
.LBB480_1334:
	v_lshlrev_b32_e32 v7, 24, v1
	v_and_b32_e32 v1, 0xffff, v1
	v_and_b32_e32 v8, 3, v1
	v_ffbh_u32_e32 v10, v8
	v_min_u32_e32 v10, 32, v10
	v_subrev_u32_e32 v11, 29, v10
	v_bfe_u32 v9, v1, 2, 5
	v_lshlrev_b32_e32 v1, v11, v1
	v_sub_u32_e32 v10, 30, v10
	v_and_b32_e32 v1, 3, v1
	v_cmp_eq_u32_e32 vcc, 0, v9
	v_and_b32_e32 v7, 0x80000000, v7
	s_nop 0
	v_cndmask_b32_e32 v9, v9, v10, vcc
	v_cndmask_b32_e32 v1, v8, v1, vcc
	v_mov_b32_e32 v8, 0x37800000
	v_lshlrev_b32_e32 v1, 21, v1
	v_lshl_add_u32 v8, v9, 23, v8
	v_or3_b32 v1, v7, v8, v1
	v_cvt_f16_f32_e32 v7, v1
.LBB480_1335:
	s_or_b64 exec, exec, s[16:17]
	s_mov_b64 s[2:3], 0
	s_branch .LBB480_1341
.LBB480_1336:
	s_mov_b64 s[2:3], -1
                                        ; implicit-def: $vgpr7
	s_branch .LBB480_1347
.LBB480_1337:
	s_or_saveexec_b64 s[18:19], s[18:19]
	v_mov_b32_e32 v7, 0x7e00
	s_xor_b64 exec, exec, s[18:19]
	s_cbranch_execz .LBB480_1320
.LBB480_1338:
	v_cmp_ne_u16_e32 vcc, 0, v1
	s_andn2_b64 s[16:17], s[16:17], exec
	s_and_b64 s[20:21], vcc, exec
	s_or_b64 s[16:17], s[16:17], s[20:21]
	v_mov_b32_e32 v7, v1
	s_or_b64 exec, exec, s[18:19]
	s_and_saveexec_b64 s[18:19], s[16:17]
	s_cbranch_execnz .LBB480_1321
	s_branch .LBB480_1322
.LBB480_1339:
	s_mov_b64 s[2:3], -1
                                        ; implicit-def: $vgpr7
	s_branch .LBB480_1344
.LBB480_1340:
	s_mov_b64 s[2:3], -1
                                        ; implicit-def: $vgpr7
.LBB480_1341:
	s_and_b64 vcc, exec, s[2:3]
	s_cbranch_vccz .LBB480_1343
; %bb.1342:
	global_load_ubyte v1, v[2:3], off
	s_mov_b32 s2, 0x7f800000
	s_waitcnt vmcnt(0)
	v_lshlrev_b32_e32 v1, 24, v1
	v_and_b32_e32 v7, 0x7f000000, v1
	v_ffbh_u32_e32 v8, v7
	v_min_u32_e32 v8, 32, v8
	v_sub_u32_e64 v8, v8, 4 clamp
	v_lshlrev_b32_e32 v10, v8, v7
	v_lshlrev_b32_e32 v8, 23, v8
	v_lshrrev_b32_e32 v10, 4, v10
	v_add_u32_e32 v9, 0x1000000, v7
	v_sub_u32_e32 v8, v10, v8
	v_ashrrev_i32_e32 v9, 8, v9
	v_add_u32_e32 v8, 0x3c000000, v8
	v_and_or_b32 v8, v9, s2, v8
	v_cmp_ne_u32_e32 vcc, 0, v7
	s_brev_b32 s2, 1
	s_nop 0
	v_cndmask_b32_e32 v7, 0, v8, vcc
	v_and_or_b32 v1, v1, s2, v7
	v_cvt_f16_f32_e32 v7, v1
.LBB480_1343:
	s_mov_b64 s[2:3], 0
.LBB480_1344:
	s_andn2_b64 vcc, exec, s[2:3]
	s_cbranch_vccnz .LBB480_1346
; %bb.1345:
	global_load_ubyte v1, v[2:3], off
	s_movk_i32 s2, 0x7f00
	s_brev_b32 s3, 16
	s_waitcnt vmcnt(0)
	v_lshlrev_b16_e32 v7, 8, v1
	v_lshlrev_b32_e32 v1, 25, v1
	v_lshrrev_b32_e32 v8, 4, v1
	v_and_or_b32 v9, v7, s2, 0.5
	v_or_b32_e32 v8, 0x70000000, v8
	v_add_f32_e32 v9, -0.5, v9
	v_mul_f32_e32 v8, 0x7800000, v8
	v_cmp_gt_u32_e32 vcc, s3, v1
	v_bfe_i32 v7, v7, 0, 16
	s_brev_b32 s2, 1
	v_cndmask_b32_e32 v1, v8, v9, vcc
	v_and_or_b32 v1, v7, s2, v1
	v_cvt_f16_f32_e32 v7, v1
.LBB480_1346:
	s_mov_b64 s[2:3], 0
	s_mov_b64 s[16:17], -1
.LBB480_1347:
	s_andn2_b64 vcc, exec, s[2:3]
	s_mov_b64 s[2:3], 0
	s_cbranch_vccnz .LBB480_1358
; %bb.1348:
	s_cmp_gt_i32 s22, 14
	s_cbranch_scc0 .LBB480_1351
; %bb.1349:
	s_cmp_eq_u32 s22, 15
	s_cbranch_scc0 .LBB480_1354
; %bb.1350:
	global_load_ushort v1, v[2:3], off
	s_mov_b64 s[0:1], 0
	s_mov_b64 s[16:17], -1
	s_waitcnt vmcnt(0)
	v_lshlrev_b32_e32 v1, 16, v1
	v_cvt_f16_f32_e32 v7, v1
	s_branch .LBB480_1355
.LBB480_1351:
	s_mov_b64 s[18:19], -1
                                        ; implicit-def: $vgpr7
	s_branch .LBB480_1356
.LBB480_1352:
	s_or_saveexec_b64 s[16:17], s[16:17]
	v_mov_b32_e32 v7, 0x7e00
	s_xor_b64 exec, exec, s[16:17]
	s_cbranch_execz .LBB480_1333
.LBB480_1353:
	v_cmp_ne_u16_e32 vcc, 0, v1
	s_andn2_b64 s[2:3], s[2:3], exec
	s_and_b64 s[18:19], vcc, exec
	s_or_b64 s[2:3], s[2:3], s[18:19]
	v_mov_b32_e32 v7, v1
	s_or_b64 exec, exec, s[16:17]
	s_and_saveexec_b64 s[16:17], s[2:3]
	s_cbranch_execnz .LBB480_1334
	s_branch .LBB480_1335
.LBB480_1354:
	s_mov_b64 s[0:1], -1
                                        ; implicit-def: $vgpr7
.LBB480_1355:
	s_mov_b64 s[18:19], 0
.LBB480_1356:
	s_and_b64 vcc, exec, s[18:19]
	s_cbranch_vccz .LBB480_1358
; %bb.1357:
	s_cmp_lg_u32 s22, 11
	s_mov_b64 s[2:3], -1
	s_cselect_b64 s[0:1], -1, 0
.LBB480_1358:
	s_and_b64 vcc, exec, s[0:1]
	s_cbranch_vccnz .LBB480_1421
; %bb.1359:
	s_andn2_b64 vcc, exec, s[2:3]
	s_cbranch_vccnz .LBB480_1361
.LBB480_1360:
	global_load_ubyte v1, v[2:3], off
	v_mov_b32_e32 v7, 0x3c00
	s_mov_b64 s[16:17], -1
	s_waitcnt vmcnt(0)
	v_cmp_ne_u16_e32 vcc, 0, v1
	s_nop 1
	v_cndmask_b32_e32 v7, 0, v7, vcc
.LBB480_1361:
	s_branch .LBB480_1289
.LBB480_1362:
	s_cmp_lt_i32 s22, 5
	s_cbranch_scc1 .LBB480_1367
; %bb.1363:
	s_cmp_lt_i32 s22, 8
	s_cbranch_scc1 .LBB480_1368
; %bb.1364:
	;; [unrolled: 3-line block ×3, first 2 shown]
	s_cmp_gt_i32 s22, 9
	s_cbranch_scc0 .LBB480_1370
; %bb.1366:
	global_load_dwordx2 v[8:9], v[2:3], off
	s_movk_i32 s0, 0x1ff
	s_movk_i32 s1, 0xffe
	v_mov_b32_e32 v1, 0x7c00
	v_mov_b32_e32 v7, 0x7e00
	s_movk_i32 s2, 0x40f
	s_mov_b32 s3, 0x8000
	s_waitcnt vmcnt(0)
	v_and_or_b32 v8, v9, s0, v8
	v_cmp_ne_u32_e32 vcc, 0, v8
	v_lshrrev_b32_e32 v10, 8, v9
	v_bfe_u32 v11, v9, 20, 11
	v_cndmask_b32_e64 v8, 0, 1, vcc
	v_sub_u32_e32 v12, 0x3f1, v11
	v_and_or_b32 v8, v10, s1, v8
	v_add_u32_e32 v11, 0xfffffc10, v11
	v_med3_i32 v10, v12, 0, 13
	v_or_b32_e32 v12, 0x1000, v8
	v_lshl_or_b32 v13, v11, 12, v8
	v_cmp_ne_u32_e32 vcc, 0, v8
	v_lshrrev_b32_e32 v8, v10, v12
	v_lshlrev_b32_e32 v10, v10, v8
	v_cndmask_b32_e32 v7, v1, v7, vcc
	v_cmp_ne_u32_e32 vcc, v10, v12
	v_lshrrev_b32_e32 v9, 16, v9
	s_mov_b64 s[0:1], 0
	v_cndmask_b32_e64 v10, 0, 1, vcc
	v_or_b32_e32 v8, v8, v10
	v_cmp_gt_i32_e32 vcc, 1, v11
	s_nop 1
	v_cndmask_b32_e32 v8, v13, v8, vcc
	v_and_b32_e32 v10, 7, v8
	v_cmp_lt_i32_e32 vcc, 5, v10
	v_lshrrev_b32_e32 v8, 2, v8
	s_nop 0
	v_cndmask_b32_e64 v12, 0, 1, vcc
	v_cmp_eq_u32_e32 vcc, 3, v10
	s_nop 1
	v_cndmask_b32_e64 v10, 0, 1, vcc
	v_or_b32_e32 v10, v10, v12
	v_add_u32_e32 v8, v8, v10
	v_cmp_gt_i32_e32 vcc, 31, v11
	s_nop 1
	v_cndmask_b32_e32 v1, v1, v8, vcc
	v_cmp_eq_u32_e32 vcc, s2, v11
	s_nop 1
	v_cndmask_b32_e32 v1, v1, v7, vcc
	v_and_or_b32 v7, v9, s3, v1
	s_branch .LBB480_1371
.LBB480_1367:
	s_mov_b64 s[0:1], -1
                                        ; implicit-def: $vgpr7
	s_branch .LBB480_1389
.LBB480_1368:
	s_mov_b64 s[0:1], -1
                                        ; implicit-def: $vgpr7
	s_branch .LBB480_1377
.LBB480_1369:
	s_mov_b64 s[0:1], -1
                                        ; implicit-def: $vgpr7
	s_branch .LBB480_1374
.LBB480_1370:
	s_mov_b64 s[0:1], -1
                                        ; implicit-def: $vgpr7
.LBB480_1371:
	s_andn2_b64 vcc, exec, s[0:1]
	s_cbranch_vccnz .LBB480_1373
; %bb.1372:
	global_load_dword v1, v[2:3], off
	s_waitcnt vmcnt(0)
	v_cvt_f16_f32_e32 v7, v1
.LBB480_1373:
	s_mov_b64 s[0:1], 0
.LBB480_1374:
	s_andn2_b64 vcc, exec, s[0:1]
	s_cbranch_vccnz .LBB480_1376
; %bb.1375:
	global_load_dword v7, v[2:3], off
.LBB480_1376:
	s_mov_b64 s[0:1], 0
.LBB480_1377:
	s_andn2_b64 vcc, exec, s[0:1]
	s_cbranch_vccnz .LBB480_1388
; %bb.1378:
	s_cmp_lt_i32 s22, 6
	s_cbranch_scc1 .LBB480_1381
; %bb.1379:
	s_cmp_gt_i32 s22, 6
	s_cbranch_scc0 .LBB480_1382
; %bb.1380:
	global_load_dwordx2 v[8:9], v[2:3], off
	s_movk_i32 s0, 0x1ff
	s_movk_i32 s1, 0xffe
	v_mov_b32_e32 v1, 0x7c00
	s_waitcnt vmcnt(1)
	v_mov_b32_e32 v7, 0x7e00
	s_movk_i32 s2, 0x40f
	s_mov_b32 s3, 0x8000
	s_waitcnt vmcnt(0)
	v_and_or_b32 v8, v9, s0, v8
	v_cmp_ne_u32_e32 vcc, 0, v8
	v_lshrrev_b32_e32 v10, 8, v9
	v_bfe_u32 v11, v9, 20, 11
	v_cndmask_b32_e64 v8, 0, 1, vcc
	v_sub_u32_e32 v12, 0x3f1, v11
	v_and_or_b32 v8, v10, s1, v8
	v_add_u32_e32 v11, 0xfffffc10, v11
	v_med3_i32 v10, v12, 0, 13
	v_or_b32_e32 v12, 0x1000, v8
	v_lshl_or_b32 v13, v11, 12, v8
	v_cmp_ne_u32_e32 vcc, 0, v8
	v_lshrrev_b32_e32 v8, v10, v12
	v_lshlrev_b32_e32 v10, v10, v8
	v_cndmask_b32_e32 v7, v1, v7, vcc
	v_cmp_ne_u32_e32 vcc, v10, v12
	v_lshrrev_b32_e32 v9, 16, v9
	s_mov_b64 s[0:1], 0
	v_cndmask_b32_e64 v10, 0, 1, vcc
	v_or_b32_e32 v8, v8, v10
	v_cmp_gt_i32_e32 vcc, 1, v11
	s_nop 1
	v_cndmask_b32_e32 v8, v13, v8, vcc
	v_and_b32_e32 v10, 7, v8
	v_cmp_lt_i32_e32 vcc, 5, v10
	v_lshrrev_b32_e32 v8, 2, v8
	s_nop 0
	v_cndmask_b32_e64 v12, 0, 1, vcc
	v_cmp_eq_u32_e32 vcc, 3, v10
	s_nop 1
	v_cndmask_b32_e64 v10, 0, 1, vcc
	v_or_b32_e32 v10, v10, v12
	v_add_u32_e32 v8, v8, v10
	v_cmp_gt_i32_e32 vcc, 31, v11
	s_nop 1
	v_cndmask_b32_e32 v1, v1, v8, vcc
	v_cmp_eq_u32_e32 vcc, s2, v11
	s_nop 1
	v_cndmask_b32_e32 v1, v1, v7, vcc
	v_and_or_b32 v7, v9, s3, v1
	s_branch .LBB480_1383
.LBB480_1381:
	s_mov_b64 s[0:1], -1
                                        ; implicit-def: $vgpr7
	s_branch .LBB480_1386
.LBB480_1382:
	s_mov_b64 s[0:1], -1
                                        ; implicit-def: $vgpr7
.LBB480_1383:
	s_andn2_b64 vcc, exec, s[0:1]
	s_cbranch_vccnz .LBB480_1385
; %bb.1384:
	global_load_dword v1, v[2:3], off
	s_waitcnt vmcnt(0)
	v_cvt_f16_f32_e32 v7, v1
.LBB480_1385:
	s_mov_b64 s[0:1], 0
.LBB480_1386:
	s_andn2_b64 vcc, exec, s[0:1]
	s_cbranch_vccnz .LBB480_1388
; %bb.1387:
	global_load_ushort v7, v[2:3], off
.LBB480_1388:
	s_mov_b64 s[0:1], 0
.LBB480_1389:
	s_andn2_b64 vcc, exec, s[0:1]
	s_cbranch_vccnz .LBB480_1409
; %bb.1390:
	s_cmp_lt_i32 s22, 2
	s_cbranch_scc1 .LBB480_1394
; %bb.1391:
	s_cmp_lt_i32 s22, 3
	s_cbranch_scc1 .LBB480_1395
; %bb.1392:
	s_cmp_gt_i32 s22, 3
	s_cbranch_scc0 .LBB480_1396
; %bb.1393:
	global_load_dwordx2 v[8:9], v[2:3], off
	s_mov_b64 s[0:1], 0
	s_waitcnt vmcnt(0)
	v_xor_b32_e32 v7, v8, v9
	v_ffbh_i32_e32 v1, v9
	v_ashrrev_i32_e32 v7, 31, v7
	v_add_u32_e32 v1, -1, v1
	v_add_u32_e32 v7, 32, v7
	v_min_u32_e32 v1, v1, v7
	v_lshlrev_b64 v[8:9], v1, v[8:9]
	v_min_u32_e32 v7, 1, v8
	v_or_b32_e32 v7, v9, v7
	v_cvt_f32_i32_e32 v7, v7
	v_sub_u32_e32 v1, 32, v1
	v_ldexp_f32 v1, v7, v1
	v_cvt_f16_f32_e32 v7, v1
	s_branch .LBB480_1397
.LBB480_1394:
	s_mov_b64 s[0:1], -1
                                        ; implicit-def: $vgpr7
	s_branch .LBB480_1403
.LBB480_1395:
	s_mov_b64 s[0:1], -1
                                        ; implicit-def: $vgpr7
	s_branch .LBB480_1400
.LBB480_1396:
	s_mov_b64 s[0:1], -1
                                        ; implicit-def: $vgpr7
.LBB480_1397:
	s_andn2_b64 vcc, exec, s[0:1]
	s_cbranch_vccnz .LBB480_1399
; %bb.1398:
	global_load_dword v1, v[2:3], off
	s_waitcnt vmcnt(0)
	v_cvt_f32_i32_e32 v1, v1
	v_cvt_f16_f32_e32 v7, v1
.LBB480_1399:
	s_mov_b64 s[0:1], 0
.LBB480_1400:
	s_andn2_b64 vcc, exec, s[0:1]
	s_cbranch_vccnz .LBB480_1402
; %bb.1401:
	global_load_ushort v1, v[2:3], off
	s_waitcnt vmcnt(0)
	v_cvt_f16_i16_e32 v7, v1
.LBB480_1402:
	s_mov_b64 s[0:1], 0
.LBB480_1403:
	s_andn2_b64 vcc, exec, s[0:1]
	s_cbranch_vccnz .LBB480_1409
; %bb.1404:
	s_cmp_gt_i32 s22, 0
	s_cbranch_scc0 .LBB480_1406
; %bb.1405:
	global_load_sbyte v1, v[2:3], off
	s_mov_b64 s[0:1], 0
	s_waitcnt vmcnt(0)
	v_cvt_f16_i16_e32 v7, v1
	s_branch .LBB480_1407
.LBB480_1406:
	s_mov_b64 s[0:1], -1
                                        ; implicit-def: $vgpr7
.LBB480_1407:
	s_andn2_b64 vcc, exec, s[0:1]
	s_cbranch_vccnz .LBB480_1409
; %bb.1408:
	global_load_ubyte v1, v[2:3], off
	s_waitcnt vmcnt(0)
	v_cvt_f16_u16_e32 v7, v1
.LBB480_1409:
.LBB480_1410:
	v_add_u32_e32 v0, s9, v0
	v_ashrrev_i32_e32 v1, 31, v0
	s_cmp_lt_i32 s22, 11
	v_lshl_add_u64 v[0:1], s[6:7], 0, v[0:1]
	s_cbranch_scc1 .LBB480_1417
; %bb.1411:
	s_cmp_gt_i32 s22, 25
	s_mov_b64 s[2:3], 0
	s_cbranch_scc0 .LBB480_1418
; %bb.1412:
	s_cmp_gt_i32 s22, 28
	s_cbranch_scc0 .LBB480_1419
; %bb.1413:
	s_cmp_gt_i32 s22, 43
	;; [unrolled: 3-line block ×3, first 2 shown]
	s_cbranch_scc0 .LBB480_1422
; %bb.1415:
	s_cmp_eq_u32 s22, 46
	s_mov_b64 s[16:17], 0
	s_cbranch_scc0 .LBB480_1423
; %bb.1416:
	global_load_dword v2, v[0:1], off
	s_mov_b64 s[0:1], 0
	s_mov_b64 s[6:7], -1
	s_waitcnt vmcnt(0)
	v_lshlrev_b32_e32 v2, 16, v2
	v_cvt_f16_f32_e32 v8, v2
	s_branch .LBB480_1424
.LBB480_1417:
	s_mov_b64 s[0:1], -1
	s_mov_b64 s[6:7], 0
                                        ; implicit-def: $vgpr8
	s_branch .LBB480_1490
.LBB480_1418:
	s_mov_b64 s[16:17], -1
	s_mov_b64 s[6:7], 0
	s_mov_b64 s[0:1], 0
                                        ; implicit-def: $vgpr8
	s_branch .LBB480_1453
.LBB480_1419:
	s_mov_b64 s[16:17], -1
	s_mov_b64 s[6:7], 0
	s_mov_b64 s[0:1], 0
                                        ; implicit-def: $vgpr8
	s_branch .LBB480_1434
.LBB480_1420:
	s_mov_b64 s[16:17], -1
	s_mov_b64 s[6:7], 0
	s_mov_b64 s[0:1], 0
                                        ; implicit-def: $vgpr8
	s_branch .LBB480_1429
.LBB480_1421:
	s_trap 2
	s_or_b64 s[14:15], s[14:15], exec
	s_cbranch_execz .LBB480_1360
	s_branch .LBB480_1361
.LBB480_1422:
	s_mov_b64 s[16:17], -1
	s_mov_b64 s[6:7], 0
	s_mov_b64 s[0:1], 0
                                        ; implicit-def: $vgpr8
	s_branch .LBB480_1424
.LBB480_1423:
	s_mov_b64 s[0:1], -1
                                        ; implicit-def: $vgpr8
	s_mov_b64 s[6:7], 0
.LBB480_1424:
	s_and_b64 vcc, exec, s[16:17]
	s_cbranch_vccz .LBB480_1428
; %bb.1425:
	s_cmp_eq_u32 s22, 44
	s_cbranch_scc0 .LBB480_1427
; %bb.1426:
	global_load_ubyte v2, v[0:1], off
	s_movk_i32 s6, 0xff
	v_mov_b32_e32 v8, 0x7e00
	s_mov_b64 s[0:1], 0
	s_waitcnt vmcnt(0)
	v_lshlrev_b32_e32 v3, 23, v2
	v_cvt_f16_f32_e32 v3, v3
	v_cmp_ne_u32_e32 vcc, s6, v2
	s_mov_b64 s[6:7], -1
	s_nop 0
	v_cndmask_b32_e32 v3, v8, v3, vcc
	v_cmp_ne_u32_e32 vcc, 0, v2
	s_nop 1
	v_cndmask_b32_e32 v8, 0, v3, vcc
	s_branch .LBB480_1428
.LBB480_1427:
	s_mov_b64 s[0:1], -1
                                        ; implicit-def: $vgpr8
.LBB480_1428:
	s_mov_b64 s[16:17], 0
.LBB480_1429:
	s_and_b64 vcc, exec, s[16:17]
	s_cbranch_vccz .LBB480_1433
; %bb.1430:
	s_cmp_eq_u32 s22, 29
	s_cbranch_scc0 .LBB480_1432
; %bb.1431:
	global_load_dwordx2 v[2:3], v[0:1], off
	s_mov_b64 s[0:1], 0
	s_mov_b64 s[6:7], -1
	s_mov_b64 s[16:17], 0
	s_waitcnt vmcnt(0)
	v_ffbh_u32_e32 v8, v3
	v_min_u32_e32 v8, 32, v8
	v_lshlrev_b64 v[2:3], v8, v[2:3]
	v_min_u32_e32 v2, 1, v2
	v_or_b32_e32 v2, v3, v2
	v_cvt_f32_u32_e32 v2, v2
	v_sub_u32_e32 v3, 32, v8
	v_ldexp_f32 v2, v2, v3
	v_cvt_f16_f32_e32 v8, v2
	s_branch .LBB480_1434
.LBB480_1432:
	s_mov_b64 s[0:1], -1
                                        ; implicit-def: $vgpr8
.LBB480_1433:
	s_mov_b64 s[16:17], 0
.LBB480_1434:
	s_and_b64 vcc, exec, s[16:17]
	s_cbranch_vccz .LBB480_1452
; %bb.1435:
	s_cmp_lt_i32 s22, 27
	s_cbranch_scc1 .LBB480_1438
; %bb.1436:
	s_cmp_gt_i32 s22, 27
	s_cbranch_scc0 .LBB480_1439
; %bb.1437:
	global_load_dword v2, v[0:1], off
	s_mov_b64 s[6:7], 0
	s_waitcnt vmcnt(0)
	v_cvt_f32_u32_e32 v2, v2
	v_cvt_f16_f32_e32 v8, v2
	s_branch .LBB480_1440
.LBB480_1438:
	s_mov_b64 s[6:7], -1
                                        ; implicit-def: $vgpr8
	s_branch .LBB480_1443
.LBB480_1439:
	s_mov_b64 s[6:7], -1
                                        ; implicit-def: $vgpr8
.LBB480_1440:
	s_andn2_b64 vcc, exec, s[6:7]
	s_cbranch_vccnz .LBB480_1442
; %bb.1441:
	global_load_ushort v2, v[0:1], off
	s_waitcnt vmcnt(0)
	v_cvt_f16_u16_e32 v8, v2
.LBB480_1442:
	s_mov_b64 s[6:7], 0
.LBB480_1443:
	s_andn2_b64 vcc, exec, s[6:7]
	s_cbranch_vccnz .LBB480_1451
; %bb.1444:
	global_load_ubyte v2, v[0:1], off
	s_movk_i32 s6, 0x7f
	s_waitcnt vmcnt(0)
	v_cmp_lt_i16_e32 vcc, s6, v2
	s_mov_b64 s[6:7], 0
	s_and_saveexec_b64 s[16:17], vcc
	s_xor_b64 s[16:17], exec, s[16:17]
	s_cbranch_execz .LBB480_1465
; %bb.1445:
	s_movk_i32 s6, 0x80
	v_cmp_eq_u16_e32 vcc, s6, v2
	s_mov_b64 s[6:7], -1
	s_and_saveexec_b64 s[18:19], vcc
; %bb.1446:
	s_xor_b64 s[6:7], exec, -1
; %bb.1447:
	s_or_b64 exec, exec, s[18:19]
	s_and_b64 s[6:7], s[6:7], exec
	s_or_saveexec_b64 s[16:17], s[16:17]
	v_mov_b32_e32 v8, 0x7e00
	s_xor_b64 exec, exec, s[16:17]
	s_cbranch_execnz .LBB480_1466
.LBB480_1448:
	s_or_b64 exec, exec, s[16:17]
	s_and_saveexec_b64 s[16:17], s[6:7]
	s_cbranch_execz .LBB480_1450
.LBB480_1449:
	v_lshlrev_b32_e32 v3, 24, v2
	v_and_b32_e32 v2, 0xffff, v2
	v_and_b32_e32 v8, 7, v2
	v_ffbh_u32_e32 v10, v8
	v_min_u32_e32 v10, 32, v10
	v_subrev_u32_e32 v11, 28, v10
	v_bfe_u32 v9, v2, 3, 4
	v_lshlrev_b32_e32 v2, v11, v2
	v_sub_u32_e32 v10, 29, v10
	v_and_b32_e32 v2, 7, v2
	v_cmp_eq_u32_e32 vcc, 0, v9
	v_and_b32_e32 v3, 0x80000000, v3
	s_nop 0
	v_cndmask_b32_e32 v9, v9, v10, vcc
	v_cndmask_b32_e32 v2, v8, v2, vcc
	v_mov_b32_e32 v8, 0x3b800000
	v_lshlrev_b32_e32 v2, 20, v2
	v_lshl_add_u32 v8, v9, 23, v8
	v_or3_b32 v2, v3, v8, v2
	v_cvt_f16_f32_e32 v8, v2
.LBB480_1450:
	s_or_b64 exec, exec, s[16:17]
.LBB480_1451:
	s_mov_b64 s[6:7], -1
.LBB480_1452:
	s_mov_b64 s[16:17], 0
.LBB480_1453:
	s_and_b64 vcc, exec, s[16:17]
	s_cbranch_vccz .LBB480_1486
; %bb.1454:
	s_cmp_gt_i32 s22, 22
	s_cbranch_scc0 .LBB480_1464
; %bb.1455:
	s_cmp_lt_i32 s22, 24
	s_cbranch_scc1 .LBB480_1467
; %bb.1456:
	s_cmp_gt_i32 s22, 24
	s_cbranch_scc0 .LBB480_1468
; %bb.1457:
	global_load_ubyte v2, v[0:1], off
	s_movk_i32 s2, 0x7f
	s_waitcnt vmcnt(0)
	v_cmp_lt_i16_e32 vcc, s2, v2
	s_mov_b64 s[2:3], 0
	s_and_saveexec_b64 s[6:7], vcc
	s_xor_b64 s[6:7], exec, s[6:7]
	s_cbranch_execz .LBB480_1480
; %bb.1458:
	s_movk_i32 s2, 0x80
	v_cmp_eq_u16_e32 vcc, s2, v2
	s_mov_b64 s[2:3], -1
	s_and_saveexec_b64 s[16:17], vcc
; %bb.1459:
	s_xor_b64 s[2:3], exec, -1
; %bb.1460:
	s_or_b64 exec, exec, s[16:17]
	s_and_b64 s[2:3], s[2:3], exec
	s_or_saveexec_b64 s[6:7], s[6:7]
	v_mov_b32_e32 v8, 0x7e00
	s_xor_b64 exec, exec, s[6:7]
	s_cbranch_execnz .LBB480_1481
.LBB480_1461:
	s_or_b64 exec, exec, s[6:7]
	s_and_saveexec_b64 s[6:7], s[2:3]
	s_cbranch_execz .LBB480_1463
.LBB480_1462:
	v_lshlrev_b32_e32 v3, 24, v2
	v_and_b32_e32 v2, 0xffff, v2
	v_and_b32_e32 v8, 3, v2
	v_ffbh_u32_e32 v10, v8
	v_min_u32_e32 v10, 32, v10
	v_subrev_u32_e32 v11, 29, v10
	v_bfe_u32 v9, v2, 2, 5
	v_lshlrev_b32_e32 v2, v11, v2
	v_sub_u32_e32 v10, 30, v10
	v_and_b32_e32 v2, 3, v2
	v_cmp_eq_u32_e32 vcc, 0, v9
	v_and_b32_e32 v3, 0x80000000, v3
	s_nop 0
	v_cndmask_b32_e32 v9, v9, v10, vcc
	v_cndmask_b32_e32 v2, v8, v2, vcc
	v_mov_b32_e32 v8, 0x37800000
	v_lshlrev_b32_e32 v2, 21, v2
	v_lshl_add_u32 v8, v9, 23, v8
	v_or3_b32 v2, v3, v8, v2
	v_cvt_f16_f32_e32 v8, v2
.LBB480_1463:
	s_or_b64 exec, exec, s[6:7]
	s_mov_b64 s[2:3], 0
	s_branch .LBB480_1469
.LBB480_1464:
	s_mov_b64 s[2:3], -1
                                        ; implicit-def: $vgpr8
	s_branch .LBB480_1475
.LBB480_1465:
	s_or_saveexec_b64 s[16:17], s[16:17]
	v_mov_b32_e32 v8, 0x7e00
	s_xor_b64 exec, exec, s[16:17]
	s_cbranch_execz .LBB480_1448
.LBB480_1466:
	v_cmp_ne_u16_e32 vcc, 0, v2
	s_andn2_b64 s[6:7], s[6:7], exec
	s_and_b64 s[18:19], vcc, exec
	s_or_b64 s[6:7], s[6:7], s[18:19]
	v_mov_b32_e32 v8, v2
	s_or_b64 exec, exec, s[16:17]
	s_and_saveexec_b64 s[16:17], s[6:7]
	s_cbranch_execnz .LBB480_1449
	s_branch .LBB480_1450
.LBB480_1467:
	s_mov_b64 s[2:3], -1
                                        ; implicit-def: $vgpr8
	s_branch .LBB480_1472
.LBB480_1468:
	s_mov_b64 s[2:3], -1
                                        ; implicit-def: $vgpr8
.LBB480_1469:
	s_and_b64 vcc, exec, s[2:3]
	s_cbranch_vccz .LBB480_1471
; %bb.1470:
	global_load_ubyte v2, v[0:1], off
	s_mov_b32 s2, 0x7f800000
	s_waitcnt vmcnt(0)
	v_lshlrev_b32_e32 v2, 24, v2
	v_and_b32_e32 v3, 0x7f000000, v2
	v_ffbh_u32_e32 v8, v3
	v_min_u32_e32 v8, 32, v8
	v_sub_u32_e64 v8, v8, 4 clamp
	v_lshlrev_b32_e32 v10, v8, v3
	v_lshlrev_b32_e32 v8, 23, v8
	v_lshrrev_b32_e32 v10, 4, v10
	v_add_u32_e32 v9, 0x1000000, v3
	v_sub_u32_e32 v8, v10, v8
	v_ashrrev_i32_e32 v9, 8, v9
	v_add_u32_e32 v8, 0x3c000000, v8
	v_and_or_b32 v8, v9, s2, v8
	v_cmp_ne_u32_e32 vcc, 0, v3
	s_brev_b32 s2, 1
	s_nop 0
	v_cndmask_b32_e32 v3, 0, v8, vcc
	v_and_or_b32 v2, v2, s2, v3
	v_cvt_f16_f32_e32 v8, v2
.LBB480_1471:
	s_mov_b64 s[2:3], 0
.LBB480_1472:
	s_andn2_b64 vcc, exec, s[2:3]
	s_cbranch_vccnz .LBB480_1474
; %bb.1473:
	global_load_ubyte v2, v[0:1], off
	s_movk_i32 s2, 0x7f00
	s_brev_b32 s3, 16
	s_waitcnt vmcnt(0)
	v_lshlrev_b16_e32 v3, 8, v2
	v_lshlrev_b32_e32 v2, 25, v2
	v_lshrrev_b32_e32 v8, 4, v2
	v_and_or_b32 v9, v3, s2, 0.5
	v_or_b32_e32 v8, 0x70000000, v8
	v_add_f32_e32 v9, -0.5, v9
	v_mul_f32_e32 v8, 0x7800000, v8
	v_cmp_gt_u32_e32 vcc, s3, v2
	v_bfe_i32 v3, v3, 0, 16
	s_brev_b32 s2, 1
	v_cndmask_b32_e32 v2, v8, v9, vcc
	v_and_or_b32 v2, v3, s2, v2
	v_cvt_f16_f32_e32 v8, v2
.LBB480_1474:
	s_mov_b64 s[2:3], 0
	s_mov_b64 s[6:7], -1
.LBB480_1475:
	s_andn2_b64 vcc, exec, s[2:3]
	s_mov_b64 s[2:3], 0
	s_cbranch_vccnz .LBB480_1486
; %bb.1476:
	s_cmp_gt_i32 s22, 14
	s_cbranch_scc0 .LBB480_1479
; %bb.1477:
	s_cmp_eq_u32 s22, 15
	s_cbranch_scc0 .LBB480_1482
; %bb.1478:
	global_load_ushort v2, v[0:1], off
	s_mov_b64 s[0:1], 0
	s_mov_b64 s[6:7], -1
	s_waitcnt vmcnt(0)
	v_lshlrev_b32_e32 v2, 16, v2
	v_cvt_f16_f32_e32 v8, v2
	s_branch .LBB480_1483
.LBB480_1479:
	s_mov_b64 s[16:17], -1
                                        ; implicit-def: $vgpr8
	s_branch .LBB480_1484
.LBB480_1480:
	s_or_saveexec_b64 s[6:7], s[6:7]
	v_mov_b32_e32 v8, 0x7e00
	s_xor_b64 exec, exec, s[6:7]
	s_cbranch_execz .LBB480_1461
.LBB480_1481:
	v_cmp_ne_u16_e32 vcc, 0, v2
	s_andn2_b64 s[2:3], s[2:3], exec
	s_and_b64 s[16:17], vcc, exec
	s_or_b64 s[2:3], s[2:3], s[16:17]
	v_mov_b32_e32 v8, v2
	s_or_b64 exec, exec, s[6:7]
	s_and_saveexec_b64 s[6:7], s[2:3]
	s_cbranch_execnz .LBB480_1462
	s_branch .LBB480_1463
.LBB480_1482:
	s_mov_b64 s[0:1], -1
                                        ; implicit-def: $vgpr8
.LBB480_1483:
	s_mov_b64 s[16:17], 0
.LBB480_1484:
	s_and_b64 vcc, exec, s[16:17]
	s_cbranch_vccz .LBB480_1486
; %bb.1485:
	s_cmp_lg_u32 s22, 11
	s_mov_b64 s[2:3], -1
	s_cselect_b64 s[0:1], -1, 0
.LBB480_1486:
	s_and_b64 vcc, exec, s[0:1]
	s_cbranch_vccnz .LBB480_2019
; %bb.1487:
	s_andn2_b64 vcc, exec, s[2:3]
	s_cbranch_vccnz .LBB480_1489
.LBB480_1488:
	global_load_ubyte v2, v[0:1], off
	v_mov_b32_e32 v3, 0x3c00
	s_mov_b64 s[6:7], -1
	s_waitcnt vmcnt(0)
	v_cmp_ne_u16_e32 vcc, 0, v2
	s_nop 1
	v_cndmask_b32_e32 v8, 0, v3, vcc
.LBB480_1489:
	s_mov_b64 s[0:1], 0
.LBB480_1490:
	s_and_b64 vcc, exec, s[0:1]
	s_cbranch_vccz .LBB480_1539
; %bb.1491:
	s_cmp_lt_i32 s22, 5
	s_cbranch_scc1 .LBB480_1496
; %bb.1492:
	s_cmp_lt_i32 s22, 8
	s_cbranch_scc1 .LBB480_1497
; %bb.1493:
	s_cmp_lt_i32 s22, 9
	s_cbranch_scc1 .LBB480_1498
; %bb.1494:
	s_cmp_gt_i32 s22, 9
	s_cbranch_scc0 .LBB480_1499
; %bb.1495:
	global_load_dwordx2 v[2:3], v[0:1], off
	s_movk_i32 s0, 0x1ff
	s_movk_i32 s1, 0xffe
	v_mov_b32_e32 v8, 0x7c00
	v_mov_b32_e32 v9, 0x7e00
	s_movk_i32 s2, 0x40f
	s_mov_b32 s3, 0x8000
	s_waitcnt vmcnt(0)
	v_and_or_b32 v2, v3, s0, v2
	v_cmp_ne_u32_e32 vcc, 0, v2
	v_lshrrev_b32_e32 v10, 8, v3
	v_bfe_u32 v11, v3, 20, 11
	v_cndmask_b32_e64 v2, 0, 1, vcc
	v_sub_u32_e32 v12, 0x3f1, v11
	v_and_or_b32 v2, v10, s1, v2
	v_add_u32_e32 v11, 0xfffffc10, v11
	v_med3_i32 v10, v12, 0, 13
	v_or_b32_e32 v12, 0x1000, v2
	v_cmp_ne_u32_e32 vcc, 0, v2
	v_lshl_or_b32 v13, v11, 12, v2
	v_lshrrev_b32_e32 v3, 16, v3
	v_cndmask_b32_e32 v2, v8, v9, vcc
	v_lshrrev_b32_e32 v9, v10, v12
	v_lshlrev_b32_e32 v10, v10, v9
	v_cmp_ne_u32_e32 vcc, v10, v12
	s_mov_b64 s[0:1], 0
	s_nop 0
	v_cndmask_b32_e64 v10, 0, 1, vcc
	v_or_b32_e32 v9, v9, v10
	v_cmp_gt_i32_e32 vcc, 1, v11
	s_nop 1
	v_cndmask_b32_e32 v9, v13, v9, vcc
	v_and_b32_e32 v10, 7, v9
	v_cmp_lt_i32_e32 vcc, 5, v10
	v_lshrrev_b32_e32 v9, 2, v9
	s_nop 0
	v_cndmask_b32_e64 v12, 0, 1, vcc
	v_cmp_eq_u32_e32 vcc, 3, v10
	s_nop 1
	v_cndmask_b32_e64 v10, 0, 1, vcc
	v_or_b32_e32 v10, v10, v12
	v_add_u32_e32 v9, v9, v10
	v_cmp_gt_i32_e32 vcc, 31, v11
	s_nop 1
	v_cndmask_b32_e32 v8, v8, v9, vcc
	v_cmp_eq_u32_e32 vcc, s2, v11
	s_nop 1
	v_cndmask_b32_e32 v2, v8, v2, vcc
	v_and_or_b32 v8, v3, s3, v2
	s_branch .LBB480_1500
.LBB480_1496:
	s_mov_b64 s[0:1], -1
                                        ; implicit-def: $vgpr8
	s_branch .LBB480_1518
.LBB480_1497:
	s_mov_b64 s[0:1], -1
                                        ; implicit-def: $vgpr8
	s_branch .LBB480_1506
.LBB480_1498:
	s_mov_b64 s[0:1], -1
                                        ; implicit-def: $vgpr8
	s_branch .LBB480_1503
.LBB480_1499:
	s_mov_b64 s[0:1], -1
                                        ; implicit-def: $vgpr8
.LBB480_1500:
	s_andn2_b64 vcc, exec, s[0:1]
	s_cbranch_vccnz .LBB480_1502
; %bb.1501:
	global_load_dword v2, v[0:1], off
	s_waitcnt vmcnt(0)
	v_cvt_f16_f32_e32 v8, v2
.LBB480_1502:
	s_mov_b64 s[0:1], 0
.LBB480_1503:
	s_andn2_b64 vcc, exec, s[0:1]
	s_cbranch_vccnz .LBB480_1505
; %bb.1504:
	global_load_dword v8, v[0:1], off
.LBB480_1505:
	s_mov_b64 s[0:1], 0
.LBB480_1506:
	s_andn2_b64 vcc, exec, s[0:1]
	s_cbranch_vccnz .LBB480_1517
; %bb.1507:
	s_cmp_lt_i32 s22, 6
	s_cbranch_scc1 .LBB480_1510
; %bb.1508:
	s_cmp_gt_i32 s22, 6
	s_cbranch_scc0 .LBB480_1511
; %bb.1509:
	global_load_dwordx2 v[2:3], v[0:1], off
	s_movk_i32 s0, 0x1ff
	s_movk_i32 s1, 0xffe
	s_waitcnt vmcnt(1)
	v_mov_b32_e32 v8, 0x7c00
	v_mov_b32_e32 v9, 0x7e00
	s_movk_i32 s2, 0x40f
	s_mov_b32 s3, 0x8000
	s_waitcnt vmcnt(0)
	v_and_or_b32 v2, v3, s0, v2
	v_cmp_ne_u32_e32 vcc, 0, v2
	v_lshrrev_b32_e32 v10, 8, v3
	v_bfe_u32 v11, v3, 20, 11
	v_cndmask_b32_e64 v2, 0, 1, vcc
	v_sub_u32_e32 v12, 0x3f1, v11
	v_and_or_b32 v2, v10, s1, v2
	v_add_u32_e32 v11, 0xfffffc10, v11
	v_med3_i32 v10, v12, 0, 13
	v_or_b32_e32 v12, 0x1000, v2
	v_cmp_ne_u32_e32 vcc, 0, v2
	v_lshl_or_b32 v13, v11, 12, v2
	v_lshrrev_b32_e32 v3, 16, v3
	v_cndmask_b32_e32 v2, v8, v9, vcc
	v_lshrrev_b32_e32 v9, v10, v12
	v_lshlrev_b32_e32 v10, v10, v9
	v_cmp_ne_u32_e32 vcc, v10, v12
	s_mov_b64 s[0:1], 0
	s_nop 0
	v_cndmask_b32_e64 v10, 0, 1, vcc
	v_or_b32_e32 v9, v9, v10
	v_cmp_gt_i32_e32 vcc, 1, v11
	s_nop 1
	v_cndmask_b32_e32 v9, v13, v9, vcc
	v_and_b32_e32 v10, 7, v9
	v_cmp_lt_i32_e32 vcc, 5, v10
	v_lshrrev_b32_e32 v9, 2, v9
	s_nop 0
	v_cndmask_b32_e64 v12, 0, 1, vcc
	v_cmp_eq_u32_e32 vcc, 3, v10
	s_nop 1
	v_cndmask_b32_e64 v10, 0, 1, vcc
	v_or_b32_e32 v10, v10, v12
	v_add_u32_e32 v9, v9, v10
	v_cmp_gt_i32_e32 vcc, 31, v11
	s_nop 1
	v_cndmask_b32_e32 v8, v8, v9, vcc
	v_cmp_eq_u32_e32 vcc, s2, v11
	s_nop 1
	v_cndmask_b32_e32 v2, v8, v2, vcc
	v_and_or_b32 v8, v3, s3, v2
	s_branch .LBB480_1512
.LBB480_1510:
	s_mov_b64 s[0:1], -1
                                        ; implicit-def: $vgpr8
	s_branch .LBB480_1515
.LBB480_1511:
	s_mov_b64 s[0:1], -1
                                        ; implicit-def: $vgpr8
.LBB480_1512:
	s_andn2_b64 vcc, exec, s[0:1]
	s_cbranch_vccnz .LBB480_1514
; %bb.1513:
	global_load_dword v2, v[0:1], off
	s_waitcnt vmcnt(0)
	v_cvt_f16_f32_e32 v8, v2
.LBB480_1514:
	s_mov_b64 s[0:1], 0
.LBB480_1515:
	s_andn2_b64 vcc, exec, s[0:1]
	s_cbranch_vccnz .LBB480_1517
; %bb.1516:
	global_load_ushort v8, v[0:1], off
.LBB480_1517:
	s_mov_b64 s[0:1], 0
.LBB480_1518:
	s_andn2_b64 vcc, exec, s[0:1]
	s_cbranch_vccnz .LBB480_1538
; %bb.1519:
	s_cmp_lt_i32 s22, 2
	s_cbranch_scc1 .LBB480_1523
; %bb.1520:
	s_cmp_lt_i32 s22, 3
	s_cbranch_scc1 .LBB480_1524
; %bb.1521:
	s_cmp_gt_i32 s22, 3
	s_cbranch_scc0 .LBB480_1525
; %bb.1522:
	global_load_dwordx2 v[2:3], v[0:1], off
	s_mov_b64 s[0:1], 0
	s_waitcnt vmcnt(0)
	v_xor_b32_e32 v9, v2, v3
	v_ffbh_i32_e32 v8, v3
	v_ashrrev_i32_e32 v9, 31, v9
	v_add_u32_e32 v8, -1, v8
	v_add_u32_e32 v9, 32, v9
	v_min_u32_e32 v8, v8, v9
	v_lshlrev_b64 v[2:3], v8, v[2:3]
	v_min_u32_e32 v2, 1, v2
	v_or_b32_e32 v2, v3, v2
	v_cvt_f32_i32_e32 v2, v2
	v_sub_u32_e32 v3, 32, v8
	v_ldexp_f32 v2, v2, v3
	v_cvt_f16_f32_e32 v8, v2
	s_branch .LBB480_1526
.LBB480_1523:
	s_mov_b64 s[0:1], -1
                                        ; implicit-def: $vgpr8
	s_branch .LBB480_1532
.LBB480_1524:
	s_mov_b64 s[0:1], -1
                                        ; implicit-def: $vgpr8
	s_branch .LBB480_1529
.LBB480_1525:
	s_mov_b64 s[0:1], -1
                                        ; implicit-def: $vgpr8
.LBB480_1526:
	s_andn2_b64 vcc, exec, s[0:1]
	s_cbranch_vccnz .LBB480_1528
; %bb.1527:
	global_load_dword v2, v[0:1], off
	s_waitcnt vmcnt(0)
	v_cvt_f32_i32_e32 v2, v2
	v_cvt_f16_f32_e32 v8, v2
.LBB480_1528:
	s_mov_b64 s[0:1], 0
.LBB480_1529:
	s_andn2_b64 vcc, exec, s[0:1]
	s_cbranch_vccnz .LBB480_1531
; %bb.1530:
	global_load_ushort v2, v[0:1], off
	s_waitcnt vmcnt(0)
	v_cvt_f16_i16_e32 v8, v2
.LBB480_1531:
	s_mov_b64 s[0:1], 0
.LBB480_1532:
	s_andn2_b64 vcc, exec, s[0:1]
	s_cbranch_vccnz .LBB480_1538
; %bb.1533:
	s_cmp_gt_i32 s22, 0
	s_cbranch_scc0 .LBB480_1535
; %bb.1534:
	global_load_sbyte v2, v[0:1], off
	s_mov_b64 s[0:1], 0
	s_waitcnt vmcnt(0)
	v_cvt_f16_i16_e32 v8, v2
	s_branch .LBB480_1536
.LBB480_1535:
	s_mov_b64 s[0:1], -1
                                        ; implicit-def: $vgpr8
.LBB480_1536:
	s_andn2_b64 vcc, exec, s[0:1]
	s_cbranch_vccnz .LBB480_1538
; %bb.1537:
	global_load_ubyte v0, v[0:1], off
	s_waitcnt vmcnt(0)
	v_cvt_f16_u16_e32 v8, v0
.LBB480_1538:
	s_mov_b64 s[6:7], -1
.LBB480_1539:
	s_andn2_b64 vcc, exec, s[6:7]
	s_cbranch_vccnz .LBB480_1973
; %bb.1540:
	s_waitcnt vmcnt(0)
	v_cmp_u_f16_e32 vcc, v5, v5
	v_cmp_gt_f16_e64 s[0:1], s33, v5
	v_mov_b32_e32 v0, s33
	s_or_b64 vcc, vcc, s[0:1]
	v_cndmask_b32_e32 v5, v0, v5, vcc
	v_mul_lo_u32 v0, s8, v4
	v_ashrrev_i32_e32 v1, 31, v0
	s_and_b32 s20, s42, 0xff
	s_cmp_lt_i32 s20, 11
	v_lshl_add_u64 v[2:3], s[4:5], 0, v[0:1]
	s_cbranch_scc1 .LBB480_1618
; %bb.1541:
	s_and_b32 s9, 0xffff, s20
	s_mov_b64 s[16:17], -1
	s_mov_b64 s[2:3], 0
	s_cmp_gt_i32 s9, 25
	s_mov_b64 s[6:7], 0
	s_mov_b64 s[0:1], 0
	s_cbranch_scc0 .LBB480_1574
; %bb.1542:
	s_cmp_gt_i32 s9, 28
	s_cbranch_scc0 .LBB480_1557
; %bb.1543:
	s_cmp_gt_i32 s9, 43
	;; [unrolled: 3-line block ×3, first 2 shown]
	s_cbranch_scc0 .LBB480_1547
; %bb.1545:
	s_mov_b64 s[0:1], -1
	s_mov_b64 s[16:17], 0
	s_cmp_eq_u32 s9, 46
	s_cbranch_scc0 .LBB480_1547
; %bb.1546:
	v_cvt_f32_f16_e32 v1, v5
	s_movk_i32 s0, 0x7fff
	v_cmp_o_f16_e32 vcc, v5, v5
	v_mov_b32_e32 v4, 0x7fc0
	v_bfe_u32 v9, v1, 16, 1
	v_add3_u32 v1, v1, v9, s0
	v_cndmask_b32_sdwa v1, v4, v1, vcc dst_sel:DWORD dst_unused:UNUSED_PAD src0_sel:DWORD src1_sel:WORD_1
	global_store_dword v[2:3], v1, off
	s_mov_b64 s[0:1], 0
	s_mov_b64 s[6:7], -1
.LBB480_1547:
	s_and_b64 vcc, exec, s[16:17]
	s_cbranch_vccz .LBB480_1552
; %bb.1548:
	s_cmp_eq_u32 s9, 44
	s_mov_b64 s[0:1], -1
	s_cbranch_scc0 .LBB480_1552
; %bb.1549:
	v_cvt_f32_f16_e32 v1, v5
	s_movk_i32 s0, 0xff
	v_mov_b32_e32 v9, 0xff
	v_bfe_u32 v4, v1, 23, 8
	v_cmp_ne_u32_e32 vcc, s0, v4
	s_and_saveexec_b64 s[6:7], vcc
; %bb.1550:
	s_mov_b32 s0, 0x3fffff
	v_lshrrev_b32_e32 v9, 23, v1
	v_and_b32_e32 v10, 0x400000, v1
	v_and_or_b32 v1, v1, s0, v4
	v_cmp_ne_u32_e32 vcc, 0, v10
	v_cmp_ne_u32_e64 s[0:1], 0, v1
	s_and_b64 s[0:1], vcc, s[0:1]
	s_nop 0
	v_cndmask_b32_e64 v1, 0, 1, s[0:1]
	v_add_u32_e32 v9, v9, v1
; %bb.1551:
	s_or_b64 exec, exec, s[6:7]
	s_mov_b64 s[0:1], 0
	s_mov_b64 s[6:7], -1
	global_store_byte v[2:3], v9, off
.LBB480_1552:
	s_mov_b64 s[16:17], 0
.LBB480_1553:
	s_and_b64 vcc, exec, s[16:17]
	s_cbranch_vccz .LBB480_1556
; %bb.1554:
	s_cmp_eq_u32 s9, 29
	s_mov_b64 s[0:1], -1
	s_cbranch_scc0 .LBB480_1556
; %bb.1555:
	v_cvt_f32_f16_e32 v1, v5
	v_mov_b32_e32 v11, 0
	s_mov_b64 s[0:1], 0
	s_mov_b64 s[6:7], -1
	v_cvt_u32_f32_e32 v10, v1
	global_store_dwordx2 v[2:3], v[10:11], off
.LBB480_1556:
	s_mov_b64 s[16:17], 0
.LBB480_1557:
	s_and_b64 vcc, exec, s[16:17]
	s_cbranch_vccz .LBB480_1573
; %bb.1558:
	s_cmp_lt_i32 s9, 27
	s_mov_b64 s[6:7], -1
	s_cbranch_scc1 .LBB480_1564
; %bb.1559:
	s_cmp_gt_i32 s9, 27
	s_cbranch_scc0 .LBB480_1561
; %bb.1560:
	v_cvt_f32_f16_e32 v1, v5
	s_mov_b64 s[6:7], 0
	v_cvt_u32_f32_e32 v1, v1
	global_store_dword v[2:3], v1, off
.LBB480_1561:
	s_andn2_b64 vcc, exec, s[6:7]
	s_cbranch_vccnz .LBB480_1563
; %bb.1562:
	v_cvt_u16_f16_e32 v1, v5
	global_store_short v[2:3], v1, off
.LBB480_1563:
	s_mov_b64 s[6:7], 0
.LBB480_1564:
	s_andn2_b64 vcc, exec, s[6:7]
	s_cbranch_vccnz .LBB480_1572
; %bb.1565:
	v_cvt_f32_f16_e32 v1, v5
	s_mov_b32 s6, 0x43800000
	v_mov_b32_e32 v9, 0x80
	v_and_b32_e32 v4, 0x7fffffff, v1
	v_cmp_gt_u32_e32 vcc, s6, v4
	s_and_saveexec_b64 s[6:7], vcc
	s_cbranch_execz .LBB480_1571
; %bb.1566:
	s_mov_b32 s16, 0x3bffffff
	v_cmp_lt_u32_e32 vcc, s16, v4
	s_mov_b64 s[16:17], 0
                                        ; implicit-def: $vgpr4
	s_and_saveexec_b64 s[18:19], vcc
	s_xor_b64 s[18:19], exec, s[18:19]
	s_cbranch_execz .LBB480_2020
; %bb.1567:
	v_bfe_u32 v4, v1, 20, 1
	s_mov_b32 s21, 0x487ffff
	v_add3_u32 v4, v1, v4, s21
	s_mov_b64 s[16:17], exec
	v_lshrrev_b32_e32 v4, 20, v4
	s_andn2_saveexec_b64 s[18:19], s[18:19]
	s_cbranch_execnz .LBB480_2021
.LBB480_1568:
	s_or_b64 exec, exec, s[18:19]
	v_mov_b32_e32 v9, 0
	s_and_saveexec_b64 s[18:19], s[16:17]
.LBB480_1569:
	v_lshrrev_b32_e32 v1, 24, v1
	s_movk_i32 s16, 0x80
	v_and_or_b32 v9, v1, s16, v4
.LBB480_1570:
	s_or_b64 exec, exec, s[18:19]
.LBB480_1571:
	s_or_b64 exec, exec, s[6:7]
	global_store_byte v[2:3], v9, off
.LBB480_1572:
	s_mov_b64 s[6:7], -1
.LBB480_1573:
	s_mov_b64 s[16:17], 0
.LBB480_1574:
	s_and_b64 vcc, exec, s[16:17]
	s_cbranch_vccz .LBB480_1614
; %bb.1575:
	s_cmp_gt_i32 s9, 22
	s_mov_b64 s[2:3], -1
	s_cbranch_scc0 .LBB480_1607
; %bb.1576:
	s_cmp_lt_i32 s9, 24
	s_cbranch_scc1 .LBB480_1596
; %bb.1577:
	s_cmp_gt_i32 s9, 24
	s_cbranch_scc0 .LBB480_1585
; %bb.1578:
	v_cvt_f32_f16_e32 v1, v5
	s_mov_b32 s2, 0x47800000
	v_mov_b32_e32 v9, 0x80
	v_and_b32_e32 v4, 0x7fffffff, v1
	v_cmp_gt_u32_e32 vcc, s2, v4
	s_and_saveexec_b64 s[2:3], vcc
	s_cbranch_execz .LBB480_1584
; %bb.1579:
	s_mov_b32 s6, 0x37ffffff
	v_cmp_lt_u32_e32 vcc, s6, v4
	s_mov_b64 s[6:7], 0
                                        ; implicit-def: $vgpr4
	s_and_saveexec_b64 s[16:17], vcc
	s_xor_b64 s[16:17], exec, s[16:17]
	s_cbranch_execz .LBB480_2023
; %bb.1580:
	v_bfe_u32 v4, v1, 21, 1
	s_mov_b32 s18, 0x88fffff
	v_add3_u32 v4, v1, v4, s18
	s_mov_b64 s[6:7], exec
	v_lshrrev_b32_e32 v4, 21, v4
	s_andn2_saveexec_b64 s[16:17], s[16:17]
	s_cbranch_execnz .LBB480_2024
.LBB480_1581:
	s_or_b64 exec, exec, s[16:17]
	v_mov_b32_e32 v9, 0
	s_and_saveexec_b64 s[16:17], s[6:7]
.LBB480_1582:
	v_lshrrev_b32_e32 v1, 24, v1
	s_movk_i32 s6, 0x80
	v_and_or_b32 v9, v1, s6, v4
.LBB480_1583:
	s_or_b64 exec, exec, s[16:17]
.LBB480_1584:
	s_or_b64 exec, exec, s[2:3]
	s_mov_b64 s[2:3], 0
	global_store_byte v[2:3], v9, off
.LBB480_1585:
	s_and_b64 vcc, exec, s[2:3]
	s_cbranch_vccz .LBB480_1595
; %bb.1586:
	v_cvt_f32_f16_e32 v1, v5
	s_mov_b32 s2, 0x43f00000
                                        ; implicit-def: $vgpr4
	v_and_b32_e32 v9, 0x7fffffff, v1
	v_cmp_gt_u32_e32 vcc, s2, v9
	s_and_saveexec_b64 s[2:3], vcc
	s_xor_b64 s[2:3], exec, s[2:3]
	s_cbranch_execz .LBB480_1592
; %bb.1587:
	s_mov_b32 s6, 0x3c7fffff
	v_cmp_lt_u32_e32 vcc, s6, v9
                                        ; implicit-def: $vgpr4
	s_and_saveexec_b64 s[6:7], vcc
	s_xor_b64 s[6:7], exec, s[6:7]
; %bb.1588:
	v_bfe_u32 v4, v1, 20, 1
	s_mov_b32 s16, 0x407ffff
	v_add3_u32 v4, v1, v4, s16
	v_lshrrev_b32_e32 v9, 20, v4
	v_and_b32_e32 v4, 0xff00000, v4
	s_mov_b32 s16, 0x7f00000
	v_mov_b32_e32 v10, 0x7e
	v_cmp_ne_u32_e32 vcc, s16, v4
	s_nop 1
	v_cndmask_b32_e32 v4, v10, v9, vcc
; %bb.1589:
	s_andn2_saveexec_b64 s[6:7], s[6:7]
; %bb.1590:
	s_mov_b32 s16, 0x46800000
	v_add_f32_e64 v4, |v1|, s16
; %bb.1591:
	s_or_b64 exec, exec, s[6:7]
                                        ; implicit-def: $vgpr9
.LBB480_1592:
	s_andn2_saveexec_b64 s[2:3], s[2:3]
; %bb.1593:
	s_mov_b32 s6, 0x7f800000
	v_mov_b32_e32 v4, 0x7e
	v_mov_b32_e32 v10, 0x7f
	v_cmp_lt_u32_e32 vcc, s6, v9
	s_nop 1
	v_cndmask_b32_e32 v4, v4, v10, vcc
; %bb.1594:
	s_or_b64 exec, exec, s[2:3]
	v_lshrrev_b32_e32 v1, 24, v1
	s_movk_i32 s2, 0x80
	v_and_or_b32 v1, v1, s2, v4
	global_store_byte v[2:3], v1, off
.LBB480_1595:
	s_mov_b64 s[2:3], 0
.LBB480_1596:
	s_andn2_b64 vcc, exec, s[2:3]
	s_cbranch_vccnz .LBB480_1606
; %bb.1597:
	v_cvt_f32_f16_e32 v1, v5
	s_mov_b32 s2, 0x47800000
                                        ; implicit-def: $vgpr4
	v_and_b32_e32 v9, 0x7fffffff, v1
	v_cmp_gt_u32_e32 vcc, s2, v9
	s_and_saveexec_b64 s[2:3], vcc
	s_xor_b64 s[2:3], exec, s[2:3]
	s_cbranch_execz .LBB480_1603
; %bb.1598:
	s_mov_b32 s6, 0x387fffff
	v_cmp_lt_u32_e32 vcc, s6, v9
                                        ; implicit-def: $vgpr4
	s_and_saveexec_b64 s[6:7], vcc
	s_xor_b64 s[6:7], exec, s[6:7]
; %bb.1599:
	v_bfe_u32 v4, v1, 21, 1
	s_mov_b32 s16, 0x80fffff
	v_add3_u32 v4, v1, v4, s16
	v_lshrrev_b32_e32 v4, 21, v4
; %bb.1600:
	s_andn2_saveexec_b64 s[6:7], s[6:7]
; %bb.1601:
	s_mov_b32 s16, 0x43000000
	v_add_f32_e64 v4, |v1|, s16
; %bb.1602:
	s_or_b64 exec, exec, s[6:7]
                                        ; implicit-def: $vgpr9
.LBB480_1603:
	s_andn2_saveexec_b64 s[2:3], s[2:3]
; %bb.1604:
	s_mov_b32 s6, 0x7f800000
	v_mov_b32_e32 v4, 0x7c
	v_mov_b32_e32 v10, 0x7f
	v_cmp_lt_u32_e32 vcc, s6, v9
	s_nop 1
	v_cndmask_b32_e32 v4, v4, v10, vcc
; %bb.1605:
	s_or_b64 exec, exec, s[2:3]
	v_lshrrev_b32_e32 v1, 24, v1
	s_movk_i32 s2, 0x80
	v_and_or_b32 v1, v1, s2, v4
	global_store_byte v[2:3], v1, off
.LBB480_1606:
	s_mov_b64 s[2:3], 0
	s_mov_b64 s[6:7], -1
.LBB480_1607:
	s_andn2_b64 vcc, exec, s[2:3]
	s_mov_b64 s[2:3], 0
	s_cbranch_vccnz .LBB480_1614
; %bb.1608:
	s_cmp_gt_i32 s9, 14
	s_mov_b64 s[16:17], -1
	s_cbranch_scc0 .LBB480_1612
; %bb.1609:
	s_cmp_eq_u32 s9, 15
	s_mov_b64 s[0:1], -1
	s_cbranch_scc0 .LBB480_1611
; %bb.1610:
	v_cvt_f32_f16_e32 v1, v5
	s_movk_i32 s0, 0x7fff
	v_cmp_o_f16_e32 vcc, v5, v5
	v_mov_b32_e32 v4, 0x7fc0
	v_bfe_u32 v9, v1, 16, 1
	v_add3_u32 v1, v1, v9, s0
	v_cndmask_b32_sdwa v1, v4, v1, vcc dst_sel:DWORD dst_unused:UNUSED_PAD src0_sel:DWORD src1_sel:WORD_1
	global_store_short v[2:3], v1, off
	s_mov_b64 s[0:1], 0
	s_mov_b64 s[6:7], -1
.LBB480_1611:
	s_mov_b64 s[16:17], 0
.LBB480_1612:
	s_and_b64 vcc, exec, s[16:17]
	s_cbranch_vccz .LBB480_1614
; %bb.1613:
	s_cmp_lg_u32 s9, 11
	s_mov_b64 s[2:3], -1
	s_cselect_b64 s[0:1], -1, 0
.LBB480_1614:
	s_and_b64 vcc, exec, s[0:1]
	s_cbranch_vccnz .LBB480_2022
; %bb.1615:
	s_andn2_b64 vcc, exec, s[2:3]
	s_cbranch_vccnz .LBB480_1617
.LBB480_1616:
	v_and_b32_e32 v1, 0x7fff, v5
	v_cmp_ne_u16_e32 vcc, 0, v1
	s_mov_b64 s[6:7], -1
	s_nop 0
	v_cndmask_b32_e64 v1, 0, 1, vcc
	global_store_byte v[2:3], v1, off
.LBB480_1617:
	s_mov_b64 s[0:1], 0
	s_branch .LBB480_1619
.LBB480_1618:
	s_mov_b64 s[0:1], -1
	s_mov_b64 s[6:7], 0
.LBB480_1619:
	s_and_b64 vcc, exec, s[0:1]
	s_cbranch_vccz .LBB480_1658
; %bb.1620:
	s_and_b32 s2, 0xffff, s20
	s_cmp_lt_i32 s2, 5
	s_mov_b64 s[0:1], -1
	s_cbranch_scc1 .LBB480_1641
; %bb.1621:
	s_cmp_lt_i32 s2, 8
	s_cbranch_scc1 .LBB480_1631
; %bb.1622:
	s_cmp_lt_i32 s2, 9
	s_cbranch_scc1 .LBB480_1628
; %bb.1623:
	s_cmp_gt_i32 s2, 9
	s_cbranch_scc0 .LBB480_1625
; %bb.1624:
	v_cvt_f32_f16_e32 v1, v5
	v_mov_b32_e32 v12, 0
	v_mov_b32_e32 v13, v12
	s_mov_b64 s[0:1], 0
	v_cvt_f64_f32_e32 v[10:11], v1
	global_store_dwordx4 v[2:3], v[10:13], off
.LBB480_1625:
	s_andn2_b64 vcc, exec, s[0:1]
	s_cbranch_vccnz .LBB480_1627
; %bb.1626:
	v_cvt_f32_f16_e32 v10, v5
	v_mov_b32_e32 v11, 0
	global_store_dwordx2 v[2:3], v[10:11], off
.LBB480_1627:
	s_mov_b64 s[0:1], 0
.LBB480_1628:
	s_andn2_b64 vcc, exec, s[0:1]
	s_cbranch_vccnz .LBB480_1630
; %bb.1629:
	v_and_b32_e32 v1, 0xffff, v5
	global_store_dword v[2:3], v1, off
.LBB480_1630:
	s_mov_b64 s[0:1], 0
.LBB480_1631:
	s_andn2_b64 vcc, exec, s[0:1]
	s_cbranch_vccnz .LBB480_1640
; %bb.1632:
	s_cmp_lt_i32 s2, 6
	s_mov_b64 s[0:1], -1
	s_cbranch_scc1 .LBB480_1638
; %bb.1633:
	s_cmp_gt_i32 s2, 6
	s_cbranch_scc0 .LBB480_1635
; %bb.1634:
	v_cvt_f32_f16_e32 v1, v5
	s_mov_b64 s[0:1], 0
	v_cvt_f64_f32_e32 v[10:11], v1
	global_store_dwordx2 v[2:3], v[10:11], off
.LBB480_1635:
	s_andn2_b64 vcc, exec, s[0:1]
	s_cbranch_vccnz .LBB480_1637
; %bb.1636:
	v_cvt_f32_f16_e32 v1, v5
	global_store_dword v[2:3], v1, off
.LBB480_1637:
	s_mov_b64 s[0:1], 0
.LBB480_1638:
	s_andn2_b64 vcc, exec, s[0:1]
	s_cbranch_vccnz .LBB480_1640
; %bb.1639:
	global_store_short v[2:3], v5, off
.LBB480_1640:
	s_mov_b64 s[0:1], 0
.LBB480_1641:
	s_andn2_b64 vcc, exec, s[0:1]
	s_cbranch_vccnz .LBB480_1657
; %bb.1642:
	s_cmp_lt_i32 s2, 2
	s_mov_b64 s[0:1], -1
	s_cbranch_scc1 .LBB480_1652
; %bb.1643:
	s_cmp_lt_i32 s2, 3
	s_cbranch_scc1 .LBB480_1649
; %bb.1644:
	s_cmp_gt_i32 s2, 3
	s_cbranch_scc0 .LBB480_1646
; %bb.1645:
	v_cvt_f32_f16_e32 v1, v5
	s_mov_b64 s[0:1], 0
	v_cvt_i32_f32_e32 v10, v1
	v_ashrrev_i32_e32 v11, 31, v10
	global_store_dwordx2 v[2:3], v[10:11], off
.LBB480_1646:
	s_andn2_b64 vcc, exec, s[0:1]
	s_cbranch_vccnz .LBB480_1648
; %bb.1647:
	v_cvt_f32_f16_e32 v1, v5
	v_cvt_i32_f32_e32 v1, v1
	global_store_dword v[2:3], v1, off
.LBB480_1648:
	s_mov_b64 s[0:1], 0
.LBB480_1649:
	s_andn2_b64 vcc, exec, s[0:1]
	s_cbranch_vccnz .LBB480_1651
; %bb.1650:
	v_cvt_i16_f16_e32 v1, v5
	global_store_short v[2:3], v1, off
.LBB480_1651:
	s_mov_b64 s[0:1], 0
.LBB480_1652:
	s_andn2_b64 vcc, exec, s[0:1]
	s_cbranch_vccnz .LBB480_1657
; %bb.1653:
	s_cmp_gt_i32 s2, 0
	s_mov_b64 s[0:1], -1
	s_cbranch_scc0 .LBB480_1655
; %bb.1654:
	v_cvt_i16_f16_e32 v1, v5
	global_store_byte v[2:3], v1, off
	s_mov_b64 s[0:1], 0
.LBB480_1655:
	s_andn2_b64 vcc, exec, s[0:1]
	s_cbranch_vccnz .LBB480_1657
; %bb.1656:
	v_cvt_f32_f16_e32 v1, v5
	v_cvt_i32_f32_e32 v1, v1
	global_store_byte v[2:3], v1, off
.LBB480_1657:
	s_mov_b64 s[6:7], -1
.LBB480_1658:
	s_andn2_b64 vcc, exec, s[6:7]
	s_cbranch_vccnz .LBB480_1973
; %bb.1659:
	v_cmp_u_f16_e32 vcc, v6, v6
	v_cmp_gt_f16_e64 s[0:1], s33, v6
	s_lshl_b32 s18, s8, 7
	v_mov_b32_e32 v1, s33
	s_or_b64 vcc, vcc, s[0:1]
	v_add_u32_e32 v0, s18, v0
	v_cndmask_b32_e32 v4, v1, v6, vcc
	v_ashrrev_i32_e32 v1, 31, v0
	s_cmp_lt_i32 s20, 11
	v_lshl_add_u64 v[2:3], s[4:5], 0, v[0:1]
	s_cbranch_scc1 .LBB480_1737
; %bb.1660:
	s_and_b32 s19, 0xffff, s20
	s_mov_b64 s[8:9], -1
	s_mov_b64 s[2:3], 0
	s_cmp_gt_i32 s19, 25
	s_mov_b64 s[6:7], 0
	s_mov_b64 s[0:1], 0
	s_cbranch_scc0 .LBB480_1693
; %bb.1661:
	s_cmp_gt_i32 s19, 28
	s_cbranch_scc0 .LBB480_1676
; %bb.1662:
	s_cmp_gt_i32 s19, 43
	;; [unrolled: 3-line block ×3, first 2 shown]
	s_cbranch_scc0 .LBB480_1666
; %bb.1664:
	s_mov_b64 s[0:1], -1
	s_mov_b64 s[8:9], 0
	s_cmp_eq_u32 s19, 46
	s_cbranch_scc0 .LBB480_1666
; %bb.1665:
	v_cvt_f32_f16_e32 v1, v4
	s_movk_i32 s0, 0x7fff
	v_cmp_o_f16_e32 vcc, v4, v4
	v_mov_b32_e32 v5, 0x7fc0
	v_bfe_u32 v6, v1, 16, 1
	v_add3_u32 v1, v1, v6, s0
	v_cndmask_b32_sdwa v1, v5, v1, vcc dst_sel:DWORD dst_unused:UNUSED_PAD src0_sel:DWORD src1_sel:WORD_1
	global_store_dword v[2:3], v1, off
	s_mov_b64 s[0:1], 0
	s_mov_b64 s[6:7], -1
.LBB480_1666:
	s_and_b64 vcc, exec, s[8:9]
	s_cbranch_vccz .LBB480_1671
; %bb.1667:
	s_cmp_eq_u32 s19, 44
	s_mov_b64 s[0:1], -1
	s_cbranch_scc0 .LBB480_1671
; %bb.1668:
	v_cvt_f32_f16_e32 v1, v4
	s_movk_i32 s0, 0xff
	v_mov_b32_e32 v6, 0xff
	v_bfe_u32 v5, v1, 23, 8
	v_cmp_ne_u32_e32 vcc, s0, v5
	s_and_saveexec_b64 s[6:7], vcc
; %bb.1669:
	s_mov_b32 s0, 0x3fffff
	v_lshrrev_b32_e32 v6, 23, v1
	v_and_b32_e32 v9, 0x400000, v1
	v_and_or_b32 v1, v1, s0, v5
	v_cmp_ne_u32_e32 vcc, 0, v9
	v_cmp_ne_u32_e64 s[0:1], 0, v1
	s_and_b64 s[0:1], vcc, s[0:1]
	s_nop 0
	v_cndmask_b32_e64 v1, 0, 1, s[0:1]
	v_add_u32_e32 v6, v6, v1
; %bb.1670:
	s_or_b64 exec, exec, s[6:7]
	s_mov_b64 s[0:1], 0
	s_mov_b64 s[6:7], -1
	global_store_byte v[2:3], v6, off
.LBB480_1671:
	s_mov_b64 s[8:9], 0
.LBB480_1672:
	s_and_b64 vcc, exec, s[8:9]
	s_cbranch_vccz .LBB480_1675
; %bb.1673:
	s_cmp_eq_u32 s19, 29
	s_mov_b64 s[0:1], -1
	s_cbranch_scc0 .LBB480_1675
; %bb.1674:
	v_cvt_f32_f16_e32 v1, v4
	v_mov_b32_e32 v11, 0
	s_mov_b64 s[0:1], 0
	s_mov_b64 s[6:7], -1
	v_cvt_u32_f32_e32 v10, v1
	global_store_dwordx2 v[2:3], v[10:11], off
.LBB480_1675:
	s_mov_b64 s[8:9], 0
.LBB480_1676:
	s_and_b64 vcc, exec, s[8:9]
	s_cbranch_vccz .LBB480_1692
; %bb.1677:
	s_cmp_lt_i32 s19, 27
	s_mov_b64 s[6:7], -1
	s_cbranch_scc1 .LBB480_1683
; %bb.1678:
	s_cmp_gt_i32 s19, 27
	s_cbranch_scc0 .LBB480_1680
; %bb.1679:
	v_cvt_f32_f16_e32 v1, v4
	s_mov_b64 s[6:7], 0
	v_cvt_u32_f32_e32 v1, v1
	global_store_dword v[2:3], v1, off
.LBB480_1680:
	s_andn2_b64 vcc, exec, s[6:7]
	s_cbranch_vccnz .LBB480_1682
; %bb.1681:
	v_cvt_u16_f16_e32 v1, v4
	global_store_short v[2:3], v1, off
.LBB480_1682:
	s_mov_b64 s[6:7], 0
.LBB480_1683:
	s_andn2_b64 vcc, exec, s[6:7]
	s_cbranch_vccnz .LBB480_1691
; %bb.1684:
	v_cvt_f32_f16_e32 v1, v4
	s_mov_b32 s6, 0x43800000
	v_mov_b32_e32 v6, 0x80
	v_and_b32_e32 v5, 0x7fffffff, v1
	v_cmp_gt_u32_e32 vcc, s6, v5
	s_and_saveexec_b64 s[6:7], vcc
	s_cbranch_execz .LBB480_1690
; %bb.1685:
	s_mov_b32 s8, 0x3bffffff
	v_cmp_lt_u32_e32 vcc, s8, v5
	s_mov_b64 s[8:9], 0
                                        ; implicit-def: $vgpr5
	s_and_saveexec_b64 s[16:17], vcc
	s_xor_b64 s[16:17], exec, s[16:17]
	s_cbranch_execz .LBB480_2025
; %bb.1686:
	v_bfe_u32 v5, v1, 20, 1
	s_mov_b32 s21, 0x487ffff
	v_add3_u32 v5, v1, v5, s21
	s_mov_b64 s[8:9], exec
	v_lshrrev_b32_e32 v5, 20, v5
	s_andn2_saveexec_b64 s[16:17], s[16:17]
	s_cbranch_execnz .LBB480_2026
.LBB480_1687:
	s_or_b64 exec, exec, s[16:17]
	v_mov_b32_e32 v6, 0
	s_and_saveexec_b64 s[16:17], s[8:9]
.LBB480_1688:
	v_lshrrev_b32_e32 v1, 24, v1
	s_movk_i32 s8, 0x80
	v_and_or_b32 v6, v1, s8, v5
.LBB480_1689:
	s_or_b64 exec, exec, s[16:17]
.LBB480_1690:
	s_or_b64 exec, exec, s[6:7]
	global_store_byte v[2:3], v6, off
.LBB480_1691:
	s_mov_b64 s[6:7], -1
.LBB480_1692:
	s_mov_b64 s[8:9], 0
.LBB480_1693:
	s_and_b64 vcc, exec, s[8:9]
	s_cbranch_vccz .LBB480_1733
; %bb.1694:
	s_cmp_gt_i32 s19, 22
	s_mov_b64 s[2:3], -1
	s_cbranch_scc0 .LBB480_1726
; %bb.1695:
	s_cmp_lt_i32 s19, 24
	s_cbranch_scc1 .LBB480_1715
; %bb.1696:
	s_cmp_gt_i32 s19, 24
	s_cbranch_scc0 .LBB480_1704
; %bb.1697:
	v_cvt_f32_f16_e32 v1, v4
	s_mov_b32 s2, 0x47800000
	v_mov_b32_e32 v6, 0x80
	v_and_b32_e32 v5, 0x7fffffff, v1
	v_cmp_gt_u32_e32 vcc, s2, v5
	s_and_saveexec_b64 s[2:3], vcc
	s_cbranch_execz .LBB480_1703
; %bb.1698:
	s_mov_b32 s6, 0x37ffffff
	v_cmp_lt_u32_e32 vcc, s6, v5
	s_mov_b64 s[6:7], 0
                                        ; implicit-def: $vgpr5
	s_and_saveexec_b64 s[8:9], vcc
	s_xor_b64 s[8:9], exec, s[8:9]
	s_cbranch_execz .LBB480_2028
; %bb.1699:
	v_bfe_u32 v5, v1, 21, 1
	s_mov_b32 s16, 0x88fffff
	v_add3_u32 v5, v1, v5, s16
	s_mov_b64 s[6:7], exec
	v_lshrrev_b32_e32 v5, 21, v5
	s_andn2_saveexec_b64 s[8:9], s[8:9]
	s_cbranch_execnz .LBB480_2029
.LBB480_1700:
	s_or_b64 exec, exec, s[8:9]
	v_mov_b32_e32 v6, 0
	s_and_saveexec_b64 s[8:9], s[6:7]
.LBB480_1701:
	v_lshrrev_b32_e32 v1, 24, v1
	s_movk_i32 s6, 0x80
	v_and_or_b32 v6, v1, s6, v5
.LBB480_1702:
	s_or_b64 exec, exec, s[8:9]
.LBB480_1703:
	s_or_b64 exec, exec, s[2:3]
	s_mov_b64 s[2:3], 0
	global_store_byte v[2:3], v6, off
.LBB480_1704:
	s_and_b64 vcc, exec, s[2:3]
	s_cbranch_vccz .LBB480_1714
; %bb.1705:
	v_cvt_f32_f16_e32 v1, v4
	s_mov_b32 s2, 0x43f00000
                                        ; implicit-def: $vgpr5
	v_and_b32_e32 v6, 0x7fffffff, v1
	v_cmp_gt_u32_e32 vcc, s2, v6
	s_and_saveexec_b64 s[2:3], vcc
	s_xor_b64 s[2:3], exec, s[2:3]
	s_cbranch_execz .LBB480_1711
; %bb.1706:
	s_mov_b32 s6, 0x3c7fffff
	v_cmp_lt_u32_e32 vcc, s6, v6
                                        ; implicit-def: $vgpr5
	s_and_saveexec_b64 s[6:7], vcc
	s_xor_b64 s[6:7], exec, s[6:7]
; %bb.1707:
	v_bfe_u32 v5, v1, 20, 1
	s_mov_b32 s8, 0x407ffff
	v_add3_u32 v5, v1, v5, s8
	v_lshrrev_b32_e32 v6, 20, v5
	v_and_b32_e32 v5, 0xff00000, v5
	s_mov_b32 s8, 0x7f00000
	v_mov_b32_e32 v9, 0x7e
	v_cmp_ne_u32_e32 vcc, s8, v5
	s_nop 1
	v_cndmask_b32_e32 v5, v9, v6, vcc
; %bb.1708:
	s_andn2_saveexec_b64 s[6:7], s[6:7]
; %bb.1709:
	s_mov_b32 s8, 0x46800000
	v_add_f32_e64 v5, |v1|, s8
; %bb.1710:
	s_or_b64 exec, exec, s[6:7]
                                        ; implicit-def: $vgpr6
.LBB480_1711:
	s_andn2_saveexec_b64 s[2:3], s[2:3]
; %bb.1712:
	s_mov_b32 s6, 0x7f800000
	v_mov_b32_e32 v5, 0x7e
	v_mov_b32_e32 v9, 0x7f
	v_cmp_lt_u32_e32 vcc, s6, v6
	s_nop 1
	v_cndmask_b32_e32 v5, v5, v9, vcc
; %bb.1713:
	s_or_b64 exec, exec, s[2:3]
	v_lshrrev_b32_e32 v1, 24, v1
	s_movk_i32 s2, 0x80
	v_and_or_b32 v1, v1, s2, v5
	global_store_byte v[2:3], v1, off
.LBB480_1714:
	s_mov_b64 s[2:3], 0
.LBB480_1715:
	s_andn2_b64 vcc, exec, s[2:3]
	s_cbranch_vccnz .LBB480_1725
; %bb.1716:
	v_cvt_f32_f16_e32 v1, v4
	s_mov_b32 s2, 0x47800000
                                        ; implicit-def: $vgpr5
	v_and_b32_e32 v6, 0x7fffffff, v1
	v_cmp_gt_u32_e32 vcc, s2, v6
	s_and_saveexec_b64 s[2:3], vcc
	s_xor_b64 s[2:3], exec, s[2:3]
	s_cbranch_execz .LBB480_1722
; %bb.1717:
	s_mov_b32 s6, 0x387fffff
	v_cmp_lt_u32_e32 vcc, s6, v6
                                        ; implicit-def: $vgpr5
	s_and_saveexec_b64 s[6:7], vcc
	s_xor_b64 s[6:7], exec, s[6:7]
; %bb.1718:
	v_bfe_u32 v5, v1, 21, 1
	s_mov_b32 s8, 0x80fffff
	v_add3_u32 v5, v1, v5, s8
	v_lshrrev_b32_e32 v5, 21, v5
; %bb.1719:
	s_andn2_saveexec_b64 s[6:7], s[6:7]
; %bb.1720:
	s_mov_b32 s8, 0x43000000
	v_add_f32_e64 v5, |v1|, s8
; %bb.1721:
	s_or_b64 exec, exec, s[6:7]
                                        ; implicit-def: $vgpr6
.LBB480_1722:
	s_andn2_saveexec_b64 s[2:3], s[2:3]
; %bb.1723:
	s_mov_b32 s6, 0x7f800000
	v_mov_b32_e32 v5, 0x7c
	v_mov_b32_e32 v9, 0x7f
	v_cmp_lt_u32_e32 vcc, s6, v6
	s_nop 1
	v_cndmask_b32_e32 v5, v5, v9, vcc
; %bb.1724:
	s_or_b64 exec, exec, s[2:3]
	v_lshrrev_b32_e32 v1, 24, v1
	s_movk_i32 s2, 0x80
	v_and_or_b32 v1, v1, s2, v5
	global_store_byte v[2:3], v1, off
.LBB480_1725:
	s_mov_b64 s[2:3], 0
	s_mov_b64 s[6:7], -1
.LBB480_1726:
	s_andn2_b64 vcc, exec, s[2:3]
	s_mov_b64 s[2:3], 0
	s_cbranch_vccnz .LBB480_1733
; %bb.1727:
	s_cmp_gt_i32 s19, 14
	s_mov_b64 s[8:9], -1
	s_cbranch_scc0 .LBB480_1731
; %bb.1728:
	s_cmp_eq_u32 s19, 15
	s_mov_b64 s[0:1], -1
	s_cbranch_scc0 .LBB480_1730
; %bb.1729:
	v_cvt_f32_f16_e32 v1, v4
	s_movk_i32 s0, 0x7fff
	v_cmp_o_f16_e32 vcc, v4, v4
	v_mov_b32_e32 v5, 0x7fc0
	v_bfe_u32 v6, v1, 16, 1
	v_add3_u32 v1, v1, v6, s0
	v_cndmask_b32_sdwa v1, v5, v1, vcc dst_sel:DWORD dst_unused:UNUSED_PAD src0_sel:DWORD src1_sel:WORD_1
	global_store_short v[2:3], v1, off
	s_mov_b64 s[0:1], 0
	s_mov_b64 s[6:7], -1
.LBB480_1730:
	s_mov_b64 s[8:9], 0
.LBB480_1731:
	s_and_b64 vcc, exec, s[8:9]
	s_cbranch_vccz .LBB480_1733
; %bb.1732:
	s_cmp_lg_u32 s19, 11
	s_mov_b64 s[2:3], -1
	s_cselect_b64 s[0:1], -1, 0
.LBB480_1733:
	s_and_b64 vcc, exec, s[0:1]
	s_cbranch_vccnz .LBB480_2027
; %bb.1734:
	s_andn2_b64 vcc, exec, s[2:3]
	s_cbranch_vccnz .LBB480_1736
.LBB480_1735:
	v_and_b32_e32 v1, 0x7fff, v4
	v_cmp_ne_u16_e32 vcc, 0, v1
	s_mov_b64 s[6:7], -1
	s_nop 0
	v_cndmask_b32_e64 v1, 0, 1, vcc
	global_store_byte v[2:3], v1, off
.LBB480_1736:
	s_mov_b64 s[0:1], 0
	s_branch .LBB480_1738
.LBB480_1737:
	s_mov_b64 s[0:1], -1
	s_mov_b64 s[6:7], 0
.LBB480_1738:
	s_and_b64 vcc, exec, s[0:1]
	s_cbranch_vccz .LBB480_1777
; %bb.1739:
	s_and_b32 s2, 0xffff, s20
	s_cmp_lt_i32 s2, 5
	s_mov_b64 s[0:1], -1
	s_cbranch_scc1 .LBB480_1760
; %bb.1740:
	s_cmp_lt_i32 s2, 8
	s_cbranch_scc1 .LBB480_1750
; %bb.1741:
	s_cmp_lt_i32 s2, 9
	s_cbranch_scc1 .LBB480_1747
; %bb.1742:
	s_cmp_gt_i32 s2, 9
	s_cbranch_scc0 .LBB480_1744
; %bb.1743:
	v_cvt_f32_f16_e32 v1, v4
	v_mov_b32_e32 v12, 0
	v_mov_b32_e32 v13, v12
	s_mov_b64 s[0:1], 0
	v_cvt_f64_f32_e32 v[10:11], v1
	global_store_dwordx4 v[2:3], v[10:13], off
.LBB480_1744:
	s_andn2_b64 vcc, exec, s[0:1]
	s_cbranch_vccnz .LBB480_1746
; %bb.1745:
	v_cvt_f32_f16_e32 v10, v4
	v_mov_b32_e32 v11, 0
	global_store_dwordx2 v[2:3], v[10:11], off
.LBB480_1746:
	s_mov_b64 s[0:1], 0
.LBB480_1747:
	s_andn2_b64 vcc, exec, s[0:1]
	s_cbranch_vccnz .LBB480_1749
; %bb.1748:
	v_and_b32_e32 v1, 0xffff, v4
	global_store_dword v[2:3], v1, off
.LBB480_1749:
	s_mov_b64 s[0:1], 0
.LBB480_1750:
	s_andn2_b64 vcc, exec, s[0:1]
	s_cbranch_vccnz .LBB480_1759
; %bb.1751:
	s_cmp_lt_i32 s2, 6
	s_mov_b64 s[0:1], -1
	s_cbranch_scc1 .LBB480_1757
; %bb.1752:
	s_cmp_gt_i32 s2, 6
	s_cbranch_scc0 .LBB480_1754
; %bb.1753:
	v_cvt_f32_f16_e32 v1, v4
	s_mov_b64 s[0:1], 0
	v_cvt_f64_f32_e32 v[10:11], v1
	global_store_dwordx2 v[2:3], v[10:11], off
.LBB480_1754:
	s_andn2_b64 vcc, exec, s[0:1]
	s_cbranch_vccnz .LBB480_1756
; %bb.1755:
	v_cvt_f32_f16_e32 v1, v4
	global_store_dword v[2:3], v1, off
.LBB480_1756:
	s_mov_b64 s[0:1], 0
.LBB480_1757:
	s_andn2_b64 vcc, exec, s[0:1]
	s_cbranch_vccnz .LBB480_1759
; %bb.1758:
	global_store_short v[2:3], v4, off
.LBB480_1759:
	s_mov_b64 s[0:1], 0
.LBB480_1760:
	s_andn2_b64 vcc, exec, s[0:1]
	s_cbranch_vccnz .LBB480_1776
; %bb.1761:
	s_cmp_lt_i32 s2, 2
	s_mov_b64 s[0:1], -1
	s_cbranch_scc1 .LBB480_1771
; %bb.1762:
	s_cmp_lt_i32 s2, 3
	s_cbranch_scc1 .LBB480_1768
; %bb.1763:
	s_cmp_gt_i32 s2, 3
	s_cbranch_scc0 .LBB480_1765
; %bb.1764:
	v_cvt_f32_f16_e32 v1, v4
	s_mov_b64 s[0:1], 0
	v_cvt_i32_f32_e32 v10, v1
	v_ashrrev_i32_e32 v11, 31, v10
	global_store_dwordx2 v[2:3], v[10:11], off
.LBB480_1765:
	s_andn2_b64 vcc, exec, s[0:1]
	s_cbranch_vccnz .LBB480_1767
; %bb.1766:
	v_cvt_f32_f16_e32 v1, v4
	v_cvt_i32_f32_e32 v1, v1
	global_store_dword v[2:3], v1, off
.LBB480_1767:
	s_mov_b64 s[0:1], 0
.LBB480_1768:
	s_andn2_b64 vcc, exec, s[0:1]
	s_cbranch_vccnz .LBB480_1770
; %bb.1769:
	v_cvt_i16_f16_e32 v1, v4
	global_store_short v[2:3], v1, off
.LBB480_1770:
	s_mov_b64 s[0:1], 0
.LBB480_1771:
	s_andn2_b64 vcc, exec, s[0:1]
	s_cbranch_vccnz .LBB480_1776
; %bb.1772:
	s_cmp_gt_i32 s2, 0
	s_mov_b64 s[0:1], -1
	s_cbranch_scc0 .LBB480_1774
; %bb.1773:
	v_cvt_i16_f16_e32 v1, v4
	global_store_byte v[2:3], v1, off
	s_mov_b64 s[0:1], 0
.LBB480_1774:
	s_andn2_b64 vcc, exec, s[0:1]
	s_cbranch_vccnz .LBB480_1776
; %bb.1775:
	v_cvt_f32_f16_e32 v1, v4
	v_cvt_i32_f32_e32 v1, v1
	global_store_byte v[2:3], v1, off
.LBB480_1776:
	s_mov_b64 s[6:7], -1
.LBB480_1777:
	s_andn2_b64 vcc, exec, s[6:7]
	s_cbranch_vccnz .LBB480_1973
; %bb.1778:
	v_cmp_u_f16_e32 vcc, v7, v7
	v_cmp_gt_f16_e64 s[0:1], s33, v7
	v_mov_b32_e32 v1, s33
	s_or_b64 vcc, vcc, s[0:1]
	v_add_u32_e32 v0, s18, v0
	v_cndmask_b32_e32 v4, v1, v7, vcc
	v_ashrrev_i32_e32 v1, 31, v0
	s_cmp_lt_i32 s20, 11
	v_lshl_add_u64 v[2:3], s[4:5], 0, v[0:1]
	s_cbranch_scc1 .LBB480_1856
; %bb.1779:
	s_and_b32 s19, 0xffff, s20
	s_mov_b64 s[8:9], -1
	s_mov_b64 s[2:3], 0
	s_cmp_gt_i32 s19, 25
	s_mov_b64 s[6:7], 0
	s_mov_b64 s[0:1], 0
	s_cbranch_scc0 .LBB480_1812
; %bb.1780:
	s_cmp_gt_i32 s19, 28
	s_cbranch_scc0 .LBB480_1795
; %bb.1781:
	s_cmp_gt_i32 s19, 43
	;; [unrolled: 3-line block ×3, first 2 shown]
	s_cbranch_scc0 .LBB480_1785
; %bb.1783:
	s_mov_b64 s[0:1], -1
	s_mov_b64 s[8:9], 0
	s_cmp_eq_u32 s19, 46
	s_cbranch_scc0 .LBB480_1785
; %bb.1784:
	v_cvt_f32_f16_e32 v1, v4
	s_movk_i32 s0, 0x7fff
	v_cmp_o_f16_e32 vcc, v4, v4
	v_mov_b32_e32 v5, 0x7fc0
	v_bfe_u32 v6, v1, 16, 1
	v_add3_u32 v1, v1, v6, s0
	v_cndmask_b32_sdwa v1, v5, v1, vcc dst_sel:DWORD dst_unused:UNUSED_PAD src0_sel:DWORD src1_sel:WORD_1
	global_store_dword v[2:3], v1, off
	s_mov_b64 s[0:1], 0
	s_mov_b64 s[6:7], -1
.LBB480_1785:
	s_and_b64 vcc, exec, s[8:9]
	s_cbranch_vccz .LBB480_1790
; %bb.1786:
	s_cmp_eq_u32 s19, 44
	s_mov_b64 s[0:1], -1
	s_cbranch_scc0 .LBB480_1790
; %bb.1787:
	v_cvt_f32_f16_e32 v1, v4
	s_movk_i32 s0, 0xff
	v_mov_b32_e32 v6, 0xff
	v_bfe_u32 v5, v1, 23, 8
	v_cmp_ne_u32_e32 vcc, s0, v5
	s_and_saveexec_b64 s[6:7], vcc
; %bb.1788:
	s_mov_b32 s0, 0x3fffff
	v_lshrrev_b32_e32 v6, 23, v1
	v_and_b32_e32 v7, 0x400000, v1
	v_and_or_b32 v1, v1, s0, v5
	v_cmp_ne_u32_e32 vcc, 0, v7
	v_cmp_ne_u32_e64 s[0:1], 0, v1
	s_and_b64 s[0:1], vcc, s[0:1]
	s_nop 0
	v_cndmask_b32_e64 v1, 0, 1, s[0:1]
	v_add_u32_e32 v6, v6, v1
; %bb.1789:
	s_or_b64 exec, exec, s[6:7]
	s_mov_b64 s[0:1], 0
	s_mov_b64 s[6:7], -1
	global_store_byte v[2:3], v6, off
.LBB480_1790:
	s_mov_b64 s[8:9], 0
.LBB480_1791:
	s_and_b64 vcc, exec, s[8:9]
	s_cbranch_vccz .LBB480_1794
; %bb.1792:
	s_cmp_eq_u32 s19, 29
	s_mov_b64 s[0:1], -1
	s_cbranch_scc0 .LBB480_1794
; %bb.1793:
	v_cvt_f32_f16_e32 v1, v4
	v_mov_b32_e32 v7, 0
	s_mov_b64 s[0:1], 0
	s_mov_b64 s[6:7], -1
	v_cvt_u32_f32_e32 v6, v1
	global_store_dwordx2 v[2:3], v[6:7], off
.LBB480_1794:
	s_mov_b64 s[8:9], 0
.LBB480_1795:
	s_and_b64 vcc, exec, s[8:9]
	s_cbranch_vccz .LBB480_1811
; %bb.1796:
	s_cmp_lt_i32 s19, 27
	s_mov_b64 s[6:7], -1
	s_cbranch_scc1 .LBB480_1802
; %bb.1797:
	s_cmp_gt_i32 s19, 27
	s_cbranch_scc0 .LBB480_1799
; %bb.1798:
	v_cvt_f32_f16_e32 v1, v4
	s_mov_b64 s[6:7], 0
	v_cvt_u32_f32_e32 v1, v1
	global_store_dword v[2:3], v1, off
.LBB480_1799:
	s_andn2_b64 vcc, exec, s[6:7]
	s_cbranch_vccnz .LBB480_1801
; %bb.1800:
	v_cvt_u16_f16_e32 v1, v4
	global_store_short v[2:3], v1, off
.LBB480_1801:
	s_mov_b64 s[6:7], 0
.LBB480_1802:
	s_andn2_b64 vcc, exec, s[6:7]
	s_cbranch_vccnz .LBB480_1810
; %bb.1803:
	v_cvt_f32_f16_e32 v1, v4
	s_mov_b32 s6, 0x43800000
	v_mov_b32_e32 v6, 0x80
	v_and_b32_e32 v5, 0x7fffffff, v1
	v_cmp_gt_u32_e32 vcc, s6, v5
	s_and_saveexec_b64 s[6:7], vcc
	s_cbranch_execz .LBB480_1809
; %bb.1804:
	s_mov_b32 s8, 0x3bffffff
	v_cmp_lt_u32_e32 vcc, s8, v5
	s_mov_b64 s[8:9], 0
                                        ; implicit-def: $vgpr5
	s_and_saveexec_b64 s[16:17], vcc
	s_xor_b64 s[16:17], exec, s[16:17]
	s_cbranch_execz .LBB480_2030
; %bb.1805:
	v_bfe_u32 v5, v1, 20, 1
	s_mov_b32 s21, 0x487ffff
	v_add3_u32 v5, v1, v5, s21
	s_mov_b64 s[8:9], exec
	v_lshrrev_b32_e32 v5, 20, v5
	s_andn2_saveexec_b64 s[16:17], s[16:17]
	s_cbranch_execnz .LBB480_2031
.LBB480_1806:
	s_or_b64 exec, exec, s[16:17]
	v_mov_b32_e32 v6, 0
	s_and_saveexec_b64 s[16:17], s[8:9]
.LBB480_1807:
	v_lshrrev_b32_e32 v1, 24, v1
	s_movk_i32 s8, 0x80
	v_and_or_b32 v6, v1, s8, v5
.LBB480_1808:
	s_or_b64 exec, exec, s[16:17]
.LBB480_1809:
	s_or_b64 exec, exec, s[6:7]
	global_store_byte v[2:3], v6, off
.LBB480_1810:
	s_mov_b64 s[6:7], -1
.LBB480_1811:
	s_mov_b64 s[8:9], 0
.LBB480_1812:
	s_and_b64 vcc, exec, s[8:9]
	s_cbranch_vccz .LBB480_1852
; %bb.1813:
	s_cmp_gt_i32 s19, 22
	s_mov_b64 s[2:3], -1
	s_cbranch_scc0 .LBB480_1845
; %bb.1814:
	s_cmp_lt_i32 s19, 24
	s_cbranch_scc1 .LBB480_1834
; %bb.1815:
	s_cmp_gt_i32 s19, 24
	s_cbranch_scc0 .LBB480_1823
; %bb.1816:
	v_cvt_f32_f16_e32 v1, v4
	s_mov_b32 s2, 0x47800000
	v_mov_b32_e32 v6, 0x80
	v_and_b32_e32 v5, 0x7fffffff, v1
	v_cmp_gt_u32_e32 vcc, s2, v5
	s_and_saveexec_b64 s[2:3], vcc
	s_cbranch_execz .LBB480_1822
; %bb.1817:
	s_mov_b32 s6, 0x37ffffff
	v_cmp_lt_u32_e32 vcc, s6, v5
	s_mov_b64 s[6:7], 0
                                        ; implicit-def: $vgpr5
	s_and_saveexec_b64 s[8:9], vcc
	s_xor_b64 s[8:9], exec, s[8:9]
	s_cbranch_execz .LBB480_2033
; %bb.1818:
	v_bfe_u32 v5, v1, 21, 1
	s_mov_b32 s16, 0x88fffff
	v_add3_u32 v5, v1, v5, s16
	s_mov_b64 s[6:7], exec
	v_lshrrev_b32_e32 v5, 21, v5
	s_andn2_saveexec_b64 s[8:9], s[8:9]
	s_cbranch_execnz .LBB480_2034
.LBB480_1819:
	s_or_b64 exec, exec, s[8:9]
	v_mov_b32_e32 v6, 0
	s_and_saveexec_b64 s[8:9], s[6:7]
.LBB480_1820:
	v_lshrrev_b32_e32 v1, 24, v1
	s_movk_i32 s6, 0x80
	v_and_or_b32 v6, v1, s6, v5
.LBB480_1821:
	s_or_b64 exec, exec, s[8:9]
.LBB480_1822:
	s_or_b64 exec, exec, s[2:3]
	s_mov_b64 s[2:3], 0
	global_store_byte v[2:3], v6, off
.LBB480_1823:
	s_and_b64 vcc, exec, s[2:3]
	s_cbranch_vccz .LBB480_1833
; %bb.1824:
	v_cvt_f32_f16_e32 v1, v4
	s_mov_b32 s2, 0x43f00000
                                        ; implicit-def: $vgpr5
	v_and_b32_e32 v6, 0x7fffffff, v1
	v_cmp_gt_u32_e32 vcc, s2, v6
	s_and_saveexec_b64 s[2:3], vcc
	s_xor_b64 s[2:3], exec, s[2:3]
	s_cbranch_execz .LBB480_1830
; %bb.1825:
	s_mov_b32 s6, 0x3c7fffff
	v_cmp_lt_u32_e32 vcc, s6, v6
                                        ; implicit-def: $vgpr5
	s_and_saveexec_b64 s[6:7], vcc
	s_xor_b64 s[6:7], exec, s[6:7]
; %bb.1826:
	v_bfe_u32 v5, v1, 20, 1
	s_mov_b32 s8, 0x407ffff
	v_add3_u32 v5, v1, v5, s8
	v_lshrrev_b32_e32 v6, 20, v5
	v_and_b32_e32 v5, 0xff00000, v5
	s_mov_b32 s8, 0x7f00000
	v_mov_b32_e32 v7, 0x7e
	v_cmp_ne_u32_e32 vcc, s8, v5
	s_nop 1
	v_cndmask_b32_e32 v5, v7, v6, vcc
; %bb.1827:
	s_andn2_saveexec_b64 s[6:7], s[6:7]
; %bb.1828:
	s_mov_b32 s8, 0x46800000
	v_add_f32_e64 v5, |v1|, s8
; %bb.1829:
	s_or_b64 exec, exec, s[6:7]
                                        ; implicit-def: $vgpr6
.LBB480_1830:
	s_andn2_saveexec_b64 s[2:3], s[2:3]
; %bb.1831:
	s_mov_b32 s6, 0x7f800000
	v_mov_b32_e32 v5, 0x7e
	v_mov_b32_e32 v7, 0x7f
	v_cmp_lt_u32_e32 vcc, s6, v6
	s_nop 1
	v_cndmask_b32_e32 v5, v5, v7, vcc
; %bb.1832:
	s_or_b64 exec, exec, s[2:3]
	v_lshrrev_b32_e32 v1, 24, v1
	s_movk_i32 s2, 0x80
	v_and_or_b32 v1, v1, s2, v5
	global_store_byte v[2:3], v1, off
.LBB480_1833:
	s_mov_b64 s[2:3], 0
.LBB480_1834:
	s_andn2_b64 vcc, exec, s[2:3]
	s_cbranch_vccnz .LBB480_1844
; %bb.1835:
	v_cvt_f32_f16_e32 v1, v4
	s_mov_b32 s2, 0x47800000
                                        ; implicit-def: $vgpr5
	v_and_b32_e32 v6, 0x7fffffff, v1
	v_cmp_gt_u32_e32 vcc, s2, v6
	s_and_saveexec_b64 s[2:3], vcc
	s_xor_b64 s[2:3], exec, s[2:3]
	s_cbranch_execz .LBB480_1841
; %bb.1836:
	s_mov_b32 s6, 0x387fffff
	v_cmp_lt_u32_e32 vcc, s6, v6
                                        ; implicit-def: $vgpr5
	s_and_saveexec_b64 s[6:7], vcc
	s_xor_b64 s[6:7], exec, s[6:7]
; %bb.1837:
	v_bfe_u32 v5, v1, 21, 1
	s_mov_b32 s8, 0x80fffff
	v_add3_u32 v5, v1, v5, s8
	v_lshrrev_b32_e32 v5, 21, v5
; %bb.1838:
	s_andn2_saveexec_b64 s[6:7], s[6:7]
; %bb.1839:
	s_mov_b32 s8, 0x43000000
	v_add_f32_e64 v5, |v1|, s8
; %bb.1840:
	s_or_b64 exec, exec, s[6:7]
                                        ; implicit-def: $vgpr6
.LBB480_1841:
	s_andn2_saveexec_b64 s[2:3], s[2:3]
; %bb.1842:
	s_mov_b32 s6, 0x7f800000
	v_mov_b32_e32 v5, 0x7c
	v_mov_b32_e32 v7, 0x7f
	v_cmp_lt_u32_e32 vcc, s6, v6
	s_nop 1
	v_cndmask_b32_e32 v5, v5, v7, vcc
; %bb.1843:
	s_or_b64 exec, exec, s[2:3]
	v_lshrrev_b32_e32 v1, 24, v1
	s_movk_i32 s2, 0x80
	v_and_or_b32 v1, v1, s2, v5
	global_store_byte v[2:3], v1, off
.LBB480_1844:
	s_mov_b64 s[2:3], 0
	s_mov_b64 s[6:7], -1
.LBB480_1845:
	s_andn2_b64 vcc, exec, s[2:3]
	s_mov_b64 s[2:3], 0
	s_cbranch_vccnz .LBB480_1852
; %bb.1846:
	s_cmp_gt_i32 s19, 14
	s_mov_b64 s[8:9], -1
	s_cbranch_scc0 .LBB480_1850
; %bb.1847:
	s_cmp_eq_u32 s19, 15
	s_mov_b64 s[0:1], -1
	s_cbranch_scc0 .LBB480_1849
; %bb.1848:
	v_cvt_f32_f16_e32 v1, v4
	s_movk_i32 s0, 0x7fff
	v_cmp_o_f16_e32 vcc, v4, v4
	v_mov_b32_e32 v5, 0x7fc0
	v_bfe_u32 v6, v1, 16, 1
	v_add3_u32 v1, v1, v6, s0
	v_cndmask_b32_sdwa v1, v5, v1, vcc dst_sel:DWORD dst_unused:UNUSED_PAD src0_sel:DWORD src1_sel:WORD_1
	global_store_short v[2:3], v1, off
	s_mov_b64 s[0:1], 0
	s_mov_b64 s[6:7], -1
.LBB480_1849:
	s_mov_b64 s[8:9], 0
.LBB480_1850:
	s_and_b64 vcc, exec, s[8:9]
	s_cbranch_vccz .LBB480_1852
; %bb.1851:
	s_cmp_lg_u32 s19, 11
	s_mov_b64 s[2:3], -1
	s_cselect_b64 s[0:1], -1, 0
.LBB480_1852:
	s_and_b64 vcc, exec, s[0:1]
	s_cbranch_vccnz .LBB480_2032
; %bb.1853:
	s_andn2_b64 vcc, exec, s[2:3]
	s_cbranch_vccnz .LBB480_1855
.LBB480_1854:
	v_and_b32_e32 v1, 0x7fff, v4
	v_cmp_ne_u16_e32 vcc, 0, v1
	s_mov_b64 s[6:7], -1
	s_nop 0
	v_cndmask_b32_e64 v1, 0, 1, vcc
	global_store_byte v[2:3], v1, off
.LBB480_1855:
	s_mov_b64 s[0:1], 0
	s_branch .LBB480_1857
.LBB480_1856:
	s_mov_b64 s[0:1], -1
	s_mov_b64 s[6:7], 0
.LBB480_1857:
	s_and_b64 vcc, exec, s[0:1]
	s_cbranch_vccz .LBB480_1896
; %bb.1858:
	s_and_b32 s2, 0xffff, s20
	s_cmp_lt_i32 s2, 5
	s_mov_b64 s[0:1], -1
	s_cbranch_scc1 .LBB480_1879
; %bb.1859:
	s_cmp_lt_i32 s2, 8
	s_cbranch_scc1 .LBB480_1869
; %bb.1860:
	s_cmp_lt_i32 s2, 9
	s_cbranch_scc1 .LBB480_1866
; %bb.1861:
	s_cmp_gt_i32 s2, 9
	s_cbranch_scc0 .LBB480_1863
; %bb.1862:
	v_cvt_f32_f16_e32 v1, v4
	v_mov_b32_e32 v12, 0
	v_mov_b32_e32 v13, v12
	s_mov_b64 s[0:1], 0
	v_cvt_f64_f32_e32 v[10:11], v1
	global_store_dwordx4 v[2:3], v[10:13], off
.LBB480_1863:
	s_andn2_b64 vcc, exec, s[0:1]
	s_cbranch_vccnz .LBB480_1865
; %bb.1864:
	v_cvt_f32_f16_e32 v6, v4
	v_mov_b32_e32 v7, 0
	global_store_dwordx2 v[2:3], v[6:7], off
.LBB480_1865:
	s_mov_b64 s[0:1], 0
.LBB480_1866:
	s_andn2_b64 vcc, exec, s[0:1]
	s_cbranch_vccnz .LBB480_1868
; %bb.1867:
	v_and_b32_e32 v1, 0xffff, v4
	global_store_dword v[2:3], v1, off
.LBB480_1868:
	s_mov_b64 s[0:1], 0
.LBB480_1869:
	s_andn2_b64 vcc, exec, s[0:1]
	s_cbranch_vccnz .LBB480_1878
; %bb.1870:
	s_cmp_lt_i32 s2, 6
	s_mov_b64 s[0:1], -1
	s_cbranch_scc1 .LBB480_1876
; %bb.1871:
	s_cmp_gt_i32 s2, 6
	s_cbranch_scc0 .LBB480_1873
; %bb.1872:
	v_cvt_f32_f16_e32 v1, v4
	s_mov_b64 s[0:1], 0
	v_cvt_f64_f32_e32 v[6:7], v1
	global_store_dwordx2 v[2:3], v[6:7], off
.LBB480_1873:
	s_andn2_b64 vcc, exec, s[0:1]
	s_cbranch_vccnz .LBB480_1875
; %bb.1874:
	v_cvt_f32_f16_e32 v1, v4
	global_store_dword v[2:3], v1, off
.LBB480_1875:
	s_mov_b64 s[0:1], 0
.LBB480_1876:
	s_andn2_b64 vcc, exec, s[0:1]
	s_cbranch_vccnz .LBB480_1878
; %bb.1877:
	global_store_short v[2:3], v4, off
.LBB480_1878:
	s_mov_b64 s[0:1], 0
.LBB480_1879:
	s_andn2_b64 vcc, exec, s[0:1]
	s_cbranch_vccnz .LBB480_1895
; %bb.1880:
	s_cmp_lt_i32 s2, 2
	s_mov_b64 s[0:1], -1
	s_cbranch_scc1 .LBB480_1890
; %bb.1881:
	s_cmp_lt_i32 s2, 3
	s_cbranch_scc1 .LBB480_1887
; %bb.1882:
	s_cmp_gt_i32 s2, 3
	s_cbranch_scc0 .LBB480_1884
; %bb.1883:
	v_cvt_f32_f16_e32 v1, v4
	s_mov_b64 s[0:1], 0
	v_cvt_i32_f32_e32 v6, v1
	v_ashrrev_i32_e32 v7, 31, v6
	global_store_dwordx2 v[2:3], v[6:7], off
.LBB480_1884:
	s_andn2_b64 vcc, exec, s[0:1]
	s_cbranch_vccnz .LBB480_1886
; %bb.1885:
	v_cvt_f32_f16_e32 v1, v4
	v_cvt_i32_f32_e32 v1, v1
	global_store_dword v[2:3], v1, off
.LBB480_1886:
	s_mov_b64 s[0:1], 0
.LBB480_1887:
	s_andn2_b64 vcc, exec, s[0:1]
	s_cbranch_vccnz .LBB480_1889
; %bb.1888:
	v_cvt_i16_f16_e32 v1, v4
	global_store_short v[2:3], v1, off
.LBB480_1889:
	s_mov_b64 s[0:1], 0
.LBB480_1890:
	s_andn2_b64 vcc, exec, s[0:1]
	s_cbranch_vccnz .LBB480_1895
; %bb.1891:
	s_cmp_gt_i32 s2, 0
	s_mov_b64 s[0:1], -1
	s_cbranch_scc0 .LBB480_1893
; %bb.1892:
	v_cvt_i16_f16_e32 v1, v4
	global_store_byte v[2:3], v1, off
	s_mov_b64 s[0:1], 0
.LBB480_1893:
	s_andn2_b64 vcc, exec, s[0:1]
	s_cbranch_vccnz .LBB480_1895
; %bb.1894:
	v_cvt_f32_f16_e32 v1, v4
	v_cvt_i32_f32_e32 v1, v1
	global_store_byte v[2:3], v1, off
.LBB480_1895:
	s_mov_b64 s[6:7], -1
.LBB480_1896:
	s_andn2_b64 vcc, exec, s[6:7]
	s_cbranch_vccnz .LBB480_1973
; %bb.1897:
	v_cmp_u_f16_e32 vcc, v8, v8
	v_cmp_gt_f16_e64 s[0:1], s33, v8
	v_mov_b32_e32 v1, s33
	s_or_b64 vcc, vcc, s[0:1]
	v_add_u32_e32 v0, s18, v0
	v_cndmask_b32_e32 v2, v1, v8, vcc
	v_ashrrev_i32_e32 v1, 31, v0
	s_cmp_lt_i32 s20, 11
	v_lshl_add_u64 v[0:1], s[4:5], 0, v[0:1]
	s_cbranch_scc1 .LBB480_2018
; %bb.1898:
	s_and_b32 s16, 0xffff, s20
	s_mov_b64 s[4:5], -1
	s_mov_b64 s[2:3], 0
	s_cmp_gt_i32 s16, 25
	s_mov_b64 s[0:1], 0
	s_cbranch_scc0 .LBB480_1931
; %bb.1899:
	s_cmp_gt_i32 s16, 28
	s_cbranch_scc0 .LBB480_1915
; %bb.1900:
	s_cmp_gt_i32 s16, 43
	;; [unrolled: 3-line block ×3, first 2 shown]
	s_cbranch_scc0 .LBB480_1905
; %bb.1902:
	s_cmp_eq_u32 s16, 46
	s_mov_b64 s[0:1], -1
	s_cbranch_scc0 .LBB480_1904
; %bb.1903:
	v_cvt_f32_f16_e32 v3, v2
	s_movk_i32 s0, 0x7fff
	v_cmp_o_f16_e32 vcc, v2, v2
	v_mov_b32_e32 v4, 0x7fc0
	v_bfe_u32 v5, v3, 16, 1
	v_add3_u32 v3, v3, v5, s0
	v_cndmask_b32_sdwa v3, v4, v3, vcc dst_sel:DWORD dst_unused:UNUSED_PAD src0_sel:DWORD src1_sel:WORD_1
	global_store_dword v[0:1], v3, off
	s_mov_b64 s[0:1], 0
.LBB480_1904:
	s_mov_b64 s[4:5], 0
.LBB480_1905:
	s_and_b64 vcc, exec, s[4:5]
	s_cbranch_vccz .LBB480_1910
; %bb.1906:
	s_cmp_eq_u32 s16, 44
	s_mov_b64 s[0:1], -1
	s_cbranch_scc0 .LBB480_1910
; %bb.1907:
	v_cvt_f32_f16_e32 v3, v2
	s_movk_i32 s0, 0xff
	v_mov_b32_e32 v5, 0xff
	v_bfe_u32 v4, v3, 23, 8
	v_cmp_ne_u32_e32 vcc, s0, v4
	s_and_saveexec_b64 s[4:5], vcc
; %bb.1908:
	s_mov_b32 s0, 0x3fffff
	v_lshrrev_b32_e32 v5, 23, v3
	v_and_b32_e32 v6, 0x400000, v3
	v_and_or_b32 v3, v3, s0, v4
	v_cmp_ne_u32_e32 vcc, 0, v6
	v_cmp_ne_u32_e64 s[0:1], 0, v3
	s_and_b64 s[0:1], vcc, s[0:1]
	s_nop 0
	v_cndmask_b32_e64 v3, 0, 1, s[0:1]
	v_add_u32_e32 v5, v5, v3
; %bb.1909:
	s_or_b64 exec, exec, s[4:5]
	s_mov_b64 s[0:1], 0
	global_store_byte v[0:1], v5, off
.LBB480_1910:
	s_mov_b64 s[4:5], 0
.LBB480_1911:
	s_and_b64 vcc, exec, s[4:5]
	s_cbranch_vccz .LBB480_1914
; %bb.1912:
	s_cmp_eq_u32 s16, 29
	s_mov_b64 s[0:1], -1
	s_cbranch_scc0 .LBB480_1914
; %bb.1913:
	v_cvt_f32_f16_e32 v3, v2
	v_mov_b32_e32 v5, 0
	s_mov_b64 s[0:1], 0
	v_cvt_u32_f32_e32 v4, v3
	global_store_dwordx2 v[0:1], v[4:5], off
.LBB480_1914:
	s_mov_b64 s[4:5], 0
.LBB480_1915:
	s_and_b64 vcc, exec, s[4:5]
	s_cbranch_vccz .LBB480_1930
; %bb.1916:
	s_cmp_lt_i32 s16, 27
	s_mov_b64 s[4:5], -1
	s_cbranch_scc1 .LBB480_1922
; %bb.1917:
	s_cmp_gt_i32 s16, 27
	s_cbranch_scc0 .LBB480_1919
; %bb.1918:
	v_cvt_f32_f16_e32 v3, v2
	s_mov_b64 s[4:5], 0
	v_cvt_u32_f32_e32 v3, v3
	global_store_dword v[0:1], v3, off
.LBB480_1919:
	s_andn2_b64 vcc, exec, s[4:5]
	s_cbranch_vccnz .LBB480_1921
; %bb.1920:
	v_cvt_u16_f16_e32 v3, v2
	global_store_short v[0:1], v3, off
.LBB480_1921:
	s_mov_b64 s[4:5], 0
.LBB480_1922:
	s_andn2_b64 vcc, exec, s[4:5]
	s_cbranch_vccnz .LBB480_1930
; %bb.1923:
	v_cvt_f32_f16_e32 v3, v2
	s_mov_b32 s4, 0x43800000
	v_mov_b32_e32 v5, 0x80
	v_and_b32_e32 v4, 0x7fffffff, v3
	v_cmp_gt_u32_e32 vcc, s4, v4
	s_and_saveexec_b64 s[4:5], vcc
	s_cbranch_execz .LBB480_1929
; %bb.1924:
	s_mov_b32 s6, 0x3bffffff
	v_cmp_lt_u32_e32 vcc, s6, v4
	s_mov_b64 s[6:7], 0
                                        ; implicit-def: $vgpr4
	s_and_saveexec_b64 s[8:9], vcc
	s_xor_b64 s[8:9], exec, s[8:9]
	s_cbranch_execz .LBB480_2035
; %bb.1925:
	v_bfe_u32 v4, v3, 20, 1
	s_mov_b32 s17, 0x487ffff
	v_add3_u32 v4, v3, v4, s17
	s_mov_b64 s[6:7], exec
	v_lshrrev_b32_e32 v4, 20, v4
	s_andn2_saveexec_b64 s[8:9], s[8:9]
	s_cbranch_execnz .LBB480_2036
.LBB480_1926:
	s_or_b64 exec, exec, s[8:9]
	v_mov_b32_e32 v5, 0
	s_and_saveexec_b64 s[8:9], s[6:7]
.LBB480_1927:
	v_lshrrev_b32_e32 v3, 24, v3
	s_movk_i32 s6, 0x80
	v_and_or_b32 v5, v3, s6, v4
.LBB480_1928:
	s_or_b64 exec, exec, s[8:9]
.LBB480_1929:
	s_or_b64 exec, exec, s[4:5]
	global_store_byte v[0:1], v5, off
.LBB480_1930:
	s_mov_b64 s[4:5], 0
.LBB480_1931:
	s_and_b64 vcc, exec, s[4:5]
	s_cbranch_vccz .LBB480_1971
; %bb.1932:
	s_cmp_gt_i32 s16, 22
	s_mov_b64 s[2:3], -1
	s_cbranch_scc0 .LBB480_1964
; %bb.1933:
	s_cmp_lt_i32 s16, 24
	s_cbranch_scc1 .LBB480_1953
; %bb.1934:
	s_cmp_gt_i32 s16, 24
	s_cbranch_scc0 .LBB480_1942
; %bb.1935:
	v_cvt_f32_f16_e32 v3, v2
	s_mov_b32 s2, 0x47800000
	v_mov_b32_e32 v5, 0x80
	v_and_b32_e32 v4, 0x7fffffff, v3
	v_cmp_gt_u32_e32 vcc, s2, v4
	s_and_saveexec_b64 s[2:3], vcc
	s_cbranch_execz .LBB480_1941
; %bb.1936:
	s_mov_b32 s4, 0x37ffffff
	v_cmp_lt_u32_e32 vcc, s4, v4
	s_mov_b64 s[4:5], 0
                                        ; implicit-def: $vgpr4
	s_and_saveexec_b64 s[6:7], vcc
	s_xor_b64 s[6:7], exec, s[6:7]
	s_cbranch_execz .LBB480_2038
; %bb.1937:
	v_bfe_u32 v4, v3, 21, 1
	s_mov_b32 s8, 0x88fffff
	v_add3_u32 v4, v3, v4, s8
	s_mov_b64 s[4:5], exec
	v_lshrrev_b32_e32 v4, 21, v4
	s_andn2_saveexec_b64 s[6:7], s[6:7]
	s_cbranch_execnz .LBB480_2039
.LBB480_1938:
	s_or_b64 exec, exec, s[6:7]
	v_mov_b32_e32 v5, 0
	s_and_saveexec_b64 s[6:7], s[4:5]
.LBB480_1939:
	v_lshrrev_b32_e32 v3, 24, v3
	s_movk_i32 s4, 0x80
	v_and_or_b32 v5, v3, s4, v4
.LBB480_1940:
	s_or_b64 exec, exec, s[6:7]
.LBB480_1941:
	s_or_b64 exec, exec, s[2:3]
	s_mov_b64 s[2:3], 0
	global_store_byte v[0:1], v5, off
.LBB480_1942:
	s_and_b64 vcc, exec, s[2:3]
	s_cbranch_vccz .LBB480_1952
; %bb.1943:
	v_cvt_f32_f16_e32 v3, v2
	s_mov_b32 s2, 0x43f00000
                                        ; implicit-def: $vgpr4
	v_and_b32_e32 v5, 0x7fffffff, v3
	v_cmp_gt_u32_e32 vcc, s2, v5
	s_and_saveexec_b64 s[2:3], vcc
	s_xor_b64 s[2:3], exec, s[2:3]
	s_cbranch_execz .LBB480_1949
; %bb.1944:
	s_mov_b32 s4, 0x3c7fffff
	v_cmp_lt_u32_e32 vcc, s4, v5
                                        ; implicit-def: $vgpr4
	s_and_saveexec_b64 s[4:5], vcc
	s_xor_b64 s[4:5], exec, s[4:5]
; %bb.1945:
	v_bfe_u32 v4, v3, 20, 1
	s_mov_b32 s6, 0x407ffff
	v_add3_u32 v4, v3, v4, s6
	v_lshrrev_b32_e32 v5, 20, v4
	v_and_b32_e32 v4, 0xff00000, v4
	s_mov_b32 s6, 0x7f00000
	v_mov_b32_e32 v6, 0x7e
	v_cmp_ne_u32_e32 vcc, s6, v4
	s_nop 1
	v_cndmask_b32_e32 v4, v6, v5, vcc
; %bb.1946:
	s_andn2_saveexec_b64 s[4:5], s[4:5]
; %bb.1947:
	s_mov_b32 s6, 0x46800000
	v_add_f32_e64 v4, |v3|, s6
; %bb.1948:
	s_or_b64 exec, exec, s[4:5]
                                        ; implicit-def: $vgpr5
.LBB480_1949:
	s_andn2_saveexec_b64 s[2:3], s[2:3]
; %bb.1950:
	s_mov_b32 s4, 0x7f800000
	v_mov_b32_e32 v4, 0x7e
	v_mov_b32_e32 v6, 0x7f
	v_cmp_lt_u32_e32 vcc, s4, v5
	s_nop 1
	v_cndmask_b32_e32 v4, v4, v6, vcc
; %bb.1951:
	s_or_b64 exec, exec, s[2:3]
	v_lshrrev_b32_e32 v3, 24, v3
	s_movk_i32 s2, 0x80
	v_and_or_b32 v3, v3, s2, v4
	global_store_byte v[0:1], v3, off
.LBB480_1952:
	s_mov_b64 s[2:3], 0
.LBB480_1953:
	s_andn2_b64 vcc, exec, s[2:3]
	s_cbranch_vccnz .LBB480_1963
; %bb.1954:
	v_cvt_f32_f16_e32 v3, v2
	s_mov_b32 s2, 0x47800000
                                        ; implicit-def: $vgpr4
	v_and_b32_e32 v5, 0x7fffffff, v3
	v_cmp_gt_u32_e32 vcc, s2, v5
	s_and_saveexec_b64 s[2:3], vcc
	s_xor_b64 s[2:3], exec, s[2:3]
	s_cbranch_execz .LBB480_1960
; %bb.1955:
	s_mov_b32 s4, 0x387fffff
	v_cmp_lt_u32_e32 vcc, s4, v5
                                        ; implicit-def: $vgpr4
	s_and_saveexec_b64 s[4:5], vcc
	s_xor_b64 s[4:5], exec, s[4:5]
; %bb.1956:
	v_bfe_u32 v4, v3, 21, 1
	s_mov_b32 s6, 0x80fffff
	v_add3_u32 v4, v3, v4, s6
	v_lshrrev_b32_e32 v4, 21, v4
; %bb.1957:
	s_andn2_saveexec_b64 s[4:5], s[4:5]
; %bb.1958:
	s_mov_b32 s6, 0x43000000
	v_add_f32_e64 v4, |v3|, s6
; %bb.1959:
	s_or_b64 exec, exec, s[4:5]
                                        ; implicit-def: $vgpr5
.LBB480_1960:
	s_andn2_saveexec_b64 s[2:3], s[2:3]
; %bb.1961:
	s_mov_b32 s4, 0x7f800000
	v_mov_b32_e32 v4, 0x7c
	v_mov_b32_e32 v6, 0x7f
	v_cmp_lt_u32_e32 vcc, s4, v5
	s_nop 1
	v_cndmask_b32_e32 v4, v4, v6, vcc
; %bb.1962:
	s_or_b64 exec, exec, s[2:3]
	v_lshrrev_b32_e32 v3, 24, v3
	s_movk_i32 s2, 0x80
	v_and_or_b32 v3, v3, s2, v4
	global_store_byte v[0:1], v3, off
.LBB480_1963:
	s_mov_b64 s[2:3], 0
.LBB480_1964:
	s_andn2_b64 vcc, exec, s[2:3]
	s_mov_b64 s[2:3], 0
	s_cbranch_vccnz .LBB480_1971
; %bb.1965:
	s_cmp_gt_i32 s16, 14
	s_mov_b64 s[4:5], -1
	s_cbranch_scc0 .LBB480_1969
; %bb.1966:
	s_cmp_eq_u32 s16, 15
	s_mov_b64 s[0:1], -1
	s_cbranch_scc0 .LBB480_1968
; %bb.1967:
	v_cvt_f32_f16_e32 v3, v2
	s_movk_i32 s0, 0x7fff
	v_cmp_o_f16_e32 vcc, v2, v2
	v_mov_b32_e32 v4, 0x7fc0
	v_bfe_u32 v5, v3, 16, 1
	v_add3_u32 v3, v3, v5, s0
	v_cndmask_b32_sdwa v3, v4, v3, vcc dst_sel:DWORD dst_unused:UNUSED_PAD src0_sel:DWORD src1_sel:WORD_1
	global_store_short v[0:1], v3, off
	s_mov_b64 s[0:1], 0
.LBB480_1968:
	s_mov_b64 s[4:5], 0
.LBB480_1969:
	s_and_b64 vcc, exec, s[4:5]
	s_cbranch_vccz .LBB480_1971
; %bb.1970:
	s_cmp_lg_u32 s16, 11
	s_mov_b64 s[2:3], -1
	s_cselect_b64 s[0:1], -1, 0
.LBB480_1971:
	s_and_b64 vcc, exec, s[0:1]
	s_cbranch_vccnz .LBB480_2037
.LBB480_1972:
	s_mov_b64 s[0:1], 0
	s_branch .LBB480_1974
.LBB480_1973:
	s_mov_b64 s[0:1], 0
	s_mov_b64 s[2:3], 0
                                        ; implicit-def: $sgpr20
                                        ; implicit-def: $vgpr0_vgpr1
                                        ; implicit-def: $vgpr2
.LBB480_1974:
	s_andn2_b64 s[4:5], s[12:13], exec
	s_and_b64 s[6:7], s[14:15], exec
	s_and_b64 s[0:1], s[0:1], exec
	;; [unrolled: 1-line block ×3, first 2 shown]
	s_or_b64 s[12:13], s[4:5], s[6:7]
.LBB480_1975:
	s_or_b64 exec, exec, s[10:11]
	s_and_saveexec_b64 s[4:5], s[12:13]
	s_cbranch_execz .LBB480_1978
; %bb.1976:
	; divergent unreachable
	s_or_b64 exec, exec, s[4:5]
	s_and_saveexec_b64 s[4:5], s[2:3]
	s_xor_b64 s[2:3], exec, s[4:5]
	s_cbranch_execnz .LBB480_1979
.LBB480_1977:
	s_or_b64 exec, exec, s[2:3]
	s_and_saveexec_b64 s[2:3], s[0:1]
	s_cbranch_execnz .LBB480_1980
	s_branch .LBB480_2017
.LBB480_1978:
	s_or_b64 exec, exec, s[4:5]
	s_and_saveexec_b64 s[4:5], s[2:3]
	s_xor_b64 s[2:3], exec, s[4:5]
	s_cbranch_execz .LBB480_1977
.LBB480_1979:
	s_waitcnt vmcnt(0)
	v_and_b32_e32 v3, 0x7fff, v2
	v_cmp_ne_u16_e32 vcc, 0, v3
	s_nop 1
	v_cndmask_b32_e64 v3, 0, 1, vcc
	global_store_byte v[0:1], v3, off
	s_or_b64 exec, exec, s[2:3]
	s_and_saveexec_b64 s[2:3], s[0:1]
	s_cbranch_execz .LBB480_2017
.LBB480_1980:
	s_sext_i32_i16 s2, s20
	s_cmp_lt_i32 s2, 5
	s_mov_b64 s[0:1], -1
	s_cbranch_scc1 .LBB480_2001
; %bb.1981:
	s_cmp_lt_i32 s2, 8
	s_cbranch_scc1 .LBB480_1991
; %bb.1982:
	s_cmp_lt_i32 s2, 9
	s_cbranch_scc1 .LBB480_1988
; %bb.1983:
	s_cmp_gt_i32 s2, 9
	s_cbranch_scc0 .LBB480_1985
; %bb.1984:
	s_waitcnt vmcnt(0)
	v_cvt_f32_f16_e32 v3, v2
	v_mov_b32_e32 v6, 0
	v_mov_b32_e32 v7, v6
	s_mov_b64 s[0:1], 0
	v_cvt_f64_f32_e32 v[4:5], v3
	global_store_dwordx4 v[0:1], v[4:7], off
.LBB480_1985:
	s_andn2_b64 vcc, exec, s[0:1]
	s_cbranch_vccnz .LBB480_1987
; %bb.1986:
	s_waitcnt vmcnt(0)
	v_cvt_f32_f16_e32 v4, v2
	v_mov_b32_e32 v5, 0
	global_store_dwordx2 v[0:1], v[4:5], off
.LBB480_1987:
	s_mov_b64 s[0:1], 0
.LBB480_1988:
	s_andn2_b64 vcc, exec, s[0:1]
	s_cbranch_vccnz .LBB480_1990
; %bb.1989:
	s_waitcnt vmcnt(0)
	v_and_b32_e32 v3, 0xffff, v2
	global_store_dword v[0:1], v3, off
.LBB480_1990:
	s_mov_b64 s[0:1], 0
.LBB480_1991:
	s_andn2_b64 vcc, exec, s[0:1]
	s_cbranch_vccnz .LBB480_2000
; %bb.1992:
	s_sext_i32_i16 s2, s20
	s_cmp_lt_i32 s2, 6
	s_mov_b64 s[0:1], -1
	s_cbranch_scc1 .LBB480_1998
; %bb.1993:
	s_cmp_gt_i32 s2, 6
	s_cbranch_scc0 .LBB480_1995
; %bb.1994:
	s_waitcnt vmcnt(0)
	v_cvt_f32_f16_e32 v3, v2
	s_mov_b64 s[0:1], 0
	v_cvt_f64_f32_e32 v[4:5], v3
	global_store_dwordx2 v[0:1], v[4:5], off
.LBB480_1995:
	s_andn2_b64 vcc, exec, s[0:1]
	s_cbranch_vccnz .LBB480_1997
; %bb.1996:
	s_waitcnt vmcnt(0)
	v_cvt_f32_f16_e32 v3, v2
	global_store_dword v[0:1], v3, off
.LBB480_1997:
	s_mov_b64 s[0:1], 0
.LBB480_1998:
	s_andn2_b64 vcc, exec, s[0:1]
	s_cbranch_vccnz .LBB480_2000
; %bb.1999:
	s_waitcnt vmcnt(0)
	global_store_short v[0:1], v2, off
.LBB480_2000:
	s_mov_b64 s[0:1], 0
.LBB480_2001:
	s_andn2_b64 vcc, exec, s[0:1]
	s_cbranch_vccnz .LBB480_2017
; %bb.2002:
	s_sext_i32_i16 s2, s20
	s_cmp_lt_i32 s2, 2
	s_mov_b64 s[0:1], -1
	s_cbranch_scc1 .LBB480_2012
; %bb.2003:
	s_cmp_lt_i32 s2, 3
	s_cbranch_scc1 .LBB480_2009
; %bb.2004:
	s_cmp_gt_i32 s2, 3
	s_cbranch_scc0 .LBB480_2006
; %bb.2005:
	s_waitcnt vmcnt(0)
	v_cvt_f32_f16_e32 v3, v2
	s_mov_b64 s[0:1], 0
	v_cvt_i32_f32_e32 v4, v3
	v_ashrrev_i32_e32 v5, 31, v4
	global_store_dwordx2 v[0:1], v[4:5], off
.LBB480_2006:
	s_andn2_b64 vcc, exec, s[0:1]
	s_cbranch_vccnz .LBB480_2008
; %bb.2007:
	s_waitcnt vmcnt(0)
	v_cvt_f32_f16_e32 v3, v2
	v_cvt_i32_f32_e32 v3, v3
	global_store_dword v[0:1], v3, off
.LBB480_2008:
	s_mov_b64 s[0:1], 0
.LBB480_2009:
	s_andn2_b64 vcc, exec, s[0:1]
	s_cbranch_vccnz .LBB480_2011
; %bb.2010:
	s_waitcnt vmcnt(0)
	v_cvt_i16_f16_e32 v3, v2
	global_store_short v[0:1], v3, off
.LBB480_2011:
	s_mov_b64 s[0:1], 0
.LBB480_2012:
	s_andn2_b64 vcc, exec, s[0:1]
	s_cbranch_vccnz .LBB480_2017
; %bb.2013:
	s_sext_i32_i16 s0, s20
	s_cmp_gt_i32 s0, 0
	s_mov_b64 s[0:1], -1
	s_cbranch_scc0 .LBB480_2015
; %bb.2014:
	s_waitcnt vmcnt(0)
	v_cvt_i16_f16_e32 v3, v2
	global_store_byte v[0:1], v3, off
	s_mov_b64 s[0:1], 0
.LBB480_2015:
	s_andn2_b64 vcc, exec, s[0:1]
	s_cbranch_vccnz .LBB480_2017
; %bb.2016:
	s_waitcnt vmcnt(0)
	v_cvt_f32_f16_e32 v2, v2
	v_cvt_i32_f32_e32 v2, v2
	global_store_byte v[0:1], v2, off
	s_endpgm
.LBB480_2017:
	s_endpgm
.LBB480_2018:
	s_mov_b64 s[2:3], 0
	s_mov_b64 s[0:1], -1
	s_branch .LBB480_1974
.LBB480_2019:
	s_trap 2
	s_or_b64 s[14:15], s[14:15], exec
	s_cbranch_execz .LBB480_1488
	s_branch .LBB480_1489
.LBB480_2020:
	s_andn2_saveexec_b64 s[18:19], s[18:19]
	s_cbranch_execz .LBB480_1568
.LBB480_2021:
	s_mov_b32 s21, 0x46000000
	v_add_f32_e64 v4, |v1|, s21
	v_and_b32_e32 v4, 0xff, v4
	v_cmp_ne_u32_e32 vcc, 0, v4
	s_andn2_b64 s[16:17], s[16:17], exec
	s_and_b64 s[22:23], vcc, exec
	s_or_b64 s[16:17], s[16:17], s[22:23]
	s_or_b64 exec, exec, s[18:19]
	v_mov_b32_e32 v9, 0
	s_and_saveexec_b64 s[18:19], s[16:17]
	s_cbranch_execnz .LBB480_1569
	s_branch .LBB480_1570
.LBB480_2022:
	s_trap 2
	s_or_b64 s[14:15], s[14:15], exec
	s_cbranch_execz .LBB480_1616
	s_branch .LBB480_1617
.LBB480_2023:
	s_andn2_saveexec_b64 s[16:17], s[16:17]
	s_cbranch_execz .LBB480_1581
.LBB480_2024:
	s_mov_b32 s18, 0x42800000
	v_add_f32_e64 v4, |v1|, s18
	v_and_b32_e32 v4, 0xff, v4
	v_cmp_ne_u32_e32 vcc, 0, v4
	s_andn2_b64 s[6:7], s[6:7], exec
	s_and_b64 s[18:19], vcc, exec
	s_or_b64 s[6:7], s[6:7], s[18:19]
	s_or_b64 exec, exec, s[16:17]
	v_mov_b32_e32 v9, 0
	s_and_saveexec_b64 s[16:17], s[6:7]
	s_cbranch_execnz .LBB480_1582
	s_branch .LBB480_1583
.LBB480_2025:
	s_andn2_saveexec_b64 s[16:17], s[16:17]
	s_cbranch_execz .LBB480_1687
.LBB480_2026:
	s_mov_b32 s21, 0x46000000
	v_add_f32_e64 v5, |v1|, s21
	v_and_b32_e32 v5, 0xff, v5
	v_cmp_ne_u32_e32 vcc, 0, v5
	s_andn2_b64 s[8:9], s[8:9], exec
	s_and_b64 s[22:23], vcc, exec
	s_or_b64 s[8:9], s[8:9], s[22:23]
	s_or_b64 exec, exec, s[16:17]
	v_mov_b32_e32 v6, 0
	s_and_saveexec_b64 s[16:17], s[8:9]
	s_cbranch_execnz .LBB480_1688
	s_branch .LBB480_1689
.LBB480_2027:
	s_trap 2
	s_or_b64 s[14:15], s[14:15], exec
	s_cbranch_execz .LBB480_1735
	s_branch .LBB480_1736
.LBB480_2028:
	s_andn2_saveexec_b64 s[8:9], s[8:9]
	s_cbranch_execz .LBB480_1700
.LBB480_2029:
	s_mov_b32 s16, 0x42800000
	v_add_f32_e64 v5, |v1|, s16
	v_and_b32_e32 v5, 0xff, v5
	v_cmp_ne_u32_e32 vcc, 0, v5
	s_andn2_b64 s[6:7], s[6:7], exec
	s_and_b64 s[16:17], vcc, exec
	s_or_b64 s[6:7], s[6:7], s[16:17]
	s_or_b64 exec, exec, s[8:9]
	v_mov_b32_e32 v6, 0
	s_and_saveexec_b64 s[8:9], s[6:7]
	s_cbranch_execnz .LBB480_1701
	s_branch .LBB480_1702
.LBB480_2030:
	s_andn2_saveexec_b64 s[16:17], s[16:17]
	s_cbranch_execz .LBB480_1806
.LBB480_2031:
	s_mov_b32 s21, 0x46000000
	v_add_f32_e64 v5, |v1|, s21
	v_and_b32_e32 v5, 0xff, v5
	v_cmp_ne_u32_e32 vcc, 0, v5
	s_andn2_b64 s[8:9], s[8:9], exec
	s_and_b64 s[22:23], vcc, exec
	s_or_b64 s[8:9], s[8:9], s[22:23]
	s_or_b64 exec, exec, s[16:17]
	v_mov_b32_e32 v6, 0
	s_and_saveexec_b64 s[16:17], s[8:9]
	s_cbranch_execnz .LBB480_1807
	s_branch .LBB480_1808
.LBB480_2032:
	s_trap 2
	s_or_b64 s[14:15], s[14:15], exec
	s_cbranch_execz .LBB480_1854
	s_branch .LBB480_1855
.LBB480_2033:
	s_andn2_saveexec_b64 s[8:9], s[8:9]
	s_cbranch_execz .LBB480_1819
.LBB480_2034:
	s_mov_b32 s16, 0x42800000
	v_add_f32_e64 v5, |v1|, s16
	v_and_b32_e32 v5, 0xff, v5
	v_cmp_ne_u32_e32 vcc, 0, v5
	s_andn2_b64 s[6:7], s[6:7], exec
	s_and_b64 s[16:17], vcc, exec
	s_or_b64 s[6:7], s[6:7], s[16:17]
	s_or_b64 exec, exec, s[8:9]
	v_mov_b32_e32 v6, 0
	s_and_saveexec_b64 s[8:9], s[6:7]
	s_cbranch_execnz .LBB480_1820
	s_branch .LBB480_1821
.LBB480_2035:
	s_andn2_saveexec_b64 s[8:9], s[8:9]
	s_cbranch_execz .LBB480_1926
.LBB480_2036:
	s_mov_b32 s17, 0x46000000
	v_add_f32_e64 v4, |v3|, s17
	v_and_b32_e32 v4, 0xff, v4
	v_cmp_ne_u32_e32 vcc, 0, v4
	s_andn2_b64 s[6:7], s[6:7], exec
	s_and_b64 s[18:19], vcc, exec
	s_or_b64 s[6:7], s[6:7], s[18:19]
	s_or_b64 exec, exec, s[8:9]
	v_mov_b32_e32 v5, 0
	s_and_saveexec_b64 s[8:9], s[6:7]
	s_cbranch_execnz .LBB480_1927
	s_branch .LBB480_1928
.LBB480_2037:
	s_mov_b64 s[2:3], 0
	s_or_b64 s[14:15], s[14:15], exec
	s_trap 2
	s_branch .LBB480_1972
.LBB480_2038:
	s_andn2_saveexec_b64 s[6:7], s[6:7]
	s_cbranch_execz .LBB480_1938
.LBB480_2039:
	s_mov_b32 s8, 0x42800000
	v_add_f32_e64 v4, |v3|, s8
	v_and_b32_e32 v4, 0xff, v4
	v_cmp_ne_u32_e32 vcc, 0, v4
	s_andn2_b64 s[4:5], s[4:5], exec
	s_and_b64 s[8:9], vcc, exec
	s_or_b64 s[4:5], s[4:5], s[8:9]
	s_or_b64 exec, exec, s[6:7]
	v_mov_b32_e32 v5, 0
	s_and_saveexec_b64 s[6:7], s[4:5]
	s_cbranch_execnz .LBB480_1939
	s_branch .LBB480_1940
	.section	.rodata,"a",@progbits
	.p2align	6, 0x0
	.amdhsa_kernel _ZN2at6native32elementwise_kernel_manual_unrollILi128ELi4EZNS0_15gpu_kernel_implIZZZNS0_21clamp_max_kernel_cudaERNS_18TensorIteratorBaseERKN3c106ScalarEENKUlvE_clEvENKUlvE6_clEvEUlNS5_4HalfEE_EEvS4_RKT_EUlibE_EEviT1_
		.amdhsa_group_segment_fixed_size 0
		.amdhsa_private_segment_fixed_size 0
		.amdhsa_kernarg_size 40
		.amdhsa_user_sgpr_count 2
		.amdhsa_user_sgpr_dispatch_ptr 0
		.amdhsa_user_sgpr_queue_ptr 0
		.amdhsa_user_sgpr_kernarg_segment_ptr 1
		.amdhsa_user_sgpr_dispatch_id 0
		.amdhsa_user_sgpr_kernarg_preload_length 0
		.amdhsa_user_sgpr_kernarg_preload_offset 0
		.amdhsa_user_sgpr_private_segment_size 0
		.amdhsa_uses_dynamic_stack 0
		.amdhsa_enable_private_segment 0
		.amdhsa_system_sgpr_workgroup_id_x 1
		.amdhsa_system_sgpr_workgroup_id_y 0
		.amdhsa_system_sgpr_workgroup_id_z 0
		.amdhsa_system_sgpr_workgroup_info 0
		.amdhsa_system_vgpr_workitem_id 0
		.amdhsa_next_free_vgpr 14
		.amdhsa_next_free_sgpr 45
		.amdhsa_accum_offset 16
		.amdhsa_reserve_vcc 1
		.amdhsa_float_round_mode_32 0
		.amdhsa_float_round_mode_16_64 0
		.amdhsa_float_denorm_mode_32 3
		.amdhsa_float_denorm_mode_16_64 3
		.amdhsa_dx10_clamp 1
		.amdhsa_ieee_mode 1
		.amdhsa_fp16_overflow 0
		.amdhsa_tg_split 0
		.amdhsa_exception_fp_ieee_invalid_op 0
		.amdhsa_exception_fp_denorm_src 0
		.amdhsa_exception_fp_ieee_div_zero 0
		.amdhsa_exception_fp_ieee_overflow 0
		.amdhsa_exception_fp_ieee_underflow 0
		.amdhsa_exception_fp_ieee_inexact 0
		.amdhsa_exception_int_div_zero 0
	.end_amdhsa_kernel
	.section	.text._ZN2at6native32elementwise_kernel_manual_unrollILi128ELi4EZNS0_15gpu_kernel_implIZZZNS0_21clamp_max_kernel_cudaERNS_18TensorIteratorBaseERKN3c106ScalarEENKUlvE_clEvENKUlvE6_clEvEUlNS5_4HalfEE_EEvS4_RKT_EUlibE_EEviT1_,"axG",@progbits,_ZN2at6native32elementwise_kernel_manual_unrollILi128ELi4EZNS0_15gpu_kernel_implIZZZNS0_21clamp_max_kernel_cudaERNS_18TensorIteratorBaseERKN3c106ScalarEENKUlvE_clEvENKUlvE6_clEvEUlNS5_4HalfEE_EEvS4_RKT_EUlibE_EEviT1_,comdat
.Lfunc_end480:
	.size	_ZN2at6native32elementwise_kernel_manual_unrollILi128ELi4EZNS0_15gpu_kernel_implIZZZNS0_21clamp_max_kernel_cudaERNS_18TensorIteratorBaseERKN3c106ScalarEENKUlvE_clEvENKUlvE6_clEvEUlNS5_4HalfEE_EEvS4_RKT_EUlibE_EEviT1_, .Lfunc_end480-_ZN2at6native32elementwise_kernel_manual_unrollILi128ELi4EZNS0_15gpu_kernel_implIZZZNS0_21clamp_max_kernel_cudaERNS_18TensorIteratorBaseERKN3c106ScalarEENKUlvE_clEvENKUlvE6_clEvEUlNS5_4HalfEE_EEvS4_RKT_EUlibE_EEviT1_
                                        ; -- End function
	.set _ZN2at6native32elementwise_kernel_manual_unrollILi128ELi4EZNS0_15gpu_kernel_implIZZZNS0_21clamp_max_kernel_cudaERNS_18TensorIteratorBaseERKN3c106ScalarEENKUlvE_clEvENKUlvE6_clEvEUlNS5_4HalfEE_EEvS4_RKT_EUlibE_EEviT1_.num_vgpr, 14
	.set _ZN2at6native32elementwise_kernel_manual_unrollILi128ELi4EZNS0_15gpu_kernel_implIZZZNS0_21clamp_max_kernel_cudaERNS_18TensorIteratorBaseERKN3c106ScalarEENKUlvE_clEvENKUlvE6_clEvEUlNS5_4HalfEE_EEvS4_RKT_EUlibE_EEviT1_.num_agpr, 0
	.set _ZN2at6native32elementwise_kernel_manual_unrollILi128ELi4EZNS0_15gpu_kernel_implIZZZNS0_21clamp_max_kernel_cudaERNS_18TensorIteratorBaseERKN3c106ScalarEENKUlvE_clEvENKUlvE6_clEvEUlNS5_4HalfEE_EEvS4_RKT_EUlibE_EEviT1_.numbered_sgpr, 45
	.set _ZN2at6native32elementwise_kernel_manual_unrollILi128ELi4EZNS0_15gpu_kernel_implIZZZNS0_21clamp_max_kernel_cudaERNS_18TensorIteratorBaseERKN3c106ScalarEENKUlvE_clEvENKUlvE6_clEvEUlNS5_4HalfEE_EEvS4_RKT_EUlibE_EEviT1_.num_named_barrier, 0
	.set _ZN2at6native32elementwise_kernel_manual_unrollILi128ELi4EZNS0_15gpu_kernel_implIZZZNS0_21clamp_max_kernel_cudaERNS_18TensorIteratorBaseERKN3c106ScalarEENKUlvE_clEvENKUlvE6_clEvEUlNS5_4HalfEE_EEvS4_RKT_EUlibE_EEviT1_.private_seg_size, 0
	.set _ZN2at6native32elementwise_kernel_manual_unrollILi128ELi4EZNS0_15gpu_kernel_implIZZZNS0_21clamp_max_kernel_cudaERNS_18TensorIteratorBaseERKN3c106ScalarEENKUlvE_clEvENKUlvE6_clEvEUlNS5_4HalfEE_EEvS4_RKT_EUlibE_EEviT1_.uses_vcc, 1
	.set _ZN2at6native32elementwise_kernel_manual_unrollILi128ELi4EZNS0_15gpu_kernel_implIZZZNS0_21clamp_max_kernel_cudaERNS_18TensorIteratorBaseERKN3c106ScalarEENKUlvE_clEvENKUlvE6_clEvEUlNS5_4HalfEE_EEvS4_RKT_EUlibE_EEviT1_.uses_flat_scratch, 0
	.set _ZN2at6native32elementwise_kernel_manual_unrollILi128ELi4EZNS0_15gpu_kernel_implIZZZNS0_21clamp_max_kernel_cudaERNS_18TensorIteratorBaseERKN3c106ScalarEENKUlvE_clEvENKUlvE6_clEvEUlNS5_4HalfEE_EEvS4_RKT_EUlibE_EEviT1_.has_dyn_sized_stack, 0
	.set _ZN2at6native32elementwise_kernel_manual_unrollILi128ELi4EZNS0_15gpu_kernel_implIZZZNS0_21clamp_max_kernel_cudaERNS_18TensorIteratorBaseERKN3c106ScalarEENKUlvE_clEvENKUlvE6_clEvEUlNS5_4HalfEE_EEvS4_RKT_EUlibE_EEviT1_.has_recursion, 0
	.set _ZN2at6native32elementwise_kernel_manual_unrollILi128ELi4EZNS0_15gpu_kernel_implIZZZNS0_21clamp_max_kernel_cudaERNS_18TensorIteratorBaseERKN3c106ScalarEENKUlvE_clEvENKUlvE6_clEvEUlNS5_4HalfEE_EEvS4_RKT_EUlibE_EEviT1_.has_indirect_call, 0
	.section	.AMDGPU.csdata,"",@progbits
; Kernel info:
; codeLenInByte = 36368
; TotalNumSgprs: 51
; NumVgprs: 14
; NumAgprs: 0
; TotalNumVgprs: 14
; ScratchSize: 0
; MemoryBound: 0
; FloatMode: 240
; IeeeMode: 1
; LDSByteSize: 0 bytes/workgroup (compile time only)
; SGPRBlocks: 6
; VGPRBlocks: 1
; NumSGPRsForWavesPerEU: 51
; NumVGPRsForWavesPerEU: 14
; AccumOffset: 16
; Occupancy: 8
; WaveLimiterHint : 0
; COMPUTE_PGM_RSRC2:SCRATCH_EN: 0
; COMPUTE_PGM_RSRC2:USER_SGPR: 2
; COMPUTE_PGM_RSRC2:TRAP_HANDLER: 0
; COMPUTE_PGM_RSRC2:TGID_X_EN: 1
; COMPUTE_PGM_RSRC2:TGID_Y_EN: 0
; COMPUTE_PGM_RSRC2:TGID_Z_EN: 0
; COMPUTE_PGM_RSRC2:TIDIG_COMP_CNT: 0
; COMPUTE_PGM_RSRC3_GFX90A:ACCUM_OFFSET: 3
; COMPUTE_PGM_RSRC3_GFX90A:TG_SPLIT: 0
	.section	.text._ZN2at6native32elementwise_kernel_manual_unrollILi128ELi4EZNS0_15gpu_kernel_implIZZZNS0_21clamp_max_kernel_cudaERNS_18TensorIteratorBaseERKN3c106ScalarEENKUlvE_clEvENKUlvE6_clEvEUlNS5_4HalfEE_EEvS4_RKT_EUlibE0_EEviT1_,"axG",@progbits,_ZN2at6native32elementwise_kernel_manual_unrollILi128ELi4EZNS0_15gpu_kernel_implIZZZNS0_21clamp_max_kernel_cudaERNS_18TensorIteratorBaseERKN3c106ScalarEENKUlvE_clEvENKUlvE6_clEvEUlNS5_4HalfEE_EEvS4_RKT_EUlibE0_EEviT1_,comdat
	.globl	_ZN2at6native32elementwise_kernel_manual_unrollILi128ELi4EZNS0_15gpu_kernel_implIZZZNS0_21clamp_max_kernel_cudaERNS_18TensorIteratorBaseERKN3c106ScalarEENKUlvE_clEvENKUlvE6_clEvEUlNS5_4HalfEE_EEvS4_RKT_EUlibE0_EEviT1_ ; -- Begin function _ZN2at6native32elementwise_kernel_manual_unrollILi128ELi4EZNS0_15gpu_kernel_implIZZZNS0_21clamp_max_kernel_cudaERNS_18TensorIteratorBaseERKN3c106ScalarEENKUlvE_clEvENKUlvE6_clEvEUlNS5_4HalfEE_EEvS4_RKT_EUlibE0_EEviT1_
	.p2align	8
	.type	_ZN2at6native32elementwise_kernel_manual_unrollILi128ELi4EZNS0_15gpu_kernel_implIZZZNS0_21clamp_max_kernel_cudaERNS_18TensorIteratorBaseERKN3c106ScalarEENKUlvE_clEvENKUlvE6_clEvEUlNS5_4HalfEE_EEvS4_RKT_EUlibE0_EEviT1_,@function
_ZN2at6native32elementwise_kernel_manual_unrollILi128ELi4EZNS0_15gpu_kernel_implIZZZNS0_21clamp_max_kernel_cudaERNS_18TensorIteratorBaseERKN3c106ScalarEENKUlvE_clEvENKUlvE6_clEvEUlNS5_4HalfEE_EEvS4_RKT_EUlibE0_EEviT1_: ; @_ZN2at6native32elementwise_kernel_manual_unrollILi128ELi4EZNS0_15gpu_kernel_implIZZZNS0_21clamp_max_kernel_cudaERNS_18TensorIteratorBaseERKN3c106ScalarEENKUlvE_clEvENKUlvE6_clEvEUlNS5_4HalfEE_EEvS4_RKT_EUlibE0_EEviT1_
; %bb.0:
	s_load_dword s70, s[0:1], 0x0
	s_load_dword s33, s[0:1], 0x8
	s_add_u32 s34, s0, 8
	s_addc_u32 s35, s1, 0
	v_lshl_or_b32 v8, s2, 9, v0
	v_or_b32_e32 v16, 0x180, v8
	s_waitcnt lgkmcnt(0)
	s_add_i32 s72, s33, -1
	s_cmp_gt_u32 s72, 1
	v_cmp_le_i32_e32 vcc, s70, v16
	s_cselect_b64 s[42:43], -1, 0
	s_mov_b64 s[40:41], 0
	s_mov_b64 s[24:25], 0
	s_and_saveexec_b64 s[2:3], vcc
	s_xor_b64 s[44:45], exec, s[2:3]
	s_cbranch_execz .LBB481_1090
; %bb.1:
	s_load_dwordx4 s[24:27], s[34:35], 0x4
	s_load_dwordx2 s[46:47], s[34:35], 0x14
	s_load_dword s74, s[34:35], 0x158
	s_load_dword s2, s[0:1], 0x160
	s_cmp_lg_u32 s33, 0
	s_load_dwordx4 s[28:31], s[34:35], 0xc4
	s_load_dwordx4 s[20:23], s[34:35], 0x148
	s_cselect_b64 s[52:53], -1, 0
	s_add_u32 s50, s34, 0xc4
	s_addc_u32 s51, s35, 0
	s_min_u32 s76, s72, 15
	s_cmp_gt_u32 s33, 1
	s_cselect_b64 s[48:49], -1, 0
	s_waitcnt lgkmcnt(0)
	s_lshr_b32 s73, s2, 16
	s_lshr_b32 s75, s2, 24
	v_cmp_gt_i32_e32 vcc, s70, v8
	s_mov_b64 s[4:5], -1
	s_mov_b64 s[62:63], 0
	s_mov_b64 s[56:57], 0
	;; [unrolled: 1-line block ×3, first 2 shown]
	s_and_saveexec_b64 s[58:59], vcc
	s_cbranch_execz .LBB481_267
; %bb.2:
	s_andn2_b64 vcc, exec, s[42:43]
	s_cbranch_vccnz .LBB481_8
; %bb.3:
	s_andn2_b64 vcc, exec, s[52:53]
	s_cbranch_vccnz .LBB481_9
; %bb.4:
	s_add_i32 s57, s76, 1
	s_cmp_eq_u32 s72, 2
	s_cbranch_scc1 .LBB481_10
; %bb.5:
	s_and_b32 s56, s57, 28
	s_mov_b32 s60, 0
	v_mov_b32_e32 v0, 0
	v_mov_b32_e32 v2, 0
	s_mov_b64 s[2:3], s[34:35]
	s_mov_b64 s[54:55], s[50:51]
	v_mov_b32_e32 v4, v8
.LBB481_6:                              ; =>This Inner Loop Header: Depth=1
	s_load_dwordx8 s[12:19], s[2:3], 0x4
	s_load_dwordx4 s[36:39], s[2:3], 0x24
	s_load_dwordx8 s[4:11], s[54:55], 0x0
	s_add_u32 s2, s2, 48
	s_addc_u32 s3, s3, 0
	s_waitcnt lgkmcnt(0)
	v_mul_hi_u32 v1, s13, v4
	v_add_u32_e32 v1, v4, v1
	v_lshrrev_b32_e32 v1, s14, v1
	v_mul_lo_u32 v3, v1, s12
	v_mul_hi_u32 v5, s16, v1
	v_sub_u32_e32 v3, v4, v3
	v_add_u32_e32 v4, v1, v5
	v_lshrrev_b32_e32 v4, s17, v4
	v_mul_lo_u32 v6, v4, s15
	v_mul_hi_u32 v7, s19, v4
	v_sub_u32_e32 v1, v1, v6
	v_add_u32_e32 v6, v4, v7
	v_mul_lo_u32 v5, v3, s5
	v_mul_lo_u32 v3, v3, s4
	;; [unrolled: 1-line block ×4, first 2 shown]
	v_lshrrev_b32_e32 v6, s36, v6
	v_add3_u32 v0, v3, v0, v1
	v_mul_hi_u32 v3, s38, v6
	v_add3_u32 v1, v5, v2, v7
	v_mul_lo_u32 v2, v6, s18
	v_add_u32_e32 v3, v6, v3
	v_sub_u32_e32 v2, v4, v2
	v_lshrrev_b32_e32 v4, s39, v3
	s_add_i32 s60, s60, 4
	v_mul_lo_u32 v3, v4, s37
	s_add_u32 s54, s54, 32
	v_sub_u32_e32 v3, v6, v3
	s_addc_u32 s55, s55, 0
	v_mul_lo_u32 v5, v2, s8
	v_mul_lo_u32 v2, v2, s9
	;; [unrolled: 1-line block ×4, first 2 shown]
	s_cmp_lg_u32 s56, s60
	v_add3_u32 v2, v2, v1, v3
	v_add3_u32 v0, v5, v0, v6
	s_cbranch_scc1 .LBB481_6
; %bb.7:
	v_mov_b32_e32 v1, v2
	s_branch .LBB481_11
.LBB481_8:
                                        ; implicit-def: $vgpr2
                                        ; implicit-def: $vgpr0
	s_branch .LBB481_15
.LBB481_9:
	v_mov_b32_e32 v2, 0
	v_mov_b32_e32 v0, 0
	s_branch .LBB481_14
.LBB481_10:
	v_mov_b32_e32 v0, 0
	s_mov_b32 s56, 0
	v_mov_b32_e32 v1, v0
                                        ; implicit-def: $vgpr2
	v_mov_b32_e32 v4, v8
.LBB481_11:
	s_and_b32 s6, s57, 3
	s_cmp_eq_u32 s6, 0
	s_cbranch_scc1 .LBB481_14
; %bb.12:
	s_lshl_b32 s2, s56, 3
	s_add_u32 s2, s34, s2
	s_addc_u32 s3, s35, 0
	s_add_u32 s2, s2, 0xc4
	s_addc_u32 s3, s3, 0
	s_mul_i32 s4, s56, 12
	s_add_u32 s4, s34, s4
	s_addc_u32 s5, s35, 0
.LBB481_13:                             ; =>This Inner Loop Header: Depth=1
	s_load_dwordx2 s[8:9], s[4:5], 0x4
	s_load_dword s7, s[4:5], 0xc
	s_load_dwordx2 s[10:11], s[2:3], 0x0
	v_mov_b32_e32 v2, v1
	s_add_u32 s4, s4, 12
	s_waitcnt lgkmcnt(0)
	v_mul_hi_u32 v1, s9, v4
	v_add_u32_e32 v1, v4, v1
	v_lshrrev_b32_e32 v1, s7, v1
	s_addc_u32 s5, s5, 0
	v_mul_lo_u32 v3, v1, s8
	s_add_u32 s2, s2, 8
	v_sub_u32_e32 v5, v4, v3
	s_addc_u32 s3, s3, 0
	s_add_i32 s6, s6, -1
	v_mov_b32_e32 v4, v1
	v_mad_u64_u32 v[2:3], s[8:9], v5, s11, v[2:3]
	v_mad_u64_u32 v[0:1], s[8:9], v5, s10, v[0:1]
	s_cmp_lg_u32 s6, 0
	v_mov_b32_e32 v1, v2
	s_cbranch_scc1 .LBB481_13
.LBB481_14:
	s_cbranch_execnz .LBB481_17
.LBB481_15:
	v_mul_hi_u32 v0, s25, v8
	v_add_u32_e32 v0, v8, v0
	v_lshrrev_b32_e32 v1, s26, v0
	v_mul_lo_u32 v0, v1, s24
	v_sub_u32_e32 v0, v8, v0
	v_mul_lo_u32 v2, v0, s29
	s_andn2_b64 vcc, exec, s[48:49]
	v_mul_lo_u32 v0, v0, s28
	s_cbranch_vccnz .LBB481_17
; %bb.16:
	v_mul_hi_u32 v3, s46, v1
	v_add_u32_e32 v3, v1, v3
	v_lshrrev_b32_e32 v3, s47, v3
	v_mul_lo_u32 v3, v3, s27
	v_sub_u32_e32 v3, v1, v3
	v_mad_u64_u32 v[0:1], s[2:3], v3, s30, v[0:1]
	v_mad_u64_u32 v[2:3], s[2:3], v3, s31, v[2:3]
.LBB481_17:
	v_mov_b32_e32 v3, 0
	s_and_b32 s10, 0xffff, s75
	s_cmp_lt_i32 s10, 11
	v_lshl_add_u64 v[2:3], s[22:23], 0, v[2:3]
	s_cbranch_scc1 .LBB481_24
; %bb.18:
	s_cmp_gt_i32 s10, 25
	s_cbranch_scc0 .LBB481_33
; %bb.19:
	s_cmp_gt_i32 s10, 28
	s_cbranch_scc0 .LBB481_36
	;; [unrolled: 3-line block ×4, first 2 shown]
; %bb.22:
	s_cmp_eq_u32 s10, 46
	s_mov_b64 s[6:7], 0
	s_cbranch_scc0 .LBB481_42
; %bb.23:
	global_load_dword v1, v[2:3], off
	s_mov_b64 s[2:3], -1
	s_mov_b64 s[4:5], 0
	s_waitcnt vmcnt(0)
	v_lshlrev_b32_e32 v1, 16, v1
	v_cvt_f16_f32_e32 v1, v1
	s_branch .LBB481_44
.LBB481_24:
	s_mov_b64 s[4:5], 0
                                        ; implicit-def: $vgpr1
	s_mov_b64 s[2:3], 0
	s_cbranch_execnz .LBB481_217
.LBB481_25:
	s_andn2_b64 vcc, exec, s[2:3]
	s_cbranch_vccnz .LBB481_264
.LBB481_26:
	s_waitcnt vmcnt(0)
	v_cmp_u_f16_e32 vcc, v1, v1
	v_cmp_gt_f16_e64 s[2:3], s74, v1
	v_mov_b32_e32 v2, s74
	s_or_b64 vcc, vcc, s[2:3]
	v_cndmask_b32_e32 v2, v2, v1, vcc
	v_mov_b32_e32 v1, 0
	s_and_b32 s12, s73, 0xff
	s_cmp_lt_i32 s12, 11
	v_lshl_add_u64 v[0:1], s[20:21], 0, v[0:1]
	s_cbranch_scc1 .LBB481_34
; %bb.27:
	s_and_b32 s13, 0xffff, s12
	s_cmp_gt_i32 s13, 25
	s_cbranch_scc0 .LBB481_37
; %bb.28:
	s_cmp_gt_i32 s13, 28
	s_cbranch_scc0 .LBB481_39
; %bb.29:
	;; [unrolled: 3-line block ×4, first 2 shown]
	s_mov_b64 s[8:9], 0
	s_mov_b64 s[2:3], -1
	s_cmp_eq_u32 s13, 46
	s_mov_b64 s[6:7], 0
	s_cbranch_scc0 .LBB481_48
; %bb.32:
	v_cvt_f32_f16_e32 v3, v2
	s_movk_i32 s2, 0x7fff
	v_cmp_o_f16_e32 vcc, v2, v2
	v_mov_b32_e32 v4, 0x7fc0
	v_bfe_u32 v5, v3, 16, 1
	v_add3_u32 v3, v3, v5, s2
	v_cndmask_b32_sdwa v3, v4, v3, vcc dst_sel:DWORD dst_unused:UNUSED_PAD src0_sel:DWORD src1_sel:WORD_1
	global_store_dword v[0:1], v3, off
	s_mov_b64 s[6:7], -1
	s_mov_b64 s[2:3], 0
	s_branch .LBB481_48
.LBB481_33:
	s_mov_b64 s[4:5], 0
	s_mov_b64 s[2:3], 0
                                        ; implicit-def: $vgpr1
	s_cbranch_execnz .LBB481_182
	s_branch .LBB481_216
.LBB481_34:
	s_mov_b64 s[2:3], 0
	s_mov_b64 s[6:7], 0
	s_cbranch_execnz .LBB481_117
.LBB481_35:
	s_andn2_b64 vcc, exec, s[6:7]
	s_cbranch_vccnz .LBB481_265
	s_branch .LBB481_155
.LBB481_36:
	s_mov_b64 s[6:7], -1
	s_mov_b64 s[4:5], 0
	s_mov_b64 s[2:3], 0
                                        ; implicit-def: $vgpr1
	s_branch .LBB481_163
.LBB481_37:
	s_mov_b64 s[8:9], -1
	s_mov_b64 s[2:3], 0
	s_mov_b64 s[6:7], 0
	s_branch .LBB481_75
.LBB481_38:
	s_mov_b64 s[6:7], -1
	s_mov_b64 s[4:5], 0
	s_mov_b64 s[2:3], 0
                                        ; implicit-def: $vgpr1
	s_branch .LBB481_158
.LBB481_39:
	s_mov_b64 s[8:9], -1
	s_mov_b64 s[2:3], 0
	s_mov_b64 s[6:7], 0
	s_branch .LBB481_58
.LBB481_40:
	s_mov_b64 s[6:7], -1
	s_mov_b64 s[4:5], 0
	s_branch .LBB481_43
.LBB481_41:
	s_mov_b64 s[8:9], -1
	s_mov_b64 s[2:3], 0
	s_mov_b64 s[6:7], 0
	s_branch .LBB481_54
.LBB481_42:
	s_mov_b64 s[4:5], -1
.LBB481_43:
	s_mov_b64 s[2:3], 0
                                        ; implicit-def: $vgpr1
.LBB481_44:
	s_and_b64 vcc, exec, s[6:7]
	s_cbranch_vccz .LBB481_157
; %bb.45:
	s_cmp_eq_u32 s10, 44
	s_cbranch_scc0 .LBB481_156
; %bb.46:
	global_load_ubyte v1, v[2:3], off
	s_movk_i32 s4, 0xff
	v_mov_b32_e32 v5, 0x7e00
	s_mov_b64 s[2:3], -1
	s_waitcnt vmcnt(0)
	v_lshlrev_b32_e32 v4, 23, v1
	v_cvt_f16_f32_e32 v4, v4
	v_cmp_ne_u32_e32 vcc, s4, v1
	s_mov_b64 s[4:5], 0
	s_nop 0
	v_cndmask_b32_e32 v4, v5, v4, vcc
	v_cmp_ne_u32_e32 vcc, 0, v1
	s_nop 1
	v_cndmask_b32_e32 v1, 0, v4, vcc
	s_branch .LBB481_157
.LBB481_47:
	s_mov_b64 s[8:9], -1
	s_mov_b64 s[2:3], 0
	s_mov_b64 s[6:7], 0
.LBB481_48:
	s_and_b64 vcc, exec, s[8:9]
	s_cbranch_vccz .LBB481_53
; %bb.49:
	s_cmp_eq_u32 s13, 44
	s_mov_b64 s[2:3], -1
	s_cbranch_scc0 .LBB481_53
; %bb.50:
	v_cvt_f32_f16_e32 v3, v2
	s_movk_i32 s2, 0xff
	v_mov_b32_e32 v5, 0xff
	v_bfe_u32 v4, v3, 23, 8
	v_cmp_ne_u32_e32 vcc, s2, v4
	s_and_saveexec_b64 s[6:7], vcc
; %bb.51:
	s_mov_b32 s2, 0x3fffff
	v_lshrrev_b32_e32 v5, 23, v3
	v_and_b32_e32 v6, 0x400000, v3
	v_and_or_b32 v3, v3, s2, v4
	v_cmp_ne_u32_e32 vcc, 0, v6
	v_cmp_ne_u32_e64 s[2:3], 0, v3
	s_and_b64 s[2:3], vcc, s[2:3]
	s_nop 0
	v_cndmask_b32_e64 v3, 0, 1, s[2:3]
	v_add_u32_e32 v5, v5, v3
; %bb.52:
	s_or_b64 exec, exec, s[6:7]
	s_mov_b64 s[6:7], -1
	s_mov_b64 s[2:3], 0
	global_store_byte v[0:1], v5, off
.LBB481_53:
	s_mov_b64 s[8:9], 0
.LBB481_54:
	s_and_b64 vcc, exec, s[8:9]
	s_cbranch_vccz .LBB481_57
; %bb.55:
	s_cmp_eq_u32 s13, 29
	s_mov_b64 s[2:3], -1
	s_cbranch_scc0 .LBB481_57
; %bb.56:
	v_cvt_f32_f16_e32 v3, v2
	v_mov_b32_e32 v5, 0
	s_mov_b64 s[6:7], -1
	s_mov_b64 s[2:3], 0
	v_cvt_u32_f32_e32 v4, v3
	s_mov_b64 s[8:9], 0
	global_store_dwordx2 v[0:1], v[4:5], off
	s_branch .LBB481_58
.LBB481_57:
	s_mov_b64 s[8:9], 0
.LBB481_58:
	s_and_b64 vcc, exec, s[8:9]
	s_cbranch_vccz .LBB481_74
; %bb.59:
	s_cmp_lt_i32 s13, 27
	s_mov_b64 s[6:7], -1
	s_cbranch_scc1 .LBB481_65
; %bb.60:
	s_cmp_gt_i32 s13, 27
	s_cbranch_scc0 .LBB481_62
; %bb.61:
	v_cvt_f32_f16_e32 v3, v2
	s_mov_b64 s[6:7], 0
	v_cvt_u32_f32_e32 v3, v3
	global_store_dword v[0:1], v3, off
.LBB481_62:
	s_andn2_b64 vcc, exec, s[6:7]
	s_cbranch_vccnz .LBB481_64
; %bb.63:
	v_cvt_u16_f16_e32 v3, v2
	global_store_short v[0:1], v3, off
.LBB481_64:
	s_mov_b64 s[6:7], 0
.LBB481_65:
	s_andn2_b64 vcc, exec, s[6:7]
	s_cbranch_vccnz .LBB481_73
; %bb.66:
	v_cvt_f32_f16_e32 v3, v2
	s_mov_b32 s6, 0x43800000
	v_mov_b32_e32 v5, 0x80
	v_and_b32_e32 v4, 0x7fffffff, v3
	v_cmp_gt_u32_e32 vcc, s6, v4
	s_and_saveexec_b64 s[6:7], vcc
	s_cbranch_execz .LBB481_72
; %bb.67:
	s_mov_b32 s8, 0x3bffffff
	v_cmp_lt_u32_e32 vcc, s8, v4
	s_mov_b64 s[8:9], 0
                                        ; implicit-def: $vgpr4
	s_and_saveexec_b64 s[10:11], vcc
	s_xor_b64 s[10:11], exec, s[10:11]
	s_cbranch_execz .LBB481_309
; %bb.68:
	v_bfe_u32 v4, v3, 20, 1
	s_mov_b32 s14, 0x487ffff
	v_add3_u32 v4, v3, v4, s14
	s_mov_b64 s[8:9], exec
	v_lshrrev_b32_e32 v4, 20, v4
	s_andn2_saveexec_b64 s[10:11], s[10:11]
	s_cbranch_execnz .LBB481_310
.LBB481_69:
	s_or_b64 exec, exec, s[10:11]
	v_mov_b32_e32 v5, 0
	s_and_saveexec_b64 s[10:11], s[8:9]
.LBB481_70:
	v_lshrrev_b32_e32 v3, 24, v3
	s_movk_i32 s8, 0x80
	v_and_or_b32 v5, v3, s8, v4
.LBB481_71:
	s_or_b64 exec, exec, s[10:11]
.LBB481_72:
	s_or_b64 exec, exec, s[6:7]
	global_store_byte v[0:1], v5, off
.LBB481_73:
	s_mov_b64 s[6:7], -1
.LBB481_74:
	s_mov_b64 s[8:9], 0
.LBB481_75:
	s_and_b64 vcc, exec, s[8:9]
	s_cbranch_vccz .LBB481_116
; %bb.76:
	s_cmp_gt_i32 s13, 22
	s_mov_b64 s[8:9], -1
	s_cbranch_scc0 .LBB481_108
; %bb.77:
	s_cmp_lt_i32 s13, 24
	s_mov_b64 s[6:7], -1
	s_cbranch_scc1 .LBB481_97
; %bb.78:
	s_cmp_gt_i32 s13, 24
	s_cbranch_scc0 .LBB481_86
; %bb.79:
	v_cvt_f32_f16_e32 v3, v2
	s_mov_b32 s6, 0x47800000
	v_mov_b32_e32 v5, 0x80
	v_and_b32_e32 v4, 0x7fffffff, v3
	v_cmp_gt_u32_e32 vcc, s6, v4
	s_and_saveexec_b64 s[6:7], vcc
	s_cbranch_execz .LBB481_85
; %bb.80:
	s_mov_b32 s8, 0x37ffffff
	v_cmp_lt_u32_e32 vcc, s8, v4
	s_mov_b64 s[8:9], 0
                                        ; implicit-def: $vgpr4
	s_and_saveexec_b64 s[10:11], vcc
	s_xor_b64 s[10:11], exec, s[10:11]
	s_cbranch_execz .LBB481_313
; %bb.81:
	v_bfe_u32 v4, v3, 21, 1
	s_mov_b32 s14, 0x88fffff
	v_add3_u32 v4, v3, v4, s14
	s_mov_b64 s[8:9], exec
	v_lshrrev_b32_e32 v4, 21, v4
	s_andn2_saveexec_b64 s[10:11], s[10:11]
	s_cbranch_execnz .LBB481_314
.LBB481_82:
	s_or_b64 exec, exec, s[10:11]
	v_mov_b32_e32 v5, 0
	s_and_saveexec_b64 s[10:11], s[8:9]
.LBB481_83:
	v_lshrrev_b32_e32 v3, 24, v3
	s_movk_i32 s8, 0x80
	v_and_or_b32 v5, v3, s8, v4
.LBB481_84:
	s_or_b64 exec, exec, s[10:11]
.LBB481_85:
	s_or_b64 exec, exec, s[6:7]
	s_mov_b64 s[6:7], 0
	global_store_byte v[0:1], v5, off
.LBB481_86:
	s_and_b64 vcc, exec, s[6:7]
	s_cbranch_vccz .LBB481_96
; %bb.87:
	v_cvt_f32_f16_e32 v3, v2
	s_mov_b32 s6, 0x43f00000
                                        ; implicit-def: $vgpr4
	v_and_b32_e32 v5, 0x7fffffff, v3
	v_cmp_gt_u32_e32 vcc, s6, v5
	s_and_saveexec_b64 s[6:7], vcc
	s_xor_b64 s[6:7], exec, s[6:7]
	s_cbranch_execz .LBB481_93
; %bb.88:
	s_mov_b32 s8, 0x3c7fffff
	v_cmp_lt_u32_e32 vcc, s8, v5
                                        ; implicit-def: $vgpr4
	s_and_saveexec_b64 s[8:9], vcc
	s_xor_b64 s[8:9], exec, s[8:9]
; %bb.89:
	v_bfe_u32 v4, v3, 20, 1
	s_mov_b32 s10, 0x407ffff
	v_add3_u32 v4, v3, v4, s10
	v_lshrrev_b32_e32 v5, 20, v4
	v_and_b32_e32 v4, 0xff00000, v4
	s_mov_b32 s10, 0x7f00000
	v_mov_b32_e32 v6, 0x7e
	v_cmp_ne_u32_e32 vcc, s10, v4
	s_nop 1
	v_cndmask_b32_e32 v4, v6, v5, vcc
; %bb.90:
	s_andn2_saveexec_b64 s[8:9], s[8:9]
; %bb.91:
	s_mov_b32 s10, 0x46800000
	v_add_f32_e64 v4, |v3|, s10
; %bb.92:
	s_or_b64 exec, exec, s[8:9]
                                        ; implicit-def: $vgpr5
.LBB481_93:
	s_andn2_saveexec_b64 s[6:7], s[6:7]
; %bb.94:
	s_mov_b32 s8, 0x7f800000
	v_mov_b32_e32 v4, 0x7e
	v_mov_b32_e32 v6, 0x7f
	v_cmp_lt_u32_e32 vcc, s8, v5
	s_nop 1
	v_cndmask_b32_e32 v4, v4, v6, vcc
; %bb.95:
	s_or_b64 exec, exec, s[6:7]
	v_lshrrev_b32_e32 v3, 24, v3
	s_movk_i32 s6, 0x80
	v_and_or_b32 v3, v3, s6, v4
	global_store_byte v[0:1], v3, off
.LBB481_96:
	s_mov_b64 s[6:7], 0
.LBB481_97:
	s_andn2_b64 vcc, exec, s[6:7]
	s_cbranch_vccnz .LBB481_107
; %bb.98:
	v_cvt_f32_f16_e32 v3, v2
	s_mov_b32 s6, 0x47800000
                                        ; implicit-def: $vgpr4
	v_and_b32_e32 v5, 0x7fffffff, v3
	v_cmp_gt_u32_e32 vcc, s6, v5
	s_and_saveexec_b64 s[6:7], vcc
	s_xor_b64 s[6:7], exec, s[6:7]
	s_cbranch_execz .LBB481_104
; %bb.99:
	s_mov_b32 s8, 0x387fffff
	v_cmp_lt_u32_e32 vcc, s8, v5
                                        ; implicit-def: $vgpr4
	s_and_saveexec_b64 s[8:9], vcc
	s_xor_b64 s[8:9], exec, s[8:9]
; %bb.100:
	v_bfe_u32 v4, v3, 21, 1
	s_mov_b32 s10, 0x80fffff
	v_add3_u32 v4, v3, v4, s10
	v_lshrrev_b32_e32 v4, 21, v4
; %bb.101:
	s_andn2_saveexec_b64 s[8:9], s[8:9]
; %bb.102:
	s_mov_b32 s10, 0x43000000
	v_add_f32_e64 v4, |v3|, s10
; %bb.103:
	s_or_b64 exec, exec, s[8:9]
                                        ; implicit-def: $vgpr5
.LBB481_104:
	s_andn2_saveexec_b64 s[6:7], s[6:7]
; %bb.105:
	s_mov_b32 s8, 0x7f800000
	v_mov_b32_e32 v4, 0x7c
	v_mov_b32_e32 v6, 0x7f
	v_cmp_lt_u32_e32 vcc, s8, v5
	s_nop 1
	v_cndmask_b32_e32 v4, v4, v6, vcc
; %bb.106:
	s_or_b64 exec, exec, s[6:7]
	v_lshrrev_b32_e32 v3, 24, v3
	s_movk_i32 s6, 0x80
	v_and_or_b32 v3, v3, s6, v4
	global_store_byte v[0:1], v3, off
.LBB481_107:
	s_mov_b64 s[8:9], 0
	s_mov_b64 s[6:7], -1
.LBB481_108:
	s_andn2_b64 vcc, exec, s[8:9]
	s_cbranch_vccnz .LBB481_116
; %bb.109:
	s_cmp_gt_i32 s13, 14
	s_mov_b64 s[8:9], -1
	s_cbranch_scc0 .LBB481_113
; %bb.110:
	s_cmp_eq_u32 s13, 15
	s_mov_b64 s[2:3], -1
	s_cbranch_scc0 .LBB481_112
; %bb.111:
	v_cvt_f32_f16_e32 v3, v2
	s_movk_i32 s2, 0x7fff
	v_cmp_o_f16_e32 vcc, v2, v2
	v_mov_b32_e32 v4, 0x7fc0
	v_bfe_u32 v5, v3, 16, 1
	v_add3_u32 v3, v3, v5, s2
	v_cndmask_b32_sdwa v3, v4, v3, vcc dst_sel:DWORD dst_unused:UNUSED_PAD src0_sel:DWORD src1_sel:WORD_1
	global_store_short v[0:1], v3, off
	s_mov_b64 s[6:7], -1
	s_mov_b64 s[2:3], 0
.LBB481_112:
	s_mov_b64 s[8:9], 0
.LBB481_113:
	s_and_b64 vcc, exec, s[8:9]
	s_cbranch_vccz .LBB481_116
; %bb.114:
	s_cmp_eq_u32 s13, 11
	s_mov_b64 s[2:3], -1
	s_cbranch_scc0 .LBB481_116
; %bb.115:
	v_and_b32_e32 v3, 0x7fff, v2
	v_cmp_ne_u16_e32 vcc, 0, v3
	s_mov_b64 s[6:7], -1
	s_mov_b64 s[2:3], 0
	v_cndmask_b32_e64 v3, 0, 1, vcc
	global_store_byte v[0:1], v3, off
.LBB481_116:
	s_branch .LBB481_35
.LBB481_117:
	s_and_b32 s8, 0xffff, s12
	s_cmp_lt_i32 s8, 5
	s_mov_b64 s[6:7], -1
	s_cbranch_scc1 .LBB481_138
; %bb.118:
	s_cmp_lt_i32 s8, 8
	s_cbranch_scc1 .LBB481_128
; %bb.119:
	s_cmp_lt_i32 s8, 9
	s_cbranch_scc1 .LBB481_125
; %bb.120:
	s_cmp_gt_i32 s8, 9
	s_cbranch_scc0 .LBB481_122
; %bb.121:
	v_cvt_f32_f16_e32 v3, v2
	v_mov_b32_e32 v6, 0
	v_mov_b32_e32 v7, v6
	s_mov_b64 s[6:7], 0
	v_cvt_f64_f32_e32 v[4:5], v3
	global_store_dwordx4 v[0:1], v[4:7], off
.LBB481_122:
	s_andn2_b64 vcc, exec, s[6:7]
	s_cbranch_vccnz .LBB481_124
; %bb.123:
	v_cvt_f32_f16_e32 v4, v2
	v_mov_b32_e32 v5, 0
	global_store_dwordx2 v[0:1], v[4:5], off
.LBB481_124:
	s_mov_b64 s[6:7], 0
.LBB481_125:
	s_andn2_b64 vcc, exec, s[6:7]
	s_cbranch_vccnz .LBB481_127
; %bb.126:
	v_and_b32_e32 v3, 0xffff, v2
	global_store_dword v[0:1], v3, off
.LBB481_127:
	s_mov_b64 s[6:7], 0
.LBB481_128:
	s_andn2_b64 vcc, exec, s[6:7]
	s_cbranch_vccnz .LBB481_137
; %bb.129:
	s_cmp_lt_i32 s8, 6
	s_mov_b64 s[6:7], -1
	s_cbranch_scc1 .LBB481_135
; %bb.130:
	s_cmp_gt_i32 s8, 6
	s_cbranch_scc0 .LBB481_132
; %bb.131:
	v_cvt_f32_f16_e32 v3, v2
	s_mov_b64 s[6:7], 0
	v_cvt_f64_f32_e32 v[4:5], v3
	global_store_dwordx2 v[0:1], v[4:5], off
.LBB481_132:
	s_andn2_b64 vcc, exec, s[6:7]
	s_cbranch_vccnz .LBB481_134
; %bb.133:
	v_cvt_f32_f16_e32 v3, v2
	global_store_dword v[0:1], v3, off
.LBB481_134:
	s_mov_b64 s[6:7], 0
.LBB481_135:
	s_andn2_b64 vcc, exec, s[6:7]
	s_cbranch_vccnz .LBB481_137
; %bb.136:
	global_store_short v[0:1], v2, off
.LBB481_137:
	s_mov_b64 s[6:7], 0
.LBB481_138:
	s_andn2_b64 vcc, exec, s[6:7]
	s_cbranch_vccnz .LBB481_154
; %bb.139:
	s_cmp_lt_i32 s8, 2
	s_mov_b64 s[6:7], -1
	s_cbranch_scc1 .LBB481_149
; %bb.140:
	s_cmp_lt_i32 s8, 3
	s_cbranch_scc1 .LBB481_146
; %bb.141:
	s_cmp_gt_i32 s8, 3
	s_cbranch_scc0 .LBB481_143
; %bb.142:
	v_cvt_f32_f16_e32 v3, v2
	s_mov_b64 s[6:7], 0
	v_cvt_i32_f32_e32 v4, v3
	v_ashrrev_i32_e32 v5, 31, v4
	global_store_dwordx2 v[0:1], v[4:5], off
.LBB481_143:
	s_andn2_b64 vcc, exec, s[6:7]
	s_cbranch_vccnz .LBB481_145
; %bb.144:
	v_cvt_f32_f16_e32 v3, v2
	v_cvt_i32_f32_e32 v3, v3
	global_store_dword v[0:1], v3, off
.LBB481_145:
	s_mov_b64 s[6:7], 0
.LBB481_146:
	s_andn2_b64 vcc, exec, s[6:7]
	s_cbranch_vccnz .LBB481_148
; %bb.147:
	v_cvt_i16_f16_e32 v3, v2
	global_store_short v[0:1], v3, off
.LBB481_148:
	s_mov_b64 s[6:7], 0
.LBB481_149:
	s_andn2_b64 vcc, exec, s[6:7]
	s_cbranch_vccnz .LBB481_154
; %bb.150:
	s_cmp_gt_i32 s8, 0
	s_mov_b64 s[6:7], -1
	s_cbranch_scc0 .LBB481_152
; %bb.151:
	v_cvt_i16_f16_e32 v3, v2
	global_store_byte v[0:1], v3, off
	s_mov_b64 s[6:7], 0
.LBB481_152:
	s_andn2_b64 vcc, exec, s[6:7]
	s_cbranch_vccnz .LBB481_154
; %bb.153:
	v_cvt_f32_f16_e32 v2, v2
	v_cvt_i32_f32_e32 v2, v2
	global_store_byte v[0:1], v2, off
.LBB481_154:
.LBB481_155:
	v_add_u32_e32 v8, 0x80, v8
	s_mov_b64 s[6:7], -1
	s_branch .LBB481_266
.LBB481_156:
	s_mov_b64 s[4:5], -1
                                        ; implicit-def: $vgpr1
.LBB481_157:
	s_mov_b64 s[6:7], 0
.LBB481_158:
	s_and_b64 vcc, exec, s[6:7]
	s_cbranch_vccz .LBB481_162
; %bb.159:
	s_cmp_eq_u32 s10, 29
	s_cbranch_scc0 .LBB481_161
; %bb.160:
	global_load_dwordx2 v[4:5], v[2:3], off
	s_mov_b64 s[2:3], -1
	s_mov_b64 s[4:5], 0
	s_mov_b64 s[6:7], 0
	s_waitcnt vmcnt(0)
	v_ffbh_u32_e32 v1, v5
	v_min_u32_e32 v1, 32, v1
	v_lshlrev_b64 v[4:5], v1, v[4:5]
	v_min_u32_e32 v4, 1, v4
	v_or_b32_e32 v4, v5, v4
	v_cvt_f32_u32_e32 v4, v4
	v_sub_u32_e32 v1, 32, v1
	v_ldexp_f32 v1, v4, v1
	v_cvt_f16_f32_e32 v1, v1
	s_branch .LBB481_163
.LBB481_161:
	s_mov_b64 s[4:5], -1
                                        ; implicit-def: $vgpr1
.LBB481_162:
	s_mov_b64 s[6:7], 0
.LBB481_163:
	s_and_b64 vcc, exec, s[6:7]
	s_cbranch_vccz .LBB481_181
; %bb.164:
	s_cmp_lt_i32 s10, 27
	s_cbranch_scc1 .LBB481_167
; %bb.165:
	s_cmp_gt_i32 s10, 27
	s_cbranch_scc0 .LBB481_168
; %bb.166:
	global_load_dword v1, v[2:3], off
	s_mov_b64 s[2:3], 0
	s_waitcnt vmcnt(0)
	v_cvt_f32_u32_e32 v1, v1
	v_cvt_f16_f32_e32 v1, v1
	s_branch .LBB481_169
.LBB481_167:
	s_mov_b64 s[2:3], -1
                                        ; implicit-def: $vgpr1
	s_branch .LBB481_172
.LBB481_168:
	s_mov_b64 s[2:3], -1
                                        ; implicit-def: $vgpr1
.LBB481_169:
	s_andn2_b64 vcc, exec, s[2:3]
	s_cbranch_vccnz .LBB481_171
; %bb.170:
	global_load_ushort v1, v[2:3], off
	s_waitcnt vmcnt(0)
	v_cvt_f16_u16_e32 v1, v1
.LBB481_171:
	s_mov_b64 s[2:3], 0
.LBB481_172:
	s_andn2_b64 vcc, exec, s[2:3]
	s_cbranch_vccnz .LBB481_180
; %bb.173:
	global_load_ubyte v4, v[2:3], off
	s_movk_i32 s2, 0x7f
	s_waitcnt vmcnt(0)
	v_cmp_lt_i16_e32 vcc, s2, v4
	s_mov_b64 s[2:3], 0
	s_and_saveexec_b64 s[6:7], vcc
	s_xor_b64 s[6:7], exec, s[6:7]
	s_cbranch_execz .LBB481_193
; %bb.174:
	s_movk_i32 s2, 0x80
	v_cmp_eq_u16_e32 vcc, s2, v4
	s_mov_b64 s[2:3], -1
	s_and_saveexec_b64 s[8:9], vcc
; %bb.175:
	s_xor_b64 s[2:3], exec, -1
; %bb.176:
	s_or_b64 exec, exec, s[8:9]
	s_and_b64 s[2:3], s[2:3], exec
	s_or_saveexec_b64 s[6:7], s[6:7]
	v_mov_b32_e32 v1, 0x7e00
	s_xor_b64 exec, exec, s[6:7]
	s_cbranch_execnz .LBB481_194
.LBB481_177:
	s_or_b64 exec, exec, s[6:7]
	s_and_saveexec_b64 s[6:7], s[2:3]
	s_cbranch_execz .LBB481_179
.LBB481_178:
	v_lshlrev_b32_e32 v1, 24, v4
	v_and_b32_e32 v4, 0xffff, v4
	v_and_b32_e32 v5, 7, v4
	v_ffbh_u32_e32 v7, v5
	v_min_u32_e32 v7, 32, v7
	v_subrev_u32_e32 v9, 28, v7
	v_bfe_u32 v6, v4, 3, 4
	v_lshlrev_b32_e32 v4, v9, v4
	v_sub_u32_e32 v7, 29, v7
	v_and_b32_e32 v4, 7, v4
	v_cmp_eq_u32_e32 vcc, 0, v6
	v_and_b32_e32 v1, 0x80000000, v1
	s_nop 0
	v_cndmask_b32_e32 v6, v6, v7, vcc
	v_cndmask_b32_e32 v4, v5, v4, vcc
	v_mov_b32_e32 v5, 0x3b800000
	v_lshlrev_b32_e32 v4, 20, v4
	v_lshl_add_u32 v5, v6, 23, v5
	v_or3_b32 v1, v1, v5, v4
	v_cvt_f16_f32_e32 v1, v1
.LBB481_179:
	s_or_b64 exec, exec, s[6:7]
.LBB481_180:
	s_mov_b64 s[2:3], -1
.LBB481_181:
	s_branch .LBB481_216
.LBB481_182:
	s_cmp_gt_i32 s10, 22
	s_cbranch_scc0 .LBB481_192
; %bb.183:
	s_cmp_lt_i32 s10, 24
	s_cbranch_scc1 .LBB481_195
; %bb.184:
	s_cmp_gt_i32 s10, 24
	s_cbranch_scc0 .LBB481_196
; %bb.185:
	global_load_ubyte v4, v[2:3], off
	s_movk_i32 s2, 0x7f
	s_waitcnt vmcnt(0)
	v_cmp_lt_i16_e32 vcc, s2, v4
	s_mov_b64 s[2:3], 0
	s_and_saveexec_b64 s[6:7], vcc
	s_xor_b64 s[6:7], exec, s[6:7]
	s_cbranch_execz .LBB481_208
; %bb.186:
	s_movk_i32 s2, 0x80
	v_cmp_eq_u16_e32 vcc, s2, v4
	s_mov_b64 s[2:3], -1
	s_and_saveexec_b64 s[8:9], vcc
; %bb.187:
	s_xor_b64 s[2:3], exec, -1
; %bb.188:
	s_or_b64 exec, exec, s[8:9]
	s_and_b64 s[2:3], s[2:3], exec
	s_or_saveexec_b64 s[6:7], s[6:7]
	v_mov_b32_e32 v1, 0x7e00
	s_xor_b64 exec, exec, s[6:7]
	s_cbranch_execnz .LBB481_209
.LBB481_189:
	s_or_b64 exec, exec, s[6:7]
	s_and_saveexec_b64 s[6:7], s[2:3]
	s_cbranch_execz .LBB481_191
.LBB481_190:
	v_lshlrev_b32_e32 v1, 24, v4
	v_and_b32_e32 v4, 0xffff, v4
	v_and_b32_e32 v5, 3, v4
	v_ffbh_u32_e32 v7, v5
	v_min_u32_e32 v7, 32, v7
	v_subrev_u32_e32 v9, 29, v7
	v_bfe_u32 v6, v4, 2, 5
	v_lshlrev_b32_e32 v4, v9, v4
	v_sub_u32_e32 v7, 30, v7
	v_and_b32_e32 v4, 3, v4
	v_cmp_eq_u32_e32 vcc, 0, v6
	v_and_b32_e32 v1, 0x80000000, v1
	s_nop 0
	v_cndmask_b32_e32 v6, v6, v7, vcc
	v_cndmask_b32_e32 v4, v5, v4, vcc
	v_mov_b32_e32 v5, 0x37800000
	v_lshlrev_b32_e32 v4, 21, v4
	v_lshl_add_u32 v5, v6, 23, v5
	v_or3_b32 v1, v1, v5, v4
	v_cvt_f16_f32_e32 v1, v1
.LBB481_191:
	s_or_b64 exec, exec, s[6:7]
	s_mov_b64 s[2:3], 0
	s_branch .LBB481_197
.LBB481_192:
	s_mov_b64 s[6:7], -1
                                        ; implicit-def: $vgpr1
	s_branch .LBB481_203
.LBB481_193:
	s_or_saveexec_b64 s[6:7], s[6:7]
	v_mov_b32_e32 v1, 0x7e00
	s_xor_b64 exec, exec, s[6:7]
	s_cbranch_execz .LBB481_177
.LBB481_194:
	v_cmp_ne_u16_e32 vcc, 0, v4
	s_andn2_b64 s[2:3], s[2:3], exec
	s_and_b64 s[8:9], vcc, exec
	s_or_b64 s[2:3], s[2:3], s[8:9]
	v_mov_b32_e32 v1, v4
	s_or_b64 exec, exec, s[6:7]
	s_and_saveexec_b64 s[6:7], s[2:3]
	s_cbranch_execnz .LBB481_178
	s_branch .LBB481_179
.LBB481_195:
	s_mov_b64 s[2:3], -1
                                        ; implicit-def: $vgpr1
	s_branch .LBB481_200
.LBB481_196:
	s_mov_b64 s[2:3], -1
                                        ; implicit-def: $vgpr1
.LBB481_197:
	s_and_b64 vcc, exec, s[2:3]
	s_cbranch_vccz .LBB481_199
; %bb.198:
	global_load_ubyte v1, v[2:3], off
	s_mov_b32 s2, 0x7f800000
	s_waitcnt vmcnt(0)
	v_lshlrev_b32_e32 v1, 24, v1
	v_and_b32_e32 v4, 0x7f000000, v1
	v_ffbh_u32_e32 v5, v4
	v_min_u32_e32 v5, 32, v5
	v_sub_u32_e64 v5, v5, 4 clamp
	v_lshlrev_b32_e32 v7, v5, v4
	v_lshlrev_b32_e32 v5, 23, v5
	v_lshrrev_b32_e32 v7, 4, v7
	v_add_u32_e32 v6, 0x1000000, v4
	v_sub_u32_e32 v5, v7, v5
	v_ashrrev_i32_e32 v6, 8, v6
	v_add_u32_e32 v5, 0x3c000000, v5
	v_and_or_b32 v5, v6, s2, v5
	v_cmp_ne_u32_e32 vcc, 0, v4
	s_brev_b32 s2, 1
	s_nop 0
	v_cndmask_b32_e32 v4, 0, v5, vcc
	v_and_or_b32 v1, v1, s2, v4
	v_cvt_f16_f32_e32 v1, v1
.LBB481_199:
	s_mov_b64 s[2:3], 0
.LBB481_200:
	s_andn2_b64 vcc, exec, s[2:3]
	s_cbranch_vccnz .LBB481_202
; %bb.201:
	global_load_ubyte v1, v[2:3], off
	s_movk_i32 s2, 0x7f00
	s_brev_b32 s3, 16
	s_waitcnt vmcnt(0)
	v_lshlrev_b16_e32 v4, 8, v1
	v_lshlrev_b32_e32 v1, 25, v1
	v_lshrrev_b32_e32 v5, 4, v1
	v_and_or_b32 v6, v4, s2, 0.5
	v_or_b32_e32 v5, 0x70000000, v5
	v_add_f32_e32 v6, -0.5, v6
	v_mul_f32_e32 v5, 0x7800000, v5
	v_cmp_gt_u32_e32 vcc, s3, v1
	v_bfe_i32 v4, v4, 0, 16
	s_brev_b32 s2, 1
	v_cndmask_b32_e32 v1, v5, v6, vcc
	v_and_or_b32 v1, v4, s2, v1
	v_cvt_f16_f32_e32 v1, v1
.LBB481_202:
	s_mov_b64 s[6:7], 0
	s_mov_b64 s[2:3], -1
.LBB481_203:
	s_andn2_b64 vcc, exec, s[6:7]
	s_cbranch_vccnz .LBB481_216
; %bb.204:
	s_cmp_gt_i32 s10, 14
	s_cbranch_scc0 .LBB481_207
; %bb.205:
	s_cmp_eq_u32 s10, 15
	s_cbranch_scc0 .LBB481_210
; %bb.206:
	global_load_ushort v1, v[2:3], off
	s_mov_b64 s[2:3], -1
	s_mov_b64 s[4:5], 0
	s_waitcnt vmcnt(0)
	v_lshlrev_b32_e32 v1, 16, v1
	v_cvt_f16_f32_e32 v1, v1
	s_branch .LBB481_211
.LBB481_207:
	s_mov_b64 s[6:7], -1
                                        ; implicit-def: $vgpr1
	s_branch .LBB481_212
.LBB481_208:
	s_or_saveexec_b64 s[6:7], s[6:7]
	v_mov_b32_e32 v1, 0x7e00
	s_xor_b64 exec, exec, s[6:7]
	s_cbranch_execz .LBB481_189
.LBB481_209:
	v_cmp_ne_u16_e32 vcc, 0, v4
	s_andn2_b64 s[2:3], s[2:3], exec
	s_and_b64 s[8:9], vcc, exec
	s_or_b64 s[2:3], s[2:3], s[8:9]
	v_mov_b32_e32 v1, v4
	s_or_b64 exec, exec, s[6:7]
	s_and_saveexec_b64 s[6:7], s[2:3]
	s_cbranch_execnz .LBB481_190
	s_branch .LBB481_191
.LBB481_210:
	s_mov_b64 s[4:5], -1
                                        ; implicit-def: $vgpr1
.LBB481_211:
	s_mov_b64 s[6:7], 0
.LBB481_212:
	s_and_b64 vcc, exec, s[6:7]
	s_cbranch_vccz .LBB481_216
; %bb.213:
	s_cmp_eq_u32 s10, 11
	s_cbranch_scc0 .LBB481_215
; %bb.214:
	global_load_ubyte v1, v[2:3], off
	v_mov_b32_e32 v4, 0x3c00
	s_mov_b64 s[2:3], -1
	s_mov_b64 s[4:5], 0
	s_waitcnt vmcnt(0)
	v_cmp_ne_u16_e32 vcc, 0, v1
	s_nop 1
	v_cndmask_b32_e32 v1, 0, v4, vcc
	s_branch .LBB481_216
.LBB481_215:
	s_mov_b64 s[4:5], -1
                                        ; implicit-def: $vgpr1
.LBB481_216:
	s_branch .LBB481_25
.LBB481_217:
	s_cmp_lt_i32 s10, 5
	s_cbranch_scc1 .LBB481_222
; %bb.218:
	s_cmp_lt_i32 s10, 8
	s_cbranch_scc1 .LBB481_223
; %bb.219:
	;; [unrolled: 3-line block ×3, first 2 shown]
	s_cmp_gt_i32 s10, 9
	s_cbranch_scc0 .LBB481_225
; %bb.221:
	global_load_dwordx2 v[4:5], v[2:3], off
	s_movk_i32 s2, 0x1ff
	s_movk_i32 s3, 0xffe
	v_mov_b32_e32 v1, 0x7c00
	v_mov_b32_e32 v6, 0x7e00
	s_movk_i32 s6, 0x40f
	s_mov_b32 s7, 0x8000
	s_waitcnt vmcnt(0)
	v_and_or_b32 v4, v5, s2, v4
	v_cmp_ne_u32_e32 vcc, 0, v4
	v_lshrrev_b32_e32 v7, 8, v5
	v_bfe_u32 v9, v5, 20, 11
	v_cndmask_b32_e64 v4, 0, 1, vcc
	v_sub_u32_e32 v10, 0x3f1, v9
	v_and_or_b32 v4, v7, s3, v4
	v_add_u32_e32 v9, 0xfffffc10, v9
	v_med3_i32 v7, v10, 0, 13
	v_or_b32_e32 v10, 0x1000, v4
	v_cmp_ne_u32_e32 vcc, 0, v4
	v_lshl_or_b32 v11, v9, 12, v4
	v_lshrrev_b32_e32 v5, 16, v5
	v_cndmask_b32_e32 v4, v1, v6, vcc
	v_lshrrev_b32_e32 v6, v7, v10
	v_lshlrev_b32_e32 v7, v7, v6
	v_cmp_ne_u32_e32 vcc, v7, v10
	s_mov_b64 s[2:3], 0
	s_nop 0
	v_cndmask_b32_e64 v7, 0, 1, vcc
	v_or_b32_e32 v6, v6, v7
	v_cmp_gt_i32_e32 vcc, 1, v9
	s_nop 1
	v_cndmask_b32_e32 v6, v11, v6, vcc
	v_and_b32_e32 v7, 7, v6
	v_cmp_lt_i32_e32 vcc, 5, v7
	v_lshrrev_b32_e32 v6, 2, v6
	s_nop 0
	v_cndmask_b32_e64 v10, 0, 1, vcc
	v_cmp_eq_u32_e32 vcc, 3, v7
	s_nop 1
	v_cndmask_b32_e64 v7, 0, 1, vcc
	v_or_b32_e32 v7, v7, v10
	v_add_u32_e32 v6, v6, v7
	v_cmp_gt_i32_e32 vcc, 31, v9
	s_nop 1
	v_cndmask_b32_e32 v1, v1, v6, vcc
	v_cmp_eq_u32_e32 vcc, s6, v9
	s_nop 1
	v_cndmask_b32_e32 v1, v1, v4, vcc
	v_and_or_b32 v1, v5, s7, v1
	s_branch .LBB481_226
.LBB481_222:
                                        ; implicit-def: $vgpr1
	s_branch .LBB481_244
.LBB481_223:
	s_mov_b64 s[2:3], -1
                                        ; implicit-def: $vgpr1
	s_branch .LBB481_232
.LBB481_224:
	s_mov_b64 s[2:3], -1
                                        ; implicit-def: $vgpr1
	s_branch .LBB481_229
.LBB481_225:
	s_mov_b64 s[2:3], -1
                                        ; implicit-def: $vgpr1
.LBB481_226:
	s_andn2_b64 vcc, exec, s[2:3]
	s_cbranch_vccnz .LBB481_228
; %bb.227:
	global_load_dword v1, v[2:3], off
	s_waitcnt vmcnt(0)
	v_cvt_f16_f32_e32 v1, v1
.LBB481_228:
	s_mov_b64 s[2:3], 0
.LBB481_229:
	s_andn2_b64 vcc, exec, s[2:3]
	s_cbranch_vccnz .LBB481_231
; %bb.230:
	global_load_dword v1, v[2:3], off
.LBB481_231:
	s_mov_b64 s[2:3], 0
.LBB481_232:
	s_andn2_b64 vcc, exec, s[2:3]
	s_cbranch_vccnz .LBB481_243
; %bb.233:
	s_cmp_lt_i32 s10, 6
	s_cbranch_scc1 .LBB481_236
; %bb.234:
	s_cmp_gt_i32 s10, 6
	s_cbranch_scc0 .LBB481_237
; %bb.235:
	global_load_dwordx2 v[4:5], v[2:3], off
	s_movk_i32 s2, 0x1ff
	s_movk_i32 s3, 0xffe
	s_waitcnt vmcnt(1)
	v_mov_b32_e32 v1, 0x7c00
	v_mov_b32_e32 v6, 0x7e00
	s_movk_i32 s6, 0x40f
	s_mov_b32 s7, 0x8000
	s_waitcnt vmcnt(0)
	v_and_or_b32 v4, v5, s2, v4
	v_cmp_ne_u32_e32 vcc, 0, v4
	v_lshrrev_b32_e32 v7, 8, v5
	v_bfe_u32 v9, v5, 20, 11
	v_cndmask_b32_e64 v4, 0, 1, vcc
	v_sub_u32_e32 v10, 0x3f1, v9
	v_and_or_b32 v4, v7, s3, v4
	v_add_u32_e32 v9, 0xfffffc10, v9
	v_med3_i32 v7, v10, 0, 13
	v_or_b32_e32 v10, 0x1000, v4
	v_cmp_ne_u32_e32 vcc, 0, v4
	v_lshl_or_b32 v11, v9, 12, v4
	v_lshrrev_b32_e32 v5, 16, v5
	v_cndmask_b32_e32 v4, v1, v6, vcc
	v_lshrrev_b32_e32 v6, v7, v10
	v_lshlrev_b32_e32 v7, v7, v6
	v_cmp_ne_u32_e32 vcc, v7, v10
	s_mov_b64 s[2:3], 0
	s_nop 0
	v_cndmask_b32_e64 v7, 0, 1, vcc
	v_or_b32_e32 v6, v6, v7
	v_cmp_gt_i32_e32 vcc, 1, v9
	s_nop 1
	v_cndmask_b32_e32 v6, v11, v6, vcc
	v_and_b32_e32 v7, 7, v6
	v_cmp_lt_i32_e32 vcc, 5, v7
	v_lshrrev_b32_e32 v6, 2, v6
	s_nop 0
	v_cndmask_b32_e64 v10, 0, 1, vcc
	v_cmp_eq_u32_e32 vcc, 3, v7
	s_nop 1
	v_cndmask_b32_e64 v7, 0, 1, vcc
	v_or_b32_e32 v7, v7, v10
	v_add_u32_e32 v6, v6, v7
	v_cmp_gt_i32_e32 vcc, 31, v9
	s_nop 1
	v_cndmask_b32_e32 v1, v1, v6, vcc
	v_cmp_eq_u32_e32 vcc, s6, v9
	s_nop 1
	v_cndmask_b32_e32 v1, v1, v4, vcc
	v_and_or_b32 v1, v5, s7, v1
	s_branch .LBB481_238
.LBB481_236:
	s_mov_b64 s[2:3], -1
                                        ; implicit-def: $vgpr1
	s_branch .LBB481_241
.LBB481_237:
	s_mov_b64 s[2:3], -1
                                        ; implicit-def: $vgpr1
.LBB481_238:
	s_andn2_b64 vcc, exec, s[2:3]
	s_cbranch_vccnz .LBB481_240
; %bb.239:
	global_load_dword v1, v[2:3], off
	s_waitcnt vmcnt(0)
	v_cvt_f16_f32_e32 v1, v1
.LBB481_240:
	s_mov_b64 s[2:3], 0
.LBB481_241:
	s_andn2_b64 vcc, exec, s[2:3]
	s_cbranch_vccnz .LBB481_243
; %bb.242:
	global_load_ushort v1, v[2:3], off
.LBB481_243:
	s_cbranch_execnz .LBB481_263
.LBB481_244:
	s_cmp_lt_i32 s10, 2
	s_cbranch_scc1 .LBB481_248
; %bb.245:
	s_cmp_lt_i32 s10, 3
	s_cbranch_scc1 .LBB481_249
; %bb.246:
	s_cmp_gt_i32 s10, 3
	s_cbranch_scc0 .LBB481_250
; %bb.247:
	global_load_dwordx2 v[4:5], v[2:3], off
	s_mov_b64 s[2:3], 0
	s_waitcnt vmcnt(0)
	v_xor_b32_e32 v6, v4, v5
	v_ffbh_i32_e32 v1, v5
	v_ashrrev_i32_e32 v6, 31, v6
	v_add_u32_e32 v1, -1, v1
	v_add_u32_e32 v6, 32, v6
	v_min_u32_e32 v1, v1, v6
	v_lshlrev_b64 v[4:5], v1, v[4:5]
	v_min_u32_e32 v4, 1, v4
	v_or_b32_e32 v4, v5, v4
	v_cvt_f32_i32_e32 v4, v4
	v_sub_u32_e32 v1, 32, v1
	v_ldexp_f32 v1, v4, v1
	v_cvt_f16_f32_e32 v1, v1
	s_branch .LBB481_251
.LBB481_248:
	s_mov_b64 s[2:3], -1
                                        ; implicit-def: $vgpr1
	s_branch .LBB481_257
.LBB481_249:
	s_mov_b64 s[2:3], -1
                                        ; implicit-def: $vgpr1
	s_branch .LBB481_254
.LBB481_250:
	s_mov_b64 s[2:3], -1
                                        ; implicit-def: $vgpr1
.LBB481_251:
	s_andn2_b64 vcc, exec, s[2:3]
	s_cbranch_vccnz .LBB481_253
; %bb.252:
	global_load_dword v1, v[2:3], off
	s_waitcnt vmcnt(0)
	v_cvt_f32_i32_e32 v1, v1
	v_cvt_f16_f32_e32 v1, v1
.LBB481_253:
	s_mov_b64 s[2:3], 0
.LBB481_254:
	s_andn2_b64 vcc, exec, s[2:3]
	s_cbranch_vccnz .LBB481_256
; %bb.255:
	global_load_ushort v1, v[2:3], off
	s_waitcnt vmcnt(0)
	v_cvt_f16_i16_e32 v1, v1
.LBB481_256:
	s_mov_b64 s[2:3], 0
.LBB481_257:
	s_andn2_b64 vcc, exec, s[2:3]
	s_cbranch_vccnz .LBB481_263
; %bb.258:
	s_cmp_gt_i32 s10, 0
	s_cbranch_scc0 .LBB481_260
; %bb.259:
	global_load_sbyte v1, v[2:3], off
	s_mov_b64 s[2:3], 0
	s_waitcnt vmcnt(0)
	v_cvt_f16_i16_e32 v1, v1
	s_branch .LBB481_261
.LBB481_260:
	s_mov_b64 s[2:3], -1
                                        ; implicit-def: $vgpr1
.LBB481_261:
	s_andn2_b64 vcc, exec, s[2:3]
	s_cbranch_vccnz .LBB481_263
; %bb.262:
	global_load_ubyte v1, v[2:3], off
	s_waitcnt vmcnt(0)
	v_cvt_f16_u16_e32 v1, v1
.LBB481_263:
	s_branch .LBB481_26
.LBB481_264:
	s_mov_b64 s[2:3], 0
.LBB481_265:
	s_mov_b64 s[6:7], 0
                                        ; implicit-def: $vgpr8
.LBB481_266:
	s_and_b64 s[54:55], s[2:3], exec
	s_and_b64 s[56:57], s[4:5], exec
	s_orn2_b64 s[4:5], s[6:7], exec
.LBB481_267:
	s_or_b64 exec, exec, s[58:59]
	s_mov_b64 s[8:9], 0
	s_mov_b64 s[2:3], 0
                                        ; implicit-def: $vgpr2_vgpr3
                                        ; implicit-def: $vgpr0
                                        ; implicit-def: $vgpr1
	s_and_saveexec_b64 s[58:59], s[4:5]
	s_cbranch_execz .LBB481_275
; %bb.268:
	v_cmp_gt_i32_e32 vcc, s70, v8
	s_mov_b64 s[2:3], -1
	s_mov_b64 s[60:61], s[56:57]
	s_mov_b64 s[62:63], s[54:55]
	s_and_saveexec_b64 s[64:65], vcc
	s_cbranch_execz .LBB481_544
; %bb.269:
	s_andn2_b64 vcc, exec, s[42:43]
	s_cbranch_vccnz .LBB481_278
; %bb.270:
	s_andn2_b64 vcc, exec, s[52:53]
	s_cbranch_vccnz .LBB481_279
; %bb.271:
	s_add_i32 s63, s76, 1
	s_cmp_eq_u32 s72, 2
	s_cbranch_scc1 .LBB481_280
; %bb.272:
	s_and_b32 s62, s63, 28
	s_mov_b32 s66, 0
	v_mov_b32_e32 v0, 0
	v_mov_b32_e32 v2, 0
	s_mov_b64 s[2:3], s[34:35]
	s_mov_b64 s[60:61], s[50:51]
	v_mov_b32_e32 v4, v8
.LBB481_273:                            ; =>This Inner Loop Header: Depth=1
	s_load_dwordx8 s[12:19], s[2:3], 0x4
	s_load_dwordx4 s[36:39], s[2:3], 0x24
	s_load_dwordx8 s[4:11], s[60:61], 0x0
	s_add_u32 s2, s2, 48
	s_addc_u32 s3, s3, 0
	s_waitcnt vmcnt(0) lgkmcnt(0)
	v_mul_hi_u32 v1, s13, v4
	v_add_u32_e32 v1, v4, v1
	v_lshrrev_b32_e32 v1, s14, v1
	v_mul_lo_u32 v3, v1, s12
	v_mul_hi_u32 v5, s16, v1
	v_sub_u32_e32 v3, v4, v3
	v_add_u32_e32 v4, v1, v5
	v_lshrrev_b32_e32 v4, s17, v4
	v_mul_lo_u32 v6, v4, s15
	v_mul_hi_u32 v7, s19, v4
	v_sub_u32_e32 v1, v1, v6
	v_add_u32_e32 v6, v4, v7
	v_mul_lo_u32 v5, v3, s5
	v_mul_lo_u32 v3, v3, s4
	;; [unrolled: 1-line block ×4, first 2 shown]
	v_lshrrev_b32_e32 v6, s36, v6
	v_add3_u32 v0, v3, v0, v1
	v_mul_hi_u32 v3, s38, v6
	v_add3_u32 v1, v5, v2, v7
	v_mul_lo_u32 v2, v6, s18
	v_add_u32_e32 v3, v6, v3
	v_sub_u32_e32 v2, v4, v2
	v_lshrrev_b32_e32 v4, s39, v3
	s_add_i32 s66, s66, 4
	v_mul_lo_u32 v3, v4, s37
	s_add_u32 s60, s60, 32
	v_sub_u32_e32 v3, v6, v3
	s_addc_u32 s61, s61, 0
	v_mul_lo_u32 v5, v2, s8
	v_mul_lo_u32 v2, v2, s9
	;; [unrolled: 1-line block ×4, first 2 shown]
	s_cmp_eq_u32 s62, s66
	v_add3_u32 v2, v2, v1, v3
	v_add3_u32 v0, v5, v0, v6
	s_cbranch_scc0 .LBB481_273
; %bb.274:
	v_mov_b32_e32 v1, v2
	s_branch .LBB481_281
.LBB481_275:
	s_or_b64 exec, exec, s[58:59]
	s_mov_b64 s[4:5], 0
	s_and_saveexec_b64 s[6:7], s[56:57]
	s_cbranch_execnz .LBB481_922
.LBB481_276:
	s_or_b64 exec, exec, s[6:7]
	s_and_saveexec_b64 s[6:7], s[62:63]
	s_xor_b64 s[6:7], exec, s[6:7]
	s_cbranch_execz .LBB481_923
.LBB481_277:
	global_load_ubyte v1, v[2:3], off
	v_mov_b32_e32 v4, 0x3c00
	s_or_b64 s[2:3], s[2:3], exec
	s_waitcnt vmcnt(0)
	v_cmp_ne_u16_e32 vcc, 0, v1
	s_nop 1
	v_cndmask_b32_e32 v1, 0, v4, vcc
	s_or_b64 exec, exec, s[6:7]
	s_and_saveexec_b64 s[6:7], s[8:9]
	s_cbranch_execz .LBB481_969
	s_branch .LBB481_924
.LBB481_278:
                                        ; implicit-def: $vgpr2
                                        ; implicit-def: $vgpr0
	s_andn2_b64 vcc, exec, s[2:3]
	s_cbranch_vccz .LBB481_285
	s_branch .LBB481_287
.LBB481_279:
	v_mov_b32_e32 v2, 0
	v_mov_b32_e32 v0, 0
	s_branch .LBB481_284
.LBB481_280:
	v_mov_b32_e32 v0, 0
	s_mov_b32 s62, 0
	s_waitcnt vmcnt(0)
	v_mov_b32_e32 v1, v0
                                        ; implicit-def: $vgpr2
	v_mov_b32_e32 v4, v8
.LBB481_281:
	s_and_b32 s6, s63, 3
	s_cmp_eq_u32 s6, 0
	s_cbranch_scc1 .LBB481_284
; %bb.282:
	s_lshl_b32 s2, s62, 3
	s_add_u32 s2, s34, s2
	s_addc_u32 s3, s35, 0
	s_add_u32 s2, s2, 0xc4
	s_addc_u32 s3, s3, 0
	s_mul_i32 s4, s62, 12
	s_add_u32 s4, s34, s4
	s_addc_u32 s5, s35, 0
.LBB481_283:                            ; =>This Inner Loop Header: Depth=1
	s_load_dwordx2 s[8:9], s[4:5], 0x4
	s_load_dword s7, s[4:5], 0xc
	s_load_dwordx2 s[10:11], s[2:3], 0x0
	v_mov_b32_e32 v2, v1
	s_add_u32 s4, s4, 12
	s_waitcnt lgkmcnt(0)
	v_mul_hi_u32 v1, s9, v4
	v_add_u32_e32 v1, v4, v1
	v_lshrrev_b32_e32 v1, s7, v1
	s_addc_u32 s5, s5, 0
	v_mul_lo_u32 v3, v1, s8
	s_add_u32 s2, s2, 8
	v_sub_u32_e32 v5, v4, v3
	s_addc_u32 s3, s3, 0
	s_add_i32 s6, s6, -1
	v_mov_b32_e32 v4, v1
	v_mad_u64_u32 v[2:3], s[8:9], v5, s11, v[2:3]
	v_mad_u64_u32 v[0:1], s[8:9], v5, s10, v[0:1]
	s_cmp_lg_u32 s6, 0
	v_mov_b32_e32 v1, v2
	s_cbranch_scc1 .LBB481_283
.LBB481_284:
	s_cbranch_execnz .LBB481_287
.LBB481_285:
	v_mul_hi_u32 v0, s25, v8
	v_add_u32_e32 v0, v8, v0
	s_waitcnt vmcnt(0)
	v_lshrrev_b32_e32 v1, s26, v0
	v_mul_lo_u32 v0, v1, s24
	v_sub_u32_e32 v0, v8, v0
	v_mul_lo_u32 v2, v0, s29
	s_andn2_b64 vcc, exec, s[48:49]
	v_mul_lo_u32 v0, v0, s28
	s_cbranch_vccnz .LBB481_287
; %bb.286:
	v_mul_hi_u32 v3, s46, v1
	v_add_u32_e32 v3, v1, v3
	v_lshrrev_b32_e32 v3, s47, v3
	v_mul_lo_u32 v3, v3, s27
	v_sub_u32_e32 v3, v1, v3
	v_mad_u64_u32 v[0:1], s[2:3], v3, s30, v[0:1]
	v_mad_u64_u32 v[2:3], s[2:3], v3, s31, v[2:3]
.LBB481_287:
	v_mov_b32_e32 v3, 0
	s_and_b32 s10, 0xffff, s75
	s_cmp_lt_i32 s10, 11
	v_lshl_add_u64 v[2:3], s[22:23], 0, v[2:3]
	s_cbranch_scc1 .LBB481_294
; %bb.288:
	s_cmp_gt_i32 s10, 25
	s_cbranch_scc0 .LBB481_303
; %bb.289:
	s_cmp_gt_i32 s10, 28
	s_cbranch_scc0 .LBB481_305
	;; [unrolled: 3-line block ×4, first 2 shown]
; %bb.292:
	s_cmp_eq_u32 s10, 46
	s_mov_b64 s[6:7], 0
	s_cbranch_scc0 .LBB481_315
; %bb.293:
	global_load_dword v1, v[2:3], off
	s_mov_b64 s[2:3], -1
	s_mov_b64 s[4:5], 0
	s_waitcnt vmcnt(0)
	v_lshlrev_b32_e32 v1, 16, v1
	v_cvt_f16_f32_e32 v1, v1
	s_branch .LBB481_316
.LBB481_294:
	s_mov_b64 s[2:3], 0
                                        ; implicit-def: $vgpr1
	s_mov_b64 s[4:5], s[56:57]
	s_cbranch_execnz .LBB481_493
.LBB481_295:
	s_andn2_b64 vcc, exec, s[2:3]
	s_cbranch_vccnz .LBB481_541
.LBB481_296:
	s_waitcnt vmcnt(0)
	v_cmp_u_f16_e32 vcc, v1, v1
	v_cmp_gt_f16_e64 s[2:3], s74, v1
	v_mov_b32_e32 v2, s74
	s_or_b64 vcc, vcc, s[2:3]
	v_cndmask_b32_e32 v2, v2, v1, vcc
	v_mov_b32_e32 v1, 0
	s_and_b32 s12, s73, 0xff
	s_cmp_lt_i32 s12, 11
	v_lshl_add_u64 v[0:1], s[20:21], 0, v[0:1]
	s_cbranch_scc1 .LBB481_304
; %bb.297:
	s_and_b32 s13, 0xffff, s12
	s_cmp_gt_i32 s13, 25
	s_cbranch_scc0 .LBB481_306
; %bb.298:
	s_cmp_gt_i32 s13, 28
	s_cbranch_scc0 .LBB481_308
; %bb.299:
	;; [unrolled: 3-line block ×4, first 2 shown]
	s_mov_b64 s[8:9], 0
	s_mov_b64 s[2:3], -1
	s_cmp_eq_u32 s13, 46
	s_mov_b64 s[6:7], 0
	s_cbranch_scc0 .LBB481_320
; %bb.302:
	v_cvt_f32_f16_e32 v3, v2
	s_movk_i32 s2, 0x7fff
	v_cmp_o_f16_e32 vcc, v2, v2
	v_mov_b32_e32 v4, 0x7fc0
	v_bfe_u32 v5, v3, 16, 1
	v_add3_u32 v3, v3, v5, s2
	v_cndmask_b32_sdwa v3, v4, v3, vcc dst_sel:DWORD dst_unused:UNUSED_PAD src0_sel:DWORD src1_sel:WORD_1
	global_store_dword v[0:1], v3, off
	s_mov_b64 s[6:7], -1
	s_mov_b64 s[2:3], 0
	s_branch .LBB481_320
.LBB481_303:
	s_mov_b64 s[6:7], -1
	s_mov_b64 s[2:3], 0
	s_mov_b64 s[4:5], s[56:57]
                                        ; implicit-def: $vgpr1
	s_branch .LBB481_457
.LBB481_304:
	s_mov_b64 s[8:9], -1
	s_mov_b64 s[6:7], 0
	s_mov_b64 s[2:3], s[54:55]
	s_branch .LBB481_389
.LBB481_305:
	s_mov_b64 s[6:7], -1
	s_mov_b64 s[2:3], 0
	s_mov_b64 s[4:5], s[56:57]
                                        ; implicit-def: $vgpr1
	s_branch .LBB481_438
.LBB481_306:
	s_mov_b64 s[8:9], -1
	s_mov_b64 s[6:7], 0
	s_mov_b64 s[2:3], s[54:55]
	s_branch .LBB481_347
.LBB481_307:
	s_mov_b64 s[6:7], -1
	s_mov_b64 s[2:3], 0
	s_mov_b64 s[4:5], s[56:57]
                                        ; implicit-def: $vgpr1
	s_branch .LBB481_433
.LBB481_308:
	s_mov_b64 s[8:9], -1
	s_mov_b64 s[6:7], 0
	s_mov_b64 s[2:3], s[54:55]
	s_branch .LBB481_330
.LBB481_309:
	s_andn2_saveexec_b64 s[10:11], s[10:11]
	s_cbranch_execz .LBB481_69
.LBB481_310:
	s_mov_b32 s14, 0x46000000
	v_add_f32_e64 v4, |v3|, s14
	v_and_b32_e32 v4, 0xff, v4
	v_cmp_ne_u32_e32 vcc, 0, v4
	s_andn2_b64 s[8:9], s[8:9], exec
	s_and_b64 s[14:15], vcc, exec
	s_or_b64 s[8:9], s[8:9], s[14:15]
	s_or_b64 exec, exec, s[10:11]
	v_mov_b32_e32 v5, 0
	s_and_saveexec_b64 s[10:11], s[8:9]
	s_cbranch_execnz .LBB481_70
	s_branch .LBB481_71
.LBB481_311:
	s_mov_b64 s[6:7], -1
	s_mov_b64 s[2:3], 0
	s_mov_b64 s[4:5], s[56:57]
                                        ; implicit-def: $vgpr1
	s_branch .LBB481_316
.LBB481_312:
	s_mov_b64 s[8:9], -1
	s_mov_b64 s[6:7], 0
	s_mov_b64 s[2:3], s[54:55]
	s_branch .LBB481_326
.LBB481_313:
	s_andn2_saveexec_b64 s[10:11], s[10:11]
	s_cbranch_execz .LBB481_82
.LBB481_314:
	s_mov_b32 s14, 0x42800000
	v_add_f32_e64 v4, |v3|, s14
	v_and_b32_e32 v4, 0xff, v4
	v_cmp_ne_u32_e32 vcc, 0, v4
	s_andn2_b64 s[8:9], s[8:9], exec
	s_and_b64 s[14:15], vcc, exec
	s_or_b64 s[8:9], s[8:9], s[14:15]
	s_or_b64 exec, exec, s[10:11]
	v_mov_b32_e32 v5, 0
	s_and_saveexec_b64 s[10:11], s[8:9]
	s_cbranch_execnz .LBB481_83
	s_branch .LBB481_84
.LBB481_315:
	s_mov_b64 s[4:5], -1
                                        ; implicit-def: $vgpr1
	s_mov_b64 s[2:3], 0
.LBB481_316:
	s_and_b64 vcc, exec, s[6:7]
	s_cbranch_vccz .LBB481_432
; %bb.317:
	s_cmp_eq_u32 s10, 44
	s_cbranch_scc0 .LBB481_431
; %bb.318:
	global_load_ubyte v1, v[2:3], off
	s_movk_i32 s4, 0xff
	v_mov_b32_e32 v5, 0x7e00
	s_mov_b64 s[2:3], -1
	s_waitcnt vmcnt(0)
	v_lshlrev_b32_e32 v4, 23, v1
	v_cvt_f16_f32_e32 v4, v4
	v_cmp_ne_u32_e32 vcc, s4, v1
	s_mov_b64 s[4:5], 0
	s_nop 0
	v_cndmask_b32_e32 v4, v5, v4, vcc
	v_cmp_ne_u32_e32 vcc, 0, v1
	s_nop 1
	v_cndmask_b32_e32 v1, 0, v4, vcc
	s_branch .LBB481_432
.LBB481_319:
	s_mov_b64 s[8:9], -1
	s_mov_b64 s[6:7], 0
	s_mov_b64 s[2:3], s[54:55]
.LBB481_320:
	s_and_b64 vcc, exec, s[8:9]
	s_cbranch_vccz .LBB481_325
; %bb.321:
	s_cmp_eq_u32 s13, 44
	s_mov_b64 s[2:3], -1
	s_cbranch_scc0 .LBB481_325
; %bb.322:
	v_cvt_f32_f16_e32 v3, v2
	s_movk_i32 s2, 0xff
	v_mov_b32_e32 v5, 0xff
	v_bfe_u32 v4, v3, 23, 8
	v_cmp_ne_u32_e32 vcc, s2, v4
	s_and_saveexec_b64 s[6:7], vcc
; %bb.323:
	s_mov_b32 s2, 0x3fffff
	v_lshrrev_b32_e32 v5, 23, v3
	v_and_b32_e32 v6, 0x400000, v3
	v_and_or_b32 v3, v3, s2, v4
	v_cmp_ne_u32_e32 vcc, 0, v6
	v_cmp_ne_u32_e64 s[2:3], 0, v3
	s_and_b64 s[2:3], vcc, s[2:3]
	s_nop 0
	v_cndmask_b32_e64 v3, 0, 1, s[2:3]
	v_add_u32_e32 v5, v5, v3
; %bb.324:
	s_or_b64 exec, exec, s[6:7]
	s_mov_b64 s[6:7], -1
	s_mov_b64 s[2:3], 0
	global_store_byte v[0:1], v5, off
.LBB481_325:
	s_mov_b64 s[8:9], 0
.LBB481_326:
	s_and_b64 vcc, exec, s[8:9]
	s_cbranch_vccz .LBB481_329
; %bb.327:
	s_cmp_eq_u32 s13, 29
	s_mov_b64 s[2:3], -1
	s_cbranch_scc0 .LBB481_329
; %bb.328:
	v_cvt_f32_f16_e32 v3, v2
	v_mov_b32_e32 v5, 0
	s_mov_b64 s[6:7], -1
	s_mov_b64 s[2:3], 0
	v_cvt_u32_f32_e32 v4, v3
	s_mov_b64 s[8:9], 0
	global_store_dwordx2 v[0:1], v[4:5], off
	s_branch .LBB481_330
.LBB481_329:
	s_mov_b64 s[8:9], 0
.LBB481_330:
	s_and_b64 vcc, exec, s[8:9]
	s_cbranch_vccz .LBB481_346
; %bb.331:
	s_cmp_lt_i32 s13, 27
	s_mov_b64 s[6:7], -1
	s_cbranch_scc1 .LBB481_337
; %bb.332:
	s_cmp_gt_i32 s13, 27
	s_cbranch_scc0 .LBB481_334
; %bb.333:
	v_cvt_f32_f16_e32 v3, v2
	s_mov_b64 s[6:7], 0
	v_cvt_u32_f32_e32 v3, v3
	global_store_dword v[0:1], v3, off
.LBB481_334:
	s_andn2_b64 vcc, exec, s[6:7]
	s_cbranch_vccnz .LBB481_336
; %bb.335:
	v_cvt_u16_f16_e32 v3, v2
	global_store_short v[0:1], v3, off
.LBB481_336:
	s_mov_b64 s[6:7], 0
.LBB481_337:
	s_andn2_b64 vcc, exec, s[6:7]
	s_cbranch_vccnz .LBB481_345
; %bb.338:
	v_cvt_f32_f16_e32 v3, v2
	s_mov_b32 s6, 0x43800000
	v_mov_b32_e32 v5, 0x80
	v_and_b32_e32 v4, 0x7fffffff, v3
	v_cmp_gt_u32_e32 vcc, s6, v4
	s_and_saveexec_b64 s[6:7], vcc
	s_cbranch_execz .LBB481_344
; %bb.339:
	s_mov_b32 s8, 0x3bffffff
	v_cmp_lt_u32_e32 vcc, s8, v4
	s_mov_b64 s[8:9], 0
                                        ; implicit-def: $vgpr4
	s_and_saveexec_b64 s[10:11], vcc
	s_xor_b64 s[10:11], exec, s[10:11]
	s_cbranch_execz .LBB481_573
; %bb.340:
	v_bfe_u32 v4, v3, 20, 1
	s_mov_b32 s14, 0x487ffff
	v_add3_u32 v4, v3, v4, s14
	s_mov_b64 s[8:9], exec
	v_lshrrev_b32_e32 v4, 20, v4
	s_andn2_saveexec_b64 s[10:11], s[10:11]
	s_cbranch_execnz .LBB481_574
.LBB481_341:
	s_or_b64 exec, exec, s[10:11]
	v_mov_b32_e32 v5, 0
	s_and_saveexec_b64 s[10:11], s[8:9]
.LBB481_342:
	v_lshrrev_b32_e32 v3, 24, v3
	s_movk_i32 s8, 0x80
	v_and_or_b32 v5, v3, s8, v4
.LBB481_343:
	s_or_b64 exec, exec, s[10:11]
.LBB481_344:
	s_or_b64 exec, exec, s[6:7]
	global_store_byte v[0:1], v5, off
.LBB481_345:
	s_mov_b64 s[6:7], -1
.LBB481_346:
	s_mov_b64 s[8:9], 0
.LBB481_347:
	s_and_b64 vcc, exec, s[8:9]
	s_cbranch_vccz .LBB481_388
; %bb.348:
	s_cmp_gt_i32 s13, 22
	s_mov_b64 s[8:9], -1
	s_cbranch_scc0 .LBB481_380
; %bb.349:
	s_cmp_lt_i32 s13, 24
	s_mov_b64 s[6:7], -1
	s_cbranch_scc1 .LBB481_369
; %bb.350:
	s_cmp_gt_i32 s13, 24
	s_cbranch_scc0 .LBB481_358
; %bb.351:
	v_cvt_f32_f16_e32 v3, v2
	s_mov_b32 s6, 0x47800000
	v_mov_b32_e32 v5, 0x80
	v_and_b32_e32 v4, 0x7fffffff, v3
	v_cmp_gt_u32_e32 vcc, s6, v4
	s_and_saveexec_b64 s[6:7], vcc
	s_cbranch_execz .LBB481_357
; %bb.352:
	s_mov_b32 s8, 0x37ffffff
	v_cmp_lt_u32_e32 vcc, s8, v4
	s_mov_b64 s[8:9], 0
                                        ; implicit-def: $vgpr4
	s_and_saveexec_b64 s[10:11], vcc
	s_xor_b64 s[10:11], exec, s[10:11]
	s_cbranch_execz .LBB481_576
; %bb.353:
	v_bfe_u32 v4, v3, 21, 1
	s_mov_b32 s14, 0x88fffff
	v_add3_u32 v4, v3, v4, s14
	s_mov_b64 s[8:9], exec
	v_lshrrev_b32_e32 v4, 21, v4
	s_andn2_saveexec_b64 s[10:11], s[10:11]
	s_cbranch_execnz .LBB481_577
.LBB481_354:
	s_or_b64 exec, exec, s[10:11]
	v_mov_b32_e32 v5, 0
	s_and_saveexec_b64 s[10:11], s[8:9]
.LBB481_355:
	v_lshrrev_b32_e32 v3, 24, v3
	s_movk_i32 s8, 0x80
	v_and_or_b32 v5, v3, s8, v4
.LBB481_356:
	s_or_b64 exec, exec, s[10:11]
.LBB481_357:
	s_or_b64 exec, exec, s[6:7]
	s_mov_b64 s[6:7], 0
	global_store_byte v[0:1], v5, off
.LBB481_358:
	s_and_b64 vcc, exec, s[6:7]
	s_cbranch_vccz .LBB481_368
; %bb.359:
	v_cvt_f32_f16_e32 v3, v2
	s_mov_b32 s6, 0x43f00000
                                        ; implicit-def: $vgpr4
	v_and_b32_e32 v5, 0x7fffffff, v3
	v_cmp_gt_u32_e32 vcc, s6, v5
	s_and_saveexec_b64 s[6:7], vcc
	s_xor_b64 s[6:7], exec, s[6:7]
	s_cbranch_execz .LBB481_365
; %bb.360:
	s_mov_b32 s8, 0x3c7fffff
	v_cmp_lt_u32_e32 vcc, s8, v5
                                        ; implicit-def: $vgpr4
	s_and_saveexec_b64 s[8:9], vcc
	s_xor_b64 s[8:9], exec, s[8:9]
; %bb.361:
	v_bfe_u32 v4, v3, 20, 1
	s_mov_b32 s10, 0x407ffff
	v_add3_u32 v4, v3, v4, s10
	v_lshrrev_b32_e32 v5, 20, v4
	v_and_b32_e32 v4, 0xff00000, v4
	s_mov_b32 s10, 0x7f00000
	v_mov_b32_e32 v6, 0x7e
	v_cmp_ne_u32_e32 vcc, s10, v4
	s_nop 1
	v_cndmask_b32_e32 v4, v6, v5, vcc
; %bb.362:
	s_andn2_saveexec_b64 s[8:9], s[8:9]
; %bb.363:
	s_mov_b32 s10, 0x46800000
	v_add_f32_e64 v4, |v3|, s10
; %bb.364:
	s_or_b64 exec, exec, s[8:9]
                                        ; implicit-def: $vgpr5
.LBB481_365:
	s_andn2_saveexec_b64 s[6:7], s[6:7]
; %bb.366:
	s_mov_b32 s8, 0x7f800000
	v_mov_b32_e32 v4, 0x7e
	v_mov_b32_e32 v6, 0x7f
	v_cmp_lt_u32_e32 vcc, s8, v5
	s_nop 1
	v_cndmask_b32_e32 v4, v4, v6, vcc
; %bb.367:
	s_or_b64 exec, exec, s[6:7]
	v_lshrrev_b32_e32 v3, 24, v3
	s_movk_i32 s6, 0x80
	v_and_or_b32 v3, v3, s6, v4
	global_store_byte v[0:1], v3, off
.LBB481_368:
	s_mov_b64 s[6:7], 0
.LBB481_369:
	s_andn2_b64 vcc, exec, s[6:7]
	s_cbranch_vccnz .LBB481_379
; %bb.370:
	v_cvt_f32_f16_e32 v3, v2
	s_mov_b32 s6, 0x47800000
                                        ; implicit-def: $vgpr4
	v_and_b32_e32 v5, 0x7fffffff, v3
	v_cmp_gt_u32_e32 vcc, s6, v5
	s_and_saveexec_b64 s[6:7], vcc
	s_xor_b64 s[6:7], exec, s[6:7]
	s_cbranch_execz .LBB481_376
; %bb.371:
	s_mov_b32 s8, 0x387fffff
	v_cmp_lt_u32_e32 vcc, s8, v5
                                        ; implicit-def: $vgpr4
	s_and_saveexec_b64 s[8:9], vcc
	s_xor_b64 s[8:9], exec, s[8:9]
; %bb.372:
	v_bfe_u32 v4, v3, 21, 1
	s_mov_b32 s10, 0x80fffff
	v_add3_u32 v4, v3, v4, s10
	v_lshrrev_b32_e32 v4, 21, v4
; %bb.373:
	s_andn2_saveexec_b64 s[8:9], s[8:9]
; %bb.374:
	s_mov_b32 s10, 0x43000000
	v_add_f32_e64 v4, |v3|, s10
; %bb.375:
	s_or_b64 exec, exec, s[8:9]
                                        ; implicit-def: $vgpr5
.LBB481_376:
	s_andn2_saveexec_b64 s[6:7], s[6:7]
; %bb.377:
	s_mov_b32 s8, 0x7f800000
	v_mov_b32_e32 v4, 0x7c
	v_mov_b32_e32 v6, 0x7f
	v_cmp_lt_u32_e32 vcc, s8, v5
	s_nop 1
	v_cndmask_b32_e32 v4, v4, v6, vcc
; %bb.378:
	s_or_b64 exec, exec, s[6:7]
	v_lshrrev_b32_e32 v3, 24, v3
	s_movk_i32 s6, 0x80
	v_and_or_b32 v3, v3, s6, v4
	global_store_byte v[0:1], v3, off
.LBB481_379:
	s_mov_b64 s[8:9], 0
	s_mov_b64 s[6:7], -1
.LBB481_380:
	s_andn2_b64 vcc, exec, s[8:9]
	s_cbranch_vccnz .LBB481_388
; %bb.381:
	s_cmp_gt_i32 s13, 14
	s_mov_b64 s[8:9], -1
	s_cbranch_scc0 .LBB481_385
; %bb.382:
	s_cmp_eq_u32 s13, 15
	s_mov_b64 s[2:3], -1
	s_cbranch_scc0 .LBB481_384
; %bb.383:
	v_cvt_f32_f16_e32 v3, v2
	s_movk_i32 s2, 0x7fff
	v_cmp_o_f16_e32 vcc, v2, v2
	v_mov_b32_e32 v4, 0x7fc0
	v_bfe_u32 v5, v3, 16, 1
	v_add3_u32 v3, v3, v5, s2
	v_cndmask_b32_sdwa v3, v4, v3, vcc dst_sel:DWORD dst_unused:UNUSED_PAD src0_sel:DWORD src1_sel:WORD_1
	global_store_short v[0:1], v3, off
	s_mov_b64 s[6:7], -1
	s_mov_b64 s[2:3], 0
.LBB481_384:
	s_mov_b64 s[8:9], 0
.LBB481_385:
	s_and_b64 vcc, exec, s[8:9]
	s_cbranch_vccz .LBB481_388
; %bb.386:
	s_cmp_eq_u32 s13, 11
	s_mov_b64 s[2:3], -1
	s_cbranch_scc0 .LBB481_388
; %bb.387:
	v_and_b32_e32 v3, 0x7fff, v2
	v_cmp_ne_u16_e32 vcc, 0, v3
	s_mov_b64 s[6:7], -1
	s_mov_b64 s[2:3], 0
	v_cndmask_b32_e64 v3, 0, 1, vcc
	global_store_byte v[0:1], v3, off
.LBB481_388:
	s_mov_b64 s[8:9], 0
.LBB481_389:
	s_and_b64 vcc, exec, s[8:9]
	s_cbranch_vccz .LBB481_428
; %bb.390:
	s_and_b32 s8, 0xffff, s12
	s_cmp_lt_i32 s8, 5
	s_mov_b64 s[6:7], -1
	s_cbranch_scc1 .LBB481_411
; %bb.391:
	s_cmp_lt_i32 s8, 8
	s_cbranch_scc1 .LBB481_401
; %bb.392:
	s_cmp_lt_i32 s8, 9
	s_cbranch_scc1 .LBB481_398
; %bb.393:
	s_cmp_gt_i32 s8, 9
	s_cbranch_scc0 .LBB481_395
; %bb.394:
	v_cvt_f32_f16_e32 v3, v2
	v_mov_b32_e32 v6, 0
	v_mov_b32_e32 v7, v6
	s_mov_b64 s[6:7], 0
	v_cvt_f64_f32_e32 v[4:5], v3
	global_store_dwordx4 v[0:1], v[4:7], off
.LBB481_395:
	s_andn2_b64 vcc, exec, s[6:7]
	s_cbranch_vccnz .LBB481_397
; %bb.396:
	v_cvt_f32_f16_e32 v4, v2
	v_mov_b32_e32 v5, 0
	global_store_dwordx2 v[0:1], v[4:5], off
.LBB481_397:
	s_mov_b64 s[6:7], 0
.LBB481_398:
	s_andn2_b64 vcc, exec, s[6:7]
	s_cbranch_vccnz .LBB481_400
; %bb.399:
	v_and_b32_e32 v3, 0xffff, v2
	global_store_dword v[0:1], v3, off
.LBB481_400:
	s_mov_b64 s[6:7], 0
.LBB481_401:
	s_andn2_b64 vcc, exec, s[6:7]
	s_cbranch_vccnz .LBB481_410
; %bb.402:
	s_cmp_lt_i32 s8, 6
	s_mov_b64 s[6:7], -1
	s_cbranch_scc1 .LBB481_408
; %bb.403:
	s_cmp_gt_i32 s8, 6
	s_cbranch_scc0 .LBB481_405
; %bb.404:
	v_cvt_f32_f16_e32 v3, v2
	s_mov_b64 s[6:7], 0
	v_cvt_f64_f32_e32 v[4:5], v3
	global_store_dwordx2 v[0:1], v[4:5], off
.LBB481_405:
	s_andn2_b64 vcc, exec, s[6:7]
	s_cbranch_vccnz .LBB481_407
; %bb.406:
	v_cvt_f32_f16_e32 v3, v2
	global_store_dword v[0:1], v3, off
.LBB481_407:
	s_mov_b64 s[6:7], 0
.LBB481_408:
	s_andn2_b64 vcc, exec, s[6:7]
	s_cbranch_vccnz .LBB481_410
; %bb.409:
	global_store_short v[0:1], v2, off
.LBB481_410:
	s_mov_b64 s[6:7], 0
.LBB481_411:
	s_andn2_b64 vcc, exec, s[6:7]
	s_cbranch_vccnz .LBB481_427
; %bb.412:
	s_cmp_lt_i32 s8, 2
	s_mov_b64 s[6:7], -1
	s_cbranch_scc1 .LBB481_422
; %bb.413:
	s_cmp_lt_i32 s8, 3
	s_cbranch_scc1 .LBB481_419
; %bb.414:
	s_cmp_gt_i32 s8, 3
	s_cbranch_scc0 .LBB481_416
; %bb.415:
	v_cvt_f32_f16_e32 v3, v2
	s_mov_b64 s[6:7], 0
	v_cvt_i32_f32_e32 v4, v3
	v_ashrrev_i32_e32 v5, 31, v4
	global_store_dwordx2 v[0:1], v[4:5], off
.LBB481_416:
	s_andn2_b64 vcc, exec, s[6:7]
	s_cbranch_vccnz .LBB481_418
; %bb.417:
	v_cvt_f32_f16_e32 v3, v2
	v_cvt_i32_f32_e32 v3, v3
	global_store_dword v[0:1], v3, off
.LBB481_418:
	s_mov_b64 s[6:7], 0
.LBB481_419:
	s_andn2_b64 vcc, exec, s[6:7]
	s_cbranch_vccnz .LBB481_421
; %bb.420:
	v_cvt_i16_f16_e32 v3, v2
	global_store_short v[0:1], v3, off
.LBB481_421:
	s_mov_b64 s[6:7], 0
.LBB481_422:
	s_andn2_b64 vcc, exec, s[6:7]
	s_cbranch_vccnz .LBB481_427
; %bb.423:
	s_cmp_gt_i32 s8, 0
	s_mov_b64 s[6:7], -1
	s_cbranch_scc0 .LBB481_425
; %bb.424:
	v_cvt_i16_f16_e32 v3, v2
	s_mov_b64 s[6:7], 0
	global_store_byte v[0:1], v3, off
.LBB481_425:
	s_andn2_b64 vcc, exec, s[6:7]
	s_cbranch_vccnz .LBB481_427
; %bb.426:
	v_cvt_f32_f16_e32 v2, v2
	v_cvt_i32_f32_e32 v2, v2
	global_store_byte v[0:1], v2, off
.LBB481_427:
	s_mov_b64 s[6:7], -1
.LBB481_428:
	s_andn2_b64 vcc, exec, s[6:7]
	s_cbranch_vccnz .LBB481_430
; %bb.429:
	v_add_u32_e32 v8, 0x80, v8
	s_mov_b64 s[6:7], -1
	s_branch .LBB481_543
.LBB481_430:
	s_mov_b64 s[6:7], 0
	s_branch .LBB481_542
.LBB481_431:
	s_mov_b64 s[4:5], -1
                                        ; implicit-def: $vgpr1
.LBB481_432:
	s_mov_b64 s[6:7], 0
.LBB481_433:
	s_and_b64 vcc, exec, s[6:7]
	s_cbranch_vccz .LBB481_437
; %bb.434:
	s_cmp_eq_u32 s10, 29
	s_cbranch_scc0 .LBB481_436
; %bb.435:
	global_load_dwordx2 v[4:5], v[2:3], off
	s_mov_b64 s[2:3], -1
	s_mov_b64 s[4:5], 0
	s_mov_b64 s[6:7], 0
	s_waitcnt vmcnt(0)
	v_ffbh_u32_e32 v1, v5
	v_min_u32_e32 v1, 32, v1
	v_lshlrev_b64 v[4:5], v1, v[4:5]
	v_min_u32_e32 v4, 1, v4
	v_or_b32_e32 v4, v5, v4
	v_cvt_f32_u32_e32 v4, v4
	v_sub_u32_e32 v1, 32, v1
	v_ldexp_f32 v1, v4, v1
	v_cvt_f16_f32_e32 v1, v1
	s_branch .LBB481_438
.LBB481_436:
	s_mov_b64 s[4:5], -1
                                        ; implicit-def: $vgpr1
.LBB481_437:
	s_mov_b64 s[6:7], 0
.LBB481_438:
	s_and_b64 vcc, exec, s[6:7]
	s_cbranch_vccz .LBB481_456
; %bb.439:
	s_cmp_lt_i32 s10, 27
	s_cbranch_scc1 .LBB481_442
; %bb.440:
	s_cmp_gt_i32 s10, 27
	s_cbranch_scc0 .LBB481_443
; %bb.441:
	global_load_dword v1, v[2:3], off
	s_mov_b64 s[2:3], 0
	s_waitcnt vmcnt(0)
	v_cvt_f32_u32_e32 v1, v1
	v_cvt_f16_f32_e32 v1, v1
	s_branch .LBB481_444
.LBB481_442:
	s_mov_b64 s[2:3], -1
                                        ; implicit-def: $vgpr1
	s_branch .LBB481_447
.LBB481_443:
	s_mov_b64 s[2:3], -1
                                        ; implicit-def: $vgpr1
.LBB481_444:
	s_andn2_b64 vcc, exec, s[2:3]
	s_cbranch_vccnz .LBB481_446
; %bb.445:
	global_load_ushort v1, v[2:3], off
	s_waitcnt vmcnt(0)
	v_cvt_f16_u16_e32 v1, v1
.LBB481_446:
	s_mov_b64 s[2:3], 0
.LBB481_447:
	s_andn2_b64 vcc, exec, s[2:3]
	s_cbranch_vccnz .LBB481_455
; %bb.448:
	global_load_ubyte v4, v[2:3], off
	s_movk_i32 s2, 0x7f
	s_waitcnt vmcnt(0)
	v_cmp_lt_i16_e32 vcc, s2, v4
	s_mov_b64 s[2:3], 0
	s_and_saveexec_b64 s[6:7], vcc
	s_xor_b64 s[6:7], exec, s[6:7]
	s_cbranch_execz .LBB481_469
; %bb.449:
	s_movk_i32 s2, 0x80
	v_cmp_eq_u16_e32 vcc, s2, v4
	s_mov_b64 s[2:3], -1
	s_and_saveexec_b64 s[8:9], vcc
; %bb.450:
	s_xor_b64 s[2:3], exec, -1
; %bb.451:
	s_or_b64 exec, exec, s[8:9]
	s_and_b64 s[2:3], s[2:3], exec
	s_or_saveexec_b64 s[6:7], s[6:7]
	v_mov_b32_e32 v1, 0x7e00
	s_xor_b64 exec, exec, s[6:7]
	s_cbranch_execnz .LBB481_470
.LBB481_452:
	s_or_b64 exec, exec, s[6:7]
	s_and_saveexec_b64 s[6:7], s[2:3]
	s_cbranch_execz .LBB481_454
.LBB481_453:
	v_lshlrev_b32_e32 v1, 24, v4
	v_and_b32_e32 v4, 0xffff, v4
	v_and_b32_e32 v5, 7, v4
	v_ffbh_u32_e32 v7, v5
	v_min_u32_e32 v7, 32, v7
	v_subrev_u32_e32 v9, 28, v7
	v_bfe_u32 v6, v4, 3, 4
	v_lshlrev_b32_e32 v4, v9, v4
	v_sub_u32_e32 v7, 29, v7
	v_and_b32_e32 v4, 7, v4
	v_cmp_eq_u32_e32 vcc, 0, v6
	v_and_b32_e32 v1, 0x80000000, v1
	s_nop 0
	v_cndmask_b32_e32 v6, v6, v7, vcc
	v_cndmask_b32_e32 v4, v5, v4, vcc
	v_mov_b32_e32 v5, 0x3b800000
	v_lshlrev_b32_e32 v4, 20, v4
	v_lshl_add_u32 v5, v6, 23, v5
	v_or3_b32 v1, v1, v5, v4
	v_cvt_f16_f32_e32 v1, v1
.LBB481_454:
	s_or_b64 exec, exec, s[6:7]
.LBB481_455:
	s_mov_b64 s[2:3], -1
.LBB481_456:
	s_mov_b64 s[6:7], 0
.LBB481_457:
	s_and_b64 vcc, exec, s[6:7]
	s_cbranch_vccz .LBB481_492
; %bb.458:
	s_cmp_gt_i32 s10, 22
	s_cbranch_scc0 .LBB481_468
; %bb.459:
	s_cmp_lt_i32 s10, 24
	s_cbranch_scc1 .LBB481_471
; %bb.460:
	s_cmp_gt_i32 s10, 24
	s_cbranch_scc0 .LBB481_472
; %bb.461:
	global_load_ubyte v4, v[2:3], off
	s_movk_i32 s2, 0x7f
	s_waitcnt vmcnt(0)
	v_cmp_lt_i16_e32 vcc, s2, v4
	s_mov_b64 s[2:3], 0
	s_and_saveexec_b64 s[6:7], vcc
	s_xor_b64 s[6:7], exec, s[6:7]
	s_cbranch_execz .LBB481_484
; %bb.462:
	s_movk_i32 s2, 0x80
	v_cmp_eq_u16_e32 vcc, s2, v4
	s_mov_b64 s[2:3], -1
	s_and_saveexec_b64 s[8:9], vcc
; %bb.463:
	s_xor_b64 s[2:3], exec, -1
; %bb.464:
	s_or_b64 exec, exec, s[8:9]
	s_and_b64 s[2:3], s[2:3], exec
	s_or_saveexec_b64 s[6:7], s[6:7]
	v_mov_b32_e32 v1, 0x7e00
	s_xor_b64 exec, exec, s[6:7]
	s_cbranch_execnz .LBB481_485
.LBB481_465:
	s_or_b64 exec, exec, s[6:7]
	s_and_saveexec_b64 s[6:7], s[2:3]
	s_cbranch_execz .LBB481_467
.LBB481_466:
	v_lshlrev_b32_e32 v1, 24, v4
	v_and_b32_e32 v4, 0xffff, v4
	v_and_b32_e32 v5, 3, v4
	v_ffbh_u32_e32 v7, v5
	v_min_u32_e32 v7, 32, v7
	v_subrev_u32_e32 v9, 29, v7
	v_bfe_u32 v6, v4, 2, 5
	v_lshlrev_b32_e32 v4, v9, v4
	v_sub_u32_e32 v7, 30, v7
	v_and_b32_e32 v4, 3, v4
	v_cmp_eq_u32_e32 vcc, 0, v6
	v_and_b32_e32 v1, 0x80000000, v1
	s_nop 0
	v_cndmask_b32_e32 v6, v6, v7, vcc
	v_cndmask_b32_e32 v4, v5, v4, vcc
	v_mov_b32_e32 v5, 0x37800000
	v_lshlrev_b32_e32 v4, 21, v4
	v_lshl_add_u32 v5, v6, 23, v5
	v_or3_b32 v1, v1, v5, v4
	v_cvt_f16_f32_e32 v1, v1
.LBB481_467:
	s_or_b64 exec, exec, s[6:7]
	s_mov_b64 s[2:3], 0
	s_branch .LBB481_473
.LBB481_468:
	s_mov_b64 s[6:7], -1
                                        ; implicit-def: $vgpr1
	s_branch .LBB481_479
.LBB481_469:
	s_or_saveexec_b64 s[6:7], s[6:7]
	v_mov_b32_e32 v1, 0x7e00
	s_xor_b64 exec, exec, s[6:7]
	s_cbranch_execz .LBB481_452
.LBB481_470:
	v_cmp_ne_u16_e32 vcc, 0, v4
	s_andn2_b64 s[2:3], s[2:3], exec
	s_and_b64 s[8:9], vcc, exec
	s_or_b64 s[2:3], s[2:3], s[8:9]
	v_mov_b32_e32 v1, v4
	s_or_b64 exec, exec, s[6:7]
	s_and_saveexec_b64 s[6:7], s[2:3]
	s_cbranch_execnz .LBB481_453
	s_branch .LBB481_454
.LBB481_471:
	s_mov_b64 s[2:3], -1
                                        ; implicit-def: $vgpr1
	s_branch .LBB481_476
.LBB481_472:
	s_mov_b64 s[2:3], -1
                                        ; implicit-def: $vgpr1
.LBB481_473:
	s_and_b64 vcc, exec, s[2:3]
	s_cbranch_vccz .LBB481_475
; %bb.474:
	global_load_ubyte v1, v[2:3], off
	s_mov_b32 s2, 0x7f800000
	s_waitcnt vmcnt(0)
	v_lshlrev_b32_e32 v1, 24, v1
	v_and_b32_e32 v4, 0x7f000000, v1
	v_ffbh_u32_e32 v5, v4
	v_min_u32_e32 v5, 32, v5
	v_sub_u32_e64 v5, v5, 4 clamp
	v_lshlrev_b32_e32 v7, v5, v4
	v_lshlrev_b32_e32 v5, 23, v5
	v_lshrrev_b32_e32 v7, 4, v7
	v_add_u32_e32 v6, 0x1000000, v4
	v_sub_u32_e32 v5, v7, v5
	v_ashrrev_i32_e32 v6, 8, v6
	v_add_u32_e32 v5, 0x3c000000, v5
	v_and_or_b32 v5, v6, s2, v5
	v_cmp_ne_u32_e32 vcc, 0, v4
	s_brev_b32 s2, 1
	s_nop 0
	v_cndmask_b32_e32 v4, 0, v5, vcc
	v_and_or_b32 v1, v1, s2, v4
	v_cvt_f16_f32_e32 v1, v1
.LBB481_475:
	s_mov_b64 s[2:3], 0
.LBB481_476:
	s_andn2_b64 vcc, exec, s[2:3]
	s_cbranch_vccnz .LBB481_478
; %bb.477:
	global_load_ubyte v1, v[2:3], off
	s_movk_i32 s2, 0x7f00
	s_brev_b32 s3, 16
	s_waitcnt vmcnt(0)
	v_lshlrev_b16_e32 v4, 8, v1
	v_lshlrev_b32_e32 v1, 25, v1
	v_lshrrev_b32_e32 v5, 4, v1
	v_and_or_b32 v6, v4, s2, 0.5
	v_or_b32_e32 v5, 0x70000000, v5
	v_add_f32_e32 v6, -0.5, v6
	v_mul_f32_e32 v5, 0x7800000, v5
	v_cmp_gt_u32_e32 vcc, s3, v1
	v_bfe_i32 v4, v4, 0, 16
	s_brev_b32 s2, 1
	v_cndmask_b32_e32 v1, v5, v6, vcc
	v_and_or_b32 v1, v4, s2, v1
	v_cvt_f16_f32_e32 v1, v1
.LBB481_478:
	s_mov_b64 s[6:7], 0
	s_mov_b64 s[2:3], -1
.LBB481_479:
	s_andn2_b64 vcc, exec, s[6:7]
	s_cbranch_vccnz .LBB481_492
; %bb.480:
	s_cmp_gt_i32 s10, 14
	s_cbranch_scc0 .LBB481_483
; %bb.481:
	s_cmp_eq_u32 s10, 15
	s_cbranch_scc0 .LBB481_486
; %bb.482:
	global_load_ushort v1, v[2:3], off
	s_mov_b64 s[2:3], -1
	s_mov_b64 s[4:5], 0
	s_waitcnt vmcnt(0)
	v_lshlrev_b32_e32 v1, 16, v1
	v_cvt_f16_f32_e32 v1, v1
	s_branch .LBB481_487
.LBB481_483:
	s_mov_b64 s[6:7], -1
                                        ; implicit-def: $vgpr1
	s_branch .LBB481_488
.LBB481_484:
	s_or_saveexec_b64 s[6:7], s[6:7]
	v_mov_b32_e32 v1, 0x7e00
	s_xor_b64 exec, exec, s[6:7]
	s_cbranch_execz .LBB481_465
.LBB481_485:
	v_cmp_ne_u16_e32 vcc, 0, v4
	s_andn2_b64 s[2:3], s[2:3], exec
	s_and_b64 s[8:9], vcc, exec
	s_or_b64 s[2:3], s[2:3], s[8:9]
	v_mov_b32_e32 v1, v4
	s_or_b64 exec, exec, s[6:7]
	s_and_saveexec_b64 s[6:7], s[2:3]
	s_cbranch_execnz .LBB481_466
	s_branch .LBB481_467
.LBB481_486:
	s_mov_b64 s[4:5], -1
                                        ; implicit-def: $vgpr1
.LBB481_487:
	s_mov_b64 s[6:7], 0
.LBB481_488:
	s_and_b64 vcc, exec, s[6:7]
	s_cbranch_vccz .LBB481_492
; %bb.489:
	s_cmp_eq_u32 s10, 11
	s_cbranch_scc0 .LBB481_491
; %bb.490:
	global_load_ubyte v1, v[2:3], off
	v_mov_b32_e32 v4, 0x3c00
	s_mov_b64 s[2:3], -1
	s_mov_b64 s[4:5], 0
	s_waitcnt vmcnt(0)
	v_cmp_ne_u16_e32 vcc, 0, v1
	s_nop 1
	v_cndmask_b32_e32 v1, 0, v4, vcc
	s_branch .LBB481_492
.LBB481_491:
	s_mov_b64 s[4:5], -1
                                        ; implicit-def: $vgpr1
.LBB481_492:
	s_branch .LBB481_295
.LBB481_493:
	s_cmp_lt_i32 s10, 5
	s_cbranch_scc1 .LBB481_498
; %bb.494:
	s_cmp_lt_i32 s10, 8
	s_cbranch_scc1 .LBB481_499
; %bb.495:
	;; [unrolled: 3-line block ×3, first 2 shown]
	s_cmp_gt_i32 s10, 9
	s_cbranch_scc0 .LBB481_501
; %bb.497:
	global_load_dwordx2 v[4:5], v[2:3], off
	s_movk_i32 s2, 0x1ff
	s_movk_i32 s3, 0xffe
	s_waitcnt vmcnt(1)
	v_mov_b32_e32 v1, 0x7c00
	v_mov_b32_e32 v6, 0x7e00
	s_movk_i32 s6, 0x40f
	s_mov_b32 s7, 0x8000
	s_waitcnt vmcnt(0)
	v_and_or_b32 v4, v5, s2, v4
	v_cmp_ne_u32_e32 vcc, 0, v4
	v_lshrrev_b32_e32 v7, 8, v5
	v_bfe_u32 v9, v5, 20, 11
	v_cndmask_b32_e64 v4, 0, 1, vcc
	v_sub_u32_e32 v10, 0x3f1, v9
	v_and_or_b32 v4, v7, s3, v4
	v_add_u32_e32 v9, 0xfffffc10, v9
	v_med3_i32 v7, v10, 0, 13
	v_or_b32_e32 v10, 0x1000, v4
	v_cmp_ne_u32_e32 vcc, 0, v4
	v_lshl_or_b32 v11, v9, 12, v4
	v_lshrrev_b32_e32 v5, 16, v5
	v_cndmask_b32_e32 v4, v1, v6, vcc
	v_lshrrev_b32_e32 v6, v7, v10
	v_lshlrev_b32_e32 v7, v7, v6
	v_cmp_ne_u32_e32 vcc, v7, v10
	s_mov_b64 s[2:3], 0
	s_nop 0
	v_cndmask_b32_e64 v7, 0, 1, vcc
	v_or_b32_e32 v6, v6, v7
	v_cmp_gt_i32_e32 vcc, 1, v9
	s_nop 1
	v_cndmask_b32_e32 v6, v11, v6, vcc
	v_and_b32_e32 v7, 7, v6
	v_cmp_lt_i32_e32 vcc, 5, v7
	v_lshrrev_b32_e32 v6, 2, v6
	s_nop 0
	v_cndmask_b32_e64 v10, 0, 1, vcc
	v_cmp_eq_u32_e32 vcc, 3, v7
	s_nop 1
	v_cndmask_b32_e64 v7, 0, 1, vcc
	v_or_b32_e32 v7, v7, v10
	v_add_u32_e32 v6, v6, v7
	v_cmp_gt_i32_e32 vcc, 31, v9
	s_nop 1
	v_cndmask_b32_e32 v1, v1, v6, vcc
	v_cmp_eq_u32_e32 vcc, s6, v9
	s_nop 1
	v_cndmask_b32_e32 v1, v1, v4, vcc
	v_and_or_b32 v1, v5, s7, v1
	s_branch .LBB481_502
.LBB481_498:
	s_mov_b64 s[2:3], -1
                                        ; implicit-def: $vgpr1
	s_branch .LBB481_520
.LBB481_499:
	s_mov_b64 s[2:3], -1
                                        ; implicit-def: $vgpr1
	s_branch .LBB481_508
.LBB481_500:
	s_mov_b64 s[2:3], -1
                                        ; implicit-def: $vgpr1
	s_branch .LBB481_505
.LBB481_501:
	s_mov_b64 s[2:3], -1
                                        ; implicit-def: $vgpr1
.LBB481_502:
	s_andn2_b64 vcc, exec, s[2:3]
	s_cbranch_vccnz .LBB481_504
; %bb.503:
	global_load_dword v1, v[2:3], off
	s_waitcnt vmcnt(0)
	v_cvt_f16_f32_e32 v1, v1
.LBB481_504:
	s_mov_b64 s[2:3], 0
.LBB481_505:
	s_andn2_b64 vcc, exec, s[2:3]
	s_cbranch_vccnz .LBB481_507
; %bb.506:
	global_load_dword v1, v[2:3], off
.LBB481_507:
	s_mov_b64 s[2:3], 0
.LBB481_508:
	s_andn2_b64 vcc, exec, s[2:3]
	s_cbranch_vccnz .LBB481_519
; %bb.509:
	s_cmp_lt_i32 s10, 6
	s_cbranch_scc1 .LBB481_512
; %bb.510:
	s_cmp_gt_i32 s10, 6
	s_cbranch_scc0 .LBB481_513
; %bb.511:
	global_load_dwordx2 v[4:5], v[2:3], off
	s_movk_i32 s2, 0x1ff
	s_movk_i32 s3, 0xffe
	s_waitcnt vmcnt(1)
	v_mov_b32_e32 v1, 0x7c00
	v_mov_b32_e32 v6, 0x7e00
	s_movk_i32 s6, 0x40f
	s_mov_b32 s7, 0x8000
	s_waitcnt vmcnt(0)
	v_and_or_b32 v4, v5, s2, v4
	v_cmp_ne_u32_e32 vcc, 0, v4
	v_lshrrev_b32_e32 v7, 8, v5
	v_bfe_u32 v9, v5, 20, 11
	v_cndmask_b32_e64 v4, 0, 1, vcc
	v_sub_u32_e32 v10, 0x3f1, v9
	v_and_or_b32 v4, v7, s3, v4
	v_add_u32_e32 v9, 0xfffffc10, v9
	v_med3_i32 v7, v10, 0, 13
	v_or_b32_e32 v10, 0x1000, v4
	v_cmp_ne_u32_e32 vcc, 0, v4
	v_lshl_or_b32 v11, v9, 12, v4
	v_lshrrev_b32_e32 v5, 16, v5
	v_cndmask_b32_e32 v4, v1, v6, vcc
	v_lshrrev_b32_e32 v6, v7, v10
	v_lshlrev_b32_e32 v7, v7, v6
	v_cmp_ne_u32_e32 vcc, v7, v10
	s_mov_b64 s[2:3], 0
	s_nop 0
	v_cndmask_b32_e64 v7, 0, 1, vcc
	v_or_b32_e32 v6, v6, v7
	v_cmp_gt_i32_e32 vcc, 1, v9
	s_nop 1
	v_cndmask_b32_e32 v6, v11, v6, vcc
	v_and_b32_e32 v7, 7, v6
	v_cmp_lt_i32_e32 vcc, 5, v7
	v_lshrrev_b32_e32 v6, 2, v6
	s_nop 0
	v_cndmask_b32_e64 v10, 0, 1, vcc
	v_cmp_eq_u32_e32 vcc, 3, v7
	s_nop 1
	v_cndmask_b32_e64 v7, 0, 1, vcc
	v_or_b32_e32 v7, v7, v10
	v_add_u32_e32 v6, v6, v7
	v_cmp_gt_i32_e32 vcc, 31, v9
	s_nop 1
	v_cndmask_b32_e32 v1, v1, v6, vcc
	v_cmp_eq_u32_e32 vcc, s6, v9
	s_nop 1
	v_cndmask_b32_e32 v1, v1, v4, vcc
	v_and_or_b32 v1, v5, s7, v1
	s_branch .LBB481_514
.LBB481_512:
	s_mov_b64 s[2:3], -1
                                        ; implicit-def: $vgpr1
	s_branch .LBB481_517
.LBB481_513:
	s_mov_b64 s[2:3], -1
                                        ; implicit-def: $vgpr1
.LBB481_514:
	s_andn2_b64 vcc, exec, s[2:3]
	s_cbranch_vccnz .LBB481_516
; %bb.515:
	global_load_dword v1, v[2:3], off
	s_waitcnt vmcnt(0)
	v_cvt_f16_f32_e32 v1, v1
.LBB481_516:
	s_mov_b64 s[2:3], 0
.LBB481_517:
	s_andn2_b64 vcc, exec, s[2:3]
	s_cbranch_vccnz .LBB481_519
; %bb.518:
	global_load_ushort v1, v[2:3], off
.LBB481_519:
	s_mov_b64 s[2:3], 0
.LBB481_520:
	s_andn2_b64 vcc, exec, s[2:3]
	s_cbranch_vccnz .LBB481_540
; %bb.521:
	s_cmp_lt_i32 s10, 2
	s_cbranch_scc1 .LBB481_525
; %bb.522:
	s_cmp_lt_i32 s10, 3
	s_cbranch_scc1 .LBB481_526
; %bb.523:
	s_cmp_gt_i32 s10, 3
	s_cbranch_scc0 .LBB481_527
; %bb.524:
	global_load_dwordx2 v[4:5], v[2:3], off
	s_mov_b64 s[2:3], 0
	s_waitcnt vmcnt(0)
	v_xor_b32_e32 v6, v4, v5
	v_ffbh_i32_e32 v1, v5
	v_ashrrev_i32_e32 v6, 31, v6
	v_add_u32_e32 v1, -1, v1
	v_add_u32_e32 v6, 32, v6
	v_min_u32_e32 v1, v1, v6
	v_lshlrev_b64 v[4:5], v1, v[4:5]
	v_min_u32_e32 v4, 1, v4
	v_or_b32_e32 v4, v5, v4
	v_cvt_f32_i32_e32 v4, v4
	v_sub_u32_e32 v1, 32, v1
	v_ldexp_f32 v1, v4, v1
	v_cvt_f16_f32_e32 v1, v1
	s_branch .LBB481_528
.LBB481_525:
	s_mov_b64 s[2:3], -1
                                        ; implicit-def: $vgpr1
	s_branch .LBB481_534
.LBB481_526:
	s_mov_b64 s[2:3], -1
                                        ; implicit-def: $vgpr1
	s_branch .LBB481_531
.LBB481_527:
	s_mov_b64 s[2:3], -1
                                        ; implicit-def: $vgpr1
.LBB481_528:
	s_andn2_b64 vcc, exec, s[2:3]
	s_cbranch_vccnz .LBB481_530
; %bb.529:
	global_load_dword v1, v[2:3], off
	s_waitcnt vmcnt(0)
	v_cvt_f32_i32_e32 v1, v1
	v_cvt_f16_f32_e32 v1, v1
.LBB481_530:
	s_mov_b64 s[2:3], 0
.LBB481_531:
	s_andn2_b64 vcc, exec, s[2:3]
	s_cbranch_vccnz .LBB481_533
; %bb.532:
	global_load_ushort v1, v[2:3], off
	s_waitcnt vmcnt(0)
	v_cvt_f16_i16_e32 v1, v1
.LBB481_533:
	s_mov_b64 s[2:3], 0
.LBB481_534:
	s_andn2_b64 vcc, exec, s[2:3]
	s_cbranch_vccnz .LBB481_540
; %bb.535:
	s_cmp_gt_i32 s10, 0
	s_cbranch_scc0 .LBB481_537
; %bb.536:
	global_load_sbyte v1, v[2:3], off
	s_mov_b64 s[2:3], 0
	s_waitcnt vmcnt(0)
	v_cvt_f16_i16_e32 v1, v1
	s_branch .LBB481_538
.LBB481_537:
	s_mov_b64 s[2:3], -1
                                        ; implicit-def: $vgpr1
.LBB481_538:
	s_andn2_b64 vcc, exec, s[2:3]
	s_cbranch_vccnz .LBB481_540
; %bb.539:
	global_load_ubyte v1, v[2:3], off
	s_waitcnt vmcnt(0)
	v_cvt_f16_u16_e32 v1, v1
.LBB481_540:
	s_branch .LBB481_296
.LBB481_541:
	s_mov_b64 s[6:7], 0
	s_mov_b64 s[2:3], s[54:55]
.LBB481_542:
                                        ; implicit-def: $vgpr8
.LBB481_543:
	s_andn2_b64 s[8:9], s[54:55], exec
	s_and_b64 s[2:3], s[2:3], exec
	s_or_b64 s[62:63], s[8:9], s[2:3]
	s_andn2_b64 s[2:3], s[56:57], exec
	s_and_b64 s[4:5], s[4:5], exec
	s_or_b64 s[60:61], s[2:3], s[4:5]
	s_orn2_b64 s[2:3], s[6:7], exec
.LBB481_544:
	s_or_b64 exec, exec, s[64:65]
	s_mov_b64 s[4:5], 0
	s_mov_b64 s[6:7], 0
	;; [unrolled: 1-line block ×3, first 2 shown]
                                        ; implicit-def: $vgpr2_vgpr3
                                        ; implicit-def: $vgpr0
                                        ; implicit-def: $vgpr1
	s_and_saveexec_b64 s[64:65], s[2:3]
	s_cbranch_execz .LBB481_921
; %bb.545:
	v_cmp_gt_i32_e32 vcc, s70, v8
	s_mov_b64 s[6:7], -1
	s_mov_b64 s[2:3], s[60:61]
	s_mov_b64 s[68:69], s[62:63]
	s_and_saveexec_b64 s[66:67], vcc
	s_cbranch_execz .LBB481_820
; %bb.546:
	s_andn2_b64 vcc, exec, s[42:43]
	s_cbranch_vccnz .LBB481_552
; %bb.547:
	s_andn2_b64 vcc, exec, s[52:53]
	s_cbranch_vccnz .LBB481_553
; %bb.548:
	s_add_i32 s77, s76, 1
	s_cmp_eq_u32 s72, 2
	s_cbranch_scc1 .LBB481_554
; %bb.549:
	s_and_b32 s71, s77, 28
	s_mov_b32 s78, 0
	v_mov_b32_e32 v0, 0
	v_mov_b32_e32 v2, 0
	s_mov_b64 s[2:3], s[34:35]
	s_mov_b64 s[68:69], s[50:51]
	v_mov_b32_e32 v4, v8
.LBB481_550:                            ; =>This Inner Loop Header: Depth=1
	s_load_dwordx8 s[12:19], s[2:3], 0x4
	s_load_dwordx4 s[36:39], s[2:3], 0x24
	s_load_dwordx8 s[4:11], s[68:69], 0x0
	s_add_u32 s2, s2, 48
	s_addc_u32 s3, s3, 0
	s_waitcnt vmcnt(0) lgkmcnt(0)
	v_mul_hi_u32 v1, s13, v4
	v_add_u32_e32 v1, v4, v1
	v_lshrrev_b32_e32 v1, s14, v1
	v_mul_lo_u32 v3, v1, s12
	v_mul_hi_u32 v5, s16, v1
	v_sub_u32_e32 v3, v4, v3
	v_add_u32_e32 v4, v1, v5
	v_lshrrev_b32_e32 v4, s17, v4
	v_mul_lo_u32 v6, v4, s15
	v_mul_hi_u32 v7, s19, v4
	v_sub_u32_e32 v1, v1, v6
	v_add_u32_e32 v6, v4, v7
	v_mul_lo_u32 v5, v3, s5
	v_mul_lo_u32 v3, v3, s4
	;; [unrolled: 1-line block ×4, first 2 shown]
	v_lshrrev_b32_e32 v6, s36, v6
	v_add3_u32 v0, v3, v0, v1
	v_mul_hi_u32 v3, s38, v6
	v_add3_u32 v1, v5, v2, v7
	v_mul_lo_u32 v2, v6, s18
	v_add_u32_e32 v3, v6, v3
	v_sub_u32_e32 v2, v4, v2
	v_lshrrev_b32_e32 v4, s39, v3
	s_add_i32 s78, s78, 4
	v_mul_lo_u32 v3, v4, s37
	s_add_u32 s68, s68, 32
	v_sub_u32_e32 v3, v6, v3
	s_addc_u32 s69, s69, 0
	v_mul_lo_u32 v5, v2, s8
	v_mul_lo_u32 v2, v2, s9
	;; [unrolled: 1-line block ×4, first 2 shown]
	s_cmp_eq_u32 s71, s78
	v_add3_u32 v2, v2, v1, v3
	v_add3_u32 v0, v5, v0, v6
	s_cbranch_scc0 .LBB481_550
; %bb.551:
	v_mov_b32_e32 v1, v2
	s_branch .LBB481_555
.LBB481_552:
	s_mov_b64 s[2:3], -1
                                        ; implicit-def: $vgpr2
                                        ; implicit-def: $vgpr0
	s_branch .LBB481_559
.LBB481_553:
	v_mov_b32_e32 v2, 0
	v_mov_b32_e32 v0, 0
	s_branch .LBB481_558
.LBB481_554:
	v_mov_b32_e32 v0, 0
	s_mov_b32 s71, 0
	s_waitcnt vmcnt(0)
	v_mov_b32_e32 v1, v0
                                        ; implicit-def: $vgpr2
	v_mov_b32_e32 v4, v8
.LBB481_555:
	s_and_b32 s6, s77, 3
	s_cmp_eq_u32 s6, 0
	s_cbranch_scc1 .LBB481_558
; %bb.556:
	s_lshl_b32 s2, s71, 3
	s_add_u32 s2, s34, s2
	s_addc_u32 s3, s35, 0
	s_add_u32 s2, s2, 0xc4
	s_addc_u32 s3, s3, 0
	s_mul_i32 s4, s71, 12
	s_add_u32 s4, s34, s4
	s_addc_u32 s5, s35, 0
.LBB481_557:                            ; =>This Inner Loop Header: Depth=1
	s_load_dwordx2 s[8:9], s[4:5], 0x4
	s_load_dword s7, s[4:5], 0xc
	s_load_dwordx2 s[10:11], s[2:3], 0x0
	v_mov_b32_e32 v2, v1
	s_add_u32 s4, s4, 12
	s_waitcnt lgkmcnt(0)
	v_mul_hi_u32 v1, s9, v4
	v_add_u32_e32 v1, v4, v1
	v_lshrrev_b32_e32 v1, s7, v1
	s_addc_u32 s5, s5, 0
	v_mul_lo_u32 v3, v1, s8
	s_add_u32 s2, s2, 8
	v_sub_u32_e32 v5, v4, v3
	s_addc_u32 s3, s3, 0
	s_add_i32 s6, s6, -1
	v_mov_b32_e32 v4, v1
	v_mad_u64_u32 v[2:3], s[8:9], v5, s11, v[2:3]
	v_mad_u64_u32 v[0:1], s[8:9], v5, s10, v[0:1]
	s_cmp_lg_u32 s6, 0
	v_mov_b32_e32 v1, v2
	s_cbranch_scc1 .LBB481_557
.LBB481_558:
	s_mov_b64 s[2:3], 0
.LBB481_559:
	s_andn2_b64 vcc, exec, s[2:3]
	s_cbranch_vccnz .LBB481_562
; %bb.560:
	v_mul_hi_u32 v0, s25, v8
	v_add_u32_e32 v0, v8, v0
	s_waitcnt vmcnt(0)
	v_lshrrev_b32_e32 v1, s26, v0
	v_mul_lo_u32 v0, v1, s24
	v_sub_u32_e32 v0, v8, v0
	v_mul_lo_u32 v2, v0, s29
	s_andn2_b64 vcc, exec, s[48:49]
	v_mul_lo_u32 v0, v0, s28
	s_cbranch_vccnz .LBB481_562
; %bb.561:
	v_mul_hi_u32 v3, s46, v1
	v_add_u32_e32 v3, v1, v3
	v_lshrrev_b32_e32 v3, s47, v3
	v_mul_lo_u32 v3, v3, s27
	v_sub_u32_e32 v3, v1, v3
	v_mad_u64_u32 v[0:1], s[2:3], v3, s30, v[0:1]
	v_mad_u64_u32 v[2:3], s[2:3], v3, s31, v[2:3]
.LBB481_562:
	v_mov_b32_e32 v3, 0
	s_and_b32 s10, 0xffff, s75
	s_cmp_lt_i32 s10, 11
	v_lshl_add_u64 v[2:3], s[22:23], 0, v[2:3]
	s_cbranch_scc1 .LBB481_569
; %bb.563:
	s_cmp_gt_i32 s10, 25
	s_cbranch_scc0 .LBB481_570
; %bb.564:
	s_cmp_gt_i32 s10, 28
	s_cbranch_scc0 .LBB481_571
	;; [unrolled: 3-line block ×4, first 2 shown]
; %bb.567:
	s_cmp_eq_u32 s10, 46
	s_mov_b64 s[6:7], 0
	s_cbranch_scc0 .LBB481_578
; %bb.568:
	global_load_dword v1, v[2:3], off
	s_mov_b64 s[2:3], -1
	s_mov_b64 s[4:5], 0
	s_waitcnt vmcnt(0)
	v_lshlrev_b32_e32 v1, 16, v1
	v_cvt_f16_f32_e32 v1, v1
	s_branch .LBB481_579
.LBB481_569:
	s_mov_b64 s[6:7], -1
	s_mov_b64 s[2:3], 0
                                        ; implicit-def: $vgpr1
	s_mov_b64 s[4:5], s[60:61]
	s_branch .LBB481_644
.LBB481_570:
	s_mov_b64 s[6:7], -1
	s_mov_b64 s[2:3], 0
	s_mov_b64 s[4:5], s[60:61]
                                        ; implicit-def: $vgpr1
	s_branch .LBB481_608
.LBB481_571:
	s_mov_b64 s[6:7], -1
	s_mov_b64 s[2:3], 0
	s_mov_b64 s[4:5], s[60:61]
                                        ; implicit-def: $vgpr1
	s_branch .LBB481_589
.LBB481_572:
	s_mov_b64 s[6:7], -1
	s_mov_b64 s[2:3], 0
	s_mov_b64 s[4:5], s[60:61]
                                        ; implicit-def: $vgpr1
	s_branch .LBB481_584
.LBB481_573:
	s_andn2_saveexec_b64 s[10:11], s[10:11]
	s_cbranch_execz .LBB481_341
.LBB481_574:
	s_mov_b32 s14, 0x46000000
	v_add_f32_e64 v4, |v3|, s14
	v_and_b32_e32 v4, 0xff, v4
	v_cmp_ne_u32_e32 vcc, 0, v4
	s_andn2_b64 s[8:9], s[8:9], exec
	s_and_b64 s[14:15], vcc, exec
	s_or_b64 s[8:9], s[8:9], s[14:15]
	s_or_b64 exec, exec, s[10:11]
	v_mov_b32_e32 v5, 0
	s_and_saveexec_b64 s[10:11], s[8:9]
	s_cbranch_execnz .LBB481_342
	s_branch .LBB481_343
.LBB481_575:
	s_mov_b64 s[6:7], -1
	s_mov_b64 s[2:3], 0
	s_mov_b64 s[4:5], s[60:61]
                                        ; implicit-def: $vgpr1
	s_branch .LBB481_579
.LBB481_576:
	s_andn2_saveexec_b64 s[10:11], s[10:11]
	s_cbranch_execz .LBB481_354
.LBB481_577:
	s_mov_b32 s14, 0x42800000
	v_add_f32_e64 v4, |v3|, s14
	v_and_b32_e32 v4, 0xff, v4
	v_cmp_ne_u32_e32 vcc, 0, v4
	s_andn2_b64 s[8:9], s[8:9], exec
	s_and_b64 s[14:15], vcc, exec
	s_or_b64 s[8:9], s[8:9], s[14:15]
	s_or_b64 exec, exec, s[10:11]
	v_mov_b32_e32 v5, 0
	s_and_saveexec_b64 s[10:11], s[8:9]
	s_cbranch_execnz .LBB481_355
	s_branch .LBB481_356
.LBB481_578:
	s_mov_b64 s[4:5], -1
                                        ; implicit-def: $vgpr1
	s_mov_b64 s[2:3], 0
.LBB481_579:
	s_and_b64 vcc, exec, s[6:7]
	s_cbranch_vccz .LBB481_583
; %bb.580:
	s_cmp_eq_u32 s10, 44
	s_cbranch_scc0 .LBB481_582
; %bb.581:
	global_load_ubyte v1, v[2:3], off
	s_movk_i32 s4, 0xff
	v_mov_b32_e32 v5, 0x7e00
	s_mov_b64 s[2:3], -1
	s_waitcnt vmcnt(0)
	v_lshlrev_b32_e32 v4, 23, v1
	v_cvt_f16_f32_e32 v4, v4
	v_cmp_ne_u32_e32 vcc, s4, v1
	s_mov_b64 s[4:5], 0
	s_nop 0
	v_cndmask_b32_e32 v4, v5, v4, vcc
	v_cmp_ne_u32_e32 vcc, 0, v1
	s_nop 1
	v_cndmask_b32_e32 v1, 0, v4, vcc
	s_branch .LBB481_583
.LBB481_582:
	s_mov_b64 s[4:5], -1
                                        ; implicit-def: $vgpr1
.LBB481_583:
	s_mov_b64 s[6:7], 0
.LBB481_584:
	s_and_b64 vcc, exec, s[6:7]
	s_cbranch_vccz .LBB481_588
; %bb.585:
	s_cmp_eq_u32 s10, 29
	s_cbranch_scc0 .LBB481_587
; %bb.586:
	global_load_dwordx2 v[4:5], v[2:3], off
	s_mov_b64 s[2:3], -1
	s_mov_b64 s[4:5], 0
	s_mov_b64 s[6:7], 0
	s_waitcnt vmcnt(0)
	v_ffbh_u32_e32 v1, v5
	v_min_u32_e32 v1, 32, v1
	v_lshlrev_b64 v[4:5], v1, v[4:5]
	v_min_u32_e32 v4, 1, v4
	v_or_b32_e32 v4, v5, v4
	v_cvt_f32_u32_e32 v4, v4
	v_sub_u32_e32 v1, 32, v1
	v_ldexp_f32 v1, v4, v1
	v_cvt_f16_f32_e32 v1, v1
	s_branch .LBB481_589
.LBB481_587:
	s_mov_b64 s[4:5], -1
                                        ; implicit-def: $vgpr1
.LBB481_588:
	s_mov_b64 s[6:7], 0
.LBB481_589:
	s_and_b64 vcc, exec, s[6:7]
	s_cbranch_vccz .LBB481_607
; %bb.590:
	s_cmp_lt_i32 s10, 27
	s_cbranch_scc1 .LBB481_593
; %bb.591:
	s_cmp_gt_i32 s10, 27
	s_cbranch_scc0 .LBB481_594
; %bb.592:
	global_load_dword v1, v[2:3], off
	s_mov_b64 s[2:3], 0
	s_waitcnt vmcnt(0)
	v_cvt_f32_u32_e32 v1, v1
	v_cvt_f16_f32_e32 v1, v1
	s_branch .LBB481_595
.LBB481_593:
	s_mov_b64 s[2:3], -1
                                        ; implicit-def: $vgpr1
	s_branch .LBB481_598
.LBB481_594:
	s_mov_b64 s[2:3], -1
                                        ; implicit-def: $vgpr1
.LBB481_595:
	s_andn2_b64 vcc, exec, s[2:3]
	s_cbranch_vccnz .LBB481_597
; %bb.596:
	global_load_ushort v1, v[2:3], off
	s_waitcnt vmcnt(0)
	v_cvt_f16_u16_e32 v1, v1
.LBB481_597:
	s_mov_b64 s[2:3], 0
.LBB481_598:
	s_andn2_b64 vcc, exec, s[2:3]
	s_cbranch_vccnz .LBB481_606
; %bb.599:
	global_load_ubyte v4, v[2:3], off
	s_movk_i32 s2, 0x7f
	s_waitcnt vmcnt(0)
	v_cmp_lt_i16_e32 vcc, s2, v4
	s_mov_b64 s[2:3], 0
	s_and_saveexec_b64 s[6:7], vcc
	s_xor_b64 s[6:7], exec, s[6:7]
	s_cbranch_execz .LBB481_620
; %bb.600:
	s_movk_i32 s2, 0x80
	v_cmp_eq_u16_e32 vcc, s2, v4
	s_mov_b64 s[2:3], -1
	s_and_saveexec_b64 s[8:9], vcc
; %bb.601:
	s_xor_b64 s[2:3], exec, -1
; %bb.602:
	s_or_b64 exec, exec, s[8:9]
	s_and_b64 s[2:3], s[2:3], exec
	s_or_saveexec_b64 s[6:7], s[6:7]
	v_mov_b32_e32 v1, 0x7e00
	s_xor_b64 exec, exec, s[6:7]
	s_cbranch_execnz .LBB481_621
.LBB481_603:
	s_or_b64 exec, exec, s[6:7]
	s_and_saveexec_b64 s[6:7], s[2:3]
	s_cbranch_execz .LBB481_605
.LBB481_604:
	v_lshlrev_b32_e32 v1, 24, v4
	v_and_b32_e32 v4, 0xffff, v4
	v_and_b32_e32 v5, 7, v4
	v_ffbh_u32_e32 v7, v5
	v_min_u32_e32 v7, 32, v7
	v_subrev_u32_e32 v9, 28, v7
	v_bfe_u32 v6, v4, 3, 4
	v_lshlrev_b32_e32 v4, v9, v4
	v_sub_u32_e32 v7, 29, v7
	v_and_b32_e32 v4, 7, v4
	v_cmp_eq_u32_e32 vcc, 0, v6
	v_and_b32_e32 v1, 0x80000000, v1
	s_nop 0
	v_cndmask_b32_e32 v6, v6, v7, vcc
	v_cndmask_b32_e32 v4, v5, v4, vcc
	v_mov_b32_e32 v5, 0x3b800000
	v_lshlrev_b32_e32 v4, 20, v4
	v_lshl_add_u32 v5, v6, 23, v5
	v_or3_b32 v1, v1, v5, v4
	v_cvt_f16_f32_e32 v1, v1
.LBB481_605:
	s_or_b64 exec, exec, s[6:7]
.LBB481_606:
	s_mov_b64 s[2:3], -1
.LBB481_607:
	s_mov_b64 s[6:7], 0
.LBB481_608:
	s_and_b64 vcc, exec, s[6:7]
	s_cbranch_vccz .LBB481_643
; %bb.609:
	s_cmp_gt_i32 s10, 22
	s_cbranch_scc0 .LBB481_619
; %bb.610:
	s_cmp_lt_i32 s10, 24
	s_cbranch_scc1 .LBB481_622
; %bb.611:
	s_cmp_gt_i32 s10, 24
	s_cbranch_scc0 .LBB481_623
; %bb.612:
	global_load_ubyte v4, v[2:3], off
	s_movk_i32 s2, 0x7f
	s_waitcnt vmcnt(0)
	v_cmp_lt_i16_e32 vcc, s2, v4
	s_mov_b64 s[2:3], 0
	s_and_saveexec_b64 s[6:7], vcc
	s_xor_b64 s[6:7], exec, s[6:7]
	s_cbranch_execz .LBB481_635
; %bb.613:
	s_movk_i32 s2, 0x80
	v_cmp_eq_u16_e32 vcc, s2, v4
	s_mov_b64 s[2:3], -1
	s_and_saveexec_b64 s[8:9], vcc
; %bb.614:
	s_xor_b64 s[2:3], exec, -1
; %bb.615:
	s_or_b64 exec, exec, s[8:9]
	s_and_b64 s[2:3], s[2:3], exec
	s_or_saveexec_b64 s[6:7], s[6:7]
	v_mov_b32_e32 v1, 0x7e00
	s_xor_b64 exec, exec, s[6:7]
	s_cbranch_execnz .LBB481_636
.LBB481_616:
	s_or_b64 exec, exec, s[6:7]
	s_and_saveexec_b64 s[6:7], s[2:3]
	s_cbranch_execz .LBB481_618
.LBB481_617:
	v_lshlrev_b32_e32 v1, 24, v4
	v_and_b32_e32 v4, 0xffff, v4
	v_and_b32_e32 v5, 3, v4
	v_ffbh_u32_e32 v7, v5
	v_min_u32_e32 v7, 32, v7
	v_subrev_u32_e32 v9, 29, v7
	v_bfe_u32 v6, v4, 2, 5
	v_lshlrev_b32_e32 v4, v9, v4
	v_sub_u32_e32 v7, 30, v7
	v_and_b32_e32 v4, 3, v4
	v_cmp_eq_u32_e32 vcc, 0, v6
	v_and_b32_e32 v1, 0x80000000, v1
	s_nop 0
	v_cndmask_b32_e32 v6, v6, v7, vcc
	v_cndmask_b32_e32 v4, v5, v4, vcc
	v_mov_b32_e32 v5, 0x37800000
	v_lshlrev_b32_e32 v4, 21, v4
	v_lshl_add_u32 v5, v6, 23, v5
	v_or3_b32 v1, v1, v5, v4
	v_cvt_f16_f32_e32 v1, v1
.LBB481_618:
	s_or_b64 exec, exec, s[6:7]
	s_mov_b64 s[2:3], 0
	s_branch .LBB481_624
.LBB481_619:
	s_mov_b64 s[6:7], -1
                                        ; implicit-def: $vgpr1
	s_branch .LBB481_630
.LBB481_620:
	s_or_saveexec_b64 s[6:7], s[6:7]
	v_mov_b32_e32 v1, 0x7e00
	s_xor_b64 exec, exec, s[6:7]
	s_cbranch_execz .LBB481_603
.LBB481_621:
	v_cmp_ne_u16_e32 vcc, 0, v4
	s_andn2_b64 s[2:3], s[2:3], exec
	s_and_b64 s[8:9], vcc, exec
	s_or_b64 s[2:3], s[2:3], s[8:9]
	v_mov_b32_e32 v1, v4
	s_or_b64 exec, exec, s[6:7]
	s_and_saveexec_b64 s[6:7], s[2:3]
	s_cbranch_execnz .LBB481_604
	s_branch .LBB481_605
.LBB481_622:
	s_mov_b64 s[2:3], -1
                                        ; implicit-def: $vgpr1
	s_branch .LBB481_627
.LBB481_623:
	s_mov_b64 s[2:3], -1
                                        ; implicit-def: $vgpr1
.LBB481_624:
	s_and_b64 vcc, exec, s[2:3]
	s_cbranch_vccz .LBB481_626
; %bb.625:
	global_load_ubyte v1, v[2:3], off
	s_mov_b32 s2, 0x7f800000
	s_waitcnt vmcnt(0)
	v_lshlrev_b32_e32 v1, 24, v1
	v_and_b32_e32 v4, 0x7f000000, v1
	v_ffbh_u32_e32 v5, v4
	v_min_u32_e32 v5, 32, v5
	v_sub_u32_e64 v5, v5, 4 clamp
	v_lshlrev_b32_e32 v7, v5, v4
	v_lshlrev_b32_e32 v5, 23, v5
	v_lshrrev_b32_e32 v7, 4, v7
	v_add_u32_e32 v6, 0x1000000, v4
	v_sub_u32_e32 v5, v7, v5
	v_ashrrev_i32_e32 v6, 8, v6
	v_add_u32_e32 v5, 0x3c000000, v5
	v_and_or_b32 v5, v6, s2, v5
	v_cmp_ne_u32_e32 vcc, 0, v4
	s_brev_b32 s2, 1
	s_nop 0
	v_cndmask_b32_e32 v4, 0, v5, vcc
	v_and_or_b32 v1, v1, s2, v4
	v_cvt_f16_f32_e32 v1, v1
.LBB481_626:
	s_mov_b64 s[2:3], 0
.LBB481_627:
	s_andn2_b64 vcc, exec, s[2:3]
	s_cbranch_vccnz .LBB481_629
; %bb.628:
	global_load_ubyte v1, v[2:3], off
	s_movk_i32 s2, 0x7f00
	s_brev_b32 s3, 16
	s_waitcnt vmcnt(0)
	v_lshlrev_b16_e32 v4, 8, v1
	v_lshlrev_b32_e32 v1, 25, v1
	v_lshrrev_b32_e32 v5, 4, v1
	v_and_or_b32 v6, v4, s2, 0.5
	v_or_b32_e32 v5, 0x70000000, v5
	v_add_f32_e32 v6, -0.5, v6
	v_mul_f32_e32 v5, 0x7800000, v5
	v_cmp_gt_u32_e32 vcc, s3, v1
	v_bfe_i32 v4, v4, 0, 16
	s_brev_b32 s2, 1
	v_cndmask_b32_e32 v1, v5, v6, vcc
	v_and_or_b32 v1, v4, s2, v1
	v_cvt_f16_f32_e32 v1, v1
.LBB481_629:
	s_mov_b64 s[6:7], 0
	s_mov_b64 s[2:3], -1
.LBB481_630:
	s_andn2_b64 vcc, exec, s[6:7]
	s_cbranch_vccnz .LBB481_643
; %bb.631:
	s_cmp_gt_i32 s10, 14
	s_cbranch_scc0 .LBB481_634
; %bb.632:
	s_cmp_eq_u32 s10, 15
	s_cbranch_scc0 .LBB481_637
; %bb.633:
	global_load_ushort v1, v[2:3], off
	s_mov_b64 s[2:3], -1
	s_mov_b64 s[4:5], 0
	s_waitcnt vmcnt(0)
	v_lshlrev_b32_e32 v1, 16, v1
	v_cvt_f16_f32_e32 v1, v1
	s_branch .LBB481_638
.LBB481_634:
	s_mov_b64 s[6:7], -1
                                        ; implicit-def: $vgpr1
	s_branch .LBB481_639
.LBB481_635:
	s_or_saveexec_b64 s[6:7], s[6:7]
	v_mov_b32_e32 v1, 0x7e00
	s_xor_b64 exec, exec, s[6:7]
	s_cbranch_execz .LBB481_616
.LBB481_636:
	v_cmp_ne_u16_e32 vcc, 0, v4
	s_andn2_b64 s[2:3], s[2:3], exec
	s_and_b64 s[8:9], vcc, exec
	s_or_b64 s[2:3], s[2:3], s[8:9]
	v_mov_b32_e32 v1, v4
	s_or_b64 exec, exec, s[6:7]
	s_and_saveexec_b64 s[6:7], s[2:3]
	s_cbranch_execnz .LBB481_617
	s_branch .LBB481_618
.LBB481_637:
	s_mov_b64 s[4:5], -1
                                        ; implicit-def: $vgpr1
.LBB481_638:
	s_mov_b64 s[6:7], 0
.LBB481_639:
	s_and_b64 vcc, exec, s[6:7]
	s_cbranch_vccz .LBB481_643
; %bb.640:
	s_cmp_eq_u32 s10, 11
	s_cbranch_scc0 .LBB481_642
; %bb.641:
	global_load_ubyte v1, v[2:3], off
	v_mov_b32_e32 v4, 0x3c00
	s_mov_b64 s[2:3], -1
	s_mov_b64 s[4:5], 0
	s_waitcnt vmcnt(0)
	v_cmp_ne_u16_e32 vcc, 0, v1
	s_nop 1
	v_cndmask_b32_e32 v1, 0, v4, vcc
	s_branch .LBB481_643
.LBB481_642:
	s_mov_b64 s[4:5], -1
                                        ; implicit-def: $vgpr1
.LBB481_643:
	s_mov_b64 s[6:7], 0
.LBB481_644:
	s_and_b64 vcc, exec, s[6:7]
	s_cbranch_vccz .LBB481_693
; %bb.645:
	s_cmp_lt_i32 s10, 5
	s_cbranch_scc1 .LBB481_650
; %bb.646:
	s_cmp_lt_i32 s10, 8
	s_cbranch_scc1 .LBB481_651
	;; [unrolled: 3-line block ×3, first 2 shown]
; %bb.648:
	s_cmp_gt_i32 s10, 9
	s_cbranch_scc0 .LBB481_653
; %bb.649:
	global_load_dwordx2 v[4:5], v[2:3], off
	s_movk_i32 s2, 0x1ff
	s_movk_i32 s3, 0xffe
	s_waitcnt vmcnt(1)
	v_mov_b32_e32 v1, 0x7c00
	v_mov_b32_e32 v6, 0x7e00
	s_movk_i32 s6, 0x40f
	s_mov_b32 s7, 0x8000
	s_waitcnt vmcnt(0)
	v_and_or_b32 v4, v5, s2, v4
	v_cmp_ne_u32_e32 vcc, 0, v4
	v_lshrrev_b32_e32 v7, 8, v5
	v_bfe_u32 v9, v5, 20, 11
	v_cndmask_b32_e64 v4, 0, 1, vcc
	v_sub_u32_e32 v10, 0x3f1, v9
	v_and_or_b32 v4, v7, s3, v4
	v_add_u32_e32 v9, 0xfffffc10, v9
	v_med3_i32 v7, v10, 0, 13
	v_or_b32_e32 v10, 0x1000, v4
	v_cmp_ne_u32_e32 vcc, 0, v4
	v_lshl_or_b32 v11, v9, 12, v4
	v_lshrrev_b32_e32 v5, 16, v5
	v_cndmask_b32_e32 v4, v1, v6, vcc
	v_lshrrev_b32_e32 v6, v7, v10
	v_lshlrev_b32_e32 v7, v7, v6
	v_cmp_ne_u32_e32 vcc, v7, v10
	s_mov_b64 s[2:3], 0
	s_nop 0
	v_cndmask_b32_e64 v7, 0, 1, vcc
	v_or_b32_e32 v6, v6, v7
	v_cmp_gt_i32_e32 vcc, 1, v9
	s_nop 1
	v_cndmask_b32_e32 v6, v11, v6, vcc
	v_and_b32_e32 v7, 7, v6
	v_cmp_lt_i32_e32 vcc, 5, v7
	v_lshrrev_b32_e32 v6, 2, v6
	s_nop 0
	v_cndmask_b32_e64 v10, 0, 1, vcc
	v_cmp_eq_u32_e32 vcc, 3, v7
	s_nop 1
	v_cndmask_b32_e64 v7, 0, 1, vcc
	v_or_b32_e32 v7, v7, v10
	v_add_u32_e32 v6, v6, v7
	v_cmp_gt_i32_e32 vcc, 31, v9
	s_nop 1
	v_cndmask_b32_e32 v1, v1, v6, vcc
	v_cmp_eq_u32_e32 vcc, s6, v9
	s_nop 1
	v_cndmask_b32_e32 v1, v1, v4, vcc
	v_and_or_b32 v1, v5, s7, v1
	s_branch .LBB481_654
.LBB481_650:
	s_mov_b64 s[2:3], -1
                                        ; implicit-def: $vgpr1
	s_branch .LBB481_672
.LBB481_651:
	s_mov_b64 s[2:3], -1
                                        ; implicit-def: $vgpr1
	s_branch .LBB481_660
.LBB481_652:
	s_mov_b64 s[2:3], -1
                                        ; implicit-def: $vgpr1
	s_branch .LBB481_657
.LBB481_653:
	s_mov_b64 s[2:3], -1
                                        ; implicit-def: $vgpr1
.LBB481_654:
	s_andn2_b64 vcc, exec, s[2:3]
	s_cbranch_vccnz .LBB481_656
; %bb.655:
	global_load_dword v1, v[2:3], off
	s_waitcnt vmcnt(0)
	v_cvt_f16_f32_e32 v1, v1
.LBB481_656:
	s_mov_b64 s[2:3], 0
.LBB481_657:
	s_andn2_b64 vcc, exec, s[2:3]
	s_cbranch_vccnz .LBB481_659
; %bb.658:
	global_load_dword v1, v[2:3], off
.LBB481_659:
	s_mov_b64 s[2:3], 0
.LBB481_660:
	s_andn2_b64 vcc, exec, s[2:3]
	s_cbranch_vccnz .LBB481_671
; %bb.661:
	s_cmp_lt_i32 s10, 6
	s_cbranch_scc1 .LBB481_664
; %bb.662:
	s_cmp_gt_i32 s10, 6
	s_cbranch_scc0 .LBB481_665
; %bb.663:
	global_load_dwordx2 v[4:5], v[2:3], off
	s_movk_i32 s2, 0x1ff
	s_movk_i32 s3, 0xffe
	s_waitcnt vmcnt(1)
	v_mov_b32_e32 v1, 0x7c00
	v_mov_b32_e32 v6, 0x7e00
	s_movk_i32 s6, 0x40f
	s_mov_b32 s7, 0x8000
	s_waitcnt vmcnt(0)
	v_and_or_b32 v4, v5, s2, v4
	v_cmp_ne_u32_e32 vcc, 0, v4
	v_lshrrev_b32_e32 v7, 8, v5
	v_bfe_u32 v9, v5, 20, 11
	v_cndmask_b32_e64 v4, 0, 1, vcc
	v_sub_u32_e32 v10, 0x3f1, v9
	v_and_or_b32 v4, v7, s3, v4
	v_add_u32_e32 v9, 0xfffffc10, v9
	v_med3_i32 v7, v10, 0, 13
	v_or_b32_e32 v10, 0x1000, v4
	v_cmp_ne_u32_e32 vcc, 0, v4
	v_lshl_or_b32 v11, v9, 12, v4
	v_lshrrev_b32_e32 v5, 16, v5
	v_cndmask_b32_e32 v4, v1, v6, vcc
	v_lshrrev_b32_e32 v6, v7, v10
	v_lshlrev_b32_e32 v7, v7, v6
	v_cmp_ne_u32_e32 vcc, v7, v10
	s_mov_b64 s[2:3], 0
	s_nop 0
	v_cndmask_b32_e64 v7, 0, 1, vcc
	v_or_b32_e32 v6, v6, v7
	v_cmp_gt_i32_e32 vcc, 1, v9
	s_nop 1
	v_cndmask_b32_e32 v6, v11, v6, vcc
	v_and_b32_e32 v7, 7, v6
	v_cmp_lt_i32_e32 vcc, 5, v7
	v_lshrrev_b32_e32 v6, 2, v6
	s_nop 0
	v_cndmask_b32_e64 v10, 0, 1, vcc
	v_cmp_eq_u32_e32 vcc, 3, v7
	s_nop 1
	v_cndmask_b32_e64 v7, 0, 1, vcc
	v_or_b32_e32 v7, v7, v10
	v_add_u32_e32 v6, v6, v7
	v_cmp_gt_i32_e32 vcc, 31, v9
	s_nop 1
	v_cndmask_b32_e32 v1, v1, v6, vcc
	v_cmp_eq_u32_e32 vcc, s6, v9
	s_nop 1
	v_cndmask_b32_e32 v1, v1, v4, vcc
	v_and_or_b32 v1, v5, s7, v1
	s_branch .LBB481_666
.LBB481_664:
	s_mov_b64 s[2:3], -1
                                        ; implicit-def: $vgpr1
	s_branch .LBB481_669
.LBB481_665:
	s_mov_b64 s[2:3], -1
                                        ; implicit-def: $vgpr1
.LBB481_666:
	s_andn2_b64 vcc, exec, s[2:3]
	s_cbranch_vccnz .LBB481_668
; %bb.667:
	global_load_dword v1, v[2:3], off
	s_waitcnt vmcnt(0)
	v_cvt_f16_f32_e32 v1, v1
.LBB481_668:
	s_mov_b64 s[2:3], 0
.LBB481_669:
	s_andn2_b64 vcc, exec, s[2:3]
	s_cbranch_vccnz .LBB481_671
; %bb.670:
	global_load_ushort v1, v[2:3], off
.LBB481_671:
	s_mov_b64 s[2:3], 0
.LBB481_672:
	s_andn2_b64 vcc, exec, s[2:3]
	s_cbranch_vccnz .LBB481_692
; %bb.673:
	s_cmp_lt_i32 s10, 2
	s_cbranch_scc1 .LBB481_677
; %bb.674:
	s_cmp_lt_i32 s10, 3
	s_cbranch_scc1 .LBB481_678
; %bb.675:
	s_cmp_gt_i32 s10, 3
	s_cbranch_scc0 .LBB481_679
; %bb.676:
	global_load_dwordx2 v[4:5], v[2:3], off
	s_mov_b64 s[2:3], 0
	s_waitcnt vmcnt(0)
	v_xor_b32_e32 v6, v4, v5
	v_ffbh_i32_e32 v1, v5
	v_ashrrev_i32_e32 v6, 31, v6
	v_add_u32_e32 v1, -1, v1
	v_add_u32_e32 v6, 32, v6
	v_min_u32_e32 v1, v1, v6
	v_lshlrev_b64 v[4:5], v1, v[4:5]
	v_min_u32_e32 v4, 1, v4
	v_or_b32_e32 v4, v5, v4
	v_cvt_f32_i32_e32 v4, v4
	v_sub_u32_e32 v1, 32, v1
	v_ldexp_f32 v1, v4, v1
	v_cvt_f16_f32_e32 v1, v1
	s_branch .LBB481_680
.LBB481_677:
	s_mov_b64 s[2:3], -1
                                        ; implicit-def: $vgpr1
	s_branch .LBB481_686
.LBB481_678:
	s_mov_b64 s[2:3], -1
                                        ; implicit-def: $vgpr1
	s_branch .LBB481_683
.LBB481_679:
	s_mov_b64 s[2:3], -1
                                        ; implicit-def: $vgpr1
.LBB481_680:
	s_andn2_b64 vcc, exec, s[2:3]
	s_cbranch_vccnz .LBB481_682
; %bb.681:
	global_load_dword v1, v[2:3], off
	s_waitcnt vmcnt(0)
	v_cvt_f32_i32_e32 v1, v1
	v_cvt_f16_f32_e32 v1, v1
.LBB481_682:
	s_mov_b64 s[2:3], 0
.LBB481_683:
	s_andn2_b64 vcc, exec, s[2:3]
	s_cbranch_vccnz .LBB481_685
; %bb.684:
	global_load_ushort v1, v[2:3], off
	s_waitcnt vmcnt(0)
	v_cvt_f16_i16_e32 v1, v1
.LBB481_685:
	s_mov_b64 s[2:3], 0
.LBB481_686:
	s_andn2_b64 vcc, exec, s[2:3]
	s_cbranch_vccnz .LBB481_692
; %bb.687:
	s_cmp_gt_i32 s10, 0
	s_cbranch_scc0 .LBB481_689
; %bb.688:
	global_load_sbyte v1, v[2:3], off
	s_mov_b64 s[2:3], 0
	s_waitcnt vmcnt(0)
	v_cvt_f16_i16_e32 v1, v1
	s_branch .LBB481_690
.LBB481_689:
	s_mov_b64 s[2:3], -1
                                        ; implicit-def: $vgpr1
.LBB481_690:
	s_andn2_b64 vcc, exec, s[2:3]
	s_cbranch_vccnz .LBB481_692
; %bb.691:
	global_load_ubyte v1, v[2:3], off
	s_waitcnt vmcnt(0)
	v_cvt_f16_u16_e32 v1, v1
.LBB481_692:
	s_mov_b64 s[2:3], -1
.LBB481_693:
	s_andn2_b64 vcc, exec, s[2:3]
	s_cbranch_vccnz .LBB481_701
; %bb.694:
	s_waitcnt vmcnt(0)
	v_cmp_u_f16_e32 vcc, v1, v1
	v_cmp_gt_f16_e64 s[2:3], s74, v1
	v_mov_b32_e32 v2, s74
	s_or_b64 vcc, vcc, s[2:3]
	v_cndmask_b32_e32 v2, v2, v1, vcc
	v_mov_b32_e32 v1, 0
	s_and_b32 s12, s73, 0xff
	s_cmp_lt_i32 s12, 11
	v_lshl_add_u64 v[0:1], s[20:21], 0, v[0:1]
	s_cbranch_scc1 .LBB481_702
; %bb.695:
	s_and_b32 s13, 0xffff, s12
	s_cmp_gt_i32 s13, 25
	s_cbranch_scc0 .LBB481_703
; %bb.696:
	s_cmp_gt_i32 s13, 28
	s_cbranch_scc0 .LBB481_704
; %bb.697:
	;; [unrolled: 3-line block ×4, first 2 shown]
	s_mov_b64 s[8:9], 0
	s_mov_b64 s[2:3], -1
	s_cmp_eq_u32 s13, 46
	s_mov_b64 s[6:7], 0
	s_cbranch_scc0 .LBB481_707
; %bb.700:
	v_cvt_f32_f16_e32 v3, v2
	s_movk_i32 s2, 0x7fff
	v_cmp_o_f16_e32 vcc, v2, v2
	v_mov_b32_e32 v4, 0x7fc0
	v_bfe_u32 v5, v3, 16, 1
	v_add3_u32 v3, v3, v5, s2
	v_cndmask_b32_sdwa v3, v4, v3, vcc dst_sel:DWORD dst_unused:UNUSED_PAD src0_sel:DWORD src1_sel:WORD_1
	global_store_dword v[0:1], v3, off
	s_mov_b64 s[6:7], -1
	s_mov_b64 s[2:3], 0
	s_branch .LBB481_707
.LBB481_701:
	s_mov_b64 s[6:7], 0
	s_mov_b64 s[2:3], s[62:63]
	s_branch .LBB481_818
.LBB481_702:
	s_mov_b64 s[8:9], -1
	s_mov_b64 s[6:7], 0
	s_mov_b64 s[2:3], s[62:63]
	s_branch .LBB481_776
.LBB481_703:
	s_mov_b64 s[8:9], -1
	s_mov_b64 s[6:7], 0
	s_mov_b64 s[2:3], s[62:63]
	s_branch .LBB481_734
.LBB481_704:
	s_mov_b64 s[8:9], -1
	s_mov_b64 s[6:7], 0
	s_mov_b64 s[2:3], s[62:63]
	s_branch .LBB481_717
.LBB481_705:
	s_mov_b64 s[8:9], -1
	s_mov_b64 s[6:7], 0
	s_mov_b64 s[2:3], s[62:63]
	s_branch .LBB481_713
.LBB481_706:
	s_mov_b64 s[8:9], -1
	s_mov_b64 s[6:7], 0
	s_mov_b64 s[2:3], s[62:63]
.LBB481_707:
	s_and_b64 vcc, exec, s[8:9]
	s_cbranch_vccz .LBB481_712
; %bb.708:
	s_cmp_eq_u32 s13, 44
	s_mov_b64 s[2:3], -1
	s_cbranch_scc0 .LBB481_712
; %bb.709:
	v_cvt_f32_f16_e32 v3, v2
	s_movk_i32 s2, 0xff
	v_mov_b32_e32 v5, 0xff
	v_bfe_u32 v4, v3, 23, 8
	v_cmp_ne_u32_e32 vcc, s2, v4
	s_and_saveexec_b64 s[6:7], vcc
; %bb.710:
	s_mov_b32 s2, 0x3fffff
	v_lshrrev_b32_e32 v5, 23, v3
	v_and_b32_e32 v6, 0x400000, v3
	v_and_or_b32 v3, v3, s2, v4
	v_cmp_ne_u32_e32 vcc, 0, v6
	v_cmp_ne_u32_e64 s[2:3], 0, v3
	s_and_b64 s[2:3], vcc, s[2:3]
	s_nop 0
	v_cndmask_b32_e64 v3, 0, 1, s[2:3]
	v_add_u32_e32 v5, v5, v3
; %bb.711:
	s_or_b64 exec, exec, s[6:7]
	s_mov_b64 s[6:7], -1
	s_mov_b64 s[2:3], 0
	global_store_byte v[0:1], v5, off
.LBB481_712:
	s_mov_b64 s[8:9], 0
.LBB481_713:
	s_and_b64 vcc, exec, s[8:9]
	s_cbranch_vccz .LBB481_716
; %bb.714:
	s_cmp_eq_u32 s13, 29
	s_mov_b64 s[2:3], -1
	s_cbranch_scc0 .LBB481_716
; %bb.715:
	v_cvt_f32_f16_e32 v3, v2
	v_mov_b32_e32 v5, 0
	s_mov_b64 s[6:7], -1
	s_mov_b64 s[2:3], 0
	v_cvt_u32_f32_e32 v4, v3
	s_mov_b64 s[8:9], 0
	global_store_dwordx2 v[0:1], v[4:5], off
	s_branch .LBB481_717
.LBB481_716:
	s_mov_b64 s[8:9], 0
.LBB481_717:
	s_and_b64 vcc, exec, s[8:9]
	s_cbranch_vccz .LBB481_733
; %bb.718:
	s_cmp_lt_i32 s13, 27
	s_mov_b64 s[6:7], -1
	s_cbranch_scc1 .LBB481_724
; %bb.719:
	s_cmp_gt_i32 s13, 27
	s_cbranch_scc0 .LBB481_721
; %bb.720:
	v_cvt_f32_f16_e32 v3, v2
	s_mov_b64 s[6:7], 0
	v_cvt_u32_f32_e32 v3, v3
	global_store_dword v[0:1], v3, off
.LBB481_721:
	s_andn2_b64 vcc, exec, s[6:7]
	s_cbranch_vccnz .LBB481_723
; %bb.722:
	v_cvt_u16_f16_e32 v3, v2
	global_store_short v[0:1], v3, off
.LBB481_723:
	s_mov_b64 s[6:7], 0
.LBB481_724:
	s_andn2_b64 vcc, exec, s[6:7]
	s_cbranch_vccnz .LBB481_732
; %bb.725:
	v_cvt_f32_f16_e32 v3, v2
	s_mov_b32 s6, 0x43800000
	v_mov_b32_e32 v5, 0x80
	v_and_b32_e32 v4, 0x7fffffff, v3
	v_cmp_gt_u32_e32 vcc, s6, v4
	s_and_saveexec_b64 s[6:7], vcc
	s_cbranch_execz .LBB481_731
; %bb.726:
	s_mov_b32 s8, 0x3bffffff
	v_cmp_lt_u32_e32 vcc, s8, v4
	s_mov_b64 s[8:9], 0
                                        ; implicit-def: $vgpr4
	s_and_saveexec_b64 s[10:11], vcc
	s_xor_b64 s[10:11], exec, s[10:11]
	s_cbranch_execz .LBB481_849
; %bb.727:
	v_bfe_u32 v4, v3, 20, 1
	s_mov_b32 s14, 0x487ffff
	v_add3_u32 v4, v3, v4, s14
	s_mov_b64 s[8:9], exec
	v_lshrrev_b32_e32 v4, 20, v4
	s_andn2_saveexec_b64 s[10:11], s[10:11]
	s_cbranch_execnz .LBB481_850
.LBB481_728:
	s_or_b64 exec, exec, s[10:11]
	v_mov_b32_e32 v5, 0
	s_and_saveexec_b64 s[10:11], s[8:9]
.LBB481_729:
	v_lshrrev_b32_e32 v3, 24, v3
	s_movk_i32 s8, 0x80
	v_and_or_b32 v5, v3, s8, v4
.LBB481_730:
	s_or_b64 exec, exec, s[10:11]
.LBB481_731:
	s_or_b64 exec, exec, s[6:7]
	global_store_byte v[0:1], v5, off
.LBB481_732:
	s_mov_b64 s[6:7], -1
.LBB481_733:
	s_mov_b64 s[8:9], 0
.LBB481_734:
	s_and_b64 vcc, exec, s[8:9]
	s_cbranch_vccz .LBB481_775
; %bb.735:
	s_cmp_gt_i32 s13, 22
	s_mov_b64 s[8:9], -1
	s_cbranch_scc0 .LBB481_767
; %bb.736:
	s_cmp_lt_i32 s13, 24
	s_mov_b64 s[6:7], -1
	s_cbranch_scc1 .LBB481_756
; %bb.737:
	s_cmp_gt_i32 s13, 24
	s_cbranch_scc0 .LBB481_745
; %bb.738:
	v_cvt_f32_f16_e32 v3, v2
	s_mov_b32 s6, 0x47800000
	v_mov_b32_e32 v5, 0x80
	v_and_b32_e32 v4, 0x7fffffff, v3
	v_cmp_gt_u32_e32 vcc, s6, v4
	s_and_saveexec_b64 s[6:7], vcc
	s_cbranch_execz .LBB481_744
; %bb.739:
	s_mov_b32 s8, 0x37ffffff
	v_cmp_lt_u32_e32 vcc, s8, v4
	s_mov_b64 s[8:9], 0
                                        ; implicit-def: $vgpr4
	s_and_saveexec_b64 s[10:11], vcc
	s_xor_b64 s[10:11], exec, s[10:11]
	s_cbranch_execz .LBB481_852
; %bb.740:
	v_bfe_u32 v4, v3, 21, 1
	s_mov_b32 s14, 0x88fffff
	v_add3_u32 v4, v3, v4, s14
	s_mov_b64 s[8:9], exec
	v_lshrrev_b32_e32 v4, 21, v4
	s_andn2_saveexec_b64 s[10:11], s[10:11]
	s_cbranch_execnz .LBB481_853
.LBB481_741:
	s_or_b64 exec, exec, s[10:11]
	v_mov_b32_e32 v5, 0
	s_and_saveexec_b64 s[10:11], s[8:9]
.LBB481_742:
	v_lshrrev_b32_e32 v3, 24, v3
	s_movk_i32 s8, 0x80
	v_and_or_b32 v5, v3, s8, v4
.LBB481_743:
	s_or_b64 exec, exec, s[10:11]
.LBB481_744:
	s_or_b64 exec, exec, s[6:7]
	s_mov_b64 s[6:7], 0
	global_store_byte v[0:1], v5, off
.LBB481_745:
	s_and_b64 vcc, exec, s[6:7]
	s_cbranch_vccz .LBB481_755
; %bb.746:
	v_cvt_f32_f16_e32 v3, v2
	s_mov_b32 s6, 0x43f00000
                                        ; implicit-def: $vgpr4
	v_and_b32_e32 v5, 0x7fffffff, v3
	v_cmp_gt_u32_e32 vcc, s6, v5
	s_and_saveexec_b64 s[6:7], vcc
	s_xor_b64 s[6:7], exec, s[6:7]
	s_cbranch_execz .LBB481_752
; %bb.747:
	s_mov_b32 s8, 0x3c7fffff
	v_cmp_lt_u32_e32 vcc, s8, v5
                                        ; implicit-def: $vgpr4
	s_and_saveexec_b64 s[8:9], vcc
	s_xor_b64 s[8:9], exec, s[8:9]
; %bb.748:
	v_bfe_u32 v4, v3, 20, 1
	s_mov_b32 s10, 0x407ffff
	v_add3_u32 v4, v3, v4, s10
	v_lshrrev_b32_e32 v5, 20, v4
	v_and_b32_e32 v4, 0xff00000, v4
	s_mov_b32 s10, 0x7f00000
	v_mov_b32_e32 v6, 0x7e
	v_cmp_ne_u32_e32 vcc, s10, v4
	s_nop 1
	v_cndmask_b32_e32 v4, v6, v5, vcc
; %bb.749:
	s_andn2_saveexec_b64 s[8:9], s[8:9]
; %bb.750:
	s_mov_b32 s10, 0x46800000
	v_add_f32_e64 v4, |v3|, s10
; %bb.751:
	s_or_b64 exec, exec, s[8:9]
                                        ; implicit-def: $vgpr5
.LBB481_752:
	s_andn2_saveexec_b64 s[6:7], s[6:7]
; %bb.753:
	s_mov_b32 s8, 0x7f800000
	v_mov_b32_e32 v4, 0x7e
	v_mov_b32_e32 v6, 0x7f
	v_cmp_lt_u32_e32 vcc, s8, v5
	s_nop 1
	v_cndmask_b32_e32 v4, v4, v6, vcc
; %bb.754:
	s_or_b64 exec, exec, s[6:7]
	v_lshrrev_b32_e32 v3, 24, v3
	s_movk_i32 s6, 0x80
	v_and_or_b32 v3, v3, s6, v4
	global_store_byte v[0:1], v3, off
.LBB481_755:
	s_mov_b64 s[6:7], 0
.LBB481_756:
	s_andn2_b64 vcc, exec, s[6:7]
	s_cbranch_vccnz .LBB481_766
; %bb.757:
	v_cvt_f32_f16_e32 v3, v2
	s_mov_b32 s6, 0x47800000
                                        ; implicit-def: $vgpr4
	v_and_b32_e32 v5, 0x7fffffff, v3
	v_cmp_gt_u32_e32 vcc, s6, v5
	s_and_saveexec_b64 s[6:7], vcc
	s_xor_b64 s[6:7], exec, s[6:7]
	s_cbranch_execz .LBB481_763
; %bb.758:
	s_mov_b32 s8, 0x387fffff
	v_cmp_lt_u32_e32 vcc, s8, v5
                                        ; implicit-def: $vgpr4
	s_and_saveexec_b64 s[8:9], vcc
	s_xor_b64 s[8:9], exec, s[8:9]
; %bb.759:
	v_bfe_u32 v4, v3, 21, 1
	s_mov_b32 s10, 0x80fffff
	v_add3_u32 v4, v3, v4, s10
	v_lshrrev_b32_e32 v4, 21, v4
; %bb.760:
	s_andn2_saveexec_b64 s[8:9], s[8:9]
; %bb.761:
	s_mov_b32 s10, 0x43000000
	v_add_f32_e64 v4, |v3|, s10
; %bb.762:
	s_or_b64 exec, exec, s[8:9]
                                        ; implicit-def: $vgpr5
.LBB481_763:
	s_andn2_saveexec_b64 s[6:7], s[6:7]
; %bb.764:
	s_mov_b32 s8, 0x7f800000
	v_mov_b32_e32 v4, 0x7c
	v_mov_b32_e32 v6, 0x7f
	v_cmp_lt_u32_e32 vcc, s8, v5
	s_nop 1
	v_cndmask_b32_e32 v4, v4, v6, vcc
; %bb.765:
	s_or_b64 exec, exec, s[6:7]
	v_lshrrev_b32_e32 v3, 24, v3
	s_movk_i32 s6, 0x80
	v_and_or_b32 v3, v3, s6, v4
	global_store_byte v[0:1], v3, off
.LBB481_766:
	s_mov_b64 s[8:9], 0
	s_mov_b64 s[6:7], -1
.LBB481_767:
	s_andn2_b64 vcc, exec, s[8:9]
	s_cbranch_vccnz .LBB481_775
; %bb.768:
	s_cmp_gt_i32 s13, 14
	s_mov_b64 s[8:9], -1
	s_cbranch_scc0 .LBB481_772
; %bb.769:
	s_cmp_eq_u32 s13, 15
	s_mov_b64 s[2:3], -1
	s_cbranch_scc0 .LBB481_771
; %bb.770:
	v_cvt_f32_f16_e32 v3, v2
	s_movk_i32 s2, 0x7fff
	v_cmp_o_f16_e32 vcc, v2, v2
	v_mov_b32_e32 v4, 0x7fc0
	v_bfe_u32 v5, v3, 16, 1
	v_add3_u32 v3, v3, v5, s2
	v_cndmask_b32_sdwa v3, v4, v3, vcc dst_sel:DWORD dst_unused:UNUSED_PAD src0_sel:DWORD src1_sel:WORD_1
	global_store_short v[0:1], v3, off
	s_mov_b64 s[6:7], -1
	s_mov_b64 s[2:3], 0
.LBB481_771:
	s_mov_b64 s[8:9], 0
.LBB481_772:
	s_and_b64 vcc, exec, s[8:9]
	s_cbranch_vccz .LBB481_775
; %bb.773:
	s_cmp_eq_u32 s13, 11
	s_mov_b64 s[2:3], -1
	s_cbranch_scc0 .LBB481_775
; %bb.774:
	v_and_b32_e32 v3, 0x7fff, v2
	v_cmp_ne_u16_e32 vcc, 0, v3
	s_mov_b64 s[6:7], -1
	s_mov_b64 s[2:3], 0
	v_cndmask_b32_e64 v3, 0, 1, vcc
	global_store_byte v[0:1], v3, off
.LBB481_775:
	s_mov_b64 s[8:9], 0
.LBB481_776:
	s_and_b64 vcc, exec, s[8:9]
	s_cbranch_vccz .LBB481_815
; %bb.777:
	s_and_b32 s8, 0xffff, s12
	s_cmp_lt_i32 s8, 5
	s_mov_b64 s[6:7], -1
	s_cbranch_scc1 .LBB481_798
; %bb.778:
	s_cmp_lt_i32 s8, 8
	s_cbranch_scc1 .LBB481_788
; %bb.779:
	s_cmp_lt_i32 s8, 9
	s_cbranch_scc1 .LBB481_785
; %bb.780:
	s_cmp_gt_i32 s8, 9
	s_cbranch_scc0 .LBB481_782
; %bb.781:
	v_cvt_f32_f16_e32 v3, v2
	v_mov_b32_e32 v6, 0
	v_mov_b32_e32 v7, v6
	s_mov_b64 s[6:7], 0
	v_cvt_f64_f32_e32 v[4:5], v3
	global_store_dwordx4 v[0:1], v[4:7], off
.LBB481_782:
	s_andn2_b64 vcc, exec, s[6:7]
	s_cbranch_vccnz .LBB481_784
; %bb.783:
	v_cvt_f32_f16_e32 v4, v2
	v_mov_b32_e32 v5, 0
	global_store_dwordx2 v[0:1], v[4:5], off
.LBB481_784:
	s_mov_b64 s[6:7], 0
.LBB481_785:
	s_andn2_b64 vcc, exec, s[6:7]
	s_cbranch_vccnz .LBB481_787
; %bb.786:
	v_and_b32_e32 v3, 0xffff, v2
	global_store_dword v[0:1], v3, off
.LBB481_787:
	s_mov_b64 s[6:7], 0
.LBB481_788:
	s_andn2_b64 vcc, exec, s[6:7]
	s_cbranch_vccnz .LBB481_797
; %bb.789:
	s_cmp_lt_i32 s8, 6
	s_mov_b64 s[6:7], -1
	s_cbranch_scc1 .LBB481_795
; %bb.790:
	s_cmp_gt_i32 s8, 6
	s_cbranch_scc0 .LBB481_792
; %bb.791:
	v_cvt_f32_f16_e32 v3, v2
	s_mov_b64 s[6:7], 0
	v_cvt_f64_f32_e32 v[4:5], v3
	global_store_dwordx2 v[0:1], v[4:5], off
.LBB481_792:
	s_andn2_b64 vcc, exec, s[6:7]
	s_cbranch_vccnz .LBB481_794
; %bb.793:
	v_cvt_f32_f16_e32 v3, v2
	global_store_dword v[0:1], v3, off
.LBB481_794:
	s_mov_b64 s[6:7], 0
.LBB481_795:
	s_andn2_b64 vcc, exec, s[6:7]
	s_cbranch_vccnz .LBB481_797
; %bb.796:
	global_store_short v[0:1], v2, off
.LBB481_797:
	s_mov_b64 s[6:7], 0
.LBB481_798:
	s_andn2_b64 vcc, exec, s[6:7]
	s_cbranch_vccnz .LBB481_814
; %bb.799:
	s_cmp_lt_i32 s8, 2
	s_mov_b64 s[6:7], -1
	s_cbranch_scc1 .LBB481_809
; %bb.800:
	s_cmp_lt_i32 s8, 3
	s_cbranch_scc1 .LBB481_806
; %bb.801:
	s_cmp_gt_i32 s8, 3
	s_cbranch_scc0 .LBB481_803
; %bb.802:
	v_cvt_f32_f16_e32 v3, v2
	s_mov_b64 s[6:7], 0
	v_cvt_i32_f32_e32 v4, v3
	v_ashrrev_i32_e32 v5, 31, v4
	global_store_dwordx2 v[0:1], v[4:5], off
.LBB481_803:
	s_andn2_b64 vcc, exec, s[6:7]
	s_cbranch_vccnz .LBB481_805
; %bb.804:
	v_cvt_f32_f16_e32 v3, v2
	v_cvt_i32_f32_e32 v3, v3
	global_store_dword v[0:1], v3, off
.LBB481_805:
	s_mov_b64 s[6:7], 0
.LBB481_806:
	s_andn2_b64 vcc, exec, s[6:7]
	s_cbranch_vccnz .LBB481_808
; %bb.807:
	v_cvt_i16_f16_e32 v3, v2
	global_store_short v[0:1], v3, off
.LBB481_808:
	s_mov_b64 s[6:7], 0
.LBB481_809:
	s_andn2_b64 vcc, exec, s[6:7]
	s_cbranch_vccnz .LBB481_814
; %bb.810:
	s_cmp_gt_i32 s8, 0
	s_mov_b64 s[6:7], -1
	s_cbranch_scc0 .LBB481_812
; %bb.811:
	v_cvt_i16_f16_e32 v3, v2
	s_mov_b64 s[6:7], 0
	global_store_byte v[0:1], v3, off
.LBB481_812:
	s_andn2_b64 vcc, exec, s[6:7]
	s_cbranch_vccnz .LBB481_814
; %bb.813:
	v_cvt_f32_f16_e32 v2, v2
	v_cvt_i32_f32_e32 v2, v2
	global_store_byte v[0:1], v2, off
.LBB481_814:
	s_mov_b64 s[6:7], -1
.LBB481_815:
	s_andn2_b64 vcc, exec, s[6:7]
	s_cbranch_vccnz .LBB481_817
; %bb.816:
	v_add_u32_e32 v8, 0x80, v8
	s_mov_b64 s[6:7], -1
	s_branch .LBB481_819
.LBB481_817:
	s_mov_b64 s[6:7], 0
.LBB481_818:
                                        ; implicit-def: $vgpr8
.LBB481_819:
	s_andn2_b64 s[8:9], s[62:63], exec
	s_and_b64 s[2:3], s[2:3], exec
	s_or_b64 s[68:69], s[8:9], s[2:3]
	s_andn2_b64 s[2:3], s[60:61], exec
	s_and_b64 s[4:5], s[4:5], exec
	s_or_b64 s[2:3], s[2:3], s[4:5]
	s_orn2_b64 s[6:7], s[6:7], exec
.LBB481_820:
	s_or_b64 exec, exec, s[66:67]
	s_mov_b64 s[4:5], 0
	s_mov_b64 s[10:11], 0
	;; [unrolled: 1-line block ×3, first 2 shown]
                                        ; implicit-def: $vgpr2_vgpr3
                                        ; implicit-def: $vgpr0
                                        ; implicit-def: $vgpr1
	s_and_saveexec_b64 s[66:67], s[6:7]
	s_cbranch_execz .LBB481_920
; %bb.821:
	v_cmp_gt_i32_e32 vcc, s70, v8
	s_mov_b64 s[6:7], 0
	s_mov_b64 s[12:13], s[2:3]
                                        ; implicit-def: $vgpr2_vgpr3
                                        ; implicit-def: $vgpr0
                                        ; implicit-def: $vgpr1
	s_and_saveexec_b64 s[70:71], vcc
	s_cbranch_execz .LBB481_919
; %bb.822:
	s_andn2_b64 vcc, exec, s[42:43]
	s_cbranch_vccnz .LBB481_828
; %bb.823:
	s_andn2_b64 vcc, exec, s[52:53]
	s_cbranch_vccnz .LBB481_829
; %bb.824:
	s_add_i32 s77, s76, 1
	s_cmp_eq_u32 s72, 2
	s_cbranch_scc1 .LBB481_830
; %bb.825:
	s_and_b32 s76, s77, 28
	s_mov_b32 s78, 0
	v_mov_b32_e32 v0, 0
	v_mov_b32_e32 v2, 0
	s_mov_b64 s[52:53], s[34:35]
	v_mov_b32_e32 v4, v8
.LBB481_826:                            ; =>This Inner Loop Header: Depth=1
	s_load_dwordx8 s[12:19], s[52:53], 0x4
	s_load_dwordx4 s[36:39], s[52:53], 0x24
	s_load_dwordx8 s[4:11], s[50:51], 0x0
	s_add_u32 s52, s52, 48
	s_addc_u32 s53, s53, 0
	s_waitcnt vmcnt(0) lgkmcnt(0)
	v_mul_hi_u32 v1, s13, v4
	v_add_u32_e32 v1, v4, v1
	v_lshrrev_b32_e32 v1, s14, v1
	v_mul_lo_u32 v3, v1, s12
	v_mul_hi_u32 v5, s16, v1
	v_sub_u32_e32 v3, v4, v3
	v_add_u32_e32 v4, v1, v5
	v_lshrrev_b32_e32 v4, s17, v4
	v_mul_lo_u32 v6, v4, s15
	v_mul_hi_u32 v7, s19, v4
	v_sub_u32_e32 v1, v1, v6
	v_add_u32_e32 v6, v4, v7
	v_mul_lo_u32 v5, v3, s5
	v_mul_lo_u32 v3, v3, s4
	v_mul_lo_u32 v7, v1, s7
	v_mul_lo_u32 v1, v1, s6
	v_lshrrev_b32_e32 v6, s36, v6
	v_add3_u32 v0, v3, v0, v1
	v_mul_hi_u32 v3, s38, v6
	v_add3_u32 v1, v5, v2, v7
	v_mul_lo_u32 v2, v6, s18
	v_add_u32_e32 v3, v6, v3
	v_sub_u32_e32 v2, v4, v2
	v_lshrrev_b32_e32 v4, s39, v3
	s_add_i32 s78, s78, 4
	v_mul_lo_u32 v3, v4, s37
	s_add_u32 s50, s50, 32
	v_sub_u32_e32 v3, v6, v3
	s_addc_u32 s51, s51, 0
	v_mul_lo_u32 v5, v2, s8
	v_mul_lo_u32 v2, v2, s9
	;; [unrolled: 1-line block ×4, first 2 shown]
	s_cmp_eq_u32 s76, s78
	v_add3_u32 v2, v2, v1, v3
	v_add3_u32 v0, v5, v0, v6
	s_cbranch_scc0 .LBB481_826
; %bb.827:
	v_mov_b32_e32 v1, v2
	s_branch .LBB481_831
.LBB481_828:
	s_mov_b64 s[4:5], -1
                                        ; implicit-def: $vgpr2
                                        ; implicit-def: $vgpr0
	s_branch .LBB481_835
.LBB481_829:
	v_mov_b32_e32 v2, 0
	v_mov_b32_e32 v0, 0
	s_branch .LBB481_834
.LBB481_830:
	v_mov_b32_e32 v0, 0
	s_mov_b32 s76, 0
	s_waitcnt vmcnt(0)
	v_mov_b32_e32 v1, v0
                                        ; implicit-def: $vgpr2
	v_mov_b32_e32 v4, v8
.LBB481_831:
	s_and_b32 s8, s77, 3
	s_cmp_eq_u32 s8, 0
	s_cbranch_scc1 .LBB481_834
; %bb.832:
	s_lshl_b32 s4, s76, 3
	s_add_u32 s4, s34, s4
	s_addc_u32 s5, s35, 0
	s_add_u32 s4, s4, 0xc4
	s_addc_u32 s5, s5, 0
	s_mul_i32 s6, s76, 12
	s_add_u32 s6, s34, s6
	s_addc_u32 s7, s35, 0
.LBB481_833:                            ; =>This Inner Loop Header: Depth=1
	s_load_dwordx2 s[10:11], s[6:7], 0x4
	s_load_dword s9, s[6:7], 0xc
	s_load_dwordx2 s[12:13], s[4:5], 0x0
	v_mov_b32_e32 v2, v1
	s_add_u32 s6, s6, 12
	s_waitcnt lgkmcnt(0)
	v_mul_hi_u32 v1, s11, v4
	v_add_u32_e32 v1, v4, v1
	v_lshrrev_b32_e32 v1, s9, v1
	s_addc_u32 s7, s7, 0
	v_mul_lo_u32 v3, v1, s10
	s_add_u32 s4, s4, 8
	v_sub_u32_e32 v5, v4, v3
	s_addc_u32 s5, s5, 0
	s_add_i32 s8, s8, -1
	v_mov_b32_e32 v4, v1
	v_mad_u64_u32 v[2:3], s[10:11], v5, s13, v[2:3]
	v_mad_u64_u32 v[0:1], s[10:11], v5, s12, v[0:1]
	s_cmp_lg_u32 s8, 0
	v_mov_b32_e32 v1, v2
	s_cbranch_scc1 .LBB481_833
.LBB481_834:
	s_mov_b64 s[4:5], 0
.LBB481_835:
	s_andn2_b64 vcc, exec, s[4:5]
	s_cbranch_vccnz .LBB481_838
; %bb.836:
	v_mul_hi_u32 v0, s25, v8
	v_add_u32_e32 v0, v8, v0
	s_waitcnt vmcnt(0)
	v_lshrrev_b32_e32 v1, s26, v0
	v_mul_lo_u32 v0, v1, s24
	v_sub_u32_e32 v0, v8, v0
	v_mul_lo_u32 v2, v0, s29
	s_andn2_b64 vcc, exec, s[48:49]
	v_mul_lo_u32 v0, v0, s28
	s_cbranch_vccnz .LBB481_838
; %bb.837:
	v_mul_hi_u32 v3, s46, v1
	v_add_u32_e32 v3, v1, v3
	v_lshrrev_b32_e32 v3, s47, v3
	v_mul_lo_u32 v3, v3, s27
	v_sub_u32_e32 v3, v1, v3
	v_mad_u64_u32 v[0:1], s[4:5], v3, s30, v[0:1]
	v_mad_u64_u32 v[2:3], s[4:5], v3, s31, v[2:3]
.LBB481_838:
	v_mov_b32_e32 v3, 0
	s_and_b32 s14, 0xffff, s75
	s_cmp_lt_i32 s14, 11
	v_lshl_add_u64 v[2:3], s[22:23], 0, v[2:3]
	s_cbranch_scc1 .LBB481_845
; %bb.839:
	s_cmp_gt_i32 s14, 25
	s_mov_b64 s[6:7], 0
	s_cbranch_scc0 .LBB481_846
; %bb.840:
	s_cmp_gt_i32 s14, 28
	s_cbranch_scc0 .LBB481_847
; %bb.841:
	s_cmp_gt_i32 s14, 43
	;; [unrolled: 3-line block ×3, first 2 shown]
	s_cbranch_scc0 .LBB481_851
; %bb.843:
	s_cmp_eq_u32 s14, 46
	s_mov_b64 s[10:11], 0
	s_cbranch_scc0 .LBB481_854
; %bb.844:
	global_load_dword v1, v[2:3], off
	s_mov_b64 s[4:5], 0
	s_mov_b64 s[8:9], -1
	s_waitcnt vmcnt(0)
	v_lshlrev_b32_e32 v1, 16, v1
	v_cvt_f16_f32_e32 v1, v1
	s_branch .LBB481_855
.LBB481_845:
	s_mov_b64 s[10:11], -1
	s_mov_b64 s[8:9], 0
	s_mov_b64 s[6:7], 0
	;; [unrolled: 1-line block ×3, first 2 shown]
                                        ; implicit-def: $vgpr1
	s_branch .LBB481_918
.LBB481_846:
	s_mov_b64 s[10:11], -1
	s_mov_b64 s[8:9], 0
	s_mov_b64 s[4:5], s[2:3]
                                        ; implicit-def: $vgpr1
	s_branch .LBB481_884
.LBB481_847:
	s_mov_b64 s[10:11], -1
	s_mov_b64 s[8:9], 0
	s_mov_b64 s[4:5], s[2:3]
                                        ; implicit-def: $vgpr1
	s_branch .LBB481_865
.LBB481_848:
	s_mov_b64 s[10:11], -1
	s_mov_b64 s[8:9], 0
	s_mov_b64 s[4:5], s[2:3]
                                        ; implicit-def: $vgpr1
	s_branch .LBB481_860
.LBB481_849:
	s_andn2_saveexec_b64 s[10:11], s[10:11]
	s_cbranch_execz .LBB481_728
.LBB481_850:
	s_mov_b32 s14, 0x46000000
	v_add_f32_e64 v4, |v3|, s14
	v_and_b32_e32 v4, 0xff, v4
	v_cmp_ne_u32_e32 vcc, 0, v4
	s_andn2_b64 s[8:9], s[8:9], exec
	s_and_b64 s[14:15], vcc, exec
	s_or_b64 s[8:9], s[8:9], s[14:15]
	s_or_b64 exec, exec, s[10:11]
	v_mov_b32_e32 v5, 0
	s_and_saveexec_b64 s[10:11], s[8:9]
	s_cbranch_execnz .LBB481_729
	s_branch .LBB481_730
.LBB481_851:
	s_mov_b64 s[10:11], -1
	s_mov_b64 s[8:9], 0
	s_mov_b64 s[4:5], s[2:3]
                                        ; implicit-def: $vgpr1
	s_branch .LBB481_855
.LBB481_852:
	s_andn2_saveexec_b64 s[10:11], s[10:11]
	s_cbranch_execz .LBB481_741
.LBB481_853:
	s_mov_b32 s14, 0x42800000
	v_add_f32_e64 v4, |v3|, s14
	v_and_b32_e32 v4, 0xff, v4
	v_cmp_ne_u32_e32 vcc, 0, v4
	s_andn2_b64 s[8:9], s[8:9], exec
	s_and_b64 s[14:15], vcc, exec
	s_or_b64 s[8:9], s[8:9], s[14:15]
	s_or_b64 exec, exec, s[10:11]
	v_mov_b32_e32 v5, 0
	s_and_saveexec_b64 s[10:11], s[8:9]
	s_cbranch_execnz .LBB481_742
	s_branch .LBB481_743
.LBB481_854:
	s_mov_b64 s[4:5], -1
                                        ; implicit-def: $vgpr1
	s_mov_b64 s[8:9], 0
.LBB481_855:
	s_and_b64 vcc, exec, s[10:11]
	s_cbranch_vccz .LBB481_859
; %bb.856:
	s_cmp_eq_u32 s14, 44
	s_cbranch_scc0 .LBB481_858
; %bb.857:
	global_load_ubyte v1, v[2:3], off
	s_movk_i32 s8, 0xff
	v_mov_b32_e32 v5, 0x7e00
	s_mov_b64 s[4:5], 0
	s_waitcnt vmcnt(0)
	v_lshlrev_b32_e32 v4, 23, v1
	v_cvt_f16_f32_e32 v4, v4
	v_cmp_ne_u32_e32 vcc, s8, v1
	s_mov_b64 s[8:9], -1
	s_nop 0
	v_cndmask_b32_e32 v4, v5, v4, vcc
	v_cmp_ne_u32_e32 vcc, 0, v1
	s_nop 1
	v_cndmask_b32_e32 v1, 0, v4, vcc
	s_branch .LBB481_859
.LBB481_858:
	s_mov_b64 s[4:5], -1
                                        ; implicit-def: $vgpr1
.LBB481_859:
	s_mov_b64 s[10:11], 0
.LBB481_860:
	s_and_b64 vcc, exec, s[10:11]
	s_cbranch_vccz .LBB481_864
; %bb.861:
	s_cmp_eq_u32 s14, 29
	s_cbranch_scc0 .LBB481_863
; %bb.862:
	global_load_dwordx2 v[4:5], v[2:3], off
	s_mov_b64 s[4:5], 0
	s_mov_b64 s[8:9], -1
	s_mov_b64 s[10:11], 0
	s_waitcnt vmcnt(0)
	v_ffbh_u32_e32 v1, v5
	v_min_u32_e32 v1, 32, v1
	v_lshlrev_b64 v[4:5], v1, v[4:5]
	v_min_u32_e32 v4, 1, v4
	v_or_b32_e32 v4, v5, v4
	v_cvt_f32_u32_e32 v4, v4
	v_sub_u32_e32 v1, 32, v1
	v_ldexp_f32 v1, v4, v1
	v_cvt_f16_f32_e32 v1, v1
	s_branch .LBB481_865
.LBB481_863:
	s_mov_b64 s[4:5], -1
                                        ; implicit-def: $vgpr1
.LBB481_864:
	s_mov_b64 s[10:11], 0
.LBB481_865:
	s_and_b64 vcc, exec, s[10:11]
	s_cbranch_vccz .LBB481_883
; %bb.866:
	s_cmp_lt_i32 s14, 27
	s_cbranch_scc1 .LBB481_869
; %bb.867:
	s_cmp_gt_i32 s14, 27
	s_cbranch_scc0 .LBB481_870
; %bb.868:
	global_load_dword v1, v[2:3], off
	s_mov_b64 s[8:9], 0
	s_waitcnt vmcnt(0)
	v_cvt_f32_u32_e32 v1, v1
	v_cvt_f16_f32_e32 v1, v1
	s_branch .LBB481_871
.LBB481_869:
	s_mov_b64 s[8:9], -1
                                        ; implicit-def: $vgpr1
	s_branch .LBB481_874
.LBB481_870:
	s_mov_b64 s[8:9], -1
                                        ; implicit-def: $vgpr1
.LBB481_871:
	s_andn2_b64 vcc, exec, s[8:9]
	s_cbranch_vccnz .LBB481_873
; %bb.872:
	global_load_ushort v1, v[2:3], off
	s_waitcnt vmcnt(0)
	v_cvt_f16_u16_e32 v1, v1
.LBB481_873:
	s_mov_b64 s[8:9], 0
.LBB481_874:
	s_andn2_b64 vcc, exec, s[8:9]
	s_cbranch_vccnz .LBB481_882
; %bb.875:
	global_load_ubyte v4, v[2:3], off
	s_movk_i32 s8, 0x7f
	s_waitcnt vmcnt(0)
	v_cmp_lt_i16_e32 vcc, s8, v4
	s_mov_b64 s[8:9], 0
	s_and_saveexec_b64 s[10:11], vcc
	s_xor_b64 s[10:11], exec, s[10:11]
	s_cbranch_execz .LBB481_896
; %bb.876:
	s_movk_i32 s8, 0x80
	v_cmp_eq_u16_e32 vcc, s8, v4
	s_mov_b64 s[8:9], -1
	s_and_saveexec_b64 s[12:13], vcc
; %bb.877:
	s_xor_b64 s[8:9], exec, -1
; %bb.878:
	s_or_b64 exec, exec, s[12:13]
	s_and_b64 s[8:9], s[8:9], exec
	s_or_saveexec_b64 s[10:11], s[10:11]
	v_mov_b32_e32 v1, 0x7e00
	s_xor_b64 exec, exec, s[10:11]
	s_cbranch_execnz .LBB481_897
.LBB481_879:
	s_or_b64 exec, exec, s[10:11]
	s_and_saveexec_b64 s[10:11], s[8:9]
	s_cbranch_execz .LBB481_881
.LBB481_880:
	v_lshlrev_b32_e32 v1, 24, v4
	v_and_b32_e32 v4, 0xffff, v4
	v_and_b32_e32 v5, 7, v4
	v_ffbh_u32_e32 v7, v5
	v_min_u32_e32 v7, 32, v7
	v_subrev_u32_e32 v8, 28, v7
	v_bfe_u32 v6, v4, 3, 4
	v_lshlrev_b32_e32 v4, v8, v4
	v_sub_u32_e32 v7, 29, v7
	v_and_b32_e32 v4, 7, v4
	v_cmp_eq_u32_e32 vcc, 0, v6
	v_and_b32_e32 v1, 0x80000000, v1
	s_nop 0
	v_cndmask_b32_e32 v6, v6, v7, vcc
	v_cndmask_b32_e32 v4, v5, v4, vcc
	v_mov_b32_e32 v5, 0x3b800000
	v_lshlrev_b32_e32 v4, 20, v4
	v_lshl_add_u32 v5, v6, 23, v5
	v_or3_b32 v1, v1, v5, v4
	v_cvt_f16_f32_e32 v1, v1
.LBB481_881:
	s_or_b64 exec, exec, s[10:11]
.LBB481_882:
	s_mov_b64 s[8:9], -1
.LBB481_883:
	s_mov_b64 s[10:11], 0
.LBB481_884:
	s_and_b64 vcc, exec, s[10:11]
	s_cbranch_vccz .LBB481_917
; %bb.885:
	s_cmp_gt_i32 s14, 22
	s_cbranch_scc0 .LBB481_895
; %bb.886:
	s_cmp_lt_i32 s14, 24
	s_cbranch_scc1 .LBB481_898
; %bb.887:
	s_cmp_gt_i32 s14, 24
	s_cbranch_scc0 .LBB481_899
; %bb.888:
	global_load_ubyte v4, v[2:3], off
	s_movk_i32 s6, 0x7f
	s_waitcnt vmcnt(0)
	v_cmp_lt_i16_e32 vcc, s6, v4
	s_mov_b64 s[6:7], 0
	s_and_saveexec_b64 s[8:9], vcc
	s_xor_b64 s[8:9], exec, s[8:9]
	s_cbranch_execz .LBB481_911
; %bb.889:
	s_movk_i32 s6, 0x80
	v_cmp_eq_u16_e32 vcc, s6, v4
	s_mov_b64 s[6:7], -1
	s_and_saveexec_b64 s[10:11], vcc
; %bb.890:
	s_xor_b64 s[6:7], exec, -1
; %bb.891:
	s_or_b64 exec, exec, s[10:11]
	s_and_b64 s[6:7], s[6:7], exec
	s_or_saveexec_b64 s[8:9], s[8:9]
	v_mov_b32_e32 v1, 0x7e00
	s_xor_b64 exec, exec, s[8:9]
	s_cbranch_execnz .LBB481_912
.LBB481_892:
	s_or_b64 exec, exec, s[8:9]
	s_and_saveexec_b64 s[8:9], s[6:7]
	s_cbranch_execz .LBB481_894
.LBB481_893:
	v_lshlrev_b32_e32 v1, 24, v4
	v_and_b32_e32 v4, 0xffff, v4
	v_and_b32_e32 v5, 3, v4
	v_ffbh_u32_e32 v7, v5
	v_min_u32_e32 v7, 32, v7
	v_subrev_u32_e32 v8, 29, v7
	v_bfe_u32 v6, v4, 2, 5
	v_lshlrev_b32_e32 v4, v8, v4
	v_sub_u32_e32 v7, 30, v7
	v_and_b32_e32 v4, 3, v4
	v_cmp_eq_u32_e32 vcc, 0, v6
	v_and_b32_e32 v1, 0x80000000, v1
	s_nop 0
	v_cndmask_b32_e32 v6, v6, v7, vcc
	v_cndmask_b32_e32 v4, v5, v4, vcc
	v_mov_b32_e32 v5, 0x37800000
	v_lshlrev_b32_e32 v4, 21, v4
	v_lshl_add_u32 v5, v6, 23, v5
	v_or3_b32 v1, v1, v5, v4
	v_cvt_f16_f32_e32 v1, v1
.LBB481_894:
	s_or_b64 exec, exec, s[8:9]
	s_mov_b64 s[6:7], 0
	s_branch .LBB481_900
.LBB481_895:
	s_mov_b64 s[6:7], -1
                                        ; implicit-def: $vgpr1
	s_branch .LBB481_906
.LBB481_896:
	s_or_saveexec_b64 s[10:11], s[10:11]
	v_mov_b32_e32 v1, 0x7e00
	s_xor_b64 exec, exec, s[10:11]
	s_cbranch_execz .LBB481_879
.LBB481_897:
	v_cmp_ne_u16_e32 vcc, 0, v4
	s_andn2_b64 s[8:9], s[8:9], exec
	s_and_b64 s[12:13], vcc, exec
	s_or_b64 s[8:9], s[8:9], s[12:13]
	v_mov_b32_e32 v1, v4
	s_or_b64 exec, exec, s[10:11]
	s_and_saveexec_b64 s[10:11], s[8:9]
	s_cbranch_execnz .LBB481_880
	s_branch .LBB481_881
.LBB481_898:
	s_mov_b64 s[6:7], -1
                                        ; implicit-def: $vgpr1
	s_branch .LBB481_903
.LBB481_899:
	s_mov_b64 s[6:7], -1
                                        ; implicit-def: $vgpr1
.LBB481_900:
	s_and_b64 vcc, exec, s[6:7]
	s_cbranch_vccz .LBB481_902
; %bb.901:
	global_load_ubyte v1, v[2:3], off
	s_mov_b32 s6, 0x7f800000
	s_waitcnt vmcnt(0)
	v_lshlrev_b32_e32 v1, 24, v1
	v_and_b32_e32 v4, 0x7f000000, v1
	v_ffbh_u32_e32 v5, v4
	v_min_u32_e32 v5, 32, v5
	v_sub_u32_e64 v5, v5, 4 clamp
	v_lshlrev_b32_e32 v7, v5, v4
	v_lshlrev_b32_e32 v5, 23, v5
	v_lshrrev_b32_e32 v7, 4, v7
	v_add_u32_e32 v6, 0x1000000, v4
	v_sub_u32_e32 v5, v7, v5
	v_ashrrev_i32_e32 v6, 8, v6
	v_add_u32_e32 v5, 0x3c000000, v5
	v_and_or_b32 v5, v6, s6, v5
	v_cmp_ne_u32_e32 vcc, 0, v4
	s_brev_b32 s6, 1
	s_nop 0
	v_cndmask_b32_e32 v4, 0, v5, vcc
	v_and_or_b32 v1, v1, s6, v4
	v_cvt_f16_f32_e32 v1, v1
.LBB481_902:
	s_mov_b64 s[6:7], 0
.LBB481_903:
	s_andn2_b64 vcc, exec, s[6:7]
	s_cbranch_vccnz .LBB481_905
; %bb.904:
	global_load_ubyte v1, v[2:3], off
	s_movk_i32 s6, 0x7f00
	s_brev_b32 s7, 16
	s_waitcnt vmcnt(0)
	v_lshlrev_b16_e32 v4, 8, v1
	v_lshlrev_b32_e32 v1, 25, v1
	v_lshrrev_b32_e32 v5, 4, v1
	v_and_or_b32 v6, v4, s6, 0.5
	v_or_b32_e32 v5, 0x70000000, v5
	v_add_f32_e32 v6, -0.5, v6
	v_mul_f32_e32 v5, 0x7800000, v5
	v_cmp_gt_u32_e32 vcc, s7, v1
	v_bfe_i32 v4, v4, 0, 16
	s_brev_b32 s6, 1
	v_cndmask_b32_e32 v1, v5, v6, vcc
	v_and_or_b32 v1, v4, s6, v1
	v_cvt_f16_f32_e32 v1, v1
.LBB481_905:
	s_mov_b64 s[6:7], 0
	s_mov_b64 s[8:9], -1
.LBB481_906:
	s_andn2_b64 vcc, exec, s[6:7]
	s_mov_b64 s[6:7], 0
	s_cbranch_vccnz .LBB481_917
; %bb.907:
	s_cmp_gt_i32 s14, 14
	s_cbranch_scc0 .LBB481_910
; %bb.908:
	s_cmp_eq_u32 s14, 15
	s_cbranch_scc0 .LBB481_913
; %bb.909:
	global_load_ushort v1, v[2:3], off
	s_mov_b64 s[4:5], 0
	s_mov_b64 s[8:9], -1
	s_waitcnt vmcnt(0)
	v_lshlrev_b32_e32 v1, 16, v1
	v_cvt_f16_f32_e32 v1, v1
	s_branch .LBB481_914
.LBB481_910:
	s_mov_b64 s[10:11], -1
                                        ; implicit-def: $vgpr1
	s_branch .LBB481_915
.LBB481_911:
	s_or_saveexec_b64 s[8:9], s[8:9]
	v_mov_b32_e32 v1, 0x7e00
	s_xor_b64 exec, exec, s[8:9]
	s_cbranch_execz .LBB481_892
.LBB481_912:
	v_cmp_ne_u16_e32 vcc, 0, v4
	s_andn2_b64 s[6:7], s[6:7], exec
	s_and_b64 s[10:11], vcc, exec
	s_or_b64 s[6:7], s[6:7], s[10:11]
	v_mov_b32_e32 v1, v4
	s_or_b64 exec, exec, s[8:9]
	s_and_saveexec_b64 s[8:9], s[6:7]
	s_cbranch_execnz .LBB481_893
	s_branch .LBB481_894
.LBB481_913:
	s_mov_b64 s[4:5], -1
                                        ; implicit-def: $vgpr1
.LBB481_914:
	s_mov_b64 s[10:11], 0
.LBB481_915:
	s_and_b64 vcc, exec, s[10:11]
	s_cbranch_vccz .LBB481_917
; %bb.916:
	s_cmp_lg_u32 s14, 11
	s_cselect_b64 s[10:11], -1, 0
	s_andn2_b64 s[4:5], s[4:5], exec
	s_and_b64 s[10:11], s[10:11], exec
	s_mov_b64 s[6:7], -1
	s_or_b64 s[4:5], s[4:5], s[10:11]
.LBB481_917:
	s_mov_b64 s[10:11], 0
.LBB481_918:
	s_andn2_b64 s[12:13], s[2:3], exec
	s_and_b64 s[4:5], s[4:5], exec
	s_and_b64 s[8:9], s[8:9], exec
	s_and_b64 s[10:11], s[10:11], exec
	s_and_b64 s[6:7], s[6:7], exec
	s_or_b64 s[12:13], s[12:13], s[4:5]
.LBB481_919:
	s_or_b64 exec, exec, s[70:71]
	s_and_b64 s[4:5], s[6:7], exec
	s_andn2_b64 s[2:3], s[2:3], exec
	s_and_b64 s[6:7], s[12:13], exec
	s_and_b64 s[8:9], s[8:9], exec
	;; [unrolled: 1-line block ×3, first 2 shown]
	s_or_b64 s[2:3], s[2:3], s[6:7]
.LBB481_920:
	s_or_b64 exec, exec, s[66:67]
	s_andn2_b64 s[6:7], s[62:63], exec
	s_and_b64 s[12:13], s[68:69], exec
	s_or_b64 s[62:63], s[6:7], s[12:13]
	s_and_b64 s[6:7], s[10:11], exec
	s_andn2_b64 s[10:11], s[60:61], exec
	s_and_b64 s[2:3], s[2:3], exec
	s_and_b64 s[8:9], s[8:9], exec
	;; [unrolled: 1-line block ×3, first 2 shown]
	s_or_b64 s[60:61], s[10:11], s[2:3]
.LBB481_921:
	s_or_b64 exec, exec, s[64:65]
	s_andn2_b64 s[2:3], s[54:55], exec
	s_and_b64 s[10:11], s[62:63], exec
	s_or_b64 s[54:55], s[2:3], s[10:11]
	s_and_b64 s[2:3], s[8:9], exec
	s_and_b64 s[8:9], s[6:7], exec
	;; [unrolled: 1-line block ×3, first 2 shown]
	s_andn2_b64 s[4:5], s[56:57], exec
	s_and_b64 s[6:7], s[60:61], exec
	s_or_b64 s[56:57], s[4:5], s[6:7]
	s_or_b64 exec, exec, s[58:59]
	s_mov_b64 s[4:5], 0
	s_and_saveexec_b64 s[6:7], s[56:57]
	s_cbranch_execz .LBB481_276
.LBB481_922:
	s_mov_b64 s[4:5], exec
	s_andn2_b64 s[62:63], s[62:63], exec
	s_trap 2
	s_or_b64 exec, exec, s[6:7]
	s_and_saveexec_b64 s[6:7], s[62:63]
	s_xor_b64 s[6:7], exec, s[6:7]
	s_cbranch_execnz .LBB481_277
.LBB481_923:
	s_or_b64 exec, exec, s[6:7]
	s_and_saveexec_b64 s[6:7], s[8:9]
	s_cbranch_execz .LBB481_969
.LBB481_924:
	s_sext_i32_i16 s8, s75
	s_cmp_lt_i32 s8, 5
	s_cbranch_scc1 .LBB481_929
; %bb.925:
	s_cmp_lt_i32 s8, 8
	s_cbranch_scc1 .LBB481_930
; %bb.926:
	;; [unrolled: 3-line block ×3, first 2 shown]
	s_cmp_gt_i32 s8, 9
	s_cbranch_scc0 .LBB481_932
; %bb.928:
	global_load_dwordx2 v[4:5], v[2:3], off
	s_movk_i32 s8, 0x1ff
	s_movk_i32 s9, 0xffe
	s_waitcnt vmcnt(1)
	v_mov_b32_e32 v1, 0x7c00
	v_mov_b32_e32 v6, 0x7e00
	s_movk_i32 s10, 0x40f
	s_mov_b32 s11, 0x8000
	s_waitcnt vmcnt(0)
	v_and_or_b32 v4, v5, s8, v4
	v_cmp_ne_u32_e32 vcc, 0, v4
	v_lshrrev_b32_e32 v7, 8, v5
	v_bfe_u32 v8, v5, 20, 11
	v_cndmask_b32_e64 v4, 0, 1, vcc
	v_sub_u32_e32 v9, 0x3f1, v8
	v_and_or_b32 v4, v7, s9, v4
	v_add_u32_e32 v8, 0xfffffc10, v8
	v_med3_i32 v7, v9, 0, 13
	v_or_b32_e32 v9, 0x1000, v4
	v_cmp_ne_u32_e32 vcc, 0, v4
	v_lshl_or_b32 v10, v8, 12, v4
	v_lshrrev_b32_e32 v5, 16, v5
	v_cndmask_b32_e32 v4, v1, v6, vcc
	v_lshrrev_b32_e32 v6, v7, v9
	v_lshlrev_b32_e32 v7, v7, v6
	v_cmp_ne_u32_e32 vcc, v7, v9
	s_mov_b64 s[8:9], 0
	s_nop 0
	v_cndmask_b32_e64 v7, 0, 1, vcc
	v_or_b32_e32 v6, v6, v7
	v_cmp_gt_i32_e32 vcc, 1, v8
	s_nop 1
	v_cndmask_b32_e32 v6, v10, v6, vcc
	v_and_b32_e32 v7, 7, v6
	v_cmp_lt_i32_e32 vcc, 5, v7
	v_lshrrev_b32_e32 v6, 2, v6
	s_nop 0
	v_cndmask_b32_e64 v9, 0, 1, vcc
	v_cmp_eq_u32_e32 vcc, 3, v7
	s_nop 1
	v_cndmask_b32_e64 v7, 0, 1, vcc
	v_or_b32_e32 v7, v7, v9
	v_add_u32_e32 v6, v6, v7
	v_cmp_gt_i32_e32 vcc, 31, v8
	s_nop 1
	v_cndmask_b32_e32 v1, v1, v6, vcc
	v_cmp_eq_u32_e32 vcc, s10, v8
	s_nop 1
	v_cndmask_b32_e32 v1, v1, v4, vcc
	v_and_or_b32 v1, v5, s11, v1
	s_branch .LBB481_933
.LBB481_929:
                                        ; implicit-def: $vgpr1
	s_branch .LBB481_950
.LBB481_930:
                                        ; implicit-def: $vgpr1
	s_branch .LBB481_939
.LBB481_931:
	s_mov_b64 s[8:9], -1
                                        ; implicit-def: $vgpr1
	s_branch .LBB481_936
.LBB481_932:
	s_mov_b64 s[8:9], -1
                                        ; implicit-def: $vgpr1
.LBB481_933:
	s_andn2_b64 vcc, exec, s[8:9]
	s_cbranch_vccnz .LBB481_935
; %bb.934:
	global_load_dword v1, v[2:3], off
	s_waitcnt vmcnt(0)
	v_cvt_f16_f32_e32 v1, v1
.LBB481_935:
	s_mov_b64 s[8:9], 0
.LBB481_936:
	s_andn2_b64 vcc, exec, s[8:9]
	s_cbranch_vccnz .LBB481_938
; %bb.937:
	global_load_dword v1, v[2:3], off
.LBB481_938:
	s_cbranch_execnz .LBB481_949
.LBB481_939:
	s_sext_i32_i16 s8, s75
	s_cmp_lt_i32 s8, 6
	s_cbranch_scc1 .LBB481_942
; %bb.940:
	s_cmp_gt_i32 s8, 6
	s_cbranch_scc0 .LBB481_943
; %bb.941:
	global_load_dwordx2 v[4:5], v[2:3], off
	s_movk_i32 s8, 0x1ff
	s_movk_i32 s9, 0xffe
	s_waitcnt vmcnt(1)
	v_mov_b32_e32 v1, 0x7c00
	v_mov_b32_e32 v6, 0x7e00
	s_movk_i32 s10, 0x40f
	s_mov_b32 s11, 0x8000
	s_waitcnt vmcnt(0)
	v_and_or_b32 v4, v5, s8, v4
	v_cmp_ne_u32_e32 vcc, 0, v4
	v_lshrrev_b32_e32 v7, 8, v5
	v_bfe_u32 v8, v5, 20, 11
	v_cndmask_b32_e64 v4, 0, 1, vcc
	v_sub_u32_e32 v9, 0x3f1, v8
	v_and_or_b32 v4, v7, s9, v4
	v_add_u32_e32 v8, 0xfffffc10, v8
	v_med3_i32 v7, v9, 0, 13
	v_or_b32_e32 v9, 0x1000, v4
	v_cmp_ne_u32_e32 vcc, 0, v4
	v_lshl_or_b32 v10, v8, 12, v4
	v_lshrrev_b32_e32 v5, 16, v5
	v_cndmask_b32_e32 v4, v1, v6, vcc
	v_lshrrev_b32_e32 v6, v7, v9
	v_lshlrev_b32_e32 v7, v7, v6
	v_cmp_ne_u32_e32 vcc, v7, v9
	s_mov_b64 s[8:9], 0
	s_nop 0
	v_cndmask_b32_e64 v7, 0, 1, vcc
	v_or_b32_e32 v6, v6, v7
	v_cmp_gt_i32_e32 vcc, 1, v8
	s_nop 1
	v_cndmask_b32_e32 v6, v10, v6, vcc
	v_and_b32_e32 v7, 7, v6
	v_cmp_lt_i32_e32 vcc, 5, v7
	v_lshrrev_b32_e32 v6, 2, v6
	s_nop 0
	v_cndmask_b32_e64 v9, 0, 1, vcc
	v_cmp_eq_u32_e32 vcc, 3, v7
	s_nop 1
	v_cndmask_b32_e64 v7, 0, 1, vcc
	v_or_b32_e32 v7, v7, v9
	v_add_u32_e32 v6, v6, v7
	v_cmp_gt_i32_e32 vcc, 31, v8
	s_nop 1
	v_cndmask_b32_e32 v1, v1, v6, vcc
	v_cmp_eq_u32_e32 vcc, s10, v8
	s_nop 1
	v_cndmask_b32_e32 v1, v1, v4, vcc
	v_and_or_b32 v1, v5, s11, v1
	s_branch .LBB481_944
.LBB481_942:
	s_mov_b64 s[8:9], -1
                                        ; implicit-def: $vgpr1
	s_branch .LBB481_947
.LBB481_943:
	s_mov_b64 s[8:9], -1
                                        ; implicit-def: $vgpr1
.LBB481_944:
	s_andn2_b64 vcc, exec, s[8:9]
	s_cbranch_vccnz .LBB481_946
; %bb.945:
	global_load_dword v1, v[2:3], off
	s_waitcnt vmcnt(0)
	v_cvt_f16_f32_e32 v1, v1
.LBB481_946:
	s_mov_b64 s[8:9], 0
.LBB481_947:
	s_andn2_b64 vcc, exec, s[8:9]
	s_cbranch_vccnz .LBB481_949
; %bb.948:
	global_load_ushort v1, v[2:3], off
.LBB481_949:
	s_cbranch_execnz .LBB481_968
.LBB481_950:
	s_sext_i32_i16 s8, s75
	s_cmp_lt_i32 s8, 2
	s_cbranch_scc1 .LBB481_954
; %bb.951:
	s_cmp_lt_i32 s8, 3
	s_cbranch_scc1 .LBB481_955
; %bb.952:
	s_cmp_gt_i32 s8, 3
	s_cbranch_scc0 .LBB481_956
; %bb.953:
	global_load_dwordx2 v[4:5], v[2:3], off
	s_mov_b64 s[8:9], 0
	s_waitcnt vmcnt(0)
	v_xor_b32_e32 v6, v4, v5
	v_ffbh_i32_e32 v1, v5
	v_ashrrev_i32_e32 v6, 31, v6
	v_add_u32_e32 v1, -1, v1
	v_add_u32_e32 v6, 32, v6
	v_min_u32_e32 v1, v1, v6
	v_lshlrev_b64 v[4:5], v1, v[4:5]
	v_min_u32_e32 v4, 1, v4
	v_or_b32_e32 v4, v5, v4
	v_cvt_f32_i32_e32 v4, v4
	v_sub_u32_e32 v1, 32, v1
	v_ldexp_f32 v1, v4, v1
	v_cvt_f16_f32_e32 v1, v1
	s_branch .LBB481_957
.LBB481_954:
                                        ; implicit-def: $vgpr1
	s_branch .LBB481_963
.LBB481_955:
	s_mov_b64 s[8:9], -1
                                        ; implicit-def: $vgpr1
	s_branch .LBB481_960
.LBB481_956:
	s_mov_b64 s[8:9], -1
                                        ; implicit-def: $vgpr1
.LBB481_957:
	s_andn2_b64 vcc, exec, s[8:9]
	s_cbranch_vccnz .LBB481_959
; %bb.958:
	global_load_dword v1, v[2:3], off
	s_waitcnt vmcnt(0)
	v_cvt_f32_i32_e32 v1, v1
	v_cvt_f16_f32_e32 v1, v1
.LBB481_959:
	s_mov_b64 s[8:9], 0
.LBB481_960:
	s_andn2_b64 vcc, exec, s[8:9]
	s_cbranch_vccnz .LBB481_962
; %bb.961:
	global_load_ushort v1, v[2:3], off
	s_waitcnt vmcnt(0)
	v_cvt_f16_i16_e32 v1, v1
.LBB481_962:
	s_cbranch_execnz .LBB481_968
.LBB481_963:
	s_sext_i32_i16 s8, s75
	s_cmp_gt_i32 s8, 0
	s_cbranch_scc0 .LBB481_965
; %bb.964:
	global_load_sbyte v1, v[2:3], off
	s_mov_b64 s[8:9], 0
	s_waitcnt vmcnt(0)
	v_cvt_f16_i16_e32 v1, v1
	s_branch .LBB481_966
.LBB481_965:
	s_mov_b64 s[8:9], -1
                                        ; implicit-def: $vgpr1
.LBB481_966:
	s_andn2_b64 vcc, exec, s[8:9]
	s_cbranch_vccnz .LBB481_968
; %bb.967:
	global_load_ubyte v1, v[2:3], off
	s_waitcnt vmcnt(0)
	v_cvt_f16_u16_e32 v1, v1
.LBB481_968:
	s_or_b64 s[2:3], s[2:3], exec
.LBB481_969:
	s_or_b64 exec, exec, s[6:7]
	s_mov_b64 s[10:11], 0
	s_mov_b64 s[8:9], 0
                                        ; implicit-def: $sgpr16
                                        ; implicit-def: $vgpr2_vgpr3
                                        ; implicit-def: $vgpr4
	s_and_saveexec_b64 s[6:7], s[2:3]
	s_cbranch_execz .LBB481_987
; %bb.970:
	s_waitcnt vmcnt(0)
	v_cmp_u_f16_e32 vcc, v1, v1
	v_cmp_gt_f16_e64 s[2:3], s74, v1
	v_mov_b32_e32 v2, s74
	s_or_b64 vcc, vcc, s[2:3]
	v_cndmask_b32_e32 v4, v2, v1, vcc
	v_mov_b32_e32 v1, 0
	s_and_b32 s16, s73, 0xff
	s_cmp_lt_i32 s16, 11
	v_lshl_add_u64 v[2:3], s[20:21], 0, v[0:1]
	s_cbranch_scc1 .LBB481_990
; %bb.971:
	s_and_b32 s17, 0xffff, s16
	s_mov_b64 s[10:11], -1
	s_cmp_gt_i32 s17, 25
	s_mov_b64 s[2:3], s[54:55]
	s_cbranch_scc0 .LBB481_1008
; %bb.972:
	s_mov_b64 s[8:9], -1
	s_cmp_gt_i32 s17, 28
	s_mov_b64 s[2:3], s[54:55]
	s_cbranch_scc0 .LBB481_992
; %bb.973:
	s_cmp_gt_i32 s17, 43
	s_mov_b64 s[2:3], s[54:55]
	s_cbranch_scc0 .LBB481_984
; %bb.974:
	;; [unrolled: 4-line block ×3, first 2 shown]
	s_cmp_eq_u32 s17, 46
	s_mov_b64 s[2:3], -1
	s_cbranch_scc0 .LBB481_977
; %bb.976:
	v_cvt_f32_f16_e32 v0, v4
	s_movk_i32 s2, 0x7fff
	v_cmp_o_f16_e32 vcc, v4, v4
	v_mov_b32_e32 v1, 0x7fc0
	v_bfe_u32 v5, v0, 16, 1
	v_add3_u32 v0, v0, v5, s2
	v_cndmask_b32_sdwa v0, v1, v0, vcc dst_sel:DWORD dst_unused:UNUSED_PAD src0_sel:DWORD src1_sel:WORD_1
	global_store_dword v[2:3], v0, off
	s_mov_b64 s[2:3], 0
.LBB481_977:
	s_mov_b64 s[8:9], 0
.LBB481_978:
	s_and_b64 vcc, exec, s[8:9]
	s_cbranch_vccz .LBB481_983
; %bb.979:
	s_cmp_eq_u32 s17, 44
	s_mov_b64 s[2:3], -1
	s_cbranch_scc0 .LBB481_983
; %bb.980:
	v_cvt_f32_f16_e32 v0, v4
	s_movk_i32 s2, 0xff
	v_mov_b32_e32 v5, 0xff
	v_bfe_u32 v1, v0, 23, 8
	v_cmp_ne_u32_e32 vcc, s2, v1
	s_and_saveexec_b64 s[8:9], vcc
; %bb.981:
	s_mov_b32 s2, 0x3fffff
	v_lshrrev_b32_e32 v5, 23, v0
	v_and_b32_e32 v6, 0x400000, v0
	v_and_or_b32 v0, v0, s2, v1
	v_cmp_ne_u32_e32 vcc, 0, v6
	v_cmp_ne_u32_e64 s[2:3], 0, v0
	s_and_b64 s[2:3], vcc, s[2:3]
	s_nop 0
	v_cndmask_b32_e64 v0, 0, 1, s[2:3]
	v_add_u32_e32 v5, v5, v0
; %bb.982:
	s_or_b64 exec, exec, s[8:9]
	s_mov_b64 s[2:3], 0
	global_store_byte v[2:3], v5, off
.LBB481_983:
	s_mov_b64 s[8:9], 0
.LBB481_984:
	s_and_b64 vcc, exec, s[8:9]
	s_cbranch_vccz .LBB481_991
; %bb.985:
	s_cmp_eq_u32 s17, 29
	s_mov_b64 s[2:3], -1
	s_cbranch_scc0 .LBB481_991
; %bb.986:
	v_cvt_f32_f16_e32 v0, v4
	v_mov_b32_e32 v1, 0
	s_mov_b64 s[2:3], 0
	s_mov_b64 s[8:9], 0
	v_cvt_u32_f32_e32 v0, v0
	global_store_dwordx2 v[2:3], v[0:1], off
	s_branch .LBB481_992
.LBB481_987:
	s_or_b64 exec, exec, s[6:7]
	s_and_saveexec_b64 s[2:3], s[54:55]
	s_cbranch_execnz .LBB481_1050
.LBB481_988:
	s_or_b64 exec, exec, s[2:3]
	s_and_saveexec_b64 s[2:3], s[10:11]
	s_xor_b64 s[2:3], exec, s[2:3]
	s_cbranch_execz .LBB481_1051
.LBB481_989:
	v_and_b32_e32 v0, 0x7fff, v4
	v_cmp_ne_u16_e32 vcc, 0, v0
	s_nop 1
	v_cndmask_b32_e64 v0, 0, 1, vcc
	global_store_byte v[2:3], v0, off
	s_or_b64 exec, exec, s[2:3]
	s_and_saveexec_b64 s[2:3], s[8:9]
	s_xor_b64 s[2:3], exec, s[2:3]
	s_cbranch_execz .LBB481_1089
	s_branch .LBB481_1052
.LBB481_990:
	s_mov_b64 s[8:9], -1
	s_mov_b64 s[2:3], s[54:55]
	s_branch .LBB481_1049
.LBB481_991:
	s_mov_b64 s[8:9], 0
.LBB481_992:
	s_and_b64 vcc, exec, s[8:9]
	s_cbranch_vccz .LBB481_1007
; %bb.993:
	s_cmp_lt_i32 s17, 27
	s_mov_b64 s[8:9], -1
	s_cbranch_scc1 .LBB481_999
; %bb.994:
	s_cmp_gt_i32 s17, 27
	s_cbranch_scc0 .LBB481_996
; %bb.995:
	v_cvt_f32_f16_e32 v0, v4
	s_mov_b64 s[8:9], 0
	v_cvt_u32_f32_e32 v0, v0
	global_store_dword v[2:3], v0, off
.LBB481_996:
	s_andn2_b64 vcc, exec, s[8:9]
	s_cbranch_vccnz .LBB481_998
; %bb.997:
	v_cvt_u16_f16_e32 v0, v4
	global_store_short v[2:3], v0, off
.LBB481_998:
	s_mov_b64 s[8:9], 0
.LBB481_999:
	s_andn2_b64 vcc, exec, s[8:9]
	s_cbranch_vccnz .LBB481_1007
; %bb.1000:
	v_cvt_f32_f16_e32 v0, v4
	s_mov_b32 s8, 0x43800000
	v_mov_b32_e32 v5, 0x80
	v_and_b32_e32 v1, 0x7fffffff, v0
	v_cmp_gt_u32_e32 vcc, s8, v1
	s_and_saveexec_b64 s[8:9], vcc
	s_cbranch_execz .LBB481_1006
; %bb.1001:
	s_mov_b32 s10, 0x3bffffff
	v_cmp_lt_u32_e32 vcc, s10, v1
	s_mov_b64 s[10:11], 0
                                        ; implicit-def: $vgpr1
	s_and_saveexec_b64 s[12:13], vcc
	s_xor_b64 s[12:13], exec, s[12:13]
	s_cbranch_execz .LBB481_1160
; %bb.1002:
	v_bfe_u32 v1, v0, 20, 1
	s_mov_b32 s14, 0x487ffff
	v_add3_u32 v1, v0, v1, s14
	s_mov_b64 s[10:11], exec
	v_lshrrev_b32_e32 v1, 20, v1
	s_andn2_saveexec_b64 s[12:13], s[12:13]
	s_cbranch_execnz .LBB481_1161
.LBB481_1003:
	s_or_b64 exec, exec, s[12:13]
	v_mov_b32_e32 v5, 0
	s_and_saveexec_b64 s[12:13], s[10:11]
.LBB481_1004:
	v_lshrrev_b32_e32 v0, 24, v0
	s_movk_i32 s10, 0x80
	v_and_or_b32 v5, v0, s10, v1
.LBB481_1005:
	s_or_b64 exec, exec, s[12:13]
.LBB481_1006:
	s_or_b64 exec, exec, s[8:9]
	global_store_byte v[2:3], v5, off
.LBB481_1007:
	s_mov_b64 s[10:11], 0
.LBB481_1008:
	s_mov_b64 s[8:9], 0
	s_and_b64 vcc, exec, s[10:11]
	s_cbranch_vccz .LBB481_1048
; %bb.1009:
	s_cmp_gt_i32 s17, 22
	s_mov_b64 s[10:11], -1
	s_cbranch_scc0 .LBB481_1041
; %bb.1010:
	s_cmp_lt_i32 s17, 24
	s_cbranch_scc1 .LBB481_1030
; %bb.1011:
	s_cmp_gt_i32 s17, 24
	s_cbranch_scc0 .LBB481_1019
; %bb.1012:
	v_cvt_f32_f16_e32 v0, v4
	s_mov_b32 s10, 0x47800000
	v_mov_b32_e32 v5, 0x80
	v_and_b32_e32 v1, 0x7fffffff, v0
	v_cmp_gt_u32_e32 vcc, s10, v1
	s_and_saveexec_b64 s[10:11], vcc
	s_cbranch_execz .LBB481_1018
; %bb.1013:
	s_mov_b32 s12, 0x37ffffff
	v_cmp_lt_u32_e32 vcc, s12, v1
	s_mov_b64 s[12:13], 0
                                        ; implicit-def: $vgpr1
	s_and_saveexec_b64 s[14:15], vcc
	s_xor_b64 s[14:15], exec, s[14:15]
	s_cbranch_execz .LBB481_1285
; %bb.1014:
	v_bfe_u32 v1, v0, 21, 1
	s_mov_b32 s18, 0x88fffff
	v_add3_u32 v1, v0, v1, s18
	s_mov_b64 s[12:13], exec
	v_lshrrev_b32_e32 v1, 21, v1
	s_andn2_saveexec_b64 s[14:15], s[14:15]
	s_cbranch_execnz .LBB481_1286
.LBB481_1015:
	s_or_b64 exec, exec, s[14:15]
	v_mov_b32_e32 v5, 0
	s_and_saveexec_b64 s[14:15], s[12:13]
.LBB481_1016:
	v_lshrrev_b32_e32 v0, 24, v0
	s_movk_i32 s12, 0x80
	v_and_or_b32 v5, v0, s12, v1
.LBB481_1017:
	s_or_b64 exec, exec, s[14:15]
.LBB481_1018:
	s_or_b64 exec, exec, s[10:11]
	s_mov_b64 s[10:11], 0
	global_store_byte v[2:3], v5, off
.LBB481_1019:
	s_and_b64 vcc, exec, s[10:11]
	s_cbranch_vccz .LBB481_1029
; %bb.1020:
	v_cvt_f32_f16_e32 v0, v4
	s_mov_b32 s10, 0x43f00000
                                        ; implicit-def: $vgpr1
	v_and_b32_e32 v5, 0x7fffffff, v0
	v_cmp_gt_u32_e32 vcc, s10, v5
	s_and_saveexec_b64 s[10:11], vcc
	s_xor_b64 s[10:11], exec, s[10:11]
	s_cbranch_execz .LBB481_1026
; %bb.1021:
	s_mov_b32 s12, 0x3c7fffff
	v_cmp_lt_u32_e32 vcc, s12, v5
                                        ; implicit-def: $vgpr1
	s_and_saveexec_b64 s[12:13], vcc
	s_xor_b64 s[12:13], exec, s[12:13]
; %bb.1022:
	v_bfe_u32 v1, v0, 20, 1
	s_mov_b32 s14, 0x407ffff
	v_add3_u32 v1, v0, v1, s14
	v_lshrrev_b32_e32 v5, 20, v1
	v_and_b32_e32 v1, 0xff00000, v1
	s_mov_b32 s14, 0x7f00000
	v_mov_b32_e32 v6, 0x7e
	v_cmp_ne_u32_e32 vcc, s14, v1
	s_nop 1
	v_cndmask_b32_e32 v1, v6, v5, vcc
; %bb.1023:
	s_andn2_saveexec_b64 s[12:13], s[12:13]
; %bb.1024:
	s_mov_b32 s14, 0x46800000
	v_add_f32_e64 v1, |v0|, s14
; %bb.1025:
	s_or_b64 exec, exec, s[12:13]
                                        ; implicit-def: $vgpr5
.LBB481_1026:
	s_andn2_saveexec_b64 s[10:11], s[10:11]
; %bb.1027:
	s_mov_b32 s12, 0x7f800000
	v_mov_b32_e32 v1, 0x7e
	v_mov_b32_e32 v6, 0x7f
	v_cmp_lt_u32_e32 vcc, s12, v5
	s_nop 1
	v_cndmask_b32_e32 v1, v1, v6, vcc
; %bb.1028:
	s_or_b64 exec, exec, s[10:11]
	v_lshrrev_b32_e32 v0, 24, v0
	s_movk_i32 s10, 0x80
	v_and_or_b32 v0, v0, s10, v1
	global_store_byte v[2:3], v0, off
.LBB481_1029:
	s_mov_b64 s[10:11], 0
.LBB481_1030:
	s_andn2_b64 vcc, exec, s[10:11]
	s_cbranch_vccnz .LBB481_1040
; %bb.1031:
	v_cvt_f32_f16_e32 v0, v4
	s_mov_b32 s10, 0x47800000
                                        ; implicit-def: $vgpr1
	v_and_b32_e32 v5, 0x7fffffff, v0
	v_cmp_gt_u32_e32 vcc, s10, v5
	s_and_saveexec_b64 s[10:11], vcc
	s_xor_b64 s[10:11], exec, s[10:11]
	s_cbranch_execz .LBB481_1037
; %bb.1032:
	s_mov_b32 s12, 0x387fffff
	v_cmp_lt_u32_e32 vcc, s12, v5
                                        ; implicit-def: $vgpr1
	s_and_saveexec_b64 s[12:13], vcc
	s_xor_b64 s[12:13], exec, s[12:13]
; %bb.1033:
	v_bfe_u32 v1, v0, 21, 1
	s_mov_b32 s14, 0x80fffff
	v_add3_u32 v1, v0, v1, s14
	v_lshrrev_b32_e32 v1, 21, v1
; %bb.1034:
	s_andn2_saveexec_b64 s[12:13], s[12:13]
; %bb.1035:
	s_mov_b32 s14, 0x43000000
	v_add_f32_e64 v1, |v0|, s14
; %bb.1036:
	s_or_b64 exec, exec, s[12:13]
                                        ; implicit-def: $vgpr5
.LBB481_1037:
	s_andn2_saveexec_b64 s[10:11], s[10:11]
; %bb.1038:
	s_mov_b32 s12, 0x7f800000
	v_mov_b32_e32 v1, 0x7c
	v_mov_b32_e32 v6, 0x7f
	v_cmp_lt_u32_e32 vcc, s12, v5
	s_nop 1
	v_cndmask_b32_e32 v1, v1, v6, vcc
; %bb.1039:
	s_or_b64 exec, exec, s[10:11]
	v_lshrrev_b32_e32 v0, 24, v0
	s_movk_i32 s10, 0x80
	v_and_or_b32 v0, v0, s10, v1
	global_store_byte v[2:3], v0, off
.LBB481_1040:
	s_mov_b64 s[10:11], 0
.LBB481_1041:
	s_andn2_b64 vcc, exec, s[10:11]
	s_mov_b64 s[10:11], 0
	s_cbranch_vccnz .LBB481_1049
; %bb.1042:
	s_cmp_gt_i32 s17, 14
	s_mov_b64 s[12:13], -1
	s_cbranch_scc0 .LBB481_1046
; %bb.1043:
	s_cmp_eq_u32 s17, 15
	s_mov_b64 s[2:3], -1
	s_cbranch_scc0 .LBB481_1045
; %bb.1044:
	v_cvt_f32_f16_e32 v0, v4
	s_movk_i32 s2, 0x7fff
	v_cmp_o_f16_e32 vcc, v4, v4
	v_mov_b32_e32 v1, 0x7fc0
	v_bfe_u32 v5, v0, 16, 1
	v_add3_u32 v0, v0, v5, s2
	v_cndmask_b32_sdwa v0, v1, v0, vcc dst_sel:DWORD dst_unused:UNUSED_PAD src0_sel:DWORD src1_sel:WORD_1
	global_store_short v[2:3], v0, off
	s_mov_b64 s[2:3], 0
.LBB481_1045:
	s_mov_b64 s[12:13], 0
.LBB481_1046:
	s_and_b64 vcc, exec, s[12:13]
	s_cbranch_vccz .LBB481_1049
; %bb.1047:
	s_cmp_lg_u32 s17, 11
	s_cselect_b64 s[12:13], -1, 0
	s_andn2_b64 s[2:3], s[2:3], exec
	s_and_b64 s[12:13], s[12:13], exec
	s_mov_b64 s[10:11], -1
	s_or_b64 s[2:3], s[2:3], s[12:13]
	s_branch .LBB481_1049
.LBB481_1048:
	s_mov_b64 s[10:11], 0
.LBB481_1049:
	s_andn2_b64 s[12:13], s[54:55], exec
	s_and_b64 s[2:3], s[2:3], exec
	s_and_b64 s[8:9], s[8:9], exec
	;; [unrolled: 1-line block ×3, first 2 shown]
	s_or_b64 s[54:55], s[12:13], s[2:3]
	s_or_b64 exec, exec, s[6:7]
	s_and_saveexec_b64 s[2:3], s[54:55]
	s_cbranch_execz .LBB481_988
.LBB481_1050:
	s_or_b64 s[4:5], s[4:5], exec
	s_andn2_b64 s[10:11], s[10:11], exec
	s_trap 2
	s_or_b64 exec, exec, s[2:3]
	s_and_saveexec_b64 s[2:3], s[10:11]
	s_xor_b64 s[2:3], exec, s[2:3]
	s_cbranch_execnz .LBB481_989
.LBB481_1051:
	s_or_b64 exec, exec, s[2:3]
	s_and_saveexec_b64 s[2:3], s[8:9]
	s_xor_b64 s[2:3], exec, s[2:3]
	s_cbranch_execz .LBB481_1089
.LBB481_1052:
	s_sext_i32_i16 s8, s16
	s_cmp_lt_i32 s8, 5
	s_mov_b64 s[6:7], -1
	s_cbranch_scc1 .LBB481_1073
; %bb.1053:
	s_cmp_lt_i32 s8, 8
	s_cbranch_scc1 .LBB481_1063
; %bb.1054:
	s_cmp_lt_i32 s8, 9
	s_cbranch_scc1 .LBB481_1060
; %bb.1055:
	s_cmp_gt_i32 s8, 9
	s_cbranch_scc0 .LBB481_1057
; %bb.1056:
	v_cvt_f32_f16_e32 v0, v4
	v_mov_b32_e32 v8, 0
	v_mov_b32_e32 v9, v8
	s_mov_b64 s[6:7], 0
	v_cvt_f64_f32_e32 v[6:7], v0
	global_store_dwordx4 v[2:3], v[6:9], off
.LBB481_1057:
	s_andn2_b64 vcc, exec, s[6:7]
	s_cbranch_vccnz .LBB481_1059
; %bb.1058:
	v_cvt_f32_f16_e32 v0, v4
	s_waitcnt vmcnt(0)
	v_mov_b32_e32 v1, 0
	global_store_dwordx2 v[2:3], v[0:1], off
.LBB481_1059:
	s_mov_b64 s[6:7], 0
.LBB481_1060:
	s_andn2_b64 vcc, exec, s[6:7]
	s_cbranch_vccnz .LBB481_1062
; %bb.1061:
	v_and_b32_e32 v0, 0xffff, v4
	global_store_dword v[2:3], v0, off
.LBB481_1062:
	s_mov_b64 s[6:7], 0
.LBB481_1063:
	s_andn2_b64 vcc, exec, s[6:7]
	s_cbranch_vccnz .LBB481_1072
; %bb.1064:
	s_sext_i32_i16 s8, s16
	s_cmp_lt_i32 s8, 6
	s_mov_b64 s[6:7], -1
	s_cbranch_scc1 .LBB481_1070
; %bb.1065:
	s_cmp_gt_i32 s8, 6
	s_cbranch_scc0 .LBB481_1067
; %bb.1066:
	v_cvt_f32_f16_e32 v0, v4
	s_mov_b64 s[6:7], 0
	s_waitcnt vmcnt(0)
	v_cvt_f64_f32_e32 v[0:1], v0
	global_store_dwordx2 v[2:3], v[0:1], off
.LBB481_1067:
	s_andn2_b64 vcc, exec, s[6:7]
	s_cbranch_vccnz .LBB481_1069
; %bb.1068:
	v_cvt_f32_f16_e32 v0, v4
	global_store_dword v[2:3], v0, off
.LBB481_1069:
	s_mov_b64 s[6:7], 0
.LBB481_1070:
	s_andn2_b64 vcc, exec, s[6:7]
	s_cbranch_vccnz .LBB481_1072
; %bb.1071:
	global_store_short v[2:3], v4, off
.LBB481_1072:
	s_mov_b64 s[6:7], 0
.LBB481_1073:
	s_andn2_b64 vcc, exec, s[6:7]
	s_cbranch_vccnz .LBB481_1089
; %bb.1074:
	s_sext_i32_i16 s8, s16
	s_cmp_lt_i32 s8, 2
	s_mov_b64 s[6:7], -1
	s_cbranch_scc1 .LBB481_1084
; %bb.1075:
	s_cmp_lt_i32 s8, 3
	s_cbranch_scc1 .LBB481_1081
; %bb.1076:
	s_cmp_gt_i32 s8, 3
	s_cbranch_scc0 .LBB481_1078
; %bb.1077:
	v_cvt_f32_f16_e32 v0, v4
	s_mov_b64 s[6:7], 0
	v_cvt_i32_f32_e32 v0, v0
	s_waitcnt vmcnt(0)
	v_ashrrev_i32_e32 v1, 31, v0
	global_store_dwordx2 v[2:3], v[0:1], off
.LBB481_1078:
	s_andn2_b64 vcc, exec, s[6:7]
	s_cbranch_vccnz .LBB481_1080
; %bb.1079:
	v_cvt_f32_f16_e32 v0, v4
	v_cvt_i32_f32_e32 v0, v0
	global_store_dword v[2:3], v0, off
.LBB481_1080:
	s_mov_b64 s[6:7], 0
.LBB481_1081:
	s_andn2_b64 vcc, exec, s[6:7]
	s_cbranch_vccnz .LBB481_1083
; %bb.1082:
	v_cvt_i16_f16_e32 v0, v4
	global_store_short v[2:3], v0, off
.LBB481_1083:
	s_mov_b64 s[6:7], 0
.LBB481_1084:
	s_andn2_b64 vcc, exec, s[6:7]
	s_cbranch_vccnz .LBB481_1089
; %bb.1085:
	s_sext_i32_i16 s6, s16
	s_cmp_gt_i32 s6, 0
	s_mov_b64 s[6:7], -1
	s_cbranch_scc0 .LBB481_1087
; %bb.1086:
	v_cvt_i16_f16_e32 v0, v4
	s_mov_b64 s[6:7], 0
	global_store_byte v[2:3], v0, off
.LBB481_1087:
	s_andn2_b64 vcc, exec, s[6:7]
	s_cbranch_vccnz .LBB481_1089
; %bb.1088:
	v_cvt_f32_f16_e32 v0, v4
	v_cvt_i32_f32_e32 v0, v0
	global_store_byte v[2:3], v0, off
.LBB481_1089:
	s_or_b64 exec, exec, s[2:3]
	s_and_b64 s[24:25], s[4:5], exec
                                        ; implicit-def: $vgpr16
                                        ; implicit-def: $vgpr8
.LBB481_1090:
	s_or_saveexec_b64 s[26:27], s[44:45]
	s_mov_b64 s[6:7], 0
                                        ; implicit-def: $vgpr0_vgpr1
                                        ; implicit-def: $sgpr14
                                        ; implicit-def: $vgpr2
	s_xor_b64 exec, exec, s[26:27]
	s_cbranch_execz .LBB481_2094
; %bb.1091:
	v_cndmask_b32_e64 v0, 0, 1, s[42:43]
	v_cmp_ne_u32_e64 s[2:3], 1, v0
	s_andn2_b64 vcc, exec, s[42:43]
	s_cbranch_vccnz .LBB481_1097
; %bb.1092:
	s_cmp_lg_u32 s33, 0
	s_mov_b32 s36, 0
	s_cbranch_scc0 .LBB481_1098
; %bb.1093:
	s_min_u32 s37, s72, 15
	s_add_i32 s37, s37, 1
	s_cmp_eq_u32 s72, 2
	s_cbranch_scc1 .LBB481_1099
; %bb.1094:
	s_and_b32 s36, s37, 28
	s_add_u32 s28, s34, 0xc4
	s_addc_u32 s29, s35, 0
	s_mov_b32 s38, 0
	v_mov_b32_e32 v6, 0
	v_mov_b32_e32 v14, 0
	s_mov_b64 s[30:31], s[34:35]
	v_mov_b32_e32 v0, v8
.LBB481_1095:                           ; =>This Inner Loop Header: Depth=1
	s_load_dwordx8 s[12:19], s[30:31], 0x4
	s_load_dwordx4 s[20:23], s[30:31], 0x24
	s_load_dwordx8 s[4:11], s[28:29], 0x0
	s_add_u32 s30, s30, 48
	s_addc_u32 s31, s31, 0
	s_waitcnt vmcnt(0) lgkmcnt(0)
	v_mul_hi_u32 v1, s13, v0
	v_add_u32_e32 v1, v0, v1
	v_lshrrev_b32_e32 v1, s14, v1
	v_mul_lo_u32 v2, v1, s12
	v_mul_hi_u32 v3, s16, v1
	v_sub_u32_e32 v0, v0, v2
	v_add_u32_e32 v2, v1, v3
	v_lshrrev_b32_e32 v2, s17, v2
	v_mul_lo_u32 v4, v2, s15
	v_mul_hi_u32 v5, s19, v2
	v_sub_u32_e32 v1, v1, v4
	v_add_u32_e32 v4, v2, v5
	v_mul_lo_u32 v3, v0, s5
	v_mul_lo_u32 v0, v0, s4
	;; [unrolled: 1-line block ×4, first 2 shown]
	v_lshrrev_b32_e32 v4, s20, v4
	v_add3_u32 v1, v0, v6, v1
	v_add3_u32 v3, v3, v14, v5
	v_mul_lo_u32 v0, v4, s18
	v_mul_hi_u32 v5, s22, v4
	v_sub_u32_e32 v0, v2, v0
	v_add_u32_e32 v2, v4, v5
	v_mul_lo_u32 v5, v0, s8
	v_mul_lo_u32 v6, v0, s9
	v_lshrrev_b32_e32 v0, s23, v2
	s_add_i32 s38, s38, 4
	v_mul_lo_u32 v2, v0, s21
	s_add_u32 s28, s28, 32
	v_sub_u32_e32 v2, v4, v2
	s_addc_u32 s29, s29, 0
	v_mul_lo_u32 v4, v2, s10
	v_mul_lo_u32 v2, v2, s11
	s_cmp_lg_u32 s36, s38
	v_add3_u32 v14, v6, v3, v2
	v_add3_u32 v6, v5, v1, v4
	s_cbranch_scc1 .LBB481_1095
; %bb.1096:
	v_mov_b32_e32 v1, v14
	s_and_b32 s8, s37, 3
	s_cmp_eq_u32 s8, 0
	s_cbranch_scc0 .LBB481_1100
	s_branch .LBB481_1102
.LBB481_1097:
                                        ; implicit-def: $vgpr14
                                        ; implicit-def: $vgpr6
	s_branch .LBB481_1103
.LBB481_1098:
	v_mov_b32_e32 v14, 0
	v_mov_b32_e32 v6, 0
	s_branch .LBB481_1102
.LBB481_1099:
	v_mov_b32_e32 v6, 0
                                        ; implicit-def: $vgpr14
	s_waitcnt vmcnt(0)
	v_mov_b32_e32 v1, v6
	v_mov_b32_e32 v0, v8
	s_and_b32 s8, s37, 3
	s_cmp_eq_u32 s8, 0
	s_cbranch_scc1 .LBB481_1102
.LBB481_1100:
	s_lshl_b32 s4, s36, 3
	s_add_u32 s4, s34, s4
	s_addc_u32 s5, s35, 0
	s_add_u32 s4, s4, 0xc4
	s_addc_u32 s5, s5, 0
	s_mul_i32 s6, s36, 12
	s_add_u32 s6, s34, s6
	s_addc_u32 s7, s35, 0
.LBB481_1101:                           ; =>This Inner Loop Header: Depth=1
	s_load_dwordx2 s[10:11], s[6:7], 0x4
	s_load_dword s9, s[6:7], 0xc
	s_load_dwordx2 s[12:13], s[4:5], 0x0
	v_mov_b32_e32 v2, v1
	s_add_u32 s6, s6, 12
	s_waitcnt lgkmcnt(0)
	v_mul_hi_u32 v1, s11, v0
	v_add_u32_e32 v1, v0, v1
	v_lshrrev_b32_e32 v1, s9, v1
	s_addc_u32 s7, s7, 0
	v_mul_lo_u32 v3, v1, s10
	s_add_u32 s4, s4, 8
	v_sub_u32_e32 v3, v0, v3
	s_addc_u32 s5, s5, 0
	s_add_i32 s8, s8, -1
	v_mad_u64_u32 v[14:15], s[10:11], v3, s13, v[2:3]
	s_cmp_lg_u32 s8, 0
	v_mov_b32_e32 v0, v1
	v_mad_u64_u32 v[6:7], s[10:11], v3, s12, v[6:7]
	v_mov_b32_e32 v1, v14
	s_cbranch_scc1 .LBB481_1101
.LBB481_1102:
	s_cbranch_execnz .LBB481_1105
.LBB481_1103:
	s_load_dwordx4 s[4:7], s[34:35], 0x4
	s_load_dwordx2 s[8:9], s[34:35], 0xc4
	s_cmp_lt_u32 s33, 2
	s_waitcnt lgkmcnt(0)
	v_mul_hi_u32 v0, s5, v8
	v_add_u32_e32 v0, v8, v0
	v_lshrrev_b32_e32 v0, s6, v0
	s_waitcnt vmcnt(0)
	v_mul_lo_u32 v1, v0, s4
	v_sub_u32_e32 v1, v8, v1
	v_mul_lo_u32 v14, v1, s9
	v_mul_lo_u32 v6, v1, s8
	s_cbranch_scc1 .LBB481_1105
; %bb.1104:
	s_load_dwordx4 s[4:7], s[34:35], 0x10
	s_load_dwordx2 s[8:9], s[34:35], 0xcc
	s_waitcnt lgkmcnt(0)
	v_mul_hi_u32 v1, s5, v0
	v_add_u32_e32 v1, v0, v1
	v_lshrrev_b32_e32 v1, s6, v1
	v_mul_lo_u32 v1, v1, s4
	v_sub_u32_e32 v0, v0, v1
	v_mad_u64_u32 v[6:7], s[4:5], v0, s8, v[6:7]
	v_mad_u64_u32 v[14:15], s[4:5], v0, s9, v[14:15]
.LBB481_1105:
	s_and_b64 vcc, exec, s[2:3]
	v_add_u32_e32 v0, 0x80, v8
	s_cbranch_vccnz .LBB481_1111
; %bb.1106:
	s_cmp_lg_u32 s33, 0
	s_mov_b32 s36, 0
	s_cbranch_scc0 .LBB481_1112
; %bb.1107:
	s_min_u32 s37, s72, 15
	s_add_i32 s37, s37, 1
	s_cmp_eq_u32 s72, 2
	s_cbranch_scc1 .LBB481_1113
; %bb.1108:
	s_and_b32 s36, s37, 28
	s_add_u32 s28, s34, 0xc4
	s_addc_u32 s29, s35, 0
	s_mov_b32 s38, 0
	v_mov_b32_e32 v4, 0
	v_mov_b32_e32 v12, 0
	s_mov_b64 s[30:31], s[34:35]
	v_mov_b32_e32 v2, v0
.LBB481_1109:                           ; =>This Inner Loop Header: Depth=1
	s_load_dwordx8 s[12:19], s[30:31], 0x4
	s_load_dwordx4 s[20:23], s[30:31], 0x24
	s_load_dwordx8 s[4:11], s[28:29], 0x0
	s_add_u32 s30, s30, 48
	s_addc_u32 s31, s31, 0
	s_waitcnt vmcnt(0) lgkmcnt(0)
	v_mul_hi_u32 v1, s13, v2
	v_add_u32_e32 v1, v2, v1
	v_lshrrev_b32_e32 v1, s14, v1
	v_mul_lo_u32 v3, v1, s12
	v_mul_hi_u32 v5, s16, v1
	v_sub_u32_e32 v2, v2, v3
	v_add_u32_e32 v3, v1, v5
	v_lshrrev_b32_e32 v3, s17, v3
	v_mul_lo_u32 v7, v3, s15
	v_mul_hi_u32 v9, s19, v3
	v_sub_u32_e32 v1, v1, v7
	v_add_u32_e32 v7, v3, v9
	v_mul_lo_u32 v5, v2, s5
	v_mul_lo_u32 v2, v2, s4
	;; [unrolled: 1-line block ×4, first 2 shown]
	v_lshrrev_b32_e32 v7, s20, v7
	v_add3_u32 v1, v2, v4, v1
	v_add3_u32 v4, v5, v12, v9
	v_mul_lo_u32 v2, v7, s18
	v_mul_hi_u32 v5, s22, v7
	v_sub_u32_e32 v2, v3, v2
	v_add_u32_e32 v3, v7, v5
	v_mul_lo_u32 v5, v2, s8
	v_mul_lo_u32 v9, v2, s9
	v_lshrrev_b32_e32 v2, s23, v3
	s_add_i32 s38, s38, 4
	v_mul_lo_u32 v3, v2, s21
	s_add_u32 s28, s28, 32
	v_sub_u32_e32 v3, v7, v3
	s_addc_u32 s29, s29, 0
	v_mul_lo_u32 v7, v3, s10
	v_mul_lo_u32 v3, v3, s11
	s_cmp_lg_u32 s36, s38
	v_add3_u32 v12, v9, v4, v3
	v_add3_u32 v4, v5, v1, v7
	s_cbranch_scc1 .LBB481_1109
; %bb.1110:
	v_mov_b32_e32 v1, v12
	s_and_b32 s8, s37, 3
	s_cmp_eq_u32 s8, 0
	s_cbranch_scc0 .LBB481_1114
	s_branch .LBB481_1116
.LBB481_1111:
                                        ; implicit-def: $vgpr12
                                        ; implicit-def: $vgpr4
	s_branch .LBB481_1117
.LBB481_1112:
	v_mov_b32_e32 v12, 0
	v_mov_b32_e32 v4, 0
	s_branch .LBB481_1116
.LBB481_1113:
	v_mov_b32_e32 v4, 0
                                        ; implicit-def: $vgpr12
	s_waitcnt vmcnt(0)
	v_mov_b32_e32 v1, v4
	v_mov_b32_e32 v2, v0
	s_and_b32 s8, s37, 3
	s_cmp_eq_u32 s8, 0
	s_cbranch_scc1 .LBB481_1116
.LBB481_1114:
	s_lshl_b32 s4, s36, 3
	s_add_u32 s4, s34, s4
	s_addc_u32 s5, s35, 0
	s_add_u32 s4, s4, 0xc4
	s_addc_u32 s5, s5, 0
	s_mul_i32 s6, s36, 12
	s_add_u32 s6, s34, s6
	s_addc_u32 s7, s35, 0
.LBB481_1115:                           ; =>This Inner Loop Header: Depth=1
	s_load_dwordx2 s[10:11], s[6:7], 0x4
	s_load_dword s9, s[6:7], 0xc
	s_load_dwordx2 s[12:13], s[4:5], 0x0
	v_mov_b32_e32 v10, v1
	s_add_u32 s6, s6, 12
	s_waitcnt lgkmcnt(0)
	v_mul_hi_u32 v1, s11, v2
	v_add_u32_e32 v1, v2, v1
	v_lshrrev_b32_e32 v1, s9, v1
	s_addc_u32 s7, s7, 0
	v_mul_lo_u32 v3, v1, s10
	s_add_u32 s4, s4, 8
	v_sub_u32_e32 v3, v2, v3
	s_addc_u32 s5, s5, 0
	s_add_i32 s8, s8, -1
	v_mad_u64_u32 v[12:13], s[10:11], v3, s13, v[10:11]
	s_cmp_lg_u32 s8, 0
	v_mov_b32_e32 v2, v1
	v_mad_u64_u32 v[4:5], s[10:11], v3, s12, v[4:5]
	v_mov_b32_e32 v1, v12
	s_cbranch_scc1 .LBB481_1115
.LBB481_1116:
	s_cbranch_execnz .LBB481_1119
.LBB481_1117:
	s_load_dwordx4 s[4:7], s[34:35], 0x4
	s_load_dwordx2 s[8:9], s[34:35], 0xc4
	s_cmp_lt_u32 s33, 2
	s_waitcnt vmcnt(0) lgkmcnt(0)
	v_mul_hi_u32 v1, s5, v0
	v_add_u32_e32 v1, v0, v1
	v_lshrrev_b32_e32 v1, s6, v1
	v_mul_lo_u32 v2, v1, s4
	v_sub_u32_e32 v0, v0, v2
	v_mul_lo_u32 v12, v0, s9
	v_mul_lo_u32 v4, v0, s8
	s_cbranch_scc1 .LBB481_1119
; %bb.1118:
	s_load_dwordx4 s[4:7], s[34:35], 0x10
	s_load_dwordx2 s[8:9], s[34:35], 0xcc
	s_waitcnt lgkmcnt(0)
	v_mul_hi_u32 v0, s5, v1
	v_add_u32_e32 v0, v1, v0
	v_lshrrev_b32_e32 v0, s6, v0
	v_mul_lo_u32 v0, v0, s4
	v_sub_u32_e32 v0, v1, v0
	v_mad_u64_u32 v[4:5], s[4:5], v0, s8, v[4:5]
	v_mad_u64_u32 v[12:13], s[4:5], v0, s9, v[12:13]
.LBB481_1119:
	s_and_b64 vcc, exec, s[2:3]
	v_add_u32_e32 v0, 0x100, v8
	s_cbranch_vccnz .LBB481_1125
; %bb.1120:
	s_cmp_lg_u32 s33, 0
	s_mov_b32 s36, 0
	s_cbranch_scc0 .LBB481_1126
; %bb.1121:
	s_min_u32 s37, s72, 15
	s_add_i32 s37, s37, 1
	s_cmp_eq_u32 s72, 2
	s_cbranch_scc1 .LBB481_1127
; %bb.1122:
	s_and_b32 s36, s37, 28
	s_add_u32 s28, s34, 0xc4
	s_addc_u32 s29, s35, 0
	s_mov_b32 s38, 0
	v_mov_b32_e32 v2, 0
	v_mov_b32_e32 v10, 0
	s_mov_b64 s[30:31], s[34:35]
	v_mov_b32_e32 v5, v0
.LBB481_1123:                           ; =>This Inner Loop Header: Depth=1
	s_load_dwordx8 s[12:19], s[30:31], 0x4
	s_load_dwordx4 s[20:23], s[30:31], 0x24
	s_load_dwordx8 s[4:11], s[28:29], 0x0
	s_add_u32 s30, s30, 48
	s_addc_u32 s31, s31, 0
	s_waitcnt vmcnt(0) lgkmcnt(0)
	v_mul_hi_u32 v1, s13, v5
	v_add_u32_e32 v1, v5, v1
	v_lshrrev_b32_e32 v1, s14, v1
	v_mul_lo_u32 v3, v1, s12
	v_mul_hi_u32 v7, s16, v1
	v_sub_u32_e32 v3, v5, v3
	v_add_u32_e32 v5, v1, v7
	v_lshrrev_b32_e32 v5, s17, v5
	v_mul_lo_u32 v8, v5, s15
	v_mul_hi_u32 v9, s19, v5
	v_sub_u32_e32 v1, v1, v8
	v_add_u32_e32 v8, v5, v9
	v_mul_lo_u32 v7, v3, s5
	v_mul_lo_u32 v3, v3, s4
	;; [unrolled: 1-line block ×4, first 2 shown]
	v_lshrrev_b32_e32 v8, s20, v8
	v_add3_u32 v1, v3, v2, v1
	v_add3_u32 v2, v7, v10, v9
	v_mul_lo_u32 v3, v8, s18
	v_mul_hi_u32 v7, s22, v8
	v_sub_u32_e32 v3, v5, v3
	v_add_u32_e32 v5, v8, v7
	v_lshrrev_b32_e32 v5, s23, v5
	s_add_i32 s38, s38, 4
	v_mul_lo_u32 v9, v5, s21
	s_add_u32 s28, s28, 32
	v_sub_u32_e32 v8, v8, v9
	s_addc_u32 s29, s29, 0
	v_mul_lo_u32 v7, v3, s8
	v_mul_lo_u32 v3, v3, s9
	;; [unrolled: 1-line block ×4, first 2 shown]
	s_cmp_lg_u32 s36, s38
	v_add3_u32 v10, v3, v2, v8
	v_add3_u32 v2, v7, v1, v9
	s_cbranch_scc1 .LBB481_1123
; %bb.1124:
	v_mov_b32_e32 v1, v10
	s_and_b32 s8, s37, 3
	s_cmp_eq_u32 s8, 0
	s_cbranch_scc0 .LBB481_1128
	s_branch .LBB481_1130
.LBB481_1125:
                                        ; implicit-def: $vgpr10
                                        ; implicit-def: $vgpr2
	s_branch .LBB481_1131
.LBB481_1126:
	v_mov_b32_e32 v10, 0
	v_mov_b32_e32 v2, 0
	s_branch .LBB481_1130
.LBB481_1127:
	v_mov_b32_e32 v2, 0
                                        ; implicit-def: $vgpr10
	s_waitcnt vmcnt(0)
	v_mov_b32_e32 v1, v2
	v_mov_b32_e32 v5, v0
	s_and_b32 s8, s37, 3
	s_cmp_eq_u32 s8, 0
	s_cbranch_scc1 .LBB481_1130
.LBB481_1128:
	s_lshl_b32 s4, s36, 3
	s_add_u32 s4, s34, s4
	s_addc_u32 s5, s35, 0
	s_add_u32 s4, s4, 0xc4
	s_addc_u32 s5, s5, 0
	s_mul_i32 s6, s36, 12
	s_add_u32 s6, s34, s6
	s_addc_u32 s7, s35, 0
.LBB481_1129:                           ; =>This Inner Loop Header: Depth=1
	s_load_dwordx2 s[10:11], s[6:7], 0x4
	s_load_dword s9, s[6:7], 0xc
	s_load_dwordx2 s[12:13], s[4:5], 0x0
	v_mov_b32_e32 v8, v1
	s_add_u32 s6, s6, 12
	s_waitcnt lgkmcnt(0)
	v_mul_hi_u32 v1, s11, v5
	v_add_u32_e32 v1, v5, v1
	v_lshrrev_b32_e32 v1, s9, v1
	s_addc_u32 s7, s7, 0
	v_mul_lo_u32 v3, v1, s10
	s_add_u32 s4, s4, 8
	v_sub_u32_e32 v3, v5, v3
	s_addc_u32 s5, s5, 0
	s_add_i32 s8, s8, -1
	v_mad_u64_u32 v[10:11], s[10:11], v3, s13, v[8:9]
	s_cmp_lg_u32 s8, 0
	v_mov_b32_e32 v5, v1
	v_mad_u64_u32 v[2:3], s[10:11], v3, s12, v[2:3]
	v_mov_b32_e32 v1, v10
	s_cbranch_scc1 .LBB481_1129
.LBB481_1130:
	s_cbranch_execnz .LBB481_1133
.LBB481_1131:
	s_load_dwordx4 s[4:7], s[34:35], 0x4
	s_load_dwordx2 s[8:9], s[34:35], 0xc4
	s_cmp_lt_u32 s33, 2
	s_waitcnt vmcnt(0) lgkmcnt(0)
	v_mul_hi_u32 v1, s5, v0
	v_add_u32_e32 v1, v0, v1
	v_lshrrev_b32_e32 v1, s6, v1
	v_mul_lo_u32 v2, v1, s4
	v_sub_u32_e32 v0, v0, v2
	v_mul_lo_u32 v10, v0, s9
	v_mul_lo_u32 v2, v0, s8
	s_cbranch_scc1 .LBB481_1133
; %bb.1132:
	s_load_dwordx4 s[4:7], s[34:35], 0x10
	s_load_dwordx2 s[8:9], s[34:35], 0xcc
	s_waitcnt lgkmcnt(0)
	v_mul_hi_u32 v0, s5, v1
	v_add_u32_e32 v0, v1, v0
	v_lshrrev_b32_e32 v0, s6, v0
	v_mul_lo_u32 v0, v0, s4
	v_sub_u32_e32 v0, v1, v0
	v_mad_u64_u32 v[2:3], s[4:5], v0, s8, v[2:3]
	v_mad_u64_u32 v[10:11], s[4:5], v0, s9, v[10:11]
.LBB481_1133:
	s_and_b64 vcc, exec, s[2:3]
	s_cbranch_vccnz .LBB481_1139
; %bb.1134:
	s_cmp_lg_u32 s33, 0
	s_mov_b32 s30, 0
	s_cbranch_scc0 .LBB481_1140
; %bb.1135:
	s_min_u32 s31, s72, 15
	s_add_i32 s31, s31, 1
	s_cmp_eq_u32 s72, 2
	s_cbranch_scc1 .LBB481_1141
; %bb.1136:
	s_and_b32 s30, s31, 28
	s_add_u32 s2, s34, 0xc4
	s_addc_u32 s3, s35, 0
	s_mov_b32 s36, 0
	v_mov_b32_e32 v0, 0
	v_mov_b32_e32 v8, 0
	s_mov_b64 s[28:29], s[34:35]
	v_mov_b32_e32 v3, v16
.LBB481_1137:                           ; =>This Inner Loop Header: Depth=1
	s_load_dwordx8 s[12:19], s[28:29], 0x4
	s_load_dwordx4 s[20:23], s[28:29], 0x24
	s_load_dwordx8 s[4:11], s[2:3], 0x0
	s_add_u32 s28, s28, 48
	s_addc_u32 s29, s29, 0
	s_waitcnt vmcnt(0) lgkmcnt(0)
	v_mul_hi_u32 v1, s13, v3
	v_add_u32_e32 v1, v3, v1
	v_lshrrev_b32_e32 v1, s14, v1
	v_mul_lo_u32 v5, v1, s12
	v_mul_hi_u32 v7, s16, v1
	v_sub_u32_e32 v3, v3, v5
	v_add_u32_e32 v5, v1, v7
	v_lshrrev_b32_e32 v5, s17, v5
	v_mul_lo_u32 v9, v5, s15
	v_mul_hi_u32 v11, s19, v5
	v_sub_u32_e32 v1, v1, v9
	v_add_u32_e32 v9, v5, v11
	v_mul_lo_u32 v7, v3, s5
	v_mul_lo_u32 v3, v3, s4
	;; [unrolled: 1-line block ×4, first 2 shown]
	v_lshrrev_b32_e32 v9, s20, v9
	v_add3_u32 v0, v3, v0, v1
	v_add3_u32 v1, v7, v8, v11
	v_mul_lo_u32 v3, v9, s18
	v_mul_hi_u32 v7, s22, v9
	v_sub_u32_e32 v3, v5, v3
	v_add_u32_e32 v5, v9, v7
	v_mul_lo_u32 v7, v3, s8
	v_mul_lo_u32 v8, v3, s9
	v_lshrrev_b32_e32 v3, s23, v5
	s_add_i32 s36, s36, 4
	v_mul_lo_u32 v5, v3, s21
	s_add_u32 s2, s2, 32
	v_sub_u32_e32 v5, v9, v5
	s_addc_u32 s3, s3, 0
	v_mul_lo_u32 v9, v5, s10
	v_mul_lo_u32 v5, v5, s11
	s_cmp_lg_u32 s30, s36
	v_add3_u32 v8, v8, v1, v5
	v_add3_u32 v0, v7, v0, v9
	s_cbranch_scc1 .LBB481_1137
; %bb.1138:
	v_mov_b32_e32 v1, v8
	s_and_b32 s6, s31, 3
	s_cmp_eq_u32 s6, 0
	s_cbranch_scc0 .LBB481_1142
	s_branch .LBB481_1144
.LBB481_1139:
                                        ; implicit-def: $vgpr8
                                        ; implicit-def: $vgpr0
	s_branch .LBB481_1145
.LBB481_1140:
	v_mov_b32_e32 v8, 0
	v_mov_b32_e32 v0, 0
	s_branch .LBB481_1144
.LBB481_1141:
	v_mov_b32_e32 v0, 0
                                        ; implicit-def: $vgpr8
	s_waitcnt vmcnt(0)
	v_mov_b32_e32 v1, v0
	v_mov_b32_e32 v3, v16
	s_and_b32 s6, s31, 3
	s_cmp_eq_u32 s6, 0
	s_cbranch_scc1 .LBB481_1144
.LBB481_1142:
	s_lshl_b32 s2, s30, 3
	s_add_u32 s2, s34, s2
	s_addc_u32 s3, s35, 0
	s_add_u32 s2, s2, 0xc4
	s_addc_u32 s3, s3, 0
	s_mul_i32 s4, s30, 12
	s_add_u32 s4, s34, s4
	s_addc_u32 s5, s35, 0
.LBB481_1143:                           ; =>This Inner Loop Header: Depth=1
	s_load_dwordx2 s[8:9], s[4:5], 0x4
	s_load_dword s7, s[4:5], 0xc
	s_load_dwordx2 s[10:11], s[2:3], 0x0
	v_mov_b32_e32 v8, v1
	s_add_u32 s4, s4, 12
	s_waitcnt lgkmcnt(0)
	v_mul_hi_u32 v1, s9, v3
	v_add_u32_e32 v1, v3, v1
	v_lshrrev_b32_e32 v1, s7, v1
	s_addc_u32 s5, s5, 0
	v_mul_lo_u32 v5, v1, s8
	s_add_u32 s2, s2, 8
	v_sub_u32_e32 v5, v3, v5
	s_addc_u32 s3, s3, 0
	s_add_i32 s6, s6, -1
	v_mov_b32_e32 v3, v1
	v_mad_u64_u32 v[8:9], s[8:9], v5, s11, v[8:9]
	v_mad_u64_u32 v[0:1], s[8:9], v5, s10, v[0:1]
	s_cmp_lg_u32 s6, 0
	v_mov_b32_e32 v1, v8
	s_cbranch_scc1 .LBB481_1143
.LBB481_1144:
	s_cbranch_execnz .LBB481_1147
.LBB481_1145:
	s_load_dwordx4 s[4:7], s[34:35], 0x4
	s_load_dwordx2 s[2:3], s[34:35], 0xc4
	s_cmp_lt_u32 s33, 2
	s_waitcnt lgkmcnt(0)
	v_mul_hi_u32 v0, s5, v16
	v_add_u32_e32 v0, v16, v0
	s_waitcnt vmcnt(0)
	v_lshrrev_b32_e32 v1, s6, v0
	v_mul_lo_u32 v0, v1, s4
	v_sub_u32_e32 v0, v16, v0
	v_mul_lo_u32 v8, v0, s3
	v_mul_lo_u32 v0, v0, s2
	s_cbranch_scc1 .LBB481_1147
; %bb.1146:
	s_load_dwordx4 s[4:7], s[34:35], 0x10
	s_load_dwordx2 s[2:3], s[34:35], 0xcc
	s_waitcnt lgkmcnt(0)
	v_mul_hi_u32 v3, s5, v1
	v_add_u32_e32 v3, v1, v3
	v_lshrrev_b32_e32 v3, s6, v3
	v_mul_lo_u32 v3, v3, s4
	v_sub_u32_e32 v3, v1, v3
	v_mad_u64_u32 v[0:1], s[4:5], v3, s2, v[0:1]
	v_mad_u64_u32 v[8:9], s[2:3], v3, s3, v[8:9]
.LBB481_1147:
	s_load_dword s16, s[0:1], 0x160
	s_load_dwordx4 s[4:7], s[34:35], 0x148
	v_mov_b32_e32 v15, 0
	s_waitcnt lgkmcnt(0)
	s_lshr_b32 s14, s16, 24
	s_cmp_lt_i32 s14, 11
	v_lshl_add_u64 v[14:15], s[6:7], 0, v[14:15]
	s_cbranch_scc1 .LBB481_1154
; %bb.1148:
	s_and_b32 s15, 0xffff, s14
	s_cmp_gt_i32 s15, 25
	s_mov_b64 s[8:9], 0
	s_cbranch_scc0 .LBB481_1156
; %bb.1149:
	s_cmp_gt_i32 s15, 28
	s_cbranch_scc0 .LBB481_1157
; %bb.1150:
	s_cmp_gt_i32 s15, 43
	;; [unrolled: 3-line block ×3, first 2 shown]
	s_cbranch_scc0 .LBB481_1159
; %bb.1152:
	s_cmp_eq_u32 s15, 46
	s_mov_b64 s[2:3], 0
	s_cbranch_scc0 .LBB481_1162
; %bb.1153:
	global_load_dword v1, v[14:15], off
	s_mov_b64 s[0:1], 0
	s_mov_b64 s[10:11], -1
	s_waitcnt vmcnt(0)
	v_lshlrev_b32_e32 v1, 16, v1
	v_cvt_f16_f32_e32 v1, v1
	s_branch .LBB481_1163
.LBB481_1154:
	s_mov_b64 s[10:11], 0
                                        ; implicit-def: $vgpr1
	s_mov_b64 s[2:3], s[24:25]
	s_cbranch_execnz .LBB481_1226
.LBB481_1155:
	s_andn2_b64 vcc, exec, s[10:11]
	s_cbranch_vccz .LBB481_1271
	s_branch .LBB481_2092
.LBB481_1156:
	s_mov_b64 s[10:11], 0
	s_mov_b64 s[0:1], 0
                                        ; implicit-def: $vgpr1
	s_cbranch_execnz .LBB481_1191
	s_branch .LBB481_1222
.LBB481_1157:
	s_mov_b64 s[2:3], -1
	s_mov_b64 s[10:11], 0
	s_mov_b64 s[0:1], 0
                                        ; implicit-def: $vgpr1
	s_branch .LBB481_1172
.LBB481_1158:
	s_mov_b64 s[10:11], 0
	s_mov_b64 s[0:1], 0
                                        ; implicit-def: $vgpr1
	s_cbranch_execnz .LBB481_1168
	s_branch .LBB481_1171
.LBB481_1159:
	s_mov_b64 s[2:3], -1
	s_mov_b64 s[10:11], 0
	s_mov_b64 s[0:1], 0
                                        ; implicit-def: $vgpr1
	s_branch .LBB481_1163
.LBB481_1160:
	s_andn2_saveexec_b64 s[12:13], s[12:13]
	s_cbranch_execz .LBB481_1003
.LBB481_1161:
	s_mov_b32 s14, 0x46000000
	v_add_f32_e64 v1, |v0|, s14
	v_and_b32_e32 v1, 0xff, v1
	v_cmp_ne_u32_e32 vcc, 0, v1
	s_andn2_b64 s[10:11], s[10:11], exec
	s_and_b64 s[14:15], vcc, exec
	s_or_b64 s[10:11], s[10:11], s[14:15]
	s_or_b64 exec, exec, s[12:13]
	v_mov_b32_e32 v5, 0
	s_and_saveexec_b64 s[12:13], s[10:11]
	s_cbranch_execnz .LBB481_1004
	s_branch .LBB481_1005
.LBB481_1162:
	s_mov_b64 s[0:1], -1
                                        ; implicit-def: $vgpr1
	s_mov_b64 s[10:11], 0
.LBB481_1163:
	s_and_b64 vcc, exec, s[2:3]
	s_cbranch_vccz .LBB481_1166
; %bb.1164:
	s_cmp_eq_u32 s15, 44
	s_cbranch_scc0 .LBB481_1167
; %bb.1165:
	global_load_ubyte v1, v[14:15], off
	s_movk_i32 s2, 0xff
	v_mov_b32_e32 v5, 0x7e00
	s_mov_b64 s[0:1], 0
	s_mov_b64 s[10:11], -1
	s_waitcnt vmcnt(0)
	v_lshlrev_b32_e32 v3, 23, v1
	v_cvt_f16_f32_e32 v3, v3
	v_cmp_ne_u32_e32 vcc, s2, v1
	s_nop 1
	v_cndmask_b32_e32 v3, v5, v3, vcc
	v_cmp_ne_u32_e32 vcc, 0, v1
	s_nop 1
	v_cndmask_b32_e32 v1, 0, v3, vcc
.LBB481_1166:
	s_branch .LBB481_1171
.LBB481_1167:
	s_mov_b64 s[0:1], -1
                                        ; implicit-def: $vgpr1
	s_branch .LBB481_1171
.LBB481_1168:
	s_cmp_eq_u32 s15, 29
	s_cbranch_scc0 .LBB481_1170
; %bb.1169:
	global_load_dwordx2 v[16:17], v[14:15], off
	s_mov_b64 s[0:1], 0
	s_mov_b64 s[10:11], -1
	s_mov_b64 s[2:3], 0
	s_waitcnt vmcnt(0)
	v_ffbh_u32_e32 v1, v17
	v_min_u32_e32 v1, 32, v1
	v_lshlrev_b64 v[16:17], v1, v[16:17]
	v_min_u32_e32 v3, 1, v16
	v_or_b32_e32 v3, v17, v3
	v_cvt_f32_u32_e32 v3, v3
	v_sub_u32_e32 v1, 32, v1
	v_ldexp_f32 v1, v3, v1
	v_cvt_f16_f32_e32 v1, v1
	s_branch .LBB481_1172
.LBB481_1170:
	s_mov_b64 s[0:1], -1
                                        ; implicit-def: $vgpr1
.LBB481_1171:
	s_mov_b64 s[2:3], 0
.LBB481_1172:
	s_and_b64 vcc, exec, s[2:3]
	s_cbranch_vccz .LBB481_1190
; %bb.1173:
	s_cmp_lt_i32 s15, 27
	s_cbranch_scc1 .LBB481_1176
; %bb.1174:
	s_cmp_gt_i32 s15, 27
	s_cbranch_scc0 .LBB481_1177
; %bb.1175:
	global_load_dword v1, v[14:15], off
	s_mov_b64 s[2:3], 0
	s_waitcnt vmcnt(0)
	v_cvt_f32_u32_e32 v1, v1
	v_cvt_f16_f32_e32 v1, v1
	s_branch .LBB481_1178
.LBB481_1176:
	s_mov_b64 s[2:3], -1
                                        ; implicit-def: $vgpr1
	s_branch .LBB481_1181
.LBB481_1177:
	s_mov_b64 s[2:3], -1
                                        ; implicit-def: $vgpr1
.LBB481_1178:
	s_andn2_b64 vcc, exec, s[2:3]
	s_cbranch_vccnz .LBB481_1180
; %bb.1179:
	global_load_ushort v1, v[14:15], off
	s_waitcnt vmcnt(0)
	v_cvt_f16_u16_e32 v1, v1
.LBB481_1180:
	s_mov_b64 s[2:3], 0
.LBB481_1181:
	s_andn2_b64 vcc, exec, s[2:3]
	s_cbranch_vccnz .LBB481_1189
; %bb.1182:
	global_load_ubyte v3, v[14:15], off
	s_movk_i32 s2, 0x7f
	s_waitcnt vmcnt(0)
	v_cmp_lt_i16_e32 vcc, s2, v3
	s_mov_b64 s[2:3], 0
	s_and_saveexec_b64 s[10:11], vcc
	s_xor_b64 s[10:11], exec, s[10:11]
	s_cbranch_execz .LBB481_1202
; %bb.1183:
	s_movk_i32 s2, 0x80
	v_cmp_eq_u16_e32 vcc, s2, v3
	s_mov_b64 s[2:3], -1
	s_and_saveexec_b64 s[12:13], vcc
; %bb.1184:
	s_xor_b64 s[2:3], exec, -1
; %bb.1185:
	s_or_b64 exec, exec, s[12:13]
	s_and_b64 s[2:3], s[2:3], exec
	s_or_saveexec_b64 s[10:11], s[10:11]
	v_mov_b32_e32 v1, 0x7e00
	s_xor_b64 exec, exec, s[10:11]
	s_cbranch_execnz .LBB481_1203
.LBB481_1186:
	s_or_b64 exec, exec, s[10:11]
	s_and_saveexec_b64 s[10:11], s[2:3]
	s_cbranch_execz .LBB481_1188
.LBB481_1187:
	v_lshlrev_b32_e32 v1, 24, v3
	v_and_b32_e32 v3, 0xffff, v3
	v_and_b32_e32 v5, 7, v3
	v_ffbh_u32_e32 v9, v5
	v_min_u32_e32 v9, 32, v9
	v_subrev_u32_e32 v11, 28, v9
	v_bfe_u32 v7, v3, 3, 4
	v_lshlrev_b32_e32 v3, v11, v3
	v_sub_u32_e32 v9, 29, v9
	v_and_b32_e32 v3, 7, v3
	v_cmp_eq_u32_e32 vcc, 0, v7
	v_and_b32_e32 v1, 0x80000000, v1
	s_nop 0
	v_cndmask_b32_e32 v7, v7, v9, vcc
	v_cndmask_b32_e32 v3, v5, v3, vcc
	v_mov_b32_e32 v5, 0x3b800000
	v_lshlrev_b32_e32 v3, 20, v3
	v_lshl_add_u32 v5, v7, 23, v5
	v_or3_b32 v1, v1, v5, v3
	v_cvt_f16_f32_e32 v1, v1
.LBB481_1188:
	s_or_b64 exec, exec, s[10:11]
.LBB481_1189:
	s_mov_b64 s[10:11], -1
.LBB481_1190:
	s_branch .LBB481_1222
.LBB481_1191:
	s_cmp_gt_i32 s15, 22
	s_cbranch_scc0 .LBB481_1201
; %bb.1192:
	s_cmp_lt_i32 s15, 24
	s_cbranch_scc1 .LBB481_1204
; %bb.1193:
	s_cmp_gt_i32 s15, 24
	s_cbranch_scc0 .LBB481_1205
; %bb.1194:
	global_load_ubyte v3, v[14:15], off
	s_movk_i32 s2, 0x7f
	s_waitcnt vmcnt(0)
	v_cmp_lt_i16_e32 vcc, s2, v3
	s_mov_b64 s[2:3], 0
	s_and_saveexec_b64 s[8:9], vcc
	s_xor_b64 s[8:9], exec, s[8:9]
	s_cbranch_execz .LBB481_1216
; %bb.1195:
	s_movk_i32 s2, 0x80
	v_cmp_eq_u16_e32 vcc, s2, v3
	s_mov_b64 s[2:3], -1
	s_and_saveexec_b64 s[10:11], vcc
; %bb.1196:
	s_xor_b64 s[2:3], exec, -1
; %bb.1197:
	s_or_b64 exec, exec, s[10:11]
	s_and_b64 s[2:3], s[2:3], exec
	s_or_saveexec_b64 s[8:9], s[8:9]
	v_mov_b32_e32 v1, 0x7e00
	s_xor_b64 exec, exec, s[8:9]
	s_cbranch_execnz .LBB481_1217
.LBB481_1198:
	s_or_b64 exec, exec, s[8:9]
	s_and_saveexec_b64 s[8:9], s[2:3]
	s_cbranch_execz .LBB481_1200
.LBB481_1199:
	v_lshlrev_b32_e32 v1, 24, v3
	v_and_b32_e32 v3, 0xffff, v3
	v_and_b32_e32 v5, 3, v3
	v_ffbh_u32_e32 v9, v5
	v_min_u32_e32 v9, 32, v9
	v_subrev_u32_e32 v11, 29, v9
	v_bfe_u32 v7, v3, 2, 5
	v_lshlrev_b32_e32 v3, v11, v3
	v_sub_u32_e32 v9, 30, v9
	v_and_b32_e32 v3, 3, v3
	v_cmp_eq_u32_e32 vcc, 0, v7
	v_and_b32_e32 v1, 0x80000000, v1
	s_nop 0
	v_cndmask_b32_e32 v7, v7, v9, vcc
	v_cndmask_b32_e32 v3, v5, v3, vcc
	v_mov_b32_e32 v5, 0x37800000
	v_lshlrev_b32_e32 v3, 21, v3
	v_lshl_add_u32 v5, v7, 23, v5
	v_or3_b32 v1, v1, v5, v3
	v_cvt_f16_f32_e32 v1, v1
.LBB481_1200:
	s_or_b64 exec, exec, s[8:9]
	s_mov_b64 s[2:3], 0
	s_branch .LBB481_1206
.LBB481_1201:
                                        ; implicit-def: $vgpr1
	s_mov_b64 s[8:9], 0
	s_branch .LBB481_1212
.LBB481_1202:
	s_or_saveexec_b64 s[10:11], s[10:11]
	v_mov_b32_e32 v1, 0x7e00
	s_xor_b64 exec, exec, s[10:11]
	s_cbranch_execz .LBB481_1186
.LBB481_1203:
	v_cmp_ne_u16_e32 vcc, 0, v3
	s_andn2_b64 s[2:3], s[2:3], exec
	s_and_b64 s[12:13], vcc, exec
	s_or_b64 s[2:3], s[2:3], s[12:13]
	v_mov_b32_e32 v1, v3
	s_or_b64 exec, exec, s[10:11]
	s_and_saveexec_b64 s[10:11], s[2:3]
	s_cbranch_execnz .LBB481_1187
	s_branch .LBB481_1188
.LBB481_1204:
	s_mov_b64 s[2:3], -1
                                        ; implicit-def: $vgpr1
	s_branch .LBB481_1209
.LBB481_1205:
	s_mov_b64 s[2:3], -1
                                        ; implicit-def: $vgpr1
.LBB481_1206:
	s_and_b64 vcc, exec, s[2:3]
	s_cbranch_vccz .LBB481_1208
; %bb.1207:
	global_load_ubyte v1, v[14:15], off
	s_mov_b32 s2, 0x7f800000
	s_waitcnt vmcnt(0)
	v_lshlrev_b32_e32 v1, 24, v1
	v_and_b32_e32 v3, 0x7f000000, v1
	v_ffbh_u32_e32 v5, v3
	v_min_u32_e32 v5, 32, v5
	v_sub_u32_e64 v5, v5, 4 clamp
	v_lshlrev_b32_e32 v9, v5, v3
	v_lshlrev_b32_e32 v5, 23, v5
	v_lshrrev_b32_e32 v9, 4, v9
	v_add_u32_e32 v7, 0x1000000, v3
	v_sub_u32_e32 v5, v9, v5
	v_ashrrev_i32_e32 v7, 8, v7
	v_add_u32_e32 v5, 0x3c000000, v5
	v_and_or_b32 v5, v7, s2, v5
	v_cmp_ne_u32_e32 vcc, 0, v3
	s_brev_b32 s2, 1
	s_nop 0
	v_cndmask_b32_e32 v3, 0, v5, vcc
	v_and_or_b32 v1, v1, s2, v3
	v_cvt_f16_f32_e32 v1, v1
.LBB481_1208:
	s_mov_b64 s[2:3], 0
.LBB481_1209:
	s_andn2_b64 vcc, exec, s[2:3]
	s_cbranch_vccnz .LBB481_1211
; %bb.1210:
	global_load_ubyte v1, v[14:15], off
	s_movk_i32 s2, 0x7f00
	s_brev_b32 s3, 16
	s_waitcnt vmcnt(0)
	v_lshlrev_b16_e32 v3, 8, v1
	v_lshlrev_b32_e32 v1, 25, v1
	v_lshrrev_b32_e32 v5, 4, v1
	v_and_or_b32 v7, v3, s2, 0.5
	v_or_b32_e32 v5, 0x70000000, v5
	v_add_f32_e32 v7, -0.5, v7
	v_mul_f32_e32 v5, 0x7800000, v5
	v_cmp_gt_u32_e32 vcc, s3, v1
	v_bfe_i32 v3, v3, 0, 16
	s_brev_b32 s2, 1
	v_cndmask_b32_e32 v1, v5, v7, vcc
	v_and_or_b32 v1, v3, s2, v1
	v_cvt_f16_f32_e32 v1, v1
.LBB481_1211:
	s_mov_b64 s[10:11], -1
	s_mov_b64 s[8:9], 0
	s_cbranch_execnz .LBB481_1222
.LBB481_1212:
	s_cmp_gt_i32 s15, 14
	s_cbranch_scc0 .LBB481_1215
; %bb.1213:
	s_cmp_eq_u32 s15, 15
	s_cbranch_scc0 .LBB481_1218
; %bb.1214:
	global_load_ushort v1, v[14:15], off
	s_mov_b64 s[0:1], 0
	s_mov_b64 s[10:11], -1
	s_waitcnt vmcnt(0)
	v_lshlrev_b32_e32 v1, 16, v1
	v_cvt_f16_f32_e32 v1, v1
	s_branch .LBB481_1219
.LBB481_1215:
	s_mov_b64 s[2:3], -1
                                        ; implicit-def: $vgpr1
	s_branch .LBB481_1220
.LBB481_1216:
	s_or_saveexec_b64 s[8:9], s[8:9]
	v_mov_b32_e32 v1, 0x7e00
	s_xor_b64 exec, exec, s[8:9]
	s_cbranch_execz .LBB481_1198
.LBB481_1217:
	v_cmp_ne_u16_e32 vcc, 0, v3
	s_andn2_b64 s[2:3], s[2:3], exec
	s_and_b64 s[10:11], vcc, exec
	s_or_b64 s[2:3], s[2:3], s[10:11]
	v_mov_b32_e32 v1, v3
	s_or_b64 exec, exec, s[8:9]
	s_and_saveexec_b64 s[8:9], s[2:3]
	s_cbranch_execnz .LBB481_1199
	s_branch .LBB481_1200
.LBB481_1218:
	s_mov_b64 s[0:1], -1
                                        ; implicit-def: $vgpr1
.LBB481_1219:
	s_mov_b64 s[2:3], 0
.LBB481_1220:
	s_and_b64 vcc, exec, s[2:3]
	s_cbranch_vccz .LBB481_1222
; %bb.1221:
	s_cmp_lg_u32 s15, 11
	s_mov_b64 s[8:9], -1
	s_cselect_b64 s[0:1], -1, 0
.LBB481_1222:
	s_and_b64 vcc, exec, s[0:1]
	s_mov_b64 s[2:3], s[24:25]
	s_cbranch_vccnz .LBB481_1283
; %bb.1223:
	s_andn2_b64 vcc, exec, s[8:9]
	s_cbranch_vccnz .LBB481_1225
.LBB481_1224:
	global_load_ubyte v1, v[14:15], off
	v_mov_b32_e32 v3, 0x3c00
	s_mov_b64 s[10:11], -1
	s_waitcnt vmcnt(0)
	v_cmp_ne_u16_e32 vcc, 0, v1
	s_nop 1
	v_cndmask_b32_e32 v1, 0, v3, vcc
.LBB481_1225:
	s_branch .LBB481_1155
.LBB481_1226:
	s_and_b32 s8, 0xffff, s14
	s_cmp_lt_i32 s8, 5
	s_cbranch_scc1 .LBB481_1231
; %bb.1227:
	s_cmp_lt_i32 s8, 8
	s_cbranch_scc1 .LBB481_1232
; %bb.1228:
	;; [unrolled: 3-line block ×3, first 2 shown]
	s_cmp_gt_i32 s8, 9
	s_cbranch_scc0 .LBB481_1234
; %bb.1230:
	global_load_dwordx2 v[16:17], v[14:15], off
	s_movk_i32 s0, 0x1ff
	s_movk_i32 s1, 0xffe
	s_waitcnt vmcnt(1)
	v_mov_b32_e32 v1, 0x7c00
	v_mov_b32_e32 v3, 0x7e00
	s_movk_i32 s9, 0x40f
	s_mov_b32 s10, 0x8000
	s_waitcnt vmcnt(0)
	v_and_or_b32 v5, v17, s0, v16
	v_cmp_ne_u32_e32 vcc, 0, v5
	v_lshrrev_b32_e32 v7, 8, v17
	v_bfe_u32 v9, v17, 20, 11
	v_cndmask_b32_e64 v5, 0, 1, vcc
	v_sub_u32_e32 v13, 0x3f1, v9
	v_and_or_b32 v5, v7, s1, v5
	v_add_u32_e32 v9, 0xfffffc10, v9
	v_med3_i32 v7, v13, 0, 13
	v_or_b32_e32 v13, 0x1000, v5
	v_lshl_or_b32 v16, v9, 12, v5
	v_cmp_ne_u32_e32 vcc, 0, v5
	v_lshrrev_b32_e32 v5, v7, v13
	v_lshlrev_b32_e32 v7, v7, v5
	v_cndmask_b32_e32 v3, v1, v3, vcc
	v_cmp_ne_u32_e32 vcc, v7, v13
	v_lshrrev_b32_e32 v11, 16, v17
	s_mov_b64 s[0:1], 0
	v_cndmask_b32_e64 v7, 0, 1, vcc
	v_or_b32_e32 v5, v5, v7
	v_cmp_gt_i32_e32 vcc, 1, v9
	s_nop 1
	v_cndmask_b32_e32 v5, v16, v5, vcc
	v_and_b32_e32 v7, 7, v5
	v_cmp_lt_i32_e32 vcc, 5, v7
	v_lshrrev_b32_e32 v5, 2, v5
	s_nop 0
	v_cndmask_b32_e64 v13, 0, 1, vcc
	v_cmp_eq_u32_e32 vcc, 3, v7
	s_nop 1
	v_cndmask_b32_e64 v7, 0, 1, vcc
	v_or_b32_e32 v7, v7, v13
	v_add_u32_e32 v5, v5, v7
	v_cmp_gt_i32_e32 vcc, 31, v9
	s_nop 1
	v_cndmask_b32_e32 v1, v1, v5, vcc
	v_cmp_eq_u32_e32 vcc, s9, v9
	s_nop 1
	v_cndmask_b32_e32 v1, v1, v3, vcc
	v_and_or_b32 v1, v11, s10, v1
	s_branch .LBB481_1235
.LBB481_1231:
                                        ; implicit-def: $vgpr1
	s_branch .LBB481_1252
.LBB481_1232:
                                        ; implicit-def: $vgpr1
	s_branch .LBB481_1241
.LBB481_1233:
	s_mov_b64 s[0:1], -1
                                        ; implicit-def: $vgpr1
	s_branch .LBB481_1238
.LBB481_1234:
	s_mov_b64 s[0:1], -1
                                        ; implicit-def: $vgpr1
.LBB481_1235:
	s_andn2_b64 vcc, exec, s[0:1]
	s_cbranch_vccnz .LBB481_1237
; %bb.1236:
	global_load_dword v1, v[14:15], off
	s_waitcnt vmcnt(0)
	v_cvt_f16_f32_e32 v1, v1
.LBB481_1237:
	s_mov_b64 s[0:1], 0
.LBB481_1238:
	s_andn2_b64 vcc, exec, s[0:1]
	s_cbranch_vccnz .LBB481_1240
; %bb.1239:
	global_load_dword v1, v[14:15], off
.LBB481_1240:
	s_cbranch_execnz .LBB481_1251
.LBB481_1241:
	s_cmp_lt_i32 s8, 6
	s_cbranch_scc1 .LBB481_1244
; %bb.1242:
	s_cmp_gt_i32 s8, 6
	s_cbranch_scc0 .LBB481_1245
; %bb.1243:
	global_load_dwordx2 v[16:17], v[14:15], off
	s_movk_i32 s0, 0x1ff
	s_movk_i32 s1, 0xffe
	s_waitcnt vmcnt(1)
	v_mov_b32_e32 v1, 0x7c00
	v_mov_b32_e32 v3, 0x7e00
	s_movk_i32 s9, 0x40f
	s_mov_b32 s10, 0x8000
	s_waitcnt vmcnt(0)
	v_and_or_b32 v5, v17, s0, v16
	v_cmp_ne_u32_e32 vcc, 0, v5
	v_lshrrev_b32_e32 v7, 8, v17
	v_bfe_u32 v9, v17, 20, 11
	v_cndmask_b32_e64 v5, 0, 1, vcc
	v_sub_u32_e32 v13, 0x3f1, v9
	v_and_or_b32 v5, v7, s1, v5
	v_add_u32_e32 v9, 0xfffffc10, v9
	v_med3_i32 v7, v13, 0, 13
	v_or_b32_e32 v13, 0x1000, v5
	v_lshl_or_b32 v16, v9, 12, v5
	v_cmp_ne_u32_e32 vcc, 0, v5
	v_lshrrev_b32_e32 v5, v7, v13
	v_lshlrev_b32_e32 v7, v7, v5
	v_cndmask_b32_e32 v3, v1, v3, vcc
	v_cmp_ne_u32_e32 vcc, v7, v13
	v_lshrrev_b32_e32 v11, 16, v17
	s_mov_b64 s[0:1], 0
	v_cndmask_b32_e64 v7, 0, 1, vcc
	v_or_b32_e32 v5, v5, v7
	v_cmp_gt_i32_e32 vcc, 1, v9
	s_nop 1
	v_cndmask_b32_e32 v5, v16, v5, vcc
	v_and_b32_e32 v7, 7, v5
	v_cmp_lt_i32_e32 vcc, 5, v7
	v_lshrrev_b32_e32 v5, 2, v5
	s_nop 0
	v_cndmask_b32_e64 v13, 0, 1, vcc
	v_cmp_eq_u32_e32 vcc, 3, v7
	s_nop 1
	v_cndmask_b32_e64 v7, 0, 1, vcc
	v_or_b32_e32 v7, v7, v13
	v_add_u32_e32 v5, v5, v7
	v_cmp_gt_i32_e32 vcc, 31, v9
	s_nop 1
	v_cndmask_b32_e32 v1, v1, v5, vcc
	v_cmp_eq_u32_e32 vcc, s9, v9
	s_nop 1
	v_cndmask_b32_e32 v1, v1, v3, vcc
	v_and_or_b32 v1, v11, s10, v1
	s_branch .LBB481_1246
.LBB481_1244:
	s_mov_b64 s[0:1], -1
                                        ; implicit-def: $vgpr1
	s_branch .LBB481_1249
.LBB481_1245:
	s_mov_b64 s[0:1], -1
                                        ; implicit-def: $vgpr1
.LBB481_1246:
	s_andn2_b64 vcc, exec, s[0:1]
	s_cbranch_vccnz .LBB481_1248
; %bb.1247:
	global_load_dword v1, v[14:15], off
	s_waitcnt vmcnt(0)
	v_cvt_f16_f32_e32 v1, v1
.LBB481_1248:
	s_mov_b64 s[0:1], 0
.LBB481_1249:
	s_andn2_b64 vcc, exec, s[0:1]
	s_cbranch_vccnz .LBB481_1251
; %bb.1250:
	global_load_ushort v1, v[14:15], off
.LBB481_1251:
	s_cbranch_execnz .LBB481_1270
.LBB481_1252:
	s_cmp_lt_i32 s8, 2
	s_cbranch_scc1 .LBB481_1256
; %bb.1253:
	s_cmp_lt_i32 s8, 3
	s_cbranch_scc1 .LBB481_1257
; %bb.1254:
	s_cmp_gt_i32 s8, 3
	s_cbranch_scc0 .LBB481_1258
; %bb.1255:
	global_load_dwordx2 v[16:17], v[14:15], off
	s_mov_b64 s[0:1], 0
	s_waitcnt vmcnt(0)
	v_xor_b32_e32 v3, v16, v17
	v_ffbh_i32_e32 v1, v17
	v_ashrrev_i32_e32 v3, 31, v3
	v_add_u32_e32 v1, -1, v1
	v_add_u32_e32 v3, 32, v3
	v_min_u32_e32 v1, v1, v3
	v_lshlrev_b64 v[16:17], v1, v[16:17]
	v_min_u32_e32 v3, 1, v16
	v_or_b32_e32 v3, v17, v3
	v_cvt_f32_i32_e32 v3, v3
	v_sub_u32_e32 v1, 32, v1
	v_ldexp_f32 v1, v3, v1
	v_cvt_f16_f32_e32 v1, v1
	s_branch .LBB481_1259
.LBB481_1256:
                                        ; implicit-def: $vgpr1
	s_branch .LBB481_1265
.LBB481_1257:
	s_mov_b64 s[0:1], -1
                                        ; implicit-def: $vgpr1
	s_branch .LBB481_1262
.LBB481_1258:
	s_mov_b64 s[0:1], -1
                                        ; implicit-def: $vgpr1
.LBB481_1259:
	s_andn2_b64 vcc, exec, s[0:1]
	s_cbranch_vccnz .LBB481_1261
; %bb.1260:
	global_load_dword v1, v[14:15], off
	s_waitcnt vmcnt(0)
	v_cvt_f32_i32_e32 v1, v1
	v_cvt_f16_f32_e32 v1, v1
.LBB481_1261:
	s_mov_b64 s[0:1], 0
.LBB481_1262:
	s_andn2_b64 vcc, exec, s[0:1]
	s_cbranch_vccnz .LBB481_1264
; %bb.1263:
	global_load_ushort v1, v[14:15], off
	s_waitcnt vmcnt(0)
	v_cvt_f16_i16_e32 v1, v1
.LBB481_1264:
	s_cbranch_execnz .LBB481_1270
.LBB481_1265:
	s_cmp_gt_i32 s8, 0
	s_cbranch_scc0 .LBB481_1267
; %bb.1266:
	global_load_sbyte v1, v[14:15], off
	s_mov_b64 s[0:1], 0
	s_waitcnt vmcnt(0)
	v_cvt_f16_i16_e32 v1, v1
	s_branch .LBB481_1268
.LBB481_1267:
	s_mov_b64 s[0:1], -1
                                        ; implicit-def: $vgpr1
.LBB481_1268:
	s_andn2_b64 vcc, exec, s[0:1]
	s_cbranch_vccnz .LBB481_1270
; %bb.1269:
	global_load_ubyte v1, v[14:15], off
	s_waitcnt vmcnt(0)
	v_cvt_f16_u16_e32 v1, v1
.LBB481_1270:
.LBB481_1271:
	v_mov_b32_e32 v13, 0
	s_and_b32 s17, 0xffff, s14
	s_cmp_lt_i32 s17, 11
	v_lshl_add_u64 v[12:13], s[6:7], 0, v[12:13]
	s_cbranch_scc1 .LBB481_1278
; %bb.1272:
	s_cmp_gt_i32 s17, 25
	s_mov_b64 s[8:9], 0
	s_cbranch_scc0 .LBB481_1280
; %bb.1273:
	s_cmp_gt_i32 s17, 28
	s_cbranch_scc0 .LBB481_1281
; %bb.1274:
	s_cmp_gt_i32 s17, 43
	;; [unrolled: 3-line block ×3, first 2 shown]
	s_cbranch_scc0 .LBB481_1284
; %bb.1276:
	s_cmp_eq_u32 s17, 46
	s_mov_b64 s[12:13], 0
	s_cbranch_scc0 .LBB481_1287
; %bb.1277:
	global_load_dword v3, v[12:13], off
	s_mov_b64 s[0:1], 0
	s_mov_b64 s[10:11], -1
	s_waitcnt vmcnt(0)
	v_lshlrev_b32_e32 v3, 16, v3
	v_cvt_f16_f32_e32 v3, v3
	s_branch .LBB481_1288
.LBB481_1278:
	s_mov_b64 s[10:11], 0
                                        ; implicit-def: $vgpr3
	s_cbranch_execnz .LBB481_1353
.LBB481_1279:
	s_andn2_b64 vcc, exec, s[10:11]
	s_cbranch_vccnz .LBB481_2092
	s_branch .LBB481_1400
.LBB481_1280:
	s_mov_b64 s[10:11], 0
	s_mov_b64 s[0:1], 0
                                        ; implicit-def: $vgpr3
	s_cbranch_execnz .LBB481_1317
	s_branch .LBB481_1349
.LBB481_1281:
	s_mov_b64 s[12:13], -1
	s_mov_b64 s[10:11], 0
	s_mov_b64 s[0:1], 0
                                        ; implicit-def: $vgpr3
	s_branch .LBB481_1298
.LBB481_1282:
	s_mov_b64 s[12:13], -1
	s_mov_b64 s[10:11], 0
	s_mov_b64 s[0:1], 0
                                        ; implicit-def: $vgpr3
	s_branch .LBB481_1293
.LBB481_1283:
	s_or_b64 s[2:3], s[24:25], exec
	s_trap 2
	s_cbranch_execz .LBB481_1224
	s_branch .LBB481_1225
.LBB481_1284:
	s_mov_b64 s[12:13], -1
	s_mov_b64 s[10:11], 0
	s_mov_b64 s[0:1], 0
                                        ; implicit-def: $vgpr3
	s_branch .LBB481_1288
.LBB481_1285:
	s_andn2_saveexec_b64 s[14:15], s[14:15]
	s_cbranch_execz .LBB481_1015
.LBB481_1286:
	s_mov_b32 s18, 0x42800000
	v_add_f32_e64 v1, |v0|, s18
	v_and_b32_e32 v1, 0xff, v1
	v_cmp_ne_u32_e32 vcc, 0, v1
	s_andn2_b64 s[12:13], s[12:13], exec
	s_and_b64 s[18:19], vcc, exec
	s_or_b64 s[12:13], s[12:13], s[18:19]
	s_or_b64 exec, exec, s[14:15]
	v_mov_b32_e32 v5, 0
	s_and_saveexec_b64 s[14:15], s[12:13]
	s_cbranch_execnz .LBB481_1016
	s_branch .LBB481_1017
.LBB481_1287:
	s_mov_b64 s[0:1], -1
                                        ; implicit-def: $vgpr3
	s_mov_b64 s[10:11], 0
.LBB481_1288:
	s_and_b64 vcc, exec, s[12:13]
	s_cbranch_vccz .LBB481_1292
; %bb.1289:
	s_cmp_eq_u32 s17, 44
	s_cbranch_scc0 .LBB481_1291
; %bb.1290:
	global_load_ubyte v3, v[12:13], off
	s_movk_i32 s10, 0xff
	v_mov_b32_e32 v7, 0x7e00
	s_mov_b64 s[0:1], 0
	s_waitcnt vmcnt(0)
	v_lshlrev_b32_e32 v5, 23, v3
	v_cvt_f16_f32_e32 v5, v5
	v_cmp_ne_u32_e32 vcc, s10, v3
	s_mov_b64 s[10:11], -1
	s_nop 0
	v_cndmask_b32_e32 v5, v7, v5, vcc
	v_cmp_ne_u32_e32 vcc, 0, v3
	s_nop 1
	v_cndmask_b32_e32 v3, 0, v5, vcc
	s_branch .LBB481_1292
.LBB481_1291:
	s_mov_b64 s[0:1], -1
                                        ; implicit-def: $vgpr3
.LBB481_1292:
	s_mov_b64 s[12:13], 0
.LBB481_1293:
	s_and_b64 vcc, exec, s[12:13]
	s_cbranch_vccz .LBB481_1297
; %bb.1294:
	s_cmp_eq_u32 s17, 29
	s_cbranch_scc0 .LBB481_1296
; %bb.1295:
	global_load_dwordx2 v[14:15], v[12:13], off
	s_mov_b64 s[0:1], 0
	s_mov_b64 s[10:11], -1
	s_mov_b64 s[12:13], 0
	s_waitcnt vmcnt(0)
	v_ffbh_u32_e32 v3, v15
	v_min_u32_e32 v3, 32, v3
	v_lshlrev_b64 v[14:15], v3, v[14:15]
	v_min_u32_e32 v5, 1, v14
	v_or_b32_e32 v5, v15, v5
	v_cvt_f32_u32_e32 v5, v5
	v_sub_u32_e32 v3, 32, v3
	v_ldexp_f32 v3, v5, v3
	v_cvt_f16_f32_e32 v3, v3
	s_branch .LBB481_1298
.LBB481_1296:
	s_mov_b64 s[0:1], -1
                                        ; implicit-def: $vgpr3
.LBB481_1297:
	s_mov_b64 s[12:13], 0
.LBB481_1298:
	s_and_b64 vcc, exec, s[12:13]
	s_cbranch_vccz .LBB481_1316
; %bb.1299:
	s_cmp_lt_i32 s17, 27
	s_cbranch_scc1 .LBB481_1302
; %bb.1300:
	s_cmp_gt_i32 s17, 27
	s_cbranch_scc0 .LBB481_1303
; %bb.1301:
	global_load_dword v3, v[12:13], off
	s_mov_b64 s[10:11], 0
	s_waitcnt vmcnt(0)
	v_cvt_f32_u32_e32 v3, v3
	v_cvt_f16_f32_e32 v3, v3
	s_branch .LBB481_1304
.LBB481_1302:
	s_mov_b64 s[10:11], -1
                                        ; implicit-def: $vgpr3
	s_branch .LBB481_1307
.LBB481_1303:
	s_mov_b64 s[10:11], -1
                                        ; implicit-def: $vgpr3
.LBB481_1304:
	s_andn2_b64 vcc, exec, s[10:11]
	s_cbranch_vccnz .LBB481_1306
; %bb.1305:
	global_load_ushort v3, v[12:13], off
	s_waitcnt vmcnt(0)
	v_cvt_f16_u16_e32 v3, v3
.LBB481_1306:
	s_mov_b64 s[10:11], 0
.LBB481_1307:
	s_andn2_b64 vcc, exec, s[10:11]
	s_cbranch_vccnz .LBB481_1315
; %bb.1308:
	global_load_ubyte v5, v[12:13], off
	s_movk_i32 s10, 0x7f
	s_waitcnt vmcnt(0)
	v_cmp_lt_i16_e32 vcc, s10, v5
	s_mov_b64 s[10:11], 0
	s_and_saveexec_b64 s[12:13], vcc
	s_xor_b64 s[12:13], exec, s[12:13]
	s_cbranch_execz .LBB481_1328
; %bb.1309:
	s_movk_i32 s10, 0x80
	v_cmp_eq_u16_e32 vcc, s10, v5
	s_mov_b64 s[10:11], -1
	s_and_saveexec_b64 s[14:15], vcc
; %bb.1310:
	s_xor_b64 s[10:11], exec, -1
; %bb.1311:
	s_or_b64 exec, exec, s[14:15]
	s_and_b64 s[10:11], s[10:11], exec
	s_or_saveexec_b64 s[12:13], s[12:13]
	v_mov_b32_e32 v3, 0x7e00
	s_xor_b64 exec, exec, s[12:13]
	s_cbranch_execnz .LBB481_1329
.LBB481_1312:
	s_or_b64 exec, exec, s[12:13]
	s_and_saveexec_b64 s[12:13], s[10:11]
	s_cbranch_execz .LBB481_1314
.LBB481_1313:
	v_lshlrev_b32_e32 v3, 24, v5
	v_and_b32_e32 v5, 0xffff, v5
	v_and_b32_e32 v7, 7, v5
	v_ffbh_u32_e32 v11, v7
	v_min_u32_e32 v11, 32, v11
	v_subrev_u32_e32 v14, 28, v11
	v_bfe_u32 v9, v5, 3, 4
	v_lshlrev_b32_e32 v5, v14, v5
	v_sub_u32_e32 v11, 29, v11
	v_and_b32_e32 v5, 7, v5
	v_cmp_eq_u32_e32 vcc, 0, v9
	v_and_b32_e32 v3, 0x80000000, v3
	s_nop 0
	v_cndmask_b32_e32 v9, v9, v11, vcc
	v_cndmask_b32_e32 v5, v7, v5, vcc
	v_mov_b32_e32 v7, 0x3b800000
	v_lshlrev_b32_e32 v5, 20, v5
	v_lshl_add_u32 v7, v9, 23, v7
	v_or3_b32 v3, v3, v7, v5
	v_cvt_f16_f32_e32 v3, v3
.LBB481_1314:
	s_or_b64 exec, exec, s[12:13]
.LBB481_1315:
	s_mov_b64 s[10:11], -1
.LBB481_1316:
	s_branch .LBB481_1349
.LBB481_1317:
	s_cmp_gt_i32 s17, 22
	s_cbranch_scc0 .LBB481_1327
; %bb.1318:
	s_cmp_lt_i32 s17, 24
	s_cbranch_scc1 .LBB481_1330
; %bb.1319:
	s_cmp_gt_i32 s17, 24
	s_cbranch_scc0 .LBB481_1331
; %bb.1320:
	global_load_ubyte v5, v[12:13], off
	s_movk_i32 s8, 0x7f
	s_waitcnt vmcnt(0)
	v_cmp_lt_i16_e32 vcc, s8, v5
	s_mov_b64 s[8:9], 0
	s_and_saveexec_b64 s[10:11], vcc
	s_xor_b64 s[10:11], exec, s[10:11]
	s_cbranch_execz .LBB481_1343
; %bb.1321:
	s_movk_i32 s8, 0x80
	v_cmp_eq_u16_e32 vcc, s8, v5
	s_mov_b64 s[8:9], -1
	s_and_saveexec_b64 s[12:13], vcc
; %bb.1322:
	s_xor_b64 s[8:9], exec, -1
; %bb.1323:
	s_or_b64 exec, exec, s[12:13]
	s_and_b64 s[8:9], s[8:9], exec
	s_or_saveexec_b64 s[10:11], s[10:11]
	v_mov_b32_e32 v3, 0x7e00
	s_xor_b64 exec, exec, s[10:11]
	s_cbranch_execnz .LBB481_1344
.LBB481_1324:
	s_or_b64 exec, exec, s[10:11]
	s_and_saveexec_b64 s[10:11], s[8:9]
	s_cbranch_execz .LBB481_1326
.LBB481_1325:
	v_lshlrev_b32_e32 v3, 24, v5
	v_and_b32_e32 v5, 0xffff, v5
	v_and_b32_e32 v7, 3, v5
	v_ffbh_u32_e32 v11, v7
	v_min_u32_e32 v11, 32, v11
	v_subrev_u32_e32 v14, 29, v11
	v_bfe_u32 v9, v5, 2, 5
	v_lshlrev_b32_e32 v5, v14, v5
	v_sub_u32_e32 v11, 30, v11
	v_and_b32_e32 v5, 3, v5
	v_cmp_eq_u32_e32 vcc, 0, v9
	v_and_b32_e32 v3, 0x80000000, v3
	s_nop 0
	v_cndmask_b32_e32 v9, v9, v11, vcc
	v_cndmask_b32_e32 v5, v7, v5, vcc
	v_mov_b32_e32 v7, 0x37800000
	v_lshlrev_b32_e32 v5, 21, v5
	v_lshl_add_u32 v7, v9, 23, v7
	v_or3_b32 v3, v3, v7, v5
	v_cvt_f16_f32_e32 v3, v3
.LBB481_1326:
	s_or_b64 exec, exec, s[10:11]
	s_mov_b64 s[8:9], 0
	s_branch .LBB481_1332
.LBB481_1327:
	s_mov_b64 s[8:9], -1
                                        ; implicit-def: $vgpr3
	s_branch .LBB481_1338
.LBB481_1328:
	s_or_saveexec_b64 s[12:13], s[12:13]
	v_mov_b32_e32 v3, 0x7e00
	s_xor_b64 exec, exec, s[12:13]
	s_cbranch_execz .LBB481_1312
.LBB481_1329:
	v_cmp_ne_u16_e32 vcc, 0, v5
	s_andn2_b64 s[10:11], s[10:11], exec
	s_and_b64 s[14:15], vcc, exec
	s_or_b64 s[10:11], s[10:11], s[14:15]
	v_mov_b32_e32 v3, v5
	s_or_b64 exec, exec, s[12:13]
	s_and_saveexec_b64 s[12:13], s[10:11]
	s_cbranch_execnz .LBB481_1313
	s_branch .LBB481_1314
.LBB481_1330:
	s_mov_b64 s[8:9], -1
                                        ; implicit-def: $vgpr3
	s_branch .LBB481_1335
.LBB481_1331:
	s_mov_b64 s[8:9], -1
                                        ; implicit-def: $vgpr3
.LBB481_1332:
	s_and_b64 vcc, exec, s[8:9]
	s_cbranch_vccz .LBB481_1334
; %bb.1333:
	global_load_ubyte v3, v[12:13], off
	s_mov_b32 s8, 0x7f800000
	s_waitcnt vmcnt(0)
	v_lshlrev_b32_e32 v3, 24, v3
	v_and_b32_e32 v5, 0x7f000000, v3
	v_ffbh_u32_e32 v7, v5
	v_min_u32_e32 v7, 32, v7
	v_sub_u32_e64 v7, v7, 4 clamp
	v_lshlrev_b32_e32 v11, v7, v5
	v_lshlrev_b32_e32 v7, 23, v7
	v_lshrrev_b32_e32 v11, 4, v11
	v_add_u32_e32 v9, 0x1000000, v5
	v_sub_u32_e32 v7, v11, v7
	v_ashrrev_i32_e32 v9, 8, v9
	v_add_u32_e32 v7, 0x3c000000, v7
	v_and_or_b32 v7, v9, s8, v7
	v_cmp_ne_u32_e32 vcc, 0, v5
	s_brev_b32 s8, 1
	s_nop 0
	v_cndmask_b32_e32 v5, 0, v7, vcc
	v_and_or_b32 v3, v3, s8, v5
	v_cvt_f16_f32_e32 v3, v3
.LBB481_1334:
	s_mov_b64 s[8:9], 0
.LBB481_1335:
	s_andn2_b64 vcc, exec, s[8:9]
	s_cbranch_vccnz .LBB481_1337
; %bb.1336:
	global_load_ubyte v3, v[12:13], off
	s_movk_i32 s8, 0x7f00
	s_brev_b32 s9, 16
	s_waitcnt vmcnt(0)
	v_lshlrev_b16_e32 v5, 8, v3
	v_lshlrev_b32_e32 v3, 25, v3
	v_lshrrev_b32_e32 v7, 4, v3
	v_and_or_b32 v9, v5, s8, 0.5
	v_or_b32_e32 v7, 0x70000000, v7
	v_add_f32_e32 v9, -0.5, v9
	v_mul_f32_e32 v7, 0x7800000, v7
	v_cmp_gt_u32_e32 vcc, s9, v3
	v_bfe_i32 v5, v5, 0, 16
	s_brev_b32 s8, 1
	v_cndmask_b32_e32 v3, v7, v9, vcc
	v_and_or_b32 v3, v5, s8, v3
	v_cvt_f16_f32_e32 v3, v3
.LBB481_1337:
	s_mov_b64 s[8:9], 0
	s_mov_b64 s[10:11], -1
.LBB481_1338:
	s_andn2_b64 vcc, exec, s[8:9]
	s_mov_b64 s[8:9], 0
	s_cbranch_vccnz .LBB481_1349
; %bb.1339:
	s_cmp_gt_i32 s17, 14
	s_cbranch_scc0 .LBB481_1342
; %bb.1340:
	s_cmp_eq_u32 s17, 15
	s_cbranch_scc0 .LBB481_1345
; %bb.1341:
	global_load_ushort v3, v[12:13], off
	s_mov_b64 s[0:1], 0
	s_mov_b64 s[10:11], -1
	s_waitcnt vmcnt(0)
	v_lshlrev_b32_e32 v3, 16, v3
	v_cvt_f16_f32_e32 v3, v3
	s_branch .LBB481_1346
.LBB481_1342:
	s_mov_b64 s[12:13], -1
                                        ; implicit-def: $vgpr3
	s_branch .LBB481_1347
.LBB481_1343:
	s_or_saveexec_b64 s[10:11], s[10:11]
	v_mov_b32_e32 v3, 0x7e00
	s_xor_b64 exec, exec, s[10:11]
	s_cbranch_execz .LBB481_1324
.LBB481_1344:
	v_cmp_ne_u16_e32 vcc, 0, v5
	s_andn2_b64 s[8:9], s[8:9], exec
	s_and_b64 s[12:13], vcc, exec
	s_or_b64 s[8:9], s[8:9], s[12:13]
	v_mov_b32_e32 v3, v5
	s_or_b64 exec, exec, s[10:11]
	s_and_saveexec_b64 s[10:11], s[8:9]
	s_cbranch_execnz .LBB481_1325
	s_branch .LBB481_1326
.LBB481_1345:
	s_mov_b64 s[0:1], -1
                                        ; implicit-def: $vgpr3
.LBB481_1346:
	s_mov_b64 s[12:13], 0
.LBB481_1347:
	s_and_b64 vcc, exec, s[12:13]
	s_cbranch_vccz .LBB481_1349
; %bb.1348:
	s_cmp_lg_u32 s17, 11
	s_mov_b64 s[8:9], -1
	s_cselect_b64 s[0:1], -1, 0
.LBB481_1349:
	s_and_b64 vcc, exec, s[0:1]
	s_cbranch_vccnz .LBB481_1412
; %bb.1350:
	s_andn2_b64 vcc, exec, s[8:9]
	s_cbranch_vccnz .LBB481_1352
.LBB481_1351:
	global_load_ubyte v3, v[12:13], off
	v_mov_b32_e32 v5, 0x3c00
	s_mov_b64 s[10:11], -1
	s_waitcnt vmcnt(0)
	v_cmp_ne_u16_e32 vcc, 0, v3
	s_nop 1
	v_cndmask_b32_e32 v3, 0, v5, vcc
.LBB481_1352:
	s_branch .LBB481_1279
.LBB481_1353:
	s_cmp_lt_i32 s17, 5
	s_cbranch_scc1 .LBB481_1358
; %bb.1354:
	s_cmp_lt_i32 s17, 8
	s_cbranch_scc1 .LBB481_1359
; %bb.1355:
	;; [unrolled: 3-line block ×3, first 2 shown]
	s_cmp_gt_i32 s17, 9
	s_cbranch_scc0 .LBB481_1361
; %bb.1357:
	global_load_dwordx2 v[14:15], v[12:13], off
	s_movk_i32 s0, 0x1ff
	s_movk_i32 s1, 0xffe
	v_mov_b32_e32 v3, 0x7c00
	v_mov_b32_e32 v5, 0x7e00
	s_movk_i32 s8, 0x40f
	s_mov_b32 s9, 0x8000
	s_waitcnt vmcnt(0)
	v_and_or_b32 v7, v15, s0, v14
	v_cmp_ne_u32_e32 vcc, 0, v7
	v_lshrrev_b32_e32 v9, 8, v15
	v_bfe_u32 v11, v15, 20, 11
	v_cndmask_b32_e64 v7, 0, 1, vcc
	v_lshrrev_b32_e32 v14, 16, v15
	v_sub_u32_e32 v15, 0x3f1, v11
	v_and_or_b32 v7, v9, s1, v7
	v_add_u32_e32 v11, 0xfffffc10, v11
	v_med3_i32 v9, v15, 0, 13
	v_or_b32_e32 v15, 0x1000, v7
	v_lshl_or_b32 v16, v11, 12, v7
	v_cmp_ne_u32_e32 vcc, 0, v7
	v_lshrrev_b32_e32 v7, v9, v15
	v_lshlrev_b32_e32 v9, v9, v7
	v_cndmask_b32_e32 v5, v3, v5, vcc
	v_cmp_ne_u32_e32 vcc, v9, v15
	s_mov_b64 s[0:1], 0
	s_nop 0
	v_cndmask_b32_e64 v9, 0, 1, vcc
	v_or_b32_e32 v7, v7, v9
	v_cmp_gt_i32_e32 vcc, 1, v11
	s_nop 1
	v_cndmask_b32_e32 v7, v16, v7, vcc
	v_and_b32_e32 v9, 7, v7
	v_cmp_lt_i32_e32 vcc, 5, v9
	v_lshrrev_b32_e32 v7, 2, v7
	s_nop 0
	v_cndmask_b32_e64 v15, 0, 1, vcc
	v_cmp_eq_u32_e32 vcc, 3, v9
	s_nop 1
	v_cndmask_b32_e64 v9, 0, 1, vcc
	v_or_b32_e32 v9, v9, v15
	v_add_u32_e32 v7, v7, v9
	v_cmp_gt_i32_e32 vcc, 31, v11
	s_nop 1
	v_cndmask_b32_e32 v3, v3, v7, vcc
	v_cmp_eq_u32_e32 vcc, s8, v11
	s_nop 1
	v_cndmask_b32_e32 v3, v3, v5, vcc
	v_and_or_b32 v3, v14, s9, v3
	s_branch .LBB481_1362
.LBB481_1358:
                                        ; implicit-def: $vgpr3
	s_branch .LBB481_1380
.LBB481_1359:
	s_mov_b64 s[0:1], -1
                                        ; implicit-def: $vgpr3
	s_branch .LBB481_1368
.LBB481_1360:
	s_mov_b64 s[0:1], -1
                                        ; implicit-def: $vgpr3
	s_branch .LBB481_1365
.LBB481_1361:
	s_mov_b64 s[0:1], -1
                                        ; implicit-def: $vgpr3
.LBB481_1362:
	s_andn2_b64 vcc, exec, s[0:1]
	s_cbranch_vccnz .LBB481_1364
; %bb.1363:
	global_load_dword v3, v[12:13], off
	s_waitcnt vmcnt(0)
	v_cvt_f16_f32_e32 v3, v3
.LBB481_1364:
	s_mov_b64 s[0:1], 0
.LBB481_1365:
	s_andn2_b64 vcc, exec, s[0:1]
	s_cbranch_vccnz .LBB481_1367
; %bb.1366:
	global_load_dword v3, v[12:13], off
.LBB481_1367:
	s_mov_b64 s[0:1], 0
.LBB481_1368:
	s_andn2_b64 vcc, exec, s[0:1]
	s_cbranch_vccnz .LBB481_1379
; %bb.1369:
	s_cmp_lt_i32 s17, 6
	s_cbranch_scc1 .LBB481_1372
; %bb.1370:
	s_cmp_gt_i32 s17, 6
	s_cbranch_scc0 .LBB481_1373
; %bb.1371:
	global_load_dwordx2 v[14:15], v[12:13], off
	s_movk_i32 s0, 0x1ff
	s_movk_i32 s1, 0xffe
	s_waitcnt vmcnt(1)
	v_mov_b32_e32 v3, 0x7c00
	v_mov_b32_e32 v5, 0x7e00
	s_movk_i32 s8, 0x40f
	s_mov_b32 s9, 0x8000
	s_waitcnt vmcnt(0)
	v_and_or_b32 v7, v15, s0, v14
	v_cmp_ne_u32_e32 vcc, 0, v7
	v_lshrrev_b32_e32 v9, 8, v15
	v_bfe_u32 v11, v15, 20, 11
	v_cndmask_b32_e64 v7, 0, 1, vcc
	v_lshrrev_b32_e32 v14, 16, v15
	v_sub_u32_e32 v15, 0x3f1, v11
	v_and_or_b32 v7, v9, s1, v7
	v_add_u32_e32 v11, 0xfffffc10, v11
	v_med3_i32 v9, v15, 0, 13
	v_or_b32_e32 v15, 0x1000, v7
	v_lshl_or_b32 v16, v11, 12, v7
	v_cmp_ne_u32_e32 vcc, 0, v7
	v_lshrrev_b32_e32 v7, v9, v15
	v_lshlrev_b32_e32 v9, v9, v7
	v_cndmask_b32_e32 v5, v3, v5, vcc
	v_cmp_ne_u32_e32 vcc, v9, v15
	s_mov_b64 s[0:1], 0
	s_nop 0
	v_cndmask_b32_e64 v9, 0, 1, vcc
	v_or_b32_e32 v7, v7, v9
	v_cmp_gt_i32_e32 vcc, 1, v11
	s_nop 1
	v_cndmask_b32_e32 v7, v16, v7, vcc
	v_and_b32_e32 v9, 7, v7
	v_cmp_lt_i32_e32 vcc, 5, v9
	v_lshrrev_b32_e32 v7, 2, v7
	s_nop 0
	v_cndmask_b32_e64 v15, 0, 1, vcc
	v_cmp_eq_u32_e32 vcc, 3, v9
	s_nop 1
	v_cndmask_b32_e64 v9, 0, 1, vcc
	v_or_b32_e32 v9, v9, v15
	v_add_u32_e32 v7, v7, v9
	v_cmp_gt_i32_e32 vcc, 31, v11
	s_nop 1
	v_cndmask_b32_e32 v3, v3, v7, vcc
	v_cmp_eq_u32_e32 vcc, s8, v11
	s_nop 1
	v_cndmask_b32_e32 v3, v3, v5, vcc
	v_and_or_b32 v3, v14, s9, v3
	s_branch .LBB481_1374
.LBB481_1372:
	s_mov_b64 s[0:1], -1
                                        ; implicit-def: $vgpr3
	s_branch .LBB481_1377
.LBB481_1373:
	s_mov_b64 s[0:1], -1
                                        ; implicit-def: $vgpr3
.LBB481_1374:
	s_andn2_b64 vcc, exec, s[0:1]
	s_cbranch_vccnz .LBB481_1376
; %bb.1375:
	global_load_dword v3, v[12:13], off
	s_waitcnt vmcnt(0)
	v_cvt_f16_f32_e32 v3, v3
.LBB481_1376:
	s_mov_b64 s[0:1], 0
.LBB481_1377:
	s_andn2_b64 vcc, exec, s[0:1]
	s_cbranch_vccnz .LBB481_1379
; %bb.1378:
	global_load_ushort v3, v[12:13], off
.LBB481_1379:
	s_cbranch_execnz .LBB481_1399
.LBB481_1380:
	s_cmp_lt_i32 s17, 2
	s_cbranch_scc1 .LBB481_1384
; %bb.1381:
	s_cmp_lt_i32 s17, 3
	s_cbranch_scc1 .LBB481_1385
; %bb.1382:
	s_cmp_gt_i32 s17, 3
	s_cbranch_scc0 .LBB481_1386
; %bb.1383:
	global_load_dwordx2 v[14:15], v[12:13], off
	s_mov_b64 s[0:1], 0
	s_waitcnt vmcnt(0)
	v_xor_b32_e32 v5, v14, v15
	v_ffbh_i32_e32 v3, v15
	v_ashrrev_i32_e32 v5, 31, v5
	v_add_u32_e32 v3, -1, v3
	v_add_u32_e32 v5, 32, v5
	v_min_u32_e32 v3, v3, v5
	v_lshlrev_b64 v[14:15], v3, v[14:15]
	v_min_u32_e32 v5, 1, v14
	v_or_b32_e32 v5, v15, v5
	v_cvt_f32_i32_e32 v5, v5
	v_sub_u32_e32 v3, 32, v3
	v_ldexp_f32 v3, v5, v3
	v_cvt_f16_f32_e32 v3, v3
	s_branch .LBB481_1387
.LBB481_1384:
	s_mov_b64 s[0:1], -1
                                        ; implicit-def: $vgpr3
	s_branch .LBB481_1393
.LBB481_1385:
	s_mov_b64 s[0:1], -1
                                        ; implicit-def: $vgpr3
	s_branch .LBB481_1390
.LBB481_1386:
	s_mov_b64 s[0:1], -1
                                        ; implicit-def: $vgpr3
.LBB481_1387:
	s_andn2_b64 vcc, exec, s[0:1]
	s_cbranch_vccnz .LBB481_1389
; %bb.1388:
	global_load_dword v3, v[12:13], off
	s_waitcnt vmcnt(0)
	v_cvt_f32_i32_e32 v3, v3
	v_cvt_f16_f32_e32 v3, v3
.LBB481_1389:
	s_mov_b64 s[0:1], 0
.LBB481_1390:
	s_andn2_b64 vcc, exec, s[0:1]
	s_cbranch_vccnz .LBB481_1392
; %bb.1391:
	global_load_ushort v3, v[12:13], off
	s_waitcnt vmcnt(0)
	v_cvt_f16_i16_e32 v3, v3
.LBB481_1392:
	s_mov_b64 s[0:1], 0
.LBB481_1393:
	s_andn2_b64 vcc, exec, s[0:1]
	s_cbranch_vccnz .LBB481_1399
; %bb.1394:
	s_cmp_gt_i32 s17, 0
	s_cbranch_scc0 .LBB481_1396
; %bb.1395:
	global_load_sbyte v3, v[12:13], off
	s_mov_b64 s[0:1], 0
	s_waitcnt vmcnt(0)
	v_cvt_f16_i16_e32 v3, v3
	s_branch .LBB481_1397
.LBB481_1396:
	s_mov_b64 s[0:1], -1
                                        ; implicit-def: $vgpr3
.LBB481_1397:
	s_andn2_b64 vcc, exec, s[0:1]
	s_cbranch_vccnz .LBB481_1399
; %bb.1398:
	global_load_ubyte v3, v[12:13], off
	s_waitcnt vmcnt(0)
	v_cvt_f16_u16_e32 v3, v3
.LBB481_1399:
.LBB481_1400:
	v_mov_b32_e32 v11, 0
	s_cmp_lt_i32 s17, 11
	v_lshl_add_u64 v[10:11], s[6:7], 0, v[10:11]
	s_cbranch_scc1 .LBB481_1407
; %bb.1401:
	s_cmp_gt_i32 s17, 25
	s_mov_b64 s[8:9], 0
	s_cbranch_scc0 .LBB481_1409
; %bb.1402:
	s_cmp_gt_i32 s17, 28
	s_cbranch_scc0 .LBB481_1410
; %bb.1403:
	s_cmp_gt_i32 s17, 43
	;; [unrolled: 3-line block ×3, first 2 shown]
	s_cbranch_scc0 .LBB481_1413
; %bb.1405:
	s_cmp_eq_u32 s17, 46
	s_mov_b64 s[12:13], 0
	s_cbranch_scc0 .LBB481_1414
; %bb.1406:
	global_load_dword v5, v[10:11], off
	s_mov_b64 s[0:1], 0
	s_mov_b64 s[10:11], -1
	s_waitcnt vmcnt(0)
	v_lshlrev_b32_e32 v5, 16, v5
	v_cvt_f16_f32_e32 v12, v5
	s_branch .LBB481_1415
.LBB481_1407:
	s_mov_b64 s[10:11], 0
                                        ; implicit-def: $vgpr12
	s_cbranch_execnz .LBB481_1481
.LBB481_1408:
	s_andn2_b64 vcc, exec, s[10:11]
	s_cbranch_vccnz .LBB481_2092
	s_branch .LBB481_1529
.LBB481_1409:
	s_mov_b64 s[12:13], -1
	s_mov_b64 s[10:11], 0
	s_mov_b64 s[0:1], 0
                                        ; implicit-def: $vgpr12
	s_branch .LBB481_1444
.LBB481_1410:
	s_mov_b64 s[12:13], -1
	s_mov_b64 s[10:11], 0
	s_mov_b64 s[0:1], 0
                                        ; implicit-def: $vgpr12
	s_branch .LBB481_1425
.LBB481_1411:
	s_mov_b64 s[12:13], -1
	s_mov_b64 s[10:11], 0
	s_mov_b64 s[0:1], 0
                                        ; implicit-def: $vgpr12
	s_branch .LBB481_1420
.LBB481_1412:
	s_trap 2
	s_or_b64 s[2:3], s[2:3], exec
	s_cbranch_execz .LBB481_1351
	s_branch .LBB481_1352
.LBB481_1413:
	s_mov_b64 s[12:13], -1
	s_mov_b64 s[10:11], 0
	s_mov_b64 s[0:1], 0
                                        ; implicit-def: $vgpr12
	s_branch .LBB481_1415
.LBB481_1414:
	s_mov_b64 s[0:1], -1
                                        ; implicit-def: $vgpr12
	s_mov_b64 s[10:11], 0
.LBB481_1415:
	s_and_b64 vcc, exec, s[12:13]
	s_cbranch_vccz .LBB481_1419
; %bb.1416:
	s_cmp_eq_u32 s17, 44
	s_cbranch_scc0 .LBB481_1418
; %bb.1417:
	global_load_ubyte v5, v[10:11], off
	s_movk_i32 s10, 0xff
	v_mov_b32_e32 v9, 0x7e00
	s_mov_b64 s[0:1], 0
	s_waitcnt vmcnt(0)
	v_lshlrev_b32_e32 v7, 23, v5
	v_cvt_f16_f32_e32 v7, v7
	v_cmp_ne_u32_e32 vcc, s10, v5
	s_mov_b64 s[10:11], -1
	s_nop 0
	v_cndmask_b32_e32 v7, v9, v7, vcc
	v_cmp_ne_u32_e32 vcc, 0, v5
	s_nop 1
	v_cndmask_b32_e32 v12, 0, v7, vcc
	s_branch .LBB481_1419
.LBB481_1418:
	s_mov_b64 s[0:1], -1
                                        ; implicit-def: $vgpr12
.LBB481_1419:
	s_mov_b64 s[12:13], 0
.LBB481_1420:
	s_and_b64 vcc, exec, s[12:13]
	s_cbranch_vccz .LBB481_1424
; %bb.1421:
	s_cmp_eq_u32 s17, 29
	s_cbranch_scc0 .LBB481_1423
; %bb.1422:
	global_load_dwordx2 v[12:13], v[10:11], off
	s_mov_b64 s[0:1], 0
	s_mov_b64 s[10:11], -1
	s_mov_b64 s[12:13], 0
	s_waitcnt vmcnt(0)
	v_ffbh_u32_e32 v5, v13
	v_min_u32_e32 v5, 32, v5
	v_lshlrev_b64 v[12:13], v5, v[12:13]
	v_min_u32_e32 v7, 1, v12
	v_or_b32_e32 v7, v13, v7
	v_cvt_f32_u32_e32 v7, v7
	v_sub_u32_e32 v5, 32, v5
	v_ldexp_f32 v5, v7, v5
	v_cvt_f16_f32_e32 v12, v5
	s_branch .LBB481_1425
.LBB481_1423:
	s_mov_b64 s[0:1], -1
                                        ; implicit-def: $vgpr12
.LBB481_1424:
	s_mov_b64 s[12:13], 0
.LBB481_1425:
	s_and_b64 vcc, exec, s[12:13]
	s_cbranch_vccz .LBB481_1443
; %bb.1426:
	s_cmp_lt_i32 s17, 27
	s_cbranch_scc1 .LBB481_1429
; %bb.1427:
	s_cmp_gt_i32 s17, 27
	s_cbranch_scc0 .LBB481_1430
; %bb.1428:
	global_load_dword v5, v[10:11], off
	s_mov_b64 s[10:11], 0
	s_waitcnt vmcnt(0)
	v_cvt_f32_u32_e32 v5, v5
	v_cvt_f16_f32_e32 v12, v5
	s_branch .LBB481_1431
.LBB481_1429:
	s_mov_b64 s[10:11], -1
                                        ; implicit-def: $vgpr12
	s_branch .LBB481_1434
.LBB481_1430:
	s_mov_b64 s[10:11], -1
                                        ; implicit-def: $vgpr12
.LBB481_1431:
	s_andn2_b64 vcc, exec, s[10:11]
	s_cbranch_vccnz .LBB481_1433
; %bb.1432:
	global_load_ushort v5, v[10:11], off
	s_waitcnt vmcnt(0)
	v_cvt_f16_u16_e32 v12, v5
.LBB481_1433:
	s_mov_b64 s[10:11], 0
.LBB481_1434:
	s_andn2_b64 vcc, exec, s[10:11]
	s_cbranch_vccnz .LBB481_1442
; %bb.1435:
	global_load_ubyte v5, v[10:11], off
	s_movk_i32 s10, 0x7f
	s_waitcnt vmcnt(0)
	v_cmp_lt_i16_e32 vcc, s10, v5
	s_mov_b64 s[10:11], 0
	s_and_saveexec_b64 s[12:13], vcc
	s_xor_b64 s[12:13], exec, s[12:13]
	s_cbranch_execz .LBB481_1456
; %bb.1436:
	s_movk_i32 s10, 0x80
	v_cmp_eq_u16_e32 vcc, s10, v5
	s_mov_b64 s[10:11], -1
	s_and_saveexec_b64 s[14:15], vcc
; %bb.1437:
	s_xor_b64 s[10:11], exec, -1
; %bb.1438:
	s_or_b64 exec, exec, s[14:15]
	s_and_b64 s[10:11], s[10:11], exec
	s_or_saveexec_b64 s[12:13], s[12:13]
	v_mov_b32_e32 v12, 0x7e00
	s_xor_b64 exec, exec, s[12:13]
	s_cbranch_execnz .LBB481_1457
.LBB481_1439:
	s_or_b64 exec, exec, s[12:13]
	s_and_saveexec_b64 s[12:13], s[10:11]
	s_cbranch_execz .LBB481_1441
.LBB481_1440:
	v_lshlrev_b32_e32 v7, 24, v5
	v_and_b32_e32 v5, 0xffff, v5
	v_and_b32_e32 v9, 7, v5
	v_ffbh_u32_e32 v13, v9
	v_min_u32_e32 v13, 32, v13
	v_subrev_u32_e32 v14, 28, v13
	v_bfe_u32 v12, v5, 3, 4
	v_lshlrev_b32_e32 v5, v14, v5
	v_sub_u32_e32 v13, 29, v13
	v_and_b32_e32 v5, 7, v5
	v_cmp_eq_u32_e32 vcc, 0, v12
	v_and_b32_e32 v7, 0x80000000, v7
	s_nop 0
	v_cndmask_b32_e32 v12, v12, v13, vcc
	v_cndmask_b32_e32 v5, v9, v5, vcc
	v_mov_b32_e32 v9, 0x3b800000
	v_lshlrev_b32_e32 v5, 20, v5
	v_lshl_add_u32 v9, v12, 23, v9
	v_or3_b32 v5, v7, v9, v5
	v_cvt_f16_f32_e32 v12, v5
.LBB481_1441:
	s_or_b64 exec, exec, s[12:13]
.LBB481_1442:
	s_mov_b64 s[10:11], -1
.LBB481_1443:
	s_mov_b64 s[12:13], 0
.LBB481_1444:
	s_and_b64 vcc, exec, s[12:13]
	s_cbranch_vccz .LBB481_1477
; %bb.1445:
	s_cmp_gt_i32 s17, 22
	s_cbranch_scc0 .LBB481_1455
; %bb.1446:
	s_cmp_lt_i32 s17, 24
	s_cbranch_scc1 .LBB481_1458
; %bb.1447:
	s_cmp_gt_i32 s17, 24
	s_cbranch_scc0 .LBB481_1459
; %bb.1448:
	global_load_ubyte v5, v[10:11], off
	s_movk_i32 s8, 0x7f
	s_waitcnt vmcnt(0)
	v_cmp_lt_i16_e32 vcc, s8, v5
	s_mov_b64 s[8:9], 0
	s_and_saveexec_b64 s[10:11], vcc
	s_xor_b64 s[10:11], exec, s[10:11]
	s_cbranch_execz .LBB481_1471
; %bb.1449:
	s_movk_i32 s8, 0x80
	v_cmp_eq_u16_e32 vcc, s8, v5
	s_mov_b64 s[8:9], -1
	s_and_saveexec_b64 s[12:13], vcc
; %bb.1450:
	s_xor_b64 s[8:9], exec, -1
; %bb.1451:
	s_or_b64 exec, exec, s[12:13]
	s_and_b64 s[8:9], s[8:9], exec
	s_or_saveexec_b64 s[10:11], s[10:11]
	v_mov_b32_e32 v12, 0x7e00
	s_xor_b64 exec, exec, s[10:11]
	s_cbranch_execnz .LBB481_1472
.LBB481_1452:
	s_or_b64 exec, exec, s[10:11]
	s_and_saveexec_b64 s[10:11], s[8:9]
	s_cbranch_execz .LBB481_1454
.LBB481_1453:
	v_lshlrev_b32_e32 v7, 24, v5
	v_and_b32_e32 v5, 0xffff, v5
	v_and_b32_e32 v9, 3, v5
	v_ffbh_u32_e32 v13, v9
	v_min_u32_e32 v13, 32, v13
	v_subrev_u32_e32 v14, 29, v13
	v_bfe_u32 v12, v5, 2, 5
	v_lshlrev_b32_e32 v5, v14, v5
	v_sub_u32_e32 v13, 30, v13
	v_and_b32_e32 v5, 3, v5
	v_cmp_eq_u32_e32 vcc, 0, v12
	v_and_b32_e32 v7, 0x80000000, v7
	s_nop 0
	v_cndmask_b32_e32 v12, v12, v13, vcc
	v_cndmask_b32_e32 v5, v9, v5, vcc
	v_mov_b32_e32 v9, 0x37800000
	v_lshlrev_b32_e32 v5, 21, v5
	v_lshl_add_u32 v9, v12, 23, v9
	v_or3_b32 v5, v7, v9, v5
	v_cvt_f16_f32_e32 v12, v5
.LBB481_1454:
	s_or_b64 exec, exec, s[10:11]
	s_mov_b64 s[8:9], 0
	s_branch .LBB481_1460
.LBB481_1455:
	s_mov_b64 s[8:9], -1
                                        ; implicit-def: $vgpr12
	s_branch .LBB481_1466
.LBB481_1456:
	s_or_saveexec_b64 s[12:13], s[12:13]
	v_mov_b32_e32 v12, 0x7e00
	s_xor_b64 exec, exec, s[12:13]
	s_cbranch_execz .LBB481_1439
.LBB481_1457:
	v_cmp_ne_u16_e32 vcc, 0, v5
	s_andn2_b64 s[10:11], s[10:11], exec
	s_and_b64 s[14:15], vcc, exec
	s_or_b64 s[10:11], s[10:11], s[14:15]
	v_mov_b32_e32 v12, v5
	s_or_b64 exec, exec, s[12:13]
	s_and_saveexec_b64 s[12:13], s[10:11]
	s_cbranch_execnz .LBB481_1440
	s_branch .LBB481_1441
.LBB481_1458:
	s_mov_b64 s[8:9], -1
                                        ; implicit-def: $vgpr12
	s_branch .LBB481_1463
.LBB481_1459:
	s_mov_b64 s[8:9], -1
                                        ; implicit-def: $vgpr12
.LBB481_1460:
	s_and_b64 vcc, exec, s[8:9]
	s_cbranch_vccz .LBB481_1462
; %bb.1461:
	global_load_ubyte v5, v[10:11], off
	s_mov_b32 s8, 0x7f800000
	s_waitcnt vmcnt(0)
	v_lshlrev_b32_e32 v5, 24, v5
	v_and_b32_e32 v7, 0x7f000000, v5
	v_ffbh_u32_e32 v9, v7
	v_min_u32_e32 v9, 32, v9
	v_sub_u32_e64 v9, v9, 4 clamp
	v_lshlrev_b32_e32 v13, v9, v7
	v_lshlrev_b32_e32 v9, 23, v9
	v_lshrrev_b32_e32 v13, 4, v13
	v_add_u32_e32 v12, 0x1000000, v7
	v_sub_u32_e32 v9, v13, v9
	v_ashrrev_i32_e32 v12, 8, v12
	v_add_u32_e32 v9, 0x3c000000, v9
	v_and_or_b32 v9, v12, s8, v9
	v_cmp_ne_u32_e32 vcc, 0, v7
	s_brev_b32 s8, 1
	s_nop 0
	v_cndmask_b32_e32 v7, 0, v9, vcc
	v_and_or_b32 v5, v5, s8, v7
	v_cvt_f16_f32_e32 v12, v5
.LBB481_1462:
	s_mov_b64 s[8:9], 0
.LBB481_1463:
	s_andn2_b64 vcc, exec, s[8:9]
	s_cbranch_vccnz .LBB481_1465
; %bb.1464:
	global_load_ubyte v5, v[10:11], off
	s_movk_i32 s8, 0x7f00
	s_brev_b32 s9, 16
	s_waitcnt vmcnt(0)
	v_lshlrev_b16_e32 v7, 8, v5
	v_lshlrev_b32_e32 v5, 25, v5
	v_lshrrev_b32_e32 v9, 4, v5
	v_and_or_b32 v12, v7, s8, 0.5
	v_or_b32_e32 v9, 0x70000000, v9
	v_add_f32_e32 v12, -0.5, v12
	v_mul_f32_e32 v9, 0x7800000, v9
	v_cmp_gt_u32_e32 vcc, s9, v5
	v_bfe_i32 v7, v7, 0, 16
	s_brev_b32 s8, 1
	v_cndmask_b32_e32 v5, v9, v12, vcc
	v_and_or_b32 v5, v7, s8, v5
	v_cvt_f16_f32_e32 v12, v5
.LBB481_1465:
	s_mov_b64 s[8:9], 0
	s_mov_b64 s[10:11], -1
.LBB481_1466:
	s_andn2_b64 vcc, exec, s[8:9]
	s_mov_b64 s[8:9], 0
	s_cbranch_vccnz .LBB481_1477
; %bb.1467:
	s_cmp_gt_i32 s17, 14
	s_cbranch_scc0 .LBB481_1470
; %bb.1468:
	s_cmp_eq_u32 s17, 15
	s_cbranch_scc0 .LBB481_1473
; %bb.1469:
	global_load_ushort v5, v[10:11], off
	s_mov_b64 s[0:1], 0
	s_mov_b64 s[10:11], -1
	s_waitcnt vmcnt(0)
	v_lshlrev_b32_e32 v5, 16, v5
	v_cvt_f16_f32_e32 v12, v5
	s_branch .LBB481_1474
.LBB481_1470:
	s_mov_b64 s[12:13], -1
                                        ; implicit-def: $vgpr12
	s_branch .LBB481_1475
.LBB481_1471:
	s_or_saveexec_b64 s[10:11], s[10:11]
	v_mov_b32_e32 v12, 0x7e00
	s_xor_b64 exec, exec, s[10:11]
	s_cbranch_execz .LBB481_1452
.LBB481_1472:
	v_cmp_ne_u16_e32 vcc, 0, v5
	s_andn2_b64 s[8:9], s[8:9], exec
	s_and_b64 s[12:13], vcc, exec
	s_or_b64 s[8:9], s[8:9], s[12:13]
	v_mov_b32_e32 v12, v5
	s_or_b64 exec, exec, s[10:11]
	s_and_saveexec_b64 s[10:11], s[8:9]
	s_cbranch_execnz .LBB481_1453
	s_branch .LBB481_1454
.LBB481_1473:
	s_mov_b64 s[0:1], -1
                                        ; implicit-def: $vgpr12
.LBB481_1474:
	s_mov_b64 s[12:13], 0
.LBB481_1475:
	s_and_b64 vcc, exec, s[12:13]
	s_cbranch_vccz .LBB481_1477
; %bb.1476:
	s_cmp_lg_u32 s17, 11
	s_mov_b64 s[8:9], -1
	s_cselect_b64 s[0:1], -1, 0
.LBB481_1477:
	s_and_b64 vcc, exec, s[0:1]
	s_cbranch_vccnz .LBB481_1540
; %bb.1478:
	s_andn2_b64 vcc, exec, s[8:9]
	s_cbranch_vccnz .LBB481_1480
.LBB481_1479:
	global_load_ubyte v5, v[10:11], off
	v_mov_b32_e32 v7, 0x3c00
	s_mov_b64 s[10:11], -1
	s_waitcnt vmcnt(0)
	v_cmp_ne_u16_e32 vcc, 0, v5
	s_nop 1
	v_cndmask_b32_e32 v12, 0, v7, vcc
.LBB481_1480:
	s_branch .LBB481_1408
.LBB481_1481:
	s_cmp_lt_i32 s17, 5
	s_cbranch_scc1 .LBB481_1486
; %bb.1482:
	s_cmp_lt_i32 s17, 8
	s_cbranch_scc1 .LBB481_1487
; %bb.1483:
	;; [unrolled: 3-line block ×3, first 2 shown]
	s_cmp_gt_i32 s17, 9
	s_cbranch_scc0 .LBB481_1489
; %bb.1485:
	global_load_dwordx2 v[12:13], v[10:11], off
	s_movk_i32 s0, 0x1ff
	s_movk_i32 s1, 0xffe
	v_mov_b32_e32 v5, 0x7c00
	v_mov_b32_e32 v7, 0x7e00
	s_movk_i32 s8, 0x40f
	s_mov_b32 s9, 0x8000
	s_waitcnt vmcnt(0)
	v_and_or_b32 v9, v13, s0, v12
	v_cmp_ne_u32_e32 vcc, 0, v9
	v_lshrrev_b32_e32 v12, 8, v13
	v_bfe_u32 v14, v13, 20, 11
	v_cndmask_b32_e64 v9, 0, 1, vcc
	v_sub_u32_e32 v15, 0x3f1, v14
	v_and_or_b32 v9, v12, s1, v9
	v_add_u32_e32 v14, 0xfffffc10, v14
	v_med3_i32 v12, v15, 0, 13
	v_or_b32_e32 v15, 0x1000, v9
	v_lshl_or_b32 v16, v14, 12, v9
	v_cmp_ne_u32_e32 vcc, 0, v9
	v_lshrrev_b32_e32 v9, v12, v15
	v_lshlrev_b32_e32 v12, v12, v9
	v_cndmask_b32_e32 v7, v5, v7, vcc
	v_cmp_ne_u32_e32 vcc, v12, v15
	v_lshrrev_b32_e32 v13, 16, v13
	s_mov_b64 s[0:1], 0
	v_cndmask_b32_e64 v12, 0, 1, vcc
	v_or_b32_e32 v9, v9, v12
	v_cmp_gt_i32_e32 vcc, 1, v14
	s_nop 1
	v_cndmask_b32_e32 v9, v16, v9, vcc
	v_and_b32_e32 v12, 7, v9
	v_cmp_lt_i32_e32 vcc, 5, v12
	v_lshrrev_b32_e32 v9, 2, v9
	s_nop 0
	v_cndmask_b32_e64 v15, 0, 1, vcc
	v_cmp_eq_u32_e32 vcc, 3, v12
	s_nop 1
	v_cndmask_b32_e64 v12, 0, 1, vcc
	v_or_b32_e32 v12, v12, v15
	v_add_u32_e32 v9, v9, v12
	v_cmp_gt_i32_e32 vcc, 31, v14
	s_nop 1
	v_cndmask_b32_e32 v5, v5, v9, vcc
	v_cmp_eq_u32_e32 vcc, s8, v14
	s_nop 1
	v_cndmask_b32_e32 v5, v5, v7, vcc
	v_and_or_b32 v12, v13, s9, v5
	s_branch .LBB481_1490
.LBB481_1486:
	s_mov_b64 s[0:1], -1
                                        ; implicit-def: $vgpr12
	s_branch .LBB481_1508
.LBB481_1487:
	s_mov_b64 s[0:1], -1
                                        ; implicit-def: $vgpr12
	s_branch .LBB481_1496
.LBB481_1488:
	s_mov_b64 s[0:1], -1
                                        ; implicit-def: $vgpr12
	s_branch .LBB481_1493
.LBB481_1489:
	s_mov_b64 s[0:1], -1
                                        ; implicit-def: $vgpr12
.LBB481_1490:
	s_andn2_b64 vcc, exec, s[0:1]
	s_cbranch_vccnz .LBB481_1492
; %bb.1491:
	global_load_dword v5, v[10:11], off
	s_waitcnt vmcnt(0)
	v_cvt_f16_f32_e32 v12, v5
.LBB481_1492:
	s_mov_b64 s[0:1], 0
.LBB481_1493:
	s_andn2_b64 vcc, exec, s[0:1]
	s_cbranch_vccnz .LBB481_1495
; %bb.1494:
	global_load_dword v12, v[10:11], off
.LBB481_1495:
	s_mov_b64 s[0:1], 0
.LBB481_1496:
	s_andn2_b64 vcc, exec, s[0:1]
	s_cbranch_vccnz .LBB481_1507
; %bb.1497:
	s_cmp_lt_i32 s17, 6
	s_cbranch_scc1 .LBB481_1500
; %bb.1498:
	s_cmp_gt_i32 s17, 6
	s_cbranch_scc0 .LBB481_1501
; %bb.1499:
	global_load_dwordx2 v[12:13], v[10:11], off
	s_movk_i32 s0, 0x1ff
	s_movk_i32 s1, 0xffe
	v_mov_b32_e32 v5, 0x7c00
	v_mov_b32_e32 v7, 0x7e00
	s_movk_i32 s8, 0x40f
	s_mov_b32 s9, 0x8000
	s_waitcnt vmcnt(0)
	v_and_or_b32 v9, v13, s0, v12
	v_cmp_ne_u32_e32 vcc, 0, v9
	v_lshrrev_b32_e32 v12, 8, v13
	v_bfe_u32 v14, v13, 20, 11
	v_cndmask_b32_e64 v9, 0, 1, vcc
	v_sub_u32_e32 v15, 0x3f1, v14
	v_and_or_b32 v9, v12, s1, v9
	v_add_u32_e32 v14, 0xfffffc10, v14
	v_med3_i32 v12, v15, 0, 13
	v_or_b32_e32 v15, 0x1000, v9
	v_lshl_or_b32 v16, v14, 12, v9
	v_cmp_ne_u32_e32 vcc, 0, v9
	v_lshrrev_b32_e32 v9, v12, v15
	v_lshlrev_b32_e32 v12, v12, v9
	v_cndmask_b32_e32 v7, v5, v7, vcc
	v_cmp_ne_u32_e32 vcc, v12, v15
	v_lshrrev_b32_e32 v13, 16, v13
	s_mov_b64 s[0:1], 0
	v_cndmask_b32_e64 v12, 0, 1, vcc
	v_or_b32_e32 v9, v9, v12
	v_cmp_gt_i32_e32 vcc, 1, v14
	s_nop 1
	v_cndmask_b32_e32 v9, v16, v9, vcc
	v_and_b32_e32 v12, 7, v9
	v_cmp_lt_i32_e32 vcc, 5, v12
	v_lshrrev_b32_e32 v9, 2, v9
	s_nop 0
	v_cndmask_b32_e64 v15, 0, 1, vcc
	v_cmp_eq_u32_e32 vcc, 3, v12
	s_nop 1
	v_cndmask_b32_e64 v12, 0, 1, vcc
	v_or_b32_e32 v12, v12, v15
	v_add_u32_e32 v9, v9, v12
	v_cmp_gt_i32_e32 vcc, 31, v14
	s_nop 1
	v_cndmask_b32_e32 v5, v5, v9, vcc
	v_cmp_eq_u32_e32 vcc, s8, v14
	s_nop 1
	v_cndmask_b32_e32 v5, v5, v7, vcc
	v_and_or_b32 v12, v13, s9, v5
	s_branch .LBB481_1502
.LBB481_1500:
	s_mov_b64 s[0:1], -1
                                        ; implicit-def: $vgpr12
	s_branch .LBB481_1505
.LBB481_1501:
	s_mov_b64 s[0:1], -1
                                        ; implicit-def: $vgpr12
.LBB481_1502:
	s_andn2_b64 vcc, exec, s[0:1]
	s_cbranch_vccnz .LBB481_1504
; %bb.1503:
	global_load_dword v5, v[10:11], off
	s_waitcnt vmcnt(0)
	v_cvt_f16_f32_e32 v12, v5
.LBB481_1504:
	s_mov_b64 s[0:1], 0
.LBB481_1505:
	s_andn2_b64 vcc, exec, s[0:1]
	s_cbranch_vccnz .LBB481_1507
; %bb.1506:
	global_load_ushort v12, v[10:11], off
.LBB481_1507:
	s_mov_b64 s[0:1], 0
.LBB481_1508:
	s_andn2_b64 vcc, exec, s[0:1]
	s_cbranch_vccnz .LBB481_1528
; %bb.1509:
	s_cmp_lt_i32 s17, 2
	s_cbranch_scc1 .LBB481_1513
; %bb.1510:
	s_cmp_lt_i32 s17, 3
	s_cbranch_scc1 .LBB481_1514
; %bb.1511:
	s_cmp_gt_i32 s17, 3
	s_cbranch_scc0 .LBB481_1515
; %bb.1512:
	global_load_dwordx2 v[12:13], v[10:11], off
	s_mov_b64 s[0:1], 0
	s_waitcnt vmcnt(0)
	v_xor_b32_e32 v7, v12, v13
	v_ffbh_i32_e32 v5, v13
	v_ashrrev_i32_e32 v7, 31, v7
	v_add_u32_e32 v5, -1, v5
	v_add_u32_e32 v7, 32, v7
	v_min_u32_e32 v5, v5, v7
	v_lshlrev_b64 v[12:13], v5, v[12:13]
	v_min_u32_e32 v7, 1, v12
	v_or_b32_e32 v7, v13, v7
	v_cvt_f32_i32_e32 v7, v7
	v_sub_u32_e32 v5, 32, v5
	v_ldexp_f32 v5, v7, v5
	v_cvt_f16_f32_e32 v12, v5
	s_branch .LBB481_1516
.LBB481_1513:
	s_mov_b64 s[0:1], -1
                                        ; implicit-def: $vgpr12
	s_branch .LBB481_1522
.LBB481_1514:
	s_mov_b64 s[0:1], -1
                                        ; implicit-def: $vgpr12
	s_branch .LBB481_1519
.LBB481_1515:
	s_mov_b64 s[0:1], -1
                                        ; implicit-def: $vgpr12
.LBB481_1516:
	s_andn2_b64 vcc, exec, s[0:1]
	s_cbranch_vccnz .LBB481_1518
; %bb.1517:
	global_load_dword v5, v[10:11], off
	s_waitcnt vmcnt(0)
	v_cvt_f32_i32_e32 v5, v5
	v_cvt_f16_f32_e32 v12, v5
.LBB481_1518:
	s_mov_b64 s[0:1], 0
.LBB481_1519:
	s_andn2_b64 vcc, exec, s[0:1]
	s_cbranch_vccnz .LBB481_1521
; %bb.1520:
	global_load_ushort v5, v[10:11], off
	s_waitcnt vmcnt(0)
	v_cvt_f16_i16_e32 v12, v5
.LBB481_1521:
	s_mov_b64 s[0:1], 0
.LBB481_1522:
	s_andn2_b64 vcc, exec, s[0:1]
	s_cbranch_vccnz .LBB481_1528
; %bb.1523:
	s_cmp_gt_i32 s17, 0
	s_cbranch_scc0 .LBB481_1525
; %bb.1524:
	global_load_sbyte v5, v[10:11], off
	s_mov_b64 s[0:1], 0
	s_waitcnt vmcnt(0)
	v_cvt_f16_i16_e32 v12, v5
	s_branch .LBB481_1526
.LBB481_1525:
	s_mov_b64 s[0:1], -1
                                        ; implicit-def: $vgpr12
.LBB481_1526:
	s_andn2_b64 vcc, exec, s[0:1]
	s_cbranch_vccnz .LBB481_1528
; %bb.1527:
	global_load_ubyte v5, v[10:11], off
	s_waitcnt vmcnt(0)
	v_cvt_f16_u16_e32 v12, v5
.LBB481_1528:
.LBB481_1529:
	v_mov_b32_e32 v9, 0
	s_cmp_lt_i32 s17, 11
	v_lshl_add_u64 v[8:9], s[6:7], 0, v[8:9]
	s_cbranch_scc1 .LBB481_1536
; %bb.1530:
	s_cmp_gt_i32 s17, 25
	s_mov_b64 s[6:7], 0
	s_cbranch_scc0 .LBB481_1537
; %bb.1531:
	s_cmp_gt_i32 s17, 28
	s_cbranch_scc0 .LBB481_1538
; %bb.1532:
	s_cmp_gt_i32 s17, 43
	;; [unrolled: 3-line block ×3, first 2 shown]
	s_cbranch_scc0 .LBB481_1541
; %bb.1534:
	s_cmp_eq_u32 s17, 46
	s_mov_b64 s[10:11], 0
	s_cbranch_scc0 .LBB481_1542
; %bb.1535:
	global_load_dword v5, v[8:9], off
	s_mov_b64 s[0:1], 0
	s_mov_b64 s[8:9], -1
	s_waitcnt vmcnt(0)
	v_lshlrev_b32_e32 v5, 16, v5
	v_cvt_f16_f32_e32 v10, v5
	s_branch .LBB481_1543
.LBB481_1536:
	s_mov_b64 s[0:1], -1
	s_mov_b64 s[8:9], 0
                                        ; implicit-def: $vgpr10
	s_branch .LBB481_1609
.LBB481_1537:
	s_mov_b64 s[10:11], -1
	s_mov_b64 s[8:9], 0
	s_mov_b64 s[0:1], 0
                                        ; implicit-def: $vgpr10
	s_branch .LBB481_1572
.LBB481_1538:
	s_mov_b64 s[10:11], -1
	s_mov_b64 s[8:9], 0
	s_mov_b64 s[0:1], 0
                                        ; implicit-def: $vgpr10
	s_branch .LBB481_1553
.LBB481_1539:
	s_mov_b64 s[10:11], -1
	s_mov_b64 s[8:9], 0
	s_mov_b64 s[0:1], 0
                                        ; implicit-def: $vgpr10
	s_branch .LBB481_1548
.LBB481_1540:
	s_trap 2
	s_or_b64 s[2:3], s[2:3], exec
	s_cbranch_execz .LBB481_1479
	s_branch .LBB481_1480
.LBB481_1541:
	s_mov_b64 s[10:11], -1
	s_mov_b64 s[8:9], 0
	s_mov_b64 s[0:1], 0
                                        ; implicit-def: $vgpr10
	s_branch .LBB481_1543
.LBB481_1542:
	s_mov_b64 s[0:1], -1
                                        ; implicit-def: $vgpr10
	s_mov_b64 s[8:9], 0
.LBB481_1543:
	s_and_b64 vcc, exec, s[10:11]
	s_cbranch_vccz .LBB481_1547
; %bb.1544:
	s_cmp_eq_u32 s17, 44
	s_cbranch_scc0 .LBB481_1546
; %bb.1545:
	global_load_ubyte v5, v[8:9], off
	s_movk_i32 s8, 0xff
	v_mov_b32_e32 v10, 0x7e00
	s_mov_b64 s[0:1], 0
	s_waitcnt vmcnt(0)
	v_lshlrev_b32_e32 v7, 23, v5
	v_cvt_f16_f32_e32 v7, v7
	v_cmp_ne_u32_e32 vcc, s8, v5
	s_mov_b64 s[8:9], -1
	s_nop 0
	v_cndmask_b32_e32 v7, v10, v7, vcc
	v_cmp_ne_u32_e32 vcc, 0, v5
	s_nop 1
	v_cndmask_b32_e32 v10, 0, v7, vcc
	s_branch .LBB481_1547
.LBB481_1546:
	s_mov_b64 s[0:1], -1
                                        ; implicit-def: $vgpr10
.LBB481_1547:
	s_mov_b64 s[10:11], 0
.LBB481_1548:
	s_and_b64 vcc, exec, s[10:11]
	s_cbranch_vccz .LBB481_1552
; %bb.1549:
	s_cmp_eq_u32 s17, 29
	s_cbranch_scc0 .LBB481_1551
; %bb.1550:
	global_load_dwordx2 v[10:11], v[8:9], off
	s_mov_b64 s[0:1], 0
	s_mov_b64 s[8:9], -1
	s_mov_b64 s[10:11], 0
	s_waitcnt vmcnt(0)
	v_ffbh_u32_e32 v5, v11
	v_min_u32_e32 v5, 32, v5
	v_lshlrev_b64 v[10:11], v5, v[10:11]
	v_min_u32_e32 v7, 1, v10
	v_or_b32_e32 v7, v11, v7
	v_cvt_f32_u32_e32 v7, v7
	v_sub_u32_e32 v5, 32, v5
	v_ldexp_f32 v5, v7, v5
	v_cvt_f16_f32_e32 v10, v5
	s_branch .LBB481_1553
.LBB481_1551:
	s_mov_b64 s[0:1], -1
                                        ; implicit-def: $vgpr10
.LBB481_1552:
	s_mov_b64 s[10:11], 0
.LBB481_1553:
	s_and_b64 vcc, exec, s[10:11]
	s_cbranch_vccz .LBB481_1571
; %bb.1554:
	s_cmp_lt_i32 s17, 27
	s_cbranch_scc1 .LBB481_1557
; %bb.1555:
	s_cmp_gt_i32 s17, 27
	s_cbranch_scc0 .LBB481_1558
; %bb.1556:
	global_load_dword v5, v[8:9], off
	s_mov_b64 s[8:9], 0
	s_waitcnt vmcnt(0)
	v_cvt_f32_u32_e32 v5, v5
	v_cvt_f16_f32_e32 v10, v5
	s_branch .LBB481_1559
.LBB481_1557:
	s_mov_b64 s[8:9], -1
                                        ; implicit-def: $vgpr10
	s_branch .LBB481_1562
.LBB481_1558:
	s_mov_b64 s[8:9], -1
                                        ; implicit-def: $vgpr10
.LBB481_1559:
	s_andn2_b64 vcc, exec, s[8:9]
	s_cbranch_vccnz .LBB481_1561
; %bb.1560:
	global_load_ushort v5, v[8:9], off
	s_waitcnt vmcnt(0)
	v_cvt_f16_u16_e32 v10, v5
.LBB481_1561:
	s_mov_b64 s[8:9], 0
.LBB481_1562:
	s_andn2_b64 vcc, exec, s[8:9]
	s_cbranch_vccnz .LBB481_1570
; %bb.1563:
	global_load_ubyte v5, v[8:9], off
	s_movk_i32 s8, 0x7f
	s_waitcnt vmcnt(0)
	v_cmp_lt_i16_e32 vcc, s8, v5
	s_mov_b64 s[8:9], 0
	s_and_saveexec_b64 s[10:11], vcc
	s_xor_b64 s[10:11], exec, s[10:11]
	s_cbranch_execz .LBB481_1584
; %bb.1564:
	s_movk_i32 s8, 0x80
	v_cmp_eq_u16_e32 vcc, s8, v5
	s_mov_b64 s[8:9], -1
	s_and_saveexec_b64 s[12:13], vcc
; %bb.1565:
	s_xor_b64 s[8:9], exec, -1
; %bb.1566:
	s_or_b64 exec, exec, s[12:13]
	s_and_b64 s[8:9], s[8:9], exec
	s_or_saveexec_b64 s[10:11], s[10:11]
	v_mov_b32_e32 v10, 0x7e00
	s_xor_b64 exec, exec, s[10:11]
	s_cbranch_execnz .LBB481_1585
.LBB481_1567:
	s_or_b64 exec, exec, s[10:11]
	s_and_saveexec_b64 s[10:11], s[8:9]
	s_cbranch_execz .LBB481_1569
.LBB481_1568:
	v_lshlrev_b32_e32 v7, 24, v5
	v_and_b32_e32 v5, 0xffff, v5
	v_and_b32_e32 v10, 7, v5
	v_ffbh_u32_e32 v13, v10
	v_min_u32_e32 v13, 32, v13
	v_subrev_u32_e32 v14, 28, v13
	v_bfe_u32 v11, v5, 3, 4
	v_lshlrev_b32_e32 v5, v14, v5
	v_sub_u32_e32 v13, 29, v13
	v_and_b32_e32 v5, 7, v5
	v_cmp_eq_u32_e32 vcc, 0, v11
	v_and_b32_e32 v7, 0x80000000, v7
	s_nop 0
	v_cndmask_b32_e32 v11, v11, v13, vcc
	v_cndmask_b32_e32 v5, v10, v5, vcc
	v_mov_b32_e32 v10, 0x3b800000
	v_lshlrev_b32_e32 v5, 20, v5
	v_lshl_add_u32 v10, v11, 23, v10
	v_or3_b32 v5, v7, v10, v5
	v_cvt_f16_f32_e32 v10, v5
.LBB481_1569:
	s_or_b64 exec, exec, s[10:11]
.LBB481_1570:
	s_mov_b64 s[8:9], -1
.LBB481_1571:
	s_mov_b64 s[10:11], 0
.LBB481_1572:
	s_and_b64 vcc, exec, s[10:11]
	s_cbranch_vccz .LBB481_1605
; %bb.1573:
	s_cmp_gt_i32 s17, 22
	s_cbranch_scc0 .LBB481_1583
; %bb.1574:
	s_cmp_lt_i32 s17, 24
	s_cbranch_scc1 .LBB481_1586
; %bb.1575:
	s_cmp_gt_i32 s17, 24
	s_cbranch_scc0 .LBB481_1587
; %bb.1576:
	global_load_ubyte v5, v[8:9], off
	s_movk_i32 s6, 0x7f
	s_waitcnt vmcnt(0)
	v_cmp_lt_i16_e32 vcc, s6, v5
	s_mov_b64 s[6:7], 0
	s_and_saveexec_b64 s[8:9], vcc
	s_xor_b64 s[8:9], exec, s[8:9]
	s_cbranch_execz .LBB481_1599
; %bb.1577:
	s_movk_i32 s6, 0x80
	v_cmp_eq_u16_e32 vcc, s6, v5
	s_mov_b64 s[6:7], -1
	s_and_saveexec_b64 s[10:11], vcc
; %bb.1578:
	s_xor_b64 s[6:7], exec, -1
; %bb.1579:
	s_or_b64 exec, exec, s[10:11]
	s_and_b64 s[6:7], s[6:7], exec
	s_or_saveexec_b64 s[8:9], s[8:9]
	v_mov_b32_e32 v10, 0x7e00
	s_xor_b64 exec, exec, s[8:9]
	s_cbranch_execnz .LBB481_1600
.LBB481_1580:
	s_or_b64 exec, exec, s[8:9]
	s_and_saveexec_b64 s[8:9], s[6:7]
	s_cbranch_execz .LBB481_1582
.LBB481_1581:
	v_lshlrev_b32_e32 v7, 24, v5
	v_and_b32_e32 v5, 0xffff, v5
	v_and_b32_e32 v10, 3, v5
	v_ffbh_u32_e32 v13, v10
	v_min_u32_e32 v13, 32, v13
	v_subrev_u32_e32 v14, 29, v13
	v_bfe_u32 v11, v5, 2, 5
	v_lshlrev_b32_e32 v5, v14, v5
	v_sub_u32_e32 v13, 30, v13
	v_and_b32_e32 v5, 3, v5
	v_cmp_eq_u32_e32 vcc, 0, v11
	v_and_b32_e32 v7, 0x80000000, v7
	s_nop 0
	v_cndmask_b32_e32 v11, v11, v13, vcc
	v_cndmask_b32_e32 v5, v10, v5, vcc
	v_mov_b32_e32 v10, 0x37800000
	v_lshlrev_b32_e32 v5, 21, v5
	v_lshl_add_u32 v10, v11, 23, v10
	v_or3_b32 v5, v7, v10, v5
	v_cvt_f16_f32_e32 v10, v5
.LBB481_1582:
	s_or_b64 exec, exec, s[8:9]
	s_mov_b64 s[6:7], 0
	s_branch .LBB481_1588
.LBB481_1583:
	s_mov_b64 s[6:7], -1
                                        ; implicit-def: $vgpr10
	s_branch .LBB481_1594
.LBB481_1584:
	s_or_saveexec_b64 s[10:11], s[10:11]
	v_mov_b32_e32 v10, 0x7e00
	s_xor_b64 exec, exec, s[10:11]
	s_cbranch_execz .LBB481_1567
.LBB481_1585:
	v_cmp_ne_u16_e32 vcc, 0, v5
	s_andn2_b64 s[8:9], s[8:9], exec
	s_and_b64 s[12:13], vcc, exec
	s_or_b64 s[8:9], s[8:9], s[12:13]
	v_mov_b32_e32 v10, v5
	s_or_b64 exec, exec, s[10:11]
	s_and_saveexec_b64 s[10:11], s[8:9]
	s_cbranch_execnz .LBB481_1568
	s_branch .LBB481_1569
.LBB481_1586:
	s_mov_b64 s[6:7], -1
                                        ; implicit-def: $vgpr10
	s_branch .LBB481_1591
.LBB481_1587:
	s_mov_b64 s[6:7], -1
                                        ; implicit-def: $vgpr10
.LBB481_1588:
	s_and_b64 vcc, exec, s[6:7]
	s_cbranch_vccz .LBB481_1590
; %bb.1589:
	global_load_ubyte v5, v[8:9], off
	s_mov_b32 s6, 0x7f800000
	s_waitcnt vmcnt(0)
	v_lshlrev_b32_e32 v5, 24, v5
	v_and_b32_e32 v7, 0x7f000000, v5
	v_ffbh_u32_e32 v10, v7
	v_min_u32_e32 v10, 32, v10
	v_sub_u32_e64 v10, v10, 4 clamp
	v_lshlrev_b32_e32 v13, v10, v7
	v_lshlrev_b32_e32 v10, 23, v10
	v_lshrrev_b32_e32 v13, 4, v13
	v_add_u32_e32 v11, 0x1000000, v7
	v_sub_u32_e32 v10, v13, v10
	v_ashrrev_i32_e32 v11, 8, v11
	v_add_u32_e32 v10, 0x3c000000, v10
	v_and_or_b32 v10, v11, s6, v10
	v_cmp_ne_u32_e32 vcc, 0, v7
	s_brev_b32 s6, 1
	s_nop 0
	v_cndmask_b32_e32 v7, 0, v10, vcc
	v_and_or_b32 v5, v5, s6, v7
	v_cvt_f16_f32_e32 v10, v5
.LBB481_1590:
	s_mov_b64 s[6:7], 0
.LBB481_1591:
	s_andn2_b64 vcc, exec, s[6:7]
	s_cbranch_vccnz .LBB481_1593
; %bb.1592:
	global_load_ubyte v5, v[8:9], off
	s_movk_i32 s6, 0x7f00
	s_brev_b32 s7, 16
	s_waitcnt vmcnt(0)
	v_lshlrev_b16_e32 v7, 8, v5
	v_lshlrev_b32_e32 v5, 25, v5
	v_lshrrev_b32_e32 v10, 4, v5
	v_and_or_b32 v11, v7, s6, 0.5
	v_or_b32_e32 v10, 0x70000000, v10
	v_add_f32_e32 v11, -0.5, v11
	v_mul_f32_e32 v10, 0x7800000, v10
	v_cmp_gt_u32_e32 vcc, s7, v5
	v_bfe_i32 v7, v7, 0, 16
	s_brev_b32 s6, 1
	v_cndmask_b32_e32 v5, v10, v11, vcc
	v_and_or_b32 v5, v7, s6, v5
	v_cvt_f16_f32_e32 v10, v5
.LBB481_1593:
	s_mov_b64 s[6:7], 0
	s_mov_b64 s[8:9], -1
.LBB481_1594:
	s_andn2_b64 vcc, exec, s[6:7]
	s_mov_b64 s[6:7], 0
	s_cbranch_vccnz .LBB481_1605
; %bb.1595:
	s_cmp_gt_i32 s17, 14
	s_cbranch_scc0 .LBB481_1598
; %bb.1596:
	s_cmp_eq_u32 s17, 15
	s_cbranch_scc0 .LBB481_1601
; %bb.1597:
	global_load_ushort v5, v[8:9], off
	s_mov_b64 s[0:1], 0
	s_mov_b64 s[8:9], -1
	s_waitcnt vmcnt(0)
	v_lshlrev_b32_e32 v5, 16, v5
	v_cvt_f16_f32_e32 v10, v5
	s_branch .LBB481_1602
.LBB481_1598:
	s_mov_b64 s[10:11], -1
                                        ; implicit-def: $vgpr10
	s_branch .LBB481_1603
.LBB481_1599:
	s_or_saveexec_b64 s[8:9], s[8:9]
	v_mov_b32_e32 v10, 0x7e00
	s_xor_b64 exec, exec, s[8:9]
	s_cbranch_execz .LBB481_1580
.LBB481_1600:
	v_cmp_ne_u16_e32 vcc, 0, v5
	s_andn2_b64 s[6:7], s[6:7], exec
	s_and_b64 s[10:11], vcc, exec
	s_or_b64 s[6:7], s[6:7], s[10:11]
	v_mov_b32_e32 v10, v5
	s_or_b64 exec, exec, s[8:9]
	s_and_saveexec_b64 s[8:9], s[6:7]
	s_cbranch_execnz .LBB481_1581
	s_branch .LBB481_1582
.LBB481_1601:
	s_mov_b64 s[0:1], -1
                                        ; implicit-def: $vgpr10
.LBB481_1602:
	s_mov_b64 s[10:11], 0
.LBB481_1603:
	s_and_b64 vcc, exec, s[10:11]
	s_cbranch_vccz .LBB481_1605
; %bb.1604:
	s_cmp_lg_u32 s17, 11
	s_mov_b64 s[6:7], -1
	s_cselect_b64 s[0:1], -1, 0
.LBB481_1605:
	s_and_b64 vcc, exec, s[0:1]
	s_cbranch_vccnz .LBB481_2138
; %bb.1606:
	s_andn2_b64 vcc, exec, s[6:7]
	s_cbranch_vccnz .LBB481_1608
.LBB481_1607:
	global_load_ubyte v5, v[8:9], off
	v_mov_b32_e32 v7, 0x3c00
	s_mov_b64 s[8:9], -1
	s_waitcnt vmcnt(0)
	v_cmp_ne_u16_e32 vcc, 0, v5
	s_nop 1
	v_cndmask_b32_e32 v10, 0, v7, vcc
.LBB481_1608:
	s_mov_b64 s[0:1], 0
.LBB481_1609:
	s_and_b64 vcc, exec, s[0:1]
	s_cbranch_vccz .LBB481_1658
; %bb.1610:
	s_cmp_lt_i32 s17, 5
	s_cbranch_scc1 .LBB481_1615
; %bb.1611:
	s_cmp_lt_i32 s17, 8
	s_cbranch_scc1 .LBB481_1616
	;; [unrolled: 3-line block ×3, first 2 shown]
; %bb.1613:
	s_cmp_gt_i32 s17, 9
	s_cbranch_scc0 .LBB481_1618
; %bb.1614:
	global_load_dwordx2 v[10:11], v[8:9], off
	s_movk_i32 s0, 0x1ff
	s_movk_i32 s1, 0xffe
	v_mov_b32_e32 v5, 0x7c00
	v_mov_b32_e32 v7, 0x7e00
	s_movk_i32 s6, 0x40f
	s_mov_b32 s7, 0x8000
	s_waitcnt vmcnt(0)
	v_and_or_b32 v10, v11, s0, v10
	v_cmp_ne_u32_e32 vcc, 0, v10
	v_lshrrev_b32_e32 v13, 8, v11
	v_bfe_u32 v14, v11, 20, 11
	v_cndmask_b32_e64 v10, 0, 1, vcc
	v_sub_u32_e32 v15, 0x3f1, v14
	v_and_or_b32 v10, v13, s1, v10
	v_add_u32_e32 v14, 0xfffffc10, v14
	v_med3_i32 v13, v15, 0, 13
	v_or_b32_e32 v15, 0x1000, v10
	v_lshl_or_b32 v16, v14, 12, v10
	v_cmp_ne_u32_e32 vcc, 0, v10
	v_lshrrev_b32_e32 v10, v13, v15
	v_lshlrev_b32_e32 v13, v13, v10
	v_cndmask_b32_e32 v7, v5, v7, vcc
	v_cmp_ne_u32_e32 vcc, v13, v15
	v_lshrrev_b32_e32 v11, 16, v11
	s_mov_b64 s[0:1], 0
	v_cndmask_b32_e64 v13, 0, 1, vcc
	v_or_b32_e32 v10, v10, v13
	v_cmp_gt_i32_e32 vcc, 1, v14
	s_nop 1
	v_cndmask_b32_e32 v10, v16, v10, vcc
	v_and_b32_e32 v13, 7, v10
	v_cmp_lt_i32_e32 vcc, 5, v13
	v_lshrrev_b32_e32 v10, 2, v10
	s_nop 0
	v_cndmask_b32_e64 v15, 0, 1, vcc
	v_cmp_eq_u32_e32 vcc, 3, v13
	s_nop 1
	v_cndmask_b32_e64 v13, 0, 1, vcc
	v_or_b32_e32 v13, v13, v15
	v_add_u32_e32 v10, v10, v13
	v_cmp_gt_i32_e32 vcc, 31, v14
	s_nop 1
	v_cndmask_b32_e32 v5, v5, v10, vcc
	v_cmp_eq_u32_e32 vcc, s6, v14
	s_nop 1
	v_cndmask_b32_e32 v5, v5, v7, vcc
	v_and_or_b32 v10, v11, s7, v5
	s_branch .LBB481_1619
.LBB481_1615:
	s_mov_b64 s[0:1], -1
                                        ; implicit-def: $vgpr10
	s_branch .LBB481_1637
.LBB481_1616:
	s_mov_b64 s[0:1], -1
                                        ; implicit-def: $vgpr10
	s_branch .LBB481_1625
.LBB481_1617:
	s_mov_b64 s[0:1], -1
                                        ; implicit-def: $vgpr10
	s_branch .LBB481_1622
.LBB481_1618:
	s_mov_b64 s[0:1], -1
                                        ; implicit-def: $vgpr10
.LBB481_1619:
	s_andn2_b64 vcc, exec, s[0:1]
	s_cbranch_vccnz .LBB481_1621
; %bb.1620:
	global_load_dword v5, v[8:9], off
	s_waitcnt vmcnt(0)
	v_cvt_f16_f32_e32 v10, v5
.LBB481_1621:
	s_mov_b64 s[0:1], 0
.LBB481_1622:
	s_andn2_b64 vcc, exec, s[0:1]
	s_cbranch_vccnz .LBB481_1624
; %bb.1623:
	global_load_dword v10, v[8:9], off
.LBB481_1624:
	s_mov_b64 s[0:1], 0
.LBB481_1625:
	s_andn2_b64 vcc, exec, s[0:1]
	s_cbranch_vccnz .LBB481_1636
; %bb.1626:
	s_cmp_lt_i32 s17, 6
	s_cbranch_scc1 .LBB481_1629
; %bb.1627:
	s_cmp_gt_i32 s17, 6
	s_cbranch_scc0 .LBB481_1630
; %bb.1628:
	global_load_dwordx2 v[10:11], v[8:9], off
	s_movk_i32 s0, 0x1ff
	s_movk_i32 s1, 0xffe
	v_mov_b32_e32 v5, 0x7c00
	v_mov_b32_e32 v7, 0x7e00
	s_movk_i32 s6, 0x40f
	s_mov_b32 s7, 0x8000
	s_waitcnt vmcnt(0)
	v_and_or_b32 v10, v11, s0, v10
	v_cmp_ne_u32_e32 vcc, 0, v10
	v_lshrrev_b32_e32 v13, 8, v11
	v_bfe_u32 v14, v11, 20, 11
	v_cndmask_b32_e64 v10, 0, 1, vcc
	v_sub_u32_e32 v15, 0x3f1, v14
	v_and_or_b32 v10, v13, s1, v10
	v_add_u32_e32 v14, 0xfffffc10, v14
	v_med3_i32 v13, v15, 0, 13
	v_or_b32_e32 v15, 0x1000, v10
	v_lshl_or_b32 v16, v14, 12, v10
	v_cmp_ne_u32_e32 vcc, 0, v10
	v_lshrrev_b32_e32 v10, v13, v15
	v_lshlrev_b32_e32 v13, v13, v10
	v_cndmask_b32_e32 v7, v5, v7, vcc
	v_cmp_ne_u32_e32 vcc, v13, v15
	v_lshrrev_b32_e32 v11, 16, v11
	s_mov_b64 s[0:1], 0
	v_cndmask_b32_e64 v13, 0, 1, vcc
	v_or_b32_e32 v10, v10, v13
	v_cmp_gt_i32_e32 vcc, 1, v14
	s_nop 1
	v_cndmask_b32_e32 v10, v16, v10, vcc
	v_and_b32_e32 v13, 7, v10
	v_cmp_lt_i32_e32 vcc, 5, v13
	v_lshrrev_b32_e32 v10, 2, v10
	s_nop 0
	v_cndmask_b32_e64 v15, 0, 1, vcc
	v_cmp_eq_u32_e32 vcc, 3, v13
	s_nop 1
	v_cndmask_b32_e64 v13, 0, 1, vcc
	v_or_b32_e32 v13, v13, v15
	v_add_u32_e32 v10, v10, v13
	v_cmp_gt_i32_e32 vcc, 31, v14
	s_nop 1
	v_cndmask_b32_e32 v5, v5, v10, vcc
	v_cmp_eq_u32_e32 vcc, s6, v14
	s_nop 1
	v_cndmask_b32_e32 v5, v5, v7, vcc
	v_and_or_b32 v10, v11, s7, v5
	s_branch .LBB481_1631
.LBB481_1629:
	s_mov_b64 s[0:1], -1
                                        ; implicit-def: $vgpr10
	s_branch .LBB481_1634
.LBB481_1630:
	s_mov_b64 s[0:1], -1
                                        ; implicit-def: $vgpr10
.LBB481_1631:
	s_andn2_b64 vcc, exec, s[0:1]
	s_cbranch_vccnz .LBB481_1633
; %bb.1632:
	global_load_dword v5, v[8:9], off
	s_waitcnt vmcnt(0)
	v_cvt_f16_f32_e32 v10, v5
.LBB481_1633:
	s_mov_b64 s[0:1], 0
.LBB481_1634:
	s_andn2_b64 vcc, exec, s[0:1]
	s_cbranch_vccnz .LBB481_1636
; %bb.1635:
	global_load_ushort v10, v[8:9], off
.LBB481_1636:
	s_mov_b64 s[0:1], 0
.LBB481_1637:
	s_andn2_b64 vcc, exec, s[0:1]
	s_cbranch_vccnz .LBB481_1657
; %bb.1638:
	s_cmp_lt_i32 s17, 2
	s_cbranch_scc1 .LBB481_1642
; %bb.1639:
	s_cmp_lt_i32 s17, 3
	s_cbranch_scc1 .LBB481_1643
; %bb.1640:
	s_cmp_gt_i32 s17, 3
	s_cbranch_scc0 .LBB481_1644
; %bb.1641:
	global_load_dwordx2 v[10:11], v[8:9], off
	s_mov_b64 s[0:1], 0
	s_waitcnt vmcnt(0)
	v_xor_b32_e32 v7, v10, v11
	v_ffbh_i32_e32 v5, v11
	v_ashrrev_i32_e32 v7, 31, v7
	v_add_u32_e32 v5, -1, v5
	v_add_u32_e32 v7, 32, v7
	v_min_u32_e32 v5, v5, v7
	v_lshlrev_b64 v[10:11], v5, v[10:11]
	v_min_u32_e32 v7, 1, v10
	v_or_b32_e32 v7, v11, v7
	v_cvt_f32_i32_e32 v7, v7
	v_sub_u32_e32 v5, 32, v5
	v_ldexp_f32 v5, v7, v5
	v_cvt_f16_f32_e32 v10, v5
	s_branch .LBB481_1645
.LBB481_1642:
	s_mov_b64 s[0:1], -1
                                        ; implicit-def: $vgpr10
	s_branch .LBB481_1651
.LBB481_1643:
	s_mov_b64 s[0:1], -1
                                        ; implicit-def: $vgpr10
	s_branch .LBB481_1648
.LBB481_1644:
	s_mov_b64 s[0:1], -1
                                        ; implicit-def: $vgpr10
.LBB481_1645:
	s_andn2_b64 vcc, exec, s[0:1]
	s_cbranch_vccnz .LBB481_1647
; %bb.1646:
	global_load_dword v5, v[8:9], off
	s_waitcnt vmcnt(0)
	v_cvt_f32_i32_e32 v5, v5
	v_cvt_f16_f32_e32 v10, v5
.LBB481_1647:
	s_mov_b64 s[0:1], 0
.LBB481_1648:
	s_andn2_b64 vcc, exec, s[0:1]
	s_cbranch_vccnz .LBB481_1650
; %bb.1649:
	global_load_ushort v5, v[8:9], off
	s_waitcnt vmcnt(0)
	v_cvt_f16_i16_e32 v10, v5
.LBB481_1650:
	s_mov_b64 s[0:1], 0
.LBB481_1651:
	s_andn2_b64 vcc, exec, s[0:1]
	s_cbranch_vccnz .LBB481_1657
; %bb.1652:
	s_cmp_gt_i32 s17, 0
	s_cbranch_scc0 .LBB481_1654
; %bb.1653:
	global_load_sbyte v5, v[8:9], off
	s_mov_b64 s[0:1], 0
	s_waitcnt vmcnt(0)
	v_cvt_f16_i16_e32 v10, v5
	s_branch .LBB481_1655
.LBB481_1654:
	s_mov_b64 s[0:1], -1
                                        ; implicit-def: $vgpr10
.LBB481_1655:
	s_andn2_b64 vcc, exec, s[0:1]
	s_cbranch_vccnz .LBB481_1657
; %bb.1656:
	global_load_ubyte v5, v[8:9], off
	s_waitcnt vmcnt(0)
	v_cvt_f16_u16_e32 v10, v5
.LBB481_1657:
	s_mov_b64 s[8:9], -1
.LBB481_1658:
	s_andn2_b64 vcc, exec, s[8:9]
	s_cbranch_vccnz .LBB481_2092
; %bb.1659:
	s_load_dword s15, s[34:35], 0x158
	s_waitcnt vmcnt(0)
	v_cmp_u_f16_e32 vcc, v1, v1
	s_bfe_u32 s14, s16, 0x80010
	v_mov_b32_e32 v7, 0
	v_lshl_add_u64 v[6:7], s[4:5], 0, v[6:7]
	s_waitcnt lgkmcnt(0)
	v_cmp_gt_f16_e64 s[0:1], s15, v1
	v_mov_b32_e32 v5, s15
	s_or_b64 vcc, vcc, s[0:1]
	v_cndmask_b32_e32 v1, v5, v1, vcc
	s_cmp_lt_i32 s14, 11
	s_cbranch_scc1 .LBB481_1737
; %bb.1660:
	s_and_b32 s17, 0xffff, s14
	s_mov_b64 s[10:11], -1
	s_mov_b64 s[6:7], 0
	s_cmp_gt_i32 s17, 25
	s_mov_b64 s[8:9], 0
	s_mov_b64 s[0:1], 0
	s_cbranch_scc0 .LBB481_1693
; %bb.1661:
	s_cmp_gt_i32 s17, 28
	s_cbranch_scc0 .LBB481_1676
; %bb.1662:
	s_cmp_gt_i32 s17, 43
	;; [unrolled: 3-line block ×3, first 2 shown]
	s_cbranch_scc0 .LBB481_1666
; %bb.1664:
	s_mov_b64 s[0:1], -1
	s_mov_b64 s[10:11], 0
	s_cmp_eq_u32 s17, 46
	s_cbranch_scc0 .LBB481_1666
; %bb.1665:
	v_cvt_f32_f16_e32 v5, v1
	s_movk_i32 s0, 0x7fff
	v_cmp_o_f16_e32 vcc, v1, v1
	v_mov_b32_e32 v8, 0x7fc0
	v_bfe_u32 v9, v5, 16, 1
	v_add3_u32 v5, v5, v9, s0
	v_cndmask_b32_sdwa v5, v8, v5, vcc dst_sel:DWORD dst_unused:UNUSED_PAD src0_sel:DWORD src1_sel:WORD_1
	global_store_dword v[6:7], v5, off
	s_mov_b64 s[0:1], 0
	s_mov_b64 s[8:9], -1
.LBB481_1666:
	s_and_b64 vcc, exec, s[10:11]
	s_cbranch_vccz .LBB481_1671
; %bb.1667:
	s_cmp_eq_u32 s17, 44
	s_mov_b64 s[0:1], -1
	s_cbranch_scc0 .LBB481_1671
; %bb.1668:
	v_cvt_f32_f16_e32 v5, v1
	s_movk_i32 s0, 0xff
	v_mov_b32_e32 v9, 0xff
	v_bfe_u32 v8, v5, 23, 8
	v_cmp_ne_u32_e32 vcc, s0, v8
	s_and_saveexec_b64 s[8:9], vcc
; %bb.1669:
	s_mov_b32 s0, 0x3fffff
	v_lshrrev_b32_e32 v9, 23, v5
	v_and_b32_e32 v11, 0x400000, v5
	v_and_or_b32 v5, v5, s0, v8
	v_cmp_ne_u32_e32 vcc, 0, v11
	v_cmp_ne_u32_e64 s[0:1], 0, v5
	s_and_b64 s[0:1], vcc, s[0:1]
	s_nop 0
	v_cndmask_b32_e64 v5, 0, 1, s[0:1]
	v_add_u32_e32 v9, v9, v5
; %bb.1670:
	s_or_b64 exec, exec, s[8:9]
	s_mov_b64 s[0:1], 0
	s_mov_b64 s[8:9], -1
	global_store_byte v[6:7], v9, off
.LBB481_1671:
	s_mov_b64 s[10:11], 0
.LBB481_1672:
	s_and_b64 vcc, exec, s[10:11]
	s_cbranch_vccz .LBB481_1675
; %bb.1673:
	s_cmp_eq_u32 s17, 29
	s_mov_b64 s[0:1], -1
	s_cbranch_scc0 .LBB481_1675
; %bb.1674:
	v_cvt_f32_f16_e32 v5, v1
	v_mov_b32_e32 v9, 0
	s_mov_b64 s[0:1], 0
	s_mov_b64 s[8:9], -1
	v_cvt_u32_f32_e32 v8, v5
	global_store_dwordx2 v[6:7], v[8:9], off
.LBB481_1675:
	s_mov_b64 s[10:11], 0
.LBB481_1676:
	s_and_b64 vcc, exec, s[10:11]
	s_cbranch_vccz .LBB481_1692
; %bb.1677:
	s_cmp_lt_i32 s17, 27
	s_mov_b64 s[8:9], -1
	s_cbranch_scc1 .LBB481_1683
; %bb.1678:
	s_cmp_gt_i32 s17, 27
	s_cbranch_scc0 .LBB481_1680
; %bb.1679:
	v_cvt_f32_f16_e32 v5, v1
	s_mov_b64 s[8:9], 0
	v_cvt_u32_f32_e32 v5, v5
	global_store_dword v[6:7], v5, off
.LBB481_1680:
	s_andn2_b64 vcc, exec, s[8:9]
	s_cbranch_vccnz .LBB481_1682
; %bb.1681:
	v_cvt_u16_f16_e32 v5, v1
	global_store_short v[6:7], v5, off
.LBB481_1682:
	s_mov_b64 s[8:9], 0
.LBB481_1683:
	s_andn2_b64 vcc, exec, s[8:9]
	s_cbranch_vccnz .LBB481_1691
; %bb.1684:
	v_cvt_f32_f16_e32 v5, v1
	s_mov_b32 s8, 0x43800000
	v_mov_b32_e32 v9, 0x80
	v_and_b32_e32 v8, 0x7fffffff, v5
	v_cmp_gt_u32_e32 vcc, s8, v8
	s_and_saveexec_b64 s[8:9], vcc
	s_cbranch_execz .LBB481_1690
; %bb.1685:
	s_mov_b32 s10, 0x3bffffff
	v_cmp_lt_u32_e32 vcc, s10, v8
	s_mov_b64 s[10:11], 0
                                        ; implicit-def: $vgpr8
	s_and_saveexec_b64 s[12:13], vcc
	s_xor_b64 s[12:13], exec, s[12:13]
	s_cbranch_execz .LBB481_2139
; %bb.1686:
	v_bfe_u32 v8, v5, 20, 1
	s_mov_b32 s18, 0x487ffff
	v_add3_u32 v8, v5, v8, s18
	s_mov_b64 s[10:11], exec
	v_lshrrev_b32_e32 v8, 20, v8
	s_andn2_saveexec_b64 s[12:13], s[12:13]
	s_cbranch_execnz .LBB481_2140
.LBB481_1687:
	s_or_b64 exec, exec, s[12:13]
	v_mov_b32_e32 v9, 0
	s_and_saveexec_b64 s[12:13], s[10:11]
.LBB481_1688:
	v_lshrrev_b32_e32 v5, 24, v5
	s_movk_i32 s10, 0x80
	v_and_or_b32 v9, v5, s10, v8
.LBB481_1689:
	s_or_b64 exec, exec, s[12:13]
.LBB481_1690:
	s_or_b64 exec, exec, s[8:9]
	global_store_byte v[6:7], v9, off
.LBB481_1691:
	s_mov_b64 s[8:9], -1
.LBB481_1692:
	s_mov_b64 s[10:11], 0
.LBB481_1693:
	s_and_b64 vcc, exec, s[10:11]
	s_cbranch_vccz .LBB481_1733
; %bb.1694:
	s_cmp_gt_i32 s17, 22
	s_mov_b64 s[6:7], -1
	s_cbranch_scc0 .LBB481_1726
; %bb.1695:
	s_cmp_lt_i32 s17, 24
	s_cbranch_scc1 .LBB481_1715
; %bb.1696:
	s_cmp_gt_i32 s17, 24
	s_cbranch_scc0 .LBB481_1704
; %bb.1697:
	v_cvt_f32_f16_e32 v5, v1
	s_mov_b32 s6, 0x47800000
	v_mov_b32_e32 v9, 0x80
	v_and_b32_e32 v8, 0x7fffffff, v5
	v_cmp_gt_u32_e32 vcc, s6, v8
	s_and_saveexec_b64 s[6:7], vcc
	s_cbranch_execz .LBB481_1703
; %bb.1698:
	s_mov_b32 s8, 0x37ffffff
	v_cmp_lt_u32_e32 vcc, s8, v8
	s_mov_b64 s[8:9], 0
                                        ; implicit-def: $vgpr8
	s_and_saveexec_b64 s[10:11], vcc
	s_xor_b64 s[10:11], exec, s[10:11]
	s_cbranch_execz .LBB481_2142
; %bb.1699:
	v_bfe_u32 v8, v5, 21, 1
	s_mov_b32 s12, 0x88fffff
	v_add3_u32 v8, v5, v8, s12
	s_mov_b64 s[8:9], exec
	v_lshrrev_b32_e32 v8, 21, v8
	s_andn2_saveexec_b64 s[10:11], s[10:11]
	s_cbranch_execnz .LBB481_2143
.LBB481_1700:
	s_or_b64 exec, exec, s[10:11]
	v_mov_b32_e32 v9, 0
	s_and_saveexec_b64 s[10:11], s[8:9]
.LBB481_1701:
	v_lshrrev_b32_e32 v5, 24, v5
	s_movk_i32 s8, 0x80
	v_and_or_b32 v9, v5, s8, v8
.LBB481_1702:
	s_or_b64 exec, exec, s[10:11]
.LBB481_1703:
	s_or_b64 exec, exec, s[6:7]
	s_mov_b64 s[6:7], 0
	global_store_byte v[6:7], v9, off
.LBB481_1704:
	s_and_b64 vcc, exec, s[6:7]
	s_cbranch_vccz .LBB481_1714
; %bb.1705:
	v_cvt_f32_f16_e32 v5, v1
	s_mov_b32 s6, 0x43f00000
                                        ; implicit-def: $vgpr8
	v_and_b32_e32 v9, 0x7fffffff, v5
	v_cmp_gt_u32_e32 vcc, s6, v9
	s_and_saveexec_b64 s[6:7], vcc
	s_xor_b64 s[6:7], exec, s[6:7]
	s_cbranch_execz .LBB481_1711
; %bb.1706:
	s_mov_b32 s8, 0x3c7fffff
	v_cmp_lt_u32_e32 vcc, s8, v9
                                        ; implicit-def: $vgpr8
	s_and_saveexec_b64 s[8:9], vcc
	s_xor_b64 s[8:9], exec, s[8:9]
; %bb.1707:
	v_bfe_u32 v8, v5, 20, 1
	s_mov_b32 s10, 0x407ffff
	v_add3_u32 v8, v5, v8, s10
	v_lshrrev_b32_e32 v9, 20, v8
	v_and_b32_e32 v8, 0xff00000, v8
	s_mov_b32 s10, 0x7f00000
	v_mov_b32_e32 v11, 0x7e
	v_cmp_ne_u32_e32 vcc, s10, v8
	s_nop 1
	v_cndmask_b32_e32 v8, v11, v9, vcc
; %bb.1708:
	s_andn2_saveexec_b64 s[8:9], s[8:9]
; %bb.1709:
	s_mov_b32 s10, 0x46800000
	v_add_f32_e64 v8, |v5|, s10
; %bb.1710:
	s_or_b64 exec, exec, s[8:9]
                                        ; implicit-def: $vgpr9
.LBB481_1711:
	s_andn2_saveexec_b64 s[6:7], s[6:7]
; %bb.1712:
	s_mov_b32 s8, 0x7f800000
	v_mov_b32_e32 v8, 0x7e
	v_mov_b32_e32 v11, 0x7f
	v_cmp_lt_u32_e32 vcc, s8, v9
	s_nop 1
	v_cndmask_b32_e32 v8, v8, v11, vcc
; %bb.1713:
	s_or_b64 exec, exec, s[6:7]
	v_lshrrev_b32_e32 v5, 24, v5
	s_movk_i32 s6, 0x80
	v_and_or_b32 v5, v5, s6, v8
	global_store_byte v[6:7], v5, off
.LBB481_1714:
	s_mov_b64 s[6:7], 0
.LBB481_1715:
	s_andn2_b64 vcc, exec, s[6:7]
	s_cbranch_vccnz .LBB481_1725
; %bb.1716:
	v_cvt_f32_f16_e32 v5, v1
	s_mov_b32 s6, 0x47800000
                                        ; implicit-def: $vgpr8
	v_and_b32_e32 v9, 0x7fffffff, v5
	v_cmp_gt_u32_e32 vcc, s6, v9
	s_and_saveexec_b64 s[6:7], vcc
	s_xor_b64 s[6:7], exec, s[6:7]
	s_cbranch_execz .LBB481_1722
; %bb.1717:
	s_mov_b32 s8, 0x387fffff
	v_cmp_lt_u32_e32 vcc, s8, v9
                                        ; implicit-def: $vgpr8
	s_and_saveexec_b64 s[8:9], vcc
	s_xor_b64 s[8:9], exec, s[8:9]
; %bb.1718:
	v_bfe_u32 v8, v5, 21, 1
	s_mov_b32 s10, 0x80fffff
	v_add3_u32 v8, v5, v8, s10
	v_lshrrev_b32_e32 v8, 21, v8
; %bb.1719:
	s_andn2_saveexec_b64 s[8:9], s[8:9]
; %bb.1720:
	s_mov_b32 s10, 0x43000000
	v_add_f32_e64 v8, |v5|, s10
; %bb.1721:
	s_or_b64 exec, exec, s[8:9]
                                        ; implicit-def: $vgpr9
.LBB481_1722:
	s_andn2_saveexec_b64 s[6:7], s[6:7]
; %bb.1723:
	s_mov_b32 s8, 0x7f800000
	v_mov_b32_e32 v8, 0x7c
	v_mov_b32_e32 v11, 0x7f
	v_cmp_lt_u32_e32 vcc, s8, v9
	s_nop 1
	v_cndmask_b32_e32 v8, v8, v11, vcc
; %bb.1724:
	s_or_b64 exec, exec, s[6:7]
	v_lshrrev_b32_e32 v5, 24, v5
	s_movk_i32 s6, 0x80
	v_and_or_b32 v5, v5, s6, v8
	global_store_byte v[6:7], v5, off
.LBB481_1725:
	s_mov_b64 s[6:7], 0
	s_mov_b64 s[8:9], -1
.LBB481_1726:
	s_andn2_b64 vcc, exec, s[6:7]
	s_mov_b64 s[6:7], 0
	s_cbranch_vccnz .LBB481_1733
; %bb.1727:
	s_cmp_gt_i32 s17, 14
	s_mov_b64 s[10:11], -1
	s_cbranch_scc0 .LBB481_1731
; %bb.1728:
	s_cmp_eq_u32 s17, 15
	s_mov_b64 s[0:1], -1
	s_cbranch_scc0 .LBB481_1730
; %bb.1729:
	v_cvt_f32_f16_e32 v5, v1
	s_movk_i32 s0, 0x7fff
	v_cmp_o_f16_e32 vcc, v1, v1
	v_mov_b32_e32 v8, 0x7fc0
	v_bfe_u32 v9, v5, 16, 1
	v_add3_u32 v5, v5, v9, s0
	v_cndmask_b32_sdwa v5, v8, v5, vcc dst_sel:DWORD dst_unused:UNUSED_PAD src0_sel:DWORD src1_sel:WORD_1
	global_store_short v[6:7], v5, off
	s_mov_b64 s[0:1], 0
	s_mov_b64 s[8:9], -1
.LBB481_1730:
	s_mov_b64 s[10:11], 0
.LBB481_1731:
	s_and_b64 vcc, exec, s[10:11]
	s_cbranch_vccz .LBB481_1733
; %bb.1732:
	s_cmp_lg_u32 s17, 11
	s_mov_b64 s[6:7], -1
	s_cselect_b64 s[0:1], -1, 0
.LBB481_1733:
	s_and_b64 vcc, exec, s[0:1]
	s_cbranch_vccnz .LBB481_2141
; %bb.1734:
	s_andn2_b64 vcc, exec, s[6:7]
	s_cbranch_vccnz .LBB481_1736
.LBB481_1735:
	v_and_b32_e32 v5, 0x7fff, v1
	v_cmp_ne_u16_e32 vcc, 0, v5
	s_mov_b64 s[8:9], -1
	s_nop 0
	v_cndmask_b32_e64 v5, 0, 1, vcc
	global_store_byte v[6:7], v5, off
.LBB481_1736:
	s_mov_b64 s[0:1], 0
	s_branch .LBB481_1738
.LBB481_1737:
	s_mov_b64 s[0:1], -1
	s_mov_b64 s[8:9], 0
.LBB481_1738:
	s_and_b64 vcc, exec, s[0:1]
	s_cbranch_vccz .LBB481_1777
; %bb.1739:
	s_and_b32 s6, 0xffff, s14
	s_cmp_lt_i32 s6, 5
	s_mov_b64 s[0:1], -1
	s_cbranch_scc1 .LBB481_1760
; %bb.1740:
	s_cmp_lt_i32 s6, 8
	s_cbranch_scc1 .LBB481_1750
; %bb.1741:
	s_cmp_lt_i32 s6, 9
	s_cbranch_scc1 .LBB481_1747
; %bb.1742:
	s_cmp_gt_i32 s6, 9
	s_cbranch_scc0 .LBB481_1744
; %bb.1743:
	v_cvt_f32_f16_e32 v5, v1
	v_mov_b32_e32 v16, 0
	v_mov_b32_e32 v17, v16
	s_mov_b64 s[0:1], 0
	v_cvt_f64_f32_e32 v[14:15], v5
	global_store_dwordx4 v[6:7], v[14:17], off
.LBB481_1744:
	s_andn2_b64 vcc, exec, s[0:1]
	s_cbranch_vccnz .LBB481_1746
; %bb.1745:
	v_cvt_f32_f16_e32 v8, v1
	v_mov_b32_e32 v9, 0
	global_store_dwordx2 v[6:7], v[8:9], off
.LBB481_1746:
	s_mov_b64 s[0:1], 0
.LBB481_1747:
	s_andn2_b64 vcc, exec, s[0:1]
	s_cbranch_vccnz .LBB481_1749
; %bb.1748:
	v_and_b32_e32 v5, 0xffff, v1
	global_store_dword v[6:7], v5, off
.LBB481_1749:
	s_mov_b64 s[0:1], 0
.LBB481_1750:
	s_andn2_b64 vcc, exec, s[0:1]
	s_cbranch_vccnz .LBB481_1759
; %bb.1751:
	s_cmp_lt_i32 s6, 6
	s_mov_b64 s[0:1], -1
	s_cbranch_scc1 .LBB481_1757
; %bb.1752:
	s_cmp_gt_i32 s6, 6
	s_cbranch_scc0 .LBB481_1754
; %bb.1753:
	v_cvt_f32_f16_e32 v5, v1
	s_mov_b64 s[0:1], 0
	v_cvt_f64_f32_e32 v[8:9], v5
	global_store_dwordx2 v[6:7], v[8:9], off
.LBB481_1754:
	s_andn2_b64 vcc, exec, s[0:1]
	s_cbranch_vccnz .LBB481_1756
; %bb.1755:
	v_cvt_f32_f16_e32 v5, v1
	global_store_dword v[6:7], v5, off
.LBB481_1756:
	s_mov_b64 s[0:1], 0
.LBB481_1757:
	s_andn2_b64 vcc, exec, s[0:1]
	s_cbranch_vccnz .LBB481_1759
; %bb.1758:
	global_store_short v[6:7], v1, off
.LBB481_1759:
	s_mov_b64 s[0:1], 0
.LBB481_1760:
	s_andn2_b64 vcc, exec, s[0:1]
	s_cbranch_vccnz .LBB481_1776
; %bb.1761:
	s_cmp_lt_i32 s6, 2
	s_mov_b64 s[0:1], -1
	s_cbranch_scc1 .LBB481_1771
; %bb.1762:
	s_cmp_lt_i32 s6, 3
	s_cbranch_scc1 .LBB481_1768
; %bb.1763:
	s_cmp_gt_i32 s6, 3
	s_cbranch_scc0 .LBB481_1765
; %bb.1764:
	v_cvt_f32_f16_e32 v5, v1
	s_mov_b64 s[0:1], 0
	v_cvt_i32_f32_e32 v8, v5
	v_ashrrev_i32_e32 v9, 31, v8
	global_store_dwordx2 v[6:7], v[8:9], off
.LBB481_1765:
	s_andn2_b64 vcc, exec, s[0:1]
	s_cbranch_vccnz .LBB481_1767
; %bb.1766:
	v_cvt_f32_f16_e32 v5, v1
	v_cvt_i32_f32_e32 v5, v5
	global_store_dword v[6:7], v5, off
.LBB481_1767:
	s_mov_b64 s[0:1], 0
.LBB481_1768:
	s_andn2_b64 vcc, exec, s[0:1]
	s_cbranch_vccnz .LBB481_1770
; %bb.1769:
	v_cvt_i16_f16_e32 v5, v1
	global_store_short v[6:7], v5, off
.LBB481_1770:
	s_mov_b64 s[0:1], 0
.LBB481_1771:
	s_andn2_b64 vcc, exec, s[0:1]
	s_cbranch_vccnz .LBB481_1776
; %bb.1772:
	s_cmp_gt_i32 s6, 0
	s_mov_b64 s[0:1], -1
	s_cbranch_scc0 .LBB481_1774
; %bb.1773:
	v_cvt_i16_f16_e32 v5, v1
	global_store_byte v[6:7], v5, off
	s_mov_b64 s[0:1], 0
.LBB481_1774:
	s_andn2_b64 vcc, exec, s[0:1]
	s_cbranch_vccnz .LBB481_1776
; %bb.1775:
	v_cvt_f32_f16_e32 v1, v1
	v_cvt_i32_f32_e32 v1, v1
	global_store_byte v[6:7], v1, off
.LBB481_1776:
	s_mov_b64 s[8:9], -1
.LBB481_1777:
	s_andn2_b64 vcc, exec, s[8:9]
	s_cbranch_vccnz .LBB481_2092
; %bb.1778:
	s_lshr_b32 s0, s16, 16
	s_and_b32 s14, s0, 0xff
	v_cmp_u_f16_e32 vcc, v3, v3
	v_cmp_gt_f16_e64 s[0:1], s15, v3
	v_mov_b32_e32 v1, s15
	s_or_b64 vcc, vcc, s[0:1]
	v_mov_b32_e32 v5, 0
	v_cndmask_b32_e32 v1, v1, v3, vcc
	s_cmp_lt_i32 s14, 11
	v_lshl_add_u64 v[4:5], s[4:5], 0, v[4:5]
	s_cbranch_scc1 .LBB481_1856
; %bb.1779:
	s_and_b32 s16, 0xffff, s14
	s_mov_b64 s[10:11], -1
	s_mov_b64 s[6:7], 0
	s_cmp_gt_i32 s16, 25
	s_mov_b64 s[8:9], 0
	s_mov_b64 s[0:1], 0
	s_cbranch_scc0 .LBB481_1812
; %bb.1780:
	s_cmp_gt_i32 s16, 28
	s_cbranch_scc0 .LBB481_1795
; %bb.1781:
	s_cmp_gt_i32 s16, 43
	;; [unrolled: 3-line block ×3, first 2 shown]
	s_cbranch_scc0 .LBB481_1785
; %bb.1783:
	s_mov_b64 s[0:1], -1
	s_mov_b64 s[10:11], 0
	s_cmp_eq_u32 s16, 46
	s_cbranch_scc0 .LBB481_1785
; %bb.1784:
	v_cvt_f32_f16_e32 v3, v1
	s_movk_i32 s0, 0x7fff
	v_cmp_o_f16_e32 vcc, v1, v1
	v_mov_b32_e32 v6, 0x7fc0
	v_bfe_u32 v7, v3, 16, 1
	v_add3_u32 v3, v3, v7, s0
	v_cndmask_b32_sdwa v3, v6, v3, vcc dst_sel:DWORD dst_unused:UNUSED_PAD src0_sel:DWORD src1_sel:WORD_1
	global_store_dword v[4:5], v3, off
	s_mov_b64 s[0:1], 0
	s_mov_b64 s[8:9], -1
.LBB481_1785:
	s_and_b64 vcc, exec, s[10:11]
	s_cbranch_vccz .LBB481_1790
; %bb.1786:
	s_cmp_eq_u32 s16, 44
	s_mov_b64 s[0:1], -1
	s_cbranch_scc0 .LBB481_1790
; %bb.1787:
	v_cvt_f32_f16_e32 v3, v1
	s_movk_i32 s0, 0xff
	v_mov_b32_e32 v7, 0xff
	v_bfe_u32 v6, v3, 23, 8
	v_cmp_ne_u32_e32 vcc, s0, v6
	s_and_saveexec_b64 s[8:9], vcc
; %bb.1788:
	s_mov_b32 s0, 0x3fffff
	v_lshrrev_b32_e32 v7, 23, v3
	v_and_b32_e32 v8, 0x400000, v3
	v_and_or_b32 v3, v3, s0, v6
	v_cmp_ne_u32_e32 vcc, 0, v8
	v_cmp_ne_u32_e64 s[0:1], 0, v3
	s_and_b64 s[0:1], vcc, s[0:1]
	s_nop 0
	v_cndmask_b32_e64 v3, 0, 1, s[0:1]
	v_add_u32_e32 v7, v7, v3
; %bb.1789:
	s_or_b64 exec, exec, s[8:9]
	s_mov_b64 s[0:1], 0
	s_mov_b64 s[8:9], -1
	global_store_byte v[4:5], v7, off
.LBB481_1790:
	s_mov_b64 s[10:11], 0
.LBB481_1791:
	s_and_b64 vcc, exec, s[10:11]
	s_cbranch_vccz .LBB481_1794
; %bb.1792:
	s_cmp_eq_u32 s16, 29
	s_mov_b64 s[0:1], -1
	s_cbranch_scc0 .LBB481_1794
; %bb.1793:
	v_cvt_f32_f16_e32 v3, v1
	v_mov_b32_e32 v7, 0
	s_mov_b64 s[0:1], 0
	s_mov_b64 s[8:9], -1
	v_cvt_u32_f32_e32 v6, v3
	global_store_dwordx2 v[4:5], v[6:7], off
.LBB481_1794:
	s_mov_b64 s[10:11], 0
.LBB481_1795:
	s_and_b64 vcc, exec, s[10:11]
	s_cbranch_vccz .LBB481_1811
; %bb.1796:
	s_cmp_lt_i32 s16, 27
	s_mov_b64 s[8:9], -1
	s_cbranch_scc1 .LBB481_1802
; %bb.1797:
	s_cmp_gt_i32 s16, 27
	s_cbranch_scc0 .LBB481_1799
; %bb.1798:
	v_cvt_f32_f16_e32 v3, v1
	s_mov_b64 s[8:9], 0
	v_cvt_u32_f32_e32 v3, v3
	global_store_dword v[4:5], v3, off
.LBB481_1799:
	s_andn2_b64 vcc, exec, s[8:9]
	s_cbranch_vccnz .LBB481_1801
; %bb.1800:
	v_cvt_u16_f16_e32 v3, v1
	global_store_short v[4:5], v3, off
.LBB481_1801:
	s_mov_b64 s[8:9], 0
.LBB481_1802:
	s_andn2_b64 vcc, exec, s[8:9]
	s_cbranch_vccnz .LBB481_1810
; %bb.1803:
	v_cvt_f32_f16_e32 v3, v1
	s_mov_b32 s8, 0x43800000
	v_mov_b32_e32 v7, 0x80
	v_and_b32_e32 v6, 0x7fffffff, v3
	v_cmp_gt_u32_e32 vcc, s8, v6
	s_and_saveexec_b64 s[8:9], vcc
	s_cbranch_execz .LBB481_1809
; %bb.1804:
	s_mov_b32 s10, 0x3bffffff
	v_cmp_lt_u32_e32 vcc, s10, v6
	s_mov_b64 s[10:11], 0
                                        ; implicit-def: $vgpr6
	s_and_saveexec_b64 s[12:13], vcc
	s_xor_b64 s[12:13], exec, s[12:13]
	s_cbranch_execz .LBB481_2144
; %bb.1805:
	v_bfe_u32 v6, v3, 20, 1
	s_mov_b32 s17, 0x487ffff
	v_add3_u32 v6, v3, v6, s17
	s_mov_b64 s[10:11], exec
	v_lshrrev_b32_e32 v6, 20, v6
	s_andn2_saveexec_b64 s[12:13], s[12:13]
	s_cbranch_execnz .LBB481_2145
.LBB481_1806:
	s_or_b64 exec, exec, s[12:13]
	v_mov_b32_e32 v7, 0
	s_and_saveexec_b64 s[12:13], s[10:11]
.LBB481_1807:
	v_lshrrev_b32_e32 v3, 24, v3
	s_movk_i32 s10, 0x80
	v_and_or_b32 v7, v3, s10, v6
.LBB481_1808:
	s_or_b64 exec, exec, s[12:13]
.LBB481_1809:
	s_or_b64 exec, exec, s[8:9]
	global_store_byte v[4:5], v7, off
.LBB481_1810:
	s_mov_b64 s[8:9], -1
.LBB481_1811:
	s_mov_b64 s[10:11], 0
.LBB481_1812:
	s_and_b64 vcc, exec, s[10:11]
	s_cbranch_vccz .LBB481_1852
; %bb.1813:
	s_cmp_gt_i32 s16, 22
	s_mov_b64 s[6:7], -1
	s_cbranch_scc0 .LBB481_1845
; %bb.1814:
	s_cmp_lt_i32 s16, 24
	s_cbranch_scc1 .LBB481_1834
; %bb.1815:
	s_cmp_gt_i32 s16, 24
	s_cbranch_scc0 .LBB481_1823
; %bb.1816:
	v_cvt_f32_f16_e32 v3, v1
	s_mov_b32 s6, 0x47800000
	v_mov_b32_e32 v7, 0x80
	v_and_b32_e32 v6, 0x7fffffff, v3
	v_cmp_gt_u32_e32 vcc, s6, v6
	s_and_saveexec_b64 s[6:7], vcc
	s_cbranch_execz .LBB481_1822
; %bb.1817:
	s_mov_b32 s8, 0x37ffffff
	v_cmp_lt_u32_e32 vcc, s8, v6
	s_mov_b64 s[8:9], 0
                                        ; implicit-def: $vgpr6
	s_and_saveexec_b64 s[10:11], vcc
	s_xor_b64 s[10:11], exec, s[10:11]
	s_cbranch_execz .LBB481_2147
; %bb.1818:
	v_bfe_u32 v6, v3, 21, 1
	s_mov_b32 s12, 0x88fffff
	v_add3_u32 v6, v3, v6, s12
	s_mov_b64 s[8:9], exec
	v_lshrrev_b32_e32 v6, 21, v6
	s_andn2_saveexec_b64 s[10:11], s[10:11]
	s_cbranch_execnz .LBB481_2148
.LBB481_1819:
	s_or_b64 exec, exec, s[10:11]
	v_mov_b32_e32 v7, 0
	s_and_saveexec_b64 s[10:11], s[8:9]
.LBB481_1820:
	v_lshrrev_b32_e32 v3, 24, v3
	s_movk_i32 s8, 0x80
	v_and_or_b32 v7, v3, s8, v6
.LBB481_1821:
	s_or_b64 exec, exec, s[10:11]
.LBB481_1822:
	s_or_b64 exec, exec, s[6:7]
	s_mov_b64 s[6:7], 0
	global_store_byte v[4:5], v7, off
.LBB481_1823:
	s_and_b64 vcc, exec, s[6:7]
	s_cbranch_vccz .LBB481_1833
; %bb.1824:
	v_cvt_f32_f16_e32 v3, v1
	s_mov_b32 s6, 0x43f00000
                                        ; implicit-def: $vgpr6
	v_and_b32_e32 v7, 0x7fffffff, v3
	v_cmp_gt_u32_e32 vcc, s6, v7
	s_and_saveexec_b64 s[6:7], vcc
	s_xor_b64 s[6:7], exec, s[6:7]
	s_cbranch_execz .LBB481_1830
; %bb.1825:
	s_mov_b32 s8, 0x3c7fffff
	v_cmp_lt_u32_e32 vcc, s8, v7
                                        ; implicit-def: $vgpr6
	s_and_saveexec_b64 s[8:9], vcc
	s_xor_b64 s[8:9], exec, s[8:9]
; %bb.1826:
	v_bfe_u32 v6, v3, 20, 1
	s_mov_b32 s10, 0x407ffff
	v_add3_u32 v6, v3, v6, s10
	v_lshrrev_b32_e32 v7, 20, v6
	v_and_b32_e32 v6, 0xff00000, v6
	s_mov_b32 s10, 0x7f00000
	v_mov_b32_e32 v8, 0x7e
	v_cmp_ne_u32_e32 vcc, s10, v6
	s_nop 1
	v_cndmask_b32_e32 v6, v8, v7, vcc
; %bb.1827:
	s_andn2_saveexec_b64 s[8:9], s[8:9]
; %bb.1828:
	s_mov_b32 s10, 0x46800000
	v_add_f32_e64 v6, |v3|, s10
; %bb.1829:
	s_or_b64 exec, exec, s[8:9]
                                        ; implicit-def: $vgpr7
.LBB481_1830:
	s_andn2_saveexec_b64 s[6:7], s[6:7]
; %bb.1831:
	s_mov_b32 s8, 0x7f800000
	v_mov_b32_e32 v6, 0x7e
	v_mov_b32_e32 v8, 0x7f
	v_cmp_lt_u32_e32 vcc, s8, v7
	s_nop 1
	v_cndmask_b32_e32 v6, v6, v8, vcc
; %bb.1832:
	s_or_b64 exec, exec, s[6:7]
	v_lshrrev_b32_e32 v3, 24, v3
	s_movk_i32 s6, 0x80
	v_and_or_b32 v3, v3, s6, v6
	global_store_byte v[4:5], v3, off
.LBB481_1833:
	s_mov_b64 s[6:7], 0
.LBB481_1834:
	s_andn2_b64 vcc, exec, s[6:7]
	s_cbranch_vccnz .LBB481_1844
; %bb.1835:
	v_cvt_f32_f16_e32 v3, v1
	s_mov_b32 s6, 0x47800000
                                        ; implicit-def: $vgpr6
	v_and_b32_e32 v7, 0x7fffffff, v3
	v_cmp_gt_u32_e32 vcc, s6, v7
	s_and_saveexec_b64 s[6:7], vcc
	s_xor_b64 s[6:7], exec, s[6:7]
	s_cbranch_execz .LBB481_1841
; %bb.1836:
	s_mov_b32 s8, 0x387fffff
	v_cmp_lt_u32_e32 vcc, s8, v7
                                        ; implicit-def: $vgpr6
	s_and_saveexec_b64 s[8:9], vcc
	s_xor_b64 s[8:9], exec, s[8:9]
; %bb.1837:
	v_bfe_u32 v6, v3, 21, 1
	s_mov_b32 s10, 0x80fffff
	v_add3_u32 v6, v3, v6, s10
	v_lshrrev_b32_e32 v6, 21, v6
; %bb.1838:
	s_andn2_saveexec_b64 s[8:9], s[8:9]
; %bb.1839:
	s_mov_b32 s10, 0x43000000
	v_add_f32_e64 v6, |v3|, s10
; %bb.1840:
	s_or_b64 exec, exec, s[8:9]
                                        ; implicit-def: $vgpr7
.LBB481_1841:
	s_andn2_saveexec_b64 s[6:7], s[6:7]
; %bb.1842:
	s_mov_b32 s8, 0x7f800000
	v_mov_b32_e32 v6, 0x7c
	v_mov_b32_e32 v8, 0x7f
	v_cmp_lt_u32_e32 vcc, s8, v7
	s_nop 1
	v_cndmask_b32_e32 v6, v6, v8, vcc
; %bb.1843:
	s_or_b64 exec, exec, s[6:7]
	v_lshrrev_b32_e32 v3, 24, v3
	s_movk_i32 s6, 0x80
	v_and_or_b32 v3, v3, s6, v6
	global_store_byte v[4:5], v3, off
.LBB481_1844:
	s_mov_b64 s[6:7], 0
	s_mov_b64 s[8:9], -1
.LBB481_1845:
	s_andn2_b64 vcc, exec, s[6:7]
	s_mov_b64 s[6:7], 0
	s_cbranch_vccnz .LBB481_1852
; %bb.1846:
	s_cmp_gt_i32 s16, 14
	s_mov_b64 s[10:11], -1
	s_cbranch_scc0 .LBB481_1850
; %bb.1847:
	s_cmp_eq_u32 s16, 15
	s_mov_b64 s[0:1], -1
	s_cbranch_scc0 .LBB481_1849
; %bb.1848:
	v_cvt_f32_f16_e32 v3, v1
	s_movk_i32 s0, 0x7fff
	v_cmp_o_f16_e32 vcc, v1, v1
	v_mov_b32_e32 v6, 0x7fc0
	v_bfe_u32 v7, v3, 16, 1
	v_add3_u32 v3, v3, v7, s0
	v_cndmask_b32_sdwa v3, v6, v3, vcc dst_sel:DWORD dst_unused:UNUSED_PAD src0_sel:DWORD src1_sel:WORD_1
	global_store_short v[4:5], v3, off
	s_mov_b64 s[0:1], 0
	s_mov_b64 s[8:9], -1
.LBB481_1849:
	s_mov_b64 s[10:11], 0
.LBB481_1850:
	s_and_b64 vcc, exec, s[10:11]
	s_cbranch_vccz .LBB481_1852
; %bb.1851:
	s_cmp_lg_u32 s16, 11
	s_mov_b64 s[6:7], -1
	s_cselect_b64 s[0:1], -1, 0
.LBB481_1852:
	s_and_b64 vcc, exec, s[0:1]
	s_cbranch_vccnz .LBB481_2146
; %bb.1853:
	s_andn2_b64 vcc, exec, s[6:7]
	s_cbranch_vccnz .LBB481_1855
.LBB481_1854:
	v_and_b32_e32 v3, 0x7fff, v1
	v_cmp_ne_u16_e32 vcc, 0, v3
	s_mov_b64 s[8:9], -1
	s_nop 0
	v_cndmask_b32_e64 v3, 0, 1, vcc
	global_store_byte v[4:5], v3, off
.LBB481_1855:
	s_mov_b64 s[0:1], 0
	s_branch .LBB481_1857
.LBB481_1856:
	s_mov_b64 s[0:1], -1
	s_mov_b64 s[8:9], 0
.LBB481_1857:
	s_and_b64 vcc, exec, s[0:1]
	s_cbranch_vccz .LBB481_1896
; %bb.1858:
	s_and_b32 s6, 0xffff, s14
	s_cmp_lt_i32 s6, 5
	s_mov_b64 s[0:1], -1
	s_cbranch_scc1 .LBB481_1879
; %bb.1859:
	s_cmp_lt_i32 s6, 8
	s_cbranch_scc1 .LBB481_1869
; %bb.1860:
	s_cmp_lt_i32 s6, 9
	s_cbranch_scc1 .LBB481_1866
; %bb.1861:
	s_cmp_gt_i32 s6, 9
	s_cbranch_scc0 .LBB481_1863
; %bb.1862:
	v_cvt_f32_f16_e32 v3, v1
	v_mov_b32_e32 v8, 0
	v_mov_b32_e32 v9, v8
	s_mov_b64 s[0:1], 0
	v_cvt_f64_f32_e32 v[6:7], v3
	global_store_dwordx4 v[4:5], v[6:9], off
.LBB481_1863:
	s_andn2_b64 vcc, exec, s[0:1]
	s_cbranch_vccnz .LBB481_1865
; %bb.1864:
	v_cvt_f32_f16_e32 v6, v1
	v_mov_b32_e32 v7, 0
	global_store_dwordx2 v[4:5], v[6:7], off
.LBB481_1865:
	s_mov_b64 s[0:1], 0
.LBB481_1866:
	s_andn2_b64 vcc, exec, s[0:1]
	s_cbranch_vccnz .LBB481_1868
; %bb.1867:
	v_and_b32_e32 v3, 0xffff, v1
	global_store_dword v[4:5], v3, off
.LBB481_1868:
	s_mov_b64 s[0:1], 0
.LBB481_1869:
	s_andn2_b64 vcc, exec, s[0:1]
	s_cbranch_vccnz .LBB481_1878
; %bb.1870:
	s_cmp_lt_i32 s6, 6
	s_mov_b64 s[0:1], -1
	s_cbranch_scc1 .LBB481_1876
; %bb.1871:
	s_cmp_gt_i32 s6, 6
	s_cbranch_scc0 .LBB481_1873
; %bb.1872:
	v_cvt_f32_f16_e32 v3, v1
	s_mov_b64 s[0:1], 0
	v_cvt_f64_f32_e32 v[6:7], v3
	global_store_dwordx2 v[4:5], v[6:7], off
.LBB481_1873:
	s_andn2_b64 vcc, exec, s[0:1]
	s_cbranch_vccnz .LBB481_1875
; %bb.1874:
	v_cvt_f32_f16_e32 v3, v1
	global_store_dword v[4:5], v3, off
.LBB481_1875:
	s_mov_b64 s[0:1], 0
.LBB481_1876:
	s_andn2_b64 vcc, exec, s[0:1]
	s_cbranch_vccnz .LBB481_1878
; %bb.1877:
	global_store_short v[4:5], v1, off
.LBB481_1878:
	s_mov_b64 s[0:1], 0
.LBB481_1879:
	s_andn2_b64 vcc, exec, s[0:1]
	s_cbranch_vccnz .LBB481_1895
; %bb.1880:
	s_cmp_lt_i32 s6, 2
	s_mov_b64 s[0:1], -1
	s_cbranch_scc1 .LBB481_1890
; %bb.1881:
	s_cmp_lt_i32 s6, 3
	s_cbranch_scc1 .LBB481_1887
; %bb.1882:
	s_cmp_gt_i32 s6, 3
	s_cbranch_scc0 .LBB481_1884
; %bb.1883:
	v_cvt_f32_f16_e32 v3, v1
	s_mov_b64 s[0:1], 0
	v_cvt_i32_f32_e32 v6, v3
	v_ashrrev_i32_e32 v7, 31, v6
	global_store_dwordx2 v[4:5], v[6:7], off
.LBB481_1884:
	s_andn2_b64 vcc, exec, s[0:1]
	s_cbranch_vccnz .LBB481_1886
; %bb.1885:
	v_cvt_f32_f16_e32 v3, v1
	v_cvt_i32_f32_e32 v3, v3
	global_store_dword v[4:5], v3, off
.LBB481_1886:
	s_mov_b64 s[0:1], 0
.LBB481_1887:
	s_andn2_b64 vcc, exec, s[0:1]
	s_cbranch_vccnz .LBB481_1889
; %bb.1888:
	v_cvt_i16_f16_e32 v3, v1
	global_store_short v[4:5], v3, off
.LBB481_1889:
	s_mov_b64 s[0:1], 0
.LBB481_1890:
	s_andn2_b64 vcc, exec, s[0:1]
	s_cbranch_vccnz .LBB481_1895
; %bb.1891:
	s_cmp_gt_i32 s6, 0
	s_mov_b64 s[0:1], -1
	s_cbranch_scc0 .LBB481_1893
; %bb.1892:
	v_cvt_i16_f16_e32 v3, v1
	global_store_byte v[4:5], v3, off
	s_mov_b64 s[0:1], 0
.LBB481_1893:
	s_andn2_b64 vcc, exec, s[0:1]
	s_cbranch_vccnz .LBB481_1895
; %bb.1894:
	v_cvt_f32_f16_e32 v1, v1
	v_cvt_i32_f32_e32 v1, v1
	global_store_byte v[4:5], v1, off
.LBB481_1895:
	s_mov_b64 s[8:9], -1
.LBB481_1896:
	s_andn2_b64 vcc, exec, s[8:9]
	s_cbranch_vccnz .LBB481_2092
; %bb.1897:
	v_cmp_u_f16_e32 vcc, v12, v12
	v_cmp_gt_f16_e64 s[0:1], s15, v12
	v_mov_b32_e32 v1, s15
	s_or_b64 vcc, vcc, s[0:1]
	v_mov_b32_e32 v3, 0
	v_cndmask_b32_e32 v1, v1, v12, vcc
	s_cmp_lt_i32 s14, 11
	v_lshl_add_u64 v[2:3], s[4:5], 0, v[2:3]
	s_cbranch_scc1 .LBB481_1975
; %bb.1898:
	s_and_b32 s16, 0xffff, s14
	s_mov_b64 s[10:11], -1
	s_mov_b64 s[6:7], 0
	s_cmp_gt_i32 s16, 25
	s_mov_b64 s[8:9], 0
	s_mov_b64 s[0:1], 0
	s_cbranch_scc0 .LBB481_1931
; %bb.1899:
	s_cmp_gt_i32 s16, 28
	s_cbranch_scc0 .LBB481_1914
; %bb.1900:
	s_cmp_gt_i32 s16, 43
	;; [unrolled: 3-line block ×3, first 2 shown]
	s_cbranch_scc0 .LBB481_1904
; %bb.1902:
	s_mov_b64 s[0:1], -1
	s_mov_b64 s[10:11], 0
	s_cmp_eq_u32 s16, 46
	s_cbranch_scc0 .LBB481_1904
; %bb.1903:
	v_cvt_f32_f16_e32 v4, v1
	s_movk_i32 s0, 0x7fff
	v_cmp_o_f16_e32 vcc, v1, v1
	v_mov_b32_e32 v5, 0x7fc0
	v_bfe_u32 v6, v4, 16, 1
	v_add3_u32 v4, v4, v6, s0
	v_cndmask_b32_sdwa v4, v5, v4, vcc dst_sel:DWORD dst_unused:UNUSED_PAD src0_sel:DWORD src1_sel:WORD_1
	global_store_dword v[2:3], v4, off
	s_mov_b64 s[0:1], 0
	s_mov_b64 s[8:9], -1
.LBB481_1904:
	s_and_b64 vcc, exec, s[10:11]
	s_cbranch_vccz .LBB481_1909
; %bb.1905:
	s_cmp_eq_u32 s16, 44
	s_mov_b64 s[0:1], -1
	s_cbranch_scc0 .LBB481_1909
; %bb.1906:
	v_cvt_f32_f16_e32 v4, v1
	s_movk_i32 s0, 0xff
	v_mov_b32_e32 v6, 0xff
	v_bfe_u32 v5, v4, 23, 8
	v_cmp_ne_u32_e32 vcc, s0, v5
	s_and_saveexec_b64 s[8:9], vcc
; %bb.1907:
	s_mov_b32 s0, 0x3fffff
	v_lshrrev_b32_e32 v6, 23, v4
	v_and_b32_e32 v7, 0x400000, v4
	v_and_or_b32 v4, v4, s0, v5
	v_cmp_ne_u32_e32 vcc, 0, v7
	v_cmp_ne_u32_e64 s[0:1], 0, v4
	s_and_b64 s[0:1], vcc, s[0:1]
	s_nop 0
	v_cndmask_b32_e64 v4, 0, 1, s[0:1]
	v_add_u32_e32 v6, v6, v4
; %bb.1908:
	s_or_b64 exec, exec, s[8:9]
	s_mov_b64 s[0:1], 0
	s_mov_b64 s[8:9], -1
	global_store_byte v[2:3], v6, off
.LBB481_1909:
	s_mov_b64 s[10:11], 0
.LBB481_1910:
	s_and_b64 vcc, exec, s[10:11]
	s_cbranch_vccz .LBB481_1913
; %bb.1911:
	s_cmp_eq_u32 s16, 29
	s_mov_b64 s[0:1], -1
	s_cbranch_scc0 .LBB481_1913
; %bb.1912:
	v_cvt_f32_f16_e32 v4, v1
	v_mov_b32_e32 v5, 0
	s_mov_b64 s[0:1], 0
	s_mov_b64 s[8:9], -1
	v_cvt_u32_f32_e32 v4, v4
	global_store_dwordx2 v[2:3], v[4:5], off
.LBB481_1913:
	s_mov_b64 s[10:11], 0
.LBB481_1914:
	s_and_b64 vcc, exec, s[10:11]
	s_cbranch_vccz .LBB481_1930
; %bb.1915:
	s_cmp_lt_i32 s16, 27
	s_mov_b64 s[8:9], -1
	s_cbranch_scc1 .LBB481_1921
; %bb.1916:
	s_cmp_gt_i32 s16, 27
	s_cbranch_scc0 .LBB481_1918
; %bb.1917:
	v_cvt_f32_f16_e32 v4, v1
	s_mov_b64 s[8:9], 0
	v_cvt_u32_f32_e32 v4, v4
	global_store_dword v[2:3], v4, off
.LBB481_1918:
	s_andn2_b64 vcc, exec, s[8:9]
	s_cbranch_vccnz .LBB481_1920
; %bb.1919:
	v_cvt_u16_f16_e32 v4, v1
	global_store_short v[2:3], v4, off
.LBB481_1920:
	s_mov_b64 s[8:9], 0
.LBB481_1921:
	s_andn2_b64 vcc, exec, s[8:9]
	s_cbranch_vccnz .LBB481_1929
; %bb.1922:
	v_cvt_f32_f16_e32 v4, v1
	s_mov_b32 s8, 0x43800000
	v_mov_b32_e32 v6, 0x80
	v_and_b32_e32 v5, 0x7fffffff, v4
	v_cmp_gt_u32_e32 vcc, s8, v5
	s_and_saveexec_b64 s[8:9], vcc
	s_cbranch_execz .LBB481_1928
; %bb.1923:
	s_mov_b32 s10, 0x3bffffff
	v_cmp_lt_u32_e32 vcc, s10, v5
	s_mov_b64 s[10:11], 0
                                        ; implicit-def: $vgpr5
	s_and_saveexec_b64 s[12:13], vcc
	s_xor_b64 s[12:13], exec, s[12:13]
	s_cbranch_execz .LBB481_2149
; %bb.1924:
	v_bfe_u32 v5, v4, 20, 1
	s_mov_b32 s17, 0x487ffff
	v_add3_u32 v5, v4, v5, s17
	s_mov_b64 s[10:11], exec
	v_lshrrev_b32_e32 v5, 20, v5
	s_andn2_saveexec_b64 s[12:13], s[12:13]
	s_cbranch_execnz .LBB481_2150
.LBB481_1925:
	s_or_b64 exec, exec, s[12:13]
	v_mov_b32_e32 v6, 0
	s_and_saveexec_b64 s[12:13], s[10:11]
.LBB481_1926:
	v_lshrrev_b32_e32 v4, 24, v4
	s_movk_i32 s10, 0x80
	v_and_or_b32 v6, v4, s10, v5
.LBB481_1927:
	s_or_b64 exec, exec, s[12:13]
.LBB481_1928:
	s_or_b64 exec, exec, s[8:9]
	global_store_byte v[2:3], v6, off
.LBB481_1929:
	s_mov_b64 s[8:9], -1
.LBB481_1930:
	s_mov_b64 s[10:11], 0
.LBB481_1931:
	s_and_b64 vcc, exec, s[10:11]
	s_cbranch_vccz .LBB481_1971
; %bb.1932:
	s_cmp_gt_i32 s16, 22
	s_mov_b64 s[6:7], -1
	s_cbranch_scc0 .LBB481_1964
; %bb.1933:
	s_cmp_lt_i32 s16, 24
	s_cbranch_scc1 .LBB481_1953
; %bb.1934:
	s_cmp_gt_i32 s16, 24
	s_cbranch_scc0 .LBB481_1942
; %bb.1935:
	v_cvt_f32_f16_e32 v4, v1
	s_mov_b32 s6, 0x47800000
	v_mov_b32_e32 v6, 0x80
	v_and_b32_e32 v5, 0x7fffffff, v4
	v_cmp_gt_u32_e32 vcc, s6, v5
	s_and_saveexec_b64 s[6:7], vcc
	s_cbranch_execz .LBB481_1941
; %bb.1936:
	s_mov_b32 s8, 0x37ffffff
	v_cmp_lt_u32_e32 vcc, s8, v5
	s_mov_b64 s[8:9], 0
                                        ; implicit-def: $vgpr5
	s_and_saveexec_b64 s[10:11], vcc
	s_xor_b64 s[10:11], exec, s[10:11]
	s_cbranch_execz .LBB481_2152
; %bb.1937:
	v_bfe_u32 v5, v4, 21, 1
	s_mov_b32 s12, 0x88fffff
	v_add3_u32 v5, v4, v5, s12
	s_mov_b64 s[8:9], exec
	v_lshrrev_b32_e32 v5, 21, v5
	s_andn2_saveexec_b64 s[10:11], s[10:11]
	s_cbranch_execnz .LBB481_2153
.LBB481_1938:
	s_or_b64 exec, exec, s[10:11]
	v_mov_b32_e32 v6, 0
	s_and_saveexec_b64 s[10:11], s[8:9]
.LBB481_1939:
	v_lshrrev_b32_e32 v4, 24, v4
	s_movk_i32 s8, 0x80
	v_and_or_b32 v6, v4, s8, v5
.LBB481_1940:
	s_or_b64 exec, exec, s[10:11]
.LBB481_1941:
	s_or_b64 exec, exec, s[6:7]
	s_mov_b64 s[6:7], 0
	global_store_byte v[2:3], v6, off
.LBB481_1942:
	s_and_b64 vcc, exec, s[6:7]
	s_cbranch_vccz .LBB481_1952
; %bb.1943:
	v_cvt_f32_f16_e32 v4, v1
	s_mov_b32 s6, 0x43f00000
                                        ; implicit-def: $vgpr5
	v_and_b32_e32 v6, 0x7fffffff, v4
	v_cmp_gt_u32_e32 vcc, s6, v6
	s_and_saveexec_b64 s[6:7], vcc
	s_xor_b64 s[6:7], exec, s[6:7]
	s_cbranch_execz .LBB481_1949
; %bb.1944:
	s_mov_b32 s8, 0x3c7fffff
	v_cmp_lt_u32_e32 vcc, s8, v6
                                        ; implicit-def: $vgpr5
	s_and_saveexec_b64 s[8:9], vcc
	s_xor_b64 s[8:9], exec, s[8:9]
; %bb.1945:
	v_bfe_u32 v5, v4, 20, 1
	s_mov_b32 s10, 0x407ffff
	v_add3_u32 v5, v4, v5, s10
	v_lshrrev_b32_e32 v6, 20, v5
	v_and_b32_e32 v5, 0xff00000, v5
	s_mov_b32 s10, 0x7f00000
	v_mov_b32_e32 v7, 0x7e
	v_cmp_ne_u32_e32 vcc, s10, v5
	s_nop 1
	v_cndmask_b32_e32 v5, v7, v6, vcc
; %bb.1946:
	s_andn2_saveexec_b64 s[8:9], s[8:9]
; %bb.1947:
	s_mov_b32 s10, 0x46800000
	v_add_f32_e64 v5, |v4|, s10
; %bb.1948:
	s_or_b64 exec, exec, s[8:9]
                                        ; implicit-def: $vgpr6
.LBB481_1949:
	s_andn2_saveexec_b64 s[6:7], s[6:7]
; %bb.1950:
	s_mov_b32 s8, 0x7f800000
	v_mov_b32_e32 v5, 0x7e
	v_mov_b32_e32 v7, 0x7f
	v_cmp_lt_u32_e32 vcc, s8, v6
	s_nop 1
	v_cndmask_b32_e32 v5, v5, v7, vcc
; %bb.1951:
	s_or_b64 exec, exec, s[6:7]
	v_lshrrev_b32_e32 v4, 24, v4
	s_movk_i32 s6, 0x80
	v_and_or_b32 v4, v4, s6, v5
	global_store_byte v[2:3], v4, off
.LBB481_1952:
	s_mov_b64 s[6:7], 0
.LBB481_1953:
	s_andn2_b64 vcc, exec, s[6:7]
	s_cbranch_vccnz .LBB481_1963
; %bb.1954:
	v_cvt_f32_f16_e32 v4, v1
	s_mov_b32 s6, 0x47800000
                                        ; implicit-def: $vgpr5
	v_and_b32_e32 v6, 0x7fffffff, v4
	v_cmp_gt_u32_e32 vcc, s6, v6
	s_and_saveexec_b64 s[6:7], vcc
	s_xor_b64 s[6:7], exec, s[6:7]
	s_cbranch_execz .LBB481_1960
; %bb.1955:
	s_mov_b32 s8, 0x387fffff
	v_cmp_lt_u32_e32 vcc, s8, v6
                                        ; implicit-def: $vgpr5
	s_and_saveexec_b64 s[8:9], vcc
	s_xor_b64 s[8:9], exec, s[8:9]
; %bb.1956:
	v_bfe_u32 v5, v4, 21, 1
	s_mov_b32 s10, 0x80fffff
	v_add3_u32 v5, v4, v5, s10
	v_lshrrev_b32_e32 v5, 21, v5
; %bb.1957:
	s_andn2_saveexec_b64 s[8:9], s[8:9]
; %bb.1958:
	s_mov_b32 s10, 0x43000000
	v_add_f32_e64 v5, |v4|, s10
; %bb.1959:
	s_or_b64 exec, exec, s[8:9]
                                        ; implicit-def: $vgpr6
.LBB481_1960:
	s_andn2_saveexec_b64 s[6:7], s[6:7]
; %bb.1961:
	s_mov_b32 s8, 0x7f800000
	v_mov_b32_e32 v5, 0x7c
	v_mov_b32_e32 v7, 0x7f
	v_cmp_lt_u32_e32 vcc, s8, v6
	s_nop 1
	v_cndmask_b32_e32 v5, v5, v7, vcc
; %bb.1962:
	s_or_b64 exec, exec, s[6:7]
	v_lshrrev_b32_e32 v4, 24, v4
	s_movk_i32 s6, 0x80
	v_and_or_b32 v4, v4, s6, v5
	global_store_byte v[2:3], v4, off
.LBB481_1963:
	s_mov_b64 s[6:7], 0
	s_mov_b64 s[8:9], -1
.LBB481_1964:
	s_andn2_b64 vcc, exec, s[6:7]
	s_mov_b64 s[6:7], 0
	s_cbranch_vccnz .LBB481_1971
; %bb.1965:
	s_cmp_gt_i32 s16, 14
	s_mov_b64 s[10:11], -1
	s_cbranch_scc0 .LBB481_1969
; %bb.1966:
	s_cmp_eq_u32 s16, 15
	s_mov_b64 s[0:1], -1
	s_cbranch_scc0 .LBB481_1968
; %bb.1967:
	v_cvt_f32_f16_e32 v4, v1
	s_movk_i32 s0, 0x7fff
	v_cmp_o_f16_e32 vcc, v1, v1
	v_mov_b32_e32 v5, 0x7fc0
	v_bfe_u32 v6, v4, 16, 1
	v_add3_u32 v4, v4, v6, s0
	v_cndmask_b32_sdwa v4, v5, v4, vcc dst_sel:DWORD dst_unused:UNUSED_PAD src0_sel:DWORD src1_sel:WORD_1
	global_store_short v[2:3], v4, off
	s_mov_b64 s[0:1], 0
	s_mov_b64 s[8:9], -1
.LBB481_1968:
	s_mov_b64 s[10:11], 0
.LBB481_1969:
	s_and_b64 vcc, exec, s[10:11]
	s_cbranch_vccz .LBB481_1971
; %bb.1970:
	s_cmp_lg_u32 s16, 11
	s_mov_b64 s[6:7], -1
	s_cselect_b64 s[0:1], -1, 0
.LBB481_1971:
	s_and_b64 vcc, exec, s[0:1]
	s_cbranch_vccnz .LBB481_2151
; %bb.1972:
	s_andn2_b64 vcc, exec, s[6:7]
	s_cbranch_vccnz .LBB481_1974
.LBB481_1973:
	v_and_b32_e32 v4, 0x7fff, v1
	v_cmp_ne_u16_e32 vcc, 0, v4
	s_mov_b64 s[8:9], -1
	s_nop 0
	v_cndmask_b32_e64 v4, 0, 1, vcc
	global_store_byte v[2:3], v4, off
.LBB481_1974:
	s_mov_b64 s[0:1], 0
	s_branch .LBB481_1976
.LBB481_1975:
	s_mov_b64 s[0:1], -1
	s_mov_b64 s[8:9], 0
.LBB481_1976:
	s_and_b64 vcc, exec, s[0:1]
	s_cbranch_vccz .LBB481_2015
; %bb.1977:
	s_and_b32 s6, 0xffff, s14
	s_cmp_lt_i32 s6, 5
	s_mov_b64 s[0:1], -1
	s_cbranch_scc1 .LBB481_1998
; %bb.1978:
	s_cmp_lt_i32 s6, 8
	s_cbranch_scc1 .LBB481_1988
; %bb.1979:
	s_cmp_lt_i32 s6, 9
	s_cbranch_scc1 .LBB481_1985
; %bb.1980:
	s_cmp_gt_i32 s6, 9
	s_cbranch_scc0 .LBB481_1982
; %bb.1981:
	v_cvt_f32_f16_e32 v4, v1
	v_mov_b32_e32 v6, 0
	v_mov_b32_e32 v7, v6
	s_mov_b64 s[0:1], 0
	v_cvt_f64_f32_e32 v[4:5], v4
	global_store_dwordx4 v[2:3], v[4:7], off
.LBB481_1982:
	s_andn2_b64 vcc, exec, s[0:1]
	s_cbranch_vccnz .LBB481_1984
; %bb.1983:
	v_cvt_f32_f16_e32 v4, v1
	v_mov_b32_e32 v5, 0
	global_store_dwordx2 v[2:3], v[4:5], off
.LBB481_1984:
	s_mov_b64 s[0:1], 0
.LBB481_1985:
	s_andn2_b64 vcc, exec, s[0:1]
	s_cbranch_vccnz .LBB481_1987
; %bb.1986:
	v_and_b32_e32 v4, 0xffff, v1
	global_store_dword v[2:3], v4, off
.LBB481_1987:
	s_mov_b64 s[0:1], 0
.LBB481_1988:
	s_andn2_b64 vcc, exec, s[0:1]
	s_cbranch_vccnz .LBB481_1997
; %bb.1989:
	s_cmp_lt_i32 s6, 6
	s_mov_b64 s[0:1], -1
	s_cbranch_scc1 .LBB481_1995
; %bb.1990:
	s_cmp_gt_i32 s6, 6
	s_cbranch_scc0 .LBB481_1992
; %bb.1991:
	v_cvt_f32_f16_e32 v4, v1
	s_mov_b64 s[0:1], 0
	v_cvt_f64_f32_e32 v[4:5], v4
	global_store_dwordx2 v[2:3], v[4:5], off
.LBB481_1992:
	s_andn2_b64 vcc, exec, s[0:1]
	s_cbranch_vccnz .LBB481_1994
; %bb.1993:
	v_cvt_f32_f16_e32 v4, v1
	global_store_dword v[2:3], v4, off
.LBB481_1994:
	s_mov_b64 s[0:1], 0
.LBB481_1995:
	s_andn2_b64 vcc, exec, s[0:1]
	s_cbranch_vccnz .LBB481_1997
; %bb.1996:
	global_store_short v[2:3], v1, off
.LBB481_1997:
	s_mov_b64 s[0:1], 0
.LBB481_1998:
	s_andn2_b64 vcc, exec, s[0:1]
	s_cbranch_vccnz .LBB481_2014
; %bb.1999:
	s_cmp_lt_i32 s6, 2
	s_mov_b64 s[0:1], -1
	s_cbranch_scc1 .LBB481_2009
; %bb.2000:
	s_cmp_lt_i32 s6, 3
	s_cbranch_scc1 .LBB481_2006
; %bb.2001:
	s_cmp_gt_i32 s6, 3
	s_cbranch_scc0 .LBB481_2003
; %bb.2002:
	v_cvt_f32_f16_e32 v4, v1
	s_mov_b64 s[0:1], 0
	v_cvt_i32_f32_e32 v4, v4
	v_ashrrev_i32_e32 v5, 31, v4
	global_store_dwordx2 v[2:3], v[4:5], off
.LBB481_2003:
	s_andn2_b64 vcc, exec, s[0:1]
	s_cbranch_vccnz .LBB481_2005
; %bb.2004:
	v_cvt_f32_f16_e32 v4, v1
	v_cvt_i32_f32_e32 v4, v4
	global_store_dword v[2:3], v4, off
.LBB481_2005:
	s_mov_b64 s[0:1], 0
.LBB481_2006:
	s_andn2_b64 vcc, exec, s[0:1]
	s_cbranch_vccnz .LBB481_2008
; %bb.2007:
	v_cvt_i16_f16_e32 v4, v1
	global_store_short v[2:3], v4, off
.LBB481_2008:
	s_mov_b64 s[0:1], 0
.LBB481_2009:
	s_andn2_b64 vcc, exec, s[0:1]
	s_cbranch_vccnz .LBB481_2014
; %bb.2010:
	s_cmp_gt_i32 s6, 0
	s_mov_b64 s[0:1], -1
	s_cbranch_scc0 .LBB481_2012
; %bb.2011:
	v_cvt_i16_f16_e32 v4, v1
	global_store_byte v[2:3], v4, off
	s_mov_b64 s[0:1], 0
.LBB481_2012:
	s_andn2_b64 vcc, exec, s[0:1]
	s_cbranch_vccnz .LBB481_2014
; %bb.2013:
	v_cvt_f32_f16_e32 v1, v1
	v_cvt_i32_f32_e32 v1, v1
	global_store_byte v[2:3], v1, off
.LBB481_2014:
	s_mov_b64 s[8:9], -1
.LBB481_2015:
	s_andn2_b64 vcc, exec, s[8:9]
	s_cbranch_vccnz .LBB481_2092
; %bb.2016:
	v_cmp_u_f16_e32 vcc, v10, v10
	v_cmp_gt_f16_e64 s[0:1], s15, v10
	v_mov_b32_e32 v1, s15
	s_or_b64 vcc, vcc, s[0:1]
	v_cndmask_b32_e32 v2, v1, v10, vcc
	v_mov_b32_e32 v1, 0
	s_cmp_lt_i32 s14, 11
	v_lshl_add_u64 v[0:1], s[4:5], 0, v[0:1]
	s_cbranch_scc1 .LBB481_2137
; %bb.2017:
	s_and_b32 s12, 0xffff, s14
	s_mov_b64 s[6:7], -1
	s_mov_b64 s[4:5], 0
	s_cmp_gt_i32 s12, 25
	s_mov_b64 s[0:1], 0
	s_cbranch_scc0 .LBB481_2050
; %bb.2018:
	s_cmp_gt_i32 s12, 28
	s_cbranch_scc0 .LBB481_2034
; %bb.2019:
	s_cmp_gt_i32 s12, 43
	;; [unrolled: 3-line block ×3, first 2 shown]
	s_cbranch_scc0 .LBB481_2024
; %bb.2021:
	s_cmp_eq_u32 s12, 46
	s_mov_b64 s[0:1], -1
	s_cbranch_scc0 .LBB481_2023
; %bb.2022:
	v_cvt_f32_f16_e32 v3, v2
	s_movk_i32 s0, 0x7fff
	v_cmp_o_f16_e32 vcc, v2, v2
	v_mov_b32_e32 v4, 0x7fc0
	v_bfe_u32 v5, v3, 16, 1
	v_add3_u32 v3, v3, v5, s0
	v_cndmask_b32_sdwa v3, v4, v3, vcc dst_sel:DWORD dst_unused:UNUSED_PAD src0_sel:DWORD src1_sel:WORD_1
	global_store_dword v[0:1], v3, off
	s_mov_b64 s[0:1], 0
.LBB481_2023:
	s_mov_b64 s[6:7], 0
.LBB481_2024:
	s_and_b64 vcc, exec, s[6:7]
	s_cbranch_vccz .LBB481_2029
; %bb.2025:
	s_cmp_eq_u32 s12, 44
	s_mov_b64 s[0:1], -1
	s_cbranch_scc0 .LBB481_2029
; %bb.2026:
	v_cvt_f32_f16_e32 v3, v2
	s_movk_i32 s0, 0xff
	v_mov_b32_e32 v5, 0xff
	v_bfe_u32 v4, v3, 23, 8
	v_cmp_ne_u32_e32 vcc, s0, v4
	s_and_saveexec_b64 s[6:7], vcc
; %bb.2027:
	s_mov_b32 s0, 0x3fffff
	v_lshrrev_b32_e32 v5, 23, v3
	v_and_b32_e32 v6, 0x400000, v3
	v_and_or_b32 v3, v3, s0, v4
	v_cmp_ne_u32_e32 vcc, 0, v6
	v_cmp_ne_u32_e64 s[0:1], 0, v3
	s_and_b64 s[0:1], vcc, s[0:1]
	s_nop 0
	v_cndmask_b32_e64 v3, 0, 1, s[0:1]
	v_add_u32_e32 v5, v5, v3
; %bb.2028:
	s_or_b64 exec, exec, s[6:7]
	s_mov_b64 s[0:1], 0
	global_store_byte v[0:1], v5, off
.LBB481_2029:
	s_mov_b64 s[6:7], 0
.LBB481_2030:
	s_and_b64 vcc, exec, s[6:7]
	s_cbranch_vccz .LBB481_2033
; %bb.2031:
	s_cmp_eq_u32 s12, 29
	s_mov_b64 s[0:1], -1
	s_cbranch_scc0 .LBB481_2033
; %bb.2032:
	v_cvt_f32_f16_e32 v3, v2
	v_mov_b32_e32 v5, 0
	s_mov_b64 s[0:1], 0
	v_cvt_u32_f32_e32 v4, v3
	global_store_dwordx2 v[0:1], v[4:5], off
.LBB481_2033:
	s_mov_b64 s[6:7], 0
.LBB481_2034:
	s_and_b64 vcc, exec, s[6:7]
	s_cbranch_vccz .LBB481_2049
; %bb.2035:
	s_cmp_lt_i32 s12, 27
	s_mov_b64 s[6:7], -1
	s_cbranch_scc1 .LBB481_2041
; %bb.2036:
	s_cmp_gt_i32 s12, 27
	s_cbranch_scc0 .LBB481_2038
; %bb.2037:
	v_cvt_f32_f16_e32 v3, v2
	s_mov_b64 s[6:7], 0
	v_cvt_u32_f32_e32 v3, v3
	global_store_dword v[0:1], v3, off
.LBB481_2038:
	s_andn2_b64 vcc, exec, s[6:7]
	s_cbranch_vccnz .LBB481_2040
; %bb.2039:
	v_cvt_u16_f16_e32 v3, v2
	global_store_short v[0:1], v3, off
.LBB481_2040:
	s_mov_b64 s[6:7], 0
.LBB481_2041:
	s_andn2_b64 vcc, exec, s[6:7]
	s_cbranch_vccnz .LBB481_2049
; %bb.2042:
	v_cvt_f32_f16_e32 v3, v2
	s_mov_b32 s6, 0x43800000
	v_mov_b32_e32 v5, 0x80
	v_and_b32_e32 v4, 0x7fffffff, v3
	v_cmp_gt_u32_e32 vcc, s6, v4
	s_and_saveexec_b64 s[6:7], vcc
	s_cbranch_execz .LBB481_2048
; %bb.2043:
	s_mov_b32 s8, 0x3bffffff
	v_cmp_lt_u32_e32 vcc, s8, v4
	s_mov_b64 s[8:9], 0
                                        ; implicit-def: $vgpr4
	s_and_saveexec_b64 s[10:11], vcc
	s_xor_b64 s[10:11], exec, s[10:11]
	s_cbranch_execz .LBB481_2154
; %bb.2044:
	v_bfe_u32 v4, v3, 20, 1
	s_mov_b32 s13, 0x487ffff
	v_add3_u32 v4, v3, v4, s13
	s_mov_b64 s[8:9], exec
	v_lshrrev_b32_e32 v4, 20, v4
	s_andn2_saveexec_b64 s[10:11], s[10:11]
	s_cbranch_execnz .LBB481_2155
.LBB481_2045:
	s_or_b64 exec, exec, s[10:11]
	v_mov_b32_e32 v5, 0
	s_and_saveexec_b64 s[10:11], s[8:9]
.LBB481_2046:
	v_lshrrev_b32_e32 v3, 24, v3
	s_movk_i32 s8, 0x80
	v_and_or_b32 v5, v3, s8, v4
.LBB481_2047:
	s_or_b64 exec, exec, s[10:11]
.LBB481_2048:
	s_or_b64 exec, exec, s[6:7]
	global_store_byte v[0:1], v5, off
.LBB481_2049:
	s_mov_b64 s[6:7], 0
.LBB481_2050:
	s_and_b64 vcc, exec, s[6:7]
	s_cbranch_vccz .LBB481_2090
; %bb.2051:
	s_cmp_gt_i32 s12, 22
	s_mov_b64 s[4:5], -1
	s_cbranch_scc0 .LBB481_2083
; %bb.2052:
	s_cmp_lt_i32 s12, 24
	s_cbranch_scc1 .LBB481_2072
; %bb.2053:
	s_cmp_gt_i32 s12, 24
	s_cbranch_scc0 .LBB481_2061
; %bb.2054:
	v_cvt_f32_f16_e32 v3, v2
	s_mov_b32 s4, 0x47800000
	v_mov_b32_e32 v5, 0x80
	v_and_b32_e32 v4, 0x7fffffff, v3
	v_cmp_gt_u32_e32 vcc, s4, v4
	s_and_saveexec_b64 s[4:5], vcc
	s_cbranch_execz .LBB481_2060
; %bb.2055:
	s_mov_b32 s6, 0x37ffffff
	v_cmp_lt_u32_e32 vcc, s6, v4
	s_mov_b64 s[6:7], 0
                                        ; implicit-def: $vgpr4
	s_and_saveexec_b64 s[8:9], vcc
	s_xor_b64 s[8:9], exec, s[8:9]
	s_cbranch_execz .LBB481_2157
; %bb.2056:
	v_bfe_u32 v4, v3, 21, 1
	s_mov_b32 s10, 0x88fffff
	v_add3_u32 v4, v3, v4, s10
	s_mov_b64 s[6:7], exec
	v_lshrrev_b32_e32 v4, 21, v4
	s_andn2_saveexec_b64 s[8:9], s[8:9]
	s_cbranch_execnz .LBB481_2158
.LBB481_2057:
	s_or_b64 exec, exec, s[8:9]
	v_mov_b32_e32 v5, 0
	s_and_saveexec_b64 s[8:9], s[6:7]
.LBB481_2058:
	v_lshrrev_b32_e32 v3, 24, v3
	s_movk_i32 s6, 0x80
	v_and_or_b32 v5, v3, s6, v4
.LBB481_2059:
	s_or_b64 exec, exec, s[8:9]
.LBB481_2060:
	s_or_b64 exec, exec, s[4:5]
	s_mov_b64 s[4:5], 0
	global_store_byte v[0:1], v5, off
.LBB481_2061:
	s_and_b64 vcc, exec, s[4:5]
	s_cbranch_vccz .LBB481_2071
; %bb.2062:
	v_cvt_f32_f16_e32 v3, v2
	s_mov_b32 s4, 0x43f00000
                                        ; implicit-def: $vgpr4
	v_and_b32_e32 v5, 0x7fffffff, v3
	v_cmp_gt_u32_e32 vcc, s4, v5
	s_and_saveexec_b64 s[4:5], vcc
	s_xor_b64 s[4:5], exec, s[4:5]
	s_cbranch_execz .LBB481_2068
; %bb.2063:
	s_mov_b32 s6, 0x3c7fffff
	v_cmp_lt_u32_e32 vcc, s6, v5
                                        ; implicit-def: $vgpr4
	s_and_saveexec_b64 s[6:7], vcc
	s_xor_b64 s[6:7], exec, s[6:7]
; %bb.2064:
	v_bfe_u32 v4, v3, 20, 1
	s_mov_b32 s8, 0x407ffff
	v_add3_u32 v4, v3, v4, s8
	v_lshrrev_b32_e32 v5, 20, v4
	v_and_b32_e32 v4, 0xff00000, v4
	s_mov_b32 s8, 0x7f00000
	v_mov_b32_e32 v6, 0x7e
	v_cmp_ne_u32_e32 vcc, s8, v4
	s_nop 1
	v_cndmask_b32_e32 v4, v6, v5, vcc
; %bb.2065:
	s_andn2_saveexec_b64 s[6:7], s[6:7]
; %bb.2066:
	s_mov_b32 s8, 0x46800000
	v_add_f32_e64 v4, |v3|, s8
; %bb.2067:
	s_or_b64 exec, exec, s[6:7]
                                        ; implicit-def: $vgpr5
.LBB481_2068:
	s_andn2_saveexec_b64 s[4:5], s[4:5]
; %bb.2069:
	s_mov_b32 s6, 0x7f800000
	v_mov_b32_e32 v4, 0x7e
	v_mov_b32_e32 v6, 0x7f
	v_cmp_lt_u32_e32 vcc, s6, v5
	s_nop 1
	v_cndmask_b32_e32 v4, v4, v6, vcc
; %bb.2070:
	s_or_b64 exec, exec, s[4:5]
	v_lshrrev_b32_e32 v3, 24, v3
	s_movk_i32 s4, 0x80
	v_and_or_b32 v3, v3, s4, v4
	global_store_byte v[0:1], v3, off
.LBB481_2071:
	s_mov_b64 s[4:5], 0
.LBB481_2072:
	s_andn2_b64 vcc, exec, s[4:5]
	s_cbranch_vccnz .LBB481_2082
; %bb.2073:
	v_cvt_f32_f16_e32 v3, v2
	s_mov_b32 s4, 0x47800000
                                        ; implicit-def: $vgpr4
	v_and_b32_e32 v5, 0x7fffffff, v3
	v_cmp_gt_u32_e32 vcc, s4, v5
	s_and_saveexec_b64 s[4:5], vcc
	s_xor_b64 s[4:5], exec, s[4:5]
	s_cbranch_execz .LBB481_2079
; %bb.2074:
	s_mov_b32 s6, 0x387fffff
	v_cmp_lt_u32_e32 vcc, s6, v5
                                        ; implicit-def: $vgpr4
	s_and_saveexec_b64 s[6:7], vcc
	s_xor_b64 s[6:7], exec, s[6:7]
; %bb.2075:
	v_bfe_u32 v4, v3, 21, 1
	s_mov_b32 s8, 0x80fffff
	v_add3_u32 v4, v3, v4, s8
	v_lshrrev_b32_e32 v4, 21, v4
; %bb.2076:
	s_andn2_saveexec_b64 s[6:7], s[6:7]
; %bb.2077:
	s_mov_b32 s8, 0x43000000
	v_add_f32_e64 v4, |v3|, s8
; %bb.2078:
	s_or_b64 exec, exec, s[6:7]
                                        ; implicit-def: $vgpr5
.LBB481_2079:
	s_andn2_saveexec_b64 s[4:5], s[4:5]
; %bb.2080:
	s_mov_b32 s6, 0x7f800000
	v_mov_b32_e32 v4, 0x7c
	v_mov_b32_e32 v6, 0x7f
	v_cmp_lt_u32_e32 vcc, s6, v5
	s_nop 1
	v_cndmask_b32_e32 v4, v4, v6, vcc
; %bb.2081:
	s_or_b64 exec, exec, s[4:5]
	v_lshrrev_b32_e32 v3, 24, v3
	s_movk_i32 s4, 0x80
	v_and_or_b32 v3, v3, s4, v4
	global_store_byte v[0:1], v3, off
.LBB481_2082:
	s_mov_b64 s[4:5], 0
.LBB481_2083:
	s_andn2_b64 vcc, exec, s[4:5]
	s_mov_b64 s[4:5], 0
	s_cbranch_vccnz .LBB481_2090
; %bb.2084:
	s_cmp_gt_i32 s12, 14
	s_mov_b64 s[6:7], -1
	s_cbranch_scc0 .LBB481_2088
; %bb.2085:
	s_cmp_eq_u32 s12, 15
	s_mov_b64 s[0:1], -1
	s_cbranch_scc0 .LBB481_2087
; %bb.2086:
	v_cvt_f32_f16_e32 v3, v2
	s_movk_i32 s0, 0x7fff
	v_cmp_o_f16_e32 vcc, v2, v2
	v_mov_b32_e32 v4, 0x7fc0
	v_bfe_u32 v5, v3, 16, 1
	v_add3_u32 v3, v3, v5, s0
	v_cndmask_b32_sdwa v3, v4, v3, vcc dst_sel:DWORD dst_unused:UNUSED_PAD src0_sel:DWORD src1_sel:WORD_1
	global_store_short v[0:1], v3, off
	s_mov_b64 s[0:1], 0
.LBB481_2087:
	s_mov_b64 s[6:7], 0
.LBB481_2088:
	s_and_b64 vcc, exec, s[6:7]
	s_cbranch_vccz .LBB481_2090
; %bb.2089:
	s_cmp_lg_u32 s12, 11
	s_mov_b64 s[4:5], -1
	s_cselect_b64 s[0:1], -1, 0
.LBB481_2090:
	s_and_b64 vcc, exec, s[0:1]
	s_cbranch_vccnz .LBB481_2156
.LBB481_2091:
	s_mov_b64 s[0:1], 0
	s_branch .LBB481_2093
.LBB481_2092:
	s_mov_b64 s[0:1], 0
	s_mov_b64 s[4:5], 0
                                        ; implicit-def: $vgpr0_vgpr1
                                        ; implicit-def: $sgpr14
                                        ; implicit-def: $vgpr2
.LBB481_2093:
	s_and_b64 s[6:7], s[0:1], exec
	s_andn2_b64 s[0:1], s[24:25], exec
	s_and_b64 s[2:3], s[2:3], exec
	s_and_b64 s[40:41], s[4:5], exec
	s_or_b64 s[24:25], s[0:1], s[2:3]
.LBB481_2094:
	s_or_b64 exec, exec, s[26:27]
	s_and_saveexec_b64 s[0:1], s[24:25]
	s_cbranch_execz .LBB481_2097
; %bb.2095:
	; divergent unreachable
	s_or_b64 exec, exec, s[0:1]
	s_and_saveexec_b64 s[0:1], s[40:41]
	s_xor_b64 s[0:1], exec, s[0:1]
	s_cbranch_execnz .LBB481_2098
.LBB481_2096:
	s_or_b64 exec, exec, s[0:1]
	s_and_saveexec_b64 s[0:1], s[6:7]
	s_cbranch_execnz .LBB481_2099
	s_branch .LBB481_2136
.LBB481_2097:
	s_or_b64 exec, exec, s[0:1]
	s_and_saveexec_b64 s[0:1], s[40:41]
	s_xor_b64 s[0:1], exec, s[0:1]
	s_cbranch_execz .LBB481_2096
.LBB481_2098:
	s_waitcnt vmcnt(0)
	v_and_b32_e32 v3, 0x7fff, v2
	v_cmp_ne_u16_e32 vcc, 0, v3
	s_nop 1
	v_cndmask_b32_e64 v3, 0, 1, vcc
	global_store_byte v[0:1], v3, off
	s_or_b64 exec, exec, s[0:1]
	s_and_saveexec_b64 s[0:1], s[6:7]
	s_cbranch_execz .LBB481_2136
.LBB481_2099:
	s_sext_i32_i16 s2, s14
	s_cmp_lt_i32 s2, 5
	s_mov_b64 s[0:1], -1
	s_cbranch_scc1 .LBB481_2120
; %bb.2100:
	s_cmp_lt_i32 s2, 8
	s_cbranch_scc1 .LBB481_2110
; %bb.2101:
	s_cmp_lt_i32 s2, 9
	s_cbranch_scc1 .LBB481_2107
; %bb.2102:
	s_cmp_gt_i32 s2, 9
	s_cbranch_scc0 .LBB481_2104
; %bb.2103:
	s_waitcnt vmcnt(0)
	v_cvt_f32_f16_e32 v3, v2
	v_mov_b32_e32 v6, 0
	v_mov_b32_e32 v7, v6
	s_mov_b64 s[0:1], 0
	v_cvt_f64_f32_e32 v[4:5], v3
	global_store_dwordx4 v[0:1], v[4:7], off
.LBB481_2104:
	s_andn2_b64 vcc, exec, s[0:1]
	s_cbranch_vccnz .LBB481_2106
; %bb.2105:
	v_cvt_f32_f16_e32 v4, v2
	v_mov_b32_e32 v5, 0
	s_waitcnt vmcnt(0)
	global_store_dwordx2 v[0:1], v[4:5], off
.LBB481_2106:
	s_mov_b64 s[0:1], 0
.LBB481_2107:
	s_andn2_b64 vcc, exec, s[0:1]
	s_cbranch_vccnz .LBB481_2109
; %bb.2108:
	s_waitcnt vmcnt(0)
	v_and_b32_e32 v3, 0xffff, v2
	global_store_dword v[0:1], v3, off
.LBB481_2109:
	s_mov_b64 s[0:1], 0
.LBB481_2110:
	s_andn2_b64 vcc, exec, s[0:1]
	s_cbranch_vccnz .LBB481_2119
; %bb.2111:
	s_sext_i32_i16 s2, s14
	s_cmp_lt_i32 s2, 6
	s_mov_b64 s[0:1], -1
	s_cbranch_scc1 .LBB481_2117
; %bb.2112:
	s_cmp_gt_i32 s2, 6
	s_cbranch_scc0 .LBB481_2114
; %bb.2113:
	s_waitcnt vmcnt(0)
	v_cvt_f32_f16_e32 v3, v2
	s_mov_b64 s[0:1], 0
	v_cvt_f64_f32_e32 v[4:5], v3
	global_store_dwordx2 v[0:1], v[4:5], off
.LBB481_2114:
	s_andn2_b64 vcc, exec, s[0:1]
	s_cbranch_vccnz .LBB481_2116
; %bb.2115:
	s_waitcnt vmcnt(0)
	v_cvt_f32_f16_e32 v3, v2
	global_store_dword v[0:1], v3, off
.LBB481_2116:
	s_mov_b64 s[0:1], 0
.LBB481_2117:
	s_andn2_b64 vcc, exec, s[0:1]
	s_cbranch_vccnz .LBB481_2119
; %bb.2118:
	s_waitcnt vmcnt(0)
	global_store_short v[0:1], v2, off
.LBB481_2119:
	s_mov_b64 s[0:1], 0
.LBB481_2120:
	s_andn2_b64 vcc, exec, s[0:1]
	s_cbranch_vccnz .LBB481_2136
; %bb.2121:
	s_sext_i32_i16 s2, s14
	s_cmp_lt_i32 s2, 2
	s_mov_b64 s[0:1], -1
	s_cbranch_scc1 .LBB481_2131
; %bb.2122:
	s_cmp_lt_i32 s2, 3
	s_cbranch_scc1 .LBB481_2128
; %bb.2123:
	s_cmp_gt_i32 s2, 3
	s_cbranch_scc0 .LBB481_2125
; %bb.2124:
	s_waitcnt vmcnt(0)
	v_cvt_f32_f16_e32 v3, v2
	s_mov_b64 s[0:1], 0
	v_cvt_i32_f32_e32 v4, v3
	v_ashrrev_i32_e32 v5, 31, v4
	global_store_dwordx2 v[0:1], v[4:5], off
.LBB481_2125:
	s_andn2_b64 vcc, exec, s[0:1]
	s_cbranch_vccnz .LBB481_2127
; %bb.2126:
	s_waitcnt vmcnt(0)
	v_cvt_f32_f16_e32 v3, v2
	v_cvt_i32_f32_e32 v3, v3
	global_store_dword v[0:1], v3, off
.LBB481_2127:
	s_mov_b64 s[0:1], 0
.LBB481_2128:
	s_andn2_b64 vcc, exec, s[0:1]
	s_cbranch_vccnz .LBB481_2130
; %bb.2129:
	s_waitcnt vmcnt(0)
	v_cvt_i16_f16_e32 v3, v2
	global_store_short v[0:1], v3, off
.LBB481_2130:
	s_mov_b64 s[0:1], 0
.LBB481_2131:
	s_andn2_b64 vcc, exec, s[0:1]
	s_cbranch_vccnz .LBB481_2136
; %bb.2132:
	s_sext_i32_i16 s0, s14
	s_cmp_gt_i32 s0, 0
	s_mov_b64 s[0:1], -1
	s_cbranch_scc0 .LBB481_2134
; %bb.2133:
	s_waitcnt vmcnt(0)
	v_cvt_i16_f16_e32 v3, v2
	global_store_byte v[0:1], v3, off
	s_mov_b64 s[0:1], 0
.LBB481_2134:
	s_andn2_b64 vcc, exec, s[0:1]
	s_cbranch_vccnz .LBB481_2136
; %bb.2135:
	v_cvt_f32_f16_e32 v2, v2
	v_cvt_i32_f32_e32 v2, v2
	s_waitcnt vmcnt(0)
	global_store_byte v[0:1], v2, off
	s_endpgm
.LBB481_2136:
	s_endpgm
.LBB481_2137:
	s_mov_b64 s[4:5], 0
	s_mov_b64 s[0:1], -1
	s_branch .LBB481_2093
.LBB481_2138:
	s_trap 2
	s_or_b64 s[2:3], s[2:3], exec
	s_cbranch_execz .LBB481_1607
	s_branch .LBB481_1608
.LBB481_2139:
	s_andn2_saveexec_b64 s[12:13], s[12:13]
	s_cbranch_execz .LBB481_1687
.LBB481_2140:
	s_mov_b32 s18, 0x46000000
	v_add_f32_e64 v8, |v5|, s18
	v_and_b32_e32 v8, 0xff, v8
	v_cmp_ne_u32_e32 vcc, 0, v8
	s_andn2_b64 s[10:11], s[10:11], exec
	s_and_b64 s[18:19], vcc, exec
	s_or_b64 s[10:11], s[10:11], s[18:19]
	s_or_b64 exec, exec, s[12:13]
	v_mov_b32_e32 v9, 0
	s_and_saveexec_b64 s[12:13], s[10:11]
	s_cbranch_execnz .LBB481_1688
	s_branch .LBB481_1689
.LBB481_2141:
	s_trap 2
	s_or_b64 s[2:3], s[2:3], exec
	s_cbranch_execz .LBB481_1735
	s_branch .LBB481_1736
.LBB481_2142:
	s_andn2_saveexec_b64 s[10:11], s[10:11]
	s_cbranch_execz .LBB481_1700
.LBB481_2143:
	s_mov_b32 s12, 0x42800000
	v_add_f32_e64 v8, |v5|, s12
	v_and_b32_e32 v8, 0xff, v8
	v_cmp_ne_u32_e32 vcc, 0, v8
	s_andn2_b64 s[8:9], s[8:9], exec
	s_and_b64 s[12:13], vcc, exec
	s_or_b64 s[8:9], s[8:9], s[12:13]
	s_or_b64 exec, exec, s[10:11]
	v_mov_b32_e32 v9, 0
	s_and_saveexec_b64 s[10:11], s[8:9]
	s_cbranch_execnz .LBB481_1701
	s_branch .LBB481_1702
.LBB481_2144:
	s_andn2_saveexec_b64 s[12:13], s[12:13]
	s_cbranch_execz .LBB481_1806
.LBB481_2145:
	s_mov_b32 s17, 0x46000000
	v_add_f32_e64 v6, |v3|, s17
	v_and_b32_e32 v6, 0xff, v6
	v_cmp_ne_u32_e32 vcc, 0, v6
	s_andn2_b64 s[10:11], s[10:11], exec
	s_and_b64 s[18:19], vcc, exec
	s_or_b64 s[10:11], s[10:11], s[18:19]
	s_or_b64 exec, exec, s[12:13]
	v_mov_b32_e32 v7, 0
	s_and_saveexec_b64 s[12:13], s[10:11]
	s_cbranch_execnz .LBB481_1807
	s_branch .LBB481_1808
.LBB481_2146:
	s_trap 2
	s_or_b64 s[2:3], s[2:3], exec
	s_cbranch_execz .LBB481_1854
	s_branch .LBB481_1855
.LBB481_2147:
	s_andn2_saveexec_b64 s[10:11], s[10:11]
	s_cbranch_execz .LBB481_1819
.LBB481_2148:
	s_mov_b32 s12, 0x42800000
	v_add_f32_e64 v6, |v3|, s12
	v_and_b32_e32 v6, 0xff, v6
	v_cmp_ne_u32_e32 vcc, 0, v6
	s_andn2_b64 s[8:9], s[8:9], exec
	s_and_b64 s[12:13], vcc, exec
	s_or_b64 s[8:9], s[8:9], s[12:13]
	s_or_b64 exec, exec, s[10:11]
	v_mov_b32_e32 v7, 0
	s_and_saveexec_b64 s[10:11], s[8:9]
	s_cbranch_execnz .LBB481_1820
	s_branch .LBB481_1821
.LBB481_2149:
	s_andn2_saveexec_b64 s[12:13], s[12:13]
	s_cbranch_execz .LBB481_1925
.LBB481_2150:
	s_mov_b32 s17, 0x46000000
	v_add_f32_e64 v5, |v4|, s17
	v_and_b32_e32 v5, 0xff, v5
	v_cmp_ne_u32_e32 vcc, 0, v5
	s_andn2_b64 s[10:11], s[10:11], exec
	s_and_b64 s[18:19], vcc, exec
	s_or_b64 s[10:11], s[10:11], s[18:19]
	s_or_b64 exec, exec, s[12:13]
	v_mov_b32_e32 v6, 0
	s_and_saveexec_b64 s[12:13], s[10:11]
	s_cbranch_execnz .LBB481_1926
	s_branch .LBB481_1927
.LBB481_2151:
	s_trap 2
	s_or_b64 s[2:3], s[2:3], exec
	s_cbranch_execz .LBB481_1973
	s_branch .LBB481_1974
.LBB481_2152:
	s_andn2_saveexec_b64 s[10:11], s[10:11]
	s_cbranch_execz .LBB481_1938
.LBB481_2153:
	s_mov_b32 s12, 0x42800000
	v_add_f32_e64 v5, |v4|, s12
	v_and_b32_e32 v5, 0xff, v5
	v_cmp_ne_u32_e32 vcc, 0, v5
	s_andn2_b64 s[8:9], s[8:9], exec
	s_and_b64 s[12:13], vcc, exec
	s_or_b64 s[8:9], s[8:9], s[12:13]
	s_or_b64 exec, exec, s[10:11]
	v_mov_b32_e32 v6, 0
	s_and_saveexec_b64 s[10:11], s[8:9]
	s_cbranch_execnz .LBB481_1939
	s_branch .LBB481_1940
.LBB481_2154:
	s_andn2_saveexec_b64 s[10:11], s[10:11]
	s_cbranch_execz .LBB481_2045
.LBB481_2155:
	s_mov_b32 s13, 0x46000000
	v_add_f32_e64 v4, |v3|, s13
	v_and_b32_e32 v4, 0xff, v4
	v_cmp_ne_u32_e32 vcc, 0, v4
	s_andn2_b64 s[8:9], s[8:9], exec
	s_and_b64 s[16:17], vcc, exec
	s_or_b64 s[8:9], s[8:9], s[16:17]
	s_or_b64 exec, exec, s[10:11]
	v_mov_b32_e32 v5, 0
	s_and_saveexec_b64 s[10:11], s[8:9]
	s_cbranch_execnz .LBB481_2046
	s_branch .LBB481_2047
.LBB481_2156:
	s_mov_b64 s[4:5], 0
	s_or_b64 s[2:3], s[2:3], exec
	s_trap 2
	s_branch .LBB481_2091
.LBB481_2157:
	s_andn2_saveexec_b64 s[8:9], s[8:9]
	s_cbranch_execz .LBB481_2057
.LBB481_2158:
	s_mov_b32 s10, 0x42800000
	v_add_f32_e64 v4, |v3|, s10
	v_and_b32_e32 v4, 0xff, v4
	v_cmp_ne_u32_e32 vcc, 0, v4
	s_andn2_b64 s[6:7], s[6:7], exec
	s_and_b64 s[10:11], vcc, exec
	s_or_b64 s[6:7], s[6:7], s[10:11]
	s_or_b64 exec, exec, s[8:9]
	v_mov_b32_e32 v5, 0
	s_and_saveexec_b64 s[8:9], s[6:7]
	s_cbranch_execnz .LBB481_2058
	s_branch .LBB481_2059
	.section	.rodata,"a",@progbits
	.p2align	6, 0x0
	.amdhsa_kernel _ZN2at6native32elementwise_kernel_manual_unrollILi128ELi4EZNS0_15gpu_kernel_implIZZZNS0_21clamp_max_kernel_cudaERNS_18TensorIteratorBaseERKN3c106ScalarEENKUlvE_clEvENKUlvE6_clEvEUlNS5_4HalfEE_EEvS4_RKT_EUlibE0_EEviT1_
		.amdhsa_group_segment_fixed_size 0
		.amdhsa_private_segment_fixed_size 0
		.amdhsa_kernarg_size 360
		.amdhsa_user_sgpr_count 2
		.amdhsa_user_sgpr_dispatch_ptr 0
		.amdhsa_user_sgpr_queue_ptr 0
		.amdhsa_user_sgpr_kernarg_segment_ptr 1
		.amdhsa_user_sgpr_dispatch_id 0
		.amdhsa_user_sgpr_kernarg_preload_length 0
		.amdhsa_user_sgpr_kernarg_preload_offset 0
		.amdhsa_user_sgpr_private_segment_size 0
		.amdhsa_uses_dynamic_stack 0
		.amdhsa_enable_private_segment 0
		.amdhsa_system_sgpr_workgroup_id_x 1
		.amdhsa_system_sgpr_workgroup_id_y 0
		.amdhsa_system_sgpr_workgroup_id_z 0
		.amdhsa_system_sgpr_workgroup_info 0
		.amdhsa_system_vgpr_workitem_id 0
		.amdhsa_next_free_vgpr 18
		.amdhsa_next_free_sgpr 79
		.amdhsa_accum_offset 20
		.amdhsa_reserve_vcc 1
		.amdhsa_float_round_mode_32 0
		.amdhsa_float_round_mode_16_64 0
		.amdhsa_float_denorm_mode_32 3
		.amdhsa_float_denorm_mode_16_64 3
		.amdhsa_dx10_clamp 1
		.amdhsa_ieee_mode 1
		.amdhsa_fp16_overflow 0
		.amdhsa_tg_split 0
		.amdhsa_exception_fp_ieee_invalid_op 0
		.amdhsa_exception_fp_denorm_src 0
		.amdhsa_exception_fp_ieee_div_zero 0
		.amdhsa_exception_fp_ieee_overflow 0
		.amdhsa_exception_fp_ieee_underflow 0
		.amdhsa_exception_fp_ieee_inexact 0
		.amdhsa_exception_int_div_zero 0
	.end_amdhsa_kernel
	.section	.text._ZN2at6native32elementwise_kernel_manual_unrollILi128ELi4EZNS0_15gpu_kernel_implIZZZNS0_21clamp_max_kernel_cudaERNS_18TensorIteratorBaseERKN3c106ScalarEENKUlvE_clEvENKUlvE6_clEvEUlNS5_4HalfEE_EEvS4_RKT_EUlibE0_EEviT1_,"axG",@progbits,_ZN2at6native32elementwise_kernel_manual_unrollILi128ELi4EZNS0_15gpu_kernel_implIZZZNS0_21clamp_max_kernel_cudaERNS_18TensorIteratorBaseERKN3c106ScalarEENKUlvE_clEvENKUlvE6_clEvEUlNS5_4HalfEE_EEvS4_RKT_EUlibE0_EEviT1_,comdat
.Lfunc_end481:
	.size	_ZN2at6native32elementwise_kernel_manual_unrollILi128ELi4EZNS0_15gpu_kernel_implIZZZNS0_21clamp_max_kernel_cudaERNS_18TensorIteratorBaseERKN3c106ScalarEENKUlvE_clEvENKUlvE6_clEvEUlNS5_4HalfEE_EEvS4_RKT_EUlibE0_EEviT1_, .Lfunc_end481-_ZN2at6native32elementwise_kernel_manual_unrollILi128ELi4EZNS0_15gpu_kernel_implIZZZNS0_21clamp_max_kernel_cudaERNS_18TensorIteratorBaseERKN3c106ScalarEENKUlvE_clEvENKUlvE6_clEvEUlNS5_4HalfEE_EEvS4_RKT_EUlibE0_EEviT1_
                                        ; -- End function
	.set _ZN2at6native32elementwise_kernel_manual_unrollILi128ELi4EZNS0_15gpu_kernel_implIZZZNS0_21clamp_max_kernel_cudaERNS_18TensorIteratorBaseERKN3c106ScalarEENKUlvE_clEvENKUlvE6_clEvEUlNS5_4HalfEE_EEvS4_RKT_EUlibE0_EEviT1_.num_vgpr, 18
	.set _ZN2at6native32elementwise_kernel_manual_unrollILi128ELi4EZNS0_15gpu_kernel_implIZZZNS0_21clamp_max_kernel_cudaERNS_18TensorIteratorBaseERKN3c106ScalarEENKUlvE_clEvENKUlvE6_clEvEUlNS5_4HalfEE_EEvS4_RKT_EUlibE0_EEviT1_.num_agpr, 0
	.set _ZN2at6native32elementwise_kernel_manual_unrollILi128ELi4EZNS0_15gpu_kernel_implIZZZNS0_21clamp_max_kernel_cudaERNS_18TensorIteratorBaseERKN3c106ScalarEENKUlvE_clEvENKUlvE6_clEvEUlNS5_4HalfEE_EEvS4_RKT_EUlibE0_EEviT1_.numbered_sgpr, 79
	.set _ZN2at6native32elementwise_kernel_manual_unrollILi128ELi4EZNS0_15gpu_kernel_implIZZZNS0_21clamp_max_kernel_cudaERNS_18TensorIteratorBaseERKN3c106ScalarEENKUlvE_clEvENKUlvE6_clEvEUlNS5_4HalfEE_EEvS4_RKT_EUlibE0_EEviT1_.num_named_barrier, 0
	.set _ZN2at6native32elementwise_kernel_manual_unrollILi128ELi4EZNS0_15gpu_kernel_implIZZZNS0_21clamp_max_kernel_cudaERNS_18TensorIteratorBaseERKN3c106ScalarEENKUlvE_clEvENKUlvE6_clEvEUlNS5_4HalfEE_EEvS4_RKT_EUlibE0_EEviT1_.private_seg_size, 0
	.set _ZN2at6native32elementwise_kernel_manual_unrollILi128ELi4EZNS0_15gpu_kernel_implIZZZNS0_21clamp_max_kernel_cudaERNS_18TensorIteratorBaseERKN3c106ScalarEENKUlvE_clEvENKUlvE6_clEvEUlNS5_4HalfEE_EEvS4_RKT_EUlibE0_EEviT1_.uses_vcc, 1
	.set _ZN2at6native32elementwise_kernel_manual_unrollILi128ELi4EZNS0_15gpu_kernel_implIZZZNS0_21clamp_max_kernel_cudaERNS_18TensorIteratorBaseERKN3c106ScalarEENKUlvE_clEvENKUlvE6_clEvEUlNS5_4HalfEE_EEvS4_RKT_EUlibE0_EEviT1_.uses_flat_scratch, 0
	.set _ZN2at6native32elementwise_kernel_manual_unrollILi128ELi4EZNS0_15gpu_kernel_implIZZZNS0_21clamp_max_kernel_cudaERNS_18TensorIteratorBaseERKN3c106ScalarEENKUlvE_clEvENKUlvE6_clEvEUlNS5_4HalfEE_EEvS4_RKT_EUlibE0_EEviT1_.has_dyn_sized_stack, 0
	.set _ZN2at6native32elementwise_kernel_manual_unrollILi128ELi4EZNS0_15gpu_kernel_implIZZZNS0_21clamp_max_kernel_cudaERNS_18TensorIteratorBaseERKN3c106ScalarEENKUlvE_clEvENKUlvE6_clEvEUlNS5_4HalfEE_EEvS4_RKT_EUlibE0_EEviT1_.has_recursion, 0
	.set _ZN2at6native32elementwise_kernel_manual_unrollILi128ELi4EZNS0_15gpu_kernel_implIZZZNS0_21clamp_max_kernel_cudaERNS_18TensorIteratorBaseERKN3c106ScalarEENKUlvE_clEvENKUlvE6_clEvEUlNS5_4HalfEE_EEvS4_RKT_EUlibE0_EEviT1_.has_indirect_call, 0
	.section	.AMDGPU.csdata,"",@progbits
; Kernel info:
; codeLenInByte = 41800
; TotalNumSgprs: 85
; NumVgprs: 18
; NumAgprs: 0
; TotalNumVgprs: 18
; ScratchSize: 0
; MemoryBound: 0
; FloatMode: 240
; IeeeMode: 1
; LDSByteSize: 0 bytes/workgroup (compile time only)
; SGPRBlocks: 10
; VGPRBlocks: 2
; NumSGPRsForWavesPerEU: 85
; NumVGPRsForWavesPerEU: 18
; AccumOffset: 20
; Occupancy: 8
; WaveLimiterHint : 1
; COMPUTE_PGM_RSRC2:SCRATCH_EN: 0
; COMPUTE_PGM_RSRC2:USER_SGPR: 2
; COMPUTE_PGM_RSRC2:TRAP_HANDLER: 0
; COMPUTE_PGM_RSRC2:TGID_X_EN: 1
; COMPUTE_PGM_RSRC2:TGID_Y_EN: 0
; COMPUTE_PGM_RSRC2:TGID_Z_EN: 0
; COMPUTE_PGM_RSRC2:TIDIG_COMP_CNT: 0
; COMPUTE_PGM_RSRC3_GFX90A:ACCUM_OFFSET: 4
; COMPUTE_PGM_RSRC3_GFX90A:TG_SPLIT: 0
	.section	.text._ZN2at6native29vectorized_elementwise_kernelILi16EZZZNS0_21clamp_max_kernel_cudaERNS_18TensorIteratorBaseERKN3c106ScalarEENKUlvE_clEvENKUlvE7_clEvEUlNS4_8BFloat16EE_St5arrayIPcLm2EEEEviT0_T1_,"axG",@progbits,_ZN2at6native29vectorized_elementwise_kernelILi16EZZZNS0_21clamp_max_kernel_cudaERNS_18TensorIteratorBaseERKN3c106ScalarEENKUlvE_clEvENKUlvE7_clEvEUlNS4_8BFloat16EE_St5arrayIPcLm2EEEEviT0_T1_,comdat
	.globl	_ZN2at6native29vectorized_elementwise_kernelILi16EZZZNS0_21clamp_max_kernel_cudaERNS_18TensorIteratorBaseERKN3c106ScalarEENKUlvE_clEvENKUlvE7_clEvEUlNS4_8BFloat16EE_St5arrayIPcLm2EEEEviT0_T1_ ; -- Begin function _ZN2at6native29vectorized_elementwise_kernelILi16EZZZNS0_21clamp_max_kernel_cudaERNS_18TensorIteratorBaseERKN3c106ScalarEENKUlvE_clEvENKUlvE7_clEvEUlNS4_8BFloat16EE_St5arrayIPcLm2EEEEviT0_T1_
	.p2align	8
	.type	_ZN2at6native29vectorized_elementwise_kernelILi16EZZZNS0_21clamp_max_kernel_cudaERNS_18TensorIteratorBaseERKN3c106ScalarEENKUlvE_clEvENKUlvE7_clEvEUlNS4_8BFloat16EE_St5arrayIPcLm2EEEEviT0_T1_,@function
_ZN2at6native29vectorized_elementwise_kernelILi16EZZZNS0_21clamp_max_kernel_cudaERNS_18TensorIteratorBaseERKN3c106ScalarEENKUlvE_clEvENKUlvE7_clEvEUlNS4_8BFloat16EE_St5arrayIPcLm2EEEEviT0_T1_: ; @_ZN2at6native29vectorized_elementwise_kernelILi16EZZZNS0_21clamp_max_kernel_cudaERNS_18TensorIteratorBaseERKN3c106ScalarEENKUlvE_clEvENKUlvE7_clEvEUlNS4_8BFloat16EE_St5arrayIPcLm2EEEEviT0_T1_
; %bb.0:
	s_load_dwordx2 s[30:31], s[0:1], 0x0
	s_load_dwordx4 s[36:39], s[0:1], 0x8
	s_lshl_b32 s34, s2, 11
	s_mov_b64 s[0:1], -1
	s_waitcnt lgkmcnt(0)
	s_sub_i32 s30, s30, s34
	s_cmpk_gt_i32 s30, 0x7ff
	s_cbranch_scc0 .LBB482_2
; %bb.1:
	s_ashr_i32 s35, s34, 31
	s_lshl_b64 s[0:1], s[34:35], 1
	s_add_u32 s2, s38, s0
	s_addc_u32 s3, s39, s1
	v_lshlrev_b32_e32 v1, 4, v0
	global_load_dwordx4 v[2:5], v1, s[2:3]
	s_lshl_b32 s28, s31, 16
	s_add_u32 s40, s36, s0
	v_mov_b32_e32 v6, s31
	s_addc_u32 s41, s37, s1
	s_mov_b32 s33, 0x5040100
	s_waitcnt vmcnt(0)
	v_and_b32_e32 v8, 0xffff0000, v2
	v_lshlrev_b32_e32 v7, 16, v2
	v_cmp_u_f32_e32 vcc, v8, v8
	v_cmp_gt_f32_e64 s[2:3], s28, v8
	v_lshrrev_b32_e32 v9, 16, v2
	v_and_b32_e32 v11, 0xffff0000, v3
	v_cmp_u_f32_e64 s[0:1], v7, v7
	v_cmp_gt_f32_e64 s[4:5], s28, v7
	s_or_b64 vcc, vcc, s[2:3]
	v_lshlrev_b32_e32 v10, 16, v3
	v_cmp_u_f32_e64 s[6:7], v11, v11
	v_cmp_gt_f32_e64 s[10:11], s28, v11
	v_cndmask_b32_e32 v7, v6, v9, vcc
	s_or_b64 vcc, s[0:1], s[4:5]
	v_lshrrev_b32_e32 v12, 16, v3
	v_and_b32_e32 v14, 0xffff0000, v4
	v_cmp_u_f32_e64 s[8:9], v10, v10
	v_cmp_gt_f32_e64 s[12:13], s28, v10
	v_cndmask_b32_e32 v2, v6, v2, vcc
	s_or_b64 vcc, s[6:7], s[10:11]
	v_lshlrev_b32_e32 v13, 16, v4
	v_cmp_u_f32_e64 s[14:15], v14, v14
	v_cmp_gt_f32_e64 s[18:19], s28, v14
	v_cndmask_b32_e32 v8, v6, v12, vcc
	s_or_b64 vcc, s[8:9], s[12:13]
	v_lshrrev_b32_e32 v15, 16, v4
	v_and_b32_e32 v17, 0xffff0000, v5
	v_cmp_u_f32_e64 s[16:17], v13, v13
	v_cmp_gt_f32_e64 s[20:21], s28, v13
	v_cndmask_b32_e32 v3, v6, v3, vcc
	s_or_b64 vcc, s[14:15], s[18:19]
	v_lshlrev_b32_e32 v16, 16, v5
	v_cmp_u_f32_e64 s[22:23], v17, v17
	v_cmp_gt_f32_e64 s[26:27], s28, v17
	v_cndmask_b32_e32 v9, v6, v15, vcc
	s_or_b64 vcc, s[16:17], s[20:21]
	v_lshrrev_b32_e32 v18, 16, v5
	v_cmp_u_f32_e64 s[24:25], v16, v16
	v_cmp_gt_f32_e64 s[28:29], s28, v16
	v_cndmask_b32_e32 v4, v6, v4, vcc
	s_or_b64 vcc, s[22:23], s[26:27]
	v_cndmask_b32_e32 v10, v6, v18, vcc
	s_or_b64 vcc, s[24:25], s[28:29]
	v_cndmask_b32_e32 v5, v6, v5, vcc
	v_perm_b32 v5, v10, v5, s33
	v_perm_b32 v4, v9, v4, s33
	;; [unrolled: 1-line block ×4, first 2 shown]
	global_store_dwordx4 v1, v[2:5], s[40:41]
	s_mov_b64 s[0:1], 0
.LBB482_2:
	s_andn2_b64 vcc, exec, s[0:1]
	s_cbranch_vccnz .LBB482_28
; %bb.3:
	v_cmp_gt_i32_e32 vcc, s30, v0
	v_mov_b32_e32 v6, 0
	v_or_b32_e32 v2, s34, v0
	v_mov_b32_e32 v9, 0
	v_mov_b32_e32 v3, v0
	s_and_saveexec_b64 s[0:1], vcc
	s_cbranch_execz .LBB482_5
; %bb.4:
	v_mov_b32_e32 v3, 0
	v_lshl_add_u64 v[4:5], v[2:3], 1, s[38:39]
	global_load_ushort v9, v[4:5], off
	v_or_b32_e32 v3, 0x100, v0
.LBB482_5:
	s_or_b64 exec, exec, s[0:1]
	v_cmp_gt_i32_e64 s[0:1], s30, v3
	s_and_saveexec_b64 s[2:3], s[0:1]
	s_cbranch_execz .LBB482_7
; %bb.6:
	v_add_u32_e32 v4, s34, v3
	v_mov_b32_e32 v5, 0
	v_lshl_add_u64 v[4:5], v[4:5], 1, s[38:39]
	global_load_ushort v6, v[4:5], off
	v_add_u32_e32 v3, 0x100, v3
.LBB482_7:
	s_or_b64 exec, exec, s[2:3]
	v_cmp_gt_i32_e64 s[0:1], s30, v3
	v_mov_b32_e32 v5, 0
	v_mov_b32_e32 v10, 0
	s_and_saveexec_b64 s[2:3], s[0:1]
	s_cbranch_execz .LBB482_9
; %bb.8:
	v_add_u32_e32 v10, s34, v3
	v_mov_b32_e32 v11, 0
	v_lshl_add_u64 v[10:11], v[10:11], 1, s[38:39]
	global_load_ushort v10, v[10:11], off
	v_add_u32_e32 v3, 0x100, v3
.LBB482_9:
	s_or_b64 exec, exec, s[2:3]
	v_cmp_gt_i32_e64 s[0:1], s30, v3
	s_and_saveexec_b64 s[2:3], s[0:1]
	s_cbranch_execz .LBB482_11
; %bb.10:
	v_add_u32_e32 v4, s34, v3
	v_mov_b32_e32 v5, 0
	v_lshl_add_u64 v[4:5], v[4:5], 1, s[38:39]
	global_load_ushort v5, v[4:5], off
	v_add_u32_e32 v3, 0x100, v3
.LBB482_11:
	s_or_b64 exec, exec, s[2:3]
	v_cmp_gt_i32_e64 s[0:1], s30, v3
	v_mov_b32_e32 v4, 0
	v_mov_b32_e32 v8, 0
	s_and_saveexec_b64 s[2:3], s[0:1]
	s_cbranch_execz .LBB482_13
; %bb.12:
	v_add_u32_e32 v12, s34, v3
	v_mov_b32_e32 v13, 0
	v_lshl_add_u64 v[12:13], v[12:13], 1, s[38:39]
	global_load_ushort v8, v[12:13], off
	v_add_u32_e32 v3, 0x100, v3
.LBB482_13:
	;; [unrolled: 24-line block ×3, first 2 shown]
	s_or_b64 exec, exec, s[2:3]
	v_cmp_gt_i32_e64 s[0:1], s30, v3
	s_and_saveexec_b64 s[2:3], s[0:1]
	s_cbranch_execz .LBB482_19
; %bb.18:
	v_add_u32_e32 v12, s34, v3
	v_mov_b32_e32 v13, 0
	v_lshl_add_u64 v[12:13], v[12:13], 1, s[38:39]
	global_load_ushort v1, v[12:13], off
.LBB482_19:
	s_or_b64 exec, exec, s[2:3]
	s_lshl_b32 s0, s31, 16
	v_mov_b32_e32 v11, s0
	s_and_saveexec_b64 s[2:3], vcc
	s_cbranch_execnz .LBB482_29
; %bb.20:
	s_or_b64 exec, exec, s[2:3]
	v_cmp_gt_i32_e32 vcc, s30, v0
	s_and_saveexec_b64 s[2:3], vcc
	s_cbranch_execnz .LBB482_30
.LBB482_21:
	s_or_b64 exec, exec, s[2:3]
	v_cmp_gt_i32_e32 vcc, s30, v0
	s_and_saveexec_b64 s[2:3], vcc
	s_cbranch_execnz .LBB482_31
.LBB482_22:
	s_or_b64 exec, exec, s[2:3]
	v_cmp_gt_i32_e32 vcc, s30, v0
	s_and_saveexec_b64 s[2:3], vcc
	s_cbranch_execnz .LBB482_32
.LBB482_23:
	s_or_b64 exec, exec, s[2:3]
	v_cmp_gt_i32_e32 vcc, s30, v0
	s_and_saveexec_b64 s[2:3], vcc
	s_cbranch_execnz .LBB482_33
.LBB482_24:
	s_or_b64 exec, exec, s[2:3]
	v_cmp_gt_i32_e32 vcc, s30, v0
	s_and_saveexec_b64 s[2:3], vcc
	s_cbranch_execnz .LBB482_34
.LBB482_25:
	s_or_b64 exec, exec, s[2:3]
	v_cmp_gt_i32_e32 vcc, s30, v0
	s_and_saveexec_b64 s[2:3], vcc
	s_cbranch_execnz .LBB482_35
.LBB482_26:
	s_or_b64 exec, exec, s[2:3]
	v_cmp_gt_i32_e32 vcc, s30, v0
	s_and_saveexec_b64 s[0:1], vcc
	s_cbranch_execz .LBB482_28
.LBB482_27:
	s_waitcnt vmcnt(0)
	v_lshlrev_b32_e32 v2, 16, v1
	v_cmp_u_f32_e32 vcc, v2, v2
	v_cmp_lt_f32_e64 s[0:1], v2, v11
	v_mov_b32_e32 v2, s31
	s_or_b64 vcc, vcc, s[0:1]
	v_cndmask_b32_e32 v2, v2, v1, vcc
	v_add_u32_e32 v0, s34, v0
	v_mov_b32_e32 v1, 0
	v_lshl_add_u64 v[0:1], v[0:1], 1, s[36:37]
	global_store_short v[0:1], v2, off
.LBB482_28:
	s_endpgm
.LBB482_29:
	s_waitcnt vmcnt(0)
	v_lshlrev_b32_e32 v12, 16, v9
	v_cmp_u_f32_e32 vcc, v12, v12
	v_cmp_gt_f32_e64 s[0:1], v11, v12
	v_mov_b32_e32 v3, 0
	v_mov_b32_e32 v12, s31
	s_or_b64 vcc, vcc, s[0:1]
	v_lshl_add_u64 v[2:3], v[2:3], 1, s[36:37]
	v_or_b32_e32 v0, 0x100, v0
	v_cndmask_b32_e32 v9, v12, v9, vcc
	global_store_short v[2:3], v9, off
	s_or_b64 exec, exec, s[2:3]
	v_cmp_gt_i32_e32 vcc, s30, v0
	s_and_saveexec_b64 s[2:3], vcc
	s_cbranch_execz .LBB482_21
.LBB482_30:
	s_waitcnt vmcnt(0)
	v_lshlrev_b32_e32 v2, 16, v6
	v_cmp_u_f32_e32 vcc, v2, v2
	v_cmp_gt_f32_e64 s[0:1], v11, v2
	v_mov_b32_e32 v2, s31
	s_or_b64 vcc, vcc, s[0:1]
	v_cndmask_b32_e32 v6, v2, v6, vcc
	v_add_u32_e32 v2, s34, v0
	v_mov_b32_e32 v3, 0
	v_lshl_add_u64 v[2:3], v[2:3], 1, s[36:37]
	v_add_u32_e32 v0, 0x100, v0
	global_store_short v[2:3], v6, off
	s_or_b64 exec, exec, s[2:3]
	v_cmp_gt_i32_e32 vcc, s30, v0
	s_and_saveexec_b64 s[2:3], vcc
	s_cbranch_execz .LBB482_22
.LBB482_31:
	s_waitcnt vmcnt(0)
	v_lshlrev_b32_e32 v2, 16, v10
	v_cmp_u_f32_e32 vcc, v2, v2
	v_cmp_gt_f32_e64 s[0:1], v11, v2
	v_mov_b32_e32 v2, s31
	s_or_b64 vcc, vcc, s[0:1]
	v_cndmask_b32_e32 v6, v2, v10, vcc
	v_add_u32_e32 v2, s34, v0
	v_mov_b32_e32 v3, 0
	v_lshl_add_u64 v[2:3], v[2:3], 1, s[36:37]
	v_add_u32_e32 v0, 0x100, v0
	global_store_short v[2:3], v6, off
	s_or_b64 exec, exec, s[2:3]
	v_cmp_gt_i32_e32 vcc, s30, v0
	s_and_saveexec_b64 s[2:3], vcc
	s_cbranch_execz .LBB482_23
.LBB482_32:
	s_waitcnt vmcnt(0)
	v_lshlrev_b32_e32 v2, 16, v5
	v_cmp_u_f32_e32 vcc, v2, v2
	v_cmp_gt_f32_e64 s[0:1], v11, v2
	v_mov_b32_e32 v2, s31
	s_or_b64 vcc, vcc, s[0:1]
	v_cndmask_b32_e32 v5, v2, v5, vcc
	v_add_u32_e32 v2, s34, v0
	v_mov_b32_e32 v3, 0
	v_lshl_add_u64 v[2:3], v[2:3], 1, s[36:37]
	v_add_u32_e32 v0, 0x100, v0
	global_store_short v[2:3], v5, off
	s_or_b64 exec, exec, s[2:3]
	v_cmp_gt_i32_e32 vcc, s30, v0
	s_and_saveexec_b64 s[2:3], vcc
	s_cbranch_execz .LBB482_24
.LBB482_33:
	s_waitcnt vmcnt(0)
	v_lshlrev_b32_e32 v2, 16, v8
	v_cmp_u_f32_e32 vcc, v2, v2
	v_cmp_gt_f32_e64 s[0:1], v11, v2
	v_mov_b32_e32 v2, s31
	s_or_b64 vcc, vcc, s[0:1]
	v_cndmask_b32_e32 v5, v2, v8, vcc
	v_add_u32_e32 v2, s34, v0
	v_mov_b32_e32 v3, 0
	v_lshl_add_u64 v[2:3], v[2:3], 1, s[36:37]
	v_add_u32_e32 v0, 0x100, v0
	global_store_short v[2:3], v5, off
	s_or_b64 exec, exec, s[2:3]
	v_cmp_gt_i32_e32 vcc, s30, v0
	s_and_saveexec_b64 s[2:3], vcc
	s_cbranch_execz .LBB482_25
.LBB482_34:
	s_waitcnt vmcnt(0)
	v_lshlrev_b32_e32 v2, 16, v4
	v_cmp_u_f32_e32 vcc, v2, v2
	v_cmp_gt_f32_e64 s[0:1], v11, v2
	v_mov_b32_e32 v2, s31
	s_or_b64 vcc, vcc, s[0:1]
	v_cndmask_b32_e32 v4, v2, v4, vcc
	v_add_u32_e32 v2, s34, v0
	v_mov_b32_e32 v3, 0
	v_lshl_add_u64 v[2:3], v[2:3], 1, s[36:37]
	v_add_u32_e32 v0, 0x100, v0
	global_store_short v[2:3], v4, off
	s_or_b64 exec, exec, s[2:3]
	v_cmp_gt_i32_e32 vcc, s30, v0
	s_and_saveexec_b64 s[2:3], vcc
	s_cbranch_execz .LBB482_26
.LBB482_35:
	s_waitcnt vmcnt(0)
	v_lshlrev_b32_e32 v2, 16, v7
	v_cmp_u_f32_e32 vcc, v2, v2
	v_cmp_gt_f32_e64 s[0:1], v11, v2
	v_mov_b32_e32 v2, s31
	s_or_b64 vcc, vcc, s[0:1]
	v_cndmask_b32_e32 v4, v2, v7, vcc
	v_add_u32_e32 v2, s34, v0
	v_mov_b32_e32 v3, 0
	v_lshl_add_u64 v[2:3], v[2:3], 1, s[36:37]
	v_add_u32_e32 v0, 0x100, v0
	global_store_short v[2:3], v4, off
	s_or_b64 exec, exec, s[2:3]
	v_cmp_gt_i32_e32 vcc, s30, v0
	s_and_saveexec_b64 s[0:1], vcc
	s_cbranch_execnz .LBB482_27
	s_branch .LBB482_28
	.section	.rodata,"a",@progbits
	.p2align	6, 0x0
	.amdhsa_kernel _ZN2at6native29vectorized_elementwise_kernelILi16EZZZNS0_21clamp_max_kernel_cudaERNS_18TensorIteratorBaseERKN3c106ScalarEENKUlvE_clEvENKUlvE7_clEvEUlNS4_8BFloat16EE_St5arrayIPcLm2EEEEviT0_T1_
		.amdhsa_group_segment_fixed_size 0
		.amdhsa_private_segment_fixed_size 0
		.amdhsa_kernarg_size 24
		.amdhsa_user_sgpr_count 2
		.amdhsa_user_sgpr_dispatch_ptr 0
		.amdhsa_user_sgpr_queue_ptr 0
		.amdhsa_user_sgpr_kernarg_segment_ptr 1
		.amdhsa_user_sgpr_dispatch_id 0
		.amdhsa_user_sgpr_kernarg_preload_length 0
		.amdhsa_user_sgpr_kernarg_preload_offset 0
		.amdhsa_user_sgpr_private_segment_size 0
		.amdhsa_uses_dynamic_stack 0
		.amdhsa_enable_private_segment 0
		.amdhsa_system_sgpr_workgroup_id_x 1
		.amdhsa_system_sgpr_workgroup_id_y 0
		.amdhsa_system_sgpr_workgroup_id_z 0
		.amdhsa_system_sgpr_workgroup_info 0
		.amdhsa_system_vgpr_workitem_id 0
		.amdhsa_next_free_vgpr 19
		.amdhsa_next_free_sgpr 42
		.amdhsa_accum_offset 20
		.amdhsa_reserve_vcc 1
		.amdhsa_float_round_mode_32 0
		.amdhsa_float_round_mode_16_64 0
		.amdhsa_float_denorm_mode_32 3
		.amdhsa_float_denorm_mode_16_64 3
		.amdhsa_dx10_clamp 1
		.amdhsa_ieee_mode 1
		.amdhsa_fp16_overflow 0
		.amdhsa_tg_split 0
		.amdhsa_exception_fp_ieee_invalid_op 0
		.amdhsa_exception_fp_denorm_src 0
		.amdhsa_exception_fp_ieee_div_zero 0
		.amdhsa_exception_fp_ieee_overflow 0
		.amdhsa_exception_fp_ieee_underflow 0
		.amdhsa_exception_fp_ieee_inexact 0
		.amdhsa_exception_int_div_zero 0
	.end_amdhsa_kernel
	.section	.text._ZN2at6native29vectorized_elementwise_kernelILi16EZZZNS0_21clamp_max_kernel_cudaERNS_18TensorIteratorBaseERKN3c106ScalarEENKUlvE_clEvENKUlvE7_clEvEUlNS4_8BFloat16EE_St5arrayIPcLm2EEEEviT0_T1_,"axG",@progbits,_ZN2at6native29vectorized_elementwise_kernelILi16EZZZNS0_21clamp_max_kernel_cudaERNS_18TensorIteratorBaseERKN3c106ScalarEENKUlvE_clEvENKUlvE7_clEvEUlNS4_8BFloat16EE_St5arrayIPcLm2EEEEviT0_T1_,comdat
.Lfunc_end482:
	.size	_ZN2at6native29vectorized_elementwise_kernelILi16EZZZNS0_21clamp_max_kernel_cudaERNS_18TensorIteratorBaseERKN3c106ScalarEENKUlvE_clEvENKUlvE7_clEvEUlNS4_8BFloat16EE_St5arrayIPcLm2EEEEviT0_T1_, .Lfunc_end482-_ZN2at6native29vectorized_elementwise_kernelILi16EZZZNS0_21clamp_max_kernel_cudaERNS_18TensorIteratorBaseERKN3c106ScalarEENKUlvE_clEvENKUlvE7_clEvEUlNS4_8BFloat16EE_St5arrayIPcLm2EEEEviT0_T1_
                                        ; -- End function
	.set _ZN2at6native29vectorized_elementwise_kernelILi16EZZZNS0_21clamp_max_kernel_cudaERNS_18TensorIteratorBaseERKN3c106ScalarEENKUlvE_clEvENKUlvE7_clEvEUlNS4_8BFloat16EE_St5arrayIPcLm2EEEEviT0_T1_.num_vgpr, 19
	.set _ZN2at6native29vectorized_elementwise_kernelILi16EZZZNS0_21clamp_max_kernel_cudaERNS_18TensorIteratorBaseERKN3c106ScalarEENKUlvE_clEvENKUlvE7_clEvEUlNS4_8BFloat16EE_St5arrayIPcLm2EEEEviT0_T1_.num_agpr, 0
	.set _ZN2at6native29vectorized_elementwise_kernelILi16EZZZNS0_21clamp_max_kernel_cudaERNS_18TensorIteratorBaseERKN3c106ScalarEENKUlvE_clEvENKUlvE7_clEvEUlNS4_8BFloat16EE_St5arrayIPcLm2EEEEviT0_T1_.numbered_sgpr, 42
	.set _ZN2at6native29vectorized_elementwise_kernelILi16EZZZNS0_21clamp_max_kernel_cudaERNS_18TensorIteratorBaseERKN3c106ScalarEENKUlvE_clEvENKUlvE7_clEvEUlNS4_8BFloat16EE_St5arrayIPcLm2EEEEviT0_T1_.num_named_barrier, 0
	.set _ZN2at6native29vectorized_elementwise_kernelILi16EZZZNS0_21clamp_max_kernel_cudaERNS_18TensorIteratorBaseERKN3c106ScalarEENKUlvE_clEvENKUlvE7_clEvEUlNS4_8BFloat16EE_St5arrayIPcLm2EEEEviT0_T1_.private_seg_size, 0
	.set _ZN2at6native29vectorized_elementwise_kernelILi16EZZZNS0_21clamp_max_kernel_cudaERNS_18TensorIteratorBaseERKN3c106ScalarEENKUlvE_clEvENKUlvE7_clEvEUlNS4_8BFloat16EE_St5arrayIPcLm2EEEEviT0_T1_.uses_vcc, 1
	.set _ZN2at6native29vectorized_elementwise_kernelILi16EZZZNS0_21clamp_max_kernel_cudaERNS_18TensorIteratorBaseERKN3c106ScalarEENKUlvE_clEvENKUlvE7_clEvEUlNS4_8BFloat16EE_St5arrayIPcLm2EEEEviT0_T1_.uses_flat_scratch, 0
	.set _ZN2at6native29vectorized_elementwise_kernelILi16EZZZNS0_21clamp_max_kernel_cudaERNS_18TensorIteratorBaseERKN3c106ScalarEENKUlvE_clEvENKUlvE7_clEvEUlNS4_8BFloat16EE_St5arrayIPcLm2EEEEviT0_T1_.has_dyn_sized_stack, 0
	.set _ZN2at6native29vectorized_elementwise_kernelILi16EZZZNS0_21clamp_max_kernel_cudaERNS_18TensorIteratorBaseERKN3c106ScalarEENKUlvE_clEvENKUlvE7_clEvEUlNS4_8BFloat16EE_St5arrayIPcLm2EEEEviT0_T1_.has_recursion, 0
	.set _ZN2at6native29vectorized_elementwise_kernelILi16EZZZNS0_21clamp_max_kernel_cudaERNS_18TensorIteratorBaseERKN3c106ScalarEENKUlvE_clEvENKUlvE7_clEvEUlNS4_8BFloat16EE_St5arrayIPcLm2EEEEviT0_T1_.has_indirect_call, 0
	.section	.AMDGPU.csdata,"",@progbits
; Kernel info:
; codeLenInByte = 1588
; TotalNumSgprs: 48
; NumVgprs: 19
; NumAgprs: 0
; TotalNumVgprs: 19
; ScratchSize: 0
; MemoryBound: 0
; FloatMode: 240
; IeeeMode: 1
; LDSByteSize: 0 bytes/workgroup (compile time only)
; SGPRBlocks: 5
; VGPRBlocks: 2
; NumSGPRsForWavesPerEU: 48
; NumVGPRsForWavesPerEU: 19
; AccumOffset: 20
; Occupancy: 8
; WaveLimiterHint : 0
; COMPUTE_PGM_RSRC2:SCRATCH_EN: 0
; COMPUTE_PGM_RSRC2:USER_SGPR: 2
; COMPUTE_PGM_RSRC2:TRAP_HANDLER: 0
; COMPUTE_PGM_RSRC2:TGID_X_EN: 1
; COMPUTE_PGM_RSRC2:TGID_Y_EN: 0
; COMPUTE_PGM_RSRC2:TGID_Z_EN: 0
; COMPUTE_PGM_RSRC2:TIDIG_COMP_CNT: 0
; COMPUTE_PGM_RSRC3_GFX90A:ACCUM_OFFSET: 4
; COMPUTE_PGM_RSRC3_GFX90A:TG_SPLIT: 0
	.section	.text._ZN2at6native29vectorized_elementwise_kernelILi8EZZZNS0_21clamp_max_kernel_cudaERNS_18TensorIteratorBaseERKN3c106ScalarEENKUlvE_clEvENKUlvE7_clEvEUlNS4_8BFloat16EE_St5arrayIPcLm2EEEEviT0_T1_,"axG",@progbits,_ZN2at6native29vectorized_elementwise_kernelILi8EZZZNS0_21clamp_max_kernel_cudaERNS_18TensorIteratorBaseERKN3c106ScalarEENKUlvE_clEvENKUlvE7_clEvEUlNS4_8BFloat16EE_St5arrayIPcLm2EEEEviT0_T1_,comdat
	.globl	_ZN2at6native29vectorized_elementwise_kernelILi8EZZZNS0_21clamp_max_kernel_cudaERNS_18TensorIteratorBaseERKN3c106ScalarEENKUlvE_clEvENKUlvE7_clEvEUlNS4_8BFloat16EE_St5arrayIPcLm2EEEEviT0_T1_ ; -- Begin function _ZN2at6native29vectorized_elementwise_kernelILi8EZZZNS0_21clamp_max_kernel_cudaERNS_18TensorIteratorBaseERKN3c106ScalarEENKUlvE_clEvENKUlvE7_clEvEUlNS4_8BFloat16EE_St5arrayIPcLm2EEEEviT0_T1_
	.p2align	8
	.type	_ZN2at6native29vectorized_elementwise_kernelILi8EZZZNS0_21clamp_max_kernel_cudaERNS_18TensorIteratorBaseERKN3c106ScalarEENKUlvE_clEvENKUlvE7_clEvEUlNS4_8BFloat16EE_St5arrayIPcLm2EEEEviT0_T1_,@function
_ZN2at6native29vectorized_elementwise_kernelILi8EZZZNS0_21clamp_max_kernel_cudaERNS_18TensorIteratorBaseERKN3c106ScalarEENKUlvE_clEvENKUlvE7_clEvEUlNS4_8BFloat16EE_St5arrayIPcLm2EEEEviT0_T1_: ; @_ZN2at6native29vectorized_elementwise_kernelILi8EZZZNS0_21clamp_max_kernel_cudaERNS_18TensorIteratorBaseERKN3c106ScalarEENKUlvE_clEvENKUlvE7_clEvEUlNS4_8BFloat16EE_St5arrayIPcLm2EEEEviT0_T1_
; %bb.0:
	s_load_dwordx2 s[30:31], s[0:1], 0x0
	s_load_dwordx4 s[36:39], s[0:1], 0x8
	s_lshl_b32 s34, s2, 11
	s_mov_b64 s[0:1], -1
	s_waitcnt lgkmcnt(0)
	s_sub_i32 s30, s30, s34
	s_cmpk_gt_i32 s30, 0x7ff
	s_cbranch_scc0 .LBB483_2
; %bb.1:
	s_ashr_i32 s35, s34, 31
	s_lshl_b64 s[0:1], s[34:35], 1
	s_add_u32 s2, s38, s0
	s_addc_u32 s3, s39, s1
	v_lshlrev_b32_e32 v1, 4, v0
	global_load_dwordx4 v[2:5], v1, s[2:3]
	s_lshl_b32 s28, s31, 16
	s_add_u32 s40, s36, s0
	v_mov_b32_e32 v6, s31
	s_addc_u32 s41, s37, s1
	s_mov_b32 s33, 0x5040100
	s_waitcnt vmcnt(0)
	v_and_b32_e32 v8, 0xffff0000, v2
	v_lshlrev_b32_e32 v7, 16, v2
	v_cmp_u_f32_e32 vcc, v8, v8
	v_cmp_gt_f32_e64 s[2:3], s28, v8
	v_lshrrev_b32_e32 v9, 16, v2
	v_and_b32_e32 v11, 0xffff0000, v3
	v_cmp_u_f32_e64 s[0:1], v7, v7
	v_cmp_gt_f32_e64 s[4:5], s28, v7
	s_or_b64 vcc, vcc, s[2:3]
	v_lshlrev_b32_e32 v10, 16, v3
	v_cmp_u_f32_e64 s[6:7], v11, v11
	v_cmp_gt_f32_e64 s[10:11], s28, v11
	v_cndmask_b32_e32 v7, v6, v9, vcc
	s_or_b64 vcc, s[0:1], s[4:5]
	v_lshrrev_b32_e32 v12, 16, v3
	v_and_b32_e32 v14, 0xffff0000, v4
	v_cmp_u_f32_e64 s[8:9], v10, v10
	v_cmp_gt_f32_e64 s[12:13], s28, v10
	v_cndmask_b32_e32 v2, v6, v2, vcc
	s_or_b64 vcc, s[6:7], s[10:11]
	v_lshlrev_b32_e32 v13, 16, v4
	v_cmp_u_f32_e64 s[14:15], v14, v14
	v_cmp_gt_f32_e64 s[18:19], s28, v14
	v_cndmask_b32_e32 v8, v6, v12, vcc
	s_or_b64 vcc, s[8:9], s[12:13]
	v_lshrrev_b32_e32 v15, 16, v4
	v_and_b32_e32 v17, 0xffff0000, v5
	v_cmp_u_f32_e64 s[16:17], v13, v13
	v_cmp_gt_f32_e64 s[20:21], s28, v13
	v_cndmask_b32_e32 v3, v6, v3, vcc
	s_or_b64 vcc, s[14:15], s[18:19]
	v_lshlrev_b32_e32 v16, 16, v5
	v_cmp_u_f32_e64 s[22:23], v17, v17
	v_cmp_gt_f32_e64 s[26:27], s28, v17
	v_cndmask_b32_e32 v9, v6, v15, vcc
	s_or_b64 vcc, s[16:17], s[20:21]
	v_lshrrev_b32_e32 v18, 16, v5
	v_cmp_u_f32_e64 s[24:25], v16, v16
	v_cmp_gt_f32_e64 s[28:29], s28, v16
	v_cndmask_b32_e32 v4, v6, v4, vcc
	s_or_b64 vcc, s[22:23], s[26:27]
	v_cndmask_b32_e32 v10, v6, v18, vcc
	s_or_b64 vcc, s[24:25], s[28:29]
	v_cndmask_b32_e32 v5, v6, v5, vcc
	v_perm_b32 v5, v10, v5, s33
	v_perm_b32 v4, v9, v4, s33
	;; [unrolled: 1-line block ×4, first 2 shown]
	global_store_dwordx4 v1, v[2:5], s[40:41]
	s_mov_b64 s[0:1], 0
.LBB483_2:
	s_andn2_b64 vcc, exec, s[0:1]
	s_cbranch_vccnz .LBB483_28
; %bb.3:
	v_cmp_gt_i32_e32 vcc, s30, v0
	v_mov_b32_e32 v6, 0
	v_or_b32_e32 v2, s34, v0
	v_mov_b32_e32 v9, 0
	v_mov_b32_e32 v3, v0
	s_and_saveexec_b64 s[0:1], vcc
	s_cbranch_execz .LBB483_5
; %bb.4:
	v_mov_b32_e32 v3, 0
	v_lshl_add_u64 v[4:5], v[2:3], 1, s[38:39]
	global_load_ushort v9, v[4:5], off
	v_or_b32_e32 v3, 0x100, v0
.LBB483_5:
	s_or_b64 exec, exec, s[0:1]
	v_cmp_gt_i32_e64 s[0:1], s30, v3
	s_and_saveexec_b64 s[2:3], s[0:1]
	s_cbranch_execz .LBB483_7
; %bb.6:
	v_add_u32_e32 v4, s34, v3
	v_mov_b32_e32 v5, 0
	v_lshl_add_u64 v[4:5], v[4:5], 1, s[38:39]
	global_load_ushort v6, v[4:5], off
	v_add_u32_e32 v3, 0x100, v3
.LBB483_7:
	s_or_b64 exec, exec, s[2:3]
	v_cmp_gt_i32_e64 s[0:1], s30, v3
	v_mov_b32_e32 v5, 0
	v_mov_b32_e32 v10, 0
	s_and_saveexec_b64 s[2:3], s[0:1]
	s_cbranch_execz .LBB483_9
; %bb.8:
	v_add_u32_e32 v10, s34, v3
	v_mov_b32_e32 v11, 0
	v_lshl_add_u64 v[10:11], v[10:11], 1, s[38:39]
	global_load_ushort v10, v[10:11], off
	v_add_u32_e32 v3, 0x100, v3
.LBB483_9:
	s_or_b64 exec, exec, s[2:3]
	v_cmp_gt_i32_e64 s[0:1], s30, v3
	s_and_saveexec_b64 s[2:3], s[0:1]
	s_cbranch_execz .LBB483_11
; %bb.10:
	v_add_u32_e32 v4, s34, v3
	v_mov_b32_e32 v5, 0
	v_lshl_add_u64 v[4:5], v[4:5], 1, s[38:39]
	global_load_ushort v5, v[4:5], off
	v_add_u32_e32 v3, 0x100, v3
.LBB483_11:
	s_or_b64 exec, exec, s[2:3]
	v_cmp_gt_i32_e64 s[0:1], s30, v3
	v_mov_b32_e32 v4, 0
	v_mov_b32_e32 v8, 0
	s_and_saveexec_b64 s[2:3], s[0:1]
	s_cbranch_execz .LBB483_13
; %bb.12:
	v_add_u32_e32 v12, s34, v3
	v_mov_b32_e32 v13, 0
	v_lshl_add_u64 v[12:13], v[12:13], 1, s[38:39]
	global_load_ushort v8, v[12:13], off
	v_add_u32_e32 v3, 0x100, v3
.LBB483_13:
	;; [unrolled: 24-line block ×3, first 2 shown]
	s_or_b64 exec, exec, s[2:3]
	v_cmp_gt_i32_e64 s[0:1], s30, v3
	s_and_saveexec_b64 s[2:3], s[0:1]
	s_cbranch_execz .LBB483_19
; %bb.18:
	v_add_u32_e32 v12, s34, v3
	v_mov_b32_e32 v13, 0
	v_lshl_add_u64 v[12:13], v[12:13], 1, s[38:39]
	global_load_ushort v1, v[12:13], off
.LBB483_19:
	s_or_b64 exec, exec, s[2:3]
	s_lshl_b32 s0, s31, 16
	v_mov_b32_e32 v11, s0
	s_and_saveexec_b64 s[2:3], vcc
	s_cbranch_execnz .LBB483_29
; %bb.20:
	s_or_b64 exec, exec, s[2:3]
	v_cmp_gt_i32_e32 vcc, s30, v0
	s_and_saveexec_b64 s[2:3], vcc
	s_cbranch_execnz .LBB483_30
.LBB483_21:
	s_or_b64 exec, exec, s[2:3]
	v_cmp_gt_i32_e32 vcc, s30, v0
	s_and_saveexec_b64 s[2:3], vcc
	s_cbranch_execnz .LBB483_31
.LBB483_22:
	s_or_b64 exec, exec, s[2:3]
	v_cmp_gt_i32_e32 vcc, s30, v0
	s_and_saveexec_b64 s[2:3], vcc
	s_cbranch_execnz .LBB483_32
.LBB483_23:
	s_or_b64 exec, exec, s[2:3]
	v_cmp_gt_i32_e32 vcc, s30, v0
	s_and_saveexec_b64 s[2:3], vcc
	s_cbranch_execnz .LBB483_33
.LBB483_24:
	s_or_b64 exec, exec, s[2:3]
	v_cmp_gt_i32_e32 vcc, s30, v0
	s_and_saveexec_b64 s[2:3], vcc
	s_cbranch_execnz .LBB483_34
.LBB483_25:
	s_or_b64 exec, exec, s[2:3]
	v_cmp_gt_i32_e32 vcc, s30, v0
	s_and_saveexec_b64 s[2:3], vcc
	s_cbranch_execnz .LBB483_35
.LBB483_26:
	s_or_b64 exec, exec, s[2:3]
	v_cmp_gt_i32_e32 vcc, s30, v0
	s_and_saveexec_b64 s[0:1], vcc
	s_cbranch_execz .LBB483_28
.LBB483_27:
	s_waitcnt vmcnt(0)
	v_lshlrev_b32_e32 v2, 16, v1
	v_cmp_u_f32_e32 vcc, v2, v2
	v_cmp_lt_f32_e64 s[0:1], v2, v11
	v_mov_b32_e32 v2, s31
	s_or_b64 vcc, vcc, s[0:1]
	v_cndmask_b32_e32 v2, v2, v1, vcc
	v_add_u32_e32 v0, s34, v0
	v_mov_b32_e32 v1, 0
	v_lshl_add_u64 v[0:1], v[0:1], 1, s[36:37]
	global_store_short v[0:1], v2, off
.LBB483_28:
	s_endpgm
.LBB483_29:
	s_waitcnt vmcnt(0)
	v_lshlrev_b32_e32 v12, 16, v9
	v_cmp_u_f32_e32 vcc, v12, v12
	v_cmp_gt_f32_e64 s[0:1], v11, v12
	v_mov_b32_e32 v3, 0
	v_mov_b32_e32 v12, s31
	s_or_b64 vcc, vcc, s[0:1]
	v_lshl_add_u64 v[2:3], v[2:3], 1, s[36:37]
	v_or_b32_e32 v0, 0x100, v0
	v_cndmask_b32_e32 v9, v12, v9, vcc
	global_store_short v[2:3], v9, off
	s_or_b64 exec, exec, s[2:3]
	v_cmp_gt_i32_e32 vcc, s30, v0
	s_and_saveexec_b64 s[2:3], vcc
	s_cbranch_execz .LBB483_21
.LBB483_30:
	s_waitcnt vmcnt(0)
	v_lshlrev_b32_e32 v2, 16, v6
	v_cmp_u_f32_e32 vcc, v2, v2
	v_cmp_gt_f32_e64 s[0:1], v11, v2
	v_mov_b32_e32 v2, s31
	s_or_b64 vcc, vcc, s[0:1]
	v_cndmask_b32_e32 v6, v2, v6, vcc
	v_add_u32_e32 v2, s34, v0
	v_mov_b32_e32 v3, 0
	v_lshl_add_u64 v[2:3], v[2:3], 1, s[36:37]
	v_add_u32_e32 v0, 0x100, v0
	global_store_short v[2:3], v6, off
	s_or_b64 exec, exec, s[2:3]
	v_cmp_gt_i32_e32 vcc, s30, v0
	s_and_saveexec_b64 s[2:3], vcc
	s_cbranch_execz .LBB483_22
.LBB483_31:
	s_waitcnt vmcnt(0)
	v_lshlrev_b32_e32 v2, 16, v10
	v_cmp_u_f32_e32 vcc, v2, v2
	v_cmp_gt_f32_e64 s[0:1], v11, v2
	v_mov_b32_e32 v2, s31
	s_or_b64 vcc, vcc, s[0:1]
	v_cndmask_b32_e32 v6, v2, v10, vcc
	v_add_u32_e32 v2, s34, v0
	v_mov_b32_e32 v3, 0
	v_lshl_add_u64 v[2:3], v[2:3], 1, s[36:37]
	v_add_u32_e32 v0, 0x100, v0
	global_store_short v[2:3], v6, off
	s_or_b64 exec, exec, s[2:3]
	v_cmp_gt_i32_e32 vcc, s30, v0
	s_and_saveexec_b64 s[2:3], vcc
	s_cbranch_execz .LBB483_23
.LBB483_32:
	s_waitcnt vmcnt(0)
	v_lshlrev_b32_e32 v2, 16, v5
	v_cmp_u_f32_e32 vcc, v2, v2
	v_cmp_gt_f32_e64 s[0:1], v11, v2
	v_mov_b32_e32 v2, s31
	s_or_b64 vcc, vcc, s[0:1]
	v_cndmask_b32_e32 v5, v2, v5, vcc
	v_add_u32_e32 v2, s34, v0
	v_mov_b32_e32 v3, 0
	v_lshl_add_u64 v[2:3], v[2:3], 1, s[36:37]
	v_add_u32_e32 v0, 0x100, v0
	global_store_short v[2:3], v5, off
	s_or_b64 exec, exec, s[2:3]
	v_cmp_gt_i32_e32 vcc, s30, v0
	s_and_saveexec_b64 s[2:3], vcc
	s_cbranch_execz .LBB483_24
.LBB483_33:
	s_waitcnt vmcnt(0)
	v_lshlrev_b32_e32 v2, 16, v8
	v_cmp_u_f32_e32 vcc, v2, v2
	v_cmp_gt_f32_e64 s[0:1], v11, v2
	v_mov_b32_e32 v2, s31
	s_or_b64 vcc, vcc, s[0:1]
	v_cndmask_b32_e32 v5, v2, v8, vcc
	v_add_u32_e32 v2, s34, v0
	v_mov_b32_e32 v3, 0
	v_lshl_add_u64 v[2:3], v[2:3], 1, s[36:37]
	v_add_u32_e32 v0, 0x100, v0
	global_store_short v[2:3], v5, off
	s_or_b64 exec, exec, s[2:3]
	v_cmp_gt_i32_e32 vcc, s30, v0
	s_and_saveexec_b64 s[2:3], vcc
	s_cbranch_execz .LBB483_25
.LBB483_34:
	s_waitcnt vmcnt(0)
	v_lshlrev_b32_e32 v2, 16, v4
	v_cmp_u_f32_e32 vcc, v2, v2
	v_cmp_gt_f32_e64 s[0:1], v11, v2
	v_mov_b32_e32 v2, s31
	s_or_b64 vcc, vcc, s[0:1]
	v_cndmask_b32_e32 v4, v2, v4, vcc
	v_add_u32_e32 v2, s34, v0
	v_mov_b32_e32 v3, 0
	v_lshl_add_u64 v[2:3], v[2:3], 1, s[36:37]
	v_add_u32_e32 v0, 0x100, v0
	global_store_short v[2:3], v4, off
	s_or_b64 exec, exec, s[2:3]
	v_cmp_gt_i32_e32 vcc, s30, v0
	s_and_saveexec_b64 s[2:3], vcc
	s_cbranch_execz .LBB483_26
.LBB483_35:
	s_waitcnt vmcnt(0)
	v_lshlrev_b32_e32 v2, 16, v7
	v_cmp_u_f32_e32 vcc, v2, v2
	v_cmp_gt_f32_e64 s[0:1], v11, v2
	v_mov_b32_e32 v2, s31
	s_or_b64 vcc, vcc, s[0:1]
	v_cndmask_b32_e32 v4, v2, v7, vcc
	v_add_u32_e32 v2, s34, v0
	v_mov_b32_e32 v3, 0
	v_lshl_add_u64 v[2:3], v[2:3], 1, s[36:37]
	v_add_u32_e32 v0, 0x100, v0
	global_store_short v[2:3], v4, off
	s_or_b64 exec, exec, s[2:3]
	v_cmp_gt_i32_e32 vcc, s30, v0
	s_and_saveexec_b64 s[0:1], vcc
	s_cbranch_execnz .LBB483_27
	s_branch .LBB483_28
	.section	.rodata,"a",@progbits
	.p2align	6, 0x0
	.amdhsa_kernel _ZN2at6native29vectorized_elementwise_kernelILi8EZZZNS0_21clamp_max_kernel_cudaERNS_18TensorIteratorBaseERKN3c106ScalarEENKUlvE_clEvENKUlvE7_clEvEUlNS4_8BFloat16EE_St5arrayIPcLm2EEEEviT0_T1_
		.amdhsa_group_segment_fixed_size 0
		.amdhsa_private_segment_fixed_size 0
		.amdhsa_kernarg_size 24
		.amdhsa_user_sgpr_count 2
		.amdhsa_user_sgpr_dispatch_ptr 0
		.amdhsa_user_sgpr_queue_ptr 0
		.amdhsa_user_sgpr_kernarg_segment_ptr 1
		.amdhsa_user_sgpr_dispatch_id 0
		.amdhsa_user_sgpr_kernarg_preload_length 0
		.amdhsa_user_sgpr_kernarg_preload_offset 0
		.amdhsa_user_sgpr_private_segment_size 0
		.amdhsa_uses_dynamic_stack 0
		.amdhsa_enable_private_segment 0
		.amdhsa_system_sgpr_workgroup_id_x 1
		.amdhsa_system_sgpr_workgroup_id_y 0
		.amdhsa_system_sgpr_workgroup_id_z 0
		.amdhsa_system_sgpr_workgroup_info 0
		.amdhsa_system_vgpr_workitem_id 0
		.amdhsa_next_free_vgpr 19
		.amdhsa_next_free_sgpr 42
		.amdhsa_accum_offset 20
		.amdhsa_reserve_vcc 1
		.amdhsa_float_round_mode_32 0
		.amdhsa_float_round_mode_16_64 0
		.amdhsa_float_denorm_mode_32 3
		.amdhsa_float_denorm_mode_16_64 3
		.amdhsa_dx10_clamp 1
		.amdhsa_ieee_mode 1
		.amdhsa_fp16_overflow 0
		.amdhsa_tg_split 0
		.amdhsa_exception_fp_ieee_invalid_op 0
		.amdhsa_exception_fp_denorm_src 0
		.amdhsa_exception_fp_ieee_div_zero 0
		.amdhsa_exception_fp_ieee_overflow 0
		.amdhsa_exception_fp_ieee_underflow 0
		.amdhsa_exception_fp_ieee_inexact 0
		.amdhsa_exception_int_div_zero 0
	.end_amdhsa_kernel
	.section	.text._ZN2at6native29vectorized_elementwise_kernelILi8EZZZNS0_21clamp_max_kernel_cudaERNS_18TensorIteratorBaseERKN3c106ScalarEENKUlvE_clEvENKUlvE7_clEvEUlNS4_8BFloat16EE_St5arrayIPcLm2EEEEviT0_T1_,"axG",@progbits,_ZN2at6native29vectorized_elementwise_kernelILi8EZZZNS0_21clamp_max_kernel_cudaERNS_18TensorIteratorBaseERKN3c106ScalarEENKUlvE_clEvENKUlvE7_clEvEUlNS4_8BFloat16EE_St5arrayIPcLm2EEEEviT0_T1_,comdat
.Lfunc_end483:
	.size	_ZN2at6native29vectorized_elementwise_kernelILi8EZZZNS0_21clamp_max_kernel_cudaERNS_18TensorIteratorBaseERKN3c106ScalarEENKUlvE_clEvENKUlvE7_clEvEUlNS4_8BFloat16EE_St5arrayIPcLm2EEEEviT0_T1_, .Lfunc_end483-_ZN2at6native29vectorized_elementwise_kernelILi8EZZZNS0_21clamp_max_kernel_cudaERNS_18TensorIteratorBaseERKN3c106ScalarEENKUlvE_clEvENKUlvE7_clEvEUlNS4_8BFloat16EE_St5arrayIPcLm2EEEEviT0_T1_
                                        ; -- End function
	.set _ZN2at6native29vectorized_elementwise_kernelILi8EZZZNS0_21clamp_max_kernel_cudaERNS_18TensorIteratorBaseERKN3c106ScalarEENKUlvE_clEvENKUlvE7_clEvEUlNS4_8BFloat16EE_St5arrayIPcLm2EEEEviT0_T1_.num_vgpr, 19
	.set _ZN2at6native29vectorized_elementwise_kernelILi8EZZZNS0_21clamp_max_kernel_cudaERNS_18TensorIteratorBaseERKN3c106ScalarEENKUlvE_clEvENKUlvE7_clEvEUlNS4_8BFloat16EE_St5arrayIPcLm2EEEEviT0_T1_.num_agpr, 0
	.set _ZN2at6native29vectorized_elementwise_kernelILi8EZZZNS0_21clamp_max_kernel_cudaERNS_18TensorIteratorBaseERKN3c106ScalarEENKUlvE_clEvENKUlvE7_clEvEUlNS4_8BFloat16EE_St5arrayIPcLm2EEEEviT0_T1_.numbered_sgpr, 42
	.set _ZN2at6native29vectorized_elementwise_kernelILi8EZZZNS0_21clamp_max_kernel_cudaERNS_18TensorIteratorBaseERKN3c106ScalarEENKUlvE_clEvENKUlvE7_clEvEUlNS4_8BFloat16EE_St5arrayIPcLm2EEEEviT0_T1_.num_named_barrier, 0
	.set _ZN2at6native29vectorized_elementwise_kernelILi8EZZZNS0_21clamp_max_kernel_cudaERNS_18TensorIteratorBaseERKN3c106ScalarEENKUlvE_clEvENKUlvE7_clEvEUlNS4_8BFloat16EE_St5arrayIPcLm2EEEEviT0_T1_.private_seg_size, 0
	.set _ZN2at6native29vectorized_elementwise_kernelILi8EZZZNS0_21clamp_max_kernel_cudaERNS_18TensorIteratorBaseERKN3c106ScalarEENKUlvE_clEvENKUlvE7_clEvEUlNS4_8BFloat16EE_St5arrayIPcLm2EEEEviT0_T1_.uses_vcc, 1
	.set _ZN2at6native29vectorized_elementwise_kernelILi8EZZZNS0_21clamp_max_kernel_cudaERNS_18TensorIteratorBaseERKN3c106ScalarEENKUlvE_clEvENKUlvE7_clEvEUlNS4_8BFloat16EE_St5arrayIPcLm2EEEEviT0_T1_.uses_flat_scratch, 0
	.set _ZN2at6native29vectorized_elementwise_kernelILi8EZZZNS0_21clamp_max_kernel_cudaERNS_18TensorIteratorBaseERKN3c106ScalarEENKUlvE_clEvENKUlvE7_clEvEUlNS4_8BFloat16EE_St5arrayIPcLm2EEEEviT0_T1_.has_dyn_sized_stack, 0
	.set _ZN2at6native29vectorized_elementwise_kernelILi8EZZZNS0_21clamp_max_kernel_cudaERNS_18TensorIteratorBaseERKN3c106ScalarEENKUlvE_clEvENKUlvE7_clEvEUlNS4_8BFloat16EE_St5arrayIPcLm2EEEEviT0_T1_.has_recursion, 0
	.set _ZN2at6native29vectorized_elementwise_kernelILi8EZZZNS0_21clamp_max_kernel_cudaERNS_18TensorIteratorBaseERKN3c106ScalarEENKUlvE_clEvENKUlvE7_clEvEUlNS4_8BFloat16EE_St5arrayIPcLm2EEEEviT0_T1_.has_indirect_call, 0
	.section	.AMDGPU.csdata,"",@progbits
; Kernel info:
; codeLenInByte = 1588
; TotalNumSgprs: 48
; NumVgprs: 19
; NumAgprs: 0
; TotalNumVgprs: 19
; ScratchSize: 0
; MemoryBound: 0
; FloatMode: 240
; IeeeMode: 1
; LDSByteSize: 0 bytes/workgroup (compile time only)
; SGPRBlocks: 5
; VGPRBlocks: 2
; NumSGPRsForWavesPerEU: 48
; NumVGPRsForWavesPerEU: 19
; AccumOffset: 20
; Occupancy: 8
; WaveLimiterHint : 0
; COMPUTE_PGM_RSRC2:SCRATCH_EN: 0
; COMPUTE_PGM_RSRC2:USER_SGPR: 2
; COMPUTE_PGM_RSRC2:TRAP_HANDLER: 0
; COMPUTE_PGM_RSRC2:TGID_X_EN: 1
; COMPUTE_PGM_RSRC2:TGID_Y_EN: 0
; COMPUTE_PGM_RSRC2:TGID_Z_EN: 0
; COMPUTE_PGM_RSRC2:TIDIG_COMP_CNT: 0
; COMPUTE_PGM_RSRC3_GFX90A:ACCUM_OFFSET: 4
; COMPUTE_PGM_RSRC3_GFX90A:TG_SPLIT: 0
	.section	.text._ZN2at6native29vectorized_elementwise_kernelILi4EZZZNS0_21clamp_max_kernel_cudaERNS_18TensorIteratorBaseERKN3c106ScalarEENKUlvE_clEvENKUlvE7_clEvEUlNS4_8BFloat16EE_St5arrayIPcLm2EEEEviT0_T1_,"axG",@progbits,_ZN2at6native29vectorized_elementwise_kernelILi4EZZZNS0_21clamp_max_kernel_cudaERNS_18TensorIteratorBaseERKN3c106ScalarEENKUlvE_clEvENKUlvE7_clEvEUlNS4_8BFloat16EE_St5arrayIPcLm2EEEEviT0_T1_,comdat
	.globl	_ZN2at6native29vectorized_elementwise_kernelILi4EZZZNS0_21clamp_max_kernel_cudaERNS_18TensorIteratorBaseERKN3c106ScalarEENKUlvE_clEvENKUlvE7_clEvEUlNS4_8BFloat16EE_St5arrayIPcLm2EEEEviT0_T1_ ; -- Begin function _ZN2at6native29vectorized_elementwise_kernelILi4EZZZNS0_21clamp_max_kernel_cudaERNS_18TensorIteratorBaseERKN3c106ScalarEENKUlvE_clEvENKUlvE7_clEvEUlNS4_8BFloat16EE_St5arrayIPcLm2EEEEviT0_T1_
	.p2align	8
	.type	_ZN2at6native29vectorized_elementwise_kernelILi4EZZZNS0_21clamp_max_kernel_cudaERNS_18TensorIteratorBaseERKN3c106ScalarEENKUlvE_clEvENKUlvE7_clEvEUlNS4_8BFloat16EE_St5arrayIPcLm2EEEEviT0_T1_,@function
_ZN2at6native29vectorized_elementwise_kernelILi4EZZZNS0_21clamp_max_kernel_cudaERNS_18TensorIteratorBaseERKN3c106ScalarEENKUlvE_clEvENKUlvE7_clEvEUlNS4_8BFloat16EE_St5arrayIPcLm2EEEEviT0_T1_: ; @_ZN2at6native29vectorized_elementwise_kernelILi4EZZZNS0_21clamp_max_kernel_cudaERNS_18TensorIteratorBaseERKN3c106ScalarEENKUlvE_clEvENKUlvE7_clEvEUlNS4_8BFloat16EE_St5arrayIPcLm2EEEEviT0_T1_
; %bb.0:
	s_load_dwordx2 s[30:31], s[0:1], 0x0
	s_load_dwordx4 s[36:39], s[0:1], 0x8
	s_lshl_b32 s34, s2, 11
	s_mov_b64 s[0:1], -1
	s_waitcnt lgkmcnt(0)
	s_sub_i32 s30, s30, s34
	s_cmpk_gt_i32 s30, 0x7ff
	s_cbranch_scc0 .LBB484_2
; %bb.1:
	s_ashr_i32 s35, s34, 31
	s_lshl_b64 s[40:41], s[34:35], 1
	s_add_u32 s0, s38, s40
	s_addc_u32 s1, s39, s41
	v_lshlrev_b32_e32 v1, 3, v0
	global_load_dwordx2 v[2:3], v1, s[0:1]
	global_load_dwordx2 v[4:5], v1, s[0:1] offset:2048
	s_lshl_b32 s26, s31, 16
	v_mov_b32_e32 v6, s31
	s_waitcnt vmcnt(1)
	v_lshlrev_b32_e32 v7, 16, v2
	v_and_b32_e32 v9, 0xffff0000, v2
	v_cmp_u_f32_e32 vcc, v7, v7
	v_cmp_gt_f32_e64 s[10:11], s26, v7
	v_lshlrev_b32_e32 v10, 16, v3
	v_cmp_u_f32_e64 s[0:1], v9, v9
	v_cmp_gt_f32_e64 s[12:13], s26, v9
	s_or_b64 vcc, vcc, s[10:11]
	v_lshrrev_b32_e32 v8, 16, v2
	v_and_b32_e32 v12, 0xffff0000, v3
	v_cmp_u_f32_e64 s[2:3], v10, v10
	v_cmp_gt_f32_e64 s[14:15], s26, v10
	v_cndmask_b32_e32 v2, v6, v2, vcc
	s_or_b64 vcc, s[0:1], s[12:13]
	s_waitcnt vmcnt(0)
	v_lshlrev_b32_e32 v13, 16, v4
	v_cmp_u_f32_e64 s[4:5], v12, v12
	v_cmp_gt_f32_e64 s[16:17], s26, v12
	v_cndmask_b32_e32 v7, v6, v8, vcc
	s_or_b64 vcc, s[2:3], s[14:15]
	v_lshrrev_b32_e32 v11, 16, v3
	v_and_b32_e32 v16, 0xffff0000, v4
	v_cmp_u_f32_e64 s[6:7], v13, v13
	v_cmp_gt_f32_e64 s[18:19], s26, v13
	v_cndmask_b32_e32 v3, v6, v3, vcc
	s_or_b64 vcc, s[4:5], s[16:17]
	v_and_b32_e32 v15, 0xffff0000, v5
	v_lshlrev_b32_e32 v17, 16, v5
	v_cmp_u_f32_e64 s[8:9], v16, v16
	v_cmp_gt_f32_e64 s[22:23], s26, v16
	v_cndmask_b32_e32 v8, v6, v11, vcc
	s_or_b64 vcc, s[6:7], s[18:19]
	v_lshrrev_b32_e32 v14, 16, v4
	v_cmp_gt_f32_e64 s[20:21], s26, v15
	v_cmp_u_f32_e64 s[24:25], v17, v17
	v_cmp_gt_f32_e64 s[26:27], s26, v17
	v_cndmask_b32_e32 v4, v6, v4, vcc
	s_or_b64 vcc, s[8:9], s[22:23]
	v_cmp_u_f32_e64 s[28:29], v15, v15
	v_cndmask_b32_e32 v9, v6, v14, vcc
	s_or_b64 vcc, s[24:25], s[26:27]
	v_lshrrev_b32_e32 v18, 16, v5
	v_cndmask_b32_e32 v5, v6, v5, vcc
	s_or_b64 vcc, s[28:29], s[20:21]
	v_and_b32_e32 v2, 0xffff, v2
	v_lshlrev_b32_e32 v7, 16, v7
	v_cndmask_b32_e32 v6, v6, v18, vcc
	v_and_b32_e32 v3, 0xffff, v3
	v_lshlrev_b32_e32 v8, 16, v8
	v_and_b32_e32 v4, 0xffff, v4
	v_lshlrev_b32_e32 v9, 16, v9
	s_add_u32 s0, s36, s40
	v_or_b32_e32 v2, v7, v2
	v_and_b32_e32 v5, 0xffff, v5
	v_lshlrev_b32_e32 v6, 16, v6
	v_or3_b32 v3, 0, v3, v8
	v_or_b32_e32 v4, v9, v4
	s_addc_u32 s1, s37, s41
	v_or3_b32 v2, v2, 0, 0
	v_or3_b32 v5, 0, v5, v6
	;; [unrolled: 1-line block ×3, first 2 shown]
	global_store_dwordx2 v1, v[2:3], s[0:1]
	global_store_dwordx2 v1, v[4:5], s[0:1] offset:2048
	s_mov_b64 s[0:1], 0
.LBB484_2:
	s_andn2_b64 vcc, exec, s[0:1]
	s_cbranch_vccnz .LBB484_28
; %bb.3:
	v_cmp_gt_i32_e32 vcc, s30, v0
	v_mov_b32_e32 v6, 0
	v_or_b32_e32 v2, s34, v0
	v_mov_b32_e32 v9, 0
	v_mov_b32_e32 v3, v0
	s_and_saveexec_b64 s[0:1], vcc
	s_cbranch_execz .LBB484_5
; %bb.4:
	v_mov_b32_e32 v3, 0
	v_lshl_add_u64 v[4:5], v[2:3], 1, s[38:39]
	global_load_ushort v9, v[4:5], off
	v_or_b32_e32 v3, 0x100, v0
.LBB484_5:
	s_or_b64 exec, exec, s[0:1]
	v_cmp_gt_i32_e64 s[0:1], s30, v3
	s_and_saveexec_b64 s[2:3], s[0:1]
	s_cbranch_execz .LBB484_7
; %bb.6:
	v_add_u32_e32 v4, s34, v3
	v_mov_b32_e32 v5, 0
	v_lshl_add_u64 v[4:5], v[4:5], 1, s[38:39]
	global_load_ushort v6, v[4:5], off
	v_add_u32_e32 v3, 0x100, v3
.LBB484_7:
	s_or_b64 exec, exec, s[2:3]
	v_cmp_gt_i32_e64 s[0:1], s30, v3
	v_mov_b32_e32 v5, 0
	v_mov_b32_e32 v10, 0
	s_and_saveexec_b64 s[2:3], s[0:1]
	s_cbranch_execz .LBB484_9
; %bb.8:
	v_add_u32_e32 v10, s34, v3
	v_mov_b32_e32 v11, 0
	v_lshl_add_u64 v[10:11], v[10:11], 1, s[38:39]
	global_load_ushort v10, v[10:11], off
	v_add_u32_e32 v3, 0x100, v3
.LBB484_9:
	s_or_b64 exec, exec, s[2:3]
	v_cmp_gt_i32_e64 s[0:1], s30, v3
	s_and_saveexec_b64 s[2:3], s[0:1]
	s_cbranch_execz .LBB484_11
; %bb.10:
	v_add_u32_e32 v4, s34, v3
	v_mov_b32_e32 v5, 0
	v_lshl_add_u64 v[4:5], v[4:5], 1, s[38:39]
	global_load_ushort v5, v[4:5], off
	v_add_u32_e32 v3, 0x100, v3
.LBB484_11:
	s_or_b64 exec, exec, s[2:3]
	v_cmp_gt_i32_e64 s[0:1], s30, v3
	v_mov_b32_e32 v4, 0
	v_mov_b32_e32 v8, 0
	s_and_saveexec_b64 s[2:3], s[0:1]
	s_cbranch_execz .LBB484_13
; %bb.12:
	v_add_u32_e32 v12, s34, v3
	v_mov_b32_e32 v13, 0
	v_lshl_add_u64 v[12:13], v[12:13], 1, s[38:39]
	global_load_ushort v8, v[12:13], off
	v_add_u32_e32 v3, 0x100, v3
.LBB484_13:
	;; [unrolled: 24-line block ×3, first 2 shown]
	s_or_b64 exec, exec, s[2:3]
	v_cmp_gt_i32_e64 s[0:1], s30, v3
	s_and_saveexec_b64 s[2:3], s[0:1]
	s_cbranch_execz .LBB484_19
; %bb.18:
	v_add_u32_e32 v12, s34, v3
	v_mov_b32_e32 v13, 0
	v_lshl_add_u64 v[12:13], v[12:13], 1, s[38:39]
	global_load_ushort v1, v[12:13], off
.LBB484_19:
	s_or_b64 exec, exec, s[2:3]
	s_lshl_b32 s0, s31, 16
	v_mov_b32_e32 v11, s0
	s_and_saveexec_b64 s[2:3], vcc
	s_cbranch_execnz .LBB484_29
; %bb.20:
	s_or_b64 exec, exec, s[2:3]
	v_cmp_gt_i32_e32 vcc, s30, v0
	s_and_saveexec_b64 s[2:3], vcc
	s_cbranch_execnz .LBB484_30
.LBB484_21:
	s_or_b64 exec, exec, s[2:3]
	v_cmp_gt_i32_e32 vcc, s30, v0
	s_and_saveexec_b64 s[2:3], vcc
	s_cbranch_execnz .LBB484_31
.LBB484_22:
	s_or_b64 exec, exec, s[2:3]
	v_cmp_gt_i32_e32 vcc, s30, v0
	s_and_saveexec_b64 s[2:3], vcc
	s_cbranch_execnz .LBB484_32
.LBB484_23:
	s_or_b64 exec, exec, s[2:3]
	v_cmp_gt_i32_e32 vcc, s30, v0
	s_and_saveexec_b64 s[2:3], vcc
	s_cbranch_execnz .LBB484_33
.LBB484_24:
	s_or_b64 exec, exec, s[2:3]
	v_cmp_gt_i32_e32 vcc, s30, v0
	s_and_saveexec_b64 s[2:3], vcc
	s_cbranch_execnz .LBB484_34
.LBB484_25:
	s_or_b64 exec, exec, s[2:3]
	v_cmp_gt_i32_e32 vcc, s30, v0
	s_and_saveexec_b64 s[2:3], vcc
	s_cbranch_execnz .LBB484_35
.LBB484_26:
	s_or_b64 exec, exec, s[2:3]
	v_cmp_gt_i32_e32 vcc, s30, v0
	s_and_saveexec_b64 s[0:1], vcc
	s_cbranch_execz .LBB484_28
.LBB484_27:
	s_waitcnt vmcnt(0)
	v_lshlrev_b32_e32 v2, 16, v1
	v_cmp_u_f32_e32 vcc, v2, v2
	v_cmp_lt_f32_e64 s[0:1], v2, v11
	v_mov_b32_e32 v2, s31
	s_or_b64 vcc, vcc, s[0:1]
	v_cndmask_b32_e32 v2, v2, v1, vcc
	v_add_u32_e32 v0, s34, v0
	v_mov_b32_e32 v1, 0
	v_lshl_add_u64 v[0:1], v[0:1], 1, s[36:37]
	global_store_short v[0:1], v2, off
.LBB484_28:
	s_endpgm
.LBB484_29:
	s_waitcnt vmcnt(0)
	v_lshlrev_b32_e32 v12, 16, v9
	v_cmp_u_f32_e32 vcc, v12, v12
	v_cmp_gt_f32_e64 s[0:1], v11, v12
	v_mov_b32_e32 v3, 0
	v_mov_b32_e32 v12, s31
	s_or_b64 vcc, vcc, s[0:1]
	v_lshl_add_u64 v[2:3], v[2:3], 1, s[36:37]
	v_or_b32_e32 v0, 0x100, v0
	v_cndmask_b32_e32 v9, v12, v9, vcc
	global_store_short v[2:3], v9, off
	s_or_b64 exec, exec, s[2:3]
	v_cmp_gt_i32_e32 vcc, s30, v0
	s_and_saveexec_b64 s[2:3], vcc
	s_cbranch_execz .LBB484_21
.LBB484_30:
	s_waitcnt vmcnt(0)
	v_lshlrev_b32_e32 v2, 16, v6
	v_cmp_u_f32_e32 vcc, v2, v2
	v_cmp_gt_f32_e64 s[0:1], v11, v2
	v_mov_b32_e32 v2, s31
	s_or_b64 vcc, vcc, s[0:1]
	v_cndmask_b32_e32 v6, v2, v6, vcc
	v_add_u32_e32 v2, s34, v0
	v_mov_b32_e32 v3, 0
	v_lshl_add_u64 v[2:3], v[2:3], 1, s[36:37]
	v_add_u32_e32 v0, 0x100, v0
	global_store_short v[2:3], v6, off
	s_or_b64 exec, exec, s[2:3]
	v_cmp_gt_i32_e32 vcc, s30, v0
	s_and_saveexec_b64 s[2:3], vcc
	s_cbranch_execz .LBB484_22
.LBB484_31:
	s_waitcnt vmcnt(0)
	v_lshlrev_b32_e32 v2, 16, v10
	v_cmp_u_f32_e32 vcc, v2, v2
	v_cmp_gt_f32_e64 s[0:1], v11, v2
	v_mov_b32_e32 v2, s31
	s_or_b64 vcc, vcc, s[0:1]
	v_cndmask_b32_e32 v6, v2, v10, vcc
	v_add_u32_e32 v2, s34, v0
	v_mov_b32_e32 v3, 0
	v_lshl_add_u64 v[2:3], v[2:3], 1, s[36:37]
	v_add_u32_e32 v0, 0x100, v0
	global_store_short v[2:3], v6, off
	s_or_b64 exec, exec, s[2:3]
	v_cmp_gt_i32_e32 vcc, s30, v0
	s_and_saveexec_b64 s[2:3], vcc
	s_cbranch_execz .LBB484_23
.LBB484_32:
	s_waitcnt vmcnt(0)
	v_lshlrev_b32_e32 v2, 16, v5
	v_cmp_u_f32_e32 vcc, v2, v2
	v_cmp_gt_f32_e64 s[0:1], v11, v2
	v_mov_b32_e32 v2, s31
	s_or_b64 vcc, vcc, s[0:1]
	v_cndmask_b32_e32 v5, v2, v5, vcc
	v_add_u32_e32 v2, s34, v0
	v_mov_b32_e32 v3, 0
	v_lshl_add_u64 v[2:3], v[2:3], 1, s[36:37]
	v_add_u32_e32 v0, 0x100, v0
	global_store_short v[2:3], v5, off
	s_or_b64 exec, exec, s[2:3]
	v_cmp_gt_i32_e32 vcc, s30, v0
	s_and_saveexec_b64 s[2:3], vcc
	s_cbranch_execz .LBB484_24
.LBB484_33:
	s_waitcnt vmcnt(0)
	v_lshlrev_b32_e32 v2, 16, v8
	v_cmp_u_f32_e32 vcc, v2, v2
	v_cmp_gt_f32_e64 s[0:1], v11, v2
	v_mov_b32_e32 v2, s31
	s_or_b64 vcc, vcc, s[0:1]
	v_cndmask_b32_e32 v5, v2, v8, vcc
	v_add_u32_e32 v2, s34, v0
	v_mov_b32_e32 v3, 0
	v_lshl_add_u64 v[2:3], v[2:3], 1, s[36:37]
	v_add_u32_e32 v0, 0x100, v0
	global_store_short v[2:3], v5, off
	s_or_b64 exec, exec, s[2:3]
	v_cmp_gt_i32_e32 vcc, s30, v0
	s_and_saveexec_b64 s[2:3], vcc
	s_cbranch_execz .LBB484_25
.LBB484_34:
	s_waitcnt vmcnt(0)
	v_lshlrev_b32_e32 v2, 16, v4
	v_cmp_u_f32_e32 vcc, v2, v2
	v_cmp_gt_f32_e64 s[0:1], v11, v2
	v_mov_b32_e32 v2, s31
	s_or_b64 vcc, vcc, s[0:1]
	v_cndmask_b32_e32 v4, v2, v4, vcc
	v_add_u32_e32 v2, s34, v0
	v_mov_b32_e32 v3, 0
	v_lshl_add_u64 v[2:3], v[2:3], 1, s[36:37]
	v_add_u32_e32 v0, 0x100, v0
	global_store_short v[2:3], v4, off
	s_or_b64 exec, exec, s[2:3]
	v_cmp_gt_i32_e32 vcc, s30, v0
	s_and_saveexec_b64 s[2:3], vcc
	s_cbranch_execz .LBB484_26
.LBB484_35:
	s_waitcnt vmcnt(0)
	v_lshlrev_b32_e32 v2, 16, v7
	v_cmp_u_f32_e32 vcc, v2, v2
	v_cmp_gt_f32_e64 s[0:1], v11, v2
	v_mov_b32_e32 v2, s31
	s_or_b64 vcc, vcc, s[0:1]
	v_cndmask_b32_e32 v4, v2, v7, vcc
	v_add_u32_e32 v2, s34, v0
	v_mov_b32_e32 v3, 0
	v_lshl_add_u64 v[2:3], v[2:3], 1, s[36:37]
	v_add_u32_e32 v0, 0x100, v0
	global_store_short v[2:3], v4, off
	s_or_b64 exec, exec, s[2:3]
	v_cmp_gt_i32_e32 vcc, s30, v0
	s_and_saveexec_b64 s[0:1], vcc
	s_cbranch_execnz .LBB484_27
	s_branch .LBB484_28
	.section	.rodata,"a",@progbits
	.p2align	6, 0x0
	.amdhsa_kernel _ZN2at6native29vectorized_elementwise_kernelILi4EZZZNS0_21clamp_max_kernel_cudaERNS_18TensorIteratorBaseERKN3c106ScalarEENKUlvE_clEvENKUlvE7_clEvEUlNS4_8BFloat16EE_St5arrayIPcLm2EEEEviT0_T1_
		.amdhsa_group_segment_fixed_size 0
		.amdhsa_private_segment_fixed_size 0
		.amdhsa_kernarg_size 24
		.amdhsa_user_sgpr_count 2
		.amdhsa_user_sgpr_dispatch_ptr 0
		.amdhsa_user_sgpr_queue_ptr 0
		.amdhsa_user_sgpr_kernarg_segment_ptr 1
		.amdhsa_user_sgpr_dispatch_id 0
		.amdhsa_user_sgpr_kernarg_preload_length 0
		.amdhsa_user_sgpr_kernarg_preload_offset 0
		.amdhsa_user_sgpr_private_segment_size 0
		.amdhsa_uses_dynamic_stack 0
		.amdhsa_enable_private_segment 0
		.amdhsa_system_sgpr_workgroup_id_x 1
		.amdhsa_system_sgpr_workgroup_id_y 0
		.amdhsa_system_sgpr_workgroup_id_z 0
		.amdhsa_system_sgpr_workgroup_info 0
		.amdhsa_system_vgpr_workitem_id 0
		.amdhsa_next_free_vgpr 19
		.amdhsa_next_free_sgpr 42
		.amdhsa_accum_offset 20
		.amdhsa_reserve_vcc 1
		.amdhsa_float_round_mode_32 0
		.amdhsa_float_round_mode_16_64 0
		.amdhsa_float_denorm_mode_32 3
		.amdhsa_float_denorm_mode_16_64 3
		.amdhsa_dx10_clamp 1
		.amdhsa_ieee_mode 1
		.amdhsa_fp16_overflow 0
		.amdhsa_tg_split 0
		.amdhsa_exception_fp_ieee_invalid_op 0
		.amdhsa_exception_fp_denorm_src 0
		.amdhsa_exception_fp_ieee_div_zero 0
		.amdhsa_exception_fp_ieee_overflow 0
		.amdhsa_exception_fp_ieee_underflow 0
		.amdhsa_exception_fp_ieee_inexact 0
		.amdhsa_exception_int_div_zero 0
	.end_amdhsa_kernel
	.section	.text._ZN2at6native29vectorized_elementwise_kernelILi4EZZZNS0_21clamp_max_kernel_cudaERNS_18TensorIteratorBaseERKN3c106ScalarEENKUlvE_clEvENKUlvE7_clEvEUlNS4_8BFloat16EE_St5arrayIPcLm2EEEEviT0_T1_,"axG",@progbits,_ZN2at6native29vectorized_elementwise_kernelILi4EZZZNS0_21clamp_max_kernel_cudaERNS_18TensorIteratorBaseERKN3c106ScalarEENKUlvE_clEvENKUlvE7_clEvEUlNS4_8BFloat16EE_St5arrayIPcLm2EEEEviT0_T1_,comdat
.Lfunc_end484:
	.size	_ZN2at6native29vectorized_elementwise_kernelILi4EZZZNS0_21clamp_max_kernel_cudaERNS_18TensorIteratorBaseERKN3c106ScalarEENKUlvE_clEvENKUlvE7_clEvEUlNS4_8BFloat16EE_St5arrayIPcLm2EEEEviT0_T1_, .Lfunc_end484-_ZN2at6native29vectorized_elementwise_kernelILi4EZZZNS0_21clamp_max_kernel_cudaERNS_18TensorIteratorBaseERKN3c106ScalarEENKUlvE_clEvENKUlvE7_clEvEUlNS4_8BFloat16EE_St5arrayIPcLm2EEEEviT0_T1_
                                        ; -- End function
	.set _ZN2at6native29vectorized_elementwise_kernelILi4EZZZNS0_21clamp_max_kernel_cudaERNS_18TensorIteratorBaseERKN3c106ScalarEENKUlvE_clEvENKUlvE7_clEvEUlNS4_8BFloat16EE_St5arrayIPcLm2EEEEviT0_T1_.num_vgpr, 19
	.set _ZN2at6native29vectorized_elementwise_kernelILi4EZZZNS0_21clamp_max_kernel_cudaERNS_18TensorIteratorBaseERKN3c106ScalarEENKUlvE_clEvENKUlvE7_clEvEUlNS4_8BFloat16EE_St5arrayIPcLm2EEEEviT0_T1_.num_agpr, 0
	.set _ZN2at6native29vectorized_elementwise_kernelILi4EZZZNS0_21clamp_max_kernel_cudaERNS_18TensorIteratorBaseERKN3c106ScalarEENKUlvE_clEvENKUlvE7_clEvEUlNS4_8BFloat16EE_St5arrayIPcLm2EEEEviT0_T1_.numbered_sgpr, 42
	.set _ZN2at6native29vectorized_elementwise_kernelILi4EZZZNS0_21clamp_max_kernel_cudaERNS_18TensorIteratorBaseERKN3c106ScalarEENKUlvE_clEvENKUlvE7_clEvEUlNS4_8BFloat16EE_St5arrayIPcLm2EEEEviT0_T1_.num_named_barrier, 0
	.set _ZN2at6native29vectorized_elementwise_kernelILi4EZZZNS0_21clamp_max_kernel_cudaERNS_18TensorIteratorBaseERKN3c106ScalarEENKUlvE_clEvENKUlvE7_clEvEUlNS4_8BFloat16EE_St5arrayIPcLm2EEEEviT0_T1_.private_seg_size, 0
	.set _ZN2at6native29vectorized_elementwise_kernelILi4EZZZNS0_21clamp_max_kernel_cudaERNS_18TensorIteratorBaseERKN3c106ScalarEENKUlvE_clEvENKUlvE7_clEvEUlNS4_8BFloat16EE_St5arrayIPcLm2EEEEviT0_T1_.uses_vcc, 1
	.set _ZN2at6native29vectorized_elementwise_kernelILi4EZZZNS0_21clamp_max_kernel_cudaERNS_18TensorIteratorBaseERKN3c106ScalarEENKUlvE_clEvENKUlvE7_clEvEUlNS4_8BFloat16EE_St5arrayIPcLm2EEEEviT0_T1_.uses_flat_scratch, 0
	.set _ZN2at6native29vectorized_elementwise_kernelILi4EZZZNS0_21clamp_max_kernel_cudaERNS_18TensorIteratorBaseERKN3c106ScalarEENKUlvE_clEvENKUlvE7_clEvEUlNS4_8BFloat16EE_St5arrayIPcLm2EEEEviT0_T1_.has_dyn_sized_stack, 0
	.set _ZN2at6native29vectorized_elementwise_kernelILi4EZZZNS0_21clamp_max_kernel_cudaERNS_18TensorIteratorBaseERKN3c106ScalarEENKUlvE_clEvENKUlvE7_clEvEUlNS4_8BFloat16EE_St5arrayIPcLm2EEEEviT0_T1_.has_recursion, 0
	.set _ZN2at6native29vectorized_elementwise_kernelILi4EZZZNS0_21clamp_max_kernel_cudaERNS_18TensorIteratorBaseERKN3c106ScalarEENKUlvE_clEvENKUlvE7_clEvEUlNS4_8BFloat16EE_St5arrayIPcLm2EEEEviT0_T1_.has_indirect_call, 0
	.section	.AMDGPU.csdata,"",@progbits
; Kernel info:
; codeLenInByte = 1656
; TotalNumSgprs: 48
; NumVgprs: 19
; NumAgprs: 0
; TotalNumVgprs: 19
; ScratchSize: 0
; MemoryBound: 0
; FloatMode: 240
; IeeeMode: 1
; LDSByteSize: 0 bytes/workgroup (compile time only)
; SGPRBlocks: 5
; VGPRBlocks: 2
; NumSGPRsForWavesPerEU: 48
; NumVGPRsForWavesPerEU: 19
; AccumOffset: 20
; Occupancy: 8
; WaveLimiterHint : 1
; COMPUTE_PGM_RSRC2:SCRATCH_EN: 0
; COMPUTE_PGM_RSRC2:USER_SGPR: 2
; COMPUTE_PGM_RSRC2:TRAP_HANDLER: 0
; COMPUTE_PGM_RSRC2:TGID_X_EN: 1
; COMPUTE_PGM_RSRC2:TGID_Y_EN: 0
; COMPUTE_PGM_RSRC2:TGID_Z_EN: 0
; COMPUTE_PGM_RSRC2:TIDIG_COMP_CNT: 0
; COMPUTE_PGM_RSRC3_GFX90A:ACCUM_OFFSET: 4
; COMPUTE_PGM_RSRC3_GFX90A:TG_SPLIT: 0
	.section	.text._ZN2at6native29vectorized_elementwise_kernelILi2EZZZNS0_21clamp_max_kernel_cudaERNS_18TensorIteratorBaseERKN3c106ScalarEENKUlvE_clEvENKUlvE7_clEvEUlNS4_8BFloat16EE_St5arrayIPcLm2EEEEviT0_T1_,"axG",@progbits,_ZN2at6native29vectorized_elementwise_kernelILi2EZZZNS0_21clamp_max_kernel_cudaERNS_18TensorIteratorBaseERKN3c106ScalarEENKUlvE_clEvENKUlvE7_clEvEUlNS4_8BFloat16EE_St5arrayIPcLm2EEEEviT0_T1_,comdat
	.globl	_ZN2at6native29vectorized_elementwise_kernelILi2EZZZNS0_21clamp_max_kernel_cudaERNS_18TensorIteratorBaseERKN3c106ScalarEENKUlvE_clEvENKUlvE7_clEvEUlNS4_8BFloat16EE_St5arrayIPcLm2EEEEviT0_T1_ ; -- Begin function _ZN2at6native29vectorized_elementwise_kernelILi2EZZZNS0_21clamp_max_kernel_cudaERNS_18TensorIteratorBaseERKN3c106ScalarEENKUlvE_clEvENKUlvE7_clEvEUlNS4_8BFloat16EE_St5arrayIPcLm2EEEEviT0_T1_
	.p2align	8
	.type	_ZN2at6native29vectorized_elementwise_kernelILi2EZZZNS0_21clamp_max_kernel_cudaERNS_18TensorIteratorBaseERKN3c106ScalarEENKUlvE_clEvENKUlvE7_clEvEUlNS4_8BFloat16EE_St5arrayIPcLm2EEEEviT0_T1_,@function
_ZN2at6native29vectorized_elementwise_kernelILi2EZZZNS0_21clamp_max_kernel_cudaERNS_18TensorIteratorBaseERKN3c106ScalarEENKUlvE_clEvENKUlvE7_clEvEUlNS4_8BFloat16EE_St5arrayIPcLm2EEEEviT0_T1_: ; @_ZN2at6native29vectorized_elementwise_kernelILi2EZZZNS0_21clamp_max_kernel_cudaERNS_18TensorIteratorBaseERKN3c106ScalarEENKUlvE_clEvENKUlvE7_clEvEUlNS4_8BFloat16EE_St5arrayIPcLm2EEEEviT0_T1_
; %bb.0:
	s_load_dwordx2 s[30:31], s[0:1], 0x0
	s_load_dwordx4 s[36:39], s[0:1], 0x8
	s_lshl_b32 s34, s2, 11
	s_mov_b64 s[0:1], -1
	s_waitcnt lgkmcnt(0)
	s_sub_i32 s30, s30, s34
	s_cmpk_gt_i32 s30, 0x7ff
	s_cbranch_scc0 .LBB485_2
; %bb.1:
	s_ashr_i32 s35, s34, 31
	s_lshl_b64 s[40:41], s[34:35], 1
	s_add_u32 s0, s38, s40
	s_addc_u32 s1, s39, s41
	v_lshlrev_b32_e32 v1, 2, v0
	global_load_dword v2, v1, s[0:1]
	global_load_dword v3, v1, s[0:1] offset:1024
	global_load_dword v4, v1, s[0:1] offset:2048
	;; [unrolled: 1-line block ×3, first 2 shown]
	s_lshl_b32 s28, s31, 16
	v_mov_b32_e32 v6, s31
	s_waitcnt vmcnt(3)
	v_lshlrev_b32_e32 v7, 16, v2
	v_and_b32_e32 v9, 0xffff0000, v2
	v_cmp_u_f32_e32 vcc, v7, v7
	v_cmp_gt_f32_e64 s[10:11], s28, v7
	s_waitcnt vmcnt(2)
	v_lshlrev_b32_e32 v10, 16, v3
	v_cmp_u_f32_e64 s[0:1], v9, v9
	v_cmp_gt_f32_e64 s[12:13], s28, v9
	s_or_b64 vcc, vcc, s[10:11]
	v_lshrrev_b32_e32 v8, 16, v2
	v_and_b32_e32 v12, 0xffff0000, v3
	v_cmp_u_f32_e64 s[2:3], v10, v10
	v_cmp_gt_f32_e64 s[14:15], s28, v10
	v_cndmask_b32_e32 v2, v6, v2, vcc
	s_or_b64 vcc, s[0:1], s[12:13]
	s_waitcnt vmcnt(1)
	v_lshlrev_b32_e32 v13, 16, v4
	v_cmp_u_f32_e64 s[4:5], v12, v12
	v_cmp_gt_f32_e64 s[16:17], s28, v12
	v_cndmask_b32_e32 v7, v6, v8, vcc
	s_or_b64 vcc, s[2:3], s[14:15]
	v_lshrrev_b32_e32 v11, 16, v3
	v_and_b32_e32 v15, 0xffff0000, v4
	v_cmp_u_f32_e64 s[6:7], v13, v13
	v_cmp_gt_f32_e64 s[18:19], s28, v13
	v_cndmask_b32_e32 v3, v6, v3, vcc
	s_or_b64 vcc, s[4:5], s[16:17]
	s_waitcnt vmcnt(0)
	v_lshlrev_b32_e32 v16, 16, v5
	v_cmp_u_f32_e64 s[8:9], v15, v15
	v_cmp_gt_f32_e64 s[20:21], s28, v15
	v_cndmask_b32_e32 v8, v6, v11, vcc
	s_or_b64 vcc, s[6:7], s[18:19]
	v_lshrrev_b32_e32 v14, 16, v4
	v_and_b32_e32 v18, 0xffff0000, v5
	v_cmp_u_f32_e64 s[22:23], v16, v16
	v_cmp_gt_f32_e64 s[24:25], s28, v16
	v_cndmask_b32_e32 v4, v6, v4, vcc
	s_or_b64 vcc, s[8:9], s[20:21]
	v_cmp_u_f32_e64 s[26:27], v18, v18
	v_cmp_gt_f32_e64 s[28:29], s28, v18
	v_cndmask_b32_e32 v9, v6, v14, vcc
	s_or_b64 vcc, s[22:23], s[24:25]
	v_lshrrev_b32_e32 v17, 16, v5
	v_cndmask_b32_e32 v5, v6, v5, vcc
	s_or_b64 vcc, s[26:27], s[28:29]
	v_cndmask_b32_e32 v6, v6, v17, vcc
	v_lshlrev_b32_e32 v7, 16, v7
	s_add_u32 s0, s36, s40
	v_lshlrev_b32_e32 v8, 16, v8
	v_lshlrev_b32_e32 v9, 16, v9
	;; [unrolled: 1-line block ×3, first 2 shown]
	v_or_b32_sdwa v2, v7, v2 dst_sel:DWORD dst_unused:UNUSED_PAD src0_sel:DWORD src1_sel:WORD_0
	s_addc_u32 s1, s37, s41
	v_or_b32_sdwa v3, v8, v3 dst_sel:DWORD dst_unused:UNUSED_PAD src0_sel:DWORD src1_sel:WORD_0
	v_or_b32_sdwa v4, v9, v4 dst_sel:DWORD dst_unused:UNUSED_PAD src0_sel:DWORD src1_sel:WORD_0
	;; [unrolled: 1-line block ×3, first 2 shown]
	global_store_dword v1, v2, s[0:1]
	global_store_dword v1, v3, s[0:1] offset:1024
	global_store_dword v1, v4, s[0:1] offset:2048
	;; [unrolled: 1-line block ×3, first 2 shown]
	s_mov_b64 s[0:1], 0
.LBB485_2:
	s_andn2_b64 vcc, exec, s[0:1]
	s_cbranch_vccnz .LBB485_28
; %bb.3:
	v_cmp_gt_i32_e32 vcc, s30, v0
	v_mov_b32_e32 v6, 0
	v_or_b32_e32 v2, s34, v0
	v_mov_b32_e32 v9, 0
	v_mov_b32_e32 v3, v0
	s_and_saveexec_b64 s[0:1], vcc
	s_cbranch_execz .LBB485_5
; %bb.4:
	v_mov_b32_e32 v3, 0
	v_lshl_add_u64 v[4:5], v[2:3], 1, s[38:39]
	global_load_ushort v9, v[4:5], off
	v_or_b32_e32 v3, 0x100, v0
.LBB485_5:
	s_or_b64 exec, exec, s[0:1]
	v_cmp_gt_i32_e64 s[0:1], s30, v3
	s_and_saveexec_b64 s[2:3], s[0:1]
	s_cbranch_execz .LBB485_7
; %bb.6:
	v_add_u32_e32 v4, s34, v3
	v_mov_b32_e32 v5, 0
	v_lshl_add_u64 v[4:5], v[4:5], 1, s[38:39]
	global_load_ushort v6, v[4:5], off
	v_add_u32_e32 v3, 0x100, v3
.LBB485_7:
	s_or_b64 exec, exec, s[2:3]
	v_cmp_gt_i32_e64 s[0:1], s30, v3
	v_mov_b32_e32 v5, 0
	v_mov_b32_e32 v10, 0
	s_and_saveexec_b64 s[2:3], s[0:1]
	s_cbranch_execz .LBB485_9
; %bb.8:
	v_add_u32_e32 v10, s34, v3
	v_mov_b32_e32 v11, 0
	v_lshl_add_u64 v[10:11], v[10:11], 1, s[38:39]
	global_load_ushort v10, v[10:11], off
	v_add_u32_e32 v3, 0x100, v3
.LBB485_9:
	s_or_b64 exec, exec, s[2:3]
	v_cmp_gt_i32_e64 s[0:1], s30, v3
	s_and_saveexec_b64 s[2:3], s[0:1]
	s_cbranch_execz .LBB485_11
; %bb.10:
	v_add_u32_e32 v4, s34, v3
	v_mov_b32_e32 v5, 0
	v_lshl_add_u64 v[4:5], v[4:5], 1, s[38:39]
	global_load_ushort v5, v[4:5], off
	v_add_u32_e32 v3, 0x100, v3
.LBB485_11:
	s_or_b64 exec, exec, s[2:3]
	v_cmp_gt_i32_e64 s[0:1], s30, v3
	v_mov_b32_e32 v4, 0
	v_mov_b32_e32 v8, 0
	s_and_saveexec_b64 s[2:3], s[0:1]
	s_cbranch_execz .LBB485_13
; %bb.12:
	v_add_u32_e32 v12, s34, v3
	v_mov_b32_e32 v13, 0
	v_lshl_add_u64 v[12:13], v[12:13], 1, s[38:39]
	global_load_ushort v8, v[12:13], off
	v_add_u32_e32 v3, 0x100, v3
.LBB485_13:
	;; [unrolled: 24-line block ×3, first 2 shown]
	s_or_b64 exec, exec, s[2:3]
	v_cmp_gt_i32_e64 s[0:1], s30, v3
	s_and_saveexec_b64 s[2:3], s[0:1]
	s_cbranch_execz .LBB485_19
; %bb.18:
	v_add_u32_e32 v12, s34, v3
	v_mov_b32_e32 v13, 0
	v_lshl_add_u64 v[12:13], v[12:13], 1, s[38:39]
	global_load_ushort v1, v[12:13], off
.LBB485_19:
	s_or_b64 exec, exec, s[2:3]
	s_lshl_b32 s0, s31, 16
	v_mov_b32_e32 v11, s0
	s_and_saveexec_b64 s[2:3], vcc
	s_cbranch_execnz .LBB485_29
; %bb.20:
	s_or_b64 exec, exec, s[2:3]
	v_cmp_gt_i32_e32 vcc, s30, v0
	s_and_saveexec_b64 s[2:3], vcc
	s_cbranch_execnz .LBB485_30
.LBB485_21:
	s_or_b64 exec, exec, s[2:3]
	v_cmp_gt_i32_e32 vcc, s30, v0
	s_and_saveexec_b64 s[2:3], vcc
	s_cbranch_execnz .LBB485_31
.LBB485_22:
	s_or_b64 exec, exec, s[2:3]
	v_cmp_gt_i32_e32 vcc, s30, v0
	s_and_saveexec_b64 s[2:3], vcc
	s_cbranch_execnz .LBB485_32
.LBB485_23:
	s_or_b64 exec, exec, s[2:3]
	v_cmp_gt_i32_e32 vcc, s30, v0
	s_and_saveexec_b64 s[2:3], vcc
	s_cbranch_execnz .LBB485_33
.LBB485_24:
	s_or_b64 exec, exec, s[2:3]
	v_cmp_gt_i32_e32 vcc, s30, v0
	s_and_saveexec_b64 s[2:3], vcc
	s_cbranch_execnz .LBB485_34
.LBB485_25:
	s_or_b64 exec, exec, s[2:3]
	v_cmp_gt_i32_e32 vcc, s30, v0
	s_and_saveexec_b64 s[2:3], vcc
	s_cbranch_execnz .LBB485_35
.LBB485_26:
	s_or_b64 exec, exec, s[2:3]
	v_cmp_gt_i32_e32 vcc, s30, v0
	s_and_saveexec_b64 s[0:1], vcc
	s_cbranch_execz .LBB485_28
.LBB485_27:
	s_waitcnt vmcnt(0)
	v_lshlrev_b32_e32 v2, 16, v1
	v_cmp_u_f32_e32 vcc, v2, v2
	v_cmp_lt_f32_e64 s[0:1], v2, v11
	v_mov_b32_e32 v2, s31
	s_or_b64 vcc, vcc, s[0:1]
	v_cndmask_b32_e32 v2, v2, v1, vcc
	v_add_u32_e32 v0, s34, v0
	v_mov_b32_e32 v1, 0
	v_lshl_add_u64 v[0:1], v[0:1], 1, s[36:37]
	global_store_short v[0:1], v2, off
.LBB485_28:
	s_endpgm
.LBB485_29:
	s_waitcnt vmcnt(0)
	v_lshlrev_b32_e32 v12, 16, v9
	v_cmp_u_f32_e32 vcc, v12, v12
	v_cmp_gt_f32_e64 s[0:1], v11, v12
	v_mov_b32_e32 v3, 0
	v_mov_b32_e32 v12, s31
	s_or_b64 vcc, vcc, s[0:1]
	v_lshl_add_u64 v[2:3], v[2:3], 1, s[36:37]
	v_or_b32_e32 v0, 0x100, v0
	v_cndmask_b32_e32 v9, v12, v9, vcc
	global_store_short v[2:3], v9, off
	s_or_b64 exec, exec, s[2:3]
	v_cmp_gt_i32_e32 vcc, s30, v0
	s_and_saveexec_b64 s[2:3], vcc
	s_cbranch_execz .LBB485_21
.LBB485_30:
	s_waitcnt vmcnt(0)
	v_lshlrev_b32_e32 v2, 16, v6
	v_cmp_u_f32_e32 vcc, v2, v2
	v_cmp_gt_f32_e64 s[0:1], v11, v2
	v_mov_b32_e32 v2, s31
	s_or_b64 vcc, vcc, s[0:1]
	v_cndmask_b32_e32 v6, v2, v6, vcc
	v_add_u32_e32 v2, s34, v0
	v_mov_b32_e32 v3, 0
	v_lshl_add_u64 v[2:3], v[2:3], 1, s[36:37]
	v_add_u32_e32 v0, 0x100, v0
	global_store_short v[2:3], v6, off
	s_or_b64 exec, exec, s[2:3]
	v_cmp_gt_i32_e32 vcc, s30, v0
	s_and_saveexec_b64 s[2:3], vcc
	s_cbranch_execz .LBB485_22
.LBB485_31:
	s_waitcnt vmcnt(0)
	v_lshlrev_b32_e32 v2, 16, v10
	v_cmp_u_f32_e32 vcc, v2, v2
	v_cmp_gt_f32_e64 s[0:1], v11, v2
	v_mov_b32_e32 v2, s31
	s_or_b64 vcc, vcc, s[0:1]
	v_cndmask_b32_e32 v6, v2, v10, vcc
	v_add_u32_e32 v2, s34, v0
	v_mov_b32_e32 v3, 0
	v_lshl_add_u64 v[2:3], v[2:3], 1, s[36:37]
	v_add_u32_e32 v0, 0x100, v0
	global_store_short v[2:3], v6, off
	s_or_b64 exec, exec, s[2:3]
	v_cmp_gt_i32_e32 vcc, s30, v0
	s_and_saveexec_b64 s[2:3], vcc
	s_cbranch_execz .LBB485_23
.LBB485_32:
	s_waitcnt vmcnt(0)
	v_lshlrev_b32_e32 v2, 16, v5
	v_cmp_u_f32_e32 vcc, v2, v2
	v_cmp_gt_f32_e64 s[0:1], v11, v2
	v_mov_b32_e32 v2, s31
	s_or_b64 vcc, vcc, s[0:1]
	v_cndmask_b32_e32 v5, v2, v5, vcc
	v_add_u32_e32 v2, s34, v0
	v_mov_b32_e32 v3, 0
	v_lshl_add_u64 v[2:3], v[2:3], 1, s[36:37]
	v_add_u32_e32 v0, 0x100, v0
	global_store_short v[2:3], v5, off
	s_or_b64 exec, exec, s[2:3]
	v_cmp_gt_i32_e32 vcc, s30, v0
	s_and_saveexec_b64 s[2:3], vcc
	s_cbranch_execz .LBB485_24
.LBB485_33:
	s_waitcnt vmcnt(0)
	v_lshlrev_b32_e32 v2, 16, v8
	v_cmp_u_f32_e32 vcc, v2, v2
	v_cmp_gt_f32_e64 s[0:1], v11, v2
	v_mov_b32_e32 v2, s31
	s_or_b64 vcc, vcc, s[0:1]
	v_cndmask_b32_e32 v5, v2, v8, vcc
	v_add_u32_e32 v2, s34, v0
	v_mov_b32_e32 v3, 0
	v_lshl_add_u64 v[2:3], v[2:3], 1, s[36:37]
	v_add_u32_e32 v0, 0x100, v0
	global_store_short v[2:3], v5, off
	s_or_b64 exec, exec, s[2:3]
	v_cmp_gt_i32_e32 vcc, s30, v0
	s_and_saveexec_b64 s[2:3], vcc
	s_cbranch_execz .LBB485_25
.LBB485_34:
	s_waitcnt vmcnt(0)
	v_lshlrev_b32_e32 v2, 16, v4
	v_cmp_u_f32_e32 vcc, v2, v2
	v_cmp_gt_f32_e64 s[0:1], v11, v2
	v_mov_b32_e32 v2, s31
	s_or_b64 vcc, vcc, s[0:1]
	v_cndmask_b32_e32 v4, v2, v4, vcc
	v_add_u32_e32 v2, s34, v0
	v_mov_b32_e32 v3, 0
	v_lshl_add_u64 v[2:3], v[2:3], 1, s[36:37]
	v_add_u32_e32 v0, 0x100, v0
	global_store_short v[2:3], v4, off
	s_or_b64 exec, exec, s[2:3]
	v_cmp_gt_i32_e32 vcc, s30, v0
	s_and_saveexec_b64 s[2:3], vcc
	s_cbranch_execz .LBB485_26
.LBB485_35:
	s_waitcnt vmcnt(0)
	v_lshlrev_b32_e32 v2, 16, v7
	v_cmp_u_f32_e32 vcc, v2, v2
	v_cmp_gt_f32_e64 s[0:1], v11, v2
	v_mov_b32_e32 v2, s31
	s_or_b64 vcc, vcc, s[0:1]
	v_cndmask_b32_e32 v4, v2, v7, vcc
	v_add_u32_e32 v2, s34, v0
	v_mov_b32_e32 v3, 0
	v_lshl_add_u64 v[2:3], v[2:3], 1, s[36:37]
	v_add_u32_e32 v0, 0x100, v0
	global_store_short v[2:3], v4, off
	s_or_b64 exec, exec, s[2:3]
	v_cmp_gt_i32_e32 vcc, s30, v0
	s_and_saveexec_b64 s[0:1], vcc
	s_cbranch_execnz .LBB485_27
	s_branch .LBB485_28
	.section	.rodata,"a",@progbits
	.p2align	6, 0x0
	.amdhsa_kernel _ZN2at6native29vectorized_elementwise_kernelILi2EZZZNS0_21clamp_max_kernel_cudaERNS_18TensorIteratorBaseERKN3c106ScalarEENKUlvE_clEvENKUlvE7_clEvEUlNS4_8BFloat16EE_St5arrayIPcLm2EEEEviT0_T1_
		.amdhsa_group_segment_fixed_size 0
		.amdhsa_private_segment_fixed_size 0
		.amdhsa_kernarg_size 24
		.amdhsa_user_sgpr_count 2
		.amdhsa_user_sgpr_dispatch_ptr 0
		.amdhsa_user_sgpr_queue_ptr 0
		.amdhsa_user_sgpr_kernarg_segment_ptr 1
		.amdhsa_user_sgpr_dispatch_id 0
		.amdhsa_user_sgpr_kernarg_preload_length 0
		.amdhsa_user_sgpr_kernarg_preload_offset 0
		.amdhsa_user_sgpr_private_segment_size 0
		.amdhsa_uses_dynamic_stack 0
		.amdhsa_enable_private_segment 0
		.amdhsa_system_sgpr_workgroup_id_x 1
		.amdhsa_system_sgpr_workgroup_id_y 0
		.amdhsa_system_sgpr_workgroup_id_z 0
		.amdhsa_system_sgpr_workgroup_info 0
		.amdhsa_system_vgpr_workitem_id 0
		.amdhsa_next_free_vgpr 19
		.amdhsa_next_free_sgpr 42
		.amdhsa_accum_offset 20
		.amdhsa_reserve_vcc 1
		.amdhsa_float_round_mode_32 0
		.amdhsa_float_round_mode_16_64 0
		.amdhsa_float_denorm_mode_32 3
		.amdhsa_float_denorm_mode_16_64 3
		.amdhsa_dx10_clamp 1
		.amdhsa_ieee_mode 1
		.amdhsa_fp16_overflow 0
		.amdhsa_tg_split 0
		.amdhsa_exception_fp_ieee_invalid_op 0
		.amdhsa_exception_fp_denorm_src 0
		.amdhsa_exception_fp_ieee_div_zero 0
		.amdhsa_exception_fp_ieee_overflow 0
		.amdhsa_exception_fp_ieee_underflow 0
		.amdhsa_exception_fp_ieee_inexact 0
		.amdhsa_exception_int_div_zero 0
	.end_amdhsa_kernel
	.section	.text._ZN2at6native29vectorized_elementwise_kernelILi2EZZZNS0_21clamp_max_kernel_cudaERNS_18TensorIteratorBaseERKN3c106ScalarEENKUlvE_clEvENKUlvE7_clEvEUlNS4_8BFloat16EE_St5arrayIPcLm2EEEEviT0_T1_,"axG",@progbits,_ZN2at6native29vectorized_elementwise_kernelILi2EZZZNS0_21clamp_max_kernel_cudaERNS_18TensorIteratorBaseERKN3c106ScalarEENKUlvE_clEvENKUlvE7_clEvEUlNS4_8BFloat16EE_St5arrayIPcLm2EEEEviT0_T1_,comdat
.Lfunc_end485:
	.size	_ZN2at6native29vectorized_elementwise_kernelILi2EZZZNS0_21clamp_max_kernel_cudaERNS_18TensorIteratorBaseERKN3c106ScalarEENKUlvE_clEvENKUlvE7_clEvEUlNS4_8BFloat16EE_St5arrayIPcLm2EEEEviT0_T1_, .Lfunc_end485-_ZN2at6native29vectorized_elementwise_kernelILi2EZZZNS0_21clamp_max_kernel_cudaERNS_18TensorIteratorBaseERKN3c106ScalarEENKUlvE_clEvENKUlvE7_clEvEUlNS4_8BFloat16EE_St5arrayIPcLm2EEEEviT0_T1_
                                        ; -- End function
	.set _ZN2at6native29vectorized_elementwise_kernelILi2EZZZNS0_21clamp_max_kernel_cudaERNS_18TensorIteratorBaseERKN3c106ScalarEENKUlvE_clEvENKUlvE7_clEvEUlNS4_8BFloat16EE_St5arrayIPcLm2EEEEviT0_T1_.num_vgpr, 19
	.set _ZN2at6native29vectorized_elementwise_kernelILi2EZZZNS0_21clamp_max_kernel_cudaERNS_18TensorIteratorBaseERKN3c106ScalarEENKUlvE_clEvENKUlvE7_clEvEUlNS4_8BFloat16EE_St5arrayIPcLm2EEEEviT0_T1_.num_agpr, 0
	.set _ZN2at6native29vectorized_elementwise_kernelILi2EZZZNS0_21clamp_max_kernel_cudaERNS_18TensorIteratorBaseERKN3c106ScalarEENKUlvE_clEvENKUlvE7_clEvEUlNS4_8BFloat16EE_St5arrayIPcLm2EEEEviT0_T1_.numbered_sgpr, 42
	.set _ZN2at6native29vectorized_elementwise_kernelILi2EZZZNS0_21clamp_max_kernel_cudaERNS_18TensorIteratorBaseERKN3c106ScalarEENKUlvE_clEvENKUlvE7_clEvEUlNS4_8BFloat16EE_St5arrayIPcLm2EEEEviT0_T1_.num_named_barrier, 0
	.set _ZN2at6native29vectorized_elementwise_kernelILi2EZZZNS0_21clamp_max_kernel_cudaERNS_18TensorIteratorBaseERKN3c106ScalarEENKUlvE_clEvENKUlvE7_clEvEUlNS4_8BFloat16EE_St5arrayIPcLm2EEEEviT0_T1_.private_seg_size, 0
	.set _ZN2at6native29vectorized_elementwise_kernelILi2EZZZNS0_21clamp_max_kernel_cudaERNS_18TensorIteratorBaseERKN3c106ScalarEENKUlvE_clEvENKUlvE7_clEvEUlNS4_8BFloat16EE_St5arrayIPcLm2EEEEviT0_T1_.uses_vcc, 1
	.set _ZN2at6native29vectorized_elementwise_kernelILi2EZZZNS0_21clamp_max_kernel_cudaERNS_18TensorIteratorBaseERKN3c106ScalarEENKUlvE_clEvENKUlvE7_clEvEUlNS4_8BFloat16EE_St5arrayIPcLm2EEEEviT0_T1_.uses_flat_scratch, 0
	.set _ZN2at6native29vectorized_elementwise_kernelILi2EZZZNS0_21clamp_max_kernel_cudaERNS_18TensorIteratorBaseERKN3c106ScalarEENKUlvE_clEvENKUlvE7_clEvEUlNS4_8BFloat16EE_St5arrayIPcLm2EEEEviT0_T1_.has_dyn_sized_stack, 0
	.set _ZN2at6native29vectorized_elementwise_kernelILi2EZZZNS0_21clamp_max_kernel_cudaERNS_18TensorIteratorBaseERKN3c106ScalarEENKUlvE_clEvENKUlvE7_clEvEUlNS4_8BFloat16EE_St5arrayIPcLm2EEEEviT0_T1_.has_recursion, 0
	.set _ZN2at6native29vectorized_elementwise_kernelILi2EZZZNS0_21clamp_max_kernel_cudaERNS_18TensorIteratorBaseERKN3c106ScalarEENKUlvE_clEvENKUlvE7_clEvEUlNS4_8BFloat16EE_St5arrayIPcLm2EEEEviT0_T1_.has_indirect_call, 0
	.section	.AMDGPU.csdata,"",@progbits
; Kernel info:
; codeLenInByte = 1656
; TotalNumSgprs: 48
; NumVgprs: 19
; NumAgprs: 0
; TotalNumVgprs: 19
; ScratchSize: 0
; MemoryBound: 0
; FloatMode: 240
; IeeeMode: 1
; LDSByteSize: 0 bytes/workgroup (compile time only)
; SGPRBlocks: 5
; VGPRBlocks: 2
; NumSGPRsForWavesPerEU: 48
; NumVGPRsForWavesPerEU: 19
; AccumOffset: 20
; Occupancy: 8
; WaveLimiterHint : 1
; COMPUTE_PGM_RSRC2:SCRATCH_EN: 0
; COMPUTE_PGM_RSRC2:USER_SGPR: 2
; COMPUTE_PGM_RSRC2:TRAP_HANDLER: 0
; COMPUTE_PGM_RSRC2:TGID_X_EN: 1
; COMPUTE_PGM_RSRC2:TGID_Y_EN: 0
; COMPUTE_PGM_RSRC2:TGID_Z_EN: 0
; COMPUTE_PGM_RSRC2:TIDIG_COMP_CNT: 0
; COMPUTE_PGM_RSRC3_GFX90A:ACCUM_OFFSET: 4
; COMPUTE_PGM_RSRC3_GFX90A:TG_SPLIT: 0
	.section	.text._ZN2at6native27unrolled_elementwise_kernelIZZZNS0_21clamp_max_kernel_cudaERNS_18TensorIteratorBaseERKN3c106ScalarEENKUlvE_clEvENKUlvE7_clEvEUlNS4_8BFloat16EE_St5arrayIPcLm2EELi4E23TrivialOffsetCalculatorILi1EjESG_NS0_6memory15LoadWithoutCastENSH_16StoreWithoutCastEEEviT_T0_T2_T3_T4_T5_,"axG",@progbits,_ZN2at6native27unrolled_elementwise_kernelIZZZNS0_21clamp_max_kernel_cudaERNS_18TensorIteratorBaseERKN3c106ScalarEENKUlvE_clEvENKUlvE7_clEvEUlNS4_8BFloat16EE_St5arrayIPcLm2EELi4E23TrivialOffsetCalculatorILi1EjESG_NS0_6memory15LoadWithoutCastENSH_16StoreWithoutCastEEEviT_T0_T2_T3_T4_T5_,comdat
	.globl	_ZN2at6native27unrolled_elementwise_kernelIZZZNS0_21clamp_max_kernel_cudaERNS_18TensorIteratorBaseERKN3c106ScalarEENKUlvE_clEvENKUlvE7_clEvEUlNS4_8BFloat16EE_St5arrayIPcLm2EELi4E23TrivialOffsetCalculatorILi1EjESG_NS0_6memory15LoadWithoutCastENSH_16StoreWithoutCastEEEviT_T0_T2_T3_T4_T5_ ; -- Begin function _ZN2at6native27unrolled_elementwise_kernelIZZZNS0_21clamp_max_kernel_cudaERNS_18TensorIteratorBaseERKN3c106ScalarEENKUlvE_clEvENKUlvE7_clEvEUlNS4_8BFloat16EE_St5arrayIPcLm2EELi4E23TrivialOffsetCalculatorILi1EjESG_NS0_6memory15LoadWithoutCastENSH_16StoreWithoutCastEEEviT_T0_T2_T3_T4_T5_
	.p2align	8
	.type	_ZN2at6native27unrolled_elementwise_kernelIZZZNS0_21clamp_max_kernel_cudaERNS_18TensorIteratorBaseERKN3c106ScalarEENKUlvE_clEvENKUlvE7_clEvEUlNS4_8BFloat16EE_St5arrayIPcLm2EELi4E23TrivialOffsetCalculatorILi1EjESG_NS0_6memory15LoadWithoutCastENSH_16StoreWithoutCastEEEviT_T0_T2_T3_T4_T5_,@function
_ZN2at6native27unrolled_elementwise_kernelIZZZNS0_21clamp_max_kernel_cudaERNS_18TensorIteratorBaseERKN3c106ScalarEENKUlvE_clEvENKUlvE7_clEvEUlNS4_8BFloat16EE_St5arrayIPcLm2EELi4E23TrivialOffsetCalculatorILi1EjESG_NS0_6memory15LoadWithoutCastENSH_16StoreWithoutCastEEEviT_T0_T2_T3_T4_T5_: ; @_ZN2at6native27unrolled_elementwise_kernelIZZZNS0_21clamp_max_kernel_cudaERNS_18TensorIteratorBaseERKN3c106ScalarEENKUlvE_clEvENKUlvE7_clEvEUlNS4_8BFloat16EE_St5arrayIPcLm2EELi4E23TrivialOffsetCalculatorILi1EjESG_NS0_6memory15LoadWithoutCastENSH_16StoreWithoutCastEEEviT_T0_T2_T3_T4_T5_
; %bb.0:
	s_load_dwordx2 s[8:9], s[0:1], 0x0
	s_load_dwordx4 s[4:7], s[0:1], 0x8
	s_lshl_b32 s10, s2, 10
	v_mov_b32_e32 v4, 0
	v_or_b32_e32 v2, s10, v0
	s_waitcnt lgkmcnt(0)
	s_sub_i32 s8, s8, s10
	v_cmp_gt_i32_e32 vcc, s8, v0
	v_mov_b32_e32 v5, 0
	v_mov_b32_e32 v3, v0
	s_and_saveexec_b64 s[0:1], vcc
	s_cbranch_execz .LBB486_2
; %bb.1:
	v_mov_b32_e32 v3, 0
	v_lshl_add_u64 v[6:7], v[2:3], 1, s[6:7]
	global_load_ushort v5, v[6:7], off
	v_or_b32_e32 v3, 0x100, v0
.LBB486_2:
	s_or_b64 exec, exec, s[0:1]
	v_cmp_gt_i32_e64 s[0:1], s8, v3
	s_and_saveexec_b64 s[2:3], s[0:1]
	s_cbranch_execz .LBB486_4
; %bb.3:
	v_add_u32_e32 v6, s10, v3
	v_mov_b32_e32 v7, 0
	v_lshl_add_u64 v[6:7], v[6:7], 1, s[6:7]
	global_load_ushort v4, v[6:7], off
	v_add_u32_e32 v3, 0x100, v3
.LBB486_4:
	s_or_b64 exec, exec, s[2:3]
	v_cmp_gt_i32_e64 s[0:1], s8, v3
	v_mov_b32_e32 v1, 0
	v_mov_b32_e32 v6, 0
	s_and_saveexec_b64 s[2:3], s[0:1]
	s_cbranch_execz .LBB486_6
; %bb.5:
	v_add_u32_e32 v6, s10, v3
	v_mov_b32_e32 v7, 0
	v_lshl_add_u64 v[6:7], v[6:7], 1, s[6:7]
	global_load_ushort v6, v[6:7], off
	v_add_u32_e32 v3, 0x100, v3
.LBB486_6:
	s_or_b64 exec, exec, s[2:3]
	v_cmp_gt_i32_e64 s[0:1], s8, v3
	s_and_saveexec_b64 s[2:3], s[0:1]
	s_cbranch_execz .LBB486_8
; %bb.7:
	v_add_u32_e32 v8, s10, v3
	v_mov_b32_e32 v9, 0
	v_lshl_add_u64 v[8:9], v[8:9], 1, s[6:7]
	global_load_ushort v1, v[8:9], off
.LBB486_8:
	s_or_b64 exec, exec, s[2:3]
	s_lshl_b32 s0, s9, 16
	v_mov_b32_e32 v7, s0
	s_and_saveexec_b64 s[2:3], vcc
	s_cbranch_execnz .LBB486_13
; %bb.9:
	s_or_b64 exec, exec, s[2:3]
	v_cmp_gt_i32_e32 vcc, s8, v0
	s_and_saveexec_b64 s[2:3], vcc
	s_cbranch_execnz .LBB486_14
.LBB486_10:
	s_or_b64 exec, exec, s[2:3]
	v_cmp_gt_i32_e32 vcc, s8, v0
	s_and_saveexec_b64 s[2:3], vcc
	s_cbranch_execnz .LBB486_15
.LBB486_11:
	s_or_b64 exec, exec, s[2:3]
	v_cmp_gt_i32_e32 vcc, s8, v0
	s_and_saveexec_b64 s[0:1], vcc
	s_cbranch_execnz .LBB486_16
.LBB486_12:
	s_endpgm
.LBB486_13:
	s_waitcnt vmcnt(0)
	v_lshlrev_b32_e32 v8, 16, v5
	v_cmp_u_f32_e32 vcc, v8, v8
	v_cmp_gt_f32_e64 s[0:1], v7, v8
	v_mov_b32_e32 v3, 0
	v_mov_b32_e32 v8, s9
	s_or_b64 vcc, vcc, s[0:1]
	v_lshl_add_u64 v[2:3], v[2:3], 1, s[4:5]
	v_or_b32_e32 v0, 0x100, v0
	v_cndmask_b32_e32 v5, v8, v5, vcc
	global_store_short v[2:3], v5, off
	s_or_b64 exec, exec, s[2:3]
	v_cmp_gt_i32_e32 vcc, s8, v0
	s_and_saveexec_b64 s[2:3], vcc
	s_cbranch_execz .LBB486_10
.LBB486_14:
	s_waitcnt vmcnt(0)
	v_lshlrev_b32_e32 v2, 16, v4
	v_cmp_u_f32_e32 vcc, v2, v2
	v_cmp_gt_f32_e64 s[0:1], v7, v2
	v_mov_b32_e32 v2, s9
	s_or_b64 vcc, vcc, s[0:1]
	v_cndmask_b32_e32 v4, v2, v4, vcc
	v_add_u32_e32 v5, 0x100, v0
	v_add_u32_e32 v2, s10, v0
	v_mov_b32_e32 v3, 0
	v_lshl_add_u64 v[2:3], v[2:3], 1, s[4:5]
	v_mov_b32_e32 v0, v5
	global_store_short v[2:3], v4, off
	s_or_b64 exec, exec, s[2:3]
	v_cmp_gt_i32_e32 vcc, s8, v0
	s_and_saveexec_b64 s[2:3], vcc
	s_cbranch_execz .LBB486_11
.LBB486_15:
	s_waitcnt vmcnt(0)
	v_lshlrev_b32_e32 v2, 16, v6
	v_cmp_u_f32_e32 vcc, v2, v2
	v_cmp_gt_f32_e64 s[0:1], v7, v2
	v_mov_b32_e32 v2, s9
	s_or_b64 vcc, vcc, s[0:1]
	v_cndmask_b32_e32 v4, v2, v6, vcc
	v_add_u32_e32 v5, 0x100, v0
	v_add_u32_e32 v2, s10, v0
	v_mov_b32_e32 v3, 0
	v_lshl_add_u64 v[2:3], v[2:3], 1, s[4:5]
	v_mov_b32_e32 v0, v5
	global_store_short v[2:3], v4, off
	s_or_b64 exec, exec, s[2:3]
	v_cmp_gt_i32_e32 vcc, s8, v0
	s_and_saveexec_b64 s[0:1], vcc
	s_cbranch_execz .LBB486_12
.LBB486_16:
	s_waitcnt vmcnt(0)
	v_lshlrev_b32_e32 v2, 16, v1
	v_cmp_u_f32_e32 vcc, v2, v2
	v_cmp_lt_f32_e64 s[0:1], v2, v7
	v_mov_b32_e32 v2, s9
	s_or_b64 vcc, vcc, s[0:1]
	v_cndmask_b32_e32 v2, v2, v1, vcc
	v_add_u32_e32 v0, s10, v0
	v_mov_b32_e32 v1, 0
	v_lshl_add_u64 v[0:1], v[0:1], 1, s[4:5]
	global_store_short v[0:1], v2, off
	s_endpgm
	.section	.rodata,"a",@progbits
	.p2align	6, 0x0
	.amdhsa_kernel _ZN2at6native27unrolled_elementwise_kernelIZZZNS0_21clamp_max_kernel_cudaERNS_18TensorIteratorBaseERKN3c106ScalarEENKUlvE_clEvENKUlvE7_clEvEUlNS4_8BFloat16EE_St5arrayIPcLm2EELi4E23TrivialOffsetCalculatorILi1EjESG_NS0_6memory15LoadWithoutCastENSH_16StoreWithoutCastEEEviT_T0_T2_T3_T4_T5_
		.amdhsa_group_segment_fixed_size 0
		.amdhsa_private_segment_fixed_size 0
		.amdhsa_kernarg_size 28
		.amdhsa_user_sgpr_count 2
		.amdhsa_user_sgpr_dispatch_ptr 0
		.amdhsa_user_sgpr_queue_ptr 0
		.amdhsa_user_sgpr_kernarg_segment_ptr 1
		.amdhsa_user_sgpr_dispatch_id 0
		.amdhsa_user_sgpr_kernarg_preload_length 0
		.amdhsa_user_sgpr_kernarg_preload_offset 0
		.amdhsa_user_sgpr_private_segment_size 0
		.amdhsa_uses_dynamic_stack 0
		.amdhsa_enable_private_segment 0
		.amdhsa_system_sgpr_workgroup_id_x 1
		.amdhsa_system_sgpr_workgroup_id_y 0
		.amdhsa_system_sgpr_workgroup_id_z 0
		.amdhsa_system_sgpr_workgroup_info 0
		.amdhsa_system_vgpr_workitem_id 0
		.amdhsa_next_free_vgpr 10
		.amdhsa_next_free_sgpr 11
		.amdhsa_accum_offset 12
		.amdhsa_reserve_vcc 1
		.amdhsa_float_round_mode_32 0
		.amdhsa_float_round_mode_16_64 0
		.amdhsa_float_denorm_mode_32 3
		.amdhsa_float_denorm_mode_16_64 3
		.amdhsa_dx10_clamp 1
		.amdhsa_ieee_mode 1
		.amdhsa_fp16_overflow 0
		.amdhsa_tg_split 0
		.amdhsa_exception_fp_ieee_invalid_op 0
		.amdhsa_exception_fp_denorm_src 0
		.amdhsa_exception_fp_ieee_div_zero 0
		.amdhsa_exception_fp_ieee_overflow 0
		.amdhsa_exception_fp_ieee_underflow 0
		.amdhsa_exception_fp_ieee_inexact 0
		.amdhsa_exception_int_div_zero 0
	.end_amdhsa_kernel
	.section	.text._ZN2at6native27unrolled_elementwise_kernelIZZZNS0_21clamp_max_kernel_cudaERNS_18TensorIteratorBaseERKN3c106ScalarEENKUlvE_clEvENKUlvE7_clEvEUlNS4_8BFloat16EE_St5arrayIPcLm2EELi4E23TrivialOffsetCalculatorILi1EjESG_NS0_6memory15LoadWithoutCastENSH_16StoreWithoutCastEEEviT_T0_T2_T3_T4_T5_,"axG",@progbits,_ZN2at6native27unrolled_elementwise_kernelIZZZNS0_21clamp_max_kernel_cudaERNS_18TensorIteratorBaseERKN3c106ScalarEENKUlvE_clEvENKUlvE7_clEvEUlNS4_8BFloat16EE_St5arrayIPcLm2EELi4E23TrivialOffsetCalculatorILi1EjESG_NS0_6memory15LoadWithoutCastENSH_16StoreWithoutCastEEEviT_T0_T2_T3_T4_T5_,comdat
.Lfunc_end486:
	.size	_ZN2at6native27unrolled_elementwise_kernelIZZZNS0_21clamp_max_kernel_cudaERNS_18TensorIteratorBaseERKN3c106ScalarEENKUlvE_clEvENKUlvE7_clEvEUlNS4_8BFloat16EE_St5arrayIPcLm2EELi4E23TrivialOffsetCalculatorILi1EjESG_NS0_6memory15LoadWithoutCastENSH_16StoreWithoutCastEEEviT_T0_T2_T3_T4_T5_, .Lfunc_end486-_ZN2at6native27unrolled_elementwise_kernelIZZZNS0_21clamp_max_kernel_cudaERNS_18TensorIteratorBaseERKN3c106ScalarEENKUlvE_clEvENKUlvE7_clEvEUlNS4_8BFloat16EE_St5arrayIPcLm2EELi4E23TrivialOffsetCalculatorILi1EjESG_NS0_6memory15LoadWithoutCastENSH_16StoreWithoutCastEEEviT_T0_T2_T3_T4_T5_
                                        ; -- End function
	.set _ZN2at6native27unrolled_elementwise_kernelIZZZNS0_21clamp_max_kernel_cudaERNS_18TensorIteratorBaseERKN3c106ScalarEENKUlvE_clEvENKUlvE7_clEvEUlNS4_8BFloat16EE_St5arrayIPcLm2EELi4E23TrivialOffsetCalculatorILi1EjESG_NS0_6memory15LoadWithoutCastENSH_16StoreWithoutCastEEEviT_T0_T2_T3_T4_T5_.num_vgpr, 10
	.set _ZN2at6native27unrolled_elementwise_kernelIZZZNS0_21clamp_max_kernel_cudaERNS_18TensorIteratorBaseERKN3c106ScalarEENKUlvE_clEvENKUlvE7_clEvEUlNS4_8BFloat16EE_St5arrayIPcLm2EELi4E23TrivialOffsetCalculatorILi1EjESG_NS0_6memory15LoadWithoutCastENSH_16StoreWithoutCastEEEviT_T0_T2_T3_T4_T5_.num_agpr, 0
	.set _ZN2at6native27unrolled_elementwise_kernelIZZZNS0_21clamp_max_kernel_cudaERNS_18TensorIteratorBaseERKN3c106ScalarEENKUlvE_clEvENKUlvE7_clEvEUlNS4_8BFloat16EE_St5arrayIPcLm2EELi4E23TrivialOffsetCalculatorILi1EjESG_NS0_6memory15LoadWithoutCastENSH_16StoreWithoutCastEEEviT_T0_T2_T3_T4_T5_.numbered_sgpr, 11
	.set _ZN2at6native27unrolled_elementwise_kernelIZZZNS0_21clamp_max_kernel_cudaERNS_18TensorIteratorBaseERKN3c106ScalarEENKUlvE_clEvENKUlvE7_clEvEUlNS4_8BFloat16EE_St5arrayIPcLm2EELi4E23TrivialOffsetCalculatorILi1EjESG_NS0_6memory15LoadWithoutCastENSH_16StoreWithoutCastEEEviT_T0_T2_T3_T4_T5_.num_named_barrier, 0
	.set _ZN2at6native27unrolled_elementwise_kernelIZZZNS0_21clamp_max_kernel_cudaERNS_18TensorIteratorBaseERKN3c106ScalarEENKUlvE_clEvENKUlvE7_clEvEUlNS4_8BFloat16EE_St5arrayIPcLm2EELi4E23TrivialOffsetCalculatorILi1EjESG_NS0_6memory15LoadWithoutCastENSH_16StoreWithoutCastEEEviT_T0_T2_T3_T4_T5_.private_seg_size, 0
	.set _ZN2at6native27unrolled_elementwise_kernelIZZZNS0_21clamp_max_kernel_cudaERNS_18TensorIteratorBaseERKN3c106ScalarEENKUlvE_clEvENKUlvE7_clEvEUlNS4_8BFloat16EE_St5arrayIPcLm2EELi4E23TrivialOffsetCalculatorILi1EjESG_NS0_6memory15LoadWithoutCastENSH_16StoreWithoutCastEEEviT_T0_T2_T3_T4_T5_.uses_vcc, 1
	.set _ZN2at6native27unrolled_elementwise_kernelIZZZNS0_21clamp_max_kernel_cudaERNS_18TensorIteratorBaseERKN3c106ScalarEENKUlvE_clEvENKUlvE7_clEvEUlNS4_8BFloat16EE_St5arrayIPcLm2EELi4E23TrivialOffsetCalculatorILi1EjESG_NS0_6memory15LoadWithoutCastENSH_16StoreWithoutCastEEEviT_T0_T2_T3_T4_T5_.uses_flat_scratch, 0
	.set _ZN2at6native27unrolled_elementwise_kernelIZZZNS0_21clamp_max_kernel_cudaERNS_18TensorIteratorBaseERKN3c106ScalarEENKUlvE_clEvENKUlvE7_clEvEUlNS4_8BFloat16EE_St5arrayIPcLm2EELi4E23TrivialOffsetCalculatorILi1EjESG_NS0_6memory15LoadWithoutCastENSH_16StoreWithoutCastEEEviT_T0_T2_T3_T4_T5_.has_dyn_sized_stack, 0
	.set _ZN2at6native27unrolled_elementwise_kernelIZZZNS0_21clamp_max_kernel_cudaERNS_18TensorIteratorBaseERKN3c106ScalarEENKUlvE_clEvENKUlvE7_clEvEUlNS4_8BFloat16EE_St5arrayIPcLm2EELi4E23TrivialOffsetCalculatorILi1EjESG_NS0_6memory15LoadWithoutCastENSH_16StoreWithoutCastEEEviT_T0_T2_T3_T4_T5_.has_recursion, 0
	.set _ZN2at6native27unrolled_elementwise_kernelIZZZNS0_21clamp_max_kernel_cudaERNS_18TensorIteratorBaseERKN3c106ScalarEENKUlvE_clEvENKUlvE7_clEvEUlNS4_8BFloat16EE_St5arrayIPcLm2EELi4E23TrivialOffsetCalculatorILi1EjESG_NS0_6memory15LoadWithoutCastENSH_16StoreWithoutCastEEEviT_T0_T2_T3_T4_T5_.has_indirect_call, 0
	.section	.AMDGPU.csdata,"",@progbits
; Kernel info:
; codeLenInByte = 616
; TotalNumSgprs: 17
; NumVgprs: 10
; NumAgprs: 0
; TotalNumVgprs: 10
; ScratchSize: 0
; MemoryBound: 0
; FloatMode: 240
; IeeeMode: 1
; LDSByteSize: 0 bytes/workgroup (compile time only)
; SGPRBlocks: 2
; VGPRBlocks: 1
; NumSGPRsForWavesPerEU: 17
; NumVGPRsForWavesPerEU: 10
; AccumOffset: 12
; Occupancy: 8
; WaveLimiterHint : 0
; COMPUTE_PGM_RSRC2:SCRATCH_EN: 0
; COMPUTE_PGM_RSRC2:USER_SGPR: 2
; COMPUTE_PGM_RSRC2:TRAP_HANDLER: 0
; COMPUTE_PGM_RSRC2:TGID_X_EN: 1
; COMPUTE_PGM_RSRC2:TGID_Y_EN: 0
; COMPUTE_PGM_RSRC2:TGID_Z_EN: 0
; COMPUTE_PGM_RSRC2:TIDIG_COMP_CNT: 0
; COMPUTE_PGM_RSRC3_GFX90A:ACCUM_OFFSET: 2
; COMPUTE_PGM_RSRC3_GFX90A:TG_SPLIT: 0
	.section	.text._ZN2at6native32elementwise_kernel_manual_unrollILi128ELi8EZNS0_22gpu_kernel_impl_nocastIZZZNS0_21clamp_max_kernel_cudaERNS_18TensorIteratorBaseERKN3c106ScalarEENKUlvE_clEvENKUlvE7_clEvEUlNS5_8BFloat16EE_EEvS4_RKT_EUlibE_EEviT1_,"axG",@progbits,_ZN2at6native32elementwise_kernel_manual_unrollILi128ELi8EZNS0_22gpu_kernel_impl_nocastIZZZNS0_21clamp_max_kernel_cudaERNS_18TensorIteratorBaseERKN3c106ScalarEENKUlvE_clEvENKUlvE7_clEvEUlNS5_8BFloat16EE_EEvS4_RKT_EUlibE_EEviT1_,comdat
	.globl	_ZN2at6native32elementwise_kernel_manual_unrollILi128ELi8EZNS0_22gpu_kernel_impl_nocastIZZZNS0_21clamp_max_kernel_cudaERNS_18TensorIteratorBaseERKN3c106ScalarEENKUlvE_clEvENKUlvE7_clEvEUlNS5_8BFloat16EE_EEvS4_RKT_EUlibE_EEviT1_ ; -- Begin function _ZN2at6native32elementwise_kernel_manual_unrollILi128ELi8EZNS0_22gpu_kernel_impl_nocastIZZZNS0_21clamp_max_kernel_cudaERNS_18TensorIteratorBaseERKN3c106ScalarEENKUlvE_clEvENKUlvE7_clEvEUlNS5_8BFloat16EE_EEvS4_RKT_EUlibE_EEviT1_
	.p2align	8
	.type	_ZN2at6native32elementwise_kernel_manual_unrollILi128ELi8EZNS0_22gpu_kernel_impl_nocastIZZZNS0_21clamp_max_kernel_cudaERNS_18TensorIteratorBaseERKN3c106ScalarEENKUlvE_clEvENKUlvE7_clEvEUlNS5_8BFloat16EE_EEvS4_RKT_EUlibE_EEviT1_,@function
_ZN2at6native32elementwise_kernel_manual_unrollILi128ELi8EZNS0_22gpu_kernel_impl_nocastIZZZNS0_21clamp_max_kernel_cudaERNS_18TensorIteratorBaseERKN3c106ScalarEENKUlvE_clEvENKUlvE7_clEvEUlNS5_8BFloat16EE_EEvS4_RKT_EUlibE_EEviT1_: ; @_ZN2at6native32elementwise_kernel_manual_unrollILi128ELi8EZNS0_22gpu_kernel_impl_nocastIZZZNS0_21clamp_max_kernel_cudaERNS_18TensorIteratorBaseERKN3c106ScalarEENKUlvE_clEvENKUlvE7_clEvEUlNS5_8BFloat16EE_EEvS4_RKT_EUlibE_EEviT1_
; %bb.0:
	s_load_dword s57, s[0:1], 0x0
	s_load_dword s33, s[0:1], 0x8
	s_add_u32 s34, s0, 8
	s_addc_u32 s35, s1, 0
	v_lshl_or_b32 v24, s2, 10, v0
	v_or_b32_e32 v32, 0x380, v24
	s_waitcnt lgkmcnt(0)
	s_add_i32 s54, s33, -1
	s_cmp_gt_u32 s54, 1
	v_cmp_le_i32_e32 vcc, s57, v32
	s_cselect_b64 s[36:37], -1, 0
	s_and_saveexec_b64 s[0:1], vcc
	s_xor_b64 s[38:39], exec, s[0:1]
	s_cbranch_execz .LBB487_8
; %bb.1:
	s_cmp_lg_u32 s33, 0
	s_cselect_b64 s[46:47], -1, 0
	s_add_u32 s44, s34, 0xc4
	s_load_dwordx4 s[20:23], s[34:35], 0x4
	s_load_dwordx2 s[40:41], s[34:35], 0x14
	s_load_dword s55, s[34:35], 0x158
	s_load_dwordx4 s[24:27], s[34:35], 0xc4
	s_load_dwordx4 s[16:19], s[34:35], 0x148
	s_addc_u32 s45, s35, 0
	s_min_u32 s58, s54, 15
	s_cmp_gt_u32 s33, 1
	s_cselect_b64 s[42:43], -1, 0
	s_waitcnt lgkmcnt(0)
	s_lshl_b32 s56, s55, 16
	v_cmp_gt_i32_e32 vcc, s57, v24
	s_and_saveexec_b64 s[48:49], vcc
	s_cbranch_execz .LBB487_15
; %bb.2:
	s_andn2_b64 vcc, exec, s[36:37]
	s_cbranch_vccnz .LBB487_23
; %bb.3:
	s_andn2_b64 vcc, exec, s[46:47]
	s_cbranch_vccnz .LBB487_131
; %bb.4:
	s_add_i32 s60, s58, 1
	s_cmp_eq_u32 s54, 2
	s_cbranch_scc1 .LBB487_133
; %bb.5:
	s_and_b32 s59, s60, 28
	s_mov_b32 s61, 0
	v_mov_b32_e32 v0, 0
	v_mov_b32_e32 v2, 0
	s_mov_b64 s[50:51], s[34:35]
	s_mov_b64 s[52:53], s[44:45]
	v_mov_b32_e32 v4, v24
.LBB487_6:                              ; =>This Inner Loop Header: Depth=1
	s_load_dwordx8 s[8:15], s[50:51], 0x4
	s_load_dwordx4 s[28:31], s[50:51], 0x24
	s_load_dwordx8 s[0:7], s[52:53], 0x0
	s_add_u32 s50, s50, 48
	s_addc_u32 s51, s51, 0
	s_waitcnt lgkmcnt(0)
	v_mul_hi_u32 v1, s9, v4
	v_add_u32_e32 v1, v4, v1
	v_lshrrev_b32_e32 v1, s10, v1
	v_mul_lo_u32 v3, v1, s8
	v_mul_hi_u32 v5, s12, v1
	v_sub_u32_e32 v3, v4, v3
	v_add_u32_e32 v4, v1, v5
	v_lshrrev_b32_e32 v4, s13, v4
	v_mul_lo_u32 v6, v4, s11
	v_mul_hi_u32 v7, s15, v4
	v_sub_u32_e32 v1, v1, v6
	v_add_u32_e32 v6, v4, v7
	v_mul_lo_u32 v5, v3, s1
	v_mul_lo_u32 v3, v3, s0
	;; [unrolled: 1-line block ×4, first 2 shown]
	v_lshrrev_b32_e32 v6, s28, v6
	v_add3_u32 v0, v3, v0, v1
	v_mul_hi_u32 v3, s30, v6
	v_add3_u32 v1, v5, v2, v7
	v_mul_lo_u32 v2, v6, s14
	v_add_u32_e32 v3, v6, v3
	v_sub_u32_e32 v2, v4, v2
	v_lshrrev_b32_e32 v4, s31, v3
	s_add_i32 s61, s61, 4
	v_mul_lo_u32 v3, v4, s29
	s_add_u32 s52, s52, 32
	v_sub_u32_e32 v3, v6, v3
	s_addc_u32 s53, s53, 0
	v_mul_lo_u32 v5, v2, s4
	v_mul_lo_u32 v2, v2, s5
	;; [unrolled: 1-line block ×4, first 2 shown]
	s_cmp_lg_u32 s59, s61
	v_add3_u32 v2, v2, v1, v3
	v_add3_u32 v0, v5, v0, v6
	s_cbranch_scc1 .LBB487_6
; %bb.7:
	v_mov_b32_e32 v1, v2
	s_branch .LBB487_134
.LBB487_8:
	s_andn2_saveexec_b64 s[0:1], s[38:39]
	s_cbranch_execz .LBB487_228
.LBB487_9:
	v_cndmask_b32_e64 v0, 0, 1, s[36:37]
	v_cmp_ne_u32_e64 s[0:1], 1, v0
	s_andn2_b64 vcc, exec, s[36:37]
	s_cbranch_vccnz .LBB487_22
; %bb.10:
	s_cmp_lg_u32 s33, 0
	s_mov_b32 s26, 0
	s_cbranch_scc0 .LBB487_25
; %bb.11:
	s_min_u32 s27, s54, 15
	s_add_i32 s27, s27, 1
	s_cmp_eq_u32 s54, 2
	s_cbranch_scc1 .LBB487_26
; %bb.12:
	s_and_b32 s26, s27, 28
	s_add_u32 s2, s34, 0xc4
	s_addc_u32 s3, s35, 0
	s_mov_b32 s28, 0
	v_mov_b32_e32 v0, 0
	v_mov_b32_e32 v2, 0
	s_mov_b64 s[24:25], s[34:35]
	v_mov_b32_e32 v4, v24
.LBB487_13:                             ; =>This Inner Loop Header: Depth=1
	s_load_dwordx8 s[12:19], s[24:25], 0x4
	s_load_dwordx4 s[20:23], s[24:25], 0x24
	s_load_dwordx8 s[4:11], s[2:3], 0x0
	s_add_u32 s24, s24, 48
	s_addc_u32 s25, s25, 0
	s_waitcnt lgkmcnt(0)
	v_mul_hi_u32 v1, s13, v4
	v_add_u32_e32 v1, v4, v1
	v_lshrrev_b32_e32 v1, s14, v1
	v_mul_lo_u32 v3, v1, s12
	v_mul_hi_u32 v5, s16, v1
	v_sub_u32_e32 v3, v4, v3
	v_add_u32_e32 v4, v1, v5
	v_lshrrev_b32_e32 v4, s17, v4
	v_mul_lo_u32 v6, v4, s15
	v_mul_hi_u32 v7, s19, v4
	v_sub_u32_e32 v1, v1, v6
	v_add_u32_e32 v6, v4, v7
	v_mul_lo_u32 v5, v3, s5
	v_mul_lo_u32 v3, v3, s4
	v_mul_lo_u32 v7, v1, s7
	v_mul_lo_u32 v1, v1, s6
	v_lshrrev_b32_e32 v6, s20, v6
	v_add3_u32 v0, v3, v0, v1
	v_mul_hi_u32 v3, s22, v6
	v_add3_u32 v1, v5, v2, v7
	v_mul_lo_u32 v2, v6, s18
	v_add_u32_e32 v3, v6, v3
	v_sub_u32_e32 v2, v4, v2
	v_lshrrev_b32_e32 v4, s23, v3
	s_add_i32 s28, s28, 4
	v_mul_lo_u32 v3, v4, s21
	s_add_u32 s2, s2, 32
	v_sub_u32_e32 v3, v6, v3
	s_addc_u32 s3, s3, 0
	v_mul_lo_u32 v5, v2, s8
	v_mul_lo_u32 v2, v2, s9
	;; [unrolled: 1-line block ×4, first 2 shown]
	s_cmp_lg_u32 s26, s28
	v_add3_u32 v2, v2, v1, v3
	v_add3_u32 v0, v5, v0, v6
	s_cbranch_scc1 .LBB487_13
; %bb.14:
	v_mov_b32_e32 v1, v2
	s_and_b32 s6, s27, 3
	s_cmp_eq_u32 s6, 0
	s_cbranch_scc0 .LBB487_27
	s_branch .LBB487_29
.LBB487_15:
	s_or_b64 exec, exec, s[48:49]
	v_cmp_gt_i32_e32 vcc, s57, v24
	s_and_saveexec_b64 s[48:49], vcc
	s_cbranch_execz .LBB487_141
.LBB487_16:
	s_andn2_b64 vcc, exec, s[36:37]
	s_cbranch_vccnz .LBB487_24
; %bb.17:
	s_andn2_b64 vcc, exec, s[46:47]
	s_cbranch_vccnz .LBB487_132
; %bb.18:
	s_add_i32 s60, s58, 1
	s_cmp_eq_u32 s54, 2
	s_cbranch_scc1 .LBB487_150
; %bb.19:
	s_and_b32 s59, s60, 28
	s_mov_b32 s61, 0
	v_mov_b32_e32 v0, 0
	v_mov_b32_e32 v2, 0
	s_mov_b64 s[50:51], s[34:35]
	s_mov_b64 s[52:53], s[44:45]
	v_mov_b32_e32 v4, v24
.LBB487_20:                             ; =>This Inner Loop Header: Depth=1
	s_load_dwordx8 s[8:15], s[50:51], 0x4
	s_load_dwordx4 s[28:31], s[50:51], 0x24
	s_load_dwordx8 s[0:7], s[52:53], 0x0
	s_add_u32 s50, s50, 48
	s_addc_u32 s51, s51, 0
	s_waitcnt lgkmcnt(0)
	v_mul_hi_u32 v1, s9, v4
	v_add_u32_e32 v1, v4, v1
	v_lshrrev_b32_e32 v1, s10, v1
	v_mul_lo_u32 v3, v1, s8
	v_mul_hi_u32 v5, s12, v1
	v_sub_u32_e32 v3, v4, v3
	v_add_u32_e32 v4, v1, v5
	v_lshrrev_b32_e32 v4, s13, v4
	v_mul_lo_u32 v6, v4, s11
	v_mul_hi_u32 v7, s15, v4
	v_sub_u32_e32 v1, v1, v6
	v_add_u32_e32 v6, v4, v7
	v_mul_lo_u32 v5, v3, s1
	v_mul_lo_u32 v3, v3, s0
	;; [unrolled: 1-line block ×4, first 2 shown]
	v_lshrrev_b32_e32 v6, s28, v6
	v_add3_u32 v0, v3, v0, v1
	v_mul_hi_u32 v3, s30, v6
	v_add3_u32 v1, v5, v2, v7
	v_mul_lo_u32 v2, v6, s14
	v_add_u32_e32 v3, v6, v3
	v_sub_u32_e32 v2, v4, v2
	v_lshrrev_b32_e32 v4, s31, v3
	s_add_i32 s61, s61, 4
	v_mul_lo_u32 v3, v4, s29
	s_add_u32 s52, s52, 32
	v_sub_u32_e32 v3, v6, v3
	s_addc_u32 s53, s53, 0
	v_mul_lo_u32 v5, v2, s4
	v_mul_lo_u32 v2, v2, s5
	;; [unrolled: 1-line block ×4, first 2 shown]
	s_cmp_eq_u32 s59, s61
	v_add3_u32 v2, v2, v1, v3
	v_add3_u32 v0, v5, v0, v6
	s_cbranch_scc0 .LBB487_20
; %bb.21:
	v_mov_b32_e32 v1, v2
	s_branch .LBB487_151
.LBB487_22:
                                        ; implicit-def: $vgpr2
                                        ; implicit-def: $vgpr0
	s_branch .LBB487_30
.LBB487_23:
                                        ; implicit-def: $vgpr2
                                        ; implicit-def: $vgpr0
	s_branch .LBB487_138
.LBB487_24:
                                        ; implicit-def: $vgpr2
                                        ; implicit-def: $vgpr0
	s_branch .LBB487_155
.LBB487_25:
	v_mov_b32_e32 v2, 0
	v_mov_b32_e32 v0, 0
	s_branch .LBB487_29
.LBB487_26:
	v_mov_b32_e32 v0, 0
                                        ; implicit-def: $vgpr2
	v_mov_b32_e32 v1, v0
	v_mov_b32_e32 v4, v24
	s_and_b32 s6, s27, 3
	s_cmp_eq_u32 s6, 0
	s_cbranch_scc1 .LBB487_29
.LBB487_27:
	s_lshl_b32 s2, s26, 3
	s_add_u32 s2, s34, s2
	s_addc_u32 s3, s35, 0
	s_add_u32 s2, s2, 0xc4
	s_addc_u32 s3, s3, 0
	s_mul_i32 s4, s26, 12
	s_add_u32 s4, s34, s4
	s_addc_u32 s5, s35, 0
.LBB487_28:                             ; =>This Inner Loop Header: Depth=1
	s_load_dwordx2 s[8:9], s[4:5], 0x4
	s_load_dword s7, s[4:5], 0xc
	s_load_dwordx2 s[10:11], s[2:3], 0x0
	v_mov_b32_e32 v2, v1
	s_add_u32 s4, s4, 12
	s_waitcnt lgkmcnt(0)
	v_mul_hi_u32 v1, s9, v4
	v_add_u32_e32 v1, v4, v1
	v_lshrrev_b32_e32 v1, s7, v1
	s_addc_u32 s5, s5, 0
	v_mul_lo_u32 v3, v1, s8
	s_add_u32 s2, s2, 8
	v_sub_u32_e32 v5, v4, v3
	s_addc_u32 s3, s3, 0
	s_add_i32 s6, s6, -1
	v_mov_b32_e32 v4, v1
	v_mad_u64_u32 v[2:3], s[8:9], v5, s11, v[2:3]
	v_mad_u64_u32 v[0:1], s[8:9], v5, s10, v[0:1]
	s_cmp_lg_u32 s6, 0
	v_mov_b32_e32 v1, v2
	s_cbranch_scc1 .LBB487_28
.LBB487_29:
	s_cbranch_execnz .LBB487_32
.LBB487_30:
	s_load_dwordx4 s[4:7], s[34:35], 0x4
	s_load_dwordx2 s[2:3], s[34:35], 0xc4
	s_cmp_lt_u32 s33, 2
	s_waitcnt lgkmcnt(0)
	v_mul_hi_u32 v0, s5, v24
	v_add_u32_e32 v0, v24, v0
	v_lshrrev_b32_e32 v1, s6, v0
	v_mul_lo_u32 v0, v1, s4
	v_sub_u32_e32 v0, v24, v0
	v_mul_lo_u32 v2, v0, s3
	v_mul_lo_u32 v0, v0, s2
	s_cbranch_scc1 .LBB487_32
; %bb.31:
	s_load_dwordx4 s[4:7], s[34:35], 0x10
	s_load_dwordx2 s[2:3], s[34:35], 0xcc
	s_waitcnt lgkmcnt(0)
	v_mul_hi_u32 v3, s5, v1
	v_add_u32_e32 v3, v1, v3
	v_lshrrev_b32_e32 v3, s6, v3
	v_mul_lo_u32 v3, v3, s4
	v_sub_u32_e32 v3, v1, v3
	v_mad_u64_u32 v[0:1], s[4:5], v3, s2, v[0:1]
	v_mad_u64_u32 v[2:3], s[2:3], v3, s3, v[2:3]
.LBB487_32:
	s_and_b64 vcc, exec, s[0:1]
	v_add_u32_e32 v3, 0x80, v24
	s_cbranch_vccnz .LBB487_38
; %bb.33:
	s_cmp_lg_u32 s33, 0
	s_mov_b32 s26, 0
	s_cbranch_scc0 .LBB487_39
; %bb.34:
	s_min_u32 s27, s54, 15
	s_add_i32 s27, s27, 1
	s_cmp_eq_u32 s54, 2
	s_cbranch_scc1 .LBB487_40
; %bb.35:
	s_and_b32 s26, s27, 28
	s_add_u32 s2, s34, 0xc4
	s_addc_u32 s3, s35, 0
	s_mov_b32 s28, 0
	v_mov_b32_e32 v4, 0
	v_mov_b32_e32 v6, 0
	s_mov_b64 s[24:25], s[34:35]
	v_mov_b32_e32 v8, v3
.LBB487_36:                             ; =>This Inner Loop Header: Depth=1
	s_load_dwordx8 s[12:19], s[24:25], 0x4
	s_load_dwordx4 s[20:23], s[24:25], 0x24
	s_load_dwordx8 s[4:11], s[2:3], 0x0
	s_add_u32 s24, s24, 48
	s_addc_u32 s25, s25, 0
	s_waitcnt lgkmcnt(0)
	v_mul_hi_u32 v1, s13, v8
	v_add_u32_e32 v1, v8, v1
	v_lshrrev_b32_e32 v1, s14, v1
	v_mul_hi_u32 v7, s16, v1
	v_add_u32_e32 v7, v1, v7
	v_lshrrev_b32_e32 v7, s17, v7
	v_mul_lo_u32 v5, v1, s12
	v_mul_lo_u32 v9, v7, s15
	v_mul_hi_u32 v10, s19, v7
	v_sub_u32_e32 v5, v8, v5
	v_sub_u32_e32 v1, v1, v9
	v_add_u32_e32 v9, v7, v10
	v_mul_lo_u32 v8, v5, s5
	v_mul_lo_u32 v5, v5, s4
	;; [unrolled: 1-line block ×4, first 2 shown]
	v_lshrrev_b32_e32 v9, s20, v9
	v_add3_u32 v1, v5, v4, v1
	v_add3_u32 v4, v8, v6, v10
	v_mul_hi_u32 v6, s22, v9
	v_add_u32_e32 v6, v9, v6
	v_lshrrev_b32_e32 v8, s23, v6
	s_add_i32 s28, s28, 4
	v_mul_lo_u32 v5, v9, s18
	v_mul_lo_u32 v6, v8, s21
	s_add_u32 s2, s2, 32
	v_sub_u32_e32 v5, v7, v5
	v_sub_u32_e32 v6, v9, v6
	s_addc_u32 s3, s3, 0
	v_mul_lo_u32 v7, v5, s8
	v_mul_lo_u32 v5, v5, s9
	v_mul_lo_u32 v9, v6, s10
	v_mul_lo_u32 v6, v6, s11
	s_cmp_lg_u32 s26, s28
	v_add3_u32 v6, v5, v4, v6
	v_add3_u32 v4, v7, v1, v9
	s_cbranch_scc1 .LBB487_36
; %bb.37:
	v_mov_b32_e32 v1, v6
	s_and_b32 s6, s27, 3
	s_cmp_eq_u32 s6, 0
	s_cbranch_scc0 .LBB487_41
	s_branch .LBB487_43
.LBB487_38:
                                        ; implicit-def: $vgpr6
                                        ; implicit-def: $vgpr4
	s_branch .LBB487_44
.LBB487_39:
	v_mov_b32_e32 v6, 0
	v_mov_b32_e32 v4, 0
	s_branch .LBB487_43
.LBB487_40:
	v_mov_b32_e32 v4, 0
                                        ; implicit-def: $vgpr6
	v_mov_b32_e32 v1, v4
	v_mov_b32_e32 v8, v3
	s_and_b32 s6, s27, 3
	s_cmp_eq_u32 s6, 0
	s_cbranch_scc1 .LBB487_43
.LBB487_41:
	s_lshl_b32 s2, s26, 3
	s_add_u32 s2, s34, s2
	s_addc_u32 s3, s35, 0
	s_add_u32 s2, s2, 0xc4
	s_addc_u32 s3, s3, 0
	s_mul_i32 s4, s26, 12
	s_add_u32 s4, s34, s4
	s_addc_u32 s5, s35, 0
.LBB487_42:                             ; =>This Inner Loop Header: Depth=1
	s_load_dwordx2 s[8:9], s[4:5], 0x4
	s_load_dword s7, s[4:5], 0xc
	s_load_dwordx2 s[10:11], s[2:3], 0x0
	v_mov_b32_e32 v6, v1
	s_add_u32 s4, s4, 12
	s_waitcnt lgkmcnt(0)
	v_mul_hi_u32 v1, s9, v8
	v_add_u32_e32 v1, v8, v1
	v_lshrrev_b32_e32 v1, s7, v1
	s_addc_u32 s5, s5, 0
	v_mul_lo_u32 v5, v1, s8
	s_add_u32 s2, s2, 8
	v_sub_u32_e32 v5, v8, v5
	s_addc_u32 s3, s3, 0
	s_add_i32 s6, s6, -1
	v_mad_u64_u32 v[6:7], s[8:9], v5, s11, v[6:7]
	s_cmp_lg_u32 s6, 0
	v_mov_b32_e32 v8, v1
	v_mad_u64_u32 v[4:5], s[8:9], v5, s10, v[4:5]
	v_mov_b32_e32 v1, v6
	s_cbranch_scc1 .LBB487_42
.LBB487_43:
	s_cbranch_execnz .LBB487_46
.LBB487_44:
	s_load_dwordx4 s[4:7], s[34:35], 0x4
	s_load_dwordx2 s[2:3], s[34:35], 0xc4
	s_cmp_lt_u32 s33, 2
	s_waitcnt lgkmcnt(0)
	v_mul_hi_u32 v1, s5, v3
	v_add_u32_e32 v1, v3, v1
	v_lshrrev_b32_e32 v1, s6, v1
	v_mul_lo_u32 v4, v1, s4
	v_sub_u32_e32 v3, v3, v4
	v_mul_lo_u32 v6, v3, s3
	v_mul_lo_u32 v4, v3, s2
	s_cbranch_scc1 .LBB487_46
; %bb.45:
	s_load_dwordx4 s[4:7], s[34:35], 0x10
	s_load_dwordx2 s[2:3], s[34:35], 0xcc
	s_waitcnt lgkmcnt(0)
	v_mul_hi_u32 v3, s5, v1
	v_add_u32_e32 v3, v1, v3
	v_lshrrev_b32_e32 v3, s6, v3
	v_mul_lo_u32 v3, v3, s4
	v_sub_u32_e32 v1, v1, v3
	v_mad_u64_u32 v[4:5], s[4:5], v1, s2, v[4:5]
	v_mad_u64_u32 v[6:7], s[2:3], v1, s3, v[6:7]
.LBB487_46:
	s_and_b64 vcc, exec, s[0:1]
	v_add_u32_e32 v3, 0x100, v24
	s_cbranch_vccnz .LBB487_52
; %bb.47:
	s_cmp_lg_u32 s33, 0
	s_mov_b32 s26, 0
	s_cbranch_scc0 .LBB487_53
; %bb.48:
	s_min_u32 s27, s54, 15
	s_add_i32 s27, s27, 1
	s_cmp_eq_u32 s54, 2
	s_cbranch_scc1 .LBB487_54
; %bb.49:
	s_and_b32 s26, s27, 28
	s_add_u32 s2, s34, 0xc4
	s_addc_u32 s3, s35, 0
	s_mov_b32 s28, 0
	v_mov_b32_e32 v8, 0
	v_mov_b32_e32 v10, 0
	s_mov_b64 s[24:25], s[34:35]
	v_mov_b32_e32 v5, v3
.LBB487_50:                             ; =>This Inner Loop Header: Depth=1
	s_load_dwordx8 s[12:19], s[24:25], 0x4
	s_load_dwordx4 s[20:23], s[24:25], 0x24
	s_load_dwordx8 s[4:11], s[2:3], 0x0
	s_add_u32 s24, s24, 48
	s_addc_u32 s25, s25, 0
	s_waitcnt lgkmcnt(0)
	v_mul_hi_u32 v1, s13, v5
	v_add_u32_e32 v1, v5, v1
	v_lshrrev_b32_e32 v1, s14, v1
	v_mul_lo_u32 v7, v1, s12
	v_mul_hi_u32 v9, s16, v1
	v_sub_u32_e32 v5, v5, v7
	v_add_u32_e32 v7, v1, v9
	v_lshrrev_b32_e32 v7, s17, v7
	v_mul_lo_u32 v11, v7, s15
	v_mul_hi_u32 v12, s19, v7
	v_sub_u32_e32 v1, v1, v11
	v_add_u32_e32 v11, v7, v12
	v_mul_lo_u32 v9, v5, s5
	v_mul_lo_u32 v5, v5, s4
	;; [unrolled: 1-line block ×4, first 2 shown]
	v_lshrrev_b32_e32 v11, s20, v11
	v_add3_u32 v1, v5, v8, v1
	v_add3_u32 v8, v9, v10, v12
	v_mul_lo_u32 v5, v11, s18
	v_mul_hi_u32 v9, s22, v11
	v_sub_u32_e32 v5, v7, v5
	v_add_u32_e32 v7, v11, v9
	v_mul_lo_u32 v9, v5, s8
	v_mul_lo_u32 v10, v5, s9
	v_lshrrev_b32_e32 v5, s23, v7
	s_add_i32 s28, s28, 4
	v_mul_lo_u32 v7, v5, s21
	s_add_u32 s2, s2, 32
	v_sub_u32_e32 v7, v11, v7
	s_addc_u32 s3, s3, 0
	v_mul_lo_u32 v11, v7, s10
	v_mul_lo_u32 v7, v7, s11
	s_cmp_lg_u32 s26, s28
	v_add3_u32 v10, v10, v8, v7
	v_add3_u32 v8, v9, v1, v11
	s_cbranch_scc1 .LBB487_50
; %bb.51:
	v_mov_b32_e32 v1, v10
	s_and_b32 s6, s27, 3
	s_cmp_eq_u32 s6, 0
	s_cbranch_scc0 .LBB487_55
	s_branch .LBB487_57
.LBB487_52:
                                        ; implicit-def: $vgpr10
                                        ; implicit-def: $vgpr8
	s_branch .LBB487_58
.LBB487_53:
	v_mov_b32_e32 v10, 0
	v_mov_b32_e32 v8, 0
	s_branch .LBB487_57
.LBB487_54:
	v_mov_b32_e32 v8, 0
                                        ; implicit-def: $vgpr10
	v_mov_b32_e32 v1, v8
	v_mov_b32_e32 v5, v3
	s_and_b32 s6, s27, 3
	s_cmp_eq_u32 s6, 0
	s_cbranch_scc1 .LBB487_57
.LBB487_55:
	s_lshl_b32 s2, s26, 3
	s_add_u32 s2, s34, s2
	s_addc_u32 s3, s35, 0
	s_add_u32 s2, s2, 0xc4
	s_addc_u32 s3, s3, 0
	s_mul_i32 s4, s26, 12
	s_add_u32 s4, s34, s4
	s_addc_u32 s5, s35, 0
.LBB487_56:                             ; =>This Inner Loop Header: Depth=1
	s_load_dwordx2 s[8:9], s[4:5], 0x4
	s_load_dword s7, s[4:5], 0xc
	s_load_dwordx2 s[10:11], s[2:3], 0x0
	v_mov_b32_e32 v10, v1
	s_add_u32 s4, s4, 12
	s_waitcnt lgkmcnt(0)
	v_mul_hi_u32 v1, s9, v5
	v_add_u32_e32 v1, v5, v1
	v_lshrrev_b32_e32 v1, s7, v1
	s_addc_u32 s5, s5, 0
	v_mul_lo_u32 v7, v1, s8
	s_add_u32 s2, s2, 8
	v_sub_u32_e32 v7, v5, v7
	s_addc_u32 s3, s3, 0
	s_add_i32 s6, s6, -1
	v_mad_u64_u32 v[10:11], s[8:9], v7, s11, v[10:11]
	s_cmp_lg_u32 s6, 0
	v_mov_b32_e32 v5, v1
	v_mad_u64_u32 v[8:9], s[8:9], v7, s10, v[8:9]
	v_mov_b32_e32 v1, v10
	s_cbranch_scc1 .LBB487_56
.LBB487_57:
	s_cbranch_execnz .LBB487_60
.LBB487_58:
	s_load_dwordx4 s[4:7], s[34:35], 0x4
	s_load_dwordx2 s[2:3], s[34:35], 0xc4
	s_cmp_lt_u32 s33, 2
	s_waitcnt lgkmcnt(0)
	v_mul_hi_u32 v1, s5, v3
	v_add_u32_e32 v1, v3, v1
	v_lshrrev_b32_e32 v1, s6, v1
	v_mul_lo_u32 v5, v1, s4
	v_sub_u32_e32 v3, v3, v5
	v_mul_lo_u32 v10, v3, s3
	v_mul_lo_u32 v8, v3, s2
	s_cbranch_scc1 .LBB487_60
; %bb.59:
	s_load_dwordx4 s[4:7], s[34:35], 0x10
	s_load_dwordx2 s[2:3], s[34:35], 0xcc
	s_waitcnt lgkmcnt(0)
	v_mul_hi_u32 v3, s5, v1
	v_add_u32_e32 v3, v1, v3
	v_lshrrev_b32_e32 v3, s6, v3
	v_mul_lo_u32 v3, v3, s4
	v_sub_u32_e32 v1, v1, v3
	v_mad_u64_u32 v[8:9], s[4:5], v1, s2, v[8:9]
	v_mad_u64_u32 v[10:11], s[2:3], v1, s3, v[10:11]
.LBB487_60:
	s_and_b64 vcc, exec, s[0:1]
	v_add_u32_e32 v3, 0x180, v24
	s_cbranch_vccnz .LBB487_66
; %bb.61:
	s_cmp_lg_u32 s33, 0
	s_mov_b32 s26, 0
	s_cbranch_scc0 .LBB487_67
; %bb.62:
	s_min_u32 s27, s54, 15
	s_add_i32 s27, s27, 1
	s_cmp_eq_u32 s54, 2
	s_cbranch_scc1 .LBB487_68
; %bb.63:
	s_and_b32 s26, s27, 28
	s_add_u32 s2, s34, 0xc4
	s_addc_u32 s3, s35, 0
	s_mov_b32 s28, 0
	v_mov_b32_e32 v12, 0
	v_mov_b32_e32 v14, 0
	s_mov_b64 s[24:25], s[34:35]
	v_mov_b32_e32 v5, v3
.LBB487_64:                             ; =>This Inner Loop Header: Depth=1
	s_load_dwordx8 s[12:19], s[24:25], 0x4
	s_load_dwordx4 s[20:23], s[24:25], 0x24
	s_load_dwordx8 s[4:11], s[2:3], 0x0
	s_add_u32 s24, s24, 48
	s_addc_u32 s25, s25, 0
	s_waitcnt lgkmcnt(0)
	v_mul_hi_u32 v1, s13, v5
	v_add_u32_e32 v1, v5, v1
	v_lshrrev_b32_e32 v1, s14, v1
	v_mul_lo_u32 v7, v1, s12
	v_mul_hi_u32 v9, s16, v1
	v_sub_u32_e32 v5, v5, v7
	v_add_u32_e32 v7, v1, v9
	v_lshrrev_b32_e32 v7, s17, v7
	v_mul_lo_u32 v11, v7, s15
	v_mul_hi_u32 v13, s19, v7
	v_sub_u32_e32 v1, v1, v11
	v_add_u32_e32 v11, v7, v13
	v_mul_lo_u32 v9, v5, s5
	v_mul_lo_u32 v5, v5, s4
	;; [unrolled: 1-line block ×4, first 2 shown]
	v_lshrrev_b32_e32 v11, s20, v11
	v_add3_u32 v1, v5, v12, v1
	v_mul_lo_u32 v5, v11, s18
	v_mul_hi_u32 v12, s22, v11
	v_sub_u32_e32 v5, v7, v5
	v_add_u32_e32 v7, v11, v12
	v_add3_u32 v9, v9, v14, v13
	v_mul_lo_u32 v12, v5, s8
	v_mul_lo_u32 v13, v5, s9
	v_lshrrev_b32_e32 v5, s23, v7
	s_add_i32 s28, s28, 4
	v_mul_lo_u32 v7, v5, s21
	s_add_u32 s2, s2, 32
	v_sub_u32_e32 v7, v11, v7
	s_addc_u32 s3, s3, 0
	v_mul_lo_u32 v11, v7, s10
	v_mul_lo_u32 v7, v7, s11
	s_cmp_lg_u32 s26, s28
	v_add3_u32 v14, v13, v9, v7
	v_add3_u32 v12, v12, v1, v11
	s_cbranch_scc1 .LBB487_64
; %bb.65:
	v_mov_b32_e32 v1, v14
	s_and_b32 s6, s27, 3
	s_cmp_eq_u32 s6, 0
	s_cbranch_scc0 .LBB487_69
	s_branch .LBB487_71
.LBB487_66:
                                        ; implicit-def: $vgpr14
                                        ; implicit-def: $vgpr12
	s_branch .LBB487_72
.LBB487_67:
	v_mov_b32_e32 v14, 0
	v_mov_b32_e32 v12, 0
	s_branch .LBB487_71
.LBB487_68:
	v_mov_b32_e32 v12, 0
                                        ; implicit-def: $vgpr14
	v_mov_b32_e32 v1, v12
	v_mov_b32_e32 v5, v3
	s_and_b32 s6, s27, 3
	s_cmp_eq_u32 s6, 0
	s_cbranch_scc1 .LBB487_71
.LBB487_69:
	s_lshl_b32 s2, s26, 3
	s_add_u32 s2, s34, s2
	s_addc_u32 s3, s35, 0
	s_add_u32 s2, s2, 0xc4
	s_addc_u32 s3, s3, 0
	s_mul_i32 s4, s26, 12
	s_add_u32 s4, s34, s4
	s_addc_u32 s5, s35, 0
.LBB487_70:                             ; =>This Inner Loop Header: Depth=1
	s_load_dwordx2 s[8:9], s[4:5], 0x4
	s_load_dword s7, s[4:5], 0xc
	s_load_dwordx2 s[10:11], s[2:3], 0x0
	v_mov_b32_e32 v14, v1
	s_add_u32 s4, s4, 12
	s_waitcnt lgkmcnt(0)
	v_mul_hi_u32 v1, s9, v5
	v_add_u32_e32 v1, v5, v1
	v_lshrrev_b32_e32 v1, s7, v1
	s_addc_u32 s5, s5, 0
	v_mul_lo_u32 v7, v1, s8
	s_add_u32 s2, s2, 8
	v_sub_u32_e32 v7, v5, v7
	s_addc_u32 s3, s3, 0
	s_add_i32 s6, s6, -1
	v_mad_u64_u32 v[14:15], s[8:9], v7, s11, v[14:15]
	s_cmp_lg_u32 s6, 0
	v_mov_b32_e32 v5, v1
	v_mad_u64_u32 v[12:13], s[8:9], v7, s10, v[12:13]
	v_mov_b32_e32 v1, v14
	s_cbranch_scc1 .LBB487_70
.LBB487_71:
	s_cbranch_execnz .LBB487_74
.LBB487_72:
	s_load_dwordx4 s[4:7], s[34:35], 0x4
	s_load_dwordx2 s[2:3], s[34:35], 0xc4
	s_cmp_lt_u32 s33, 2
	s_waitcnt lgkmcnt(0)
	v_mul_hi_u32 v1, s5, v3
	v_add_u32_e32 v1, v3, v1
	v_lshrrev_b32_e32 v1, s6, v1
	v_mul_lo_u32 v5, v1, s4
	v_sub_u32_e32 v3, v3, v5
	v_mul_lo_u32 v14, v3, s3
	v_mul_lo_u32 v12, v3, s2
	s_cbranch_scc1 .LBB487_74
; %bb.73:
	s_load_dwordx4 s[4:7], s[34:35], 0x10
	s_load_dwordx2 s[2:3], s[34:35], 0xcc
	s_waitcnt lgkmcnt(0)
	v_mul_hi_u32 v3, s5, v1
	v_add_u32_e32 v3, v1, v3
	v_lshrrev_b32_e32 v3, s6, v3
	v_mul_lo_u32 v3, v3, s4
	v_sub_u32_e32 v1, v1, v3
	v_mad_u64_u32 v[12:13], s[4:5], v1, s2, v[12:13]
	v_mad_u64_u32 v[14:15], s[2:3], v1, s3, v[14:15]
.LBB487_74:
	s_and_b64 vcc, exec, s[0:1]
	v_add_u32_e32 v3, 0x200, v24
	s_cbranch_vccnz .LBB487_80
; %bb.75:
	s_cmp_lg_u32 s33, 0
	s_mov_b32 s26, 0
	s_cbranch_scc0 .LBB487_81
; %bb.76:
	s_min_u32 s27, s54, 15
	s_add_i32 s27, s27, 1
	s_cmp_eq_u32 s54, 2
	s_cbranch_scc1 .LBB487_82
; %bb.77:
	s_and_b32 s26, s27, 28
	s_add_u32 s2, s34, 0xc4
	s_addc_u32 s3, s35, 0
	s_mov_b32 s28, 0
	v_mov_b32_e32 v16, 0
	v_mov_b32_e32 v18, 0
	s_mov_b64 s[24:25], s[34:35]
	v_mov_b32_e32 v5, v3
.LBB487_78:                             ; =>This Inner Loop Header: Depth=1
	s_load_dwordx8 s[12:19], s[24:25], 0x4
	s_load_dwordx4 s[20:23], s[24:25], 0x24
	s_load_dwordx8 s[4:11], s[2:3], 0x0
	s_add_u32 s24, s24, 48
	s_addc_u32 s25, s25, 0
	s_waitcnt lgkmcnt(0)
	v_mul_hi_u32 v1, s13, v5
	v_add_u32_e32 v1, v5, v1
	v_lshrrev_b32_e32 v1, s14, v1
	v_mul_lo_u32 v7, v1, s12
	v_mul_hi_u32 v9, s16, v1
	v_sub_u32_e32 v5, v5, v7
	v_add_u32_e32 v7, v1, v9
	v_lshrrev_b32_e32 v7, s17, v7
	v_mul_lo_u32 v11, v7, s15
	v_mul_hi_u32 v13, s19, v7
	v_sub_u32_e32 v1, v1, v11
	v_add_u32_e32 v11, v7, v13
	v_mul_lo_u32 v9, v5, s5
	v_mul_lo_u32 v5, v5, s4
	;; [unrolled: 1-line block ×4, first 2 shown]
	v_lshrrev_b32_e32 v11, s20, v11
	v_add3_u32 v1, v5, v16, v1
	v_add3_u32 v9, v9, v18, v13
	v_mul_lo_u32 v5, v11, s18
	v_mul_hi_u32 v13, s22, v11
	v_sub_u32_e32 v5, v7, v5
	v_add_u32_e32 v7, v11, v13
	v_mul_lo_u32 v13, v5, s8
	v_mul_lo_u32 v15, v5, s9
	v_lshrrev_b32_e32 v5, s23, v7
	s_add_i32 s28, s28, 4
	v_mul_lo_u32 v7, v5, s21
	s_add_u32 s2, s2, 32
	v_sub_u32_e32 v7, v11, v7
	s_addc_u32 s3, s3, 0
	v_mul_lo_u32 v11, v7, s10
	v_mul_lo_u32 v7, v7, s11
	s_cmp_lg_u32 s26, s28
	v_add3_u32 v18, v15, v9, v7
	v_add3_u32 v16, v13, v1, v11
	s_cbranch_scc1 .LBB487_78
; %bb.79:
	v_mov_b32_e32 v1, v18
	s_and_b32 s6, s27, 3
	s_cmp_eq_u32 s6, 0
	s_cbranch_scc0 .LBB487_83
	s_branch .LBB487_85
.LBB487_80:
                                        ; implicit-def: $vgpr18
                                        ; implicit-def: $vgpr16
	s_branch .LBB487_86
.LBB487_81:
	v_mov_b32_e32 v18, 0
	v_mov_b32_e32 v16, 0
	s_branch .LBB487_85
.LBB487_82:
	v_mov_b32_e32 v16, 0
                                        ; implicit-def: $vgpr18
	v_mov_b32_e32 v1, v16
	v_mov_b32_e32 v5, v3
	s_and_b32 s6, s27, 3
	s_cmp_eq_u32 s6, 0
	s_cbranch_scc1 .LBB487_85
.LBB487_83:
	s_lshl_b32 s2, s26, 3
	s_add_u32 s2, s34, s2
	s_addc_u32 s3, s35, 0
	s_add_u32 s2, s2, 0xc4
	s_addc_u32 s3, s3, 0
	s_mul_i32 s4, s26, 12
	s_add_u32 s4, s34, s4
	s_addc_u32 s5, s35, 0
.LBB487_84:                             ; =>This Inner Loop Header: Depth=1
	s_load_dwordx2 s[8:9], s[4:5], 0x4
	s_load_dword s7, s[4:5], 0xc
	s_load_dwordx2 s[10:11], s[2:3], 0x0
	v_mov_b32_e32 v18, v1
	s_add_u32 s4, s4, 12
	s_waitcnt lgkmcnt(0)
	v_mul_hi_u32 v1, s9, v5
	v_add_u32_e32 v1, v5, v1
	v_lshrrev_b32_e32 v1, s7, v1
	s_addc_u32 s5, s5, 0
	v_mul_lo_u32 v7, v1, s8
	s_add_u32 s2, s2, 8
	v_sub_u32_e32 v7, v5, v7
	s_addc_u32 s3, s3, 0
	s_add_i32 s6, s6, -1
	v_mad_u64_u32 v[18:19], s[8:9], v7, s11, v[18:19]
	s_cmp_lg_u32 s6, 0
	v_mov_b32_e32 v5, v1
	v_mad_u64_u32 v[16:17], s[8:9], v7, s10, v[16:17]
	v_mov_b32_e32 v1, v18
	s_cbranch_scc1 .LBB487_84
.LBB487_85:
	s_cbranch_execnz .LBB487_88
.LBB487_86:
	s_load_dwordx4 s[4:7], s[34:35], 0x4
	s_load_dwordx2 s[2:3], s[34:35], 0xc4
	s_cmp_lt_u32 s33, 2
	s_waitcnt lgkmcnt(0)
	v_mul_hi_u32 v1, s5, v3
	v_add_u32_e32 v1, v3, v1
	v_lshrrev_b32_e32 v1, s6, v1
	v_mul_lo_u32 v5, v1, s4
	v_sub_u32_e32 v3, v3, v5
	v_mul_lo_u32 v18, v3, s3
	v_mul_lo_u32 v16, v3, s2
	s_cbranch_scc1 .LBB487_88
; %bb.87:
	s_load_dwordx4 s[4:7], s[34:35], 0x10
	s_load_dwordx2 s[2:3], s[34:35], 0xcc
	s_waitcnt lgkmcnt(0)
	v_mul_hi_u32 v3, s5, v1
	v_add_u32_e32 v3, v1, v3
	v_lshrrev_b32_e32 v3, s6, v3
	v_mul_lo_u32 v3, v3, s4
	v_sub_u32_e32 v1, v1, v3
	v_mad_u64_u32 v[16:17], s[4:5], v1, s2, v[16:17]
	v_mad_u64_u32 v[18:19], s[2:3], v1, s3, v[18:19]
.LBB487_88:
	s_and_b64 vcc, exec, s[0:1]
	v_add_u32_e32 v3, 0x280, v24
	s_cbranch_vccnz .LBB487_94
; %bb.89:
	s_cmp_lg_u32 s33, 0
	s_mov_b32 s26, 0
	s_cbranch_scc0 .LBB487_95
; %bb.90:
	s_min_u32 s27, s54, 15
	s_add_i32 s27, s27, 1
	s_cmp_eq_u32 s54, 2
	s_cbranch_scc1 .LBB487_96
; %bb.91:
	s_and_b32 s26, s27, 28
	s_add_u32 s2, s34, 0xc4
	s_addc_u32 s3, s35, 0
	s_mov_b32 s28, 0
	v_mov_b32_e32 v20, 0
	v_mov_b32_e32 v22, 0
	s_mov_b64 s[24:25], s[34:35]
	v_mov_b32_e32 v5, v3
.LBB487_92:                             ; =>This Inner Loop Header: Depth=1
	s_load_dwordx8 s[12:19], s[24:25], 0x4
	s_load_dwordx4 s[20:23], s[24:25], 0x24
	s_load_dwordx8 s[4:11], s[2:3], 0x0
	s_add_u32 s24, s24, 48
	s_addc_u32 s25, s25, 0
	s_waitcnt lgkmcnt(0)
	v_mul_hi_u32 v1, s13, v5
	v_add_u32_e32 v1, v5, v1
	v_lshrrev_b32_e32 v1, s14, v1
	v_mul_lo_u32 v7, v1, s12
	v_mul_hi_u32 v9, s16, v1
	v_sub_u32_e32 v5, v5, v7
	v_add_u32_e32 v7, v1, v9
	v_lshrrev_b32_e32 v7, s17, v7
	v_mul_lo_u32 v11, v7, s15
	v_mul_hi_u32 v13, s19, v7
	v_sub_u32_e32 v1, v1, v11
	v_add_u32_e32 v11, v7, v13
	v_mul_lo_u32 v9, v5, s5
	v_mul_lo_u32 v5, v5, s4
	;; [unrolled: 1-line block ×4, first 2 shown]
	v_lshrrev_b32_e32 v11, s20, v11
	v_add3_u32 v1, v5, v20, v1
	v_add3_u32 v9, v9, v22, v13
	v_mul_lo_u32 v5, v11, s18
	v_mul_hi_u32 v13, s22, v11
	v_sub_u32_e32 v5, v7, v5
	v_add_u32_e32 v7, v11, v13
	v_mul_lo_u32 v13, v5, s8
	v_mul_lo_u32 v15, v5, s9
	v_lshrrev_b32_e32 v5, s23, v7
	s_add_i32 s28, s28, 4
	v_mul_lo_u32 v7, v5, s21
	s_add_u32 s2, s2, 32
	v_sub_u32_e32 v7, v11, v7
	s_addc_u32 s3, s3, 0
	v_mul_lo_u32 v11, v7, s10
	v_mul_lo_u32 v7, v7, s11
	s_cmp_lg_u32 s26, s28
	v_add3_u32 v22, v15, v9, v7
	v_add3_u32 v20, v13, v1, v11
	s_cbranch_scc1 .LBB487_92
; %bb.93:
	v_mov_b32_e32 v1, v22
	s_and_b32 s6, s27, 3
	s_cmp_eq_u32 s6, 0
	s_cbranch_scc0 .LBB487_97
	s_branch .LBB487_99
.LBB487_94:
                                        ; implicit-def: $vgpr22
                                        ; implicit-def: $vgpr20
	s_branch .LBB487_100
.LBB487_95:
	v_mov_b32_e32 v22, 0
	v_mov_b32_e32 v20, 0
	s_branch .LBB487_99
.LBB487_96:
	v_mov_b32_e32 v20, 0
                                        ; implicit-def: $vgpr22
	v_mov_b32_e32 v1, v20
	v_mov_b32_e32 v5, v3
	s_and_b32 s6, s27, 3
	s_cmp_eq_u32 s6, 0
	s_cbranch_scc1 .LBB487_99
.LBB487_97:
	s_lshl_b32 s2, s26, 3
	s_add_u32 s2, s34, s2
	s_addc_u32 s3, s35, 0
	s_add_u32 s2, s2, 0xc4
	s_addc_u32 s3, s3, 0
	s_mul_i32 s4, s26, 12
	s_add_u32 s4, s34, s4
	s_addc_u32 s5, s35, 0
.LBB487_98:                             ; =>This Inner Loop Header: Depth=1
	s_load_dwordx2 s[8:9], s[4:5], 0x4
	s_load_dword s7, s[4:5], 0xc
	s_load_dwordx2 s[10:11], s[2:3], 0x0
	v_mov_b32_e32 v22, v1
	s_add_u32 s4, s4, 12
	s_waitcnt lgkmcnt(0)
	v_mul_hi_u32 v1, s9, v5
	v_add_u32_e32 v1, v5, v1
	v_lshrrev_b32_e32 v1, s7, v1
	s_addc_u32 s5, s5, 0
	v_mul_lo_u32 v7, v1, s8
	s_add_u32 s2, s2, 8
	v_sub_u32_e32 v7, v5, v7
	s_addc_u32 s3, s3, 0
	s_add_i32 s6, s6, -1
	v_mad_u64_u32 v[22:23], s[8:9], v7, s11, v[22:23]
	s_cmp_lg_u32 s6, 0
	v_mov_b32_e32 v5, v1
	v_mad_u64_u32 v[20:21], s[8:9], v7, s10, v[20:21]
	v_mov_b32_e32 v1, v22
	s_cbranch_scc1 .LBB487_98
.LBB487_99:
	s_cbranch_execnz .LBB487_102
.LBB487_100:
	s_load_dwordx4 s[4:7], s[34:35], 0x4
	s_load_dwordx2 s[2:3], s[34:35], 0xc4
	s_cmp_lt_u32 s33, 2
	s_waitcnt lgkmcnt(0)
	v_mul_hi_u32 v1, s5, v3
	v_add_u32_e32 v1, v3, v1
	v_lshrrev_b32_e32 v1, s6, v1
	v_mul_lo_u32 v5, v1, s4
	v_sub_u32_e32 v3, v3, v5
	v_mul_lo_u32 v22, v3, s3
	v_mul_lo_u32 v20, v3, s2
	s_cbranch_scc1 .LBB487_102
; %bb.101:
	s_load_dwordx4 s[4:7], s[34:35], 0x10
	s_load_dwordx2 s[2:3], s[34:35], 0xcc
	s_waitcnt lgkmcnt(0)
	v_mul_hi_u32 v3, s5, v1
	v_add_u32_e32 v3, v1, v3
	v_lshrrev_b32_e32 v3, s6, v3
	v_mul_lo_u32 v3, v3, s4
	v_sub_u32_e32 v1, v1, v3
	v_mad_u64_u32 v[20:21], s[4:5], v1, s2, v[20:21]
	v_mad_u64_u32 v[22:23], s[2:3], v1, s3, v[22:23]
.LBB487_102:
	s_and_b64 vcc, exec, s[0:1]
	v_add_u32_e32 v3, 0x300, v24
	s_cbranch_vccnz .LBB487_108
; %bb.103:
	s_cmp_lg_u32 s33, 0
	s_mov_b32 s26, 0
	s_cbranch_scc0 .LBB487_109
; %bb.104:
	s_min_u32 s27, s54, 15
	s_add_i32 s27, s27, 1
	s_cmp_eq_u32 s54, 2
	s_cbranch_scc1 .LBB487_110
; %bb.105:
	s_and_b32 s26, s27, 28
	s_add_u32 s2, s34, 0xc4
	s_addc_u32 s3, s35, 0
	s_mov_b32 s28, 0
	v_mov_b32_e32 v24, 0
	v_mov_b32_e32 v26, 0
	s_mov_b64 s[24:25], s[34:35]
	v_mov_b32_e32 v5, v3
.LBB487_106:                            ; =>This Inner Loop Header: Depth=1
	s_load_dwordx8 s[12:19], s[24:25], 0x4
	s_load_dwordx4 s[20:23], s[24:25], 0x24
	s_load_dwordx8 s[4:11], s[2:3], 0x0
	s_add_u32 s24, s24, 48
	s_addc_u32 s25, s25, 0
	s_waitcnt lgkmcnt(0)
	v_mul_hi_u32 v1, s13, v5
	v_add_u32_e32 v1, v5, v1
	v_lshrrev_b32_e32 v1, s14, v1
	v_mul_lo_u32 v7, v1, s12
	v_mul_hi_u32 v9, s16, v1
	v_sub_u32_e32 v5, v5, v7
	v_add_u32_e32 v7, v1, v9
	v_lshrrev_b32_e32 v7, s17, v7
	v_mul_lo_u32 v11, v7, s15
	v_mul_hi_u32 v13, s19, v7
	v_sub_u32_e32 v1, v1, v11
	v_add_u32_e32 v11, v7, v13
	v_mul_lo_u32 v9, v5, s5
	v_mul_lo_u32 v5, v5, s4
	;; [unrolled: 1-line block ×4, first 2 shown]
	v_lshrrev_b32_e32 v11, s20, v11
	v_add3_u32 v1, v5, v24, v1
	v_add3_u32 v9, v9, v26, v13
	v_mul_lo_u32 v5, v11, s18
	v_mul_hi_u32 v13, s22, v11
	v_sub_u32_e32 v5, v7, v5
	v_add_u32_e32 v7, v11, v13
	v_mul_lo_u32 v13, v5, s8
	v_mul_lo_u32 v15, v5, s9
	v_lshrrev_b32_e32 v5, s23, v7
	s_add_i32 s28, s28, 4
	v_mul_lo_u32 v7, v5, s21
	s_add_u32 s2, s2, 32
	v_sub_u32_e32 v7, v11, v7
	s_addc_u32 s3, s3, 0
	v_mul_lo_u32 v11, v7, s10
	v_mul_lo_u32 v7, v7, s11
	s_cmp_lg_u32 s26, s28
	v_add3_u32 v26, v15, v9, v7
	v_add3_u32 v24, v13, v1, v11
	s_cbranch_scc1 .LBB487_106
; %bb.107:
	v_mov_b32_e32 v1, v26
	s_and_b32 s6, s27, 3
	s_cmp_eq_u32 s6, 0
	s_cbranch_scc0 .LBB487_111
	s_branch .LBB487_113
.LBB487_108:
                                        ; implicit-def: $vgpr26
                                        ; implicit-def: $vgpr24
	s_branch .LBB487_114
.LBB487_109:
	v_mov_b32_e32 v26, 0
	v_mov_b32_e32 v24, 0
	s_branch .LBB487_113
.LBB487_110:
	v_mov_b32_e32 v24, 0
                                        ; implicit-def: $vgpr26
	v_mov_b32_e32 v1, v24
	v_mov_b32_e32 v5, v3
	s_and_b32 s6, s27, 3
	s_cmp_eq_u32 s6, 0
	s_cbranch_scc1 .LBB487_113
.LBB487_111:
	s_lshl_b32 s2, s26, 3
	s_add_u32 s2, s34, s2
	s_addc_u32 s3, s35, 0
	s_add_u32 s2, s2, 0xc4
	s_addc_u32 s3, s3, 0
	s_mul_i32 s4, s26, 12
	s_add_u32 s4, s34, s4
	s_addc_u32 s5, s35, 0
.LBB487_112:                            ; =>This Inner Loop Header: Depth=1
	s_load_dwordx2 s[8:9], s[4:5], 0x4
	s_load_dword s7, s[4:5], 0xc
	s_load_dwordx2 s[10:11], s[2:3], 0x0
	v_mov_b32_e32 v26, v1
	s_add_u32 s4, s4, 12
	s_waitcnt lgkmcnt(0)
	v_mul_hi_u32 v1, s9, v5
	v_add_u32_e32 v1, v5, v1
	v_lshrrev_b32_e32 v1, s7, v1
	s_addc_u32 s5, s5, 0
	v_mul_lo_u32 v7, v1, s8
	s_add_u32 s2, s2, 8
	v_sub_u32_e32 v7, v5, v7
	s_addc_u32 s3, s3, 0
	s_add_i32 s6, s6, -1
	v_mad_u64_u32 v[26:27], s[8:9], v7, s11, v[26:27]
	s_cmp_lg_u32 s6, 0
	v_mov_b32_e32 v5, v1
	v_mad_u64_u32 v[24:25], s[8:9], v7, s10, v[24:25]
	v_mov_b32_e32 v1, v26
	s_cbranch_scc1 .LBB487_112
.LBB487_113:
	s_cbranch_execnz .LBB487_116
.LBB487_114:
	s_load_dwordx4 s[4:7], s[34:35], 0x4
	s_load_dwordx2 s[2:3], s[34:35], 0xc4
	s_cmp_lt_u32 s33, 2
	s_waitcnt lgkmcnt(0)
	v_mul_hi_u32 v1, s5, v3
	v_add_u32_e32 v1, v3, v1
	v_lshrrev_b32_e32 v1, s6, v1
	v_mul_lo_u32 v5, v1, s4
	v_sub_u32_e32 v3, v3, v5
	v_mul_lo_u32 v26, v3, s3
	v_mul_lo_u32 v24, v3, s2
	s_cbranch_scc1 .LBB487_116
; %bb.115:
	s_load_dwordx4 s[4:7], s[34:35], 0x10
	s_load_dwordx2 s[2:3], s[34:35], 0xcc
	s_waitcnt lgkmcnt(0)
	v_mul_hi_u32 v3, s5, v1
	v_add_u32_e32 v3, v1, v3
	v_lshrrev_b32_e32 v3, s6, v3
	v_mul_lo_u32 v3, v3, s4
	v_sub_u32_e32 v1, v1, v3
	v_mad_u64_u32 v[24:25], s[4:5], v1, s2, v[24:25]
	v_mad_u64_u32 v[26:27], s[2:3], v1, s3, v[26:27]
.LBB487_116:
	s_and_b64 vcc, exec, s[0:1]
	s_cbranch_vccnz .LBB487_122
; %bb.117:
	s_cmp_lg_u32 s33, 0
	s_mov_b32 s24, 0
	s_cbranch_scc0 .LBB487_123
; %bb.118:
	s_min_u32 s25, s54, 15
	s_add_i32 s25, s25, 1
	s_cmp_eq_u32 s54, 2
	s_cbranch_scc1 .LBB487_124
; %bb.119:
	s_and_b32 s24, s25, 28
	s_add_u32 s20, s34, 0xc4
	s_addc_u32 s21, s35, 0
	s_mov_b32 s26, 0
	v_mov_b32_e32 v28, 0
	v_mov_b32_e32 v30, 0
	s_mov_b64 s[22:23], s[34:35]
	v_mov_b32_e32 v3, v32
.LBB487_120:                            ; =>This Inner Loop Header: Depth=1
	s_load_dwordx8 s[8:15], s[22:23], 0x4
	s_load_dwordx4 s[16:19], s[22:23], 0x24
	s_load_dwordx8 s[0:7], s[20:21], 0x0
	s_add_u32 s22, s22, 48
	s_addc_u32 s23, s23, 0
	s_waitcnt lgkmcnt(0)
	v_mul_hi_u32 v1, s9, v3
	v_add_u32_e32 v1, v3, v1
	v_lshrrev_b32_e32 v1, s10, v1
	v_mul_lo_u32 v5, v1, s8
	v_mul_hi_u32 v7, s12, v1
	v_sub_u32_e32 v3, v3, v5
	v_add_u32_e32 v5, v1, v7
	v_lshrrev_b32_e32 v5, s13, v5
	v_mul_lo_u32 v9, v5, s11
	v_mul_hi_u32 v11, s15, v5
	v_sub_u32_e32 v1, v1, v9
	v_add_u32_e32 v9, v5, v11
	v_mul_lo_u32 v7, v3, s1
	v_mul_lo_u32 v3, v3, s0
	;; [unrolled: 1-line block ×4, first 2 shown]
	v_lshrrev_b32_e32 v9, s16, v9
	v_add3_u32 v1, v3, v28, v1
	v_add3_u32 v7, v7, v30, v11
	v_mul_lo_u32 v3, v9, s14
	v_mul_hi_u32 v11, s18, v9
	v_sub_u32_e32 v3, v5, v3
	v_add_u32_e32 v5, v9, v11
	v_mul_lo_u32 v11, v3, s4
	v_mul_lo_u32 v13, v3, s5
	v_lshrrev_b32_e32 v3, s19, v5
	s_add_i32 s26, s26, 4
	v_mul_lo_u32 v5, v3, s17
	s_add_u32 s20, s20, 32
	v_sub_u32_e32 v5, v9, v5
	s_addc_u32 s21, s21, 0
	v_mul_lo_u32 v9, v5, s6
	v_mul_lo_u32 v5, v5, s7
	s_cmp_lg_u32 s24, s26
	v_add3_u32 v30, v13, v7, v5
	v_add3_u32 v28, v11, v1, v9
	s_cbranch_scc1 .LBB487_120
; %bb.121:
	v_mov_b32_e32 v1, v30
	s_and_b32 s4, s25, 3
	s_cmp_eq_u32 s4, 0
	s_cbranch_scc0 .LBB487_125
	s_branch .LBB487_127
.LBB487_122:
                                        ; implicit-def: $vgpr30
                                        ; implicit-def: $vgpr28
	s_branch .LBB487_128
.LBB487_123:
	v_mov_b32_e32 v30, 0
	v_mov_b32_e32 v28, 0
	s_branch .LBB487_127
.LBB487_124:
	v_mov_b32_e32 v28, 0
                                        ; implicit-def: $vgpr30
	v_mov_b32_e32 v1, v28
	v_mov_b32_e32 v3, v32
	s_and_b32 s4, s25, 3
	s_cmp_eq_u32 s4, 0
	s_cbranch_scc1 .LBB487_127
.LBB487_125:
	s_lshl_b32 s0, s24, 3
	s_add_u32 s0, s34, s0
	s_addc_u32 s1, s35, 0
	s_add_u32 s0, s0, 0xc4
	s_addc_u32 s1, s1, 0
	s_mul_i32 s2, s24, 12
	s_add_u32 s2, s34, s2
	s_addc_u32 s3, s35, 0
.LBB487_126:                            ; =>This Inner Loop Header: Depth=1
	s_load_dwordx2 s[6:7], s[2:3], 0x4
	s_load_dword s5, s[2:3], 0xc
	s_load_dwordx2 s[8:9], s[0:1], 0x0
	v_mov_b32_e32 v30, v1
	s_add_u32 s2, s2, 12
	s_waitcnt lgkmcnt(0)
	v_mul_hi_u32 v1, s7, v3
	v_add_u32_e32 v1, v3, v1
	v_lshrrev_b32_e32 v1, s5, v1
	s_addc_u32 s3, s3, 0
	v_mul_lo_u32 v5, v1, s6
	s_add_u32 s0, s0, 8
	v_sub_u32_e32 v5, v3, v5
	s_addc_u32 s1, s1, 0
	s_add_i32 s4, s4, -1
	v_mad_u64_u32 v[30:31], s[6:7], v5, s9, v[30:31]
	s_cmp_lg_u32 s4, 0
	v_mov_b32_e32 v3, v1
	v_mad_u64_u32 v[28:29], s[6:7], v5, s8, v[28:29]
	v_mov_b32_e32 v1, v30
	s_cbranch_scc1 .LBB487_126
.LBB487_127:
	s_cbranch_execnz .LBB487_130
.LBB487_128:
	s_load_dwordx4 s[0:3], s[34:35], 0x4
	s_load_dwordx2 s[4:5], s[34:35], 0xc4
	s_cmp_lt_u32 s33, 2
	s_waitcnt lgkmcnt(0)
	v_mul_hi_u32 v1, s1, v32
	v_add_u32_e32 v1, v32, v1
	v_lshrrev_b32_e32 v1, s2, v1
	v_mul_lo_u32 v3, v1, s0
	v_sub_u32_e32 v3, v32, v3
	v_mul_lo_u32 v30, v3, s5
	v_mul_lo_u32 v28, v3, s4
	s_cbranch_scc1 .LBB487_130
; %bb.129:
	s_load_dwordx4 s[0:3], s[34:35], 0x10
	s_load_dwordx2 s[4:5], s[34:35], 0xcc
	s_waitcnt lgkmcnt(0)
	v_mul_hi_u32 v3, s1, v1
	v_add_u32_e32 v3, v1, v3
	v_lshrrev_b32_e32 v3, s2, v3
	v_mul_lo_u32 v3, v3, s0
	v_sub_u32_e32 v1, v1, v3
	v_mad_u64_u32 v[28:29], s[0:1], v1, s4, v[28:29]
	v_mad_u64_u32 v[30:31], s[0:1], v1, s5, v[30:31]
.LBB487_130:
	s_load_dwordx4 s[36:39], s[34:35], 0x148
	s_load_dword s0, s[34:35], 0x158
	s_waitcnt lgkmcnt(0)
	global_load_ushort v1, v2, s[38:39]
	global_load_ushort v3, v6, s[38:39]
	;; [unrolled: 1-line block ×8, first 2 shown]
	s_lshl_b32 s28, s0, 16
	v_mov_b32_e32 v2, s0
	s_waitcnt vmcnt(7)
	v_lshlrev_b32_e32 v6, 16, v1
	s_waitcnt vmcnt(6)
	v_lshlrev_b32_e32 v10, 16, v3
	v_cmp_u_f32_e32 vcc, v6, v6
	v_cmp_gt_f32_e64 s[12:13], s28, v6
	s_waitcnt vmcnt(5)
	v_lshlrev_b32_e32 v14, 16, v5
	v_cmp_u_f32_e64 s[0:1], v10, v10
	v_cmp_gt_f32_e64 s[14:15], s28, v10
	s_or_b64 vcc, vcc, s[12:13]
	s_waitcnt vmcnt(4)
	v_lshlrev_b32_e32 v17, 16, v7
	v_cmp_u_f32_e64 s[2:3], v14, v14
	v_cmp_gt_f32_e64 s[16:17], s28, v14
	v_cndmask_b32_e32 v1, v2, v1, vcc
	s_or_b64 vcc, s[0:1], s[14:15]
	s_waitcnt vmcnt(3)
	v_lshlrev_b32_e32 v18, 16, v9
	v_cmp_u_f32_e64 s[4:5], v17, v17
	v_cmp_gt_f32_e64 s[18:19], s28, v17
	v_cndmask_b32_e32 v3, v2, v3, vcc
	s_or_b64 vcc, s[2:3], s[16:17]
	;; [unrolled: 6-line block ×5, first 2 shown]
	v_cmp_u_f32_e64 s[26:27], v22, v22
	v_cmp_gt_f32_e64 s[28:29], s28, v22
	v_cndmask_b32_e32 v9, v2, v11, vcc
	s_or_b64 vcc, s[10:11], s[24:25]
	v_cndmask_b32_e32 v10, v2, v13, vcc
	s_or_b64 vcc, s[26:27], s[28:29]
	v_cndmask_b32_e32 v2, v2, v15, vcc
	global_store_short v0, v1, s[36:37]
	global_store_short v4, v3, s[36:37]
	;; [unrolled: 1-line block ×8, first 2 shown]
	s_endpgm
.LBB487_131:
	v_mov_b32_e32 v2, 0
	v_mov_b32_e32 v0, 0
	s_branch .LBB487_137
.LBB487_132:
	v_mov_b32_e32 v2, 0
	v_mov_b32_e32 v0, 0
	s_branch .LBB487_154
.LBB487_133:
	v_mov_b32_e32 v0, 0
	s_mov_b32 s59, 0
	v_mov_b32_e32 v1, v0
                                        ; implicit-def: $vgpr2
	v_mov_b32_e32 v4, v24
.LBB487_134:
	s_and_b32 s4, s60, 3
	s_cmp_eq_u32 s4, 0
	s_cbranch_scc1 .LBB487_137
; %bb.135:
	s_lshl_b32 s0, s59, 3
	s_add_u32 s0, s34, s0
	s_addc_u32 s1, s35, 0
	s_add_u32 s0, s0, 0xc4
	s_addc_u32 s1, s1, 0
	s_mul_i32 s2, s59, 12
	s_add_u32 s2, s34, s2
	s_addc_u32 s3, s35, 0
.LBB487_136:                            ; =>This Inner Loop Header: Depth=1
	s_load_dwordx2 s[6:7], s[2:3], 0x4
	s_load_dword s5, s[2:3], 0xc
	s_load_dwordx2 s[8:9], s[0:1], 0x0
	v_mov_b32_e32 v2, v1
	s_add_u32 s2, s2, 12
	s_waitcnt lgkmcnt(0)
	v_mul_hi_u32 v1, s7, v4
	v_add_u32_e32 v1, v4, v1
	v_lshrrev_b32_e32 v1, s5, v1
	s_addc_u32 s3, s3, 0
	v_mul_lo_u32 v3, v1, s6
	s_add_u32 s0, s0, 8
	v_sub_u32_e32 v5, v4, v3
	s_addc_u32 s1, s1, 0
	s_add_i32 s4, s4, -1
	v_mov_b32_e32 v4, v1
	v_mad_u64_u32 v[2:3], s[6:7], v5, s9, v[2:3]
	v_mad_u64_u32 v[0:1], s[6:7], v5, s8, v[0:1]
	s_cmp_lg_u32 s4, 0
	v_mov_b32_e32 v1, v2
	s_cbranch_scc1 .LBB487_136
.LBB487_137:
	s_cbranch_execnz .LBB487_140
.LBB487_138:
	v_mul_hi_u32 v0, s21, v24
	v_add_u32_e32 v0, v24, v0
	v_lshrrev_b32_e32 v1, s22, v0
	v_mul_lo_u32 v0, v1, s20
	v_sub_u32_e32 v0, v24, v0
	v_mul_lo_u32 v2, v0, s25
	s_andn2_b64 vcc, exec, s[42:43]
	v_mul_lo_u32 v0, v0, s24
	s_cbranch_vccnz .LBB487_140
; %bb.139:
	v_mul_hi_u32 v3, s40, v1
	v_add_u32_e32 v3, v1, v3
	v_lshrrev_b32_e32 v3, s41, v3
	v_mul_lo_u32 v3, v3, s23
	v_sub_u32_e32 v3, v1, v3
	v_mad_u64_u32 v[0:1], s[0:1], v3, s26, v[0:1]
	v_mad_u64_u32 v[2:3], s[0:1], v3, s27, v[2:3]
.LBB487_140:
	global_load_ushort v1, v2, s[18:19]
	v_mov_b32_e32 v2, s55
	v_add_u32_e32 v24, 0x80, v24
	s_waitcnt vmcnt(0)
	v_lshlrev_b32_e32 v3, 16, v1
	v_cmp_u_f32_e32 vcc, v3, v3
	v_cmp_gt_f32_e64 s[0:1], s56, v3
	s_or_b64 vcc, vcc, s[0:1]
	v_cndmask_b32_e32 v1, v2, v1, vcc
	global_store_short v0, v1, s[16:17]
	s_or_b64 exec, exec, s[48:49]
	v_cmp_gt_i32_e32 vcc, s57, v24
	s_and_saveexec_b64 s[48:49], vcc
	s_cbranch_execnz .LBB487_16
.LBB487_141:
	s_or_b64 exec, exec, s[48:49]
	v_cmp_gt_i32_e32 vcc, s57, v24
	s_and_saveexec_b64 s[48:49], vcc
	s_cbranch_execz .LBB487_158
.LBB487_142:
	s_andn2_b64 vcc, exec, s[36:37]
	s_cbranch_vccnz .LBB487_148
; %bb.143:
	s_andn2_b64 vcc, exec, s[46:47]
	s_cbranch_vccnz .LBB487_149
; %bb.144:
	s_add_i32 s60, s58, 1
	s_cmp_eq_u32 s54, 2
	s_cbranch_scc1 .LBB487_167
; %bb.145:
	s_and_b32 s59, s60, 28
	s_mov_b32 s61, 0
	v_mov_b32_e32 v0, 0
	v_mov_b32_e32 v2, 0
	s_mov_b64 s[50:51], s[34:35]
	s_mov_b64 s[52:53], s[44:45]
	v_mov_b32_e32 v4, v24
.LBB487_146:                            ; =>This Inner Loop Header: Depth=1
	s_load_dwordx8 s[8:15], s[50:51], 0x4
	s_load_dwordx4 s[28:31], s[50:51], 0x24
	s_load_dwordx8 s[0:7], s[52:53], 0x0
	s_add_u32 s50, s50, 48
	s_addc_u32 s51, s51, 0
	s_waitcnt lgkmcnt(0)
	v_mul_hi_u32 v1, s9, v4
	v_add_u32_e32 v1, v4, v1
	v_lshrrev_b32_e32 v1, s10, v1
	v_mul_lo_u32 v3, v1, s8
	v_mul_hi_u32 v5, s12, v1
	v_sub_u32_e32 v3, v4, v3
	v_add_u32_e32 v4, v1, v5
	v_lshrrev_b32_e32 v4, s13, v4
	v_mul_lo_u32 v6, v4, s11
	v_mul_hi_u32 v7, s15, v4
	v_sub_u32_e32 v1, v1, v6
	v_add_u32_e32 v6, v4, v7
	v_mul_lo_u32 v5, v3, s1
	v_mul_lo_u32 v3, v3, s0
	;; [unrolled: 1-line block ×4, first 2 shown]
	v_lshrrev_b32_e32 v6, s28, v6
	v_add3_u32 v0, v3, v0, v1
	v_mul_hi_u32 v3, s30, v6
	v_add3_u32 v1, v5, v2, v7
	v_mul_lo_u32 v2, v6, s14
	v_add_u32_e32 v3, v6, v3
	v_sub_u32_e32 v2, v4, v2
	v_lshrrev_b32_e32 v4, s31, v3
	s_add_i32 s61, s61, 4
	v_mul_lo_u32 v3, v4, s29
	s_add_u32 s52, s52, 32
	v_sub_u32_e32 v3, v6, v3
	s_addc_u32 s53, s53, 0
	v_mul_lo_u32 v5, v2, s4
	v_mul_lo_u32 v2, v2, s5
	;; [unrolled: 1-line block ×4, first 2 shown]
	s_cmp_eq_u32 s59, s61
	v_add3_u32 v2, v2, v1, v3
	v_add3_u32 v0, v5, v0, v6
	s_cbranch_scc0 .LBB487_146
; %bb.147:
	v_mov_b32_e32 v1, v2
	s_branch .LBB487_168
.LBB487_148:
                                        ; implicit-def: $vgpr2
                                        ; implicit-def: $vgpr0
	s_branch .LBB487_172
.LBB487_149:
	v_mov_b32_e32 v2, 0
	v_mov_b32_e32 v0, 0
	s_branch .LBB487_171
.LBB487_150:
	v_mov_b32_e32 v0, 0
	s_mov_b32 s59, 0
	v_mov_b32_e32 v1, v0
                                        ; implicit-def: $vgpr2
	v_mov_b32_e32 v4, v24
.LBB487_151:
	s_and_b32 s4, s60, 3
	s_cmp_eq_u32 s4, 0
	s_cbranch_scc1 .LBB487_154
; %bb.152:
	s_lshl_b32 s0, s59, 3
	s_add_u32 s0, s34, s0
	s_addc_u32 s1, s35, 0
	s_add_u32 s0, s0, 0xc4
	s_addc_u32 s1, s1, 0
	s_mul_i32 s2, s59, 12
	s_add_u32 s2, s34, s2
	s_addc_u32 s3, s35, 0
.LBB487_153:                            ; =>This Inner Loop Header: Depth=1
	s_load_dwordx2 s[6:7], s[2:3], 0x4
	s_load_dword s5, s[2:3], 0xc
	s_load_dwordx2 s[8:9], s[0:1], 0x0
	v_mov_b32_e32 v2, v1
	s_add_u32 s2, s2, 12
	s_waitcnt lgkmcnt(0)
	v_mul_hi_u32 v1, s7, v4
	v_add_u32_e32 v1, v4, v1
	v_lshrrev_b32_e32 v1, s5, v1
	s_addc_u32 s3, s3, 0
	v_mul_lo_u32 v3, v1, s6
	s_add_u32 s0, s0, 8
	v_sub_u32_e32 v5, v4, v3
	s_addc_u32 s1, s1, 0
	s_add_i32 s4, s4, -1
	v_mov_b32_e32 v4, v1
	v_mad_u64_u32 v[2:3], s[6:7], v5, s9, v[2:3]
	v_mad_u64_u32 v[0:1], s[6:7], v5, s8, v[0:1]
	s_cmp_lg_u32 s4, 0
	v_mov_b32_e32 v1, v2
	s_cbranch_scc1 .LBB487_153
.LBB487_154:
	s_cbranch_execnz .LBB487_157
.LBB487_155:
	v_mul_hi_u32 v0, s21, v24
	v_add_u32_e32 v0, v24, v0
	v_lshrrev_b32_e32 v1, s22, v0
	v_mul_lo_u32 v0, v1, s20
	v_sub_u32_e32 v0, v24, v0
	v_mul_lo_u32 v2, v0, s25
	s_andn2_b64 vcc, exec, s[42:43]
	v_mul_lo_u32 v0, v0, s24
	s_cbranch_vccnz .LBB487_157
; %bb.156:
	v_mul_hi_u32 v3, s40, v1
	v_add_u32_e32 v3, v1, v3
	v_lshrrev_b32_e32 v3, s41, v3
	v_mul_lo_u32 v3, v3, s23
	v_sub_u32_e32 v3, v1, v3
	v_mad_u64_u32 v[0:1], s[0:1], v3, s26, v[0:1]
	v_mad_u64_u32 v[2:3], s[0:1], v3, s27, v[2:3]
.LBB487_157:
	global_load_ushort v1, v2, s[18:19]
	v_mov_b32_e32 v2, s55
	v_add_u32_e32 v24, 0x80, v24
	s_waitcnt vmcnt(0)
	v_lshlrev_b32_e32 v3, 16, v1
	v_cmp_u_f32_e32 vcc, v3, v3
	v_cmp_gt_f32_e64 s[0:1], s56, v3
	s_or_b64 vcc, vcc, s[0:1]
	v_cndmask_b32_e32 v1, v2, v1, vcc
	global_store_short v0, v1, s[16:17]
	s_or_b64 exec, exec, s[48:49]
	v_cmp_gt_i32_e32 vcc, s57, v24
	s_and_saveexec_b64 s[48:49], vcc
	s_cbranch_execnz .LBB487_142
.LBB487_158:
	s_or_b64 exec, exec, s[48:49]
	v_cmp_gt_i32_e32 vcc, s57, v24
	s_and_saveexec_b64 s[48:49], vcc
	s_cbranch_execz .LBB487_175
.LBB487_159:
	s_andn2_b64 vcc, exec, s[36:37]
	s_cbranch_vccnz .LBB487_165
; %bb.160:
	s_andn2_b64 vcc, exec, s[46:47]
	s_cbranch_vccnz .LBB487_166
; %bb.161:
	s_add_i32 s60, s58, 1
	s_cmp_eq_u32 s54, 2
	s_cbranch_scc1 .LBB487_184
; %bb.162:
	s_and_b32 s59, s60, 28
	s_mov_b32 s61, 0
	v_mov_b32_e32 v0, 0
	v_mov_b32_e32 v2, 0
	s_mov_b64 s[50:51], s[34:35]
	s_mov_b64 s[52:53], s[44:45]
	v_mov_b32_e32 v4, v24
.LBB487_163:                            ; =>This Inner Loop Header: Depth=1
	s_load_dwordx8 s[8:15], s[50:51], 0x4
	s_load_dwordx4 s[28:31], s[50:51], 0x24
	s_load_dwordx8 s[0:7], s[52:53], 0x0
	s_add_u32 s50, s50, 48
	s_addc_u32 s51, s51, 0
	s_waitcnt lgkmcnt(0)
	v_mul_hi_u32 v1, s9, v4
	v_add_u32_e32 v1, v4, v1
	v_lshrrev_b32_e32 v1, s10, v1
	v_mul_lo_u32 v3, v1, s8
	v_mul_hi_u32 v5, s12, v1
	v_sub_u32_e32 v3, v4, v3
	v_add_u32_e32 v4, v1, v5
	v_lshrrev_b32_e32 v4, s13, v4
	v_mul_lo_u32 v6, v4, s11
	v_mul_hi_u32 v7, s15, v4
	v_sub_u32_e32 v1, v1, v6
	v_add_u32_e32 v6, v4, v7
	v_mul_lo_u32 v5, v3, s1
	v_mul_lo_u32 v3, v3, s0
	;; [unrolled: 1-line block ×4, first 2 shown]
	v_lshrrev_b32_e32 v6, s28, v6
	v_add3_u32 v0, v3, v0, v1
	v_mul_hi_u32 v3, s30, v6
	v_add3_u32 v1, v5, v2, v7
	v_mul_lo_u32 v2, v6, s14
	v_add_u32_e32 v3, v6, v3
	v_sub_u32_e32 v2, v4, v2
	v_lshrrev_b32_e32 v4, s31, v3
	s_add_i32 s61, s61, 4
	v_mul_lo_u32 v3, v4, s29
	s_add_u32 s52, s52, 32
	v_sub_u32_e32 v3, v6, v3
	s_addc_u32 s53, s53, 0
	v_mul_lo_u32 v5, v2, s4
	v_mul_lo_u32 v2, v2, s5
	;; [unrolled: 1-line block ×4, first 2 shown]
	s_cmp_eq_u32 s59, s61
	v_add3_u32 v2, v2, v1, v3
	v_add3_u32 v0, v5, v0, v6
	s_cbranch_scc0 .LBB487_163
; %bb.164:
	v_mov_b32_e32 v1, v2
	s_branch .LBB487_185
.LBB487_165:
                                        ; implicit-def: $vgpr2
                                        ; implicit-def: $vgpr0
	s_branch .LBB487_189
.LBB487_166:
	v_mov_b32_e32 v2, 0
	v_mov_b32_e32 v0, 0
	s_branch .LBB487_188
.LBB487_167:
	v_mov_b32_e32 v0, 0
	s_mov_b32 s59, 0
	v_mov_b32_e32 v1, v0
                                        ; implicit-def: $vgpr2
	v_mov_b32_e32 v4, v24
.LBB487_168:
	s_and_b32 s4, s60, 3
	s_cmp_eq_u32 s4, 0
	s_cbranch_scc1 .LBB487_171
; %bb.169:
	s_lshl_b32 s0, s59, 3
	s_add_u32 s0, s34, s0
	s_addc_u32 s1, s35, 0
	s_add_u32 s0, s0, 0xc4
	s_addc_u32 s1, s1, 0
	s_mul_i32 s2, s59, 12
	s_add_u32 s2, s34, s2
	s_addc_u32 s3, s35, 0
.LBB487_170:                            ; =>This Inner Loop Header: Depth=1
	s_load_dwordx2 s[6:7], s[2:3], 0x4
	s_load_dword s5, s[2:3], 0xc
	s_load_dwordx2 s[8:9], s[0:1], 0x0
	v_mov_b32_e32 v2, v1
	s_add_u32 s2, s2, 12
	s_waitcnt lgkmcnt(0)
	v_mul_hi_u32 v1, s7, v4
	v_add_u32_e32 v1, v4, v1
	v_lshrrev_b32_e32 v1, s5, v1
	s_addc_u32 s3, s3, 0
	v_mul_lo_u32 v3, v1, s6
	s_add_u32 s0, s0, 8
	v_sub_u32_e32 v5, v4, v3
	s_addc_u32 s1, s1, 0
	s_add_i32 s4, s4, -1
	v_mov_b32_e32 v4, v1
	v_mad_u64_u32 v[2:3], s[6:7], v5, s9, v[2:3]
	v_mad_u64_u32 v[0:1], s[6:7], v5, s8, v[0:1]
	s_cmp_lg_u32 s4, 0
	v_mov_b32_e32 v1, v2
	s_cbranch_scc1 .LBB487_170
.LBB487_171:
	s_cbranch_execnz .LBB487_174
.LBB487_172:
	v_mul_hi_u32 v0, s21, v24
	v_add_u32_e32 v0, v24, v0
	v_lshrrev_b32_e32 v1, s22, v0
	v_mul_lo_u32 v0, v1, s20
	v_sub_u32_e32 v0, v24, v0
	v_mul_lo_u32 v2, v0, s25
	s_andn2_b64 vcc, exec, s[42:43]
	v_mul_lo_u32 v0, v0, s24
	s_cbranch_vccnz .LBB487_174
; %bb.173:
	v_mul_hi_u32 v3, s40, v1
	v_add_u32_e32 v3, v1, v3
	v_lshrrev_b32_e32 v3, s41, v3
	v_mul_lo_u32 v3, v3, s23
	v_sub_u32_e32 v3, v1, v3
	v_mad_u64_u32 v[0:1], s[0:1], v3, s26, v[0:1]
	v_mad_u64_u32 v[2:3], s[0:1], v3, s27, v[2:3]
.LBB487_174:
	global_load_ushort v1, v2, s[18:19]
	v_mov_b32_e32 v2, s55
	v_add_u32_e32 v24, 0x80, v24
	s_waitcnt vmcnt(0)
	v_lshlrev_b32_e32 v3, 16, v1
	v_cmp_u_f32_e32 vcc, v3, v3
	v_cmp_gt_f32_e64 s[0:1], s56, v3
	s_or_b64 vcc, vcc, s[0:1]
	v_cndmask_b32_e32 v1, v2, v1, vcc
	global_store_short v0, v1, s[16:17]
	s_or_b64 exec, exec, s[48:49]
	v_cmp_gt_i32_e32 vcc, s57, v24
	s_and_saveexec_b64 s[48:49], vcc
	s_cbranch_execnz .LBB487_159
.LBB487_175:
	s_or_b64 exec, exec, s[48:49]
	v_cmp_gt_i32_e32 vcc, s57, v24
	s_and_saveexec_b64 s[48:49], vcc
	s_cbranch_execz .LBB487_192
.LBB487_176:
	s_andn2_b64 vcc, exec, s[36:37]
	s_cbranch_vccnz .LBB487_182
; %bb.177:
	s_andn2_b64 vcc, exec, s[46:47]
	s_cbranch_vccnz .LBB487_183
; %bb.178:
	s_add_i32 s60, s58, 1
	s_cmp_eq_u32 s54, 2
	s_cbranch_scc1 .LBB487_201
; %bb.179:
	s_and_b32 s59, s60, 28
	s_mov_b32 s61, 0
	v_mov_b32_e32 v0, 0
	v_mov_b32_e32 v2, 0
	s_mov_b64 s[50:51], s[34:35]
	s_mov_b64 s[52:53], s[44:45]
	v_mov_b32_e32 v4, v24
.LBB487_180:                            ; =>This Inner Loop Header: Depth=1
	s_load_dwordx8 s[8:15], s[50:51], 0x4
	s_load_dwordx4 s[28:31], s[50:51], 0x24
	s_load_dwordx8 s[0:7], s[52:53], 0x0
	s_add_u32 s50, s50, 48
	s_addc_u32 s51, s51, 0
	s_waitcnt lgkmcnt(0)
	v_mul_hi_u32 v1, s9, v4
	v_add_u32_e32 v1, v4, v1
	v_lshrrev_b32_e32 v1, s10, v1
	v_mul_lo_u32 v3, v1, s8
	v_mul_hi_u32 v5, s12, v1
	v_sub_u32_e32 v3, v4, v3
	v_add_u32_e32 v4, v1, v5
	v_lshrrev_b32_e32 v4, s13, v4
	v_mul_lo_u32 v6, v4, s11
	v_mul_hi_u32 v7, s15, v4
	v_sub_u32_e32 v1, v1, v6
	v_add_u32_e32 v6, v4, v7
	v_mul_lo_u32 v5, v3, s1
	v_mul_lo_u32 v3, v3, s0
	;; [unrolled: 1-line block ×4, first 2 shown]
	v_lshrrev_b32_e32 v6, s28, v6
	v_add3_u32 v0, v3, v0, v1
	v_mul_hi_u32 v3, s30, v6
	v_add3_u32 v1, v5, v2, v7
	v_mul_lo_u32 v2, v6, s14
	v_add_u32_e32 v3, v6, v3
	v_sub_u32_e32 v2, v4, v2
	v_lshrrev_b32_e32 v4, s31, v3
	s_add_i32 s61, s61, 4
	v_mul_lo_u32 v3, v4, s29
	s_add_u32 s52, s52, 32
	v_sub_u32_e32 v3, v6, v3
	s_addc_u32 s53, s53, 0
	v_mul_lo_u32 v5, v2, s4
	v_mul_lo_u32 v2, v2, s5
	;; [unrolled: 1-line block ×4, first 2 shown]
	s_cmp_eq_u32 s59, s61
	v_add3_u32 v2, v2, v1, v3
	v_add3_u32 v0, v5, v0, v6
	s_cbranch_scc0 .LBB487_180
; %bb.181:
	v_mov_b32_e32 v1, v2
	s_branch .LBB487_202
.LBB487_182:
                                        ; implicit-def: $vgpr2
                                        ; implicit-def: $vgpr0
	s_branch .LBB487_206
.LBB487_183:
	v_mov_b32_e32 v2, 0
	v_mov_b32_e32 v0, 0
	s_branch .LBB487_205
.LBB487_184:
	v_mov_b32_e32 v0, 0
	s_mov_b32 s59, 0
	v_mov_b32_e32 v1, v0
                                        ; implicit-def: $vgpr2
	v_mov_b32_e32 v4, v24
.LBB487_185:
	s_and_b32 s4, s60, 3
	s_cmp_eq_u32 s4, 0
	s_cbranch_scc1 .LBB487_188
; %bb.186:
	s_lshl_b32 s0, s59, 3
	s_add_u32 s0, s34, s0
	s_addc_u32 s1, s35, 0
	s_add_u32 s0, s0, 0xc4
	s_addc_u32 s1, s1, 0
	s_mul_i32 s2, s59, 12
	s_add_u32 s2, s34, s2
	s_addc_u32 s3, s35, 0
.LBB487_187:                            ; =>This Inner Loop Header: Depth=1
	s_load_dwordx2 s[6:7], s[2:3], 0x4
	s_load_dword s5, s[2:3], 0xc
	s_load_dwordx2 s[8:9], s[0:1], 0x0
	v_mov_b32_e32 v2, v1
	s_add_u32 s2, s2, 12
	s_waitcnt lgkmcnt(0)
	v_mul_hi_u32 v1, s7, v4
	v_add_u32_e32 v1, v4, v1
	v_lshrrev_b32_e32 v1, s5, v1
	s_addc_u32 s3, s3, 0
	v_mul_lo_u32 v3, v1, s6
	s_add_u32 s0, s0, 8
	v_sub_u32_e32 v5, v4, v3
	s_addc_u32 s1, s1, 0
	s_add_i32 s4, s4, -1
	v_mov_b32_e32 v4, v1
	v_mad_u64_u32 v[2:3], s[6:7], v5, s9, v[2:3]
	v_mad_u64_u32 v[0:1], s[6:7], v5, s8, v[0:1]
	s_cmp_lg_u32 s4, 0
	v_mov_b32_e32 v1, v2
	s_cbranch_scc1 .LBB487_187
.LBB487_188:
	s_cbranch_execnz .LBB487_191
.LBB487_189:
	v_mul_hi_u32 v0, s21, v24
	v_add_u32_e32 v0, v24, v0
	v_lshrrev_b32_e32 v1, s22, v0
	v_mul_lo_u32 v0, v1, s20
	v_sub_u32_e32 v0, v24, v0
	v_mul_lo_u32 v2, v0, s25
	s_andn2_b64 vcc, exec, s[42:43]
	v_mul_lo_u32 v0, v0, s24
	s_cbranch_vccnz .LBB487_191
; %bb.190:
	v_mul_hi_u32 v3, s40, v1
	v_add_u32_e32 v3, v1, v3
	v_lshrrev_b32_e32 v3, s41, v3
	v_mul_lo_u32 v3, v3, s23
	v_sub_u32_e32 v3, v1, v3
	v_mad_u64_u32 v[0:1], s[0:1], v3, s26, v[0:1]
	v_mad_u64_u32 v[2:3], s[0:1], v3, s27, v[2:3]
.LBB487_191:
	global_load_ushort v1, v2, s[18:19]
	v_mov_b32_e32 v2, s55
	v_add_u32_e32 v24, 0x80, v24
	s_waitcnt vmcnt(0)
	v_lshlrev_b32_e32 v3, 16, v1
	v_cmp_u_f32_e32 vcc, v3, v3
	v_cmp_gt_f32_e64 s[0:1], s56, v3
	s_or_b64 vcc, vcc, s[0:1]
	v_cndmask_b32_e32 v1, v2, v1, vcc
	global_store_short v0, v1, s[16:17]
	s_or_b64 exec, exec, s[48:49]
	v_cmp_gt_i32_e32 vcc, s57, v24
	s_and_saveexec_b64 s[48:49], vcc
	s_cbranch_execnz .LBB487_176
.LBB487_192:
	s_or_b64 exec, exec, s[48:49]
	v_cmp_gt_i32_e32 vcc, s57, v24
	s_and_saveexec_b64 s[48:49], vcc
	s_cbranch_execz .LBB487_209
.LBB487_193:
	s_andn2_b64 vcc, exec, s[36:37]
	s_cbranch_vccnz .LBB487_199
; %bb.194:
	s_andn2_b64 vcc, exec, s[46:47]
	s_cbranch_vccnz .LBB487_200
; %bb.195:
	s_add_i32 s60, s58, 1
	s_cmp_eq_u32 s54, 2
	s_cbranch_scc1 .LBB487_218
; %bb.196:
	s_and_b32 s59, s60, 28
	s_mov_b32 s61, 0
	v_mov_b32_e32 v0, 0
	v_mov_b32_e32 v2, 0
	s_mov_b64 s[50:51], s[34:35]
	s_mov_b64 s[52:53], s[44:45]
	v_mov_b32_e32 v4, v24
.LBB487_197:                            ; =>This Inner Loop Header: Depth=1
	s_load_dwordx8 s[8:15], s[50:51], 0x4
	s_load_dwordx4 s[28:31], s[50:51], 0x24
	s_load_dwordx8 s[0:7], s[52:53], 0x0
	s_add_u32 s50, s50, 48
	s_addc_u32 s51, s51, 0
	s_waitcnt lgkmcnt(0)
	v_mul_hi_u32 v1, s9, v4
	v_add_u32_e32 v1, v4, v1
	v_lshrrev_b32_e32 v1, s10, v1
	v_mul_lo_u32 v3, v1, s8
	v_mul_hi_u32 v5, s12, v1
	v_sub_u32_e32 v3, v4, v3
	v_add_u32_e32 v4, v1, v5
	v_lshrrev_b32_e32 v4, s13, v4
	v_mul_lo_u32 v6, v4, s11
	v_mul_hi_u32 v7, s15, v4
	v_sub_u32_e32 v1, v1, v6
	v_add_u32_e32 v6, v4, v7
	v_mul_lo_u32 v5, v3, s1
	v_mul_lo_u32 v3, v3, s0
	v_mul_lo_u32 v7, v1, s3
	v_mul_lo_u32 v1, v1, s2
	v_lshrrev_b32_e32 v6, s28, v6
	v_add3_u32 v0, v3, v0, v1
	v_mul_hi_u32 v3, s30, v6
	v_add3_u32 v1, v5, v2, v7
	v_mul_lo_u32 v2, v6, s14
	v_add_u32_e32 v3, v6, v3
	v_sub_u32_e32 v2, v4, v2
	v_lshrrev_b32_e32 v4, s31, v3
	s_add_i32 s61, s61, 4
	v_mul_lo_u32 v3, v4, s29
	s_add_u32 s52, s52, 32
	v_sub_u32_e32 v3, v6, v3
	s_addc_u32 s53, s53, 0
	v_mul_lo_u32 v5, v2, s4
	v_mul_lo_u32 v2, v2, s5
	v_mul_lo_u32 v6, v3, s6
	v_mul_lo_u32 v3, v3, s7
	s_cmp_eq_u32 s59, s61
	v_add3_u32 v2, v2, v1, v3
	v_add3_u32 v0, v5, v0, v6
	s_cbranch_scc0 .LBB487_197
; %bb.198:
	v_mov_b32_e32 v1, v2
	s_branch .LBB487_219
.LBB487_199:
                                        ; implicit-def: $vgpr2
                                        ; implicit-def: $vgpr0
	s_branch .LBB487_223
.LBB487_200:
	v_mov_b32_e32 v2, 0
	v_mov_b32_e32 v0, 0
	s_branch .LBB487_222
.LBB487_201:
	v_mov_b32_e32 v0, 0
	s_mov_b32 s59, 0
	v_mov_b32_e32 v1, v0
                                        ; implicit-def: $vgpr2
	v_mov_b32_e32 v4, v24
.LBB487_202:
	s_and_b32 s4, s60, 3
	s_cmp_eq_u32 s4, 0
	s_cbranch_scc1 .LBB487_205
; %bb.203:
	s_lshl_b32 s0, s59, 3
	s_add_u32 s0, s34, s0
	s_addc_u32 s1, s35, 0
	s_add_u32 s0, s0, 0xc4
	s_addc_u32 s1, s1, 0
	s_mul_i32 s2, s59, 12
	s_add_u32 s2, s34, s2
	s_addc_u32 s3, s35, 0
.LBB487_204:                            ; =>This Inner Loop Header: Depth=1
	s_load_dwordx2 s[6:7], s[2:3], 0x4
	s_load_dword s5, s[2:3], 0xc
	s_load_dwordx2 s[8:9], s[0:1], 0x0
	v_mov_b32_e32 v2, v1
	s_add_u32 s2, s2, 12
	s_waitcnt lgkmcnt(0)
	v_mul_hi_u32 v1, s7, v4
	v_add_u32_e32 v1, v4, v1
	v_lshrrev_b32_e32 v1, s5, v1
	s_addc_u32 s3, s3, 0
	v_mul_lo_u32 v3, v1, s6
	s_add_u32 s0, s0, 8
	v_sub_u32_e32 v5, v4, v3
	s_addc_u32 s1, s1, 0
	s_add_i32 s4, s4, -1
	v_mov_b32_e32 v4, v1
	v_mad_u64_u32 v[2:3], s[6:7], v5, s9, v[2:3]
	v_mad_u64_u32 v[0:1], s[6:7], v5, s8, v[0:1]
	s_cmp_lg_u32 s4, 0
	v_mov_b32_e32 v1, v2
	s_cbranch_scc1 .LBB487_204
.LBB487_205:
	s_cbranch_execnz .LBB487_208
.LBB487_206:
	v_mul_hi_u32 v0, s21, v24
	v_add_u32_e32 v0, v24, v0
	v_lshrrev_b32_e32 v1, s22, v0
	v_mul_lo_u32 v0, v1, s20
	v_sub_u32_e32 v0, v24, v0
	v_mul_lo_u32 v2, v0, s25
	s_andn2_b64 vcc, exec, s[42:43]
	v_mul_lo_u32 v0, v0, s24
	s_cbranch_vccnz .LBB487_208
; %bb.207:
	v_mul_hi_u32 v3, s40, v1
	v_add_u32_e32 v3, v1, v3
	v_lshrrev_b32_e32 v3, s41, v3
	v_mul_lo_u32 v3, v3, s23
	v_sub_u32_e32 v3, v1, v3
	v_mad_u64_u32 v[0:1], s[0:1], v3, s26, v[0:1]
	v_mad_u64_u32 v[2:3], s[0:1], v3, s27, v[2:3]
.LBB487_208:
	global_load_ushort v1, v2, s[18:19]
	v_mov_b32_e32 v2, s55
	v_add_u32_e32 v24, 0x80, v24
	s_waitcnt vmcnt(0)
	v_lshlrev_b32_e32 v3, 16, v1
	v_cmp_u_f32_e32 vcc, v3, v3
	v_cmp_gt_f32_e64 s[0:1], s56, v3
	s_or_b64 vcc, vcc, s[0:1]
	v_cndmask_b32_e32 v1, v2, v1, vcc
	global_store_short v0, v1, s[16:17]
	s_or_b64 exec, exec, s[48:49]
	v_cmp_gt_i32_e32 vcc, s57, v24
	s_and_saveexec_b64 s[48:49], vcc
	s_cbranch_execnz .LBB487_193
.LBB487_209:
	s_or_b64 exec, exec, s[48:49]
	v_cmp_gt_i32_e32 vcc, s57, v24
	s_and_saveexec_b64 s[48:49], vcc
	s_cbranch_execz .LBB487_226
.LBB487_210:
	s_andn2_b64 vcc, exec, s[36:37]
	s_cbranch_vccnz .LBB487_216
; %bb.211:
	s_andn2_b64 vcc, exec, s[46:47]
	s_cbranch_vccnz .LBB487_217
; %bb.212:
	s_add_i32 s60, s58, 1
	s_cmp_eq_u32 s54, 2
	s_cbranch_scc1 .LBB487_229
; %bb.213:
	s_and_b32 s59, s60, 28
	s_mov_b32 s61, 0
	v_mov_b32_e32 v0, 0
	v_mov_b32_e32 v2, 0
	s_mov_b64 s[50:51], s[34:35]
	s_mov_b64 s[52:53], s[44:45]
	v_mov_b32_e32 v4, v24
.LBB487_214:                            ; =>This Inner Loop Header: Depth=1
	s_load_dwordx8 s[8:15], s[50:51], 0x4
	s_load_dwordx4 s[28:31], s[50:51], 0x24
	s_load_dwordx8 s[0:7], s[52:53], 0x0
	s_add_u32 s50, s50, 48
	s_addc_u32 s51, s51, 0
	s_waitcnt lgkmcnt(0)
	v_mul_hi_u32 v1, s9, v4
	v_add_u32_e32 v1, v4, v1
	v_lshrrev_b32_e32 v1, s10, v1
	v_mul_lo_u32 v3, v1, s8
	v_mul_hi_u32 v5, s12, v1
	v_sub_u32_e32 v3, v4, v3
	v_add_u32_e32 v4, v1, v5
	v_lshrrev_b32_e32 v4, s13, v4
	v_mul_lo_u32 v6, v4, s11
	v_mul_hi_u32 v7, s15, v4
	v_sub_u32_e32 v1, v1, v6
	v_add_u32_e32 v6, v4, v7
	v_mul_lo_u32 v5, v3, s1
	v_mul_lo_u32 v3, v3, s0
	;; [unrolled: 1-line block ×4, first 2 shown]
	v_lshrrev_b32_e32 v6, s28, v6
	v_add3_u32 v0, v3, v0, v1
	v_mul_hi_u32 v3, s30, v6
	v_add3_u32 v1, v5, v2, v7
	v_mul_lo_u32 v2, v6, s14
	v_add_u32_e32 v3, v6, v3
	v_sub_u32_e32 v2, v4, v2
	v_lshrrev_b32_e32 v4, s31, v3
	s_add_i32 s61, s61, 4
	v_mul_lo_u32 v3, v4, s29
	s_add_u32 s52, s52, 32
	v_sub_u32_e32 v3, v6, v3
	s_addc_u32 s53, s53, 0
	v_mul_lo_u32 v5, v2, s4
	v_mul_lo_u32 v2, v2, s5
	;; [unrolled: 1-line block ×4, first 2 shown]
	s_cmp_eq_u32 s59, s61
	v_add3_u32 v2, v2, v1, v3
	v_add3_u32 v0, v5, v0, v6
	s_cbranch_scc0 .LBB487_214
; %bb.215:
	v_mov_b32_e32 v1, v2
	s_branch .LBB487_230
.LBB487_216:
                                        ; implicit-def: $vgpr2
                                        ; implicit-def: $vgpr0
	s_branch .LBB487_234
.LBB487_217:
	v_mov_b32_e32 v2, 0
	v_mov_b32_e32 v0, 0
	s_branch .LBB487_233
.LBB487_218:
	v_mov_b32_e32 v0, 0
	s_mov_b32 s59, 0
	v_mov_b32_e32 v1, v0
                                        ; implicit-def: $vgpr2
	v_mov_b32_e32 v4, v24
.LBB487_219:
	s_and_b32 s4, s60, 3
	s_cmp_eq_u32 s4, 0
	s_cbranch_scc1 .LBB487_222
; %bb.220:
	s_lshl_b32 s0, s59, 3
	s_add_u32 s0, s34, s0
	s_addc_u32 s1, s35, 0
	s_add_u32 s0, s0, 0xc4
	s_addc_u32 s1, s1, 0
	s_mul_i32 s2, s59, 12
	s_add_u32 s2, s34, s2
	s_addc_u32 s3, s35, 0
.LBB487_221:                            ; =>This Inner Loop Header: Depth=1
	s_load_dwordx2 s[6:7], s[2:3], 0x4
	s_load_dword s5, s[2:3], 0xc
	s_load_dwordx2 s[8:9], s[0:1], 0x0
	v_mov_b32_e32 v2, v1
	s_add_u32 s2, s2, 12
	s_waitcnt lgkmcnt(0)
	v_mul_hi_u32 v1, s7, v4
	v_add_u32_e32 v1, v4, v1
	v_lshrrev_b32_e32 v1, s5, v1
	s_addc_u32 s3, s3, 0
	v_mul_lo_u32 v3, v1, s6
	s_add_u32 s0, s0, 8
	v_sub_u32_e32 v5, v4, v3
	s_addc_u32 s1, s1, 0
	s_add_i32 s4, s4, -1
	v_mov_b32_e32 v4, v1
	v_mad_u64_u32 v[2:3], s[6:7], v5, s9, v[2:3]
	v_mad_u64_u32 v[0:1], s[6:7], v5, s8, v[0:1]
	s_cmp_lg_u32 s4, 0
	v_mov_b32_e32 v1, v2
	s_cbranch_scc1 .LBB487_221
.LBB487_222:
	s_cbranch_execnz .LBB487_225
.LBB487_223:
	v_mul_hi_u32 v0, s21, v24
	v_add_u32_e32 v0, v24, v0
	v_lshrrev_b32_e32 v1, s22, v0
	v_mul_lo_u32 v0, v1, s20
	v_sub_u32_e32 v0, v24, v0
	v_mul_lo_u32 v2, v0, s25
	s_andn2_b64 vcc, exec, s[42:43]
	v_mul_lo_u32 v0, v0, s24
	s_cbranch_vccnz .LBB487_225
; %bb.224:
	v_mul_hi_u32 v3, s40, v1
	v_add_u32_e32 v3, v1, v3
	v_lshrrev_b32_e32 v3, s41, v3
	v_mul_lo_u32 v3, v3, s23
	v_sub_u32_e32 v3, v1, v3
	v_mad_u64_u32 v[0:1], s[0:1], v3, s26, v[0:1]
	v_mad_u64_u32 v[2:3], s[0:1], v3, s27, v[2:3]
.LBB487_225:
	global_load_ushort v1, v2, s[18:19]
	v_mov_b32_e32 v2, s55
	v_add_u32_e32 v24, 0x80, v24
	s_waitcnt vmcnt(0)
	v_lshlrev_b32_e32 v3, 16, v1
	v_cmp_u_f32_e32 vcc, v3, v3
	v_cmp_gt_f32_e64 s[0:1], s56, v3
	s_or_b64 vcc, vcc, s[0:1]
	v_cndmask_b32_e32 v1, v2, v1, vcc
	global_store_short v0, v1, s[16:17]
	s_or_b64 exec, exec, s[48:49]
	v_cmp_gt_i32_e32 vcc, s57, v24
	s_and_saveexec_b64 s[48:49], vcc
	s_cbranch_execnz .LBB487_210
.LBB487_226:
	s_or_b64 exec, exec, s[48:49]
	v_cmp_gt_i32_e32 vcc, s57, v24
	s_and_saveexec_b64 s[48:49], vcc
	s_cbranch_execnz .LBB487_237
.LBB487_227:
	s_or_b64 exec, exec, s[48:49]
                                        ; implicit-def: $vgpr32
                                        ; implicit-def: $vgpr24
	s_andn2_saveexec_b64 s[0:1], s[38:39]
	s_cbranch_execnz .LBB487_9
.LBB487_228:
	s_endpgm
.LBB487_229:
	v_mov_b32_e32 v0, 0
	s_mov_b32 s59, 0
	v_mov_b32_e32 v1, v0
                                        ; implicit-def: $vgpr2
	v_mov_b32_e32 v4, v24
.LBB487_230:
	s_and_b32 s4, s60, 3
	s_cmp_eq_u32 s4, 0
	s_cbranch_scc1 .LBB487_233
; %bb.231:
	s_lshl_b32 s0, s59, 3
	s_add_u32 s0, s34, s0
	s_addc_u32 s1, s35, 0
	s_add_u32 s0, s0, 0xc4
	s_addc_u32 s1, s1, 0
	s_mul_i32 s2, s59, 12
	s_add_u32 s2, s34, s2
	s_addc_u32 s3, s35, 0
.LBB487_232:                            ; =>This Inner Loop Header: Depth=1
	s_load_dwordx2 s[6:7], s[2:3], 0x4
	s_load_dword s5, s[2:3], 0xc
	s_load_dwordx2 s[8:9], s[0:1], 0x0
	v_mov_b32_e32 v2, v1
	s_add_u32 s2, s2, 12
	s_waitcnt lgkmcnt(0)
	v_mul_hi_u32 v1, s7, v4
	v_add_u32_e32 v1, v4, v1
	v_lshrrev_b32_e32 v1, s5, v1
	s_addc_u32 s3, s3, 0
	v_mul_lo_u32 v3, v1, s6
	s_add_u32 s0, s0, 8
	v_sub_u32_e32 v5, v4, v3
	s_addc_u32 s1, s1, 0
	s_add_i32 s4, s4, -1
	v_mov_b32_e32 v4, v1
	v_mad_u64_u32 v[2:3], s[6:7], v5, s9, v[2:3]
	v_mad_u64_u32 v[0:1], s[6:7], v5, s8, v[0:1]
	s_cmp_lg_u32 s4, 0
	v_mov_b32_e32 v1, v2
	s_cbranch_scc1 .LBB487_232
.LBB487_233:
	s_cbranch_execnz .LBB487_236
.LBB487_234:
	v_mul_hi_u32 v0, s21, v24
	v_add_u32_e32 v0, v24, v0
	v_lshrrev_b32_e32 v1, s22, v0
	v_mul_lo_u32 v0, v1, s20
	v_sub_u32_e32 v0, v24, v0
	v_mul_lo_u32 v2, v0, s25
	s_andn2_b64 vcc, exec, s[42:43]
	v_mul_lo_u32 v0, v0, s24
	s_cbranch_vccnz .LBB487_236
; %bb.235:
	v_mul_hi_u32 v3, s40, v1
	v_add_u32_e32 v3, v1, v3
	v_lshrrev_b32_e32 v3, s41, v3
	v_mul_lo_u32 v3, v3, s23
	v_sub_u32_e32 v3, v1, v3
	v_mad_u64_u32 v[0:1], s[0:1], v3, s26, v[0:1]
	v_mad_u64_u32 v[2:3], s[0:1], v3, s27, v[2:3]
.LBB487_236:
	global_load_ushort v1, v2, s[18:19]
	v_mov_b32_e32 v2, s55
	v_add_u32_e32 v24, 0x80, v24
	s_waitcnt vmcnt(0)
	v_lshlrev_b32_e32 v3, 16, v1
	v_cmp_u_f32_e32 vcc, v3, v3
	v_cmp_gt_f32_e64 s[0:1], s56, v3
	s_or_b64 vcc, vcc, s[0:1]
	v_cndmask_b32_e32 v1, v2, v1, vcc
	global_store_short v0, v1, s[16:17]
	s_or_b64 exec, exec, s[48:49]
	v_cmp_gt_i32_e32 vcc, s57, v24
	s_and_saveexec_b64 s[48:49], vcc
	s_cbranch_execz .LBB487_227
.LBB487_237:
	s_andn2_b64 vcc, exec, s[36:37]
	s_cbranch_vccnz .LBB487_243
; %bb.238:
	s_andn2_b64 vcc, exec, s[46:47]
	s_cbranch_vccnz .LBB487_244
; %bb.239:
	s_add_i32 s58, s58, 1
	s_cmp_eq_u32 s54, 2
	s_cbranch_scc1 .LBB487_245
; %bb.240:
	s_and_b32 s50, s58, 28
	s_mov_b32 s51, 0
	v_mov_b32_e32 v0, 0
	v_mov_b32_e32 v2, 0
	s_mov_b64 s[46:47], s[34:35]
	v_mov_b32_e32 v4, v24
.LBB487_241:                            ; =>This Inner Loop Header: Depth=1
	s_load_dwordx8 s[8:15], s[46:47], 0x4
	s_load_dwordx4 s[28:31], s[46:47], 0x24
	s_load_dwordx8 s[0:7], s[44:45], 0x0
	s_add_u32 s46, s46, 48
	s_addc_u32 s47, s47, 0
	s_waitcnt lgkmcnt(0)
	v_mul_hi_u32 v1, s9, v4
	v_add_u32_e32 v1, v4, v1
	v_lshrrev_b32_e32 v1, s10, v1
	v_mul_lo_u32 v3, v1, s8
	v_mul_hi_u32 v5, s12, v1
	v_sub_u32_e32 v3, v4, v3
	v_add_u32_e32 v4, v1, v5
	v_lshrrev_b32_e32 v4, s13, v4
	v_mul_lo_u32 v6, v4, s11
	v_mul_hi_u32 v7, s15, v4
	v_sub_u32_e32 v1, v1, v6
	v_add_u32_e32 v6, v4, v7
	v_mul_lo_u32 v5, v3, s1
	v_mul_lo_u32 v3, v3, s0
	;; [unrolled: 1-line block ×4, first 2 shown]
	v_lshrrev_b32_e32 v6, s28, v6
	v_add3_u32 v0, v3, v0, v1
	v_mul_hi_u32 v3, s30, v6
	v_add3_u32 v1, v5, v2, v7
	v_mul_lo_u32 v2, v6, s14
	v_add_u32_e32 v3, v6, v3
	v_sub_u32_e32 v2, v4, v2
	v_lshrrev_b32_e32 v4, s31, v3
	s_add_i32 s51, s51, 4
	v_mul_lo_u32 v3, v4, s29
	s_add_u32 s44, s44, 32
	v_sub_u32_e32 v3, v6, v3
	s_addc_u32 s45, s45, 0
	v_mul_lo_u32 v5, v2, s4
	v_mul_lo_u32 v2, v2, s5
	;; [unrolled: 1-line block ×4, first 2 shown]
	s_cmp_eq_u32 s50, s51
	v_add3_u32 v2, v2, v1, v3
	v_add3_u32 v0, v5, v0, v6
	s_cbranch_scc0 .LBB487_241
; %bb.242:
	v_mov_b32_e32 v1, v2
	s_branch .LBB487_246
.LBB487_243:
                                        ; implicit-def: $vgpr2
                                        ; implicit-def: $vgpr0
	s_branch .LBB487_250
.LBB487_244:
	v_mov_b32_e32 v2, 0
	v_mov_b32_e32 v0, 0
	s_branch .LBB487_249
.LBB487_245:
	v_mov_b32_e32 v0, 0
	s_mov_b32 s50, 0
	v_mov_b32_e32 v1, v0
                                        ; implicit-def: $vgpr2
	v_mov_b32_e32 v4, v24
.LBB487_246:
	s_and_b32 s4, s58, 3
	s_cmp_eq_u32 s4, 0
	s_cbranch_scc1 .LBB487_249
; %bb.247:
	s_lshl_b32 s0, s50, 3
	s_add_u32 s0, s34, s0
	s_addc_u32 s1, s35, 0
	s_add_u32 s0, s0, 0xc4
	s_addc_u32 s1, s1, 0
	s_mul_i32 s2, s50, 12
	s_add_u32 s2, s34, s2
	s_addc_u32 s3, s35, 0
.LBB487_248:                            ; =>This Inner Loop Header: Depth=1
	s_load_dwordx2 s[6:7], s[2:3], 0x4
	s_load_dword s5, s[2:3], 0xc
	s_load_dwordx2 s[8:9], s[0:1], 0x0
	v_mov_b32_e32 v2, v1
	s_add_u32 s2, s2, 12
	s_waitcnt lgkmcnt(0)
	v_mul_hi_u32 v1, s7, v4
	v_add_u32_e32 v1, v4, v1
	v_lshrrev_b32_e32 v1, s5, v1
	s_addc_u32 s3, s3, 0
	v_mul_lo_u32 v3, v1, s6
	s_add_u32 s0, s0, 8
	v_sub_u32_e32 v5, v4, v3
	s_addc_u32 s1, s1, 0
	s_add_i32 s4, s4, -1
	v_mov_b32_e32 v4, v1
	v_mad_u64_u32 v[2:3], s[6:7], v5, s9, v[2:3]
	v_mad_u64_u32 v[0:1], s[6:7], v5, s8, v[0:1]
	s_cmp_lg_u32 s4, 0
	v_mov_b32_e32 v1, v2
	s_cbranch_scc1 .LBB487_248
.LBB487_249:
	s_cbranch_execnz .LBB487_252
.LBB487_250:
	v_mul_hi_u32 v0, s21, v24
	v_add_u32_e32 v0, v24, v0
	v_lshrrev_b32_e32 v1, s22, v0
	v_mul_lo_u32 v0, v1, s20
	v_sub_u32_e32 v0, v24, v0
	v_mul_lo_u32 v2, v0, s25
	s_andn2_b64 vcc, exec, s[42:43]
	v_mul_lo_u32 v0, v0, s24
	s_cbranch_vccnz .LBB487_252
; %bb.251:
	v_mul_hi_u32 v3, s40, v1
	v_add_u32_e32 v3, v1, v3
	v_lshrrev_b32_e32 v3, s41, v3
	v_mul_lo_u32 v3, v3, s23
	v_sub_u32_e32 v3, v1, v3
	v_mad_u64_u32 v[0:1], s[0:1], v3, s26, v[0:1]
	v_mad_u64_u32 v[2:3], s[0:1], v3, s27, v[2:3]
.LBB487_252:
	global_load_ushort v1, v2, s[18:19]
	v_mov_b32_e32 v2, s55
	s_waitcnt vmcnt(0)
	v_lshlrev_b32_e32 v3, 16, v1
	v_cmp_u_f32_e32 vcc, v3, v3
	v_cmp_gt_f32_e64 s[0:1], s56, v3
	s_or_b64 vcc, vcc, s[0:1]
	v_cndmask_b32_e32 v1, v2, v1, vcc
	global_store_short v0, v1, s[16:17]
	s_or_b64 exec, exec, s[48:49]
                                        ; implicit-def: $vgpr32
                                        ; implicit-def: $vgpr24
	s_andn2_saveexec_b64 s[0:1], s[38:39]
	s_cbranch_execz .LBB487_228
	s_branch .LBB487_9
	.section	.rodata,"a",@progbits
	.p2align	6, 0x0
	.amdhsa_kernel _ZN2at6native32elementwise_kernel_manual_unrollILi128ELi8EZNS0_22gpu_kernel_impl_nocastIZZZNS0_21clamp_max_kernel_cudaERNS_18TensorIteratorBaseERKN3c106ScalarEENKUlvE_clEvENKUlvE7_clEvEUlNS5_8BFloat16EE_EEvS4_RKT_EUlibE_EEviT1_
		.amdhsa_group_segment_fixed_size 0
		.amdhsa_private_segment_fixed_size 0
		.amdhsa_kernarg_size 360
		.amdhsa_user_sgpr_count 2
		.amdhsa_user_sgpr_dispatch_ptr 0
		.amdhsa_user_sgpr_queue_ptr 0
		.amdhsa_user_sgpr_kernarg_segment_ptr 1
		.amdhsa_user_sgpr_dispatch_id 0
		.amdhsa_user_sgpr_kernarg_preload_length 0
		.amdhsa_user_sgpr_kernarg_preload_offset 0
		.amdhsa_user_sgpr_private_segment_size 0
		.amdhsa_uses_dynamic_stack 0
		.amdhsa_enable_private_segment 0
		.amdhsa_system_sgpr_workgroup_id_x 1
		.amdhsa_system_sgpr_workgroup_id_y 0
		.amdhsa_system_sgpr_workgroup_id_z 0
		.amdhsa_system_sgpr_workgroup_info 0
		.amdhsa_system_vgpr_workitem_id 0
		.amdhsa_next_free_vgpr 33
		.amdhsa_next_free_sgpr 62
		.amdhsa_accum_offset 36
		.amdhsa_reserve_vcc 1
		.amdhsa_float_round_mode_32 0
		.amdhsa_float_round_mode_16_64 0
		.amdhsa_float_denorm_mode_32 3
		.amdhsa_float_denorm_mode_16_64 3
		.amdhsa_dx10_clamp 1
		.amdhsa_ieee_mode 1
		.amdhsa_fp16_overflow 0
		.amdhsa_tg_split 0
		.amdhsa_exception_fp_ieee_invalid_op 0
		.amdhsa_exception_fp_denorm_src 0
		.amdhsa_exception_fp_ieee_div_zero 0
		.amdhsa_exception_fp_ieee_overflow 0
		.amdhsa_exception_fp_ieee_underflow 0
		.amdhsa_exception_fp_ieee_inexact 0
		.amdhsa_exception_int_div_zero 0
	.end_amdhsa_kernel
	.section	.text._ZN2at6native32elementwise_kernel_manual_unrollILi128ELi8EZNS0_22gpu_kernel_impl_nocastIZZZNS0_21clamp_max_kernel_cudaERNS_18TensorIteratorBaseERKN3c106ScalarEENKUlvE_clEvENKUlvE7_clEvEUlNS5_8BFloat16EE_EEvS4_RKT_EUlibE_EEviT1_,"axG",@progbits,_ZN2at6native32elementwise_kernel_manual_unrollILi128ELi8EZNS0_22gpu_kernel_impl_nocastIZZZNS0_21clamp_max_kernel_cudaERNS_18TensorIteratorBaseERKN3c106ScalarEENKUlvE_clEvENKUlvE7_clEvEUlNS5_8BFloat16EE_EEvS4_RKT_EUlibE_EEviT1_,comdat
.Lfunc_end487:
	.size	_ZN2at6native32elementwise_kernel_manual_unrollILi128ELi8EZNS0_22gpu_kernel_impl_nocastIZZZNS0_21clamp_max_kernel_cudaERNS_18TensorIteratorBaseERKN3c106ScalarEENKUlvE_clEvENKUlvE7_clEvEUlNS5_8BFloat16EE_EEvS4_RKT_EUlibE_EEviT1_, .Lfunc_end487-_ZN2at6native32elementwise_kernel_manual_unrollILi128ELi8EZNS0_22gpu_kernel_impl_nocastIZZZNS0_21clamp_max_kernel_cudaERNS_18TensorIteratorBaseERKN3c106ScalarEENKUlvE_clEvENKUlvE7_clEvEUlNS5_8BFloat16EE_EEvS4_RKT_EUlibE_EEviT1_
                                        ; -- End function
	.set _ZN2at6native32elementwise_kernel_manual_unrollILi128ELi8EZNS0_22gpu_kernel_impl_nocastIZZZNS0_21clamp_max_kernel_cudaERNS_18TensorIteratorBaseERKN3c106ScalarEENKUlvE_clEvENKUlvE7_clEvEUlNS5_8BFloat16EE_EEvS4_RKT_EUlibE_EEviT1_.num_vgpr, 33
	.set _ZN2at6native32elementwise_kernel_manual_unrollILi128ELi8EZNS0_22gpu_kernel_impl_nocastIZZZNS0_21clamp_max_kernel_cudaERNS_18TensorIteratorBaseERKN3c106ScalarEENKUlvE_clEvENKUlvE7_clEvEUlNS5_8BFloat16EE_EEvS4_RKT_EUlibE_EEviT1_.num_agpr, 0
	.set _ZN2at6native32elementwise_kernel_manual_unrollILi128ELi8EZNS0_22gpu_kernel_impl_nocastIZZZNS0_21clamp_max_kernel_cudaERNS_18TensorIteratorBaseERKN3c106ScalarEENKUlvE_clEvENKUlvE7_clEvEUlNS5_8BFloat16EE_EEvS4_RKT_EUlibE_EEviT1_.numbered_sgpr, 62
	.set _ZN2at6native32elementwise_kernel_manual_unrollILi128ELi8EZNS0_22gpu_kernel_impl_nocastIZZZNS0_21clamp_max_kernel_cudaERNS_18TensorIteratorBaseERKN3c106ScalarEENKUlvE_clEvENKUlvE7_clEvEUlNS5_8BFloat16EE_EEvS4_RKT_EUlibE_EEviT1_.num_named_barrier, 0
	.set _ZN2at6native32elementwise_kernel_manual_unrollILi128ELi8EZNS0_22gpu_kernel_impl_nocastIZZZNS0_21clamp_max_kernel_cudaERNS_18TensorIteratorBaseERKN3c106ScalarEENKUlvE_clEvENKUlvE7_clEvEUlNS5_8BFloat16EE_EEvS4_RKT_EUlibE_EEviT1_.private_seg_size, 0
	.set _ZN2at6native32elementwise_kernel_manual_unrollILi128ELi8EZNS0_22gpu_kernel_impl_nocastIZZZNS0_21clamp_max_kernel_cudaERNS_18TensorIteratorBaseERKN3c106ScalarEENKUlvE_clEvENKUlvE7_clEvEUlNS5_8BFloat16EE_EEvS4_RKT_EUlibE_EEviT1_.uses_vcc, 1
	.set _ZN2at6native32elementwise_kernel_manual_unrollILi128ELi8EZNS0_22gpu_kernel_impl_nocastIZZZNS0_21clamp_max_kernel_cudaERNS_18TensorIteratorBaseERKN3c106ScalarEENKUlvE_clEvENKUlvE7_clEvEUlNS5_8BFloat16EE_EEvS4_RKT_EUlibE_EEviT1_.uses_flat_scratch, 0
	.set _ZN2at6native32elementwise_kernel_manual_unrollILi128ELi8EZNS0_22gpu_kernel_impl_nocastIZZZNS0_21clamp_max_kernel_cudaERNS_18TensorIteratorBaseERKN3c106ScalarEENKUlvE_clEvENKUlvE7_clEvEUlNS5_8BFloat16EE_EEvS4_RKT_EUlibE_EEviT1_.has_dyn_sized_stack, 0
	.set _ZN2at6native32elementwise_kernel_manual_unrollILi128ELi8EZNS0_22gpu_kernel_impl_nocastIZZZNS0_21clamp_max_kernel_cudaERNS_18TensorIteratorBaseERKN3c106ScalarEENKUlvE_clEvENKUlvE7_clEvEUlNS5_8BFloat16EE_EEvS4_RKT_EUlibE_EEviT1_.has_recursion, 0
	.set _ZN2at6native32elementwise_kernel_manual_unrollILi128ELi8EZNS0_22gpu_kernel_impl_nocastIZZZNS0_21clamp_max_kernel_cudaERNS_18TensorIteratorBaseERKN3c106ScalarEENKUlvE_clEvENKUlvE7_clEvEUlNS5_8BFloat16EE_EEvS4_RKT_EUlibE_EEviT1_.has_indirect_call, 0
	.section	.AMDGPU.csdata,"",@progbits
; Kernel info:
; codeLenInByte = 11772
; TotalNumSgprs: 68
; NumVgprs: 33
; NumAgprs: 0
; TotalNumVgprs: 33
; ScratchSize: 0
; MemoryBound: 0
; FloatMode: 240
; IeeeMode: 1
; LDSByteSize: 0 bytes/workgroup (compile time only)
; SGPRBlocks: 8
; VGPRBlocks: 4
; NumSGPRsForWavesPerEU: 68
; NumVGPRsForWavesPerEU: 33
; AccumOffset: 36
; Occupancy: 8
; WaveLimiterHint : 1
; COMPUTE_PGM_RSRC2:SCRATCH_EN: 0
; COMPUTE_PGM_RSRC2:USER_SGPR: 2
; COMPUTE_PGM_RSRC2:TRAP_HANDLER: 0
; COMPUTE_PGM_RSRC2:TGID_X_EN: 1
; COMPUTE_PGM_RSRC2:TGID_Y_EN: 0
; COMPUTE_PGM_RSRC2:TGID_Z_EN: 0
; COMPUTE_PGM_RSRC2:TIDIG_COMP_CNT: 0
; COMPUTE_PGM_RSRC3_GFX90A:ACCUM_OFFSET: 8
; COMPUTE_PGM_RSRC3_GFX90A:TG_SPLIT: 0
	.section	.text._ZN2at6native32elementwise_kernel_manual_unrollILi128ELi4EZNS0_15gpu_kernel_implIZZZNS0_21clamp_max_kernel_cudaERNS_18TensorIteratorBaseERKN3c106ScalarEENKUlvE_clEvENKUlvE7_clEvEUlNS5_8BFloat16EE_EEvS4_RKT_EUlibE_EEviT1_,"axG",@progbits,_ZN2at6native32elementwise_kernel_manual_unrollILi128ELi4EZNS0_15gpu_kernel_implIZZZNS0_21clamp_max_kernel_cudaERNS_18TensorIteratorBaseERKN3c106ScalarEENKUlvE_clEvENKUlvE7_clEvEUlNS5_8BFloat16EE_EEvS4_RKT_EUlibE_EEviT1_,comdat
	.globl	_ZN2at6native32elementwise_kernel_manual_unrollILi128ELi4EZNS0_15gpu_kernel_implIZZZNS0_21clamp_max_kernel_cudaERNS_18TensorIteratorBaseERKN3c106ScalarEENKUlvE_clEvENKUlvE7_clEvEUlNS5_8BFloat16EE_EEvS4_RKT_EUlibE_EEviT1_ ; -- Begin function _ZN2at6native32elementwise_kernel_manual_unrollILi128ELi4EZNS0_15gpu_kernel_implIZZZNS0_21clamp_max_kernel_cudaERNS_18TensorIteratorBaseERKN3c106ScalarEENKUlvE_clEvENKUlvE7_clEvEUlNS5_8BFloat16EE_EEvS4_RKT_EUlibE_EEviT1_
	.p2align	8
	.type	_ZN2at6native32elementwise_kernel_manual_unrollILi128ELi4EZNS0_15gpu_kernel_implIZZZNS0_21clamp_max_kernel_cudaERNS_18TensorIteratorBaseERKN3c106ScalarEENKUlvE_clEvENKUlvE7_clEvEUlNS5_8BFloat16EE_EEvS4_RKT_EUlibE_EEviT1_,@function
_ZN2at6native32elementwise_kernel_manual_unrollILi128ELi4EZNS0_15gpu_kernel_implIZZZNS0_21clamp_max_kernel_cudaERNS_18TensorIteratorBaseERKN3c106ScalarEENKUlvE_clEvENKUlvE7_clEvEUlNS5_8BFloat16EE_EEvS4_RKT_EUlibE_EEviT1_: ; @_ZN2at6native32elementwise_kernel_manual_unrollILi128ELi4EZNS0_15gpu_kernel_implIZZZNS0_21clamp_max_kernel_cudaERNS_18TensorIteratorBaseERKN3c106ScalarEENKUlvE_clEvENKUlvE7_clEvEUlNS5_8BFloat16EE_EEvS4_RKT_EUlibE_EEviT1_
; %bb.0:
	s_load_dword s3, s[0:1], 0x20
	s_load_dwordx2 s[8:9], s[0:1], 0x18
	s_load_dword s38, s[0:1], 0x0
	s_load_dwordx4 s[4:7], s[0:1], 0x8
	v_lshl_or_b32 v4, s2, 9, v0
	v_or_b32_e32 v0, 0x180, v4
	s_waitcnt lgkmcnt(0)
	s_and_b32 s33, s3, 0xffff
	s_lshr_b32 s42, s3, 16
	s_lshr_b32 s43, s3, 24
	v_cmp_le_i32_e32 vcc, s38, v0
	s_mov_b64 s[2:3], 0
	s_mov_b64 s[12:13], 0
	s_and_saveexec_b64 s[0:1], vcc
	s_xor_b64 s[10:11], exec, s[0:1]
	s_cbranch_execz .LBB488_1029
; %bb.1:
	s_lshl_b32 s44, s33, 16
	v_cmp_gt_i32_e32 vcc, s38, v4
	s_mov_b64 s[18:19], -1
	s_mov_b64 s[20:21], 0
	s_mov_b64 s[14:15], 0
	s_and_saveexec_b64 s[16:17], vcc
	s_cbranch_execz .LBB488_252
; %bb.2:
	v_mul_lo_u32 v0, v4, s9
	v_ashrrev_i32_e32 v1, 31, v0
	s_and_b32 s22, 0xffff, s43
	s_cmp_lt_i32 s22, 11
	v_lshl_add_u64 v[0:1], s[6:7], 0, v[0:1]
	s_cbranch_scc1 .LBB488_9
; %bb.3:
	s_cmp_gt_i32 s22, 25
	s_cbranch_scc0 .LBB488_18
; %bb.4:
	s_cmp_gt_i32 s22, 28
	s_cbranch_scc0 .LBB488_22
	;; [unrolled: 3-line block ×4, first 2 shown]
; %bb.7:
	s_cmp_eq_u32 s22, 46
	s_cbranch_scc0 .LBB488_28
; %bb.8:
	global_load_dword v2, v[0:1], off
	s_mov_b64 s[0:1], -1
	s_branch .LBB488_30
.LBB488_9:
                                        ; implicit-def: $vgpr2
	s_mov_b64 s[0:1], 0
	s_cbranch_execnz .LBB488_203
.LBB488_10:
	s_andn2_b64 vcc, exec, s[0:1]
	s_cbranch_vccnz .LBB488_250
.LBB488_11:
	s_waitcnt vmcnt(0)
	v_lshlrev_b32_e32 v0, 16, v2
	v_cmp_u_f32_e32 vcc, v0, v0
	v_cmp_gt_f32_e64 s[0:1], s44, v0
	v_mov_b32_e32 v0, s33
	s_or_b64 vcc, vcc, s[0:1]
	v_cndmask_b32_e32 v2, v0, v2, vcc
	v_mul_lo_u32 v0, v4, s8
	v_ashrrev_i32_e32 v1, 31, v0
	s_and_b32 s24, s42, 0xff
	s_cmp_lt_i32 s24, 11
	v_lshl_add_u64 v[0:1], s[4:5], 0, v[0:1]
	s_cbranch_scc1 .LBB488_19
; %bb.12:
	s_and_b32 s25, 0xffff, s24
	s_cmp_gt_i32 s25, 25
	s_cbranch_scc0 .LBB488_23
; %bb.13:
	s_cmp_gt_i32 s25, 28
	s_cbranch_scc0 .LBB488_25
; %bb.14:
	;; [unrolled: 3-line block ×4, first 2 shown]
	s_mov_b64 s[18:19], 0
	s_mov_b64 s[0:1], -1
	s_cmp_eq_u32 s25, 46
	s_mov_b64 s[12:13], 0
	s_cbranch_scc0 .LBB488_34
; %bb.17:
	v_and_b32_e32 v3, 0xffff, v2
	global_store_dword v[0:1], v3, off
	s_mov_b64 s[12:13], -1
	s_mov_b64 s[0:1], 0
	s_branch .LBB488_34
.LBB488_18:
	s_mov_b64 s[0:1], 0
                                        ; implicit-def: $vgpr2
	s_cbranch_execnz .LBB488_168
	s_branch .LBB488_202
.LBB488_19:
	s_mov_b64 s[0:1], 0
	s_mov_b64 s[12:13], 0
	s_cbranch_execnz .LBB488_103
.LBB488_20:
	s_andn2_b64 vcc, exec, s[12:13]
	s_cbranch_vccnz .LBB488_141
.LBB488_21:
	v_add_u32_e32 v4, 0x80, v4
	s_mov_b64 s[18:19], -1
	s_branch .LBB488_251
.LBB488_22:
	s_mov_b64 s[12:13], -1
	s_mov_b64 s[0:1], 0
                                        ; implicit-def: $vgpr2
	s_branch .LBB488_149
.LBB488_23:
	s_mov_b64 s[18:19], -1
	s_mov_b64 s[0:1], 0
	s_mov_b64 s[12:13], 0
	s_branch .LBB488_61
.LBB488_24:
	s_mov_b64 s[12:13], -1
	s_mov_b64 s[0:1], 0
                                        ; implicit-def: $vgpr2
	s_branch .LBB488_144
.LBB488_25:
	s_mov_b64 s[18:19], -1
	s_mov_b64 s[0:1], 0
	s_mov_b64 s[12:13], 0
	s_branch .LBB488_44
.LBB488_26:
	s_mov_b64 s[12:13], -1
	s_branch .LBB488_29
.LBB488_27:
	s_mov_b64 s[18:19], -1
	s_mov_b64 s[0:1], 0
	s_mov_b64 s[12:13], 0
	s_branch .LBB488_40
.LBB488_28:
	s_mov_b64 s[14:15], -1
.LBB488_29:
	s_mov_b64 s[0:1], 0
                                        ; implicit-def: $vgpr2
.LBB488_30:
	s_and_b64 vcc, exec, s[12:13]
	s_cbranch_vccz .LBB488_143
; %bb.31:
	s_cmp_eq_u32 s22, 44
	s_cbranch_scc0 .LBB488_142
; %bb.32:
	global_load_ubyte v2, v[0:1], off
	s_movk_i32 s12, 0xff
	v_mov_b32_e32 v3, 0x7f800001
	v_mov_b32_e32 v5, 0x400000
	;; [unrolled: 1-line block ×3, first 2 shown]
	s_mov_b64 s[0:1], -1
	s_mov_b64 s[14:15], 0
	s_waitcnt vmcnt(0)
	v_lshlrev_b32_e32 v7, 23, v2
	v_cmp_ne_u32_e32 vcc, s12, v2
	s_nop 1
	v_cndmask_b32_e32 v3, v3, v7, vcc
	v_cmp_ne_u32_e32 vcc, 0, v2
	s_nop 1
	v_cndmask_b32_e32 v2, v5, v3, vcc
	v_add_u32_e32 v3, 0x7fff, v2
	v_cmp_o_f32_e32 vcc, v2, v2
	s_nop 1
	v_cndmask_b32_sdwa v2, v6, v3, vcc dst_sel:DWORD dst_unused:UNUSED_PAD src0_sel:DWORD src1_sel:WORD_1
	s_branch .LBB488_143
.LBB488_33:
	s_mov_b64 s[18:19], -1
	s_mov_b64 s[0:1], 0
	s_mov_b64 s[12:13], 0
.LBB488_34:
	s_and_b64 vcc, exec, s[18:19]
	s_cbranch_vccz .LBB488_39
; %bb.35:
	s_cmp_eq_u32 s25, 44
	s_mov_b64 s[0:1], -1
	s_cbranch_scc0 .LBB488_39
; %bb.36:
	v_and_b32_e32 v5, 0xffff, v2
	v_bfe_u32 v3, v5, 7, 8
	s_movk_i32 s0, 0xff
	v_cmp_ne_u32_e32 vcc, s0, v3
	v_mov_b32_e32 v6, 0xff
	s_and_saveexec_b64 s[12:13], vcc
	s_cbranch_execz .LBB488_38
; %bb.37:
	v_lshlrev_b32_e32 v7, 16, v5
	s_mov_b32 s0, 0x3f0000
	v_lshrrev_b32_e32 v6, 7, v5
	v_and_b32_e32 v5, 64, v5
	v_and_or_b32 v3, v7, s0, v3
	v_cmp_ne_u32_e32 vcc, 0, v5
	v_cmp_ne_u32_e64 s[0:1], 0, v3
	s_and_b64 s[0:1], vcc, s[0:1]
	s_nop 0
	v_cndmask_b32_e64 v3, 0, 1, s[0:1]
	v_add_u32_e32 v6, v6, v3
.LBB488_38:
	s_or_b64 exec, exec, s[12:13]
	s_mov_b64 s[12:13], -1
	s_mov_b64 s[0:1], 0
	global_store_byte v[0:1], v6, off
.LBB488_39:
	s_mov_b64 s[18:19], 0
.LBB488_40:
	s_and_b64 vcc, exec, s[18:19]
	s_cbranch_vccz .LBB488_43
; %bb.41:
	s_cmp_eq_u32 s25, 29
	s_mov_b64 s[0:1], -1
	s_cbranch_scc0 .LBB488_43
; %bb.42:
	v_lshlrev_b32_e32 v3, 16, v2
	v_trunc_f32_e32 v3, v3
	v_mul_f32_e32 v5, 0x2f800000, v3
	v_floor_f32_e32 v5, v5
	v_fmamk_f32 v3, v5, 0xcf800000, v3
	v_cvt_u32_f32_e32 v7, v5
	v_cvt_u32_f32_e32 v6, v3
	s_mov_b64 s[12:13], -1
	s_mov_b64 s[0:1], 0
	s_mov_b64 s[18:19], 0
	global_store_dwordx2 v[0:1], v[6:7], off
	s_branch .LBB488_44
.LBB488_43:
	s_mov_b64 s[18:19], 0
.LBB488_44:
	s_and_b64 vcc, exec, s[18:19]
	s_cbranch_vccz .LBB488_60
; %bb.45:
	s_cmp_lt_i32 s25, 27
	s_mov_b64 s[12:13], -1
	s_cbranch_scc1 .LBB488_51
; %bb.46:
	s_cmp_gt_i32 s25, 27
	s_cbranch_scc0 .LBB488_48
; %bb.47:
	v_lshlrev_b32_e32 v3, 16, v2
	v_cvt_u32_f32_e32 v3, v3
	s_mov_b64 s[12:13], 0
	global_store_dword v[0:1], v3, off
.LBB488_48:
	s_andn2_b64 vcc, exec, s[12:13]
	s_cbranch_vccnz .LBB488_50
; %bb.49:
	v_lshlrev_b32_e32 v3, 16, v2
	v_cvt_u32_f32_e32 v3, v3
	global_store_short v[0:1], v3, off
.LBB488_50:
	s_mov_b64 s[12:13], 0
.LBB488_51:
	s_andn2_b64 vcc, exec, s[12:13]
	s_cbranch_vccnz .LBB488_59
; %bb.52:
	v_lshlrev_b32_e32 v6, 16, v2
	v_and_b32_e32 v5, 0x7fffffff, v6
	s_mov_b32 s12, 0x43800000
	v_cmp_gt_u32_e32 vcc, s12, v5
	v_mov_b32_e32 v7, 0x80
	s_and_saveexec_b64 s[12:13], vcc
	s_cbranch_execz .LBB488_58
; %bb.53:
	s_mov_b32 s18, 0x3bffffff
	v_and_b32_e32 v3, 0xffff, v2
	v_cmp_lt_u32_e32 vcc, s18, v5
	s_mov_b64 s[18:19], 0
                                        ; implicit-def: $vgpr5
	s_and_saveexec_b64 s[22:23], vcc
	s_xor_b64 s[22:23], exec, s[22:23]
	s_cbranch_execz .LBB488_279
; %bb.54:
	v_bfe_u32 v5, v3, 4, 1
	s_mov_b32 s26, 0x487ffff
	v_add3_u32 v5, v6, v5, s26
	s_mov_b64 s[18:19], exec
	v_lshrrev_b32_e32 v5, 20, v5
                                        ; implicit-def: $vgpr6
	s_andn2_saveexec_b64 s[22:23], s[22:23]
	s_cbranch_execnz .LBB488_280
.LBB488_55:
	s_or_b64 exec, exec, s[22:23]
	v_mov_b32_e32 v7, 0
	s_and_saveexec_b64 s[22:23], s[18:19]
.LBB488_56:
	v_lshrrev_b32_e32 v3, 8, v3
	s_movk_i32 s18, 0x80
	v_and_or_b32 v7, v3, s18, v5
.LBB488_57:
	s_or_b64 exec, exec, s[22:23]
.LBB488_58:
	s_or_b64 exec, exec, s[12:13]
	global_store_byte v[0:1], v7, off
.LBB488_59:
	s_mov_b64 s[12:13], -1
.LBB488_60:
	s_mov_b64 s[18:19], 0
.LBB488_61:
	s_and_b64 vcc, exec, s[18:19]
	s_cbranch_vccz .LBB488_102
; %bb.62:
	s_cmp_gt_i32 s25, 22
	s_mov_b64 s[18:19], -1
	s_cbranch_scc0 .LBB488_94
; %bb.63:
	s_cmp_lt_i32 s25, 24
	s_mov_b64 s[12:13], -1
	s_cbranch_scc1 .LBB488_83
; %bb.64:
	s_cmp_gt_i32 s25, 24
	s_cbranch_scc0 .LBB488_72
; %bb.65:
	v_lshlrev_b32_e32 v6, 16, v2
	v_and_b32_e32 v5, 0x7fffffff, v6
	s_mov_b32 s12, 0x47800000
	v_cmp_gt_u32_e32 vcc, s12, v5
	v_mov_b32_e32 v7, 0x80
	s_and_saveexec_b64 s[12:13], vcc
	s_cbranch_execz .LBB488_71
; %bb.66:
	s_mov_b32 s18, 0x37ffffff
	v_and_b32_e32 v3, 0xffff, v2
	v_cmp_lt_u32_e32 vcc, s18, v5
	s_mov_b64 s[18:19], 0
                                        ; implicit-def: $vgpr5
	s_and_saveexec_b64 s[22:23], vcc
	s_xor_b64 s[22:23], exec, s[22:23]
	s_cbranch_execz .LBB488_283
; %bb.67:
	v_bfe_u32 v5, v3, 5, 1
	s_mov_b32 s26, 0x88fffff
	v_add3_u32 v5, v6, v5, s26
	s_mov_b64 s[18:19], exec
	v_lshrrev_b32_e32 v5, 21, v5
                                        ; implicit-def: $vgpr6
	s_andn2_saveexec_b64 s[22:23], s[22:23]
	s_cbranch_execnz .LBB488_284
.LBB488_68:
	s_or_b64 exec, exec, s[22:23]
	v_mov_b32_e32 v7, 0
	s_and_saveexec_b64 s[22:23], s[18:19]
.LBB488_69:
	v_lshrrev_b32_e32 v3, 8, v3
	s_movk_i32 s18, 0x80
	v_and_or_b32 v7, v3, s18, v5
.LBB488_70:
	s_or_b64 exec, exec, s[22:23]
.LBB488_71:
	s_or_b64 exec, exec, s[12:13]
	s_mov_b64 s[12:13], 0
	global_store_byte v[0:1], v7, off
.LBB488_72:
	s_and_b64 vcc, exec, s[12:13]
	s_cbranch_vccz .LBB488_82
; %bb.73:
	v_lshlrev_b32_e32 v6, 16, v2
	v_and_b32_e32 v7, 0x7fffffff, v6
	s_mov_b32 s12, 0x43f00000
	v_and_b32_e32 v3, 0xffff, v2
	v_cmp_gt_u32_e32 vcc, s12, v7
                                        ; implicit-def: $vgpr5
	s_and_saveexec_b64 s[12:13], vcc
	s_xor_b64 s[12:13], exec, s[12:13]
	s_cbranch_execz .LBB488_79
; %bb.74:
	s_mov_b32 s18, 0x3c7fffff
	v_cmp_lt_u32_e32 vcc, s18, v7
                                        ; implicit-def: $vgpr5
	s_and_saveexec_b64 s[18:19], vcc
	s_xor_b64 s[18:19], exec, s[18:19]
; %bb.75:
	v_bfe_u32 v5, v3, 4, 1
	s_mov_b32 s22, 0x407ffff
	v_add3_u32 v5, v6, v5, s22
	v_lshrrev_b32_e32 v6, 20, v5
	v_and_b32_e32 v5, 0xff00000, v5
	s_mov_b32 s22, 0x7f00000
	v_mov_b32_e32 v7, 0x7e
	v_cmp_ne_u32_e32 vcc, s22, v5
	s_nop 1
	v_cndmask_b32_e32 v5, v7, v6, vcc
                                        ; implicit-def: $vgpr6
; %bb.76:
	s_andn2_saveexec_b64 s[18:19], s[18:19]
; %bb.77:
	s_mov_b32 s22, 0x46800000
	v_add_f32_e64 v5, |v6|, s22
; %bb.78:
	s_or_b64 exec, exec, s[18:19]
                                        ; implicit-def: $vgpr7
.LBB488_79:
	s_andn2_saveexec_b64 s[12:13], s[12:13]
; %bb.80:
	s_mov_b32 s18, 0x7f800000
	v_mov_b32_e32 v5, 0x7e
	v_mov_b32_e32 v6, 0x7f
	v_cmp_lt_u32_e32 vcc, s18, v7
	s_nop 1
	v_cndmask_b32_e32 v5, v5, v6, vcc
; %bb.81:
	s_or_b64 exec, exec, s[12:13]
	v_lshrrev_b32_e32 v3, 8, v3
	s_movk_i32 s12, 0x80
	v_and_or_b32 v3, v3, s12, v5
	global_store_byte v[0:1], v3, off
.LBB488_82:
	s_mov_b64 s[12:13], 0
.LBB488_83:
	s_andn2_b64 vcc, exec, s[12:13]
	s_cbranch_vccnz .LBB488_93
; %bb.84:
	v_lshlrev_b32_e32 v6, 16, v2
	v_and_b32_e32 v7, 0x7fffffff, v6
	s_mov_b32 s12, 0x47800000
	v_and_b32_e32 v3, 0xffff, v2
	v_cmp_gt_u32_e32 vcc, s12, v7
                                        ; implicit-def: $vgpr5
	s_and_saveexec_b64 s[12:13], vcc
	s_xor_b64 s[12:13], exec, s[12:13]
	s_cbranch_execz .LBB488_90
; %bb.85:
	s_mov_b32 s18, 0x387fffff
	v_cmp_lt_u32_e32 vcc, s18, v7
                                        ; implicit-def: $vgpr5
	s_and_saveexec_b64 s[18:19], vcc
	s_xor_b64 s[18:19], exec, s[18:19]
; %bb.86:
	v_bfe_u32 v5, v3, 5, 1
	s_mov_b32 s22, 0x80fffff
	v_add3_u32 v5, v6, v5, s22
	v_lshrrev_b32_e32 v5, 21, v5
                                        ; implicit-def: $vgpr6
; %bb.87:
	s_andn2_saveexec_b64 s[18:19], s[18:19]
; %bb.88:
	s_mov_b32 s22, 0x43000000
	v_add_f32_e64 v5, |v6|, s22
; %bb.89:
	s_or_b64 exec, exec, s[18:19]
                                        ; implicit-def: $vgpr7
.LBB488_90:
	s_andn2_saveexec_b64 s[12:13], s[12:13]
; %bb.91:
	s_mov_b32 s18, 0x7f800000
	v_mov_b32_e32 v5, 0x7c
	v_mov_b32_e32 v6, 0x7f
	v_cmp_lt_u32_e32 vcc, s18, v7
	s_nop 1
	v_cndmask_b32_e32 v5, v5, v6, vcc
; %bb.92:
	s_or_b64 exec, exec, s[12:13]
	v_lshrrev_b32_e32 v3, 8, v3
	s_movk_i32 s12, 0x80
	v_and_or_b32 v3, v3, s12, v5
	global_store_byte v[0:1], v3, off
.LBB488_93:
	s_mov_b64 s[18:19], 0
	s_mov_b64 s[12:13], -1
.LBB488_94:
	s_andn2_b64 vcc, exec, s[18:19]
	s_cbranch_vccnz .LBB488_102
; %bb.95:
	s_cmp_gt_i32 s25, 14
	s_mov_b64 s[18:19], -1
	s_cbranch_scc0 .LBB488_99
; %bb.96:
	s_cmp_eq_u32 s25, 15
	s_mov_b64 s[0:1], -1
	s_cbranch_scc0 .LBB488_98
; %bb.97:
	global_store_short v[0:1], v2, off
	s_mov_b64 s[12:13], -1
	s_mov_b64 s[0:1], 0
.LBB488_98:
	s_mov_b64 s[18:19], 0
.LBB488_99:
	s_and_b64 vcc, exec, s[18:19]
	s_cbranch_vccz .LBB488_102
; %bb.100:
	s_cmp_eq_u32 s25, 11
	s_mov_b64 s[0:1], -1
	s_cbranch_scc0 .LBB488_102
; %bb.101:
	v_and_b32_e32 v3, 0x7fff, v2
	v_cmp_ne_u16_e32 vcc, 0, v3
	s_mov_b64 s[12:13], -1
	s_mov_b64 s[0:1], 0
	v_cndmask_b32_e64 v3, 0, 1, vcc
	global_store_byte v[0:1], v3, off
.LBB488_102:
	s_branch .LBB488_20
.LBB488_103:
	s_and_b32 s18, 0xffff, s24
	s_cmp_lt_i32 s18, 5
	s_mov_b64 s[12:13], -1
	s_cbranch_scc1 .LBB488_124
; %bb.104:
	s_cmp_lt_i32 s18, 8
	s_cbranch_scc1 .LBB488_114
; %bb.105:
	s_cmp_lt_i32 s18, 9
	s_cbranch_scc1 .LBB488_111
; %bb.106:
	s_cmp_gt_i32 s18, 9
	s_cbranch_scc0 .LBB488_108
; %bb.107:
	v_lshlrev_b32_e32 v3, 16, v2
	v_mov_b32_e32 v8, 0
	v_cvt_f64_f32_e32 v[6:7], v3
	v_mov_b32_e32 v9, v8
	global_store_dwordx4 v[0:1], v[6:9], off
	s_mov_b64 s[12:13], 0
.LBB488_108:
	s_andn2_b64 vcc, exec, s[12:13]
	s_cbranch_vccnz .LBB488_110
; %bb.109:
	v_lshlrev_b32_e32 v6, 16, v2
	v_mov_b32_e32 v7, 0
	global_store_dwordx2 v[0:1], v[6:7], off
.LBB488_110:
	s_mov_b64 s[12:13], 0
.LBB488_111:
	s_andn2_b64 vcc, exec, s[12:13]
	s_cbranch_vccnz .LBB488_113
; %bb.112:
	v_lshlrev_b32_e32 v3, 16, v2
	v_cvt_f16_f32_e32 v3, v3
	global_store_dword v[0:1], v3, off
.LBB488_113:
	s_mov_b64 s[12:13], 0
.LBB488_114:
	s_andn2_b64 vcc, exec, s[12:13]
	s_cbranch_vccnz .LBB488_123
; %bb.115:
	s_cmp_lt_i32 s18, 6
	s_mov_b64 s[12:13], -1
	s_cbranch_scc1 .LBB488_121
; %bb.116:
	s_cmp_gt_i32 s18, 6
	s_cbranch_scc0 .LBB488_118
; %bb.117:
	v_lshlrev_b32_e32 v3, 16, v2
	v_cvt_f64_f32_e32 v[6:7], v3
	global_store_dwordx2 v[0:1], v[6:7], off
	s_mov_b64 s[12:13], 0
.LBB488_118:
	s_andn2_b64 vcc, exec, s[12:13]
	s_cbranch_vccnz .LBB488_120
; %bb.119:
	v_lshlrev_b32_e32 v3, 16, v2
	global_store_dword v[0:1], v3, off
.LBB488_120:
	s_mov_b64 s[12:13], 0
.LBB488_121:
	s_andn2_b64 vcc, exec, s[12:13]
	s_cbranch_vccnz .LBB488_123
; %bb.122:
	v_lshlrev_b32_e32 v3, 16, v2
	v_cvt_f16_f32_e32 v3, v3
	global_store_short v[0:1], v3, off
.LBB488_123:
	s_mov_b64 s[12:13], 0
.LBB488_124:
	s_andn2_b64 vcc, exec, s[12:13]
	s_cbranch_vccnz .LBB488_140
; %bb.125:
	s_cmp_lt_i32 s18, 2
	s_mov_b64 s[12:13], -1
	s_cbranch_scc1 .LBB488_135
; %bb.126:
	s_cmp_lt_i32 s18, 3
	s_cbranch_scc1 .LBB488_132
; %bb.127:
	s_cmp_gt_i32 s18, 3
	s_cbranch_scc0 .LBB488_129
; %bb.128:
	v_lshlrev_b32_e32 v3, 16, v2
	v_trunc_f32_e32 v3, v3
	s_mov_b32 s12, 0x2f800000
	v_mul_f32_e64 v5, |v3|, s12
	v_floor_f32_e32 v5, v5
	s_mov_b32 s12, 0xcf800000
	v_cvt_u32_f32_e32 v6, v5
	v_fma_f32 v5, v5, s12, |v3|
	v_cvt_u32_f32_e32 v5, v5
	v_ashrrev_i32_e32 v3, 31, v3
	v_xor_b32_e32 v7, v6, v3
	s_mov_b64 s[12:13], 0
	v_xor_b32_e32 v5, v5, v3
	v_sub_co_u32_e32 v6, vcc, v5, v3
	s_nop 1
	v_subb_co_u32_e32 v7, vcc, v7, v3, vcc
	global_store_dwordx2 v[0:1], v[6:7], off
.LBB488_129:
	s_andn2_b64 vcc, exec, s[12:13]
	s_cbranch_vccnz .LBB488_131
; %bb.130:
	v_lshlrev_b32_e32 v3, 16, v2
	v_cvt_i32_f32_e32 v3, v3
	global_store_dword v[0:1], v3, off
.LBB488_131:
	s_mov_b64 s[12:13], 0
.LBB488_132:
	s_andn2_b64 vcc, exec, s[12:13]
	s_cbranch_vccnz .LBB488_134
; %bb.133:
	v_lshlrev_b32_e32 v3, 16, v2
	v_cvt_i32_f32_e32 v3, v3
	global_store_short v[0:1], v3, off
.LBB488_134:
	s_mov_b64 s[12:13], 0
.LBB488_135:
	s_andn2_b64 vcc, exec, s[12:13]
	s_cbranch_vccnz .LBB488_140
; %bb.136:
	s_mov_b64 s[12:13], -1
	s_cmp_gt_i32 s18, 0
	v_lshlrev_b32_e32 v2, 16, v2
	s_cbranch_scc0 .LBB488_138
; %bb.137:
	v_cvt_i32_f32_e32 v3, v2
	s_mov_b64 s[12:13], 0
	global_store_byte v[0:1], v3, off
.LBB488_138:
	s_andn2_b64 vcc, exec, s[12:13]
	s_cbranch_vccnz .LBB488_140
; %bb.139:
	v_trunc_f32_e32 v2, v2
	s_mov_b32 s12, 0x2f800000
	v_mul_f32_e64 v3, |v2|, s12
	v_floor_f32_e32 v3, v3
	s_mov_b32 s12, 0xcf800000
	v_fma_f32 v3, v3, s12, |v2|
	v_cvt_u32_f32_e32 v3, v3
	v_ashrrev_i32_e32 v2, 31, v2
	v_xor_b32_e32 v3, v3, v2
	v_sub_u32_e32 v2, v3, v2
	global_store_byte v[0:1], v2, off
.LBB488_140:
	s_branch .LBB488_21
.LBB488_141:
	s_mov_b64 s[18:19], 0
                                        ; implicit-def: $vgpr4
	s_branch .LBB488_251
.LBB488_142:
	s_mov_b64 s[14:15], -1
                                        ; implicit-def: $vgpr2
.LBB488_143:
	s_mov_b64 s[12:13], 0
.LBB488_144:
	s_and_b64 vcc, exec, s[12:13]
	s_cbranch_vccz .LBB488_148
; %bb.145:
	s_cmp_eq_u32 s22, 29
	s_cbranch_scc0 .LBB488_147
; %bb.146:
	global_load_dwordx2 v[2:3], v[0:1], off
	s_movk_i32 s12, 0x7fff
	s_mov_b64 s[0:1], -1
	s_mov_b64 s[14:15], 0
	s_waitcnt vmcnt(0)
	v_ffbh_u32_e32 v5, v3
	v_min_u32_e32 v5, 32, v5
	v_lshlrev_b64 v[2:3], v5, v[2:3]
	v_min_u32_e32 v2, 1, v2
	v_or_b32_e32 v2, v3, v2
	v_cvt_f32_u32_e32 v2, v2
	v_sub_u32_e32 v3, 32, v5
	v_ldexp_f32 v2, v2, v3
	v_bfe_u32 v3, v2, 16, 1
	v_add3_u32 v2, v2, v3, s12
	v_lshrrev_b32_e32 v2, 16, v2
	s_branch .LBB488_148
.LBB488_147:
	s_mov_b64 s[14:15], -1
                                        ; implicit-def: $vgpr2
.LBB488_148:
	s_mov_b64 s[12:13], 0
.LBB488_149:
	s_and_b64 vcc, exec, s[12:13]
	s_cbranch_vccz .LBB488_167
; %bb.150:
	s_cmp_lt_i32 s22, 27
	s_cbranch_scc1 .LBB488_153
; %bb.151:
	s_cmp_gt_i32 s22, 27
	s_cbranch_scc0 .LBB488_154
; %bb.152:
	global_load_dword v2, v[0:1], off
	s_movk_i32 s0, 0x7fff
	s_waitcnt vmcnt(0)
	v_cvt_f32_u32_e32 v2, v2
	v_bfe_u32 v3, v2, 16, 1
	v_add3_u32 v2, v2, v3, s0
	v_lshrrev_b32_e32 v2, 16, v2
	s_mov_b64 s[0:1], 0
	s_branch .LBB488_155
.LBB488_153:
	s_mov_b64 s[0:1], -1
                                        ; implicit-def: $vgpr2
	s_branch .LBB488_158
.LBB488_154:
	s_mov_b64 s[0:1], -1
                                        ; implicit-def: $vgpr2
.LBB488_155:
	s_andn2_b64 vcc, exec, s[0:1]
	s_cbranch_vccnz .LBB488_157
; %bb.156:
	global_load_ushort v2, v[0:1], off
	s_movk_i32 s0, 0x7fff
	s_waitcnt vmcnt(0)
	v_cvt_f32_u32_e32 v2, v2
	v_bfe_u32 v3, v2, 16, 1
	v_add3_u32 v2, v2, v3, s0
	v_lshrrev_b32_e32 v2, 16, v2
.LBB488_157:
	s_mov_b64 s[0:1], 0
.LBB488_158:
	s_andn2_b64 vcc, exec, s[0:1]
	s_cbranch_vccnz .LBB488_166
; %bb.159:
	global_load_ubyte v2, v[0:1], off
	s_movk_i32 s0, 0x7f
	s_waitcnt vmcnt(0)
	v_cmp_lt_i16_e32 vcc, s0, v2
	s_mov_b64 s[0:1], 0
	s_and_saveexec_b64 s[12:13], vcc
	s_xor_b64 s[12:13], exec, s[12:13]
	s_cbranch_execz .LBB488_179
; %bb.160:
	s_movk_i32 s0, 0x80
	v_cmp_eq_u16_e32 vcc, s0, v2
	s_mov_b64 s[0:1], -1
	s_and_saveexec_b64 s[18:19], vcc
; %bb.161:
	s_xor_b64 s[0:1], exec, -1
; %bb.162:
	s_or_b64 exec, exec, s[18:19]
	s_and_b64 s[0:1], s[0:1], exec
	s_or_saveexec_b64 s[12:13], s[12:13]
	v_mov_b32_e32 v3, 0x7f800001
	s_xor_b64 exec, exec, s[12:13]
	s_cbranch_execnz .LBB488_180
.LBB488_163:
	s_or_b64 exec, exec, s[12:13]
	s_and_saveexec_b64 s[12:13], s[0:1]
	s_cbranch_execz .LBB488_165
.LBB488_164:
	v_lshlrev_b32_e32 v3, 24, v2
	v_and_b32_e32 v2, 0xffff, v2
	v_and_b32_e32 v5, 7, v2
	v_ffbh_u32_e32 v7, v5
	v_min_u32_e32 v7, 32, v7
	v_subrev_u32_e32 v8, 28, v7
	v_bfe_u32 v6, v2, 3, 4
	v_lshlrev_b32_e32 v2, v8, v2
	v_sub_u32_e32 v7, 29, v7
	v_and_b32_e32 v2, 7, v2
	v_cmp_eq_u32_e32 vcc, 0, v6
	v_and_b32_e32 v3, 0x80000000, v3
	s_nop 0
	v_cndmask_b32_e32 v6, v6, v7, vcc
	v_cndmask_b32_e32 v2, v5, v2, vcc
	v_mov_b32_e32 v5, 0x3b800000
	v_lshlrev_b32_e32 v2, 20, v2
	v_lshl_add_u32 v5, v6, 23, v5
	v_or3_b32 v3, v3, v5, v2
.LBB488_165:
	s_or_b64 exec, exec, s[12:13]
	v_bfe_u32 v2, v3, 16, 1
	s_movk_i32 s0, 0x7fff
	v_add3_u32 v2, v3, v2, s0
	v_cmp_o_f32_e32 vcc, v3, v3
	v_mov_b32_e32 v3, 0x7fc0
	s_nop 0
	v_cndmask_b32_sdwa v2, v3, v2, vcc dst_sel:DWORD dst_unused:UNUSED_PAD src0_sel:DWORD src1_sel:WORD_1
.LBB488_166:
	s_mov_b64 s[0:1], -1
.LBB488_167:
	s_branch .LBB488_202
.LBB488_168:
	s_cmp_gt_i32 s22, 22
	s_cbranch_scc0 .LBB488_178
; %bb.169:
	s_cmp_lt_i32 s22, 24
	s_cbranch_scc1 .LBB488_181
; %bb.170:
	s_cmp_gt_i32 s22, 24
	s_cbranch_scc0 .LBB488_182
; %bb.171:
	global_load_ubyte v2, v[0:1], off
	s_movk_i32 s0, 0x7f
	s_waitcnt vmcnt(0)
	v_cmp_lt_i16_e32 vcc, s0, v2
	s_mov_b64 s[0:1], 0
	s_and_saveexec_b64 s[12:13], vcc
	s_xor_b64 s[12:13], exec, s[12:13]
	s_cbranch_execz .LBB488_194
; %bb.172:
	s_movk_i32 s0, 0x80
	v_cmp_eq_u16_e32 vcc, s0, v2
	s_mov_b64 s[0:1], -1
	s_and_saveexec_b64 s[18:19], vcc
; %bb.173:
	s_xor_b64 s[0:1], exec, -1
; %bb.174:
	s_or_b64 exec, exec, s[18:19]
	s_and_b64 s[0:1], s[0:1], exec
	s_or_saveexec_b64 s[12:13], s[12:13]
	v_mov_b32_e32 v3, 0x7f800001
	s_xor_b64 exec, exec, s[12:13]
	s_cbranch_execnz .LBB488_195
.LBB488_175:
	s_or_b64 exec, exec, s[12:13]
	s_and_saveexec_b64 s[12:13], s[0:1]
	s_cbranch_execz .LBB488_177
.LBB488_176:
	v_lshlrev_b32_e32 v3, 24, v2
	v_and_b32_e32 v2, 0xffff, v2
	v_and_b32_e32 v5, 3, v2
	v_ffbh_u32_e32 v7, v5
	v_min_u32_e32 v7, 32, v7
	v_subrev_u32_e32 v8, 29, v7
	v_bfe_u32 v6, v2, 2, 5
	v_lshlrev_b32_e32 v2, v8, v2
	v_sub_u32_e32 v7, 30, v7
	v_and_b32_e32 v2, 3, v2
	v_cmp_eq_u32_e32 vcc, 0, v6
	v_and_b32_e32 v3, 0x80000000, v3
	s_nop 0
	v_cndmask_b32_e32 v6, v6, v7, vcc
	v_cndmask_b32_e32 v2, v5, v2, vcc
	v_mov_b32_e32 v5, 0x37800000
	v_lshlrev_b32_e32 v2, 21, v2
	v_lshl_add_u32 v5, v6, 23, v5
	v_or3_b32 v3, v3, v5, v2
.LBB488_177:
	s_or_b64 exec, exec, s[12:13]
	v_bfe_u32 v2, v3, 16, 1
	s_movk_i32 s0, 0x7fff
	v_add3_u32 v2, v3, v2, s0
	v_cmp_o_f32_e32 vcc, v3, v3
	v_mov_b32_e32 v3, 0x7fc0
	s_mov_b64 s[0:1], 0
	v_cndmask_b32_sdwa v2, v3, v2, vcc dst_sel:DWORD dst_unused:UNUSED_PAD src0_sel:DWORD src1_sel:WORD_1
	s_branch .LBB488_183
.LBB488_178:
	s_mov_b64 s[12:13], -1
                                        ; implicit-def: $vgpr2
	s_branch .LBB488_189
.LBB488_179:
	s_or_saveexec_b64 s[12:13], s[12:13]
	v_mov_b32_e32 v3, 0x7f800001
	s_xor_b64 exec, exec, s[12:13]
	s_cbranch_execz .LBB488_163
.LBB488_180:
	v_cmp_ne_u16_e32 vcc, 0, v2
	s_andn2_b64 s[0:1], s[0:1], exec
	s_and_b64 s[18:19], vcc, exec
	v_mov_b32_e32 v3, 0
	s_or_b64 s[0:1], s[0:1], s[18:19]
	s_or_b64 exec, exec, s[12:13]
	s_and_saveexec_b64 s[12:13], s[0:1]
	s_cbranch_execnz .LBB488_164
	s_branch .LBB488_165
.LBB488_181:
	s_mov_b64 s[0:1], -1
                                        ; implicit-def: $vgpr2
	s_branch .LBB488_186
.LBB488_182:
	s_mov_b64 s[0:1], -1
                                        ; implicit-def: $vgpr2
.LBB488_183:
	s_and_b64 vcc, exec, s[0:1]
	s_cbranch_vccz .LBB488_185
; %bb.184:
	global_load_ubyte v2, v[0:1], off
	s_mov_b32 s0, 0x7f800000
	s_brev_b32 s1, 1
	s_movk_i32 s12, 0x7fff
	s_waitcnt vmcnt(0)
	v_lshlrev_b32_e32 v2, 24, v2
	v_and_b32_e32 v3, 0x7f000000, v2
	v_ffbh_u32_e32 v5, v3
	v_min_u32_e32 v5, 32, v5
	v_sub_u32_e64 v5, v5, 4 clamp
	v_lshlrev_b32_e32 v7, v5, v3
	v_lshlrev_b32_e32 v5, 23, v5
	v_lshrrev_b32_e32 v7, 4, v7
	v_add_u32_e32 v6, 0x1000000, v3
	v_sub_u32_e32 v5, v7, v5
	v_ashrrev_i32_e32 v6, 8, v6
	v_add_u32_e32 v5, 0x3c000000, v5
	v_and_or_b32 v5, v6, s0, v5
	v_cmp_ne_u32_e32 vcc, 0, v3
	s_nop 1
	v_cndmask_b32_e32 v3, 0, v5, vcc
	v_and_or_b32 v2, v2, s1, v3
	v_bfe_u32 v3, v3, 16, 1
	v_add3_u32 v3, v2, v3, s12
	v_cmp_o_f32_e32 vcc, v2, v2
	v_mov_b32_e32 v2, 0x7fc0
	s_nop 0
	v_cndmask_b32_sdwa v2, v2, v3, vcc dst_sel:DWORD dst_unused:UNUSED_PAD src0_sel:DWORD src1_sel:WORD_1
.LBB488_185:
	s_mov_b64 s[0:1], 0
.LBB488_186:
	s_andn2_b64 vcc, exec, s[0:1]
	s_cbranch_vccnz .LBB488_188
; %bb.187:
	global_load_ubyte v2, v[0:1], off
	s_movk_i32 s0, 0x7f00
	s_brev_b32 s1, 16
	s_brev_b32 s12, 1
	s_movk_i32 s13, 0x7fff
	s_waitcnt vmcnt(0)
	v_lshlrev_b16_e32 v3, 8, v2
	v_lshlrev_b32_e32 v2, 25, v2
	v_lshrrev_b32_e32 v5, 4, v2
	v_and_or_b32 v6, v3, s0, 0.5
	v_or_b32_e32 v5, 0x70000000, v5
	v_add_f32_e32 v6, -0.5, v6
	v_mul_f32_e32 v5, 0x7800000, v5
	v_cmp_gt_u32_e32 vcc, s1, v2
	v_bfe_i32 v3, v3, 0, 16
	s_nop 0
	v_cndmask_b32_e32 v2, v5, v6, vcc
	v_and_or_b32 v3, v3, s12, v2
	v_bfe_u32 v2, v2, 16, 1
	v_add3_u32 v2, v3, v2, s13
	v_cmp_o_f32_e32 vcc, v3, v3
	v_mov_b32_e32 v3, 0x7fc0
	s_nop 0
	v_cndmask_b32_sdwa v2, v3, v2, vcc dst_sel:DWORD dst_unused:UNUSED_PAD src0_sel:DWORD src1_sel:WORD_1
.LBB488_188:
	s_mov_b64 s[12:13], 0
	s_mov_b64 s[0:1], -1
.LBB488_189:
	s_andn2_b64 vcc, exec, s[12:13]
	s_cbranch_vccnz .LBB488_202
; %bb.190:
	s_cmp_gt_i32 s22, 14
	s_cbranch_scc0 .LBB488_193
; %bb.191:
	s_cmp_eq_u32 s22, 15
	s_cbranch_scc0 .LBB488_196
; %bb.192:
	global_load_ushort v2, v[0:1], off
	s_mov_b64 s[0:1], -1
	s_mov_b64 s[14:15], 0
	s_branch .LBB488_197
.LBB488_193:
	s_mov_b64 s[12:13], -1
                                        ; implicit-def: $vgpr2
	s_branch .LBB488_198
.LBB488_194:
	s_or_saveexec_b64 s[12:13], s[12:13]
	v_mov_b32_e32 v3, 0x7f800001
	s_xor_b64 exec, exec, s[12:13]
	s_cbranch_execz .LBB488_175
.LBB488_195:
	v_cmp_ne_u16_e32 vcc, 0, v2
	s_andn2_b64 s[0:1], s[0:1], exec
	s_and_b64 s[18:19], vcc, exec
	v_mov_b32_e32 v3, 0
	s_or_b64 s[0:1], s[0:1], s[18:19]
	s_or_b64 exec, exec, s[12:13]
	s_and_saveexec_b64 s[12:13], s[0:1]
	s_cbranch_execnz .LBB488_176
	s_branch .LBB488_177
.LBB488_196:
	s_mov_b64 s[14:15], -1
                                        ; implicit-def: $vgpr2
.LBB488_197:
	s_mov_b64 s[12:13], 0
.LBB488_198:
	s_and_b64 vcc, exec, s[12:13]
	s_cbranch_vccz .LBB488_202
; %bb.199:
	s_cmp_eq_u32 s22, 11
	s_cbranch_scc0 .LBB488_201
; %bb.200:
	global_load_ubyte v2, v[0:1], off
	s_mov_b64 s[0:1], -1
	s_mov_b64 s[14:15], 0
	s_waitcnt vmcnt(0)
	v_cmp_ne_u16_e32 vcc, 0, v2
	s_nop 1
	v_cndmask_b32_e64 v2, 0, 1.0, vcc
	v_lshrrev_b32_e32 v2, 16, v2
	s_branch .LBB488_202
.LBB488_201:
	s_mov_b64 s[14:15], -1
                                        ; implicit-def: $vgpr2
.LBB488_202:
	s_branch .LBB488_10
.LBB488_203:
	s_cmp_lt_i32 s22, 5
	s_cbranch_scc1 .LBB488_208
; %bb.204:
	s_cmp_lt_i32 s22, 8
	s_cbranch_scc1 .LBB488_209
; %bb.205:
	;; [unrolled: 3-line block ×3, first 2 shown]
	s_cmp_gt_i32 s22, 9
	s_cbranch_scc0 .LBB488_211
; %bb.207:
	global_load_dwordx2 v[2:3], v[0:1], off
	s_movk_i32 s0, 0x7fff
	v_mov_b32_e32 v5, 0x7fc0
	s_waitcnt vmcnt(0)
	v_cvt_f32_f64_e32 v2, v[2:3]
	v_bfe_u32 v3, v2, 16, 1
	v_cmp_o_f32_e32 vcc, v2, v2
	v_add3_u32 v2, v2, v3, s0
	s_mov_b64 s[0:1], 0
	v_cndmask_b32_sdwa v2, v5, v2, vcc dst_sel:DWORD dst_unused:UNUSED_PAD src0_sel:DWORD src1_sel:WORD_1
	s_branch .LBB488_212
.LBB488_208:
                                        ; implicit-def: $vgpr2
	s_branch .LBB488_230
.LBB488_209:
	s_mov_b64 s[0:1], -1
                                        ; implicit-def: $vgpr2
	s_branch .LBB488_218
.LBB488_210:
	s_mov_b64 s[0:1], -1
                                        ; implicit-def: $vgpr2
	s_branch .LBB488_215
.LBB488_211:
	s_mov_b64 s[0:1], -1
                                        ; implicit-def: $vgpr2
.LBB488_212:
	s_andn2_b64 vcc, exec, s[0:1]
	s_cbranch_vccnz .LBB488_214
; %bb.213:
	global_load_dword v2, v[0:1], off
	s_movk_i32 s0, 0x7fff
	v_mov_b32_e32 v3, 0x7fc0
	s_waitcnt vmcnt(0)
	v_bfe_u32 v5, v2, 16, 1
	v_cmp_o_f32_e32 vcc, v2, v2
	v_add3_u32 v2, v2, v5, s0
	s_nop 0
	v_cndmask_b32_sdwa v2, v3, v2, vcc dst_sel:DWORD dst_unused:UNUSED_PAD src0_sel:DWORD src1_sel:WORD_1
.LBB488_214:
	s_mov_b64 s[0:1], 0
.LBB488_215:
	s_andn2_b64 vcc, exec, s[0:1]
	s_cbranch_vccnz .LBB488_217
; %bb.216:
	global_load_dword v2, v[0:1], off
	s_movk_i32 s0, 0x7fff
	v_mov_b32_e32 v5, 0x7fc0
	s_waitcnt vmcnt(0)
	v_cvt_f32_f16_e32 v3, v2
	v_cmp_o_f16_e32 vcc, v2, v2
	v_bfe_u32 v2, v3, 16, 1
	v_add3_u32 v2, v3, v2, s0
	v_cndmask_b32_sdwa v2, v5, v2, vcc dst_sel:DWORD dst_unused:UNUSED_PAD src0_sel:DWORD src1_sel:WORD_1
.LBB488_217:
	s_mov_b64 s[0:1], 0
.LBB488_218:
	s_andn2_b64 vcc, exec, s[0:1]
	s_cbranch_vccnz .LBB488_229
; %bb.219:
	s_cmp_lt_i32 s22, 6
	s_cbranch_scc1 .LBB488_222
; %bb.220:
	s_cmp_gt_i32 s22, 6
	s_cbranch_scc0 .LBB488_223
; %bb.221:
	global_load_dwordx2 v[2:3], v[0:1], off
	s_movk_i32 s0, 0x7fff
	v_mov_b32_e32 v5, 0x7fc0
	s_waitcnt vmcnt(0)
	v_cvt_f32_f64_e32 v2, v[2:3]
	v_bfe_u32 v3, v2, 16, 1
	v_cmp_o_f32_e32 vcc, v2, v2
	v_add3_u32 v2, v2, v3, s0
	s_mov_b64 s[0:1], 0
	v_cndmask_b32_sdwa v2, v5, v2, vcc dst_sel:DWORD dst_unused:UNUSED_PAD src0_sel:DWORD src1_sel:WORD_1
	s_branch .LBB488_224
.LBB488_222:
	s_mov_b64 s[0:1], -1
                                        ; implicit-def: $vgpr2
	s_branch .LBB488_227
.LBB488_223:
	s_mov_b64 s[0:1], -1
                                        ; implicit-def: $vgpr2
.LBB488_224:
	s_andn2_b64 vcc, exec, s[0:1]
	s_cbranch_vccnz .LBB488_226
; %bb.225:
	global_load_dword v2, v[0:1], off
	s_movk_i32 s0, 0x7fff
	v_mov_b32_e32 v3, 0x7fc0
	s_waitcnt vmcnt(0)
	v_bfe_u32 v5, v2, 16, 1
	v_cmp_o_f32_e32 vcc, v2, v2
	v_add3_u32 v2, v2, v5, s0
	s_nop 0
	v_cndmask_b32_sdwa v2, v3, v2, vcc dst_sel:DWORD dst_unused:UNUSED_PAD src0_sel:DWORD src1_sel:WORD_1
.LBB488_226:
	s_mov_b64 s[0:1], 0
.LBB488_227:
	s_andn2_b64 vcc, exec, s[0:1]
	s_cbranch_vccnz .LBB488_229
; %bb.228:
	global_load_ushort v2, v[0:1], off
	s_movk_i32 s0, 0x7fff
	v_mov_b32_e32 v5, 0x7fc0
	s_waitcnt vmcnt(0)
	v_cvt_f32_f16_e32 v3, v2
	v_cmp_o_f16_e32 vcc, v2, v2
	v_bfe_u32 v2, v3, 16, 1
	v_add3_u32 v2, v3, v2, s0
	v_cndmask_b32_sdwa v2, v5, v2, vcc dst_sel:DWORD dst_unused:UNUSED_PAD src0_sel:DWORD src1_sel:WORD_1
.LBB488_229:
	s_cbranch_execnz .LBB488_249
.LBB488_230:
	s_cmp_lt_i32 s22, 2
	s_cbranch_scc1 .LBB488_234
; %bb.231:
	s_cmp_lt_i32 s22, 3
	s_cbranch_scc1 .LBB488_235
; %bb.232:
	s_cmp_gt_i32 s22, 3
	s_cbranch_scc0 .LBB488_236
; %bb.233:
	global_load_dwordx2 v[2:3], v[0:1], off
	s_movk_i32 s0, 0x7fff
	s_waitcnt vmcnt(0)
	v_xor_b32_e32 v6, v2, v3
	v_ffbh_i32_e32 v5, v3
	v_ashrrev_i32_e32 v6, 31, v6
	v_add_u32_e32 v5, -1, v5
	v_add_u32_e32 v6, 32, v6
	v_min_u32_e32 v5, v5, v6
	v_lshlrev_b64 v[2:3], v5, v[2:3]
	v_min_u32_e32 v2, 1, v2
	v_or_b32_e32 v2, v3, v2
	v_cvt_f32_i32_e32 v2, v2
	v_sub_u32_e32 v3, 32, v5
	v_ldexp_f32 v2, v2, v3
	v_bfe_u32 v3, v2, 16, 1
	v_add3_u32 v2, v2, v3, s0
	v_lshrrev_b32_e32 v2, 16, v2
	s_mov_b64 s[0:1], 0
	s_branch .LBB488_237
.LBB488_234:
	s_mov_b64 s[0:1], -1
                                        ; implicit-def: $vgpr2
	s_branch .LBB488_243
.LBB488_235:
	s_mov_b64 s[0:1], -1
                                        ; implicit-def: $vgpr2
	s_branch .LBB488_240
.LBB488_236:
	s_mov_b64 s[0:1], -1
                                        ; implicit-def: $vgpr2
.LBB488_237:
	s_andn2_b64 vcc, exec, s[0:1]
	s_cbranch_vccnz .LBB488_239
; %bb.238:
	global_load_dword v2, v[0:1], off
	s_movk_i32 s0, 0x7fff
	s_waitcnt vmcnt(0)
	v_cvt_f32_i32_e32 v2, v2
	v_bfe_u32 v3, v2, 16, 1
	v_add3_u32 v2, v2, v3, s0
	v_lshrrev_b32_e32 v2, 16, v2
.LBB488_239:
	s_mov_b64 s[0:1], 0
.LBB488_240:
	s_andn2_b64 vcc, exec, s[0:1]
	s_cbranch_vccnz .LBB488_242
; %bb.241:
	global_load_sshort v2, v[0:1], off
	s_movk_i32 s0, 0x7fff
	s_waitcnt vmcnt(0)
	v_cvt_f32_i32_e32 v2, v2
	v_bfe_u32 v3, v2, 16, 1
	v_add3_u32 v2, v2, v3, s0
	v_lshrrev_b32_e32 v2, 16, v2
.LBB488_242:
	s_mov_b64 s[0:1], 0
.LBB488_243:
	s_andn2_b64 vcc, exec, s[0:1]
	s_cbranch_vccnz .LBB488_249
; %bb.244:
	s_cmp_gt_i32 s22, 0
	s_cbranch_scc0 .LBB488_246
; %bb.245:
	global_load_sbyte v2, v[0:1], off
	s_movk_i32 s0, 0x7fff
	s_waitcnt vmcnt(0)
	v_cvt_f32_i32_e32 v2, v2
	v_bfe_u32 v3, v2, 16, 1
	v_add3_u32 v2, v2, v3, s0
	v_lshrrev_b32_e32 v2, 16, v2
	s_mov_b64 s[0:1], 0
	s_branch .LBB488_247
.LBB488_246:
	s_mov_b64 s[0:1], -1
                                        ; implicit-def: $vgpr2
.LBB488_247:
	s_andn2_b64 vcc, exec, s[0:1]
	s_cbranch_vccnz .LBB488_249
; %bb.248:
	global_load_ubyte v0, v[0:1], off
	s_movk_i32 s0, 0x7fff
	s_waitcnt vmcnt(0)
	v_cvt_f32_ubyte0_e32 v0, v0
	v_bfe_u32 v1, v0, 16, 1
	v_add3_u32 v0, v0, v1, s0
	v_lshrrev_b32_e32 v2, 16, v0
.LBB488_249:
	s_branch .LBB488_11
.LBB488_250:
	s_mov_b64 s[0:1], 0
                                        ; implicit-def: $vgpr4
	s_mov_b64 s[18:19], 0
.LBB488_251:
	s_and_b64 s[12:13], s[0:1], exec
	s_and_b64 s[14:15], s[14:15], exec
	s_orn2_b64 s[18:19], s[18:19], exec
.LBB488_252:
	s_or_b64 exec, exec, s[16:17]
	s_mov_b64 s[22:23], 0
	s_mov_b64 s[0:1], 0
                                        ; implicit-def: $vgpr0_vgpr1
                                        ; implicit-def: $vgpr3
	s_and_saveexec_b64 s[16:17], s[18:19]
	s_cbranch_execz .LBB488_261
; %bb.253:
	v_cmp_gt_i32_e32 vcc, s38, v4
	s_mov_b64 s[0:1], -1
	s_mov_b64 s[18:19], s[14:15]
	s_mov_b64 s[20:21], s[12:13]
	s_and_saveexec_b64 s[22:23], vcc
	s_cbranch_execz .LBB488_514
; %bb.254:
	v_mul_lo_u32 v0, v4, s9
	v_ashrrev_i32_e32 v1, 31, v0
	s_and_b32 s26, 0xffff, s43
	s_cmp_lt_i32 s26, 11
	v_lshl_add_u64 v[0:1], s[6:7], 0, v[0:1]
	s_cbranch_scc1 .LBB488_264
; %bb.255:
	s_cmp_gt_i32 s26, 25
	s_cbranch_scc0 .LBB488_273
; %bb.256:
	s_cmp_gt_i32 s26, 28
	s_cbranch_scc0 .LBB488_275
	;; [unrolled: 3-line block ×4, first 2 shown]
; %bb.259:
	s_cmp_eq_u32 s26, 46
	s_mov_b64 s[20:21], 0
	s_cbranch_scc0 .LBB488_285
; %bb.260:
	global_load_dword v2, v[0:1], off
	s_mov_b64 s[18:19], 0
	s_branch .LBB488_286
.LBB488_261:
	s_or_b64 exec, exec, s[16:17]
	s_mov_b64 s[16:17], 0
	s_and_saveexec_b64 s[18:19], s[14:15]
	s_cbranch_execnz .LBB488_861
.LBB488_262:
	s_or_b64 exec, exec, s[18:19]
	s_and_saveexec_b64 s[14:15], s[20:21]
	s_xor_b64 s[14:15], exec, s[14:15]
	s_cbranch_execz .LBB488_862
.LBB488_263:
	global_load_ubyte v2, v[0:1], off
	s_or_b64 s[0:1], s[0:1], exec
	s_waitcnt vmcnt(0)
	v_cmp_ne_u16_e32 vcc, 0, v2
	s_nop 1
	v_cndmask_b32_e64 v2, 0, 1.0, vcc
	v_lshrrev_b32_e32 v3, 16, v2
	s_or_b64 exec, exec, s[14:15]
	s_and_saveexec_b64 s[14:15], s[22:23]
	s_cbranch_execz .LBB488_908
	s_branch .LBB488_863
.LBB488_264:
	s_mov_b64 s[0:1], 0
                                        ; implicit-def: $vgpr2
	s_mov_b64 s[18:19], s[14:15]
	s_cbranch_execnz .LBB488_463
.LBB488_265:
	s_andn2_b64 vcc, exec, s[0:1]
	s_cbranch_vccnz .LBB488_511
.LBB488_266:
	s_waitcnt vmcnt(0)
	v_lshlrev_b32_e32 v0, 16, v2
	v_cmp_u_f32_e32 vcc, v0, v0
	v_cmp_gt_f32_e64 s[0:1], s44, v0
	v_mov_b32_e32 v0, s33
	s_or_b64 vcc, vcc, s[0:1]
	v_cndmask_b32_e32 v2, v0, v2, vcc
	v_mul_lo_u32 v0, v4, s8
	v_ashrrev_i32_e32 v1, 31, v0
	s_and_b32 s28, s42, 0xff
	s_cmp_lt_i32 s28, 11
	v_lshl_add_u64 v[0:1], s[4:5], 0, v[0:1]
	s_cbranch_scc1 .LBB488_274
; %bb.267:
	s_and_b32 s29, 0xffff, s28
	s_cmp_gt_i32 s29, 25
	s_cbranch_scc0 .LBB488_276
; %bb.268:
	s_cmp_gt_i32 s29, 28
	s_cbranch_scc0 .LBB488_278
; %bb.269:
	;; [unrolled: 3-line block ×4, first 2 shown]
	s_mov_b64 s[24:25], 0
	s_mov_b64 s[0:1], -1
	s_cmp_eq_u32 s29, 46
	s_mov_b64 s[20:21], 0
	s_cbranch_scc0 .LBB488_290
; %bb.272:
	v_and_b32_e32 v3, 0xffff, v2
	global_store_dword v[0:1], v3, off
	s_mov_b64 s[20:21], -1
	s_mov_b64 s[0:1], 0
	s_branch .LBB488_290
.LBB488_273:
	s_mov_b64 s[20:21], -1
	s_mov_b64 s[0:1], 0
	s_mov_b64 s[18:19], s[14:15]
                                        ; implicit-def: $vgpr2
	s_branch .LBB488_427
.LBB488_274:
	s_mov_b64 s[24:25], -1
	s_mov_b64 s[20:21], 0
	s_mov_b64 s[0:1], s[12:13]
	s_branch .LBB488_359
.LBB488_275:
	s_mov_b64 s[20:21], -1
	s_mov_b64 s[0:1], 0
	s_mov_b64 s[18:19], s[14:15]
                                        ; implicit-def: $vgpr2
	s_branch .LBB488_408
.LBB488_276:
	s_mov_b64 s[24:25], -1
	s_mov_b64 s[20:21], 0
	s_mov_b64 s[0:1], s[12:13]
	s_branch .LBB488_317
.LBB488_277:
	s_mov_b64 s[20:21], -1
	s_mov_b64 s[0:1], 0
	s_mov_b64 s[18:19], s[14:15]
                                        ; implicit-def: $vgpr2
	s_branch .LBB488_403
.LBB488_278:
	s_mov_b64 s[24:25], -1
	s_mov_b64 s[20:21], 0
	s_mov_b64 s[0:1], s[12:13]
	s_branch .LBB488_300
.LBB488_279:
	s_andn2_saveexec_b64 s[22:23], s[22:23]
	s_cbranch_execz .LBB488_55
.LBB488_280:
	s_mov_b32 s26, 0x46000000
	v_add_f32_e64 v5, |v6|, s26
	v_and_b32_e32 v5, 0xff, v5
	v_cmp_ne_u32_e32 vcc, 0, v5
	s_andn2_b64 s[18:19], s[18:19], exec
	s_and_b64 s[26:27], vcc, exec
	s_or_b64 s[18:19], s[18:19], s[26:27]
	s_or_b64 exec, exec, s[22:23]
	v_mov_b32_e32 v7, 0
	s_and_saveexec_b64 s[22:23], s[18:19]
	s_cbranch_execnz .LBB488_56
	s_branch .LBB488_57
.LBB488_281:
	s_mov_b64 s[20:21], -1
	s_mov_b64 s[0:1], 0
	s_mov_b64 s[18:19], s[14:15]
                                        ; implicit-def: $vgpr2
	s_branch .LBB488_286
.LBB488_282:
	s_mov_b64 s[24:25], -1
	s_mov_b64 s[20:21], 0
	s_mov_b64 s[0:1], s[12:13]
	s_branch .LBB488_296
.LBB488_283:
	s_andn2_saveexec_b64 s[22:23], s[22:23]
	s_cbranch_execz .LBB488_68
.LBB488_284:
	s_mov_b32 s26, 0x42800000
	v_add_f32_e64 v5, |v6|, s26
	v_and_b32_e32 v5, 0xff, v5
	v_cmp_ne_u32_e32 vcc, 0, v5
	s_andn2_b64 s[18:19], s[18:19], exec
	s_and_b64 s[26:27], vcc, exec
	s_or_b64 s[18:19], s[18:19], s[26:27]
	s_or_b64 exec, exec, s[22:23]
	v_mov_b32_e32 v7, 0
	s_and_saveexec_b64 s[22:23], s[18:19]
	s_cbranch_execnz .LBB488_69
	s_branch .LBB488_70
.LBB488_285:
	s_mov_b64 s[18:19], -1
                                        ; implicit-def: $vgpr2
	s_mov_b64 s[0:1], 0
.LBB488_286:
	s_and_b64 vcc, exec, s[20:21]
	s_cbranch_vccz .LBB488_402
; %bb.287:
	s_cmp_eq_u32 s26, 44
	s_cbranch_scc0 .LBB488_401
; %bb.288:
	global_load_ubyte v2, v[0:1], off
	s_movk_i32 s18, 0xff
	v_mov_b32_e32 v3, 0x7f800001
	v_mov_b32_e32 v5, 0x400000
	;; [unrolled: 1-line block ×3, first 2 shown]
	s_mov_b64 s[0:1], -1
	s_waitcnt vmcnt(0)
	v_lshlrev_b32_e32 v7, 23, v2
	v_cmp_ne_u32_e32 vcc, s18, v2
	s_mov_b64 s[18:19], 0
	s_nop 0
	v_cndmask_b32_e32 v3, v3, v7, vcc
	v_cmp_ne_u32_e32 vcc, 0, v2
	s_nop 1
	v_cndmask_b32_e32 v2, v5, v3, vcc
	v_add_u32_e32 v3, 0x7fff, v2
	v_cmp_o_f32_e32 vcc, v2, v2
	s_nop 1
	v_cndmask_b32_sdwa v2, v6, v3, vcc dst_sel:DWORD dst_unused:UNUSED_PAD src0_sel:DWORD src1_sel:WORD_1
	s_branch .LBB488_402
.LBB488_289:
	s_mov_b64 s[24:25], -1
	s_mov_b64 s[20:21], 0
	s_mov_b64 s[0:1], s[12:13]
.LBB488_290:
	s_and_b64 vcc, exec, s[24:25]
	s_cbranch_vccz .LBB488_295
; %bb.291:
	s_cmp_eq_u32 s29, 44
	s_mov_b64 s[0:1], -1
	s_cbranch_scc0 .LBB488_295
; %bb.292:
	v_and_b32_e32 v5, 0xffff, v2
	v_bfe_u32 v3, v5, 7, 8
	s_movk_i32 s0, 0xff
	v_cmp_ne_u32_e32 vcc, s0, v3
	v_mov_b32_e32 v6, 0xff
	s_and_saveexec_b64 s[20:21], vcc
	s_cbranch_execz .LBB488_294
; %bb.293:
	v_lshlrev_b32_e32 v7, 16, v5
	s_mov_b32 s0, 0x3f0000
	v_lshrrev_b32_e32 v6, 7, v5
	v_and_b32_e32 v5, 64, v5
	v_and_or_b32 v3, v7, s0, v3
	v_cmp_ne_u32_e32 vcc, 0, v5
	v_cmp_ne_u32_e64 s[0:1], 0, v3
	s_and_b64 s[0:1], vcc, s[0:1]
	s_nop 0
	v_cndmask_b32_e64 v3, 0, 1, s[0:1]
	v_add_u32_e32 v6, v6, v3
.LBB488_294:
	s_or_b64 exec, exec, s[20:21]
	s_mov_b64 s[20:21], -1
	s_mov_b64 s[0:1], 0
	global_store_byte v[0:1], v6, off
.LBB488_295:
	s_mov_b64 s[24:25], 0
.LBB488_296:
	s_and_b64 vcc, exec, s[24:25]
	s_cbranch_vccz .LBB488_299
; %bb.297:
	s_cmp_eq_u32 s29, 29
	s_mov_b64 s[0:1], -1
	s_cbranch_scc0 .LBB488_299
; %bb.298:
	v_lshlrev_b32_e32 v3, 16, v2
	v_trunc_f32_e32 v3, v3
	v_mul_f32_e32 v5, 0x2f800000, v3
	v_floor_f32_e32 v5, v5
	v_fmamk_f32 v3, v5, 0xcf800000, v3
	v_cvt_u32_f32_e32 v7, v5
	v_cvt_u32_f32_e32 v6, v3
	s_mov_b64 s[20:21], -1
	s_mov_b64 s[0:1], 0
	s_mov_b64 s[24:25], 0
	global_store_dwordx2 v[0:1], v[6:7], off
	s_branch .LBB488_300
.LBB488_299:
	s_mov_b64 s[24:25], 0
.LBB488_300:
	s_and_b64 vcc, exec, s[24:25]
	s_cbranch_vccz .LBB488_316
; %bb.301:
	s_cmp_lt_i32 s29, 27
	s_mov_b64 s[20:21], -1
	s_cbranch_scc1 .LBB488_307
; %bb.302:
	s_cmp_gt_i32 s29, 27
	s_cbranch_scc0 .LBB488_304
; %bb.303:
	v_lshlrev_b32_e32 v3, 16, v2
	v_cvt_u32_f32_e32 v3, v3
	s_mov_b64 s[20:21], 0
	global_store_dword v[0:1], v3, off
.LBB488_304:
	s_andn2_b64 vcc, exec, s[20:21]
	s_cbranch_vccnz .LBB488_306
; %bb.305:
	v_lshlrev_b32_e32 v3, 16, v2
	v_cvt_u32_f32_e32 v3, v3
	global_store_short v[0:1], v3, off
.LBB488_306:
	s_mov_b64 s[20:21], 0
.LBB488_307:
	s_andn2_b64 vcc, exec, s[20:21]
	s_cbranch_vccnz .LBB488_315
; %bb.308:
	v_lshlrev_b32_e32 v6, 16, v2
	v_and_b32_e32 v5, 0x7fffffff, v6
	s_mov_b32 s20, 0x43800000
	v_cmp_gt_u32_e32 vcc, s20, v5
	v_mov_b32_e32 v7, 0x80
	s_and_saveexec_b64 s[20:21], vcc
	s_cbranch_execz .LBB488_314
; %bb.309:
	s_mov_b32 s24, 0x3bffffff
	v_and_b32_e32 v3, 0xffff, v2
	v_cmp_lt_u32_e32 vcc, s24, v5
	s_mov_b64 s[24:25], 0
                                        ; implicit-def: $vgpr5
	s_and_saveexec_b64 s[26:27], vcc
	s_xor_b64 s[26:27], exec, s[26:27]
	s_cbranch_execz .LBB488_527
; %bb.310:
	v_bfe_u32 v5, v3, 4, 1
	s_mov_b32 s30, 0x487ffff
	v_add3_u32 v5, v6, v5, s30
	s_mov_b64 s[24:25], exec
	v_lshrrev_b32_e32 v5, 20, v5
                                        ; implicit-def: $vgpr6
	s_andn2_saveexec_b64 s[26:27], s[26:27]
	s_cbranch_execnz .LBB488_528
.LBB488_311:
	s_or_b64 exec, exec, s[26:27]
	v_mov_b32_e32 v7, 0
	s_and_saveexec_b64 s[26:27], s[24:25]
.LBB488_312:
	v_lshrrev_b32_e32 v3, 8, v3
	s_movk_i32 s24, 0x80
	v_and_or_b32 v7, v3, s24, v5
.LBB488_313:
	s_or_b64 exec, exec, s[26:27]
.LBB488_314:
	s_or_b64 exec, exec, s[20:21]
	global_store_byte v[0:1], v7, off
.LBB488_315:
	s_mov_b64 s[20:21], -1
.LBB488_316:
	s_mov_b64 s[24:25], 0
.LBB488_317:
	s_and_b64 vcc, exec, s[24:25]
	s_cbranch_vccz .LBB488_358
; %bb.318:
	s_cmp_gt_i32 s29, 22
	s_mov_b64 s[24:25], -1
	s_cbranch_scc0 .LBB488_350
; %bb.319:
	s_cmp_lt_i32 s29, 24
	s_mov_b64 s[20:21], -1
	s_cbranch_scc1 .LBB488_339
; %bb.320:
	s_cmp_gt_i32 s29, 24
	s_cbranch_scc0 .LBB488_328
; %bb.321:
	v_lshlrev_b32_e32 v6, 16, v2
	v_and_b32_e32 v5, 0x7fffffff, v6
	s_mov_b32 s20, 0x47800000
	v_cmp_gt_u32_e32 vcc, s20, v5
	v_mov_b32_e32 v7, 0x80
	s_and_saveexec_b64 s[20:21], vcc
	s_cbranch_execz .LBB488_327
; %bb.322:
	s_mov_b32 s24, 0x37ffffff
	v_and_b32_e32 v3, 0xffff, v2
	v_cmp_lt_u32_e32 vcc, s24, v5
	s_mov_b64 s[24:25], 0
                                        ; implicit-def: $vgpr5
	s_and_saveexec_b64 s[26:27], vcc
	s_xor_b64 s[26:27], exec, s[26:27]
	s_cbranch_execz .LBB488_530
; %bb.323:
	v_bfe_u32 v5, v3, 5, 1
	s_mov_b32 s30, 0x88fffff
	v_add3_u32 v5, v6, v5, s30
	s_mov_b64 s[24:25], exec
	v_lshrrev_b32_e32 v5, 21, v5
                                        ; implicit-def: $vgpr6
	s_andn2_saveexec_b64 s[26:27], s[26:27]
	s_cbranch_execnz .LBB488_531
.LBB488_324:
	s_or_b64 exec, exec, s[26:27]
	v_mov_b32_e32 v7, 0
	s_and_saveexec_b64 s[26:27], s[24:25]
.LBB488_325:
	v_lshrrev_b32_e32 v3, 8, v3
	s_movk_i32 s24, 0x80
	v_and_or_b32 v7, v3, s24, v5
.LBB488_326:
	s_or_b64 exec, exec, s[26:27]
.LBB488_327:
	s_or_b64 exec, exec, s[20:21]
	s_mov_b64 s[20:21], 0
	global_store_byte v[0:1], v7, off
.LBB488_328:
	s_and_b64 vcc, exec, s[20:21]
	s_cbranch_vccz .LBB488_338
; %bb.329:
	v_lshlrev_b32_e32 v6, 16, v2
	v_and_b32_e32 v7, 0x7fffffff, v6
	s_mov_b32 s20, 0x43f00000
	v_and_b32_e32 v3, 0xffff, v2
	v_cmp_gt_u32_e32 vcc, s20, v7
                                        ; implicit-def: $vgpr5
	s_and_saveexec_b64 s[20:21], vcc
	s_xor_b64 s[20:21], exec, s[20:21]
	s_cbranch_execz .LBB488_335
; %bb.330:
	s_mov_b32 s24, 0x3c7fffff
	v_cmp_lt_u32_e32 vcc, s24, v7
                                        ; implicit-def: $vgpr5
	s_and_saveexec_b64 s[24:25], vcc
	s_xor_b64 s[24:25], exec, s[24:25]
; %bb.331:
	v_bfe_u32 v5, v3, 4, 1
	s_mov_b32 s26, 0x407ffff
	v_add3_u32 v5, v6, v5, s26
	v_lshrrev_b32_e32 v6, 20, v5
	v_and_b32_e32 v5, 0xff00000, v5
	s_mov_b32 s26, 0x7f00000
	v_mov_b32_e32 v7, 0x7e
	v_cmp_ne_u32_e32 vcc, s26, v5
	s_nop 1
	v_cndmask_b32_e32 v5, v7, v6, vcc
                                        ; implicit-def: $vgpr6
; %bb.332:
	s_andn2_saveexec_b64 s[24:25], s[24:25]
; %bb.333:
	s_mov_b32 s26, 0x46800000
	v_add_f32_e64 v5, |v6|, s26
; %bb.334:
	s_or_b64 exec, exec, s[24:25]
                                        ; implicit-def: $vgpr7
.LBB488_335:
	s_andn2_saveexec_b64 s[20:21], s[20:21]
; %bb.336:
	s_mov_b32 s24, 0x7f800000
	v_mov_b32_e32 v5, 0x7e
	v_mov_b32_e32 v6, 0x7f
	v_cmp_lt_u32_e32 vcc, s24, v7
	s_nop 1
	v_cndmask_b32_e32 v5, v5, v6, vcc
; %bb.337:
	s_or_b64 exec, exec, s[20:21]
	v_lshrrev_b32_e32 v3, 8, v3
	s_movk_i32 s20, 0x80
	v_and_or_b32 v3, v3, s20, v5
	global_store_byte v[0:1], v3, off
.LBB488_338:
	s_mov_b64 s[20:21], 0
.LBB488_339:
	s_andn2_b64 vcc, exec, s[20:21]
	s_cbranch_vccnz .LBB488_349
; %bb.340:
	v_lshlrev_b32_e32 v6, 16, v2
	v_and_b32_e32 v7, 0x7fffffff, v6
	s_mov_b32 s20, 0x47800000
	v_and_b32_e32 v3, 0xffff, v2
	v_cmp_gt_u32_e32 vcc, s20, v7
                                        ; implicit-def: $vgpr5
	s_and_saveexec_b64 s[20:21], vcc
	s_xor_b64 s[20:21], exec, s[20:21]
	s_cbranch_execz .LBB488_346
; %bb.341:
	s_mov_b32 s24, 0x387fffff
	v_cmp_lt_u32_e32 vcc, s24, v7
                                        ; implicit-def: $vgpr5
	s_and_saveexec_b64 s[24:25], vcc
	s_xor_b64 s[24:25], exec, s[24:25]
; %bb.342:
	v_bfe_u32 v5, v3, 5, 1
	s_mov_b32 s26, 0x80fffff
	v_add3_u32 v5, v6, v5, s26
	v_lshrrev_b32_e32 v5, 21, v5
                                        ; implicit-def: $vgpr6
; %bb.343:
	s_andn2_saveexec_b64 s[24:25], s[24:25]
; %bb.344:
	s_mov_b32 s26, 0x43000000
	v_add_f32_e64 v5, |v6|, s26
; %bb.345:
	s_or_b64 exec, exec, s[24:25]
                                        ; implicit-def: $vgpr7
.LBB488_346:
	s_andn2_saveexec_b64 s[20:21], s[20:21]
; %bb.347:
	s_mov_b32 s24, 0x7f800000
	v_mov_b32_e32 v5, 0x7c
	v_mov_b32_e32 v6, 0x7f
	v_cmp_lt_u32_e32 vcc, s24, v7
	s_nop 1
	v_cndmask_b32_e32 v5, v5, v6, vcc
; %bb.348:
	s_or_b64 exec, exec, s[20:21]
	v_lshrrev_b32_e32 v3, 8, v3
	s_movk_i32 s20, 0x80
	v_and_or_b32 v3, v3, s20, v5
	global_store_byte v[0:1], v3, off
.LBB488_349:
	s_mov_b64 s[24:25], 0
	s_mov_b64 s[20:21], -1
.LBB488_350:
	s_andn2_b64 vcc, exec, s[24:25]
	s_cbranch_vccnz .LBB488_358
; %bb.351:
	s_cmp_gt_i32 s29, 14
	s_mov_b64 s[24:25], -1
	s_cbranch_scc0 .LBB488_355
; %bb.352:
	s_cmp_eq_u32 s29, 15
	s_mov_b64 s[0:1], -1
	s_cbranch_scc0 .LBB488_354
; %bb.353:
	global_store_short v[0:1], v2, off
	s_mov_b64 s[20:21], -1
	s_mov_b64 s[0:1], 0
.LBB488_354:
	s_mov_b64 s[24:25], 0
.LBB488_355:
	s_and_b64 vcc, exec, s[24:25]
	s_cbranch_vccz .LBB488_358
; %bb.356:
	s_cmp_eq_u32 s29, 11
	s_mov_b64 s[0:1], -1
	s_cbranch_scc0 .LBB488_358
; %bb.357:
	v_and_b32_e32 v3, 0x7fff, v2
	v_cmp_ne_u16_e32 vcc, 0, v3
	s_mov_b64 s[20:21], -1
	s_mov_b64 s[0:1], 0
	v_cndmask_b32_e64 v3, 0, 1, vcc
	global_store_byte v[0:1], v3, off
.LBB488_358:
	s_mov_b64 s[24:25], 0
.LBB488_359:
	s_and_b64 vcc, exec, s[24:25]
	s_cbranch_vccz .LBB488_398
; %bb.360:
	s_and_b32 s24, 0xffff, s28
	s_cmp_lt_i32 s24, 5
	s_mov_b64 s[20:21], -1
	s_cbranch_scc1 .LBB488_381
; %bb.361:
	s_cmp_lt_i32 s24, 8
	s_cbranch_scc1 .LBB488_371
; %bb.362:
	s_cmp_lt_i32 s24, 9
	s_cbranch_scc1 .LBB488_368
; %bb.363:
	s_cmp_gt_i32 s24, 9
	s_cbranch_scc0 .LBB488_365
; %bb.364:
	v_lshlrev_b32_e32 v3, 16, v2
	v_mov_b32_e32 v8, 0
	v_cvt_f64_f32_e32 v[6:7], v3
	v_mov_b32_e32 v9, v8
	s_mov_b64 s[20:21], 0
	global_store_dwordx4 v[0:1], v[6:9], off
.LBB488_365:
	s_andn2_b64 vcc, exec, s[20:21]
	s_cbranch_vccnz .LBB488_367
; %bb.366:
	v_lshlrev_b32_e32 v6, 16, v2
	v_mov_b32_e32 v7, 0
	global_store_dwordx2 v[0:1], v[6:7], off
.LBB488_367:
	s_mov_b64 s[20:21], 0
.LBB488_368:
	s_andn2_b64 vcc, exec, s[20:21]
	s_cbranch_vccnz .LBB488_370
; %bb.369:
	v_lshlrev_b32_e32 v3, 16, v2
	v_cvt_f16_f32_e32 v3, v3
	global_store_dword v[0:1], v3, off
.LBB488_370:
	s_mov_b64 s[20:21], 0
.LBB488_371:
	s_andn2_b64 vcc, exec, s[20:21]
	s_cbranch_vccnz .LBB488_380
; %bb.372:
	s_cmp_lt_i32 s24, 6
	s_mov_b64 s[20:21], -1
	s_cbranch_scc1 .LBB488_378
; %bb.373:
	s_cmp_gt_i32 s24, 6
	s_cbranch_scc0 .LBB488_375
; %bb.374:
	v_lshlrev_b32_e32 v3, 16, v2
	v_cvt_f64_f32_e32 v[6:7], v3
	s_mov_b64 s[20:21], 0
	global_store_dwordx2 v[0:1], v[6:7], off
.LBB488_375:
	s_andn2_b64 vcc, exec, s[20:21]
	s_cbranch_vccnz .LBB488_377
; %bb.376:
	v_lshlrev_b32_e32 v3, 16, v2
	global_store_dword v[0:1], v3, off
.LBB488_377:
	s_mov_b64 s[20:21], 0
.LBB488_378:
	s_andn2_b64 vcc, exec, s[20:21]
	s_cbranch_vccnz .LBB488_380
; %bb.379:
	v_lshlrev_b32_e32 v3, 16, v2
	v_cvt_f16_f32_e32 v3, v3
	global_store_short v[0:1], v3, off
.LBB488_380:
	s_mov_b64 s[20:21], 0
.LBB488_381:
	s_andn2_b64 vcc, exec, s[20:21]
	s_cbranch_vccnz .LBB488_397
; %bb.382:
	s_cmp_lt_i32 s24, 2
	s_mov_b64 s[20:21], -1
	s_cbranch_scc1 .LBB488_392
; %bb.383:
	s_cmp_lt_i32 s24, 3
	s_cbranch_scc1 .LBB488_389
; %bb.384:
	s_cmp_gt_i32 s24, 3
	s_cbranch_scc0 .LBB488_386
; %bb.385:
	v_lshlrev_b32_e32 v3, 16, v2
	v_trunc_f32_e32 v3, v3
	s_mov_b32 s20, 0x2f800000
	v_mul_f32_e64 v5, |v3|, s20
	v_floor_f32_e32 v5, v5
	s_mov_b32 s20, 0xcf800000
	v_cvt_u32_f32_e32 v6, v5
	v_fma_f32 v5, v5, s20, |v3|
	v_cvt_u32_f32_e32 v5, v5
	v_ashrrev_i32_e32 v3, 31, v3
	v_xor_b32_e32 v7, v6, v3
	s_mov_b64 s[20:21], 0
	v_xor_b32_e32 v5, v5, v3
	v_sub_co_u32_e32 v6, vcc, v5, v3
	s_nop 1
	v_subb_co_u32_e32 v7, vcc, v7, v3, vcc
	global_store_dwordx2 v[0:1], v[6:7], off
.LBB488_386:
	s_andn2_b64 vcc, exec, s[20:21]
	s_cbranch_vccnz .LBB488_388
; %bb.387:
	v_lshlrev_b32_e32 v3, 16, v2
	v_cvt_i32_f32_e32 v3, v3
	global_store_dword v[0:1], v3, off
.LBB488_388:
	s_mov_b64 s[20:21], 0
.LBB488_389:
	s_andn2_b64 vcc, exec, s[20:21]
	s_cbranch_vccnz .LBB488_391
; %bb.390:
	v_lshlrev_b32_e32 v3, 16, v2
	v_cvt_i32_f32_e32 v3, v3
	global_store_short v[0:1], v3, off
.LBB488_391:
	s_mov_b64 s[20:21], 0
.LBB488_392:
	s_andn2_b64 vcc, exec, s[20:21]
	s_cbranch_vccnz .LBB488_397
; %bb.393:
	s_mov_b64 s[20:21], -1
	s_cmp_gt_i32 s24, 0
	v_lshlrev_b32_e32 v2, 16, v2
	s_cbranch_scc0 .LBB488_395
; %bb.394:
	v_cvt_i32_f32_e32 v3, v2
	s_mov_b64 s[20:21], 0
	global_store_byte v[0:1], v3, off
.LBB488_395:
	s_andn2_b64 vcc, exec, s[20:21]
	s_cbranch_vccnz .LBB488_397
; %bb.396:
	v_trunc_f32_e32 v2, v2
	s_mov_b32 s20, 0x2f800000
	v_mul_f32_e64 v3, |v2|, s20
	v_floor_f32_e32 v3, v3
	s_mov_b32 s20, 0xcf800000
	v_fma_f32 v3, v3, s20, |v2|
	v_cvt_u32_f32_e32 v3, v3
	v_ashrrev_i32_e32 v2, 31, v2
	v_xor_b32_e32 v3, v3, v2
	v_sub_u32_e32 v2, v3, v2
	global_store_byte v[0:1], v2, off
.LBB488_397:
	s_mov_b64 s[20:21], -1
.LBB488_398:
	s_andn2_b64 vcc, exec, s[20:21]
	s_cbranch_vccnz .LBB488_400
; %bb.399:
	v_add_u32_e32 v4, 0x80, v4
	s_mov_b64 s[24:25], -1
	s_branch .LBB488_513
.LBB488_400:
	s_mov_b64 s[24:25], 0
	s_branch .LBB488_512
.LBB488_401:
	s_mov_b64 s[18:19], -1
                                        ; implicit-def: $vgpr2
.LBB488_402:
	s_mov_b64 s[20:21], 0
.LBB488_403:
	s_and_b64 vcc, exec, s[20:21]
	s_cbranch_vccz .LBB488_407
; %bb.404:
	s_cmp_eq_u32 s26, 29
	s_cbranch_scc0 .LBB488_406
; %bb.405:
	global_load_dwordx2 v[2:3], v[0:1], off
	s_movk_i32 s18, 0x7fff
	s_mov_b64 s[0:1], -1
	s_mov_b64 s[20:21], 0
	s_waitcnt vmcnt(0)
	v_ffbh_u32_e32 v5, v3
	v_min_u32_e32 v5, 32, v5
	v_lshlrev_b64 v[2:3], v5, v[2:3]
	v_min_u32_e32 v2, 1, v2
	v_or_b32_e32 v2, v3, v2
	v_cvt_f32_u32_e32 v2, v2
	v_sub_u32_e32 v3, 32, v5
	v_ldexp_f32 v2, v2, v3
	v_bfe_u32 v3, v2, 16, 1
	v_add3_u32 v2, v2, v3, s18
	v_lshrrev_b32_e32 v2, 16, v2
	s_mov_b64 s[18:19], 0
	s_branch .LBB488_408
.LBB488_406:
	s_mov_b64 s[18:19], -1
                                        ; implicit-def: $vgpr2
.LBB488_407:
	s_mov_b64 s[20:21], 0
.LBB488_408:
	s_and_b64 vcc, exec, s[20:21]
	s_cbranch_vccz .LBB488_426
; %bb.409:
	s_cmp_lt_i32 s26, 27
	s_cbranch_scc1 .LBB488_412
; %bb.410:
	s_cmp_gt_i32 s26, 27
	s_cbranch_scc0 .LBB488_413
; %bb.411:
	global_load_dword v2, v[0:1], off
	s_movk_i32 s0, 0x7fff
	s_waitcnt vmcnt(0)
	v_cvt_f32_u32_e32 v2, v2
	v_bfe_u32 v3, v2, 16, 1
	v_add3_u32 v2, v2, v3, s0
	v_lshrrev_b32_e32 v2, 16, v2
	s_mov_b64 s[0:1], 0
	s_branch .LBB488_414
.LBB488_412:
	s_mov_b64 s[0:1], -1
                                        ; implicit-def: $vgpr2
	s_branch .LBB488_417
.LBB488_413:
	s_mov_b64 s[0:1], -1
                                        ; implicit-def: $vgpr2
.LBB488_414:
	s_andn2_b64 vcc, exec, s[0:1]
	s_cbranch_vccnz .LBB488_416
; %bb.415:
	global_load_ushort v2, v[0:1], off
	s_movk_i32 s0, 0x7fff
	s_waitcnt vmcnt(0)
	v_cvt_f32_u32_e32 v2, v2
	v_bfe_u32 v3, v2, 16, 1
	v_add3_u32 v2, v2, v3, s0
	v_lshrrev_b32_e32 v2, 16, v2
.LBB488_416:
	s_mov_b64 s[0:1], 0
.LBB488_417:
	s_andn2_b64 vcc, exec, s[0:1]
	s_cbranch_vccnz .LBB488_425
; %bb.418:
	global_load_ubyte v2, v[0:1], off
	s_movk_i32 s0, 0x7f
	s_waitcnt vmcnt(0)
	v_cmp_lt_i16_e32 vcc, s0, v2
	s_mov_b64 s[0:1], 0
	s_and_saveexec_b64 s[20:21], vcc
	s_xor_b64 s[20:21], exec, s[20:21]
	s_cbranch_execz .LBB488_439
; %bb.419:
	s_movk_i32 s0, 0x80
	v_cmp_eq_u16_e32 vcc, s0, v2
	s_mov_b64 s[0:1], -1
	s_and_saveexec_b64 s[24:25], vcc
; %bb.420:
	s_xor_b64 s[0:1], exec, -1
; %bb.421:
	s_or_b64 exec, exec, s[24:25]
	s_and_b64 s[0:1], s[0:1], exec
	s_or_saveexec_b64 s[20:21], s[20:21]
	v_mov_b32_e32 v3, 0x7f800001
	s_xor_b64 exec, exec, s[20:21]
	s_cbranch_execnz .LBB488_440
.LBB488_422:
	s_or_b64 exec, exec, s[20:21]
	s_and_saveexec_b64 s[20:21], s[0:1]
	s_cbranch_execz .LBB488_424
.LBB488_423:
	v_lshlrev_b32_e32 v3, 24, v2
	v_and_b32_e32 v2, 0xffff, v2
	v_and_b32_e32 v5, 7, v2
	v_ffbh_u32_e32 v7, v5
	v_min_u32_e32 v7, 32, v7
	v_subrev_u32_e32 v8, 28, v7
	v_bfe_u32 v6, v2, 3, 4
	v_lshlrev_b32_e32 v2, v8, v2
	v_sub_u32_e32 v7, 29, v7
	v_and_b32_e32 v2, 7, v2
	v_cmp_eq_u32_e32 vcc, 0, v6
	v_and_b32_e32 v3, 0x80000000, v3
	s_nop 0
	v_cndmask_b32_e32 v6, v6, v7, vcc
	v_cndmask_b32_e32 v2, v5, v2, vcc
	v_mov_b32_e32 v5, 0x3b800000
	v_lshlrev_b32_e32 v2, 20, v2
	v_lshl_add_u32 v5, v6, 23, v5
	v_or3_b32 v3, v3, v5, v2
.LBB488_424:
	s_or_b64 exec, exec, s[20:21]
	v_bfe_u32 v2, v3, 16, 1
	s_movk_i32 s0, 0x7fff
	v_add3_u32 v2, v3, v2, s0
	v_cmp_o_f32_e32 vcc, v3, v3
	v_mov_b32_e32 v3, 0x7fc0
	s_nop 0
	v_cndmask_b32_sdwa v2, v3, v2, vcc dst_sel:DWORD dst_unused:UNUSED_PAD src0_sel:DWORD src1_sel:WORD_1
.LBB488_425:
	s_mov_b64 s[0:1], -1
.LBB488_426:
	s_mov_b64 s[20:21], 0
.LBB488_427:
	s_and_b64 vcc, exec, s[20:21]
	s_cbranch_vccz .LBB488_462
; %bb.428:
	s_cmp_gt_i32 s26, 22
	s_cbranch_scc0 .LBB488_438
; %bb.429:
	s_cmp_lt_i32 s26, 24
	s_cbranch_scc1 .LBB488_441
; %bb.430:
	s_cmp_gt_i32 s26, 24
	s_cbranch_scc0 .LBB488_442
; %bb.431:
	global_load_ubyte v2, v[0:1], off
	s_movk_i32 s0, 0x7f
	s_waitcnt vmcnt(0)
	v_cmp_lt_i16_e32 vcc, s0, v2
	s_mov_b64 s[0:1], 0
	s_and_saveexec_b64 s[20:21], vcc
	s_xor_b64 s[20:21], exec, s[20:21]
	s_cbranch_execz .LBB488_454
; %bb.432:
	s_movk_i32 s0, 0x80
	v_cmp_eq_u16_e32 vcc, s0, v2
	s_mov_b64 s[0:1], -1
	s_and_saveexec_b64 s[24:25], vcc
; %bb.433:
	s_xor_b64 s[0:1], exec, -1
; %bb.434:
	s_or_b64 exec, exec, s[24:25]
	s_and_b64 s[0:1], s[0:1], exec
	s_or_saveexec_b64 s[20:21], s[20:21]
	v_mov_b32_e32 v3, 0x7f800001
	s_xor_b64 exec, exec, s[20:21]
	s_cbranch_execnz .LBB488_455
.LBB488_435:
	s_or_b64 exec, exec, s[20:21]
	s_and_saveexec_b64 s[20:21], s[0:1]
	s_cbranch_execz .LBB488_437
.LBB488_436:
	v_lshlrev_b32_e32 v3, 24, v2
	v_and_b32_e32 v2, 0xffff, v2
	v_and_b32_e32 v5, 3, v2
	v_ffbh_u32_e32 v7, v5
	v_min_u32_e32 v7, 32, v7
	v_subrev_u32_e32 v8, 29, v7
	v_bfe_u32 v6, v2, 2, 5
	v_lshlrev_b32_e32 v2, v8, v2
	v_sub_u32_e32 v7, 30, v7
	v_and_b32_e32 v2, 3, v2
	v_cmp_eq_u32_e32 vcc, 0, v6
	v_and_b32_e32 v3, 0x80000000, v3
	s_nop 0
	v_cndmask_b32_e32 v6, v6, v7, vcc
	v_cndmask_b32_e32 v2, v5, v2, vcc
	v_mov_b32_e32 v5, 0x37800000
	v_lshlrev_b32_e32 v2, 21, v2
	v_lshl_add_u32 v5, v6, 23, v5
	v_or3_b32 v3, v3, v5, v2
.LBB488_437:
	s_or_b64 exec, exec, s[20:21]
	v_bfe_u32 v2, v3, 16, 1
	s_movk_i32 s0, 0x7fff
	v_add3_u32 v2, v3, v2, s0
	v_cmp_o_f32_e32 vcc, v3, v3
	v_mov_b32_e32 v3, 0x7fc0
	s_mov_b64 s[0:1], 0
	v_cndmask_b32_sdwa v2, v3, v2, vcc dst_sel:DWORD dst_unused:UNUSED_PAD src0_sel:DWORD src1_sel:WORD_1
	s_branch .LBB488_443
.LBB488_438:
	s_mov_b64 s[20:21], -1
                                        ; implicit-def: $vgpr2
	s_branch .LBB488_449
.LBB488_439:
	s_or_saveexec_b64 s[20:21], s[20:21]
	v_mov_b32_e32 v3, 0x7f800001
	s_xor_b64 exec, exec, s[20:21]
	s_cbranch_execz .LBB488_422
.LBB488_440:
	v_cmp_ne_u16_e32 vcc, 0, v2
	s_andn2_b64 s[0:1], s[0:1], exec
	s_and_b64 s[24:25], vcc, exec
	v_mov_b32_e32 v3, 0
	s_or_b64 s[0:1], s[0:1], s[24:25]
	s_or_b64 exec, exec, s[20:21]
	s_and_saveexec_b64 s[20:21], s[0:1]
	s_cbranch_execnz .LBB488_423
	s_branch .LBB488_424
.LBB488_441:
	s_mov_b64 s[0:1], -1
                                        ; implicit-def: $vgpr2
	s_branch .LBB488_446
.LBB488_442:
	s_mov_b64 s[0:1], -1
                                        ; implicit-def: $vgpr2
.LBB488_443:
	s_and_b64 vcc, exec, s[0:1]
	s_cbranch_vccz .LBB488_445
; %bb.444:
	global_load_ubyte v2, v[0:1], off
	s_mov_b32 s0, 0x7f800000
	s_brev_b32 s1, 1
	s_movk_i32 s20, 0x7fff
	s_waitcnt vmcnt(0)
	v_lshlrev_b32_e32 v2, 24, v2
	v_and_b32_e32 v3, 0x7f000000, v2
	v_ffbh_u32_e32 v5, v3
	v_min_u32_e32 v5, 32, v5
	v_sub_u32_e64 v5, v5, 4 clamp
	v_lshlrev_b32_e32 v7, v5, v3
	v_lshlrev_b32_e32 v5, 23, v5
	v_lshrrev_b32_e32 v7, 4, v7
	v_add_u32_e32 v6, 0x1000000, v3
	v_sub_u32_e32 v5, v7, v5
	v_ashrrev_i32_e32 v6, 8, v6
	v_add_u32_e32 v5, 0x3c000000, v5
	v_and_or_b32 v5, v6, s0, v5
	v_cmp_ne_u32_e32 vcc, 0, v3
	s_nop 1
	v_cndmask_b32_e32 v3, 0, v5, vcc
	v_and_or_b32 v2, v2, s1, v3
	v_bfe_u32 v3, v3, 16, 1
	v_add3_u32 v3, v2, v3, s20
	v_cmp_o_f32_e32 vcc, v2, v2
	v_mov_b32_e32 v2, 0x7fc0
	s_nop 0
	v_cndmask_b32_sdwa v2, v2, v3, vcc dst_sel:DWORD dst_unused:UNUSED_PAD src0_sel:DWORD src1_sel:WORD_1
.LBB488_445:
	s_mov_b64 s[0:1], 0
.LBB488_446:
	s_andn2_b64 vcc, exec, s[0:1]
	s_cbranch_vccnz .LBB488_448
; %bb.447:
	global_load_ubyte v2, v[0:1], off
	s_movk_i32 s0, 0x7f00
	s_brev_b32 s1, 16
	s_brev_b32 s20, 1
	s_movk_i32 s21, 0x7fff
	s_waitcnt vmcnt(0)
	v_lshlrev_b16_e32 v3, 8, v2
	v_lshlrev_b32_e32 v2, 25, v2
	v_lshrrev_b32_e32 v5, 4, v2
	v_and_or_b32 v6, v3, s0, 0.5
	v_or_b32_e32 v5, 0x70000000, v5
	v_add_f32_e32 v6, -0.5, v6
	v_mul_f32_e32 v5, 0x7800000, v5
	v_cmp_gt_u32_e32 vcc, s1, v2
	v_bfe_i32 v3, v3, 0, 16
	s_nop 0
	v_cndmask_b32_e32 v2, v5, v6, vcc
	v_and_or_b32 v3, v3, s20, v2
	v_bfe_u32 v2, v2, 16, 1
	v_add3_u32 v2, v3, v2, s21
	v_cmp_o_f32_e32 vcc, v3, v3
	v_mov_b32_e32 v3, 0x7fc0
	s_nop 0
	v_cndmask_b32_sdwa v2, v3, v2, vcc dst_sel:DWORD dst_unused:UNUSED_PAD src0_sel:DWORD src1_sel:WORD_1
.LBB488_448:
	s_mov_b64 s[20:21], 0
	s_mov_b64 s[0:1], -1
.LBB488_449:
	s_andn2_b64 vcc, exec, s[20:21]
	s_cbranch_vccnz .LBB488_462
; %bb.450:
	s_cmp_gt_i32 s26, 14
	s_cbranch_scc0 .LBB488_453
; %bb.451:
	s_cmp_eq_u32 s26, 15
	s_cbranch_scc0 .LBB488_456
; %bb.452:
	global_load_ushort v2, v[0:1], off
	s_mov_b64 s[0:1], -1
	s_mov_b64 s[18:19], 0
	s_branch .LBB488_457
.LBB488_453:
	s_mov_b64 s[20:21], -1
                                        ; implicit-def: $vgpr2
	s_branch .LBB488_458
.LBB488_454:
	s_or_saveexec_b64 s[20:21], s[20:21]
	v_mov_b32_e32 v3, 0x7f800001
	s_xor_b64 exec, exec, s[20:21]
	s_cbranch_execz .LBB488_435
.LBB488_455:
	v_cmp_ne_u16_e32 vcc, 0, v2
	s_andn2_b64 s[0:1], s[0:1], exec
	s_and_b64 s[24:25], vcc, exec
	v_mov_b32_e32 v3, 0
	s_or_b64 s[0:1], s[0:1], s[24:25]
	s_or_b64 exec, exec, s[20:21]
	s_and_saveexec_b64 s[20:21], s[0:1]
	s_cbranch_execnz .LBB488_436
	s_branch .LBB488_437
.LBB488_456:
	s_mov_b64 s[18:19], -1
                                        ; implicit-def: $vgpr2
.LBB488_457:
	s_mov_b64 s[20:21], 0
.LBB488_458:
	s_and_b64 vcc, exec, s[20:21]
	s_cbranch_vccz .LBB488_462
; %bb.459:
	s_cmp_eq_u32 s26, 11
	s_cbranch_scc0 .LBB488_461
; %bb.460:
	global_load_ubyte v2, v[0:1], off
	s_mov_b64 s[0:1], -1
	s_mov_b64 s[18:19], 0
	s_waitcnt vmcnt(0)
	v_cmp_ne_u16_e32 vcc, 0, v2
	s_nop 1
	v_cndmask_b32_e64 v2, 0, 1.0, vcc
	v_lshrrev_b32_e32 v2, 16, v2
	s_branch .LBB488_462
.LBB488_461:
	s_mov_b64 s[18:19], -1
                                        ; implicit-def: $vgpr2
.LBB488_462:
	s_branch .LBB488_265
.LBB488_463:
	s_cmp_lt_i32 s26, 5
	s_cbranch_scc1 .LBB488_468
; %bb.464:
	s_cmp_lt_i32 s26, 8
	s_cbranch_scc1 .LBB488_469
; %bb.465:
	;; [unrolled: 3-line block ×3, first 2 shown]
	s_cmp_gt_i32 s26, 9
	s_cbranch_scc0 .LBB488_471
; %bb.467:
	global_load_dwordx2 v[2:3], v[0:1], off
	s_movk_i32 s0, 0x7fff
	v_mov_b32_e32 v5, 0x7fc0
	s_waitcnt vmcnt(0)
	v_cvt_f32_f64_e32 v2, v[2:3]
	v_bfe_u32 v3, v2, 16, 1
	v_cmp_o_f32_e32 vcc, v2, v2
	v_add3_u32 v2, v2, v3, s0
	s_mov_b64 s[0:1], 0
	v_cndmask_b32_sdwa v2, v5, v2, vcc dst_sel:DWORD dst_unused:UNUSED_PAD src0_sel:DWORD src1_sel:WORD_1
	s_branch .LBB488_472
.LBB488_468:
	s_mov_b64 s[0:1], -1
                                        ; implicit-def: $vgpr2
	s_branch .LBB488_490
.LBB488_469:
	s_mov_b64 s[0:1], -1
                                        ; implicit-def: $vgpr2
	s_branch .LBB488_478
.LBB488_470:
	s_mov_b64 s[0:1], -1
                                        ; implicit-def: $vgpr2
	s_branch .LBB488_475
.LBB488_471:
	s_mov_b64 s[0:1], -1
                                        ; implicit-def: $vgpr2
.LBB488_472:
	s_andn2_b64 vcc, exec, s[0:1]
	s_cbranch_vccnz .LBB488_474
; %bb.473:
	global_load_dword v2, v[0:1], off
	s_movk_i32 s0, 0x7fff
	v_mov_b32_e32 v3, 0x7fc0
	s_waitcnt vmcnt(0)
	v_bfe_u32 v5, v2, 16, 1
	v_cmp_o_f32_e32 vcc, v2, v2
	v_add3_u32 v2, v2, v5, s0
	s_nop 0
	v_cndmask_b32_sdwa v2, v3, v2, vcc dst_sel:DWORD dst_unused:UNUSED_PAD src0_sel:DWORD src1_sel:WORD_1
.LBB488_474:
	s_mov_b64 s[0:1], 0
.LBB488_475:
	s_andn2_b64 vcc, exec, s[0:1]
	s_cbranch_vccnz .LBB488_477
; %bb.476:
	global_load_dword v2, v[0:1], off
	s_movk_i32 s0, 0x7fff
	v_mov_b32_e32 v5, 0x7fc0
	s_waitcnt vmcnt(0)
	v_cvt_f32_f16_e32 v3, v2
	v_cmp_o_f16_e32 vcc, v2, v2
	v_bfe_u32 v2, v3, 16, 1
	v_add3_u32 v2, v3, v2, s0
	v_cndmask_b32_sdwa v2, v5, v2, vcc dst_sel:DWORD dst_unused:UNUSED_PAD src0_sel:DWORD src1_sel:WORD_1
.LBB488_477:
	s_mov_b64 s[0:1], 0
.LBB488_478:
	s_andn2_b64 vcc, exec, s[0:1]
	s_cbranch_vccnz .LBB488_489
; %bb.479:
	s_cmp_lt_i32 s26, 6
	s_cbranch_scc1 .LBB488_482
; %bb.480:
	s_cmp_gt_i32 s26, 6
	s_cbranch_scc0 .LBB488_483
; %bb.481:
	global_load_dwordx2 v[2:3], v[0:1], off
	s_movk_i32 s0, 0x7fff
	v_mov_b32_e32 v5, 0x7fc0
	s_waitcnt vmcnt(0)
	v_cvt_f32_f64_e32 v2, v[2:3]
	v_bfe_u32 v3, v2, 16, 1
	v_cmp_o_f32_e32 vcc, v2, v2
	v_add3_u32 v2, v2, v3, s0
	s_mov_b64 s[0:1], 0
	v_cndmask_b32_sdwa v2, v5, v2, vcc dst_sel:DWORD dst_unused:UNUSED_PAD src0_sel:DWORD src1_sel:WORD_1
	s_branch .LBB488_484
.LBB488_482:
	s_mov_b64 s[0:1], -1
                                        ; implicit-def: $vgpr2
	s_branch .LBB488_487
.LBB488_483:
	s_mov_b64 s[0:1], -1
                                        ; implicit-def: $vgpr2
.LBB488_484:
	s_andn2_b64 vcc, exec, s[0:1]
	s_cbranch_vccnz .LBB488_486
; %bb.485:
	global_load_dword v2, v[0:1], off
	s_movk_i32 s0, 0x7fff
	v_mov_b32_e32 v3, 0x7fc0
	s_waitcnt vmcnt(0)
	v_bfe_u32 v5, v2, 16, 1
	v_cmp_o_f32_e32 vcc, v2, v2
	v_add3_u32 v2, v2, v5, s0
	s_nop 0
	v_cndmask_b32_sdwa v2, v3, v2, vcc dst_sel:DWORD dst_unused:UNUSED_PAD src0_sel:DWORD src1_sel:WORD_1
.LBB488_486:
	s_mov_b64 s[0:1], 0
.LBB488_487:
	s_andn2_b64 vcc, exec, s[0:1]
	s_cbranch_vccnz .LBB488_489
; %bb.488:
	global_load_ushort v2, v[0:1], off
	s_movk_i32 s0, 0x7fff
	v_mov_b32_e32 v5, 0x7fc0
	s_waitcnt vmcnt(0)
	v_cvt_f32_f16_e32 v3, v2
	v_cmp_o_f16_e32 vcc, v2, v2
	v_bfe_u32 v2, v3, 16, 1
	v_add3_u32 v2, v3, v2, s0
	v_cndmask_b32_sdwa v2, v5, v2, vcc dst_sel:DWORD dst_unused:UNUSED_PAD src0_sel:DWORD src1_sel:WORD_1
.LBB488_489:
	s_mov_b64 s[0:1], 0
.LBB488_490:
	s_andn2_b64 vcc, exec, s[0:1]
	s_cbranch_vccnz .LBB488_510
; %bb.491:
	s_cmp_lt_i32 s26, 2
	s_cbranch_scc1 .LBB488_495
; %bb.492:
	s_cmp_lt_i32 s26, 3
	s_cbranch_scc1 .LBB488_496
; %bb.493:
	s_cmp_gt_i32 s26, 3
	s_cbranch_scc0 .LBB488_497
; %bb.494:
	global_load_dwordx2 v[2:3], v[0:1], off
	s_movk_i32 s0, 0x7fff
	s_waitcnt vmcnt(0)
	v_xor_b32_e32 v6, v2, v3
	v_ffbh_i32_e32 v5, v3
	v_ashrrev_i32_e32 v6, 31, v6
	v_add_u32_e32 v5, -1, v5
	v_add_u32_e32 v6, 32, v6
	v_min_u32_e32 v5, v5, v6
	v_lshlrev_b64 v[2:3], v5, v[2:3]
	v_min_u32_e32 v2, 1, v2
	v_or_b32_e32 v2, v3, v2
	v_cvt_f32_i32_e32 v2, v2
	v_sub_u32_e32 v3, 32, v5
	v_ldexp_f32 v2, v2, v3
	v_bfe_u32 v3, v2, 16, 1
	v_add3_u32 v2, v2, v3, s0
	v_lshrrev_b32_e32 v2, 16, v2
	s_mov_b64 s[0:1], 0
	s_branch .LBB488_498
.LBB488_495:
	s_mov_b64 s[0:1], -1
                                        ; implicit-def: $vgpr2
	s_branch .LBB488_504
.LBB488_496:
	s_mov_b64 s[0:1], -1
                                        ; implicit-def: $vgpr2
	s_branch .LBB488_501
.LBB488_497:
	s_mov_b64 s[0:1], -1
                                        ; implicit-def: $vgpr2
.LBB488_498:
	s_andn2_b64 vcc, exec, s[0:1]
	s_cbranch_vccnz .LBB488_500
; %bb.499:
	global_load_dword v2, v[0:1], off
	s_movk_i32 s0, 0x7fff
	s_waitcnt vmcnt(0)
	v_cvt_f32_i32_e32 v2, v2
	v_bfe_u32 v3, v2, 16, 1
	v_add3_u32 v2, v2, v3, s0
	v_lshrrev_b32_e32 v2, 16, v2
.LBB488_500:
	s_mov_b64 s[0:1], 0
.LBB488_501:
	s_andn2_b64 vcc, exec, s[0:1]
	s_cbranch_vccnz .LBB488_503
; %bb.502:
	global_load_sshort v2, v[0:1], off
	s_movk_i32 s0, 0x7fff
	s_waitcnt vmcnt(0)
	v_cvt_f32_i32_e32 v2, v2
	v_bfe_u32 v3, v2, 16, 1
	v_add3_u32 v2, v2, v3, s0
	v_lshrrev_b32_e32 v2, 16, v2
.LBB488_503:
	s_mov_b64 s[0:1], 0
.LBB488_504:
	s_andn2_b64 vcc, exec, s[0:1]
	s_cbranch_vccnz .LBB488_510
; %bb.505:
	s_cmp_gt_i32 s26, 0
	s_cbranch_scc0 .LBB488_507
; %bb.506:
	global_load_sbyte v2, v[0:1], off
	s_movk_i32 s0, 0x7fff
	s_waitcnt vmcnt(0)
	v_cvt_f32_i32_e32 v2, v2
	v_bfe_u32 v3, v2, 16, 1
	v_add3_u32 v2, v2, v3, s0
	v_lshrrev_b32_e32 v2, 16, v2
	s_mov_b64 s[0:1], 0
	s_branch .LBB488_508
.LBB488_507:
	s_mov_b64 s[0:1], -1
                                        ; implicit-def: $vgpr2
.LBB488_508:
	s_andn2_b64 vcc, exec, s[0:1]
	s_cbranch_vccnz .LBB488_510
; %bb.509:
	global_load_ubyte v0, v[0:1], off
	s_movk_i32 s0, 0x7fff
	s_waitcnt vmcnt(0)
	v_cvt_f32_ubyte0_e32 v0, v0
	v_bfe_u32 v1, v0, 16, 1
	v_add3_u32 v0, v0, v1, s0
	v_lshrrev_b32_e32 v2, 16, v0
.LBB488_510:
	s_branch .LBB488_266
.LBB488_511:
	s_mov_b64 s[24:25], 0
	s_mov_b64 s[0:1], s[12:13]
.LBB488_512:
                                        ; implicit-def: $vgpr4
.LBB488_513:
	s_andn2_b64 s[20:21], s[12:13], exec
	s_and_b64 s[0:1], s[0:1], exec
	s_or_b64 s[20:21], s[20:21], s[0:1]
	s_andn2_b64 s[0:1], s[14:15], exec
	s_and_b64 s[18:19], s[18:19], exec
	s_or_b64 s[18:19], s[0:1], s[18:19]
	s_orn2_b64 s[0:1], s[24:25], exec
.LBB488_514:
	s_or_b64 exec, exec, s[22:23]
	s_mov_b64 s[24:25], 0
	s_mov_b64 s[26:27], 0
	;; [unrolled: 1-line block ×3, first 2 shown]
                                        ; implicit-def: $vgpr0_vgpr1
                                        ; implicit-def: $vgpr3
	s_and_saveexec_b64 s[22:23], s[0:1]
	s_cbranch_execz .LBB488_860
; %bb.515:
	v_cmp_gt_i32_e32 vcc, s38, v4
	s_mov_b64 s[34:35], -1
	s_mov_b64 s[0:1], s[18:19]
	s_mov_b64 s[28:29], s[20:21]
	s_and_saveexec_b64 s[24:25], vcc
	s_cbranch_execz .LBB488_774
; %bb.516:
	v_mul_lo_u32 v0, v4, s9
	v_ashrrev_i32_e32 v1, 31, v0
	s_and_b32 s34, 0xffff, s43
	s_cmp_lt_i32 s34, 11
	v_lshl_add_u64 v[0:1], s[6:7], 0, v[0:1]
	s_cbranch_scc1 .LBB488_523
; %bb.517:
	s_cmp_gt_i32 s34, 25
	s_cbranch_scc0 .LBB488_524
; %bb.518:
	s_cmp_gt_i32 s34, 28
	s_cbranch_scc0 .LBB488_525
; %bb.519:
	s_cmp_gt_i32 s34, 43
	s_cbranch_scc0 .LBB488_526
; %bb.520:
	s_cmp_gt_i32 s34, 45
	s_cbranch_scc0 .LBB488_529
; %bb.521:
	s_cmp_eq_u32 s34, 46
	s_mov_b64 s[28:29], 0
	s_cbranch_scc0 .LBB488_532
; %bb.522:
	global_load_dword v2, v[0:1], off
	s_mov_b64 s[0:1], -1
	s_branch .LBB488_533
.LBB488_523:
	s_mov_b64 s[28:29], -1
	s_mov_b64 s[0:1], 0
                                        ; implicit-def: $vgpr2
	s_mov_b64 s[26:27], s[18:19]
	s_branch .LBB488_598
.LBB488_524:
	s_mov_b64 s[28:29], -1
	s_mov_b64 s[0:1], 0
	s_mov_b64 s[26:27], s[18:19]
                                        ; implicit-def: $vgpr2
	s_branch .LBB488_562
.LBB488_525:
	s_mov_b64 s[28:29], -1
	s_mov_b64 s[0:1], 0
	s_mov_b64 s[26:27], s[18:19]
                                        ; implicit-def: $vgpr2
	s_branch .LBB488_543
.LBB488_526:
	s_mov_b64 s[28:29], -1
	s_mov_b64 s[0:1], 0
	s_mov_b64 s[26:27], s[18:19]
                                        ; implicit-def: $vgpr2
	s_branch .LBB488_538
.LBB488_527:
	s_andn2_saveexec_b64 s[26:27], s[26:27]
	s_cbranch_execz .LBB488_311
.LBB488_528:
	s_mov_b32 s30, 0x46000000
	v_add_f32_e64 v5, |v6|, s30
	v_and_b32_e32 v5, 0xff, v5
	v_cmp_ne_u32_e32 vcc, 0, v5
	s_andn2_b64 s[24:25], s[24:25], exec
	s_and_b64 s[30:31], vcc, exec
	s_or_b64 s[24:25], s[24:25], s[30:31]
	s_or_b64 exec, exec, s[26:27]
	v_mov_b32_e32 v7, 0
	s_and_saveexec_b64 s[26:27], s[24:25]
	s_cbranch_execnz .LBB488_312
	s_branch .LBB488_313
.LBB488_529:
	s_mov_b64 s[28:29], -1
	s_mov_b64 s[0:1], 0
	s_mov_b64 s[26:27], s[18:19]
                                        ; implicit-def: $vgpr2
	s_branch .LBB488_533
.LBB488_530:
	s_andn2_saveexec_b64 s[26:27], s[26:27]
	s_cbranch_execz .LBB488_324
.LBB488_531:
	s_mov_b32 s30, 0x42800000
	v_add_f32_e64 v5, |v6|, s30
	v_and_b32_e32 v5, 0xff, v5
	v_cmp_ne_u32_e32 vcc, 0, v5
	s_andn2_b64 s[24:25], s[24:25], exec
	s_and_b64 s[30:31], vcc, exec
	s_or_b64 s[24:25], s[24:25], s[30:31]
	s_or_b64 exec, exec, s[26:27]
	v_mov_b32_e32 v7, 0
	s_and_saveexec_b64 s[26:27], s[24:25]
	s_cbranch_execnz .LBB488_325
	s_branch .LBB488_326
.LBB488_532:
	s_mov_b64 s[26:27], -1
                                        ; implicit-def: $vgpr2
	s_mov_b64 s[0:1], 0
.LBB488_533:
	s_and_b64 vcc, exec, s[28:29]
	s_cbranch_vccz .LBB488_537
; %bb.534:
	s_cmp_eq_u32 s34, 44
	s_cbranch_scc0 .LBB488_536
; %bb.535:
	global_load_ubyte v2, v[0:1], off
	s_movk_i32 s26, 0xff
	v_mov_b32_e32 v3, 0x7f800001
	v_mov_b32_e32 v5, 0x400000
	;; [unrolled: 1-line block ×3, first 2 shown]
	s_mov_b64 s[0:1], -1
	s_waitcnt vmcnt(0)
	v_lshlrev_b32_e32 v7, 23, v2
	v_cmp_ne_u32_e32 vcc, s26, v2
	s_mov_b64 s[26:27], 0
	s_nop 0
	v_cndmask_b32_e32 v3, v3, v7, vcc
	v_cmp_ne_u32_e32 vcc, 0, v2
	s_nop 1
	v_cndmask_b32_e32 v2, v5, v3, vcc
	v_add_u32_e32 v3, 0x7fff, v2
	v_cmp_o_f32_e32 vcc, v2, v2
	s_nop 1
	v_cndmask_b32_sdwa v2, v6, v3, vcc dst_sel:DWORD dst_unused:UNUSED_PAD src0_sel:DWORD src1_sel:WORD_1
	s_branch .LBB488_537
.LBB488_536:
	s_mov_b64 s[26:27], -1
                                        ; implicit-def: $vgpr2
.LBB488_537:
	s_mov_b64 s[28:29], 0
.LBB488_538:
	s_and_b64 vcc, exec, s[28:29]
	s_cbranch_vccz .LBB488_542
; %bb.539:
	s_cmp_eq_u32 s34, 29
	s_cbranch_scc0 .LBB488_541
; %bb.540:
	global_load_dwordx2 v[2:3], v[0:1], off
	s_movk_i32 s26, 0x7fff
	s_mov_b64 s[0:1], -1
	s_mov_b64 s[28:29], 0
	s_waitcnt vmcnt(0)
	v_ffbh_u32_e32 v5, v3
	v_min_u32_e32 v5, 32, v5
	v_lshlrev_b64 v[2:3], v5, v[2:3]
	v_min_u32_e32 v2, 1, v2
	v_or_b32_e32 v2, v3, v2
	v_cvt_f32_u32_e32 v2, v2
	v_sub_u32_e32 v3, 32, v5
	v_ldexp_f32 v2, v2, v3
	v_bfe_u32 v3, v2, 16, 1
	v_add3_u32 v2, v2, v3, s26
	v_lshrrev_b32_e32 v2, 16, v2
	s_mov_b64 s[26:27], 0
	s_branch .LBB488_543
.LBB488_541:
	s_mov_b64 s[26:27], -1
                                        ; implicit-def: $vgpr2
.LBB488_542:
	s_mov_b64 s[28:29], 0
.LBB488_543:
	s_and_b64 vcc, exec, s[28:29]
	s_cbranch_vccz .LBB488_561
; %bb.544:
	s_cmp_lt_i32 s34, 27
	s_cbranch_scc1 .LBB488_547
; %bb.545:
	s_cmp_gt_i32 s34, 27
	s_cbranch_scc0 .LBB488_548
; %bb.546:
	global_load_dword v2, v[0:1], off
	s_movk_i32 s0, 0x7fff
	s_waitcnt vmcnt(0)
	v_cvt_f32_u32_e32 v2, v2
	v_bfe_u32 v3, v2, 16, 1
	v_add3_u32 v2, v2, v3, s0
	v_lshrrev_b32_e32 v2, 16, v2
	s_mov_b64 s[0:1], 0
	s_branch .LBB488_549
.LBB488_547:
	s_mov_b64 s[0:1], -1
                                        ; implicit-def: $vgpr2
	s_branch .LBB488_552
.LBB488_548:
	s_mov_b64 s[0:1], -1
                                        ; implicit-def: $vgpr2
.LBB488_549:
	s_andn2_b64 vcc, exec, s[0:1]
	s_cbranch_vccnz .LBB488_551
; %bb.550:
	global_load_ushort v2, v[0:1], off
	s_movk_i32 s0, 0x7fff
	s_waitcnt vmcnt(0)
	v_cvt_f32_u32_e32 v2, v2
	v_bfe_u32 v3, v2, 16, 1
	v_add3_u32 v2, v2, v3, s0
	v_lshrrev_b32_e32 v2, 16, v2
.LBB488_551:
	s_mov_b64 s[0:1], 0
.LBB488_552:
	s_andn2_b64 vcc, exec, s[0:1]
	s_cbranch_vccnz .LBB488_560
; %bb.553:
	global_load_ubyte v2, v[0:1], off
	s_movk_i32 s0, 0x7f
	s_waitcnt vmcnt(0)
	v_cmp_lt_i16_e32 vcc, s0, v2
	s_mov_b64 s[0:1], 0
	s_and_saveexec_b64 s[28:29], vcc
	s_xor_b64 s[28:29], exec, s[28:29]
	s_cbranch_execz .LBB488_574
; %bb.554:
	s_movk_i32 s0, 0x80
	v_cmp_eq_u16_e32 vcc, s0, v2
	s_mov_b64 s[0:1], -1
	s_and_saveexec_b64 s[30:31], vcc
; %bb.555:
	s_xor_b64 s[0:1], exec, -1
; %bb.556:
	s_or_b64 exec, exec, s[30:31]
	s_and_b64 s[0:1], s[0:1], exec
	s_or_saveexec_b64 s[28:29], s[28:29]
	v_mov_b32_e32 v3, 0x7f800001
	s_xor_b64 exec, exec, s[28:29]
	s_cbranch_execnz .LBB488_575
.LBB488_557:
	s_or_b64 exec, exec, s[28:29]
	s_and_saveexec_b64 s[28:29], s[0:1]
	s_cbranch_execz .LBB488_559
.LBB488_558:
	v_lshlrev_b32_e32 v3, 24, v2
	v_and_b32_e32 v2, 0xffff, v2
	v_and_b32_e32 v5, 7, v2
	v_ffbh_u32_e32 v7, v5
	v_min_u32_e32 v7, 32, v7
	v_subrev_u32_e32 v8, 28, v7
	v_bfe_u32 v6, v2, 3, 4
	v_lshlrev_b32_e32 v2, v8, v2
	v_sub_u32_e32 v7, 29, v7
	v_and_b32_e32 v2, 7, v2
	v_cmp_eq_u32_e32 vcc, 0, v6
	v_and_b32_e32 v3, 0x80000000, v3
	s_nop 0
	v_cndmask_b32_e32 v6, v6, v7, vcc
	v_cndmask_b32_e32 v2, v5, v2, vcc
	v_mov_b32_e32 v5, 0x3b800000
	v_lshlrev_b32_e32 v2, 20, v2
	v_lshl_add_u32 v5, v6, 23, v5
	v_or3_b32 v3, v3, v5, v2
.LBB488_559:
	s_or_b64 exec, exec, s[28:29]
	v_bfe_u32 v2, v3, 16, 1
	s_movk_i32 s0, 0x7fff
	v_add3_u32 v2, v3, v2, s0
	v_cmp_o_f32_e32 vcc, v3, v3
	v_mov_b32_e32 v3, 0x7fc0
	s_nop 0
	v_cndmask_b32_sdwa v2, v3, v2, vcc dst_sel:DWORD dst_unused:UNUSED_PAD src0_sel:DWORD src1_sel:WORD_1
.LBB488_560:
	s_mov_b64 s[0:1], -1
.LBB488_561:
	s_mov_b64 s[28:29], 0
.LBB488_562:
	s_and_b64 vcc, exec, s[28:29]
	s_cbranch_vccz .LBB488_597
; %bb.563:
	s_cmp_gt_i32 s34, 22
	s_cbranch_scc0 .LBB488_573
; %bb.564:
	s_cmp_lt_i32 s34, 24
	s_cbranch_scc1 .LBB488_576
; %bb.565:
	s_cmp_gt_i32 s34, 24
	s_cbranch_scc0 .LBB488_577
; %bb.566:
	global_load_ubyte v2, v[0:1], off
	s_movk_i32 s0, 0x7f
	s_waitcnt vmcnt(0)
	v_cmp_lt_i16_e32 vcc, s0, v2
	s_mov_b64 s[0:1], 0
	s_and_saveexec_b64 s[28:29], vcc
	s_xor_b64 s[28:29], exec, s[28:29]
	s_cbranch_execz .LBB488_589
; %bb.567:
	s_movk_i32 s0, 0x80
	v_cmp_eq_u16_e32 vcc, s0, v2
	s_mov_b64 s[0:1], -1
	s_and_saveexec_b64 s[30:31], vcc
; %bb.568:
	s_xor_b64 s[0:1], exec, -1
; %bb.569:
	s_or_b64 exec, exec, s[30:31]
	s_and_b64 s[0:1], s[0:1], exec
	s_or_saveexec_b64 s[28:29], s[28:29]
	v_mov_b32_e32 v3, 0x7f800001
	s_xor_b64 exec, exec, s[28:29]
	s_cbranch_execnz .LBB488_590
.LBB488_570:
	s_or_b64 exec, exec, s[28:29]
	s_and_saveexec_b64 s[28:29], s[0:1]
	s_cbranch_execz .LBB488_572
.LBB488_571:
	v_lshlrev_b32_e32 v3, 24, v2
	v_and_b32_e32 v2, 0xffff, v2
	v_and_b32_e32 v5, 3, v2
	v_ffbh_u32_e32 v7, v5
	v_min_u32_e32 v7, 32, v7
	v_subrev_u32_e32 v8, 29, v7
	v_bfe_u32 v6, v2, 2, 5
	v_lshlrev_b32_e32 v2, v8, v2
	v_sub_u32_e32 v7, 30, v7
	v_and_b32_e32 v2, 3, v2
	v_cmp_eq_u32_e32 vcc, 0, v6
	v_and_b32_e32 v3, 0x80000000, v3
	s_nop 0
	v_cndmask_b32_e32 v6, v6, v7, vcc
	v_cndmask_b32_e32 v2, v5, v2, vcc
	v_mov_b32_e32 v5, 0x37800000
	v_lshlrev_b32_e32 v2, 21, v2
	v_lshl_add_u32 v5, v6, 23, v5
	v_or3_b32 v3, v3, v5, v2
.LBB488_572:
	s_or_b64 exec, exec, s[28:29]
	v_bfe_u32 v2, v3, 16, 1
	s_movk_i32 s0, 0x7fff
	v_add3_u32 v2, v3, v2, s0
	v_cmp_o_f32_e32 vcc, v3, v3
	v_mov_b32_e32 v3, 0x7fc0
	s_mov_b64 s[0:1], 0
	v_cndmask_b32_sdwa v2, v3, v2, vcc dst_sel:DWORD dst_unused:UNUSED_PAD src0_sel:DWORD src1_sel:WORD_1
	s_branch .LBB488_578
.LBB488_573:
	s_mov_b64 s[28:29], -1
                                        ; implicit-def: $vgpr2
	s_branch .LBB488_584
.LBB488_574:
	s_or_saveexec_b64 s[28:29], s[28:29]
	v_mov_b32_e32 v3, 0x7f800001
	s_xor_b64 exec, exec, s[28:29]
	s_cbranch_execz .LBB488_557
.LBB488_575:
	v_cmp_ne_u16_e32 vcc, 0, v2
	s_andn2_b64 s[0:1], s[0:1], exec
	s_and_b64 s[30:31], vcc, exec
	v_mov_b32_e32 v3, 0
	s_or_b64 s[0:1], s[0:1], s[30:31]
	s_or_b64 exec, exec, s[28:29]
	s_and_saveexec_b64 s[28:29], s[0:1]
	s_cbranch_execnz .LBB488_558
	s_branch .LBB488_559
.LBB488_576:
	s_mov_b64 s[0:1], -1
                                        ; implicit-def: $vgpr2
	s_branch .LBB488_581
.LBB488_577:
	s_mov_b64 s[0:1], -1
                                        ; implicit-def: $vgpr2
.LBB488_578:
	s_and_b64 vcc, exec, s[0:1]
	s_cbranch_vccz .LBB488_580
; %bb.579:
	global_load_ubyte v2, v[0:1], off
	s_mov_b32 s0, 0x7f800000
	s_brev_b32 s1, 1
	s_movk_i32 s28, 0x7fff
	s_waitcnt vmcnt(0)
	v_lshlrev_b32_e32 v2, 24, v2
	v_and_b32_e32 v3, 0x7f000000, v2
	v_ffbh_u32_e32 v5, v3
	v_min_u32_e32 v5, 32, v5
	v_sub_u32_e64 v5, v5, 4 clamp
	v_lshlrev_b32_e32 v7, v5, v3
	v_lshlrev_b32_e32 v5, 23, v5
	v_lshrrev_b32_e32 v7, 4, v7
	v_add_u32_e32 v6, 0x1000000, v3
	v_sub_u32_e32 v5, v7, v5
	v_ashrrev_i32_e32 v6, 8, v6
	v_add_u32_e32 v5, 0x3c000000, v5
	v_and_or_b32 v5, v6, s0, v5
	v_cmp_ne_u32_e32 vcc, 0, v3
	s_nop 1
	v_cndmask_b32_e32 v3, 0, v5, vcc
	v_and_or_b32 v2, v2, s1, v3
	v_bfe_u32 v3, v3, 16, 1
	v_add3_u32 v3, v2, v3, s28
	v_cmp_o_f32_e32 vcc, v2, v2
	v_mov_b32_e32 v2, 0x7fc0
	s_nop 0
	v_cndmask_b32_sdwa v2, v2, v3, vcc dst_sel:DWORD dst_unused:UNUSED_PAD src0_sel:DWORD src1_sel:WORD_1
.LBB488_580:
	s_mov_b64 s[0:1], 0
.LBB488_581:
	s_andn2_b64 vcc, exec, s[0:1]
	s_cbranch_vccnz .LBB488_583
; %bb.582:
	global_load_ubyte v2, v[0:1], off
	s_movk_i32 s0, 0x7f00
	s_brev_b32 s1, 16
	s_brev_b32 s28, 1
	s_movk_i32 s29, 0x7fff
	s_waitcnt vmcnt(0)
	v_lshlrev_b16_e32 v3, 8, v2
	v_lshlrev_b32_e32 v2, 25, v2
	v_lshrrev_b32_e32 v5, 4, v2
	v_and_or_b32 v6, v3, s0, 0.5
	v_or_b32_e32 v5, 0x70000000, v5
	v_add_f32_e32 v6, -0.5, v6
	v_mul_f32_e32 v5, 0x7800000, v5
	v_cmp_gt_u32_e32 vcc, s1, v2
	v_bfe_i32 v3, v3, 0, 16
	s_nop 0
	v_cndmask_b32_e32 v2, v5, v6, vcc
	v_and_or_b32 v3, v3, s28, v2
	v_bfe_u32 v2, v2, 16, 1
	v_add3_u32 v2, v3, v2, s29
	v_cmp_o_f32_e32 vcc, v3, v3
	v_mov_b32_e32 v3, 0x7fc0
	s_nop 0
	v_cndmask_b32_sdwa v2, v3, v2, vcc dst_sel:DWORD dst_unused:UNUSED_PAD src0_sel:DWORD src1_sel:WORD_1
.LBB488_583:
	s_mov_b64 s[28:29], 0
	s_mov_b64 s[0:1], -1
.LBB488_584:
	s_andn2_b64 vcc, exec, s[28:29]
	s_cbranch_vccnz .LBB488_597
; %bb.585:
	s_cmp_gt_i32 s34, 14
	s_cbranch_scc0 .LBB488_588
; %bb.586:
	s_cmp_eq_u32 s34, 15
	s_cbranch_scc0 .LBB488_591
; %bb.587:
	global_load_ushort v2, v[0:1], off
	s_mov_b64 s[0:1], -1
	s_mov_b64 s[26:27], 0
	s_branch .LBB488_592
.LBB488_588:
	s_mov_b64 s[28:29], -1
                                        ; implicit-def: $vgpr2
	s_branch .LBB488_593
.LBB488_589:
	s_or_saveexec_b64 s[28:29], s[28:29]
	v_mov_b32_e32 v3, 0x7f800001
	s_xor_b64 exec, exec, s[28:29]
	s_cbranch_execz .LBB488_570
.LBB488_590:
	v_cmp_ne_u16_e32 vcc, 0, v2
	s_andn2_b64 s[0:1], s[0:1], exec
	s_and_b64 s[30:31], vcc, exec
	v_mov_b32_e32 v3, 0
	s_or_b64 s[0:1], s[0:1], s[30:31]
	s_or_b64 exec, exec, s[28:29]
	s_and_saveexec_b64 s[28:29], s[0:1]
	s_cbranch_execnz .LBB488_571
	s_branch .LBB488_572
.LBB488_591:
	s_mov_b64 s[26:27], -1
                                        ; implicit-def: $vgpr2
.LBB488_592:
	s_mov_b64 s[28:29], 0
.LBB488_593:
	s_and_b64 vcc, exec, s[28:29]
	s_cbranch_vccz .LBB488_597
; %bb.594:
	s_cmp_eq_u32 s34, 11
	s_cbranch_scc0 .LBB488_596
; %bb.595:
	global_load_ubyte v2, v[0:1], off
	s_mov_b64 s[0:1], -1
	s_mov_b64 s[26:27], 0
	s_waitcnt vmcnt(0)
	v_cmp_ne_u16_e32 vcc, 0, v2
	s_nop 1
	v_cndmask_b32_e64 v2, 0, 1.0, vcc
	v_lshrrev_b32_e32 v2, 16, v2
	s_branch .LBB488_597
.LBB488_596:
	s_mov_b64 s[26:27], -1
                                        ; implicit-def: $vgpr2
.LBB488_597:
	s_mov_b64 s[28:29], 0
.LBB488_598:
	s_and_b64 vcc, exec, s[28:29]
	s_cbranch_vccz .LBB488_647
; %bb.599:
	s_cmp_lt_i32 s34, 5
	s_cbranch_scc1 .LBB488_604
; %bb.600:
	s_cmp_lt_i32 s34, 8
	s_cbranch_scc1 .LBB488_605
	;; [unrolled: 3-line block ×3, first 2 shown]
; %bb.602:
	s_cmp_gt_i32 s34, 9
	s_cbranch_scc0 .LBB488_607
; %bb.603:
	global_load_dwordx2 v[2:3], v[0:1], off
	s_movk_i32 s0, 0x7fff
	v_mov_b32_e32 v5, 0x7fc0
	s_waitcnt vmcnt(0)
	v_cvt_f32_f64_e32 v2, v[2:3]
	v_bfe_u32 v3, v2, 16, 1
	v_cmp_o_f32_e32 vcc, v2, v2
	v_add3_u32 v2, v2, v3, s0
	s_mov_b64 s[0:1], 0
	v_cndmask_b32_sdwa v2, v5, v2, vcc dst_sel:DWORD dst_unused:UNUSED_PAD src0_sel:DWORD src1_sel:WORD_1
	s_branch .LBB488_608
.LBB488_604:
	s_mov_b64 s[0:1], -1
                                        ; implicit-def: $vgpr2
	s_branch .LBB488_626
.LBB488_605:
	s_mov_b64 s[0:1], -1
                                        ; implicit-def: $vgpr2
	s_branch .LBB488_614
.LBB488_606:
	s_mov_b64 s[0:1], -1
                                        ; implicit-def: $vgpr2
	s_branch .LBB488_611
.LBB488_607:
	s_mov_b64 s[0:1], -1
                                        ; implicit-def: $vgpr2
.LBB488_608:
	s_andn2_b64 vcc, exec, s[0:1]
	s_cbranch_vccnz .LBB488_610
; %bb.609:
	global_load_dword v2, v[0:1], off
	s_movk_i32 s0, 0x7fff
	v_mov_b32_e32 v3, 0x7fc0
	s_waitcnt vmcnt(0)
	v_bfe_u32 v5, v2, 16, 1
	v_cmp_o_f32_e32 vcc, v2, v2
	v_add3_u32 v2, v2, v5, s0
	s_nop 0
	v_cndmask_b32_sdwa v2, v3, v2, vcc dst_sel:DWORD dst_unused:UNUSED_PAD src0_sel:DWORD src1_sel:WORD_1
.LBB488_610:
	s_mov_b64 s[0:1], 0
.LBB488_611:
	s_andn2_b64 vcc, exec, s[0:1]
	s_cbranch_vccnz .LBB488_613
; %bb.612:
	global_load_dword v2, v[0:1], off
	s_movk_i32 s0, 0x7fff
	v_mov_b32_e32 v5, 0x7fc0
	s_waitcnt vmcnt(0)
	v_cvt_f32_f16_e32 v3, v2
	v_cmp_o_f16_e32 vcc, v2, v2
	v_bfe_u32 v2, v3, 16, 1
	v_add3_u32 v2, v3, v2, s0
	v_cndmask_b32_sdwa v2, v5, v2, vcc dst_sel:DWORD dst_unused:UNUSED_PAD src0_sel:DWORD src1_sel:WORD_1
.LBB488_613:
	s_mov_b64 s[0:1], 0
.LBB488_614:
	s_andn2_b64 vcc, exec, s[0:1]
	s_cbranch_vccnz .LBB488_625
; %bb.615:
	s_cmp_lt_i32 s34, 6
	s_cbranch_scc1 .LBB488_618
; %bb.616:
	s_cmp_gt_i32 s34, 6
	s_cbranch_scc0 .LBB488_619
; %bb.617:
	global_load_dwordx2 v[2:3], v[0:1], off
	s_movk_i32 s0, 0x7fff
	v_mov_b32_e32 v5, 0x7fc0
	s_waitcnt vmcnt(0)
	v_cvt_f32_f64_e32 v2, v[2:3]
	v_bfe_u32 v3, v2, 16, 1
	v_cmp_o_f32_e32 vcc, v2, v2
	v_add3_u32 v2, v2, v3, s0
	s_mov_b64 s[0:1], 0
	v_cndmask_b32_sdwa v2, v5, v2, vcc dst_sel:DWORD dst_unused:UNUSED_PAD src0_sel:DWORD src1_sel:WORD_1
	s_branch .LBB488_620
.LBB488_618:
	s_mov_b64 s[0:1], -1
                                        ; implicit-def: $vgpr2
	s_branch .LBB488_623
.LBB488_619:
	s_mov_b64 s[0:1], -1
                                        ; implicit-def: $vgpr2
.LBB488_620:
	s_andn2_b64 vcc, exec, s[0:1]
	s_cbranch_vccnz .LBB488_622
; %bb.621:
	global_load_dword v2, v[0:1], off
	s_movk_i32 s0, 0x7fff
	v_mov_b32_e32 v3, 0x7fc0
	s_waitcnt vmcnt(0)
	v_bfe_u32 v5, v2, 16, 1
	v_cmp_o_f32_e32 vcc, v2, v2
	v_add3_u32 v2, v2, v5, s0
	s_nop 0
	v_cndmask_b32_sdwa v2, v3, v2, vcc dst_sel:DWORD dst_unused:UNUSED_PAD src0_sel:DWORD src1_sel:WORD_1
.LBB488_622:
	s_mov_b64 s[0:1], 0
.LBB488_623:
	s_andn2_b64 vcc, exec, s[0:1]
	s_cbranch_vccnz .LBB488_625
; %bb.624:
	global_load_ushort v2, v[0:1], off
	s_movk_i32 s0, 0x7fff
	v_mov_b32_e32 v5, 0x7fc0
	s_waitcnt vmcnt(0)
	v_cvt_f32_f16_e32 v3, v2
	v_cmp_o_f16_e32 vcc, v2, v2
	v_bfe_u32 v2, v3, 16, 1
	v_add3_u32 v2, v3, v2, s0
	v_cndmask_b32_sdwa v2, v5, v2, vcc dst_sel:DWORD dst_unused:UNUSED_PAD src0_sel:DWORD src1_sel:WORD_1
.LBB488_625:
	s_mov_b64 s[0:1], 0
.LBB488_626:
	s_andn2_b64 vcc, exec, s[0:1]
	s_cbranch_vccnz .LBB488_646
; %bb.627:
	s_cmp_lt_i32 s34, 2
	s_cbranch_scc1 .LBB488_631
; %bb.628:
	s_cmp_lt_i32 s34, 3
	s_cbranch_scc1 .LBB488_632
; %bb.629:
	s_cmp_gt_i32 s34, 3
	s_cbranch_scc0 .LBB488_633
; %bb.630:
	global_load_dwordx2 v[2:3], v[0:1], off
	s_movk_i32 s0, 0x7fff
	s_waitcnt vmcnt(0)
	v_xor_b32_e32 v6, v2, v3
	v_ffbh_i32_e32 v5, v3
	v_ashrrev_i32_e32 v6, 31, v6
	v_add_u32_e32 v5, -1, v5
	v_add_u32_e32 v6, 32, v6
	v_min_u32_e32 v5, v5, v6
	v_lshlrev_b64 v[2:3], v5, v[2:3]
	v_min_u32_e32 v2, 1, v2
	v_or_b32_e32 v2, v3, v2
	v_cvt_f32_i32_e32 v2, v2
	v_sub_u32_e32 v3, 32, v5
	v_ldexp_f32 v2, v2, v3
	v_bfe_u32 v3, v2, 16, 1
	v_add3_u32 v2, v2, v3, s0
	v_lshrrev_b32_e32 v2, 16, v2
	s_mov_b64 s[0:1], 0
	s_branch .LBB488_634
.LBB488_631:
	s_mov_b64 s[0:1], -1
                                        ; implicit-def: $vgpr2
	s_branch .LBB488_640
.LBB488_632:
	s_mov_b64 s[0:1], -1
                                        ; implicit-def: $vgpr2
	s_branch .LBB488_637
.LBB488_633:
	s_mov_b64 s[0:1], -1
                                        ; implicit-def: $vgpr2
.LBB488_634:
	s_andn2_b64 vcc, exec, s[0:1]
	s_cbranch_vccnz .LBB488_636
; %bb.635:
	global_load_dword v2, v[0:1], off
	s_movk_i32 s0, 0x7fff
	s_waitcnt vmcnt(0)
	v_cvt_f32_i32_e32 v2, v2
	v_bfe_u32 v3, v2, 16, 1
	v_add3_u32 v2, v2, v3, s0
	v_lshrrev_b32_e32 v2, 16, v2
.LBB488_636:
	s_mov_b64 s[0:1], 0
.LBB488_637:
	s_andn2_b64 vcc, exec, s[0:1]
	s_cbranch_vccnz .LBB488_639
; %bb.638:
	global_load_sshort v2, v[0:1], off
	s_movk_i32 s0, 0x7fff
	s_waitcnt vmcnt(0)
	v_cvt_f32_i32_e32 v2, v2
	v_bfe_u32 v3, v2, 16, 1
	v_add3_u32 v2, v2, v3, s0
	v_lshrrev_b32_e32 v2, 16, v2
.LBB488_639:
	s_mov_b64 s[0:1], 0
.LBB488_640:
	s_andn2_b64 vcc, exec, s[0:1]
	s_cbranch_vccnz .LBB488_646
; %bb.641:
	s_cmp_gt_i32 s34, 0
	s_cbranch_scc0 .LBB488_643
; %bb.642:
	global_load_sbyte v2, v[0:1], off
	s_movk_i32 s0, 0x7fff
	s_waitcnt vmcnt(0)
	v_cvt_f32_i32_e32 v2, v2
	v_bfe_u32 v3, v2, 16, 1
	v_add3_u32 v2, v2, v3, s0
	v_lshrrev_b32_e32 v2, 16, v2
	s_mov_b64 s[0:1], 0
	s_branch .LBB488_644
.LBB488_643:
	s_mov_b64 s[0:1], -1
                                        ; implicit-def: $vgpr2
.LBB488_644:
	s_andn2_b64 vcc, exec, s[0:1]
	s_cbranch_vccnz .LBB488_646
; %bb.645:
	global_load_ubyte v0, v[0:1], off
	s_movk_i32 s0, 0x7fff
	s_waitcnt vmcnt(0)
	v_cvt_f32_ubyte0_e32 v0, v0
	v_bfe_u32 v1, v0, 16, 1
	v_add3_u32 v0, v0, v1, s0
	v_lshrrev_b32_e32 v2, 16, v0
.LBB488_646:
	s_mov_b64 s[0:1], -1
.LBB488_647:
	s_andn2_b64 vcc, exec, s[0:1]
	s_cbranch_vccnz .LBB488_655
; %bb.648:
	s_waitcnt vmcnt(0)
	v_lshlrev_b32_e32 v0, 16, v2
	v_cmp_u_f32_e32 vcc, v0, v0
	v_cmp_gt_f32_e64 s[0:1], s44, v0
	v_mov_b32_e32 v0, s33
	s_or_b64 vcc, vcc, s[0:1]
	v_cndmask_b32_e32 v2, v0, v2, vcc
	v_mul_lo_u32 v0, v4, s8
	v_ashrrev_i32_e32 v1, 31, v0
	s_and_b32 s36, s42, 0xff
	s_cmp_lt_i32 s36, 11
	v_lshl_add_u64 v[0:1], s[4:5], 0, v[0:1]
	s_cbranch_scc1 .LBB488_656
; %bb.649:
	s_and_b32 s37, 0xffff, s36
	s_cmp_gt_i32 s37, 25
	s_cbranch_scc0 .LBB488_657
; %bb.650:
	s_cmp_gt_i32 s37, 28
	s_cbranch_scc0 .LBB488_658
; %bb.651:
	s_cmp_gt_i32 s37, 43
	s_cbranch_scc0 .LBB488_659
; %bb.652:
	s_cmp_gt_i32 s37, 45
	s_cbranch_scc0 .LBB488_660
; %bb.653:
	s_mov_b64 s[30:31], 0
	s_mov_b64 s[0:1], -1
	s_cmp_eq_u32 s37, 46
	s_mov_b64 s[28:29], 0
	s_cbranch_scc0 .LBB488_661
; %bb.654:
	v_and_b32_e32 v3, 0xffff, v2
	global_store_dword v[0:1], v3, off
	s_mov_b64 s[28:29], -1
	s_mov_b64 s[0:1], 0
	s_branch .LBB488_661
.LBB488_655:
	s_mov_b64 s[30:31], 0
	s_mov_b64 s[0:1], s[20:21]
	s_branch .LBB488_772
.LBB488_656:
	s_mov_b64 s[30:31], -1
	s_mov_b64 s[28:29], 0
	s_mov_b64 s[0:1], s[20:21]
	s_branch .LBB488_730
.LBB488_657:
	s_mov_b64 s[30:31], -1
	s_mov_b64 s[28:29], 0
	s_mov_b64 s[0:1], s[20:21]
	s_branch .LBB488_688
.LBB488_658:
	s_mov_b64 s[30:31], -1
	s_mov_b64 s[28:29], 0
	s_mov_b64 s[0:1], s[20:21]
	s_branch .LBB488_671
.LBB488_659:
	s_mov_b64 s[30:31], -1
	s_mov_b64 s[28:29], 0
	s_mov_b64 s[0:1], s[20:21]
	s_branch .LBB488_667
.LBB488_660:
	s_mov_b64 s[30:31], -1
	s_mov_b64 s[28:29], 0
	s_mov_b64 s[0:1], s[20:21]
.LBB488_661:
	s_and_b64 vcc, exec, s[30:31]
	s_cbranch_vccz .LBB488_666
; %bb.662:
	s_cmp_eq_u32 s37, 44
	s_mov_b64 s[0:1], -1
	s_cbranch_scc0 .LBB488_666
; %bb.663:
	v_and_b32_e32 v5, 0xffff, v2
	v_bfe_u32 v3, v5, 7, 8
	s_movk_i32 s0, 0xff
	v_cmp_ne_u32_e32 vcc, s0, v3
	v_mov_b32_e32 v6, 0xff
	s_and_saveexec_b64 s[28:29], vcc
	s_cbranch_execz .LBB488_665
; %bb.664:
	v_lshlrev_b32_e32 v7, 16, v5
	s_mov_b32 s0, 0x3f0000
	v_lshrrev_b32_e32 v6, 7, v5
	v_and_b32_e32 v5, 64, v5
	v_and_or_b32 v3, v7, s0, v3
	v_cmp_ne_u32_e32 vcc, 0, v5
	v_cmp_ne_u32_e64 s[0:1], 0, v3
	s_and_b64 s[0:1], vcc, s[0:1]
	s_nop 0
	v_cndmask_b32_e64 v3, 0, 1, s[0:1]
	v_add_u32_e32 v6, v6, v3
.LBB488_665:
	s_or_b64 exec, exec, s[28:29]
	s_mov_b64 s[28:29], -1
	s_mov_b64 s[0:1], 0
	global_store_byte v[0:1], v6, off
.LBB488_666:
	s_mov_b64 s[30:31], 0
.LBB488_667:
	s_and_b64 vcc, exec, s[30:31]
	s_cbranch_vccz .LBB488_670
; %bb.668:
	s_cmp_eq_u32 s37, 29
	s_mov_b64 s[0:1], -1
	s_cbranch_scc0 .LBB488_670
; %bb.669:
	v_lshlrev_b32_e32 v3, 16, v2
	v_trunc_f32_e32 v3, v3
	v_mul_f32_e32 v5, 0x2f800000, v3
	v_floor_f32_e32 v5, v5
	v_fmamk_f32 v3, v5, 0xcf800000, v3
	v_cvt_u32_f32_e32 v7, v5
	v_cvt_u32_f32_e32 v6, v3
	s_mov_b64 s[28:29], -1
	s_mov_b64 s[0:1], 0
	s_mov_b64 s[30:31], 0
	global_store_dwordx2 v[0:1], v[6:7], off
	s_branch .LBB488_671
.LBB488_670:
	s_mov_b64 s[30:31], 0
.LBB488_671:
	s_and_b64 vcc, exec, s[30:31]
	s_cbranch_vccz .LBB488_687
; %bb.672:
	s_cmp_lt_i32 s37, 27
	s_mov_b64 s[28:29], -1
	s_cbranch_scc1 .LBB488_678
; %bb.673:
	s_cmp_gt_i32 s37, 27
	s_cbranch_scc0 .LBB488_675
; %bb.674:
	v_lshlrev_b32_e32 v3, 16, v2
	v_cvt_u32_f32_e32 v3, v3
	s_mov_b64 s[28:29], 0
	global_store_dword v[0:1], v3, off
.LBB488_675:
	s_andn2_b64 vcc, exec, s[28:29]
	s_cbranch_vccnz .LBB488_677
; %bb.676:
	v_lshlrev_b32_e32 v3, 16, v2
	v_cvt_u32_f32_e32 v3, v3
	global_store_short v[0:1], v3, off
.LBB488_677:
	s_mov_b64 s[28:29], 0
.LBB488_678:
	s_andn2_b64 vcc, exec, s[28:29]
	s_cbranch_vccnz .LBB488_686
; %bb.679:
	v_lshlrev_b32_e32 v6, 16, v2
	v_and_b32_e32 v5, 0x7fffffff, v6
	s_mov_b32 s28, 0x43800000
	v_cmp_gt_u32_e32 vcc, s28, v5
	v_mov_b32_e32 v7, 0x80
	s_and_saveexec_b64 s[28:29], vcc
	s_cbranch_execz .LBB488_685
; %bb.680:
	s_mov_b32 s30, 0x3bffffff
	v_and_b32_e32 v3, 0xffff, v2
	v_cmp_lt_u32_e32 vcc, s30, v5
	s_mov_b64 s[30:31], 0
                                        ; implicit-def: $vgpr5
	s_and_saveexec_b64 s[34:35], vcc
	s_xor_b64 s[34:35], exec, s[34:35]
	s_cbranch_execz .LBB488_787
; %bb.681:
	v_bfe_u32 v5, v3, 4, 1
	s_mov_b32 s39, 0x487ffff
	v_add3_u32 v5, v6, v5, s39
	s_mov_b64 s[30:31], exec
	v_lshrrev_b32_e32 v5, 20, v5
                                        ; implicit-def: $vgpr6
	s_andn2_saveexec_b64 s[34:35], s[34:35]
	s_cbranch_execnz .LBB488_788
.LBB488_682:
	s_or_b64 exec, exec, s[34:35]
	v_mov_b32_e32 v7, 0
	s_and_saveexec_b64 s[34:35], s[30:31]
.LBB488_683:
	v_lshrrev_b32_e32 v3, 8, v3
	s_movk_i32 s30, 0x80
	v_and_or_b32 v7, v3, s30, v5
.LBB488_684:
	s_or_b64 exec, exec, s[34:35]
.LBB488_685:
	s_or_b64 exec, exec, s[28:29]
	global_store_byte v[0:1], v7, off
.LBB488_686:
	s_mov_b64 s[28:29], -1
.LBB488_687:
	s_mov_b64 s[30:31], 0
.LBB488_688:
	s_and_b64 vcc, exec, s[30:31]
	s_cbranch_vccz .LBB488_729
; %bb.689:
	s_cmp_gt_i32 s37, 22
	s_mov_b64 s[30:31], -1
	s_cbranch_scc0 .LBB488_721
; %bb.690:
	s_cmp_lt_i32 s37, 24
	s_mov_b64 s[28:29], -1
	s_cbranch_scc1 .LBB488_710
; %bb.691:
	s_cmp_gt_i32 s37, 24
	s_cbranch_scc0 .LBB488_699
; %bb.692:
	v_lshlrev_b32_e32 v6, 16, v2
	v_and_b32_e32 v5, 0x7fffffff, v6
	s_mov_b32 s28, 0x47800000
	v_cmp_gt_u32_e32 vcc, s28, v5
	v_mov_b32_e32 v7, 0x80
	s_and_saveexec_b64 s[28:29], vcc
	s_cbranch_execz .LBB488_698
; %bb.693:
	s_mov_b32 s30, 0x37ffffff
	v_and_b32_e32 v3, 0xffff, v2
	v_cmp_lt_u32_e32 vcc, s30, v5
	s_mov_b64 s[30:31], 0
                                        ; implicit-def: $vgpr5
	s_and_saveexec_b64 s[34:35], vcc
	s_xor_b64 s[34:35], exec, s[34:35]
	s_cbranch_execz .LBB488_790
; %bb.694:
	v_bfe_u32 v5, v3, 5, 1
	s_mov_b32 s39, 0x88fffff
	v_add3_u32 v5, v6, v5, s39
	s_mov_b64 s[30:31], exec
	v_lshrrev_b32_e32 v5, 21, v5
                                        ; implicit-def: $vgpr6
	s_andn2_saveexec_b64 s[34:35], s[34:35]
	s_cbranch_execnz .LBB488_791
.LBB488_695:
	s_or_b64 exec, exec, s[34:35]
	v_mov_b32_e32 v7, 0
	s_and_saveexec_b64 s[34:35], s[30:31]
.LBB488_696:
	v_lshrrev_b32_e32 v3, 8, v3
	s_movk_i32 s30, 0x80
	v_and_or_b32 v7, v3, s30, v5
.LBB488_697:
	s_or_b64 exec, exec, s[34:35]
.LBB488_698:
	s_or_b64 exec, exec, s[28:29]
	s_mov_b64 s[28:29], 0
	global_store_byte v[0:1], v7, off
.LBB488_699:
	s_and_b64 vcc, exec, s[28:29]
	s_cbranch_vccz .LBB488_709
; %bb.700:
	v_lshlrev_b32_e32 v6, 16, v2
	v_and_b32_e32 v7, 0x7fffffff, v6
	s_mov_b32 s28, 0x43f00000
	v_and_b32_e32 v3, 0xffff, v2
	v_cmp_gt_u32_e32 vcc, s28, v7
                                        ; implicit-def: $vgpr5
	s_and_saveexec_b64 s[28:29], vcc
	s_xor_b64 s[28:29], exec, s[28:29]
	s_cbranch_execz .LBB488_706
; %bb.701:
	s_mov_b32 s30, 0x3c7fffff
	v_cmp_lt_u32_e32 vcc, s30, v7
                                        ; implicit-def: $vgpr5
	s_and_saveexec_b64 s[30:31], vcc
	s_xor_b64 s[30:31], exec, s[30:31]
; %bb.702:
	v_bfe_u32 v5, v3, 4, 1
	s_mov_b32 s34, 0x407ffff
	v_add3_u32 v5, v6, v5, s34
	v_lshrrev_b32_e32 v6, 20, v5
	v_and_b32_e32 v5, 0xff00000, v5
	s_mov_b32 s34, 0x7f00000
	v_mov_b32_e32 v7, 0x7e
	v_cmp_ne_u32_e32 vcc, s34, v5
	s_nop 1
	v_cndmask_b32_e32 v5, v7, v6, vcc
                                        ; implicit-def: $vgpr6
; %bb.703:
	s_andn2_saveexec_b64 s[30:31], s[30:31]
; %bb.704:
	s_mov_b32 s34, 0x46800000
	v_add_f32_e64 v5, |v6|, s34
; %bb.705:
	s_or_b64 exec, exec, s[30:31]
                                        ; implicit-def: $vgpr7
.LBB488_706:
	s_andn2_saveexec_b64 s[28:29], s[28:29]
; %bb.707:
	s_mov_b32 s30, 0x7f800000
	v_mov_b32_e32 v5, 0x7e
	v_mov_b32_e32 v6, 0x7f
	v_cmp_lt_u32_e32 vcc, s30, v7
	s_nop 1
	v_cndmask_b32_e32 v5, v5, v6, vcc
; %bb.708:
	s_or_b64 exec, exec, s[28:29]
	v_lshrrev_b32_e32 v3, 8, v3
	s_movk_i32 s28, 0x80
	v_and_or_b32 v3, v3, s28, v5
	global_store_byte v[0:1], v3, off
.LBB488_709:
	s_mov_b64 s[28:29], 0
.LBB488_710:
	s_andn2_b64 vcc, exec, s[28:29]
	s_cbranch_vccnz .LBB488_720
; %bb.711:
	v_lshlrev_b32_e32 v6, 16, v2
	v_and_b32_e32 v7, 0x7fffffff, v6
	s_mov_b32 s28, 0x47800000
	v_and_b32_e32 v3, 0xffff, v2
	v_cmp_gt_u32_e32 vcc, s28, v7
                                        ; implicit-def: $vgpr5
	s_and_saveexec_b64 s[28:29], vcc
	s_xor_b64 s[28:29], exec, s[28:29]
	s_cbranch_execz .LBB488_717
; %bb.712:
	s_mov_b32 s30, 0x387fffff
	v_cmp_lt_u32_e32 vcc, s30, v7
                                        ; implicit-def: $vgpr5
	s_and_saveexec_b64 s[30:31], vcc
	s_xor_b64 s[30:31], exec, s[30:31]
; %bb.713:
	v_bfe_u32 v5, v3, 5, 1
	s_mov_b32 s34, 0x80fffff
	v_add3_u32 v5, v6, v5, s34
	v_lshrrev_b32_e32 v5, 21, v5
                                        ; implicit-def: $vgpr6
; %bb.714:
	s_andn2_saveexec_b64 s[30:31], s[30:31]
; %bb.715:
	s_mov_b32 s34, 0x43000000
	v_add_f32_e64 v5, |v6|, s34
; %bb.716:
	s_or_b64 exec, exec, s[30:31]
                                        ; implicit-def: $vgpr7
.LBB488_717:
	s_andn2_saveexec_b64 s[28:29], s[28:29]
; %bb.718:
	s_mov_b32 s30, 0x7f800000
	v_mov_b32_e32 v5, 0x7c
	v_mov_b32_e32 v6, 0x7f
	v_cmp_lt_u32_e32 vcc, s30, v7
	s_nop 1
	v_cndmask_b32_e32 v5, v5, v6, vcc
; %bb.719:
	s_or_b64 exec, exec, s[28:29]
	v_lshrrev_b32_e32 v3, 8, v3
	s_movk_i32 s28, 0x80
	v_and_or_b32 v3, v3, s28, v5
	global_store_byte v[0:1], v3, off
.LBB488_720:
	s_mov_b64 s[30:31], 0
	s_mov_b64 s[28:29], -1
.LBB488_721:
	s_andn2_b64 vcc, exec, s[30:31]
	s_cbranch_vccnz .LBB488_729
; %bb.722:
	s_cmp_gt_i32 s37, 14
	s_mov_b64 s[30:31], -1
	s_cbranch_scc0 .LBB488_726
; %bb.723:
	s_cmp_eq_u32 s37, 15
	s_mov_b64 s[0:1], -1
	s_cbranch_scc0 .LBB488_725
; %bb.724:
	global_store_short v[0:1], v2, off
	s_mov_b64 s[28:29], -1
	s_mov_b64 s[0:1], 0
.LBB488_725:
	s_mov_b64 s[30:31], 0
.LBB488_726:
	s_and_b64 vcc, exec, s[30:31]
	s_cbranch_vccz .LBB488_729
; %bb.727:
	s_cmp_eq_u32 s37, 11
	s_mov_b64 s[0:1], -1
	s_cbranch_scc0 .LBB488_729
; %bb.728:
	v_and_b32_e32 v3, 0x7fff, v2
	v_cmp_ne_u16_e32 vcc, 0, v3
	s_mov_b64 s[28:29], -1
	s_mov_b64 s[0:1], 0
	v_cndmask_b32_e64 v3, 0, 1, vcc
	global_store_byte v[0:1], v3, off
.LBB488_729:
	s_mov_b64 s[30:31], 0
.LBB488_730:
	s_and_b64 vcc, exec, s[30:31]
	s_cbranch_vccz .LBB488_769
; %bb.731:
	s_and_b32 s30, 0xffff, s36
	s_cmp_lt_i32 s30, 5
	s_mov_b64 s[28:29], -1
	s_cbranch_scc1 .LBB488_752
; %bb.732:
	s_cmp_lt_i32 s30, 8
	s_cbranch_scc1 .LBB488_742
; %bb.733:
	s_cmp_lt_i32 s30, 9
	s_cbranch_scc1 .LBB488_739
; %bb.734:
	s_cmp_gt_i32 s30, 9
	s_cbranch_scc0 .LBB488_736
; %bb.735:
	v_lshlrev_b32_e32 v3, 16, v2
	v_mov_b32_e32 v8, 0
	v_cvt_f64_f32_e32 v[6:7], v3
	v_mov_b32_e32 v9, v8
	s_mov_b64 s[28:29], 0
	global_store_dwordx4 v[0:1], v[6:9], off
.LBB488_736:
	s_andn2_b64 vcc, exec, s[28:29]
	s_cbranch_vccnz .LBB488_738
; %bb.737:
	v_lshlrev_b32_e32 v6, 16, v2
	v_mov_b32_e32 v7, 0
	global_store_dwordx2 v[0:1], v[6:7], off
.LBB488_738:
	s_mov_b64 s[28:29], 0
.LBB488_739:
	s_andn2_b64 vcc, exec, s[28:29]
	s_cbranch_vccnz .LBB488_741
; %bb.740:
	v_lshlrev_b32_e32 v3, 16, v2
	v_cvt_f16_f32_e32 v3, v3
	global_store_dword v[0:1], v3, off
.LBB488_741:
	s_mov_b64 s[28:29], 0
.LBB488_742:
	s_andn2_b64 vcc, exec, s[28:29]
	s_cbranch_vccnz .LBB488_751
; %bb.743:
	s_cmp_lt_i32 s30, 6
	s_mov_b64 s[28:29], -1
	s_cbranch_scc1 .LBB488_749
; %bb.744:
	s_cmp_gt_i32 s30, 6
	s_cbranch_scc0 .LBB488_746
; %bb.745:
	v_lshlrev_b32_e32 v3, 16, v2
	v_cvt_f64_f32_e32 v[6:7], v3
	s_mov_b64 s[28:29], 0
	global_store_dwordx2 v[0:1], v[6:7], off
.LBB488_746:
	s_andn2_b64 vcc, exec, s[28:29]
	s_cbranch_vccnz .LBB488_748
; %bb.747:
	v_lshlrev_b32_e32 v3, 16, v2
	global_store_dword v[0:1], v3, off
.LBB488_748:
	s_mov_b64 s[28:29], 0
.LBB488_749:
	s_andn2_b64 vcc, exec, s[28:29]
	s_cbranch_vccnz .LBB488_751
; %bb.750:
	v_lshlrev_b32_e32 v3, 16, v2
	v_cvt_f16_f32_e32 v3, v3
	global_store_short v[0:1], v3, off
.LBB488_751:
	s_mov_b64 s[28:29], 0
.LBB488_752:
	s_andn2_b64 vcc, exec, s[28:29]
	s_cbranch_vccnz .LBB488_768
; %bb.753:
	s_cmp_lt_i32 s30, 2
	s_mov_b64 s[28:29], -1
	s_cbranch_scc1 .LBB488_763
; %bb.754:
	s_cmp_lt_i32 s30, 3
	s_cbranch_scc1 .LBB488_760
; %bb.755:
	s_cmp_gt_i32 s30, 3
	s_cbranch_scc0 .LBB488_757
; %bb.756:
	v_lshlrev_b32_e32 v3, 16, v2
	v_trunc_f32_e32 v3, v3
	s_mov_b32 s28, 0x2f800000
	v_mul_f32_e64 v5, |v3|, s28
	v_floor_f32_e32 v5, v5
	s_mov_b32 s28, 0xcf800000
	v_cvt_u32_f32_e32 v6, v5
	v_fma_f32 v5, v5, s28, |v3|
	v_cvt_u32_f32_e32 v5, v5
	v_ashrrev_i32_e32 v3, 31, v3
	v_xor_b32_e32 v7, v6, v3
	s_mov_b64 s[28:29], 0
	v_xor_b32_e32 v5, v5, v3
	v_sub_co_u32_e32 v6, vcc, v5, v3
	s_nop 1
	v_subb_co_u32_e32 v7, vcc, v7, v3, vcc
	global_store_dwordx2 v[0:1], v[6:7], off
.LBB488_757:
	s_andn2_b64 vcc, exec, s[28:29]
	s_cbranch_vccnz .LBB488_759
; %bb.758:
	v_lshlrev_b32_e32 v3, 16, v2
	v_cvt_i32_f32_e32 v3, v3
	global_store_dword v[0:1], v3, off
.LBB488_759:
	s_mov_b64 s[28:29], 0
.LBB488_760:
	s_andn2_b64 vcc, exec, s[28:29]
	s_cbranch_vccnz .LBB488_762
; %bb.761:
	v_lshlrev_b32_e32 v3, 16, v2
	v_cvt_i32_f32_e32 v3, v3
	global_store_short v[0:1], v3, off
.LBB488_762:
	s_mov_b64 s[28:29], 0
.LBB488_763:
	s_andn2_b64 vcc, exec, s[28:29]
	s_cbranch_vccnz .LBB488_768
; %bb.764:
	s_mov_b64 s[28:29], -1
	s_cmp_gt_i32 s30, 0
	v_lshlrev_b32_e32 v2, 16, v2
	s_cbranch_scc0 .LBB488_766
; %bb.765:
	v_cvt_i32_f32_e32 v3, v2
	s_mov_b64 s[28:29], 0
	global_store_byte v[0:1], v3, off
.LBB488_766:
	s_andn2_b64 vcc, exec, s[28:29]
	s_cbranch_vccnz .LBB488_768
; %bb.767:
	v_trunc_f32_e32 v2, v2
	s_mov_b32 s28, 0x2f800000
	v_mul_f32_e64 v3, |v2|, s28
	v_floor_f32_e32 v3, v3
	s_mov_b32 s28, 0xcf800000
	v_fma_f32 v3, v3, s28, |v2|
	v_cvt_u32_f32_e32 v3, v3
	v_ashrrev_i32_e32 v2, 31, v2
	v_xor_b32_e32 v3, v3, v2
	v_sub_u32_e32 v2, v3, v2
	global_store_byte v[0:1], v2, off
.LBB488_768:
	s_mov_b64 s[28:29], -1
.LBB488_769:
	s_andn2_b64 vcc, exec, s[28:29]
	s_cbranch_vccnz .LBB488_771
; %bb.770:
	v_add_u32_e32 v4, 0x80, v4
	s_mov_b64 s[30:31], -1
	s_branch .LBB488_773
.LBB488_771:
	s_mov_b64 s[30:31], 0
.LBB488_772:
                                        ; implicit-def: $vgpr4
.LBB488_773:
	s_andn2_b64 s[28:29], s[20:21], exec
	s_and_b64 s[0:1], s[0:1], exec
	s_or_b64 s[28:29], s[28:29], s[0:1]
	s_andn2_b64 s[0:1], s[18:19], exec
	s_and_b64 s[26:27], s[26:27], exec
	s_or_b64 s[0:1], s[0:1], s[26:27]
	s_orn2_b64 s[34:35], s[30:31], exec
.LBB488_774:
	s_or_b64 exec, exec, s[24:25]
	s_mov_b64 s[30:31], 0
	s_mov_b64 s[26:27], 0
	;; [unrolled: 1-line block ×3, first 2 shown]
                                        ; implicit-def: $vgpr0_vgpr1
                                        ; implicit-def: $vgpr3
	s_and_saveexec_b64 s[24:25], s[34:35]
	s_cbranch_execz .LBB488_859
; %bb.775:
	v_cmp_gt_i32_e32 vcc, s38, v4
	s_mov_b64 s[34:35], 0
	s_mov_b64 s[38:39], s[0:1]
	;; [unrolled: 1-line block ×3, first 2 shown]
                                        ; implicit-def: $vgpr0_vgpr1
                                        ; implicit-def: $vgpr3
	s_and_saveexec_b64 s[26:27], vcc
	s_cbranch_execz .LBB488_858
; %bb.776:
	v_mul_lo_u32 v0, v4, s9
	v_ashrrev_i32_e32 v1, 31, v0
	s_and_b32 s45, 0xffff, s43
	s_cmp_lt_i32 s45, 11
	v_lshl_add_u64 v[0:1], s[6:7], 0, v[0:1]
	s_cbranch_scc1 .LBB488_783
; %bb.777:
	s_cmp_gt_i32 s45, 25
	s_cbranch_scc0 .LBB488_784
; %bb.778:
	s_cmp_gt_i32 s45, 28
	s_cbranch_scc0 .LBB488_785
	;; [unrolled: 3-line block ×4, first 2 shown]
; %bb.781:
	s_cmp_eq_u32 s45, 46
	s_mov_b64 s[38:39], 0
	s_cbranch_scc0 .LBB488_792
; %bb.782:
	global_load_dword v3, v[0:1], off
	s_mov_b64 s[36:37], -1
	s_branch .LBB488_794
.LBB488_783:
	s_mov_b64 s[38:39], -1
                                        ; implicit-def: $vgpr3
	s_mov_b64 s[30:31], s[0:1]
	s_branch .LBB488_857
.LBB488_784:
	s_mov_b64 s[38:39], -1
	s_mov_b64 s[30:31], s[0:1]
                                        ; implicit-def: $vgpr3
	s_branch .LBB488_823
.LBB488_785:
	s_mov_b64 s[38:39], -1
	s_mov_b64 s[30:31], s[0:1]
                                        ; implicit-def: $vgpr3
	s_branch .LBB488_804
.LBB488_786:
	s_mov_b64 s[38:39], -1
	s_mov_b64 s[30:31], s[0:1]
                                        ; implicit-def: $vgpr3
	s_branch .LBB488_799
.LBB488_787:
	s_andn2_saveexec_b64 s[34:35], s[34:35]
	s_cbranch_execz .LBB488_682
.LBB488_788:
	s_mov_b32 s39, 0x46000000
	v_add_f32_e64 v5, |v6|, s39
	v_and_b32_e32 v5, 0xff, v5
	v_cmp_ne_u32_e32 vcc, 0, v5
	s_andn2_b64 s[30:31], s[30:31], exec
	s_and_b64 s[40:41], vcc, exec
	s_or_b64 s[30:31], s[30:31], s[40:41]
	s_or_b64 exec, exec, s[34:35]
	v_mov_b32_e32 v7, 0
	s_and_saveexec_b64 s[34:35], s[30:31]
	s_cbranch_execnz .LBB488_683
	s_branch .LBB488_684
.LBB488_789:
	s_mov_b64 s[38:39], -1
	s_mov_b64 s[30:31], s[0:1]
	s_branch .LBB488_793
.LBB488_790:
	s_andn2_saveexec_b64 s[34:35], s[34:35]
	s_cbranch_execz .LBB488_695
.LBB488_791:
	s_mov_b32 s39, 0x42800000
	v_add_f32_e64 v5, |v6|, s39
	v_and_b32_e32 v5, 0xff, v5
	v_cmp_ne_u32_e32 vcc, 0, v5
	s_andn2_b64 s[30:31], s[30:31], exec
	s_and_b64 s[40:41], vcc, exec
	s_or_b64 s[30:31], s[30:31], s[40:41]
	s_or_b64 exec, exec, s[34:35]
	v_mov_b32_e32 v7, 0
	s_and_saveexec_b64 s[34:35], s[30:31]
	s_cbranch_execnz .LBB488_696
	s_branch .LBB488_697
.LBB488_792:
	s_mov_b64 s[30:31], -1
.LBB488_793:
                                        ; implicit-def: $vgpr3
.LBB488_794:
	s_and_b64 vcc, exec, s[38:39]
	s_cbranch_vccz .LBB488_798
; %bb.795:
	s_cmp_eq_u32 s45, 44
	s_cbranch_scc0 .LBB488_797
; %bb.796:
	global_load_ubyte v2, v[0:1], off
	s_movk_i32 s36, 0xff
	s_waitcnt vmcnt(1)
	v_mov_b32_e32 v3, 0x7f800001
	v_mov_b32_e32 v5, 0x400000
	;; [unrolled: 1-line block ×3, first 2 shown]
	s_mov_b64 s[30:31], 0
	s_waitcnt vmcnt(0)
	v_lshlrev_b32_e32 v7, 23, v2
	v_cmp_ne_u32_e32 vcc, s36, v2
	s_mov_b64 s[36:37], -1
	s_nop 0
	v_cndmask_b32_e32 v3, v3, v7, vcc
	v_cmp_ne_u32_e32 vcc, 0, v2
	s_nop 1
	v_cndmask_b32_e32 v2, v5, v3, vcc
	v_add_u32_e32 v3, 0x7fff, v2
	v_cmp_o_f32_e32 vcc, v2, v2
	s_nop 1
	v_cndmask_b32_sdwa v3, v6, v3, vcc dst_sel:DWORD dst_unused:UNUSED_PAD src0_sel:DWORD src1_sel:WORD_1
	s_branch .LBB488_798
.LBB488_797:
	s_mov_b64 s[30:31], -1
                                        ; implicit-def: $vgpr3
.LBB488_798:
	s_mov_b64 s[38:39], 0
.LBB488_799:
	s_and_b64 vcc, exec, s[38:39]
	s_cbranch_vccz .LBB488_803
; %bb.800:
	s_cmp_eq_u32 s45, 29
	s_cbranch_scc0 .LBB488_802
; %bb.801:
	global_load_dwordx2 v[2:3], v[0:1], off
	s_movk_i32 s36, 0x7fff
	s_mov_b64 s[30:31], 0
	s_mov_b64 s[38:39], 0
	s_waitcnt vmcnt(0)
	v_ffbh_u32_e32 v5, v3
	v_min_u32_e32 v5, 32, v5
	v_lshlrev_b64 v[2:3], v5, v[2:3]
	v_min_u32_e32 v2, 1, v2
	v_or_b32_e32 v2, v3, v2
	v_cvt_f32_u32_e32 v2, v2
	v_sub_u32_e32 v3, 32, v5
	v_ldexp_f32 v2, v2, v3
	v_bfe_u32 v3, v2, 16, 1
	v_add3_u32 v2, v2, v3, s36
	v_lshrrev_b32_e32 v3, 16, v2
	s_mov_b64 s[36:37], -1
	s_branch .LBB488_804
.LBB488_802:
	s_mov_b64 s[30:31], -1
                                        ; implicit-def: $vgpr3
.LBB488_803:
	s_mov_b64 s[38:39], 0
.LBB488_804:
	s_and_b64 vcc, exec, s[38:39]
	s_cbranch_vccz .LBB488_822
; %bb.805:
	s_cmp_lt_i32 s45, 27
	s_cbranch_scc1 .LBB488_808
; %bb.806:
	s_cmp_gt_i32 s45, 27
	s_cbranch_scc0 .LBB488_809
; %bb.807:
	global_load_dword v2, v[0:1], off
	s_movk_i32 s36, 0x7fff
	s_waitcnt vmcnt(0)
	v_cvt_f32_u32_e32 v2, v2
	v_bfe_u32 v3, v2, 16, 1
	v_add3_u32 v2, v2, v3, s36
	v_lshrrev_b32_e32 v3, 16, v2
	s_mov_b64 s[36:37], 0
	s_branch .LBB488_810
.LBB488_808:
	s_mov_b64 s[36:37], -1
                                        ; implicit-def: $vgpr3
	s_branch .LBB488_813
.LBB488_809:
	s_mov_b64 s[36:37], -1
                                        ; implicit-def: $vgpr3
.LBB488_810:
	s_andn2_b64 vcc, exec, s[36:37]
	s_cbranch_vccnz .LBB488_812
; %bb.811:
	global_load_ushort v2, v[0:1], off
	s_movk_i32 s36, 0x7fff
	s_waitcnt vmcnt(0)
	v_cvt_f32_u32_e32 v2, v2
	v_bfe_u32 v3, v2, 16, 1
	v_add3_u32 v2, v2, v3, s36
	v_lshrrev_b32_e32 v3, 16, v2
.LBB488_812:
	s_mov_b64 s[36:37], 0
.LBB488_813:
	s_andn2_b64 vcc, exec, s[36:37]
	s_cbranch_vccnz .LBB488_821
; %bb.814:
	global_load_ubyte v2, v[0:1], off
	s_movk_i32 s36, 0x7f
	s_waitcnt vmcnt(0)
	v_cmp_lt_i16_e32 vcc, s36, v2
	s_mov_b64 s[36:37], 0
	s_and_saveexec_b64 s[38:39], vcc
	s_xor_b64 s[38:39], exec, s[38:39]
	s_cbranch_execz .LBB488_835
; %bb.815:
	s_movk_i32 s36, 0x80
	v_cmp_eq_u16_e32 vcc, s36, v2
	s_mov_b64 s[36:37], -1
	s_and_saveexec_b64 s[40:41], vcc
; %bb.816:
	s_xor_b64 s[36:37], exec, -1
; %bb.817:
	s_or_b64 exec, exec, s[40:41]
	s_and_b64 s[36:37], s[36:37], exec
	s_or_saveexec_b64 s[38:39], s[38:39]
	v_mov_b32_e32 v3, 0x7f800001
	s_xor_b64 exec, exec, s[38:39]
	s_cbranch_execnz .LBB488_836
.LBB488_818:
	s_or_b64 exec, exec, s[38:39]
	s_and_saveexec_b64 s[38:39], s[36:37]
	s_cbranch_execz .LBB488_820
.LBB488_819:
	v_lshlrev_b32_e32 v3, 24, v2
	v_and_b32_e32 v2, 0xffff, v2
	v_and_b32_e32 v5, 7, v2
	v_ffbh_u32_e32 v7, v5
	v_min_u32_e32 v7, 32, v7
	v_subrev_u32_e32 v8, 28, v7
	v_bfe_u32 v6, v2, 3, 4
	v_lshlrev_b32_e32 v2, v8, v2
	v_sub_u32_e32 v7, 29, v7
	v_and_b32_e32 v2, 7, v2
	v_cmp_eq_u32_e32 vcc, 0, v6
	v_and_b32_e32 v3, 0x80000000, v3
	s_nop 0
	v_cndmask_b32_e32 v6, v6, v7, vcc
	v_cndmask_b32_e32 v2, v5, v2, vcc
	v_mov_b32_e32 v5, 0x3b800000
	v_lshlrev_b32_e32 v2, 20, v2
	v_lshl_add_u32 v5, v6, 23, v5
	v_or3_b32 v3, v3, v5, v2
.LBB488_820:
	s_or_b64 exec, exec, s[38:39]
	v_bfe_u32 v2, v3, 16, 1
	s_movk_i32 s36, 0x7fff
	v_add3_u32 v2, v3, v2, s36
	v_cmp_o_f32_e32 vcc, v3, v3
	v_mov_b32_e32 v3, 0x7fc0
	s_nop 0
	v_cndmask_b32_sdwa v3, v3, v2, vcc dst_sel:DWORD dst_unused:UNUSED_PAD src0_sel:DWORD src1_sel:WORD_1
.LBB488_821:
	s_mov_b64 s[36:37], -1
.LBB488_822:
	s_mov_b64 s[38:39], 0
.LBB488_823:
	s_and_b64 vcc, exec, s[38:39]
	s_cbranch_vccz .LBB488_856
; %bb.824:
	s_cmp_gt_i32 s45, 22
	s_cbranch_scc0 .LBB488_834
; %bb.825:
	s_cmp_lt_i32 s45, 24
	s_cbranch_scc1 .LBB488_837
; %bb.826:
	s_cmp_gt_i32 s45, 24
	s_cbranch_scc0 .LBB488_838
; %bb.827:
	global_load_ubyte v2, v[0:1], off
	s_movk_i32 s34, 0x7f
	s_waitcnt vmcnt(0)
	v_cmp_lt_i16_e32 vcc, s34, v2
	s_mov_b64 s[34:35], 0
	s_and_saveexec_b64 s[36:37], vcc
	s_xor_b64 s[36:37], exec, s[36:37]
	s_cbranch_execz .LBB488_850
; %bb.828:
	s_movk_i32 s34, 0x80
	v_cmp_eq_u16_e32 vcc, s34, v2
	s_mov_b64 s[34:35], -1
	s_and_saveexec_b64 s[38:39], vcc
; %bb.829:
	s_xor_b64 s[34:35], exec, -1
; %bb.830:
	s_or_b64 exec, exec, s[38:39]
	s_and_b64 s[34:35], s[34:35], exec
	s_or_saveexec_b64 s[36:37], s[36:37]
	v_mov_b32_e32 v3, 0x7f800001
	s_xor_b64 exec, exec, s[36:37]
	s_cbranch_execnz .LBB488_851
.LBB488_831:
	s_or_b64 exec, exec, s[36:37]
	s_and_saveexec_b64 s[36:37], s[34:35]
	s_cbranch_execz .LBB488_833
.LBB488_832:
	v_lshlrev_b32_e32 v3, 24, v2
	v_and_b32_e32 v2, 0xffff, v2
	v_and_b32_e32 v5, 3, v2
	v_ffbh_u32_e32 v7, v5
	v_min_u32_e32 v7, 32, v7
	v_subrev_u32_e32 v8, 29, v7
	v_bfe_u32 v6, v2, 2, 5
	v_lshlrev_b32_e32 v2, v8, v2
	v_sub_u32_e32 v7, 30, v7
	v_and_b32_e32 v2, 3, v2
	v_cmp_eq_u32_e32 vcc, 0, v6
	v_and_b32_e32 v3, 0x80000000, v3
	s_nop 0
	v_cndmask_b32_e32 v6, v6, v7, vcc
	v_cndmask_b32_e32 v2, v5, v2, vcc
	v_mov_b32_e32 v5, 0x37800000
	v_lshlrev_b32_e32 v2, 21, v2
	v_lshl_add_u32 v5, v6, 23, v5
	v_or3_b32 v3, v3, v5, v2
.LBB488_833:
	s_or_b64 exec, exec, s[36:37]
	v_bfe_u32 v2, v3, 16, 1
	s_movk_i32 s34, 0x7fff
	v_add3_u32 v2, v3, v2, s34
	v_cmp_o_f32_e32 vcc, v3, v3
	v_mov_b32_e32 v3, 0x7fc0
	s_mov_b64 s[34:35], 0
	v_cndmask_b32_sdwa v3, v3, v2, vcc dst_sel:DWORD dst_unused:UNUSED_PAD src0_sel:DWORD src1_sel:WORD_1
	s_branch .LBB488_839
.LBB488_834:
	s_mov_b64 s[34:35], -1
                                        ; implicit-def: $vgpr3
	s_branch .LBB488_845
.LBB488_835:
	s_or_saveexec_b64 s[38:39], s[38:39]
	v_mov_b32_e32 v3, 0x7f800001
	s_xor_b64 exec, exec, s[38:39]
	s_cbranch_execz .LBB488_818
.LBB488_836:
	v_cmp_ne_u16_e32 vcc, 0, v2
	s_andn2_b64 s[36:37], s[36:37], exec
	s_and_b64 s[40:41], vcc, exec
	v_mov_b32_e32 v3, 0
	s_or_b64 s[36:37], s[36:37], s[40:41]
	s_or_b64 exec, exec, s[38:39]
	s_and_saveexec_b64 s[38:39], s[36:37]
	s_cbranch_execnz .LBB488_819
	s_branch .LBB488_820
.LBB488_837:
	s_mov_b64 s[34:35], -1
                                        ; implicit-def: $vgpr3
	s_branch .LBB488_842
.LBB488_838:
	s_mov_b64 s[34:35], -1
                                        ; implicit-def: $vgpr3
.LBB488_839:
	s_and_b64 vcc, exec, s[34:35]
	s_cbranch_vccz .LBB488_841
; %bb.840:
	global_load_ubyte v2, v[0:1], off
	s_mov_b32 s34, 0x7f800000
	s_brev_b32 s35, 1
	s_movk_i32 s36, 0x7fff
	s_waitcnt vmcnt(0)
	v_lshlrev_b32_e32 v2, 24, v2
	v_and_b32_e32 v3, 0x7f000000, v2
	v_ffbh_u32_e32 v5, v3
	v_min_u32_e32 v5, 32, v5
	v_sub_u32_e64 v5, v5, 4 clamp
	v_lshlrev_b32_e32 v7, v5, v3
	v_lshlrev_b32_e32 v5, 23, v5
	v_lshrrev_b32_e32 v7, 4, v7
	v_add_u32_e32 v6, 0x1000000, v3
	v_sub_u32_e32 v5, v7, v5
	v_ashrrev_i32_e32 v6, 8, v6
	v_add_u32_e32 v5, 0x3c000000, v5
	v_and_or_b32 v5, v6, s34, v5
	v_cmp_ne_u32_e32 vcc, 0, v3
	s_nop 1
	v_cndmask_b32_e32 v3, 0, v5, vcc
	v_and_or_b32 v2, v2, s35, v3
	v_bfe_u32 v3, v3, 16, 1
	v_add3_u32 v3, v2, v3, s36
	v_cmp_o_f32_e32 vcc, v2, v2
	v_mov_b32_e32 v2, 0x7fc0
	s_nop 0
	v_cndmask_b32_sdwa v3, v2, v3, vcc dst_sel:DWORD dst_unused:UNUSED_PAD src0_sel:DWORD src1_sel:WORD_1
.LBB488_841:
	s_mov_b64 s[34:35], 0
.LBB488_842:
	s_andn2_b64 vcc, exec, s[34:35]
	s_cbranch_vccnz .LBB488_844
; %bb.843:
	global_load_ubyte v2, v[0:1], off
	s_movk_i32 s34, 0x7f00
	s_brev_b32 s35, 16
	s_brev_b32 s36, 1
	s_movk_i32 s37, 0x7fff
	s_waitcnt vmcnt(0)
	v_lshlrev_b16_e32 v3, 8, v2
	v_lshlrev_b32_e32 v2, 25, v2
	v_lshrrev_b32_e32 v5, 4, v2
	v_and_or_b32 v6, v3, s34, 0.5
	v_or_b32_e32 v5, 0x70000000, v5
	v_add_f32_e32 v6, -0.5, v6
	v_mul_f32_e32 v5, 0x7800000, v5
	v_cmp_gt_u32_e32 vcc, s35, v2
	v_bfe_i32 v3, v3, 0, 16
	s_nop 0
	v_cndmask_b32_e32 v2, v5, v6, vcc
	v_and_or_b32 v3, v3, s36, v2
	v_bfe_u32 v2, v2, 16, 1
	v_add3_u32 v2, v3, v2, s37
	v_cmp_o_f32_e32 vcc, v3, v3
	v_mov_b32_e32 v3, 0x7fc0
	s_nop 0
	v_cndmask_b32_sdwa v3, v3, v2, vcc dst_sel:DWORD dst_unused:UNUSED_PAD src0_sel:DWORD src1_sel:WORD_1
.LBB488_844:
	s_mov_b64 s[34:35], 0
	s_mov_b64 s[36:37], -1
.LBB488_845:
	s_andn2_b64 vcc, exec, s[34:35]
	s_mov_b64 s[34:35], 0
	s_cbranch_vccnz .LBB488_856
; %bb.846:
	s_cmp_gt_i32 s45, 14
	s_cbranch_scc0 .LBB488_849
; %bb.847:
	s_cmp_eq_u32 s45, 15
	s_cbranch_scc0 .LBB488_852
; %bb.848:
	global_load_ushort v3, v[0:1], off
	s_mov_b64 s[30:31], 0
	s_mov_b64 s[36:37], -1
	s_branch .LBB488_853
.LBB488_849:
	s_mov_b64 s[38:39], -1
                                        ; implicit-def: $vgpr3
	s_branch .LBB488_854
.LBB488_850:
	s_or_saveexec_b64 s[36:37], s[36:37]
	v_mov_b32_e32 v3, 0x7f800001
	s_xor_b64 exec, exec, s[36:37]
	s_cbranch_execz .LBB488_831
.LBB488_851:
	v_cmp_ne_u16_e32 vcc, 0, v2
	s_andn2_b64 s[34:35], s[34:35], exec
	s_and_b64 s[38:39], vcc, exec
	v_mov_b32_e32 v3, 0
	s_or_b64 s[34:35], s[34:35], s[38:39]
	s_or_b64 exec, exec, s[36:37]
	s_and_saveexec_b64 s[36:37], s[34:35]
	s_cbranch_execnz .LBB488_832
	s_branch .LBB488_833
.LBB488_852:
	s_mov_b64 s[30:31], -1
                                        ; implicit-def: $vgpr3
.LBB488_853:
	s_mov_b64 s[38:39], 0
.LBB488_854:
	s_and_b64 vcc, exec, s[38:39]
	s_cbranch_vccz .LBB488_856
; %bb.855:
	s_cmp_lg_u32 s45, 11
	s_cselect_b64 s[38:39], -1, 0
	s_andn2_b64 s[30:31], s[30:31], exec
	s_and_b64 s[38:39], s[38:39], exec
	s_mov_b64 s[34:35], -1
	s_or_b64 s[30:31], s[30:31], s[38:39]
.LBB488_856:
	s_mov_b64 s[38:39], 0
.LBB488_857:
	s_and_b64 s[40:41], s[38:39], exec
	s_andn2_b64 s[38:39], s[0:1], exec
	s_and_b64 s[30:31], s[30:31], exec
	s_and_b64 s[36:37], s[36:37], exec
	;; [unrolled: 1-line block ×3, first 2 shown]
	s_or_b64 s[38:39], s[38:39], s[30:31]
.LBB488_858:
	s_or_b64 exec, exec, s[26:27]
	s_and_b64 s[30:31], s[34:35], exec
	s_andn2_b64 s[0:1], s[0:1], exec
	s_and_b64 s[34:35], s[38:39], exec
	s_and_b64 s[36:37], s[36:37], exec
	;; [unrolled: 1-line block ×3, first 2 shown]
	s_or_b64 s[0:1], s[0:1], s[34:35]
.LBB488_859:
	s_or_b64 exec, exec, s[24:25]
	s_andn2_b64 s[20:21], s[20:21], exec
	s_and_b64 s[24:25], s[28:29], exec
	s_andn2_b64 s[18:19], s[18:19], exec
	s_and_b64 s[0:1], s[0:1], exec
	s_or_b64 s[20:21], s[20:21], s[24:25]
	s_and_b64 s[28:29], s[36:37], exec
	s_and_b64 s[26:27], s[26:27], exec
	;; [unrolled: 1-line block ×3, first 2 shown]
	s_or_b64 s[18:19], s[18:19], s[0:1]
.LBB488_860:
	s_or_b64 exec, exec, s[22:23]
	s_andn2_b64 s[0:1], s[12:13], exec
	s_and_b64 s[12:13], s[20:21], exec
	s_andn2_b64 s[14:15], s[14:15], exec
	s_and_b64 s[18:19], s[18:19], exec
	s_or_b64 s[12:13], s[0:1], s[12:13]
	s_and_b64 s[0:1], s[28:29], exec
	s_and_b64 s[22:23], s[26:27], exec
	;; [unrolled: 1-line block ×3, first 2 shown]
	s_or_b64 s[14:15], s[14:15], s[18:19]
	s_or_b64 exec, exec, s[16:17]
	s_mov_b64 s[16:17], 0
	s_and_saveexec_b64 s[18:19], s[14:15]
	s_cbranch_execz .LBB488_262
.LBB488_861:
	s_mov_b64 s[16:17], exec
	s_andn2_b64 s[20:21], s[20:21], exec
	s_trap 2
	s_or_b64 exec, exec, s[18:19]
	s_and_saveexec_b64 s[14:15], s[20:21]
	s_xor_b64 s[14:15], exec, s[14:15]
	s_cbranch_execnz .LBB488_263
.LBB488_862:
	s_or_b64 exec, exec, s[14:15]
	s_and_saveexec_b64 s[14:15], s[22:23]
	s_cbranch_execz .LBB488_908
.LBB488_863:
	s_sext_i32_i16 s18, s43
	s_cmp_lt_i32 s18, 5
	s_cbranch_scc1 .LBB488_868
; %bb.864:
	s_cmp_lt_i32 s18, 8
	s_cbranch_scc1 .LBB488_869
; %bb.865:
	;; [unrolled: 3-line block ×3, first 2 shown]
	s_cmp_gt_i32 s18, 9
	s_cbranch_scc0 .LBB488_871
; %bb.867:
	global_load_dwordx2 v[2:3], v[0:1], off
	s_movk_i32 s18, 0x7fff
	v_mov_b32_e32 v5, 0x7fc0
	s_waitcnt vmcnt(0)
	v_cvt_f32_f64_e32 v2, v[2:3]
	v_bfe_u32 v3, v2, 16, 1
	v_cmp_o_f32_e32 vcc, v2, v2
	v_add3_u32 v2, v2, v3, s18
	s_mov_b64 s[18:19], 0
	v_cndmask_b32_sdwa v3, v5, v2, vcc dst_sel:DWORD dst_unused:UNUSED_PAD src0_sel:DWORD src1_sel:WORD_1
	s_branch .LBB488_872
.LBB488_868:
                                        ; implicit-def: $vgpr3
	s_branch .LBB488_889
.LBB488_869:
                                        ; implicit-def: $vgpr3
	s_branch .LBB488_878
.LBB488_870:
	s_mov_b64 s[18:19], -1
                                        ; implicit-def: $vgpr3
	s_branch .LBB488_875
.LBB488_871:
	s_mov_b64 s[18:19], -1
                                        ; implicit-def: $vgpr3
.LBB488_872:
	s_andn2_b64 vcc, exec, s[18:19]
	s_cbranch_vccnz .LBB488_874
; %bb.873:
	global_load_dword v2, v[0:1], off
	s_movk_i32 s18, 0x7fff
	s_waitcnt vmcnt(1)
	v_mov_b32_e32 v3, 0x7fc0
	s_waitcnt vmcnt(0)
	v_bfe_u32 v5, v2, 16, 1
	v_cmp_o_f32_e32 vcc, v2, v2
	v_add3_u32 v2, v2, v5, s18
	s_nop 0
	v_cndmask_b32_sdwa v3, v3, v2, vcc dst_sel:DWORD dst_unused:UNUSED_PAD src0_sel:DWORD src1_sel:WORD_1
.LBB488_874:
	s_mov_b64 s[18:19], 0
.LBB488_875:
	s_andn2_b64 vcc, exec, s[18:19]
	s_cbranch_vccnz .LBB488_877
; %bb.876:
	global_load_dword v2, v[0:1], off
	s_movk_i32 s18, 0x7fff
	v_mov_b32_e32 v5, 0x7fc0
	s_waitcnt vmcnt(0)
	v_cvt_f32_f16_e32 v3, v2
	v_cmp_o_f16_e32 vcc, v2, v2
	v_bfe_u32 v2, v3, 16, 1
	v_add3_u32 v2, v3, v2, s18
	v_cndmask_b32_sdwa v3, v5, v2, vcc dst_sel:DWORD dst_unused:UNUSED_PAD src0_sel:DWORD src1_sel:WORD_1
.LBB488_877:
	s_cbranch_execnz .LBB488_888
.LBB488_878:
	s_sext_i32_i16 s18, s43
	s_cmp_lt_i32 s18, 6
	s_cbranch_scc1 .LBB488_881
; %bb.879:
	s_cmp_gt_i32 s18, 6
	s_cbranch_scc0 .LBB488_882
; %bb.880:
	global_load_dwordx2 v[2:3], v[0:1], off
	s_movk_i32 s18, 0x7fff
	v_mov_b32_e32 v5, 0x7fc0
	s_waitcnt vmcnt(0)
	v_cvt_f32_f64_e32 v2, v[2:3]
	v_bfe_u32 v3, v2, 16, 1
	v_cmp_o_f32_e32 vcc, v2, v2
	v_add3_u32 v2, v2, v3, s18
	s_mov_b64 s[18:19], 0
	v_cndmask_b32_sdwa v3, v5, v2, vcc dst_sel:DWORD dst_unused:UNUSED_PAD src0_sel:DWORD src1_sel:WORD_1
	s_branch .LBB488_883
.LBB488_881:
	s_mov_b64 s[18:19], -1
                                        ; implicit-def: $vgpr3
	s_branch .LBB488_886
.LBB488_882:
	s_mov_b64 s[18:19], -1
                                        ; implicit-def: $vgpr3
.LBB488_883:
	s_andn2_b64 vcc, exec, s[18:19]
	s_cbranch_vccnz .LBB488_885
; %bb.884:
	global_load_dword v2, v[0:1], off
	s_movk_i32 s18, 0x7fff
	s_waitcnt vmcnt(1)
	v_mov_b32_e32 v3, 0x7fc0
	s_waitcnt vmcnt(0)
	v_bfe_u32 v5, v2, 16, 1
	v_cmp_o_f32_e32 vcc, v2, v2
	v_add3_u32 v2, v2, v5, s18
	s_nop 0
	v_cndmask_b32_sdwa v3, v3, v2, vcc dst_sel:DWORD dst_unused:UNUSED_PAD src0_sel:DWORD src1_sel:WORD_1
.LBB488_885:
	s_mov_b64 s[18:19], 0
.LBB488_886:
	s_andn2_b64 vcc, exec, s[18:19]
	s_cbranch_vccnz .LBB488_888
; %bb.887:
	global_load_ushort v2, v[0:1], off
	s_movk_i32 s18, 0x7fff
	v_mov_b32_e32 v5, 0x7fc0
	s_waitcnt vmcnt(0)
	v_cvt_f32_f16_e32 v3, v2
	v_cmp_o_f16_e32 vcc, v2, v2
	v_bfe_u32 v2, v3, 16, 1
	v_add3_u32 v2, v3, v2, s18
	v_cndmask_b32_sdwa v3, v5, v2, vcc dst_sel:DWORD dst_unused:UNUSED_PAD src0_sel:DWORD src1_sel:WORD_1
.LBB488_888:
	s_cbranch_execnz .LBB488_907
.LBB488_889:
	s_sext_i32_i16 s18, s43
	s_cmp_lt_i32 s18, 2
	s_cbranch_scc1 .LBB488_893
; %bb.890:
	s_cmp_lt_i32 s18, 3
	s_cbranch_scc1 .LBB488_894
; %bb.891:
	s_cmp_gt_i32 s18, 3
	s_cbranch_scc0 .LBB488_895
; %bb.892:
	global_load_dwordx2 v[2:3], v[0:1], off
	s_movk_i32 s18, 0x7fff
	s_waitcnt vmcnt(0)
	v_xor_b32_e32 v6, v2, v3
	v_ffbh_i32_e32 v5, v3
	v_ashrrev_i32_e32 v6, 31, v6
	v_add_u32_e32 v5, -1, v5
	v_add_u32_e32 v6, 32, v6
	v_min_u32_e32 v5, v5, v6
	v_lshlrev_b64 v[2:3], v5, v[2:3]
	v_min_u32_e32 v2, 1, v2
	v_or_b32_e32 v2, v3, v2
	v_cvt_f32_i32_e32 v2, v2
	v_sub_u32_e32 v3, 32, v5
	v_ldexp_f32 v2, v2, v3
	v_bfe_u32 v3, v2, 16, 1
	v_add3_u32 v2, v2, v3, s18
	v_lshrrev_b32_e32 v3, 16, v2
	s_mov_b64 s[18:19], 0
	s_branch .LBB488_896
.LBB488_893:
                                        ; implicit-def: $vgpr3
	s_branch .LBB488_902
.LBB488_894:
	s_mov_b64 s[18:19], -1
                                        ; implicit-def: $vgpr3
	s_branch .LBB488_899
.LBB488_895:
	s_mov_b64 s[18:19], -1
                                        ; implicit-def: $vgpr3
.LBB488_896:
	s_andn2_b64 vcc, exec, s[18:19]
	s_cbranch_vccnz .LBB488_898
; %bb.897:
	global_load_dword v2, v[0:1], off
	s_movk_i32 s18, 0x7fff
	s_waitcnt vmcnt(0)
	v_cvt_f32_i32_e32 v2, v2
	v_bfe_u32 v3, v2, 16, 1
	v_add3_u32 v2, v2, v3, s18
	v_lshrrev_b32_e32 v3, 16, v2
.LBB488_898:
	s_mov_b64 s[18:19], 0
.LBB488_899:
	s_andn2_b64 vcc, exec, s[18:19]
	s_cbranch_vccnz .LBB488_901
; %bb.900:
	global_load_sshort v2, v[0:1], off
	s_movk_i32 s18, 0x7fff
	s_waitcnt vmcnt(0)
	v_cvt_f32_i32_e32 v2, v2
	v_bfe_u32 v3, v2, 16, 1
	v_add3_u32 v2, v2, v3, s18
	v_lshrrev_b32_e32 v3, 16, v2
.LBB488_901:
	s_cbranch_execnz .LBB488_907
.LBB488_902:
	s_sext_i32_i16 s18, s43
	s_cmp_gt_i32 s18, 0
	s_cbranch_scc0 .LBB488_904
; %bb.903:
	global_load_sbyte v2, v[0:1], off
	s_movk_i32 s18, 0x7fff
	s_waitcnt vmcnt(0)
	v_cvt_f32_i32_e32 v2, v2
	v_bfe_u32 v3, v2, 16, 1
	v_add3_u32 v2, v2, v3, s18
	v_lshrrev_b32_e32 v3, 16, v2
	s_mov_b64 s[18:19], 0
	s_branch .LBB488_905
.LBB488_904:
	s_mov_b64 s[18:19], -1
                                        ; implicit-def: $vgpr3
.LBB488_905:
	s_andn2_b64 vcc, exec, s[18:19]
	s_cbranch_vccnz .LBB488_907
; %bb.906:
	global_load_ubyte v0, v[0:1], off
	s_movk_i32 s18, 0x7fff
	s_waitcnt vmcnt(0)
	v_cvt_f32_ubyte0_e32 v0, v0
	v_bfe_u32 v1, v0, 16, 1
	v_add3_u32 v0, v0, v1, s18
	v_lshrrev_b32_e32 v3, 16, v0
.LBB488_907:
	s_or_b64 s[0:1], s[0:1], exec
.LBB488_908:
	s_or_b64 exec, exec, s[14:15]
	s_mov_b64 s[20:21], 0
	s_mov_b64 s[18:19], 0
                                        ; implicit-def: $sgpr26
                                        ; implicit-def: $vgpr0_vgpr1
                                        ; implicit-def: $vgpr2
	s_and_saveexec_b64 s[14:15], s[0:1]
	s_cbranch_execz .LBB488_926
; %bb.909:
	s_waitcnt vmcnt(0)
	v_lshlrev_b32_e32 v0, 16, v3
	v_cmp_u_f32_e32 vcc, v0, v0
	v_cmp_gt_f32_e64 s[0:1], s44, v0
	v_mov_b32_e32 v0, s33
	s_or_b64 vcc, vcc, s[0:1]
	v_cndmask_b32_e32 v2, v0, v3, vcc
	v_mul_lo_u32 v0, v4, s8
	v_ashrrev_i32_e32 v1, 31, v0
	s_and_b32 s26, s42, 0xff
	s_cmp_lt_i32 s26, 11
	v_lshl_add_u64 v[0:1], s[4:5], 0, v[0:1]
	s_cbranch_scc1 .LBB488_929
; %bb.910:
	s_and_b32 s27, 0xffff, s26
	s_mov_b64 s[20:21], -1
	s_cmp_gt_i32 s27, 25
	s_mov_b64 s[0:1], s[12:13]
	s_cbranch_scc0 .LBB488_947
; %bb.911:
	s_mov_b64 s[18:19], -1
	s_cmp_gt_i32 s27, 28
	s_mov_b64 s[0:1], s[12:13]
	s_cbranch_scc0 .LBB488_931
; %bb.912:
	s_cmp_gt_i32 s27, 43
	s_mov_b64 s[0:1], s[12:13]
	s_cbranch_scc0 .LBB488_923
; %bb.913:
	;; [unrolled: 4-line block ×3, first 2 shown]
	s_cmp_eq_u32 s27, 46
	s_mov_b64 s[0:1], -1
	s_cbranch_scc0 .LBB488_916
; %bb.915:
	v_and_b32_e32 v3, 0xffff, v2
	global_store_dword v[0:1], v3, off
	s_mov_b64 s[0:1], 0
.LBB488_916:
	s_mov_b64 s[18:19], 0
.LBB488_917:
	s_and_b64 vcc, exec, s[18:19]
	s_cbranch_vccz .LBB488_922
; %bb.918:
	s_cmp_eq_u32 s27, 44
	s_mov_b64 s[0:1], -1
	s_cbranch_scc0 .LBB488_922
; %bb.919:
	v_and_b32_e32 v4, 0xffff, v2
	v_bfe_u32 v3, v4, 7, 8
	s_movk_i32 s0, 0xff
	v_cmp_ne_u32_e32 vcc, s0, v3
	v_mov_b32_e32 v5, 0xff
	s_and_saveexec_b64 s[18:19], vcc
	s_cbranch_execz .LBB488_921
; %bb.920:
	v_lshlrev_b32_e32 v6, 16, v4
	s_mov_b32 s0, 0x3f0000
	v_lshrrev_b32_e32 v5, 7, v4
	v_and_b32_e32 v4, 64, v4
	v_and_or_b32 v3, v6, s0, v3
	v_cmp_ne_u32_e32 vcc, 0, v4
	v_cmp_ne_u32_e64 s[0:1], 0, v3
	s_and_b64 s[0:1], vcc, s[0:1]
	s_nop 0
	v_cndmask_b32_e64 v3, 0, 1, s[0:1]
	v_add_u32_e32 v5, v5, v3
.LBB488_921:
	s_or_b64 exec, exec, s[18:19]
	s_mov_b64 s[0:1], 0
	global_store_byte v[0:1], v5, off
.LBB488_922:
	s_mov_b64 s[18:19], 0
.LBB488_923:
	s_and_b64 vcc, exec, s[18:19]
	s_cbranch_vccz .LBB488_930
; %bb.924:
	s_cmp_eq_u32 s27, 29
	s_mov_b64 s[0:1], -1
	s_cbranch_scc0 .LBB488_930
; %bb.925:
	v_lshlrev_b32_e32 v3, 16, v2
	v_trunc_f32_e32 v3, v3
	v_mul_f32_e32 v4, 0x2f800000, v3
	v_floor_f32_e32 v4, v4
	v_fmamk_f32 v3, v4, 0xcf800000, v3
	v_cvt_u32_f32_e32 v5, v4
	v_cvt_u32_f32_e32 v4, v3
	s_mov_b64 s[0:1], 0
	s_mov_b64 s[18:19], 0
	global_store_dwordx2 v[0:1], v[4:5], off
	s_branch .LBB488_931
.LBB488_926:
	s_or_b64 exec, exec, s[14:15]
	s_and_saveexec_b64 s[0:1], s[12:13]
	s_cbranch_execnz .LBB488_989
.LBB488_927:
	s_or_b64 exec, exec, s[0:1]
	s_and_saveexec_b64 s[0:1], s[20:21]
	s_xor_b64 s[0:1], exec, s[0:1]
	s_cbranch_execz .LBB488_990
.LBB488_928:
	s_waitcnt vmcnt(0)
	v_and_b32_e32 v3, 0x7fff, v2
	v_cmp_ne_u16_e32 vcc, 0, v3
	s_nop 1
	v_cndmask_b32_e64 v3, 0, 1, vcc
	global_store_byte v[0:1], v3, off
	s_or_b64 exec, exec, s[0:1]
	s_and_saveexec_b64 s[0:1], s[18:19]
	s_xor_b64 s[0:1], exec, s[0:1]
	s_cbranch_execz .LBB488_1028
	s_branch .LBB488_991
.LBB488_929:
	s_mov_b64 s[18:19], -1
	s_mov_b64 s[0:1], s[12:13]
	s_branch .LBB488_988
.LBB488_930:
	s_mov_b64 s[18:19], 0
.LBB488_931:
	s_and_b64 vcc, exec, s[18:19]
	s_cbranch_vccz .LBB488_946
; %bb.932:
	s_cmp_lt_i32 s27, 27
	s_mov_b64 s[18:19], -1
	s_cbranch_scc1 .LBB488_938
; %bb.933:
	s_cmp_gt_i32 s27, 27
	s_cbranch_scc0 .LBB488_935
; %bb.934:
	v_lshlrev_b32_e32 v3, 16, v2
	v_cvt_u32_f32_e32 v3, v3
	s_mov_b64 s[18:19], 0
	global_store_dword v[0:1], v3, off
.LBB488_935:
	s_andn2_b64 vcc, exec, s[18:19]
	s_cbranch_vccnz .LBB488_937
; %bb.936:
	v_lshlrev_b32_e32 v3, 16, v2
	v_cvt_u32_f32_e32 v3, v3
	global_store_short v[0:1], v3, off
.LBB488_937:
	s_mov_b64 s[18:19], 0
.LBB488_938:
	s_andn2_b64 vcc, exec, s[18:19]
	s_cbranch_vccnz .LBB488_946
; %bb.939:
	v_lshlrev_b32_e32 v5, 16, v2
	v_and_b32_e32 v4, 0x7fffffff, v5
	s_mov_b32 s18, 0x43800000
	v_cmp_gt_u32_e32 vcc, s18, v4
	v_mov_b32_e32 v6, 0x80
	s_and_saveexec_b64 s[18:19], vcc
	s_cbranch_execz .LBB488_945
; %bb.940:
	s_mov_b32 s20, 0x3bffffff
	v_and_b32_e32 v3, 0xffff, v2
	v_cmp_lt_u32_e32 vcc, s20, v4
	s_mov_b64 s[20:21], 0
                                        ; implicit-def: $vgpr4
	s_and_saveexec_b64 s[22:23], vcc
	s_xor_b64 s[22:23], exec, s[22:23]
	s_cbranch_execz .LBB488_1043
; %bb.941:
	v_bfe_u32 v4, v3, 4, 1
	s_mov_b32 s24, 0x487ffff
	v_add3_u32 v4, v5, v4, s24
	s_mov_b64 s[20:21], exec
	v_lshrrev_b32_e32 v4, 20, v4
                                        ; implicit-def: $vgpr5
	s_andn2_saveexec_b64 s[22:23], s[22:23]
	s_cbranch_execnz .LBB488_1044
.LBB488_942:
	s_or_b64 exec, exec, s[22:23]
	v_mov_b32_e32 v6, 0
	s_and_saveexec_b64 s[22:23], s[20:21]
.LBB488_943:
	v_lshrrev_b32_e32 v3, 8, v3
	s_movk_i32 s20, 0x80
	v_and_or_b32 v6, v3, s20, v4
.LBB488_944:
	s_or_b64 exec, exec, s[22:23]
.LBB488_945:
	s_or_b64 exec, exec, s[18:19]
	global_store_byte v[0:1], v6, off
.LBB488_946:
	s_mov_b64 s[20:21], 0
.LBB488_947:
	s_mov_b64 s[18:19], 0
	s_and_b64 vcc, exec, s[20:21]
	s_cbranch_vccz .LBB488_987
; %bb.948:
	s_cmp_gt_i32 s27, 22
	s_mov_b64 s[20:21], -1
	s_cbranch_scc0 .LBB488_980
; %bb.949:
	s_cmp_lt_i32 s27, 24
	s_cbranch_scc1 .LBB488_969
; %bb.950:
	s_cmp_gt_i32 s27, 24
	s_cbranch_scc0 .LBB488_958
; %bb.951:
	v_lshlrev_b32_e32 v5, 16, v2
	v_and_b32_e32 v4, 0x7fffffff, v5
	s_mov_b32 s20, 0x47800000
	v_cmp_gt_u32_e32 vcc, s20, v4
	v_mov_b32_e32 v6, 0x80
	s_and_saveexec_b64 s[20:21], vcc
	s_cbranch_execz .LBB488_957
; %bb.952:
	s_mov_b32 s22, 0x37ffffff
	v_and_b32_e32 v3, 0xffff, v2
	v_cmp_lt_u32_e32 vcc, s22, v4
	s_mov_b64 s[22:23], 0
                                        ; implicit-def: $vgpr4
	s_and_saveexec_b64 s[24:25], vcc
	s_xor_b64 s[24:25], exec, s[24:25]
	s_cbranch_execz .LBB488_1167
; %bb.953:
	v_bfe_u32 v4, v3, 5, 1
	s_mov_b32 s28, 0x88fffff
	v_add3_u32 v4, v5, v4, s28
	s_mov_b64 s[22:23], exec
	v_lshrrev_b32_e32 v4, 21, v4
                                        ; implicit-def: $vgpr5
	s_andn2_saveexec_b64 s[24:25], s[24:25]
	s_cbranch_execnz .LBB488_1168
.LBB488_954:
	s_or_b64 exec, exec, s[24:25]
	v_mov_b32_e32 v6, 0
	s_and_saveexec_b64 s[24:25], s[22:23]
.LBB488_955:
	v_lshrrev_b32_e32 v3, 8, v3
	s_movk_i32 s22, 0x80
	v_and_or_b32 v6, v3, s22, v4
.LBB488_956:
	s_or_b64 exec, exec, s[24:25]
.LBB488_957:
	s_or_b64 exec, exec, s[20:21]
	s_mov_b64 s[20:21], 0
	global_store_byte v[0:1], v6, off
.LBB488_958:
	s_and_b64 vcc, exec, s[20:21]
	s_cbranch_vccz .LBB488_968
; %bb.959:
	v_lshlrev_b32_e32 v5, 16, v2
	v_and_b32_e32 v6, 0x7fffffff, v5
	s_mov_b32 s20, 0x43f00000
	v_and_b32_e32 v3, 0xffff, v2
	v_cmp_gt_u32_e32 vcc, s20, v6
                                        ; implicit-def: $vgpr4
	s_and_saveexec_b64 s[20:21], vcc
	s_xor_b64 s[20:21], exec, s[20:21]
	s_cbranch_execz .LBB488_965
; %bb.960:
	s_mov_b32 s22, 0x3c7fffff
	v_cmp_lt_u32_e32 vcc, s22, v6
                                        ; implicit-def: $vgpr4
	s_and_saveexec_b64 s[22:23], vcc
	s_xor_b64 s[22:23], exec, s[22:23]
; %bb.961:
	v_bfe_u32 v4, v3, 4, 1
	s_mov_b32 s24, 0x407ffff
	v_add3_u32 v4, v5, v4, s24
	v_lshrrev_b32_e32 v5, 20, v4
	v_and_b32_e32 v4, 0xff00000, v4
	s_mov_b32 s24, 0x7f00000
	v_mov_b32_e32 v6, 0x7e
	v_cmp_ne_u32_e32 vcc, s24, v4
	s_nop 1
	v_cndmask_b32_e32 v4, v6, v5, vcc
                                        ; implicit-def: $vgpr5
; %bb.962:
	s_andn2_saveexec_b64 s[22:23], s[22:23]
; %bb.963:
	s_mov_b32 s24, 0x46800000
	v_add_f32_e64 v4, |v5|, s24
; %bb.964:
	s_or_b64 exec, exec, s[22:23]
                                        ; implicit-def: $vgpr6
.LBB488_965:
	s_andn2_saveexec_b64 s[20:21], s[20:21]
; %bb.966:
	s_mov_b32 s22, 0x7f800000
	v_mov_b32_e32 v4, 0x7e
	v_mov_b32_e32 v5, 0x7f
	v_cmp_lt_u32_e32 vcc, s22, v6
	s_nop 1
	v_cndmask_b32_e32 v4, v4, v5, vcc
; %bb.967:
	s_or_b64 exec, exec, s[20:21]
	v_lshrrev_b32_e32 v3, 8, v3
	s_movk_i32 s20, 0x80
	v_and_or_b32 v3, v3, s20, v4
	global_store_byte v[0:1], v3, off
.LBB488_968:
	s_mov_b64 s[20:21], 0
.LBB488_969:
	s_andn2_b64 vcc, exec, s[20:21]
	s_cbranch_vccnz .LBB488_979
; %bb.970:
	v_lshlrev_b32_e32 v5, 16, v2
	v_and_b32_e32 v6, 0x7fffffff, v5
	s_mov_b32 s20, 0x47800000
	v_and_b32_e32 v3, 0xffff, v2
	v_cmp_gt_u32_e32 vcc, s20, v6
                                        ; implicit-def: $vgpr4
	s_and_saveexec_b64 s[20:21], vcc
	s_xor_b64 s[20:21], exec, s[20:21]
	s_cbranch_execz .LBB488_976
; %bb.971:
	s_mov_b32 s22, 0x387fffff
	v_cmp_lt_u32_e32 vcc, s22, v6
                                        ; implicit-def: $vgpr4
	s_and_saveexec_b64 s[22:23], vcc
	s_xor_b64 s[22:23], exec, s[22:23]
; %bb.972:
	v_bfe_u32 v4, v3, 5, 1
	s_mov_b32 s24, 0x80fffff
	v_add3_u32 v4, v5, v4, s24
	v_lshrrev_b32_e32 v4, 21, v4
                                        ; implicit-def: $vgpr5
; %bb.973:
	s_andn2_saveexec_b64 s[22:23], s[22:23]
; %bb.974:
	s_mov_b32 s24, 0x43000000
	v_add_f32_e64 v4, |v5|, s24
; %bb.975:
	s_or_b64 exec, exec, s[22:23]
                                        ; implicit-def: $vgpr6
.LBB488_976:
	s_andn2_saveexec_b64 s[20:21], s[20:21]
; %bb.977:
	s_mov_b32 s22, 0x7f800000
	v_mov_b32_e32 v4, 0x7c
	v_mov_b32_e32 v5, 0x7f
	v_cmp_lt_u32_e32 vcc, s22, v6
	s_nop 1
	v_cndmask_b32_e32 v4, v4, v5, vcc
; %bb.978:
	s_or_b64 exec, exec, s[20:21]
	v_lshrrev_b32_e32 v3, 8, v3
	s_movk_i32 s20, 0x80
	v_and_or_b32 v3, v3, s20, v4
	global_store_byte v[0:1], v3, off
.LBB488_979:
	s_mov_b64 s[20:21], 0
.LBB488_980:
	s_andn2_b64 vcc, exec, s[20:21]
	s_mov_b64 s[20:21], 0
	s_cbranch_vccnz .LBB488_988
; %bb.981:
	s_cmp_gt_i32 s27, 14
	s_mov_b64 s[22:23], -1
	s_cbranch_scc0 .LBB488_985
; %bb.982:
	s_cmp_eq_u32 s27, 15
	s_mov_b64 s[0:1], -1
	s_cbranch_scc0 .LBB488_984
; %bb.983:
	global_store_short v[0:1], v2, off
	s_mov_b64 s[0:1], 0
.LBB488_984:
	s_mov_b64 s[22:23], 0
.LBB488_985:
	s_and_b64 vcc, exec, s[22:23]
	s_cbranch_vccz .LBB488_988
; %bb.986:
	s_cmp_lg_u32 s27, 11
	s_cselect_b64 s[22:23], -1, 0
	s_andn2_b64 s[0:1], s[0:1], exec
	s_and_b64 s[22:23], s[22:23], exec
	s_mov_b64 s[20:21], -1
	s_or_b64 s[0:1], s[0:1], s[22:23]
	s_branch .LBB488_988
.LBB488_987:
	s_mov_b64 s[20:21], 0
.LBB488_988:
	s_andn2_b64 s[12:13], s[12:13], exec
	s_and_b64 s[0:1], s[0:1], exec
	s_and_b64 s[18:19], s[18:19], exec
	;; [unrolled: 1-line block ×3, first 2 shown]
	s_or_b64 s[12:13], s[12:13], s[0:1]
	s_or_b64 exec, exec, s[14:15]
	s_and_saveexec_b64 s[0:1], s[12:13]
	s_cbranch_execz .LBB488_927
.LBB488_989:
	s_or_b64 s[16:17], s[16:17], exec
	s_andn2_b64 s[20:21], s[20:21], exec
	s_trap 2
	s_or_b64 exec, exec, s[0:1]
	s_and_saveexec_b64 s[0:1], s[20:21]
	s_xor_b64 s[0:1], exec, s[0:1]
	s_cbranch_execnz .LBB488_928
.LBB488_990:
	s_or_b64 exec, exec, s[0:1]
	s_and_saveexec_b64 s[0:1], s[18:19]
	s_xor_b64 s[0:1], exec, s[0:1]
	s_cbranch_execz .LBB488_1028
.LBB488_991:
	s_sext_i32_i16 s14, s26
	s_cmp_lt_i32 s14, 5
	s_mov_b64 s[12:13], -1
	s_cbranch_scc1 .LBB488_1012
; %bb.992:
	s_cmp_lt_i32 s14, 8
	s_cbranch_scc1 .LBB488_1002
; %bb.993:
	s_cmp_lt_i32 s14, 9
	s_cbranch_scc1 .LBB488_999
; %bb.994:
	s_cmp_gt_i32 s14, 9
	s_cbranch_scc0 .LBB488_996
; %bb.995:
	s_waitcnt vmcnt(0)
	v_lshlrev_b32_e32 v3, 16, v2
	v_mov_b32_e32 v6, 0
	v_cvt_f64_f32_e32 v[4:5], v3
	v_mov_b32_e32 v7, v6
	s_mov_b64 s[12:13], 0
	global_store_dwordx4 v[0:1], v[4:7], off
.LBB488_996:
	s_andn2_b64 vcc, exec, s[12:13]
	s_cbranch_vccnz .LBB488_998
; %bb.997:
	s_waitcnt vmcnt(0)
	v_lshlrev_b32_e32 v4, 16, v2
	v_mov_b32_e32 v5, 0
	global_store_dwordx2 v[0:1], v[4:5], off
.LBB488_998:
	s_mov_b64 s[12:13], 0
.LBB488_999:
	s_andn2_b64 vcc, exec, s[12:13]
	s_cbranch_vccnz .LBB488_1001
; %bb.1000:
	s_waitcnt vmcnt(0)
	v_lshlrev_b32_e32 v3, 16, v2
	v_cvt_f16_f32_e32 v3, v3
	global_store_dword v[0:1], v3, off
.LBB488_1001:
	s_mov_b64 s[12:13], 0
.LBB488_1002:
	s_andn2_b64 vcc, exec, s[12:13]
	s_cbranch_vccnz .LBB488_1011
; %bb.1003:
	s_sext_i32_i16 s14, s26
	s_cmp_lt_i32 s14, 6
	s_mov_b64 s[12:13], -1
	s_cbranch_scc1 .LBB488_1009
; %bb.1004:
	s_cmp_gt_i32 s14, 6
	s_cbranch_scc0 .LBB488_1006
; %bb.1005:
	s_waitcnt vmcnt(0)
	v_lshlrev_b32_e32 v3, 16, v2
	v_cvt_f64_f32_e32 v[4:5], v3
	s_mov_b64 s[12:13], 0
	global_store_dwordx2 v[0:1], v[4:5], off
.LBB488_1006:
	s_andn2_b64 vcc, exec, s[12:13]
	s_cbranch_vccnz .LBB488_1008
; %bb.1007:
	s_waitcnt vmcnt(0)
	v_lshlrev_b32_e32 v3, 16, v2
	global_store_dword v[0:1], v3, off
.LBB488_1008:
	s_mov_b64 s[12:13], 0
.LBB488_1009:
	s_andn2_b64 vcc, exec, s[12:13]
	s_cbranch_vccnz .LBB488_1011
; %bb.1010:
	s_waitcnt vmcnt(0)
	v_lshlrev_b32_e32 v3, 16, v2
	v_cvt_f16_f32_e32 v3, v3
	global_store_short v[0:1], v3, off
.LBB488_1011:
	s_mov_b64 s[12:13], 0
.LBB488_1012:
	s_andn2_b64 vcc, exec, s[12:13]
	s_cbranch_vccnz .LBB488_1028
; %bb.1013:
	s_sext_i32_i16 s14, s26
	s_cmp_lt_i32 s14, 2
	s_mov_b64 s[12:13], -1
	s_cbranch_scc1 .LBB488_1023
; %bb.1014:
	s_cmp_lt_i32 s14, 3
	s_cbranch_scc1 .LBB488_1020
; %bb.1015:
	s_cmp_gt_i32 s14, 3
	s_cbranch_scc0 .LBB488_1017
; %bb.1016:
	s_waitcnt vmcnt(0)
	v_lshlrev_b32_e32 v3, 16, v2
	v_trunc_f32_e32 v3, v3
	s_mov_b32 s12, 0x2f800000
	v_mul_f32_e64 v4, |v3|, s12
	v_floor_f32_e32 v4, v4
	s_mov_b32 s12, 0xcf800000
	v_cvt_u32_f32_e32 v5, v4
	v_fma_f32 v4, v4, s12, |v3|
	v_cvt_u32_f32_e32 v4, v4
	v_ashrrev_i32_e32 v3, 31, v3
	v_xor_b32_e32 v5, v5, v3
	s_mov_b64 s[12:13], 0
	v_xor_b32_e32 v4, v4, v3
	v_sub_co_u32_e32 v4, vcc, v4, v3
	s_nop 1
	v_subb_co_u32_e32 v5, vcc, v5, v3, vcc
	global_store_dwordx2 v[0:1], v[4:5], off
.LBB488_1017:
	s_andn2_b64 vcc, exec, s[12:13]
	s_cbranch_vccnz .LBB488_1019
; %bb.1018:
	s_waitcnt vmcnt(0)
	v_lshlrev_b32_e32 v3, 16, v2
	v_cvt_i32_f32_e32 v3, v3
	global_store_dword v[0:1], v3, off
.LBB488_1019:
	s_mov_b64 s[12:13], 0
.LBB488_1020:
	s_andn2_b64 vcc, exec, s[12:13]
	s_cbranch_vccnz .LBB488_1022
; %bb.1021:
	s_waitcnt vmcnt(0)
	v_lshlrev_b32_e32 v3, 16, v2
	v_cvt_i32_f32_e32 v3, v3
	global_store_short v[0:1], v3, off
.LBB488_1022:
	s_mov_b64 s[12:13], 0
.LBB488_1023:
	s_andn2_b64 vcc, exec, s[12:13]
	s_cbranch_vccnz .LBB488_1028
; %bb.1024:
	s_sext_i32_i16 s14, s26
	s_mov_b64 s[12:13], -1
	s_cmp_gt_i32 s14, 0
	s_waitcnt vmcnt(0)
	v_lshlrev_b32_e32 v2, 16, v2
	s_cbranch_scc0 .LBB488_1026
; %bb.1025:
	v_cvt_i32_f32_e32 v3, v2
	s_mov_b64 s[12:13], 0
	global_store_byte v[0:1], v3, off
.LBB488_1026:
	s_andn2_b64 vcc, exec, s[12:13]
	s_cbranch_vccnz .LBB488_1028
; %bb.1027:
	v_trunc_f32_e32 v2, v2
	s_mov_b32 s12, 0x2f800000
	v_mul_f32_e64 v3, |v2|, s12
	v_floor_f32_e32 v3, v3
	s_mov_b32 s12, 0xcf800000
	v_fma_f32 v3, v3, s12, |v2|
	v_cvt_u32_f32_e32 v3, v3
	v_ashrrev_i32_e32 v2, 31, v2
	v_xor_b32_e32 v3, v3, v2
	v_sub_u32_e32 v2, v3, v2
	global_store_byte v[0:1], v2, off
.LBB488_1028:
	s_or_b64 exec, exec, s[0:1]
	s_and_b64 s[12:13], s[16:17], exec
                                        ; implicit-def: $vgpr4
.LBB488_1029:
	s_or_saveexec_b64 s[10:11], s[10:11]
	s_mov_b64 s[0:1], 0
                                        ; implicit-def: $sgpr20
                                        ; implicit-def: $vgpr0_vgpr1
                                        ; implicit-def: $vgpr2
	s_xor_b64 exec, exec, s[10:11]
	s_cbranch_execz .LBB488_1976
; %bb.1030:
	v_mul_lo_u32 v0, s9, v4
	v_ashrrev_i32_e32 v1, 31, v0
	s_and_b32 s22, 0xffff, s43
	s_cmp_lt_i32 s22, 11
	s_waitcnt vmcnt(0)
	v_lshl_add_u64 v[2:3], s[6:7], 0, v[0:1]
	s_cbranch_scc1 .LBB488_1037
; %bb.1031:
	s_cmp_gt_i32 s22, 25
	s_cbranch_scc0 .LBB488_1039
; %bb.1032:
	s_cmp_gt_i32 s22, 28
	s_cbranch_scc0 .LBB488_1040
	;; [unrolled: 3-line block ×4, first 2 shown]
; %bb.1035:
	s_cmp_eq_u32 s22, 46
	s_mov_b64 s[14:15], 0
	s_cbranch_scc0 .LBB488_1045
; %bb.1036:
	global_load_dword v5, v[2:3], off
	s_mov_b64 s[16:17], -1
	s_branch .LBB488_1046
.LBB488_1037:
	s_mov_b64 s[16:17], 0
                                        ; implicit-def: $vgpr5
	s_mov_b64 s[14:15], s[12:13]
	s_cbranch_execnz .LBB488_1108
.LBB488_1038:
	s_andn2_b64 vcc, exec, s[16:17]
	s_cbranch_vccz .LBB488_1153
	s_branch .LBB488_1974
.LBB488_1039:
	s_mov_b64 s[16:17], 0
                                        ; implicit-def: $vgpr5
	s_cbranch_execnz .LBB488_1073
	s_branch .LBB488_1104
.LBB488_1040:
	s_mov_b64 s[16:17], 0
                                        ; implicit-def: $vgpr5
	s_cbranch_execz .LBB488_1072
	s_branch .LBB488_1055
.LBB488_1041:
	s_mov_b64 s[16:17], 0
                                        ; implicit-def: $vgpr5
	s_cbranch_execnz .LBB488_1051
	s_branch .LBB488_1054
.LBB488_1042:
	s_mov_b64 s[14:15], -1
	s_mov_b64 s[16:17], 0
                                        ; implicit-def: $vgpr5
	s_branch .LBB488_1046
.LBB488_1043:
	s_andn2_saveexec_b64 s[22:23], s[22:23]
	s_cbranch_execz .LBB488_942
.LBB488_1044:
	s_mov_b32 s24, 0x46000000
	v_add_f32_e64 v4, |v5|, s24
	v_and_b32_e32 v4, 0xff, v4
	v_cmp_ne_u32_e32 vcc, 0, v4
	s_andn2_b64 s[20:21], s[20:21], exec
	s_and_b64 s[24:25], vcc, exec
	s_or_b64 s[20:21], s[20:21], s[24:25]
	s_or_b64 exec, exec, s[22:23]
	v_mov_b32_e32 v6, 0
	s_and_saveexec_b64 s[22:23], s[20:21]
	s_cbranch_execnz .LBB488_943
	s_branch .LBB488_944
.LBB488_1045:
	s_mov_b64 s[0:1], -1
                                        ; implicit-def: $vgpr5
	s_mov_b64 s[16:17], 0
.LBB488_1046:
	s_and_b64 vcc, exec, s[14:15]
	s_cbranch_vccz .LBB488_1049
; %bb.1047:
	s_cmp_eq_u32 s22, 44
	s_cbranch_scc0 .LBB488_1050
; %bb.1048:
	global_load_ubyte v1, v[2:3], off
	s_movk_i32 s14, 0xff
	s_waitcnt vmcnt(1)
	v_mov_b32_e32 v5, 0x7f800001
	v_mov_b32_e32 v6, 0x400000
	;; [unrolled: 1-line block ×3, first 2 shown]
	s_mov_b64 s[0:1], 0
	s_mov_b64 s[16:17], -1
	s_waitcnt vmcnt(0)
	v_lshlrev_b32_e32 v8, 23, v1
	v_cmp_ne_u32_e32 vcc, s14, v1
	s_nop 1
	v_cndmask_b32_e32 v5, v5, v8, vcc
	v_cmp_ne_u32_e32 vcc, 0, v1
	s_nop 1
	v_cndmask_b32_e32 v1, v6, v5, vcc
	v_add_u32_e32 v5, 0x7fff, v1
	v_cmp_o_f32_e32 vcc, v1, v1
	s_nop 1
	v_cndmask_b32_sdwa v5, v7, v5, vcc dst_sel:DWORD dst_unused:UNUSED_PAD src0_sel:DWORD src1_sel:WORD_1
.LBB488_1049:
	s_branch .LBB488_1054
.LBB488_1050:
	s_mov_b64 s[0:1], -1
                                        ; implicit-def: $vgpr5
	s_branch .LBB488_1054
.LBB488_1051:
	s_cmp_eq_u32 s22, 29
	s_cbranch_scc0 .LBB488_1053
; %bb.1052:
	global_load_dwordx2 v[6:7], v[2:3], off
	s_movk_i32 s14, 0x7fff
	s_mov_b64 s[0:1], 0
	s_mov_b64 s[16:17], -1
	s_waitcnt vmcnt(0)
	v_ffbh_u32_e32 v1, v7
	v_min_u32_e32 v1, 32, v1
	v_lshlrev_b64 v[6:7], v1, v[6:7]
	v_min_u32_e32 v5, 1, v6
	v_or_b32_e32 v5, v7, v5
	v_cvt_f32_u32_e32 v5, v5
	v_sub_u32_e32 v1, 32, v1
	v_ldexp_f32 v1, v5, v1
	v_bfe_u32 v5, v1, 16, 1
	v_add3_u32 v1, v1, v5, s14
	v_lshrrev_b32_e32 v5, 16, v1
	s_branch .LBB488_1054
.LBB488_1053:
	s_mov_b64 s[0:1], -1
                                        ; implicit-def: $vgpr5
.LBB488_1054:
	s_branch .LBB488_1072
.LBB488_1055:
	s_cmp_lt_i32 s22, 27
	s_cbranch_scc1 .LBB488_1058
; %bb.1056:
	s_cmp_gt_i32 s22, 27
	s_cbranch_scc0 .LBB488_1059
; %bb.1057:
	global_load_dword v1, v[2:3], off
	s_movk_i32 s14, 0x7fff
	s_waitcnt vmcnt(0)
	v_cvt_f32_u32_e32 v1, v1
	v_bfe_u32 v5, v1, 16, 1
	v_add3_u32 v1, v1, v5, s14
	v_lshrrev_b32_e32 v5, 16, v1
	s_mov_b64 s[14:15], 0
	s_branch .LBB488_1060
.LBB488_1058:
	s_mov_b64 s[14:15], -1
                                        ; implicit-def: $vgpr5
	s_branch .LBB488_1063
.LBB488_1059:
	s_mov_b64 s[14:15], -1
                                        ; implicit-def: $vgpr5
.LBB488_1060:
	s_andn2_b64 vcc, exec, s[14:15]
	s_cbranch_vccnz .LBB488_1062
; %bb.1061:
	global_load_ushort v1, v[2:3], off
	s_movk_i32 s14, 0x7fff
	s_waitcnt vmcnt(0)
	v_cvt_f32_u32_e32 v1, v1
	v_bfe_u32 v5, v1, 16, 1
	v_add3_u32 v1, v1, v5, s14
	v_lshrrev_b32_e32 v5, 16, v1
.LBB488_1062:
	s_mov_b64 s[14:15], 0
.LBB488_1063:
	s_andn2_b64 vcc, exec, s[14:15]
	s_cbranch_vccnz .LBB488_1071
; %bb.1064:
	global_load_ubyte v1, v[2:3], off
	s_movk_i32 s14, 0x7f
	s_waitcnt vmcnt(0)
	v_cmp_lt_i16_e32 vcc, s14, v1
	s_mov_b64 s[14:15], 0
	s_and_saveexec_b64 s[16:17], vcc
	s_xor_b64 s[16:17], exec, s[16:17]
	s_cbranch_execz .LBB488_1084
; %bb.1065:
	s_movk_i32 s14, 0x80
	v_cmp_eq_u16_e32 vcc, s14, v1
	s_mov_b64 s[14:15], -1
	s_and_saveexec_b64 s[18:19], vcc
; %bb.1066:
	s_xor_b64 s[14:15], exec, -1
; %bb.1067:
	s_or_b64 exec, exec, s[18:19]
	s_and_b64 s[14:15], s[14:15], exec
	s_or_saveexec_b64 s[16:17], s[16:17]
	v_mov_b32_e32 v5, 0x7f800001
	s_xor_b64 exec, exec, s[16:17]
	s_cbranch_execnz .LBB488_1085
.LBB488_1068:
	s_or_b64 exec, exec, s[16:17]
	s_and_saveexec_b64 s[16:17], s[14:15]
	s_cbranch_execz .LBB488_1070
.LBB488_1069:
	v_lshlrev_b32_e32 v5, 24, v1
	v_and_b32_e32 v1, 0xffff, v1
	v_and_b32_e32 v6, 7, v1
	v_ffbh_u32_e32 v8, v6
	v_min_u32_e32 v8, 32, v8
	v_subrev_u32_e32 v9, 28, v8
	v_bfe_u32 v7, v1, 3, 4
	v_lshlrev_b32_e32 v1, v9, v1
	v_sub_u32_e32 v8, 29, v8
	v_and_b32_e32 v1, 7, v1
	v_cmp_eq_u32_e32 vcc, 0, v7
	v_and_b32_e32 v5, 0x80000000, v5
	s_nop 0
	v_cndmask_b32_e32 v7, v7, v8, vcc
	v_cndmask_b32_e32 v1, v6, v1, vcc
	v_mov_b32_e32 v6, 0x3b800000
	v_lshlrev_b32_e32 v1, 20, v1
	v_lshl_add_u32 v6, v7, 23, v6
	v_or3_b32 v5, v5, v6, v1
.LBB488_1070:
	s_or_b64 exec, exec, s[16:17]
	v_bfe_u32 v1, v5, 16, 1
	s_movk_i32 s14, 0x7fff
	v_add3_u32 v1, v5, v1, s14
	v_cmp_o_f32_e32 vcc, v5, v5
	v_mov_b32_e32 v5, 0x7fc0
	s_nop 0
	v_cndmask_b32_sdwa v5, v5, v1, vcc dst_sel:DWORD dst_unused:UNUSED_PAD src0_sel:DWORD src1_sel:WORD_1
.LBB488_1071:
	s_mov_b64 s[16:17], -1
.LBB488_1072:
	s_branch .LBB488_1104
.LBB488_1073:
	s_cmp_gt_i32 s22, 22
	s_cbranch_scc0 .LBB488_1083
; %bb.1074:
	s_cmp_lt_i32 s22, 24
	s_cbranch_scc1 .LBB488_1086
; %bb.1075:
	s_cmp_gt_i32 s22, 24
	s_cbranch_scc0 .LBB488_1087
; %bb.1076:
	global_load_ubyte v1, v[2:3], off
	s_movk_i32 s2, 0x7f
	s_waitcnt vmcnt(0)
	v_cmp_lt_i16_e32 vcc, s2, v1
	s_mov_b64 s[2:3], 0
	s_and_saveexec_b64 s[14:15], vcc
	s_xor_b64 s[14:15], exec, s[14:15]
	s_cbranch_execz .LBB488_1098
; %bb.1077:
	s_movk_i32 s2, 0x80
	v_cmp_eq_u16_e32 vcc, s2, v1
	s_mov_b64 s[2:3], -1
	s_and_saveexec_b64 s[16:17], vcc
; %bb.1078:
	s_xor_b64 s[2:3], exec, -1
; %bb.1079:
	s_or_b64 exec, exec, s[16:17]
	s_and_b64 s[2:3], s[2:3], exec
	s_or_saveexec_b64 s[14:15], s[14:15]
	v_mov_b32_e32 v5, 0x7f800001
	s_xor_b64 exec, exec, s[14:15]
	s_cbranch_execnz .LBB488_1099
.LBB488_1080:
	s_or_b64 exec, exec, s[14:15]
	s_and_saveexec_b64 s[14:15], s[2:3]
	s_cbranch_execz .LBB488_1082
.LBB488_1081:
	v_lshlrev_b32_e32 v5, 24, v1
	v_and_b32_e32 v1, 0xffff, v1
	v_and_b32_e32 v6, 3, v1
	v_ffbh_u32_e32 v8, v6
	v_min_u32_e32 v8, 32, v8
	v_subrev_u32_e32 v9, 29, v8
	v_bfe_u32 v7, v1, 2, 5
	v_lshlrev_b32_e32 v1, v9, v1
	v_sub_u32_e32 v8, 30, v8
	v_and_b32_e32 v1, 3, v1
	v_cmp_eq_u32_e32 vcc, 0, v7
	v_and_b32_e32 v5, 0x80000000, v5
	s_nop 0
	v_cndmask_b32_e32 v7, v7, v8, vcc
	v_cndmask_b32_e32 v1, v6, v1, vcc
	v_mov_b32_e32 v6, 0x37800000
	v_lshlrev_b32_e32 v1, 21, v1
	v_lshl_add_u32 v6, v7, 23, v6
	v_or3_b32 v5, v5, v6, v1
.LBB488_1082:
	s_or_b64 exec, exec, s[14:15]
	v_bfe_u32 v1, v5, 16, 1
	s_movk_i32 s2, 0x7fff
	v_add3_u32 v1, v5, v1, s2
	v_cmp_o_f32_e32 vcc, v5, v5
	v_mov_b32_e32 v5, 0x7fc0
	s_mov_b64 s[2:3], 0
	v_cndmask_b32_sdwa v5, v5, v1, vcc dst_sel:DWORD dst_unused:UNUSED_PAD src0_sel:DWORD src1_sel:WORD_1
	s_branch .LBB488_1088
.LBB488_1083:
                                        ; implicit-def: $vgpr5
	s_mov_b64 s[2:3], 0
	s_branch .LBB488_1094
.LBB488_1084:
	s_or_saveexec_b64 s[16:17], s[16:17]
	v_mov_b32_e32 v5, 0x7f800001
	s_xor_b64 exec, exec, s[16:17]
	s_cbranch_execz .LBB488_1068
.LBB488_1085:
	v_cmp_ne_u16_e32 vcc, 0, v1
	s_andn2_b64 s[14:15], s[14:15], exec
	s_and_b64 s[18:19], vcc, exec
	v_mov_b32_e32 v5, 0
	s_or_b64 s[14:15], s[14:15], s[18:19]
	s_or_b64 exec, exec, s[16:17]
	s_and_saveexec_b64 s[16:17], s[14:15]
	s_cbranch_execnz .LBB488_1069
	s_branch .LBB488_1070
.LBB488_1086:
	s_mov_b64 s[2:3], -1
                                        ; implicit-def: $vgpr5
	s_branch .LBB488_1091
.LBB488_1087:
	s_mov_b64 s[2:3], -1
                                        ; implicit-def: $vgpr5
.LBB488_1088:
	s_and_b64 vcc, exec, s[2:3]
	s_cbranch_vccz .LBB488_1090
; %bb.1089:
	global_load_ubyte v1, v[2:3], off
	s_mov_b32 s2, 0x7f800000
	s_brev_b32 s3, 1
	s_movk_i32 s14, 0x7fff
	s_waitcnt vmcnt(0)
	v_lshlrev_b32_e32 v1, 24, v1
	v_and_b32_e32 v5, 0x7f000000, v1
	v_ffbh_u32_e32 v6, v5
	v_min_u32_e32 v6, 32, v6
	v_sub_u32_e64 v6, v6, 4 clamp
	v_lshlrev_b32_e32 v8, v6, v5
	v_lshlrev_b32_e32 v6, 23, v6
	v_lshrrev_b32_e32 v8, 4, v8
	v_add_u32_e32 v7, 0x1000000, v5
	v_sub_u32_e32 v6, v8, v6
	v_ashrrev_i32_e32 v7, 8, v7
	v_add_u32_e32 v6, 0x3c000000, v6
	v_and_or_b32 v6, v7, s2, v6
	v_cmp_ne_u32_e32 vcc, 0, v5
	s_nop 1
	v_cndmask_b32_e32 v5, 0, v6, vcc
	v_and_or_b32 v1, v1, s3, v5
	v_bfe_u32 v5, v5, 16, 1
	v_add3_u32 v5, v1, v5, s14
	v_cmp_o_f32_e32 vcc, v1, v1
	v_mov_b32_e32 v1, 0x7fc0
	s_nop 0
	v_cndmask_b32_sdwa v5, v1, v5, vcc dst_sel:DWORD dst_unused:UNUSED_PAD src0_sel:DWORD src1_sel:WORD_1
.LBB488_1090:
	s_mov_b64 s[2:3], 0
.LBB488_1091:
	s_andn2_b64 vcc, exec, s[2:3]
	s_cbranch_vccnz .LBB488_1093
; %bb.1092:
	global_load_ubyte v1, v[2:3], off
	s_movk_i32 s2, 0x7f00
	s_brev_b32 s3, 16
	s_brev_b32 s14, 1
	s_movk_i32 s15, 0x7fff
	s_waitcnt vmcnt(0)
	v_lshlrev_b16_e32 v5, 8, v1
	v_lshlrev_b32_e32 v1, 25, v1
	v_lshrrev_b32_e32 v6, 4, v1
	v_and_or_b32 v7, v5, s2, 0.5
	v_or_b32_e32 v6, 0x70000000, v6
	v_add_f32_e32 v7, -0.5, v7
	v_mul_f32_e32 v6, 0x7800000, v6
	v_cmp_gt_u32_e32 vcc, s3, v1
	v_bfe_i32 v5, v5, 0, 16
	s_nop 0
	v_cndmask_b32_e32 v1, v6, v7, vcc
	v_and_or_b32 v5, v5, s14, v1
	v_bfe_u32 v1, v1, 16, 1
	v_add3_u32 v1, v5, v1, s15
	v_cmp_o_f32_e32 vcc, v5, v5
	v_mov_b32_e32 v5, 0x7fc0
	s_nop 0
	v_cndmask_b32_sdwa v5, v5, v1, vcc dst_sel:DWORD dst_unused:UNUSED_PAD src0_sel:DWORD src1_sel:WORD_1
.LBB488_1093:
	s_mov_b64 s[16:17], -1
	s_mov_b64 s[2:3], 0
	s_cbranch_execnz .LBB488_1104
.LBB488_1094:
	s_cmp_gt_i32 s22, 14
	s_cbranch_scc0 .LBB488_1097
; %bb.1095:
	s_cmp_eq_u32 s22, 15
	s_cbranch_scc0 .LBB488_1100
; %bb.1096:
	global_load_ushort v5, v[2:3], off
	s_mov_b64 s[0:1], 0
	s_mov_b64 s[16:17], -1
	s_branch .LBB488_1101
.LBB488_1097:
	s_mov_b64 s[14:15], -1
                                        ; implicit-def: $vgpr5
	s_branch .LBB488_1102
.LBB488_1098:
	s_or_saveexec_b64 s[14:15], s[14:15]
	v_mov_b32_e32 v5, 0x7f800001
	s_xor_b64 exec, exec, s[14:15]
	s_cbranch_execz .LBB488_1080
.LBB488_1099:
	v_cmp_ne_u16_e32 vcc, 0, v1
	s_andn2_b64 s[2:3], s[2:3], exec
	s_and_b64 s[16:17], vcc, exec
	v_mov_b32_e32 v5, 0
	s_or_b64 s[2:3], s[2:3], s[16:17]
	s_or_b64 exec, exec, s[14:15]
	s_and_saveexec_b64 s[14:15], s[2:3]
	s_cbranch_execnz .LBB488_1081
	s_branch .LBB488_1082
.LBB488_1100:
	s_mov_b64 s[0:1], -1
                                        ; implicit-def: $vgpr5
.LBB488_1101:
	s_mov_b64 s[14:15], 0
.LBB488_1102:
	s_and_b64 vcc, exec, s[14:15]
	s_cbranch_vccz .LBB488_1104
; %bb.1103:
	s_cmp_lg_u32 s22, 11
	s_mov_b64 s[2:3], -1
	s_cselect_b64 s[0:1], -1, 0
.LBB488_1104:
	s_and_b64 vcc, exec, s[0:1]
	s_mov_b64 s[14:15], s[12:13]
	s_cbranch_vccnz .LBB488_1165
; %bb.1105:
	s_andn2_b64 vcc, exec, s[2:3]
	s_cbranch_vccnz .LBB488_1107
.LBB488_1106:
	global_load_ubyte v1, v[2:3], off
	s_mov_b64 s[16:17], -1
	s_waitcnt vmcnt(0)
	v_cmp_ne_u16_e32 vcc, 0, v1
	s_nop 1
	v_cndmask_b32_e64 v1, 0, 1.0, vcc
	v_lshrrev_b32_e32 v5, 16, v1
.LBB488_1107:
	s_branch .LBB488_1038
.LBB488_1108:
	s_cmp_lt_i32 s22, 5
	s_cbranch_scc1 .LBB488_1113
; %bb.1109:
	s_cmp_lt_i32 s22, 8
	s_cbranch_scc1 .LBB488_1114
; %bb.1110:
	;; [unrolled: 3-line block ×3, first 2 shown]
	s_cmp_gt_i32 s22, 9
	s_cbranch_scc0 .LBB488_1116
; %bb.1112:
	global_load_dwordx2 v[6:7], v[2:3], off
	s_movk_i32 s0, 0x7fff
	v_mov_b32_e32 v1, 0x7fc0
	s_waitcnt vmcnt(0)
	v_cvt_f32_f64_e32 v5, v[6:7]
	v_bfe_u32 v6, v5, 16, 1
	v_cmp_o_f32_e32 vcc, v5, v5
	v_add3_u32 v5, v5, v6, s0
	s_mov_b64 s[0:1], 0
	v_cndmask_b32_sdwa v5, v1, v5, vcc dst_sel:DWORD dst_unused:UNUSED_PAD src0_sel:DWORD src1_sel:WORD_1
	s_branch .LBB488_1117
.LBB488_1113:
                                        ; implicit-def: $vgpr5
	s_branch .LBB488_1134
.LBB488_1114:
                                        ; implicit-def: $vgpr5
	s_branch .LBB488_1123
.LBB488_1115:
	s_mov_b64 s[0:1], -1
                                        ; implicit-def: $vgpr5
	s_branch .LBB488_1120
.LBB488_1116:
	s_mov_b64 s[0:1], -1
                                        ; implicit-def: $vgpr5
.LBB488_1117:
	s_andn2_b64 vcc, exec, s[0:1]
	s_cbranch_vccnz .LBB488_1119
; %bb.1118:
	global_load_dword v1, v[2:3], off
	s_movk_i32 s0, 0x7fff
	s_waitcnt vmcnt(1)
	v_mov_b32_e32 v5, 0x7fc0
	s_waitcnt vmcnt(0)
	v_bfe_u32 v6, v1, 16, 1
	v_cmp_o_f32_e32 vcc, v1, v1
	v_add3_u32 v1, v1, v6, s0
	s_nop 0
	v_cndmask_b32_sdwa v5, v5, v1, vcc dst_sel:DWORD dst_unused:UNUSED_PAD src0_sel:DWORD src1_sel:WORD_1
.LBB488_1119:
	s_mov_b64 s[0:1], 0
.LBB488_1120:
	s_andn2_b64 vcc, exec, s[0:1]
	s_cbranch_vccnz .LBB488_1122
; %bb.1121:
	global_load_dword v1, v[2:3], off
	s_movk_i32 s0, 0x7fff
	v_mov_b32_e32 v6, 0x7fc0
	s_waitcnt vmcnt(0)
	v_cvt_f32_f16_e32 v5, v1
	v_cmp_o_f16_e32 vcc, v1, v1
	v_bfe_u32 v1, v5, 16, 1
	v_add3_u32 v1, v5, v1, s0
	v_cndmask_b32_sdwa v5, v6, v1, vcc dst_sel:DWORD dst_unused:UNUSED_PAD src0_sel:DWORD src1_sel:WORD_1
.LBB488_1122:
	s_cbranch_execnz .LBB488_1133
.LBB488_1123:
	s_cmp_lt_i32 s22, 6
	s_cbranch_scc1 .LBB488_1126
; %bb.1124:
	s_cmp_gt_i32 s22, 6
	s_cbranch_scc0 .LBB488_1127
; %bb.1125:
	global_load_dwordx2 v[6:7], v[2:3], off
	s_movk_i32 s0, 0x7fff
	v_mov_b32_e32 v1, 0x7fc0
	s_waitcnt vmcnt(0)
	v_cvt_f32_f64_e32 v5, v[6:7]
	v_bfe_u32 v6, v5, 16, 1
	v_cmp_o_f32_e32 vcc, v5, v5
	v_add3_u32 v5, v5, v6, s0
	s_mov_b64 s[0:1], 0
	v_cndmask_b32_sdwa v5, v1, v5, vcc dst_sel:DWORD dst_unused:UNUSED_PAD src0_sel:DWORD src1_sel:WORD_1
	s_branch .LBB488_1128
.LBB488_1126:
	s_mov_b64 s[0:1], -1
                                        ; implicit-def: $vgpr5
	s_branch .LBB488_1131
.LBB488_1127:
	s_mov_b64 s[0:1], -1
                                        ; implicit-def: $vgpr5
.LBB488_1128:
	s_andn2_b64 vcc, exec, s[0:1]
	s_cbranch_vccnz .LBB488_1130
; %bb.1129:
	global_load_dword v1, v[2:3], off
	s_movk_i32 s0, 0x7fff
	s_waitcnt vmcnt(1)
	v_mov_b32_e32 v5, 0x7fc0
	s_waitcnt vmcnt(0)
	v_bfe_u32 v6, v1, 16, 1
	v_cmp_o_f32_e32 vcc, v1, v1
	v_add3_u32 v1, v1, v6, s0
	s_nop 0
	v_cndmask_b32_sdwa v5, v5, v1, vcc dst_sel:DWORD dst_unused:UNUSED_PAD src0_sel:DWORD src1_sel:WORD_1
.LBB488_1130:
	s_mov_b64 s[0:1], 0
.LBB488_1131:
	s_andn2_b64 vcc, exec, s[0:1]
	s_cbranch_vccnz .LBB488_1133
; %bb.1132:
	global_load_ushort v1, v[2:3], off
	s_movk_i32 s0, 0x7fff
	v_mov_b32_e32 v6, 0x7fc0
	s_waitcnt vmcnt(0)
	v_cvt_f32_f16_e32 v5, v1
	v_cmp_o_f16_e32 vcc, v1, v1
	v_bfe_u32 v1, v5, 16, 1
	v_add3_u32 v1, v5, v1, s0
	v_cndmask_b32_sdwa v5, v6, v1, vcc dst_sel:DWORD dst_unused:UNUSED_PAD src0_sel:DWORD src1_sel:WORD_1
.LBB488_1133:
	s_cbranch_execnz .LBB488_1152
.LBB488_1134:
	s_cmp_lt_i32 s22, 2
	s_cbranch_scc1 .LBB488_1138
; %bb.1135:
	s_cmp_lt_i32 s22, 3
	s_cbranch_scc1 .LBB488_1139
; %bb.1136:
	s_cmp_gt_i32 s22, 3
	s_cbranch_scc0 .LBB488_1140
; %bb.1137:
	global_load_dwordx2 v[6:7], v[2:3], off
	s_movk_i32 s0, 0x7fff
	s_waitcnt vmcnt(0)
	v_xor_b32_e32 v5, v6, v7
	v_ffbh_i32_e32 v1, v7
	v_ashrrev_i32_e32 v5, 31, v5
	v_add_u32_e32 v1, -1, v1
	v_add_u32_e32 v5, 32, v5
	v_min_u32_e32 v1, v1, v5
	v_lshlrev_b64 v[6:7], v1, v[6:7]
	v_min_u32_e32 v5, 1, v6
	v_or_b32_e32 v5, v7, v5
	v_cvt_f32_i32_e32 v5, v5
	v_sub_u32_e32 v1, 32, v1
	v_ldexp_f32 v1, v5, v1
	v_bfe_u32 v5, v1, 16, 1
	v_add3_u32 v1, v1, v5, s0
	v_lshrrev_b32_e32 v5, 16, v1
	s_mov_b64 s[0:1], 0
	s_branch .LBB488_1141
.LBB488_1138:
                                        ; implicit-def: $vgpr5
	s_branch .LBB488_1147
.LBB488_1139:
	s_mov_b64 s[0:1], -1
                                        ; implicit-def: $vgpr5
	s_branch .LBB488_1144
.LBB488_1140:
	s_mov_b64 s[0:1], -1
                                        ; implicit-def: $vgpr5
.LBB488_1141:
	s_andn2_b64 vcc, exec, s[0:1]
	s_cbranch_vccnz .LBB488_1143
; %bb.1142:
	global_load_dword v1, v[2:3], off
	s_movk_i32 s0, 0x7fff
	s_waitcnt vmcnt(0)
	v_cvt_f32_i32_e32 v1, v1
	v_bfe_u32 v5, v1, 16, 1
	v_add3_u32 v1, v1, v5, s0
	v_lshrrev_b32_e32 v5, 16, v1
.LBB488_1143:
	s_mov_b64 s[0:1], 0
.LBB488_1144:
	s_andn2_b64 vcc, exec, s[0:1]
	s_cbranch_vccnz .LBB488_1146
; %bb.1145:
	global_load_sshort v1, v[2:3], off
	s_movk_i32 s0, 0x7fff
	s_waitcnt vmcnt(0)
	v_cvt_f32_i32_e32 v1, v1
	v_bfe_u32 v5, v1, 16, 1
	v_add3_u32 v1, v1, v5, s0
	v_lshrrev_b32_e32 v5, 16, v1
.LBB488_1146:
	s_cbranch_execnz .LBB488_1152
.LBB488_1147:
	s_cmp_gt_i32 s22, 0
	s_cbranch_scc0 .LBB488_1149
; %bb.1148:
	global_load_sbyte v1, v[2:3], off
	s_movk_i32 s0, 0x7fff
	s_waitcnt vmcnt(0)
	v_cvt_f32_i32_e32 v1, v1
	v_bfe_u32 v5, v1, 16, 1
	v_add3_u32 v1, v1, v5, s0
	v_lshrrev_b32_e32 v5, 16, v1
	s_mov_b64 s[0:1], 0
	s_branch .LBB488_1150
.LBB488_1149:
	s_mov_b64 s[0:1], -1
                                        ; implicit-def: $vgpr5
.LBB488_1150:
	s_andn2_b64 vcc, exec, s[0:1]
	s_cbranch_vccnz .LBB488_1152
; %bb.1151:
	global_load_ubyte v1, v[2:3], off
	s_movk_i32 s0, 0x7fff
	s_waitcnt vmcnt(0)
	v_cvt_f32_ubyte0_e32 v1, v1
	v_bfe_u32 v2, v1, 16, 1
	v_add3_u32 v1, v1, v2, s0
	v_lshrrev_b32_e32 v5, 16, v1
.LBB488_1152:
.LBB488_1153:
	s_lshl_b32 s9, s9, 7
	v_add_u32_e32 v0, s9, v0
	v_ashrrev_i32_e32 v1, 31, v0
	s_cmp_lt_i32 s22, 11
	v_lshl_add_u64 v[2:3], s[6:7], 0, v[0:1]
	s_cbranch_scc1 .LBB488_1160
; %bb.1154:
	s_cmp_gt_i32 s22, 25
	s_mov_b64 s[2:3], 0
	s_cbranch_scc0 .LBB488_1162
; %bb.1155:
	s_cmp_gt_i32 s22, 28
	s_cbranch_scc0 .LBB488_1163
; %bb.1156:
	s_cmp_gt_i32 s22, 43
	;; [unrolled: 3-line block ×3, first 2 shown]
	s_cbranch_scc0 .LBB488_1166
; %bb.1158:
	s_cmp_eq_u32 s22, 46
	s_mov_b64 s[18:19], 0
	s_cbranch_scc0 .LBB488_1169
; %bb.1159:
	global_load_dword v6, v[2:3], off
	s_mov_b64 s[0:1], 0
	s_mov_b64 s[16:17], -1
	s_branch .LBB488_1170
.LBB488_1160:
	s_mov_b64 s[16:17], 0
                                        ; implicit-def: $vgpr6
	s_cbranch_execnz .LBB488_1235
.LBB488_1161:
	s_andn2_b64 vcc, exec, s[16:17]
	s_cbranch_vccnz .LBB488_1974
	s_branch .LBB488_1282
.LBB488_1162:
	s_mov_b64 s[16:17], 0
	s_mov_b64 s[0:1], 0
                                        ; implicit-def: $vgpr6
	s_cbranch_execnz .LBB488_1199
	s_branch .LBB488_1231
.LBB488_1163:
	s_mov_b64 s[18:19], -1
	s_mov_b64 s[16:17], 0
	s_mov_b64 s[0:1], 0
                                        ; implicit-def: $vgpr6
	s_branch .LBB488_1180
.LBB488_1164:
	s_mov_b64 s[18:19], -1
	s_mov_b64 s[16:17], 0
	s_mov_b64 s[0:1], 0
                                        ; implicit-def: $vgpr6
	s_branch .LBB488_1175
.LBB488_1165:
	s_or_b64 s[14:15], s[12:13], exec
	s_trap 2
	s_cbranch_execz .LBB488_1106
	s_branch .LBB488_1107
.LBB488_1166:
	s_mov_b64 s[18:19], -1
	s_mov_b64 s[16:17], 0
	s_mov_b64 s[0:1], 0
                                        ; implicit-def: $vgpr6
	s_branch .LBB488_1170
.LBB488_1167:
	s_andn2_saveexec_b64 s[24:25], s[24:25]
	s_cbranch_execz .LBB488_954
.LBB488_1168:
	s_mov_b32 s28, 0x42800000
	v_add_f32_e64 v4, |v5|, s28
	v_and_b32_e32 v4, 0xff, v4
	v_cmp_ne_u32_e32 vcc, 0, v4
	s_andn2_b64 s[22:23], s[22:23], exec
	s_and_b64 s[28:29], vcc, exec
	s_or_b64 s[22:23], s[22:23], s[28:29]
	s_or_b64 exec, exec, s[24:25]
	v_mov_b32_e32 v6, 0
	s_and_saveexec_b64 s[24:25], s[22:23]
	s_cbranch_execnz .LBB488_955
	s_branch .LBB488_956
.LBB488_1169:
	s_mov_b64 s[0:1], -1
                                        ; implicit-def: $vgpr6
	s_mov_b64 s[16:17], 0
.LBB488_1170:
	s_and_b64 vcc, exec, s[18:19]
	s_cbranch_vccz .LBB488_1174
; %bb.1171:
	s_cmp_eq_u32 s22, 44
	s_cbranch_scc0 .LBB488_1173
; %bb.1172:
	global_load_ubyte v1, v[2:3], off
	s_movk_i32 s16, 0xff
	s_waitcnt vmcnt(1)
	v_mov_b32_e32 v6, 0x7f800001
	v_mov_b32_e32 v7, 0x400000
	;; [unrolled: 1-line block ×3, first 2 shown]
	s_mov_b64 s[0:1], 0
	s_waitcnt vmcnt(0)
	v_lshlrev_b32_e32 v9, 23, v1
	v_cmp_ne_u32_e32 vcc, s16, v1
	s_mov_b64 s[16:17], -1
	s_nop 0
	v_cndmask_b32_e32 v6, v6, v9, vcc
	v_cmp_ne_u32_e32 vcc, 0, v1
	s_nop 1
	v_cndmask_b32_e32 v1, v7, v6, vcc
	v_add_u32_e32 v6, 0x7fff, v1
	v_cmp_o_f32_e32 vcc, v1, v1
	s_nop 1
	v_cndmask_b32_sdwa v6, v8, v6, vcc dst_sel:DWORD dst_unused:UNUSED_PAD src0_sel:DWORD src1_sel:WORD_1
	s_branch .LBB488_1174
.LBB488_1173:
	s_mov_b64 s[0:1], -1
                                        ; implicit-def: $vgpr6
.LBB488_1174:
	s_mov_b64 s[18:19], 0
.LBB488_1175:
	s_and_b64 vcc, exec, s[18:19]
	s_cbranch_vccz .LBB488_1179
; %bb.1176:
	s_cmp_eq_u32 s22, 29
	s_cbranch_scc0 .LBB488_1178
; %bb.1177:
	global_load_dwordx2 v[6:7], v[2:3], off
	s_movk_i32 s16, 0x7fff
	s_mov_b64 s[0:1], 0
	s_mov_b64 s[18:19], 0
	s_waitcnt vmcnt(0)
	v_ffbh_u32_e32 v1, v7
	v_min_u32_e32 v1, 32, v1
	v_lshlrev_b64 v[6:7], v1, v[6:7]
	v_min_u32_e32 v6, 1, v6
	v_or_b32_e32 v6, v7, v6
	v_cvt_f32_u32_e32 v6, v6
	v_sub_u32_e32 v1, 32, v1
	v_ldexp_f32 v1, v6, v1
	v_bfe_u32 v6, v1, 16, 1
	v_add3_u32 v1, v1, v6, s16
	v_lshrrev_b32_e32 v6, 16, v1
	s_mov_b64 s[16:17], -1
	s_branch .LBB488_1180
.LBB488_1178:
	s_mov_b64 s[0:1], -1
                                        ; implicit-def: $vgpr6
.LBB488_1179:
	s_mov_b64 s[18:19], 0
.LBB488_1180:
	s_and_b64 vcc, exec, s[18:19]
	s_cbranch_vccz .LBB488_1198
; %bb.1181:
	s_cmp_lt_i32 s22, 27
	s_cbranch_scc1 .LBB488_1184
; %bb.1182:
	s_cmp_gt_i32 s22, 27
	s_cbranch_scc0 .LBB488_1185
; %bb.1183:
	global_load_dword v1, v[2:3], off
	s_movk_i32 s16, 0x7fff
	s_waitcnt vmcnt(0)
	v_cvt_f32_u32_e32 v1, v1
	v_bfe_u32 v6, v1, 16, 1
	v_add3_u32 v1, v1, v6, s16
	v_lshrrev_b32_e32 v6, 16, v1
	s_mov_b64 s[16:17], 0
	s_branch .LBB488_1186
.LBB488_1184:
	s_mov_b64 s[16:17], -1
                                        ; implicit-def: $vgpr6
	s_branch .LBB488_1189
.LBB488_1185:
	s_mov_b64 s[16:17], -1
                                        ; implicit-def: $vgpr6
.LBB488_1186:
	s_andn2_b64 vcc, exec, s[16:17]
	s_cbranch_vccnz .LBB488_1188
; %bb.1187:
	global_load_ushort v1, v[2:3], off
	s_movk_i32 s16, 0x7fff
	s_waitcnt vmcnt(0)
	v_cvt_f32_u32_e32 v1, v1
	v_bfe_u32 v6, v1, 16, 1
	v_add3_u32 v1, v1, v6, s16
	v_lshrrev_b32_e32 v6, 16, v1
.LBB488_1188:
	s_mov_b64 s[16:17], 0
.LBB488_1189:
	s_andn2_b64 vcc, exec, s[16:17]
	s_cbranch_vccnz .LBB488_1197
; %bb.1190:
	global_load_ubyte v1, v[2:3], off
	s_movk_i32 s16, 0x7f
	s_waitcnt vmcnt(0)
	v_cmp_lt_i16_e32 vcc, s16, v1
	s_mov_b64 s[16:17], 0
	s_and_saveexec_b64 s[18:19], vcc
	s_xor_b64 s[18:19], exec, s[18:19]
	s_cbranch_execz .LBB488_1210
; %bb.1191:
	s_movk_i32 s16, 0x80
	v_cmp_eq_u16_e32 vcc, s16, v1
	s_mov_b64 s[16:17], -1
	s_and_saveexec_b64 s[20:21], vcc
; %bb.1192:
	s_xor_b64 s[16:17], exec, -1
; %bb.1193:
	s_or_b64 exec, exec, s[20:21]
	s_and_b64 s[16:17], s[16:17], exec
	s_or_saveexec_b64 s[18:19], s[18:19]
	v_mov_b32_e32 v6, 0x7f800001
	s_xor_b64 exec, exec, s[18:19]
	s_cbranch_execnz .LBB488_1211
.LBB488_1194:
	s_or_b64 exec, exec, s[18:19]
	s_and_saveexec_b64 s[18:19], s[16:17]
	s_cbranch_execz .LBB488_1196
.LBB488_1195:
	v_lshlrev_b32_e32 v6, 24, v1
	v_and_b32_e32 v1, 0xffff, v1
	v_and_b32_e32 v7, 7, v1
	v_ffbh_u32_e32 v9, v7
	v_min_u32_e32 v9, 32, v9
	v_subrev_u32_e32 v10, 28, v9
	v_bfe_u32 v8, v1, 3, 4
	v_lshlrev_b32_e32 v1, v10, v1
	v_sub_u32_e32 v9, 29, v9
	v_and_b32_e32 v1, 7, v1
	v_cmp_eq_u32_e32 vcc, 0, v8
	v_and_b32_e32 v6, 0x80000000, v6
	s_nop 0
	v_cndmask_b32_e32 v8, v8, v9, vcc
	v_cndmask_b32_e32 v1, v7, v1, vcc
	v_mov_b32_e32 v7, 0x3b800000
	v_lshlrev_b32_e32 v1, 20, v1
	v_lshl_add_u32 v7, v8, 23, v7
	v_or3_b32 v6, v6, v7, v1
.LBB488_1196:
	s_or_b64 exec, exec, s[18:19]
	v_bfe_u32 v1, v6, 16, 1
	s_movk_i32 s16, 0x7fff
	v_add3_u32 v1, v6, v1, s16
	v_cmp_o_f32_e32 vcc, v6, v6
	v_mov_b32_e32 v6, 0x7fc0
	s_nop 0
	v_cndmask_b32_sdwa v6, v6, v1, vcc dst_sel:DWORD dst_unused:UNUSED_PAD src0_sel:DWORD src1_sel:WORD_1
.LBB488_1197:
	s_mov_b64 s[16:17], -1
.LBB488_1198:
	s_branch .LBB488_1231
.LBB488_1199:
	s_cmp_gt_i32 s22, 22
	s_cbranch_scc0 .LBB488_1209
; %bb.1200:
	s_cmp_lt_i32 s22, 24
	s_cbranch_scc1 .LBB488_1212
; %bb.1201:
	s_cmp_gt_i32 s22, 24
	s_cbranch_scc0 .LBB488_1213
; %bb.1202:
	global_load_ubyte v1, v[2:3], off
	s_movk_i32 s2, 0x7f
	s_waitcnt vmcnt(0)
	v_cmp_lt_i16_e32 vcc, s2, v1
	s_mov_b64 s[2:3], 0
	s_and_saveexec_b64 s[16:17], vcc
	s_xor_b64 s[16:17], exec, s[16:17]
	s_cbranch_execz .LBB488_1225
; %bb.1203:
	s_movk_i32 s2, 0x80
	v_cmp_eq_u16_e32 vcc, s2, v1
	s_mov_b64 s[2:3], -1
	s_and_saveexec_b64 s[18:19], vcc
; %bb.1204:
	s_xor_b64 s[2:3], exec, -1
; %bb.1205:
	s_or_b64 exec, exec, s[18:19]
	s_and_b64 s[2:3], s[2:3], exec
	s_or_saveexec_b64 s[16:17], s[16:17]
	v_mov_b32_e32 v6, 0x7f800001
	s_xor_b64 exec, exec, s[16:17]
	s_cbranch_execnz .LBB488_1226
.LBB488_1206:
	s_or_b64 exec, exec, s[16:17]
	s_and_saveexec_b64 s[16:17], s[2:3]
	s_cbranch_execz .LBB488_1208
.LBB488_1207:
	v_lshlrev_b32_e32 v6, 24, v1
	v_and_b32_e32 v1, 0xffff, v1
	v_and_b32_e32 v7, 3, v1
	v_ffbh_u32_e32 v9, v7
	v_min_u32_e32 v9, 32, v9
	v_subrev_u32_e32 v10, 29, v9
	v_bfe_u32 v8, v1, 2, 5
	v_lshlrev_b32_e32 v1, v10, v1
	v_sub_u32_e32 v9, 30, v9
	v_and_b32_e32 v1, 3, v1
	v_cmp_eq_u32_e32 vcc, 0, v8
	v_and_b32_e32 v6, 0x80000000, v6
	s_nop 0
	v_cndmask_b32_e32 v8, v8, v9, vcc
	v_cndmask_b32_e32 v1, v7, v1, vcc
	v_mov_b32_e32 v7, 0x37800000
	v_lshlrev_b32_e32 v1, 21, v1
	v_lshl_add_u32 v7, v8, 23, v7
	v_or3_b32 v6, v6, v7, v1
.LBB488_1208:
	s_or_b64 exec, exec, s[16:17]
	v_bfe_u32 v1, v6, 16, 1
	s_movk_i32 s2, 0x7fff
	v_add3_u32 v1, v6, v1, s2
	v_cmp_o_f32_e32 vcc, v6, v6
	v_mov_b32_e32 v6, 0x7fc0
	s_mov_b64 s[2:3], 0
	v_cndmask_b32_sdwa v6, v6, v1, vcc dst_sel:DWORD dst_unused:UNUSED_PAD src0_sel:DWORD src1_sel:WORD_1
	s_branch .LBB488_1214
.LBB488_1209:
	s_mov_b64 s[2:3], -1
                                        ; implicit-def: $vgpr6
	s_branch .LBB488_1220
.LBB488_1210:
	s_or_saveexec_b64 s[18:19], s[18:19]
	v_mov_b32_e32 v6, 0x7f800001
	s_xor_b64 exec, exec, s[18:19]
	s_cbranch_execz .LBB488_1194
.LBB488_1211:
	v_cmp_ne_u16_e32 vcc, 0, v1
	s_andn2_b64 s[16:17], s[16:17], exec
	s_and_b64 s[20:21], vcc, exec
	v_mov_b32_e32 v6, 0
	s_or_b64 s[16:17], s[16:17], s[20:21]
	s_or_b64 exec, exec, s[18:19]
	s_and_saveexec_b64 s[18:19], s[16:17]
	s_cbranch_execnz .LBB488_1195
	s_branch .LBB488_1196
.LBB488_1212:
	s_mov_b64 s[2:3], -1
                                        ; implicit-def: $vgpr6
	s_branch .LBB488_1217
.LBB488_1213:
	s_mov_b64 s[2:3], -1
                                        ; implicit-def: $vgpr6
.LBB488_1214:
	s_and_b64 vcc, exec, s[2:3]
	s_cbranch_vccz .LBB488_1216
; %bb.1215:
	global_load_ubyte v1, v[2:3], off
	s_mov_b32 s2, 0x7f800000
	s_brev_b32 s3, 1
	s_movk_i32 s16, 0x7fff
	s_waitcnt vmcnt(0)
	v_lshlrev_b32_e32 v1, 24, v1
	v_and_b32_e32 v6, 0x7f000000, v1
	v_ffbh_u32_e32 v7, v6
	v_min_u32_e32 v7, 32, v7
	v_sub_u32_e64 v7, v7, 4 clamp
	v_lshlrev_b32_e32 v9, v7, v6
	v_lshlrev_b32_e32 v7, 23, v7
	v_lshrrev_b32_e32 v9, 4, v9
	v_add_u32_e32 v8, 0x1000000, v6
	v_sub_u32_e32 v7, v9, v7
	v_ashrrev_i32_e32 v8, 8, v8
	v_add_u32_e32 v7, 0x3c000000, v7
	v_and_or_b32 v7, v8, s2, v7
	v_cmp_ne_u32_e32 vcc, 0, v6
	s_nop 1
	v_cndmask_b32_e32 v6, 0, v7, vcc
	v_and_or_b32 v1, v1, s3, v6
	v_bfe_u32 v6, v6, 16, 1
	v_add3_u32 v6, v1, v6, s16
	v_cmp_o_f32_e32 vcc, v1, v1
	v_mov_b32_e32 v1, 0x7fc0
	s_nop 0
	v_cndmask_b32_sdwa v6, v1, v6, vcc dst_sel:DWORD dst_unused:UNUSED_PAD src0_sel:DWORD src1_sel:WORD_1
.LBB488_1216:
	s_mov_b64 s[2:3], 0
.LBB488_1217:
	s_andn2_b64 vcc, exec, s[2:3]
	s_cbranch_vccnz .LBB488_1219
; %bb.1218:
	global_load_ubyte v1, v[2:3], off
	s_movk_i32 s2, 0x7f00
	s_brev_b32 s3, 16
	s_brev_b32 s16, 1
	s_movk_i32 s17, 0x7fff
	s_waitcnt vmcnt(0)
	v_lshlrev_b16_e32 v6, 8, v1
	v_lshlrev_b32_e32 v1, 25, v1
	v_lshrrev_b32_e32 v7, 4, v1
	v_and_or_b32 v8, v6, s2, 0.5
	v_or_b32_e32 v7, 0x70000000, v7
	v_add_f32_e32 v8, -0.5, v8
	v_mul_f32_e32 v7, 0x7800000, v7
	v_cmp_gt_u32_e32 vcc, s3, v1
	v_bfe_i32 v6, v6, 0, 16
	s_nop 0
	v_cndmask_b32_e32 v1, v7, v8, vcc
	v_and_or_b32 v6, v6, s16, v1
	v_bfe_u32 v1, v1, 16, 1
	v_add3_u32 v1, v6, v1, s17
	v_cmp_o_f32_e32 vcc, v6, v6
	v_mov_b32_e32 v6, 0x7fc0
	s_nop 0
	v_cndmask_b32_sdwa v6, v6, v1, vcc dst_sel:DWORD dst_unused:UNUSED_PAD src0_sel:DWORD src1_sel:WORD_1
.LBB488_1219:
	s_mov_b64 s[2:3], 0
	s_mov_b64 s[16:17], -1
.LBB488_1220:
	s_andn2_b64 vcc, exec, s[2:3]
	s_mov_b64 s[2:3], 0
	s_cbranch_vccnz .LBB488_1231
; %bb.1221:
	s_cmp_gt_i32 s22, 14
	s_cbranch_scc0 .LBB488_1224
; %bb.1222:
	s_cmp_eq_u32 s22, 15
	s_cbranch_scc0 .LBB488_1227
; %bb.1223:
	global_load_ushort v6, v[2:3], off
	s_mov_b64 s[0:1], 0
	s_mov_b64 s[16:17], -1
	s_branch .LBB488_1228
.LBB488_1224:
	s_mov_b64 s[18:19], -1
                                        ; implicit-def: $vgpr6
	s_branch .LBB488_1229
.LBB488_1225:
	s_or_saveexec_b64 s[16:17], s[16:17]
	v_mov_b32_e32 v6, 0x7f800001
	s_xor_b64 exec, exec, s[16:17]
	s_cbranch_execz .LBB488_1206
.LBB488_1226:
	v_cmp_ne_u16_e32 vcc, 0, v1
	s_andn2_b64 s[2:3], s[2:3], exec
	s_and_b64 s[18:19], vcc, exec
	v_mov_b32_e32 v6, 0
	s_or_b64 s[2:3], s[2:3], s[18:19]
	s_or_b64 exec, exec, s[16:17]
	s_and_saveexec_b64 s[16:17], s[2:3]
	s_cbranch_execnz .LBB488_1207
	s_branch .LBB488_1208
.LBB488_1227:
	s_mov_b64 s[0:1], -1
                                        ; implicit-def: $vgpr6
.LBB488_1228:
	s_mov_b64 s[18:19], 0
.LBB488_1229:
	s_and_b64 vcc, exec, s[18:19]
	s_cbranch_vccz .LBB488_1231
; %bb.1230:
	s_cmp_lg_u32 s22, 11
	s_mov_b64 s[2:3], -1
	s_cselect_b64 s[0:1], -1, 0
.LBB488_1231:
	s_and_b64 vcc, exec, s[0:1]
	s_cbranch_vccnz .LBB488_1294
; %bb.1232:
	s_andn2_b64 vcc, exec, s[2:3]
	s_cbranch_vccnz .LBB488_1234
.LBB488_1233:
	global_load_ubyte v1, v[2:3], off
	s_mov_b64 s[16:17], -1
	s_waitcnt vmcnt(0)
	v_cmp_ne_u16_e32 vcc, 0, v1
	s_nop 1
	v_cndmask_b32_e64 v1, 0, 1.0, vcc
	v_lshrrev_b32_e32 v6, 16, v1
.LBB488_1234:
	s_branch .LBB488_1161
.LBB488_1235:
	s_cmp_lt_i32 s22, 5
	s_cbranch_scc1 .LBB488_1240
; %bb.1236:
	s_cmp_lt_i32 s22, 8
	s_cbranch_scc1 .LBB488_1241
; %bb.1237:
	;; [unrolled: 3-line block ×3, first 2 shown]
	s_cmp_gt_i32 s22, 9
	s_cbranch_scc0 .LBB488_1243
; %bb.1239:
	global_load_dwordx2 v[6:7], v[2:3], off
	s_movk_i32 s0, 0x7fff
	v_mov_b32_e32 v1, 0x7fc0
	s_waitcnt vmcnt(0)
	v_cvt_f32_f64_e32 v6, v[6:7]
	v_bfe_u32 v7, v6, 16, 1
	v_cmp_o_f32_e32 vcc, v6, v6
	v_add3_u32 v6, v6, v7, s0
	s_mov_b64 s[0:1], 0
	v_cndmask_b32_sdwa v6, v1, v6, vcc dst_sel:DWORD dst_unused:UNUSED_PAD src0_sel:DWORD src1_sel:WORD_1
	s_branch .LBB488_1244
.LBB488_1240:
                                        ; implicit-def: $vgpr6
	s_branch .LBB488_1262
.LBB488_1241:
	s_mov_b64 s[0:1], -1
                                        ; implicit-def: $vgpr6
	s_branch .LBB488_1250
.LBB488_1242:
	s_mov_b64 s[0:1], -1
                                        ; implicit-def: $vgpr6
	s_branch .LBB488_1247
.LBB488_1243:
	s_mov_b64 s[0:1], -1
                                        ; implicit-def: $vgpr6
.LBB488_1244:
	s_andn2_b64 vcc, exec, s[0:1]
	s_cbranch_vccnz .LBB488_1246
; %bb.1245:
	global_load_dword v1, v[2:3], off
	s_movk_i32 s0, 0x7fff
	s_waitcnt vmcnt(1)
	v_mov_b32_e32 v6, 0x7fc0
	s_waitcnt vmcnt(0)
	v_bfe_u32 v7, v1, 16, 1
	v_cmp_o_f32_e32 vcc, v1, v1
	v_add3_u32 v1, v1, v7, s0
	s_nop 0
	v_cndmask_b32_sdwa v6, v6, v1, vcc dst_sel:DWORD dst_unused:UNUSED_PAD src0_sel:DWORD src1_sel:WORD_1
.LBB488_1246:
	s_mov_b64 s[0:1], 0
.LBB488_1247:
	s_andn2_b64 vcc, exec, s[0:1]
	s_cbranch_vccnz .LBB488_1249
; %bb.1248:
	global_load_dword v1, v[2:3], off
	s_movk_i32 s0, 0x7fff
	v_mov_b32_e32 v7, 0x7fc0
	s_waitcnt vmcnt(0)
	v_cvt_f32_f16_e32 v6, v1
	v_cmp_o_f16_e32 vcc, v1, v1
	v_bfe_u32 v1, v6, 16, 1
	v_add3_u32 v1, v6, v1, s0
	v_cndmask_b32_sdwa v6, v7, v1, vcc dst_sel:DWORD dst_unused:UNUSED_PAD src0_sel:DWORD src1_sel:WORD_1
.LBB488_1249:
	s_mov_b64 s[0:1], 0
.LBB488_1250:
	s_andn2_b64 vcc, exec, s[0:1]
	s_cbranch_vccnz .LBB488_1261
; %bb.1251:
	s_cmp_lt_i32 s22, 6
	s_cbranch_scc1 .LBB488_1254
; %bb.1252:
	s_cmp_gt_i32 s22, 6
	s_cbranch_scc0 .LBB488_1255
; %bb.1253:
	global_load_dwordx2 v[6:7], v[2:3], off
	s_movk_i32 s0, 0x7fff
	v_mov_b32_e32 v1, 0x7fc0
	s_waitcnt vmcnt(0)
	v_cvt_f32_f64_e32 v6, v[6:7]
	v_bfe_u32 v7, v6, 16, 1
	v_cmp_o_f32_e32 vcc, v6, v6
	v_add3_u32 v6, v6, v7, s0
	s_mov_b64 s[0:1], 0
	v_cndmask_b32_sdwa v6, v1, v6, vcc dst_sel:DWORD dst_unused:UNUSED_PAD src0_sel:DWORD src1_sel:WORD_1
	s_branch .LBB488_1256
.LBB488_1254:
	s_mov_b64 s[0:1], -1
                                        ; implicit-def: $vgpr6
	s_branch .LBB488_1259
.LBB488_1255:
	s_mov_b64 s[0:1], -1
                                        ; implicit-def: $vgpr6
.LBB488_1256:
	s_andn2_b64 vcc, exec, s[0:1]
	s_cbranch_vccnz .LBB488_1258
; %bb.1257:
	global_load_dword v1, v[2:3], off
	s_movk_i32 s0, 0x7fff
	s_waitcnt vmcnt(1)
	v_mov_b32_e32 v6, 0x7fc0
	s_waitcnt vmcnt(0)
	v_bfe_u32 v7, v1, 16, 1
	v_cmp_o_f32_e32 vcc, v1, v1
	v_add3_u32 v1, v1, v7, s0
	s_nop 0
	v_cndmask_b32_sdwa v6, v6, v1, vcc dst_sel:DWORD dst_unused:UNUSED_PAD src0_sel:DWORD src1_sel:WORD_1
.LBB488_1258:
	s_mov_b64 s[0:1], 0
.LBB488_1259:
	s_andn2_b64 vcc, exec, s[0:1]
	s_cbranch_vccnz .LBB488_1261
; %bb.1260:
	global_load_ushort v1, v[2:3], off
	s_movk_i32 s0, 0x7fff
	v_mov_b32_e32 v7, 0x7fc0
	s_waitcnt vmcnt(0)
	v_cvt_f32_f16_e32 v6, v1
	v_cmp_o_f16_e32 vcc, v1, v1
	v_bfe_u32 v1, v6, 16, 1
	v_add3_u32 v1, v6, v1, s0
	v_cndmask_b32_sdwa v6, v7, v1, vcc dst_sel:DWORD dst_unused:UNUSED_PAD src0_sel:DWORD src1_sel:WORD_1
.LBB488_1261:
	s_cbranch_execnz .LBB488_1281
.LBB488_1262:
	s_cmp_lt_i32 s22, 2
	s_cbranch_scc1 .LBB488_1266
; %bb.1263:
	s_cmp_lt_i32 s22, 3
	s_cbranch_scc1 .LBB488_1267
; %bb.1264:
	s_cmp_gt_i32 s22, 3
	s_cbranch_scc0 .LBB488_1268
; %bb.1265:
	global_load_dwordx2 v[6:7], v[2:3], off
	s_movk_i32 s0, 0x7fff
	s_waitcnt vmcnt(0)
	v_xor_b32_e32 v8, v6, v7
	v_ffbh_i32_e32 v1, v7
	v_ashrrev_i32_e32 v8, 31, v8
	v_add_u32_e32 v1, -1, v1
	v_add_u32_e32 v8, 32, v8
	v_min_u32_e32 v1, v1, v8
	v_lshlrev_b64 v[6:7], v1, v[6:7]
	v_min_u32_e32 v6, 1, v6
	v_or_b32_e32 v6, v7, v6
	v_cvt_f32_i32_e32 v6, v6
	v_sub_u32_e32 v1, 32, v1
	v_ldexp_f32 v1, v6, v1
	v_bfe_u32 v6, v1, 16, 1
	v_add3_u32 v1, v1, v6, s0
	v_lshrrev_b32_e32 v6, 16, v1
	s_mov_b64 s[0:1], 0
	s_branch .LBB488_1269
.LBB488_1266:
	s_mov_b64 s[0:1], -1
                                        ; implicit-def: $vgpr6
	s_branch .LBB488_1275
.LBB488_1267:
	s_mov_b64 s[0:1], -1
                                        ; implicit-def: $vgpr6
	s_branch .LBB488_1272
.LBB488_1268:
	s_mov_b64 s[0:1], -1
                                        ; implicit-def: $vgpr6
.LBB488_1269:
	s_andn2_b64 vcc, exec, s[0:1]
	s_cbranch_vccnz .LBB488_1271
; %bb.1270:
	global_load_dword v1, v[2:3], off
	s_movk_i32 s0, 0x7fff
	s_waitcnt vmcnt(0)
	v_cvt_f32_i32_e32 v1, v1
	v_bfe_u32 v6, v1, 16, 1
	v_add3_u32 v1, v1, v6, s0
	v_lshrrev_b32_e32 v6, 16, v1
.LBB488_1271:
	s_mov_b64 s[0:1], 0
.LBB488_1272:
	s_andn2_b64 vcc, exec, s[0:1]
	s_cbranch_vccnz .LBB488_1274
; %bb.1273:
	global_load_sshort v1, v[2:3], off
	s_movk_i32 s0, 0x7fff
	s_waitcnt vmcnt(0)
	v_cvt_f32_i32_e32 v1, v1
	v_bfe_u32 v6, v1, 16, 1
	v_add3_u32 v1, v1, v6, s0
	v_lshrrev_b32_e32 v6, 16, v1
.LBB488_1274:
	s_mov_b64 s[0:1], 0
.LBB488_1275:
	s_andn2_b64 vcc, exec, s[0:1]
	s_cbranch_vccnz .LBB488_1281
; %bb.1276:
	s_cmp_gt_i32 s22, 0
	s_cbranch_scc0 .LBB488_1278
; %bb.1277:
	global_load_sbyte v1, v[2:3], off
	s_movk_i32 s0, 0x7fff
	s_waitcnt vmcnt(0)
	v_cvt_f32_i32_e32 v1, v1
	v_bfe_u32 v6, v1, 16, 1
	v_add3_u32 v1, v1, v6, s0
	v_lshrrev_b32_e32 v6, 16, v1
	s_mov_b64 s[0:1], 0
	s_branch .LBB488_1279
.LBB488_1278:
	s_mov_b64 s[0:1], -1
                                        ; implicit-def: $vgpr6
.LBB488_1279:
	s_andn2_b64 vcc, exec, s[0:1]
	s_cbranch_vccnz .LBB488_1281
; %bb.1280:
	global_load_ubyte v1, v[2:3], off
	s_movk_i32 s0, 0x7fff
	s_waitcnt vmcnt(0)
	v_cvt_f32_ubyte0_e32 v1, v1
	v_bfe_u32 v2, v1, 16, 1
	v_add3_u32 v1, v1, v2, s0
	v_lshrrev_b32_e32 v6, 16, v1
.LBB488_1281:
.LBB488_1282:
	v_add_u32_e32 v0, s9, v0
	v_ashrrev_i32_e32 v1, 31, v0
	s_cmp_lt_i32 s22, 11
	v_lshl_add_u64 v[2:3], s[6:7], 0, v[0:1]
	s_cbranch_scc1 .LBB488_1289
; %bb.1283:
	s_cmp_gt_i32 s22, 25
	s_mov_b64 s[2:3], 0
	s_cbranch_scc0 .LBB488_1291
; %bb.1284:
	s_cmp_gt_i32 s22, 28
	s_cbranch_scc0 .LBB488_1292
; %bb.1285:
	s_cmp_gt_i32 s22, 43
	;; [unrolled: 3-line block ×3, first 2 shown]
	s_cbranch_scc0 .LBB488_1295
; %bb.1287:
	s_cmp_eq_u32 s22, 46
	s_mov_b64 s[18:19], 0
	s_cbranch_scc0 .LBB488_1296
; %bb.1288:
	global_load_dword v7, v[2:3], off
	s_mov_b64 s[0:1], 0
	s_mov_b64 s[16:17], -1
	s_branch .LBB488_1297
.LBB488_1289:
	s_mov_b64 s[16:17], 0
                                        ; implicit-def: $vgpr7
	s_cbranch_execnz .LBB488_1363
.LBB488_1290:
	s_andn2_b64 vcc, exec, s[16:17]
	s_cbranch_vccnz .LBB488_1974
	s_branch .LBB488_1411
.LBB488_1291:
	s_mov_b64 s[18:19], -1
	s_mov_b64 s[16:17], 0
	s_mov_b64 s[0:1], 0
                                        ; implicit-def: $vgpr7
	s_branch .LBB488_1326
.LBB488_1292:
	s_mov_b64 s[18:19], -1
	s_mov_b64 s[16:17], 0
	s_mov_b64 s[0:1], 0
                                        ; implicit-def: $vgpr7
	s_branch .LBB488_1307
.LBB488_1293:
	s_mov_b64 s[18:19], -1
	s_mov_b64 s[16:17], 0
	s_mov_b64 s[0:1], 0
                                        ; implicit-def: $vgpr7
	s_branch .LBB488_1302
.LBB488_1294:
	s_trap 2
	s_or_b64 s[14:15], s[14:15], exec
	s_cbranch_execz .LBB488_1233
	s_branch .LBB488_1234
.LBB488_1295:
	s_mov_b64 s[18:19], -1
	s_mov_b64 s[16:17], 0
	s_mov_b64 s[0:1], 0
                                        ; implicit-def: $vgpr7
	s_branch .LBB488_1297
.LBB488_1296:
	s_mov_b64 s[0:1], -1
                                        ; implicit-def: $vgpr7
	s_mov_b64 s[16:17], 0
.LBB488_1297:
	s_and_b64 vcc, exec, s[18:19]
	s_cbranch_vccz .LBB488_1301
; %bb.1298:
	s_cmp_eq_u32 s22, 44
	s_cbranch_scc0 .LBB488_1300
; %bb.1299:
	global_load_ubyte v1, v[2:3], off
	s_movk_i32 s16, 0xff
	s_waitcnt vmcnt(1)
	v_mov_b32_e32 v7, 0x7f800001
	v_mov_b32_e32 v8, 0x400000
	;; [unrolled: 1-line block ×3, first 2 shown]
	s_mov_b64 s[0:1], 0
	s_waitcnt vmcnt(0)
	v_lshlrev_b32_e32 v10, 23, v1
	v_cmp_ne_u32_e32 vcc, s16, v1
	s_mov_b64 s[16:17], -1
	s_nop 0
	v_cndmask_b32_e32 v7, v7, v10, vcc
	v_cmp_ne_u32_e32 vcc, 0, v1
	s_nop 1
	v_cndmask_b32_e32 v1, v8, v7, vcc
	v_add_u32_e32 v7, 0x7fff, v1
	v_cmp_o_f32_e32 vcc, v1, v1
	s_nop 1
	v_cndmask_b32_sdwa v7, v9, v7, vcc dst_sel:DWORD dst_unused:UNUSED_PAD src0_sel:DWORD src1_sel:WORD_1
	s_branch .LBB488_1301
.LBB488_1300:
	s_mov_b64 s[0:1], -1
                                        ; implicit-def: $vgpr7
.LBB488_1301:
	s_mov_b64 s[18:19], 0
.LBB488_1302:
	s_and_b64 vcc, exec, s[18:19]
	s_cbranch_vccz .LBB488_1306
; %bb.1303:
	s_cmp_eq_u32 s22, 29
	s_cbranch_scc0 .LBB488_1305
; %bb.1304:
	global_load_dwordx2 v[8:9], v[2:3], off
	s_movk_i32 s16, 0x7fff
	s_mov_b64 s[0:1], 0
	s_mov_b64 s[18:19], 0
	s_waitcnt vmcnt(0)
	v_ffbh_u32_e32 v1, v9
	v_min_u32_e32 v1, 32, v1
	v_lshlrev_b64 v[8:9], v1, v[8:9]
	v_min_u32_e32 v7, 1, v8
	v_or_b32_e32 v7, v9, v7
	v_cvt_f32_u32_e32 v7, v7
	v_sub_u32_e32 v1, 32, v1
	v_ldexp_f32 v1, v7, v1
	v_bfe_u32 v7, v1, 16, 1
	v_add3_u32 v1, v1, v7, s16
	v_lshrrev_b32_e32 v7, 16, v1
	s_mov_b64 s[16:17], -1
	s_branch .LBB488_1307
.LBB488_1305:
	s_mov_b64 s[0:1], -1
                                        ; implicit-def: $vgpr7
.LBB488_1306:
	s_mov_b64 s[18:19], 0
.LBB488_1307:
	s_and_b64 vcc, exec, s[18:19]
	s_cbranch_vccz .LBB488_1325
; %bb.1308:
	s_cmp_lt_i32 s22, 27
	s_cbranch_scc1 .LBB488_1311
; %bb.1309:
	s_cmp_gt_i32 s22, 27
	s_cbranch_scc0 .LBB488_1312
; %bb.1310:
	global_load_dword v1, v[2:3], off
	s_movk_i32 s16, 0x7fff
	s_waitcnt vmcnt(0)
	v_cvt_f32_u32_e32 v1, v1
	v_bfe_u32 v7, v1, 16, 1
	v_add3_u32 v1, v1, v7, s16
	v_lshrrev_b32_e32 v7, 16, v1
	s_mov_b64 s[16:17], 0
	s_branch .LBB488_1313
.LBB488_1311:
	s_mov_b64 s[16:17], -1
                                        ; implicit-def: $vgpr7
	s_branch .LBB488_1316
.LBB488_1312:
	s_mov_b64 s[16:17], -1
                                        ; implicit-def: $vgpr7
.LBB488_1313:
	s_andn2_b64 vcc, exec, s[16:17]
	s_cbranch_vccnz .LBB488_1315
; %bb.1314:
	global_load_ushort v1, v[2:3], off
	s_movk_i32 s16, 0x7fff
	s_waitcnt vmcnt(0)
	v_cvt_f32_u32_e32 v1, v1
	v_bfe_u32 v7, v1, 16, 1
	v_add3_u32 v1, v1, v7, s16
	v_lshrrev_b32_e32 v7, 16, v1
.LBB488_1315:
	s_mov_b64 s[16:17], 0
.LBB488_1316:
	s_andn2_b64 vcc, exec, s[16:17]
	s_cbranch_vccnz .LBB488_1324
; %bb.1317:
	global_load_ubyte v1, v[2:3], off
	s_movk_i32 s16, 0x7f
	s_waitcnt vmcnt(0)
	v_cmp_lt_i16_e32 vcc, s16, v1
	s_mov_b64 s[16:17], 0
	s_and_saveexec_b64 s[18:19], vcc
	s_xor_b64 s[18:19], exec, s[18:19]
	s_cbranch_execz .LBB488_1338
; %bb.1318:
	s_movk_i32 s16, 0x80
	v_cmp_eq_u16_e32 vcc, s16, v1
	s_mov_b64 s[16:17], -1
	s_and_saveexec_b64 s[20:21], vcc
; %bb.1319:
	s_xor_b64 s[16:17], exec, -1
; %bb.1320:
	s_or_b64 exec, exec, s[20:21]
	s_and_b64 s[16:17], s[16:17], exec
	s_or_saveexec_b64 s[18:19], s[18:19]
	v_mov_b32_e32 v7, 0x7f800001
	s_xor_b64 exec, exec, s[18:19]
	s_cbranch_execnz .LBB488_1339
.LBB488_1321:
	s_or_b64 exec, exec, s[18:19]
	s_and_saveexec_b64 s[18:19], s[16:17]
	s_cbranch_execz .LBB488_1323
.LBB488_1322:
	v_lshlrev_b32_e32 v7, 24, v1
	v_and_b32_e32 v1, 0xffff, v1
	v_and_b32_e32 v8, 7, v1
	v_ffbh_u32_e32 v10, v8
	v_min_u32_e32 v10, 32, v10
	v_subrev_u32_e32 v11, 28, v10
	v_bfe_u32 v9, v1, 3, 4
	v_lshlrev_b32_e32 v1, v11, v1
	v_sub_u32_e32 v10, 29, v10
	v_and_b32_e32 v1, 7, v1
	v_cmp_eq_u32_e32 vcc, 0, v9
	v_and_b32_e32 v7, 0x80000000, v7
	s_nop 0
	v_cndmask_b32_e32 v9, v9, v10, vcc
	v_cndmask_b32_e32 v1, v8, v1, vcc
	v_mov_b32_e32 v8, 0x3b800000
	v_lshlrev_b32_e32 v1, 20, v1
	v_lshl_add_u32 v8, v9, 23, v8
	v_or3_b32 v7, v7, v8, v1
.LBB488_1323:
	s_or_b64 exec, exec, s[18:19]
	v_bfe_u32 v1, v7, 16, 1
	s_movk_i32 s16, 0x7fff
	v_add3_u32 v1, v7, v1, s16
	v_cmp_o_f32_e32 vcc, v7, v7
	v_mov_b32_e32 v7, 0x7fc0
	s_nop 0
	v_cndmask_b32_sdwa v7, v7, v1, vcc dst_sel:DWORD dst_unused:UNUSED_PAD src0_sel:DWORD src1_sel:WORD_1
.LBB488_1324:
	s_mov_b64 s[16:17], -1
.LBB488_1325:
	s_mov_b64 s[18:19], 0
.LBB488_1326:
	s_and_b64 vcc, exec, s[18:19]
	s_cbranch_vccz .LBB488_1359
; %bb.1327:
	s_cmp_gt_i32 s22, 22
	s_cbranch_scc0 .LBB488_1337
; %bb.1328:
	s_cmp_lt_i32 s22, 24
	s_cbranch_scc1 .LBB488_1340
; %bb.1329:
	s_cmp_gt_i32 s22, 24
	s_cbranch_scc0 .LBB488_1341
; %bb.1330:
	global_load_ubyte v1, v[2:3], off
	s_movk_i32 s2, 0x7f
	s_waitcnt vmcnt(0)
	v_cmp_lt_i16_e32 vcc, s2, v1
	s_mov_b64 s[2:3], 0
	s_and_saveexec_b64 s[16:17], vcc
	s_xor_b64 s[16:17], exec, s[16:17]
	s_cbranch_execz .LBB488_1353
; %bb.1331:
	s_movk_i32 s2, 0x80
	v_cmp_eq_u16_e32 vcc, s2, v1
	s_mov_b64 s[2:3], -1
	s_and_saveexec_b64 s[18:19], vcc
; %bb.1332:
	s_xor_b64 s[2:3], exec, -1
; %bb.1333:
	s_or_b64 exec, exec, s[18:19]
	s_and_b64 s[2:3], s[2:3], exec
	s_or_saveexec_b64 s[16:17], s[16:17]
	v_mov_b32_e32 v7, 0x7f800001
	s_xor_b64 exec, exec, s[16:17]
	s_cbranch_execnz .LBB488_1354
.LBB488_1334:
	s_or_b64 exec, exec, s[16:17]
	s_and_saveexec_b64 s[16:17], s[2:3]
	s_cbranch_execz .LBB488_1336
.LBB488_1335:
	v_lshlrev_b32_e32 v7, 24, v1
	v_and_b32_e32 v1, 0xffff, v1
	v_and_b32_e32 v8, 3, v1
	v_ffbh_u32_e32 v10, v8
	v_min_u32_e32 v10, 32, v10
	v_subrev_u32_e32 v11, 29, v10
	v_bfe_u32 v9, v1, 2, 5
	v_lshlrev_b32_e32 v1, v11, v1
	v_sub_u32_e32 v10, 30, v10
	v_and_b32_e32 v1, 3, v1
	v_cmp_eq_u32_e32 vcc, 0, v9
	v_and_b32_e32 v7, 0x80000000, v7
	s_nop 0
	v_cndmask_b32_e32 v9, v9, v10, vcc
	v_cndmask_b32_e32 v1, v8, v1, vcc
	v_mov_b32_e32 v8, 0x37800000
	v_lshlrev_b32_e32 v1, 21, v1
	v_lshl_add_u32 v8, v9, 23, v8
	v_or3_b32 v7, v7, v8, v1
.LBB488_1336:
	s_or_b64 exec, exec, s[16:17]
	v_bfe_u32 v1, v7, 16, 1
	s_movk_i32 s2, 0x7fff
	v_add3_u32 v1, v7, v1, s2
	v_cmp_o_f32_e32 vcc, v7, v7
	v_mov_b32_e32 v7, 0x7fc0
	s_mov_b64 s[2:3], 0
	v_cndmask_b32_sdwa v7, v7, v1, vcc dst_sel:DWORD dst_unused:UNUSED_PAD src0_sel:DWORD src1_sel:WORD_1
	s_branch .LBB488_1342
.LBB488_1337:
	s_mov_b64 s[2:3], -1
                                        ; implicit-def: $vgpr7
	s_branch .LBB488_1348
.LBB488_1338:
	s_or_saveexec_b64 s[18:19], s[18:19]
	v_mov_b32_e32 v7, 0x7f800001
	s_xor_b64 exec, exec, s[18:19]
	s_cbranch_execz .LBB488_1321
.LBB488_1339:
	v_cmp_ne_u16_e32 vcc, 0, v1
	s_andn2_b64 s[16:17], s[16:17], exec
	s_and_b64 s[20:21], vcc, exec
	v_mov_b32_e32 v7, 0
	s_or_b64 s[16:17], s[16:17], s[20:21]
	s_or_b64 exec, exec, s[18:19]
	s_and_saveexec_b64 s[18:19], s[16:17]
	s_cbranch_execnz .LBB488_1322
	s_branch .LBB488_1323
.LBB488_1340:
	s_mov_b64 s[2:3], -1
                                        ; implicit-def: $vgpr7
	s_branch .LBB488_1345
.LBB488_1341:
	s_mov_b64 s[2:3], -1
                                        ; implicit-def: $vgpr7
.LBB488_1342:
	s_and_b64 vcc, exec, s[2:3]
	s_cbranch_vccz .LBB488_1344
; %bb.1343:
	global_load_ubyte v1, v[2:3], off
	s_mov_b32 s2, 0x7f800000
	s_brev_b32 s3, 1
	s_movk_i32 s16, 0x7fff
	s_waitcnt vmcnt(0)
	v_lshlrev_b32_e32 v1, 24, v1
	v_and_b32_e32 v7, 0x7f000000, v1
	v_ffbh_u32_e32 v8, v7
	v_min_u32_e32 v8, 32, v8
	v_sub_u32_e64 v8, v8, 4 clamp
	v_lshlrev_b32_e32 v10, v8, v7
	v_lshlrev_b32_e32 v8, 23, v8
	v_lshrrev_b32_e32 v10, 4, v10
	v_add_u32_e32 v9, 0x1000000, v7
	v_sub_u32_e32 v8, v10, v8
	v_ashrrev_i32_e32 v9, 8, v9
	v_add_u32_e32 v8, 0x3c000000, v8
	v_and_or_b32 v8, v9, s2, v8
	v_cmp_ne_u32_e32 vcc, 0, v7
	s_nop 1
	v_cndmask_b32_e32 v7, 0, v8, vcc
	v_and_or_b32 v1, v1, s3, v7
	v_bfe_u32 v7, v7, 16, 1
	v_add3_u32 v7, v1, v7, s16
	v_cmp_o_f32_e32 vcc, v1, v1
	v_mov_b32_e32 v1, 0x7fc0
	s_nop 0
	v_cndmask_b32_sdwa v7, v1, v7, vcc dst_sel:DWORD dst_unused:UNUSED_PAD src0_sel:DWORD src1_sel:WORD_1
.LBB488_1344:
	s_mov_b64 s[2:3], 0
.LBB488_1345:
	s_andn2_b64 vcc, exec, s[2:3]
	s_cbranch_vccnz .LBB488_1347
; %bb.1346:
	global_load_ubyte v1, v[2:3], off
	s_movk_i32 s2, 0x7f00
	s_brev_b32 s3, 16
	s_brev_b32 s16, 1
	s_movk_i32 s17, 0x7fff
	s_waitcnt vmcnt(0)
	v_lshlrev_b16_e32 v7, 8, v1
	v_lshlrev_b32_e32 v1, 25, v1
	v_lshrrev_b32_e32 v8, 4, v1
	v_and_or_b32 v9, v7, s2, 0.5
	v_or_b32_e32 v8, 0x70000000, v8
	v_add_f32_e32 v9, -0.5, v9
	v_mul_f32_e32 v8, 0x7800000, v8
	v_cmp_gt_u32_e32 vcc, s3, v1
	v_bfe_i32 v7, v7, 0, 16
	s_nop 0
	v_cndmask_b32_e32 v1, v8, v9, vcc
	v_and_or_b32 v7, v7, s16, v1
	v_bfe_u32 v1, v1, 16, 1
	v_add3_u32 v1, v7, v1, s17
	v_cmp_o_f32_e32 vcc, v7, v7
	v_mov_b32_e32 v7, 0x7fc0
	s_nop 0
	v_cndmask_b32_sdwa v7, v7, v1, vcc dst_sel:DWORD dst_unused:UNUSED_PAD src0_sel:DWORD src1_sel:WORD_1
.LBB488_1347:
	s_mov_b64 s[2:3], 0
	s_mov_b64 s[16:17], -1
.LBB488_1348:
	s_andn2_b64 vcc, exec, s[2:3]
	s_mov_b64 s[2:3], 0
	s_cbranch_vccnz .LBB488_1359
; %bb.1349:
	s_cmp_gt_i32 s22, 14
	s_cbranch_scc0 .LBB488_1352
; %bb.1350:
	s_cmp_eq_u32 s22, 15
	s_cbranch_scc0 .LBB488_1355
; %bb.1351:
	global_load_ushort v7, v[2:3], off
	s_mov_b64 s[0:1], 0
	s_mov_b64 s[16:17], -1
	s_branch .LBB488_1356
.LBB488_1352:
	s_mov_b64 s[18:19], -1
                                        ; implicit-def: $vgpr7
	s_branch .LBB488_1357
.LBB488_1353:
	s_or_saveexec_b64 s[16:17], s[16:17]
	v_mov_b32_e32 v7, 0x7f800001
	s_xor_b64 exec, exec, s[16:17]
	s_cbranch_execz .LBB488_1334
.LBB488_1354:
	v_cmp_ne_u16_e32 vcc, 0, v1
	s_andn2_b64 s[2:3], s[2:3], exec
	s_and_b64 s[18:19], vcc, exec
	v_mov_b32_e32 v7, 0
	s_or_b64 s[2:3], s[2:3], s[18:19]
	s_or_b64 exec, exec, s[16:17]
	s_and_saveexec_b64 s[16:17], s[2:3]
	s_cbranch_execnz .LBB488_1335
	s_branch .LBB488_1336
.LBB488_1355:
	s_mov_b64 s[0:1], -1
                                        ; implicit-def: $vgpr7
.LBB488_1356:
	s_mov_b64 s[18:19], 0
.LBB488_1357:
	s_and_b64 vcc, exec, s[18:19]
	s_cbranch_vccz .LBB488_1359
; %bb.1358:
	s_cmp_lg_u32 s22, 11
	s_mov_b64 s[2:3], -1
	s_cselect_b64 s[0:1], -1, 0
.LBB488_1359:
	s_and_b64 vcc, exec, s[0:1]
	s_cbranch_vccnz .LBB488_1422
; %bb.1360:
	s_andn2_b64 vcc, exec, s[2:3]
	s_cbranch_vccnz .LBB488_1362
.LBB488_1361:
	global_load_ubyte v1, v[2:3], off
	s_mov_b64 s[16:17], -1
	s_waitcnt vmcnt(0)
	v_cmp_ne_u16_e32 vcc, 0, v1
	s_nop 1
	v_cndmask_b32_e64 v1, 0, 1.0, vcc
	v_lshrrev_b32_e32 v7, 16, v1
.LBB488_1362:
	s_branch .LBB488_1290
.LBB488_1363:
	s_cmp_lt_i32 s22, 5
	s_cbranch_scc1 .LBB488_1368
; %bb.1364:
	s_cmp_lt_i32 s22, 8
	s_cbranch_scc1 .LBB488_1369
; %bb.1365:
	;; [unrolled: 3-line block ×3, first 2 shown]
	s_cmp_gt_i32 s22, 9
	s_cbranch_scc0 .LBB488_1371
; %bb.1367:
	global_load_dwordx2 v[8:9], v[2:3], off
	s_movk_i32 s0, 0x7fff
	v_mov_b32_e32 v1, 0x7fc0
	s_waitcnt vmcnt(0)
	v_cvt_f32_f64_e32 v7, v[8:9]
	v_bfe_u32 v8, v7, 16, 1
	v_cmp_o_f32_e32 vcc, v7, v7
	v_add3_u32 v7, v7, v8, s0
	s_mov_b64 s[0:1], 0
	v_cndmask_b32_sdwa v7, v1, v7, vcc dst_sel:DWORD dst_unused:UNUSED_PAD src0_sel:DWORD src1_sel:WORD_1
	s_branch .LBB488_1372
.LBB488_1368:
	s_mov_b64 s[0:1], -1
                                        ; implicit-def: $vgpr7
	s_branch .LBB488_1390
.LBB488_1369:
	s_mov_b64 s[0:1], -1
                                        ; implicit-def: $vgpr7
	s_branch .LBB488_1378
.LBB488_1370:
	s_mov_b64 s[0:1], -1
                                        ; implicit-def: $vgpr7
	s_branch .LBB488_1375
.LBB488_1371:
	s_mov_b64 s[0:1], -1
                                        ; implicit-def: $vgpr7
.LBB488_1372:
	s_andn2_b64 vcc, exec, s[0:1]
	s_cbranch_vccnz .LBB488_1374
; %bb.1373:
	global_load_dword v1, v[2:3], off
	s_movk_i32 s0, 0x7fff
	s_waitcnt vmcnt(1)
	v_mov_b32_e32 v7, 0x7fc0
	s_waitcnt vmcnt(0)
	v_bfe_u32 v8, v1, 16, 1
	v_cmp_o_f32_e32 vcc, v1, v1
	v_add3_u32 v1, v1, v8, s0
	s_nop 0
	v_cndmask_b32_sdwa v7, v7, v1, vcc dst_sel:DWORD dst_unused:UNUSED_PAD src0_sel:DWORD src1_sel:WORD_1
.LBB488_1374:
	s_mov_b64 s[0:1], 0
.LBB488_1375:
	s_andn2_b64 vcc, exec, s[0:1]
	s_cbranch_vccnz .LBB488_1377
; %bb.1376:
	global_load_dword v1, v[2:3], off
	s_movk_i32 s0, 0x7fff
	v_mov_b32_e32 v8, 0x7fc0
	s_waitcnt vmcnt(0)
	v_cvt_f32_f16_e32 v7, v1
	v_cmp_o_f16_e32 vcc, v1, v1
	v_bfe_u32 v1, v7, 16, 1
	v_add3_u32 v1, v7, v1, s0
	v_cndmask_b32_sdwa v7, v8, v1, vcc dst_sel:DWORD dst_unused:UNUSED_PAD src0_sel:DWORD src1_sel:WORD_1
.LBB488_1377:
	s_mov_b64 s[0:1], 0
.LBB488_1378:
	s_andn2_b64 vcc, exec, s[0:1]
	s_cbranch_vccnz .LBB488_1389
; %bb.1379:
	s_cmp_lt_i32 s22, 6
	s_cbranch_scc1 .LBB488_1382
; %bb.1380:
	s_cmp_gt_i32 s22, 6
	s_cbranch_scc0 .LBB488_1383
; %bb.1381:
	global_load_dwordx2 v[8:9], v[2:3], off
	s_movk_i32 s0, 0x7fff
	v_mov_b32_e32 v1, 0x7fc0
	s_waitcnt vmcnt(0)
	v_cvt_f32_f64_e32 v7, v[8:9]
	v_bfe_u32 v8, v7, 16, 1
	v_cmp_o_f32_e32 vcc, v7, v7
	v_add3_u32 v7, v7, v8, s0
	s_mov_b64 s[0:1], 0
	v_cndmask_b32_sdwa v7, v1, v7, vcc dst_sel:DWORD dst_unused:UNUSED_PAD src0_sel:DWORD src1_sel:WORD_1
	s_branch .LBB488_1384
.LBB488_1382:
	s_mov_b64 s[0:1], -1
                                        ; implicit-def: $vgpr7
	s_branch .LBB488_1387
.LBB488_1383:
	s_mov_b64 s[0:1], -1
                                        ; implicit-def: $vgpr7
.LBB488_1384:
	s_andn2_b64 vcc, exec, s[0:1]
	s_cbranch_vccnz .LBB488_1386
; %bb.1385:
	global_load_dword v1, v[2:3], off
	s_movk_i32 s0, 0x7fff
	s_waitcnt vmcnt(1)
	v_mov_b32_e32 v7, 0x7fc0
	s_waitcnt vmcnt(0)
	v_bfe_u32 v8, v1, 16, 1
	v_cmp_o_f32_e32 vcc, v1, v1
	v_add3_u32 v1, v1, v8, s0
	s_nop 0
	v_cndmask_b32_sdwa v7, v7, v1, vcc dst_sel:DWORD dst_unused:UNUSED_PAD src0_sel:DWORD src1_sel:WORD_1
.LBB488_1386:
	s_mov_b64 s[0:1], 0
.LBB488_1387:
	s_andn2_b64 vcc, exec, s[0:1]
	s_cbranch_vccnz .LBB488_1389
; %bb.1388:
	global_load_ushort v1, v[2:3], off
	s_movk_i32 s0, 0x7fff
	v_mov_b32_e32 v8, 0x7fc0
	s_waitcnt vmcnt(0)
	v_cvt_f32_f16_e32 v7, v1
	v_cmp_o_f16_e32 vcc, v1, v1
	v_bfe_u32 v1, v7, 16, 1
	v_add3_u32 v1, v7, v1, s0
	v_cndmask_b32_sdwa v7, v8, v1, vcc dst_sel:DWORD dst_unused:UNUSED_PAD src0_sel:DWORD src1_sel:WORD_1
.LBB488_1389:
	s_mov_b64 s[0:1], 0
.LBB488_1390:
	s_andn2_b64 vcc, exec, s[0:1]
	s_cbranch_vccnz .LBB488_1410
; %bb.1391:
	s_cmp_lt_i32 s22, 2
	s_cbranch_scc1 .LBB488_1395
; %bb.1392:
	s_cmp_lt_i32 s22, 3
	s_cbranch_scc1 .LBB488_1396
; %bb.1393:
	s_cmp_gt_i32 s22, 3
	s_cbranch_scc0 .LBB488_1397
; %bb.1394:
	global_load_dwordx2 v[8:9], v[2:3], off
	s_movk_i32 s0, 0x7fff
	s_waitcnt vmcnt(0)
	v_xor_b32_e32 v7, v8, v9
	v_ffbh_i32_e32 v1, v9
	v_ashrrev_i32_e32 v7, 31, v7
	v_add_u32_e32 v1, -1, v1
	v_add_u32_e32 v7, 32, v7
	v_min_u32_e32 v1, v1, v7
	v_lshlrev_b64 v[8:9], v1, v[8:9]
	v_min_u32_e32 v7, 1, v8
	v_or_b32_e32 v7, v9, v7
	v_cvt_f32_i32_e32 v7, v7
	v_sub_u32_e32 v1, 32, v1
	v_ldexp_f32 v1, v7, v1
	v_bfe_u32 v7, v1, 16, 1
	v_add3_u32 v1, v1, v7, s0
	v_lshrrev_b32_e32 v7, 16, v1
	s_mov_b64 s[0:1], 0
	s_branch .LBB488_1398
.LBB488_1395:
	s_mov_b64 s[0:1], -1
                                        ; implicit-def: $vgpr7
	s_branch .LBB488_1404
.LBB488_1396:
	s_mov_b64 s[0:1], -1
                                        ; implicit-def: $vgpr7
	s_branch .LBB488_1401
.LBB488_1397:
	s_mov_b64 s[0:1], -1
                                        ; implicit-def: $vgpr7
.LBB488_1398:
	s_andn2_b64 vcc, exec, s[0:1]
	s_cbranch_vccnz .LBB488_1400
; %bb.1399:
	global_load_dword v1, v[2:3], off
	s_movk_i32 s0, 0x7fff
	s_waitcnt vmcnt(0)
	v_cvt_f32_i32_e32 v1, v1
	v_bfe_u32 v7, v1, 16, 1
	v_add3_u32 v1, v1, v7, s0
	v_lshrrev_b32_e32 v7, 16, v1
.LBB488_1400:
	s_mov_b64 s[0:1], 0
.LBB488_1401:
	s_andn2_b64 vcc, exec, s[0:1]
	s_cbranch_vccnz .LBB488_1403
; %bb.1402:
	global_load_sshort v1, v[2:3], off
	s_movk_i32 s0, 0x7fff
	s_waitcnt vmcnt(0)
	v_cvt_f32_i32_e32 v1, v1
	v_bfe_u32 v7, v1, 16, 1
	v_add3_u32 v1, v1, v7, s0
	v_lshrrev_b32_e32 v7, 16, v1
.LBB488_1403:
	s_mov_b64 s[0:1], 0
.LBB488_1404:
	s_andn2_b64 vcc, exec, s[0:1]
	s_cbranch_vccnz .LBB488_1410
; %bb.1405:
	s_cmp_gt_i32 s22, 0
	s_cbranch_scc0 .LBB488_1407
; %bb.1406:
	global_load_sbyte v1, v[2:3], off
	s_movk_i32 s0, 0x7fff
	s_waitcnt vmcnt(0)
	v_cvt_f32_i32_e32 v1, v1
	v_bfe_u32 v7, v1, 16, 1
	v_add3_u32 v1, v1, v7, s0
	v_lshrrev_b32_e32 v7, 16, v1
	s_mov_b64 s[0:1], 0
	s_branch .LBB488_1408
.LBB488_1407:
	s_mov_b64 s[0:1], -1
                                        ; implicit-def: $vgpr7
.LBB488_1408:
	s_andn2_b64 vcc, exec, s[0:1]
	s_cbranch_vccnz .LBB488_1410
; %bb.1409:
	global_load_ubyte v1, v[2:3], off
	s_movk_i32 s0, 0x7fff
	s_waitcnt vmcnt(0)
	v_cvt_f32_ubyte0_e32 v1, v1
	v_bfe_u32 v2, v1, 16, 1
	v_add3_u32 v1, v1, v2, s0
	v_lshrrev_b32_e32 v7, 16, v1
.LBB488_1410:
.LBB488_1411:
	v_add_u32_e32 v0, s9, v0
	v_ashrrev_i32_e32 v1, 31, v0
	s_cmp_lt_i32 s22, 11
	v_lshl_add_u64 v[0:1], s[6:7], 0, v[0:1]
	s_cbranch_scc1 .LBB488_1418
; %bb.1412:
	s_cmp_gt_i32 s22, 25
	s_mov_b64 s[2:3], 0
	s_cbranch_scc0 .LBB488_1419
; %bb.1413:
	s_cmp_gt_i32 s22, 28
	s_cbranch_scc0 .LBB488_1420
; %bb.1414:
	s_cmp_gt_i32 s22, 43
	;; [unrolled: 3-line block ×3, first 2 shown]
	s_cbranch_scc0 .LBB488_1423
; %bb.1416:
	s_cmp_eq_u32 s22, 46
	s_mov_b64 s[16:17], 0
	s_cbranch_scc0 .LBB488_1424
; %bb.1417:
	global_load_dword v8, v[0:1], off
	s_mov_b64 s[0:1], 0
	s_mov_b64 s[6:7], -1
	s_branch .LBB488_1425
.LBB488_1418:
	s_mov_b64 s[0:1], -1
	s_mov_b64 s[6:7], 0
                                        ; implicit-def: $vgpr8
	s_branch .LBB488_1491
.LBB488_1419:
	s_mov_b64 s[16:17], -1
	s_mov_b64 s[6:7], 0
	s_mov_b64 s[0:1], 0
                                        ; implicit-def: $vgpr8
	s_branch .LBB488_1454
.LBB488_1420:
	s_mov_b64 s[16:17], -1
	s_mov_b64 s[6:7], 0
	s_mov_b64 s[0:1], 0
                                        ; implicit-def: $vgpr8
	s_branch .LBB488_1435
.LBB488_1421:
	s_mov_b64 s[16:17], -1
	s_mov_b64 s[6:7], 0
	s_mov_b64 s[0:1], 0
                                        ; implicit-def: $vgpr8
	s_branch .LBB488_1430
.LBB488_1422:
	s_trap 2
	s_or_b64 s[14:15], s[14:15], exec
	s_cbranch_execz .LBB488_1361
	s_branch .LBB488_1362
.LBB488_1423:
	s_mov_b64 s[16:17], -1
	s_mov_b64 s[6:7], 0
	s_mov_b64 s[0:1], 0
                                        ; implicit-def: $vgpr8
	s_branch .LBB488_1425
.LBB488_1424:
	s_mov_b64 s[0:1], -1
                                        ; implicit-def: $vgpr8
	s_mov_b64 s[6:7], 0
.LBB488_1425:
	s_and_b64 vcc, exec, s[16:17]
	s_cbranch_vccz .LBB488_1429
; %bb.1426:
	s_cmp_eq_u32 s22, 44
	s_cbranch_scc0 .LBB488_1428
; %bb.1427:
	global_load_ubyte v2, v[0:1], off
	s_movk_i32 s6, 0xff
	v_mov_b32_e32 v3, 0x7f800001
	s_waitcnt vmcnt(1)
	v_mov_b32_e32 v8, 0x400000
	v_mov_b32_e32 v9, 0x7fc0
	s_mov_b64 s[0:1], 0
	s_waitcnt vmcnt(0)
	v_lshlrev_b32_e32 v10, 23, v2
	v_cmp_ne_u32_e32 vcc, s6, v2
	s_mov_b64 s[6:7], -1
	s_nop 0
	v_cndmask_b32_e32 v3, v3, v10, vcc
	v_cmp_ne_u32_e32 vcc, 0, v2
	s_nop 1
	v_cndmask_b32_e32 v2, v8, v3, vcc
	v_add_u32_e32 v3, 0x7fff, v2
	v_cmp_o_f32_e32 vcc, v2, v2
	s_nop 1
	v_cndmask_b32_sdwa v8, v9, v3, vcc dst_sel:DWORD dst_unused:UNUSED_PAD src0_sel:DWORD src1_sel:WORD_1
	s_branch .LBB488_1429
.LBB488_1428:
	s_mov_b64 s[0:1], -1
                                        ; implicit-def: $vgpr8
.LBB488_1429:
	s_mov_b64 s[16:17], 0
.LBB488_1430:
	s_and_b64 vcc, exec, s[16:17]
	s_cbranch_vccz .LBB488_1434
; %bb.1431:
	s_cmp_eq_u32 s22, 29
	s_cbranch_scc0 .LBB488_1433
; %bb.1432:
	global_load_dwordx2 v[2:3], v[0:1], off
	s_movk_i32 s6, 0x7fff
	s_mov_b64 s[0:1], 0
	s_mov_b64 s[16:17], 0
	s_waitcnt vmcnt(0)
	v_ffbh_u32_e32 v8, v3
	v_min_u32_e32 v8, 32, v8
	v_lshlrev_b64 v[2:3], v8, v[2:3]
	v_min_u32_e32 v2, 1, v2
	v_or_b32_e32 v2, v3, v2
	v_cvt_f32_u32_e32 v2, v2
	v_sub_u32_e32 v3, 32, v8
	v_ldexp_f32 v2, v2, v3
	v_bfe_u32 v3, v2, 16, 1
	v_add3_u32 v2, v2, v3, s6
	v_lshrrev_b32_e32 v8, 16, v2
	s_mov_b64 s[6:7], -1
	s_branch .LBB488_1435
.LBB488_1433:
	s_mov_b64 s[0:1], -1
                                        ; implicit-def: $vgpr8
.LBB488_1434:
	s_mov_b64 s[16:17], 0
.LBB488_1435:
	s_and_b64 vcc, exec, s[16:17]
	s_cbranch_vccz .LBB488_1453
; %bb.1436:
	s_cmp_lt_i32 s22, 27
	s_cbranch_scc1 .LBB488_1439
; %bb.1437:
	s_cmp_gt_i32 s22, 27
	s_cbranch_scc0 .LBB488_1440
; %bb.1438:
	global_load_dword v2, v[0:1], off
	s_movk_i32 s6, 0x7fff
	s_waitcnt vmcnt(0)
	v_cvt_f32_u32_e32 v2, v2
	v_bfe_u32 v3, v2, 16, 1
	v_add3_u32 v2, v2, v3, s6
	v_lshrrev_b32_e32 v8, 16, v2
	s_mov_b64 s[6:7], 0
	s_branch .LBB488_1441
.LBB488_1439:
	s_mov_b64 s[6:7], -1
                                        ; implicit-def: $vgpr8
	s_branch .LBB488_1444
.LBB488_1440:
	s_mov_b64 s[6:7], -1
                                        ; implicit-def: $vgpr8
.LBB488_1441:
	s_andn2_b64 vcc, exec, s[6:7]
	s_cbranch_vccnz .LBB488_1443
; %bb.1442:
	global_load_ushort v2, v[0:1], off
	s_movk_i32 s6, 0x7fff
	s_waitcnt vmcnt(0)
	v_cvt_f32_u32_e32 v2, v2
	v_bfe_u32 v3, v2, 16, 1
	v_add3_u32 v2, v2, v3, s6
	v_lshrrev_b32_e32 v8, 16, v2
.LBB488_1443:
	s_mov_b64 s[6:7], 0
.LBB488_1444:
	s_andn2_b64 vcc, exec, s[6:7]
	s_cbranch_vccnz .LBB488_1452
; %bb.1445:
	global_load_ubyte v2, v[0:1], off
	s_movk_i32 s6, 0x7f
	s_waitcnt vmcnt(0)
	v_cmp_lt_i16_e32 vcc, s6, v2
	s_mov_b64 s[6:7], 0
	s_and_saveexec_b64 s[16:17], vcc
	s_xor_b64 s[16:17], exec, s[16:17]
	s_cbranch_execz .LBB488_1466
; %bb.1446:
	s_movk_i32 s6, 0x80
	v_cmp_eq_u16_e32 vcc, s6, v2
	s_mov_b64 s[6:7], -1
	s_and_saveexec_b64 s[18:19], vcc
; %bb.1447:
	s_xor_b64 s[6:7], exec, -1
; %bb.1448:
	s_or_b64 exec, exec, s[18:19]
	s_and_b64 s[6:7], s[6:7], exec
	s_or_saveexec_b64 s[16:17], s[16:17]
	v_mov_b32_e32 v3, 0x7f800001
	s_xor_b64 exec, exec, s[16:17]
	s_cbranch_execnz .LBB488_1467
.LBB488_1449:
	s_or_b64 exec, exec, s[16:17]
	s_and_saveexec_b64 s[16:17], s[6:7]
	s_cbranch_execz .LBB488_1451
.LBB488_1450:
	v_lshlrev_b32_e32 v3, 24, v2
	v_and_b32_e32 v2, 0xffff, v2
	v_and_b32_e32 v8, 7, v2
	v_ffbh_u32_e32 v10, v8
	v_min_u32_e32 v10, 32, v10
	v_subrev_u32_e32 v11, 28, v10
	v_bfe_u32 v9, v2, 3, 4
	v_lshlrev_b32_e32 v2, v11, v2
	v_sub_u32_e32 v10, 29, v10
	v_and_b32_e32 v2, 7, v2
	v_cmp_eq_u32_e32 vcc, 0, v9
	v_and_b32_e32 v3, 0x80000000, v3
	s_nop 0
	v_cndmask_b32_e32 v9, v9, v10, vcc
	v_cndmask_b32_e32 v2, v8, v2, vcc
	v_mov_b32_e32 v8, 0x3b800000
	v_lshlrev_b32_e32 v2, 20, v2
	v_lshl_add_u32 v8, v9, 23, v8
	v_or3_b32 v3, v3, v8, v2
.LBB488_1451:
	s_or_b64 exec, exec, s[16:17]
	v_bfe_u32 v2, v3, 16, 1
	s_movk_i32 s6, 0x7fff
	v_add3_u32 v2, v3, v2, s6
	v_cmp_o_f32_e32 vcc, v3, v3
	v_mov_b32_e32 v3, 0x7fc0
	s_nop 0
	v_cndmask_b32_sdwa v8, v3, v2, vcc dst_sel:DWORD dst_unused:UNUSED_PAD src0_sel:DWORD src1_sel:WORD_1
.LBB488_1452:
	s_mov_b64 s[6:7], -1
.LBB488_1453:
	s_mov_b64 s[16:17], 0
.LBB488_1454:
	s_and_b64 vcc, exec, s[16:17]
	s_cbranch_vccz .LBB488_1487
; %bb.1455:
	s_cmp_gt_i32 s22, 22
	s_cbranch_scc0 .LBB488_1465
; %bb.1456:
	s_cmp_lt_i32 s22, 24
	s_cbranch_scc1 .LBB488_1468
; %bb.1457:
	s_cmp_gt_i32 s22, 24
	s_cbranch_scc0 .LBB488_1469
; %bb.1458:
	global_load_ubyte v2, v[0:1], off
	s_movk_i32 s2, 0x7f
	s_waitcnt vmcnt(0)
	v_cmp_lt_i16_e32 vcc, s2, v2
	s_mov_b64 s[2:3], 0
	s_and_saveexec_b64 s[6:7], vcc
	s_xor_b64 s[6:7], exec, s[6:7]
	s_cbranch_execz .LBB488_1481
; %bb.1459:
	s_movk_i32 s2, 0x80
	v_cmp_eq_u16_e32 vcc, s2, v2
	s_mov_b64 s[2:3], -1
	s_and_saveexec_b64 s[16:17], vcc
; %bb.1460:
	s_xor_b64 s[2:3], exec, -1
; %bb.1461:
	s_or_b64 exec, exec, s[16:17]
	s_and_b64 s[2:3], s[2:3], exec
	s_or_saveexec_b64 s[6:7], s[6:7]
	v_mov_b32_e32 v3, 0x7f800001
	s_xor_b64 exec, exec, s[6:7]
	s_cbranch_execnz .LBB488_1482
.LBB488_1462:
	s_or_b64 exec, exec, s[6:7]
	s_and_saveexec_b64 s[6:7], s[2:3]
	s_cbranch_execz .LBB488_1464
.LBB488_1463:
	v_lshlrev_b32_e32 v3, 24, v2
	v_and_b32_e32 v2, 0xffff, v2
	v_and_b32_e32 v8, 3, v2
	v_ffbh_u32_e32 v10, v8
	v_min_u32_e32 v10, 32, v10
	v_subrev_u32_e32 v11, 29, v10
	v_bfe_u32 v9, v2, 2, 5
	v_lshlrev_b32_e32 v2, v11, v2
	v_sub_u32_e32 v10, 30, v10
	v_and_b32_e32 v2, 3, v2
	v_cmp_eq_u32_e32 vcc, 0, v9
	v_and_b32_e32 v3, 0x80000000, v3
	s_nop 0
	v_cndmask_b32_e32 v9, v9, v10, vcc
	v_cndmask_b32_e32 v2, v8, v2, vcc
	v_mov_b32_e32 v8, 0x37800000
	v_lshlrev_b32_e32 v2, 21, v2
	v_lshl_add_u32 v8, v9, 23, v8
	v_or3_b32 v3, v3, v8, v2
.LBB488_1464:
	s_or_b64 exec, exec, s[6:7]
	v_bfe_u32 v2, v3, 16, 1
	s_movk_i32 s2, 0x7fff
	v_add3_u32 v2, v3, v2, s2
	v_cmp_o_f32_e32 vcc, v3, v3
	v_mov_b32_e32 v3, 0x7fc0
	s_mov_b64 s[2:3], 0
	v_cndmask_b32_sdwa v8, v3, v2, vcc dst_sel:DWORD dst_unused:UNUSED_PAD src0_sel:DWORD src1_sel:WORD_1
	s_branch .LBB488_1470
.LBB488_1465:
	s_mov_b64 s[2:3], -1
                                        ; implicit-def: $vgpr8
	s_branch .LBB488_1476
.LBB488_1466:
	s_or_saveexec_b64 s[16:17], s[16:17]
	v_mov_b32_e32 v3, 0x7f800001
	s_xor_b64 exec, exec, s[16:17]
	s_cbranch_execz .LBB488_1449
.LBB488_1467:
	v_cmp_ne_u16_e32 vcc, 0, v2
	s_andn2_b64 s[6:7], s[6:7], exec
	s_and_b64 s[18:19], vcc, exec
	v_mov_b32_e32 v3, 0
	s_or_b64 s[6:7], s[6:7], s[18:19]
	s_or_b64 exec, exec, s[16:17]
	s_and_saveexec_b64 s[16:17], s[6:7]
	s_cbranch_execnz .LBB488_1450
	s_branch .LBB488_1451
.LBB488_1468:
	s_mov_b64 s[2:3], -1
                                        ; implicit-def: $vgpr8
	s_branch .LBB488_1473
.LBB488_1469:
	s_mov_b64 s[2:3], -1
                                        ; implicit-def: $vgpr8
.LBB488_1470:
	s_and_b64 vcc, exec, s[2:3]
	s_cbranch_vccz .LBB488_1472
; %bb.1471:
	global_load_ubyte v2, v[0:1], off
	s_mov_b32 s2, 0x7f800000
	s_brev_b32 s3, 1
	s_movk_i32 s6, 0x7fff
	s_waitcnt vmcnt(0)
	v_lshlrev_b32_e32 v2, 24, v2
	v_and_b32_e32 v3, 0x7f000000, v2
	v_ffbh_u32_e32 v8, v3
	v_min_u32_e32 v8, 32, v8
	v_sub_u32_e64 v8, v8, 4 clamp
	v_lshlrev_b32_e32 v10, v8, v3
	v_lshlrev_b32_e32 v8, 23, v8
	v_lshrrev_b32_e32 v10, 4, v10
	v_add_u32_e32 v9, 0x1000000, v3
	v_sub_u32_e32 v8, v10, v8
	v_ashrrev_i32_e32 v9, 8, v9
	v_add_u32_e32 v8, 0x3c000000, v8
	v_and_or_b32 v8, v9, s2, v8
	v_cmp_ne_u32_e32 vcc, 0, v3
	s_nop 1
	v_cndmask_b32_e32 v3, 0, v8, vcc
	v_and_or_b32 v2, v2, s3, v3
	v_bfe_u32 v3, v3, 16, 1
	v_add3_u32 v3, v2, v3, s6
	v_cmp_o_f32_e32 vcc, v2, v2
	v_mov_b32_e32 v2, 0x7fc0
	s_nop 0
	v_cndmask_b32_sdwa v8, v2, v3, vcc dst_sel:DWORD dst_unused:UNUSED_PAD src0_sel:DWORD src1_sel:WORD_1
.LBB488_1472:
	s_mov_b64 s[2:3], 0
.LBB488_1473:
	s_andn2_b64 vcc, exec, s[2:3]
	s_cbranch_vccnz .LBB488_1475
; %bb.1474:
	global_load_ubyte v2, v[0:1], off
	s_movk_i32 s2, 0x7f00
	s_brev_b32 s3, 16
	s_brev_b32 s6, 1
	s_movk_i32 s7, 0x7fff
	s_waitcnt vmcnt(0)
	v_lshlrev_b16_e32 v3, 8, v2
	v_lshlrev_b32_e32 v2, 25, v2
	v_lshrrev_b32_e32 v8, 4, v2
	v_and_or_b32 v9, v3, s2, 0.5
	v_or_b32_e32 v8, 0x70000000, v8
	v_add_f32_e32 v9, -0.5, v9
	v_mul_f32_e32 v8, 0x7800000, v8
	v_cmp_gt_u32_e32 vcc, s3, v2
	v_bfe_i32 v3, v3, 0, 16
	s_nop 0
	v_cndmask_b32_e32 v2, v8, v9, vcc
	v_and_or_b32 v3, v3, s6, v2
	v_bfe_u32 v2, v2, 16, 1
	v_add3_u32 v2, v3, v2, s7
	v_cmp_o_f32_e32 vcc, v3, v3
	v_mov_b32_e32 v3, 0x7fc0
	s_nop 0
	v_cndmask_b32_sdwa v8, v3, v2, vcc dst_sel:DWORD dst_unused:UNUSED_PAD src0_sel:DWORD src1_sel:WORD_1
.LBB488_1475:
	s_mov_b64 s[2:3], 0
	s_mov_b64 s[6:7], -1
.LBB488_1476:
	s_andn2_b64 vcc, exec, s[2:3]
	s_mov_b64 s[2:3], 0
	s_cbranch_vccnz .LBB488_1487
; %bb.1477:
	s_cmp_gt_i32 s22, 14
	s_cbranch_scc0 .LBB488_1480
; %bb.1478:
	s_cmp_eq_u32 s22, 15
	s_cbranch_scc0 .LBB488_1483
; %bb.1479:
	global_load_ushort v8, v[0:1], off
	s_mov_b64 s[0:1], 0
	s_mov_b64 s[6:7], -1
	s_branch .LBB488_1484
.LBB488_1480:
	s_mov_b64 s[16:17], -1
                                        ; implicit-def: $vgpr8
	s_branch .LBB488_1485
.LBB488_1481:
	s_or_saveexec_b64 s[6:7], s[6:7]
	v_mov_b32_e32 v3, 0x7f800001
	s_xor_b64 exec, exec, s[6:7]
	s_cbranch_execz .LBB488_1462
.LBB488_1482:
	v_cmp_ne_u16_e32 vcc, 0, v2
	s_andn2_b64 s[2:3], s[2:3], exec
	s_and_b64 s[16:17], vcc, exec
	v_mov_b32_e32 v3, 0
	s_or_b64 s[2:3], s[2:3], s[16:17]
	s_or_b64 exec, exec, s[6:7]
	s_and_saveexec_b64 s[6:7], s[2:3]
	s_cbranch_execnz .LBB488_1463
	s_branch .LBB488_1464
.LBB488_1483:
	s_mov_b64 s[0:1], -1
                                        ; implicit-def: $vgpr8
.LBB488_1484:
	s_mov_b64 s[16:17], 0
.LBB488_1485:
	s_and_b64 vcc, exec, s[16:17]
	s_cbranch_vccz .LBB488_1487
; %bb.1486:
	s_cmp_lg_u32 s22, 11
	s_mov_b64 s[2:3], -1
	s_cselect_b64 s[0:1], -1, 0
.LBB488_1487:
	s_and_b64 vcc, exec, s[0:1]
	s_cbranch_vccnz .LBB488_2020
; %bb.1488:
	s_andn2_b64 vcc, exec, s[2:3]
	s_cbranch_vccnz .LBB488_1490
.LBB488_1489:
	global_load_ubyte v2, v[0:1], off
	s_mov_b64 s[6:7], -1
	s_waitcnt vmcnt(0)
	v_cmp_ne_u16_e32 vcc, 0, v2
	s_nop 1
	v_cndmask_b32_e64 v2, 0, 1.0, vcc
	v_lshrrev_b32_e32 v8, 16, v2
.LBB488_1490:
	s_mov_b64 s[0:1], 0
.LBB488_1491:
	s_and_b64 vcc, exec, s[0:1]
	s_cbranch_vccz .LBB488_1540
; %bb.1492:
	s_cmp_lt_i32 s22, 5
	s_cbranch_scc1 .LBB488_1497
; %bb.1493:
	s_cmp_lt_i32 s22, 8
	s_cbranch_scc1 .LBB488_1498
	;; [unrolled: 3-line block ×3, first 2 shown]
; %bb.1495:
	s_cmp_gt_i32 s22, 9
	s_cbranch_scc0 .LBB488_1500
; %bb.1496:
	global_load_dwordx2 v[2:3], v[0:1], off
	s_movk_i32 s0, 0x7fff
	s_waitcnt vmcnt(1)
	v_mov_b32_e32 v8, 0x7fc0
	s_waitcnt vmcnt(0)
	v_cvt_f32_f64_e32 v2, v[2:3]
	v_bfe_u32 v3, v2, 16, 1
	v_cmp_o_f32_e32 vcc, v2, v2
	v_add3_u32 v2, v2, v3, s0
	s_mov_b64 s[0:1], 0
	v_cndmask_b32_sdwa v8, v8, v2, vcc dst_sel:DWORD dst_unused:UNUSED_PAD src0_sel:DWORD src1_sel:WORD_1
	s_branch .LBB488_1501
.LBB488_1497:
	s_mov_b64 s[0:1], -1
                                        ; implicit-def: $vgpr8
	s_branch .LBB488_1519
.LBB488_1498:
	s_mov_b64 s[0:1], -1
                                        ; implicit-def: $vgpr8
	s_branch .LBB488_1507
.LBB488_1499:
	s_mov_b64 s[0:1], -1
                                        ; implicit-def: $vgpr8
	s_branch .LBB488_1504
.LBB488_1500:
	s_mov_b64 s[0:1], -1
                                        ; implicit-def: $vgpr8
.LBB488_1501:
	s_andn2_b64 vcc, exec, s[0:1]
	s_cbranch_vccnz .LBB488_1503
; %bb.1502:
	global_load_dword v2, v[0:1], off
	s_movk_i32 s0, 0x7fff
	v_mov_b32_e32 v3, 0x7fc0
	s_waitcnt vmcnt(0)
	v_bfe_u32 v8, v2, 16, 1
	v_cmp_o_f32_e32 vcc, v2, v2
	v_add3_u32 v2, v2, v8, s0
	s_nop 0
	v_cndmask_b32_sdwa v8, v3, v2, vcc dst_sel:DWORD dst_unused:UNUSED_PAD src0_sel:DWORD src1_sel:WORD_1
.LBB488_1503:
	s_mov_b64 s[0:1], 0
.LBB488_1504:
	s_andn2_b64 vcc, exec, s[0:1]
	s_cbranch_vccnz .LBB488_1506
; %bb.1505:
	global_load_dword v2, v[0:1], off
	s_movk_i32 s0, 0x7fff
	s_waitcnt vmcnt(1)
	v_mov_b32_e32 v8, 0x7fc0
	s_waitcnt vmcnt(0)
	v_cvt_f32_f16_e32 v3, v2
	v_cmp_o_f16_e32 vcc, v2, v2
	v_bfe_u32 v2, v3, 16, 1
	v_add3_u32 v2, v3, v2, s0
	v_cndmask_b32_sdwa v8, v8, v2, vcc dst_sel:DWORD dst_unused:UNUSED_PAD src0_sel:DWORD src1_sel:WORD_1
.LBB488_1506:
	s_mov_b64 s[0:1], 0
.LBB488_1507:
	s_andn2_b64 vcc, exec, s[0:1]
	s_cbranch_vccnz .LBB488_1518
; %bb.1508:
	s_cmp_lt_i32 s22, 6
	s_cbranch_scc1 .LBB488_1511
; %bb.1509:
	s_cmp_gt_i32 s22, 6
	s_cbranch_scc0 .LBB488_1512
; %bb.1510:
	global_load_dwordx2 v[2:3], v[0:1], off
	s_movk_i32 s0, 0x7fff
	s_waitcnt vmcnt(1)
	v_mov_b32_e32 v8, 0x7fc0
	s_waitcnt vmcnt(0)
	v_cvt_f32_f64_e32 v2, v[2:3]
	v_bfe_u32 v3, v2, 16, 1
	v_cmp_o_f32_e32 vcc, v2, v2
	v_add3_u32 v2, v2, v3, s0
	s_mov_b64 s[0:1], 0
	v_cndmask_b32_sdwa v8, v8, v2, vcc dst_sel:DWORD dst_unused:UNUSED_PAD src0_sel:DWORD src1_sel:WORD_1
	s_branch .LBB488_1513
.LBB488_1511:
	s_mov_b64 s[0:1], -1
                                        ; implicit-def: $vgpr8
	s_branch .LBB488_1516
.LBB488_1512:
	s_mov_b64 s[0:1], -1
                                        ; implicit-def: $vgpr8
.LBB488_1513:
	s_andn2_b64 vcc, exec, s[0:1]
	s_cbranch_vccnz .LBB488_1515
; %bb.1514:
	global_load_dword v2, v[0:1], off
	s_movk_i32 s0, 0x7fff
	v_mov_b32_e32 v3, 0x7fc0
	s_waitcnt vmcnt(0)
	v_bfe_u32 v8, v2, 16, 1
	v_cmp_o_f32_e32 vcc, v2, v2
	v_add3_u32 v2, v2, v8, s0
	s_nop 0
	v_cndmask_b32_sdwa v8, v3, v2, vcc dst_sel:DWORD dst_unused:UNUSED_PAD src0_sel:DWORD src1_sel:WORD_1
.LBB488_1515:
	s_mov_b64 s[0:1], 0
.LBB488_1516:
	s_andn2_b64 vcc, exec, s[0:1]
	s_cbranch_vccnz .LBB488_1518
; %bb.1517:
	global_load_ushort v2, v[0:1], off
	s_movk_i32 s0, 0x7fff
	s_waitcnt vmcnt(1)
	v_mov_b32_e32 v8, 0x7fc0
	s_waitcnt vmcnt(0)
	v_cvt_f32_f16_e32 v3, v2
	v_cmp_o_f16_e32 vcc, v2, v2
	v_bfe_u32 v2, v3, 16, 1
	v_add3_u32 v2, v3, v2, s0
	v_cndmask_b32_sdwa v8, v8, v2, vcc dst_sel:DWORD dst_unused:UNUSED_PAD src0_sel:DWORD src1_sel:WORD_1
.LBB488_1518:
	s_mov_b64 s[0:1], 0
.LBB488_1519:
	s_andn2_b64 vcc, exec, s[0:1]
	s_cbranch_vccnz .LBB488_1539
; %bb.1520:
	s_cmp_lt_i32 s22, 2
	s_cbranch_scc1 .LBB488_1524
; %bb.1521:
	s_cmp_lt_i32 s22, 3
	s_cbranch_scc1 .LBB488_1525
; %bb.1522:
	s_cmp_gt_i32 s22, 3
	s_cbranch_scc0 .LBB488_1526
; %bb.1523:
	global_load_dwordx2 v[2:3], v[0:1], off
	s_movk_i32 s0, 0x7fff
	s_waitcnt vmcnt(0)
	v_xor_b32_e32 v9, v2, v3
	v_ffbh_i32_e32 v8, v3
	v_ashrrev_i32_e32 v9, 31, v9
	v_add_u32_e32 v8, -1, v8
	v_add_u32_e32 v9, 32, v9
	v_min_u32_e32 v8, v8, v9
	v_lshlrev_b64 v[2:3], v8, v[2:3]
	v_min_u32_e32 v2, 1, v2
	v_or_b32_e32 v2, v3, v2
	v_cvt_f32_i32_e32 v2, v2
	v_sub_u32_e32 v3, 32, v8
	v_ldexp_f32 v2, v2, v3
	v_bfe_u32 v3, v2, 16, 1
	v_add3_u32 v2, v2, v3, s0
	v_lshrrev_b32_e32 v8, 16, v2
	s_mov_b64 s[0:1], 0
	s_branch .LBB488_1527
.LBB488_1524:
	s_mov_b64 s[0:1], -1
                                        ; implicit-def: $vgpr8
	s_branch .LBB488_1533
.LBB488_1525:
	s_mov_b64 s[0:1], -1
                                        ; implicit-def: $vgpr8
	s_branch .LBB488_1530
.LBB488_1526:
	s_mov_b64 s[0:1], -1
                                        ; implicit-def: $vgpr8
.LBB488_1527:
	s_andn2_b64 vcc, exec, s[0:1]
	s_cbranch_vccnz .LBB488_1529
; %bb.1528:
	global_load_dword v2, v[0:1], off
	s_movk_i32 s0, 0x7fff
	s_waitcnt vmcnt(0)
	v_cvt_f32_i32_e32 v2, v2
	v_bfe_u32 v3, v2, 16, 1
	v_add3_u32 v2, v2, v3, s0
	v_lshrrev_b32_e32 v8, 16, v2
.LBB488_1529:
	s_mov_b64 s[0:1], 0
.LBB488_1530:
	s_andn2_b64 vcc, exec, s[0:1]
	s_cbranch_vccnz .LBB488_1532
; %bb.1531:
	global_load_sshort v2, v[0:1], off
	s_movk_i32 s0, 0x7fff
	s_waitcnt vmcnt(0)
	v_cvt_f32_i32_e32 v2, v2
	v_bfe_u32 v3, v2, 16, 1
	v_add3_u32 v2, v2, v3, s0
	v_lshrrev_b32_e32 v8, 16, v2
.LBB488_1532:
	s_mov_b64 s[0:1], 0
.LBB488_1533:
	s_andn2_b64 vcc, exec, s[0:1]
	s_cbranch_vccnz .LBB488_1539
; %bb.1534:
	s_cmp_gt_i32 s22, 0
	s_cbranch_scc0 .LBB488_1536
; %bb.1535:
	global_load_sbyte v2, v[0:1], off
	s_movk_i32 s0, 0x7fff
	s_waitcnt vmcnt(0)
	v_cvt_f32_i32_e32 v2, v2
	v_bfe_u32 v3, v2, 16, 1
	v_add3_u32 v2, v2, v3, s0
	v_lshrrev_b32_e32 v8, 16, v2
	s_mov_b64 s[0:1], 0
	s_branch .LBB488_1537
.LBB488_1536:
	s_mov_b64 s[0:1], -1
                                        ; implicit-def: $vgpr8
.LBB488_1537:
	s_andn2_b64 vcc, exec, s[0:1]
	s_cbranch_vccnz .LBB488_1539
; %bb.1538:
	global_load_ubyte v0, v[0:1], off
	s_movk_i32 s0, 0x7fff
	s_waitcnt vmcnt(0)
	v_cvt_f32_ubyte0_e32 v0, v0
	v_bfe_u32 v1, v0, 16, 1
	v_add3_u32 v0, v0, v1, s0
	v_lshrrev_b32_e32 v8, 16, v0
.LBB488_1539:
	s_mov_b64 s[6:7], -1
.LBB488_1540:
	s_andn2_b64 vcc, exec, s[6:7]
	s_cbranch_vccnz .LBB488_1974
; %bb.1541:
	s_lshl_b32 s21, s33, 16
	s_waitcnt vmcnt(0)
	v_lshlrev_b32_e32 v0, 16, v5
	v_cmp_u_f32_e32 vcc, v0, v0
	v_cmp_gt_f32_e64 s[0:1], s21, v0
	v_mov_b32_e32 v0, s33
	s_or_b64 vcc, vcc, s[0:1]
	v_cndmask_b32_e32 v5, v0, v5, vcc
	v_mul_lo_u32 v0, s8, v4
	v_ashrrev_i32_e32 v1, 31, v0
	s_and_b32 s20, s42, 0xff
	s_cmp_lt_i32 s20, 11
	v_lshl_add_u64 v[2:3], s[4:5], 0, v[0:1]
	s_cbranch_scc1 .LBB488_1619
; %bb.1542:
	s_and_b32 s9, 0xffff, s20
	s_mov_b64 s[16:17], -1
	s_mov_b64 s[2:3], 0
	s_cmp_gt_i32 s9, 25
	s_mov_b64 s[6:7], 0
	s_mov_b64 s[0:1], 0
	s_cbranch_scc0 .LBB488_1575
; %bb.1543:
	s_cmp_gt_i32 s9, 28
	s_cbranch_scc0 .LBB488_1558
; %bb.1544:
	s_cmp_gt_i32 s9, 43
	;; [unrolled: 3-line block ×3, first 2 shown]
	s_cbranch_scc0 .LBB488_1548
; %bb.1546:
	s_mov_b64 s[0:1], -1
	s_mov_b64 s[16:17], 0
	s_cmp_eq_u32 s9, 46
	s_cbranch_scc0 .LBB488_1548
; %bb.1547:
	v_and_b32_e32 v1, 0xffff, v5
	global_store_dword v[2:3], v1, off
	s_mov_b64 s[0:1], 0
	s_mov_b64 s[6:7], -1
.LBB488_1548:
	s_and_b64 vcc, exec, s[16:17]
	s_cbranch_vccz .LBB488_1553
; %bb.1549:
	s_cmp_eq_u32 s9, 44
	s_mov_b64 s[0:1], -1
	s_cbranch_scc0 .LBB488_1553
; %bb.1550:
	v_and_b32_e32 v4, 0xffff, v5
	v_bfe_u32 v1, v4, 7, 8
	s_movk_i32 s0, 0xff
	v_cmp_ne_u32_e32 vcc, s0, v1
	v_mov_b32_e32 v9, 0xff
	s_and_saveexec_b64 s[6:7], vcc
	s_cbranch_execz .LBB488_1552
; %bb.1551:
	v_lshlrev_b32_e32 v10, 16, v4
	s_mov_b32 s0, 0x3f0000
	v_lshrrev_b32_e32 v9, 7, v4
	v_and_b32_e32 v4, 64, v4
	v_and_or_b32 v1, v10, s0, v1
	v_cmp_ne_u32_e32 vcc, 0, v4
	v_cmp_ne_u32_e64 s[0:1], 0, v1
	s_and_b64 s[0:1], vcc, s[0:1]
	s_nop 0
	v_cndmask_b32_e64 v1, 0, 1, s[0:1]
	v_add_u32_e32 v9, v9, v1
.LBB488_1552:
	s_or_b64 exec, exec, s[6:7]
	s_mov_b64 s[0:1], 0
	s_mov_b64 s[6:7], -1
	global_store_byte v[2:3], v9, off
.LBB488_1553:
	s_mov_b64 s[16:17], 0
.LBB488_1554:
	s_and_b64 vcc, exec, s[16:17]
	s_cbranch_vccz .LBB488_1557
; %bb.1555:
	s_cmp_eq_u32 s9, 29
	s_mov_b64 s[0:1], -1
	s_cbranch_scc0 .LBB488_1557
; %bb.1556:
	v_lshlrev_b32_e32 v1, 16, v5
	v_trunc_f32_e32 v1, v1
	v_mul_f32_e32 v4, 0x2f800000, v1
	v_floor_f32_e32 v4, v4
	v_fmamk_f32 v1, v4, 0xcf800000, v1
	v_cvt_u32_f32_e32 v11, v4
	v_cvt_u32_f32_e32 v10, v1
	s_mov_b64 s[0:1], 0
	s_mov_b64 s[6:7], -1
	global_store_dwordx2 v[2:3], v[10:11], off
.LBB488_1557:
	s_mov_b64 s[16:17], 0
.LBB488_1558:
	s_and_b64 vcc, exec, s[16:17]
	s_cbranch_vccz .LBB488_1574
; %bb.1559:
	s_cmp_lt_i32 s9, 27
	s_mov_b64 s[6:7], -1
	s_cbranch_scc1 .LBB488_1565
; %bb.1560:
	s_cmp_gt_i32 s9, 27
	s_cbranch_scc0 .LBB488_1562
; %bb.1561:
	v_lshlrev_b32_e32 v1, 16, v5
	v_cvt_u32_f32_e32 v1, v1
	s_mov_b64 s[6:7], 0
	global_store_dword v[2:3], v1, off
.LBB488_1562:
	s_andn2_b64 vcc, exec, s[6:7]
	s_cbranch_vccnz .LBB488_1564
; %bb.1563:
	v_lshlrev_b32_e32 v1, 16, v5
	v_cvt_u32_f32_e32 v1, v1
	global_store_short v[2:3], v1, off
.LBB488_1564:
	s_mov_b64 s[6:7], 0
.LBB488_1565:
	s_andn2_b64 vcc, exec, s[6:7]
	s_cbranch_vccnz .LBB488_1573
; %bb.1566:
	v_lshlrev_b32_e32 v9, 16, v5
	v_and_b32_e32 v4, 0x7fffffff, v9
	s_mov_b32 s6, 0x43800000
	v_cmp_gt_u32_e32 vcc, s6, v4
	v_mov_b32_e32 v10, 0x80
	s_and_saveexec_b64 s[6:7], vcc
	s_cbranch_execz .LBB488_1572
; %bb.1567:
	s_mov_b32 s16, 0x3bffffff
	v_and_b32_e32 v1, 0xffff, v5
	v_cmp_lt_u32_e32 vcc, s16, v4
	s_mov_b64 s[16:17], 0
                                        ; implicit-def: $vgpr4
	s_and_saveexec_b64 s[18:19], vcc
	s_xor_b64 s[18:19], exec, s[18:19]
	s_cbranch_execz .LBB488_2021
; %bb.1568:
	v_bfe_u32 v4, v1, 4, 1
	s_mov_b32 s22, 0x487ffff
	v_add3_u32 v4, v9, v4, s22
	s_mov_b64 s[16:17], exec
	v_lshrrev_b32_e32 v4, 20, v4
                                        ; implicit-def: $vgpr9
	s_andn2_saveexec_b64 s[18:19], s[18:19]
	s_cbranch_execnz .LBB488_2022
.LBB488_1569:
	s_or_b64 exec, exec, s[18:19]
	v_mov_b32_e32 v10, 0
	s_and_saveexec_b64 s[18:19], s[16:17]
.LBB488_1570:
	v_lshrrev_b32_e32 v1, 8, v1
	s_movk_i32 s16, 0x80
	v_and_or_b32 v10, v1, s16, v4
.LBB488_1571:
	s_or_b64 exec, exec, s[18:19]
.LBB488_1572:
	s_or_b64 exec, exec, s[6:7]
	global_store_byte v[2:3], v10, off
.LBB488_1573:
	s_mov_b64 s[6:7], -1
.LBB488_1574:
	s_mov_b64 s[16:17], 0
.LBB488_1575:
	s_and_b64 vcc, exec, s[16:17]
	s_cbranch_vccz .LBB488_1615
; %bb.1576:
	s_cmp_gt_i32 s9, 22
	s_mov_b64 s[2:3], -1
	s_cbranch_scc0 .LBB488_1608
; %bb.1577:
	s_cmp_lt_i32 s9, 24
	s_cbranch_scc1 .LBB488_1597
; %bb.1578:
	s_cmp_gt_i32 s9, 24
	s_cbranch_scc0 .LBB488_1586
; %bb.1579:
	v_lshlrev_b32_e32 v9, 16, v5
	v_and_b32_e32 v4, 0x7fffffff, v9
	s_mov_b32 s2, 0x47800000
	v_cmp_gt_u32_e32 vcc, s2, v4
	v_mov_b32_e32 v10, 0x80
	s_and_saveexec_b64 s[2:3], vcc
	s_cbranch_execz .LBB488_1585
; %bb.1580:
	s_mov_b32 s6, 0x37ffffff
	v_and_b32_e32 v1, 0xffff, v5
	v_cmp_lt_u32_e32 vcc, s6, v4
	s_mov_b64 s[6:7], 0
                                        ; implicit-def: $vgpr4
	s_and_saveexec_b64 s[16:17], vcc
	s_xor_b64 s[16:17], exec, s[16:17]
	s_cbranch_execz .LBB488_2024
; %bb.1581:
	v_bfe_u32 v4, v1, 5, 1
	s_mov_b32 s18, 0x88fffff
	v_add3_u32 v4, v9, v4, s18
	s_mov_b64 s[6:7], exec
	v_lshrrev_b32_e32 v4, 21, v4
                                        ; implicit-def: $vgpr9
	s_andn2_saveexec_b64 s[16:17], s[16:17]
	s_cbranch_execnz .LBB488_2025
.LBB488_1582:
	s_or_b64 exec, exec, s[16:17]
	v_mov_b32_e32 v10, 0
	s_and_saveexec_b64 s[16:17], s[6:7]
.LBB488_1583:
	v_lshrrev_b32_e32 v1, 8, v1
	s_movk_i32 s6, 0x80
	v_and_or_b32 v10, v1, s6, v4
.LBB488_1584:
	s_or_b64 exec, exec, s[16:17]
.LBB488_1585:
	s_or_b64 exec, exec, s[2:3]
	s_mov_b64 s[2:3], 0
	global_store_byte v[2:3], v10, off
.LBB488_1586:
	s_and_b64 vcc, exec, s[2:3]
	s_cbranch_vccz .LBB488_1596
; %bb.1587:
	v_lshlrev_b32_e32 v9, 16, v5
	v_and_b32_e32 v10, 0x7fffffff, v9
	s_mov_b32 s2, 0x43f00000
	v_and_b32_e32 v1, 0xffff, v5
	v_cmp_gt_u32_e32 vcc, s2, v10
                                        ; implicit-def: $vgpr4
	s_and_saveexec_b64 s[2:3], vcc
	s_xor_b64 s[2:3], exec, s[2:3]
	s_cbranch_execz .LBB488_1593
; %bb.1588:
	s_mov_b32 s6, 0x3c7fffff
	v_cmp_lt_u32_e32 vcc, s6, v10
                                        ; implicit-def: $vgpr4
	s_and_saveexec_b64 s[6:7], vcc
	s_xor_b64 s[6:7], exec, s[6:7]
; %bb.1589:
	v_bfe_u32 v4, v1, 4, 1
	s_mov_b32 s16, 0x407ffff
	v_add3_u32 v4, v9, v4, s16
	v_lshrrev_b32_e32 v9, 20, v4
	v_and_b32_e32 v4, 0xff00000, v4
	s_mov_b32 s16, 0x7f00000
	v_mov_b32_e32 v10, 0x7e
	v_cmp_ne_u32_e32 vcc, s16, v4
	s_nop 1
	v_cndmask_b32_e32 v4, v10, v9, vcc
                                        ; implicit-def: $vgpr9
; %bb.1590:
	s_andn2_saveexec_b64 s[6:7], s[6:7]
; %bb.1591:
	s_mov_b32 s16, 0x46800000
	v_add_f32_e64 v4, |v9|, s16
; %bb.1592:
	s_or_b64 exec, exec, s[6:7]
                                        ; implicit-def: $vgpr10
.LBB488_1593:
	s_andn2_saveexec_b64 s[2:3], s[2:3]
; %bb.1594:
	s_mov_b32 s6, 0x7f800000
	v_mov_b32_e32 v4, 0x7e
	v_mov_b32_e32 v9, 0x7f
	v_cmp_lt_u32_e32 vcc, s6, v10
	s_nop 1
	v_cndmask_b32_e32 v4, v4, v9, vcc
; %bb.1595:
	s_or_b64 exec, exec, s[2:3]
	v_lshrrev_b32_e32 v1, 8, v1
	s_movk_i32 s2, 0x80
	v_and_or_b32 v1, v1, s2, v4
	global_store_byte v[2:3], v1, off
.LBB488_1596:
	s_mov_b64 s[2:3], 0
.LBB488_1597:
	s_andn2_b64 vcc, exec, s[2:3]
	s_cbranch_vccnz .LBB488_1607
; %bb.1598:
	v_lshlrev_b32_e32 v9, 16, v5
	v_and_b32_e32 v10, 0x7fffffff, v9
	s_mov_b32 s2, 0x47800000
	v_and_b32_e32 v1, 0xffff, v5
	v_cmp_gt_u32_e32 vcc, s2, v10
                                        ; implicit-def: $vgpr4
	s_and_saveexec_b64 s[2:3], vcc
	s_xor_b64 s[2:3], exec, s[2:3]
	s_cbranch_execz .LBB488_1604
; %bb.1599:
	s_mov_b32 s6, 0x387fffff
	v_cmp_lt_u32_e32 vcc, s6, v10
                                        ; implicit-def: $vgpr4
	s_and_saveexec_b64 s[6:7], vcc
	s_xor_b64 s[6:7], exec, s[6:7]
; %bb.1600:
	v_bfe_u32 v4, v1, 5, 1
	s_mov_b32 s16, 0x80fffff
	v_add3_u32 v4, v9, v4, s16
	v_lshrrev_b32_e32 v4, 21, v4
                                        ; implicit-def: $vgpr9
; %bb.1601:
	s_andn2_saveexec_b64 s[6:7], s[6:7]
; %bb.1602:
	s_mov_b32 s16, 0x43000000
	v_add_f32_e64 v4, |v9|, s16
; %bb.1603:
	s_or_b64 exec, exec, s[6:7]
                                        ; implicit-def: $vgpr10
.LBB488_1604:
	s_andn2_saveexec_b64 s[2:3], s[2:3]
; %bb.1605:
	s_mov_b32 s6, 0x7f800000
	v_mov_b32_e32 v4, 0x7c
	v_mov_b32_e32 v9, 0x7f
	v_cmp_lt_u32_e32 vcc, s6, v10
	s_nop 1
	v_cndmask_b32_e32 v4, v4, v9, vcc
; %bb.1606:
	s_or_b64 exec, exec, s[2:3]
	v_lshrrev_b32_e32 v1, 8, v1
	s_movk_i32 s2, 0x80
	v_and_or_b32 v1, v1, s2, v4
	global_store_byte v[2:3], v1, off
.LBB488_1607:
	s_mov_b64 s[2:3], 0
	s_mov_b64 s[6:7], -1
.LBB488_1608:
	s_andn2_b64 vcc, exec, s[2:3]
	s_mov_b64 s[2:3], 0
	s_cbranch_vccnz .LBB488_1615
; %bb.1609:
	s_cmp_gt_i32 s9, 14
	s_mov_b64 s[16:17], -1
	s_cbranch_scc0 .LBB488_1613
; %bb.1610:
	s_cmp_eq_u32 s9, 15
	s_mov_b64 s[0:1], -1
	s_cbranch_scc0 .LBB488_1612
; %bb.1611:
	global_store_short v[2:3], v5, off
	s_mov_b64 s[0:1], 0
	s_mov_b64 s[6:7], -1
.LBB488_1612:
	s_mov_b64 s[16:17], 0
.LBB488_1613:
	s_and_b64 vcc, exec, s[16:17]
	s_cbranch_vccz .LBB488_1615
; %bb.1614:
	s_cmp_lg_u32 s9, 11
	s_mov_b64 s[2:3], -1
	s_cselect_b64 s[0:1], -1, 0
.LBB488_1615:
	s_and_b64 vcc, exec, s[0:1]
	s_cbranch_vccnz .LBB488_2023
; %bb.1616:
	s_andn2_b64 vcc, exec, s[2:3]
	s_cbranch_vccnz .LBB488_1618
.LBB488_1617:
	v_and_b32_e32 v1, 0x7fff, v5
	v_cmp_ne_u16_e32 vcc, 0, v1
	s_mov_b64 s[6:7], -1
	s_nop 0
	v_cndmask_b32_e64 v1, 0, 1, vcc
	global_store_byte v[2:3], v1, off
.LBB488_1618:
	s_mov_b64 s[0:1], 0
	s_branch .LBB488_1620
.LBB488_1619:
	s_mov_b64 s[0:1], -1
	s_mov_b64 s[6:7], 0
.LBB488_1620:
	s_and_b64 vcc, exec, s[0:1]
	s_cbranch_vccz .LBB488_1659
; %bb.1621:
	s_and_b32 s2, 0xffff, s20
	s_cmp_lt_i32 s2, 5
	s_mov_b64 s[0:1], -1
	s_cbranch_scc1 .LBB488_1642
; %bb.1622:
	s_cmp_lt_i32 s2, 8
	s_cbranch_scc1 .LBB488_1632
; %bb.1623:
	s_cmp_lt_i32 s2, 9
	s_cbranch_scc1 .LBB488_1629
; %bb.1624:
	s_cmp_gt_i32 s2, 9
	s_cbranch_scc0 .LBB488_1626
; %bb.1625:
	v_lshlrev_b32_e32 v1, 16, v5
	v_mov_b32_e32 v12, 0
	v_cvt_f64_f32_e32 v[10:11], v1
	v_mov_b32_e32 v13, v12
	global_store_dwordx4 v[2:3], v[10:13], off
	s_mov_b64 s[0:1], 0
.LBB488_1626:
	s_andn2_b64 vcc, exec, s[0:1]
	s_cbranch_vccnz .LBB488_1628
; %bb.1627:
	v_lshlrev_b32_e32 v10, 16, v5
	v_mov_b32_e32 v11, 0
	global_store_dwordx2 v[2:3], v[10:11], off
.LBB488_1628:
	s_mov_b64 s[0:1], 0
.LBB488_1629:
	s_andn2_b64 vcc, exec, s[0:1]
	s_cbranch_vccnz .LBB488_1631
; %bb.1630:
	v_lshlrev_b32_e32 v1, 16, v5
	v_cvt_f16_f32_e32 v1, v1
	global_store_dword v[2:3], v1, off
.LBB488_1631:
	s_mov_b64 s[0:1], 0
.LBB488_1632:
	s_andn2_b64 vcc, exec, s[0:1]
	s_cbranch_vccnz .LBB488_1641
; %bb.1633:
	s_cmp_lt_i32 s2, 6
	s_mov_b64 s[0:1], -1
	s_cbranch_scc1 .LBB488_1639
; %bb.1634:
	s_cmp_gt_i32 s2, 6
	s_cbranch_scc0 .LBB488_1636
; %bb.1635:
	v_lshlrev_b32_e32 v1, 16, v5
	v_cvt_f64_f32_e32 v[10:11], v1
	global_store_dwordx2 v[2:3], v[10:11], off
	s_mov_b64 s[0:1], 0
.LBB488_1636:
	s_andn2_b64 vcc, exec, s[0:1]
	s_cbranch_vccnz .LBB488_1638
; %bb.1637:
	v_lshlrev_b32_e32 v1, 16, v5
	global_store_dword v[2:3], v1, off
.LBB488_1638:
	s_mov_b64 s[0:1], 0
.LBB488_1639:
	s_andn2_b64 vcc, exec, s[0:1]
	s_cbranch_vccnz .LBB488_1641
; %bb.1640:
	v_lshlrev_b32_e32 v1, 16, v5
	v_cvt_f16_f32_e32 v1, v1
	global_store_short v[2:3], v1, off
.LBB488_1641:
	s_mov_b64 s[0:1], 0
.LBB488_1642:
	s_andn2_b64 vcc, exec, s[0:1]
	s_cbranch_vccnz .LBB488_1658
; %bb.1643:
	s_cmp_lt_i32 s2, 2
	s_mov_b64 s[0:1], -1
	s_cbranch_scc1 .LBB488_1653
; %bb.1644:
	s_cmp_lt_i32 s2, 3
	s_cbranch_scc1 .LBB488_1650
; %bb.1645:
	s_cmp_gt_i32 s2, 3
	s_cbranch_scc0 .LBB488_1647
; %bb.1646:
	v_lshlrev_b32_e32 v1, 16, v5
	v_trunc_f32_e32 v1, v1
	s_mov_b32 s0, 0x2f800000
	v_mul_f32_e64 v4, |v1|, s0
	v_floor_f32_e32 v4, v4
	s_mov_b32 s0, 0xcf800000
	v_cvt_u32_f32_e32 v9, v4
	v_fma_f32 v4, v4, s0, |v1|
	v_cvt_u32_f32_e32 v4, v4
	v_ashrrev_i32_e32 v1, 31, v1
	v_xor_b32_e32 v9, v9, v1
	s_mov_b64 s[0:1], 0
	v_xor_b32_e32 v4, v4, v1
	v_sub_co_u32_e32 v10, vcc, v4, v1
	s_nop 1
	v_subb_co_u32_e32 v11, vcc, v9, v1, vcc
	global_store_dwordx2 v[2:3], v[10:11], off
.LBB488_1647:
	s_andn2_b64 vcc, exec, s[0:1]
	s_cbranch_vccnz .LBB488_1649
; %bb.1648:
	v_lshlrev_b32_e32 v1, 16, v5
	v_cvt_i32_f32_e32 v1, v1
	global_store_dword v[2:3], v1, off
.LBB488_1649:
	s_mov_b64 s[0:1], 0
.LBB488_1650:
	s_andn2_b64 vcc, exec, s[0:1]
	s_cbranch_vccnz .LBB488_1652
; %bb.1651:
	v_lshlrev_b32_e32 v1, 16, v5
	v_cvt_i32_f32_e32 v1, v1
	global_store_short v[2:3], v1, off
.LBB488_1652:
	s_mov_b64 s[0:1], 0
.LBB488_1653:
	s_andn2_b64 vcc, exec, s[0:1]
	s_cbranch_vccnz .LBB488_1658
; %bb.1654:
	s_mov_b64 s[0:1], -1
	s_cmp_gt_i32 s2, 0
	v_lshlrev_b32_e32 v1, 16, v5
	s_cbranch_scc0 .LBB488_1656
; %bb.1655:
	v_cvt_i32_f32_e32 v4, v1
	s_mov_b64 s[0:1], 0
	global_store_byte v[2:3], v4, off
.LBB488_1656:
	s_andn2_b64 vcc, exec, s[0:1]
	s_cbranch_vccnz .LBB488_1658
; %bb.1657:
	v_trunc_f32_e32 v1, v1
	s_mov_b32 s0, 0x2f800000
	v_mul_f32_e64 v4, |v1|, s0
	v_floor_f32_e32 v4, v4
	s_mov_b32 s0, 0xcf800000
	v_fma_f32 v4, v4, s0, |v1|
	v_cvt_u32_f32_e32 v4, v4
	v_ashrrev_i32_e32 v1, 31, v1
	v_xor_b32_e32 v4, v4, v1
	v_sub_u32_e32 v1, v4, v1
	global_store_byte v[2:3], v1, off
.LBB488_1658:
	s_mov_b64 s[6:7], -1
.LBB488_1659:
	s_andn2_b64 vcc, exec, s[6:7]
	s_cbranch_vccnz .LBB488_1974
; %bb.1660:
	v_lshlrev_b32_e32 v1, 16, v6
	v_cmp_u_f32_e32 vcc, v1, v1
	v_cmp_gt_f32_e64 s[0:1], s21, v1
	s_lshl_b32 s18, s8, 7
	v_mov_b32_e32 v1, s33
	s_or_b64 vcc, vcc, s[0:1]
	v_add_u32_e32 v0, s18, v0
	v_cndmask_b32_e32 v4, v1, v6, vcc
	v_ashrrev_i32_e32 v1, 31, v0
	s_cmp_lt_i32 s20, 11
	v_lshl_add_u64 v[2:3], s[4:5], 0, v[0:1]
	s_cbranch_scc1 .LBB488_1738
; %bb.1661:
	s_and_b32 s19, 0xffff, s20
	s_mov_b64 s[8:9], -1
	s_mov_b64 s[2:3], 0
	s_cmp_gt_i32 s19, 25
	s_mov_b64 s[6:7], 0
	s_mov_b64 s[0:1], 0
	s_cbranch_scc0 .LBB488_1694
; %bb.1662:
	s_cmp_gt_i32 s19, 28
	s_cbranch_scc0 .LBB488_1677
; %bb.1663:
	s_cmp_gt_i32 s19, 43
	;; [unrolled: 3-line block ×3, first 2 shown]
	s_cbranch_scc0 .LBB488_1667
; %bb.1665:
	s_mov_b64 s[0:1], -1
	s_mov_b64 s[8:9], 0
	s_cmp_eq_u32 s19, 46
	s_cbranch_scc0 .LBB488_1667
; %bb.1666:
	v_and_b32_e32 v1, 0xffff, v4
	global_store_dword v[2:3], v1, off
	s_mov_b64 s[0:1], 0
	s_mov_b64 s[6:7], -1
.LBB488_1667:
	s_and_b64 vcc, exec, s[8:9]
	s_cbranch_vccz .LBB488_1672
; %bb.1668:
	s_cmp_eq_u32 s19, 44
	s_mov_b64 s[0:1], -1
	s_cbranch_scc0 .LBB488_1672
; %bb.1669:
	v_and_b32_e32 v5, 0xffff, v4
	v_bfe_u32 v1, v5, 7, 8
	s_movk_i32 s0, 0xff
	v_cmp_ne_u32_e32 vcc, s0, v1
	v_mov_b32_e32 v6, 0xff
	s_and_saveexec_b64 s[6:7], vcc
	s_cbranch_execz .LBB488_1671
; %bb.1670:
	v_lshlrev_b32_e32 v9, 16, v5
	s_mov_b32 s0, 0x3f0000
	v_lshrrev_b32_e32 v6, 7, v5
	v_and_b32_e32 v5, 64, v5
	v_and_or_b32 v1, v9, s0, v1
	v_cmp_ne_u32_e32 vcc, 0, v5
	v_cmp_ne_u32_e64 s[0:1], 0, v1
	s_and_b64 s[0:1], vcc, s[0:1]
	s_nop 0
	v_cndmask_b32_e64 v1, 0, 1, s[0:1]
	v_add_u32_e32 v6, v6, v1
.LBB488_1671:
	s_or_b64 exec, exec, s[6:7]
	s_mov_b64 s[0:1], 0
	s_mov_b64 s[6:7], -1
	global_store_byte v[2:3], v6, off
.LBB488_1672:
	s_mov_b64 s[8:9], 0
.LBB488_1673:
	s_and_b64 vcc, exec, s[8:9]
	s_cbranch_vccz .LBB488_1676
; %bb.1674:
	s_cmp_eq_u32 s19, 29
	s_mov_b64 s[0:1], -1
	s_cbranch_scc0 .LBB488_1676
; %bb.1675:
	v_lshlrev_b32_e32 v1, 16, v4
	v_trunc_f32_e32 v1, v1
	v_mul_f32_e32 v5, 0x2f800000, v1
	v_floor_f32_e32 v5, v5
	v_fmamk_f32 v1, v5, 0xcf800000, v1
	v_cvt_u32_f32_e32 v11, v5
	v_cvt_u32_f32_e32 v10, v1
	s_mov_b64 s[0:1], 0
	s_mov_b64 s[6:7], -1
	global_store_dwordx2 v[2:3], v[10:11], off
.LBB488_1676:
	s_mov_b64 s[8:9], 0
.LBB488_1677:
	s_and_b64 vcc, exec, s[8:9]
	s_cbranch_vccz .LBB488_1693
; %bb.1678:
	s_cmp_lt_i32 s19, 27
	s_mov_b64 s[6:7], -1
	s_cbranch_scc1 .LBB488_1684
; %bb.1679:
	s_cmp_gt_i32 s19, 27
	s_cbranch_scc0 .LBB488_1681
; %bb.1680:
	v_lshlrev_b32_e32 v1, 16, v4
	v_cvt_u32_f32_e32 v1, v1
	s_mov_b64 s[6:7], 0
	global_store_dword v[2:3], v1, off
.LBB488_1681:
	s_andn2_b64 vcc, exec, s[6:7]
	s_cbranch_vccnz .LBB488_1683
; %bb.1682:
	v_lshlrev_b32_e32 v1, 16, v4
	v_cvt_u32_f32_e32 v1, v1
	global_store_short v[2:3], v1, off
.LBB488_1683:
	s_mov_b64 s[6:7], 0
.LBB488_1684:
	s_andn2_b64 vcc, exec, s[6:7]
	s_cbranch_vccnz .LBB488_1692
; %bb.1685:
	v_lshlrev_b32_e32 v6, 16, v4
	v_and_b32_e32 v5, 0x7fffffff, v6
	s_mov_b32 s6, 0x43800000
	v_cmp_gt_u32_e32 vcc, s6, v5
	v_mov_b32_e32 v9, 0x80
	s_and_saveexec_b64 s[6:7], vcc
	s_cbranch_execz .LBB488_1691
; %bb.1686:
	s_mov_b32 s8, 0x3bffffff
	v_and_b32_e32 v1, 0xffff, v4
	v_cmp_lt_u32_e32 vcc, s8, v5
	s_mov_b64 s[8:9], 0
                                        ; implicit-def: $vgpr5
	s_and_saveexec_b64 s[16:17], vcc
	s_xor_b64 s[16:17], exec, s[16:17]
	s_cbranch_execz .LBB488_2026
; %bb.1687:
	v_bfe_u32 v5, v1, 4, 1
	s_mov_b32 s22, 0x487ffff
	v_add3_u32 v5, v6, v5, s22
	s_mov_b64 s[8:9], exec
	v_lshrrev_b32_e32 v5, 20, v5
                                        ; implicit-def: $vgpr6
	s_andn2_saveexec_b64 s[16:17], s[16:17]
	s_cbranch_execnz .LBB488_2027
.LBB488_1688:
	s_or_b64 exec, exec, s[16:17]
	v_mov_b32_e32 v9, 0
	s_and_saveexec_b64 s[16:17], s[8:9]
.LBB488_1689:
	v_lshrrev_b32_e32 v1, 8, v1
	s_movk_i32 s8, 0x80
	v_and_or_b32 v9, v1, s8, v5
.LBB488_1690:
	s_or_b64 exec, exec, s[16:17]
.LBB488_1691:
	s_or_b64 exec, exec, s[6:7]
	global_store_byte v[2:3], v9, off
.LBB488_1692:
	s_mov_b64 s[6:7], -1
.LBB488_1693:
	s_mov_b64 s[8:9], 0
.LBB488_1694:
	s_and_b64 vcc, exec, s[8:9]
	s_cbranch_vccz .LBB488_1734
; %bb.1695:
	s_cmp_gt_i32 s19, 22
	s_mov_b64 s[2:3], -1
	s_cbranch_scc0 .LBB488_1727
; %bb.1696:
	s_cmp_lt_i32 s19, 24
	s_cbranch_scc1 .LBB488_1716
; %bb.1697:
	s_cmp_gt_i32 s19, 24
	s_cbranch_scc0 .LBB488_1705
; %bb.1698:
	v_lshlrev_b32_e32 v6, 16, v4
	v_and_b32_e32 v5, 0x7fffffff, v6
	s_mov_b32 s2, 0x47800000
	v_cmp_gt_u32_e32 vcc, s2, v5
	v_mov_b32_e32 v9, 0x80
	s_and_saveexec_b64 s[2:3], vcc
	s_cbranch_execz .LBB488_1704
; %bb.1699:
	s_mov_b32 s6, 0x37ffffff
	v_and_b32_e32 v1, 0xffff, v4
	v_cmp_lt_u32_e32 vcc, s6, v5
	s_mov_b64 s[6:7], 0
                                        ; implicit-def: $vgpr5
	s_and_saveexec_b64 s[8:9], vcc
	s_xor_b64 s[8:9], exec, s[8:9]
	s_cbranch_execz .LBB488_2029
; %bb.1700:
	v_bfe_u32 v5, v1, 5, 1
	s_mov_b32 s16, 0x88fffff
	v_add3_u32 v5, v6, v5, s16
	s_mov_b64 s[6:7], exec
	v_lshrrev_b32_e32 v5, 21, v5
                                        ; implicit-def: $vgpr6
	s_andn2_saveexec_b64 s[8:9], s[8:9]
	s_cbranch_execnz .LBB488_2030
.LBB488_1701:
	s_or_b64 exec, exec, s[8:9]
	v_mov_b32_e32 v9, 0
	s_and_saveexec_b64 s[8:9], s[6:7]
.LBB488_1702:
	v_lshrrev_b32_e32 v1, 8, v1
	s_movk_i32 s6, 0x80
	v_and_or_b32 v9, v1, s6, v5
.LBB488_1703:
	s_or_b64 exec, exec, s[8:9]
.LBB488_1704:
	s_or_b64 exec, exec, s[2:3]
	s_mov_b64 s[2:3], 0
	global_store_byte v[2:3], v9, off
.LBB488_1705:
	s_and_b64 vcc, exec, s[2:3]
	s_cbranch_vccz .LBB488_1715
; %bb.1706:
	v_lshlrev_b32_e32 v6, 16, v4
	v_and_b32_e32 v9, 0x7fffffff, v6
	s_mov_b32 s2, 0x43f00000
	v_and_b32_e32 v1, 0xffff, v4
	v_cmp_gt_u32_e32 vcc, s2, v9
                                        ; implicit-def: $vgpr5
	s_and_saveexec_b64 s[2:3], vcc
	s_xor_b64 s[2:3], exec, s[2:3]
	s_cbranch_execz .LBB488_1712
; %bb.1707:
	s_mov_b32 s6, 0x3c7fffff
	v_cmp_lt_u32_e32 vcc, s6, v9
                                        ; implicit-def: $vgpr5
	s_and_saveexec_b64 s[6:7], vcc
	s_xor_b64 s[6:7], exec, s[6:7]
; %bb.1708:
	v_bfe_u32 v5, v1, 4, 1
	s_mov_b32 s8, 0x407ffff
	v_add3_u32 v5, v6, v5, s8
	v_lshrrev_b32_e32 v6, 20, v5
	v_and_b32_e32 v5, 0xff00000, v5
	s_mov_b32 s8, 0x7f00000
	v_mov_b32_e32 v9, 0x7e
	v_cmp_ne_u32_e32 vcc, s8, v5
	s_nop 1
	v_cndmask_b32_e32 v5, v9, v6, vcc
                                        ; implicit-def: $vgpr6
; %bb.1709:
	s_andn2_saveexec_b64 s[6:7], s[6:7]
; %bb.1710:
	s_mov_b32 s8, 0x46800000
	v_add_f32_e64 v5, |v6|, s8
; %bb.1711:
	s_or_b64 exec, exec, s[6:7]
                                        ; implicit-def: $vgpr9
.LBB488_1712:
	s_andn2_saveexec_b64 s[2:3], s[2:3]
; %bb.1713:
	s_mov_b32 s6, 0x7f800000
	v_mov_b32_e32 v5, 0x7e
	v_mov_b32_e32 v6, 0x7f
	v_cmp_lt_u32_e32 vcc, s6, v9
	s_nop 1
	v_cndmask_b32_e32 v5, v5, v6, vcc
; %bb.1714:
	s_or_b64 exec, exec, s[2:3]
	v_lshrrev_b32_e32 v1, 8, v1
	s_movk_i32 s2, 0x80
	v_and_or_b32 v1, v1, s2, v5
	global_store_byte v[2:3], v1, off
.LBB488_1715:
	s_mov_b64 s[2:3], 0
.LBB488_1716:
	s_andn2_b64 vcc, exec, s[2:3]
	s_cbranch_vccnz .LBB488_1726
; %bb.1717:
	v_lshlrev_b32_e32 v6, 16, v4
	v_and_b32_e32 v9, 0x7fffffff, v6
	s_mov_b32 s2, 0x47800000
	v_and_b32_e32 v1, 0xffff, v4
	v_cmp_gt_u32_e32 vcc, s2, v9
                                        ; implicit-def: $vgpr5
	s_and_saveexec_b64 s[2:3], vcc
	s_xor_b64 s[2:3], exec, s[2:3]
	s_cbranch_execz .LBB488_1723
; %bb.1718:
	s_mov_b32 s6, 0x387fffff
	v_cmp_lt_u32_e32 vcc, s6, v9
                                        ; implicit-def: $vgpr5
	s_and_saveexec_b64 s[6:7], vcc
	s_xor_b64 s[6:7], exec, s[6:7]
; %bb.1719:
	v_bfe_u32 v5, v1, 5, 1
	s_mov_b32 s8, 0x80fffff
	v_add3_u32 v5, v6, v5, s8
	v_lshrrev_b32_e32 v5, 21, v5
                                        ; implicit-def: $vgpr6
; %bb.1720:
	s_andn2_saveexec_b64 s[6:7], s[6:7]
; %bb.1721:
	s_mov_b32 s8, 0x43000000
	v_add_f32_e64 v5, |v6|, s8
; %bb.1722:
	s_or_b64 exec, exec, s[6:7]
                                        ; implicit-def: $vgpr9
.LBB488_1723:
	s_andn2_saveexec_b64 s[2:3], s[2:3]
; %bb.1724:
	s_mov_b32 s6, 0x7f800000
	v_mov_b32_e32 v5, 0x7c
	v_mov_b32_e32 v6, 0x7f
	v_cmp_lt_u32_e32 vcc, s6, v9
	s_nop 1
	v_cndmask_b32_e32 v5, v5, v6, vcc
; %bb.1725:
	s_or_b64 exec, exec, s[2:3]
	v_lshrrev_b32_e32 v1, 8, v1
	s_movk_i32 s2, 0x80
	v_and_or_b32 v1, v1, s2, v5
	global_store_byte v[2:3], v1, off
.LBB488_1726:
	s_mov_b64 s[2:3], 0
	s_mov_b64 s[6:7], -1
.LBB488_1727:
	s_andn2_b64 vcc, exec, s[2:3]
	s_mov_b64 s[2:3], 0
	s_cbranch_vccnz .LBB488_1734
; %bb.1728:
	s_cmp_gt_i32 s19, 14
	s_mov_b64 s[8:9], -1
	s_cbranch_scc0 .LBB488_1732
; %bb.1729:
	s_cmp_eq_u32 s19, 15
	s_mov_b64 s[0:1], -1
	s_cbranch_scc0 .LBB488_1731
; %bb.1730:
	global_store_short v[2:3], v4, off
	s_mov_b64 s[0:1], 0
	s_mov_b64 s[6:7], -1
.LBB488_1731:
	s_mov_b64 s[8:9], 0
.LBB488_1732:
	s_and_b64 vcc, exec, s[8:9]
	s_cbranch_vccz .LBB488_1734
; %bb.1733:
	s_cmp_lg_u32 s19, 11
	s_mov_b64 s[2:3], -1
	s_cselect_b64 s[0:1], -1, 0
.LBB488_1734:
	s_and_b64 vcc, exec, s[0:1]
	s_cbranch_vccnz .LBB488_2028
; %bb.1735:
	s_andn2_b64 vcc, exec, s[2:3]
	s_cbranch_vccnz .LBB488_1737
.LBB488_1736:
	v_and_b32_e32 v1, 0x7fff, v4
	v_cmp_ne_u16_e32 vcc, 0, v1
	s_mov_b64 s[6:7], -1
	s_nop 0
	v_cndmask_b32_e64 v1, 0, 1, vcc
	global_store_byte v[2:3], v1, off
.LBB488_1737:
	s_mov_b64 s[0:1], 0
	s_branch .LBB488_1739
.LBB488_1738:
	s_mov_b64 s[0:1], -1
	s_mov_b64 s[6:7], 0
.LBB488_1739:
	s_and_b64 vcc, exec, s[0:1]
	s_cbranch_vccz .LBB488_1778
; %bb.1740:
	s_and_b32 s2, 0xffff, s20
	s_cmp_lt_i32 s2, 5
	s_mov_b64 s[0:1], -1
	s_cbranch_scc1 .LBB488_1761
; %bb.1741:
	s_cmp_lt_i32 s2, 8
	s_cbranch_scc1 .LBB488_1751
; %bb.1742:
	s_cmp_lt_i32 s2, 9
	s_cbranch_scc1 .LBB488_1748
; %bb.1743:
	s_cmp_gt_i32 s2, 9
	s_cbranch_scc0 .LBB488_1745
; %bb.1744:
	v_lshlrev_b32_e32 v1, 16, v4
	v_mov_b32_e32 v12, 0
	v_cvt_f64_f32_e32 v[10:11], v1
	v_mov_b32_e32 v13, v12
	global_store_dwordx4 v[2:3], v[10:13], off
	s_mov_b64 s[0:1], 0
.LBB488_1745:
	s_andn2_b64 vcc, exec, s[0:1]
	s_cbranch_vccnz .LBB488_1747
; %bb.1746:
	v_lshlrev_b32_e32 v10, 16, v4
	v_mov_b32_e32 v11, 0
	global_store_dwordx2 v[2:3], v[10:11], off
.LBB488_1747:
	s_mov_b64 s[0:1], 0
.LBB488_1748:
	s_andn2_b64 vcc, exec, s[0:1]
	s_cbranch_vccnz .LBB488_1750
; %bb.1749:
	v_lshlrev_b32_e32 v1, 16, v4
	v_cvt_f16_f32_e32 v1, v1
	global_store_dword v[2:3], v1, off
.LBB488_1750:
	s_mov_b64 s[0:1], 0
.LBB488_1751:
	s_andn2_b64 vcc, exec, s[0:1]
	s_cbranch_vccnz .LBB488_1760
; %bb.1752:
	s_cmp_lt_i32 s2, 6
	s_mov_b64 s[0:1], -1
	s_cbranch_scc1 .LBB488_1758
; %bb.1753:
	s_cmp_gt_i32 s2, 6
	s_cbranch_scc0 .LBB488_1755
; %bb.1754:
	v_lshlrev_b32_e32 v1, 16, v4
	v_cvt_f64_f32_e32 v[10:11], v1
	global_store_dwordx2 v[2:3], v[10:11], off
	s_mov_b64 s[0:1], 0
.LBB488_1755:
	s_andn2_b64 vcc, exec, s[0:1]
	s_cbranch_vccnz .LBB488_1757
; %bb.1756:
	v_lshlrev_b32_e32 v1, 16, v4
	global_store_dword v[2:3], v1, off
.LBB488_1757:
	s_mov_b64 s[0:1], 0
.LBB488_1758:
	s_andn2_b64 vcc, exec, s[0:1]
	s_cbranch_vccnz .LBB488_1760
; %bb.1759:
	v_lshlrev_b32_e32 v1, 16, v4
	v_cvt_f16_f32_e32 v1, v1
	global_store_short v[2:3], v1, off
.LBB488_1760:
	s_mov_b64 s[0:1], 0
.LBB488_1761:
	s_andn2_b64 vcc, exec, s[0:1]
	s_cbranch_vccnz .LBB488_1777
; %bb.1762:
	s_cmp_lt_i32 s2, 2
	s_mov_b64 s[0:1], -1
	s_cbranch_scc1 .LBB488_1772
; %bb.1763:
	s_cmp_lt_i32 s2, 3
	s_cbranch_scc1 .LBB488_1769
; %bb.1764:
	s_cmp_gt_i32 s2, 3
	s_cbranch_scc0 .LBB488_1766
; %bb.1765:
	v_lshlrev_b32_e32 v1, 16, v4
	v_trunc_f32_e32 v1, v1
	s_mov_b32 s0, 0x2f800000
	v_mul_f32_e64 v5, |v1|, s0
	v_floor_f32_e32 v5, v5
	s_mov_b32 s0, 0xcf800000
	v_cvt_u32_f32_e32 v6, v5
	v_fma_f32 v5, v5, s0, |v1|
	v_cvt_u32_f32_e32 v5, v5
	v_ashrrev_i32_e32 v1, 31, v1
	v_xor_b32_e32 v6, v6, v1
	s_mov_b64 s[0:1], 0
	v_xor_b32_e32 v5, v5, v1
	v_sub_co_u32_e32 v10, vcc, v5, v1
	s_nop 1
	v_subb_co_u32_e32 v11, vcc, v6, v1, vcc
	global_store_dwordx2 v[2:3], v[10:11], off
.LBB488_1766:
	s_andn2_b64 vcc, exec, s[0:1]
	s_cbranch_vccnz .LBB488_1768
; %bb.1767:
	v_lshlrev_b32_e32 v1, 16, v4
	v_cvt_i32_f32_e32 v1, v1
	global_store_dword v[2:3], v1, off
.LBB488_1768:
	s_mov_b64 s[0:1], 0
.LBB488_1769:
	s_andn2_b64 vcc, exec, s[0:1]
	s_cbranch_vccnz .LBB488_1771
; %bb.1770:
	v_lshlrev_b32_e32 v1, 16, v4
	v_cvt_i32_f32_e32 v1, v1
	global_store_short v[2:3], v1, off
.LBB488_1771:
	s_mov_b64 s[0:1], 0
.LBB488_1772:
	s_andn2_b64 vcc, exec, s[0:1]
	s_cbranch_vccnz .LBB488_1777
; %bb.1773:
	s_mov_b64 s[0:1], -1
	s_cmp_gt_i32 s2, 0
	v_lshlrev_b32_e32 v1, 16, v4
	s_cbranch_scc0 .LBB488_1775
; %bb.1774:
	v_cvt_i32_f32_e32 v4, v1
	s_mov_b64 s[0:1], 0
	global_store_byte v[2:3], v4, off
.LBB488_1775:
	s_andn2_b64 vcc, exec, s[0:1]
	s_cbranch_vccnz .LBB488_1777
; %bb.1776:
	v_trunc_f32_e32 v1, v1
	s_mov_b32 s0, 0x2f800000
	v_mul_f32_e64 v4, |v1|, s0
	v_floor_f32_e32 v4, v4
	s_mov_b32 s0, 0xcf800000
	v_fma_f32 v4, v4, s0, |v1|
	v_cvt_u32_f32_e32 v4, v4
	v_ashrrev_i32_e32 v1, 31, v1
	v_xor_b32_e32 v4, v4, v1
	v_sub_u32_e32 v1, v4, v1
	global_store_byte v[2:3], v1, off
.LBB488_1777:
	s_mov_b64 s[6:7], -1
.LBB488_1778:
	s_andn2_b64 vcc, exec, s[6:7]
	s_cbranch_vccnz .LBB488_1974
; %bb.1779:
	v_lshlrev_b32_e32 v1, 16, v7
	v_cmp_u_f32_e32 vcc, v1, v1
	v_cmp_gt_f32_e64 s[0:1], s21, v1
	v_mov_b32_e32 v1, s33
	s_or_b64 vcc, vcc, s[0:1]
	v_add_u32_e32 v0, s18, v0
	v_cndmask_b32_e32 v4, v1, v7, vcc
	v_ashrrev_i32_e32 v1, 31, v0
	s_cmp_lt_i32 s20, 11
	v_lshl_add_u64 v[2:3], s[4:5], 0, v[0:1]
	s_cbranch_scc1 .LBB488_1857
; %bb.1780:
	s_and_b32 s19, 0xffff, s20
	s_mov_b64 s[8:9], -1
	s_mov_b64 s[2:3], 0
	s_cmp_gt_i32 s19, 25
	s_mov_b64 s[6:7], 0
	s_mov_b64 s[0:1], 0
	s_cbranch_scc0 .LBB488_1813
; %bb.1781:
	s_cmp_gt_i32 s19, 28
	s_cbranch_scc0 .LBB488_1796
; %bb.1782:
	s_cmp_gt_i32 s19, 43
	;; [unrolled: 3-line block ×3, first 2 shown]
	s_cbranch_scc0 .LBB488_1786
; %bb.1784:
	s_mov_b64 s[0:1], -1
	s_mov_b64 s[8:9], 0
	s_cmp_eq_u32 s19, 46
	s_cbranch_scc0 .LBB488_1786
; %bb.1785:
	v_and_b32_e32 v1, 0xffff, v4
	global_store_dword v[2:3], v1, off
	s_mov_b64 s[0:1], 0
	s_mov_b64 s[6:7], -1
.LBB488_1786:
	s_and_b64 vcc, exec, s[8:9]
	s_cbranch_vccz .LBB488_1791
; %bb.1787:
	s_cmp_eq_u32 s19, 44
	s_mov_b64 s[0:1], -1
	s_cbranch_scc0 .LBB488_1791
; %bb.1788:
	v_and_b32_e32 v5, 0xffff, v4
	v_bfe_u32 v1, v5, 7, 8
	s_movk_i32 s0, 0xff
	v_cmp_ne_u32_e32 vcc, s0, v1
	v_mov_b32_e32 v6, 0xff
	s_and_saveexec_b64 s[6:7], vcc
	s_cbranch_execz .LBB488_1790
; %bb.1789:
	v_lshlrev_b32_e32 v7, 16, v5
	s_mov_b32 s0, 0x3f0000
	v_lshrrev_b32_e32 v6, 7, v5
	v_and_b32_e32 v5, 64, v5
	v_and_or_b32 v1, v7, s0, v1
	v_cmp_ne_u32_e32 vcc, 0, v5
	v_cmp_ne_u32_e64 s[0:1], 0, v1
	s_and_b64 s[0:1], vcc, s[0:1]
	s_nop 0
	v_cndmask_b32_e64 v1, 0, 1, s[0:1]
	v_add_u32_e32 v6, v6, v1
.LBB488_1790:
	s_or_b64 exec, exec, s[6:7]
	s_mov_b64 s[0:1], 0
	s_mov_b64 s[6:7], -1
	global_store_byte v[2:3], v6, off
.LBB488_1791:
	s_mov_b64 s[8:9], 0
.LBB488_1792:
	s_and_b64 vcc, exec, s[8:9]
	s_cbranch_vccz .LBB488_1795
; %bb.1793:
	s_cmp_eq_u32 s19, 29
	s_mov_b64 s[0:1], -1
	s_cbranch_scc0 .LBB488_1795
; %bb.1794:
	v_lshlrev_b32_e32 v1, 16, v4
	v_trunc_f32_e32 v1, v1
	v_mul_f32_e32 v5, 0x2f800000, v1
	v_floor_f32_e32 v5, v5
	v_fmamk_f32 v1, v5, 0xcf800000, v1
	v_cvt_u32_f32_e32 v7, v5
	v_cvt_u32_f32_e32 v6, v1
	s_mov_b64 s[0:1], 0
	s_mov_b64 s[6:7], -1
	global_store_dwordx2 v[2:3], v[6:7], off
.LBB488_1795:
	s_mov_b64 s[8:9], 0
.LBB488_1796:
	s_and_b64 vcc, exec, s[8:9]
	s_cbranch_vccz .LBB488_1812
; %bb.1797:
	s_cmp_lt_i32 s19, 27
	s_mov_b64 s[6:7], -1
	s_cbranch_scc1 .LBB488_1803
; %bb.1798:
	s_cmp_gt_i32 s19, 27
	s_cbranch_scc0 .LBB488_1800
; %bb.1799:
	v_lshlrev_b32_e32 v1, 16, v4
	v_cvt_u32_f32_e32 v1, v1
	s_mov_b64 s[6:7], 0
	global_store_dword v[2:3], v1, off
.LBB488_1800:
	s_andn2_b64 vcc, exec, s[6:7]
	s_cbranch_vccnz .LBB488_1802
; %bb.1801:
	v_lshlrev_b32_e32 v1, 16, v4
	v_cvt_u32_f32_e32 v1, v1
	global_store_short v[2:3], v1, off
.LBB488_1802:
	s_mov_b64 s[6:7], 0
.LBB488_1803:
	s_andn2_b64 vcc, exec, s[6:7]
	s_cbranch_vccnz .LBB488_1811
; %bb.1804:
	v_lshlrev_b32_e32 v6, 16, v4
	v_and_b32_e32 v5, 0x7fffffff, v6
	s_mov_b32 s6, 0x43800000
	v_cmp_gt_u32_e32 vcc, s6, v5
	v_mov_b32_e32 v7, 0x80
	s_and_saveexec_b64 s[6:7], vcc
	s_cbranch_execz .LBB488_1810
; %bb.1805:
	s_mov_b32 s8, 0x3bffffff
	v_and_b32_e32 v1, 0xffff, v4
	v_cmp_lt_u32_e32 vcc, s8, v5
	s_mov_b64 s[8:9], 0
                                        ; implicit-def: $vgpr5
	s_and_saveexec_b64 s[16:17], vcc
	s_xor_b64 s[16:17], exec, s[16:17]
	s_cbranch_execz .LBB488_2031
; %bb.1806:
	v_bfe_u32 v5, v1, 4, 1
	s_mov_b32 s22, 0x487ffff
	v_add3_u32 v5, v6, v5, s22
	s_mov_b64 s[8:9], exec
	v_lshrrev_b32_e32 v5, 20, v5
                                        ; implicit-def: $vgpr6
	s_andn2_saveexec_b64 s[16:17], s[16:17]
	s_cbranch_execnz .LBB488_2032
.LBB488_1807:
	s_or_b64 exec, exec, s[16:17]
	v_mov_b32_e32 v7, 0
	s_and_saveexec_b64 s[16:17], s[8:9]
.LBB488_1808:
	v_lshrrev_b32_e32 v1, 8, v1
	s_movk_i32 s8, 0x80
	v_and_or_b32 v7, v1, s8, v5
.LBB488_1809:
	s_or_b64 exec, exec, s[16:17]
.LBB488_1810:
	s_or_b64 exec, exec, s[6:7]
	global_store_byte v[2:3], v7, off
.LBB488_1811:
	s_mov_b64 s[6:7], -1
.LBB488_1812:
	s_mov_b64 s[8:9], 0
.LBB488_1813:
	s_and_b64 vcc, exec, s[8:9]
	s_cbranch_vccz .LBB488_1853
; %bb.1814:
	s_cmp_gt_i32 s19, 22
	s_mov_b64 s[2:3], -1
	s_cbranch_scc0 .LBB488_1846
; %bb.1815:
	s_cmp_lt_i32 s19, 24
	s_cbranch_scc1 .LBB488_1835
; %bb.1816:
	s_cmp_gt_i32 s19, 24
	s_cbranch_scc0 .LBB488_1824
; %bb.1817:
	v_lshlrev_b32_e32 v6, 16, v4
	v_and_b32_e32 v5, 0x7fffffff, v6
	s_mov_b32 s2, 0x47800000
	v_cmp_gt_u32_e32 vcc, s2, v5
	v_mov_b32_e32 v7, 0x80
	s_and_saveexec_b64 s[2:3], vcc
	s_cbranch_execz .LBB488_1823
; %bb.1818:
	s_mov_b32 s6, 0x37ffffff
	v_and_b32_e32 v1, 0xffff, v4
	v_cmp_lt_u32_e32 vcc, s6, v5
	s_mov_b64 s[6:7], 0
                                        ; implicit-def: $vgpr5
	s_and_saveexec_b64 s[8:9], vcc
	s_xor_b64 s[8:9], exec, s[8:9]
	s_cbranch_execz .LBB488_2034
; %bb.1819:
	v_bfe_u32 v5, v1, 5, 1
	s_mov_b32 s16, 0x88fffff
	v_add3_u32 v5, v6, v5, s16
	s_mov_b64 s[6:7], exec
	v_lshrrev_b32_e32 v5, 21, v5
                                        ; implicit-def: $vgpr6
	s_andn2_saveexec_b64 s[8:9], s[8:9]
	s_cbranch_execnz .LBB488_2035
.LBB488_1820:
	s_or_b64 exec, exec, s[8:9]
	v_mov_b32_e32 v7, 0
	s_and_saveexec_b64 s[8:9], s[6:7]
.LBB488_1821:
	v_lshrrev_b32_e32 v1, 8, v1
	s_movk_i32 s6, 0x80
	v_and_or_b32 v7, v1, s6, v5
.LBB488_1822:
	s_or_b64 exec, exec, s[8:9]
.LBB488_1823:
	s_or_b64 exec, exec, s[2:3]
	s_mov_b64 s[2:3], 0
	global_store_byte v[2:3], v7, off
.LBB488_1824:
	s_and_b64 vcc, exec, s[2:3]
	s_cbranch_vccz .LBB488_1834
; %bb.1825:
	v_lshlrev_b32_e32 v6, 16, v4
	v_and_b32_e32 v7, 0x7fffffff, v6
	s_mov_b32 s2, 0x43f00000
	v_and_b32_e32 v1, 0xffff, v4
	v_cmp_gt_u32_e32 vcc, s2, v7
                                        ; implicit-def: $vgpr5
	s_and_saveexec_b64 s[2:3], vcc
	s_xor_b64 s[2:3], exec, s[2:3]
	s_cbranch_execz .LBB488_1831
; %bb.1826:
	s_mov_b32 s6, 0x3c7fffff
	v_cmp_lt_u32_e32 vcc, s6, v7
                                        ; implicit-def: $vgpr5
	s_and_saveexec_b64 s[6:7], vcc
	s_xor_b64 s[6:7], exec, s[6:7]
; %bb.1827:
	v_bfe_u32 v5, v1, 4, 1
	s_mov_b32 s8, 0x407ffff
	v_add3_u32 v5, v6, v5, s8
	v_lshrrev_b32_e32 v6, 20, v5
	v_and_b32_e32 v5, 0xff00000, v5
	s_mov_b32 s8, 0x7f00000
	v_mov_b32_e32 v7, 0x7e
	v_cmp_ne_u32_e32 vcc, s8, v5
	s_nop 1
	v_cndmask_b32_e32 v5, v7, v6, vcc
                                        ; implicit-def: $vgpr6
; %bb.1828:
	s_andn2_saveexec_b64 s[6:7], s[6:7]
; %bb.1829:
	s_mov_b32 s8, 0x46800000
	v_add_f32_e64 v5, |v6|, s8
; %bb.1830:
	s_or_b64 exec, exec, s[6:7]
                                        ; implicit-def: $vgpr7
.LBB488_1831:
	s_andn2_saveexec_b64 s[2:3], s[2:3]
; %bb.1832:
	s_mov_b32 s6, 0x7f800000
	v_mov_b32_e32 v5, 0x7e
	v_mov_b32_e32 v6, 0x7f
	v_cmp_lt_u32_e32 vcc, s6, v7
	s_nop 1
	v_cndmask_b32_e32 v5, v5, v6, vcc
; %bb.1833:
	s_or_b64 exec, exec, s[2:3]
	v_lshrrev_b32_e32 v1, 8, v1
	s_movk_i32 s2, 0x80
	v_and_or_b32 v1, v1, s2, v5
	global_store_byte v[2:3], v1, off
.LBB488_1834:
	s_mov_b64 s[2:3], 0
.LBB488_1835:
	s_andn2_b64 vcc, exec, s[2:3]
	s_cbranch_vccnz .LBB488_1845
; %bb.1836:
	v_lshlrev_b32_e32 v6, 16, v4
	v_and_b32_e32 v7, 0x7fffffff, v6
	s_mov_b32 s2, 0x47800000
	v_and_b32_e32 v1, 0xffff, v4
	v_cmp_gt_u32_e32 vcc, s2, v7
                                        ; implicit-def: $vgpr5
	s_and_saveexec_b64 s[2:3], vcc
	s_xor_b64 s[2:3], exec, s[2:3]
	s_cbranch_execz .LBB488_1842
; %bb.1837:
	s_mov_b32 s6, 0x387fffff
	v_cmp_lt_u32_e32 vcc, s6, v7
                                        ; implicit-def: $vgpr5
	s_and_saveexec_b64 s[6:7], vcc
	s_xor_b64 s[6:7], exec, s[6:7]
; %bb.1838:
	v_bfe_u32 v5, v1, 5, 1
	s_mov_b32 s8, 0x80fffff
	v_add3_u32 v5, v6, v5, s8
	v_lshrrev_b32_e32 v5, 21, v5
                                        ; implicit-def: $vgpr6
; %bb.1839:
	s_andn2_saveexec_b64 s[6:7], s[6:7]
; %bb.1840:
	s_mov_b32 s8, 0x43000000
	v_add_f32_e64 v5, |v6|, s8
; %bb.1841:
	s_or_b64 exec, exec, s[6:7]
                                        ; implicit-def: $vgpr7
.LBB488_1842:
	s_andn2_saveexec_b64 s[2:3], s[2:3]
; %bb.1843:
	s_mov_b32 s6, 0x7f800000
	v_mov_b32_e32 v5, 0x7c
	v_mov_b32_e32 v6, 0x7f
	v_cmp_lt_u32_e32 vcc, s6, v7
	s_nop 1
	v_cndmask_b32_e32 v5, v5, v6, vcc
; %bb.1844:
	s_or_b64 exec, exec, s[2:3]
	v_lshrrev_b32_e32 v1, 8, v1
	s_movk_i32 s2, 0x80
	v_and_or_b32 v1, v1, s2, v5
	global_store_byte v[2:3], v1, off
.LBB488_1845:
	s_mov_b64 s[2:3], 0
	s_mov_b64 s[6:7], -1
.LBB488_1846:
	s_andn2_b64 vcc, exec, s[2:3]
	s_mov_b64 s[2:3], 0
	s_cbranch_vccnz .LBB488_1853
; %bb.1847:
	s_cmp_gt_i32 s19, 14
	s_mov_b64 s[8:9], -1
	s_cbranch_scc0 .LBB488_1851
; %bb.1848:
	s_cmp_eq_u32 s19, 15
	s_mov_b64 s[0:1], -1
	s_cbranch_scc0 .LBB488_1850
; %bb.1849:
	global_store_short v[2:3], v4, off
	s_mov_b64 s[0:1], 0
	s_mov_b64 s[6:7], -1
.LBB488_1850:
	s_mov_b64 s[8:9], 0
.LBB488_1851:
	s_and_b64 vcc, exec, s[8:9]
	s_cbranch_vccz .LBB488_1853
; %bb.1852:
	s_cmp_lg_u32 s19, 11
	s_mov_b64 s[2:3], -1
	s_cselect_b64 s[0:1], -1, 0
.LBB488_1853:
	s_and_b64 vcc, exec, s[0:1]
	s_cbranch_vccnz .LBB488_2033
; %bb.1854:
	s_andn2_b64 vcc, exec, s[2:3]
	s_cbranch_vccnz .LBB488_1856
.LBB488_1855:
	v_and_b32_e32 v1, 0x7fff, v4
	v_cmp_ne_u16_e32 vcc, 0, v1
	s_mov_b64 s[6:7], -1
	s_nop 0
	v_cndmask_b32_e64 v1, 0, 1, vcc
	global_store_byte v[2:3], v1, off
.LBB488_1856:
	s_mov_b64 s[0:1], 0
	s_branch .LBB488_1858
.LBB488_1857:
	s_mov_b64 s[0:1], -1
	s_mov_b64 s[6:7], 0
.LBB488_1858:
	s_and_b64 vcc, exec, s[0:1]
	s_cbranch_vccz .LBB488_1897
; %bb.1859:
	s_and_b32 s2, 0xffff, s20
	s_cmp_lt_i32 s2, 5
	s_mov_b64 s[0:1], -1
	s_cbranch_scc1 .LBB488_1880
; %bb.1860:
	s_cmp_lt_i32 s2, 8
	s_cbranch_scc1 .LBB488_1870
; %bb.1861:
	s_cmp_lt_i32 s2, 9
	s_cbranch_scc1 .LBB488_1867
; %bb.1862:
	s_cmp_gt_i32 s2, 9
	s_cbranch_scc0 .LBB488_1864
; %bb.1863:
	v_lshlrev_b32_e32 v1, 16, v4
	v_mov_b32_e32 v12, 0
	v_cvt_f64_f32_e32 v[10:11], v1
	v_mov_b32_e32 v13, v12
	global_store_dwordx4 v[2:3], v[10:13], off
	s_mov_b64 s[0:1], 0
.LBB488_1864:
	s_andn2_b64 vcc, exec, s[0:1]
	s_cbranch_vccnz .LBB488_1866
; %bb.1865:
	v_lshlrev_b32_e32 v6, 16, v4
	v_mov_b32_e32 v7, 0
	global_store_dwordx2 v[2:3], v[6:7], off
.LBB488_1866:
	s_mov_b64 s[0:1], 0
.LBB488_1867:
	s_andn2_b64 vcc, exec, s[0:1]
	s_cbranch_vccnz .LBB488_1869
; %bb.1868:
	v_lshlrev_b32_e32 v1, 16, v4
	v_cvt_f16_f32_e32 v1, v1
	global_store_dword v[2:3], v1, off
.LBB488_1869:
	s_mov_b64 s[0:1], 0
.LBB488_1870:
	s_andn2_b64 vcc, exec, s[0:1]
	s_cbranch_vccnz .LBB488_1879
; %bb.1871:
	s_cmp_lt_i32 s2, 6
	s_mov_b64 s[0:1], -1
	s_cbranch_scc1 .LBB488_1877
; %bb.1872:
	s_cmp_gt_i32 s2, 6
	s_cbranch_scc0 .LBB488_1874
; %bb.1873:
	v_lshlrev_b32_e32 v1, 16, v4
	v_cvt_f64_f32_e32 v[6:7], v1
	global_store_dwordx2 v[2:3], v[6:7], off
	s_mov_b64 s[0:1], 0
.LBB488_1874:
	s_andn2_b64 vcc, exec, s[0:1]
	s_cbranch_vccnz .LBB488_1876
; %bb.1875:
	v_lshlrev_b32_e32 v1, 16, v4
	global_store_dword v[2:3], v1, off
.LBB488_1876:
	s_mov_b64 s[0:1], 0
.LBB488_1877:
	s_andn2_b64 vcc, exec, s[0:1]
	s_cbranch_vccnz .LBB488_1879
; %bb.1878:
	v_lshlrev_b32_e32 v1, 16, v4
	v_cvt_f16_f32_e32 v1, v1
	global_store_short v[2:3], v1, off
.LBB488_1879:
	s_mov_b64 s[0:1], 0
.LBB488_1880:
	s_andn2_b64 vcc, exec, s[0:1]
	s_cbranch_vccnz .LBB488_1896
; %bb.1881:
	s_cmp_lt_i32 s2, 2
	s_mov_b64 s[0:1], -1
	s_cbranch_scc1 .LBB488_1891
; %bb.1882:
	s_cmp_lt_i32 s2, 3
	s_cbranch_scc1 .LBB488_1888
; %bb.1883:
	s_cmp_gt_i32 s2, 3
	s_cbranch_scc0 .LBB488_1885
; %bb.1884:
	v_lshlrev_b32_e32 v1, 16, v4
	v_trunc_f32_e32 v1, v1
	s_mov_b32 s0, 0x2f800000
	v_mul_f32_e64 v5, |v1|, s0
	v_floor_f32_e32 v5, v5
	s_mov_b32 s0, 0xcf800000
	v_cvt_u32_f32_e32 v6, v5
	v_fma_f32 v5, v5, s0, |v1|
	v_cvt_u32_f32_e32 v5, v5
	v_ashrrev_i32_e32 v1, 31, v1
	v_xor_b32_e32 v7, v6, v1
	s_mov_b64 s[0:1], 0
	v_xor_b32_e32 v5, v5, v1
	v_sub_co_u32_e32 v6, vcc, v5, v1
	s_nop 1
	v_subb_co_u32_e32 v7, vcc, v7, v1, vcc
	global_store_dwordx2 v[2:3], v[6:7], off
.LBB488_1885:
	s_andn2_b64 vcc, exec, s[0:1]
	s_cbranch_vccnz .LBB488_1887
; %bb.1886:
	v_lshlrev_b32_e32 v1, 16, v4
	v_cvt_i32_f32_e32 v1, v1
	global_store_dword v[2:3], v1, off
.LBB488_1887:
	s_mov_b64 s[0:1], 0
.LBB488_1888:
	s_andn2_b64 vcc, exec, s[0:1]
	s_cbranch_vccnz .LBB488_1890
; %bb.1889:
	v_lshlrev_b32_e32 v1, 16, v4
	v_cvt_i32_f32_e32 v1, v1
	global_store_short v[2:3], v1, off
.LBB488_1890:
	s_mov_b64 s[0:1], 0
.LBB488_1891:
	s_andn2_b64 vcc, exec, s[0:1]
	s_cbranch_vccnz .LBB488_1896
; %bb.1892:
	s_mov_b64 s[0:1], -1
	s_cmp_gt_i32 s2, 0
	v_lshlrev_b32_e32 v1, 16, v4
	s_cbranch_scc0 .LBB488_1894
; %bb.1893:
	v_cvt_i32_f32_e32 v4, v1
	s_mov_b64 s[0:1], 0
	global_store_byte v[2:3], v4, off
.LBB488_1894:
	s_andn2_b64 vcc, exec, s[0:1]
	s_cbranch_vccnz .LBB488_1896
; %bb.1895:
	v_trunc_f32_e32 v1, v1
	s_mov_b32 s0, 0x2f800000
	v_mul_f32_e64 v4, |v1|, s0
	v_floor_f32_e32 v4, v4
	s_mov_b32 s0, 0xcf800000
	v_fma_f32 v4, v4, s0, |v1|
	v_cvt_u32_f32_e32 v4, v4
	v_ashrrev_i32_e32 v1, 31, v1
	v_xor_b32_e32 v4, v4, v1
	v_sub_u32_e32 v1, v4, v1
	global_store_byte v[2:3], v1, off
.LBB488_1896:
	s_mov_b64 s[6:7], -1
.LBB488_1897:
	s_andn2_b64 vcc, exec, s[6:7]
	s_cbranch_vccnz .LBB488_1974
; %bb.1898:
	v_lshlrev_b32_e32 v1, 16, v8
	v_cmp_u_f32_e32 vcc, v1, v1
	v_cmp_gt_f32_e64 s[0:1], s21, v1
	v_mov_b32_e32 v1, s33
	s_or_b64 vcc, vcc, s[0:1]
	v_add_u32_e32 v0, s18, v0
	v_cndmask_b32_e32 v2, v1, v8, vcc
	v_ashrrev_i32_e32 v1, 31, v0
	s_cmp_lt_i32 s20, 11
	v_lshl_add_u64 v[0:1], s[4:5], 0, v[0:1]
	s_cbranch_scc1 .LBB488_2019
; %bb.1899:
	s_and_b32 s16, 0xffff, s20
	s_mov_b64 s[4:5], -1
	s_mov_b64 s[2:3], 0
	s_cmp_gt_i32 s16, 25
	s_mov_b64 s[0:1], 0
	s_cbranch_scc0 .LBB488_1932
; %bb.1900:
	s_cmp_gt_i32 s16, 28
	s_cbranch_scc0 .LBB488_1916
; %bb.1901:
	s_cmp_gt_i32 s16, 43
	;; [unrolled: 3-line block ×3, first 2 shown]
	s_cbranch_scc0 .LBB488_1906
; %bb.1903:
	s_cmp_eq_u32 s16, 46
	s_mov_b64 s[0:1], -1
	s_cbranch_scc0 .LBB488_1905
; %bb.1904:
	v_and_b32_e32 v3, 0xffff, v2
	global_store_dword v[0:1], v3, off
	s_mov_b64 s[0:1], 0
.LBB488_1905:
	s_mov_b64 s[4:5], 0
.LBB488_1906:
	s_and_b64 vcc, exec, s[4:5]
	s_cbranch_vccz .LBB488_1911
; %bb.1907:
	s_cmp_eq_u32 s16, 44
	s_mov_b64 s[0:1], -1
	s_cbranch_scc0 .LBB488_1911
; %bb.1908:
	v_and_b32_e32 v4, 0xffff, v2
	v_bfe_u32 v3, v4, 7, 8
	s_movk_i32 s0, 0xff
	v_cmp_ne_u32_e32 vcc, s0, v3
	v_mov_b32_e32 v5, 0xff
	s_and_saveexec_b64 s[4:5], vcc
	s_cbranch_execz .LBB488_1910
; %bb.1909:
	v_lshlrev_b32_e32 v6, 16, v4
	s_mov_b32 s0, 0x3f0000
	v_lshrrev_b32_e32 v5, 7, v4
	v_and_b32_e32 v4, 64, v4
	v_and_or_b32 v3, v6, s0, v3
	v_cmp_ne_u32_e32 vcc, 0, v4
	v_cmp_ne_u32_e64 s[0:1], 0, v3
	s_and_b64 s[0:1], vcc, s[0:1]
	s_nop 0
	v_cndmask_b32_e64 v3, 0, 1, s[0:1]
	v_add_u32_e32 v5, v5, v3
.LBB488_1910:
	s_or_b64 exec, exec, s[4:5]
	s_mov_b64 s[0:1], 0
	global_store_byte v[0:1], v5, off
.LBB488_1911:
	s_mov_b64 s[4:5], 0
.LBB488_1912:
	s_and_b64 vcc, exec, s[4:5]
	s_cbranch_vccz .LBB488_1915
; %bb.1913:
	s_cmp_eq_u32 s16, 29
	s_mov_b64 s[0:1], -1
	s_cbranch_scc0 .LBB488_1915
; %bb.1914:
	v_lshlrev_b32_e32 v3, 16, v2
	v_trunc_f32_e32 v3, v3
	v_mul_f32_e32 v4, 0x2f800000, v3
	v_floor_f32_e32 v4, v4
	v_fmamk_f32 v3, v4, 0xcf800000, v3
	v_cvt_u32_f32_e32 v5, v4
	v_cvt_u32_f32_e32 v4, v3
	s_mov_b64 s[0:1], 0
	global_store_dwordx2 v[0:1], v[4:5], off
.LBB488_1915:
	s_mov_b64 s[4:5], 0
.LBB488_1916:
	s_and_b64 vcc, exec, s[4:5]
	s_cbranch_vccz .LBB488_1931
; %bb.1917:
	s_cmp_lt_i32 s16, 27
	s_mov_b64 s[4:5], -1
	s_cbranch_scc1 .LBB488_1923
; %bb.1918:
	s_cmp_gt_i32 s16, 27
	s_cbranch_scc0 .LBB488_1920
; %bb.1919:
	v_lshlrev_b32_e32 v3, 16, v2
	v_cvt_u32_f32_e32 v3, v3
	s_mov_b64 s[4:5], 0
	global_store_dword v[0:1], v3, off
.LBB488_1920:
	s_andn2_b64 vcc, exec, s[4:5]
	s_cbranch_vccnz .LBB488_1922
; %bb.1921:
	v_lshlrev_b32_e32 v3, 16, v2
	v_cvt_u32_f32_e32 v3, v3
	global_store_short v[0:1], v3, off
.LBB488_1922:
	s_mov_b64 s[4:5], 0
.LBB488_1923:
	s_andn2_b64 vcc, exec, s[4:5]
	s_cbranch_vccnz .LBB488_1931
; %bb.1924:
	v_lshlrev_b32_e32 v5, 16, v2
	v_and_b32_e32 v4, 0x7fffffff, v5
	s_mov_b32 s4, 0x43800000
	v_cmp_gt_u32_e32 vcc, s4, v4
	v_mov_b32_e32 v6, 0x80
	s_and_saveexec_b64 s[4:5], vcc
	s_cbranch_execz .LBB488_1930
; %bb.1925:
	s_mov_b32 s6, 0x3bffffff
	v_and_b32_e32 v3, 0xffff, v2
	v_cmp_lt_u32_e32 vcc, s6, v4
	s_mov_b64 s[6:7], 0
                                        ; implicit-def: $vgpr4
	s_and_saveexec_b64 s[8:9], vcc
	s_xor_b64 s[8:9], exec, s[8:9]
	s_cbranch_execz .LBB488_2036
; %bb.1926:
	v_bfe_u32 v4, v3, 4, 1
	s_mov_b32 s17, 0x487ffff
	v_add3_u32 v4, v5, v4, s17
	s_mov_b64 s[6:7], exec
	v_lshrrev_b32_e32 v4, 20, v4
                                        ; implicit-def: $vgpr5
	s_andn2_saveexec_b64 s[8:9], s[8:9]
	s_cbranch_execnz .LBB488_2037
.LBB488_1927:
	s_or_b64 exec, exec, s[8:9]
	v_mov_b32_e32 v6, 0
	s_and_saveexec_b64 s[8:9], s[6:7]
.LBB488_1928:
	v_lshrrev_b32_e32 v3, 8, v3
	s_movk_i32 s6, 0x80
	v_and_or_b32 v6, v3, s6, v4
.LBB488_1929:
	s_or_b64 exec, exec, s[8:9]
.LBB488_1930:
	s_or_b64 exec, exec, s[4:5]
	global_store_byte v[0:1], v6, off
.LBB488_1931:
	s_mov_b64 s[4:5], 0
.LBB488_1932:
	s_and_b64 vcc, exec, s[4:5]
	s_cbranch_vccz .LBB488_1972
; %bb.1933:
	s_cmp_gt_i32 s16, 22
	s_mov_b64 s[2:3], -1
	s_cbranch_scc0 .LBB488_1965
; %bb.1934:
	s_cmp_lt_i32 s16, 24
	s_cbranch_scc1 .LBB488_1954
; %bb.1935:
	s_cmp_gt_i32 s16, 24
	s_cbranch_scc0 .LBB488_1943
; %bb.1936:
	v_lshlrev_b32_e32 v5, 16, v2
	v_and_b32_e32 v4, 0x7fffffff, v5
	s_mov_b32 s2, 0x47800000
	v_cmp_gt_u32_e32 vcc, s2, v4
	v_mov_b32_e32 v6, 0x80
	s_and_saveexec_b64 s[2:3], vcc
	s_cbranch_execz .LBB488_1942
; %bb.1937:
	s_mov_b32 s4, 0x37ffffff
	v_and_b32_e32 v3, 0xffff, v2
	v_cmp_lt_u32_e32 vcc, s4, v4
	s_mov_b64 s[4:5], 0
                                        ; implicit-def: $vgpr4
	s_and_saveexec_b64 s[6:7], vcc
	s_xor_b64 s[6:7], exec, s[6:7]
	s_cbranch_execz .LBB488_2039
; %bb.1938:
	v_bfe_u32 v4, v3, 5, 1
	s_mov_b32 s8, 0x88fffff
	v_add3_u32 v4, v5, v4, s8
	s_mov_b64 s[4:5], exec
	v_lshrrev_b32_e32 v4, 21, v4
                                        ; implicit-def: $vgpr5
	s_andn2_saveexec_b64 s[6:7], s[6:7]
	s_cbranch_execnz .LBB488_2040
.LBB488_1939:
	s_or_b64 exec, exec, s[6:7]
	v_mov_b32_e32 v6, 0
	s_and_saveexec_b64 s[6:7], s[4:5]
.LBB488_1940:
	v_lshrrev_b32_e32 v3, 8, v3
	s_movk_i32 s4, 0x80
	v_and_or_b32 v6, v3, s4, v4
.LBB488_1941:
	s_or_b64 exec, exec, s[6:7]
.LBB488_1942:
	s_or_b64 exec, exec, s[2:3]
	s_mov_b64 s[2:3], 0
	global_store_byte v[0:1], v6, off
.LBB488_1943:
	s_and_b64 vcc, exec, s[2:3]
	s_cbranch_vccz .LBB488_1953
; %bb.1944:
	v_lshlrev_b32_e32 v5, 16, v2
	v_and_b32_e32 v6, 0x7fffffff, v5
	s_mov_b32 s2, 0x43f00000
	v_and_b32_e32 v3, 0xffff, v2
	v_cmp_gt_u32_e32 vcc, s2, v6
                                        ; implicit-def: $vgpr4
	s_and_saveexec_b64 s[2:3], vcc
	s_xor_b64 s[2:3], exec, s[2:3]
	s_cbranch_execz .LBB488_1950
; %bb.1945:
	s_mov_b32 s4, 0x3c7fffff
	v_cmp_lt_u32_e32 vcc, s4, v6
                                        ; implicit-def: $vgpr4
	s_and_saveexec_b64 s[4:5], vcc
	s_xor_b64 s[4:5], exec, s[4:5]
; %bb.1946:
	v_bfe_u32 v4, v3, 4, 1
	s_mov_b32 s6, 0x407ffff
	v_add3_u32 v4, v5, v4, s6
	v_lshrrev_b32_e32 v5, 20, v4
	v_and_b32_e32 v4, 0xff00000, v4
	s_mov_b32 s6, 0x7f00000
	v_mov_b32_e32 v6, 0x7e
	v_cmp_ne_u32_e32 vcc, s6, v4
	s_nop 1
	v_cndmask_b32_e32 v4, v6, v5, vcc
                                        ; implicit-def: $vgpr5
; %bb.1947:
	s_andn2_saveexec_b64 s[4:5], s[4:5]
; %bb.1948:
	s_mov_b32 s6, 0x46800000
	v_add_f32_e64 v4, |v5|, s6
; %bb.1949:
	s_or_b64 exec, exec, s[4:5]
                                        ; implicit-def: $vgpr6
.LBB488_1950:
	s_andn2_saveexec_b64 s[2:3], s[2:3]
; %bb.1951:
	s_mov_b32 s4, 0x7f800000
	v_mov_b32_e32 v4, 0x7e
	v_mov_b32_e32 v5, 0x7f
	v_cmp_lt_u32_e32 vcc, s4, v6
	s_nop 1
	v_cndmask_b32_e32 v4, v4, v5, vcc
; %bb.1952:
	s_or_b64 exec, exec, s[2:3]
	v_lshrrev_b32_e32 v3, 8, v3
	s_movk_i32 s2, 0x80
	v_and_or_b32 v3, v3, s2, v4
	global_store_byte v[0:1], v3, off
.LBB488_1953:
	s_mov_b64 s[2:3], 0
.LBB488_1954:
	s_andn2_b64 vcc, exec, s[2:3]
	s_cbranch_vccnz .LBB488_1964
; %bb.1955:
	v_lshlrev_b32_e32 v5, 16, v2
	v_and_b32_e32 v6, 0x7fffffff, v5
	s_mov_b32 s2, 0x47800000
	v_and_b32_e32 v3, 0xffff, v2
	v_cmp_gt_u32_e32 vcc, s2, v6
                                        ; implicit-def: $vgpr4
	s_and_saveexec_b64 s[2:3], vcc
	s_xor_b64 s[2:3], exec, s[2:3]
	s_cbranch_execz .LBB488_1961
; %bb.1956:
	s_mov_b32 s4, 0x387fffff
	v_cmp_lt_u32_e32 vcc, s4, v6
                                        ; implicit-def: $vgpr4
	s_and_saveexec_b64 s[4:5], vcc
	s_xor_b64 s[4:5], exec, s[4:5]
; %bb.1957:
	v_bfe_u32 v4, v3, 5, 1
	s_mov_b32 s6, 0x80fffff
	v_add3_u32 v4, v5, v4, s6
	v_lshrrev_b32_e32 v4, 21, v4
                                        ; implicit-def: $vgpr5
; %bb.1958:
	s_andn2_saveexec_b64 s[4:5], s[4:5]
; %bb.1959:
	s_mov_b32 s6, 0x43000000
	v_add_f32_e64 v4, |v5|, s6
; %bb.1960:
	s_or_b64 exec, exec, s[4:5]
                                        ; implicit-def: $vgpr6
.LBB488_1961:
	s_andn2_saveexec_b64 s[2:3], s[2:3]
; %bb.1962:
	s_mov_b32 s4, 0x7f800000
	v_mov_b32_e32 v4, 0x7c
	v_mov_b32_e32 v5, 0x7f
	v_cmp_lt_u32_e32 vcc, s4, v6
	s_nop 1
	v_cndmask_b32_e32 v4, v4, v5, vcc
; %bb.1963:
	s_or_b64 exec, exec, s[2:3]
	v_lshrrev_b32_e32 v3, 8, v3
	s_movk_i32 s2, 0x80
	v_and_or_b32 v3, v3, s2, v4
	global_store_byte v[0:1], v3, off
.LBB488_1964:
	s_mov_b64 s[2:3], 0
.LBB488_1965:
	s_andn2_b64 vcc, exec, s[2:3]
	s_mov_b64 s[2:3], 0
	s_cbranch_vccnz .LBB488_1972
; %bb.1966:
	s_cmp_gt_i32 s16, 14
	s_mov_b64 s[4:5], -1
	s_cbranch_scc0 .LBB488_1970
; %bb.1967:
	s_cmp_eq_u32 s16, 15
	s_mov_b64 s[0:1], -1
	s_cbranch_scc0 .LBB488_1969
; %bb.1968:
	global_store_short v[0:1], v2, off
	s_mov_b64 s[0:1], 0
.LBB488_1969:
	s_mov_b64 s[4:5], 0
.LBB488_1970:
	s_and_b64 vcc, exec, s[4:5]
	s_cbranch_vccz .LBB488_1972
; %bb.1971:
	s_cmp_lg_u32 s16, 11
	s_mov_b64 s[2:3], -1
	s_cselect_b64 s[0:1], -1, 0
.LBB488_1972:
	s_and_b64 vcc, exec, s[0:1]
	s_cbranch_vccnz .LBB488_2038
.LBB488_1973:
	s_mov_b64 s[0:1], 0
	s_branch .LBB488_1975
.LBB488_1974:
	s_mov_b64 s[0:1], 0
	s_mov_b64 s[2:3], 0
                                        ; implicit-def: $sgpr20
                                        ; implicit-def: $vgpr0_vgpr1
                                        ; implicit-def: $vgpr2
.LBB488_1975:
	s_andn2_b64 s[4:5], s[12:13], exec
	s_and_b64 s[6:7], s[14:15], exec
	s_and_b64 s[0:1], s[0:1], exec
	;; [unrolled: 1-line block ×3, first 2 shown]
	s_or_b64 s[12:13], s[4:5], s[6:7]
.LBB488_1976:
	s_or_b64 exec, exec, s[10:11]
	s_and_saveexec_b64 s[4:5], s[12:13]
	s_cbranch_execz .LBB488_1979
; %bb.1977:
	; divergent unreachable
	s_or_b64 exec, exec, s[4:5]
	s_and_saveexec_b64 s[4:5], s[2:3]
	s_xor_b64 s[2:3], exec, s[4:5]
	s_cbranch_execnz .LBB488_1980
.LBB488_1978:
	s_or_b64 exec, exec, s[2:3]
	s_and_saveexec_b64 s[2:3], s[0:1]
	s_cbranch_execnz .LBB488_1981
	s_branch .LBB488_2018
.LBB488_1979:
	s_or_b64 exec, exec, s[4:5]
	s_and_saveexec_b64 s[4:5], s[2:3]
	s_xor_b64 s[2:3], exec, s[4:5]
	s_cbranch_execz .LBB488_1978
.LBB488_1980:
	s_waitcnt vmcnt(0)
	v_and_b32_e32 v3, 0x7fff, v2
	v_cmp_ne_u16_e32 vcc, 0, v3
	s_nop 1
	v_cndmask_b32_e64 v3, 0, 1, vcc
	global_store_byte v[0:1], v3, off
	s_or_b64 exec, exec, s[2:3]
	s_and_saveexec_b64 s[2:3], s[0:1]
	s_cbranch_execz .LBB488_2018
.LBB488_1981:
	s_sext_i32_i16 s2, s20
	s_cmp_lt_i32 s2, 5
	s_mov_b64 s[0:1], -1
	s_cbranch_scc1 .LBB488_2002
; %bb.1982:
	s_cmp_lt_i32 s2, 8
	s_cbranch_scc1 .LBB488_1992
; %bb.1983:
	s_cmp_lt_i32 s2, 9
	s_cbranch_scc1 .LBB488_1989
; %bb.1984:
	s_cmp_gt_i32 s2, 9
	s_cbranch_scc0 .LBB488_1986
; %bb.1985:
	s_waitcnt vmcnt(0)
	v_lshlrev_b32_e32 v3, 16, v2
	v_mov_b32_e32 v6, 0
	v_cvt_f64_f32_e32 v[4:5], v3
	v_mov_b32_e32 v7, v6
	global_store_dwordx4 v[0:1], v[4:7], off
	s_mov_b64 s[0:1], 0
.LBB488_1986:
	s_andn2_b64 vcc, exec, s[0:1]
	s_cbranch_vccnz .LBB488_1988
; %bb.1987:
	s_waitcnt vmcnt(0)
	v_lshlrev_b32_e32 v4, 16, v2
	v_mov_b32_e32 v5, 0
	global_store_dwordx2 v[0:1], v[4:5], off
.LBB488_1988:
	s_mov_b64 s[0:1], 0
.LBB488_1989:
	s_andn2_b64 vcc, exec, s[0:1]
	s_cbranch_vccnz .LBB488_1991
; %bb.1990:
	s_waitcnt vmcnt(0)
	v_lshlrev_b32_e32 v3, 16, v2
	v_cvt_f16_f32_e32 v3, v3
	global_store_dword v[0:1], v3, off
.LBB488_1991:
	s_mov_b64 s[0:1], 0
.LBB488_1992:
	s_andn2_b64 vcc, exec, s[0:1]
	s_cbranch_vccnz .LBB488_2001
; %bb.1993:
	s_sext_i32_i16 s2, s20
	s_cmp_lt_i32 s2, 6
	s_mov_b64 s[0:1], -1
	s_cbranch_scc1 .LBB488_1999
; %bb.1994:
	s_cmp_gt_i32 s2, 6
	s_cbranch_scc0 .LBB488_1996
; %bb.1995:
	s_waitcnt vmcnt(0)
	v_lshlrev_b32_e32 v3, 16, v2
	v_cvt_f64_f32_e32 v[4:5], v3
	global_store_dwordx2 v[0:1], v[4:5], off
	s_mov_b64 s[0:1], 0
.LBB488_1996:
	s_andn2_b64 vcc, exec, s[0:1]
	s_cbranch_vccnz .LBB488_1998
; %bb.1997:
	s_waitcnt vmcnt(0)
	v_lshlrev_b32_e32 v3, 16, v2
	global_store_dword v[0:1], v3, off
.LBB488_1998:
	s_mov_b64 s[0:1], 0
.LBB488_1999:
	s_andn2_b64 vcc, exec, s[0:1]
	s_cbranch_vccnz .LBB488_2001
; %bb.2000:
	s_waitcnt vmcnt(0)
	v_lshlrev_b32_e32 v3, 16, v2
	v_cvt_f16_f32_e32 v3, v3
	global_store_short v[0:1], v3, off
.LBB488_2001:
	s_mov_b64 s[0:1], 0
.LBB488_2002:
	s_andn2_b64 vcc, exec, s[0:1]
	s_cbranch_vccnz .LBB488_2018
; %bb.2003:
	s_sext_i32_i16 s2, s20
	s_cmp_lt_i32 s2, 2
	s_mov_b64 s[0:1], -1
	s_cbranch_scc1 .LBB488_2013
; %bb.2004:
	s_cmp_lt_i32 s2, 3
	s_cbranch_scc1 .LBB488_2010
; %bb.2005:
	s_cmp_gt_i32 s2, 3
	s_cbranch_scc0 .LBB488_2007
; %bb.2006:
	s_waitcnt vmcnt(0)
	v_lshlrev_b32_e32 v3, 16, v2
	v_trunc_f32_e32 v3, v3
	s_mov_b32 s0, 0x2f800000
	v_mul_f32_e64 v4, |v3|, s0
	v_floor_f32_e32 v4, v4
	s_mov_b32 s0, 0xcf800000
	v_cvt_u32_f32_e32 v5, v4
	v_fma_f32 v4, v4, s0, |v3|
	v_cvt_u32_f32_e32 v4, v4
	v_ashrrev_i32_e32 v3, 31, v3
	v_xor_b32_e32 v5, v5, v3
	s_mov_b64 s[0:1], 0
	v_xor_b32_e32 v4, v4, v3
	v_sub_co_u32_e32 v4, vcc, v4, v3
	s_nop 1
	v_subb_co_u32_e32 v5, vcc, v5, v3, vcc
	global_store_dwordx2 v[0:1], v[4:5], off
.LBB488_2007:
	s_andn2_b64 vcc, exec, s[0:1]
	s_cbranch_vccnz .LBB488_2009
; %bb.2008:
	s_waitcnt vmcnt(0)
	v_lshlrev_b32_e32 v3, 16, v2
	v_cvt_i32_f32_e32 v3, v3
	global_store_dword v[0:1], v3, off
.LBB488_2009:
	s_mov_b64 s[0:1], 0
.LBB488_2010:
	s_andn2_b64 vcc, exec, s[0:1]
	s_cbranch_vccnz .LBB488_2012
; %bb.2011:
	s_waitcnt vmcnt(0)
	v_lshlrev_b32_e32 v3, 16, v2
	v_cvt_i32_f32_e32 v3, v3
	global_store_short v[0:1], v3, off
.LBB488_2012:
	s_mov_b64 s[0:1], 0
.LBB488_2013:
	s_andn2_b64 vcc, exec, s[0:1]
	s_cbranch_vccnz .LBB488_2018
; %bb.2014:
	s_sext_i32_i16 s2, s20
	s_mov_b64 s[0:1], -1
	s_cmp_gt_i32 s2, 0
	s_waitcnt vmcnt(0)
	v_lshlrev_b32_e32 v2, 16, v2
	s_cbranch_scc0 .LBB488_2016
; %bb.2015:
	v_cvt_i32_f32_e32 v3, v2
	s_mov_b64 s[0:1], 0
	global_store_byte v[0:1], v3, off
.LBB488_2016:
	s_andn2_b64 vcc, exec, s[0:1]
	s_cbranch_vccnz .LBB488_2018
; %bb.2017:
	v_trunc_f32_e32 v2, v2
	s_mov_b32 s0, 0x2f800000
	v_mul_f32_e64 v3, |v2|, s0
	v_floor_f32_e32 v3, v3
	s_mov_b32 s0, 0xcf800000
	v_fma_f32 v3, v3, s0, |v2|
	v_cvt_u32_f32_e32 v3, v3
	v_ashrrev_i32_e32 v2, 31, v2
	v_xor_b32_e32 v3, v3, v2
	v_sub_u32_e32 v2, v3, v2
	global_store_byte v[0:1], v2, off
	s_endpgm
.LBB488_2018:
	s_endpgm
.LBB488_2019:
	s_mov_b64 s[2:3], 0
	s_mov_b64 s[0:1], -1
	s_branch .LBB488_1975
.LBB488_2020:
	s_trap 2
	s_or_b64 s[14:15], s[14:15], exec
	s_cbranch_execz .LBB488_1489
	s_branch .LBB488_1490
.LBB488_2021:
	s_andn2_saveexec_b64 s[18:19], s[18:19]
	s_cbranch_execz .LBB488_1569
.LBB488_2022:
	s_mov_b32 s22, 0x46000000
	v_add_f32_e64 v4, |v9|, s22
	v_and_b32_e32 v4, 0xff, v4
	v_cmp_ne_u32_e32 vcc, 0, v4
	s_andn2_b64 s[16:17], s[16:17], exec
	s_and_b64 s[22:23], vcc, exec
	s_or_b64 s[16:17], s[16:17], s[22:23]
	s_or_b64 exec, exec, s[18:19]
	v_mov_b32_e32 v10, 0
	s_and_saveexec_b64 s[18:19], s[16:17]
	s_cbranch_execnz .LBB488_1570
	s_branch .LBB488_1571
.LBB488_2023:
	s_trap 2
	s_or_b64 s[14:15], s[14:15], exec
	s_cbranch_execz .LBB488_1617
	s_branch .LBB488_1618
.LBB488_2024:
	s_andn2_saveexec_b64 s[16:17], s[16:17]
	s_cbranch_execz .LBB488_1582
.LBB488_2025:
	s_mov_b32 s18, 0x42800000
	v_add_f32_e64 v4, |v9|, s18
	v_and_b32_e32 v4, 0xff, v4
	v_cmp_ne_u32_e32 vcc, 0, v4
	s_andn2_b64 s[6:7], s[6:7], exec
	s_and_b64 s[18:19], vcc, exec
	s_or_b64 s[6:7], s[6:7], s[18:19]
	s_or_b64 exec, exec, s[16:17]
	v_mov_b32_e32 v10, 0
	s_and_saveexec_b64 s[16:17], s[6:7]
	s_cbranch_execnz .LBB488_1583
	s_branch .LBB488_1584
.LBB488_2026:
	s_andn2_saveexec_b64 s[16:17], s[16:17]
	s_cbranch_execz .LBB488_1688
.LBB488_2027:
	s_mov_b32 s22, 0x46000000
	v_add_f32_e64 v5, |v6|, s22
	v_and_b32_e32 v5, 0xff, v5
	v_cmp_ne_u32_e32 vcc, 0, v5
	s_andn2_b64 s[8:9], s[8:9], exec
	s_and_b64 s[22:23], vcc, exec
	s_or_b64 s[8:9], s[8:9], s[22:23]
	s_or_b64 exec, exec, s[16:17]
	v_mov_b32_e32 v9, 0
	s_and_saveexec_b64 s[16:17], s[8:9]
	s_cbranch_execnz .LBB488_1689
	s_branch .LBB488_1690
.LBB488_2028:
	s_trap 2
	s_or_b64 s[14:15], s[14:15], exec
	s_cbranch_execz .LBB488_1736
	s_branch .LBB488_1737
.LBB488_2029:
	s_andn2_saveexec_b64 s[8:9], s[8:9]
	s_cbranch_execz .LBB488_1701
.LBB488_2030:
	s_mov_b32 s16, 0x42800000
	v_add_f32_e64 v5, |v6|, s16
	v_and_b32_e32 v5, 0xff, v5
	v_cmp_ne_u32_e32 vcc, 0, v5
	s_andn2_b64 s[6:7], s[6:7], exec
	s_and_b64 s[16:17], vcc, exec
	s_or_b64 s[6:7], s[6:7], s[16:17]
	s_or_b64 exec, exec, s[8:9]
	v_mov_b32_e32 v9, 0
	s_and_saveexec_b64 s[8:9], s[6:7]
	s_cbranch_execnz .LBB488_1702
	s_branch .LBB488_1703
.LBB488_2031:
	s_andn2_saveexec_b64 s[16:17], s[16:17]
	s_cbranch_execz .LBB488_1807
.LBB488_2032:
	s_mov_b32 s22, 0x46000000
	v_add_f32_e64 v5, |v6|, s22
	v_and_b32_e32 v5, 0xff, v5
	v_cmp_ne_u32_e32 vcc, 0, v5
	s_andn2_b64 s[8:9], s[8:9], exec
	s_and_b64 s[22:23], vcc, exec
	s_or_b64 s[8:9], s[8:9], s[22:23]
	s_or_b64 exec, exec, s[16:17]
	v_mov_b32_e32 v7, 0
	s_and_saveexec_b64 s[16:17], s[8:9]
	s_cbranch_execnz .LBB488_1808
	s_branch .LBB488_1809
.LBB488_2033:
	s_trap 2
	s_or_b64 s[14:15], s[14:15], exec
	s_cbranch_execz .LBB488_1855
	s_branch .LBB488_1856
.LBB488_2034:
	s_andn2_saveexec_b64 s[8:9], s[8:9]
	s_cbranch_execz .LBB488_1820
.LBB488_2035:
	s_mov_b32 s16, 0x42800000
	v_add_f32_e64 v5, |v6|, s16
	v_and_b32_e32 v5, 0xff, v5
	v_cmp_ne_u32_e32 vcc, 0, v5
	s_andn2_b64 s[6:7], s[6:7], exec
	s_and_b64 s[16:17], vcc, exec
	s_or_b64 s[6:7], s[6:7], s[16:17]
	s_or_b64 exec, exec, s[8:9]
	v_mov_b32_e32 v7, 0
	s_and_saveexec_b64 s[8:9], s[6:7]
	s_cbranch_execnz .LBB488_1821
	s_branch .LBB488_1822
.LBB488_2036:
	s_andn2_saveexec_b64 s[8:9], s[8:9]
	s_cbranch_execz .LBB488_1927
.LBB488_2037:
	s_mov_b32 s17, 0x46000000
	v_add_f32_e64 v4, |v5|, s17
	v_and_b32_e32 v4, 0xff, v4
	v_cmp_ne_u32_e32 vcc, 0, v4
	s_andn2_b64 s[6:7], s[6:7], exec
	s_and_b64 s[18:19], vcc, exec
	s_or_b64 s[6:7], s[6:7], s[18:19]
	s_or_b64 exec, exec, s[8:9]
	v_mov_b32_e32 v6, 0
	s_and_saveexec_b64 s[8:9], s[6:7]
	s_cbranch_execnz .LBB488_1928
	s_branch .LBB488_1929
.LBB488_2038:
	s_mov_b64 s[2:3], 0
	s_or_b64 s[14:15], s[14:15], exec
	s_trap 2
	s_branch .LBB488_1973
.LBB488_2039:
	s_andn2_saveexec_b64 s[6:7], s[6:7]
	s_cbranch_execz .LBB488_1939
.LBB488_2040:
	s_mov_b32 s8, 0x42800000
	v_add_f32_e64 v4, |v5|, s8
	v_and_b32_e32 v4, 0xff, v4
	v_cmp_ne_u32_e32 vcc, 0, v4
	s_andn2_b64 s[4:5], s[4:5], exec
	s_and_b64 s[8:9], vcc, exec
	s_or_b64 s[4:5], s[4:5], s[8:9]
	s_or_b64 exec, exec, s[6:7]
	v_mov_b32_e32 v6, 0
	s_and_saveexec_b64 s[6:7], s[4:5]
	s_cbranch_execnz .LBB488_1940
	s_branch .LBB488_1941
	.section	.rodata,"a",@progbits
	.p2align	6, 0x0
	.amdhsa_kernel _ZN2at6native32elementwise_kernel_manual_unrollILi128ELi4EZNS0_15gpu_kernel_implIZZZNS0_21clamp_max_kernel_cudaERNS_18TensorIteratorBaseERKN3c106ScalarEENKUlvE_clEvENKUlvE7_clEvEUlNS5_8BFloat16EE_EEvS4_RKT_EUlibE_EEviT1_
		.amdhsa_group_segment_fixed_size 0
		.amdhsa_private_segment_fixed_size 0
		.amdhsa_kernarg_size 40
		.amdhsa_user_sgpr_count 2
		.amdhsa_user_sgpr_dispatch_ptr 0
		.amdhsa_user_sgpr_queue_ptr 0
		.amdhsa_user_sgpr_kernarg_segment_ptr 1
		.amdhsa_user_sgpr_dispatch_id 0
		.amdhsa_user_sgpr_kernarg_preload_length 0
		.amdhsa_user_sgpr_kernarg_preload_offset 0
		.amdhsa_user_sgpr_private_segment_size 0
		.amdhsa_uses_dynamic_stack 0
		.amdhsa_enable_private_segment 0
		.amdhsa_system_sgpr_workgroup_id_x 1
		.amdhsa_system_sgpr_workgroup_id_y 0
		.amdhsa_system_sgpr_workgroup_id_z 0
		.amdhsa_system_sgpr_workgroup_info 0
		.amdhsa_system_vgpr_workitem_id 0
		.amdhsa_next_free_vgpr 14
		.amdhsa_next_free_sgpr 46
		.amdhsa_accum_offset 16
		.amdhsa_reserve_vcc 1
		.amdhsa_float_round_mode_32 0
		.amdhsa_float_round_mode_16_64 0
		.amdhsa_float_denorm_mode_32 3
		.amdhsa_float_denorm_mode_16_64 3
		.amdhsa_dx10_clamp 1
		.amdhsa_ieee_mode 1
		.amdhsa_fp16_overflow 0
		.amdhsa_tg_split 0
		.amdhsa_exception_fp_ieee_invalid_op 0
		.amdhsa_exception_fp_denorm_src 0
		.amdhsa_exception_fp_ieee_div_zero 0
		.amdhsa_exception_fp_ieee_overflow 0
		.amdhsa_exception_fp_ieee_underflow 0
		.amdhsa_exception_fp_ieee_inexact 0
		.amdhsa_exception_int_div_zero 0
	.end_amdhsa_kernel
	.section	.text._ZN2at6native32elementwise_kernel_manual_unrollILi128ELi4EZNS0_15gpu_kernel_implIZZZNS0_21clamp_max_kernel_cudaERNS_18TensorIteratorBaseERKN3c106ScalarEENKUlvE_clEvENKUlvE7_clEvEUlNS5_8BFloat16EE_EEvS4_RKT_EUlibE_EEviT1_,"axG",@progbits,_ZN2at6native32elementwise_kernel_manual_unrollILi128ELi4EZNS0_15gpu_kernel_implIZZZNS0_21clamp_max_kernel_cudaERNS_18TensorIteratorBaseERKN3c106ScalarEENKUlvE_clEvENKUlvE7_clEvEUlNS5_8BFloat16EE_EEvS4_RKT_EUlibE_EEviT1_,comdat
.Lfunc_end488:
	.size	_ZN2at6native32elementwise_kernel_manual_unrollILi128ELi4EZNS0_15gpu_kernel_implIZZZNS0_21clamp_max_kernel_cudaERNS_18TensorIteratorBaseERKN3c106ScalarEENKUlvE_clEvENKUlvE7_clEvEUlNS5_8BFloat16EE_EEvS4_RKT_EUlibE_EEviT1_, .Lfunc_end488-_ZN2at6native32elementwise_kernel_manual_unrollILi128ELi4EZNS0_15gpu_kernel_implIZZZNS0_21clamp_max_kernel_cudaERNS_18TensorIteratorBaseERKN3c106ScalarEENKUlvE_clEvENKUlvE7_clEvEUlNS5_8BFloat16EE_EEvS4_RKT_EUlibE_EEviT1_
                                        ; -- End function
	.set _ZN2at6native32elementwise_kernel_manual_unrollILi128ELi4EZNS0_15gpu_kernel_implIZZZNS0_21clamp_max_kernel_cudaERNS_18TensorIteratorBaseERKN3c106ScalarEENKUlvE_clEvENKUlvE7_clEvEUlNS5_8BFloat16EE_EEvS4_RKT_EUlibE_EEviT1_.num_vgpr, 14
	.set _ZN2at6native32elementwise_kernel_manual_unrollILi128ELi4EZNS0_15gpu_kernel_implIZZZNS0_21clamp_max_kernel_cudaERNS_18TensorIteratorBaseERKN3c106ScalarEENKUlvE_clEvENKUlvE7_clEvEUlNS5_8BFloat16EE_EEvS4_RKT_EUlibE_EEviT1_.num_agpr, 0
	.set _ZN2at6native32elementwise_kernel_manual_unrollILi128ELi4EZNS0_15gpu_kernel_implIZZZNS0_21clamp_max_kernel_cudaERNS_18TensorIteratorBaseERKN3c106ScalarEENKUlvE_clEvENKUlvE7_clEvEUlNS5_8BFloat16EE_EEvS4_RKT_EUlibE_EEviT1_.numbered_sgpr, 46
	.set _ZN2at6native32elementwise_kernel_manual_unrollILi128ELi4EZNS0_15gpu_kernel_implIZZZNS0_21clamp_max_kernel_cudaERNS_18TensorIteratorBaseERKN3c106ScalarEENKUlvE_clEvENKUlvE7_clEvEUlNS5_8BFloat16EE_EEvS4_RKT_EUlibE_EEviT1_.num_named_barrier, 0
	.set _ZN2at6native32elementwise_kernel_manual_unrollILi128ELi4EZNS0_15gpu_kernel_implIZZZNS0_21clamp_max_kernel_cudaERNS_18TensorIteratorBaseERKN3c106ScalarEENKUlvE_clEvENKUlvE7_clEvEUlNS5_8BFloat16EE_EEvS4_RKT_EUlibE_EEviT1_.private_seg_size, 0
	.set _ZN2at6native32elementwise_kernel_manual_unrollILi128ELi4EZNS0_15gpu_kernel_implIZZZNS0_21clamp_max_kernel_cudaERNS_18TensorIteratorBaseERKN3c106ScalarEENKUlvE_clEvENKUlvE7_clEvEUlNS5_8BFloat16EE_EEvS4_RKT_EUlibE_EEviT1_.uses_vcc, 1
	.set _ZN2at6native32elementwise_kernel_manual_unrollILi128ELi4EZNS0_15gpu_kernel_implIZZZNS0_21clamp_max_kernel_cudaERNS_18TensorIteratorBaseERKN3c106ScalarEENKUlvE_clEvENKUlvE7_clEvEUlNS5_8BFloat16EE_EEvS4_RKT_EUlibE_EEviT1_.uses_flat_scratch, 0
	.set _ZN2at6native32elementwise_kernel_manual_unrollILi128ELi4EZNS0_15gpu_kernel_implIZZZNS0_21clamp_max_kernel_cudaERNS_18TensorIteratorBaseERKN3c106ScalarEENKUlvE_clEvENKUlvE7_clEvEUlNS5_8BFloat16EE_EEvS4_RKT_EUlibE_EEviT1_.has_dyn_sized_stack, 0
	.set _ZN2at6native32elementwise_kernel_manual_unrollILi128ELi4EZNS0_15gpu_kernel_implIZZZNS0_21clamp_max_kernel_cudaERNS_18TensorIteratorBaseERKN3c106ScalarEENKUlvE_clEvENKUlvE7_clEvEUlNS5_8BFloat16EE_EEvS4_RKT_EUlibE_EEviT1_.has_recursion, 0
	.set _ZN2at6native32elementwise_kernel_manual_unrollILi128ELi4EZNS0_15gpu_kernel_implIZZZNS0_21clamp_max_kernel_cudaERNS_18TensorIteratorBaseERKN3c106ScalarEENKUlvE_clEvENKUlvE7_clEvEUlNS5_8BFloat16EE_EEvS4_RKT_EUlibE_EEviT1_.has_indirect_call, 0
	.section	.AMDGPU.csdata,"",@progbits
; Kernel info:
; codeLenInByte = 38320
; TotalNumSgprs: 52
; NumVgprs: 14
; NumAgprs: 0
; TotalNumVgprs: 14
; ScratchSize: 0
; MemoryBound: 0
; FloatMode: 240
; IeeeMode: 1
; LDSByteSize: 0 bytes/workgroup (compile time only)
; SGPRBlocks: 6
; VGPRBlocks: 1
; NumSGPRsForWavesPerEU: 52
; NumVGPRsForWavesPerEU: 14
; AccumOffset: 16
; Occupancy: 8
; WaveLimiterHint : 0
; COMPUTE_PGM_RSRC2:SCRATCH_EN: 0
; COMPUTE_PGM_RSRC2:USER_SGPR: 2
; COMPUTE_PGM_RSRC2:TRAP_HANDLER: 0
; COMPUTE_PGM_RSRC2:TGID_X_EN: 1
; COMPUTE_PGM_RSRC2:TGID_Y_EN: 0
; COMPUTE_PGM_RSRC2:TGID_Z_EN: 0
; COMPUTE_PGM_RSRC2:TIDIG_COMP_CNT: 0
; COMPUTE_PGM_RSRC3_GFX90A:ACCUM_OFFSET: 3
; COMPUTE_PGM_RSRC3_GFX90A:TG_SPLIT: 0
	.section	.text._ZN2at6native32elementwise_kernel_manual_unrollILi128ELi4EZNS0_15gpu_kernel_implIZZZNS0_21clamp_max_kernel_cudaERNS_18TensorIteratorBaseERKN3c106ScalarEENKUlvE_clEvENKUlvE7_clEvEUlNS5_8BFloat16EE_EEvS4_RKT_EUlibE0_EEviT1_,"axG",@progbits,_ZN2at6native32elementwise_kernel_manual_unrollILi128ELi4EZNS0_15gpu_kernel_implIZZZNS0_21clamp_max_kernel_cudaERNS_18TensorIteratorBaseERKN3c106ScalarEENKUlvE_clEvENKUlvE7_clEvEUlNS5_8BFloat16EE_EEvS4_RKT_EUlibE0_EEviT1_,comdat
	.globl	_ZN2at6native32elementwise_kernel_manual_unrollILi128ELi4EZNS0_15gpu_kernel_implIZZZNS0_21clamp_max_kernel_cudaERNS_18TensorIteratorBaseERKN3c106ScalarEENKUlvE_clEvENKUlvE7_clEvEUlNS5_8BFloat16EE_EEvS4_RKT_EUlibE0_EEviT1_ ; -- Begin function _ZN2at6native32elementwise_kernel_manual_unrollILi128ELi4EZNS0_15gpu_kernel_implIZZZNS0_21clamp_max_kernel_cudaERNS_18TensorIteratorBaseERKN3c106ScalarEENKUlvE_clEvENKUlvE7_clEvEUlNS5_8BFloat16EE_EEvS4_RKT_EUlibE0_EEviT1_
	.p2align	8
	.type	_ZN2at6native32elementwise_kernel_manual_unrollILi128ELi4EZNS0_15gpu_kernel_implIZZZNS0_21clamp_max_kernel_cudaERNS_18TensorIteratorBaseERKN3c106ScalarEENKUlvE_clEvENKUlvE7_clEvEUlNS5_8BFloat16EE_EEvS4_RKT_EUlibE0_EEviT1_,@function
_ZN2at6native32elementwise_kernel_manual_unrollILi128ELi4EZNS0_15gpu_kernel_implIZZZNS0_21clamp_max_kernel_cudaERNS_18TensorIteratorBaseERKN3c106ScalarEENKUlvE_clEvENKUlvE7_clEvEUlNS5_8BFloat16EE_EEvS4_RKT_EUlibE0_EEviT1_: ; @_ZN2at6native32elementwise_kernel_manual_unrollILi128ELi4EZNS0_15gpu_kernel_implIZZZNS0_21clamp_max_kernel_cudaERNS_18TensorIteratorBaseERKN3c106ScalarEENKUlvE_clEvENKUlvE7_clEvEUlNS5_8BFloat16EE_EEvS4_RKT_EUlibE0_EEviT1_
; %bb.0:
	s_load_dword s70, s[0:1], 0x0
	s_load_dword s33, s[0:1], 0x8
	s_add_u32 s34, s0, 8
	s_addc_u32 s35, s1, 0
	v_lshl_or_b32 v8, s2, 9, v0
	v_or_b32_e32 v16, 0x180, v8
	s_waitcnt lgkmcnt(0)
	s_add_i32 s72, s33, -1
	s_cmp_gt_u32 s72, 1
	v_cmp_le_i32_e32 vcc, s70, v16
	s_cselect_b64 s[42:43], -1, 0
	s_mov_b64 s[40:41], 0
	s_mov_b64 s[24:25], 0
	s_and_saveexec_b64 s[2:3], vcc
	s_xor_b64 s[44:45], exec, s[2:3]
	s_cbranch_execz .LBB489_1090
; %bb.1:
	s_load_dwordx4 s[24:27], s[34:35], 0x4
	s_load_dwordx2 s[46:47], s[34:35], 0x14
	s_load_dword s74, s[34:35], 0x158
	s_load_dword s2, s[0:1], 0x160
	s_cmp_lg_u32 s33, 0
	s_load_dwordx4 s[28:31], s[34:35], 0xc4
	s_load_dwordx4 s[20:23], s[34:35], 0x148
	s_cselect_b64 s[52:53], -1, 0
	s_add_u32 s50, s34, 0xc4
	s_addc_u32 s51, s35, 0
	s_min_u32 s77, s72, 15
	s_cmp_gt_u32 s33, 1
	s_cselect_b64 s[48:49], -1, 0
	s_waitcnt lgkmcnt(0)
	s_lshr_b32 s73, s2, 16
	s_lshr_b32 s76, s2, 24
	s_lshl_b32 s75, s74, 16
	v_cmp_gt_i32_e32 vcc, s70, v8
	s_mov_b64 s[4:5], -1
	s_mov_b64 s[62:63], 0
	s_mov_b64 s[56:57], 0
	;; [unrolled: 1-line block ×3, first 2 shown]
	s_and_saveexec_b64 s[58:59], vcc
	s_cbranch_execz .LBB489_267
; %bb.2:
	s_andn2_b64 vcc, exec, s[42:43]
	s_cbranch_vccnz .LBB489_8
; %bb.3:
	s_andn2_b64 vcc, exec, s[52:53]
	s_cbranch_vccnz .LBB489_9
; %bb.4:
	s_add_i32 s57, s77, 1
	s_cmp_eq_u32 s72, 2
	s_cbranch_scc1 .LBB489_10
; %bb.5:
	s_and_b32 s56, s57, 28
	s_mov_b32 s60, 0
	v_mov_b32_e32 v0, 0
	v_mov_b32_e32 v2, 0
	s_mov_b64 s[2:3], s[34:35]
	s_mov_b64 s[54:55], s[50:51]
	v_mov_b32_e32 v4, v8
.LBB489_6:                              ; =>This Inner Loop Header: Depth=1
	s_load_dwordx8 s[12:19], s[2:3], 0x4
	s_load_dwordx4 s[36:39], s[2:3], 0x24
	s_load_dwordx8 s[4:11], s[54:55], 0x0
	s_add_u32 s2, s2, 48
	s_addc_u32 s3, s3, 0
	s_waitcnt lgkmcnt(0)
	v_mul_hi_u32 v1, s13, v4
	v_add_u32_e32 v1, v4, v1
	v_lshrrev_b32_e32 v1, s14, v1
	v_mul_lo_u32 v3, v1, s12
	v_mul_hi_u32 v5, s16, v1
	v_sub_u32_e32 v3, v4, v3
	v_add_u32_e32 v4, v1, v5
	v_lshrrev_b32_e32 v4, s17, v4
	v_mul_lo_u32 v6, v4, s15
	v_mul_hi_u32 v7, s19, v4
	v_sub_u32_e32 v1, v1, v6
	v_add_u32_e32 v6, v4, v7
	v_mul_lo_u32 v5, v3, s5
	v_mul_lo_u32 v3, v3, s4
	;; [unrolled: 1-line block ×4, first 2 shown]
	v_lshrrev_b32_e32 v6, s36, v6
	v_add3_u32 v0, v3, v0, v1
	v_mul_hi_u32 v3, s38, v6
	v_add3_u32 v1, v5, v2, v7
	v_mul_lo_u32 v2, v6, s18
	v_add_u32_e32 v3, v6, v3
	v_sub_u32_e32 v2, v4, v2
	v_lshrrev_b32_e32 v4, s39, v3
	s_add_i32 s60, s60, 4
	v_mul_lo_u32 v3, v4, s37
	s_add_u32 s54, s54, 32
	v_sub_u32_e32 v3, v6, v3
	s_addc_u32 s55, s55, 0
	v_mul_lo_u32 v5, v2, s8
	v_mul_lo_u32 v2, v2, s9
	;; [unrolled: 1-line block ×4, first 2 shown]
	s_cmp_lg_u32 s56, s60
	v_add3_u32 v2, v2, v1, v3
	v_add3_u32 v0, v5, v0, v6
	s_cbranch_scc1 .LBB489_6
; %bb.7:
	v_mov_b32_e32 v1, v2
	s_branch .LBB489_11
.LBB489_8:
                                        ; implicit-def: $vgpr2
                                        ; implicit-def: $vgpr0
	s_branch .LBB489_15
.LBB489_9:
	v_mov_b32_e32 v2, 0
	v_mov_b32_e32 v0, 0
	s_branch .LBB489_14
.LBB489_10:
	v_mov_b32_e32 v0, 0
	s_mov_b32 s56, 0
	v_mov_b32_e32 v1, v0
                                        ; implicit-def: $vgpr2
	v_mov_b32_e32 v4, v8
.LBB489_11:
	s_and_b32 s6, s57, 3
	s_cmp_eq_u32 s6, 0
	s_cbranch_scc1 .LBB489_14
; %bb.12:
	s_lshl_b32 s2, s56, 3
	s_add_u32 s2, s34, s2
	s_addc_u32 s3, s35, 0
	s_add_u32 s2, s2, 0xc4
	s_addc_u32 s3, s3, 0
	s_mul_i32 s4, s56, 12
	s_add_u32 s4, s34, s4
	s_addc_u32 s5, s35, 0
.LBB489_13:                             ; =>This Inner Loop Header: Depth=1
	s_load_dwordx2 s[8:9], s[4:5], 0x4
	s_load_dword s7, s[4:5], 0xc
	s_load_dwordx2 s[10:11], s[2:3], 0x0
	v_mov_b32_e32 v2, v1
	s_add_u32 s4, s4, 12
	s_waitcnt lgkmcnt(0)
	v_mul_hi_u32 v1, s9, v4
	v_add_u32_e32 v1, v4, v1
	v_lshrrev_b32_e32 v1, s7, v1
	s_addc_u32 s5, s5, 0
	v_mul_lo_u32 v3, v1, s8
	s_add_u32 s2, s2, 8
	v_sub_u32_e32 v5, v4, v3
	s_addc_u32 s3, s3, 0
	s_add_i32 s6, s6, -1
	v_mov_b32_e32 v4, v1
	v_mad_u64_u32 v[2:3], s[8:9], v5, s11, v[2:3]
	v_mad_u64_u32 v[0:1], s[8:9], v5, s10, v[0:1]
	s_cmp_lg_u32 s6, 0
	v_mov_b32_e32 v1, v2
	s_cbranch_scc1 .LBB489_13
.LBB489_14:
	s_cbranch_execnz .LBB489_17
.LBB489_15:
	v_mul_hi_u32 v0, s25, v8
	v_add_u32_e32 v0, v8, v0
	v_lshrrev_b32_e32 v1, s26, v0
	v_mul_lo_u32 v0, v1, s24
	v_sub_u32_e32 v0, v8, v0
	v_mul_lo_u32 v2, v0, s29
	s_andn2_b64 vcc, exec, s[48:49]
	v_mul_lo_u32 v0, v0, s28
	s_cbranch_vccnz .LBB489_17
; %bb.16:
	v_mul_hi_u32 v3, s46, v1
	v_add_u32_e32 v3, v1, v3
	v_lshrrev_b32_e32 v3, s47, v3
	v_mul_lo_u32 v3, v3, s27
	v_sub_u32_e32 v3, v1, v3
	v_mad_u64_u32 v[0:1], s[2:3], v3, s30, v[0:1]
	v_mad_u64_u32 v[2:3], s[2:3], v3, s31, v[2:3]
.LBB489_17:
	v_mov_b32_e32 v3, 0
	s_and_b32 s10, 0xffff, s76
	s_cmp_lt_i32 s10, 11
	v_lshl_add_u64 v[2:3], s[22:23], 0, v[2:3]
	s_cbranch_scc1 .LBB489_24
; %bb.18:
	s_cmp_gt_i32 s10, 25
	s_cbranch_scc0 .LBB489_33
; %bb.19:
	s_cmp_gt_i32 s10, 28
	s_cbranch_scc0 .LBB489_36
	;; [unrolled: 3-line block ×4, first 2 shown]
; %bb.22:
	s_cmp_eq_u32 s10, 46
	s_mov_b64 s[6:7], 0
	s_cbranch_scc0 .LBB489_42
; %bb.23:
	global_load_dword v1, v[2:3], off
	s_mov_b64 s[2:3], -1
	s_mov_b64 s[4:5], 0
	s_branch .LBB489_44
.LBB489_24:
	s_mov_b64 s[4:5], 0
                                        ; implicit-def: $vgpr1
	s_mov_b64 s[2:3], 0
	s_cbranch_execnz .LBB489_217
.LBB489_25:
	s_andn2_b64 vcc, exec, s[2:3]
	s_cbranch_vccnz .LBB489_264
.LBB489_26:
	s_waitcnt vmcnt(0)
	v_lshlrev_b32_e32 v2, 16, v1
	v_cmp_u_f32_e32 vcc, v2, v2
	v_cmp_gt_f32_e64 s[2:3], s75, v2
	v_mov_b32_e32 v2, s74
	s_or_b64 vcc, vcc, s[2:3]
	v_cndmask_b32_e32 v2, v2, v1, vcc
	v_mov_b32_e32 v1, 0
	s_and_b32 s12, s73, 0xff
	s_cmp_lt_i32 s12, 11
	v_lshl_add_u64 v[0:1], s[20:21], 0, v[0:1]
	s_cbranch_scc1 .LBB489_34
; %bb.27:
	s_and_b32 s13, 0xffff, s12
	s_cmp_gt_i32 s13, 25
	s_cbranch_scc0 .LBB489_37
; %bb.28:
	s_cmp_gt_i32 s13, 28
	s_cbranch_scc0 .LBB489_39
; %bb.29:
	;; [unrolled: 3-line block ×4, first 2 shown]
	s_mov_b64 s[8:9], 0
	s_mov_b64 s[2:3], -1
	s_cmp_eq_u32 s13, 46
	s_mov_b64 s[6:7], 0
	s_cbranch_scc0 .LBB489_48
; %bb.32:
	v_and_b32_e32 v3, 0xffff, v2
	global_store_dword v[0:1], v3, off
	s_mov_b64 s[6:7], -1
	s_mov_b64 s[2:3], 0
	s_branch .LBB489_48
.LBB489_33:
	s_mov_b64 s[4:5], 0
	s_mov_b64 s[2:3], 0
                                        ; implicit-def: $vgpr1
	s_cbranch_execnz .LBB489_182
	s_branch .LBB489_216
.LBB489_34:
	s_mov_b64 s[2:3], 0
	s_mov_b64 s[6:7], 0
	s_cbranch_execnz .LBB489_117
.LBB489_35:
	s_andn2_b64 vcc, exec, s[6:7]
	s_cbranch_vccnz .LBB489_265
	s_branch .LBB489_155
.LBB489_36:
	s_mov_b64 s[6:7], -1
	s_mov_b64 s[4:5], 0
	s_mov_b64 s[2:3], 0
                                        ; implicit-def: $vgpr1
	s_branch .LBB489_163
.LBB489_37:
	s_mov_b64 s[8:9], -1
	s_mov_b64 s[2:3], 0
	s_mov_b64 s[6:7], 0
	s_branch .LBB489_75
.LBB489_38:
	s_mov_b64 s[6:7], -1
	s_mov_b64 s[4:5], 0
	s_mov_b64 s[2:3], 0
                                        ; implicit-def: $vgpr1
	s_branch .LBB489_158
.LBB489_39:
	s_mov_b64 s[8:9], -1
	s_mov_b64 s[2:3], 0
	s_mov_b64 s[6:7], 0
	s_branch .LBB489_58
.LBB489_40:
	s_mov_b64 s[6:7], -1
	s_mov_b64 s[4:5], 0
	s_branch .LBB489_43
.LBB489_41:
	s_mov_b64 s[8:9], -1
	s_mov_b64 s[2:3], 0
	s_mov_b64 s[6:7], 0
	s_branch .LBB489_54
.LBB489_42:
	s_mov_b64 s[4:5], -1
.LBB489_43:
	s_mov_b64 s[2:3], 0
                                        ; implicit-def: $vgpr1
.LBB489_44:
	s_and_b64 vcc, exec, s[6:7]
	s_cbranch_vccz .LBB489_157
; %bb.45:
	s_cmp_eq_u32 s10, 44
	s_cbranch_scc0 .LBB489_156
; %bb.46:
	global_load_ubyte v1, v[2:3], off
	s_movk_i32 s4, 0xff
	v_mov_b32_e32 v4, 0x7f800001
	v_mov_b32_e32 v5, 0x400000
	;; [unrolled: 1-line block ×3, first 2 shown]
	s_mov_b64 s[2:3], -1
	s_waitcnt vmcnt(0)
	v_lshlrev_b32_e32 v7, 23, v1
	v_cmp_ne_u32_e32 vcc, s4, v1
	s_mov_b64 s[4:5], 0
	s_nop 0
	v_cndmask_b32_e32 v4, v4, v7, vcc
	v_cmp_ne_u32_e32 vcc, 0, v1
	s_nop 1
	v_cndmask_b32_e32 v1, v5, v4, vcc
	v_add_u32_e32 v4, 0x7fff, v1
	v_cmp_o_f32_e32 vcc, v1, v1
	s_nop 1
	v_cndmask_b32_sdwa v1, v6, v4, vcc dst_sel:DWORD dst_unused:UNUSED_PAD src0_sel:DWORD src1_sel:WORD_1
	s_branch .LBB489_157
.LBB489_47:
	s_mov_b64 s[8:9], -1
	s_mov_b64 s[2:3], 0
	s_mov_b64 s[6:7], 0
.LBB489_48:
	s_and_b64 vcc, exec, s[8:9]
	s_cbranch_vccz .LBB489_53
; %bb.49:
	s_cmp_eq_u32 s13, 44
	s_mov_b64 s[2:3], -1
	s_cbranch_scc0 .LBB489_53
; %bb.50:
	v_and_b32_e32 v4, 0xffff, v2
	v_bfe_u32 v3, v4, 7, 8
	s_movk_i32 s2, 0xff
	v_cmp_ne_u32_e32 vcc, s2, v3
	v_mov_b32_e32 v5, 0xff
	s_and_saveexec_b64 s[6:7], vcc
	s_cbranch_execz .LBB489_52
; %bb.51:
	v_lshlrev_b32_e32 v6, 16, v4
	s_mov_b32 s2, 0x3f0000
	v_lshrrev_b32_e32 v5, 7, v4
	v_and_b32_e32 v4, 64, v4
	v_and_or_b32 v3, v6, s2, v3
	v_cmp_ne_u32_e32 vcc, 0, v4
	v_cmp_ne_u32_e64 s[2:3], 0, v3
	s_and_b64 s[2:3], vcc, s[2:3]
	s_nop 0
	v_cndmask_b32_e64 v3, 0, 1, s[2:3]
	v_add_u32_e32 v5, v5, v3
.LBB489_52:
	s_or_b64 exec, exec, s[6:7]
	s_mov_b64 s[6:7], -1
	s_mov_b64 s[2:3], 0
	global_store_byte v[0:1], v5, off
.LBB489_53:
	s_mov_b64 s[8:9], 0
.LBB489_54:
	s_and_b64 vcc, exec, s[8:9]
	s_cbranch_vccz .LBB489_57
; %bb.55:
	s_cmp_eq_u32 s13, 29
	s_mov_b64 s[2:3], -1
	s_cbranch_scc0 .LBB489_57
; %bb.56:
	v_lshlrev_b32_e32 v3, 16, v2
	v_trunc_f32_e32 v3, v3
	v_mul_f32_e32 v4, 0x2f800000, v3
	v_floor_f32_e32 v4, v4
	v_fmamk_f32 v3, v4, 0xcf800000, v3
	v_cvt_u32_f32_e32 v5, v4
	v_cvt_u32_f32_e32 v4, v3
	s_mov_b64 s[6:7], -1
	s_mov_b64 s[2:3], 0
	s_mov_b64 s[8:9], 0
	global_store_dwordx2 v[0:1], v[4:5], off
	s_branch .LBB489_58
.LBB489_57:
	s_mov_b64 s[8:9], 0
.LBB489_58:
	s_and_b64 vcc, exec, s[8:9]
	s_cbranch_vccz .LBB489_74
; %bb.59:
	s_cmp_lt_i32 s13, 27
	s_mov_b64 s[6:7], -1
	s_cbranch_scc1 .LBB489_65
; %bb.60:
	s_cmp_gt_i32 s13, 27
	s_cbranch_scc0 .LBB489_62
; %bb.61:
	v_lshlrev_b32_e32 v3, 16, v2
	v_cvt_u32_f32_e32 v3, v3
	s_mov_b64 s[6:7], 0
	global_store_dword v[0:1], v3, off
.LBB489_62:
	s_andn2_b64 vcc, exec, s[6:7]
	s_cbranch_vccnz .LBB489_64
; %bb.63:
	v_lshlrev_b32_e32 v3, 16, v2
	v_cvt_u32_f32_e32 v3, v3
	global_store_short v[0:1], v3, off
.LBB489_64:
	s_mov_b64 s[6:7], 0
.LBB489_65:
	s_andn2_b64 vcc, exec, s[6:7]
	s_cbranch_vccnz .LBB489_73
; %bb.66:
	v_lshlrev_b32_e32 v5, 16, v2
	v_and_b32_e32 v4, 0x7fffffff, v5
	s_mov_b32 s6, 0x43800000
	v_cmp_gt_u32_e32 vcc, s6, v4
	v_mov_b32_e32 v6, 0x80
	s_and_saveexec_b64 s[6:7], vcc
	s_cbranch_execz .LBB489_72
; %bb.67:
	s_mov_b32 s8, 0x3bffffff
	v_and_b32_e32 v3, 0xffff, v2
	v_cmp_lt_u32_e32 vcc, s8, v4
	s_mov_b64 s[8:9], 0
                                        ; implicit-def: $vgpr4
	s_and_saveexec_b64 s[10:11], vcc
	s_xor_b64 s[10:11], exec, s[10:11]
	s_cbranch_execz .LBB489_309
; %bb.68:
	v_bfe_u32 v4, v3, 4, 1
	s_mov_b32 s14, 0x487ffff
	v_add3_u32 v4, v5, v4, s14
	s_mov_b64 s[8:9], exec
	v_lshrrev_b32_e32 v4, 20, v4
                                        ; implicit-def: $vgpr5
	s_andn2_saveexec_b64 s[10:11], s[10:11]
	s_cbranch_execnz .LBB489_310
.LBB489_69:
	s_or_b64 exec, exec, s[10:11]
	v_mov_b32_e32 v6, 0
	s_and_saveexec_b64 s[10:11], s[8:9]
.LBB489_70:
	v_lshrrev_b32_e32 v3, 8, v3
	s_movk_i32 s8, 0x80
	v_and_or_b32 v6, v3, s8, v4
.LBB489_71:
	s_or_b64 exec, exec, s[10:11]
.LBB489_72:
	s_or_b64 exec, exec, s[6:7]
	global_store_byte v[0:1], v6, off
.LBB489_73:
	s_mov_b64 s[6:7], -1
.LBB489_74:
	s_mov_b64 s[8:9], 0
.LBB489_75:
	s_and_b64 vcc, exec, s[8:9]
	s_cbranch_vccz .LBB489_116
; %bb.76:
	s_cmp_gt_i32 s13, 22
	s_mov_b64 s[8:9], -1
	s_cbranch_scc0 .LBB489_108
; %bb.77:
	s_cmp_lt_i32 s13, 24
	s_mov_b64 s[6:7], -1
	s_cbranch_scc1 .LBB489_97
; %bb.78:
	s_cmp_gt_i32 s13, 24
	s_cbranch_scc0 .LBB489_86
; %bb.79:
	v_lshlrev_b32_e32 v5, 16, v2
	v_and_b32_e32 v4, 0x7fffffff, v5
	s_mov_b32 s6, 0x47800000
	v_cmp_gt_u32_e32 vcc, s6, v4
	v_mov_b32_e32 v6, 0x80
	s_and_saveexec_b64 s[6:7], vcc
	s_cbranch_execz .LBB489_85
; %bb.80:
	s_mov_b32 s8, 0x37ffffff
	v_and_b32_e32 v3, 0xffff, v2
	v_cmp_lt_u32_e32 vcc, s8, v4
	s_mov_b64 s[8:9], 0
                                        ; implicit-def: $vgpr4
	s_and_saveexec_b64 s[10:11], vcc
	s_xor_b64 s[10:11], exec, s[10:11]
	s_cbranch_execz .LBB489_313
; %bb.81:
	v_bfe_u32 v4, v3, 5, 1
	s_mov_b32 s14, 0x88fffff
	v_add3_u32 v4, v5, v4, s14
	s_mov_b64 s[8:9], exec
	v_lshrrev_b32_e32 v4, 21, v4
                                        ; implicit-def: $vgpr5
	s_andn2_saveexec_b64 s[10:11], s[10:11]
	s_cbranch_execnz .LBB489_314
.LBB489_82:
	s_or_b64 exec, exec, s[10:11]
	v_mov_b32_e32 v6, 0
	s_and_saveexec_b64 s[10:11], s[8:9]
.LBB489_83:
	v_lshrrev_b32_e32 v3, 8, v3
	s_movk_i32 s8, 0x80
	v_and_or_b32 v6, v3, s8, v4
.LBB489_84:
	s_or_b64 exec, exec, s[10:11]
.LBB489_85:
	s_or_b64 exec, exec, s[6:7]
	s_mov_b64 s[6:7], 0
	global_store_byte v[0:1], v6, off
.LBB489_86:
	s_and_b64 vcc, exec, s[6:7]
	s_cbranch_vccz .LBB489_96
; %bb.87:
	v_lshlrev_b32_e32 v5, 16, v2
	v_and_b32_e32 v6, 0x7fffffff, v5
	s_mov_b32 s6, 0x43f00000
	v_and_b32_e32 v3, 0xffff, v2
	v_cmp_gt_u32_e32 vcc, s6, v6
                                        ; implicit-def: $vgpr4
	s_and_saveexec_b64 s[6:7], vcc
	s_xor_b64 s[6:7], exec, s[6:7]
	s_cbranch_execz .LBB489_93
; %bb.88:
	s_mov_b32 s8, 0x3c7fffff
	v_cmp_lt_u32_e32 vcc, s8, v6
                                        ; implicit-def: $vgpr4
	s_and_saveexec_b64 s[8:9], vcc
	s_xor_b64 s[8:9], exec, s[8:9]
; %bb.89:
	v_bfe_u32 v4, v3, 4, 1
	s_mov_b32 s10, 0x407ffff
	v_add3_u32 v4, v5, v4, s10
	v_lshrrev_b32_e32 v5, 20, v4
	v_and_b32_e32 v4, 0xff00000, v4
	s_mov_b32 s10, 0x7f00000
	v_mov_b32_e32 v6, 0x7e
	v_cmp_ne_u32_e32 vcc, s10, v4
	s_nop 1
	v_cndmask_b32_e32 v4, v6, v5, vcc
                                        ; implicit-def: $vgpr5
; %bb.90:
	s_andn2_saveexec_b64 s[8:9], s[8:9]
; %bb.91:
	s_mov_b32 s10, 0x46800000
	v_add_f32_e64 v4, |v5|, s10
; %bb.92:
	s_or_b64 exec, exec, s[8:9]
                                        ; implicit-def: $vgpr6
.LBB489_93:
	s_andn2_saveexec_b64 s[6:7], s[6:7]
; %bb.94:
	s_mov_b32 s8, 0x7f800000
	v_mov_b32_e32 v4, 0x7e
	v_mov_b32_e32 v5, 0x7f
	v_cmp_lt_u32_e32 vcc, s8, v6
	s_nop 1
	v_cndmask_b32_e32 v4, v4, v5, vcc
; %bb.95:
	s_or_b64 exec, exec, s[6:7]
	v_lshrrev_b32_e32 v3, 8, v3
	s_movk_i32 s6, 0x80
	v_and_or_b32 v3, v3, s6, v4
	global_store_byte v[0:1], v3, off
.LBB489_96:
	s_mov_b64 s[6:7], 0
.LBB489_97:
	s_andn2_b64 vcc, exec, s[6:7]
	s_cbranch_vccnz .LBB489_107
; %bb.98:
	v_lshlrev_b32_e32 v5, 16, v2
	v_and_b32_e32 v6, 0x7fffffff, v5
	s_mov_b32 s6, 0x47800000
	v_and_b32_e32 v3, 0xffff, v2
	v_cmp_gt_u32_e32 vcc, s6, v6
                                        ; implicit-def: $vgpr4
	s_and_saveexec_b64 s[6:7], vcc
	s_xor_b64 s[6:7], exec, s[6:7]
	s_cbranch_execz .LBB489_104
; %bb.99:
	s_mov_b32 s8, 0x387fffff
	v_cmp_lt_u32_e32 vcc, s8, v6
                                        ; implicit-def: $vgpr4
	s_and_saveexec_b64 s[8:9], vcc
	s_xor_b64 s[8:9], exec, s[8:9]
; %bb.100:
	v_bfe_u32 v4, v3, 5, 1
	s_mov_b32 s10, 0x80fffff
	v_add3_u32 v4, v5, v4, s10
	v_lshrrev_b32_e32 v4, 21, v4
                                        ; implicit-def: $vgpr5
; %bb.101:
	s_andn2_saveexec_b64 s[8:9], s[8:9]
; %bb.102:
	s_mov_b32 s10, 0x43000000
	v_add_f32_e64 v4, |v5|, s10
; %bb.103:
	s_or_b64 exec, exec, s[8:9]
                                        ; implicit-def: $vgpr6
.LBB489_104:
	s_andn2_saveexec_b64 s[6:7], s[6:7]
; %bb.105:
	s_mov_b32 s8, 0x7f800000
	v_mov_b32_e32 v4, 0x7c
	v_mov_b32_e32 v5, 0x7f
	v_cmp_lt_u32_e32 vcc, s8, v6
	s_nop 1
	v_cndmask_b32_e32 v4, v4, v5, vcc
; %bb.106:
	s_or_b64 exec, exec, s[6:7]
	v_lshrrev_b32_e32 v3, 8, v3
	s_movk_i32 s6, 0x80
	v_and_or_b32 v3, v3, s6, v4
	global_store_byte v[0:1], v3, off
.LBB489_107:
	s_mov_b64 s[8:9], 0
	s_mov_b64 s[6:7], -1
.LBB489_108:
	s_andn2_b64 vcc, exec, s[8:9]
	s_cbranch_vccnz .LBB489_116
; %bb.109:
	s_cmp_gt_i32 s13, 14
	s_mov_b64 s[8:9], -1
	s_cbranch_scc0 .LBB489_113
; %bb.110:
	s_cmp_eq_u32 s13, 15
	s_mov_b64 s[2:3], -1
	s_cbranch_scc0 .LBB489_112
; %bb.111:
	global_store_short v[0:1], v2, off
	s_mov_b64 s[6:7], -1
	s_mov_b64 s[2:3], 0
.LBB489_112:
	s_mov_b64 s[8:9], 0
.LBB489_113:
	s_and_b64 vcc, exec, s[8:9]
	s_cbranch_vccz .LBB489_116
; %bb.114:
	s_cmp_eq_u32 s13, 11
	s_mov_b64 s[2:3], -1
	s_cbranch_scc0 .LBB489_116
; %bb.115:
	v_and_b32_e32 v3, 0x7fff, v2
	v_cmp_ne_u16_e32 vcc, 0, v3
	s_mov_b64 s[6:7], -1
	s_mov_b64 s[2:3], 0
	v_cndmask_b32_e64 v3, 0, 1, vcc
	global_store_byte v[0:1], v3, off
.LBB489_116:
	s_branch .LBB489_35
.LBB489_117:
	s_and_b32 s8, 0xffff, s12
	s_cmp_lt_i32 s8, 5
	s_mov_b64 s[6:7], -1
	s_cbranch_scc1 .LBB489_138
; %bb.118:
	s_cmp_lt_i32 s8, 8
	s_cbranch_scc1 .LBB489_128
; %bb.119:
	s_cmp_lt_i32 s8, 9
	s_cbranch_scc1 .LBB489_125
; %bb.120:
	s_cmp_gt_i32 s8, 9
	s_cbranch_scc0 .LBB489_122
; %bb.121:
	v_lshlrev_b32_e32 v3, 16, v2
	v_mov_b32_e32 v6, 0
	v_cvt_f64_f32_e32 v[4:5], v3
	v_mov_b32_e32 v7, v6
	global_store_dwordx4 v[0:1], v[4:7], off
	s_mov_b64 s[6:7], 0
.LBB489_122:
	s_andn2_b64 vcc, exec, s[6:7]
	s_cbranch_vccnz .LBB489_124
; %bb.123:
	v_lshlrev_b32_e32 v4, 16, v2
	v_mov_b32_e32 v5, 0
	global_store_dwordx2 v[0:1], v[4:5], off
.LBB489_124:
	s_mov_b64 s[6:7], 0
.LBB489_125:
	s_andn2_b64 vcc, exec, s[6:7]
	s_cbranch_vccnz .LBB489_127
; %bb.126:
	v_lshlrev_b32_e32 v3, 16, v2
	v_cvt_f16_f32_e32 v3, v3
	global_store_dword v[0:1], v3, off
.LBB489_127:
	s_mov_b64 s[6:7], 0
.LBB489_128:
	s_andn2_b64 vcc, exec, s[6:7]
	s_cbranch_vccnz .LBB489_137
; %bb.129:
	s_cmp_lt_i32 s8, 6
	s_mov_b64 s[6:7], -1
	s_cbranch_scc1 .LBB489_135
; %bb.130:
	s_cmp_gt_i32 s8, 6
	s_cbranch_scc0 .LBB489_132
; %bb.131:
	v_lshlrev_b32_e32 v3, 16, v2
	v_cvt_f64_f32_e32 v[4:5], v3
	global_store_dwordx2 v[0:1], v[4:5], off
	s_mov_b64 s[6:7], 0
.LBB489_132:
	s_andn2_b64 vcc, exec, s[6:7]
	s_cbranch_vccnz .LBB489_134
; %bb.133:
	v_lshlrev_b32_e32 v3, 16, v2
	global_store_dword v[0:1], v3, off
.LBB489_134:
	s_mov_b64 s[6:7], 0
.LBB489_135:
	s_andn2_b64 vcc, exec, s[6:7]
	s_cbranch_vccnz .LBB489_137
; %bb.136:
	v_lshlrev_b32_e32 v3, 16, v2
	v_cvt_f16_f32_e32 v3, v3
	global_store_short v[0:1], v3, off
.LBB489_137:
	s_mov_b64 s[6:7], 0
.LBB489_138:
	s_andn2_b64 vcc, exec, s[6:7]
	s_cbranch_vccnz .LBB489_154
; %bb.139:
	s_cmp_lt_i32 s8, 2
	s_mov_b64 s[6:7], -1
	s_cbranch_scc1 .LBB489_149
; %bb.140:
	s_cmp_lt_i32 s8, 3
	s_cbranch_scc1 .LBB489_146
; %bb.141:
	s_cmp_gt_i32 s8, 3
	s_cbranch_scc0 .LBB489_143
; %bb.142:
	v_lshlrev_b32_e32 v3, 16, v2
	v_trunc_f32_e32 v3, v3
	s_mov_b32 s6, 0x2f800000
	v_mul_f32_e64 v4, |v3|, s6
	v_floor_f32_e32 v4, v4
	s_mov_b32 s6, 0xcf800000
	v_cvt_u32_f32_e32 v5, v4
	v_fma_f32 v4, v4, s6, |v3|
	v_cvt_u32_f32_e32 v4, v4
	v_ashrrev_i32_e32 v3, 31, v3
	v_xor_b32_e32 v5, v5, v3
	s_mov_b64 s[6:7], 0
	v_xor_b32_e32 v4, v4, v3
	v_sub_co_u32_e32 v4, vcc, v4, v3
	s_nop 1
	v_subb_co_u32_e32 v5, vcc, v5, v3, vcc
	global_store_dwordx2 v[0:1], v[4:5], off
.LBB489_143:
	s_andn2_b64 vcc, exec, s[6:7]
	s_cbranch_vccnz .LBB489_145
; %bb.144:
	v_lshlrev_b32_e32 v3, 16, v2
	v_cvt_i32_f32_e32 v3, v3
	global_store_dword v[0:1], v3, off
.LBB489_145:
	s_mov_b64 s[6:7], 0
.LBB489_146:
	s_andn2_b64 vcc, exec, s[6:7]
	s_cbranch_vccnz .LBB489_148
; %bb.147:
	v_lshlrev_b32_e32 v3, 16, v2
	v_cvt_i32_f32_e32 v3, v3
	global_store_short v[0:1], v3, off
.LBB489_148:
	s_mov_b64 s[6:7], 0
.LBB489_149:
	s_andn2_b64 vcc, exec, s[6:7]
	s_cbranch_vccnz .LBB489_154
; %bb.150:
	s_cmp_gt_i32 s8, 0
	s_mov_b64 s[6:7], -1
	s_cbranch_scc0 .LBB489_152
; %bb.151:
	v_lshlrev_b32_e32 v3, 16, v2
	v_cvt_i32_f32_e32 v3, v3
	s_mov_b64 s[6:7], 0
	global_store_byte v[0:1], v3, off
.LBB489_152:
	s_andn2_b64 vcc, exec, s[6:7]
	s_cbranch_vccnz .LBB489_154
; %bb.153:
	v_lshlrev_b32_e32 v2, 16, v2
	v_trunc_f32_e32 v2, v2
	s_mov_b32 s6, 0x2f800000
	v_mul_f32_e64 v3, |v2|, s6
	v_floor_f32_e32 v3, v3
	s_mov_b32 s6, 0xcf800000
	v_fma_f32 v3, v3, s6, |v2|
	v_cvt_u32_f32_e32 v3, v3
	v_ashrrev_i32_e32 v2, 31, v2
	v_xor_b32_e32 v3, v3, v2
	v_sub_u32_e32 v2, v3, v2
	global_store_byte v[0:1], v2, off
.LBB489_154:
.LBB489_155:
	v_add_u32_e32 v8, 0x80, v8
	s_mov_b64 s[6:7], -1
	s_branch .LBB489_266
.LBB489_156:
	s_mov_b64 s[4:5], -1
                                        ; implicit-def: $vgpr1
.LBB489_157:
	s_mov_b64 s[6:7], 0
.LBB489_158:
	s_and_b64 vcc, exec, s[6:7]
	s_cbranch_vccz .LBB489_162
; %bb.159:
	s_cmp_eq_u32 s10, 29
	s_cbranch_scc0 .LBB489_161
; %bb.160:
	global_load_dwordx2 v[4:5], v[2:3], off
	s_movk_i32 s4, 0x7fff
	s_mov_b64 s[2:3], -1
	s_mov_b64 s[6:7], 0
	s_waitcnt vmcnt(0)
	v_ffbh_u32_e32 v1, v5
	v_min_u32_e32 v1, 32, v1
	v_lshlrev_b64 v[4:5], v1, v[4:5]
	v_min_u32_e32 v4, 1, v4
	v_or_b32_e32 v4, v5, v4
	v_cvt_f32_u32_e32 v4, v4
	v_sub_u32_e32 v1, 32, v1
	v_ldexp_f32 v1, v4, v1
	v_bfe_u32 v4, v1, 16, 1
	v_add3_u32 v1, v1, v4, s4
	v_lshrrev_b32_e32 v1, 16, v1
	s_mov_b64 s[4:5], 0
	s_branch .LBB489_163
.LBB489_161:
	s_mov_b64 s[4:5], -1
                                        ; implicit-def: $vgpr1
.LBB489_162:
	s_mov_b64 s[6:7], 0
.LBB489_163:
	s_and_b64 vcc, exec, s[6:7]
	s_cbranch_vccz .LBB489_181
; %bb.164:
	s_cmp_lt_i32 s10, 27
	s_cbranch_scc1 .LBB489_167
; %bb.165:
	s_cmp_gt_i32 s10, 27
	s_cbranch_scc0 .LBB489_168
; %bb.166:
	global_load_dword v1, v[2:3], off
	s_movk_i32 s2, 0x7fff
	s_waitcnt vmcnt(0)
	v_cvt_f32_u32_e32 v1, v1
	v_bfe_u32 v4, v1, 16, 1
	v_add3_u32 v1, v1, v4, s2
	v_lshrrev_b32_e32 v1, 16, v1
	s_mov_b64 s[2:3], 0
	s_branch .LBB489_169
.LBB489_167:
	s_mov_b64 s[2:3], -1
                                        ; implicit-def: $vgpr1
	s_branch .LBB489_172
.LBB489_168:
	s_mov_b64 s[2:3], -1
                                        ; implicit-def: $vgpr1
.LBB489_169:
	s_andn2_b64 vcc, exec, s[2:3]
	s_cbranch_vccnz .LBB489_171
; %bb.170:
	global_load_ushort v1, v[2:3], off
	s_movk_i32 s2, 0x7fff
	s_waitcnt vmcnt(0)
	v_cvt_f32_u32_e32 v1, v1
	v_bfe_u32 v4, v1, 16, 1
	v_add3_u32 v1, v1, v4, s2
	v_lshrrev_b32_e32 v1, 16, v1
.LBB489_171:
	s_mov_b64 s[2:3], 0
.LBB489_172:
	s_andn2_b64 vcc, exec, s[2:3]
	s_cbranch_vccnz .LBB489_180
; %bb.173:
	global_load_ubyte v1, v[2:3], off
	s_movk_i32 s2, 0x7f
	s_waitcnt vmcnt(0)
	v_cmp_lt_i16_e32 vcc, s2, v1
	s_mov_b64 s[2:3], 0
	s_and_saveexec_b64 s[6:7], vcc
	s_xor_b64 s[6:7], exec, s[6:7]
	s_cbranch_execz .LBB489_193
; %bb.174:
	s_movk_i32 s2, 0x80
	v_cmp_eq_u16_e32 vcc, s2, v1
	s_mov_b64 s[2:3], -1
	s_and_saveexec_b64 s[8:9], vcc
; %bb.175:
	s_xor_b64 s[2:3], exec, -1
; %bb.176:
	s_or_b64 exec, exec, s[8:9]
	s_and_b64 s[2:3], s[2:3], exec
	s_or_saveexec_b64 s[6:7], s[6:7]
	v_mov_b32_e32 v4, 0x7f800001
	s_xor_b64 exec, exec, s[6:7]
	s_cbranch_execnz .LBB489_194
.LBB489_177:
	s_or_b64 exec, exec, s[6:7]
	s_and_saveexec_b64 s[6:7], s[2:3]
	s_cbranch_execz .LBB489_179
.LBB489_178:
	v_lshlrev_b32_e32 v4, 24, v1
	v_and_b32_e32 v1, 0xffff, v1
	v_and_b32_e32 v5, 7, v1
	v_ffbh_u32_e32 v7, v5
	v_min_u32_e32 v7, 32, v7
	v_subrev_u32_e32 v9, 28, v7
	v_bfe_u32 v6, v1, 3, 4
	v_lshlrev_b32_e32 v1, v9, v1
	v_sub_u32_e32 v7, 29, v7
	v_and_b32_e32 v1, 7, v1
	v_cmp_eq_u32_e32 vcc, 0, v6
	v_and_b32_e32 v4, 0x80000000, v4
	s_nop 0
	v_cndmask_b32_e32 v6, v6, v7, vcc
	v_cndmask_b32_e32 v1, v5, v1, vcc
	v_mov_b32_e32 v5, 0x3b800000
	v_lshlrev_b32_e32 v1, 20, v1
	v_lshl_add_u32 v5, v6, 23, v5
	v_or3_b32 v4, v4, v5, v1
.LBB489_179:
	s_or_b64 exec, exec, s[6:7]
	v_bfe_u32 v1, v4, 16, 1
	s_movk_i32 s2, 0x7fff
	v_add3_u32 v1, v4, v1, s2
	v_cmp_o_f32_e32 vcc, v4, v4
	v_mov_b32_e32 v4, 0x7fc0
	s_nop 0
	v_cndmask_b32_sdwa v1, v4, v1, vcc dst_sel:DWORD dst_unused:UNUSED_PAD src0_sel:DWORD src1_sel:WORD_1
.LBB489_180:
	s_mov_b64 s[2:3], -1
.LBB489_181:
	s_branch .LBB489_216
.LBB489_182:
	s_cmp_gt_i32 s10, 22
	s_cbranch_scc0 .LBB489_192
; %bb.183:
	s_cmp_lt_i32 s10, 24
	s_cbranch_scc1 .LBB489_195
; %bb.184:
	s_cmp_gt_i32 s10, 24
	s_cbranch_scc0 .LBB489_196
; %bb.185:
	global_load_ubyte v1, v[2:3], off
	s_movk_i32 s2, 0x7f
	s_waitcnt vmcnt(0)
	v_cmp_lt_i16_e32 vcc, s2, v1
	s_mov_b64 s[2:3], 0
	s_and_saveexec_b64 s[6:7], vcc
	s_xor_b64 s[6:7], exec, s[6:7]
	s_cbranch_execz .LBB489_208
; %bb.186:
	s_movk_i32 s2, 0x80
	v_cmp_eq_u16_e32 vcc, s2, v1
	s_mov_b64 s[2:3], -1
	s_and_saveexec_b64 s[8:9], vcc
; %bb.187:
	s_xor_b64 s[2:3], exec, -1
; %bb.188:
	s_or_b64 exec, exec, s[8:9]
	s_and_b64 s[2:3], s[2:3], exec
	s_or_saveexec_b64 s[6:7], s[6:7]
	v_mov_b32_e32 v4, 0x7f800001
	s_xor_b64 exec, exec, s[6:7]
	s_cbranch_execnz .LBB489_209
.LBB489_189:
	s_or_b64 exec, exec, s[6:7]
	s_and_saveexec_b64 s[6:7], s[2:3]
	s_cbranch_execz .LBB489_191
.LBB489_190:
	v_lshlrev_b32_e32 v4, 24, v1
	v_and_b32_e32 v1, 0xffff, v1
	v_and_b32_e32 v5, 3, v1
	v_ffbh_u32_e32 v7, v5
	v_min_u32_e32 v7, 32, v7
	v_subrev_u32_e32 v9, 29, v7
	v_bfe_u32 v6, v1, 2, 5
	v_lshlrev_b32_e32 v1, v9, v1
	v_sub_u32_e32 v7, 30, v7
	v_and_b32_e32 v1, 3, v1
	v_cmp_eq_u32_e32 vcc, 0, v6
	v_and_b32_e32 v4, 0x80000000, v4
	s_nop 0
	v_cndmask_b32_e32 v6, v6, v7, vcc
	v_cndmask_b32_e32 v1, v5, v1, vcc
	v_mov_b32_e32 v5, 0x37800000
	v_lshlrev_b32_e32 v1, 21, v1
	v_lshl_add_u32 v5, v6, 23, v5
	v_or3_b32 v4, v4, v5, v1
.LBB489_191:
	s_or_b64 exec, exec, s[6:7]
	v_bfe_u32 v1, v4, 16, 1
	s_movk_i32 s2, 0x7fff
	v_add3_u32 v1, v4, v1, s2
	v_cmp_o_f32_e32 vcc, v4, v4
	v_mov_b32_e32 v4, 0x7fc0
	s_mov_b64 s[2:3], 0
	v_cndmask_b32_sdwa v1, v4, v1, vcc dst_sel:DWORD dst_unused:UNUSED_PAD src0_sel:DWORD src1_sel:WORD_1
	s_branch .LBB489_197
.LBB489_192:
	s_mov_b64 s[6:7], -1
                                        ; implicit-def: $vgpr1
	s_branch .LBB489_203
.LBB489_193:
	s_or_saveexec_b64 s[6:7], s[6:7]
	v_mov_b32_e32 v4, 0x7f800001
	s_xor_b64 exec, exec, s[6:7]
	s_cbranch_execz .LBB489_177
.LBB489_194:
	v_cmp_ne_u16_e32 vcc, 0, v1
	s_andn2_b64 s[2:3], s[2:3], exec
	s_and_b64 s[8:9], vcc, exec
	v_mov_b32_e32 v4, 0
	s_or_b64 s[2:3], s[2:3], s[8:9]
	s_or_b64 exec, exec, s[6:7]
	s_and_saveexec_b64 s[6:7], s[2:3]
	s_cbranch_execnz .LBB489_178
	s_branch .LBB489_179
.LBB489_195:
	s_mov_b64 s[2:3], -1
                                        ; implicit-def: $vgpr1
	s_branch .LBB489_200
.LBB489_196:
	s_mov_b64 s[2:3], -1
                                        ; implicit-def: $vgpr1
.LBB489_197:
	s_and_b64 vcc, exec, s[2:3]
	s_cbranch_vccz .LBB489_199
; %bb.198:
	global_load_ubyte v1, v[2:3], off
	s_mov_b32 s2, 0x7f800000
	s_brev_b32 s3, 1
	s_movk_i32 s6, 0x7fff
	s_waitcnt vmcnt(0)
	v_lshlrev_b32_e32 v1, 24, v1
	v_and_b32_e32 v4, 0x7f000000, v1
	v_ffbh_u32_e32 v5, v4
	v_min_u32_e32 v5, 32, v5
	v_sub_u32_e64 v5, v5, 4 clamp
	v_lshlrev_b32_e32 v7, v5, v4
	v_lshlrev_b32_e32 v5, 23, v5
	v_lshrrev_b32_e32 v7, 4, v7
	v_add_u32_e32 v6, 0x1000000, v4
	v_sub_u32_e32 v5, v7, v5
	v_ashrrev_i32_e32 v6, 8, v6
	v_add_u32_e32 v5, 0x3c000000, v5
	v_and_or_b32 v5, v6, s2, v5
	v_cmp_ne_u32_e32 vcc, 0, v4
	s_nop 1
	v_cndmask_b32_e32 v4, 0, v5, vcc
	v_and_or_b32 v1, v1, s3, v4
	v_bfe_u32 v4, v4, 16, 1
	v_add3_u32 v4, v1, v4, s6
	v_cmp_o_f32_e32 vcc, v1, v1
	v_mov_b32_e32 v1, 0x7fc0
	s_nop 0
	v_cndmask_b32_sdwa v1, v1, v4, vcc dst_sel:DWORD dst_unused:UNUSED_PAD src0_sel:DWORD src1_sel:WORD_1
.LBB489_199:
	s_mov_b64 s[2:3], 0
.LBB489_200:
	s_andn2_b64 vcc, exec, s[2:3]
	s_cbranch_vccnz .LBB489_202
; %bb.201:
	global_load_ubyte v1, v[2:3], off
	s_movk_i32 s2, 0x7f00
	s_brev_b32 s3, 16
	s_brev_b32 s6, 1
	s_movk_i32 s7, 0x7fff
	s_waitcnt vmcnt(0)
	v_lshlrev_b16_e32 v4, 8, v1
	v_lshlrev_b32_e32 v1, 25, v1
	v_lshrrev_b32_e32 v5, 4, v1
	v_and_or_b32 v6, v4, s2, 0.5
	v_or_b32_e32 v5, 0x70000000, v5
	v_add_f32_e32 v6, -0.5, v6
	v_mul_f32_e32 v5, 0x7800000, v5
	v_cmp_gt_u32_e32 vcc, s3, v1
	v_bfe_i32 v4, v4, 0, 16
	s_nop 0
	v_cndmask_b32_e32 v1, v5, v6, vcc
	v_and_or_b32 v4, v4, s6, v1
	v_bfe_u32 v1, v1, 16, 1
	v_add3_u32 v1, v4, v1, s7
	v_cmp_o_f32_e32 vcc, v4, v4
	v_mov_b32_e32 v4, 0x7fc0
	s_nop 0
	v_cndmask_b32_sdwa v1, v4, v1, vcc dst_sel:DWORD dst_unused:UNUSED_PAD src0_sel:DWORD src1_sel:WORD_1
.LBB489_202:
	s_mov_b64 s[6:7], 0
	s_mov_b64 s[2:3], -1
.LBB489_203:
	s_andn2_b64 vcc, exec, s[6:7]
	s_cbranch_vccnz .LBB489_216
; %bb.204:
	s_cmp_gt_i32 s10, 14
	s_cbranch_scc0 .LBB489_207
; %bb.205:
	s_cmp_eq_u32 s10, 15
	s_cbranch_scc0 .LBB489_210
; %bb.206:
	global_load_ushort v1, v[2:3], off
	s_mov_b64 s[2:3], -1
	s_mov_b64 s[4:5], 0
	s_branch .LBB489_211
.LBB489_207:
	s_mov_b64 s[6:7], -1
                                        ; implicit-def: $vgpr1
	s_branch .LBB489_212
.LBB489_208:
	s_or_saveexec_b64 s[6:7], s[6:7]
	v_mov_b32_e32 v4, 0x7f800001
	s_xor_b64 exec, exec, s[6:7]
	s_cbranch_execz .LBB489_189
.LBB489_209:
	v_cmp_ne_u16_e32 vcc, 0, v1
	s_andn2_b64 s[2:3], s[2:3], exec
	s_and_b64 s[8:9], vcc, exec
	v_mov_b32_e32 v4, 0
	s_or_b64 s[2:3], s[2:3], s[8:9]
	s_or_b64 exec, exec, s[6:7]
	s_and_saveexec_b64 s[6:7], s[2:3]
	s_cbranch_execnz .LBB489_190
	s_branch .LBB489_191
.LBB489_210:
	s_mov_b64 s[4:5], -1
                                        ; implicit-def: $vgpr1
.LBB489_211:
	s_mov_b64 s[6:7], 0
.LBB489_212:
	s_and_b64 vcc, exec, s[6:7]
	s_cbranch_vccz .LBB489_216
; %bb.213:
	s_cmp_eq_u32 s10, 11
	s_cbranch_scc0 .LBB489_215
; %bb.214:
	global_load_ubyte v1, v[2:3], off
	s_mov_b64 s[2:3], -1
	s_mov_b64 s[4:5], 0
	s_waitcnt vmcnt(0)
	v_cmp_ne_u16_e32 vcc, 0, v1
	s_nop 1
	v_cndmask_b32_e64 v1, 0, 1.0, vcc
	v_lshrrev_b32_e32 v1, 16, v1
	s_branch .LBB489_216
.LBB489_215:
	s_mov_b64 s[4:5], -1
                                        ; implicit-def: $vgpr1
.LBB489_216:
	s_branch .LBB489_25
.LBB489_217:
	s_cmp_lt_i32 s10, 5
	s_cbranch_scc1 .LBB489_222
; %bb.218:
	s_cmp_lt_i32 s10, 8
	s_cbranch_scc1 .LBB489_223
; %bb.219:
	;; [unrolled: 3-line block ×3, first 2 shown]
	s_cmp_gt_i32 s10, 9
	s_cbranch_scc0 .LBB489_225
; %bb.221:
	global_load_dwordx2 v[4:5], v[2:3], off
	s_movk_i32 s2, 0x7fff
	s_waitcnt vmcnt(1)
	v_mov_b32_e32 v1, 0x7fc0
	s_waitcnt vmcnt(0)
	v_cvt_f32_f64_e32 v4, v[4:5]
	v_bfe_u32 v5, v4, 16, 1
	v_cmp_o_f32_e32 vcc, v4, v4
	v_add3_u32 v4, v4, v5, s2
	s_mov_b64 s[2:3], 0
	v_cndmask_b32_sdwa v1, v1, v4, vcc dst_sel:DWORD dst_unused:UNUSED_PAD src0_sel:DWORD src1_sel:WORD_1
	s_branch .LBB489_226
.LBB489_222:
                                        ; implicit-def: $vgpr1
	s_branch .LBB489_244
.LBB489_223:
	s_mov_b64 s[2:3], -1
                                        ; implicit-def: $vgpr1
	s_branch .LBB489_232
.LBB489_224:
	s_mov_b64 s[2:3], -1
                                        ; implicit-def: $vgpr1
	s_branch .LBB489_229
.LBB489_225:
	s_mov_b64 s[2:3], -1
                                        ; implicit-def: $vgpr1
.LBB489_226:
	s_andn2_b64 vcc, exec, s[2:3]
	s_cbranch_vccnz .LBB489_228
; %bb.227:
	global_load_dword v1, v[2:3], off
	s_movk_i32 s2, 0x7fff
	v_mov_b32_e32 v4, 0x7fc0
	s_waitcnt vmcnt(0)
	v_bfe_u32 v5, v1, 16, 1
	v_cmp_o_f32_e32 vcc, v1, v1
	v_add3_u32 v1, v1, v5, s2
	s_nop 0
	v_cndmask_b32_sdwa v1, v4, v1, vcc dst_sel:DWORD dst_unused:UNUSED_PAD src0_sel:DWORD src1_sel:WORD_1
.LBB489_228:
	s_mov_b64 s[2:3], 0
.LBB489_229:
	s_andn2_b64 vcc, exec, s[2:3]
	s_cbranch_vccnz .LBB489_231
; %bb.230:
	global_load_dword v1, v[2:3], off
	s_movk_i32 s2, 0x7fff
	v_mov_b32_e32 v5, 0x7fc0
	s_waitcnt vmcnt(0)
	v_cvt_f32_f16_e32 v4, v1
	v_cmp_o_f16_e32 vcc, v1, v1
	v_bfe_u32 v1, v4, 16, 1
	v_add3_u32 v1, v4, v1, s2
	v_cndmask_b32_sdwa v1, v5, v1, vcc dst_sel:DWORD dst_unused:UNUSED_PAD src0_sel:DWORD src1_sel:WORD_1
.LBB489_231:
	s_mov_b64 s[2:3], 0
.LBB489_232:
	s_andn2_b64 vcc, exec, s[2:3]
	s_cbranch_vccnz .LBB489_243
; %bb.233:
	s_cmp_lt_i32 s10, 6
	s_cbranch_scc1 .LBB489_236
; %bb.234:
	s_cmp_gt_i32 s10, 6
	s_cbranch_scc0 .LBB489_237
; %bb.235:
	global_load_dwordx2 v[4:5], v[2:3], off
	s_movk_i32 s2, 0x7fff
	s_waitcnt vmcnt(1)
	v_mov_b32_e32 v1, 0x7fc0
	s_waitcnt vmcnt(0)
	v_cvt_f32_f64_e32 v4, v[4:5]
	v_bfe_u32 v5, v4, 16, 1
	v_cmp_o_f32_e32 vcc, v4, v4
	v_add3_u32 v4, v4, v5, s2
	s_mov_b64 s[2:3], 0
	v_cndmask_b32_sdwa v1, v1, v4, vcc dst_sel:DWORD dst_unused:UNUSED_PAD src0_sel:DWORD src1_sel:WORD_1
	s_branch .LBB489_238
.LBB489_236:
	s_mov_b64 s[2:3], -1
                                        ; implicit-def: $vgpr1
	s_branch .LBB489_241
.LBB489_237:
	s_mov_b64 s[2:3], -1
                                        ; implicit-def: $vgpr1
.LBB489_238:
	s_andn2_b64 vcc, exec, s[2:3]
	s_cbranch_vccnz .LBB489_240
; %bb.239:
	global_load_dword v1, v[2:3], off
	s_movk_i32 s2, 0x7fff
	v_mov_b32_e32 v4, 0x7fc0
	s_waitcnt vmcnt(0)
	v_bfe_u32 v5, v1, 16, 1
	v_cmp_o_f32_e32 vcc, v1, v1
	v_add3_u32 v1, v1, v5, s2
	s_nop 0
	v_cndmask_b32_sdwa v1, v4, v1, vcc dst_sel:DWORD dst_unused:UNUSED_PAD src0_sel:DWORD src1_sel:WORD_1
.LBB489_240:
	s_mov_b64 s[2:3], 0
.LBB489_241:
	s_andn2_b64 vcc, exec, s[2:3]
	s_cbranch_vccnz .LBB489_243
; %bb.242:
	global_load_ushort v1, v[2:3], off
	s_movk_i32 s2, 0x7fff
	v_mov_b32_e32 v5, 0x7fc0
	s_waitcnt vmcnt(0)
	v_cvt_f32_f16_e32 v4, v1
	v_cmp_o_f16_e32 vcc, v1, v1
	v_bfe_u32 v1, v4, 16, 1
	v_add3_u32 v1, v4, v1, s2
	v_cndmask_b32_sdwa v1, v5, v1, vcc dst_sel:DWORD dst_unused:UNUSED_PAD src0_sel:DWORD src1_sel:WORD_1
.LBB489_243:
	s_cbranch_execnz .LBB489_263
.LBB489_244:
	s_cmp_lt_i32 s10, 2
	s_cbranch_scc1 .LBB489_248
; %bb.245:
	s_cmp_lt_i32 s10, 3
	s_cbranch_scc1 .LBB489_249
; %bb.246:
	s_cmp_gt_i32 s10, 3
	s_cbranch_scc0 .LBB489_250
; %bb.247:
	global_load_dwordx2 v[4:5], v[2:3], off
	s_movk_i32 s2, 0x7fff
	s_waitcnt vmcnt(0)
	v_xor_b32_e32 v6, v4, v5
	v_ffbh_i32_e32 v1, v5
	v_ashrrev_i32_e32 v6, 31, v6
	v_add_u32_e32 v1, -1, v1
	v_add_u32_e32 v6, 32, v6
	v_min_u32_e32 v1, v1, v6
	v_lshlrev_b64 v[4:5], v1, v[4:5]
	v_min_u32_e32 v4, 1, v4
	v_or_b32_e32 v4, v5, v4
	v_cvt_f32_i32_e32 v4, v4
	v_sub_u32_e32 v1, 32, v1
	v_ldexp_f32 v1, v4, v1
	v_bfe_u32 v4, v1, 16, 1
	v_add3_u32 v1, v1, v4, s2
	v_lshrrev_b32_e32 v1, 16, v1
	s_mov_b64 s[2:3], 0
	s_branch .LBB489_251
.LBB489_248:
	s_mov_b64 s[2:3], -1
                                        ; implicit-def: $vgpr1
	s_branch .LBB489_257
.LBB489_249:
	s_mov_b64 s[2:3], -1
                                        ; implicit-def: $vgpr1
	s_branch .LBB489_254
.LBB489_250:
	s_mov_b64 s[2:3], -1
                                        ; implicit-def: $vgpr1
.LBB489_251:
	s_andn2_b64 vcc, exec, s[2:3]
	s_cbranch_vccnz .LBB489_253
; %bb.252:
	global_load_dword v1, v[2:3], off
	s_movk_i32 s2, 0x7fff
	s_waitcnt vmcnt(0)
	v_cvt_f32_i32_e32 v1, v1
	v_bfe_u32 v4, v1, 16, 1
	v_add3_u32 v1, v1, v4, s2
	v_lshrrev_b32_e32 v1, 16, v1
.LBB489_253:
	s_mov_b64 s[2:3], 0
.LBB489_254:
	s_andn2_b64 vcc, exec, s[2:3]
	s_cbranch_vccnz .LBB489_256
; %bb.255:
	global_load_sshort v1, v[2:3], off
	s_movk_i32 s2, 0x7fff
	s_waitcnt vmcnt(0)
	v_cvt_f32_i32_e32 v1, v1
	v_bfe_u32 v4, v1, 16, 1
	v_add3_u32 v1, v1, v4, s2
	v_lshrrev_b32_e32 v1, 16, v1
.LBB489_256:
	s_mov_b64 s[2:3], 0
.LBB489_257:
	s_andn2_b64 vcc, exec, s[2:3]
	s_cbranch_vccnz .LBB489_263
; %bb.258:
	s_cmp_gt_i32 s10, 0
	s_cbranch_scc0 .LBB489_260
; %bb.259:
	global_load_sbyte v1, v[2:3], off
	s_movk_i32 s2, 0x7fff
	s_waitcnt vmcnt(0)
	v_cvt_f32_i32_e32 v1, v1
	v_bfe_u32 v4, v1, 16, 1
	v_add3_u32 v1, v1, v4, s2
	v_lshrrev_b32_e32 v1, 16, v1
	s_mov_b64 s[2:3], 0
	s_branch .LBB489_261
.LBB489_260:
	s_mov_b64 s[2:3], -1
                                        ; implicit-def: $vgpr1
.LBB489_261:
	s_andn2_b64 vcc, exec, s[2:3]
	s_cbranch_vccnz .LBB489_263
; %bb.262:
	global_load_ubyte v1, v[2:3], off
	s_movk_i32 s2, 0x7fff
	s_waitcnt vmcnt(0)
	v_cvt_f32_ubyte0_e32 v1, v1
	v_bfe_u32 v2, v1, 16, 1
	v_add3_u32 v1, v1, v2, s2
	v_lshrrev_b32_e32 v1, 16, v1
.LBB489_263:
	s_branch .LBB489_26
.LBB489_264:
	s_mov_b64 s[2:3], 0
.LBB489_265:
	s_mov_b64 s[6:7], 0
                                        ; implicit-def: $vgpr8
.LBB489_266:
	s_and_b64 s[54:55], s[2:3], exec
	s_and_b64 s[56:57], s[4:5], exec
	s_orn2_b64 s[4:5], s[6:7], exec
.LBB489_267:
	s_or_b64 exec, exec, s[58:59]
	s_mov_b64 s[8:9], 0
	s_mov_b64 s[2:3], 0
                                        ; implicit-def: $vgpr2_vgpr3
                                        ; implicit-def: $vgpr0
                                        ; implicit-def: $vgpr1
	s_and_saveexec_b64 s[58:59], s[4:5]
	s_cbranch_execz .LBB489_275
; %bb.268:
	v_cmp_gt_i32_e32 vcc, s70, v8
	s_mov_b64 s[2:3], -1
	s_mov_b64 s[60:61], s[56:57]
	s_mov_b64 s[62:63], s[54:55]
	s_and_saveexec_b64 s[64:65], vcc
	s_cbranch_execz .LBB489_544
; %bb.269:
	s_andn2_b64 vcc, exec, s[42:43]
	s_cbranch_vccnz .LBB489_278
; %bb.270:
	s_andn2_b64 vcc, exec, s[52:53]
	s_cbranch_vccnz .LBB489_279
; %bb.271:
	s_add_i32 s63, s77, 1
	s_cmp_eq_u32 s72, 2
	s_cbranch_scc1 .LBB489_280
; %bb.272:
	s_and_b32 s62, s63, 28
	s_mov_b32 s66, 0
	v_mov_b32_e32 v0, 0
	v_mov_b32_e32 v2, 0
	s_mov_b64 s[2:3], s[34:35]
	s_mov_b64 s[60:61], s[50:51]
	v_mov_b32_e32 v4, v8
.LBB489_273:                            ; =>This Inner Loop Header: Depth=1
	s_load_dwordx8 s[12:19], s[2:3], 0x4
	s_load_dwordx4 s[36:39], s[2:3], 0x24
	s_load_dwordx8 s[4:11], s[60:61], 0x0
	s_add_u32 s2, s2, 48
	s_addc_u32 s3, s3, 0
	s_waitcnt vmcnt(0) lgkmcnt(0)
	v_mul_hi_u32 v1, s13, v4
	v_add_u32_e32 v1, v4, v1
	v_lshrrev_b32_e32 v1, s14, v1
	v_mul_lo_u32 v3, v1, s12
	v_mul_hi_u32 v5, s16, v1
	v_sub_u32_e32 v3, v4, v3
	v_add_u32_e32 v4, v1, v5
	v_lshrrev_b32_e32 v4, s17, v4
	v_mul_lo_u32 v6, v4, s15
	v_mul_hi_u32 v7, s19, v4
	v_sub_u32_e32 v1, v1, v6
	v_add_u32_e32 v6, v4, v7
	v_mul_lo_u32 v5, v3, s5
	v_mul_lo_u32 v3, v3, s4
	;; [unrolled: 1-line block ×4, first 2 shown]
	v_lshrrev_b32_e32 v6, s36, v6
	v_add3_u32 v0, v3, v0, v1
	v_mul_hi_u32 v3, s38, v6
	v_add3_u32 v1, v5, v2, v7
	v_mul_lo_u32 v2, v6, s18
	v_add_u32_e32 v3, v6, v3
	v_sub_u32_e32 v2, v4, v2
	v_lshrrev_b32_e32 v4, s39, v3
	s_add_i32 s66, s66, 4
	v_mul_lo_u32 v3, v4, s37
	s_add_u32 s60, s60, 32
	v_sub_u32_e32 v3, v6, v3
	s_addc_u32 s61, s61, 0
	v_mul_lo_u32 v5, v2, s8
	v_mul_lo_u32 v2, v2, s9
	;; [unrolled: 1-line block ×4, first 2 shown]
	s_cmp_eq_u32 s62, s66
	v_add3_u32 v2, v2, v1, v3
	v_add3_u32 v0, v5, v0, v6
	s_cbranch_scc0 .LBB489_273
; %bb.274:
	v_mov_b32_e32 v1, v2
	s_branch .LBB489_281
.LBB489_275:
	s_or_b64 exec, exec, s[58:59]
	s_mov_b64 s[4:5], 0
	s_and_saveexec_b64 s[6:7], s[56:57]
	s_cbranch_execnz .LBB489_922
.LBB489_276:
	s_or_b64 exec, exec, s[6:7]
	s_and_saveexec_b64 s[6:7], s[62:63]
	s_xor_b64 s[6:7], exec, s[6:7]
	s_cbranch_execz .LBB489_923
.LBB489_277:
	global_load_ubyte v1, v[2:3], off
	s_or_b64 s[2:3], s[2:3], exec
	s_waitcnt vmcnt(0)
	v_cmp_ne_u16_e32 vcc, 0, v1
	s_nop 1
	v_cndmask_b32_e64 v1, 0, 1.0, vcc
	v_lshrrev_b32_e32 v1, 16, v1
	s_or_b64 exec, exec, s[6:7]
	s_and_saveexec_b64 s[6:7], s[8:9]
	s_cbranch_execz .LBB489_969
	s_branch .LBB489_924
.LBB489_278:
                                        ; implicit-def: $vgpr2
                                        ; implicit-def: $vgpr0
	s_andn2_b64 vcc, exec, s[2:3]
	s_cbranch_vccz .LBB489_285
	s_branch .LBB489_287
.LBB489_279:
	v_mov_b32_e32 v2, 0
	v_mov_b32_e32 v0, 0
	s_branch .LBB489_284
.LBB489_280:
	v_mov_b32_e32 v0, 0
	s_mov_b32 s62, 0
	s_waitcnt vmcnt(0)
	v_mov_b32_e32 v1, v0
                                        ; implicit-def: $vgpr2
	v_mov_b32_e32 v4, v8
.LBB489_281:
	s_and_b32 s6, s63, 3
	s_cmp_eq_u32 s6, 0
	s_cbranch_scc1 .LBB489_284
; %bb.282:
	s_lshl_b32 s2, s62, 3
	s_add_u32 s2, s34, s2
	s_addc_u32 s3, s35, 0
	s_add_u32 s2, s2, 0xc4
	s_addc_u32 s3, s3, 0
	s_mul_i32 s4, s62, 12
	s_add_u32 s4, s34, s4
	s_addc_u32 s5, s35, 0
.LBB489_283:                            ; =>This Inner Loop Header: Depth=1
	s_load_dwordx2 s[8:9], s[4:5], 0x4
	s_load_dword s7, s[4:5], 0xc
	s_load_dwordx2 s[10:11], s[2:3], 0x0
	v_mov_b32_e32 v2, v1
	s_add_u32 s4, s4, 12
	s_waitcnt lgkmcnt(0)
	v_mul_hi_u32 v1, s9, v4
	v_add_u32_e32 v1, v4, v1
	v_lshrrev_b32_e32 v1, s7, v1
	s_addc_u32 s5, s5, 0
	v_mul_lo_u32 v3, v1, s8
	s_add_u32 s2, s2, 8
	v_sub_u32_e32 v5, v4, v3
	s_addc_u32 s3, s3, 0
	s_add_i32 s6, s6, -1
	v_mov_b32_e32 v4, v1
	v_mad_u64_u32 v[2:3], s[8:9], v5, s11, v[2:3]
	v_mad_u64_u32 v[0:1], s[8:9], v5, s10, v[0:1]
	s_cmp_lg_u32 s6, 0
	v_mov_b32_e32 v1, v2
	s_cbranch_scc1 .LBB489_283
.LBB489_284:
	s_cbranch_execnz .LBB489_287
.LBB489_285:
	v_mul_hi_u32 v0, s25, v8
	v_add_u32_e32 v0, v8, v0
	s_waitcnt vmcnt(0)
	v_lshrrev_b32_e32 v1, s26, v0
	v_mul_lo_u32 v0, v1, s24
	v_sub_u32_e32 v0, v8, v0
	v_mul_lo_u32 v2, v0, s29
	s_andn2_b64 vcc, exec, s[48:49]
	v_mul_lo_u32 v0, v0, s28
	s_cbranch_vccnz .LBB489_287
; %bb.286:
	v_mul_hi_u32 v3, s46, v1
	v_add_u32_e32 v3, v1, v3
	v_lshrrev_b32_e32 v3, s47, v3
	v_mul_lo_u32 v3, v3, s27
	v_sub_u32_e32 v3, v1, v3
	v_mad_u64_u32 v[0:1], s[2:3], v3, s30, v[0:1]
	v_mad_u64_u32 v[2:3], s[2:3], v3, s31, v[2:3]
.LBB489_287:
	v_mov_b32_e32 v3, 0
	s_and_b32 s10, 0xffff, s76
	s_cmp_lt_i32 s10, 11
	v_lshl_add_u64 v[2:3], s[22:23], 0, v[2:3]
	s_cbranch_scc1 .LBB489_294
; %bb.288:
	s_cmp_gt_i32 s10, 25
	s_cbranch_scc0 .LBB489_303
; %bb.289:
	s_cmp_gt_i32 s10, 28
	s_cbranch_scc0 .LBB489_305
	;; [unrolled: 3-line block ×4, first 2 shown]
; %bb.292:
	s_cmp_eq_u32 s10, 46
	s_mov_b64 s[6:7], 0
	s_cbranch_scc0 .LBB489_315
; %bb.293:
	global_load_dword v1, v[2:3], off
	s_mov_b64 s[2:3], -1
	s_mov_b64 s[4:5], 0
	s_branch .LBB489_316
.LBB489_294:
	s_mov_b64 s[2:3], 0
                                        ; implicit-def: $vgpr1
	s_mov_b64 s[4:5], s[56:57]
	s_cbranch_execnz .LBB489_493
.LBB489_295:
	s_andn2_b64 vcc, exec, s[2:3]
	s_cbranch_vccnz .LBB489_541
.LBB489_296:
	s_waitcnt vmcnt(0)
	v_lshlrev_b32_e32 v2, 16, v1
	v_cmp_u_f32_e32 vcc, v2, v2
	v_cmp_gt_f32_e64 s[2:3], s75, v2
	v_mov_b32_e32 v2, s74
	s_or_b64 vcc, vcc, s[2:3]
	v_cndmask_b32_e32 v2, v2, v1, vcc
	v_mov_b32_e32 v1, 0
	s_and_b32 s12, s73, 0xff
	s_cmp_lt_i32 s12, 11
	v_lshl_add_u64 v[0:1], s[20:21], 0, v[0:1]
	s_cbranch_scc1 .LBB489_304
; %bb.297:
	s_and_b32 s13, 0xffff, s12
	s_cmp_gt_i32 s13, 25
	s_cbranch_scc0 .LBB489_306
; %bb.298:
	s_cmp_gt_i32 s13, 28
	s_cbranch_scc0 .LBB489_308
; %bb.299:
	;; [unrolled: 3-line block ×4, first 2 shown]
	s_mov_b64 s[8:9], 0
	s_mov_b64 s[2:3], -1
	s_cmp_eq_u32 s13, 46
	s_mov_b64 s[6:7], 0
	s_cbranch_scc0 .LBB489_320
; %bb.302:
	v_and_b32_e32 v3, 0xffff, v2
	global_store_dword v[0:1], v3, off
	s_mov_b64 s[6:7], -1
	s_mov_b64 s[2:3], 0
	s_branch .LBB489_320
.LBB489_303:
	s_mov_b64 s[6:7], -1
	s_mov_b64 s[2:3], 0
	s_mov_b64 s[4:5], s[56:57]
                                        ; implicit-def: $vgpr1
	s_branch .LBB489_457
.LBB489_304:
	s_mov_b64 s[8:9], -1
	s_mov_b64 s[6:7], 0
	s_mov_b64 s[2:3], s[54:55]
	s_branch .LBB489_389
.LBB489_305:
	s_mov_b64 s[6:7], -1
	s_mov_b64 s[2:3], 0
	s_mov_b64 s[4:5], s[56:57]
                                        ; implicit-def: $vgpr1
	s_branch .LBB489_438
.LBB489_306:
	s_mov_b64 s[8:9], -1
	s_mov_b64 s[6:7], 0
	s_mov_b64 s[2:3], s[54:55]
	s_branch .LBB489_347
.LBB489_307:
	s_mov_b64 s[6:7], -1
	s_mov_b64 s[2:3], 0
	s_mov_b64 s[4:5], s[56:57]
                                        ; implicit-def: $vgpr1
	s_branch .LBB489_433
.LBB489_308:
	s_mov_b64 s[8:9], -1
	s_mov_b64 s[6:7], 0
	s_mov_b64 s[2:3], s[54:55]
	s_branch .LBB489_330
.LBB489_309:
	s_andn2_saveexec_b64 s[10:11], s[10:11]
	s_cbranch_execz .LBB489_69
.LBB489_310:
	s_mov_b32 s14, 0x46000000
	v_add_f32_e64 v4, |v5|, s14
	v_and_b32_e32 v4, 0xff, v4
	v_cmp_ne_u32_e32 vcc, 0, v4
	s_andn2_b64 s[8:9], s[8:9], exec
	s_and_b64 s[14:15], vcc, exec
	s_or_b64 s[8:9], s[8:9], s[14:15]
	s_or_b64 exec, exec, s[10:11]
	v_mov_b32_e32 v6, 0
	s_and_saveexec_b64 s[10:11], s[8:9]
	s_cbranch_execnz .LBB489_70
	s_branch .LBB489_71
.LBB489_311:
	s_mov_b64 s[6:7], -1
	s_mov_b64 s[2:3], 0
	s_mov_b64 s[4:5], s[56:57]
                                        ; implicit-def: $vgpr1
	s_branch .LBB489_316
.LBB489_312:
	s_mov_b64 s[8:9], -1
	s_mov_b64 s[6:7], 0
	s_mov_b64 s[2:3], s[54:55]
	s_branch .LBB489_326
.LBB489_313:
	s_andn2_saveexec_b64 s[10:11], s[10:11]
	s_cbranch_execz .LBB489_82
.LBB489_314:
	s_mov_b32 s14, 0x42800000
	v_add_f32_e64 v4, |v5|, s14
	v_and_b32_e32 v4, 0xff, v4
	v_cmp_ne_u32_e32 vcc, 0, v4
	s_andn2_b64 s[8:9], s[8:9], exec
	s_and_b64 s[14:15], vcc, exec
	s_or_b64 s[8:9], s[8:9], s[14:15]
	s_or_b64 exec, exec, s[10:11]
	v_mov_b32_e32 v6, 0
	s_and_saveexec_b64 s[10:11], s[8:9]
	s_cbranch_execnz .LBB489_83
	s_branch .LBB489_84
.LBB489_315:
	s_mov_b64 s[4:5], -1
                                        ; implicit-def: $vgpr1
	s_mov_b64 s[2:3], 0
.LBB489_316:
	s_and_b64 vcc, exec, s[6:7]
	s_cbranch_vccz .LBB489_432
; %bb.317:
	s_cmp_eq_u32 s10, 44
	s_cbranch_scc0 .LBB489_431
; %bb.318:
	global_load_ubyte v1, v[2:3], off
	s_movk_i32 s4, 0xff
	v_mov_b32_e32 v4, 0x7f800001
	v_mov_b32_e32 v5, 0x400000
	v_mov_b32_e32 v6, 0x7fc0
	s_mov_b64 s[2:3], -1
	s_waitcnt vmcnt(0)
	v_lshlrev_b32_e32 v7, 23, v1
	v_cmp_ne_u32_e32 vcc, s4, v1
	s_mov_b64 s[4:5], 0
	s_nop 0
	v_cndmask_b32_e32 v4, v4, v7, vcc
	v_cmp_ne_u32_e32 vcc, 0, v1
	s_nop 1
	v_cndmask_b32_e32 v1, v5, v4, vcc
	v_add_u32_e32 v4, 0x7fff, v1
	v_cmp_o_f32_e32 vcc, v1, v1
	s_nop 1
	v_cndmask_b32_sdwa v1, v6, v4, vcc dst_sel:DWORD dst_unused:UNUSED_PAD src0_sel:DWORD src1_sel:WORD_1
	s_branch .LBB489_432
.LBB489_319:
	s_mov_b64 s[8:9], -1
	s_mov_b64 s[6:7], 0
	s_mov_b64 s[2:3], s[54:55]
.LBB489_320:
	s_and_b64 vcc, exec, s[8:9]
	s_cbranch_vccz .LBB489_325
; %bb.321:
	s_cmp_eq_u32 s13, 44
	s_mov_b64 s[2:3], -1
	s_cbranch_scc0 .LBB489_325
; %bb.322:
	v_and_b32_e32 v4, 0xffff, v2
	v_bfe_u32 v3, v4, 7, 8
	s_movk_i32 s2, 0xff
	v_cmp_ne_u32_e32 vcc, s2, v3
	v_mov_b32_e32 v5, 0xff
	s_and_saveexec_b64 s[6:7], vcc
	s_cbranch_execz .LBB489_324
; %bb.323:
	v_lshlrev_b32_e32 v6, 16, v4
	s_mov_b32 s2, 0x3f0000
	v_lshrrev_b32_e32 v5, 7, v4
	v_and_b32_e32 v4, 64, v4
	v_and_or_b32 v3, v6, s2, v3
	v_cmp_ne_u32_e32 vcc, 0, v4
	v_cmp_ne_u32_e64 s[2:3], 0, v3
	s_and_b64 s[2:3], vcc, s[2:3]
	s_nop 0
	v_cndmask_b32_e64 v3, 0, 1, s[2:3]
	v_add_u32_e32 v5, v5, v3
.LBB489_324:
	s_or_b64 exec, exec, s[6:7]
	s_mov_b64 s[6:7], -1
	s_mov_b64 s[2:3], 0
	global_store_byte v[0:1], v5, off
.LBB489_325:
	s_mov_b64 s[8:9], 0
.LBB489_326:
	s_and_b64 vcc, exec, s[8:9]
	s_cbranch_vccz .LBB489_329
; %bb.327:
	s_cmp_eq_u32 s13, 29
	s_mov_b64 s[2:3], -1
	s_cbranch_scc0 .LBB489_329
; %bb.328:
	v_lshlrev_b32_e32 v3, 16, v2
	v_trunc_f32_e32 v3, v3
	v_mul_f32_e32 v4, 0x2f800000, v3
	v_floor_f32_e32 v4, v4
	v_fmamk_f32 v3, v4, 0xcf800000, v3
	v_cvt_u32_f32_e32 v5, v4
	v_cvt_u32_f32_e32 v4, v3
	s_mov_b64 s[6:7], -1
	s_mov_b64 s[2:3], 0
	s_mov_b64 s[8:9], 0
	global_store_dwordx2 v[0:1], v[4:5], off
	s_branch .LBB489_330
.LBB489_329:
	s_mov_b64 s[8:9], 0
.LBB489_330:
	s_and_b64 vcc, exec, s[8:9]
	s_cbranch_vccz .LBB489_346
; %bb.331:
	s_cmp_lt_i32 s13, 27
	s_mov_b64 s[6:7], -1
	s_cbranch_scc1 .LBB489_337
; %bb.332:
	s_cmp_gt_i32 s13, 27
	s_cbranch_scc0 .LBB489_334
; %bb.333:
	v_lshlrev_b32_e32 v3, 16, v2
	v_cvt_u32_f32_e32 v3, v3
	s_mov_b64 s[6:7], 0
	global_store_dword v[0:1], v3, off
.LBB489_334:
	s_andn2_b64 vcc, exec, s[6:7]
	s_cbranch_vccnz .LBB489_336
; %bb.335:
	v_lshlrev_b32_e32 v3, 16, v2
	v_cvt_u32_f32_e32 v3, v3
	global_store_short v[0:1], v3, off
.LBB489_336:
	s_mov_b64 s[6:7], 0
.LBB489_337:
	s_andn2_b64 vcc, exec, s[6:7]
	s_cbranch_vccnz .LBB489_345
; %bb.338:
	v_lshlrev_b32_e32 v5, 16, v2
	v_and_b32_e32 v4, 0x7fffffff, v5
	s_mov_b32 s6, 0x43800000
	v_cmp_gt_u32_e32 vcc, s6, v4
	v_mov_b32_e32 v6, 0x80
	s_and_saveexec_b64 s[6:7], vcc
	s_cbranch_execz .LBB489_344
; %bb.339:
	s_mov_b32 s8, 0x3bffffff
	v_and_b32_e32 v3, 0xffff, v2
	v_cmp_lt_u32_e32 vcc, s8, v4
	s_mov_b64 s[8:9], 0
                                        ; implicit-def: $vgpr4
	s_and_saveexec_b64 s[10:11], vcc
	s_xor_b64 s[10:11], exec, s[10:11]
	s_cbranch_execz .LBB489_573
; %bb.340:
	v_bfe_u32 v4, v3, 4, 1
	s_mov_b32 s14, 0x487ffff
	v_add3_u32 v4, v5, v4, s14
	s_mov_b64 s[8:9], exec
	v_lshrrev_b32_e32 v4, 20, v4
                                        ; implicit-def: $vgpr5
	s_andn2_saveexec_b64 s[10:11], s[10:11]
	s_cbranch_execnz .LBB489_574
.LBB489_341:
	s_or_b64 exec, exec, s[10:11]
	v_mov_b32_e32 v6, 0
	s_and_saveexec_b64 s[10:11], s[8:9]
.LBB489_342:
	v_lshrrev_b32_e32 v3, 8, v3
	s_movk_i32 s8, 0x80
	v_and_or_b32 v6, v3, s8, v4
.LBB489_343:
	s_or_b64 exec, exec, s[10:11]
.LBB489_344:
	s_or_b64 exec, exec, s[6:7]
	global_store_byte v[0:1], v6, off
.LBB489_345:
	s_mov_b64 s[6:7], -1
.LBB489_346:
	s_mov_b64 s[8:9], 0
.LBB489_347:
	s_and_b64 vcc, exec, s[8:9]
	s_cbranch_vccz .LBB489_388
; %bb.348:
	s_cmp_gt_i32 s13, 22
	s_mov_b64 s[8:9], -1
	s_cbranch_scc0 .LBB489_380
; %bb.349:
	s_cmp_lt_i32 s13, 24
	s_mov_b64 s[6:7], -1
	s_cbranch_scc1 .LBB489_369
; %bb.350:
	s_cmp_gt_i32 s13, 24
	s_cbranch_scc0 .LBB489_358
; %bb.351:
	v_lshlrev_b32_e32 v5, 16, v2
	v_and_b32_e32 v4, 0x7fffffff, v5
	s_mov_b32 s6, 0x47800000
	v_cmp_gt_u32_e32 vcc, s6, v4
	v_mov_b32_e32 v6, 0x80
	s_and_saveexec_b64 s[6:7], vcc
	s_cbranch_execz .LBB489_357
; %bb.352:
	s_mov_b32 s8, 0x37ffffff
	v_and_b32_e32 v3, 0xffff, v2
	v_cmp_lt_u32_e32 vcc, s8, v4
	s_mov_b64 s[8:9], 0
                                        ; implicit-def: $vgpr4
	s_and_saveexec_b64 s[10:11], vcc
	s_xor_b64 s[10:11], exec, s[10:11]
	s_cbranch_execz .LBB489_576
; %bb.353:
	v_bfe_u32 v4, v3, 5, 1
	s_mov_b32 s14, 0x88fffff
	v_add3_u32 v4, v5, v4, s14
	s_mov_b64 s[8:9], exec
	v_lshrrev_b32_e32 v4, 21, v4
                                        ; implicit-def: $vgpr5
	s_andn2_saveexec_b64 s[10:11], s[10:11]
	s_cbranch_execnz .LBB489_577
.LBB489_354:
	s_or_b64 exec, exec, s[10:11]
	v_mov_b32_e32 v6, 0
	s_and_saveexec_b64 s[10:11], s[8:9]
.LBB489_355:
	v_lshrrev_b32_e32 v3, 8, v3
	s_movk_i32 s8, 0x80
	v_and_or_b32 v6, v3, s8, v4
.LBB489_356:
	s_or_b64 exec, exec, s[10:11]
.LBB489_357:
	s_or_b64 exec, exec, s[6:7]
	s_mov_b64 s[6:7], 0
	global_store_byte v[0:1], v6, off
.LBB489_358:
	s_and_b64 vcc, exec, s[6:7]
	s_cbranch_vccz .LBB489_368
; %bb.359:
	v_lshlrev_b32_e32 v5, 16, v2
	v_and_b32_e32 v6, 0x7fffffff, v5
	s_mov_b32 s6, 0x43f00000
	v_and_b32_e32 v3, 0xffff, v2
	v_cmp_gt_u32_e32 vcc, s6, v6
                                        ; implicit-def: $vgpr4
	s_and_saveexec_b64 s[6:7], vcc
	s_xor_b64 s[6:7], exec, s[6:7]
	s_cbranch_execz .LBB489_365
; %bb.360:
	s_mov_b32 s8, 0x3c7fffff
	v_cmp_lt_u32_e32 vcc, s8, v6
                                        ; implicit-def: $vgpr4
	s_and_saveexec_b64 s[8:9], vcc
	s_xor_b64 s[8:9], exec, s[8:9]
; %bb.361:
	v_bfe_u32 v4, v3, 4, 1
	s_mov_b32 s10, 0x407ffff
	v_add3_u32 v4, v5, v4, s10
	v_lshrrev_b32_e32 v5, 20, v4
	v_and_b32_e32 v4, 0xff00000, v4
	s_mov_b32 s10, 0x7f00000
	v_mov_b32_e32 v6, 0x7e
	v_cmp_ne_u32_e32 vcc, s10, v4
	s_nop 1
	v_cndmask_b32_e32 v4, v6, v5, vcc
                                        ; implicit-def: $vgpr5
; %bb.362:
	s_andn2_saveexec_b64 s[8:9], s[8:9]
; %bb.363:
	s_mov_b32 s10, 0x46800000
	v_add_f32_e64 v4, |v5|, s10
; %bb.364:
	s_or_b64 exec, exec, s[8:9]
                                        ; implicit-def: $vgpr6
.LBB489_365:
	s_andn2_saveexec_b64 s[6:7], s[6:7]
; %bb.366:
	s_mov_b32 s8, 0x7f800000
	v_mov_b32_e32 v4, 0x7e
	v_mov_b32_e32 v5, 0x7f
	v_cmp_lt_u32_e32 vcc, s8, v6
	s_nop 1
	v_cndmask_b32_e32 v4, v4, v5, vcc
; %bb.367:
	s_or_b64 exec, exec, s[6:7]
	v_lshrrev_b32_e32 v3, 8, v3
	s_movk_i32 s6, 0x80
	v_and_or_b32 v3, v3, s6, v4
	global_store_byte v[0:1], v3, off
.LBB489_368:
	s_mov_b64 s[6:7], 0
.LBB489_369:
	s_andn2_b64 vcc, exec, s[6:7]
	s_cbranch_vccnz .LBB489_379
; %bb.370:
	v_lshlrev_b32_e32 v5, 16, v2
	v_and_b32_e32 v6, 0x7fffffff, v5
	s_mov_b32 s6, 0x47800000
	v_and_b32_e32 v3, 0xffff, v2
	v_cmp_gt_u32_e32 vcc, s6, v6
                                        ; implicit-def: $vgpr4
	s_and_saveexec_b64 s[6:7], vcc
	s_xor_b64 s[6:7], exec, s[6:7]
	s_cbranch_execz .LBB489_376
; %bb.371:
	s_mov_b32 s8, 0x387fffff
	v_cmp_lt_u32_e32 vcc, s8, v6
                                        ; implicit-def: $vgpr4
	s_and_saveexec_b64 s[8:9], vcc
	s_xor_b64 s[8:9], exec, s[8:9]
; %bb.372:
	v_bfe_u32 v4, v3, 5, 1
	s_mov_b32 s10, 0x80fffff
	v_add3_u32 v4, v5, v4, s10
	v_lshrrev_b32_e32 v4, 21, v4
                                        ; implicit-def: $vgpr5
; %bb.373:
	s_andn2_saveexec_b64 s[8:9], s[8:9]
; %bb.374:
	s_mov_b32 s10, 0x43000000
	v_add_f32_e64 v4, |v5|, s10
; %bb.375:
	s_or_b64 exec, exec, s[8:9]
                                        ; implicit-def: $vgpr6
.LBB489_376:
	s_andn2_saveexec_b64 s[6:7], s[6:7]
; %bb.377:
	s_mov_b32 s8, 0x7f800000
	v_mov_b32_e32 v4, 0x7c
	v_mov_b32_e32 v5, 0x7f
	v_cmp_lt_u32_e32 vcc, s8, v6
	s_nop 1
	v_cndmask_b32_e32 v4, v4, v5, vcc
; %bb.378:
	s_or_b64 exec, exec, s[6:7]
	v_lshrrev_b32_e32 v3, 8, v3
	s_movk_i32 s6, 0x80
	v_and_or_b32 v3, v3, s6, v4
	global_store_byte v[0:1], v3, off
.LBB489_379:
	s_mov_b64 s[8:9], 0
	s_mov_b64 s[6:7], -1
.LBB489_380:
	s_andn2_b64 vcc, exec, s[8:9]
	s_cbranch_vccnz .LBB489_388
; %bb.381:
	s_cmp_gt_i32 s13, 14
	s_mov_b64 s[8:9], -1
	s_cbranch_scc0 .LBB489_385
; %bb.382:
	s_cmp_eq_u32 s13, 15
	s_mov_b64 s[2:3], -1
	s_cbranch_scc0 .LBB489_384
; %bb.383:
	global_store_short v[0:1], v2, off
	s_mov_b64 s[6:7], -1
	s_mov_b64 s[2:3], 0
.LBB489_384:
	s_mov_b64 s[8:9], 0
.LBB489_385:
	s_and_b64 vcc, exec, s[8:9]
	s_cbranch_vccz .LBB489_388
; %bb.386:
	s_cmp_eq_u32 s13, 11
	s_mov_b64 s[2:3], -1
	s_cbranch_scc0 .LBB489_388
; %bb.387:
	v_and_b32_e32 v3, 0x7fff, v2
	v_cmp_ne_u16_e32 vcc, 0, v3
	s_mov_b64 s[6:7], -1
	s_mov_b64 s[2:3], 0
	v_cndmask_b32_e64 v3, 0, 1, vcc
	global_store_byte v[0:1], v3, off
.LBB489_388:
	s_mov_b64 s[8:9], 0
.LBB489_389:
	s_and_b64 vcc, exec, s[8:9]
	s_cbranch_vccz .LBB489_428
; %bb.390:
	s_and_b32 s8, 0xffff, s12
	s_cmp_lt_i32 s8, 5
	s_mov_b64 s[6:7], -1
	s_cbranch_scc1 .LBB489_411
; %bb.391:
	s_cmp_lt_i32 s8, 8
	s_cbranch_scc1 .LBB489_401
; %bb.392:
	s_cmp_lt_i32 s8, 9
	s_cbranch_scc1 .LBB489_398
; %bb.393:
	s_cmp_gt_i32 s8, 9
	s_cbranch_scc0 .LBB489_395
; %bb.394:
	v_lshlrev_b32_e32 v3, 16, v2
	v_mov_b32_e32 v6, 0
	v_cvt_f64_f32_e32 v[4:5], v3
	v_mov_b32_e32 v7, v6
	s_mov_b64 s[6:7], 0
	global_store_dwordx4 v[0:1], v[4:7], off
.LBB489_395:
	s_andn2_b64 vcc, exec, s[6:7]
	s_cbranch_vccnz .LBB489_397
; %bb.396:
	v_lshlrev_b32_e32 v4, 16, v2
	v_mov_b32_e32 v5, 0
	global_store_dwordx2 v[0:1], v[4:5], off
.LBB489_397:
	s_mov_b64 s[6:7], 0
.LBB489_398:
	s_andn2_b64 vcc, exec, s[6:7]
	s_cbranch_vccnz .LBB489_400
; %bb.399:
	v_lshlrev_b32_e32 v3, 16, v2
	v_cvt_f16_f32_e32 v3, v3
	global_store_dword v[0:1], v3, off
.LBB489_400:
	s_mov_b64 s[6:7], 0
.LBB489_401:
	s_andn2_b64 vcc, exec, s[6:7]
	s_cbranch_vccnz .LBB489_410
; %bb.402:
	s_cmp_lt_i32 s8, 6
	s_mov_b64 s[6:7], -1
	s_cbranch_scc1 .LBB489_408
; %bb.403:
	s_cmp_gt_i32 s8, 6
	s_cbranch_scc0 .LBB489_405
; %bb.404:
	v_lshlrev_b32_e32 v3, 16, v2
	v_cvt_f64_f32_e32 v[4:5], v3
	s_mov_b64 s[6:7], 0
	global_store_dwordx2 v[0:1], v[4:5], off
.LBB489_405:
	s_andn2_b64 vcc, exec, s[6:7]
	s_cbranch_vccnz .LBB489_407
; %bb.406:
	v_lshlrev_b32_e32 v3, 16, v2
	global_store_dword v[0:1], v3, off
.LBB489_407:
	s_mov_b64 s[6:7], 0
.LBB489_408:
	s_andn2_b64 vcc, exec, s[6:7]
	s_cbranch_vccnz .LBB489_410
; %bb.409:
	v_lshlrev_b32_e32 v3, 16, v2
	v_cvt_f16_f32_e32 v3, v3
	global_store_short v[0:1], v3, off
.LBB489_410:
	s_mov_b64 s[6:7], 0
.LBB489_411:
	s_andn2_b64 vcc, exec, s[6:7]
	s_cbranch_vccnz .LBB489_427
; %bb.412:
	s_cmp_lt_i32 s8, 2
	s_mov_b64 s[6:7], -1
	s_cbranch_scc1 .LBB489_422
; %bb.413:
	s_cmp_lt_i32 s8, 3
	s_cbranch_scc1 .LBB489_419
; %bb.414:
	s_cmp_gt_i32 s8, 3
	s_cbranch_scc0 .LBB489_416
; %bb.415:
	v_lshlrev_b32_e32 v3, 16, v2
	v_trunc_f32_e32 v3, v3
	s_mov_b32 s6, 0x2f800000
	v_mul_f32_e64 v4, |v3|, s6
	v_floor_f32_e32 v4, v4
	s_mov_b32 s6, 0xcf800000
	v_cvt_u32_f32_e32 v5, v4
	v_fma_f32 v4, v4, s6, |v3|
	v_cvt_u32_f32_e32 v4, v4
	v_ashrrev_i32_e32 v3, 31, v3
	v_xor_b32_e32 v5, v5, v3
	s_mov_b64 s[6:7], 0
	v_xor_b32_e32 v4, v4, v3
	v_sub_co_u32_e32 v4, vcc, v4, v3
	s_nop 1
	v_subb_co_u32_e32 v5, vcc, v5, v3, vcc
	global_store_dwordx2 v[0:1], v[4:5], off
.LBB489_416:
	s_andn2_b64 vcc, exec, s[6:7]
	s_cbranch_vccnz .LBB489_418
; %bb.417:
	v_lshlrev_b32_e32 v3, 16, v2
	v_cvt_i32_f32_e32 v3, v3
	global_store_dword v[0:1], v3, off
.LBB489_418:
	s_mov_b64 s[6:7], 0
.LBB489_419:
	s_andn2_b64 vcc, exec, s[6:7]
	s_cbranch_vccnz .LBB489_421
; %bb.420:
	v_lshlrev_b32_e32 v3, 16, v2
	v_cvt_i32_f32_e32 v3, v3
	global_store_short v[0:1], v3, off
.LBB489_421:
	s_mov_b64 s[6:7], 0
.LBB489_422:
	s_andn2_b64 vcc, exec, s[6:7]
	s_cbranch_vccnz .LBB489_427
; %bb.423:
	s_mov_b64 s[6:7], -1
	s_cmp_gt_i32 s8, 0
	v_lshlrev_b32_e32 v2, 16, v2
	s_cbranch_scc0 .LBB489_425
; %bb.424:
	v_cvt_i32_f32_e32 v3, v2
	s_mov_b64 s[6:7], 0
	global_store_byte v[0:1], v3, off
.LBB489_425:
	s_andn2_b64 vcc, exec, s[6:7]
	s_cbranch_vccnz .LBB489_427
; %bb.426:
	v_trunc_f32_e32 v2, v2
	s_mov_b32 s6, 0x2f800000
	v_mul_f32_e64 v3, |v2|, s6
	v_floor_f32_e32 v3, v3
	s_mov_b32 s6, 0xcf800000
	v_fma_f32 v3, v3, s6, |v2|
	v_cvt_u32_f32_e32 v3, v3
	v_ashrrev_i32_e32 v2, 31, v2
	v_xor_b32_e32 v3, v3, v2
	v_sub_u32_e32 v2, v3, v2
	global_store_byte v[0:1], v2, off
.LBB489_427:
	s_mov_b64 s[6:7], -1
.LBB489_428:
	s_andn2_b64 vcc, exec, s[6:7]
	s_cbranch_vccnz .LBB489_430
; %bb.429:
	v_add_u32_e32 v8, 0x80, v8
	s_mov_b64 s[6:7], -1
	s_branch .LBB489_543
.LBB489_430:
	s_mov_b64 s[6:7], 0
	s_branch .LBB489_542
.LBB489_431:
	s_mov_b64 s[4:5], -1
                                        ; implicit-def: $vgpr1
.LBB489_432:
	s_mov_b64 s[6:7], 0
.LBB489_433:
	s_and_b64 vcc, exec, s[6:7]
	s_cbranch_vccz .LBB489_437
; %bb.434:
	s_cmp_eq_u32 s10, 29
	s_cbranch_scc0 .LBB489_436
; %bb.435:
	global_load_dwordx2 v[4:5], v[2:3], off
	s_movk_i32 s4, 0x7fff
	s_mov_b64 s[2:3], -1
	s_mov_b64 s[6:7], 0
	s_waitcnt vmcnt(0)
	v_ffbh_u32_e32 v1, v5
	v_min_u32_e32 v1, 32, v1
	v_lshlrev_b64 v[4:5], v1, v[4:5]
	v_min_u32_e32 v4, 1, v4
	v_or_b32_e32 v4, v5, v4
	v_cvt_f32_u32_e32 v4, v4
	v_sub_u32_e32 v1, 32, v1
	v_ldexp_f32 v1, v4, v1
	v_bfe_u32 v4, v1, 16, 1
	v_add3_u32 v1, v1, v4, s4
	v_lshrrev_b32_e32 v1, 16, v1
	s_mov_b64 s[4:5], 0
	s_branch .LBB489_438
.LBB489_436:
	s_mov_b64 s[4:5], -1
                                        ; implicit-def: $vgpr1
.LBB489_437:
	s_mov_b64 s[6:7], 0
.LBB489_438:
	s_and_b64 vcc, exec, s[6:7]
	s_cbranch_vccz .LBB489_456
; %bb.439:
	s_cmp_lt_i32 s10, 27
	s_cbranch_scc1 .LBB489_442
; %bb.440:
	s_cmp_gt_i32 s10, 27
	s_cbranch_scc0 .LBB489_443
; %bb.441:
	global_load_dword v1, v[2:3], off
	s_movk_i32 s2, 0x7fff
	s_waitcnt vmcnt(0)
	v_cvt_f32_u32_e32 v1, v1
	v_bfe_u32 v4, v1, 16, 1
	v_add3_u32 v1, v1, v4, s2
	v_lshrrev_b32_e32 v1, 16, v1
	s_mov_b64 s[2:3], 0
	s_branch .LBB489_444
.LBB489_442:
	s_mov_b64 s[2:3], -1
                                        ; implicit-def: $vgpr1
	s_branch .LBB489_447
.LBB489_443:
	s_mov_b64 s[2:3], -1
                                        ; implicit-def: $vgpr1
.LBB489_444:
	s_andn2_b64 vcc, exec, s[2:3]
	s_cbranch_vccnz .LBB489_446
; %bb.445:
	global_load_ushort v1, v[2:3], off
	s_movk_i32 s2, 0x7fff
	s_waitcnt vmcnt(0)
	v_cvt_f32_u32_e32 v1, v1
	v_bfe_u32 v4, v1, 16, 1
	v_add3_u32 v1, v1, v4, s2
	v_lshrrev_b32_e32 v1, 16, v1
.LBB489_446:
	s_mov_b64 s[2:3], 0
.LBB489_447:
	s_andn2_b64 vcc, exec, s[2:3]
	s_cbranch_vccnz .LBB489_455
; %bb.448:
	global_load_ubyte v1, v[2:3], off
	s_movk_i32 s2, 0x7f
	s_waitcnt vmcnt(0)
	v_cmp_lt_i16_e32 vcc, s2, v1
	s_mov_b64 s[2:3], 0
	s_and_saveexec_b64 s[6:7], vcc
	s_xor_b64 s[6:7], exec, s[6:7]
	s_cbranch_execz .LBB489_469
; %bb.449:
	s_movk_i32 s2, 0x80
	v_cmp_eq_u16_e32 vcc, s2, v1
	s_mov_b64 s[2:3], -1
	s_and_saveexec_b64 s[8:9], vcc
; %bb.450:
	s_xor_b64 s[2:3], exec, -1
; %bb.451:
	s_or_b64 exec, exec, s[8:9]
	s_and_b64 s[2:3], s[2:3], exec
	s_or_saveexec_b64 s[6:7], s[6:7]
	v_mov_b32_e32 v4, 0x7f800001
	s_xor_b64 exec, exec, s[6:7]
	s_cbranch_execnz .LBB489_470
.LBB489_452:
	s_or_b64 exec, exec, s[6:7]
	s_and_saveexec_b64 s[6:7], s[2:3]
	s_cbranch_execz .LBB489_454
.LBB489_453:
	v_lshlrev_b32_e32 v4, 24, v1
	v_and_b32_e32 v1, 0xffff, v1
	v_and_b32_e32 v5, 7, v1
	v_ffbh_u32_e32 v7, v5
	v_min_u32_e32 v7, 32, v7
	v_subrev_u32_e32 v9, 28, v7
	v_bfe_u32 v6, v1, 3, 4
	v_lshlrev_b32_e32 v1, v9, v1
	v_sub_u32_e32 v7, 29, v7
	v_and_b32_e32 v1, 7, v1
	v_cmp_eq_u32_e32 vcc, 0, v6
	v_and_b32_e32 v4, 0x80000000, v4
	s_nop 0
	v_cndmask_b32_e32 v6, v6, v7, vcc
	v_cndmask_b32_e32 v1, v5, v1, vcc
	v_mov_b32_e32 v5, 0x3b800000
	v_lshlrev_b32_e32 v1, 20, v1
	v_lshl_add_u32 v5, v6, 23, v5
	v_or3_b32 v4, v4, v5, v1
.LBB489_454:
	s_or_b64 exec, exec, s[6:7]
	v_bfe_u32 v1, v4, 16, 1
	s_movk_i32 s2, 0x7fff
	v_add3_u32 v1, v4, v1, s2
	v_cmp_o_f32_e32 vcc, v4, v4
	v_mov_b32_e32 v4, 0x7fc0
	s_nop 0
	v_cndmask_b32_sdwa v1, v4, v1, vcc dst_sel:DWORD dst_unused:UNUSED_PAD src0_sel:DWORD src1_sel:WORD_1
.LBB489_455:
	s_mov_b64 s[2:3], -1
.LBB489_456:
	s_mov_b64 s[6:7], 0
.LBB489_457:
	s_and_b64 vcc, exec, s[6:7]
	s_cbranch_vccz .LBB489_492
; %bb.458:
	s_cmp_gt_i32 s10, 22
	s_cbranch_scc0 .LBB489_468
; %bb.459:
	s_cmp_lt_i32 s10, 24
	s_cbranch_scc1 .LBB489_471
; %bb.460:
	s_cmp_gt_i32 s10, 24
	s_cbranch_scc0 .LBB489_472
; %bb.461:
	global_load_ubyte v1, v[2:3], off
	s_movk_i32 s2, 0x7f
	s_waitcnt vmcnt(0)
	v_cmp_lt_i16_e32 vcc, s2, v1
	s_mov_b64 s[2:3], 0
	s_and_saveexec_b64 s[6:7], vcc
	s_xor_b64 s[6:7], exec, s[6:7]
	s_cbranch_execz .LBB489_484
; %bb.462:
	s_movk_i32 s2, 0x80
	v_cmp_eq_u16_e32 vcc, s2, v1
	s_mov_b64 s[2:3], -1
	s_and_saveexec_b64 s[8:9], vcc
; %bb.463:
	s_xor_b64 s[2:3], exec, -1
; %bb.464:
	s_or_b64 exec, exec, s[8:9]
	s_and_b64 s[2:3], s[2:3], exec
	s_or_saveexec_b64 s[6:7], s[6:7]
	v_mov_b32_e32 v4, 0x7f800001
	s_xor_b64 exec, exec, s[6:7]
	s_cbranch_execnz .LBB489_485
.LBB489_465:
	s_or_b64 exec, exec, s[6:7]
	s_and_saveexec_b64 s[6:7], s[2:3]
	s_cbranch_execz .LBB489_467
.LBB489_466:
	v_lshlrev_b32_e32 v4, 24, v1
	v_and_b32_e32 v1, 0xffff, v1
	v_and_b32_e32 v5, 3, v1
	v_ffbh_u32_e32 v7, v5
	v_min_u32_e32 v7, 32, v7
	v_subrev_u32_e32 v9, 29, v7
	v_bfe_u32 v6, v1, 2, 5
	v_lshlrev_b32_e32 v1, v9, v1
	v_sub_u32_e32 v7, 30, v7
	v_and_b32_e32 v1, 3, v1
	v_cmp_eq_u32_e32 vcc, 0, v6
	v_and_b32_e32 v4, 0x80000000, v4
	s_nop 0
	v_cndmask_b32_e32 v6, v6, v7, vcc
	v_cndmask_b32_e32 v1, v5, v1, vcc
	v_mov_b32_e32 v5, 0x37800000
	v_lshlrev_b32_e32 v1, 21, v1
	v_lshl_add_u32 v5, v6, 23, v5
	v_or3_b32 v4, v4, v5, v1
.LBB489_467:
	s_or_b64 exec, exec, s[6:7]
	v_bfe_u32 v1, v4, 16, 1
	s_movk_i32 s2, 0x7fff
	v_add3_u32 v1, v4, v1, s2
	v_cmp_o_f32_e32 vcc, v4, v4
	v_mov_b32_e32 v4, 0x7fc0
	s_mov_b64 s[2:3], 0
	v_cndmask_b32_sdwa v1, v4, v1, vcc dst_sel:DWORD dst_unused:UNUSED_PAD src0_sel:DWORD src1_sel:WORD_1
	s_branch .LBB489_473
.LBB489_468:
	s_mov_b64 s[6:7], -1
                                        ; implicit-def: $vgpr1
	s_branch .LBB489_479
.LBB489_469:
	s_or_saveexec_b64 s[6:7], s[6:7]
	v_mov_b32_e32 v4, 0x7f800001
	s_xor_b64 exec, exec, s[6:7]
	s_cbranch_execz .LBB489_452
.LBB489_470:
	v_cmp_ne_u16_e32 vcc, 0, v1
	s_andn2_b64 s[2:3], s[2:3], exec
	s_and_b64 s[8:9], vcc, exec
	v_mov_b32_e32 v4, 0
	s_or_b64 s[2:3], s[2:3], s[8:9]
	s_or_b64 exec, exec, s[6:7]
	s_and_saveexec_b64 s[6:7], s[2:3]
	s_cbranch_execnz .LBB489_453
	s_branch .LBB489_454
.LBB489_471:
	s_mov_b64 s[2:3], -1
                                        ; implicit-def: $vgpr1
	s_branch .LBB489_476
.LBB489_472:
	s_mov_b64 s[2:3], -1
                                        ; implicit-def: $vgpr1
.LBB489_473:
	s_and_b64 vcc, exec, s[2:3]
	s_cbranch_vccz .LBB489_475
; %bb.474:
	global_load_ubyte v1, v[2:3], off
	s_mov_b32 s2, 0x7f800000
	s_brev_b32 s3, 1
	s_movk_i32 s6, 0x7fff
	s_waitcnt vmcnt(0)
	v_lshlrev_b32_e32 v1, 24, v1
	v_and_b32_e32 v4, 0x7f000000, v1
	v_ffbh_u32_e32 v5, v4
	v_min_u32_e32 v5, 32, v5
	v_sub_u32_e64 v5, v5, 4 clamp
	v_lshlrev_b32_e32 v7, v5, v4
	v_lshlrev_b32_e32 v5, 23, v5
	v_lshrrev_b32_e32 v7, 4, v7
	v_add_u32_e32 v6, 0x1000000, v4
	v_sub_u32_e32 v5, v7, v5
	v_ashrrev_i32_e32 v6, 8, v6
	v_add_u32_e32 v5, 0x3c000000, v5
	v_and_or_b32 v5, v6, s2, v5
	v_cmp_ne_u32_e32 vcc, 0, v4
	s_nop 1
	v_cndmask_b32_e32 v4, 0, v5, vcc
	v_and_or_b32 v1, v1, s3, v4
	v_bfe_u32 v4, v4, 16, 1
	v_add3_u32 v4, v1, v4, s6
	v_cmp_o_f32_e32 vcc, v1, v1
	v_mov_b32_e32 v1, 0x7fc0
	s_nop 0
	v_cndmask_b32_sdwa v1, v1, v4, vcc dst_sel:DWORD dst_unused:UNUSED_PAD src0_sel:DWORD src1_sel:WORD_1
.LBB489_475:
	s_mov_b64 s[2:3], 0
.LBB489_476:
	s_andn2_b64 vcc, exec, s[2:3]
	s_cbranch_vccnz .LBB489_478
; %bb.477:
	global_load_ubyte v1, v[2:3], off
	s_movk_i32 s2, 0x7f00
	s_brev_b32 s3, 16
	s_brev_b32 s6, 1
	s_movk_i32 s7, 0x7fff
	s_waitcnt vmcnt(0)
	v_lshlrev_b16_e32 v4, 8, v1
	v_lshlrev_b32_e32 v1, 25, v1
	v_lshrrev_b32_e32 v5, 4, v1
	v_and_or_b32 v6, v4, s2, 0.5
	v_or_b32_e32 v5, 0x70000000, v5
	v_add_f32_e32 v6, -0.5, v6
	v_mul_f32_e32 v5, 0x7800000, v5
	v_cmp_gt_u32_e32 vcc, s3, v1
	v_bfe_i32 v4, v4, 0, 16
	s_nop 0
	v_cndmask_b32_e32 v1, v5, v6, vcc
	v_and_or_b32 v4, v4, s6, v1
	v_bfe_u32 v1, v1, 16, 1
	v_add3_u32 v1, v4, v1, s7
	v_cmp_o_f32_e32 vcc, v4, v4
	v_mov_b32_e32 v4, 0x7fc0
	s_nop 0
	v_cndmask_b32_sdwa v1, v4, v1, vcc dst_sel:DWORD dst_unused:UNUSED_PAD src0_sel:DWORD src1_sel:WORD_1
.LBB489_478:
	s_mov_b64 s[6:7], 0
	s_mov_b64 s[2:3], -1
.LBB489_479:
	s_andn2_b64 vcc, exec, s[6:7]
	s_cbranch_vccnz .LBB489_492
; %bb.480:
	s_cmp_gt_i32 s10, 14
	s_cbranch_scc0 .LBB489_483
; %bb.481:
	s_cmp_eq_u32 s10, 15
	s_cbranch_scc0 .LBB489_486
; %bb.482:
	global_load_ushort v1, v[2:3], off
	s_mov_b64 s[2:3], -1
	s_mov_b64 s[4:5], 0
	s_branch .LBB489_487
.LBB489_483:
	s_mov_b64 s[6:7], -1
                                        ; implicit-def: $vgpr1
	s_branch .LBB489_488
.LBB489_484:
	s_or_saveexec_b64 s[6:7], s[6:7]
	v_mov_b32_e32 v4, 0x7f800001
	s_xor_b64 exec, exec, s[6:7]
	s_cbranch_execz .LBB489_465
.LBB489_485:
	v_cmp_ne_u16_e32 vcc, 0, v1
	s_andn2_b64 s[2:3], s[2:3], exec
	s_and_b64 s[8:9], vcc, exec
	v_mov_b32_e32 v4, 0
	s_or_b64 s[2:3], s[2:3], s[8:9]
	s_or_b64 exec, exec, s[6:7]
	s_and_saveexec_b64 s[6:7], s[2:3]
	s_cbranch_execnz .LBB489_466
	s_branch .LBB489_467
.LBB489_486:
	s_mov_b64 s[4:5], -1
                                        ; implicit-def: $vgpr1
.LBB489_487:
	s_mov_b64 s[6:7], 0
.LBB489_488:
	s_and_b64 vcc, exec, s[6:7]
	s_cbranch_vccz .LBB489_492
; %bb.489:
	s_cmp_eq_u32 s10, 11
	s_cbranch_scc0 .LBB489_491
; %bb.490:
	global_load_ubyte v1, v[2:3], off
	s_mov_b64 s[2:3], -1
	s_mov_b64 s[4:5], 0
	s_waitcnt vmcnt(0)
	v_cmp_ne_u16_e32 vcc, 0, v1
	s_nop 1
	v_cndmask_b32_e64 v1, 0, 1.0, vcc
	v_lshrrev_b32_e32 v1, 16, v1
	s_branch .LBB489_492
.LBB489_491:
	s_mov_b64 s[4:5], -1
                                        ; implicit-def: $vgpr1
.LBB489_492:
	s_branch .LBB489_295
.LBB489_493:
	s_cmp_lt_i32 s10, 5
	s_cbranch_scc1 .LBB489_498
; %bb.494:
	s_cmp_lt_i32 s10, 8
	s_cbranch_scc1 .LBB489_499
; %bb.495:
	;; [unrolled: 3-line block ×3, first 2 shown]
	s_cmp_gt_i32 s10, 9
	s_cbranch_scc0 .LBB489_501
; %bb.497:
	global_load_dwordx2 v[4:5], v[2:3], off
	s_movk_i32 s2, 0x7fff
	s_waitcnt vmcnt(1)
	v_mov_b32_e32 v1, 0x7fc0
	s_waitcnt vmcnt(0)
	v_cvt_f32_f64_e32 v4, v[4:5]
	v_bfe_u32 v5, v4, 16, 1
	v_cmp_o_f32_e32 vcc, v4, v4
	v_add3_u32 v4, v4, v5, s2
	s_mov_b64 s[2:3], 0
	v_cndmask_b32_sdwa v1, v1, v4, vcc dst_sel:DWORD dst_unused:UNUSED_PAD src0_sel:DWORD src1_sel:WORD_1
	s_branch .LBB489_502
.LBB489_498:
	s_mov_b64 s[2:3], -1
                                        ; implicit-def: $vgpr1
	s_branch .LBB489_520
.LBB489_499:
	s_mov_b64 s[2:3], -1
                                        ; implicit-def: $vgpr1
	s_branch .LBB489_508
.LBB489_500:
	s_mov_b64 s[2:3], -1
                                        ; implicit-def: $vgpr1
	s_branch .LBB489_505
.LBB489_501:
	s_mov_b64 s[2:3], -1
                                        ; implicit-def: $vgpr1
.LBB489_502:
	s_andn2_b64 vcc, exec, s[2:3]
	s_cbranch_vccnz .LBB489_504
; %bb.503:
	global_load_dword v1, v[2:3], off
	s_movk_i32 s2, 0x7fff
	v_mov_b32_e32 v4, 0x7fc0
	s_waitcnt vmcnt(0)
	v_bfe_u32 v5, v1, 16, 1
	v_cmp_o_f32_e32 vcc, v1, v1
	v_add3_u32 v1, v1, v5, s2
	s_nop 0
	v_cndmask_b32_sdwa v1, v4, v1, vcc dst_sel:DWORD dst_unused:UNUSED_PAD src0_sel:DWORD src1_sel:WORD_1
.LBB489_504:
	s_mov_b64 s[2:3], 0
.LBB489_505:
	s_andn2_b64 vcc, exec, s[2:3]
	s_cbranch_vccnz .LBB489_507
; %bb.506:
	global_load_dword v1, v[2:3], off
	s_movk_i32 s2, 0x7fff
	v_mov_b32_e32 v5, 0x7fc0
	s_waitcnt vmcnt(0)
	v_cvt_f32_f16_e32 v4, v1
	v_cmp_o_f16_e32 vcc, v1, v1
	v_bfe_u32 v1, v4, 16, 1
	v_add3_u32 v1, v4, v1, s2
	v_cndmask_b32_sdwa v1, v5, v1, vcc dst_sel:DWORD dst_unused:UNUSED_PAD src0_sel:DWORD src1_sel:WORD_1
.LBB489_507:
	s_mov_b64 s[2:3], 0
.LBB489_508:
	s_andn2_b64 vcc, exec, s[2:3]
	s_cbranch_vccnz .LBB489_519
; %bb.509:
	s_cmp_lt_i32 s10, 6
	s_cbranch_scc1 .LBB489_512
; %bb.510:
	s_cmp_gt_i32 s10, 6
	s_cbranch_scc0 .LBB489_513
; %bb.511:
	global_load_dwordx2 v[4:5], v[2:3], off
	s_movk_i32 s2, 0x7fff
	s_waitcnt vmcnt(1)
	v_mov_b32_e32 v1, 0x7fc0
	s_waitcnt vmcnt(0)
	v_cvt_f32_f64_e32 v4, v[4:5]
	v_bfe_u32 v5, v4, 16, 1
	v_cmp_o_f32_e32 vcc, v4, v4
	v_add3_u32 v4, v4, v5, s2
	s_mov_b64 s[2:3], 0
	v_cndmask_b32_sdwa v1, v1, v4, vcc dst_sel:DWORD dst_unused:UNUSED_PAD src0_sel:DWORD src1_sel:WORD_1
	s_branch .LBB489_514
.LBB489_512:
	s_mov_b64 s[2:3], -1
                                        ; implicit-def: $vgpr1
	s_branch .LBB489_517
.LBB489_513:
	s_mov_b64 s[2:3], -1
                                        ; implicit-def: $vgpr1
.LBB489_514:
	s_andn2_b64 vcc, exec, s[2:3]
	s_cbranch_vccnz .LBB489_516
; %bb.515:
	global_load_dword v1, v[2:3], off
	s_movk_i32 s2, 0x7fff
	v_mov_b32_e32 v4, 0x7fc0
	s_waitcnt vmcnt(0)
	v_bfe_u32 v5, v1, 16, 1
	v_cmp_o_f32_e32 vcc, v1, v1
	v_add3_u32 v1, v1, v5, s2
	s_nop 0
	v_cndmask_b32_sdwa v1, v4, v1, vcc dst_sel:DWORD dst_unused:UNUSED_PAD src0_sel:DWORD src1_sel:WORD_1
.LBB489_516:
	s_mov_b64 s[2:3], 0
.LBB489_517:
	s_andn2_b64 vcc, exec, s[2:3]
	s_cbranch_vccnz .LBB489_519
; %bb.518:
	global_load_ushort v1, v[2:3], off
	s_movk_i32 s2, 0x7fff
	v_mov_b32_e32 v5, 0x7fc0
	s_waitcnt vmcnt(0)
	v_cvt_f32_f16_e32 v4, v1
	v_cmp_o_f16_e32 vcc, v1, v1
	v_bfe_u32 v1, v4, 16, 1
	v_add3_u32 v1, v4, v1, s2
	v_cndmask_b32_sdwa v1, v5, v1, vcc dst_sel:DWORD dst_unused:UNUSED_PAD src0_sel:DWORD src1_sel:WORD_1
.LBB489_519:
	s_mov_b64 s[2:3], 0
.LBB489_520:
	s_andn2_b64 vcc, exec, s[2:3]
	s_cbranch_vccnz .LBB489_540
; %bb.521:
	s_cmp_lt_i32 s10, 2
	s_cbranch_scc1 .LBB489_525
; %bb.522:
	s_cmp_lt_i32 s10, 3
	s_cbranch_scc1 .LBB489_526
; %bb.523:
	s_cmp_gt_i32 s10, 3
	s_cbranch_scc0 .LBB489_527
; %bb.524:
	global_load_dwordx2 v[4:5], v[2:3], off
	s_movk_i32 s2, 0x7fff
	s_waitcnt vmcnt(0)
	v_xor_b32_e32 v6, v4, v5
	v_ffbh_i32_e32 v1, v5
	v_ashrrev_i32_e32 v6, 31, v6
	v_add_u32_e32 v1, -1, v1
	v_add_u32_e32 v6, 32, v6
	v_min_u32_e32 v1, v1, v6
	v_lshlrev_b64 v[4:5], v1, v[4:5]
	v_min_u32_e32 v4, 1, v4
	v_or_b32_e32 v4, v5, v4
	v_cvt_f32_i32_e32 v4, v4
	v_sub_u32_e32 v1, 32, v1
	v_ldexp_f32 v1, v4, v1
	v_bfe_u32 v4, v1, 16, 1
	v_add3_u32 v1, v1, v4, s2
	v_lshrrev_b32_e32 v1, 16, v1
	s_mov_b64 s[2:3], 0
	s_branch .LBB489_528
.LBB489_525:
	s_mov_b64 s[2:3], -1
                                        ; implicit-def: $vgpr1
	s_branch .LBB489_534
.LBB489_526:
	s_mov_b64 s[2:3], -1
                                        ; implicit-def: $vgpr1
	s_branch .LBB489_531
.LBB489_527:
	s_mov_b64 s[2:3], -1
                                        ; implicit-def: $vgpr1
.LBB489_528:
	s_andn2_b64 vcc, exec, s[2:3]
	s_cbranch_vccnz .LBB489_530
; %bb.529:
	global_load_dword v1, v[2:3], off
	s_movk_i32 s2, 0x7fff
	s_waitcnt vmcnt(0)
	v_cvt_f32_i32_e32 v1, v1
	v_bfe_u32 v4, v1, 16, 1
	v_add3_u32 v1, v1, v4, s2
	v_lshrrev_b32_e32 v1, 16, v1
.LBB489_530:
	s_mov_b64 s[2:3], 0
.LBB489_531:
	s_andn2_b64 vcc, exec, s[2:3]
	s_cbranch_vccnz .LBB489_533
; %bb.532:
	global_load_sshort v1, v[2:3], off
	s_movk_i32 s2, 0x7fff
	s_waitcnt vmcnt(0)
	v_cvt_f32_i32_e32 v1, v1
	v_bfe_u32 v4, v1, 16, 1
	v_add3_u32 v1, v1, v4, s2
	v_lshrrev_b32_e32 v1, 16, v1
.LBB489_533:
	s_mov_b64 s[2:3], 0
.LBB489_534:
	s_andn2_b64 vcc, exec, s[2:3]
	s_cbranch_vccnz .LBB489_540
; %bb.535:
	s_cmp_gt_i32 s10, 0
	s_cbranch_scc0 .LBB489_537
; %bb.536:
	global_load_sbyte v1, v[2:3], off
	s_movk_i32 s2, 0x7fff
	s_waitcnt vmcnt(0)
	v_cvt_f32_i32_e32 v1, v1
	v_bfe_u32 v4, v1, 16, 1
	v_add3_u32 v1, v1, v4, s2
	v_lshrrev_b32_e32 v1, 16, v1
	s_mov_b64 s[2:3], 0
	s_branch .LBB489_538
.LBB489_537:
	s_mov_b64 s[2:3], -1
                                        ; implicit-def: $vgpr1
.LBB489_538:
	s_andn2_b64 vcc, exec, s[2:3]
	s_cbranch_vccnz .LBB489_540
; %bb.539:
	global_load_ubyte v1, v[2:3], off
	s_movk_i32 s2, 0x7fff
	s_waitcnt vmcnt(0)
	v_cvt_f32_ubyte0_e32 v1, v1
	v_bfe_u32 v2, v1, 16, 1
	v_add3_u32 v1, v1, v2, s2
	v_lshrrev_b32_e32 v1, 16, v1
.LBB489_540:
	s_branch .LBB489_296
.LBB489_541:
	s_mov_b64 s[6:7], 0
	s_mov_b64 s[2:3], s[54:55]
.LBB489_542:
                                        ; implicit-def: $vgpr8
.LBB489_543:
	s_andn2_b64 s[8:9], s[54:55], exec
	s_and_b64 s[2:3], s[2:3], exec
	s_or_b64 s[62:63], s[8:9], s[2:3]
	s_andn2_b64 s[2:3], s[56:57], exec
	s_and_b64 s[4:5], s[4:5], exec
	s_or_b64 s[60:61], s[2:3], s[4:5]
	s_orn2_b64 s[2:3], s[6:7], exec
.LBB489_544:
	s_or_b64 exec, exec, s[64:65]
	s_mov_b64 s[4:5], 0
	s_mov_b64 s[6:7], 0
	;; [unrolled: 1-line block ×3, first 2 shown]
                                        ; implicit-def: $vgpr2_vgpr3
                                        ; implicit-def: $vgpr0
                                        ; implicit-def: $vgpr1
	s_and_saveexec_b64 s[64:65], s[2:3]
	s_cbranch_execz .LBB489_921
; %bb.545:
	v_cmp_gt_i32_e32 vcc, s70, v8
	s_mov_b64 s[6:7], -1
	s_mov_b64 s[2:3], s[60:61]
	s_mov_b64 s[68:69], s[62:63]
	s_and_saveexec_b64 s[66:67], vcc
	s_cbranch_execz .LBB489_820
; %bb.546:
	s_andn2_b64 vcc, exec, s[42:43]
	s_cbranch_vccnz .LBB489_552
; %bb.547:
	s_andn2_b64 vcc, exec, s[52:53]
	s_cbranch_vccnz .LBB489_553
; %bb.548:
	s_add_i32 s78, s77, 1
	s_cmp_eq_u32 s72, 2
	s_cbranch_scc1 .LBB489_554
; %bb.549:
	s_and_b32 s71, s78, 28
	s_mov_b32 s79, 0
	v_mov_b32_e32 v0, 0
	v_mov_b32_e32 v2, 0
	s_mov_b64 s[2:3], s[34:35]
	s_mov_b64 s[68:69], s[50:51]
	v_mov_b32_e32 v4, v8
.LBB489_550:                            ; =>This Inner Loop Header: Depth=1
	s_load_dwordx8 s[12:19], s[2:3], 0x4
	s_load_dwordx4 s[36:39], s[2:3], 0x24
	s_load_dwordx8 s[4:11], s[68:69], 0x0
	s_add_u32 s2, s2, 48
	s_addc_u32 s3, s3, 0
	s_waitcnt vmcnt(0) lgkmcnt(0)
	v_mul_hi_u32 v1, s13, v4
	v_add_u32_e32 v1, v4, v1
	v_lshrrev_b32_e32 v1, s14, v1
	v_mul_lo_u32 v3, v1, s12
	v_mul_hi_u32 v5, s16, v1
	v_sub_u32_e32 v3, v4, v3
	v_add_u32_e32 v4, v1, v5
	v_lshrrev_b32_e32 v4, s17, v4
	v_mul_lo_u32 v6, v4, s15
	v_mul_hi_u32 v7, s19, v4
	v_sub_u32_e32 v1, v1, v6
	v_add_u32_e32 v6, v4, v7
	v_mul_lo_u32 v5, v3, s5
	v_mul_lo_u32 v3, v3, s4
	;; [unrolled: 1-line block ×4, first 2 shown]
	v_lshrrev_b32_e32 v6, s36, v6
	v_add3_u32 v0, v3, v0, v1
	v_mul_hi_u32 v3, s38, v6
	v_add3_u32 v1, v5, v2, v7
	v_mul_lo_u32 v2, v6, s18
	v_add_u32_e32 v3, v6, v3
	v_sub_u32_e32 v2, v4, v2
	v_lshrrev_b32_e32 v4, s39, v3
	s_add_i32 s79, s79, 4
	v_mul_lo_u32 v3, v4, s37
	s_add_u32 s68, s68, 32
	v_sub_u32_e32 v3, v6, v3
	s_addc_u32 s69, s69, 0
	v_mul_lo_u32 v5, v2, s8
	v_mul_lo_u32 v2, v2, s9
	;; [unrolled: 1-line block ×4, first 2 shown]
	s_cmp_eq_u32 s71, s79
	v_add3_u32 v2, v2, v1, v3
	v_add3_u32 v0, v5, v0, v6
	s_cbranch_scc0 .LBB489_550
; %bb.551:
	v_mov_b32_e32 v1, v2
	s_branch .LBB489_555
.LBB489_552:
	s_mov_b64 s[2:3], -1
                                        ; implicit-def: $vgpr2
                                        ; implicit-def: $vgpr0
	s_branch .LBB489_559
.LBB489_553:
	v_mov_b32_e32 v2, 0
	v_mov_b32_e32 v0, 0
	s_branch .LBB489_558
.LBB489_554:
	v_mov_b32_e32 v0, 0
	s_mov_b32 s71, 0
	s_waitcnt vmcnt(0)
	v_mov_b32_e32 v1, v0
                                        ; implicit-def: $vgpr2
	v_mov_b32_e32 v4, v8
.LBB489_555:
	s_and_b32 s6, s78, 3
	s_cmp_eq_u32 s6, 0
	s_cbranch_scc1 .LBB489_558
; %bb.556:
	s_lshl_b32 s2, s71, 3
	s_add_u32 s2, s34, s2
	s_addc_u32 s3, s35, 0
	s_add_u32 s2, s2, 0xc4
	s_addc_u32 s3, s3, 0
	s_mul_i32 s4, s71, 12
	s_add_u32 s4, s34, s4
	s_addc_u32 s5, s35, 0
.LBB489_557:                            ; =>This Inner Loop Header: Depth=1
	s_load_dwordx2 s[8:9], s[4:5], 0x4
	s_load_dword s7, s[4:5], 0xc
	s_load_dwordx2 s[10:11], s[2:3], 0x0
	v_mov_b32_e32 v2, v1
	s_add_u32 s4, s4, 12
	s_waitcnt lgkmcnt(0)
	v_mul_hi_u32 v1, s9, v4
	v_add_u32_e32 v1, v4, v1
	v_lshrrev_b32_e32 v1, s7, v1
	s_addc_u32 s5, s5, 0
	v_mul_lo_u32 v3, v1, s8
	s_add_u32 s2, s2, 8
	v_sub_u32_e32 v5, v4, v3
	s_addc_u32 s3, s3, 0
	s_add_i32 s6, s6, -1
	v_mov_b32_e32 v4, v1
	v_mad_u64_u32 v[2:3], s[8:9], v5, s11, v[2:3]
	v_mad_u64_u32 v[0:1], s[8:9], v5, s10, v[0:1]
	s_cmp_lg_u32 s6, 0
	v_mov_b32_e32 v1, v2
	s_cbranch_scc1 .LBB489_557
.LBB489_558:
	s_mov_b64 s[2:3], 0
.LBB489_559:
	s_andn2_b64 vcc, exec, s[2:3]
	s_cbranch_vccnz .LBB489_562
; %bb.560:
	v_mul_hi_u32 v0, s25, v8
	v_add_u32_e32 v0, v8, v0
	s_waitcnt vmcnt(0)
	v_lshrrev_b32_e32 v1, s26, v0
	v_mul_lo_u32 v0, v1, s24
	v_sub_u32_e32 v0, v8, v0
	v_mul_lo_u32 v2, v0, s29
	s_andn2_b64 vcc, exec, s[48:49]
	v_mul_lo_u32 v0, v0, s28
	s_cbranch_vccnz .LBB489_562
; %bb.561:
	v_mul_hi_u32 v3, s46, v1
	v_add_u32_e32 v3, v1, v3
	v_lshrrev_b32_e32 v3, s47, v3
	v_mul_lo_u32 v3, v3, s27
	v_sub_u32_e32 v3, v1, v3
	v_mad_u64_u32 v[0:1], s[2:3], v3, s30, v[0:1]
	v_mad_u64_u32 v[2:3], s[2:3], v3, s31, v[2:3]
.LBB489_562:
	v_mov_b32_e32 v3, 0
	s_and_b32 s10, 0xffff, s76
	s_cmp_lt_i32 s10, 11
	v_lshl_add_u64 v[2:3], s[22:23], 0, v[2:3]
	s_cbranch_scc1 .LBB489_569
; %bb.563:
	s_cmp_gt_i32 s10, 25
	s_cbranch_scc0 .LBB489_570
; %bb.564:
	s_cmp_gt_i32 s10, 28
	s_cbranch_scc0 .LBB489_571
	;; [unrolled: 3-line block ×4, first 2 shown]
; %bb.567:
	s_cmp_eq_u32 s10, 46
	s_mov_b64 s[6:7], 0
	s_cbranch_scc0 .LBB489_578
; %bb.568:
	global_load_dword v1, v[2:3], off
	s_mov_b64 s[2:3], -1
	s_mov_b64 s[4:5], 0
	s_branch .LBB489_579
.LBB489_569:
	s_mov_b64 s[6:7], -1
	s_mov_b64 s[2:3], 0
                                        ; implicit-def: $vgpr1
	s_mov_b64 s[4:5], s[60:61]
	s_branch .LBB489_644
.LBB489_570:
	s_mov_b64 s[6:7], -1
	s_mov_b64 s[2:3], 0
	s_mov_b64 s[4:5], s[60:61]
                                        ; implicit-def: $vgpr1
	s_branch .LBB489_608
.LBB489_571:
	s_mov_b64 s[6:7], -1
	s_mov_b64 s[2:3], 0
	s_mov_b64 s[4:5], s[60:61]
                                        ; implicit-def: $vgpr1
	s_branch .LBB489_589
.LBB489_572:
	s_mov_b64 s[6:7], -1
	s_mov_b64 s[2:3], 0
	s_mov_b64 s[4:5], s[60:61]
                                        ; implicit-def: $vgpr1
	s_branch .LBB489_584
.LBB489_573:
	s_andn2_saveexec_b64 s[10:11], s[10:11]
	s_cbranch_execz .LBB489_341
.LBB489_574:
	s_mov_b32 s14, 0x46000000
	v_add_f32_e64 v4, |v5|, s14
	v_and_b32_e32 v4, 0xff, v4
	v_cmp_ne_u32_e32 vcc, 0, v4
	s_andn2_b64 s[8:9], s[8:9], exec
	s_and_b64 s[14:15], vcc, exec
	s_or_b64 s[8:9], s[8:9], s[14:15]
	s_or_b64 exec, exec, s[10:11]
	v_mov_b32_e32 v6, 0
	s_and_saveexec_b64 s[10:11], s[8:9]
	s_cbranch_execnz .LBB489_342
	s_branch .LBB489_343
.LBB489_575:
	s_mov_b64 s[6:7], -1
	s_mov_b64 s[2:3], 0
	s_mov_b64 s[4:5], s[60:61]
                                        ; implicit-def: $vgpr1
	s_branch .LBB489_579
.LBB489_576:
	s_andn2_saveexec_b64 s[10:11], s[10:11]
	s_cbranch_execz .LBB489_354
.LBB489_577:
	s_mov_b32 s14, 0x42800000
	v_add_f32_e64 v4, |v5|, s14
	v_and_b32_e32 v4, 0xff, v4
	v_cmp_ne_u32_e32 vcc, 0, v4
	s_andn2_b64 s[8:9], s[8:9], exec
	s_and_b64 s[14:15], vcc, exec
	s_or_b64 s[8:9], s[8:9], s[14:15]
	s_or_b64 exec, exec, s[10:11]
	v_mov_b32_e32 v6, 0
	s_and_saveexec_b64 s[10:11], s[8:9]
	s_cbranch_execnz .LBB489_355
	s_branch .LBB489_356
.LBB489_578:
	s_mov_b64 s[4:5], -1
                                        ; implicit-def: $vgpr1
	s_mov_b64 s[2:3], 0
.LBB489_579:
	s_and_b64 vcc, exec, s[6:7]
	s_cbranch_vccz .LBB489_583
; %bb.580:
	s_cmp_eq_u32 s10, 44
	s_cbranch_scc0 .LBB489_582
; %bb.581:
	global_load_ubyte v1, v[2:3], off
	s_movk_i32 s4, 0xff
	v_mov_b32_e32 v4, 0x7f800001
	v_mov_b32_e32 v5, 0x400000
	;; [unrolled: 1-line block ×3, first 2 shown]
	s_mov_b64 s[2:3], -1
	s_waitcnt vmcnt(0)
	v_lshlrev_b32_e32 v7, 23, v1
	v_cmp_ne_u32_e32 vcc, s4, v1
	s_mov_b64 s[4:5], 0
	s_nop 0
	v_cndmask_b32_e32 v4, v4, v7, vcc
	v_cmp_ne_u32_e32 vcc, 0, v1
	s_nop 1
	v_cndmask_b32_e32 v1, v5, v4, vcc
	v_add_u32_e32 v4, 0x7fff, v1
	v_cmp_o_f32_e32 vcc, v1, v1
	s_nop 1
	v_cndmask_b32_sdwa v1, v6, v4, vcc dst_sel:DWORD dst_unused:UNUSED_PAD src0_sel:DWORD src1_sel:WORD_1
	s_branch .LBB489_583
.LBB489_582:
	s_mov_b64 s[4:5], -1
                                        ; implicit-def: $vgpr1
.LBB489_583:
	s_mov_b64 s[6:7], 0
.LBB489_584:
	s_and_b64 vcc, exec, s[6:7]
	s_cbranch_vccz .LBB489_588
; %bb.585:
	s_cmp_eq_u32 s10, 29
	s_cbranch_scc0 .LBB489_587
; %bb.586:
	global_load_dwordx2 v[4:5], v[2:3], off
	s_movk_i32 s4, 0x7fff
	s_mov_b64 s[2:3], -1
	s_mov_b64 s[6:7], 0
	s_waitcnt vmcnt(0)
	v_ffbh_u32_e32 v1, v5
	v_min_u32_e32 v1, 32, v1
	v_lshlrev_b64 v[4:5], v1, v[4:5]
	v_min_u32_e32 v4, 1, v4
	v_or_b32_e32 v4, v5, v4
	v_cvt_f32_u32_e32 v4, v4
	v_sub_u32_e32 v1, 32, v1
	v_ldexp_f32 v1, v4, v1
	v_bfe_u32 v4, v1, 16, 1
	v_add3_u32 v1, v1, v4, s4
	v_lshrrev_b32_e32 v1, 16, v1
	s_mov_b64 s[4:5], 0
	s_branch .LBB489_589
.LBB489_587:
	s_mov_b64 s[4:5], -1
                                        ; implicit-def: $vgpr1
.LBB489_588:
	s_mov_b64 s[6:7], 0
.LBB489_589:
	s_and_b64 vcc, exec, s[6:7]
	s_cbranch_vccz .LBB489_607
; %bb.590:
	s_cmp_lt_i32 s10, 27
	s_cbranch_scc1 .LBB489_593
; %bb.591:
	s_cmp_gt_i32 s10, 27
	s_cbranch_scc0 .LBB489_594
; %bb.592:
	global_load_dword v1, v[2:3], off
	s_movk_i32 s2, 0x7fff
	s_waitcnt vmcnt(0)
	v_cvt_f32_u32_e32 v1, v1
	v_bfe_u32 v4, v1, 16, 1
	v_add3_u32 v1, v1, v4, s2
	v_lshrrev_b32_e32 v1, 16, v1
	s_mov_b64 s[2:3], 0
	s_branch .LBB489_595
.LBB489_593:
	s_mov_b64 s[2:3], -1
                                        ; implicit-def: $vgpr1
	s_branch .LBB489_598
.LBB489_594:
	s_mov_b64 s[2:3], -1
                                        ; implicit-def: $vgpr1
.LBB489_595:
	s_andn2_b64 vcc, exec, s[2:3]
	s_cbranch_vccnz .LBB489_597
; %bb.596:
	global_load_ushort v1, v[2:3], off
	s_movk_i32 s2, 0x7fff
	s_waitcnt vmcnt(0)
	v_cvt_f32_u32_e32 v1, v1
	v_bfe_u32 v4, v1, 16, 1
	v_add3_u32 v1, v1, v4, s2
	v_lshrrev_b32_e32 v1, 16, v1
.LBB489_597:
	s_mov_b64 s[2:3], 0
.LBB489_598:
	s_andn2_b64 vcc, exec, s[2:3]
	s_cbranch_vccnz .LBB489_606
; %bb.599:
	global_load_ubyte v1, v[2:3], off
	s_movk_i32 s2, 0x7f
	s_waitcnt vmcnt(0)
	v_cmp_lt_i16_e32 vcc, s2, v1
	s_mov_b64 s[2:3], 0
	s_and_saveexec_b64 s[6:7], vcc
	s_xor_b64 s[6:7], exec, s[6:7]
	s_cbranch_execz .LBB489_620
; %bb.600:
	s_movk_i32 s2, 0x80
	v_cmp_eq_u16_e32 vcc, s2, v1
	s_mov_b64 s[2:3], -1
	s_and_saveexec_b64 s[8:9], vcc
; %bb.601:
	s_xor_b64 s[2:3], exec, -1
; %bb.602:
	s_or_b64 exec, exec, s[8:9]
	s_and_b64 s[2:3], s[2:3], exec
	s_or_saveexec_b64 s[6:7], s[6:7]
	v_mov_b32_e32 v4, 0x7f800001
	s_xor_b64 exec, exec, s[6:7]
	s_cbranch_execnz .LBB489_621
.LBB489_603:
	s_or_b64 exec, exec, s[6:7]
	s_and_saveexec_b64 s[6:7], s[2:3]
	s_cbranch_execz .LBB489_605
.LBB489_604:
	v_lshlrev_b32_e32 v4, 24, v1
	v_and_b32_e32 v1, 0xffff, v1
	v_and_b32_e32 v5, 7, v1
	v_ffbh_u32_e32 v7, v5
	v_min_u32_e32 v7, 32, v7
	v_subrev_u32_e32 v9, 28, v7
	v_bfe_u32 v6, v1, 3, 4
	v_lshlrev_b32_e32 v1, v9, v1
	v_sub_u32_e32 v7, 29, v7
	v_and_b32_e32 v1, 7, v1
	v_cmp_eq_u32_e32 vcc, 0, v6
	v_and_b32_e32 v4, 0x80000000, v4
	s_nop 0
	v_cndmask_b32_e32 v6, v6, v7, vcc
	v_cndmask_b32_e32 v1, v5, v1, vcc
	v_mov_b32_e32 v5, 0x3b800000
	v_lshlrev_b32_e32 v1, 20, v1
	v_lshl_add_u32 v5, v6, 23, v5
	v_or3_b32 v4, v4, v5, v1
.LBB489_605:
	s_or_b64 exec, exec, s[6:7]
	v_bfe_u32 v1, v4, 16, 1
	s_movk_i32 s2, 0x7fff
	v_add3_u32 v1, v4, v1, s2
	v_cmp_o_f32_e32 vcc, v4, v4
	v_mov_b32_e32 v4, 0x7fc0
	s_nop 0
	v_cndmask_b32_sdwa v1, v4, v1, vcc dst_sel:DWORD dst_unused:UNUSED_PAD src0_sel:DWORD src1_sel:WORD_1
.LBB489_606:
	s_mov_b64 s[2:3], -1
.LBB489_607:
	s_mov_b64 s[6:7], 0
.LBB489_608:
	s_and_b64 vcc, exec, s[6:7]
	s_cbranch_vccz .LBB489_643
; %bb.609:
	s_cmp_gt_i32 s10, 22
	s_cbranch_scc0 .LBB489_619
; %bb.610:
	s_cmp_lt_i32 s10, 24
	s_cbranch_scc1 .LBB489_622
; %bb.611:
	s_cmp_gt_i32 s10, 24
	s_cbranch_scc0 .LBB489_623
; %bb.612:
	global_load_ubyte v1, v[2:3], off
	s_movk_i32 s2, 0x7f
	s_waitcnt vmcnt(0)
	v_cmp_lt_i16_e32 vcc, s2, v1
	s_mov_b64 s[2:3], 0
	s_and_saveexec_b64 s[6:7], vcc
	s_xor_b64 s[6:7], exec, s[6:7]
	s_cbranch_execz .LBB489_635
; %bb.613:
	s_movk_i32 s2, 0x80
	v_cmp_eq_u16_e32 vcc, s2, v1
	s_mov_b64 s[2:3], -1
	s_and_saveexec_b64 s[8:9], vcc
; %bb.614:
	s_xor_b64 s[2:3], exec, -1
; %bb.615:
	s_or_b64 exec, exec, s[8:9]
	s_and_b64 s[2:3], s[2:3], exec
	s_or_saveexec_b64 s[6:7], s[6:7]
	v_mov_b32_e32 v4, 0x7f800001
	s_xor_b64 exec, exec, s[6:7]
	s_cbranch_execnz .LBB489_636
.LBB489_616:
	s_or_b64 exec, exec, s[6:7]
	s_and_saveexec_b64 s[6:7], s[2:3]
	s_cbranch_execz .LBB489_618
.LBB489_617:
	v_lshlrev_b32_e32 v4, 24, v1
	v_and_b32_e32 v1, 0xffff, v1
	v_and_b32_e32 v5, 3, v1
	v_ffbh_u32_e32 v7, v5
	v_min_u32_e32 v7, 32, v7
	v_subrev_u32_e32 v9, 29, v7
	v_bfe_u32 v6, v1, 2, 5
	v_lshlrev_b32_e32 v1, v9, v1
	v_sub_u32_e32 v7, 30, v7
	v_and_b32_e32 v1, 3, v1
	v_cmp_eq_u32_e32 vcc, 0, v6
	v_and_b32_e32 v4, 0x80000000, v4
	s_nop 0
	v_cndmask_b32_e32 v6, v6, v7, vcc
	v_cndmask_b32_e32 v1, v5, v1, vcc
	v_mov_b32_e32 v5, 0x37800000
	v_lshlrev_b32_e32 v1, 21, v1
	v_lshl_add_u32 v5, v6, 23, v5
	v_or3_b32 v4, v4, v5, v1
.LBB489_618:
	s_or_b64 exec, exec, s[6:7]
	v_bfe_u32 v1, v4, 16, 1
	s_movk_i32 s2, 0x7fff
	v_add3_u32 v1, v4, v1, s2
	v_cmp_o_f32_e32 vcc, v4, v4
	v_mov_b32_e32 v4, 0x7fc0
	s_mov_b64 s[2:3], 0
	v_cndmask_b32_sdwa v1, v4, v1, vcc dst_sel:DWORD dst_unused:UNUSED_PAD src0_sel:DWORD src1_sel:WORD_1
	s_branch .LBB489_624
.LBB489_619:
	s_mov_b64 s[6:7], -1
                                        ; implicit-def: $vgpr1
	s_branch .LBB489_630
.LBB489_620:
	s_or_saveexec_b64 s[6:7], s[6:7]
	v_mov_b32_e32 v4, 0x7f800001
	s_xor_b64 exec, exec, s[6:7]
	s_cbranch_execz .LBB489_603
.LBB489_621:
	v_cmp_ne_u16_e32 vcc, 0, v1
	s_andn2_b64 s[2:3], s[2:3], exec
	s_and_b64 s[8:9], vcc, exec
	v_mov_b32_e32 v4, 0
	s_or_b64 s[2:3], s[2:3], s[8:9]
	s_or_b64 exec, exec, s[6:7]
	s_and_saveexec_b64 s[6:7], s[2:3]
	s_cbranch_execnz .LBB489_604
	s_branch .LBB489_605
.LBB489_622:
	s_mov_b64 s[2:3], -1
                                        ; implicit-def: $vgpr1
	s_branch .LBB489_627
.LBB489_623:
	s_mov_b64 s[2:3], -1
                                        ; implicit-def: $vgpr1
.LBB489_624:
	s_and_b64 vcc, exec, s[2:3]
	s_cbranch_vccz .LBB489_626
; %bb.625:
	global_load_ubyte v1, v[2:3], off
	s_mov_b32 s2, 0x7f800000
	s_brev_b32 s3, 1
	s_movk_i32 s6, 0x7fff
	s_waitcnt vmcnt(0)
	v_lshlrev_b32_e32 v1, 24, v1
	v_and_b32_e32 v4, 0x7f000000, v1
	v_ffbh_u32_e32 v5, v4
	v_min_u32_e32 v5, 32, v5
	v_sub_u32_e64 v5, v5, 4 clamp
	v_lshlrev_b32_e32 v7, v5, v4
	v_lshlrev_b32_e32 v5, 23, v5
	v_lshrrev_b32_e32 v7, 4, v7
	v_add_u32_e32 v6, 0x1000000, v4
	v_sub_u32_e32 v5, v7, v5
	v_ashrrev_i32_e32 v6, 8, v6
	v_add_u32_e32 v5, 0x3c000000, v5
	v_and_or_b32 v5, v6, s2, v5
	v_cmp_ne_u32_e32 vcc, 0, v4
	s_nop 1
	v_cndmask_b32_e32 v4, 0, v5, vcc
	v_and_or_b32 v1, v1, s3, v4
	v_bfe_u32 v4, v4, 16, 1
	v_add3_u32 v4, v1, v4, s6
	v_cmp_o_f32_e32 vcc, v1, v1
	v_mov_b32_e32 v1, 0x7fc0
	s_nop 0
	v_cndmask_b32_sdwa v1, v1, v4, vcc dst_sel:DWORD dst_unused:UNUSED_PAD src0_sel:DWORD src1_sel:WORD_1
.LBB489_626:
	s_mov_b64 s[2:3], 0
.LBB489_627:
	s_andn2_b64 vcc, exec, s[2:3]
	s_cbranch_vccnz .LBB489_629
; %bb.628:
	global_load_ubyte v1, v[2:3], off
	s_movk_i32 s2, 0x7f00
	s_brev_b32 s3, 16
	s_brev_b32 s6, 1
	s_movk_i32 s7, 0x7fff
	s_waitcnt vmcnt(0)
	v_lshlrev_b16_e32 v4, 8, v1
	v_lshlrev_b32_e32 v1, 25, v1
	v_lshrrev_b32_e32 v5, 4, v1
	v_and_or_b32 v6, v4, s2, 0.5
	v_or_b32_e32 v5, 0x70000000, v5
	v_add_f32_e32 v6, -0.5, v6
	v_mul_f32_e32 v5, 0x7800000, v5
	v_cmp_gt_u32_e32 vcc, s3, v1
	v_bfe_i32 v4, v4, 0, 16
	s_nop 0
	v_cndmask_b32_e32 v1, v5, v6, vcc
	v_and_or_b32 v4, v4, s6, v1
	v_bfe_u32 v1, v1, 16, 1
	v_add3_u32 v1, v4, v1, s7
	v_cmp_o_f32_e32 vcc, v4, v4
	v_mov_b32_e32 v4, 0x7fc0
	s_nop 0
	v_cndmask_b32_sdwa v1, v4, v1, vcc dst_sel:DWORD dst_unused:UNUSED_PAD src0_sel:DWORD src1_sel:WORD_1
.LBB489_629:
	s_mov_b64 s[6:7], 0
	s_mov_b64 s[2:3], -1
.LBB489_630:
	s_andn2_b64 vcc, exec, s[6:7]
	s_cbranch_vccnz .LBB489_643
; %bb.631:
	s_cmp_gt_i32 s10, 14
	s_cbranch_scc0 .LBB489_634
; %bb.632:
	s_cmp_eq_u32 s10, 15
	s_cbranch_scc0 .LBB489_637
; %bb.633:
	global_load_ushort v1, v[2:3], off
	s_mov_b64 s[2:3], -1
	s_mov_b64 s[4:5], 0
	s_branch .LBB489_638
.LBB489_634:
	s_mov_b64 s[6:7], -1
                                        ; implicit-def: $vgpr1
	s_branch .LBB489_639
.LBB489_635:
	s_or_saveexec_b64 s[6:7], s[6:7]
	v_mov_b32_e32 v4, 0x7f800001
	s_xor_b64 exec, exec, s[6:7]
	s_cbranch_execz .LBB489_616
.LBB489_636:
	v_cmp_ne_u16_e32 vcc, 0, v1
	s_andn2_b64 s[2:3], s[2:3], exec
	s_and_b64 s[8:9], vcc, exec
	v_mov_b32_e32 v4, 0
	s_or_b64 s[2:3], s[2:3], s[8:9]
	s_or_b64 exec, exec, s[6:7]
	s_and_saveexec_b64 s[6:7], s[2:3]
	s_cbranch_execnz .LBB489_617
	s_branch .LBB489_618
.LBB489_637:
	s_mov_b64 s[4:5], -1
                                        ; implicit-def: $vgpr1
.LBB489_638:
	s_mov_b64 s[6:7], 0
.LBB489_639:
	s_and_b64 vcc, exec, s[6:7]
	s_cbranch_vccz .LBB489_643
; %bb.640:
	s_cmp_eq_u32 s10, 11
	s_cbranch_scc0 .LBB489_642
; %bb.641:
	global_load_ubyte v1, v[2:3], off
	s_mov_b64 s[2:3], -1
	s_mov_b64 s[4:5], 0
	s_waitcnt vmcnt(0)
	v_cmp_ne_u16_e32 vcc, 0, v1
	s_nop 1
	v_cndmask_b32_e64 v1, 0, 1.0, vcc
	v_lshrrev_b32_e32 v1, 16, v1
	s_branch .LBB489_643
.LBB489_642:
	s_mov_b64 s[4:5], -1
                                        ; implicit-def: $vgpr1
.LBB489_643:
	s_mov_b64 s[6:7], 0
.LBB489_644:
	s_and_b64 vcc, exec, s[6:7]
	s_cbranch_vccz .LBB489_693
; %bb.645:
	s_cmp_lt_i32 s10, 5
	s_cbranch_scc1 .LBB489_650
; %bb.646:
	s_cmp_lt_i32 s10, 8
	s_cbranch_scc1 .LBB489_651
	;; [unrolled: 3-line block ×3, first 2 shown]
; %bb.648:
	s_cmp_gt_i32 s10, 9
	s_cbranch_scc0 .LBB489_653
; %bb.649:
	global_load_dwordx2 v[4:5], v[2:3], off
	s_movk_i32 s2, 0x7fff
	s_waitcnt vmcnt(1)
	v_mov_b32_e32 v1, 0x7fc0
	s_waitcnt vmcnt(0)
	v_cvt_f32_f64_e32 v4, v[4:5]
	v_bfe_u32 v5, v4, 16, 1
	v_cmp_o_f32_e32 vcc, v4, v4
	v_add3_u32 v4, v4, v5, s2
	s_mov_b64 s[2:3], 0
	v_cndmask_b32_sdwa v1, v1, v4, vcc dst_sel:DWORD dst_unused:UNUSED_PAD src0_sel:DWORD src1_sel:WORD_1
	s_branch .LBB489_654
.LBB489_650:
	s_mov_b64 s[2:3], -1
                                        ; implicit-def: $vgpr1
	s_branch .LBB489_672
.LBB489_651:
	s_mov_b64 s[2:3], -1
                                        ; implicit-def: $vgpr1
	s_branch .LBB489_660
.LBB489_652:
	s_mov_b64 s[2:3], -1
                                        ; implicit-def: $vgpr1
	s_branch .LBB489_657
.LBB489_653:
	s_mov_b64 s[2:3], -1
                                        ; implicit-def: $vgpr1
.LBB489_654:
	s_andn2_b64 vcc, exec, s[2:3]
	s_cbranch_vccnz .LBB489_656
; %bb.655:
	global_load_dword v1, v[2:3], off
	s_movk_i32 s2, 0x7fff
	v_mov_b32_e32 v4, 0x7fc0
	s_waitcnt vmcnt(0)
	v_bfe_u32 v5, v1, 16, 1
	v_cmp_o_f32_e32 vcc, v1, v1
	v_add3_u32 v1, v1, v5, s2
	s_nop 0
	v_cndmask_b32_sdwa v1, v4, v1, vcc dst_sel:DWORD dst_unused:UNUSED_PAD src0_sel:DWORD src1_sel:WORD_1
.LBB489_656:
	s_mov_b64 s[2:3], 0
.LBB489_657:
	s_andn2_b64 vcc, exec, s[2:3]
	s_cbranch_vccnz .LBB489_659
; %bb.658:
	global_load_dword v1, v[2:3], off
	s_movk_i32 s2, 0x7fff
	v_mov_b32_e32 v5, 0x7fc0
	s_waitcnt vmcnt(0)
	v_cvt_f32_f16_e32 v4, v1
	v_cmp_o_f16_e32 vcc, v1, v1
	v_bfe_u32 v1, v4, 16, 1
	v_add3_u32 v1, v4, v1, s2
	v_cndmask_b32_sdwa v1, v5, v1, vcc dst_sel:DWORD dst_unused:UNUSED_PAD src0_sel:DWORD src1_sel:WORD_1
.LBB489_659:
	s_mov_b64 s[2:3], 0
.LBB489_660:
	s_andn2_b64 vcc, exec, s[2:3]
	s_cbranch_vccnz .LBB489_671
; %bb.661:
	s_cmp_lt_i32 s10, 6
	s_cbranch_scc1 .LBB489_664
; %bb.662:
	s_cmp_gt_i32 s10, 6
	s_cbranch_scc0 .LBB489_665
; %bb.663:
	global_load_dwordx2 v[4:5], v[2:3], off
	s_movk_i32 s2, 0x7fff
	s_waitcnt vmcnt(1)
	v_mov_b32_e32 v1, 0x7fc0
	s_waitcnt vmcnt(0)
	v_cvt_f32_f64_e32 v4, v[4:5]
	v_bfe_u32 v5, v4, 16, 1
	v_cmp_o_f32_e32 vcc, v4, v4
	v_add3_u32 v4, v4, v5, s2
	s_mov_b64 s[2:3], 0
	v_cndmask_b32_sdwa v1, v1, v4, vcc dst_sel:DWORD dst_unused:UNUSED_PAD src0_sel:DWORD src1_sel:WORD_1
	s_branch .LBB489_666
.LBB489_664:
	s_mov_b64 s[2:3], -1
                                        ; implicit-def: $vgpr1
	s_branch .LBB489_669
.LBB489_665:
	s_mov_b64 s[2:3], -1
                                        ; implicit-def: $vgpr1
.LBB489_666:
	s_andn2_b64 vcc, exec, s[2:3]
	s_cbranch_vccnz .LBB489_668
; %bb.667:
	global_load_dword v1, v[2:3], off
	s_movk_i32 s2, 0x7fff
	v_mov_b32_e32 v4, 0x7fc0
	s_waitcnt vmcnt(0)
	v_bfe_u32 v5, v1, 16, 1
	v_cmp_o_f32_e32 vcc, v1, v1
	v_add3_u32 v1, v1, v5, s2
	s_nop 0
	v_cndmask_b32_sdwa v1, v4, v1, vcc dst_sel:DWORD dst_unused:UNUSED_PAD src0_sel:DWORD src1_sel:WORD_1
.LBB489_668:
	s_mov_b64 s[2:3], 0
.LBB489_669:
	s_andn2_b64 vcc, exec, s[2:3]
	s_cbranch_vccnz .LBB489_671
; %bb.670:
	global_load_ushort v1, v[2:3], off
	s_movk_i32 s2, 0x7fff
	v_mov_b32_e32 v5, 0x7fc0
	s_waitcnt vmcnt(0)
	v_cvt_f32_f16_e32 v4, v1
	v_cmp_o_f16_e32 vcc, v1, v1
	v_bfe_u32 v1, v4, 16, 1
	v_add3_u32 v1, v4, v1, s2
	v_cndmask_b32_sdwa v1, v5, v1, vcc dst_sel:DWORD dst_unused:UNUSED_PAD src0_sel:DWORD src1_sel:WORD_1
.LBB489_671:
	s_mov_b64 s[2:3], 0
.LBB489_672:
	s_andn2_b64 vcc, exec, s[2:3]
	s_cbranch_vccnz .LBB489_692
; %bb.673:
	s_cmp_lt_i32 s10, 2
	s_cbranch_scc1 .LBB489_677
; %bb.674:
	s_cmp_lt_i32 s10, 3
	s_cbranch_scc1 .LBB489_678
; %bb.675:
	s_cmp_gt_i32 s10, 3
	s_cbranch_scc0 .LBB489_679
; %bb.676:
	global_load_dwordx2 v[4:5], v[2:3], off
	s_movk_i32 s2, 0x7fff
	s_waitcnt vmcnt(0)
	v_xor_b32_e32 v6, v4, v5
	v_ffbh_i32_e32 v1, v5
	v_ashrrev_i32_e32 v6, 31, v6
	v_add_u32_e32 v1, -1, v1
	v_add_u32_e32 v6, 32, v6
	v_min_u32_e32 v1, v1, v6
	v_lshlrev_b64 v[4:5], v1, v[4:5]
	v_min_u32_e32 v4, 1, v4
	v_or_b32_e32 v4, v5, v4
	v_cvt_f32_i32_e32 v4, v4
	v_sub_u32_e32 v1, 32, v1
	v_ldexp_f32 v1, v4, v1
	v_bfe_u32 v4, v1, 16, 1
	v_add3_u32 v1, v1, v4, s2
	v_lshrrev_b32_e32 v1, 16, v1
	s_mov_b64 s[2:3], 0
	s_branch .LBB489_680
.LBB489_677:
	s_mov_b64 s[2:3], -1
                                        ; implicit-def: $vgpr1
	s_branch .LBB489_686
.LBB489_678:
	s_mov_b64 s[2:3], -1
                                        ; implicit-def: $vgpr1
	s_branch .LBB489_683
.LBB489_679:
	s_mov_b64 s[2:3], -1
                                        ; implicit-def: $vgpr1
.LBB489_680:
	s_andn2_b64 vcc, exec, s[2:3]
	s_cbranch_vccnz .LBB489_682
; %bb.681:
	global_load_dword v1, v[2:3], off
	s_movk_i32 s2, 0x7fff
	s_waitcnt vmcnt(0)
	v_cvt_f32_i32_e32 v1, v1
	v_bfe_u32 v4, v1, 16, 1
	v_add3_u32 v1, v1, v4, s2
	v_lshrrev_b32_e32 v1, 16, v1
.LBB489_682:
	s_mov_b64 s[2:3], 0
.LBB489_683:
	s_andn2_b64 vcc, exec, s[2:3]
	s_cbranch_vccnz .LBB489_685
; %bb.684:
	global_load_sshort v1, v[2:3], off
	s_movk_i32 s2, 0x7fff
	s_waitcnt vmcnt(0)
	v_cvt_f32_i32_e32 v1, v1
	v_bfe_u32 v4, v1, 16, 1
	v_add3_u32 v1, v1, v4, s2
	v_lshrrev_b32_e32 v1, 16, v1
.LBB489_685:
	s_mov_b64 s[2:3], 0
.LBB489_686:
	s_andn2_b64 vcc, exec, s[2:3]
	s_cbranch_vccnz .LBB489_692
; %bb.687:
	s_cmp_gt_i32 s10, 0
	s_cbranch_scc0 .LBB489_689
; %bb.688:
	global_load_sbyte v1, v[2:3], off
	s_movk_i32 s2, 0x7fff
	s_waitcnt vmcnt(0)
	v_cvt_f32_i32_e32 v1, v1
	v_bfe_u32 v4, v1, 16, 1
	v_add3_u32 v1, v1, v4, s2
	v_lshrrev_b32_e32 v1, 16, v1
	s_mov_b64 s[2:3], 0
	s_branch .LBB489_690
.LBB489_689:
	s_mov_b64 s[2:3], -1
                                        ; implicit-def: $vgpr1
.LBB489_690:
	s_andn2_b64 vcc, exec, s[2:3]
	s_cbranch_vccnz .LBB489_692
; %bb.691:
	global_load_ubyte v1, v[2:3], off
	s_movk_i32 s2, 0x7fff
	s_waitcnt vmcnt(0)
	v_cvt_f32_ubyte0_e32 v1, v1
	v_bfe_u32 v2, v1, 16, 1
	v_add3_u32 v1, v1, v2, s2
	v_lshrrev_b32_e32 v1, 16, v1
.LBB489_692:
	s_mov_b64 s[2:3], -1
.LBB489_693:
	s_andn2_b64 vcc, exec, s[2:3]
	s_cbranch_vccnz .LBB489_701
; %bb.694:
	s_waitcnt vmcnt(0)
	v_lshlrev_b32_e32 v2, 16, v1
	v_cmp_u_f32_e32 vcc, v2, v2
	v_cmp_gt_f32_e64 s[2:3], s75, v2
	v_mov_b32_e32 v2, s74
	s_or_b64 vcc, vcc, s[2:3]
	v_cndmask_b32_e32 v2, v2, v1, vcc
	v_mov_b32_e32 v1, 0
	s_and_b32 s12, s73, 0xff
	s_cmp_lt_i32 s12, 11
	v_lshl_add_u64 v[0:1], s[20:21], 0, v[0:1]
	s_cbranch_scc1 .LBB489_702
; %bb.695:
	s_and_b32 s13, 0xffff, s12
	s_cmp_gt_i32 s13, 25
	s_cbranch_scc0 .LBB489_703
; %bb.696:
	s_cmp_gt_i32 s13, 28
	s_cbranch_scc0 .LBB489_704
; %bb.697:
	;; [unrolled: 3-line block ×4, first 2 shown]
	s_mov_b64 s[8:9], 0
	s_mov_b64 s[2:3], -1
	s_cmp_eq_u32 s13, 46
	s_mov_b64 s[6:7], 0
	s_cbranch_scc0 .LBB489_707
; %bb.700:
	v_and_b32_e32 v3, 0xffff, v2
	global_store_dword v[0:1], v3, off
	s_mov_b64 s[6:7], -1
	s_mov_b64 s[2:3], 0
	s_branch .LBB489_707
.LBB489_701:
	s_mov_b64 s[6:7], 0
	s_mov_b64 s[2:3], s[62:63]
	s_branch .LBB489_818
.LBB489_702:
	s_mov_b64 s[8:9], -1
	s_mov_b64 s[6:7], 0
	s_mov_b64 s[2:3], s[62:63]
	s_branch .LBB489_776
.LBB489_703:
	s_mov_b64 s[8:9], -1
	s_mov_b64 s[6:7], 0
	s_mov_b64 s[2:3], s[62:63]
	s_branch .LBB489_734
.LBB489_704:
	s_mov_b64 s[8:9], -1
	s_mov_b64 s[6:7], 0
	s_mov_b64 s[2:3], s[62:63]
	s_branch .LBB489_717
.LBB489_705:
	s_mov_b64 s[8:9], -1
	s_mov_b64 s[6:7], 0
	s_mov_b64 s[2:3], s[62:63]
	s_branch .LBB489_713
.LBB489_706:
	s_mov_b64 s[8:9], -1
	s_mov_b64 s[6:7], 0
	s_mov_b64 s[2:3], s[62:63]
.LBB489_707:
	s_and_b64 vcc, exec, s[8:9]
	s_cbranch_vccz .LBB489_712
; %bb.708:
	s_cmp_eq_u32 s13, 44
	s_mov_b64 s[2:3], -1
	s_cbranch_scc0 .LBB489_712
; %bb.709:
	v_and_b32_e32 v4, 0xffff, v2
	v_bfe_u32 v3, v4, 7, 8
	s_movk_i32 s2, 0xff
	v_cmp_ne_u32_e32 vcc, s2, v3
	v_mov_b32_e32 v5, 0xff
	s_and_saveexec_b64 s[6:7], vcc
	s_cbranch_execz .LBB489_711
; %bb.710:
	v_lshlrev_b32_e32 v6, 16, v4
	s_mov_b32 s2, 0x3f0000
	v_lshrrev_b32_e32 v5, 7, v4
	v_and_b32_e32 v4, 64, v4
	v_and_or_b32 v3, v6, s2, v3
	v_cmp_ne_u32_e32 vcc, 0, v4
	v_cmp_ne_u32_e64 s[2:3], 0, v3
	s_and_b64 s[2:3], vcc, s[2:3]
	s_nop 0
	v_cndmask_b32_e64 v3, 0, 1, s[2:3]
	v_add_u32_e32 v5, v5, v3
.LBB489_711:
	s_or_b64 exec, exec, s[6:7]
	s_mov_b64 s[6:7], -1
	s_mov_b64 s[2:3], 0
	global_store_byte v[0:1], v5, off
.LBB489_712:
	s_mov_b64 s[8:9], 0
.LBB489_713:
	s_and_b64 vcc, exec, s[8:9]
	s_cbranch_vccz .LBB489_716
; %bb.714:
	s_cmp_eq_u32 s13, 29
	s_mov_b64 s[2:3], -1
	s_cbranch_scc0 .LBB489_716
; %bb.715:
	v_lshlrev_b32_e32 v3, 16, v2
	v_trunc_f32_e32 v3, v3
	v_mul_f32_e32 v4, 0x2f800000, v3
	v_floor_f32_e32 v4, v4
	v_fmamk_f32 v3, v4, 0xcf800000, v3
	v_cvt_u32_f32_e32 v5, v4
	v_cvt_u32_f32_e32 v4, v3
	s_mov_b64 s[6:7], -1
	s_mov_b64 s[2:3], 0
	s_mov_b64 s[8:9], 0
	global_store_dwordx2 v[0:1], v[4:5], off
	s_branch .LBB489_717
.LBB489_716:
	s_mov_b64 s[8:9], 0
.LBB489_717:
	s_and_b64 vcc, exec, s[8:9]
	s_cbranch_vccz .LBB489_733
; %bb.718:
	s_cmp_lt_i32 s13, 27
	s_mov_b64 s[6:7], -1
	s_cbranch_scc1 .LBB489_724
; %bb.719:
	s_cmp_gt_i32 s13, 27
	s_cbranch_scc0 .LBB489_721
; %bb.720:
	v_lshlrev_b32_e32 v3, 16, v2
	v_cvt_u32_f32_e32 v3, v3
	s_mov_b64 s[6:7], 0
	global_store_dword v[0:1], v3, off
.LBB489_721:
	s_andn2_b64 vcc, exec, s[6:7]
	s_cbranch_vccnz .LBB489_723
; %bb.722:
	v_lshlrev_b32_e32 v3, 16, v2
	v_cvt_u32_f32_e32 v3, v3
	global_store_short v[0:1], v3, off
.LBB489_723:
	s_mov_b64 s[6:7], 0
.LBB489_724:
	s_andn2_b64 vcc, exec, s[6:7]
	s_cbranch_vccnz .LBB489_732
; %bb.725:
	v_lshlrev_b32_e32 v5, 16, v2
	v_and_b32_e32 v4, 0x7fffffff, v5
	s_mov_b32 s6, 0x43800000
	v_cmp_gt_u32_e32 vcc, s6, v4
	v_mov_b32_e32 v6, 0x80
	s_and_saveexec_b64 s[6:7], vcc
	s_cbranch_execz .LBB489_731
; %bb.726:
	s_mov_b32 s8, 0x3bffffff
	v_and_b32_e32 v3, 0xffff, v2
	v_cmp_lt_u32_e32 vcc, s8, v4
	s_mov_b64 s[8:9], 0
                                        ; implicit-def: $vgpr4
	s_and_saveexec_b64 s[10:11], vcc
	s_xor_b64 s[10:11], exec, s[10:11]
	s_cbranch_execz .LBB489_849
; %bb.727:
	v_bfe_u32 v4, v3, 4, 1
	s_mov_b32 s14, 0x487ffff
	v_add3_u32 v4, v5, v4, s14
	s_mov_b64 s[8:9], exec
	v_lshrrev_b32_e32 v4, 20, v4
                                        ; implicit-def: $vgpr5
	s_andn2_saveexec_b64 s[10:11], s[10:11]
	s_cbranch_execnz .LBB489_850
.LBB489_728:
	s_or_b64 exec, exec, s[10:11]
	v_mov_b32_e32 v6, 0
	s_and_saveexec_b64 s[10:11], s[8:9]
.LBB489_729:
	v_lshrrev_b32_e32 v3, 8, v3
	s_movk_i32 s8, 0x80
	v_and_or_b32 v6, v3, s8, v4
.LBB489_730:
	s_or_b64 exec, exec, s[10:11]
.LBB489_731:
	s_or_b64 exec, exec, s[6:7]
	global_store_byte v[0:1], v6, off
.LBB489_732:
	s_mov_b64 s[6:7], -1
.LBB489_733:
	s_mov_b64 s[8:9], 0
.LBB489_734:
	s_and_b64 vcc, exec, s[8:9]
	s_cbranch_vccz .LBB489_775
; %bb.735:
	s_cmp_gt_i32 s13, 22
	s_mov_b64 s[8:9], -1
	s_cbranch_scc0 .LBB489_767
; %bb.736:
	s_cmp_lt_i32 s13, 24
	s_mov_b64 s[6:7], -1
	s_cbranch_scc1 .LBB489_756
; %bb.737:
	s_cmp_gt_i32 s13, 24
	s_cbranch_scc0 .LBB489_745
; %bb.738:
	v_lshlrev_b32_e32 v5, 16, v2
	v_and_b32_e32 v4, 0x7fffffff, v5
	s_mov_b32 s6, 0x47800000
	v_cmp_gt_u32_e32 vcc, s6, v4
	v_mov_b32_e32 v6, 0x80
	s_and_saveexec_b64 s[6:7], vcc
	s_cbranch_execz .LBB489_744
; %bb.739:
	s_mov_b32 s8, 0x37ffffff
	v_and_b32_e32 v3, 0xffff, v2
	v_cmp_lt_u32_e32 vcc, s8, v4
	s_mov_b64 s[8:9], 0
                                        ; implicit-def: $vgpr4
	s_and_saveexec_b64 s[10:11], vcc
	s_xor_b64 s[10:11], exec, s[10:11]
	s_cbranch_execz .LBB489_852
; %bb.740:
	v_bfe_u32 v4, v3, 5, 1
	s_mov_b32 s14, 0x88fffff
	v_add3_u32 v4, v5, v4, s14
	s_mov_b64 s[8:9], exec
	v_lshrrev_b32_e32 v4, 21, v4
                                        ; implicit-def: $vgpr5
	s_andn2_saveexec_b64 s[10:11], s[10:11]
	s_cbranch_execnz .LBB489_853
.LBB489_741:
	s_or_b64 exec, exec, s[10:11]
	v_mov_b32_e32 v6, 0
	s_and_saveexec_b64 s[10:11], s[8:9]
.LBB489_742:
	v_lshrrev_b32_e32 v3, 8, v3
	s_movk_i32 s8, 0x80
	v_and_or_b32 v6, v3, s8, v4
.LBB489_743:
	s_or_b64 exec, exec, s[10:11]
.LBB489_744:
	s_or_b64 exec, exec, s[6:7]
	s_mov_b64 s[6:7], 0
	global_store_byte v[0:1], v6, off
.LBB489_745:
	s_and_b64 vcc, exec, s[6:7]
	s_cbranch_vccz .LBB489_755
; %bb.746:
	v_lshlrev_b32_e32 v5, 16, v2
	v_and_b32_e32 v6, 0x7fffffff, v5
	s_mov_b32 s6, 0x43f00000
	v_and_b32_e32 v3, 0xffff, v2
	v_cmp_gt_u32_e32 vcc, s6, v6
                                        ; implicit-def: $vgpr4
	s_and_saveexec_b64 s[6:7], vcc
	s_xor_b64 s[6:7], exec, s[6:7]
	s_cbranch_execz .LBB489_752
; %bb.747:
	s_mov_b32 s8, 0x3c7fffff
	v_cmp_lt_u32_e32 vcc, s8, v6
                                        ; implicit-def: $vgpr4
	s_and_saveexec_b64 s[8:9], vcc
	s_xor_b64 s[8:9], exec, s[8:9]
; %bb.748:
	v_bfe_u32 v4, v3, 4, 1
	s_mov_b32 s10, 0x407ffff
	v_add3_u32 v4, v5, v4, s10
	v_lshrrev_b32_e32 v5, 20, v4
	v_and_b32_e32 v4, 0xff00000, v4
	s_mov_b32 s10, 0x7f00000
	v_mov_b32_e32 v6, 0x7e
	v_cmp_ne_u32_e32 vcc, s10, v4
	s_nop 1
	v_cndmask_b32_e32 v4, v6, v5, vcc
                                        ; implicit-def: $vgpr5
; %bb.749:
	s_andn2_saveexec_b64 s[8:9], s[8:9]
; %bb.750:
	s_mov_b32 s10, 0x46800000
	v_add_f32_e64 v4, |v5|, s10
; %bb.751:
	s_or_b64 exec, exec, s[8:9]
                                        ; implicit-def: $vgpr6
.LBB489_752:
	s_andn2_saveexec_b64 s[6:7], s[6:7]
; %bb.753:
	s_mov_b32 s8, 0x7f800000
	v_mov_b32_e32 v4, 0x7e
	v_mov_b32_e32 v5, 0x7f
	v_cmp_lt_u32_e32 vcc, s8, v6
	s_nop 1
	v_cndmask_b32_e32 v4, v4, v5, vcc
; %bb.754:
	s_or_b64 exec, exec, s[6:7]
	v_lshrrev_b32_e32 v3, 8, v3
	s_movk_i32 s6, 0x80
	v_and_or_b32 v3, v3, s6, v4
	global_store_byte v[0:1], v3, off
.LBB489_755:
	s_mov_b64 s[6:7], 0
.LBB489_756:
	s_andn2_b64 vcc, exec, s[6:7]
	s_cbranch_vccnz .LBB489_766
; %bb.757:
	v_lshlrev_b32_e32 v5, 16, v2
	v_and_b32_e32 v6, 0x7fffffff, v5
	s_mov_b32 s6, 0x47800000
	v_and_b32_e32 v3, 0xffff, v2
	v_cmp_gt_u32_e32 vcc, s6, v6
                                        ; implicit-def: $vgpr4
	s_and_saveexec_b64 s[6:7], vcc
	s_xor_b64 s[6:7], exec, s[6:7]
	s_cbranch_execz .LBB489_763
; %bb.758:
	s_mov_b32 s8, 0x387fffff
	v_cmp_lt_u32_e32 vcc, s8, v6
                                        ; implicit-def: $vgpr4
	s_and_saveexec_b64 s[8:9], vcc
	s_xor_b64 s[8:9], exec, s[8:9]
; %bb.759:
	v_bfe_u32 v4, v3, 5, 1
	s_mov_b32 s10, 0x80fffff
	v_add3_u32 v4, v5, v4, s10
	v_lshrrev_b32_e32 v4, 21, v4
                                        ; implicit-def: $vgpr5
; %bb.760:
	s_andn2_saveexec_b64 s[8:9], s[8:9]
; %bb.761:
	s_mov_b32 s10, 0x43000000
	v_add_f32_e64 v4, |v5|, s10
; %bb.762:
	s_or_b64 exec, exec, s[8:9]
                                        ; implicit-def: $vgpr6
.LBB489_763:
	s_andn2_saveexec_b64 s[6:7], s[6:7]
; %bb.764:
	s_mov_b32 s8, 0x7f800000
	v_mov_b32_e32 v4, 0x7c
	v_mov_b32_e32 v5, 0x7f
	v_cmp_lt_u32_e32 vcc, s8, v6
	s_nop 1
	v_cndmask_b32_e32 v4, v4, v5, vcc
; %bb.765:
	s_or_b64 exec, exec, s[6:7]
	v_lshrrev_b32_e32 v3, 8, v3
	s_movk_i32 s6, 0x80
	v_and_or_b32 v3, v3, s6, v4
	global_store_byte v[0:1], v3, off
.LBB489_766:
	s_mov_b64 s[8:9], 0
	s_mov_b64 s[6:7], -1
.LBB489_767:
	s_andn2_b64 vcc, exec, s[8:9]
	s_cbranch_vccnz .LBB489_775
; %bb.768:
	s_cmp_gt_i32 s13, 14
	s_mov_b64 s[8:9], -1
	s_cbranch_scc0 .LBB489_772
; %bb.769:
	s_cmp_eq_u32 s13, 15
	s_mov_b64 s[2:3], -1
	s_cbranch_scc0 .LBB489_771
; %bb.770:
	global_store_short v[0:1], v2, off
	s_mov_b64 s[6:7], -1
	s_mov_b64 s[2:3], 0
.LBB489_771:
	s_mov_b64 s[8:9], 0
.LBB489_772:
	s_and_b64 vcc, exec, s[8:9]
	s_cbranch_vccz .LBB489_775
; %bb.773:
	s_cmp_eq_u32 s13, 11
	s_mov_b64 s[2:3], -1
	s_cbranch_scc0 .LBB489_775
; %bb.774:
	v_and_b32_e32 v3, 0x7fff, v2
	v_cmp_ne_u16_e32 vcc, 0, v3
	s_mov_b64 s[6:7], -1
	s_mov_b64 s[2:3], 0
	v_cndmask_b32_e64 v3, 0, 1, vcc
	global_store_byte v[0:1], v3, off
.LBB489_775:
	s_mov_b64 s[8:9], 0
.LBB489_776:
	s_and_b64 vcc, exec, s[8:9]
	s_cbranch_vccz .LBB489_815
; %bb.777:
	s_and_b32 s8, 0xffff, s12
	s_cmp_lt_i32 s8, 5
	s_mov_b64 s[6:7], -1
	s_cbranch_scc1 .LBB489_798
; %bb.778:
	s_cmp_lt_i32 s8, 8
	s_cbranch_scc1 .LBB489_788
; %bb.779:
	s_cmp_lt_i32 s8, 9
	s_cbranch_scc1 .LBB489_785
; %bb.780:
	s_cmp_gt_i32 s8, 9
	s_cbranch_scc0 .LBB489_782
; %bb.781:
	v_lshlrev_b32_e32 v3, 16, v2
	v_mov_b32_e32 v6, 0
	v_cvt_f64_f32_e32 v[4:5], v3
	v_mov_b32_e32 v7, v6
	s_mov_b64 s[6:7], 0
	global_store_dwordx4 v[0:1], v[4:7], off
.LBB489_782:
	s_andn2_b64 vcc, exec, s[6:7]
	s_cbranch_vccnz .LBB489_784
; %bb.783:
	v_lshlrev_b32_e32 v4, 16, v2
	v_mov_b32_e32 v5, 0
	global_store_dwordx2 v[0:1], v[4:5], off
.LBB489_784:
	s_mov_b64 s[6:7], 0
.LBB489_785:
	s_andn2_b64 vcc, exec, s[6:7]
	s_cbranch_vccnz .LBB489_787
; %bb.786:
	v_lshlrev_b32_e32 v3, 16, v2
	v_cvt_f16_f32_e32 v3, v3
	global_store_dword v[0:1], v3, off
.LBB489_787:
	s_mov_b64 s[6:7], 0
.LBB489_788:
	s_andn2_b64 vcc, exec, s[6:7]
	s_cbranch_vccnz .LBB489_797
; %bb.789:
	s_cmp_lt_i32 s8, 6
	s_mov_b64 s[6:7], -1
	s_cbranch_scc1 .LBB489_795
; %bb.790:
	s_cmp_gt_i32 s8, 6
	s_cbranch_scc0 .LBB489_792
; %bb.791:
	v_lshlrev_b32_e32 v3, 16, v2
	v_cvt_f64_f32_e32 v[4:5], v3
	s_mov_b64 s[6:7], 0
	global_store_dwordx2 v[0:1], v[4:5], off
.LBB489_792:
	s_andn2_b64 vcc, exec, s[6:7]
	s_cbranch_vccnz .LBB489_794
; %bb.793:
	v_lshlrev_b32_e32 v3, 16, v2
	global_store_dword v[0:1], v3, off
.LBB489_794:
	s_mov_b64 s[6:7], 0
.LBB489_795:
	s_andn2_b64 vcc, exec, s[6:7]
	s_cbranch_vccnz .LBB489_797
; %bb.796:
	v_lshlrev_b32_e32 v3, 16, v2
	v_cvt_f16_f32_e32 v3, v3
	global_store_short v[0:1], v3, off
.LBB489_797:
	s_mov_b64 s[6:7], 0
.LBB489_798:
	s_andn2_b64 vcc, exec, s[6:7]
	s_cbranch_vccnz .LBB489_814
; %bb.799:
	s_cmp_lt_i32 s8, 2
	s_mov_b64 s[6:7], -1
	s_cbranch_scc1 .LBB489_809
; %bb.800:
	s_cmp_lt_i32 s8, 3
	s_cbranch_scc1 .LBB489_806
; %bb.801:
	s_cmp_gt_i32 s8, 3
	s_cbranch_scc0 .LBB489_803
; %bb.802:
	v_lshlrev_b32_e32 v3, 16, v2
	v_trunc_f32_e32 v3, v3
	s_mov_b32 s6, 0x2f800000
	v_mul_f32_e64 v4, |v3|, s6
	v_floor_f32_e32 v4, v4
	s_mov_b32 s6, 0xcf800000
	v_cvt_u32_f32_e32 v5, v4
	v_fma_f32 v4, v4, s6, |v3|
	v_cvt_u32_f32_e32 v4, v4
	v_ashrrev_i32_e32 v3, 31, v3
	v_xor_b32_e32 v5, v5, v3
	s_mov_b64 s[6:7], 0
	v_xor_b32_e32 v4, v4, v3
	v_sub_co_u32_e32 v4, vcc, v4, v3
	s_nop 1
	v_subb_co_u32_e32 v5, vcc, v5, v3, vcc
	global_store_dwordx2 v[0:1], v[4:5], off
.LBB489_803:
	s_andn2_b64 vcc, exec, s[6:7]
	s_cbranch_vccnz .LBB489_805
; %bb.804:
	v_lshlrev_b32_e32 v3, 16, v2
	v_cvt_i32_f32_e32 v3, v3
	global_store_dword v[0:1], v3, off
.LBB489_805:
	s_mov_b64 s[6:7], 0
.LBB489_806:
	s_andn2_b64 vcc, exec, s[6:7]
	s_cbranch_vccnz .LBB489_808
; %bb.807:
	v_lshlrev_b32_e32 v3, 16, v2
	v_cvt_i32_f32_e32 v3, v3
	global_store_short v[0:1], v3, off
.LBB489_808:
	s_mov_b64 s[6:7], 0
.LBB489_809:
	s_andn2_b64 vcc, exec, s[6:7]
	s_cbranch_vccnz .LBB489_814
; %bb.810:
	s_mov_b64 s[6:7], -1
	s_cmp_gt_i32 s8, 0
	v_lshlrev_b32_e32 v2, 16, v2
	s_cbranch_scc0 .LBB489_812
; %bb.811:
	v_cvt_i32_f32_e32 v3, v2
	s_mov_b64 s[6:7], 0
	global_store_byte v[0:1], v3, off
.LBB489_812:
	s_andn2_b64 vcc, exec, s[6:7]
	s_cbranch_vccnz .LBB489_814
; %bb.813:
	v_trunc_f32_e32 v2, v2
	s_mov_b32 s6, 0x2f800000
	v_mul_f32_e64 v3, |v2|, s6
	v_floor_f32_e32 v3, v3
	s_mov_b32 s6, 0xcf800000
	v_fma_f32 v3, v3, s6, |v2|
	v_cvt_u32_f32_e32 v3, v3
	v_ashrrev_i32_e32 v2, 31, v2
	v_xor_b32_e32 v3, v3, v2
	v_sub_u32_e32 v2, v3, v2
	global_store_byte v[0:1], v2, off
.LBB489_814:
	s_mov_b64 s[6:7], -1
.LBB489_815:
	s_andn2_b64 vcc, exec, s[6:7]
	s_cbranch_vccnz .LBB489_817
; %bb.816:
	v_add_u32_e32 v8, 0x80, v8
	s_mov_b64 s[6:7], -1
	s_branch .LBB489_819
.LBB489_817:
	s_mov_b64 s[6:7], 0
.LBB489_818:
                                        ; implicit-def: $vgpr8
.LBB489_819:
	s_andn2_b64 s[8:9], s[62:63], exec
	s_and_b64 s[2:3], s[2:3], exec
	s_or_b64 s[68:69], s[8:9], s[2:3]
	s_andn2_b64 s[2:3], s[60:61], exec
	s_and_b64 s[4:5], s[4:5], exec
	s_or_b64 s[2:3], s[2:3], s[4:5]
	s_orn2_b64 s[6:7], s[6:7], exec
.LBB489_820:
	s_or_b64 exec, exec, s[66:67]
	s_mov_b64 s[4:5], 0
	s_mov_b64 s[10:11], 0
	;; [unrolled: 1-line block ×3, first 2 shown]
                                        ; implicit-def: $vgpr2_vgpr3
                                        ; implicit-def: $vgpr0
                                        ; implicit-def: $vgpr1
	s_and_saveexec_b64 s[66:67], s[6:7]
	s_cbranch_execz .LBB489_920
; %bb.821:
	v_cmp_gt_i32_e32 vcc, s70, v8
	s_mov_b64 s[6:7], 0
	s_mov_b64 s[12:13], s[2:3]
                                        ; implicit-def: $vgpr2_vgpr3
                                        ; implicit-def: $vgpr0
                                        ; implicit-def: $vgpr1
	s_and_saveexec_b64 s[70:71], vcc
	s_cbranch_execz .LBB489_919
; %bb.822:
	s_andn2_b64 vcc, exec, s[42:43]
	s_cbranch_vccnz .LBB489_828
; %bb.823:
	s_andn2_b64 vcc, exec, s[52:53]
	s_cbranch_vccnz .LBB489_829
; %bb.824:
	s_add_i32 s78, s77, 1
	s_cmp_eq_u32 s72, 2
	s_cbranch_scc1 .LBB489_830
; %bb.825:
	s_and_b32 s77, s78, 28
	s_mov_b32 s79, 0
	v_mov_b32_e32 v0, 0
	v_mov_b32_e32 v2, 0
	s_mov_b64 s[52:53], s[34:35]
	v_mov_b32_e32 v4, v8
.LBB489_826:                            ; =>This Inner Loop Header: Depth=1
	s_load_dwordx8 s[12:19], s[52:53], 0x4
	s_load_dwordx4 s[36:39], s[52:53], 0x24
	s_load_dwordx8 s[4:11], s[50:51], 0x0
	s_add_u32 s52, s52, 48
	s_addc_u32 s53, s53, 0
	s_waitcnt vmcnt(0) lgkmcnt(0)
	v_mul_hi_u32 v1, s13, v4
	v_add_u32_e32 v1, v4, v1
	v_lshrrev_b32_e32 v1, s14, v1
	v_mul_lo_u32 v3, v1, s12
	v_mul_hi_u32 v5, s16, v1
	v_sub_u32_e32 v3, v4, v3
	v_add_u32_e32 v4, v1, v5
	v_lshrrev_b32_e32 v4, s17, v4
	v_mul_lo_u32 v6, v4, s15
	v_mul_hi_u32 v7, s19, v4
	v_sub_u32_e32 v1, v1, v6
	v_add_u32_e32 v6, v4, v7
	v_mul_lo_u32 v5, v3, s5
	v_mul_lo_u32 v3, v3, s4
	;; [unrolled: 1-line block ×4, first 2 shown]
	v_lshrrev_b32_e32 v6, s36, v6
	v_add3_u32 v0, v3, v0, v1
	v_mul_hi_u32 v3, s38, v6
	v_add3_u32 v1, v5, v2, v7
	v_mul_lo_u32 v2, v6, s18
	v_add_u32_e32 v3, v6, v3
	v_sub_u32_e32 v2, v4, v2
	v_lshrrev_b32_e32 v4, s39, v3
	s_add_i32 s79, s79, 4
	v_mul_lo_u32 v3, v4, s37
	s_add_u32 s50, s50, 32
	v_sub_u32_e32 v3, v6, v3
	s_addc_u32 s51, s51, 0
	v_mul_lo_u32 v5, v2, s8
	v_mul_lo_u32 v2, v2, s9
	;; [unrolled: 1-line block ×4, first 2 shown]
	s_cmp_eq_u32 s77, s79
	v_add3_u32 v2, v2, v1, v3
	v_add3_u32 v0, v5, v0, v6
	s_cbranch_scc0 .LBB489_826
; %bb.827:
	v_mov_b32_e32 v1, v2
	s_branch .LBB489_831
.LBB489_828:
	s_mov_b64 s[4:5], -1
                                        ; implicit-def: $vgpr2
                                        ; implicit-def: $vgpr0
	s_branch .LBB489_835
.LBB489_829:
	v_mov_b32_e32 v2, 0
	v_mov_b32_e32 v0, 0
	s_branch .LBB489_834
.LBB489_830:
	v_mov_b32_e32 v0, 0
	s_mov_b32 s77, 0
	s_waitcnt vmcnt(0)
	v_mov_b32_e32 v1, v0
                                        ; implicit-def: $vgpr2
	v_mov_b32_e32 v4, v8
.LBB489_831:
	s_and_b32 s8, s78, 3
	s_cmp_eq_u32 s8, 0
	s_cbranch_scc1 .LBB489_834
; %bb.832:
	s_lshl_b32 s4, s77, 3
	s_add_u32 s4, s34, s4
	s_addc_u32 s5, s35, 0
	s_add_u32 s4, s4, 0xc4
	s_addc_u32 s5, s5, 0
	s_mul_i32 s6, s77, 12
	s_add_u32 s6, s34, s6
	s_addc_u32 s7, s35, 0
.LBB489_833:                            ; =>This Inner Loop Header: Depth=1
	s_load_dwordx2 s[10:11], s[6:7], 0x4
	s_load_dword s9, s[6:7], 0xc
	s_load_dwordx2 s[12:13], s[4:5], 0x0
	v_mov_b32_e32 v2, v1
	s_add_u32 s6, s6, 12
	s_waitcnt lgkmcnt(0)
	v_mul_hi_u32 v1, s11, v4
	v_add_u32_e32 v1, v4, v1
	v_lshrrev_b32_e32 v1, s9, v1
	s_addc_u32 s7, s7, 0
	v_mul_lo_u32 v3, v1, s10
	s_add_u32 s4, s4, 8
	v_sub_u32_e32 v5, v4, v3
	s_addc_u32 s5, s5, 0
	s_add_i32 s8, s8, -1
	v_mov_b32_e32 v4, v1
	v_mad_u64_u32 v[2:3], s[10:11], v5, s13, v[2:3]
	v_mad_u64_u32 v[0:1], s[10:11], v5, s12, v[0:1]
	s_cmp_lg_u32 s8, 0
	v_mov_b32_e32 v1, v2
	s_cbranch_scc1 .LBB489_833
.LBB489_834:
	s_mov_b64 s[4:5], 0
.LBB489_835:
	s_andn2_b64 vcc, exec, s[4:5]
	s_cbranch_vccnz .LBB489_838
; %bb.836:
	v_mul_hi_u32 v0, s25, v8
	v_add_u32_e32 v0, v8, v0
	s_waitcnt vmcnt(0)
	v_lshrrev_b32_e32 v1, s26, v0
	v_mul_lo_u32 v0, v1, s24
	v_sub_u32_e32 v0, v8, v0
	v_mul_lo_u32 v2, v0, s29
	s_andn2_b64 vcc, exec, s[48:49]
	v_mul_lo_u32 v0, v0, s28
	s_cbranch_vccnz .LBB489_838
; %bb.837:
	v_mul_hi_u32 v3, s46, v1
	v_add_u32_e32 v3, v1, v3
	v_lshrrev_b32_e32 v3, s47, v3
	v_mul_lo_u32 v3, v3, s27
	v_sub_u32_e32 v3, v1, v3
	v_mad_u64_u32 v[0:1], s[4:5], v3, s30, v[0:1]
	v_mad_u64_u32 v[2:3], s[4:5], v3, s31, v[2:3]
.LBB489_838:
	v_mov_b32_e32 v3, 0
	s_and_b32 s14, 0xffff, s76
	s_cmp_lt_i32 s14, 11
	v_lshl_add_u64 v[2:3], s[22:23], 0, v[2:3]
	s_cbranch_scc1 .LBB489_845
; %bb.839:
	s_cmp_gt_i32 s14, 25
	s_mov_b64 s[6:7], 0
	s_cbranch_scc0 .LBB489_846
; %bb.840:
	s_cmp_gt_i32 s14, 28
	s_cbranch_scc0 .LBB489_847
; %bb.841:
	s_cmp_gt_i32 s14, 43
	;; [unrolled: 3-line block ×3, first 2 shown]
	s_cbranch_scc0 .LBB489_851
; %bb.843:
	s_cmp_eq_u32 s14, 46
	s_mov_b64 s[10:11], 0
	s_cbranch_scc0 .LBB489_854
; %bb.844:
	global_load_dword v1, v[2:3], off
	s_mov_b64 s[4:5], 0
	s_mov_b64 s[8:9], -1
	s_branch .LBB489_855
.LBB489_845:
	s_mov_b64 s[10:11], -1
	s_mov_b64 s[8:9], 0
	s_mov_b64 s[6:7], 0
	;; [unrolled: 1-line block ×3, first 2 shown]
                                        ; implicit-def: $vgpr1
	s_branch .LBB489_918
.LBB489_846:
	s_mov_b64 s[10:11], -1
	s_mov_b64 s[8:9], 0
	s_mov_b64 s[4:5], s[2:3]
                                        ; implicit-def: $vgpr1
	s_branch .LBB489_884
.LBB489_847:
	s_mov_b64 s[10:11], -1
	s_mov_b64 s[8:9], 0
	s_mov_b64 s[4:5], s[2:3]
                                        ; implicit-def: $vgpr1
	s_branch .LBB489_865
.LBB489_848:
	s_mov_b64 s[10:11], -1
	s_mov_b64 s[8:9], 0
	s_mov_b64 s[4:5], s[2:3]
                                        ; implicit-def: $vgpr1
	s_branch .LBB489_860
.LBB489_849:
	s_andn2_saveexec_b64 s[10:11], s[10:11]
	s_cbranch_execz .LBB489_728
.LBB489_850:
	s_mov_b32 s14, 0x46000000
	v_add_f32_e64 v4, |v5|, s14
	v_and_b32_e32 v4, 0xff, v4
	v_cmp_ne_u32_e32 vcc, 0, v4
	s_andn2_b64 s[8:9], s[8:9], exec
	s_and_b64 s[14:15], vcc, exec
	s_or_b64 s[8:9], s[8:9], s[14:15]
	s_or_b64 exec, exec, s[10:11]
	v_mov_b32_e32 v6, 0
	s_and_saveexec_b64 s[10:11], s[8:9]
	s_cbranch_execnz .LBB489_729
	s_branch .LBB489_730
.LBB489_851:
	s_mov_b64 s[10:11], -1
	s_mov_b64 s[8:9], 0
	s_mov_b64 s[4:5], s[2:3]
                                        ; implicit-def: $vgpr1
	s_branch .LBB489_855
.LBB489_852:
	s_andn2_saveexec_b64 s[10:11], s[10:11]
	s_cbranch_execz .LBB489_741
.LBB489_853:
	s_mov_b32 s14, 0x42800000
	v_add_f32_e64 v4, |v5|, s14
	v_and_b32_e32 v4, 0xff, v4
	v_cmp_ne_u32_e32 vcc, 0, v4
	s_andn2_b64 s[8:9], s[8:9], exec
	s_and_b64 s[14:15], vcc, exec
	s_or_b64 s[8:9], s[8:9], s[14:15]
	s_or_b64 exec, exec, s[10:11]
	v_mov_b32_e32 v6, 0
	s_and_saveexec_b64 s[10:11], s[8:9]
	s_cbranch_execnz .LBB489_742
	s_branch .LBB489_743
.LBB489_854:
	s_mov_b64 s[4:5], -1
                                        ; implicit-def: $vgpr1
	s_mov_b64 s[8:9], 0
.LBB489_855:
	s_and_b64 vcc, exec, s[10:11]
	s_cbranch_vccz .LBB489_859
; %bb.856:
	s_cmp_eq_u32 s14, 44
	s_cbranch_scc0 .LBB489_858
; %bb.857:
	global_load_ubyte v1, v[2:3], off
	s_movk_i32 s8, 0xff
	v_mov_b32_e32 v4, 0x7f800001
	v_mov_b32_e32 v5, 0x400000
	;; [unrolled: 1-line block ×3, first 2 shown]
	s_mov_b64 s[4:5], 0
	s_waitcnt vmcnt(0)
	v_lshlrev_b32_e32 v7, 23, v1
	v_cmp_ne_u32_e32 vcc, s8, v1
	s_mov_b64 s[8:9], -1
	s_nop 0
	v_cndmask_b32_e32 v4, v4, v7, vcc
	v_cmp_ne_u32_e32 vcc, 0, v1
	s_nop 1
	v_cndmask_b32_e32 v1, v5, v4, vcc
	v_add_u32_e32 v4, 0x7fff, v1
	v_cmp_o_f32_e32 vcc, v1, v1
	s_nop 1
	v_cndmask_b32_sdwa v1, v6, v4, vcc dst_sel:DWORD dst_unused:UNUSED_PAD src0_sel:DWORD src1_sel:WORD_1
	s_branch .LBB489_859
.LBB489_858:
	s_mov_b64 s[4:5], -1
                                        ; implicit-def: $vgpr1
.LBB489_859:
	s_mov_b64 s[10:11], 0
.LBB489_860:
	s_and_b64 vcc, exec, s[10:11]
	s_cbranch_vccz .LBB489_864
; %bb.861:
	s_cmp_eq_u32 s14, 29
	s_cbranch_scc0 .LBB489_863
; %bb.862:
	global_load_dwordx2 v[4:5], v[2:3], off
	s_movk_i32 s8, 0x7fff
	s_mov_b64 s[4:5], 0
	s_mov_b64 s[10:11], 0
	s_waitcnt vmcnt(0)
	v_ffbh_u32_e32 v1, v5
	v_min_u32_e32 v1, 32, v1
	v_lshlrev_b64 v[4:5], v1, v[4:5]
	v_min_u32_e32 v4, 1, v4
	v_or_b32_e32 v4, v5, v4
	v_cvt_f32_u32_e32 v4, v4
	v_sub_u32_e32 v1, 32, v1
	v_ldexp_f32 v1, v4, v1
	v_bfe_u32 v4, v1, 16, 1
	v_add3_u32 v1, v1, v4, s8
	v_lshrrev_b32_e32 v1, 16, v1
	s_mov_b64 s[8:9], -1
	s_branch .LBB489_865
.LBB489_863:
	s_mov_b64 s[4:5], -1
                                        ; implicit-def: $vgpr1
.LBB489_864:
	s_mov_b64 s[10:11], 0
.LBB489_865:
	s_and_b64 vcc, exec, s[10:11]
	s_cbranch_vccz .LBB489_883
; %bb.866:
	s_cmp_lt_i32 s14, 27
	s_cbranch_scc1 .LBB489_869
; %bb.867:
	s_cmp_gt_i32 s14, 27
	s_cbranch_scc0 .LBB489_870
; %bb.868:
	global_load_dword v1, v[2:3], off
	s_movk_i32 s8, 0x7fff
	s_waitcnt vmcnt(0)
	v_cvt_f32_u32_e32 v1, v1
	v_bfe_u32 v4, v1, 16, 1
	v_add3_u32 v1, v1, v4, s8
	v_lshrrev_b32_e32 v1, 16, v1
	s_mov_b64 s[8:9], 0
	s_branch .LBB489_871
.LBB489_869:
	s_mov_b64 s[8:9], -1
                                        ; implicit-def: $vgpr1
	s_branch .LBB489_874
.LBB489_870:
	s_mov_b64 s[8:9], -1
                                        ; implicit-def: $vgpr1
.LBB489_871:
	s_andn2_b64 vcc, exec, s[8:9]
	s_cbranch_vccnz .LBB489_873
; %bb.872:
	global_load_ushort v1, v[2:3], off
	s_movk_i32 s8, 0x7fff
	s_waitcnt vmcnt(0)
	v_cvt_f32_u32_e32 v1, v1
	v_bfe_u32 v4, v1, 16, 1
	v_add3_u32 v1, v1, v4, s8
	v_lshrrev_b32_e32 v1, 16, v1
.LBB489_873:
	s_mov_b64 s[8:9], 0
.LBB489_874:
	s_andn2_b64 vcc, exec, s[8:9]
	s_cbranch_vccnz .LBB489_882
; %bb.875:
	global_load_ubyte v1, v[2:3], off
	s_movk_i32 s8, 0x7f
	s_waitcnt vmcnt(0)
	v_cmp_lt_i16_e32 vcc, s8, v1
	s_mov_b64 s[8:9], 0
	s_and_saveexec_b64 s[10:11], vcc
	s_xor_b64 s[10:11], exec, s[10:11]
	s_cbranch_execz .LBB489_896
; %bb.876:
	s_movk_i32 s8, 0x80
	v_cmp_eq_u16_e32 vcc, s8, v1
	s_mov_b64 s[8:9], -1
	s_and_saveexec_b64 s[12:13], vcc
; %bb.877:
	s_xor_b64 s[8:9], exec, -1
; %bb.878:
	s_or_b64 exec, exec, s[12:13]
	s_and_b64 s[8:9], s[8:9], exec
	s_or_saveexec_b64 s[10:11], s[10:11]
	v_mov_b32_e32 v4, 0x7f800001
	s_xor_b64 exec, exec, s[10:11]
	s_cbranch_execnz .LBB489_897
.LBB489_879:
	s_or_b64 exec, exec, s[10:11]
	s_and_saveexec_b64 s[10:11], s[8:9]
	s_cbranch_execz .LBB489_881
.LBB489_880:
	v_lshlrev_b32_e32 v4, 24, v1
	v_and_b32_e32 v1, 0xffff, v1
	v_and_b32_e32 v5, 7, v1
	v_ffbh_u32_e32 v7, v5
	v_min_u32_e32 v7, 32, v7
	v_subrev_u32_e32 v8, 28, v7
	v_bfe_u32 v6, v1, 3, 4
	v_lshlrev_b32_e32 v1, v8, v1
	v_sub_u32_e32 v7, 29, v7
	v_and_b32_e32 v1, 7, v1
	v_cmp_eq_u32_e32 vcc, 0, v6
	v_and_b32_e32 v4, 0x80000000, v4
	s_nop 0
	v_cndmask_b32_e32 v6, v6, v7, vcc
	v_cndmask_b32_e32 v1, v5, v1, vcc
	v_mov_b32_e32 v5, 0x3b800000
	v_lshlrev_b32_e32 v1, 20, v1
	v_lshl_add_u32 v5, v6, 23, v5
	v_or3_b32 v4, v4, v5, v1
.LBB489_881:
	s_or_b64 exec, exec, s[10:11]
	v_bfe_u32 v1, v4, 16, 1
	s_movk_i32 s8, 0x7fff
	v_add3_u32 v1, v4, v1, s8
	v_cmp_o_f32_e32 vcc, v4, v4
	v_mov_b32_e32 v4, 0x7fc0
	s_nop 0
	v_cndmask_b32_sdwa v1, v4, v1, vcc dst_sel:DWORD dst_unused:UNUSED_PAD src0_sel:DWORD src1_sel:WORD_1
.LBB489_882:
	s_mov_b64 s[8:9], -1
.LBB489_883:
	s_mov_b64 s[10:11], 0
.LBB489_884:
	s_and_b64 vcc, exec, s[10:11]
	s_cbranch_vccz .LBB489_917
; %bb.885:
	s_cmp_gt_i32 s14, 22
	s_cbranch_scc0 .LBB489_895
; %bb.886:
	s_cmp_lt_i32 s14, 24
	s_cbranch_scc1 .LBB489_898
; %bb.887:
	s_cmp_gt_i32 s14, 24
	s_cbranch_scc0 .LBB489_899
; %bb.888:
	global_load_ubyte v1, v[2:3], off
	s_movk_i32 s6, 0x7f
	s_waitcnt vmcnt(0)
	v_cmp_lt_i16_e32 vcc, s6, v1
	s_mov_b64 s[6:7], 0
	s_and_saveexec_b64 s[8:9], vcc
	s_xor_b64 s[8:9], exec, s[8:9]
	s_cbranch_execz .LBB489_911
; %bb.889:
	s_movk_i32 s6, 0x80
	v_cmp_eq_u16_e32 vcc, s6, v1
	s_mov_b64 s[6:7], -1
	s_and_saveexec_b64 s[10:11], vcc
; %bb.890:
	s_xor_b64 s[6:7], exec, -1
; %bb.891:
	s_or_b64 exec, exec, s[10:11]
	s_and_b64 s[6:7], s[6:7], exec
	s_or_saveexec_b64 s[8:9], s[8:9]
	v_mov_b32_e32 v4, 0x7f800001
	s_xor_b64 exec, exec, s[8:9]
	s_cbranch_execnz .LBB489_912
.LBB489_892:
	s_or_b64 exec, exec, s[8:9]
	s_and_saveexec_b64 s[8:9], s[6:7]
	s_cbranch_execz .LBB489_894
.LBB489_893:
	v_lshlrev_b32_e32 v4, 24, v1
	v_and_b32_e32 v1, 0xffff, v1
	v_and_b32_e32 v5, 3, v1
	v_ffbh_u32_e32 v7, v5
	v_min_u32_e32 v7, 32, v7
	v_subrev_u32_e32 v8, 29, v7
	v_bfe_u32 v6, v1, 2, 5
	v_lshlrev_b32_e32 v1, v8, v1
	v_sub_u32_e32 v7, 30, v7
	v_and_b32_e32 v1, 3, v1
	v_cmp_eq_u32_e32 vcc, 0, v6
	v_and_b32_e32 v4, 0x80000000, v4
	s_nop 0
	v_cndmask_b32_e32 v6, v6, v7, vcc
	v_cndmask_b32_e32 v1, v5, v1, vcc
	v_mov_b32_e32 v5, 0x37800000
	v_lshlrev_b32_e32 v1, 21, v1
	v_lshl_add_u32 v5, v6, 23, v5
	v_or3_b32 v4, v4, v5, v1
.LBB489_894:
	s_or_b64 exec, exec, s[8:9]
	v_bfe_u32 v1, v4, 16, 1
	s_movk_i32 s6, 0x7fff
	v_add3_u32 v1, v4, v1, s6
	v_cmp_o_f32_e32 vcc, v4, v4
	v_mov_b32_e32 v4, 0x7fc0
	s_mov_b64 s[6:7], 0
	v_cndmask_b32_sdwa v1, v4, v1, vcc dst_sel:DWORD dst_unused:UNUSED_PAD src0_sel:DWORD src1_sel:WORD_1
	s_branch .LBB489_900
.LBB489_895:
	s_mov_b64 s[6:7], -1
                                        ; implicit-def: $vgpr1
	s_branch .LBB489_906
.LBB489_896:
	s_or_saveexec_b64 s[10:11], s[10:11]
	v_mov_b32_e32 v4, 0x7f800001
	s_xor_b64 exec, exec, s[10:11]
	s_cbranch_execz .LBB489_879
.LBB489_897:
	v_cmp_ne_u16_e32 vcc, 0, v1
	s_andn2_b64 s[8:9], s[8:9], exec
	s_and_b64 s[12:13], vcc, exec
	v_mov_b32_e32 v4, 0
	s_or_b64 s[8:9], s[8:9], s[12:13]
	s_or_b64 exec, exec, s[10:11]
	s_and_saveexec_b64 s[10:11], s[8:9]
	s_cbranch_execnz .LBB489_880
	s_branch .LBB489_881
.LBB489_898:
	s_mov_b64 s[6:7], -1
                                        ; implicit-def: $vgpr1
	s_branch .LBB489_903
.LBB489_899:
	s_mov_b64 s[6:7], -1
                                        ; implicit-def: $vgpr1
.LBB489_900:
	s_and_b64 vcc, exec, s[6:7]
	s_cbranch_vccz .LBB489_902
; %bb.901:
	global_load_ubyte v1, v[2:3], off
	s_mov_b32 s6, 0x7f800000
	s_brev_b32 s7, 1
	s_movk_i32 s8, 0x7fff
	s_waitcnt vmcnt(0)
	v_lshlrev_b32_e32 v1, 24, v1
	v_and_b32_e32 v4, 0x7f000000, v1
	v_ffbh_u32_e32 v5, v4
	v_min_u32_e32 v5, 32, v5
	v_sub_u32_e64 v5, v5, 4 clamp
	v_lshlrev_b32_e32 v7, v5, v4
	v_lshlrev_b32_e32 v5, 23, v5
	v_lshrrev_b32_e32 v7, 4, v7
	v_add_u32_e32 v6, 0x1000000, v4
	v_sub_u32_e32 v5, v7, v5
	v_ashrrev_i32_e32 v6, 8, v6
	v_add_u32_e32 v5, 0x3c000000, v5
	v_and_or_b32 v5, v6, s6, v5
	v_cmp_ne_u32_e32 vcc, 0, v4
	s_nop 1
	v_cndmask_b32_e32 v4, 0, v5, vcc
	v_and_or_b32 v1, v1, s7, v4
	v_bfe_u32 v4, v4, 16, 1
	v_add3_u32 v4, v1, v4, s8
	v_cmp_o_f32_e32 vcc, v1, v1
	v_mov_b32_e32 v1, 0x7fc0
	s_nop 0
	v_cndmask_b32_sdwa v1, v1, v4, vcc dst_sel:DWORD dst_unused:UNUSED_PAD src0_sel:DWORD src1_sel:WORD_1
.LBB489_902:
	s_mov_b64 s[6:7], 0
.LBB489_903:
	s_andn2_b64 vcc, exec, s[6:7]
	s_cbranch_vccnz .LBB489_905
; %bb.904:
	global_load_ubyte v1, v[2:3], off
	s_movk_i32 s6, 0x7f00
	s_brev_b32 s7, 16
	s_brev_b32 s8, 1
	s_movk_i32 s9, 0x7fff
	s_waitcnt vmcnt(0)
	v_lshlrev_b16_e32 v4, 8, v1
	v_lshlrev_b32_e32 v1, 25, v1
	v_lshrrev_b32_e32 v5, 4, v1
	v_and_or_b32 v6, v4, s6, 0.5
	v_or_b32_e32 v5, 0x70000000, v5
	v_add_f32_e32 v6, -0.5, v6
	v_mul_f32_e32 v5, 0x7800000, v5
	v_cmp_gt_u32_e32 vcc, s7, v1
	v_bfe_i32 v4, v4, 0, 16
	s_nop 0
	v_cndmask_b32_e32 v1, v5, v6, vcc
	v_and_or_b32 v4, v4, s8, v1
	v_bfe_u32 v1, v1, 16, 1
	v_add3_u32 v1, v4, v1, s9
	v_cmp_o_f32_e32 vcc, v4, v4
	v_mov_b32_e32 v4, 0x7fc0
	s_nop 0
	v_cndmask_b32_sdwa v1, v4, v1, vcc dst_sel:DWORD dst_unused:UNUSED_PAD src0_sel:DWORD src1_sel:WORD_1
.LBB489_905:
	s_mov_b64 s[6:7], 0
	s_mov_b64 s[8:9], -1
.LBB489_906:
	s_andn2_b64 vcc, exec, s[6:7]
	s_mov_b64 s[6:7], 0
	s_cbranch_vccnz .LBB489_917
; %bb.907:
	s_cmp_gt_i32 s14, 14
	s_cbranch_scc0 .LBB489_910
; %bb.908:
	s_cmp_eq_u32 s14, 15
	s_cbranch_scc0 .LBB489_913
; %bb.909:
	global_load_ushort v1, v[2:3], off
	s_mov_b64 s[4:5], 0
	s_mov_b64 s[8:9], -1
	s_branch .LBB489_914
.LBB489_910:
	s_mov_b64 s[10:11], -1
                                        ; implicit-def: $vgpr1
	s_branch .LBB489_915
.LBB489_911:
	s_or_saveexec_b64 s[8:9], s[8:9]
	v_mov_b32_e32 v4, 0x7f800001
	s_xor_b64 exec, exec, s[8:9]
	s_cbranch_execz .LBB489_892
.LBB489_912:
	v_cmp_ne_u16_e32 vcc, 0, v1
	s_andn2_b64 s[6:7], s[6:7], exec
	s_and_b64 s[10:11], vcc, exec
	v_mov_b32_e32 v4, 0
	s_or_b64 s[6:7], s[6:7], s[10:11]
	s_or_b64 exec, exec, s[8:9]
	s_and_saveexec_b64 s[8:9], s[6:7]
	s_cbranch_execnz .LBB489_893
	s_branch .LBB489_894
.LBB489_913:
	s_mov_b64 s[4:5], -1
                                        ; implicit-def: $vgpr1
.LBB489_914:
	s_mov_b64 s[10:11], 0
.LBB489_915:
	s_and_b64 vcc, exec, s[10:11]
	s_cbranch_vccz .LBB489_917
; %bb.916:
	s_cmp_lg_u32 s14, 11
	s_cselect_b64 s[10:11], -1, 0
	s_andn2_b64 s[4:5], s[4:5], exec
	s_and_b64 s[10:11], s[10:11], exec
	s_mov_b64 s[6:7], -1
	s_or_b64 s[4:5], s[4:5], s[10:11]
.LBB489_917:
	s_mov_b64 s[10:11], 0
.LBB489_918:
	s_andn2_b64 s[12:13], s[2:3], exec
	s_and_b64 s[4:5], s[4:5], exec
	s_and_b64 s[8:9], s[8:9], exec
	;; [unrolled: 1-line block ×4, first 2 shown]
	s_or_b64 s[12:13], s[12:13], s[4:5]
.LBB489_919:
	s_or_b64 exec, exec, s[70:71]
	s_and_b64 s[4:5], s[6:7], exec
	s_andn2_b64 s[2:3], s[2:3], exec
	s_and_b64 s[6:7], s[12:13], exec
	s_and_b64 s[8:9], s[8:9], exec
	;; [unrolled: 1-line block ×3, first 2 shown]
	s_or_b64 s[2:3], s[2:3], s[6:7]
.LBB489_920:
	s_or_b64 exec, exec, s[66:67]
	s_andn2_b64 s[6:7], s[62:63], exec
	s_and_b64 s[12:13], s[68:69], exec
	s_or_b64 s[62:63], s[6:7], s[12:13]
	s_and_b64 s[6:7], s[10:11], exec
	s_andn2_b64 s[10:11], s[60:61], exec
	s_and_b64 s[2:3], s[2:3], exec
	s_and_b64 s[8:9], s[8:9], exec
	;; [unrolled: 1-line block ×3, first 2 shown]
	s_or_b64 s[60:61], s[10:11], s[2:3]
.LBB489_921:
	s_or_b64 exec, exec, s[64:65]
	s_andn2_b64 s[2:3], s[54:55], exec
	s_and_b64 s[10:11], s[62:63], exec
	s_or_b64 s[54:55], s[2:3], s[10:11]
	s_and_b64 s[2:3], s[8:9], exec
	s_and_b64 s[8:9], s[6:7], exec
	;; [unrolled: 1-line block ×3, first 2 shown]
	s_andn2_b64 s[4:5], s[56:57], exec
	s_and_b64 s[6:7], s[60:61], exec
	s_or_b64 s[56:57], s[4:5], s[6:7]
	s_or_b64 exec, exec, s[58:59]
	s_mov_b64 s[4:5], 0
	s_and_saveexec_b64 s[6:7], s[56:57]
	s_cbranch_execz .LBB489_276
.LBB489_922:
	s_mov_b64 s[4:5], exec
	s_andn2_b64 s[62:63], s[62:63], exec
	s_trap 2
	s_or_b64 exec, exec, s[6:7]
	s_and_saveexec_b64 s[6:7], s[62:63]
	s_xor_b64 s[6:7], exec, s[6:7]
	s_cbranch_execnz .LBB489_277
.LBB489_923:
	s_or_b64 exec, exec, s[6:7]
	s_and_saveexec_b64 s[6:7], s[8:9]
	s_cbranch_execz .LBB489_969
.LBB489_924:
	s_sext_i32_i16 s8, s76
	s_cmp_lt_i32 s8, 5
	s_cbranch_scc1 .LBB489_929
; %bb.925:
	s_cmp_lt_i32 s8, 8
	s_cbranch_scc1 .LBB489_930
; %bb.926:
	;; [unrolled: 3-line block ×3, first 2 shown]
	s_cmp_gt_i32 s8, 9
	s_cbranch_scc0 .LBB489_932
; %bb.928:
	global_load_dwordx2 v[4:5], v[2:3], off
	s_movk_i32 s8, 0x7fff
	s_waitcnt vmcnt(1)
	v_mov_b32_e32 v1, 0x7fc0
	s_waitcnt vmcnt(0)
	v_cvt_f32_f64_e32 v4, v[4:5]
	v_bfe_u32 v5, v4, 16, 1
	v_cmp_o_f32_e32 vcc, v4, v4
	v_add3_u32 v4, v4, v5, s8
	s_mov_b64 s[8:9], 0
	v_cndmask_b32_sdwa v1, v1, v4, vcc dst_sel:DWORD dst_unused:UNUSED_PAD src0_sel:DWORD src1_sel:WORD_1
	s_branch .LBB489_933
.LBB489_929:
                                        ; implicit-def: $vgpr1
	s_branch .LBB489_950
.LBB489_930:
                                        ; implicit-def: $vgpr1
	s_branch .LBB489_939
.LBB489_931:
	s_mov_b64 s[8:9], -1
                                        ; implicit-def: $vgpr1
	s_branch .LBB489_936
.LBB489_932:
	s_mov_b64 s[8:9], -1
                                        ; implicit-def: $vgpr1
.LBB489_933:
	s_andn2_b64 vcc, exec, s[8:9]
	s_cbranch_vccnz .LBB489_935
; %bb.934:
	global_load_dword v1, v[2:3], off
	s_movk_i32 s8, 0x7fff
	v_mov_b32_e32 v4, 0x7fc0
	s_waitcnt vmcnt(0)
	v_bfe_u32 v5, v1, 16, 1
	v_cmp_o_f32_e32 vcc, v1, v1
	v_add3_u32 v1, v1, v5, s8
	s_nop 0
	v_cndmask_b32_sdwa v1, v4, v1, vcc dst_sel:DWORD dst_unused:UNUSED_PAD src0_sel:DWORD src1_sel:WORD_1
.LBB489_935:
	s_mov_b64 s[8:9], 0
.LBB489_936:
	s_andn2_b64 vcc, exec, s[8:9]
	s_cbranch_vccnz .LBB489_938
; %bb.937:
	global_load_dword v1, v[2:3], off
	s_movk_i32 s8, 0x7fff
	v_mov_b32_e32 v5, 0x7fc0
	s_waitcnt vmcnt(0)
	v_cvt_f32_f16_e32 v4, v1
	v_cmp_o_f16_e32 vcc, v1, v1
	v_bfe_u32 v1, v4, 16, 1
	v_add3_u32 v1, v4, v1, s8
	v_cndmask_b32_sdwa v1, v5, v1, vcc dst_sel:DWORD dst_unused:UNUSED_PAD src0_sel:DWORD src1_sel:WORD_1
.LBB489_938:
	s_cbranch_execnz .LBB489_949
.LBB489_939:
	s_sext_i32_i16 s8, s76
	s_cmp_lt_i32 s8, 6
	s_cbranch_scc1 .LBB489_942
; %bb.940:
	s_cmp_gt_i32 s8, 6
	s_cbranch_scc0 .LBB489_943
; %bb.941:
	global_load_dwordx2 v[4:5], v[2:3], off
	s_movk_i32 s8, 0x7fff
	s_waitcnt vmcnt(1)
	v_mov_b32_e32 v1, 0x7fc0
	s_waitcnt vmcnt(0)
	v_cvt_f32_f64_e32 v4, v[4:5]
	v_bfe_u32 v5, v4, 16, 1
	v_cmp_o_f32_e32 vcc, v4, v4
	v_add3_u32 v4, v4, v5, s8
	s_mov_b64 s[8:9], 0
	v_cndmask_b32_sdwa v1, v1, v4, vcc dst_sel:DWORD dst_unused:UNUSED_PAD src0_sel:DWORD src1_sel:WORD_1
	s_branch .LBB489_944
.LBB489_942:
	s_mov_b64 s[8:9], -1
                                        ; implicit-def: $vgpr1
	s_branch .LBB489_947
.LBB489_943:
	s_mov_b64 s[8:9], -1
                                        ; implicit-def: $vgpr1
.LBB489_944:
	s_andn2_b64 vcc, exec, s[8:9]
	s_cbranch_vccnz .LBB489_946
; %bb.945:
	global_load_dword v1, v[2:3], off
	s_movk_i32 s8, 0x7fff
	v_mov_b32_e32 v4, 0x7fc0
	s_waitcnt vmcnt(0)
	v_bfe_u32 v5, v1, 16, 1
	v_cmp_o_f32_e32 vcc, v1, v1
	v_add3_u32 v1, v1, v5, s8
	s_nop 0
	v_cndmask_b32_sdwa v1, v4, v1, vcc dst_sel:DWORD dst_unused:UNUSED_PAD src0_sel:DWORD src1_sel:WORD_1
.LBB489_946:
	s_mov_b64 s[8:9], 0
.LBB489_947:
	s_andn2_b64 vcc, exec, s[8:9]
	s_cbranch_vccnz .LBB489_949
; %bb.948:
	global_load_ushort v1, v[2:3], off
	s_movk_i32 s8, 0x7fff
	v_mov_b32_e32 v5, 0x7fc0
	s_waitcnt vmcnt(0)
	v_cvt_f32_f16_e32 v4, v1
	v_cmp_o_f16_e32 vcc, v1, v1
	v_bfe_u32 v1, v4, 16, 1
	v_add3_u32 v1, v4, v1, s8
	v_cndmask_b32_sdwa v1, v5, v1, vcc dst_sel:DWORD dst_unused:UNUSED_PAD src0_sel:DWORD src1_sel:WORD_1
.LBB489_949:
	s_cbranch_execnz .LBB489_968
.LBB489_950:
	s_sext_i32_i16 s8, s76
	s_cmp_lt_i32 s8, 2
	s_cbranch_scc1 .LBB489_954
; %bb.951:
	s_cmp_lt_i32 s8, 3
	s_cbranch_scc1 .LBB489_955
; %bb.952:
	s_cmp_gt_i32 s8, 3
	s_cbranch_scc0 .LBB489_956
; %bb.953:
	global_load_dwordx2 v[4:5], v[2:3], off
	s_movk_i32 s8, 0x7fff
	s_waitcnt vmcnt(0)
	v_xor_b32_e32 v6, v4, v5
	v_ffbh_i32_e32 v1, v5
	v_ashrrev_i32_e32 v6, 31, v6
	v_add_u32_e32 v1, -1, v1
	v_add_u32_e32 v6, 32, v6
	v_min_u32_e32 v1, v1, v6
	v_lshlrev_b64 v[4:5], v1, v[4:5]
	v_min_u32_e32 v4, 1, v4
	v_or_b32_e32 v4, v5, v4
	v_cvt_f32_i32_e32 v4, v4
	v_sub_u32_e32 v1, 32, v1
	v_ldexp_f32 v1, v4, v1
	v_bfe_u32 v4, v1, 16, 1
	v_add3_u32 v1, v1, v4, s8
	v_lshrrev_b32_e32 v1, 16, v1
	s_mov_b64 s[8:9], 0
	s_branch .LBB489_957
.LBB489_954:
                                        ; implicit-def: $vgpr1
	s_branch .LBB489_963
.LBB489_955:
	s_mov_b64 s[8:9], -1
                                        ; implicit-def: $vgpr1
	s_branch .LBB489_960
.LBB489_956:
	s_mov_b64 s[8:9], -1
                                        ; implicit-def: $vgpr1
.LBB489_957:
	s_andn2_b64 vcc, exec, s[8:9]
	s_cbranch_vccnz .LBB489_959
; %bb.958:
	global_load_dword v1, v[2:3], off
	s_movk_i32 s8, 0x7fff
	s_waitcnt vmcnt(0)
	v_cvt_f32_i32_e32 v1, v1
	v_bfe_u32 v4, v1, 16, 1
	v_add3_u32 v1, v1, v4, s8
	v_lshrrev_b32_e32 v1, 16, v1
.LBB489_959:
	s_mov_b64 s[8:9], 0
.LBB489_960:
	s_andn2_b64 vcc, exec, s[8:9]
	s_cbranch_vccnz .LBB489_962
; %bb.961:
	global_load_sshort v1, v[2:3], off
	s_movk_i32 s8, 0x7fff
	s_waitcnt vmcnt(0)
	v_cvt_f32_i32_e32 v1, v1
	v_bfe_u32 v4, v1, 16, 1
	v_add3_u32 v1, v1, v4, s8
	v_lshrrev_b32_e32 v1, 16, v1
.LBB489_962:
	s_cbranch_execnz .LBB489_968
.LBB489_963:
	s_sext_i32_i16 s8, s76
	s_cmp_gt_i32 s8, 0
	s_cbranch_scc0 .LBB489_965
; %bb.964:
	global_load_sbyte v1, v[2:3], off
	s_movk_i32 s8, 0x7fff
	s_waitcnt vmcnt(0)
	v_cvt_f32_i32_e32 v1, v1
	v_bfe_u32 v4, v1, 16, 1
	v_add3_u32 v1, v1, v4, s8
	v_lshrrev_b32_e32 v1, 16, v1
	s_mov_b64 s[8:9], 0
	s_branch .LBB489_966
.LBB489_965:
	s_mov_b64 s[8:9], -1
                                        ; implicit-def: $vgpr1
.LBB489_966:
	s_andn2_b64 vcc, exec, s[8:9]
	s_cbranch_vccnz .LBB489_968
; %bb.967:
	global_load_ubyte v1, v[2:3], off
	s_movk_i32 s8, 0x7fff
	s_waitcnt vmcnt(0)
	v_cvt_f32_ubyte0_e32 v1, v1
	v_bfe_u32 v2, v1, 16, 1
	v_add3_u32 v1, v1, v2, s8
	v_lshrrev_b32_e32 v1, 16, v1
.LBB489_968:
	s_or_b64 s[2:3], s[2:3], exec
.LBB489_969:
	s_or_b64 exec, exec, s[6:7]
	s_mov_b64 s[10:11], 0
	s_mov_b64 s[8:9], 0
                                        ; implicit-def: $sgpr16
                                        ; implicit-def: $vgpr2_vgpr3
                                        ; implicit-def: $vgpr4
	s_and_saveexec_b64 s[6:7], s[2:3]
	s_cbranch_execz .LBB489_987
; %bb.970:
	s_waitcnt vmcnt(0)
	v_lshlrev_b32_e32 v2, 16, v1
	v_cmp_u_f32_e32 vcc, v2, v2
	v_cmp_gt_f32_e64 s[2:3], s75, v2
	v_mov_b32_e32 v2, s74
	s_or_b64 vcc, vcc, s[2:3]
	v_cndmask_b32_e32 v4, v2, v1, vcc
	v_mov_b32_e32 v1, 0
	s_and_b32 s16, s73, 0xff
	s_cmp_lt_i32 s16, 11
	v_lshl_add_u64 v[2:3], s[20:21], 0, v[0:1]
	s_cbranch_scc1 .LBB489_990
; %bb.971:
	s_and_b32 s17, 0xffff, s16
	s_mov_b64 s[10:11], -1
	s_cmp_gt_i32 s17, 25
	s_mov_b64 s[2:3], s[54:55]
	s_cbranch_scc0 .LBB489_1008
; %bb.972:
	s_mov_b64 s[8:9], -1
	s_cmp_gt_i32 s17, 28
	s_mov_b64 s[2:3], s[54:55]
	s_cbranch_scc0 .LBB489_992
; %bb.973:
	s_cmp_gt_i32 s17, 43
	s_mov_b64 s[2:3], s[54:55]
	s_cbranch_scc0 .LBB489_984
; %bb.974:
	;; [unrolled: 4-line block ×3, first 2 shown]
	s_cmp_eq_u32 s17, 46
	s_mov_b64 s[2:3], -1
	s_cbranch_scc0 .LBB489_977
; %bb.976:
	v_and_b32_e32 v0, 0xffff, v4
	global_store_dword v[2:3], v0, off
	s_mov_b64 s[2:3], 0
.LBB489_977:
	s_mov_b64 s[8:9], 0
.LBB489_978:
	s_and_b64 vcc, exec, s[8:9]
	s_cbranch_vccz .LBB489_983
; %bb.979:
	s_cmp_eq_u32 s17, 44
	s_mov_b64 s[2:3], -1
	s_cbranch_scc0 .LBB489_983
; %bb.980:
	v_and_b32_e32 v1, 0xffff, v4
	v_bfe_u32 v0, v1, 7, 8
	s_movk_i32 s2, 0xff
	v_cmp_ne_u32_e32 vcc, s2, v0
	v_mov_b32_e32 v5, 0xff
	s_and_saveexec_b64 s[8:9], vcc
	s_cbranch_execz .LBB489_982
; %bb.981:
	v_lshlrev_b32_e32 v6, 16, v1
	s_mov_b32 s2, 0x3f0000
	v_lshrrev_b32_e32 v5, 7, v1
	v_and_b32_e32 v1, 64, v1
	v_and_or_b32 v0, v6, s2, v0
	v_cmp_ne_u32_e32 vcc, 0, v1
	v_cmp_ne_u32_e64 s[2:3], 0, v0
	s_and_b64 s[2:3], vcc, s[2:3]
	s_nop 0
	v_cndmask_b32_e64 v0, 0, 1, s[2:3]
	v_add_u32_e32 v5, v5, v0
.LBB489_982:
	s_or_b64 exec, exec, s[8:9]
	s_mov_b64 s[2:3], 0
	global_store_byte v[2:3], v5, off
.LBB489_983:
	s_mov_b64 s[8:9], 0
.LBB489_984:
	s_and_b64 vcc, exec, s[8:9]
	s_cbranch_vccz .LBB489_991
; %bb.985:
	s_cmp_eq_u32 s17, 29
	s_mov_b64 s[2:3], -1
	s_cbranch_scc0 .LBB489_991
; %bb.986:
	v_lshlrev_b32_e32 v0, 16, v4
	v_trunc_f32_e32 v0, v0
	v_mul_f32_e32 v1, 0x2f800000, v0
	v_floor_f32_e32 v5, v1
	v_fmamk_f32 v0, v5, 0xcf800000, v0
	v_cvt_u32_f32_e32 v1, v5
	v_cvt_u32_f32_e32 v0, v0
	s_mov_b64 s[2:3], 0
	s_mov_b64 s[8:9], 0
	global_store_dwordx2 v[2:3], v[0:1], off
	s_branch .LBB489_992
.LBB489_987:
	s_or_b64 exec, exec, s[6:7]
	s_and_saveexec_b64 s[2:3], s[54:55]
	s_cbranch_execnz .LBB489_1050
.LBB489_988:
	s_or_b64 exec, exec, s[2:3]
	s_and_saveexec_b64 s[2:3], s[10:11]
	s_xor_b64 s[2:3], exec, s[2:3]
	s_cbranch_execz .LBB489_1051
.LBB489_989:
	v_and_b32_e32 v0, 0x7fff, v4
	v_cmp_ne_u16_e32 vcc, 0, v0
	s_nop 1
	v_cndmask_b32_e64 v0, 0, 1, vcc
	global_store_byte v[2:3], v0, off
	s_or_b64 exec, exec, s[2:3]
	s_and_saveexec_b64 s[2:3], s[8:9]
	s_xor_b64 s[2:3], exec, s[2:3]
	s_cbranch_execz .LBB489_1089
	s_branch .LBB489_1052
.LBB489_990:
	s_mov_b64 s[8:9], -1
	s_mov_b64 s[2:3], s[54:55]
	s_branch .LBB489_1049
.LBB489_991:
	s_mov_b64 s[8:9], 0
.LBB489_992:
	s_and_b64 vcc, exec, s[8:9]
	s_cbranch_vccz .LBB489_1007
; %bb.993:
	s_cmp_lt_i32 s17, 27
	s_mov_b64 s[8:9], -1
	s_cbranch_scc1 .LBB489_999
; %bb.994:
	s_cmp_gt_i32 s17, 27
	s_cbranch_scc0 .LBB489_996
; %bb.995:
	v_lshlrev_b32_e32 v0, 16, v4
	v_cvt_u32_f32_e32 v0, v0
	s_mov_b64 s[8:9], 0
	global_store_dword v[2:3], v0, off
.LBB489_996:
	s_andn2_b64 vcc, exec, s[8:9]
	s_cbranch_vccnz .LBB489_998
; %bb.997:
	v_lshlrev_b32_e32 v0, 16, v4
	v_cvt_u32_f32_e32 v0, v0
	global_store_short v[2:3], v0, off
.LBB489_998:
	s_mov_b64 s[8:9], 0
.LBB489_999:
	s_andn2_b64 vcc, exec, s[8:9]
	s_cbranch_vccnz .LBB489_1007
; %bb.1000:
	v_lshlrev_b32_e32 v5, 16, v4
	v_and_b32_e32 v1, 0x7fffffff, v5
	s_mov_b32 s8, 0x43800000
	v_cmp_gt_u32_e32 vcc, s8, v1
	v_mov_b32_e32 v6, 0x80
	s_and_saveexec_b64 s[8:9], vcc
	s_cbranch_execz .LBB489_1006
; %bb.1001:
	s_mov_b32 s10, 0x3bffffff
	v_and_b32_e32 v0, 0xffff, v4
	v_cmp_lt_u32_e32 vcc, s10, v1
	s_mov_b64 s[10:11], 0
                                        ; implicit-def: $vgpr1
	s_and_saveexec_b64 s[12:13], vcc
	s_xor_b64 s[12:13], exec, s[12:13]
	s_cbranch_execz .LBB489_1160
; %bb.1002:
	v_bfe_u32 v1, v0, 4, 1
	s_mov_b32 s14, 0x487ffff
	v_add3_u32 v1, v5, v1, s14
	s_mov_b64 s[10:11], exec
	v_lshrrev_b32_e32 v1, 20, v1
                                        ; implicit-def: $vgpr5
	s_andn2_saveexec_b64 s[12:13], s[12:13]
	s_cbranch_execnz .LBB489_1161
.LBB489_1003:
	s_or_b64 exec, exec, s[12:13]
	v_mov_b32_e32 v6, 0
	s_and_saveexec_b64 s[12:13], s[10:11]
.LBB489_1004:
	v_lshrrev_b32_e32 v0, 8, v0
	s_movk_i32 s10, 0x80
	v_and_or_b32 v6, v0, s10, v1
.LBB489_1005:
	s_or_b64 exec, exec, s[12:13]
.LBB489_1006:
	s_or_b64 exec, exec, s[8:9]
	global_store_byte v[2:3], v6, off
.LBB489_1007:
	s_mov_b64 s[10:11], 0
.LBB489_1008:
	s_mov_b64 s[8:9], 0
	s_and_b64 vcc, exec, s[10:11]
	s_cbranch_vccz .LBB489_1048
; %bb.1009:
	s_cmp_gt_i32 s17, 22
	s_mov_b64 s[10:11], -1
	s_cbranch_scc0 .LBB489_1041
; %bb.1010:
	s_cmp_lt_i32 s17, 24
	s_cbranch_scc1 .LBB489_1030
; %bb.1011:
	s_cmp_gt_i32 s17, 24
	s_cbranch_scc0 .LBB489_1019
; %bb.1012:
	v_lshlrev_b32_e32 v5, 16, v4
	v_and_b32_e32 v1, 0x7fffffff, v5
	s_mov_b32 s10, 0x47800000
	v_cmp_gt_u32_e32 vcc, s10, v1
	v_mov_b32_e32 v6, 0x80
	s_and_saveexec_b64 s[10:11], vcc
	s_cbranch_execz .LBB489_1018
; %bb.1013:
	s_mov_b32 s12, 0x37ffffff
	v_and_b32_e32 v0, 0xffff, v4
	v_cmp_lt_u32_e32 vcc, s12, v1
	s_mov_b64 s[12:13], 0
                                        ; implicit-def: $vgpr1
	s_and_saveexec_b64 s[14:15], vcc
	s_xor_b64 s[14:15], exec, s[14:15]
	s_cbranch_execz .LBB489_1284
; %bb.1014:
	v_bfe_u32 v1, v0, 5, 1
	s_mov_b32 s18, 0x88fffff
	v_add3_u32 v1, v5, v1, s18
	s_mov_b64 s[12:13], exec
	v_lshrrev_b32_e32 v1, 21, v1
                                        ; implicit-def: $vgpr5
	s_andn2_saveexec_b64 s[14:15], s[14:15]
	s_cbranch_execnz .LBB489_1285
.LBB489_1015:
	s_or_b64 exec, exec, s[14:15]
	v_mov_b32_e32 v6, 0
	s_and_saveexec_b64 s[14:15], s[12:13]
.LBB489_1016:
	v_lshrrev_b32_e32 v0, 8, v0
	s_movk_i32 s12, 0x80
	v_and_or_b32 v6, v0, s12, v1
.LBB489_1017:
	s_or_b64 exec, exec, s[14:15]
.LBB489_1018:
	s_or_b64 exec, exec, s[10:11]
	s_mov_b64 s[10:11], 0
	global_store_byte v[2:3], v6, off
.LBB489_1019:
	s_and_b64 vcc, exec, s[10:11]
	s_cbranch_vccz .LBB489_1029
; %bb.1020:
	v_lshlrev_b32_e32 v5, 16, v4
	v_and_b32_e32 v6, 0x7fffffff, v5
	s_mov_b32 s10, 0x43f00000
	v_and_b32_e32 v0, 0xffff, v4
	v_cmp_gt_u32_e32 vcc, s10, v6
                                        ; implicit-def: $vgpr1
	s_and_saveexec_b64 s[10:11], vcc
	s_xor_b64 s[10:11], exec, s[10:11]
	s_cbranch_execz .LBB489_1026
; %bb.1021:
	s_mov_b32 s12, 0x3c7fffff
	v_cmp_lt_u32_e32 vcc, s12, v6
                                        ; implicit-def: $vgpr1
	s_and_saveexec_b64 s[12:13], vcc
	s_xor_b64 s[12:13], exec, s[12:13]
; %bb.1022:
	v_bfe_u32 v1, v0, 4, 1
	s_mov_b32 s14, 0x407ffff
	v_add3_u32 v1, v5, v1, s14
	v_lshrrev_b32_e32 v5, 20, v1
	v_and_b32_e32 v1, 0xff00000, v1
	s_mov_b32 s14, 0x7f00000
	v_mov_b32_e32 v6, 0x7e
	v_cmp_ne_u32_e32 vcc, s14, v1
	s_nop 1
	v_cndmask_b32_e32 v1, v6, v5, vcc
                                        ; implicit-def: $vgpr5
; %bb.1023:
	s_andn2_saveexec_b64 s[12:13], s[12:13]
; %bb.1024:
	s_mov_b32 s14, 0x46800000
	v_add_f32_e64 v1, |v5|, s14
; %bb.1025:
	s_or_b64 exec, exec, s[12:13]
                                        ; implicit-def: $vgpr6
.LBB489_1026:
	s_andn2_saveexec_b64 s[10:11], s[10:11]
; %bb.1027:
	s_mov_b32 s12, 0x7f800000
	v_mov_b32_e32 v1, 0x7e
	v_mov_b32_e32 v5, 0x7f
	v_cmp_lt_u32_e32 vcc, s12, v6
	s_nop 1
	v_cndmask_b32_e32 v1, v1, v5, vcc
; %bb.1028:
	s_or_b64 exec, exec, s[10:11]
	v_lshrrev_b32_e32 v0, 8, v0
	s_movk_i32 s10, 0x80
	v_and_or_b32 v0, v0, s10, v1
	global_store_byte v[2:3], v0, off
.LBB489_1029:
	s_mov_b64 s[10:11], 0
.LBB489_1030:
	s_andn2_b64 vcc, exec, s[10:11]
	s_cbranch_vccnz .LBB489_1040
; %bb.1031:
	v_lshlrev_b32_e32 v5, 16, v4
	v_and_b32_e32 v6, 0x7fffffff, v5
	s_mov_b32 s10, 0x47800000
	v_and_b32_e32 v0, 0xffff, v4
	v_cmp_gt_u32_e32 vcc, s10, v6
                                        ; implicit-def: $vgpr1
	s_and_saveexec_b64 s[10:11], vcc
	s_xor_b64 s[10:11], exec, s[10:11]
	s_cbranch_execz .LBB489_1037
; %bb.1032:
	s_mov_b32 s12, 0x387fffff
	v_cmp_lt_u32_e32 vcc, s12, v6
                                        ; implicit-def: $vgpr1
	s_and_saveexec_b64 s[12:13], vcc
	s_xor_b64 s[12:13], exec, s[12:13]
; %bb.1033:
	v_bfe_u32 v1, v0, 5, 1
	s_mov_b32 s14, 0x80fffff
	v_add3_u32 v1, v5, v1, s14
	v_lshrrev_b32_e32 v1, 21, v1
                                        ; implicit-def: $vgpr5
; %bb.1034:
	s_andn2_saveexec_b64 s[12:13], s[12:13]
; %bb.1035:
	s_mov_b32 s14, 0x43000000
	v_add_f32_e64 v1, |v5|, s14
; %bb.1036:
	s_or_b64 exec, exec, s[12:13]
                                        ; implicit-def: $vgpr6
.LBB489_1037:
	s_andn2_saveexec_b64 s[10:11], s[10:11]
; %bb.1038:
	s_mov_b32 s12, 0x7f800000
	v_mov_b32_e32 v1, 0x7c
	v_mov_b32_e32 v5, 0x7f
	v_cmp_lt_u32_e32 vcc, s12, v6
	s_nop 1
	v_cndmask_b32_e32 v1, v1, v5, vcc
; %bb.1039:
	s_or_b64 exec, exec, s[10:11]
	v_lshrrev_b32_e32 v0, 8, v0
	s_movk_i32 s10, 0x80
	v_and_or_b32 v0, v0, s10, v1
	global_store_byte v[2:3], v0, off
.LBB489_1040:
	s_mov_b64 s[10:11], 0
.LBB489_1041:
	s_andn2_b64 vcc, exec, s[10:11]
	s_mov_b64 s[10:11], 0
	s_cbranch_vccnz .LBB489_1049
; %bb.1042:
	s_cmp_gt_i32 s17, 14
	s_mov_b64 s[12:13], -1
	s_cbranch_scc0 .LBB489_1046
; %bb.1043:
	s_cmp_eq_u32 s17, 15
	s_mov_b64 s[2:3], -1
	s_cbranch_scc0 .LBB489_1045
; %bb.1044:
	global_store_short v[2:3], v4, off
	s_mov_b64 s[2:3], 0
.LBB489_1045:
	s_mov_b64 s[12:13], 0
.LBB489_1046:
	s_and_b64 vcc, exec, s[12:13]
	s_cbranch_vccz .LBB489_1049
; %bb.1047:
	s_cmp_lg_u32 s17, 11
	s_cselect_b64 s[12:13], -1, 0
	s_andn2_b64 s[2:3], s[2:3], exec
	s_and_b64 s[12:13], s[12:13], exec
	s_mov_b64 s[10:11], -1
	s_or_b64 s[2:3], s[2:3], s[12:13]
	s_branch .LBB489_1049
.LBB489_1048:
	s_mov_b64 s[10:11], 0
.LBB489_1049:
	s_andn2_b64 s[12:13], s[54:55], exec
	s_and_b64 s[2:3], s[2:3], exec
	s_and_b64 s[8:9], s[8:9], exec
	;; [unrolled: 1-line block ×3, first 2 shown]
	s_or_b64 s[54:55], s[12:13], s[2:3]
	s_or_b64 exec, exec, s[6:7]
	s_and_saveexec_b64 s[2:3], s[54:55]
	s_cbranch_execz .LBB489_988
.LBB489_1050:
	s_or_b64 s[4:5], s[4:5], exec
	s_andn2_b64 s[10:11], s[10:11], exec
	s_trap 2
	s_or_b64 exec, exec, s[2:3]
	s_and_saveexec_b64 s[2:3], s[10:11]
	s_xor_b64 s[2:3], exec, s[2:3]
	s_cbranch_execnz .LBB489_989
.LBB489_1051:
	s_or_b64 exec, exec, s[2:3]
	s_and_saveexec_b64 s[2:3], s[8:9]
	s_xor_b64 s[2:3], exec, s[2:3]
	s_cbranch_execz .LBB489_1089
.LBB489_1052:
	s_sext_i32_i16 s8, s16
	s_cmp_lt_i32 s8, 5
	s_mov_b64 s[6:7], -1
	s_cbranch_scc1 .LBB489_1073
; %bb.1053:
	s_cmp_lt_i32 s8, 8
	s_cbranch_scc1 .LBB489_1063
; %bb.1054:
	s_cmp_lt_i32 s8, 9
	s_cbranch_scc1 .LBB489_1060
; %bb.1055:
	s_cmp_gt_i32 s8, 9
	s_cbranch_scc0 .LBB489_1057
; %bb.1056:
	v_lshlrev_b32_e32 v0, 16, v4
	v_mov_b32_e32 v8, 0
	v_cvt_f64_f32_e32 v[6:7], v0
	v_mov_b32_e32 v9, v8
	s_mov_b64 s[6:7], 0
	global_store_dwordx4 v[2:3], v[6:9], off
.LBB489_1057:
	s_andn2_b64 vcc, exec, s[6:7]
	s_cbranch_vccnz .LBB489_1059
; %bb.1058:
	v_lshlrev_b32_e32 v0, 16, v4
	s_waitcnt vmcnt(0)
	v_mov_b32_e32 v1, 0
	global_store_dwordx2 v[2:3], v[0:1], off
.LBB489_1059:
	s_mov_b64 s[6:7], 0
.LBB489_1060:
	s_andn2_b64 vcc, exec, s[6:7]
	s_cbranch_vccnz .LBB489_1062
; %bb.1061:
	v_lshlrev_b32_e32 v0, 16, v4
	v_cvt_f16_f32_e32 v0, v0
	global_store_dword v[2:3], v0, off
.LBB489_1062:
	s_mov_b64 s[6:7], 0
.LBB489_1063:
	s_andn2_b64 vcc, exec, s[6:7]
	s_cbranch_vccnz .LBB489_1072
; %bb.1064:
	s_sext_i32_i16 s8, s16
	s_cmp_lt_i32 s8, 6
	s_mov_b64 s[6:7], -1
	s_cbranch_scc1 .LBB489_1070
; %bb.1065:
	s_cmp_gt_i32 s8, 6
	s_cbranch_scc0 .LBB489_1067
; %bb.1066:
	v_lshlrev_b32_e32 v0, 16, v4
	s_waitcnt vmcnt(0)
	v_cvt_f64_f32_e32 v[0:1], v0
	s_mov_b64 s[6:7], 0
	global_store_dwordx2 v[2:3], v[0:1], off
.LBB489_1067:
	s_andn2_b64 vcc, exec, s[6:7]
	s_cbranch_vccnz .LBB489_1069
; %bb.1068:
	v_lshlrev_b32_e32 v0, 16, v4
	global_store_dword v[2:3], v0, off
.LBB489_1069:
	s_mov_b64 s[6:7], 0
.LBB489_1070:
	s_andn2_b64 vcc, exec, s[6:7]
	s_cbranch_vccnz .LBB489_1072
; %bb.1071:
	v_lshlrev_b32_e32 v0, 16, v4
	v_cvt_f16_f32_e32 v0, v0
	global_store_short v[2:3], v0, off
.LBB489_1072:
	s_mov_b64 s[6:7], 0
.LBB489_1073:
	s_andn2_b64 vcc, exec, s[6:7]
	s_cbranch_vccnz .LBB489_1089
; %bb.1074:
	s_sext_i32_i16 s8, s16
	s_cmp_lt_i32 s8, 2
	s_mov_b64 s[6:7], -1
	s_cbranch_scc1 .LBB489_1084
; %bb.1075:
	s_cmp_lt_i32 s8, 3
	s_cbranch_scc1 .LBB489_1081
; %bb.1076:
	s_cmp_gt_i32 s8, 3
	s_cbranch_scc0 .LBB489_1078
; %bb.1077:
	v_lshlrev_b32_e32 v0, 16, v4
	v_trunc_f32_e32 v0, v0
	s_mov_b32 s6, 0x2f800000
	s_waitcnt vmcnt(0)
	v_mul_f32_e64 v1, |v0|, s6
	v_floor_f32_e32 v1, v1
	s_mov_b32 s6, 0xcf800000
	v_cvt_u32_f32_e32 v5, v1
	v_fma_f32 v1, v1, s6, |v0|
	v_cvt_u32_f32_e32 v1, v1
	v_ashrrev_i32_e32 v6, 31, v0
	v_xor_b32_e32 v5, v5, v6
	s_mov_b64 s[6:7], 0
	v_xor_b32_e32 v0, v1, v6
	v_sub_co_u32_e32 v0, vcc, v0, v6
	s_nop 1
	v_subb_co_u32_e32 v1, vcc, v5, v6, vcc
	global_store_dwordx2 v[2:3], v[0:1], off
.LBB489_1078:
	s_andn2_b64 vcc, exec, s[6:7]
	s_cbranch_vccnz .LBB489_1080
; %bb.1079:
	v_lshlrev_b32_e32 v0, 16, v4
	v_cvt_i32_f32_e32 v0, v0
	global_store_dword v[2:3], v0, off
.LBB489_1080:
	s_mov_b64 s[6:7], 0
.LBB489_1081:
	s_andn2_b64 vcc, exec, s[6:7]
	s_cbranch_vccnz .LBB489_1083
; %bb.1082:
	v_lshlrev_b32_e32 v0, 16, v4
	v_cvt_i32_f32_e32 v0, v0
	global_store_short v[2:3], v0, off
.LBB489_1083:
	s_mov_b64 s[6:7], 0
.LBB489_1084:
	s_andn2_b64 vcc, exec, s[6:7]
	s_cbranch_vccnz .LBB489_1089
; %bb.1085:
	s_sext_i32_i16 s6, s16
	s_cmp_gt_i32 s6, 0
	s_mov_b64 s[6:7], -1
	s_cbranch_scc0 .LBB489_1087
; %bb.1086:
	v_lshlrev_b32_e32 v0, 16, v4
	v_cvt_i32_f32_e32 v0, v0
	s_mov_b64 s[6:7], 0
	global_store_byte v[2:3], v0, off
.LBB489_1087:
	s_andn2_b64 vcc, exec, s[6:7]
	s_cbranch_vccnz .LBB489_1089
; %bb.1088:
	v_lshlrev_b32_e32 v0, 16, v4
	v_trunc_f32_e32 v0, v0
	s_mov_b32 s6, 0x2f800000
	s_waitcnt vmcnt(0)
	v_mul_f32_e64 v1, |v0|, s6
	v_floor_f32_e32 v1, v1
	s_mov_b32 s6, 0xcf800000
	v_fma_f32 v1, v1, s6, |v0|
	v_cvt_u32_f32_e32 v1, v1
	v_ashrrev_i32_e32 v0, 31, v0
	v_xor_b32_e32 v1, v1, v0
	v_sub_u32_e32 v0, v1, v0
	global_store_byte v[2:3], v0, off
.LBB489_1089:
	s_or_b64 exec, exec, s[2:3]
	s_and_b64 s[24:25], s[4:5], exec
                                        ; implicit-def: $vgpr16
                                        ; implicit-def: $vgpr8
.LBB489_1090:
	s_or_saveexec_b64 s[26:27], s[44:45]
	s_mov_b64 s[6:7], 0
                                        ; implicit-def: $vgpr0_vgpr1
                                        ; implicit-def: $sgpr14
                                        ; implicit-def: $vgpr2
	s_xor_b64 exec, exec, s[26:27]
	s_cbranch_execz .LBB489_2093
; %bb.1091:
	v_cndmask_b32_e64 v0, 0, 1, s[42:43]
	v_cmp_ne_u32_e64 s[2:3], 1, v0
	s_andn2_b64 vcc, exec, s[42:43]
	s_cbranch_vccnz .LBB489_1097
; %bb.1092:
	s_cmp_lg_u32 s33, 0
	s_mov_b32 s36, 0
	s_cbranch_scc0 .LBB489_1098
; %bb.1093:
	s_min_u32 s37, s72, 15
	s_add_i32 s37, s37, 1
	s_cmp_eq_u32 s72, 2
	s_cbranch_scc1 .LBB489_1099
; %bb.1094:
	s_and_b32 s36, s37, 28
	s_add_u32 s28, s34, 0xc4
	s_addc_u32 s29, s35, 0
	s_mov_b32 s38, 0
	v_mov_b32_e32 v6, 0
	v_mov_b32_e32 v14, 0
	s_mov_b64 s[30:31], s[34:35]
	v_mov_b32_e32 v0, v8
.LBB489_1095:                           ; =>This Inner Loop Header: Depth=1
	s_load_dwordx8 s[12:19], s[30:31], 0x4
	s_load_dwordx4 s[20:23], s[30:31], 0x24
	s_load_dwordx8 s[4:11], s[28:29], 0x0
	s_add_u32 s30, s30, 48
	s_addc_u32 s31, s31, 0
	s_waitcnt vmcnt(0) lgkmcnt(0)
	v_mul_hi_u32 v1, s13, v0
	v_add_u32_e32 v1, v0, v1
	v_lshrrev_b32_e32 v1, s14, v1
	v_mul_lo_u32 v2, v1, s12
	v_mul_hi_u32 v3, s16, v1
	v_sub_u32_e32 v0, v0, v2
	v_add_u32_e32 v2, v1, v3
	v_lshrrev_b32_e32 v2, s17, v2
	v_mul_lo_u32 v4, v2, s15
	v_mul_hi_u32 v5, s19, v2
	v_sub_u32_e32 v1, v1, v4
	v_add_u32_e32 v4, v2, v5
	v_mul_lo_u32 v3, v0, s5
	v_mul_lo_u32 v0, v0, s4
	;; [unrolled: 1-line block ×4, first 2 shown]
	v_lshrrev_b32_e32 v4, s20, v4
	v_add3_u32 v1, v0, v6, v1
	v_add3_u32 v3, v3, v14, v5
	v_mul_lo_u32 v0, v4, s18
	v_mul_hi_u32 v5, s22, v4
	v_sub_u32_e32 v0, v2, v0
	v_add_u32_e32 v2, v4, v5
	v_mul_lo_u32 v5, v0, s8
	v_mul_lo_u32 v6, v0, s9
	v_lshrrev_b32_e32 v0, s23, v2
	s_add_i32 s38, s38, 4
	v_mul_lo_u32 v2, v0, s21
	s_add_u32 s28, s28, 32
	v_sub_u32_e32 v2, v4, v2
	s_addc_u32 s29, s29, 0
	v_mul_lo_u32 v4, v2, s10
	v_mul_lo_u32 v2, v2, s11
	s_cmp_lg_u32 s36, s38
	v_add3_u32 v14, v6, v3, v2
	v_add3_u32 v6, v5, v1, v4
	s_cbranch_scc1 .LBB489_1095
; %bb.1096:
	v_mov_b32_e32 v1, v14
	s_and_b32 s8, s37, 3
	s_cmp_eq_u32 s8, 0
	s_cbranch_scc0 .LBB489_1100
	s_branch .LBB489_1102
.LBB489_1097:
                                        ; implicit-def: $vgpr14
                                        ; implicit-def: $vgpr6
	s_branch .LBB489_1103
.LBB489_1098:
	v_mov_b32_e32 v14, 0
	v_mov_b32_e32 v6, 0
	s_branch .LBB489_1102
.LBB489_1099:
	v_mov_b32_e32 v6, 0
                                        ; implicit-def: $vgpr14
	s_waitcnt vmcnt(0)
	v_mov_b32_e32 v1, v6
	v_mov_b32_e32 v0, v8
	s_and_b32 s8, s37, 3
	s_cmp_eq_u32 s8, 0
	s_cbranch_scc1 .LBB489_1102
.LBB489_1100:
	s_lshl_b32 s4, s36, 3
	s_add_u32 s4, s34, s4
	s_addc_u32 s5, s35, 0
	s_add_u32 s4, s4, 0xc4
	s_addc_u32 s5, s5, 0
	s_mul_i32 s6, s36, 12
	s_add_u32 s6, s34, s6
	s_addc_u32 s7, s35, 0
.LBB489_1101:                           ; =>This Inner Loop Header: Depth=1
	s_load_dwordx2 s[10:11], s[6:7], 0x4
	s_load_dword s9, s[6:7], 0xc
	s_load_dwordx2 s[12:13], s[4:5], 0x0
	v_mov_b32_e32 v2, v1
	s_add_u32 s6, s6, 12
	s_waitcnt lgkmcnt(0)
	v_mul_hi_u32 v1, s11, v0
	v_add_u32_e32 v1, v0, v1
	v_lshrrev_b32_e32 v1, s9, v1
	s_addc_u32 s7, s7, 0
	v_mul_lo_u32 v3, v1, s10
	s_add_u32 s4, s4, 8
	v_sub_u32_e32 v3, v0, v3
	s_addc_u32 s5, s5, 0
	s_add_i32 s8, s8, -1
	v_mad_u64_u32 v[14:15], s[10:11], v3, s13, v[2:3]
	s_cmp_lg_u32 s8, 0
	v_mov_b32_e32 v0, v1
	v_mad_u64_u32 v[6:7], s[10:11], v3, s12, v[6:7]
	v_mov_b32_e32 v1, v14
	s_cbranch_scc1 .LBB489_1101
.LBB489_1102:
	s_cbranch_execnz .LBB489_1105
.LBB489_1103:
	s_load_dwordx4 s[4:7], s[34:35], 0x4
	s_load_dwordx2 s[8:9], s[34:35], 0xc4
	s_cmp_lt_u32 s33, 2
	s_waitcnt lgkmcnt(0)
	v_mul_hi_u32 v0, s5, v8
	v_add_u32_e32 v0, v8, v0
	v_lshrrev_b32_e32 v0, s6, v0
	s_waitcnt vmcnt(0)
	v_mul_lo_u32 v1, v0, s4
	v_sub_u32_e32 v1, v8, v1
	v_mul_lo_u32 v14, v1, s9
	v_mul_lo_u32 v6, v1, s8
	s_cbranch_scc1 .LBB489_1105
; %bb.1104:
	s_load_dwordx4 s[4:7], s[34:35], 0x10
	s_load_dwordx2 s[8:9], s[34:35], 0xcc
	s_waitcnt lgkmcnt(0)
	v_mul_hi_u32 v1, s5, v0
	v_add_u32_e32 v1, v0, v1
	v_lshrrev_b32_e32 v1, s6, v1
	v_mul_lo_u32 v1, v1, s4
	v_sub_u32_e32 v0, v0, v1
	v_mad_u64_u32 v[6:7], s[4:5], v0, s8, v[6:7]
	v_mad_u64_u32 v[14:15], s[4:5], v0, s9, v[14:15]
.LBB489_1105:
	s_and_b64 vcc, exec, s[2:3]
	v_add_u32_e32 v0, 0x80, v8
	s_cbranch_vccnz .LBB489_1111
; %bb.1106:
	s_cmp_lg_u32 s33, 0
	s_mov_b32 s36, 0
	s_cbranch_scc0 .LBB489_1112
; %bb.1107:
	s_min_u32 s37, s72, 15
	s_add_i32 s37, s37, 1
	s_cmp_eq_u32 s72, 2
	s_cbranch_scc1 .LBB489_1113
; %bb.1108:
	s_and_b32 s36, s37, 28
	s_add_u32 s28, s34, 0xc4
	s_addc_u32 s29, s35, 0
	s_mov_b32 s38, 0
	v_mov_b32_e32 v4, 0
	v_mov_b32_e32 v12, 0
	s_mov_b64 s[30:31], s[34:35]
	v_mov_b32_e32 v2, v0
.LBB489_1109:                           ; =>This Inner Loop Header: Depth=1
	s_load_dwordx8 s[12:19], s[30:31], 0x4
	s_load_dwordx4 s[20:23], s[30:31], 0x24
	s_load_dwordx8 s[4:11], s[28:29], 0x0
	s_add_u32 s30, s30, 48
	s_addc_u32 s31, s31, 0
	s_waitcnt vmcnt(0) lgkmcnt(0)
	v_mul_hi_u32 v1, s13, v2
	v_add_u32_e32 v1, v2, v1
	v_lshrrev_b32_e32 v1, s14, v1
	v_mul_lo_u32 v3, v1, s12
	v_mul_hi_u32 v5, s16, v1
	v_sub_u32_e32 v2, v2, v3
	v_add_u32_e32 v3, v1, v5
	v_lshrrev_b32_e32 v3, s17, v3
	v_mul_lo_u32 v7, v3, s15
	v_mul_hi_u32 v9, s19, v3
	v_sub_u32_e32 v1, v1, v7
	v_add_u32_e32 v7, v3, v9
	v_mul_lo_u32 v5, v2, s5
	v_mul_lo_u32 v2, v2, s4
	;; [unrolled: 1-line block ×4, first 2 shown]
	v_lshrrev_b32_e32 v7, s20, v7
	v_add3_u32 v1, v2, v4, v1
	v_add3_u32 v4, v5, v12, v9
	v_mul_lo_u32 v2, v7, s18
	v_mul_hi_u32 v5, s22, v7
	v_sub_u32_e32 v2, v3, v2
	v_add_u32_e32 v3, v7, v5
	v_mul_lo_u32 v5, v2, s8
	v_mul_lo_u32 v9, v2, s9
	v_lshrrev_b32_e32 v2, s23, v3
	s_add_i32 s38, s38, 4
	v_mul_lo_u32 v3, v2, s21
	s_add_u32 s28, s28, 32
	v_sub_u32_e32 v3, v7, v3
	s_addc_u32 s29, s29, 0
	v_mul_lo_u32 v7, v3, s10
	v_mul_lo_u32 v3, v3, s11
	s_cmp_lg_u32 s36, s38
	v_add3_u32 v12, v9, v4, v3
	v_add3_u32 v4, v5, v1, v7
	s_cbranch_scc1 .LBB489_1109
; %bb.1110:
	v_mov_b32_e32 v1, v12
	s_and_b32 s8, s37, 3
	s_cmp_eq_u32 s8, 0
	s_cbranch_scc0 .LBB489_1114
	s_branch .LBB489_1116
.LBB489_1111:
                                        ; implicit-def: $vgpr12
                                        ; implicit-def: $vgpr4
	s_branch .LBB489_1117
.LBB489_1112:
	v_mov_b32_e32 v12, 0
	v_mov_b32_e32 v4, 0
	s_branch .LBB489_1116
.LBB489_1113:
	v_mov_b32_e32 v4, 0
                                        ; implicit-def: $vgpr12
	s_waitcnt vmcnt(0)
	v_mov_b32_e32 v1, v4
	v_mov_b32_e32 v2, v0
	s_and_b32 s8, s37, 3
	s_cmp_eq_u32 s8, 0
	s_cbranch_scc1 .LBB489_1116
.LBB489_1114:
	s_lshl_b32 s4, s36, 3
	s_add_u32 s4, s34, s4
	s_addc_u32 s5, s35, 0
	s_add_u32 s4, s4, 0xc4
	s_addc_u32 s5, s5, 0
	s_mul_i32 s6, s36, 12
	s_add_u32 s6, s34, s6
	s_addc_u32 s7, s35, 0
.LBB489_1115:                           ; =>This Inner Loop Header: Depth=1
	s_load_dwordx2 s[10:11], s[6:7], 0x4
	s_load_dword s9, s[6:7], 0xc
	s_load_dwordx2 s[12:13], s[4:5], 0x0
	v_mov_b32_e32 v10, v1
	s_add_u32 s6, s6, 12
	s_waitcnt lgkmcnt(0)
	v_mul_hi_u32 v1, s11, v2
	v_add_u32_e32 v1, v2, v1
	v_lshrrev_b32_e32 v1, s9, v1
	s_addc_u32 s7, s7, 0
	v_mul_lo_u32 v3, v1, s10
	s_add_u32 s4, s4, 8
	v_sub_u32_e32 v3, v2, v3
	s_addc_u32 s5, s5, 0
	s_add_i32 s8, s8, -1
	v_mad_u64_u32 v[12:13], s[10:11], v3, s13, v[10:11]
	s_cmp_lg_u32 s8, 0
	v_mov_b32_e32 v2, v1
	v_mad_u64_u32 v[4:5], s[10:11], v3, s12, v[4:5]
	v_mov_b32_e32 v1, v12
	s_cbranch_scc1 .LBB489_1115
.LBB489_1116:
	s_cbranch_execnz .LBB489_1119
.LBB489_1117:
	s_load_dwordx4 s[4:7], s[34:35], 0x4
	s_load_dwordx2 s[8:9], s[34:35], 0xc4
	s_cmp_lt_u32 s33, 2
	s_waitcnt vmcnt(0) lgkmcnt(0)
	v_mul_hi_u32 v1, s5, v0
	v_add_u32_e32 v1, v0, v1
	v_lshrrev_b32_e32 v1, s6, v1
	v_mul_lo_u32 v2, v1, s4
	v_sub_u32_e32 v0, v0, v2
	v_mul_lo_u32 v12, v0, s9
	v_mul_lo_u32 v4, v0, s8
	s_cbranch_scc1 .LBB489_1119
; %bb.1118:
	s_load_dwordx4 s[4:7], s[34:35], 0x10
	s_load_dwordx2 s[8:9], s[34:35], 0xcc
	s_waitcnt lgkmcnt(0)
	v_mul_hi_u32 v0, s5, v1
	v_add_u32_e32 v0, v1, v0
	v_lshrrev_b32_e32 v0, s6, v0
	v_mul_lo_u32 v0, v0, s4
	v_sub_u32_e32 v0, v1, v0
	v_mad_u64_u32 v[4:5], s[4:5], v0, s8, v[4:5]
	v_mad_u64_u32 v[12:13], s[4:5], v0, s9, v[12:13]
.LBB489_1119:
	s_and_b64 vcc, exec, s[2:3]
	v_add_u32_e32 v0, 0x100, v8
	s_cbranch_vccnz .LBB489_1125
; %bb.1120:
	s_cmp_lg_u32 s33, 0
	s_mov_b32 s36, 0
	s_cbranch_scc0 .LBB489_1126
; %bb.1121:
	s_min_u32 s37, s72, 15
	s_add_i32 s37, s37, 1
	s_cmp_eq_u32 s72, 2
	s_cbranch_scc1 .LBB489_1127
; %bb.1122:
	s_and_b32 s36, s37, 28
	s_add_u32 s28, s34, 0xc4
	s_addc_u32 s29, s35, 0
	s_mov_b32 s38, 0
	v_mov_b32_e32 v2, 0
	v_mov_b32_e32 v10, 0
	s_mov_b64 s[30:31], s[34:35]
	v_mov_b32_e32 v5, v0
.LBB489_1123:                           ; =>This Inner Loop Header: Depth=1
	s_load_dwordx8 s[12:19], s[30:31], 0x4
	s_load_dwordx4 s[20:23], s[30:31], 0x24
	s_load_dwordx8 s[4:11], s[28:29], 0x0
	s_add_u32 s30, s30, 48
	s_addc_u32 s31, s31, 0
	s_waitcnt vmcnt(0) lgkmcnt(0)
	v_mul_hi_u32 v1, s13, v5
	v_add_u32_e32 v1, v5, v1
	v_lshrrev_b32_e32 v1, s14, v1
	v_mul_lo_u32 v3, v1, s12
	v_mul_hi_u32 v7, s16, v1
	v_sub_u32_e32 v3, v5, v3
	v_add_u32_e32 v5, v1, v7
	v_lshrrev_b32_e32 v5, s17, v5
	v_mul_lo_u32 v8, v5, s15
	v_mul_hi_u32 v9, s19, v5
	v_sub_u32_e32 v1, v1, v8
	v_add_u32_e32 v8, v5, v9
	v_mul_lo_u32 v7, v3, s5
	v_mul_lo_u32 v3, v3, s4
	;; [unrolled: 1-line block ×4, first 2 shown]
	v_lshrrev_b32_e32 v8, s20, v8
	v_add3_u32 v1, v3, v2, v1
	v_add3_u32 v2, v7, v10, v9
	v_mul_lo_u32 v3, v8, s18
	v_mul_hi_u32 v7, s22, v8
	v_sub_u32_e32 v3, v5, v3
	v_add_u32_e32 v5, v8, v7
	v_lshrrev_b32_e32 v5, s23, v5
	s_add_i32 s38, s38, 4
	v_mul_lo_u32 v9, v5, s21
	s_add_u32 s28, s28, 32
	v_sub_u32_e32 v8, v8, v9
	s_addc_u32 s29, s29, 0
	v_mul_lo_u32 v7, v3, s8
	v_mul_lo_u32 v3, v3, s9
	;; [unrolled: 1-line block ×4, first 2 shown]
	s_cmp_lg_u32 s36, s38
	v_add3_u32 v10, v3, v2, v8
	v_add3_u32 v2, v7, v1, v9
	s_cbranch_scc1 .LBB489_1123
; %bb.1124:
	v_mov_b32_e32 v1, v10
	s_and_b32 s8, s37, 3
	s_cmp_eq_u32 s8, 0
	s_cbranch_scc0 .LBB489_1128
	s_branch .LBB489_1130
.LBB489_1125:
                                        ; implicit-def: $vgpr10
                                        ; implicit-def: $vgpr2
	s_branch .LBB489_1131
.LBB489_1126:
	v_mov_b32_e32 v10, 0
	v_mov_b32_e32 v2, 0
	s_branch .LBB489_1130
.LBB489_1127:
	v_mov_b32_e32 v2, 0
                                        ; implicit-def: $vgpr10
	s_waitcnt vmcnt(0)
	v_mov_b32_e32 v1, v2
	v_mov_b32_e32 v5, v0
	s_and_b32 s8, s37, 3
	s_cmp_eq_u32 s8, 0
	s_cbranch_scc1 .LBB489_1130
.LBB489_1128:
	s_lshl_b32 s4, s36, 3
	s_add_u32 s4, s34, s4
	s_addc_u32 s5, s35, 0
	s_add_u32 s4, s4, 0xc4
	s_addc_u32 s5, s5, 0
	s_mul_i32 s6, s36, 12
	s_add_u32 s6, s34, s6
	s_addc_u32 s7, s35, 0
.LBB489_1129:                           ; =>This Inner Loop Header: Depth=1
	s_load_dwordx2 s[10:11], s[6:7], 0x4
	s_load_dword s9, s[6:7], 0xc
	s_load_dwordx2 s[12:13], s[4:5], 0x0
	v_mov_b32_e32 v8, v1
	s_add_u32 s6, s6, 12
	s_waitcnt lgkmcnt(0)
	v_mul_hi_u32 v1, s11, v5
	v_add_u32_e32 v1, v5, v1
	v_lshrrev_b32_e32 v1, s9, v1
	s_addc_u32 s7, s7, 0
	v_mul_lo_u32 v3, v1, s10
	s_add_u32 s4, s4, 8
	v_sub_u32_e32 v3, v5, v3
	s_addc_u32 s5, s5, 0
	s_add_i32 s8, s8, -1
	v_mad_u64_u32 v[10:11], s[10:11], v3, s13, v[8:9]
	s_cmp_lg_u32 s8, 0
	v_mov_b32_e32 v5, v1
	v_mad_u64_u32 v[2:3], s[10:11], v3, s12, v[2:3]
	v_mov_b32_e32 v1, v10
	s_cbranch_scc1 .LBB489_1129
.LBB489_1130:
	s_cbranch_execnz .LBB489_1133
.LBB489_1131:
	s_load_dwordx4 s[4:7], s[34:35], 0x4
	s_load_dwordx2 s[8:9], s[34:35], 0xc4
	s_cmp_lt_u32 s33, 2
	s_waitcnt vmcnt(0) lgkmcnt(0)
	v_mul_hi_u32 v1, s5, v0
	v_add_u32_e32 v1, v0, v1
	v_lshrrev_b32_e32 v1, s6, v1
	v_mul_lo_u32 v2, v1, s4
	v_sub_u32_e32 v0, v0, v2
	v_mul_lo_u32 v10, v0, s9
	v_mul_lo_u32 v2, v0, s8
	s_cbranch_scc1 .LBB489_1133
; %bb.1132:
	s_load_dwordx4 s[4:7], s[34:35], 0x10
	s_load_dwordx2 s[8:9], s[34:35], 0xcc
	s_waitcnt lgkmcnt(0)
	v_mul_hi_u32 v0, s5, v1
	v_add_u32_e32 v0, v1, v0
	v_lshrrev_b32_e32 v0, s6, v0
	v_mul_lo_u32 v0, v0, s4
	v_sub_u32_e32 v0, v1, v0
	v_mad_u64_u32 v[2:3], s[4:5], v0, s8, v[2:3]
	v_mad_u64_u32 v[10:11], s[4:5], v0, s9, v[10:11]
.LBB489_1133:
	s_and_b64 vcc, exec, s[2:3]
	s_cbranch_vccnz .LBB489_1139
; %bb.1134:
	s_cmp_lg_u32 s33, 0
	s_mov_b32 s30, 0
	s_cbranch_scc0 .LBB489_1140
; %bb.1135:
	s_min_u32 s31, s72, 15
	s_add_i32 s31, s31, 1
	s_cmp_eq_u32 s72, 2
	s_cbranch_scc1 .LBB489_1141
; %bb.1136:
	s_and_b32 s30, s31, 28
	s_add_u32 s2, s34, 0xc4
	s_addc_u32 s3, s35, 0
	s_mov_b32 s36, 0
	v_mov_b32_e32 v0, 0
	v_mov_b32_e32 v8, 0
	s_mov_b64 s[28:29], s[34:35]
	v_mov_b32_e32 v3, v16
.LBB489_1137:                           ; =>This Inner Loop Header: Depth=1
	s_load_dwordx8 s[12:19], s[28:29], 0x4
	s_load_dwordx4 s[20:23], s[28:29], 0x24
	s_load_dwordx8 s[4:11], s[2:3], 0x0
	s_add_u32 s28, s28, 48
	s_addc_u32 s29, s29, 0
	s_waitcnt vmcnt(0) lgkmcnt(0)
	v_mul_hi_u32 v1, s13, v3
	v_add_u32_e32 v1, v3, v1
	v_lshrrev_b32_e32 v1, s14, v1
	v_mul_lo_u32 v5, v1, s12
	v_mul_hi_u32 v7, s16, v1
	v_sub_u32_e32 v3, v3, v5
	v_add_u32_e32 v5, v1, v7
	v_lshrrev_b32_e32 v5, s17, v5
	v_mul_lo_u32 v9, v5, s15
	v_mul_hi_u32 v11, s19, v5
	v_sub_u32_e32 v1, v1, v9
	v_add_u32_e32 v9, v5, v11
	v_mul_lo_u32 v7, v3, s5
	v_mul_lo_u32 v3, v3, s4
	;; [unrolled: 1-line block ×4, first 2 shown]
	v_lshrrev_b32_e32 v9, s20, v9
	v_add3_u32 v0, v3, v0, v1
	v_add3_u32 v1, v7, v8, v11
	v_mul_lo_u32 v3, v9, s18
	v_mul_hi_u32 v7, s22, v9
	v_sub_u32_e32 v3, v5, v3
	v_add_u32_e32 v5, v9, v7
	v_mul_lo_u32 v7, v3, s8
	v_mul_lo_u32 v8, v3, s9
	v_lshrrev_b32_e32 v3, s23, v5
	s_add_i32 s36, s36, 4
	v_mul_lo_u32 v5, v3, s21
	s_add_u32 s2, s2, 32
	v_sub_u32_e32 v5, v9, v5
	s_addc_u32 s3, s3, 0
	v_mul_lo_u32 v9, v5, s10
	v_mul_lo_u32 v5, v5, s11
	s_cmp_lg_u32 s30, s36
	v_add3_u32 v8, v8, v1, v5
	v_add3_u32 v0, v7, v0, v9
	s_cbranch_scc1 .LBB489_1137
; %bb.1138:
	v_mov_b32_e32 v1, v8
	s_and_b32 s6, s31, 3
	s_cmp_eq_u32 s6, 0
	s_cbranch_scc0 .LBB489_1142
	s_branch .LBB489_1144
.LBB489_1139:
                                        ; implicit-def: $vgpr8
                                        ; implicit-def: $vgpr0
	s_branch .LBB489_1145
.LBB489_1140:
	v_mov_b32_e32 v8, 0
	v_mov_b32_e32 v0, 0
	s_branch .LBB489_1144
.LBB489_1141:
	v_mov_b32_e32 v0, 0
                                        ; implicit-def: $vgpr8
	s_waitcnt vmcnt(0)
	v_mov_b32_e32 v1, v0
	v_mov_b32_e32 v3, v16
	s_and_b32 s6, s31, 3
	s_cmp_eq_u32 s6, 0
	s_cbranch_scc1 .LBB489_1144
.LBB489_1142:
	s_lshl_b32 s2, s30, 3
	s_add_u32 s2, s34, s2
	s_addc_u32 s3, s35, 0
	s_add_u32 s2, s2, 0xc4
	s_addc_u32 s3, s3, 0
	s_mul_i32 s4, s30, 12
	s_add_u32 s4, s34, s4
	s_addc_u32 s5, s35, 0
.LBB489_1143:                           ; =>This Inner Loop Header: Depth=1
	s_load_dwordx2 s[8:9], s[4:5], 0x4
	s_load_dword s7, s[4:5], 0xc
	s_load_dwordx2 s[10:11], s[2:3], 0x0
	v_mov_b32_e32 v8, v1
	s_add_u32 s4, s4, 12
	s_waitcnt lgkmcnt(0)
	v_mul_hi_u32 v1, s9, v3
	v_add_u32_e32 v1, v3, v1
	v_lshrrev_b32_e32 v1, s7, v1
	s_addc_u32 s5, s5, 0
	v_mul_lo_u32 v5, v1, s8
	s_add_u32 s2, s2, 8
	v_sub_u32_e32 v5, v3, v5
	s_addc_u32 s3, s3, 0
	s_add_i32 s6, s6, -1
	v_mov_b32_e32 v3, v1
	v_mad_u64_u32 v[8:9], s[8:9], v5, s11, v[8:9]
	v_mad_u64_u32 v[0:1], s[8:9], v5, s10, v[0:1]
	s_cmp_lg_u32 s6, 0
	v_mov_b32_e32 v1, v8
	s_cbranch_scc1 .LBB489_1143
.LBB489_1144:
	s_cbranch_execnz .LBB489_1147
.LBB489_1145:
	s_load_dwordx4 s[4:7], s[34:35], 0x4
	s_load_dwordx2 s[2:3], s[34:35], 0xc4
	s_cmp_lt_u32 s33, 2
	s_waitcnt lgkmcnt(0)
	v_mul_hi_u32 v0, s5, v16
	v_add_u32_e32 v0, v16, v0
	s_waitcnt vmcnt(0)
	v_lshrrev_b32_e32 v1, s6, v0
	v_mul_lo_u32 v0, v1, s4
	v_sub_u32_e32 v0, v16, v0
	v_mul_lo_u32 v8, v0, s3
	v_mul_lo_u32 v0, v0, s2
	s_cbranch_scc1 .LBB489_1147
; %bb.1146:
	s_load_dwordx4 s[4:7], s[34:35], 0x10
	s_load_dwordx2 s[2:3], s[34:35], 0xcc
	s_waitcnt lgkmcnt(0)
	v_mul_hi_u32 v3, s5, v1
	v_add_u32_e32 v3, v1, v3
	v_lshrrev_b32_e32 v3, s6, v3
	v_mul_lo_u32 v3, v3, s4
	v_sub_u32_e32 v3, v1, v3
	v_mad_u64_u32 v[0:1], s[4:5], v3, s2, v[0:1]
	v_mad_u64_u32 v[8:9], s[2:3], v3, s3, v[8:9]
.LBB489_1147:
	s_load_dword s16, s[0:1], 0x160
	s_load_dwordx4 s[4:7], s[34:35], 0x148
	v_mov_b32_e32 v15, 0
	s_waitcnt lgkmcnt(0)
	s_lshr_b32 s14, s16, 24
	s_cmp_lt_i32 s14, 11
	v_lshl_add_u64 v[14:15], s[6:7], 0, v[14:15]
	s_cbranch_scc1 .LBB489_1154
; %bb.1148:
	s_and_b32 s15, 0xffff, s14
	s_cmp_gt_i32 s15, 25
	s_mov_b64 s[8:9], 0
	s_cbranch_scc0 .LBB489_1156
; %bb.1149:
	s_cmp_gt_i32 s15, 28
	s_cbranch_scc0 .LBB489_1157
; %bb.1150:
	s_cmp_gt_i32 s15, 43
	;; [unrolled: 3-line block ×3, first 2 shown]
	s_cbranch_scc0 .LBB489_1159
; %bb.1152:
	s_cmp_eq_u32 s15, 46
	s_mov_b64 s[2:3], 0
	s_cbranch_scc0 .LBB489_1162
; %bb.1153:
	global_load_dword v1, v[14:15], off
	s_mov_b64 s[0:1], 0
	s_mov_b64 s[10:11], -1
	s_branch .LBB489_1163
.LBB489_1154:
	s_mov_b64 s[10:11], 0
                                        ; implicit-def: $vgpr1
	s_mov_b64 s[2:3], s[24:25]
	s_cbranch_execnz .LBB489_1225
.LBB489_1155:
	s_andn2_b64 vcc, exec, s[10:11]
	s_cbranch_vccz .LBB489_1270
	s_branch .LBB489_2091
.LBB489_1156:
	s_mov_b64 s[10:11], 0
	s_mov_b64 s[0:1], 0
                                        ; implicit-def: $vgpr1
	s_cbranch_execnz .LBB489_1190
	s_branch .LBB489_1221
.LBB489_1157:
	s_mov_b64 s[10:11], 0
	s_mov_b64 s[0:1], 0
                                        ; implicit-def: $vgpr1
	s_cbranch_execz .LBB489_1189
	s_branch .LBB489_1172
.LBB489_1158:
	s_mov_b64 s[10:11], 0
	s_mov_b64 s[0:1], 0
                                        ; implicit-def: $vgpr1
	s_cbranch_execnz .LBB489_1168
	s_branch .LBB489_1171
.LBB489_1159:
	s_mov_b64 s[2:3], -1
	s_mov_b64 s[10:11], 0
	s_mov_b64 s[0:1], 0
                                        ; implicit-def: $vgpr1
	s_branch .LBB489_1163
.LBB489_1160:
	s_andn2_saveexec_b64 s[12:13], s[12:13]
	s_cbranch_execz .LBB489_1003
.LBB489_1161:
	s_mov_b32 s14, 0x46000000
	v_add_f32_e64 v1, |v5|, s14
	v_and_b32_e32 v1, 0xff, v1
	v_cmp_ne_u32_e32 vcc, 0, v1
	s_andn2_b64 s[10:11], s[10:11], exec
	s_and_b64 s[14:15], vcc, exec
	s_or_b64 s[10:11], s[10:11], s[14:15]
	s_or_b64 exec, exec, s[12:13]
	v_mov_b32_e32 v6, 0
	s_and_saveexec_b64 s[12:13], s[10:11]
	s_cbranch_execnz .LBB489_1004
	s_branch .LBB489_1005
.LBB489_1162:
	s_mov_b64 s[0:1], -1
                                        ; implicit-def: $vgpr1
	s_mov_b64 s[10:11], 0
.LBB489_1163:
	s_and_b64 vcc, exec, s[2:3]
	s_cbranch_vccz .LBB489_1166
; %bb.1164:
	s_cmp_eq_u32 s15, 44
	s_cbranch_scc0 .LBB489_1167
; %bb.1165:
	global_load_ubyte v1, v[14:15], off
	s_movk_i32 s2, 0xff
	v_mov_b32_e32 v3, 0x7f800001
	v_mov_b32_e32 v5, 0x400000
	;; [unrolled: 1-line block ×3, first 2 shown]
	s_mov_b64 s[0:1], 0
	s_mov_b64 s[10:11], -1
	s_waitcnt vmcnt(0)
	v_lshlrev_b32_e32 v9, 23, v1
	v_cmp_ne_u32_e32 vcc, s2, v1
	s_nop 1
	v_cndmask_b32_e32 v3, v3, v9, vcc
	v_cmp_ne_u32_e32 vcc, 0, v1
	s_nop 1
	v_cndmask_b32_e32 v1, v5, v3, vcc
	v_add_u32_e32 v3, 0x7fff, v1
	v_cmp_o_f32_e32 vcc, v1, v1
	s_nop 1
	v_cndmask_b32_sdwa v1, v7, v3, vcc dst_sel:DWORD dst_unused:UNUSED_PAD src0_sel:DWORD src1_sel:WORD_1
.LBB489_1166:
	s_branch .LBB489_1171
.LBB489_1167:
	s_mov_b64 s[0:1], -1
                                        ; implicit-def: $vgpr1
	s_branch .LBB489_1171
.LBB489_1168:
	s_cmp_eq_u32 s15, 29
	s_cbranch_scc0 .LBB489_1170
; %bb.1169:
	global_load_dwordx2 v[16:17], v[14:15], off
	s_movk_i32 s2, 0x7fff
	s_mov_b64 s[0:1], 0
	s_mov_b64 s[10:11], -1
	s_waitcnt vmcnt(0)
	v_ffbh_u32_e32 v1, v17
	v_min_u32_e32 v1, 32, v1
	v_lshlrev_b64 v[16:17], v1, v[16:17]
	v_min_u32_e32 v3, 1, v16
	v_or_b32_e32 v3, v17, v3
	v_cvt_f32_u32_e32 v3, v3
	v_sub_u32_e32 v1, 32, v1
	v_ldexp_f32 v1, v3, v1
	v_bfe_u32 v3, v1, 16, 1
	v_add3_u32 v1, v1, v3, s2
	v_lshrrev_b32_e32 v1, 16, v1
	s_branch .LBB489_1171
.LBB489_1170:
	s_mov_b64 s[0:1], -1
                                        ; implicit-def: $vgpr1
.LBB489_1171:
	s_branch .LBB489_1189
.LBB489_1172:
	s_cmp_lt_i32 s15, 27
	s_cbranch_scc1 .LBB489_1175
; %bb.1173:
	s_cmp_gt_i32 s15, 27
	s_cbranch_scc0 .LBB489_1176
; %bb.1174:
	global_load_dword v1, v[14:15], off
	s_movk_i32 s2, 0x7fff
	s_waitcnt vmcnt(0)
	v_cvt_f32_u32_e32 v1, v1
	v_bfe_u32 v3, v1, 16, 1
	v_add3_u32 v1, v1, v3, s2
	v_lshrrev_b32_e32 v1, 16, v1
	s_mov_b64 s[2:3], 0
	s_branch .LBB489_1177
.LBB489_1175:
	s_mov_b64 s[2:3], -1
                                        ; implicit-def: $vgpr1
	s_branch .LBB489_1180
.LBB489_1176:
	s_mov_b64 s[2:3], -1
                                        ; implicit-def: $vgpr1
.LBB489_1177:
	s_andn2_b64 vcc, exec, s[2:3]
	s_cbranch_vccnz .LBB489_1179
; %bb.1178:
	global_load_ushort v1, v[14:15], off
	s_movk_i32 s2, 0x7fff
	s_waitcnt vmcnt(0)
	v_cvt_f32_u32_e32 v1, v1
	v_bfe_u32 v3, v1, 16, 1
	v_add3_u32 v1, v1, v3, s2
	v_lshrrev_b32_e32 v1, 16, v1
.LBB489_1179:
	s_mov_b64 s[2:3], 0
.LBB489_1180:
	s_andn2_b64 vcc, exec, s[2:3]
	s_cbranch_vccnz .LBB489_1188
; %bb.1181:
	global_load_ubyte v1, v[14:15], off
	s_movk_i32 s2, 0x7f
	s_waitcnt vmcnt(0)
	v_cmp_lt_i16_e32 vcc, s2, v1
	s_mov_b64 s[2:3], 0
	s_and_saveexec_b64 s[10:11], vcc
	s_xor_b64 s[10:11], exec, s[10:11]
	s_cbranch_execz .LBB489_1201
; %bb.1182:
	s_movk_i32 s2, 0x80
	v_cmp_eq_u16_e32 vcc, s2, v1
	s_mov_b64 s[2:3], -1
	s_and_saveexec_b64 s[12:13], vcc
; %bb.1183:
	s_xor_b64 s[2:3], exec, -1
; %bb.1184:
	s_or_b64 exec, exec, s[12:13]
	s_and_b64 s[2:3], s[2:3], exec
	s_or_saveexec_b64 s[10:11], s[10:11]
	v_mov_b32_e32 v3, 0x7f800001
	s_xor_b64 exec, exec, s[10:11]
	s_cbranch_execnz .LBB489_1202
.LBB489_1185:
	s_or_b64 exec, exec, s[10:11]
	s_and_saveexec_b64 s[10:11], s[2:3]
	s_cbranch_execz .LBB489_1187
.LBB489_1186:
	v_lshlrev_b32_e32 v3, 24, v1
	v_and_b32_e32 v1, 0xffff, v1
	v_and_b32_e32 v5, 7, v1
	v_ffbh_u32_e32 v9, v5
	v_min_u32_e32 v9, 32, v9
	v_subrev_u32_e32 v11, 28, v9
	v_bfe_u32 v7, v1, 3, 4
	v_lshlrev_b32_e32 v1, v11, v1
	v_sub_u32_e32 v9, 29, v9
	v_and_b32_e32 v1, 7, v1
	v_cmp_eq_u32_e32 vcc, 0, v7
	v_and_b32_e32 v3, 0x80000000, v3
	s_nop 0
	v_cndmask_b32_e32 v7, v7, v9, vcc
	v_cndmask_b32_e32 v1, v5, v1, vcc
	v_mov_b32_e32 v5, 0x3b800000
	v_lshlrev_b32_e32 v1, 20, v1
	v_lshl_add_u32 v5, v7, 23, v5
	v_or3_b32 v3, v3, v5, v1
.LBB489_1187:
	s_or_b64 exec, exec, s[10:11]
	v_bfe_u32 v1, v3, 16, 1
	s_movk_i32 s2, 0x7fff
	v_add3_u32 v1, v3, v1, s2
	v_cmp_o_f32_e32 vcc, v3, v3
	v_mov_b32_e32 v3, 0x7fc0
	s_nop 0
	v_cndmask_b32_sdwa v1, v3, v1, vcc dst_sel:DWORD dst_unused:UNUSED_PAD src0_sel:DWORD src1_sel:WORD_1
.LBB489_1188:
	s_mov_b64 s[10:11], -1
.LBB489_1189:
	s_branch .LBB489_1221
.LBB489_1190:
	s_cmp_gt_i32 s15, 22
	s_cbranch_scc0 .LBB489_1200
; %bb.1191:
	s_cmp_lt_i32 s15, 24
	s_cbranch_scc1 .LBB489_1203
; %bb.1192:
	s_cmp_gt_i32 s15, 24
	s_cbranch_scc0 .LBB489_1204
; %bb.1193:
	global_load_ubyte v1, v[14:15], off
	s_movk_i32 s2, 0x7f
	s_waitcnt vmcnt(0)
	v_cmp_lt_i16_e32 vcc, s2, v1
	s_mov_b64 s[2:3], 0
	s_and_saveexec_b64 s[8:9], vcc
	s_xor_b64 s[8:9], exec, s[8:9]
	s_cbranch_execz .LBB489_1215
; %bb.1194:
	s_movk_i32 s2, 0x80
	v_cmp_eq_u16_e32 vcc, s2, v1
	s_mov_b64 s[2:3], -1
	s_and_saveexec_b64 s[10:11], vcc
; %bb.1195:
	s_xor_b64 s[2:3], exec, -1
; %bb.1196:
	s_or_b64 exec, exec, s[10:11]
	s_and_b64 s[2:3], s[2:3], exec
	s_or_saveexec_b64 s[8:9], s[8:9]
	v_mov_b32_e32 v3, 0x7f800001
	s_xor_b64 exec, exec, s[8:9]
	s_cbranch_execnz .LBB489_1216
.LBB489_1197:
	s_or_b64 exec, exec, s[8:9]
	s_and_saveexec_b64 s[8:9], s[2:3]
	s_cbranch_execz .LBB489_1199
.LBB489_1198:
	v_lshlrev_b32_e32 v3, 24, v1
	v_and_b32_e32 v1, 0xffff, v1
	v_and_b32_e32 v5, 3, v1
	v_ffbh_u32_e32 v9, v5
	v_min_u32_e32 v9, 32, v9
	v_subrev_u32_e32 v11, 29, v9
	v_bfe_u32 v7, v1, 2, 5
	v_lshlrev_b32_e32 v1, v11, v1
	v_sub_u32_e32 v9, 30, v9
	v_and_b32_e32 v1, 3, v1
	v_cmp_eq_u32_e32 vcc, 0, v7
	v_and_b32_e32 v3, 0x80000000, v3
	s_nop 0
	v_cndmask_b32_e32 v7, v7, v9, vcc
	v_cndmask_b32_e32 v1, v5, v1, vcc
	v_mov_b32_e32 v5, 0x37800000
	v_lshlrev_b32_e32 v1, 21, v1
	v_lshl_add_u32 v5, v7, 23, v5
	v_or3_b32 v3, v3, v5, v1
.LBB489_1199:
	s_or_b64 exec, exec, s[8:9]
	v_bfe_u32 v1, v3, 16, 1
	s_movk_i32 s2, 0x7fff
	v_add3_u32 v1, v3, v1, s2
	v_cmp_o_f32_e32 vcc, v3, v3
	v_mov_b32_e32 v3, 0x7fc0
	s_mov_b64 s[2:3], 0
	v_cndmask_b32_sdwa v1, v3, v1, vcc dst_sel:DWORD dst_unused:UNUSED_PAD src0_sel:DWORD src1_sel:WORD_1
	s_branch .LBB489_1205
.LBB489_1200:
                                        ; implicit-def: $vgpr1
	s_mov_b64 s[8:9], 0
	s_branch .LBB489_1211
.LBB489_1201:
	s_or_saveexec_b64 s[10:11], s[10:11]
	v_mov_b32_e32 v3, 0x7f800001
	s_xor_b64 exec, exec, s[10:11]
	s_cbranch_execz .LBB489_1185
.LBB489_1202:
	v_cmp_ne_u16_e32 vcc, 0, v1
	s_andn2_b64 s[2:3], s[2:3], exec
	s_and_b64 s[12:13], vcc, exec
	v_mov_b32_e32 v3, 0
	s_or_b64 s[2:3], s[2:3], s[12:13]
	s_or_b64 exec, exec, s[10:11]
	s_and_saveexec_b64 s[10:11], s[2:3]
	s_cbranch_execnz .LBB489_1186
	s_branch .LBB489_1187
.LBB489_1203:
	s_mov_b64 s[2:3], -1
                                        ; implicit-def: $vgpr1
	s_branch .LBB489_1208
.LBB489_1204:
	s_mov_b64 s[2:3], -1
                                        ; implicit-def: $vgpr1
.LBB489_1205:
	s_and_b64 vcc, exec, s[2:3]
	s_cbranch_vccz .LBB489_1207
; %bb.1206:
	global_load_ubyte v1, v[14:15], off
	s_mov_b32 s2, 0x7f800000
	s_brev_b32 s3, 1
	s_movk_i32 s8, 0x7fff
	s_waitcnt vmcnt(0)
	v_lshlrev_b32_e32 v1, 24, v1
	v_and_b32_e32 v3, 0x7f000000, v1
	v_ffbh_u32_e32 v5, v3
	v_min_u32_e32 v5, 32, v5
	v_sub_u32_e64 v5, v5, 4 clamp
	v_lshlrev_b32_e32 v9, v5, v3
	v_lshlrev_b32_e32 v5, 23, v5
	v_lshrrev_b32_e32 v9, 4, v9
	v_add_u32_e32 v7, 0x1000000, v3
	v_sub_u32_e32 v5, v9, v5
	v_ashrrev_i32_e32 v7, 8, v7
	v_add_u32_e32 v5, 0x3c000000, v5
	v_and_or_b32 v5, v7, s2, v5
	v_cmp_ne_u32_e32 vcc, 0, v3
	s_nop 1
	v_cndmask_b32_e32 v3, 0, v5, vcc
	v_and_or_b32 v1, v1, s3, v3
	v_bfe_u32 v3, v3, 16, 1
	v_add3_u32 v3, v1, v3, s8
	v_cmp_o_f32_e32 vcc, v1, v1
	v_mov_b32_e32 v1, 0x7fc0
	s_nop 0
	v_cndmask_b32_sdwa v1, v1, v3, vcc dst_sel:DWORD dst_unused:UNUSED_PAD src0_sel:DWORD src1_sel:WORD_1
.LBB489_1207:
	s_mov_b64 s[2:3], 0
.LBB489_1208:
	s_andn2_b64 vcc, exec, s[2:3]
	s_cbranch_vccnz .LBB489_1210
; %bb.1209:
	global_load_ubyte v1, v[14:15], off
	s_movk_i32 s2, 0x7f00
	s_brev_b32 s3, 16
	s_brev_b32 s8, 1
	s_movk_i32 s9, 0x7fff
	s_waitcnt vmcnt(0)
	v_lshlrev_b16_e32 v3, 8, v1
	v_lshlrev_b32_e32 v1, 25, v1
	v_lshrrev_b32_e32 v5, 4, v1
	v_and_or_b32 v7, v3, s2, 0.5
	v_or_b32_e32 v5, 0x70000000, v5
	v_add_f32_e32 v7, -0.5, v7
	v_mul_f32_e32 v5, 0x7800000, v5
	v_cmp_gt_u32_e32 vcc, s3, v1
	v_bfe_i32 v3, v3, 0, 16
	s_nop 0
	v_cndmask_b32_e32 v1, v5, v7, vcc
	v_and_or_b32 v3, v3, s8, v1
	v_bfe_u32 v1, v1, 16, 1
	v_add3_u32 v1, v3, v1, s9
	v_cmp_o_f32_e32 vcc, v3, v3
	v_mov_b32_e32 v3, 0x7fc0
	s_nop 0
	v_cndmask_b32_sdwa v1, v3, v1, vcc dst_sel:DWORD dst_unused:UNUSED_PAD src0_sel:DWORD src1_sel:WORD_1
.LBB489_1210:
	s_mov_b64 s[10:11], -1
	s_mov_b64 s[8:9], 0
	s_cbranch_execnz .LBB489_1221
.LBB489_1211:
	s_cmp_gt_i32 s15, 14
	s_cbranch_scc0 .LBB489_1214
; %bb.1212:
	s_cmp_eq_u32 s15, 15
	s_cbranch_scc0 .LBB489_1217
; %bb.1213:
	global_load_ushort v1, v[14:15], off
	s_mov_b64 s[0:1], 0
	s_mov_b64 s[10:11], -1
	s_branch .LBB489_1218
.LBB489_1214:
	s_mov_b64 s[2:3], -1
                                        ; implicit-def: $vgpr1
	s_branch .LBB489_1219
.LBB489_1215:
	s_or_saveexec_b64 s[8:9], s[8:9]
	v_mov_b32_e32 v3, 0x7f800001
	s_xor_b64 exec, exec, s[8:9]
	s_cbranch_execz .LBB489_1197
.LBB489_1216:
	v_cmp_ne_u16_e32 vcc, 0, v1
	s_andn2_b64 s[2:3], s[2:3], exec
	s_and_b64 s[10:11], vcc, exec
	v_mov_b32_e32 v3, 0
	s_or_b64 s[2:3], s[2:3], s[10:11]
	s_or_b64 exec, exec, s[8:9]
	s_and_saveexec_b64 s[8:9], s[2:3]
	s_cbranch_execnz .LBB489_1198
	s_branch .LBB489_1199
.LBB489_1217:
	s_mov_b64 s[0:1], -1
                                        ; implicit-def: $vgpr1
.LBB489_1218:
	s_mov_b64 s[2:3], 0
.LBB489_1219:
	s_and_b64 vcc, exec, s[2:3]
	s_cbranch_vccz .LBB489_1221
; %bb.1220:
	s_cmp_lg_u32 s15, 11
	s_mov_b64 s[8:9], -1
	s_cselect_b64 s[0:1], -1, 0
.LBB489_1221:
	s_and_b64 vcc, exec, s[0:1]
	s_mov_b64 s[2:3], s[24:25]
	s_cbranch_vccnz .LBB489_1282
; %bb.1222:
	s_andn2_b64 vcc, exec, s[8:9]
	s_cbranch_vccnz .LBB489_1224
.LBB489_1223:
	global_load_ubyte v1, v[14:15], off
	s_mov_b64 s[10:11], -1
	s_waitcnt vmcnt(0)
	v_cmp_ne_u16_e32 vcc, 0, v1
	s_nop 1
	v_cndmask_b32_e64 v1, 0, 1.0, vcc
	v_lshrrev_b32_e32 v1, 16, v1
.LBB489_1224:
	s_branch .LBB489_1155
.LBB489_1225:
	s_and_b32 s8, 0xffff, s14
	s_cmp_lt_i32 s8, 5
	s_cbranch_scc1 .LBB489_1230
; %bb.1226:
	s_cmp_lt_i32 s8, 8
	s_cbranch_scc1 .LBB489_1231
; %bb.1227:
	;; [unrolled: 3-line block ×3, first 2 shown]
	s_cmp_gt_i32 s8, 9
	s_cbranch_scc0 .LBB489_1233
; %bb.1229:
	global_load_dwordx2 v[16:17], v[14:15], off
	s_movk_i32 s0, 0x7fff
	s_waitcnt vmcnt(1)
	v_mov_b32_e32 v1, 0x7fc0
	s_waitcnt vmcnt(0)
	v_cvt_f32_f64_e32 v3, v[16:17]
	v_bfe_u32 v5, v3, 16, 1
	v_cmp_o_f32_e32 vcc, v3, v3
	v_add3_u32 v3, v3, v5, s0
	s_mov_b64 s[0:1], 0
	v_cndmask_b32_sdwa v1, v1, v3, vcc dst_sel:DWORD dst_unused:UNUSED_PAD src0_sel:DWORD src1_sel:WORD_1
	s_branch .LBB489_1234
.LBB489_1230:
                                        ; implicit-def: $vgpr1
	s_branch .LBB489_1251
.LBB489_1231:
                                        ; implicit-def: $vgpr1
	s_branch .LBB489_1240
.LBB489_1232:
	s_mov_b64 s[0:1], -1
                                        ; implicit-def: $vgpr1
	s_branch .LBB489_1237
.LBB489_1233:
	s_mov_b64 s[0:1], -1
                                        ; implicit-def: $vgpr1
.LBB489_1234:
	s_andn2_b64 vcc, exec, s[0:1]
	s_cbranch_vccnz .LBB489_1236
; %bb.1235:
	global_load_dword v1, v[14:15], off
	s_movk_i32 s0, 0x7fff
	v_mov_b32_e32 v3, 0x7fc0
	s_waitcnt vmcnt(0)
	v_bfe_u32 v5, v1, 16, 1
	v_cmp_o_f32_e32 vcc, v1, v1
	v_add3_u32 v1, v1, v5, s0
	s_nop 0
	v_cndmask_b32_sdwa v1, v3, v1, vcc dst_sel:DWORD dst_unused:UNUSED_PAD src0_sel:DWORD src1_sel:WORD_1
.LBB489_1236:
	s_mov_b64 s[0:1], 0
.LBB489_1237:
	s_andn2_b64 vcc, exec, s[0:1]
	s_cbranch_vccnz .LBB489_1239
; %bb.1238:
	global_load_dword v1, v[14:15], off
	s_movk_i32 s0, 0x7fff
	v_mov_b32_e32 v5, 0x7fc0
	s_waitcnt vmcnt(0)
	v_cvt_f32_f16_e32 v3, v1
	v_cmp_o_f16_e32 vcc, v1, v1
	v_bfe_u32 v1, v3, 16, 1
	v_add3_u32 v1, v3, v1, s0
	v_cndmask_b32_sdwa v1, v5, v1, vcc dst_sel:DWORD dst_unused:UNUSED_PAD src0_sel:DWORD src1_sel:WORD_1
.LBB489_1239:
	s_cbranch_execnz .LBB489_1250
.LBB489_1240:
	s_cmp_lt_i32 s8, 6
	s_cbranch_scc1 .LBB489_1243
; %bb.1241:
	s_cmp_gt_i32 s8, 6
	s_cbranch_scc0 .LBB489_1244
; %bb.1242:
	global_load_dwordx2 v[16:17], v[14:15], off
	s_movk_i32 s0, 0x7fff
	s_waitcnt vmcnt(1)
	v_mov_b32_e32 v1, 0x7fc0
	s_waitcnt vmcnt(0)
	v_cvt_f32_f64_e32 v3, v[16:17]
	v_bfe_u32 v5, v3, 16, 1
	v_cmp_o_f32_e32 vcc, v3, v3
	v_add3_u32 v3, v3, v5, s0
	s_mov_b64 s[0:1], 0
	v_cndmask_b32_sdwa v1, v1, v3, vcc dst_sel:DWORD dst_unused:UNUSED_PAD src0_sel:DWORD src1_sel:WORD_1
	s_branch .LBB489_1245
.LBB489_1243:
	s_mov_b64 s[0:1], -1
                                        ; implicit-def: $vgpr1
	s_branch .LBB489_1248
.LBB489_1244:
	s_mov_b64 s[0:1], -1
                                        ; implicit-def: $vgpr1
.LBB489_1245:
	s_andn2_b64 vcc, exec, s[0:1]
	s_cbranch_vccnz .LBB489_1247
; %bb.1246:
	global_load_dword v1, v[14:15], off
	s_movk_i32 s0, 0x7fff
	v_mov_b32_e32 v3, 0x7fc0
	s_waitcnt vmcnt(0)
	v_bfe_u32 v5, v1, 16, 1
	v_cmp_o_f32_e32 vcc, v1, v1
	v_add3_u32 v1, v1, v5, s0
	s_nop 0
	v_cndmask_b32_sdwa v1, v3, v1, vcc dst_sel:DWORD dst_unused:UNUSED_PAD src0_sel:DWORD src1_sel:WORD_1
.LBB489_1247:
	s_mov_b64 s[0:1], 0
.LBB489_1248:
	s_andn2_b64 vcc, exec, s[0:1]
	s_cbranch_vccnz .LBB489_1250
; %bb.1249:
	global_load_ushort v1, v[14:15], off
	s_movk_i32 s0, 0x7fff
	v_mov_b32_e32 v5, 0x7fc0
	s_waitcnt vmcnt(0)
	v_cvt_f32_f16_e32 v3, v1
	v_cmp_o_f16_e32 vcc, v1, v1
	v_bfe_u32 v1, v3, 16, 1
	v_add3_u32 v1, v3, v1, s0
	v_cndmask_b32_sdwa v1, v5, v1, vcc dst_sel:DWORD dst_unused:UNUSED_PAD src0_sel:DWORD src1_sel:WORD_1
.LBB489_1250:
	s_cbranch_execnz .LBB489_1269
.LBB489_1251:
	s_cmp_lt_i32 s8, 2
	s_cbranch_scc1 .LBB489_1255
; %bb.1252:
	s_cmp_lt_i32 s8, 3
	s_cbranch_scc1 .LBB489_1256
; %bb.1253:
	s_cmp_gt_i32 s8, 3
	s_cbranch_scc0 .LBB489_1257
; %bb.1254:
	global_load_dwordx2 v[16:17], v[14:15], off
	s_movk_i32 s0, 0x7fff
	s_waitcnt vmcnt(0)
	v_xor_b32_e32 v3, v16, v17
	v_ffbh_i32_e32 v1, v17
	v_ashrrev_i32_e32 v3, 31, v3
	v_add_u32_e32 v1, -1, v1
	v_add_u32_e32 v3, 32, v3
	v_min_u32_e32 v1, v1, v3
	v_lshlrev_b64 v[16:17], v1, v[16:17]
	v_min_u32_e32 v3, 1, v16
	v_or_b32_e32 v3, v17, v3
	v_cvt_f32_i32_e32 v3, v3
	v_sub_u32_e32 v1, 32, v1
	v_ldexp_f32 v1, v3, v1
	v_bfe_u32 v3, v1, 16, 1
	v_add3_u32 v1, v1, v3, s0
	v_lshrrev_b32_e32 v1, 16, v1
	s_mov_b64 s[0:1], 0
	s_branch .LBB489_1258
.LBB489_1255:
                                        ; implicit-def: $vgpr1
	s_branch .LBB489_1264
.LBB489_1256:
	s_mov_b64 s[0:1], -1
                                        ; implicit-def: $vgpr1
	s_branch .LBB489_1261
.LBB489_1257:
	s_mov_b64 s[0:1], -1
                                        ; implicit-def: $vgpr1
.LBB489_1258:
	s_andn2_b64 vcc, exec, s[0:1]
	s_cbranch_vccnz .LBB489_1260
; %bb.1259:
	global_load_dword v1, v[14:15], off
	s_movk_i32 s0, 0x7fff
	s_waitcnt vmcnt(0)
	v_cvt_f32_i32_e32 v1, v1
	v_bfe_u32 v3, v1, 16, 1
	v_add3_u32 v1, v1, v3, s0
	v_lshrrev_b32_e32 v1, 16, v1
.LBB489_1260:
	s_mov_b64 s[0:1], 0
.LBB489_1261:
	s_andn2_b64 vcc, exec, s[0:1]
	s_cbranch_vccnz .LBB489_1263
; %bb.1262:
	global_load_sshort v1, v[14:15], off
	s_movk_i32 s0, 0x7fff
	s_waitcnt vmcnt(0)
	v_cvt_f32_i32_e32 v1, v1
	v_bfe_u32 v3, v1, 16, 1
	v_add3_u32 v1, v1, v3, s0
	v_lshrrev_b32_e32 v1, 16, v1
.LBB489_1263:
	s_cbranch_execnz .LBB489_1269
.LBB489_1264:
	s_cmp_gt_i32 s8, 0
	s_cbranch_scc0 .LBB489_1266
; %bb.1265:
	global_load_sbyte v1, v[14:15], off
	s_movk_i32 s0, 0x7fff
	s_waitcnt vmcnt(0)
	v_cvt_f32_i32_e32 v1, v1
	v_bfe_u32 v3, v1, 16, 1
	v_add3_u32 v1, v1, v3, s0
	v_lshrrev_b32_e32 v1, 16, v1
	s_mov_b64 s[0:1], 0
	s_branch .LBB489_1267
.LBB489_1266:
	s_mov_b64 s[0:1], -1
                                        ; implicit-def: $vgpr1
.LBB489_1267:
	s_andn2_b64 vcc, exec, s[0:1]
	s_cbranch_vccnz .LBB489_1269
; %bb.1268:
	global_load_ubyte v1, v[14:15], off
	s_movk_i32 s0, 0x7fff
	s_waitcnt vmcnt(0)
	v_cvt_f32_ubyte0_e32 v1, v1
	v_bfe_u32 v3, v1, 16, 1
	v_add3_u32 v1, v1, v3, s0
	v_lshrrev_b32_e32 v1, 16, v1
.LBB489_1269:
.LBB489_1270:
	v_mov_b32_e32 v13, 0
	s_and_b32 s17, 0xffff, s14
	s_cmp_lt_i32 s17, 11
	v_lshl_add_u64 v[12:13], s[6:7], 0, v[12:13]
	s_cbranch_scc1 .LBB489_1277
; %bb.1271:
	s_cmp_gt_i32 s17, 25
	s_mov_b64 s[8:9], 0
	s_cbranch_scc0 .LBB489_1279
; %bb.1272:
	s_cmp_gt_i32 s17, 28
	s_cbranch_scc0 .LBB489_1280
; %bb.1273:
	s_cmp_gt_i32 s17, 43
	;; [unrolled: 3-line block ×3, first 2 shown]
	s_cbranch_scc0 .LBB489_1283
; %bb.1275:
	s_cmp_eq_u32 s17, 46
	s_mov_b64 s[12:13], 0
	s_cbranch_scc0 .LBB489_1286
; %bb.1276:
	global_load_dword v3, v[12:13], off
	s_mov_b64 s[0:1], 0
	s_mov_b64 s[10:11], -1
	s_branch .LBB489_1287
.LBB489_1277:
	s_mov_b64 s[10:11], 0
                                        ; implicit-def: $vgpr3
	s_cbranch_execnz .LBB489_1352
.LBB489_1278:
	s_andn2_b64 vcc, exec, s[10:11]
	s_cbranch_vccnz .LBB489_2091
	s_branch .LBB489_1399
.LBB489_1279:
	s_mov_b64 s[10:11], 0
	s_mov_b64 s[0:1], 0
                                        ; implicit-def: $vgpr3
	s_cbranch_execnz .LBB489_1316
	s_branch .LBB489_1348
.LBB489_1280:
	s_mov_b64 s[12:13], -1
	s_mov_b64 s[10:11], 0
	s_mov_b64 s[0:1], 0
                                        ; implicit-def: $vgpr3
	s_branch .LBB489_1297
.LBB489_1281:
	s_mov_b64 s[12:13], -1
	s_mov_b64 s[10:11], 0
	s_mov_b64 s[0:1], 0
                                        ; implicit-def: $vgpr3
	s_branch .LBB489_1292
.LBB489_1282:
	s_or_b64 s[2:3], s[24:25], exec
	s_trap 2
	s_cbranch_execz .LBB489_1223
	s_branch .LBB489_1224
.LBB489_1283:
	s_mov_b64 s[12:13], -1
	s_mov_b64 s[10:11], 0
	s_mov_b64 s[0:1], 0
                                        ; implicit-def: $vgpr3
	s_branch .LBB489_1287
.LBB489_1284:
	s_andn2_saveexec_b64 s[14:15], s[14:15]
	s_cbranch_execz .LBB489_1015
.LBB489_1285:
	s_mov_b32 s18, 0x42800000
	v_add_f32_e64 v1, |v5|, s18
	v_and_b32_e32 v1, 0xff, v1
	v_cmp_ne_u32_e32 vcc, 0, v1
	s_andn2_b64 s[12:13], s[12:13], exec
	s_and_b64 s[18:19], vcc, exec
	s_or_b64 s[12:13], s[12:13], s[18:19]
	s_or_b64 exec, exec, s[14:15]
	v_mov_b32_e32 v6, 0
	s_and_saveexec_b64 s[14:15], s[12:13]
	s_cbranch_execnz .LBB489_1016
	s_branch .LBB489_1017
.LBB489_1286:
	s_mov_b64 s[0:1], -1
                                        ; implicit-def: $vgpr3
	s_mov_b64 s[10:11], 0
.LBB489_1287:
	s_and_b64 vcc, exec, s[12:13]
	s_cbranch_vccz .LBB489_1291
; %bb.1288:
	s_cmp_eq_u32 s17, 44
	s_cbranch_scc0 .LBB489_1290
; %bb.1289:
	global_load_ubyte v3, v[12:13], off
	s_movk_i32 s10, 0xff
	v_mov_b32_e32 v5, 0x7f800001
	v_mov_b32_e32 v7, 0x400000
	;; [unrolled: 1-line block ×3, first 2 shown]
	s_mov_b64 s[0:1], 0
	s_waitcnt vmcnt(0)
	v_lshlrev_b32_e32 v11, 23, v3
	v_cmp_ne_u32_e32 vcc, s10, v3
	s_mov_b64 s[10:11], -1
	s_nop 0
	v_cndmask_b32_e32 v5, v5, v11, vcc
	v_cmp_ne_u32_e32 vcc, 0, v3
	s_nop 1
	v_cndmask_b32_e32 v3, v7, v5, vcc
	v_add_u32_e32 v5, 0x7fff, v3
	v_cmp_o_f32_e32 vcc, v3, v3
	s_nop 1
	v_cndmask_b32_sdwa v3, v9, v5, vcc dst_sel:DWORD dst_unused:UNUSED_PAD src0_sel:DWORD src1_sel:WORD_1
	s_branch .LBB489_1291
.LBB489_1290:
	s_mov_b64 s[0:1], -1
                                        ; implicit-def: $vgpr3
.LBB489_1291:
	s_mov_b64 s[12:13], 0
.LBB489_1292:
	s_and_b64 vcc, exec, s[12:13]
	s_cbranch_vccz .LBB489_1296
; %bb.1293:
	s_cmp_eq_u32 s17, 29
	s_cbranch_scc0 .LBB489_1295
; %bb.1294:
	global_load_dwordx2 v[14:15], v[12:13], off
	s_movk_i32 s10, 0x7fff
	s_mov_b64 s[0:1], 0
	s_mov_b64 s[12:13], 0
	s_waitcnt vmcnt(0)
	v_ffbh_u32_e32 v3, v15
	v_min_u32_e32 v3, 32, v3
	v_lshlrev_b64 v[14:15], v3, v[14:15]
	v_min_u32_e32 v5, 1, v14
	v_or_b32_e32 v5, v15, v5
	v_cvt_f32_u32_e32 v5, v5
	v_sub_u32_e32 v3, 32, v3
	v_ldexp_f32 v3, v5, v3
	v_bfe_u32 v5, v3, 16, 1
	v_add3_u32 v3, v3, v5, s10
	v_lshrrev_b32_e32 v3, 16, v3
	s_mov_b64 s[10:11], -1
	s_branch .LBB489_1297
.LBB489_1295:
	s_mov_b64 s[0:1], -1
                                        ; implicit-def: $vgpr3
.LBB489_1296:
	s_mov_b64 s[12:13], 0
.LBB489_1297:
	s_and_b64 vcc, exec, s[12:13]
	s_cbranch_vccz .LBB489_1315
; %bb.1298:
	s_cmp_lt_i32 s17, 27
	s_cbranch_scc1 .LBB489_1301
; %bb.1299:
	s_cmp_gt_i32 s17, 27
	s_cbranch_scc0 .LBB489_1302
; %bb.1300:
	global_load_dword v3, v[12:13], off
	s_movk_i32 s10, 0x7fff
	s_waitcnt vmcnt(0)
	v_cvt_f32_u32_e32 v3, v3
	v_bfe_u32 v5, v3, 16, 1
	v_add3_u32 v3, v3, v5, s10
	v_lshrrev_b32_e32 v3, 16, v3
	s_mov_b64 s[10:11], 0
	s_branch .LBB489_1303
.LBB489_1301:
	s_mov_b64 s[10:11], -1
                                        ; implicit-def: $vgpr3
	s_branch .LBB489_1306
.LBB489_1302:
	s_mov_b64 s[10:11], -1
                                        ; implicit-def: $vgpr3
.LBB489_1303:
	s_andn2_b64 vcc, exec, s[10:11]
	s_cbranch_vccnz .LBB489_1305
; %bb.1304:
	global_load_ushort v3, v[12:13], off
	s_movk_i32 s10, 0x7fff
	s_waitcnt vmcnt(0)
	v_cvt_f32_u32_e32 v3, v3
	v_bfe_u32 v5, v3, 16, 1
	v_add3_u32 v3, v3, v5, s10
	v_lshrrev_b32_e32 v3, 16, v3
.LBB489_1305:
	s_mov_b64 s[10:11], 0
.LBB489_1306:
	s_andn2_b64 vcc, exec, s[10:11]
	s_cbranch_vccnz .LBB489_1314
; %bb.1307:
	global_load_ubyte v3, v[12:13], off
	s_movk_i32 s10, 0x7f
	s_waitcnt vmcnt(0)
	v_cmp_lt_i16_e32 vcc, s10, v3
	s_mov_b64 s[10:11], 0
	s_and_saveexec_b64 s[12:13], vcc
	s_xor_b64 s[12:13], exec, s[12:13]
	s_cbranch_execz .LBB489_1327
; %bb.1308:
	s_movk_i32 s10, 0x80
	v_cmp_eq_u16_e32 vcc, s10, v3
	s_mov_b64 s[10:11], -1
	s_and_saveexec_b64 s[14:15], vcc
; %bb.1309:
	s_xor_b64 s[10:11], exec, -1
; %bb.1310:
	s_or_b64 exec, exec, s[14:15]
	s_and_b64 s[10:11], s[10:11], exec
	s_or_saveexec_b64 s[12:13], s[12:13]
	v_mov_b32_e32 v5, 0x7f800001
	s_xor_b64 exec, exec, s[12:13]
	s_cbranch_execnz .LBB489_1328
.LBB489_1311:
	s_or_b64 exec, exec, s[12:13]
	s_and_saveexec_b64 s[12:13], s[10:11]
	s_cbranch_execz .LBB489_1313
.LBB489_1312:
	v_lshlrev_b32_e32 v5, 24, v3
	v_and_b32_e32 v3, 0xffff, v3
	v_and_b32_e32 v7, 7, v3
	v_ffbh_u32_e32 v11, v7
	v_min_u32_e32 v11, 32, v11
	v_subrev_u32_e32 v14, 28, v11
	v_bfe_u32 v9, v3, 3, 4
	v_lshlrev_b32_e32 v3, v14, v3
	v_sub_u32_e32 v11, 29, v11
	v_and_b32_e32 v3, 7, v3
	v_cmp_eq_u32_e32 vcc, 0, v9
	v_and_b32_e32 v5, 0x80000000, v5
	s_nop 0
	v_cndmask_b32_e32 v9, v9, v11, vcc
	v_cndmask_b32_e32 v3, v7, v3, vcc
	v_mov_b32_e32 v7, 0x3b800000
	v_lshlrev_b32_e32 v3, 20, v3
	v_lshl_add_u32 v7, v9, 23, v7
	v_or3_b32 v5, v5, v7, v3
.LBB489_1313:
	s_or_b64 exec, exec, s[12:13]
	v_bfe_u32 v3, v5, 16, 1
	s_movk_i32 s10, 0x7fff
	v_add3_u32 v3, v5, v3, s10
	v_cmp_o_f32_e32 vcc, v5, v5
	v_mov_b32_e32 v5, 0x7fc0
	s_nop 0
	v_cndmask_b32_sdwa v3, v5, v3, vcc dst_sel:DWORD dst_unused:UNUSED_PAD src0_sel:DWORD src1_sel:WORD_1
.LBB489_1314:
	s_mov_b64 s[10:11], -1
.LBB489_1315:
	s_branch .LBB489_1348
.LBB489_1316:
	s_cmp_gt_i32 s17, 22
	s_cbranch_scc0 .LBB489_1326
; %bb.1317:
	s_cmp_lt_i32 s17, 24
	s_cbranch_scc1 .LBB489_1329
; %bb.1318:
	s_cmp_gt_i32 s17, 24
	s_cbranch_scc0 .LBB489_1330
; %bb.1319:
	global_load_ubyte v3, v[12:13], off
	s_movk_i32 s8, 0x7f
	s_waitcnt vmcnt(0)
	v_cmp_lt_i16_e32 vcc, s8, v3
	s_mov_b64 s[8:9], 0
	s_and_saveexec_b64 s[10:11], vcc
	s_xor_b64 s[10:11], exec, s[10:11]
	s_cbranch_execz .LBB489_1342
; %bb.1320:
	s_movk_i32 s8, 0x80
	v_cmp_eq_u16_e32 vcc, s8, v3
	s_mov_b64 s[8:9], -1
	s_and_saveexec_b64 s[12:13], vcc
; %bb.1321:
	s_xor_b64 s[8:9], exec, -1
; %bb.1322:
	s_or_b64 exec, exec, s[12:13]
	s_and_b64 s[8:9], s[8:9], exec
	s_or_saveexec_b64 s[10:11], s[10:11]
	v_mov_b32_e32 v5, 0x7f800001
	s_xor_b64 exec, exec, s[10:11]
	s_cbranch_execnz .LBB489_1343
.LBB489_1323:
	s_or_b64 exec, exec, s[10:11]
	s_and_saveexec_b64 s[10:11], s[8:9]
	s_cbranch_execz .LBB489_1325
.LBB489_1324:
	v_lshlrev_b32_e32 v5, 24, v3
	v_and_b32_e32 v3, 0xffff, v3
	v_and_b32_e32 v7, 3, v3
	v_ffbh_u32_e32 v11, v7
	v_min_u32_e32 v11, 32, v11
	v_subrev_u32_e32 v14, 29, v11
	v_bfe_u32 v9, v3, 2, 5
	v_lshlrev_b32_e32 v3, v14, v3
	v_sub_u32_e32 v11, 30, v11
	v_and_b32_e32 v3, 3, v3
	v_cmp_eq_u32_e32 vcc, 0, v9
	v_and_b32_e32 v5, 0x80000000, v5
	s_nop 0
	v_cndmask_b32_e32 v9, v9, v11, vcc
	v_cndmask_b32_e32 v3, v7, v3, vcc
	v_mov_b32_e32 v7, 0x37800000
	v_lshlrev_b32_e32 v3, 21, v3
	v_lshl_add_u32 v7, v9, 23, v7
	v_or3_b32 v5, v5, v7, v3
.LBB489_1325:
	s_or_b64 exec, exec, s[10:11]
	v_bfe_u32 v3, v5, 16, 1
	s_movk_i32 s8, 0x7fff
	v_add3_u32 v3, v5, v3, s8
	v_cmp_o_f32_e32 vcc, v5, v5
	v_mov_b32_e32 v5, 0x7fc0
	s_mov_b64 s[8:9], 0
	v_cndmask_b32_sdwa v3, v5, v3, vcc dst_sel:DWORD dst_unused:UNUSED_PAD src0_sel:DWORD src1_sel:WORD_1
	s_branch .LBB489_1331
.LBB489_1326:
	s_mov_b64 s[8:9], -1
                                        ; implicit-def: $vgpr3
	s_branch .LBB489_1337
.LBB489_1327:
	s_or_saveexec_b64 s[12:13], s[12:13]
	v_mov_b32_e32 v5, 0x7f800001
	s_xor_b64 exec, exec, s[12:13]
	s_cbranch_execz .LBB489_1311
.LBB489_1328:
	v_cmp_ne_u16_e32 vcc, 0, v3
	s_andn2_b64 s[10:11], s[10:11], exec
	s_and_b64 s[14:15], vcc, exec
	v_mov_b32_e32 v5, 0
	s_or_b64 s[10:11], s[10:11], s[14:15]
	s_or_b64 exec, exec, s[12:13]
	s_and_saveexec_b64 s[12:13], s[10:11]
	s_cbranch_execnz .LBB489_1312
	s_branch .LBB489_1313
.LBB489_1329:
	s_mov_b64 s[8:9], -1
                                        ; implicit-def: $vgpr3
	s_branch .LBB489_1334
.LBB489_1330:
	s_mov_b64 s[8:9], -1
                                        ; implicit-def: $vgpr3
.LBB489_1331:
	s_and_b64 vcc, exec, s[8:9]
	s_cbranch_vccz .LBB489_1333
; %bb.1332:
	global_load_ubyte v3, v[12:13], off
	s_mov_b32 s8, 0x7f800000
	s_brev_b32 s9, 1
	s_movk_i32 s10, 0x7fff
	s_waitcnt vmcnt(0)
	v_lshlrev_b32_e32 v3, 24, v3
	v_and_b32_e32 v5, 0x7f000000, v3
	v_ffbh_u32_e32 v7, v5
	v_min_u32_e32 v7, 32, v7
	v_sub_u32_e64 v7, v7, 4 clamp
	v_lshlrev_b32_e32 v11, v7, v5
	v_lshlrev_b32_e32 v7, 23, v7
	v_lshrrev_b32_e32 v11, 4, v11
	v_add_u32_e32 v9, 0x1000000, v5
	v_sub_u32_e32 v7, v11, v7
	v_ashrrev_i32_e32 v9, 8, v9
	v_add_u32_e32 v7, 0x3c000000, v7
	v_and_or_b32 v7, v9, s8, v7
	v_cmp_ne_u32_e32 vcc, 0, v5
	s_nop 1
	v_cndmask_b32_e32 v5, 0, v7, vcc
	v_and_or_b32 v3, v3, s9, v5
	v_bfe_u32 v5, v5, 16, 1
	v_add3_u32 v5, v3, v5, s10
	v_cmp_o_f32_e32 vcc, v3, v3
	v_mov_b32_e32 v3, 0x7fc0
	s_nop 0
	v_cndmask_b32_sdwa v3, v3, v5, vcc dst_sel:DWORD dst_unused:UNUSED_PAD src0_sel:DWORD src1_sel:WORD_1
.LBB489_1333:
	s_mov_b64 s[8:9], 0
.LBB489_1334:
	s_andn2_b64 vcc, exec, s[8:9]
	s_cbranch_vccnz .LBB489_1336
; %bb.1335:
	global_load_ubyte v3, v[12:13], off
	s_movk_i32 s8, 0x7f00
	s_brev_b32 s9, 16
	s_brev_b32 s10, 1
	s_movk_i32 s11, 0x7fff
	s_waitcnt vmcnt(0)
	v_lshlrev_b16_e32 v5, 8, v3
	v_lshlrev_b32_e32 v3, 25, v3
	v_lshrrev_b32_e32 v7, 4, v3
	v_and_or_b32 v9, v5, s8, 0.5
	v_or_b32_e32 v7, 0x70000000, v7
	v_add_f32_e32 v9, -0.5, v9
	v_mul_f32_e32 v7, 0x7800000, v7
	v_cmp_gt_u32_e32 vcc, s9, v3
	v_bfe_i32 v5, v5, 0, 16
	s_nop 0
	v_cndmask_b32_e32 v3, v7, v9, vcc
	v_and_or_b32 v5, v5, s10, v3
	v_bfe_u32 v3, v3, 16, 1
	v_add3_u32 v3, v5, v3, s11
	v_cmp_o_f32_e32 vcc, v5, v5
	v_mov_b32_e32 v5, 0x7fc0
	s_nop 0
	v_cndmask_b32_sdwa v3, v5, v3, vcc dst_sel:DWORD dst_unused:UNUSED_PAD src0_sel:DWORD src1_sel:WORD_1
.LBB489_1336:
	s_mov_b64 s[8:9], 0
	s_mov_b64 s[10:11], -1
.LBB489_1337:
	s_andn2_b64 vcc, exec, s[8:9]
	s_mov_b64 s[8:9], 0
	s_cbranch_vccnz .LBB489_1348
; %bb.1338:
	s_cmp_gt_i32 s17, 14
	s_cbranch_scc0 .LBB489_1341
; %bb.1339:
	s_cmp_eq_u32 s17, 15
	s_cbranch_scc0 .LBB489_1344
; %bb.1340:
	global_load_ushort v3, v[12:13], off
	s_mov_b64 s[0:1], 0
	s_mov_b64 s[10:11], -1
	s_branch .LBB489_1345
.LBB489_1341:
	s_mov_b64 s[12:13], -1
                                        ; implicit-def: $vgpr3
	s_branch .LBB489_1346
.LBB489_1342:
	s_or_saveexec_b64 s[10:11], s[10:11]
	v_mov_b32_e32 v5, 0x7f800001
	s_xor_b64 exec, exec, s[10:11]
	s_cbranch_execz .LBB489_1323
.LBB489_1343:
	v_cmp_ne_u16_e32 vcc, 0, v3
	s_andn2_b64 s[8:9], s[8:9], exec
	s_and_b64 s[12:13], vcc, exec
	v_mov_b32_e32 v5, 0
	s_or_b64 s[8:9], s[8:9], s[12:13]
	s_or_b64 exec, exec, s[10:11]
	s_and_saveexec_b64 s[10:11], s[8:9]
	s_cbranch_execnz .LBB489_1324
	s_branch .LBB489_1325
.LBB489_1344:
	s_mov_b64 s[0:1], -1
                                        ; implicit-def: $vgpr3
.LBB489_1345:
	s_mov_b64 s[12:13], 0
.LBB489_1346:
	s_and_b64 vcc, exec, s[12:13]
	s_cbranch_vccz .LBB489_1348
; %bb.1347:
	s_cmp_lg_u32 s17, 11
	s_mov_b64 s[8:9], -1
	s_cselect_b64 s[0:1], -1, 0
.LBB489_1348:
	s_and_b64 vcc, exec, s[0:1]
	s_cbranch_vccnz .LBB489_1411
; %bb.1349:
	s_andn2_b64 vcc, exec, s[8:9]
	s_cbranch_vccnz .LBB489_1351
.LBB489_1350:
	global_load_ubyte v3, v[12:13], off
	s_mov_b64 s[10:11], -1
	s_waitcnt vmcnt(0)
	v_cmp_ne_u16_e32 vcc, 0, v3
	s_nop 1
	v_cndmask_b32_e64 v3, 0, 1.0, vcc
	v_lshrrev_b32_e32 v3, 16, v3
.LBB489_1351:
	s_branch .LBB489_1278
.LBB489_1352:
	s_cmp_lt_i32 s17, 5
	s_cbranch_scc1 .LBB489_1357
; %bb.1353:
	s_cmp_lt_i32 s17, 8
	s_cbranch_scc1 .LBB489_1358
; %bb.1354:
	;; [unrolled: 3-line block ×3, first 2 shown]
	s_cmp_gt_i32 s17, 9
	s_cbranch_scc0 .LBB489_1360
; %bb.1356:
	global_load_dwordx2 v[14:15], v[12:13], off
	s_movk_i32 s0, 0x7fff
	s_waitcnt vmcnt(1)
	v_mov_b32_e32 v3, 0x7fc0
	s_waitcnt vmcnt(0)
	v_cvt_f32_f64_e32 v5, v[14:15]
	v_bfe_u32 v7, v5, 16, 1
	v_cmp_o_f32_e32 vcc, v5, v5
	v_add3_u32 v5, v5, v7, s0
	s_mov_b64 s[0:1], 0
	v_cndmask_b32_sdwa v3, v3, v5, vcc dst_sel:DWORD dst_unused:UNUSED_PAD src0_sel:DWORD src1_sel:WORD_1
	s_branch .LBB489_1361
.LBB489_1357:
                                        ; implicit-def: $vgpr3
	s_branch .LBB489_1379
.LBB489_1358:
	s_mov_b64 s[0:1], -1
                                        ; implicit-def: $vgpr3
	s_branch .LBB489_1367
.LBB489_1359:
	s_mov_b64 s[0:1], -1
                                        ; implicit-def: $vgpr3
	s_branch .LBB489_1364
.LBB489_1360:
	s_mov_b64 s[0:1], -1
                                        ; implicit-def: $vgpr3
.LBB489_1361:
	s_andn2_b64 vcc, exec, s[0:1]
	s_cbranch_vccnz .LBB489_1363
; %bb.1362:
	global_load_dword v3, v[12:13], off
	s_movk_i32 s0, 0x7fff
	v_mov_b32_e32 v5, 0x7fc0
	s_waitcnt vmcnt(0)
	v_bfe_u32 v7, v3, 16, 1
	v_cmp_o_f32_e32 vcc, v3, v3
	v_add3_u32 v3, v3, v7, s0
	s_nop 0
	v_cndmask_b32_sdwa v3, v5, v3, vcc dst_sel:DWORD dst_unused:UNUSED_PAD src0_sel:DWORD src1_sel:WORD_1
.LBB489_1363:
	s_mov_b64 s[0:1], 0
.LBB489_1364:
	s_andn2_b64 vcc, exec, s[0:1]
	s_cbranch_vccnz .LBB489_1366
; %bb.1365:
	global_load_dword v3, v[12:13], off
	s_movk_i32 s0, 0x7fff
	v_mov_b32_e32 v7, 0x7fc0
	s_waitcnt vmcnt(0)
	v_cvt_f32_f16_e32 v5, v3
	v_cmp_o_f16_e32 vcc, v3, v3
	v_bfe_u32 v3, v5, 16, 1
	v_add3_u32 v3, v5, v3, s0
	v_cndmask_b32_sdwa v3, v7, v3, vcc dst_sel:DWORD dst_unused:UNUSED_PAD src0_sel:DWORD src1_sel:WORD_1
.LBB489_1366:
	s_mov_b64 s[0:1], 0
.LBB489_1367:
	s_andn2_b64 vcc, exec, s[0:1]
	s_cbranch_vccnz .LBB489_1378
; %bb.1368:
	s_cmp_lt_i32 s17, 6
	s_cbranch_scc1 .LBB489_1371
; %bb.1369:
	s_cmp_gt_i32 s17, 6
	s_cbranch_scc0 .LBB489_1372
; %bb.1370:
	global_load_dwordx2 v[14:15], v[12:13], off
	s_movk_i32 s0, 0x7fff
	s_waitcnt vmcnt(1)
	v_mov_b32_e32 v3, 0x7fc0
	s_waitcnt vmcnt(0)
	v_cvt_f32_f64_e32 v5, v[14:15]
	v_bfe_u32 v7, v5, 16, 1
	v_cmp_o_f32_e32 vcc, v5, v5
	v_add3_u32 v5, v5, v7, s0
	s_mov_b64 s[0:1], 0
	v_cndmask_b32_sdwa v3, v3, v5, vcc dst_sel:DWORD dst_unused:UNUSED_PAD src0_sel:DWORD src1_sel:WORD_1
	s_branch .LBB489_1373
.LBB489_1371:
	s_mov_b64 s[0:1], -1
                                        ; implicit-def: $vgpr3
	s_branch .LBB489_1376
.LBB489_1372:
	s_mov_b64 s[0:1], -1
                                        ; implicit-def: $vgpr3
.LBB489_1373:
	s_andn2_b64 vcc, exec, s[0:1]
	s_cbranch_vccnz .LBB489_1375
; %bb.1374:
	global_load_dword v3, v[12:13], off
	s_movk_i32 s0, 0x7fff
	v_mov_b32_e32 v5, 0x7fc0
	s_waitcnt vmcnt(0)
	v_bfe_u32 v7, v3, 16, 1
	v_cmp_o_f32_e32 vcc, v3, v3
	v_add3_u32 v3, v3, v7, s0
	s_nop 0
	v_cndmask_b32_sdwa v3, v5, v3, vcc dst_sel:DWORD dst_unused:UNUSED_PAD src0_sel:DWORD src1_sel:WORD_1
.LBB489_1375:
	s_mov_b64 s[0:1], 0
.LBB489_1376:
	s_andn2_b64 vcc, exec, s[0:1]
	s_cbranch_vccnz .LBB489_1378
; %bb.1377:
	global_load_ushort v3, v[12:13], off
	s_movk_i32 s0, 0x7fff
	v_mov_b32_e32 v7, 0x7fc0
	s_waitcnt vmcnt(0)
	v_cvt_f32_f16_e32 v5, v3
	v_cmp_o_f16_e32 vcc, v3, v3
	v_bfe_u32 v3, v5, 16, 1
	v_add3_u32 v3, v5, v3, s0
	v_cndmask_b32_sdwa v3, v7, v3, vcc dst_sel:DWORD dst_unused:UNUSED_PAD src0_sel:DWORD src1_sel:WORD_1
.LBB489_1378:
	s_cbranch_execnz .LBB489_1398
.LBB489_1379:
	s_cmp_lt_i32 s17, 2
	s_cbranch_scc1 .LBB489_1383
; %bb.1380:
	s_cmp_lt_i32 s17, 3
	s_cbranch_scc1 .LBB489_1384
; %bb.1381:
	s_cmp_gt_i32 s17, 3
	s_cbranch_scc0 .LBB489_1385
; %bb.1382:
	global_load_dwordx2 v[14:15], v[12:13], off
	s_movk_i32 s0, 0x7fff
	s_waitcnt vmcnt(0)
	v_xor_b32_e32 v5, v14, v15
	v_ffbh_i32_e32 v3, v15
	v_ashrrev_i32_e32 v5, 31, v5
	v_add_u32_e32 v3, -1, v3
	v_add_u32_e32 v5, 32, v5
	v_min_u32_e32 v3, v3, v5
	v_lshlrev_b64 v[14:15], v3, v[14:15]
	v_min_u32_e32 v5, 1, v14
	v_or_b32_e32 v5, v15, v5
	v_cvt_f32_i32_e32 v5, v5
	v_sub_u32_e32 v3, 32, v3
	v_ldexp_f32 v3, v5, v3
	v_bfe_u32 v5, v3, 16, 1
	v_add3_u32 v3, v3, v5, s0
	v_lshrrev_b32_e32 v3, 16, v3
	s_mov_b64 s[0:1], 0
	s_branch .LBB489_1386
.LBB489_1383:
	s_mov_b64 s[0:1], -1
                                        ; implicit-def: $vgpr3
	s_branch .LBB489_1392
.LBB489_1384:
	s_mov_b64 s[0:1], -1
                                        ; implicit-def: $vgpr3
	s_branch .LBB489_1389
.LBB489_1385:
	s_mov_b64 s[0:1], -1
                                        ; implicit-def: $vgpr3
.LBB489_1386:
	s_andn2_b64 vcc, exec, s[0:1]
	s_cbranch_vccnz .LBB489_1388
; %bb.1387:
	global_load_dword v3, v[12:13], off
	s_movk_i32 s0, 0x7fff
	s_waitcnt vmcnt(0)
	v_cvt_f32_i32_e32 v3, v3
	v_bfe_u32 v5, v3, 16, 1
	v_add3_u32 v3, v3, v5, s0
	v_lshrrev_b32_e32 v3, 16, v3
.LBB489_1388:
	s_mov_b64 s[0:1], 0
.LBB489_1389:
	s_andn2_b64 vcc, exec, s[0:1]
	s_cbranch_vccnz .LBB489_1391
; %bb.1390:
	global_load_sshort v3, v[12:13], off
	s_movk_i32 s0, 0x7fff
	s_waitcnt vmcnt(0)
	v_cvt_f32_i32_e32 v3, v3
	v_bfe_u32 v5, v3, 16, 1
	v_add3_u32 v3, v3, v5, s0
	v_lshrrev_b32_e32 v3, 16, v3
.LBB489_1391:
	s_mov_b64 s[0:1], 0
.LBB489_1392:
	s_andn2_b64 vcc, exec, s[0:1]
	s_cbranch_vccnz .LBB489_1398
; %bb.1393:
	s_cmp_gt_i32 s17, 0
	s_cbranch_scc0 .LBB489_1395
; %bb.1394:
	global_load_sbyte v3, v[12:13], off
	s_movk_i32 s0, 0x7fff
	s_waitcnt vmcnt(0)
	v_cvt_f32_i32_e32 v3, v3
	v_bfe_u32 v5, v3, 16, 1
	v_add3_u32 v3, v3, v5, s0
	v_lshrrev_b32_e32 v3, 16, v3
	s_mov_b64 s[0:1], 0
	s_branch .LBB489_1396
.LBB489_1395:
	s_mov_b64 s[0:1], -1
                                        ; implicit-def: $vgpr3
.LBB489_1396:
	s_andn2_b64 vcc, exec, s[0:1]
	s_cbranch_vccnz .LBB489_1398
; %bb.1397:
	global_load_ubyte v3, v[12:13], off
	s_movk_i32 s0, 0x7fff
	s_waitcnt vmcnt(0)
	v_cvt_f32_ubyte0_e32 v3, v3
	v_bfe_u32 v5, v3, 16, 1
	v_add3_u32 v3, v3, v5, s0
	v_lshrrev_b32_e32 v3, 16, v3
.LBB489_1398:
.LBB489_1399:
	v_mov_b32_e32 v11, 0
	s_cmp_lt_i32 s17, 11
	v_lshl_add_u64 v[10:11], s[6:7], 0, v[10:11]
	s_cbranch_scc1 .LBB489_1406
; %bb.1400:
	s_cmp_gt_i32 s17, 25
	s_mov_b64 s[8:9], 0
	s_cbranch_scc0 .LBB489_1408
; %bb.1401:
	s_cmp_gt_i32 s17, 28
	s_cbranch_scc0 .LBB489_1409
; %bb.1402:
	s_cmp_gt_i32 s17, 43
	;; [unrolled: 3-line block ×3, first 2 shown]
	s_cbranch_scc0 .LBB489_1412
; %bb.1404:
	s_cmp_eq_u32 s17, 46
	s_mov_b64 s[12:13], 0
	s_cbranch_scc0 .LBB489_1413
; %bb.1405:
	global_load_dword v12, v[10:11], off
	s_mov_b64 s[0:1], 0
	s_mov_b64 s[10:11], -1
	s_branch .LBB489_1414
.LBB489_1406:
	s_mov_b64 s[10:11], 0
                                        ; implicit-def: $vgpr12
	s_cbranch_execnz .LBB489_1480
.LBB489_1407:
	s_andn2_b64 vcc, exec, s[10:11]
	s_cbranch_vccnz .LBB489_2091
	s_branch .LBB489_1528
.LBB489_1408:
	s_mov_b64 s[12:13], -1
	s_mov_b64 s[10:11], 0
	s_mov_b64 s[0:1], 0
                                        ; implicit-def: $vgpr12
	s_branch .LBB489_1443
.LBB489_1409:
	s_mov_b64 s[12:13], -1
	s_mov_b64 s[10:11], 0
	s_mov_b64 s[0:1], 0
                                        ; implicit-def: $vgpr12
	s_branch .LBB489_1424
.LBB489_1410:
	s_mov_b64 s[12:13], -1
	s_mov_b64 s[10:11], 0
	s_mov_b64 s[0:1], 0
                                        ; implicit-def: $vgpr12
	s_branch .LBB489_1419
.LBB489_1411:
	s_trap 2
	s_or_b64 s[2:3], s[2:3], exec
	s_cbranch_execz .LBB489_1350
	s_branch .LBB489_1351
.LBB489_1412:
	s_mov_b64 s[12:13], -1
	s_mov_b64 s[10:11], 0
	s_mov_b64 s[0:1], 0
                                        ; implicit-def: $vgpr12
	s_branch .LBB489_1414
.LBB489_1413:
	s_mov_b64 s[0:1], -1
                                        ; implicit-def: $vgpr12
	s_mov_b64 s[10:11], 0
.LBB489_1414:
	s_and_b64 vcc, exec, s[12:13]
	s_cbranch_vccz .LBB489_1418
; %bb.1415:
	s_cmp_eq_u32 s17, 44
	s_cbranch_scc0 .LBB489_1417
; %bb.1416:
	global_load_ubyte v5, v[10:11], off
	s_movk_i32 s10, 0xff
	v_mov_b32_e32 v7, 0x7f800001
	v_mov_b32_e32 v9, 0x400000
	s_waitcnt vmcnt(1)
	v_mov_b32_e32 v12, 0x7fc0
	s_mov_b64 s[0:1], 0
	s_waitcnt vmcnt(0)
	v_lshlrev_b32_e32 v13, 23, v5
	v_cmp_ne_u32_e32 vcc, s10, v5
	s_mov_b64 s[10:11], -1
	s_nop 0
	v_cndmask_b32_e32 v7, v7, v13, vcc
	v_cmp_ne_u32_e32 vcc, 0, v5
	s_nop 1
	v_cndmask_b32_e32 v5, v9, v7, vcc
	v_add_u32_e32 v7, 0x7fff, v5
	v_cmp_o_f32_e32 vcc, v5, v5
	s_nop 1
	v_cndmask_b32_sdwa v12, v12, v7, vcc dst_sel:DWORD dst_unused:UNUSED_PAD src0_sel:DWORD src1_sel:WORD_1
	s_branch .LBB489_1418
.LBB489_1417:
	s_mov_b64 s[0:1], -1
                                        ; implicit-def: $vgpr12
.LBB489_1418:
	s_mov_b64 s[12:13], 0
.LBB489_1419:
	s_and_b64 vcc, exec, s[12:13]
	s_cbranch_vccz .LBB489_1423
; %bb.1420:
	s_cmp_eq_u32 s17, 29
	s_cbranch_scc0 .LBB489_1422
; %bb.1421:
	global_load_dwordx2 v[12:13], v[10:11], off
	s_movk_i32 s10, 0x7fff
	s_mov_b64 s[0:1], 0
	s_mov_b64 s[12:13], 0
	s_waitcnt vmcnt(0)
	v_ffbh_u32_e32 v5, v13
	v_min_u32_e32 v5, 32, v5
	v_lshlrev_b64 v[12:13], v5, v[12:13]
	v_min_u32_e32 v7, 1, v12
	v_or_b32_e32 v7, v13, v7
	v_cvt_f32_u32_e32 v7, v7
	v_sub_u32_e32 v5, 32, v5
	v_ldexp_f32 v5, v7, v5
	v_bfe_u32 v7, v5, 16, 1
	v_add3_u32 v5, v5, v7, s10
	v_lshrrev_b32_e32 v12, 16, v5
	s_mov_b64 s[10:11], -1
	s_branch .LBB489_1424
.LBB489_1422:
	s_mov_b64 s[0:1], -1
                                        ; implicit-def: $vgpr12
.LBB489_1423:
	s_mov_b64 s[12:13], 0
.LBB489_1424:
	s_and_b64 vcc, exec, s[12:13]
	s_cbranch_vccz .LBB489_1442
; %bb.1425:
	s_cmp_lt_i32 s17, 27
	s_cbranch_scc1 .LBB489_1428
; %bb.1426:
	s_cmp_gt_i32 s17, 27
	s_cbranch_scc0 .LBB489_1429
; %bb.1427:
	global_load_dword v5, v[10:11], off
	s_movk_i32 s10, 0x7fff
	s_waitcnt vmcnt(0)
	v_cvt_f32_u32_e32 v5, v5
	v_bfe_u32 v7, v5, 16, 1
	v_add3_u32 v5, v5, v7, s10
	v_lshrrev_b32_e32 v12, 16, v5
	s_mov_b64 s[10:11], 0
	s_branch .LBB489_1430
.LBB489_1428:
	s_mov_b64 s[10:11], -1
                                        ; implicit-def: $vgpr12
	s_branch .LBB489_1433
.LBB489_1429:
	s_mov_b64 s[10:11], -1
                                        ; implicit-def: $vgpr12
.LBB489_1430:
	s_andn2_b64 vcc, exec, s[10:11]
	s_cbranch_vccnz .LBB489_1432
; %bb.1431:
	global_load_ushort v5, v[10:11], off
	s_movk_i32 s10, 0x7fff
	s_waitcnt vmcnt(0)
	v_cvt_f32_u32_e32 v5, v5
	v_bfe_u32 v7, v5, 16, 1
	v_add3_u32 v5, v5, v7, s10
	v_lshrrev_b32_e32 v12, 16, v5
.LBB489_1432:
	s_mov_b64 s[10:11], 0
.LBB489_1433:
	s_andn2_b64 vcc, exec, s[10:11]
	s_cbranch_vccnz .LBB489_1441
; %bb.1434:
	global_load_ubyte v5, v[10:11], off
	s_movk_i32 s10, 0x7f
	s_waitcnt vmcnt(0)
	v_cmp_lt_i16_e32 vcc, s10, v5
	s_mov_b64 s[10:11], 0
	s_and_saveexec_b64 s[12:13], vcc
	s_xor_b64 s[12:13], exec, s[12:13]
	s_cbranch_execz .LBB489_1455
; %bb.1435:
	s_movk_i32 s10, 0x80
	v_cmp_eq_u16_e32 vcc, s10, v5
	s_mov_b64 s[10:11], -1
	s_and_saveexec_b64 s[14:15], vcc
; %bb.1436:
	s_xor_b64 s[10:11], exec, -1
; %bb.1437:
	s_or_b64 exec, exec, s[14:15]
	s_and_b64 s[10:11], s[10:11], exec
	s_or_saveexec_b64 s[12:13], s[12:13]
	v_mov_b32_e32 v7, 0x7f800001
	s_xor_b64 exec, exec, s[12:13]
	s_cbranch_execnz .LBB489_1456
.LBB489_1438:
	s_or_b64 exec, exec, s[12:13]
	s_and_saveexec_b64 s[12:13], s[10:11]
	s_cbranch_execz .LBB489_1440
.LBB489_1439:
	v_lshlrev_b32_e32 v7, 24, v5
	v_and_b32_e32 v5, 0xffff, v5
	v_and_b32_e32 v9, 7, v5
	v_ffbh_u32_e32 v13, v9
	v_min_u32_e32 v13, 32, v13
	v_subrev_u32_e32 v14, 28, v13
	v_bfe_u32 v12, v5, 3, 4
	v_lshlrev_b32_e32 v5, v14, v5
	v_sub_u32_e32 v13, 29, v13
	v_and_b32_e32 v5, 7, v5
	v_cmp_eq_u32_e32 vcc, 0, v12
	v_and_b32_e32 v7, 0x80000000, v7
	s_nop 0
	v_cndmask_b32_e32 v12, v12, v13, vcc
	v_cndmask_b32_e32 v5, v9, v5, vcc
	v_mov_b32_e32 v9, 0x3b800000
	v_lshlrev_b32_e32 v5, 20, v5
	v_lshl_add_u32 v9, v12, 23, v9
	v_or3_b32 v7, v7, v9, v5
.LBB489_1440:
	s_or_b64 exec, exec, s[12:13]
	v_bfe_u32 v5, v7, 16, 1
	s_movk_i32 s10, 0x7fff
	v_add3_u32 v5, v7, v5, s10
	v_cmp_o_f32_e32 vcc, v7, v7
	v_mov_b32_e32 v7, 0x7fc0
	s_nop 0
	v_cndmask_b32_sdwa v12, v7, v5, vcc dst_sel:DWORD dst_unused:UNUSED_PAD src0_sel:DWORD src1_sel:WORD_1
.LBB489_1441:
	s_mov_b64 s[10:11], -1
.LBB489_1442:
	s_mov_b64 s[12:13], 0
.LBB489_1443:
	s_and_b64 vcc, exec, s[12:13]
	s_cbranch_vccz .LBB489_1476
; %bb.1444:
	s_cmp_gt_i32 s17, 22
	s_cbranch_scc0 .LBB489_1454
; %bb.1445:
	s_cmp_lt_i32 s17, 24
	s_cbranch_scc1 .LBB489_1457
; %bb.1446:
	s_cmp_gt_i32 s17, 24
	s_cbranch_scc0 .LBB489_1458
; %bb.1447:
	global_load_ubyte v5, v[10:11], off
	s_movk_i32 s8, 0x7f
	s_waitcnt vmcnt(0)
	v_cmp_lt_i16_e32 vcc, s8, v5
	s_mov_b64 s[8:9], 0
	s_and_saveexec_b64 s[10:11], vcc
	s_xor_b64 s[10:11], exec, s[10:11]
	s_cbranch_execz .LBB489_1470
; %bb.1448:
	s_movk_i32 s8, 0x80
	v_cmp_eq_u16_e32 vcc, s8, v5
	s_mov_b64 s[8:9], -1
	s_and_saveexec_b64 s[12:13], vcc
; %bb.1449:
	s_xor_b64 s[8:9], exec, -1
; %bb.1450:
	s_or_b64 exec, exec, s[12:13]
	s_and_b64 s[8:9], s[8:9], exec
	s_or_saveexec_b64 s[10:11], s[10:11]
	v_mov_b32_e32 v7, 0x7f800001
	s_xor_b64 exec, exec, s[10:11]
	s_cbranch_execnz .LBB489_1471
.LBB489_1451:
	s_or_b64 exec, exec, s[10:11]
	s_and_saveexec_b64 s[10:11], s[8:9]
	s_cbranch_execz .LBB489_1453
.LBB489_1452:
	v_lshlrev_b32_e32 v7, 24, v5
	v_and_b32_e32 v5, 0xffff, v5
	v_and_b32_e32 v9, 3, v5
	v_ffbh_u32_e32 v13, v9
	v_min_u32_e32 v13, 32, v13
	v_subrev_u32_e32 v14, 29, v13
	v_bfe_u32 v12, v5, 2, 5
	v_lshlrev_b32_e32 v5, v14, v5
	v_sub_u32_e32 v13, 30, v13
	v_and_b32_e32 v5, 3, v5
	v_cmp_eq_u32_e32 vcc, 0, v12
	v_and_b32_e32 v7, 0x80000000, v7
	s_nop 0
	v_cndmask_b32_e32 v12, v12, v13, vcc
	v_cndmask_b32_e32 v5, v9, v5, vcc
	v_mov_b32_e32 v9, 0x37800000
	v_lshlrev_b32_e32 v5, 21, v5
	v_lshl_add_u32 v9, v12, 23, v9
	v_or3_b32 v7, v7, v9, v5
.LBB489_1453:
	s_or_b64 exec, exec, s[10:11]
	v_bfe_u32 v5, v7, 16, 1
	s_movk_i32 s8, 0x7fff
	v_add3_u32 v5, v7, v5, s8
	v_cmp_o_f32_e32 vcc, v7, v7
	v_mov_b32_e32 v7, 0x7fc0
	s_mov_b64 s[8:9], 0
	v_cndmask_b32_sdwa v12, v7, v5, vcc dst_sel:DWORD dst_unused:UNUSED_PAD src0_sel:DWORD src1_sel:WORD_1
	s_branch .LBB489_1459
.LBB489_1454:
	s_mov_b64 s[8:9], -1
                                        ; implicit-def: $vgpr12
	s_branch .LBB489_1465
.LBB489_1455:
	s_or_saveexec_b64 s[12:13], s[12:13]
	v_mov_b32_e32 v7, 0x7f800001
	s_xor_b64 exec, exec, s[12:13]
	s_cbranch_execz .LBB489_1438
.LBB489_1456:
	v_cmp_ne_u16_e32 vcc, 0, v5
	s_andn2_b64 s[10:11], s[10:11], exec
	s_and_b64 s[14:15], vcc, exec
	v_mov_b32_e32 v7, 0
	s_or_b64 s[10:11], s[10:11], s[14:15]
	s_or_b64 exec, exec, s[12:13]
	s_and_saveexec_b64 s[12:13], s[10:11]
	s_cbranch_execnz .LBB489_1439
	s_branch .LBB489_1440
.LBB489_1457:
	s_mov_b64 s[8:9], -1
                                        ; implicit-def: $vgpr12
	s_branch .LBB489_1462
.LBB489_1458:
	s_mov_b64 s[8:9], -1
                                        ; implicit-def: $vgpr12
.LBB489_1459:
	s_and_b64 vcc, exec, s[8:9]
	s_cbranch_vccz .LBB489_1461
; %bb.1460:
	global_load_ubyte v5, v[10:11], off
	s_mov_b32 s8, 0x7f800000
	s_brev_b32 s9, 1
	s_movk_i32 s10, 0x7fff
	s_waitcnt vmcnt(0)
	v_lshlrev_b32_e32 v5, 24, v5
	v_and_b32_e32 v7, 0x7f000000, v5
	v_ffbh_u32_e32 v9, v7
	v_min_u32_e32 v9, 32, v9
	v_sub_u32_e64 v9, v9, 4 clamp
	v_lshlrev_b32_e32 v13, v9, v7
	v_lshlrev_b32_e32 v9, 23, v9
	v_lshrrev_b32_e32 v13, 4, v13
	v_add_u32_e32 v12, 0x1000000, v7
	v_sub_u32_e32 v9, v13, v9
	v_ashrrev_i32_e32 v12, 8, v12
	v_add_u32_e32 v9, 0x3c000000, v9
	v_and_or_b32 v9, v12, s8, v9
	v_cmp_ne_u32_e32 vcc, 0, v7
	s_nop 1
	v_cndmask_b32_e32 v7, 0, v9, vcc
	v_and_or_b32 v5, v5, s9, v7
	v_bfe_u32 v7, v7, 16, 1
	v_add3_u32 v7, v5, v7, s10
	v_cmp_o_f32_e32 vcc, v5, v5
	v_mov_b32_e32 v5, 0x7fc0
	s_nop 0
	v_cndmask_b32_sdwa v12, v5, v7, vcc dst_sel:DWORD dst_unused:UNUSED_PAD src0_sel:DWORD src1_sel:WORD_1
.LBB489_1461:
	s_mov_b64 s[8:9], 0
.LBB489_1462:
	s_andn2_b64 vcc, exec, s[8:9]
	s_cbranch_vccnz .LBB489_1464
; %bb.1463:
	global_load_ubyte v5, v[10:11], off
	s_movk_i32 s8, 0x7f00
	s_brev_b32 s9, 16
	s_brev_b32 s10, 1
	s_movk_i32 s11, 0x7fff
	s_waitcnt vmcnt(0)
	v_lshlrev_b16_e32 v7, 8, v5
	v_lshlrev_b32_e32 v5, 25, v5
	v_lshrrev_b32_e32 v9, 4, v5
	v_and_or_b32 v12, v7, s8, 0.5
	v_or_b32_e32 v9, 0x70000000, v9
	v_add_f32_e32 v12, -0.5, v12
	v_mul_f32_e32 v9, 0x7800000, v9
	v_cmp_gt_u32_e32 vcc, s9, v5
	v_bfe_i32 v7, v7, 0, 16
	s_nop 0
	v_cndmask_b32_e32 v5, v9, v12, vcc
	v_and_or_b32 v7, v7, s10, v5
	v_bfe_u32 v5, v5, 16, 1
	v_add3_u32 v5, v7, v5, s11
	v_cmp_o_f32_e32 vcc, v7, v7
	v_mov_b32_e32 v7, 0x7fc0
	s_nop 0
	v_cndmask_b32_sdwa v12, v7, v5, vcc dst_sel:DWORD dst_unused:UNUSED_PAD src0_sel:DWORD src1_sel:WORD_1
.LBB489_1464:
	s_mov_b64 s[8:9], 0
	s_mov_b64 s[10:11], -1
.LBB489_1465:
	s_andn2_b64 vcc, exec, s[8:9]
	s_mov_b64 s[8:9], 0
	s_cbranch_vccnz .LBB489_1476
; %bb.1466:
	s_cmp_gt_i32 s17, 14
	s_cbranch_scc0 .LBB489_1469
; %bb.1467:
	s_cmp_eq_u32 s17, 15
	s_cbranch_scc0 .LBB489_1472
; %bb.1468:
	global_load_ushort v12, v[10:11], off
	s_mov_b64 s[0:1], 0
	s_mov_b64 s[10:11], -1
	s_branch .LBB489_1473
.LBB489_1469:
	s_mov_b64 s[12:13], -1
                                        ; implicit-def: $vgpr12
	s_branch .LBB489_1474
.LBB489_1470:
	s_or_saveexec_b64 s[10:11], s[10:11]
	v_mov_b32_e32 v7, 0x7f800001
	s_xor_b64 exec, exec, s[10:11]
	s_cbranch_execz .LBB489_1451
.LBB489_1471:
	v_cmp_ne_u16_e32 vcc, 0, v5
	s_andn2_b64 s[8:9], s[8:9], exec
	s_and_b64 s[12:13], vcc, exec
	v_mov_b32_e32 v7, 0
	s_or_b64 s[8:9], s[8:9], s[12:13]
	s_or_b64 exec, exec, s[10:11]
	s_and_saveexec_b64 s[10:11], s[8:9]
	s_cbranch_execnz .LBB489_1452
	s_branch .LBB489_1453
.LBB489_1472:
	s_mov_b64 s[0:1], -1
                                        ; implicit-def: $vgpr12
.LBB489_1473:
	s_mov_b64 s[12:13], 0
.LBB489_1474:
	s_and_b64 vcc, exec, s[12:13]
	s_cbranch_vccz .LBB489_1476
; %bb.1475:
	s_cmp_lg_u32 s17, 11
	s_mov_b64 s[8:9], -1
	s_cselect_b64 s[0:1], -1, 0
.LBB489_1476:
	s_and_b64 vcc, exec, s[0:1]
	s_cbranch_vccnz .LBB489_1539
; %bb.1477:
	s_andn2_b64 vcc, exec, s[8:9]
	s_cbranch_vccnz .LBB489_1479
.LBB489_1478:
	global_load_ubyte v5, v[10:11], off
	s_mov_b64 s[10:11], -1
	s_waitcnt vmcnt(0)
	v_cmp_ne_u16_e32 vcc, 0, v5
	s_nop 1
	v_cndmask_b32_e64 v5, 0, 1.0, vcc
	v_lshrrev_b32_e32 v12, 16, v5
.LBB489_1479:
	s_branch .LBB489_1407
.LBB489_1480:
	s_cmp_lt_i32 s17, 5
	s_cbranch_scc1 .LBB489_1485
; %bb.1481:
	s_cmp_lt_i32 s17, 8
	s_cbranch_scc1 .LBB489_1486
; %bb.1482:
	;; [unrolled: 3-line block ×3, first 2 shown]
	s_cmp_gt_i32 s17, 9
	s_cbranch_scc0 .LBB489_1488
; %bb.1484:
	global_load_dwordx2 v[12:13], v[10:11], off
	s_movk_i32 s0, 0x7fff
	v_mov_b32_e32 v5, 0x7fc0
	s_waitcnt vmcnt(0)
	v_cvt_f32_f64_e32 v7, v[12:13]
	v_bfe_u32 v9, v7, 16, 1
	v_cmp_o_f32_e32 vcc, v7, v7
	v_add3_u32 v7, v7, v9, s0
	s_mov_b64 s[0:1], 0
	v_cndmask_b32_sdwa v12, v5, v7, vcc dst_sel:DWORD dst_unused:UNUSED_PAD src0_sel:DWORD src1_sel:WORD_1
	s_branch .LBB489_1489
.LBB489_1485:
	s_mov_b64 s[0:1], -1
                                        ; implicit-def: $vgpr12
	s_branch .LBB489_1507
.LBB489_1486:
	s_mov_b64 s[0:1], -1
                                        ; implicit-def: $vgpr12
	s_branch .LBB489_1495
.LBB489_1487:
	s_mov_b64 s[0:1], -1
                                        ; implicit-def: $vgpr12
	s_branch .LBB489_1492
.LBB489_1488:
	s_mov_b64 s[0:1], -1
                                        ; implicit-def: $vgpr12
.LBB489_1489:
	s_andn2_b64 vcc, exec, s[0:1]
	s_cbranch_vccnz .LBB489_1491
; %bb.1490:
	global_load_dword v5, v[10:11], off
	s_movk_i32 s0, 0x7fff
	v_mov_b32_e32 v7, 0x7fc0
	s_waitcnt vmcnt(0)
	v_bfe_u32 v9, v5, 16, 1
	v_cmp_o_f32_e32 vcc, v5, v5
	v_add3_u32 v5, v5, v9, s0
	s_nop 0
	v_cndmask_b32_sdwa v12, v7, v5, vcc dst_sel:DWORD dst_unused:UNUSED_PAD src0_sel:DWORD src1_sel:WORD_1
.LBB489_1491:
	s_mov_b64 s[0:1], 0
.LBB489_1492:
	s_andn2_b64 vcc, exec, s[0:1]
	s_cbranch_vccnz .LBB489_1494
; %bb.1493:
	global_load_dword v5, v[10:11], off
	s_movk_i32 s0, 0x7fff
	v_mov_b32_e32 v9, 0x7fc0
	s_waitcnt vmcnt(0)
	v_cvt_f32_f16_e32 v7, v5
	v_cmp_o_f16_e32 vcc, v5, v5
	v_bfe_u32 v5, v7, 16, 1
	v_add3_u32 v5, v7, v5, s0
	v_cndmask_b32_sdwa v12, v9, v5, vcc dst_sel:DWORD dst_unused:UNUSED_PAD src0_sel:DWORD src1_sel:WORD_1
.LBB489_1494:
	s_mov_b64 s[0:1], 0
.LBB489_1495:
	s_andn2_b64 vcc, exec, s[0:1]
	s_cbranch_vccnz .LBB489_1506
; %bb.1496:
	s_cmp_lt_i32 s17, 6
	s_cbranch_scc1 .LBB489_1499
; %bb.1497:
	s_cmp_gt_i32 s17, 6
	s_cbranch_scc0 .LBB489_1500
; %bb.1498:
	global_load_dwordx2 v[12:13], v[10:11], off
	s_movk_i32 s0, 0x7fff
	v_mov_b32_e32 v5, 0x7fc0
	s_waitcnt vmcnt(0)
	v_cvt_f32_f64_e32 v7, v[12:13]
	v_bfe_u32 v9, v7, 16, 1
	v_cmp_o_f32_e32 vcc, v7, v7
	v_add3_u32 v7, v7, v9, s0
	s_mov_b64 s[0:1], 0
	v_cndmask_b32_sdwa v12, v5, v7, vcc dst_sel:DWORD dst_unused:UNUSED_PAD src0_sel:DWORD src1_sel:WORD_1
	s_branch .LBB489_1501
.LBB489_1499:
	s_mov_b64 s[0:1], -1
                                        ; implicit-def: $vgpr12
	s_branch .LBB489_1504
.LBB489_1500:
	s_mov_b64 s[0:1], -1
                                        ; implicit-def: $vgpr12
.LBB489_1501:
	s_andn2_b64 vcc, exec, s[0:1]
	s_cbranch_vccnz .LBB489_1503
; %bb.1502:
	global_load_dword v5, v[10:11], off
	s_movk_i32 s0, 0x7fff
	v_mov_b32_e32 v7, 0x7fc0
	s_waitcnt vmcnt(0)
	v_bfe_u32 v9, v5, 16, 1
	v_cmp_o_f32_e32 vcc, v5, v5
	v_add3_u32 v5, v5, v9, s0
	s_nop 0
	v_cndmask_b32_sdwa v12, v7, v5, vcc dst_sel:DWORD dst_unused:UNUSED_PAD src0_sel:DWORD src1_sel:WORD_1
.LBB489_1503:
	s_mov_b64 s[0:1], 0
.LBB489_1504:
	s_andn2_b64 vcc, exec, s[0:1]
	s_cbranch_vccnz .LBB489_1506
; %bb.1505:
	global_load_ushort v5, v[10:11], off
	s_movk_i32 s0, 0x7fff
	v_mov_b32_e32 v9, 0x7fc0
	s_waitcnt vmcnt(0)
	v_cvt_f32_f16_e32 v7, v5
	v_cmp_o_f16_e32 vcc, v5, v5
	v_bfe_u32 v5, v7, 16, 1
	v_add3_u32 v5, v7, v5, s0
	v_cndmask_b32_sdwa v12, v9, v5, vcc dst_sel:DWORD dst_unused:UNUSED_PAD src0_sel:DWORD src1_sel:WORD_1
.LBB489_1506:
	s_mov_b64 s[0:1], 0
.LBB489_1507:
	s_andn2_b64 vcc, exec, s[0:1]
	s_cbranch_vccnz .LBB489_1527
; %bb.1508:
	s_cmp_lt_i32 s17, 2
	s_cbranch_scc1 .LBB489_1512
; %bb.1509:
	s_cmp_lt_i32 s17, 3
	s_cbranch_scc1 .LBB489_1513
; %bb.1510:
	s_cmp_gt_i32 s17, 3
	s_cbranch_scc0 .LBB489_1514
; %bb.1511:
	global_load_dwordx2 v[12:13], v[10:11], off
	s_movk_i32 s0, 0x7fff
	s_waitcnt vmcnt(0)
	v_xor_b32_e32 v7, v12, v13
	v_ffbh_i32_e32 v5, v13
	v_ashrrev_i32_e32 v7, 31, v7
	v_add_u32_e32 v5, -1, v5
	v_add_u32_e32 v7, 32, v7
	v_min_u32_e32 v5, v5, v7
	v_lshlrev_b64 v[12:13], v5, v[12:13]
	v_min_u32_e32 v7, 1, v12
	v_or_b32_e32 v7, v13, v7
	v_cvt_f32_i32_e32 v7, v7
	v_sub_u32_e32 v5, 32, v5
	v_ldexp_f32 v5, v7, v5
	v_bfe_u32 v7, v5, 16, 1
	v_add3_u32 v5, v5, v7, s0
	v_lshrrev_b32_e32 v12, 16, v5
	s_mov_b64 s[0:1], 0
	s_branch .LBB489_1515
.LBB489_1512:
	s_mov_b64 s[0:1], -1
                                        ; implicit-def: $vgpr12
	s_branch .LBB489_1521
.LBB489_1513:
	s_mov_b64 s[0:1], -1
                                        ; implicit-def: $vgpr12
	s_branch .LBB489_1518
.LBB489_1514:
	s_mov_b64 s[0:1], -1
                                        ; implicit-def: $vgpr12
.LBB489_1515:
	s_andn2_b64 vcc, exec, s[0:1]
	s_cbranch_vccnz .LBB489_1517
; %bb.1516:
	global_load_dword v5, v[10:11], off
	s_movk_i32 s0, 0x7fff
	s_waitcnt vmcnt(0)
	v_cvt_f32_i32_e32 v5, v5
	v_bfe_u32 v7, v5, 16, 1
	v_add3_u32 v5, v5, v7, s0
	v_lshrrev_b32_e32 v12, 16, v5
.LBB489_1517:
	s_mov_b64 s[0:1], 0
.LBB489_1518:
	s_andn2_b64 vcc, exec, s[0:1]
	s_cbranch_vccnz .LBB489_1520
; %bb.1519:
	global_load_sshort v5, v[10:11], off
	s_movk_i32 s0, 0x7fff
	s_waitcnt vmcnt(0)
	v_cvt_f32_i32_e32 v5, v5
	v_bfe_u32 v7, v5, 16, 1
	v_add3_u32 v5, v5, v7, s0
	v_lshrrev_b32_e32 v12, 16, v5
.LBB489_1520:
	s_mov_b64 s[0:1], 0
.LBB489_1521:
	s_andn2_b64 vcc, exec, s[0:1]
	s_cbranch_vccnz .LBB489_1527
; %bb.1522:
	s_cmp_gt_i32 s17, 0
	s_cbranch_scc0 .LBB489_1524
; %bb.1523:
	global_load_sbyte v5, v[10:11], off
	s_movk_i32 s0, 0x7fff
	s_waitcnt vmcnt(0)
	v_cvt_f32_i32_e32 v5, v5
	v_bfe_u32 v7, v5, 16, 1
	v_add3_u32 v5, v5, v7, s0
	v_lshrrev_b32_e32 v12, 16, v5
	s_mov_b64 s[0:1], 0
	s_branch .LBB489_1525
.LBB489_1524:
	s_mov_b64 s[0:1], -1
                                        ; implicit-def: $vgpr12
.LBB489_1525:
	s_andn2_b64 vcc, exec, s[0:1]
	s_cbranch_vccnz .LBB489_1527
; %bb.1526:
	global_load_ubyte v5, v[10:11], off
	s_movk_i32 s0, 0x7fff
	s_waitcnt vmcnt(0)
	v_cvt_f32_ubyte0_e32 v5, v5
	v_bfe_u32 v7, v5, 16, 1
	v_add3_u32 v5, v5, v7, s0
	v_lshrrev_b32_e32 v12, 16, v5
.LBB489_1527:
.LBB489_1528:
	v_mov_b32_e32 v9, 0
	s_cmp_lt_i32 s17, 11
	v_lshl_add_u64 v[8:9], s[6:7], 0, v[8:9]
	s_cbranch_scc1 .LBB489_1535
; %bb.1529:
	s_cmp_gt_i32 s17, 25
	s_mov_b64 s[6:7], 0
	s_cbranch_scc0 .LBB489_1536
; %bb.1530:
	s_cmp_gt_i32 s17, 28
	s_cbranch_scc0 .LBB489_1537
; %bb.1531:
	s_cmp_gt_i32 s17, 43
	;; [unrolled: 3-line block ×3, first 2 shown]
	s_cbranch_scc0 .LBB489_1540
; %bb.1533:
	s_cmp_eq_u32 s17, 46
	s_mov_b64 s[10:11], 0
	s_cbranch_scc0 .LBB489_1541
; %bb.1534:
	global_load_dword v10, v[8:9], off
	s_mov_b64 s[0:1], 0
	s_mov_b64 s[8:9], -1
	s_branch .LBB489_1542
.LBB489_1535:
	s_mov_b64 s[0:1], -1
	s_mov_b64 s[8:9], 0
                                        ; implicit-def: $vgpr10
	s_branch .LBB489_1608
.LBB489_1536:
	s_mov_b64 s[10:11], -1
	s_mov_b64 s[8:9], 0
	s_mov_b64 s[0:1], 0
                                        ; implicit-def: $vgpr10
	s_branch .LBB489_1571
.LBB489_1537:
	s_mov_b64 s[10:11], -1
	s_mov_b64 s[8:9], 0
	s_mov_b64 s[0:1], 0
                                        ; implicit-def: $vgpr10
	s_branch .LBB489_1552
.LBB489_1538:
	s_mov_b64 s[10:11], -1
	s_mov_b64 s[8:9], 0
	s_mov_b64 s[0:1], 0
                                        ; implicit-def: $vgpr10
	s_branch .LBB489_1547
.LBB489_1539:
	s_trap 2
	s_or_b64 s[2:3], s[2:3], exec
	s_cbranch_execz .LBB489_1478
	s_branch .LBB489_1479
.LBB489_1540:
	s_mov_b64 s[10:11], -1
	s_mov_b64 s[8:9], 0
	s_mov_b64 s[0:1], 0
                                        ; implicit-def: $vgpr10
	s_branch .LBB489_1542
.LBB489_1541:
	s_mov_b64 s[0:1], -1
                                        ; implicit-def: $vgpr10
	s_mov_b64 s[8:9], 0
.LBB489_1542:
	s_and_b64 vcc, exec, s[10:11]
	s_cbranch_vccz .LBB489_1546
; %bb.1543:
	s_cmp_eq_u32 s17, 44
	s_cbranch_scc0 .LBB489_1545
; %bb.1544:
	global_load_ubyte v5, v[8:9], off
	s_movk_i32 s8, 0xff
	v_mov_b32_e32 v7, 0x7f800001
	s_waitcnt vmcnt(1)
	v_mov_b32_e32 v10, 0x400000
	v_mov_b32_e32 v11, 0x7fc0
	s_mov_b64 s[0:1], 0
	s_waitcnt vmcnt(0)
	v_lshlrev_b32_e32 v13, 23, v5
	v_cmp_ne_u32_e32 vcc, s8, v5
	s_mov_b64 s[8:9], -1
	s_nop 0
	v_cndmask_b32_e32 v7, v7, v13, vcc
	v_cmp_ne_u32_e32 vcc, 0, v5
	s_nop 1
	v_cndmask_b32_e32 v5, v10, v7, vcc
	v_add_u32_e32 v7, 0x7fff, v5
	v_cmp_o_f32_e32 vcc, v5, v5
	s_nop 1
	v_cndmask_b32_sdwa v10, v11, v7, vcc dst_sel:DWORD dst_unused:UNUSED_PAD src0_sel:DWORD src1_sel:WORD_1
	s_branch .LBB489_1546
.LBB489_1545:
	s_mov_b64 s[0:1], -1
                                        ; implicit-def: $vgpr10
.LBB489_1546:
	s_mov_b64 s[10:11], 0
.LBB489_1547:
	s_and_b64 vcc, exec, s[10:11]
	s_cbranch_vccz .LBB489_1551
; %bb.1548:
	s_cmp_eq_u32 s17, 29
	s_cbranch_scc0 .LBB489_1550
; %bb.1549:
	global_load_dwordx2 v[10:11], v[8:9], off
	s_movk_i32 s8, 0x7fff
	s_mov_b64 s[0:1], 0
	s_mov_b64 s[10:11], 0
	s_waitcnt vmcnt(0)
	v_ffbh_u32_e32 v5, v11
	v_min_u32_e32 v5, 32, v5
	v_lshlrev_b64 v[10:11], v5, v[10:11]
	v_min_u32_e32 v7, 1, v10
	v_or_b32_e32 v7, v11, v7
	v_cvt_f32_u32_e32 v7, v7
	v_sub_u32_e32 v5, 32, v5
	v_ldexp_f32 v5, v7, v5
	v_bfe_u32 v7, v5, 16, 1
	v_add3_u32 v5, v5, v7, s8
	v_lshrrev_b32_e32 v10, 16, v5
	s_mov_b64 s[8:9], -1
	s_branch .LBB489_1552
.LBB489_1550:
	s_mov_b64 s[0:1], -1
                                        ; implicit-def: $vgpr10
.LBB489_1551:
	s_mov_b64 s[10:11], 0
.LBB489_1552:
	s_and_b64 vcc, exec, s[10:11]
	s_cbranch_vccz .LBB489_1570
; %bb.1553:
	s_cmp_lt_i32 s17, 27
	s_cbranch_scc1 .LBB489_1556
; %bb.1554:
	s_cmp_gt_i32 s17, 27
	s_cbranch_scc0 .LBB489_1557
; %bb.1555:
	global_load_dword v5, v[8:9], off
	s_movk_i32 s8, 0x7fff
	s_waitcnt vmcnt(0)
	v_cvt_f32_u32_e32 v5, v5
	v_bfe_u32 v7, v5, 16, 1
	v_add3_u32 v5, v5, v7, s8
	v_lshrrev_b32_e32 v10, 16, v5
	s_mov_b64 s[8:9], 0
	s_branch .LBB489_1558
.LBB489_1556:
	s_mov_b64 s[8:9], -1
                                        ; implicit-def: $vgpr10
	s_branch .LBB489_1561
.LBB489_1557:
	s_mov_b64 s[8:9], -1
                                        ; implicit-def: $vgpr10
.LBB489_1558:
	s_andn2_b64 vcc, exec, s[8:9]
	s_cbranch_vccnz .LBB489_1560
; %bb.1559:
	global_load_ushort v5, v[8:9], off
	s_movk_i32 s8, 0x7fff
	s_waitcnt vmcnt(0)
	v_cvt_f32_u32_e32 v5, v5
	v_bfe_u32 v7, v5, 16, 1
	v_add3_u32 v5, v5, v7, s8
	v_lshrrev_b32_e32 v10, 16, v5
.LBB489_1560:
	s_mov_b64 s[8:9], 0
.LBB489_1561:
	s_andn2_b64 vcc, exec, s[8:9]
	s_cbranch_vccnz .LBB489_1569
; %bb.1562:
	global_load_ubyte v5, v[8:9], off
	s_movk_i32 s8, 0x7f
	s_waitcnt vmcnt(0)
	v_cmp_lt_i16_e32 vcc, s8, v5
	s_mov_b64 s[8:9], 0
	s_and_saveexec_b64 s[10:11], vcc
	s_xor_b64 s[10:11], exec, s[10:11]
	s_cbranch_execz .LBB489_1583
; %bb.1563:
	s_movk_i32 s8, 0x80
	v_cmp_eq_u16_e32 vcc, s8, v5
	s_mov_b64 s[8:9], -1
	s_and_saveexec_b64 s[12:13], vcc
; %bb.1564:
	s_xor_b64 s[8:9], exec, -1
; %bb.1565:
	s_or_b64 exec, exec, s[12:13]
	s_and_b64 s[8:9], s[8:9], exec
	s_or_saveexec_b64 s[10:11], s[10:11]
	v_mov_b32_e32 v7, 0x7f800001
	s_xor_b64 exec, exec, s[10:11]
	s_cbranch_execnz .LBB489_1584
.LBB489_1566:
	s_or_b64 exec, exec, s[10:11]
	s_and_saveexec_b64 s[10:11], s[8:9]
	s_cbranch_execz .LBB489_1568
.LBB489_1567:
	v_lshlrev_b32_e32 v7, 24, v5
	v_and_b32_e32 v5, 0xffff, v5
	v_and_b32_e32 v10, 7, v5
	v_ffbh_u32_e32 v13, v10
	v_min_u32_e32 v13, 32, v13
	v_subrev_u32_e32 v14, 28, v13
	v_bfe_u32 v11, v5, 3, 4
	v_lshlrev_b32_e32 v5, v14, v5
	v_sub_u32_e32 v13, 29, v13
	v_and_b32_e32 v5, 7, v5
	v_cmp_eq_u32_e32 vcc, 0, v11
	v_and_b32_e32 v7, 0x80000000, v7
	s_nop 0
	v_cndmask_b32_e32 v11, v11, v13, vcc
	v_cndmask_b32_e32 v5, v10, v5, vcc
	v_mov_b32_e32 v10, 0x3b800000
	v_lshlrev_b32_e32 v5, 20, v5
	v_lshl_add_u32 v10, v11, 23, v10
	v_or3_b32 v7, v7, v10, v5
.LBB489_1568:
	s_or_b64 exec, exec, s[10:11]
	v_bfe_u32 v5, v7, 16, 1
	s_movk_i32 s8, 0x7fff
	v_add3_u32 v5, v7, v5, s8
	v_cmp_o_f32_e32 vcc, v7, v7
	v_mov_b32_e32 v7, 0x7fc0
	s_nop 0
	v_cndmask_b32_sdwa v10, v7, v5, vcc dst_sel:DWORD dst_unused:UNUSED_PAD src0_sel:DWORD src1_sel:WORD_1
.LBB489_1569:
	s_mov_b64 s[8:9], -1
.LBB489_1570:
	s_mov_b64 s[10:11], 0
.LBB489_1571:
	s_and_b64 vcc, exec, s[10:11]
	s_cbranch_vccz .LBB489_1604
; %bb.1572:
	s_cmp_gt_i32 s17, 22
	s_cbranch_scc0 .LBB489_1582
; %bb.1573:
	s_cmp_lt_i32 s17, 24
	s_cbranch_scc1 .LBB489_1585
; %bb.1574:
	s_cmp_gt_i32 s17, 24
	s_cbranch_scc0 .LBB489_1586
; %bb.1575:
	global_load_ubyte v5, v[8:9], off
	s_movk_i32 s6, 0x7f
	s_waitcnt vmcnt(0)
	v_cmp_lt_i16_e32 vcc, s6, v5
	s_mov_b64 s[6:7], 0
	s_and_saveexec_b64 s[8:9], vcc
	s_xor_b64 s[8:9], exec, s[8:9]
	s_cbranch_execz .LBB489_1598
; %bb.1576:
	s_movk_i32 s6, 0x80
	v_cmp_eq_u16_e32 vcc, s6, v5
	s_mov_b64 s[6:7], -1
	s_and_saveexec_b64 s[10:11], vcc
; %bb.1577:
	s_xor_b64 s[6:7], exec, -1
; %bb.1578:
	s_or_b64 exec, exec, s[10:11]
	s_and_b64 s[6:7], s[6:7], exec
	s_or_saveexec_b64 s[8:9], s[8:9]
	v_mov_b32_e32 v7, 0x7f800001
	s_xor_b64 exec, exec, s[8:9]
	s_cbranch_execnz .LBB489_1599
.LBB489_1579:
	s_or_b64 exec, exec, s[8:9]
	s_and_saveexec_b64 s[8:9], s[6:7]
	s_cbranch_execz .LBB489_1581
.LBB489_1580:
	v_lshlrev_b32_e32 v7, 24, v5
	v_and_b32_e32 v5, 0xffff, v5
	v_and_b32_e32 v10, 3, v5
	v_ffbh_u32_e32 v13, v10
	v_min_u32_e32 v13, 32, v13
	v_subrev_u32_e32 v14, 29, v13
	v_bfe_u32 v11, v5, 2, 5
	v_lshlrev_b32_e32 v5, v14, v5
	v_sub_u32_e32 v13, 30, v13
	v_and_b32_e32 v5, 3, v5
	v_cmp_eq_u32_e32 vcc, 0, v11
	v_and_b32_e32 v7, 0x80000000, v7
	s_nop 0
	v_cndmask_b32_e32 v11, v11, v13, vcc
	v_cndmask_b32_e32 v5, v10, v5, vcc
	v_mov_b32_e32 v10, 0x37800000
	v_lshlrev_b32_e32 v5, 21, v5
	v_lshl_add_u32 v10, v11, 23, v10
	v_or3_b32 v7, v7, v10, v5
.LBB489_1581:
	s_or_b64 exec, exec, s[8:9]
	v_bfe_u32 v5, v7, 16, 1
	s_movk_i32 s6, 0x7fff
	v_add3_u32 v5, v7, v5, s6
	v_cmp_o_f32_e32 vcc, v7, v7
	v_mov_b32_e32 v7, 0x7fc0
	s_mov_b64 s[6:7], 0
	v_cndmask_b32_sdwa v10, v7, v5, vcc dst_sel:DWORD dst_unused:UNUSED_PAD src0_sel:DWORD src1_sel:WORD_1
	s_branch .LBB489_1587
.LBB489_1582:
	s_mov_b64 s[6:7], -1
                                        ; implicit-def: $vgpr10
	s_branch .LBB489_1593
.LBB489_1583:
	s_or_saveexec_b64 s[10:11], s[10:11]
	v_mov_b32_e32 v7, 0x7f800001
	s_xor_b64 exec, exec, s[10:11]
	s_cbranch_execz .LBB489_1566
.LBB489_1584:
	v_cmp_ne_u16_e32 vcc, 0, v5
	s_andn2_b64 s[8:9], s[8:9], exec
	s_and_b64 s[12:13], vcc, exec
	v_mov_b32_e32 v7, 0
	s_or_b64 s[8:9], s[8:9], s[12:13]
	s_or_b64 exec, exec, s[10:11]
	s_and_saveexec_b64 s[10:11], s[8:9]
	s_cbranch_execnz .LBB489_1567
	s_branch .LBB489_1568
.LBB489_1585:
	s_mov_b64 s[6:7], -1
                                        ; implicit-def: $vgpr10
	s_branch .LBB489_1590
.LBB489_1586:
	s_mov_b64 s[6:7], -1
                                        ; implicit-def: $vgpr10
.LBB489_1587:
	s_and_b64 vcc, exec, s[6:7]
	s_cbranch_vccz .LBB489_1589
; %bb.1588:
	global_load_ubyte v5, v[8:9], off
	s_mov_b32 s6, 0x7f800000
	s_brev_b32 s7, 1
	s_movk_i32 s8, 0x7fff
	s_waitcnt vmcnt(0)
	v_lshlrev_b32_e32 v5, 24, v5
	v_and_b32_e32 v7, 0x7f000000, v5
	v_ffbh_u32_e32 v10, v7
	v_min_u32_e32 v10, 32, v10
	v_sub_u32_e64 v10, v10, 4 clamp
	v_lshlrev_b32_e32 v13, v10, v7
	v_lshlrev_b32_e32 v10, 23, v10
	v_lshrrev_b32_e32 v13, 4, v13
	v_add_u32_e32 v11, 0x1000000, v7
	v_sub_u32_e32 v10, v13, v10
	v_ashrrev_i32_e32 v11, 8, v11
	v_add_u32_e32 v10, 0x3c000000, v10
	v_and_or_b32 v10, v11, s6, v10
	v_cmp_ne_u32_e32 vcc, 0, v7
	s_nop 1
	v_cndmask_b32_e32 v7, 0, v10, vcc
	v_and_or_b32 v5, v5, s7, v7
	v_bfe_u32 v7, v7, 16, 1
	v_add3_u32 v7, v5, v7, s8
	v_cmp_o_f32_e32 vcc, v5, v5
	v_mov_b32_e32 v5, 0x7fc0
	s_nop 0
	v_cndmask_b32_sdwa v10, v5, v7, vcc dst_sel:DWORD dst_unused:UNUSED_PAD src0_sel:DWORD src1_sel:WORD_1
.LBB489_1589:
	s_mov_b64 s[6:7], 0
.LBB489_1590:
	s_andn2_b64 vcc, exec, s[6:7]
	s_cbranch_vccnz .LBB489_1592
; %bb.1591:
	global_load_ubyte v5, v[8:9], off
	s_movk_i32 s6, 0x7f00
	s_brev_b32 s7, 16
	s_brev_b32 s8, 1
	s_movk_i32 s9, 0x7fff
	s_waitcnt vmcnt(0)
	v_lshlrev_b16_e32 v7, 8, v5
	v_lshlrev_b32_e32 v5, 25, v5
	v_lshrrev_b32_e32 v10, 4, v5
	v_and_or_b32 v11, v7, s6, 0.5
	v_or_b32_e32 v10, 0x70000000, v10
	v_add_f32_e32 v11, -0.5, v11
	v_mul_f32_e32 v10, 0x7800000, v10
	v_cmp_gt_u32_e32 vcc, s7, v5
	v_bfe_i32 v7, v7, 0, 16
	s_nop 0
	v_cndmask_b32_e32 v5, v10, v11, vcc
	v_and_or_b32 v7, v7, s8, v5
	v_bfe_u32 v5, v5, 16, 1
	v_add3_u32 v5, v7, v5, s9
	v_cmp_o_f32_e32 vcc, v7, v7
	v_mov_b32_e32 v7, 0x7fc0
	s_nop 0
	v_cndmask_b32_sdwa v10, v7, v5, vcc dst_sel:DWORD dst_unused:UNUSED_PAD src0_sel:DWORD src1_sel:WORD_1
.LBB489_1592:
	s_mov_b64 s[6:7], 0
	s_mov_b64 s[8:9], -1
.LBB489_1593:
	s_andn2_b64 vcc, exec, s[6:7]
	s_mov_b64 s[6:7], 0
	s_cbranch_vccnz .LBB489_1604
; %bb.1594:
	s_cmp_gt_i32 s17, 14
	s_cbranch_scc0 .LBB489_1597
; %bb.1595:
	s_cmp_eq_u32 s17, 15
	s_cbranch_scc0 .LBB489_1600
; %bb.1596:
	global_load_ushort v10, v[8:9], off
	s_mov_b64 s[0:1], 0
	s_mov_b64 s[8:9], -1
	s_branch .LBB489_1601
.LBB489_1597:
	s_mov_b64 s[10:11], -1
                                        ; implicit-def: $vgpr10
	s_branch .LBB489_1602
.LBB489_1598:
	s_or_saveexec_b64 s[8:9], s[8:9]
	v_mov_b32_e32 v7, 0x7f800001
	s_xor_b64 exec, exec, s[8:9]
	s_cbranch_execz .LBB489_1579
.LBB489_1599:
	v_cmp_ne_u16_e32 vcc, 0, v5
	s_andn2_b64 s[6:7], s[6:7], exec
	s_and_b64 s[10:11], vcc, exec
	v_mov_b32_e32 v7, 0
	s_or_b64 s[6:7], s[6:7], s[10:11]
	s_or_b64 exec, exec, s[8:9]
	s_and_saveexec_b64 s[8:9], s[6:7]
	s_cbranch_execnz .LBB489_1580
	s_branch .LBB489_1581
.LBB489_1600:
	s_mov_b64 s[0:1], -1
                                        ; implicit-def: $vgpr10
.LBB489_1601:
	s_mov_b64 s[10:11], 0
.LBB489_1602:
	s_and_b64 vcc, exec, s[10:11]
	s_cbranch_vccz .LBB489_1604
; %bb.1603:
	s_cmp_lg_u32 s17, 11
	s_mov_b64 s[6:7], -1
	s_cselect_b64 s[0:1], -1, 0
.LBB489_1604:
	s_and_b64 vcc, exec, s[0:1]
	s_cbranch_vccnz .LBB489_2137
; %bb.1605:
	s_andn2_b64 vcc, exec, s[6:7]
	s_cbranch_vccnz .LBB489_1607
.LBB489_1606:
	global_load_ubyte v5, v[8:9], off
	s_mov_b64 s[8:9], -1
	s_waitcnt vmcnt(0)
	v_cmp_ne_u16_e32 vcc, 0, v5
	s_nop 1
	v_cndmask_b32_e64 v5, 0, 1.0, vcc
	v_lshrrev_b32_e32 v10, 16, v5
.LBB489_1607:
	s_mov_b64 s[0:1], 0
.LBB489_1608:
	s_and_b64 vcc, exec, s[0:1]
	s_cbranch_vccz .LBB489_1657
; %bb.1609:
	s_cmp_lt_i32 s17, 5
	s_cbranch_scc1 .LBB489_1614
; %bb.1610:
	s_cmp_lt_i32 s17, 8
	s_cbranch_scc1 .LBB489_1615
	;; [unrolled: 3-line block ×3, first 2 shown]
; %bb.1612:
	s_cmp_gt_i32 s17, 9
	s_cbranch_scc0 .LBB489_1617
; %bb.1613:
	global_load_dwordx2 v[10:11], v[8:9], off
	s_movk_i32 s0, 0x7fff
	v_mov_b32_e32 v5, 0x7fc0
	s_waitcnt vmcnt(0)
	v_cvt_f32_f64_e32 v7, v[10:11]
	v_bfe_u32 v10, v7, 16, 1
	v_cmp_o_f32_e32 vcc, v7, v7
	v_add3_u32 v7, v7, v10, s0
	s_mov_b64 s[0:1], 0
	v_cndmask_b32_sdwa v10, v5, v7, vcc dst_sel:DWORD dst_unused:UNUSED_PAD src0_sel:DWORD src1_sel:WORD_1
	s_branch .LBB489_1618
.LBB489_1614:
	s_mov_b64 s[0:1], -1
                                        ; implicit-def: $vgpr10
	s_branch .LBB489_1636
.LBB489_1615:
	s_mov_b64 s[0:1], -1
                                        ; implicit-def: $vgpr10
	s_branch .LBB489_1624
.LBB489_1616:
	s_mov_b64 s[0:1], -1
                                        ; implicit-def: $vgpr10
	s_branch .LBB489_1621
.LBB489_1617:
	s_mov_b64 s[0:1], -1
                                        ; implicit-def: $vgpr10
.LBB489_1618:
	s_andn2_b64 vcc, exec, s[0:1]
	s_cbranch_vccnz .LBB489_1620
; %bb.1619:
	global_load_dword v5, v[8:9], off
	s_movk_i32 s0, 0x7fff
	v_mov_b32_e32 v7, 0x7fc0
	s_waitcnt vmcnt(0)
	v_bfe_u32 v10, v5, 16, 1
	v_cmp_o_f32_e32 vcc, v5, v5
	v_add3_u32 v5, v5, v10, s0
	s_nop 0
	v_cndmask_b32_sdwa v10, v7, v5, vcc dst_sel:DWORD dst_unused:UNUSED_PAD src0_sel:DWORD src1_sel:WORD_1
.LBB489_1620:
	s_mov_b64 s[0:1], 0
.LBB489_1621:
	s_andn2_b64 vcc, exec, s[0:1]
	s_cbranch_vccnz .LBB489_1623
; %bb.1622:
	global_load_dword v5, v[8:9], off
	s_movk_i32 s0, 0x7fff
	s_waitcnt vmcnt(1)
	v_mov_b32_e32 v10, 0x7fc0
	s_waitcnt vmcnt(0)
	v_cvt_f32_f16_e32 v7, v5
	v_cmp_o_f16_e32 vcc, v5, v5
	v_bfe_u32 v5, v7, 16, 1
	v_add3_u32 v5, v7, v5, s0
	v_cndmask_b32_sdwa v10, v10, v5, vcc dst_sel:DWORD dst_unused:UNUSED_PAD src0_sel:DWORD src1_sel:WORD_1
.LBB489_1623:
	s_mov_b64 s[0:1], 0
.LBB489_1624:
	s_andn2_b64 vcc, exec, s[0:1]
	s_cbranch_vccnz .LBB489_1635
; %bb.1625:
	s_cmp_lt_i32 s17, 6
	s_cbranch_scc1 .LBB489_1628
; %bb.1626:
	s_cmp_gt_i32 s17, 6
	s_cbranch_scc0 .LBB489_1629
; %bb.1627:
	global_load_dwordx2 v[10:11], v[8:9], off
	s_movk_i32 s0, 0x7fff
	v_mov_b32_e32 v5, 0x7fc0
	s_waitcnt vmcnt(0)
	v_cvt_f32_f64_e32 v7, v[10:11]
	v_bfe_u32 v10, v7, 16, 1
	v_cmp_o_f32_e32 vcc, v7, v7
	v_add3_u32 v7, v7, v10, s0
	s_mov_b64 s[0:1], 0
	v_cndmask_b32_sdwa v10, v5, v7, vcc dst_sel:DWORD dst_unused:UNUSED_PAD src0_sel:DWORD src1_sel:WORD_1
	s_branch .LBB489_1630
.LBB489_1628:
	s_mov_b64 s[0:1], -1
                                        ; implicit-def: $vgpr10
	s_branch .LBB489_1633
.LBB489_1629:
	s_mov_b64 s[0:1], -1
                                        ; implicit-def: $vgpr10
.LBB489_1630:
	s_andn2_b64 vcc, exec, s[0:1]
	s_cbranch_vccnz .LBB489_1632
; %bb.1631:
	global_load_dword v5, v[8:9], off
	s_movk_i32 s0, 0x7fff
	v_mov_b32_e32 v7, 0x7fc0
	s_waitcnt vmcnt(0)
	v_bfe_u32 v10, v5, 16, 1
	v_cmp_o_f32_e32 vcc, v5, v5
	v_add3_u32 v5, v5, v10, s0
	s_nop 0
	v_cndmask_b32_sdwa v10, v7, v5, vcc dst_sel:DWORD dst_unused:UNUSED_PAD src0_sel:DWORD src1_sel:WORD_1
.LBB489_1632:
	s_mov_b64 s[0:1], 0
.LBB489_1633:
	s_andn2_b64 vcc, exec, s[0:1]
	s_cbranch_vccnz .LBB489_1635
; %bb.1634:
	global_load_ushort v5, v[8:9], off
	s_movk_i32 s0, 0x7fff
	s_waitcnt vmcnt(1)
	v_mov_b32_e32 v10, 0x7fc0
	s_waitcnt vmcnt(0)
	v_cvt_f32_f16_e32 v7, v5
	v_cmp_o_f16_e32 vcc, v5, v5
	v_bfe_u32 v5, v7, 16, 1
	v_add3_u32 v5, v7, v5, s0
	v_cndmask_b32_sdwa v10, v10, v5, vcc dst_sel:DWORD dst_unused:UNUSED_PAD src0_sel:DWORD src1_sel:WORD_1
.LBB489_1635:
	s_mov_b64 s[0:1], 0
.LBB489_1636:
	s_andn2_b64 vcc, exec, s[0:1]
	s_cbranch_vccnz .LBB489_1656
; %bb.1637:
	s_cmp_lt_i32 s17, 2
	s_cbranch_scc1 .LBB489_1641
; %bb.1638:
	s_cmp_lt_i32 s17, 3
	s_cbranch_scc1 .LBB489_1642
; %bb.1639:
	s_cmp_gt_i32 s17, 3
	s_cbranch_scc0 .LBB489_1643
; %bb.1640:
	global_load_dwordx2 v[10:11], v[8:9], off
	s_movk_i32 s0, 0x7fff
	s_waitcnt vmcnt(0)
	v_xor_b32_e32 v7, v10, v11
	v_ffbh_i32_e32 v5, v11
	v_ashrrev_i32_e32 v7, 31, v7
	v_add_u32_e32 v5, -1, v5
	v_add_u32_e32 v7, 32, v7
	v_min_u32_e32 v5, v5, v7
	v_lshlrev_b64 v[10:11], v5, v[10:11]
	v_min_u32_e32 v7, 1, v10
	v_or_b32_e32 v7, v11, v7
	v_cvt_f32_i32_e32 v7, v7
	v_sub_u32_e32 v5, 32, v5
	v_ldexp_f32 v5, v7, v5
	v_bfe_u32 v7, v5, 16, 1
	v_add3_u32 v5, v5, v7, s0
	v_lshrrev_b32_e32 v10, 16, v5
	s_mov_b64 s[0:1], 0
	s_branch .LBB489_1644
.LBB489_1641:
	s_mov_b64 s[0:1], -1
                                        ; implicit-def: $vgpr10
	s_branch .LBB489_1650
.LBB489_1642:
	s_mov_b64 s[0:1], -1
                                        ; implicit-def: $vgpr10
	s_branch .LBB489_1647
.LBB489_1643:
	s_mov_b64 s[0:1], -1
                                        ; implicit-def: $vgpr10
.LBB489_1644:
	s_andn2_b64 vcc, exec, s[0:1]
	s_cbranch_vccnz .LBB489_1646
; %bb.1645:
	global_load_dword v5, v[8:9], off
	s_movk_i32 s0, 0x7fff
	s_waitcnt vmcnt(0)
	v_cvt_f32_i32_e32 v5, v5
	v_bfe_u32 v7, v5, 16, 1
	v_add3_u32 v5, v5, v7, s0
	v_lshrrev_b32_e32 v10, 16, v5
.LBB489_1646:
	s_mov_b64 s[0:1], 0
.LBB489_1647:
	s_andn2_b64 vcc, exec, s[0:1]
	s_cbranch_vccnz .LBB489_1649
; %bb.1648:
	global_load_sshort v5, v[8:9], off
	s_movk_i32 s0, 0x7fff
	s_waitcnt vmcnt(0)
	v_cvt_f32_i32_e32 v5, v5
	v_bfe_u32 v7, v5, 16, 1
	v_add3_u32 v5, v5, v7, s0
	v_lshrrev_b32_e32 v10, 16, v5
.LBB489_1649:
	s_mov_b64 s[0:1], 0
.LBB489_1650:
	s_andn2_b64 vcc, exec, s[0:1]
	s_cbranch_vccnz .LBB489_1656
; %bb.1651:
	s_cmp_gt_i32 s17, 0
	s_cbranch_scc0 .LBB489_1653
; %bb.1652:
	global_load_sbyte v5, v[8:9], off
	s_movk_i32 s0, 0x7fff
	s_waitcnt vmcnt(0)
	v_cvt_f32_i32_e32 v5, v5
	v_bfe_u32 v7, v5, 16, 1
	v_add3_u32 v5, v5, v7, s0
	v_lshrrev_b32_e32 v10, 16, v5
	s_mov_b64 s[0:1], 0
	s_branch .LBB489_1654
.LBB489_1653:
	s_mov_b64 s[0:1], -1
                                        ; implicit-def: $vgpr10
.LBB489_1654:
	s_andn2_b64 vcc, exec, s[0:1]
	s_cbranch_vccnz .LBB489_1656
; %bb.1655:
	global_load_ubyte v5, v[8:9], off
	s_movk_i32 s0, 0x7fff
	s_waitcnt vmcnt(0)
	v_cvt_f32_ubyte0_e32 v5, v5
	v_bfe_u32 v7, v5, 16, 1
	v_add3_u32 v5, v5, v7, s0
	v_lshrrev_b32_e32 v10, 16, v5
.LBB489_1656:
	s_mov_b64 s[8:9], -1
.LBB489_1657:
	s_andn2_b64 vcc, exec, s[8:9]
	s_cbranch_vccnz .LBB489_2091
; %bb.1658:
	s_load_dword s14, s[34:35], 0x158
	s_waitcnt vmcnt(0)
	v_lshlrev_b32_e32 v5, 16, v1
	v_cmp_u_f32_e32 vcc, v5, v5
	s_bfe_u32 s17, s16, 0x80010
	s_waitcnt lgkmcnt(0)
	s_lshl_b32 s15, s14, 16
	v_cmp_gt_f32_e64 s[0:1], s15, v5
	v_mov_b32_e32 v7, s14
	s_or_b64 vcc, vcc, s[0:1]
	v_cndmask_b32_e32 v1, v7, v1, vcc
	v_mov_b32_e32 v7, 0
	s_cmp_lt_i32 s17, 11
	v_lshl_add_u64 v[6:7], s[4:5], 0, v[6:7]
	s_cbranch_scc1 .LBB489_1736
; %bb.1659:
	s_and_b32 s18, 0xffff, s17
	s_mov_b64 s[10:11], -1
	s_mov_b64 s[6:7], 0
	s_cmp_gt_i32 s18, 25
	s_mov_b64 s[8:9], 0
	s_mov_b64 s[0:1], 0
	s_cbranch_scc0 .LBB489_1692
; %bb.1660:
	s_cmp_gt_i32 s18, 28
	s_cbranch_scc0 .LBB489_1675
; %bb.1661:
	s_cmp_gt_i32 s18, 43
	s_cbranch_scc0 .LBB489_1671
; %bb.1662:
	s_cmp_gt_i32 s18, 45
	s_cbranch_scc0 .LBB489_1665
; %bb.1663:
	s_mov_b64 s[0:1], -1
	s_mov_b64 s[10:11], 0
	s_cmp_eq_u32 s18, 46
	s_cbranch_scc0 .LBB489_1665
; %bb.1664:
	v_and_b32_e32 v5, 0xffff, v1
	global_store_dword v[6:7], v5, off
	s_mov_b64 s[0:1], 0
	s_mov_b64 s[8:9], -1
.LBB489_1665:
	s_and_b64 vcc, exec, s[10:11]
	s_cbranch_vccz .LBB489_1670
; %bb.1666:
	s_cmp_eq_u32 s18, 44
	s_mov_b64 s[0:1], -1
	s_cbranch_scc0 .LBB489_1670
; %bb.1667:
	v_and_b32_e32 v8, 0xffff, v1
	v_bfe_u32 v5, v8, 7, 8
	s_movk_i32 s0, 0xff
	v_cmp_ne_u32_e32 vcc, s0, v5
	v_mov_b32_e32 v9, 0xff
	s_and_saveexec_b64 s[8:9], vcc
	s_cbranch_execz .LBB489_1669
; %bb.1668:
	v_lshlrev_b32_e32 v11, 16, v8
	s_mov_b32 s0, 0x3f0000
	v_lshrrev_b32_e32 v9, 7, v8
	v_and_b32_e32 v8, 64, v8
	v_and_or_b32 v5, v11, s0, v5
	v_cmp_ne_u32_e32 vcc, 0, v8
	v_cmp_ne_u32_e64 s[0:1], 0, v5
	s_and_b64 s[0:1], vcc, s[0:1]
	s_nop 0
	v_cndmask_b32_e64 v5, 0, 1, s[0:1]
	v_add_u32_e32 v9, v9, v5
.LBB489_1669:
	s_or_b64 exec, exec, s[8:9]
	s_mov_b64 s[0:1], 0
	s_mov_b64 s[8:9], -1
	global_store_byte v[6:7], v9, off
.LBB489_1670:
	s_mov_b64 s[10:11], 0
.LBB489_1671:
	s_and_b64 vcc, exec, s[10:11]
	s_cbranch_vccz .LBB489_1674
; %bb.1672:
	s_cmp_eq_u32 s18, 29
	s_mov_b64 s[0:1], -1
	s_cbranch_scc0 .LBB489_1674
; %bb.1673:
	v_lshlrev_b32_e32 v5, 16, v1
	v_trunc_f32_e32 v5, v5
	v_mul_f32_e32 v8, 0x2f800000, v5
	v_floor_f32_e32 v8, v8
	v_fmamk_f32 v5, v8, 0xcf800000, v5
	v_cvt_u32_f32_e32 v9, v8
	v_cvt_u32_f32_e32 v8, v5
	s_mov_b64 s[0:1], 0
	s_mov_b64 s[8:9], -1
	global_store_dwordx2 v[6:7], v[8:9], off
.LBB489_1674:
	s_mov_b64 s[10:11], 0
.LBB489_1675:
	s_and_b64 vcc, exec, s[10:11]
	s_cbranch_vccz .LBB489_1691
; %bb.1676:
	s_cmp_lt_i32 s18, 27
	s_mov_b64 s[8:9], -1
	s_cbranch_scc1 .LBB489_1682
; %bb.1677:
	s_cmp_gt_i32 s18, 27
	s_cbranch_scc0 .LBB489_1679
; %bb.1678:
	v_lshlrev_b32_e32 v5, 16, v1
	v_cvt_u32_f32_e32 v5, v5
	s_mov_b64 s[8:9], 0
	global_store_dword v[6:7], v5, off
.LBB489_1679:
	s_andn2_b64 vcc, exec, s[8:9]
	s_cbranch_vccnz .LBB489_1681
; %bb.1680:
	v_lshlrev_b32_e32 v5, 16, v1
	v_cvt_u32_f32_e32 v5, v5
	global_store_short v[6:7], v5, off
.LBB489_1681:
	s_mov_b64 s[8:9], 0
.LBB489_1682:
	s_andn2_b64 vcc, exec, s[8:9]
	s_cbranch_vccnz .LBB489_1690
; %bb.1683:
	v_lshlrev_b32_e32 v9, 16, v1
	v_and_b32_e32 v8, 0x7fffffff, v9
	s_mov_b32 s8, 0x43800000
	v_cmp_gt_u32_e32 vcc, s8, v8
	v_mov_b32_e32 v11, 0x80
	s_and_saveexec_b64 s[8:9], vcc
	s_cbranch_execz .LBB489_1689
; %bb.1684:
	s_mov_b32 s10, 0x3bffffff
	v_and_b32_e32 v5, 0xffff, v1
	v_cmp_lt_u32_e32 vcc, s10, v8
	s_mov_b64 s[10:11], 0
                                        ; implicit-def: $vgpr8
	s_and_saveexec_b64 s[12:13], vcc
	s_xor_b64 s[12:13], exec, s[12:13]
	s_cbranch_execz .LBB489_2138
; %bb.1685:
	v_bfe_u32 v8, v5, 4, 1
	s_mov_b32 s19, 0x487ffff
	v_add3_u32 v8, v9, v8, s19
	s_mov_b64 s[10:11], exec
	v_lshrrev_b32_e32 v8, 20, v8
                                        ; implicit-def: $vgpr9
	s_andn2_saveexec_b64 s[12:13], s[12:13]
	s_cbranch_execnz .LBB489_2139
.LBB489_1686:
	s_or_b64 exec, exec, s[12:13]
	v_mov_b32_e32 v11, 0
	s_and_saveexec_b64 s[12:13], s[10:11]
.LBB489_1687:
	v_lshrrev_b32_e32 v5, 8, v5
	s_movk_i32 s10, 0x80
	v_and_or_b32 v11, v5, s10, v8
.LBB489_1688:
	s_or_b64 exec, exec, s[12:13]
.LBB489_1689:
	s_or_b64 exec, exec, s[8:9]
	global_store_byte v[6:7], v11, off
.LBB489_1690:
	s_mov_b64 s[8:9], -1
.LBB489_1691:
	s_mov_b64 s[10:11], 0
.LBB489_1692:
	s_and_b64 vcc, exec, s[10:11]
	s_cbranch_vccz .LBB489_1732
; %bb.1693:
	s_cmp_gt_i32 s18, 22
	s_mov_b64 s[6:7], -1
	s_cbranch_scc0 .LBB489_1725
; %bb.1694:
	s_cmp_lt_i32 s18, 24
	s_cbranch_scc1 .LBB489_1714
; %bb.1695:
	s_cmp_gt_i32 s18, 24
	s_cbranch_scc0 .LBB489_1703
; %bb.1696:
	v_lshlrev_b32_e32 v9, 16, v1
	v_and_b32_e32 v8, 0x7fffffff, v9
	s_mov_b32 s6, 0x47800000
	v_cmp_gt_u32_e32 vcc, s6, v8
	v_mov_b32_e32 v11, 0x80
	s_and_saveexec_b64 s[6:7], vcc
	s_cbranch_execz .LBB489_1702
; %bb.1697:
	s_mov_b32 s8, 0x37ffffff
	v_and_b32_e32 v5, 0xffff, v1
	v_cmp_lt_u32_e32 vcc, s8, v8
	s_mov_b64 s[8:9], 0
                                        ; implicit-def: $vgpr8
	s_and_saveexec_b64 s[10:11], vcc
	s_xor_b64 s[10:11], exec, s[10:11]
	s_cbranch_execz .LBB489_2141
; %bb.1698:
	v_bfe_u32 v8, v5, 5, 1
	s_mov_b32 s12, 0x88fffff
	v_add3_u32 v8, v9, v8, s12
	s_mov_b64 s[8:9], exec
	v_lshrrev_b32_e32 v8, 21, v8
                                        ; implicit-def: $vgpr9
	s_andn2_saveexec_b64 s[10:11], s[10:11]
	s_cbranch_execnz .LBB489_2142
.LBB489_1699:
	s_or_b64 exec, exec, s[10:11]
	v_mov_b32_e32 v11, 0
	s_and_saveexec_b64 s[10:11], s[8:9]
.LBB489_1700:
	v_lshrrev_b32_e32 v5, 8, v5
	s_movk_i32 s8, 0x80
	v_and_or_b32 v11, v5, s8, v8
.LBB489_1701:
	s_or_b64 exec, exec, s[10:11]
.LBB489_1702:
	s_or_b64 exec, exec, s[6:7]
	s_mov_b64 s[6:7], 0
	global_store_byte v[6:7], v11, off
.LBB489_1703:
	s_and_b64 vcc, exec, s[6:7]
	s_cbranch_vccz .LBB489_1713
; %bb.1704:
	v_lshlrev_b32_e32 v9, 16, v1
	v_and_b32_e32 v11, 0x7fffffff, v9
	s_mov_b32 s6, 0x43f00000
	v_and_b32_e32 v5, 0xffff, v1
	v_cmp_gt_u32_e32 vcc, s6, v11
                                        ; implicit-def: $vgpr8
	s_and_saveexec_b64 s[6:7], vcc
	s_xor_b64 s[6:7], exec, s[6:7]
	s_cbranch_execz .LBB489_1710
; %bb.1705:
	s_mov_b32 s8, 0x3c7fffff
	v_cmp_lt_u32_e32 vcc, s8, v11
                                        ; implicit-def: $vgpr8
	s_and_saveexec_b64 s[8:9], vcc
	s_xor_b64 s[8:9], exec, s[8:9]
; %bb.1706:
	v_bfe_u32 v8, v5, 4, 1
	s_mov_b32 s10, 0x407ffff
	v_add3_u32 v8, v9, v8, s10
	v_lshrrev_b32_e32 v9, 20, v8
	v_and_b32_e32 v8, 0xff00000, v8
	s_mov_b32 s10, 0x7f00000
	v_mov_b32_e32 v11, 0x7e
	v_cmp_ne_u32_e32 vcc, s10, v8
	s_nop 1
	v_cndmask_b32_e32 v8, v11, v9, vcc
                                        ; implicit-def: $vgpr9
; %bb.1707:
	s_andn2_saveexec_b64 s[8:9], s[8:9]
; %bb.1708:
	s_mov_b32 s10, 0x46800000
	v_add_f32_e64 v8, |v9|, s10
; %bb.1709:
	s_or_b64 exec, exec, s[8:9]
                                        ; implicit-def: $vgpr11
.LBB489_1710:
	s_andn2_saveexec_b64 s[6:7], s[6:7]
; %bb.1711:
	s_mov_b32 s8, 0x7f800000
	v_mov_b32_e32 v8, 0x7e
	v_mov_b32_e32 v9, 0x7f
	v_cmp_lt_u32_e32 vcc, s8, v11
	s_nop 1
	v_cndmask_b32_e32 v8, v8, v9, vcc
; %bb.1712:
	s_or_b64 exec, exec, s[6:7]
	v_lshrrev_b32_e32 v5, 8, v5
	s_movk_i32 s6, 0x80
	v_and_or_b32 v5, v5, s6, v8
	global_store_byte v[6:7], v5, off
.LBB489_1713:
	s_mov_b64 s[6:7], 0
.LBB489_1714:
	s_andn2_b64 vcc, exec, s[6:7]
	s_cbranch_vccnz .LBB489_1724
; %bb.1715:
	v_lshlrev_b32_e32 v9, 16, v1
	v_and_b32_e32 v11, 0x7fffffff, v9
	s_mov_b32 s6, 0x47800000
	v_and_b32_e32 v5, 0xffff, v1
	v_cmp_gt_u32_e32 vcc, s6, v11
                                        ; implicit-def: $vgpr8
	s_and_saveexec_b64 s[6:7], vcc
	s_xor_b64 s[6:7], exec, s[6:7]
	s_cbranch_execz .LBB489_1721
; %bb.1716:
	s_mov_b32 s8, 0x387fffff
	v_cmp_lt_u32_e32 vcc, s8, v11
                                        ; implicit-def: $vgpr8
	s_and_saveexec_b64 s[8:9], vcc
	s_xor_b64 s[8:9], exec, s[8:9]
; %bb.1717:
	v_bfe_u32 v8, v5, 5, 1
	s_mov_b32 s10, 0x80fffff
	v_add3_u32 v8, v9, v8, s10
	v_lshrrev_b32_e32 v8, 21, v8
                                        ; implicit-def: $vgpr9
; %bb.1718:
	s_andn2_saveexec_b64 s[8:9], s[8:9]
; %bb.1719:
	s_mov_b32 s10, 0x43000000
	v_add_f32_e64 v8, |v9|, s10
; %bb.1720:
	s_or_b64 exec, exec, s[8:9]
                                        ; implicit-def: $vgpr11
.LBB489_1721:
	s_andn2_saveexec_b64 s[6:7], s[6:7]
; %bb.1722:
	s_mov_b32 s8, 0x7f800000
	v_mov_b32_e32 v8, 0x7c
	v_mov_b32_e32 v9, 0x7f
	v_cmp_lt_u32_e32 vcc, s8, v11
	s_nop 1
	v_cndmask_b32_e32 v8, v8, v9, vcc
; %bb.1723:
	s_or_b64 exec, exec, s[6:7]
	v_lshrrev_b32_e32 v5, 8, v5
	s_movk_i32 s6, 0x80
	v_and_or_b32 v5, v5, s6, v8
	global_store_byte v[6:7], v5, off
.LBB489_1724:
	s_mov_b64 s[6:7], 0
	s_mov_b64 s[8:9], -1
.LBB489_1725:
	s_andn2_b64 vcc, exec, s[6:7]
	s_mov_b64 s[6:7], 0
	s_cbranch_vccnz .LBB489_1732
; %bb.1726:
	s_cmp_gt_i32 s18, 14
	s_mov_b64 s[10:11], -1
	s_cbranch_scc0 .LBB489_1730
; %bb.1727:
	s_cmp_eq_u32 s18, 15
	s_mov_b64 s[0:1], -1
	s_cbranch_scc0 .LBB489_1729
; %bb.1728:
	global_store_short v[6:7], v1, off
	s_mov_b64 s[0:1], 0
	s_mov_b64 s[8:9], -1
.LBB489_1729:
	s_mov_b64 s[10:11], 0
.LBB489_1730:
	s_and_b64 vcc, exec, s[10:11]
	s_cbranch_vccz .LBB489_1732
; %bb.1731:
	s_cmp_lg_u32 s18, 11
	s_mov_b64 s[6:7], -1
	s_cselect_b64 s[0:1], -1, 0
.LBB489_1732:
	s_and_b64 vcc, exec, s[0:1]
	s_cbranch_vccnz .LBB489_2140
; %bb.1733:
	s_andn2_b64 vcc, exec, s[6:7]
	s_cbranch_vccnz .LBB489_1735
.LBB489_1734:
	v_and_b32_e32 v5, 0x7fff, v1
	v_cmp_ne_u16_e32 vcc, 0, v5
	s_mov_b64 s[8:9], -1
	s_nop 0
	v_cndmask_b32_e64 v5, 0, 1, vcc
	global_store_byte v[6:7], v5, off
.LBB489_1735:
	s_mov_b64 s[0:1], 0
	s_branch .LBB489_1737
.LBB489_1736:
	s_mov_b64 s[0:1], -1
	s_mov_b64 s[8:9], 0
.LBB489_1737:
	s_and_b64 vcc, exec, s[0:1]
	s_cbranch_vccz .LBB489_1776
; %bb.1738:
	s_and_b32 s6, 0xffff, s17
	s_cmp_lt_i32 s6, 5
	s_mov_b64 s[0:1], -1
	s_cbranch_scc1 .LBB489_1759
; %bb.1739:
	s_cmp_lt_i32 s6, 8
	s_cbranch_scc1 .LBB489_1749
; %bb.1740:
	s_cmp_lt_i32 s6, 9
	s_cbranch_scc1 .LBB489_1746
; %bb.1741:
	s_cmp_gt_i32 s6, 9
	s_cbranch_scc0 .LBB489_1743
; %bb.1742:
	v_lshlrev_b32_e32 v5, 16, v1
	v_mov_b32_e32 v16, 0
	v_cvt_f64_f32_e32 v[14:15], v5
	v_mov_b32_e32 v17, v16
	global_store_dwordx4 v[6:7], v[14:17], off
	s_mov_b64 s[0:1], 0
.LBB489_1743:
	s_andn2_b64 vcc, exec, s[0:1]
	s_cbranch_vccnz .LBB489_1745
; %bb.1744:
	v_lshlrev_b32_e32 v8, 16, v1
	v_mov_b32_e32 v9, 0
	global_store_dwordx2 v[6:7], v[8:9], off
.LBB489_1745:
	s_mov_b64 s[0:1], 0
.LBB489_1746:
	s_andn2_b64 vcc, exec, s[0:1]
	s_cbranch_vccnz .LBB489_1748
; %bb.1747:
	v_lshlrev_b32_e32 v5, 16, v1
	v_cvt_f16_f32_e32 v5, v5
	global_store_dword v[6:7], v5, off
.LBB489_1748:
	s_mov_b64 s[0:1], 0
.LBB489_1749:
	s_andn2_b64 vcc, exec, s[0:1]
	s_cbranch_vccnz .LBB489_1758
; %bb.1750:
	s_cmp_lt_i32 s6, 6
	s_mov_b64 s[0:1], -1
	s_cbranch_scc1 .LBB489_1756
; %bb.1751:
	s_cmp_gt_i32 s6, 6
	s_cbranch_scc0 .LBB489_1753
; %bb.1752:
	v_lshlrev_b32_e32 v5, 16, v1
	v_cvt_f64_f32_e32 v[8:9], v5
	global_store_dwordx2 v[6:7], v[8:9], off
	s_mov_b64 s[0:1], 0
.LBB489_1753:
	s_andn2_b64 vcc, exec, s[0:1]
	s_cbranch_vccnz .LBB489_1755
; %bb.1754:
	v_lshlrev_b32_e32 v5, 16, v1
	global_store_dword v[6:7], v5, off
.LBB489_1755:
	s_mov_b64 s[0:1], 0
.LBB489_1756:
	s_andn2_b64 vcc, exec, s[0:1]
	s_cbranch_vccnz .LBB489_1758
; %bb.1757:
	v_lshlrev_b32_e32 v5, 16, v1
	v_cvt_f16_f32_e32 v5, v5
	global_store_short v[6:7], v5, off
.LBB489_1758:
	s_mov_b64 s[0:1], 0
.LBB489_1759:
	s_andn2_b64 vcc, exec, s[0:1]
	s_cbranch_vccnz .LBB489_1775
; %bb.1760:
	s_cmp_lt_i32 s6, 2
	s_mov_b64 s[0:1], -1
	s_cbranch_scc1 .LBB489_1770
; %bb.1761:
	s_cmp_lt_i32 s6, 3
	s_cbranch_scc1 .LBB489_1767
; %bb.1762:
	s_cmp_gt_i32 s6, 3
	s_cbranch_scc0 .LBB489_1764
; %bb.1763:
	v_lshlrev_b32_e32 v5, 16, v1
	v_trunc_f32_e32 v5, v5
	s_mov_b32 s0, 0x2f800000
	v_mul_f32_e64 v8, |v5|, s0
	v_floor_f32_e32 v8, v8
	s_mov_b32 s0, 0xcf800000
	v_cvt_u32_f32_e32 v9, v8
	v_fma_f32 v8, v8, s0, |v5|
	v_cvt_u32_f32_e32 v8, v8
	v_ashrrev_i32_e32 v5, 31, v5
	v_xor_b32_e32 v9, v9, v5
	s_mov_b64 s[0:1], 0
	v_xor_b32_e32 v8, v8, v5
	v_sub_co_u32_e32 v8, vcc, v8, v5
	s_nop 1
	v_subb_co_u32_e32 v9, vcc, v9, v5, vcc
	global_store_dwordx2 v[6:7], v[8:9], off
.LBB489_1764:
	s_andn2_b64 vcc, exec, s[0:1]
	s_cbranch_vccnz .LBB489_1766
; %bb.1765:
	v_lshlrev_b32_e32 v5, 16, v1
	v_cvt_i32_f32_e32 v5, v5
	global_store_dword v[6:7], v5, off
.LBB489_1766:
	s_mov_b64 s[0:1], 0
.LBB489_1767:
	s_andn2_b64 vcc, exec, s[0:1]
	s_cbranch_vccnz .LBB489_1769
; %bb.1768:
	v_lshlrev_b32_e32 v5, 16, v1
	v_cvt_i32_f32_e32 v5, v5
	global_store_short v[6:7], v5, off
.LBB489_1769:
	s_mov_b64 s[0:1], 0
.LBB489_1770:
	s_andn2_b64 vcc, exec, s[0:1]
	s_cbranch_vccnz .LBB489_1775
; %bb.1771:
	s_mov_b64 s[0:1], -1
	s_cmp_gt_i32 s6, 0
	v_lshlrev_b32_e32 v1, 16, v1
	s_cbranch_scc0 .LBB489_1773
; %bb.1772:
	v_cvt_i32_f32_e32 v5, v1
	s_mov_b64 s[0:1], 0
	global_store_byte v[6:7], v5, off
.LBB489_1773:
	s_andn2_b64 vcc, exec, s[0:1]
	s_cbranch_vccnz .LBB489_1775
; %bb.1774:
	v_trunc_f32_e32 v1, v1
	s_mov_b32 s0, 0x2f800000
	v_mul_f32_e64 v5, |v1|, s0
	v_floor_f32_e32 v5, v5
	s_mov_b32 s0, 0xcf800000
	v_fma_f32 v5, v5, s0, |v1|
	v_cvt_u32_f32_e32 v5, v5
	v_ashrrev_i32_e32 v1, 31, v1
	v_xor_b32_e32 v5, v5, v1
	v_sub_u32_e32 v1, v5, v1
	global_store_byte v[6:7], v1, off
.LBB489_1775:
	s_mov_b64 s[8:9], -1
.LBB489_1776:
	s_andn2_b64 vcc, exec, s[8:9]
	s_cbranch_vccnz .LBB489_2091
; %bb.1777:
	s_lshr_b32 s0, s16, 16
	v_lshlrev_b32_e32 v1, 16, v3
	s_and_b32 s17, 0xffff, s14
	s_and_b32 s14, s0, 0xff
	v_cmp_u_f32_e32 vcc, v1, v1
	v_cmp_gt_f32_e64 s[0:1], s15, v1
	v_mov_b32_e32 v1, s17
	s_or_b64 vcc, vcc, s[0:1]
	v_mov_b32_e32 v5, 0
	v_cndmask_b32_e32 v1, v1, v3, vcc
	s_cmp_lt_i32 s14, 11
	v_lshl_add_u64 v[4:5], s[4:5], 0, v[4:5]
	s_cbranch_scc1 .LBB489_1855
; %bb.1778:
	s_and_b32 s16, 0xffff, s14
	s_mov_b64 s[10:11], -1
	s_mov_b64 s[6:7], 0
	s_cmp_gt_i32 s16, 25
	s_mov_b64 s[8:9], 0
	s_mov_b64 s[0:1], 0
	s_cbranch_scc0 .LBB489_1811
; %bb.1779:
	s_cmp_gt_i32 s16, 28
	s_cbranch_scc0 .LBB489_1794
; %bb.1780:
	s_cmp_gt_i32 s16, 43
	;; [unrolled: 3-line block ×3, first 2 shown]
	s_cbranch_scc0 .LBB489_1784
; %bb.1782:
	s_mov_b64 s[0:1], -1
	s_mov_b64 s[10:11], 0
	s_cmp_eq_u32 s16, 46
	s_cbranch_scc0 .LBB489_1784
; %bb.1783:
	v_and_b32_e32 v3, 0xffff, v1
	global_store_dword v[4:5], v3, off
	s_mov_b64 s[0:1], 0
	s_mov_b64 s[8:9], -1
.LBB489_1784:
	s_and_b64 vcc, exec, s[10:11]
	s_cbranch_vccz .LBB489_1789
; %bb.1785:
	s_cmp_eq_u32 s16, 44
	s_mov_b64 s[0:1], -1
	s_cbranch_scc0 .LBB489_1789
; %bb.1786:
	v_and_b32_e32 v6, 0xffff, v1
	v_bfe_u32 v3, v6, 7, 8
	s_movk_i32 s0, 0xff
	v_cmp_ne_u32_e32 vcc, s0, v3
	v_mov_b32_e32 v7, 0xff
	s_and_saveexec_b64 s[8:9], vcc
	s_cbranch_execz .LBB489_1788
; %bb.1787:
	v_lshlrev_b32_e32 v8, 16, v6
	s_mov_b32 s0, 0x3f0000
	v_lshrrev_b32_e32 v7, 7, v6
	v_and_b32_e32 v6, 64, v6
	v_and_or_b32 v3, v8, s0, v3
	v_cmp_ne_u32_e32 vcc, 0, v6
	v_cmp_ne_u32_e64 s[0:1], 0, v3
	s_and_b64 s[0:1], vcc, s[0:1]
	s_nop 0
	v_cndmask_b32_e64 v3, 0, 1, s[0:1]
	v_add_u32_e32 v7, v7, v3
.LBB489_1788:
	s_or_b64 exec, exec, s[8:9]
	s_mov_b64 s[0:1], 0
	s_mov_b64 s[8:9], -1
	global_store_byte v[4:5], v7, off
.LBB489_1789:
	s_mov_b64 s[10:11], 0
.LBB489_1790:
	s_and_b64 vcc, exec, s[10:11]
	s_cbranch_vccz .LBB489_1793
; %bb.1791:
	s_cmp_eq_u32 s16, 29
	s_mov_b64 s[0:1], -1
	s_cbranch_scc0 .LBB489_1793
; %bb.1792:
	v_lshlrev_b32_e32 v3, 16, v1
	v_trunc_f32_e32 v3, v3
	v_mul_f32_e32 v6, 0x2f800000, v3
	v_floor_f32_e32 v6, v6
	v_fmamk_f32 v3, v6, 0xcf800000, v3
	v_cvt_u32_f32_e32 v7, v6
	v_cvt_u32_f32_e32 v6, v3
	s_mov_b64 s[0:1], 0
	s_mov_b64 s[8:9], -1
	global_store_dwordx2 v[4:5], v[6:7], off
.LBB489_1793:
	s_mov_b64 s[10:11], 0
.LBB489_1794:
	s_and_b64 vcc, exec, s[10:11]
	s_cbranch_vccz .LBB489_1810
; %bb.1795:
	s_cmp_lt_i32 s16, 27
	s_mov_b64 s[8:9], -1
	s_cbranch_scc1 .LBB489_1801
; %bb.1796:
	s_cmp_gt_i32 s16, 27
	s_cbranch_scc0 .LBB489_1798
; %bb.1797:
	v_lshlrev_b32_e32 v3, 16, v1
	v_cvt_u32_f32_e32 v3, v3
	s_mov_b64 s[8:9], 0
	global_store_dword v[4:5], v3, off
.LBB489_1798:
	s_andn2_b64 vcc, exec, s[8:9]
	s_cbranch_vccnz .LBB489_1800
; %bb.1799:
	v_lshlrev_b32_e32 v3, 16, v1
	v_cvt_u32_f32_e32 v3, v3
	global_store_short v[4:5], v3, off
.LBB489_1800:
	s_mov_b64 s[8:9], 0
.LBB489_1801:
	s_andn2_b64 vcc, exec, s[8:9]
	s_cbranch_vccnz .LBB489_1809
; %bb.1802:
	v_lshlrev_b32_e32 v7, 16, v1
	v_and_b32_e32 v6, 0x7fffffff, v7
	s_mov_b32 s8, 0x43800000
	v_cmp_gt_u32_e32 vcc, s8, v6
	v_mov_b32_e32 v8, 0x80
	s_and_saveexec_b64 s[8:9], vcc
	s_cbranch_execz .LBB489_1808
; %bb.1803:
	s_mov_b32 s10, 0x3bffffff
	v_and_b32_e32 v3, 0xffff, v1
	v_cmp_lt_u32_e32 vcc, s10, v6
	s_mov_b64 s[10:11], 0
                                        ; implicit-def: $vgpr6
	s_and_saveexec_b64 s[12:13], vcc
	s_xor_b64 s[12:13], exec, s[12:13]
	s_cbranch_execz .LBB489_2143
; %bb.1804:
	v_bfe_u32 v6, v3, 4, 1
	s_mov_b32 s18, 0x487ffff
	v_add3_u32 v6, v7, v6, s18
	s_mov_b64 s[10:11], exec
	v_lshrrev_b32_e32 v6, 20, v6
                                        ; implicit-def: $vgpr7
	s_andn2_saveexec_b64 s[12:13], s[12:13]
	s_cbranch_execnz .LBB489_2144
.LBB489_1805:
	s_or_b64 exec, exec, s[12:13]
	v_mov_b32_e32 v8, 0
	s_and_saveexec_b64 s[12:13], s[10:11]
.LBB489_1806:
	v_lshrrev_b32_e32 v3, 8, v3
	s_movk_i32 s10, 0x80
	v_and_or_b32 v8, v3, s10, v6
.LBB489_1807:
	s_or_b64 exec, exec, s[12:13]
.LBB489_1808:
	s_or_b64 exec, exec, s[8:9]
	global_store_byte v[4:5], v8, off
.LBB489_1809:
	s_mov_b64 s[8:9], -1
.LBB489_1810:
	s_mov_b64 s[10:11], 0
.LBB489_1811:
	s_and_b64 vcc, exec, s[10:11]
	s_cbranch_vccz .LBB489_1851
; %bb.1812:
	s_cmp_gt_i32 s16, 22
	s_mov_b64 s[6:7], -1
	s_cbranch_scc0 .LBB489_1844
; %bb.1813:
	s_cmp_lt_i32 s16, 24
	s_cbranch_scc1 .LBB489_1833
; %bb.1814:
	s_cmp_gt_i32 s16, 24
	s_cbranch_scc0 .LBB489_1822
; %bb.1815:
	v_lshlrev_b32_e32 v7, 16, v1
	v_and_b32_e32 v6, 0x7fffffff, v7
	s_mov_b32 s6, 0x47800000
	v_cmp_gt_u32_e32 vcc, s6, v6
	v_mov_b32_e32 v8, 0x80
	s_and_saveexec_b64 s[6:7], vcc
	s_cbranch_execz .LBB489_1821
; %bb.1816:
	s_mov_b32 s8, 0x37ffffff
	v_and_b32_e32 v3, 0xffff, v1
	v_cmp_lt_u32_e32 vcc, s8, v6
	s_mov_b64 s[8:9], 0
                                        ; implicit-def: $vgpr6
	s_and_saveexec_b64 s[10:11], vcc
	s_xor_b64 s[10:11], exec, s[10:11]
	s_cbranch_execz .LBB489_2146
; %bb.1817:
	v_bfe_u32 v6, v3, 5, 1
	s_mov_b32 s12, 0x88fffff
	v_add3_u32 v6, v7, v6, s12
	s_mov_b64 s[8:9], exec
	v_lshrrev_b32_e32 v6, 21, v6
                                        ; implicit-def: $vgpr7
	s_andn2_saveexec_b64 s[10:11], s[10:11]
	s_cbranch_execnz .LBB489_2147
.LBB489_1818:
	s_or_b64 exec, exec, s[10:11]
	v_mov_b32_e32 v8, 0
	s_and_saveexec_b64 s[10:11], s[8:9]
.LBB489_1819:
	v_lshrrev_b32_e32 v3, 8, v3
	s_movk_i32 s8, 0x80
	v_and_or_b32 v8, v3, s8, v6
.LBB489_1820:
	s_or_b64 exec, exec, s[10:11]
.LBB489_1821:
	s_or_b64 exec, exec, s[6:7]
	s_mov_b64 s[6:7], 0
	global_store_byte v[4:5], v8, off
.LBB489_1822:
	s_and_b64 vcc, exec, s[6:7]
	s_cbranch_vccz .LBB489_1832
; %bb.1823:
	v_lshlrev_b32_e32 v7, 16, v1
	v_and_b32_e32 v8, 0x7fffffff, v7
	s_mov_b32 s6, 0x43f00000
	v_and_b32_e32 v3, 0xffff, v1
	v_cmp_gt_u32_e32 vcc, s6, v8
                                        ; implicit-def: $vgpr6
	s_and_saveexec_b64 s[6:7], vcc
	s_xor_b64 s[6:7], exec, s[6:7]
	s_cbranch_execz .LBB489_1829
; %bb.1824:
	s_mov_b32 s8, 0x3c7fffff
	v_cmp_lt_u32_e32 vcc, s8, v8
                                        ; implicit-def: $vgpr6
	s_and_saveexec_b64 s[8:9], vcc
	s_xor_b64 s[8:9], exec, s[8:9]
; %bb.1825:
	v_bfe_u32 v6, v3, 4, 1
	s_mov_b32 s10, 0x407ffff
	v_add3_u32 v6, v7, v6, s10
	v_lshrrev_b32_e32 v7, 20, v6
	v_and_b32_e32 v6, 0xff00000, v6
	s_mov_b32 s10, 0x7f00000
	v_mov_b32_e32 v8, 0x7e
	v_cmp_ne_u32_e32 vcc, s10, v6
	s_nop 1
	v_cndmask_b32_e32 v6, v8, v7, vcc
                                        ; implicit-def: $vgpr7
; %bb.1826:
	s_andn2_saveexec_b64 s[8:9], s[8:9]
; %bb.1827:
	s_mov_b32 s10, 0x46800000
	v_add_f32_e64 v6, |v7|, s10
; %bb.1828:
	s_or_b64 exec, exec, s[8:9]
                                        ; implicit-def: $vgpr8
.LBB489_1829:
	s_andn2_saveexec_b64 s[6:7], s[6:7]
; %bb.1830:
	s_mov_b32 s8, 0x7f800000
	v_mov_b32_e32 v6, 0x7e
	v_mov_b32_e32 v7, 0x7f
	v_cmp_lt_u32_e32 vcc, s8, v8
	s_nop 1
	v_cndmask_b32_e32 v6, v6, v7, vcc
; %bb.1831:
	s_or_b64 exec, exec, s[6:7]
	v_lshrrev_b32_e32 v3, 8, v3
	s_movk_i32 s6, 0x80
	v_and_or_b32 v3, v3, s6, v6
	global_store_byte v[4:5], v3, off
.LBB489_1832:
	s_mov_b64 s[6:7], 0
.LBB489_1833:
	s_andn2_b64 vcc, exec, s[6:7]
	s_cbranch_vccnz .LBB489_1843
; %bb.1834:
	v_lshlrev_b32_e32 v7, 16, v1
	v_and_b32_e32 v8, 0x7fffffff, v7
	s_mov_b32 s6, 0x47800000
	v_and_b32_e32 v3, 0xffff, v1
	v_cmp_gt_u32_e32 vcc, s6, v8
                                        ; implicit-def: $vgpr6
	s_and_saveexec_b64 s[6:7], vcc
	s_xor_b64 s[6:7], exec, s[6:7]
	s_cbranch_execz .LBB489_1840
; %bb.1835:
	s_mov_b32 s8, 0x387fffff
	v_cmp_lt_u32_e32 vcc, s8, v8
                                        ; implicit-def: $vgpr6
	s_and_saveexec_b64 s[8:9], vcc
	s_xor_b64 s[8:9], exec, s[8:9]
; %bb.1836:
	v_bfe_u32 v6, v3, 5, 1
	s_mov_b32 s10, 0x80fffff
	v_add3_u32 v6, v7, v6, s10
	v_lshrrev_b32_e32 v6, 21, v6
                                        ; implicit-def: $vgpr7
; %bb.1837:
	s_andn2_saveexec_b64 s[8:9], s[8:9]
; %bb.1838:
	s_mov_b32 s10, 0x43000000
	v_add_f32_e64 v6, |v7|, s10
; %bb.1839:
	s_or_b64 exec, exec, s[8:9]
                                        ; implicit-def: $vgpr8
.LBB489_1840:
	s_andn2_saveexec_b64 s[6:7], s[6:7]
; %bb.1841:
	s_mov_b32 s8, 0x7f800000
	v_mov_b32_e32 v6, 0x7c
	v_mov_b32_e32 v7, 0x7f
	v_cmp_lt_u32_e32 vcc, s8, v8
	s_nop 1
	v_cndmask_b32_e32 v6, v6, v7, vcc
; %bb.1842:
	s_or_b64 exec, exec, s[6:7]
	v_lshrrev_b32_e32 v3, 8, v3
	s_movk_i32 s6, 0x80
	v_and_or_b32 v3, v3, s6, v6
	global_store_byte v[4:5], v3, off
.LBB489_1843:
	s_mov_b64 s[6:7], 0
	s_mov_b64 s[8:9], -1
.LBB489_1844:
	s_andn2_b64 vcc, exec, s[6:7]
	s_mov_b64 s[6:7], 0
	s_cbranch_vccnz .LBB489_1851
; %bb.1845:
	s_cmp_gt_i32 s16, 14
	s_mov_b64 s[10:11], -1
	s_cbranch_scc0 .LBB489_1849
; %bb.1846:
	s_cmp_eq_u32 s16, 15
	s_mov_b64 s[0:1], -1
	s_cbranch_scc0 .LBB489_1848
; %bb.1847:
	global_store_short v[4:5], v1, off
	s_mov_b64 s[0:1], 0
	s_mov_b64 s[8:9], -1
.LBB489_1848:
	s_mov_b64 s[10:11], 0
.LBB489_1849:
	s_and_b64 vcc, exec, s[10:11]
	s_cbranch_vccz .LBB489_1851
; %bb.1850:
	s_cmp_lg_u32 s16, 11
	s_mov_b64 s[6:7], -1
	s_cselect_b64 s[0:1], -1, 0
.LBB489_1851:
	s_and_b64 vcc, exec, s[0:1]
	s_cbranch_vccnz .LBB489_2145
; %bb.1852:
	s_andn2_b64 vcc, exec, s[6:7]
	s_cbranch_vccnz .LBB489_1854
.LBB489_1853:
	v_and_b32_e32 v3, 0x7fff, v1
	v_cmp_ne_u16_e32 vcc, 0, v3
	s_mov_b64 s[8:9], -1
	s_nop 0
	v_cndmask_b32_e64 v3, 0, 1, vcc
	global_store_byte v[4:5], v3, off
.LBB489_1854:
	s_mov_b64 s[0:1], 0
	s_branch .LBB489_1856
.LBB489_1855:
	s_mov_b64 s[0:1], -1
	s_mov_b64 s[8:9], 0
.LBB489_1856:
	s_and_b64 vcc, exec, s[0:1]
	s_cbranch_vccz .LBB489_1895
; %bb.1857:
	s_and_b32 s6, 0xffff, s14
	s_cmp_lt_i32 s6, 5
	s_mov_b64 s[0:1], -1
	s_cbranch_scc1 .LBB489_1878
; %bb.1858:
	s_cmp_lt_i32 s6, 8
	s_cbranch_scc1 .LBB489_1868
; %bb.1859:
	s_cmp_lt_i32 s6, 9
	s_cbranch_scc1 .LBB489_1865
; %bb.1860:
	s_cmp_gt_i32 s6, 9
	s_cbranch_scc0 .LBB489_1862
; %bb.1861:
	v_lshlrev_b32_e32 v3, 16, v1
	v_mov_b32_e32 v8, 0
	v_cvt_f64_f32_e32 v[6:7], v3
	v_mov_b32_e32 v9, v8
	global_store_dwordx4 v[4:5], v[6:9], off
	s_mov_b64 s[0:1], 0
.LBB489_1862:
	s_andn2_b64 vcc, exec, s[0:1]
	s_cbranch_vccnz .LBB489_1864
; %bb.1863:
	v_lshlrev_b32_e32 v6, 16, v1
	v_mov_b32_e32 v7, 0
	global_store_dwordx2 v[4:5], v[6:7], off
.LBB489_1864:
	s_mov_b64 s[0:1], 0
.LBB489_1865:
	s_andn2_b64 vcc, exec, s[0:1]
	s_cbranch_vccnz .LBB489_1867
; %bb.1866:
	v_lshlrev_b32_e32 v3, 16, v1
	v_cvt_f16_f32_e32 v3, v3
	global_store_dword v[4:5], v3, off
.LBB489_1867:
	s_mov_b64 s[0:1], 0
.LBB489_1868:
	s_andn2_b64 vcc, exec, s[0:1]
	s_cbranch_vccnz .LBB489_1877
; %bb.1869:
	s_cmp_lt_i32 s6, 6
	s_mov_b64 s[0:1], -1
	s_cbranch_scc1 .LBB489_1875
; %bb.1870:
	s_cmp_gt_i32 s6, 6
	s_cbranch_scc0 .LBB489_1872
; %bb.1871:
	v_lshlrev_b32_e32 v3, 16, v1
	v_cvt_f64_f32_e32 v[6:7], v3
	global_store_dwordx2 v[4:5], v[6:7], off
	s_mov_b64 s[0:1], 0
.LBB489_1872:
	s_andn2_b64 vcc, exec, s[0:1]
	s_cbranch_vccnz .LBB489_1874
; %bb.1873:
	v_lshlrev_b32_e32 v3, 16, v1
	global_store_dword v[4:5], v3, off
.LBB489_1874:
	s_mov_b64 s[0:1], 0
.LBB489_1875:
	s_andn2_b64 vcc, exec, s[0:1]
	s_cbranch_vccnz .LBB489_1877
; %bb.1876:
	v_lshlrev_b32_e32 v3, 16, v1
	v_cvt_f16_f32_e32 v3, v3
	global_store_short v[4:5], v3, off
.LBB489_1877:
	s_mov_b64 s[0:1], 0
.LBB489_1878:
	s_andn2_b64 vcc, exec, s[0:1]
	s_cbranch_vccnz .LBB489_1894
; %bb.1879:
	s_cmp_lt_i32 s6, 2
	s_mov_b64 s[0:1], -1
	s_cbranch_scc1 .LBB489_1889
; %bb.1880:
	s_cmp_lt_i32 s6, 3
	s_cbranch_scc1 .LBB489_1886
; %bb.1881:
	s_cmp_gt_i32 s6, 3
	s_cbranch_scc0 .LBB489_1883
; %bb.1882:
	v_lshlrev_b32_e32 v3, 16, v1
	v_trunc_f32_e32 v3, v3
	s_mov_b32 s0, 0x2f800000
	v_mul_f32_e64 v6, |v3|, s0
	v_floor_f32_e32 v6, v6
	s_mov_b32 s0, 0xcf800000
	v_cvt_u32_f32_e32 v7, v6
	v_fma_f32 v6, v6, s0, |v3|
	v_cvt_u32_f32_e32 v6, v6
	v_ashrrev_i32_e32 v3, 31, v3
	v_xor_b32_e32 v7, v7, v3
	s_mov_b64 s[0:1], 0
	v_xor_b32_e32 v6, v6, v3
	v_sub_co_u32_e32 v6, vcc, v6, v3
	s_nop 1
	v_subb_co_u32_e32 v7, vcc, v7, v3, vcc
	global_store_dwordx2 v[4:5], v[6:7], off
.LBB489_1883:
	s_andn2_b64 vcc, exec, s[0:1]
	s_cbranch_vccnz .LBB489_1885
; %bb.1884:
	v_lshlrev_b32_e32 v3, 16, v1
	v_cvt_i32_f32_e32 v3, v3
	global_store_dword v[4:5], v3, off
.LBB489_1885:
	s_mov_b64 s[0:1], 0
.LBB489_1886:
	s_andn2_b64 vcc, exec, s[0:1]
	s_cbranch_vccnz .LBB489_1888
; %bb.1887:
	v_lshlrev_b32_e32 v3, 16, v1
	v_cvt_i32_f32_e32 v3, v3
	global_store_short v[4:5], v3, off
.LBB489_1888:
	s_mov_b64 s[0:1], 0
.LBB489_1889:
	s_andn2_b64 vcc, exec, s[0:1]
	s_cbranch_vccnz .LBB489_1894
; %bb.1890:
	s_mov_b64 s[0:1], -1
	s_cmp_gt_i32 s6, 0
	v_lshlrev_b32_e32 v1, 16, v1
	s_cbranch_scc0 .LBB489_1892
; %bb.1891:
	v_cvt_i32_f32_e32 v3, v1
	s_mov_b64 s[0:1], 0
	global_store_byte v[4:5], v3, off
.LBB489_1892:
	s_andn2_b64 vcc, exec, s[0:1]
	s_cbranch_vccnz .LBB489_1894
; %bb.1893:
	v_trunc_f32_e32 v1, v1
	s_mov_b32 s0, 0x2f800000
	v_mul_f32_e64 v3, |v1|, s0
	v_floor_f32_e32 v3, v3
	s_mov_b32 s0, 0xcf800000
	v_fma_f32 v3, v3, s0, |v1|
	v_cvt_u32_f32_e32 v3, v3
	v_ashrrev_i32_e32 v1, 31, v1
	v_xor_b32_e32 v3, v3, v1
	v_sub_u32_e32 v1, v3, v1
	global_store_byte v[4:5], v1, off
.LBB489_1894:
	s_mov_b64 s[8:9], -1
.LBB489_1895:
	s_andn2_b64 vcc, exec, s[8:9]
	s_cbranch_vccnz .LBB489_2091
; %bb.1896:
	v_lshlrev_b32_e32 v1, 16, v12
	v_cmp_u_f32_e32 vcc, v1, v1
	v_cmp_gt_f32_e64 s[0:1], s15, v1
	v_mov_b32_e32 v1, s17
	s_or_b64 vcc, vcc, s[0:1]
	v_mov_b32_e32 v3, 0
	v_cndmask_b32_e32 v1, v1, v12, vcc
	s_cmp_lt_i32 s14, 11
	v_lshl_add_u64 v[2:3], s[4:5], 0, v[2:3]
	s_cbranch_scc1 .LBB489_1974
; %bb.1897:
	s_and_b32 s16, 0xffff, s14
	s_mov_b64 s[10:11], -1
	s_mov_b64 s[6:7], 0
	s_cmp_gt_i32 s16, 25
	s_mov_b64 s[8:9], 0
	s_mov_b64 s[0:1], 0
	s_cbranch_scc0 .LBB489_1930
; %bb.1898:
	s_cmp_gt_i32 s16, 28
	s_cbranch_scc0 .LBB489_1913
; %bb.1899:
	s_cmp_gt_i32 s16, 43
	;; [unrolled: 3-line block ×3, first 2 shown]
	s_cbranch_scc0 .LBB489_1903
; %bb.1901:
	s_mov_b64 s[0:1], -1
	s_mov_b64 s[10:11], 0
	s_cmp_eq_u32 s16, 46
	s_cbranch_scc0 .LBB489_1903
; %bb.1902:
	v_and_b32_e32 v4, 0xffff, v1
	global_store_dword v[2:3], v4, off
	s_mov_b64 s[0:1], 0
	s_mov_b64 s[8:9], -1
.LBB489_1903:
	s_and_b64 vcc, exec, s[10:11]
	s_cbranch_vccz .LBB489_1908
; %bb.1904:
	s_cmp_eq_u32 s16, 44
	s_mov_b64 s[0:1], -1
	s_cbranch_scc0 .LBB489_1908
; %bb.1905:
	v_and_b32_e32 v5, 0xffff, v1
	v_bfe_u32 v4, v5, 7, 8
	s_movk_i32 s0, 0xff
	v_cmp_ne_u32_e32 vcc, s0, v4
	v_mov_b32_e32 v6, 0xff
	s_and_saveexec_b64 s[8:9], vcc
	s_cbranch_execz .LBB489_1907
; %bb.1906:
	v_lshlrev_b32_e32 v7, 16, v5
	s_mov_b32 s0, 0x3f0000
	v_lshrrev_b32_e32 v6, 7, v5
	v_and_b32_e32 v5, 64, v5
	v_and_or_b32 v4, v7, s0, v4
	v_cmp_ne_u32_e32 vcc, 0, v5
	v_cmp_ne_u32_e64 s[0:1], 0, v4
	s_and_b64 s[0:1], vcc, s[0:1]
	s_nop 0
	v_cndmask_b32_e64 v4, 0, 1, s[0:1]
	v_add_u32_e32 v6, v6, v4
.LBB489_1907:
	s_or_b64 exec, exec, s[8:9]
	s_mov_b64 s[0:1], 0
	s_mov_b64 s[8:9], -1
	global_store_byte v[2:3], v6, off
.LBB489_1908:
	s_mov_b64 s[10:11], 0
.LBB489_1909:
	s_and_b64 vcc, exec, s[10:11]
	s_cbranch_vccz .LBB489_1912
; %bb.1910:
	s_cmp_eq_u32 s16, 29
	s_mov_b64 s[0:1], -1
	s_cbranch_scc0 .LBB489_1912
; %bb.1911:
	v_lshlrev_b32_e32 v4, 16, v1
	v_trunc_f32_e32 v4, v4
	v_mul_f32_e32 v5, 0x2f800000, v4
	v_floor_f32_e32 v6, v5
	v_fmamk_f32 v4, v6, 0xcf800000, v4
	v_cvt_u32_f32_e32 v5, v6
	v_cvt_u32_f32_e32 v4, v4
	s_mov_b64 s[0:1], 0
	s_mov_b64 s[8:9], -1
	global_store_dwordx2 v[2:3], v[4:5], off
.LBB489_1912:
	s_mov_b64 s[10:11], 0
.LBB489_1913:
	s_and_b64 vcc, exec, s[10:11]
	s_cbranch_vccz .LBB489_1929
; %bb.1914:
	s_cmp_lt_i32 s16, 27
	s_mov_b64 s[8:9], -1
	s_cbranch_scc1 .LBB489_1920
; %bb.1915:
	s_cmp_gt_i32 s16, 27
	s_cbranch_scc0 .LBB489_1917
; %bb.1916:
	v_lshlrev_b32_e32 v4, 16, v1
	v_cvt_u32_f32_e32 v4, v4
	s_mov_b64 s[8:9], 0
	global_store_dword v[2:3], v4, off
.LBB489_1917:
	s_andn2_b64 vcc, exec, s[8:9]
	s_cbranch_vccnz .LBB489_1919
; %bb.1918:
	v_lshlrev_b32_e32 v4, 16, v1
	v_cvt_u32_f32_e32 v4, v4
	global_store_short v[2:3], v4, off
.LBB489_1919:
	s_mov_b64 s[8:9], 0
.LBB489_1920:
	s_andn2_b64 vcc, exec, s[8:9]
	s_cbranch_vccnz .LBB489_1928
; %bb.1921:
	v_lshlrev_b32_e32 v6, 16, v1
	v_and_b32_e32 v5, 0x7fffffff, v6
	s_mov_b32 s8, 0x43800000
	v_cmp_gt_u32_e32 vcc, s8, v5
	v_mov_b32_e32 v7, 0x80
	s_and_saveexec_b64 s[8:9], vcc
	s_cbranch_execz .LBB489_1927
; %bb.1922:
	s_mov_b32 s10, 0x3bffffff
	v_and_b32_e32 v4, 0xffff, v1
	v_cmp_lt_u32_e32 vcc, s10, v5
	s_mov_b64 s[10:11], 0
                                        ; implicit-def: $vgpr5
	s_and_saveexec_b64 s[12:13], vcc
	s_xor_b64 s[12:13], exec, s[12:13]
	s_cbranch_execz .LBB489_2148
; %bb.1923:
	v_bfe_u32 v5, v4, 4, 1
	s_mov_b32 s18, 0x487ffff
	v_add3_u32 v5, v6, v5, s18
	s_mov_b64 s[10:11], exec
	v_lshrrev_b32_e32 v5, 20, v5
                                        ; implicit-def: $vgpr6
	s_andn2_saveexec_b64 s[12:13], s[12:13]
	s_cbranch_execnz .LBB489_2149
.LBB489_1924:
	s_or_b64 exec, exec, s[12:13]
	v_mov_b32_e32 v7, 0
	s_and_saveexec_b64 s[12:13], s[10:11]
.LBB489_1925:
	v_lshrrev_b32_e32 v4, 8, v4
	s_movk_i32 s10, 0x80
	v_and_or_b32 v7, v4, s10, v5
.LBB489_1926:
	s_or_b64 exec, exec, s[12:13]
.LBB489_1927:
	s_or_b64 exec, exec, s[8:9]
	global_store_byte v[2:3], v7, off
.LBB489_1928:
	s_mov_b64 s[8:9], -1
.LBB489_1929:
	s_mov_b64 s[10:11], 0
.LBB489_1930:
	s_and_b64 vcc, exec, s[10:11]
	s_cbranch_vccz .LBB489_1970
; %bb.1931:
	s_cmp_gt_i32 s16, 22
	s_mov_b64 s[6:7], -1
	s_cbranch_scc0 .LBB489_1963
; %bb.1932:
	s_cmp_lt_i32 s16, 24
	s_cbranch_scc1 .LBB489_1952
; %bb.1933:
	s_cmp_gt_i32 s16, 24
	s_cbranch_scc0 .LBB489_1941
; %bb.1934:
	v_lshlrev_b32_e32 v6, 16, v1
	v_and_b32_e32 v5, 0x7fffffff, v6
	s_mov_b32 s6, 0x47800000
	v_cmp_gt_u32_e32 vcc, s6, v5
	v_mov_b32_e32 v7, 0x80
	s_and_saveexec_b64 s[6:7], vcc
	s_cbranch_execz .LBB489_1940
; %bb.1935:
	s_mov_b32 s8, 0x37ffffff
	v_and_b32_e32 v4, 0xffff, v1
	v_cmp_lt_u32_e32 vcc, s8, v5
	s_mov_b64 s[8:9], 0
                                        ; implicit-def: $vgpr5
	s_and_saveexec_b64 s[10:11], vcc
	s_xor_b64 s[10:11], exec, s[10:11]
	s_cbranch_execz .LBB489_2151
; %bb.1936:
	v_bfe_u32 v5, v4, 5, 1
	s_mov_b32 s12, 0x88fffff
	v_add3_u32 v5, v6, v5, s12
	s_mov_b64 s[8:9], exec
	v_lshrrev_b32_e32 v5, 21, v5
                                        ; implicit-def: $vgpr6
	s_andn2_saveexec_b64 s[10:11], s[10:11]
	s_cbranch_execnz .LBB489_2152
.LBB489_1937:
	s_or_b64 exec, exec, s[10:11]
	v_mov_b32_e32 v7, 0
	s_and_saveexec_b64 s[10:11], s[8:9]
.LBB489_1938:
	v_lshrrev_b32_e32 v4, 8, v4
	s_movk_i32 s8, 0x80
	v_and_or_b32 v7, v4, s8, v5
.LBB489_1939:
	s_or_b64 exec, exec, s[10:11]
.LBB489_1940:
	s_or_b64 exec, exec, s[6:7]
	s_mov_b64 s[6:7], 0
	global_store_byte v[2:3], v7, off
.LBB489_1941:
	s_and_b64 vcc, exec, s[6:7]
	s_cbranch_vccz .LBB489_1951
; %bb.1942:
	v_lshlrev_b32_e32 v6, 16, v1
	v_and_b32_e32 v7, 0x7fffffff, v6
	s_mov_b32 s6, 0x43f00000
	v_and_b32_e32 v4, 0xffff, v1
	v_cmp_gt_u32_e32 vcc, s6, v7
                                        ; implicit-def: $vgpr5
	s_and_saveexec_b64 s[6:7], vcc
	s_xor_b64 s[6:7], exec, s[6:7]
	s_cbranch_execz .LBB489_1948
; %bb.1943:
	s_mov_b32 s8, 0x3c7fffff
	v_cmp_lt_u32_e32 vcc, s8, v7
                                        ; implicit-def: $vgpr5
	s_and_saveexec_b64 s[8:9], vcc
	s_xor_b64 s[8:9], exec, s[8:9]
; %bb.1944:
	v_bfe_u32 v5, v4, 4, 1
	s_mov_b32 s10, 0x407ffff
	v_add3_u32 v5, v6, v5, s10
	v_lshrrev_b32_e32 v6, 20, v5
	v_and_b32_e32 v5, 0xff00000, v5
	s_mov_b32 s10, 0x7f00000
	v_mov_b32_e32 v7, 0x7e
	v_cmp_ne_u32_e32 vcc, s10, v5
	s_nop 1
	v_cndmask_b32_e32 v5, v7, v6, vcc
                                        ; implicit-def: $vgpr6
; %bb.1945:
	s_andn2_saveexec_b64 s[8:9], s[8:9]
; %bb.1946:
	s_mov_b32 s10, 0x46800000
	v_add_f32_e64 v5, |v6|, s10
; %bb.1947:
	s_or_b64 exec, exec, s[8:9]
                                        ; implicit-def: $vgpr7
.LBB489_1948:
	s_andn2_saveexec_b64 s[6:7], s[6:7]
; %bb.1949:
	s_mov_b32 s8, 0x7f800000
	v_mov_b32_e32 v5, 0x7e
	v_mov_b32_e32 v6, 0x7f
	v_cmp_lt_u32_e32 vcc, s8, v7
	s_nop 1
	v_cndmask_b32_e32 v5, v5, v6, vcc
; %bb.1950:
	s_or_b64 exec, exec, s[6:7]
	v_lshrrev_b32_e32 v4, 8, v4
	s_movk_i32 s6, 0x80
	v_and_or_b32 v4, v4, s6, v5
	global_store_byte v[2:3], v4, off
.LBB489_1951:
	s_mov_b64 s[6:7], 0
.LBB489_1952:
	s_andn2_b64 vcc, exec, s[6:7]
	s_cbranch_vccnz .LBB489_1962
; %bb.1953:
	v_lshlrev_b32_e32 v6, 16, v1
	v_and_b32_e32 v7, 0x7fffffff, v6
	s_mov_b32 s6, 0x47800000
	v_and_b32_e32 v4, 0xffff, v1
	v_cmp_gt_u32_e32 vcc, s6, v7
                                        ; implicit-def: $vgpr5
	s_and_saveexec_b64 s[6:7], vcc
	s_xor_b64 s[6:7], exec, s[6:7]
	s_cbranch_execz .LBB489_1959
; %bb.1954:
	s_mov_b32 s8, 0x387fffff
	v_cmp_lt_u32_e32 vcc, s8, v7
                                        ; implicit-def: $vgpr5
	s_and_saveexec_b64 s[8:9], vcc
	s_xor_b64 s[8:9], exec, s[8:9]
; %bb.1955:
	v_bfe_u32 v5, v4, 5, 1
	s_mov_b32 s10, 0x80fffff
	v_add3_u32 v5, v6, v5, s10
	v_lshrrev_b32_e32 v5, 21, v5
                                        ; implicit-def: $vgpr6
; %bb.1956:
	s_andn2_saveexec_b64 s[8:9], s[8:9]
; %bb.1957:
	s_mov_b32 s10, 0x43000000
	v_add_f32_e64 v5, |v6|, s10
; %bb.1958:
	s_or_b64 exec, exec, s[8:9]
                                        ; implicit-def: $vgpr7
.LBB489_1959:
	s_andn2_saveexec_b64 s[6:7], s[6:7]
; %bb.1960:
	s_mov_b32 s8, 0x7f800000
	v_mov_b32_e32 v5, 0x7c
	v_mov_b32_e32 v6, 0x7f
	v_cmp_lt_u32_e32 vcc, s8, v7
	s_nop 1
	v_cndmask_b32_e32 v5, v5, v6, vcc
; %bb.1961:
	s_or_b64 exec, exec, s[6:7]
	v_lshrrev_b32_e32 v4, 8, v4
	s_movk_i32 s6, 0x80
	v_and_or_b32 v4, v4, s6, v5
	global_store_byte v[2:3], v4, off
.LBB489_1962:
	s_mov_b64 s[6:7], 0
	s_mov_b64 s[8:9], -1
.LBB489_1963:
	s_andn2_b64 vcc, exec, s[6:7]
	s_mov_b64 s[6:7], 0
	s_cbranch_vccnz .LBB489_1970
; %bb.1964:
	s_cmp_gt_i32 s16, 14
	s_mov_b64 s[10:11], -1
	s_cbranch_scc0 .LBB489_1968
; %bb.1965:
	s_cmp_eq_u32 s16, 15
	s_mov_b64 s[0:1], -1
	s_cbranch_scc0 .LBB489_1967
; %bb.1966:
	global_store_short v[2:3], v1, off
	s_mov_b64 s[0:1], 0
	s_mov_b64 s[8:9], -1
.LBB489_1967:
	s_mov_b64 s[10:11], 0
.LBB489_1968:
	s_and_b64 vcc, exec, s[10:11]
	s_cbranch_vccz .LBB489_1970
; %bb.1969:
	s_cmp_lg_u32 s16, 11
	s_mov_b64 s[6:7], -1
	s_cselect_b64 s[0:1], -1, 0
.LBB489_1970:
	s_and_b64 vcc, exec, s[0:1]
	s_cbranch_vccnz .LBB489_2150
; %bb.1971:
	s_andn2_b64 vcc, exec, s[6:7]
	s_cbranch_vccnz .LBB489_1973
.LBB489_1972:
	v_and_b32_e32 v4, 0x7fff, v1
	v_cmp_ne_u16_e32 vcc, 0, v4
	s_mov_b64 s[8:9], -1
	s_nop 0
	v_cndmask_b32_e64 v4, 0, 1, vcc
	global_store_byte v[2:3], v4, off
.LBB489_1973:
	s_mov_b64 s[0:1], 0
	s_branch .LBB489_1975
.LBB489_1974:
	s_mov_b64 s[0:1], -1
	s_mov_b64 s[8:9], 0
.LBB489_1975:
	s_and_b64 vcc, exec, s[0:1]
	s_cbranch_vccz .LBB489_2014
; %bb.1976:
	s_and_b32 s6, 0xffff, s14
	s_cmp_lt_i32 s6, 5
	s_mov_b64 s[0:1], -1
	s_cbranch_scc1 .LBB489_1997
; %bb.1977:
	s_cmp_lt_i32 s6, 8
	s_cbranch_scc1 .LBB489_1987
; %bb.1978:
	s_cmp_lt_i32 s6, 9
	s_cbranch_scc1 .LBB489_1984
; %bb.1979:
	s_cmp_gt_i32 s6, 9
	s_cbranch_scc0 .LBB489_1981
; %bb.1980:
	v_lshlrev_b32_e32 v4, 16, v1
	v_mov_b32_e32 v6, 0
	v_cvt_f64_f32_e32 v[4:5], v4
	v_mov_b32_e32 v7, v6
	global_store_dwordx4 v[2:3], v[4:7], off
	s_mov_b64 s[0:1], 0
.LBB489_1981:
	s_andn2_b64 vcc, exec, s[0:1]
	s_cbranch_vccnz .LBB489_1983
; %bb.1982:
	v_lshlrev_b32_e32 v4, 16, v1
	v_mov_b32_e32 v5, 0
	global_store_dwordx2 v[2:3], v[4:5], off
.LBB489_1983:
	s_mov_b64 s[0:1], 0
.LBB489_1984:
	s_andn2_b64 vcc, exec, s[0:1]
	s_cbranch_vccnz .LBB489_1986
; %bb.1985:
	v_lshlrev_b32_e32 v4, 16, v1
	v_cvt_f16_f32_e32 v4, v4
	global_store_dword v[2:3], v4, off
.LBB489_1986:
	s_mov_b64 s[0:1], 0
.LBB489_1987:
	s_andn2_b64 vcc, exec, s[0:1]
	s_cbranch_vccnz .LBB489_1996
; %bb.1988:
	s_cmp_lt_i32 s6, 6
	s_mov_b64 s[0:1], -1
	s_cbranch_scc1 .LBB489_1994
; %bb.1989:
	s_cmp_gt_i32 s6, 6
	s_cbranch_scc0 .LBB489_1991
; %bb.1990:
	v_lshlrev_b32_e32 v4, 16, v1
	v_cvt_f64_f32_e32 v[4:5], v4
	global_store_dwordx2 v[2:3], v[4:5], off
	s_mov_b64 s[0:1], 0
.LBB489_1991:
	s_andn2_b64 vcc, exec, s[0:1]
	s_cbranch_vccnz .LBB489_1993
; %bb.1992:
	v_lshlrev_b32_e32 v4, 16, v1
	global_store_dword v[2:3], v4, off
.LBB489_1993:
	s_mov_b64 s[0:1], 0
.LBB489_1994:
	s_andn2_b64 vcc, exec, s[0:1]
	s_cbranch_vccnz .LBB489_1996
; %bb.1995:
	v_lshlrev_b32_e32 v4, 16, v1
	v_cvt_f16_f32_e32 v4, v4
	global_store_short v[2:3], v4, off
.LBB489_1996:
	s_mov_b64 s[0:1], 0
.LBB489_1997:
	s_andn2_b64 vcc, exec, s[0:1]
	s_cbranch_vccnz .LBB489_2013
; %bb.1998:
	s_cmp_lt_i32 s6, 2
	s_mov_b64 s[0:1], -1
	s_cbranch_scc1 .LBB489_2008
; %bb.1999:
	s_cmp_lt_i32 s6, 3
	s_cbranch_scc1 .LBB489_2005
; %bb.2000:
	s_cmp_gt_i32 s6, 3
	s_cbranch_scc0 .LBB489_2002
; %bb.2001:
	v_lshlrev_b32_e32 v4, 16, v1
	v_trunc_f32_e32 v4, v4
	s_mov_b32 s0, 0x2f800000
	v_mul_f32_e64 v5, |v4|, s0
	v_floor_f32_e32 v5, v5
	s_mov_b32 s0, 0xcf800000
	v_cvt_u32_f32_e32 v6, v5
	v_fma_f32 v5, v5, s0, |v4|
	v_cvt_u32_f32_e32 v5, v5
	v_ashrrev_i32_e32 v7, 31, v4
	v_xor_b32_e32 v6, v6, v7
	s_mov_b64 s[0:1], 0
	v_xor_b32_e32 v4, v5, v7
	v_sub_co_u32_e32 v4, vcc, v4, v7
	s_nop 1
	v_subb_co_u32_e32 v5, vcc, v6, v7, vcc
	global_store_dwordx2 v[2:3], v[4:5], off
.LBB489_2002:
	s_andn2_b64 vcc, exec, s[0:1]
	s_cbranch_vccnz .LBB489_2004
; %bb.2003:
	v_lshlrev_b32_e32 v4, 16, v1
	v_cvt_i32_f32_e32 v4, v4
	global_store_dword v[2:3], v4, off
.LBB489_2004:
	s_mov_b64 s[0:1], 0
.LBB489_2005:
	s_andn2_b64 vcc, exec, s[0:1]
	s_cbranch_vccnz .LBB489_2007
; %bb.2006:
	v_lshlrev_b32_e32 v4, 16, v1
	v_cvt_i32_f32_e32 v4, v4
	global_store_short v[2:3], v4, off
.LBB489_2007:
	s_mov_b64 s[0:1], 0
.LBB489_2008:
	s_andn2_b64 vcc, exec, s[0:1]
	s_cbranch_vccnz .LBB489_2013
; %bb.2009:
	s_cmp_gt_i32 s6, 0
	s_mov_b64 s[0:1], -1
	s_cbranch_scc0 .LBB489_2011
; %bb.2010:
	v_lshlrev_b32_e32 v4, 16, v1
	v_cvt_i32_f32_e32 v4, v4
	s_mov_b64 s[0:1], 0
	global_store_byte v[2:3], v4, off
.LBB489_2011:
	s_andn2_b64 vcc, exec, s[0:1]
	s_cbranch_vccnz .LBB489_2013
; %bb.2012:
	v_lshlrev_b32_e32 v1, 16, v1
	v_trunc_f32_e32 v1, v1
	s_mov_b32 s0, 0x2f800000
	v_mul_f32_e64 v4, |v1|, s0
	v_floor_f32_e32 v4, v4
	s_mov_b32 s0, 0xcf800000
	v_fma_f32 v4, v4, s0, |v1|
	v_cvt_u32_f32_e32 v4, v4
	v_ashrrev_i32_e32 v1, 31, v1
	v_xor_b32_e32 v4, v4, v1
	v_sub_u32_e32 v1, v4, v1
	global_store_byte v[2:3], v1, off
.LBB489_2013:
	s_mov_b64 s[8:9], -1
.LBB489_2014:
	s_andn2_b64 vcc, exec, s[8:9]
	s_cbranch_vccnz .LBB489_2091
; %bb.2015:
	v_lshlrev_b32_e32 v1, 16, v10
	v_cmp_u_f32_e32 vcc, v1, v1
	v_cmp_gt_f32_e64 s[0:1], s15, v1
	v_mov_b32_e32 v1, s17
	s_or_b64 vcc, vcc, s[0:1]
	v_cndmask_b32_e32 v2, v1, v10, vcc
	v_mov_b32_e32 v1, 0
	s_cmp_lt_i32 s14, 11
	v_lshl_add_u64 v[0:1], s[4:5], 0, v[0:1]
	s_cbranch_scc1 .LBB489_2136
; %bb.2016:
	s_and_b32 s12, 0xffff, s14
	s_mov_b64 s[6:7], -1
	s_mov_b64 s[4:5], 0
	s_cmp_gt_i32 s12, 25
	s_mov_b64 s[0:1], 0
	s_cbranch_scc0 .LBB489_2049
; %bb.2017:
	s_cmp_gt_i32 s12, 28
	s_cbranch_scc0 .LBB489_2033
; %bb.2018:
	s_cmp_gt_i32 s12, 43
	;; [unrolled: 3-line block ×3, first 2 shown]
	s_cbranch_scc0 .LBB489_2023
; %bb.2020:
	s_cmp_eq_u32 s12, 46
	s_mov_b64 s[0:1], -1
	s_cbranch_scc0 .LBB489_2022
; %bb.2021:
	v_and_b32_e32 v3, 0xffff, v2
	global_store_dword v[0:1], v3, off
	s_mov_b64 s[0:1], 0
.LBB489_2022:
	s_mov_b64 s[6:7], 0
.LBB489_2023:
	s_and_b64 vcc, exec, s[6:7]
	s_cbranch_vccz .LBB489_2028
; %bb.2024:
	s_cmp_eq_u32 s12, 44
	s_mov_b64 s[0:1], -1
	s_cbranch_scc0 .LBB489_2028
; %bb.2025:
	v_and_b32_e32 v4, 0xffff, v2
	v_bfe_u32 v3, v4, 7, 8
	s_movk_i32 s0, 0xff
	v_cmp_ne_u32_e32 vcc, s0, v3
	v_mov_b32_e32 v5, 0xff
	s_and_saveexec_b64 s[6:7], vcc
	s_cbranch_execz .LBB489_2027
; %bb.2026:
	v_lshlrev_b32_e32 v6, 16, v4
	s_mov_b32 s0, 0x3f0000
	v_lshrrev_b32_e32 v5, 7, v4
	v_and_b32_e32 v4, 64, v4
	v_and_or_b32 v3, v6, s0, v3
	v_cmp_ne_u32_e32 vcc, 0, v4
	v_cmp_ne_u32_e64 s[0:1], 0, v3
	s_and_b64 s[0:1], vcc, s[0:1]
	s_nop 0
	v_cndmask_b32_e64 v3, 0, 1, s[0:1]
	v_add_u32_e32 v5, v5, v3
.LBB489_2027:
	s_or_b64 exec, exec, s[6:7]
	s_mov_b64 s[0:1], 0
	global_store_byte v[0:1], v5, off
.LBB489_2028:
	s_mov_b64 s[6:7], 0
.LBB489_2029:
	s_and_b64 vcc, exec, s[6:7]
	s_cbranch_vccz .LBB489_2032
; %bb.2030:
	s_cmp_eq_u32 s12, 29
	s_mov_b64 s[0:1], -1
	s_cbranch_scc0 .LBB489_2032
; %bb.2031:
	v_lshlrev_b32_e32 v3, 16, v2
	v_trunc_f32_e32 v3, v3
	v_mul_f32_e32 v4, 0x2f800000, v3
	v_floor_f32_e32 v4, v4
	v_fmamk_f32 v3, v4, 0xcf800000, v3
	v_cvt_u32_f32_e32 v5, v4
	v_cvt_u32_f32_e32 v4, v3
	s_mov_b64 s[0:1], 0
	global_store_dwordx2 v[0:1], v[4:5], off
.LBB489_2032:
	s_mov_b64 s[6:7], 0
.LBB489_2033:
	s_and_b64 vcc, exec, s[6:7]
	s_cbranch_vccz .LBB489_2048
; %bb.2034:
	s_cmp_lt_i32 s12, 27
	s_mov_b64 s[6:7], -1
	s_cbranch_scc1 .LBB489_2040
; %bb.2035:
	s_cmp_gt_i32 s12, 27
	s_cbranch_scc0 .LBB489_2037
; %bb.2036:
	v_lshlrev_b32_e32 v3, 16, v2
	v_cvt_u32_f32_e32 v3, v3
	s_mov_b64 s[6:7], 0
	global_store_dword v[0:1], v3, off
.LBB489_2037:
	s_andn2_b64 vcc, exec, s[6:7]
	s_cbranch_vccnz .LBB489_2039
; %bb.2038:
	v_lshlrev_b32_e32 v3, 16, v2
	v_cvt_u32_f32_e32 v3, v3
	global_store_short v[0:1], v3, off
.LBB489_2039:
	s_mov_b64 s[6:7], 0
.LBB489_2040:
	s_andn2_b64 vcc, exec, s[6:7]
	s_cbranch_vccnz .LBB489_2048
; %bb.2041:
	v_lshlrev_b32_e32 v5, 16, v2
	v_and_b32_e32 v4, 0x7fffffff, v5
	s_mov_b32 s6, 0x43800000
	v_cmp_gt_u32_e32 vcc, s6, v4
	v_mov_b32_e32 v6, 0x80
	s_and_saveexec_b64 s[6:7], vcc
	s_cbranch_execz .LBB489_2047
; %bb.2042:
	s_mov_b32 s8, 0x3bffffff
	v_and_b32_e32 v3, 0xffff, v2
	v_cmp_lt_u32_e32 vcc, s8, v4
	s_mov_b64 s[8:9], 0
                                        ; implicit-def: $vgpr4
	s_and_saveexec_b64 s[10:11], vcc
	s_xor_b64 s[10:11], exec, s[10:11]
	s_cbranch_execz .LBB489_2153
; %bb.2043:
	v_bfe_u32 v4, v3, 4, 1
	s_mov_b32 s13, 0x487ffff
	v_add3_u32 v4, v5, v4, s13
	s_mov_b64 s[8:9], exec
	v_lshrrev_b32_e32 v4, 20, v4
                                        ; implicit-def: $vgpr5
	s_andn2_saveexec_b64 s[10:11], s[10:11]
	s_cbranch_execnz .LBB489_2154
.LBB489_2044:
	s_or_b64 exec, exec, s[10:11]
	v_mov_b32_e32 v6, 0
	s_and_saveexec_b64 s[10:11], s[8:9]
.LBB489_2045:
	v_lshrrev_b32_e32 v3, 8, v3
	s_movk_i32 s8, 0x80
	v_and_or_b32 v6, v3, s8, v4
.LBB489_2046:
	s_or_b64 exec, exec, s[10:11]
.LBB489_2047:
	s_or_b64 exec, exec, s[6:7]
	global_store_byte v[0:1], v6, off
.LBB489_2048:
	s_mov_b64 s[6:7], 0
.LBB489_2049:
	s_and_b64 vcc, exec, s[6:7]
	s_cbranch_vccz .LBB489_2089
; %bb.2050:
	s_cmp_gt_i32 s12, 22
	s_mov_b64 s[4:5], -1
	s_cbranch_scc0 .LBB489_2082
; %bb.2051:
	s_cmp_lt_i32 s12, 24
	s_cbranch_scc1 .LBB489_2071
; %bb.2052:
	s_cmp_gt_i32 s12, 24
	s_cbranch_scc0 .LBB489_2060
; %bb.2053:
	v_lshlrev_b32_e32 v5, 16, v2
	v_and_b32_e32 v4, 0x7fffffff, v5
	s_mov_b32 s4, 0x47800000
	v_cmp_gt_u32_e32 vcc, s4, v4
	v_mov_b32_e32 v6, 0x80
	s_and_saveexec_b64 s[4:5], vcc
	s_cbranch_execz .LBB489_2059
; %bb.2054:
	s_mov_b32 s6, 0x37ffffff
	v_and_b32_e32 v3, 0xffff, v2
	v_cmp_lt_u32_e32 vcc, s6, v4
	s_mov_b64 s[6:7], 0
                                        ; implicit-def: $vgpr4
	s_and_saveexec_b64 s[8:9], vcc
	s_xor_b64 s[8:9], exec, s[8:9]
	s_cbranch_execz .LBB489_2156
; %bb.2055:
	v_bfe_u32 v4, v3, 5, 1
	s_mov_b32 s10, 0x88fffff
	v_add3_u32 v4, v5, v4, s10
	s_mov_b64 s[6:7], exec
	v_lshrrev_b32_e32 v4, 21, v4
                                        ; implicit-def: $vgpr5
	s_andn2_saveexec_b64 s[8:9], s[8:9]
	s_cbranch_execnz .LBB489_2157
.LBB489_2056:
	s_or_b64 exec, exec, s[8:9]
	v_mov_b32_e32 v6, 0
	s_and_saveexec_b64 s[8:9], s[6:7]
.LBB489_2057:
	v_lshrrev_b32_e32 v3, 8, v3
	s_movk_i32 s6, 0x80
	v_and_or_b32 v6, v3, s6, v4
.LBB489_2058:
	s_or_b64 exec, exec, s[8:9]
.LBB489_2059:
	s_or_b64 exec, exec, s[4:5]
	s_mov_b64 s[4:5], 0
	global_store_byte v[0:1], v6, off
.LBB489_2060:
	s_and_b64 vcc, exec, s[4:5]
	s_cbranch_vccz .LBB489_2070
; %bb.2061:
	v_lshlrev_b32_e32 v5, 16, v2
	v_and_b32_e32 v6, 0x7fffffff, v5
	s_mov_b32 s4, 0x43f00000
	v_and_b32_e32 v3, 0xffff, v2
	v_cmp_gt_u32_e32 vcc, s4, v6
                                        ; implicit-def: $vgpr4
	s_and_saveexec_b64 s[4:5], vcc
	s_xor_b64 s[4:5], exec, s[4:5]
	s_cbranch_execz .LBB489_2067
; %bb.2062:
	s_mov_b32 s6, 0x3c7fffff
	v_cmp_lt_u32_e32 vcc, s6, v6
                                        ; implicit-def: $vgpr4
	s_and_saveexec_b64 s[6:7], vcc
	s_xor_b64 s[6:7], exec, s[6:7]
; %bb.2063:
	v_bfe_u32 v4, v3, 4, 1
	s_mov_b32 s8, 0x407ffff
	v_add3_u32 v4, v5, v4, s8
	v_lshrrev_b32_e32 v5, 20, v4
	v_and_b32_e32 v4, 0xff00000, v4
	s_mov_b32 s8, 0x7f00000
	v_mov_b32_e32 v6, 0x7e
	v_cmp_ne_u32_e32 vcc, s8, v4
	s_nop 1
	v_cndmask_b32_e32 v4, v6, v5, vcc
                                        ; implicit-def: $vgpr5
; %bb.2064:
	s_andn2_saveexec_b64 s[6:7], s[6:7]
; %bb.2065:
	s_mov_b32 s8, 0x46800000
	v_add_f32_e64 v4, |v5|, s8
; %bb.2066:
	s_or_b64 exec, exec, s[6:7]
                                        ; implicit-def: $vgpr6
.LBB489_2067:
	s_andn2_saveexec_b64 s[4:5], s[4:5]
; %bb.2068:
	s_mov_b32 s6, 0x7f800000
	v_mov_b32_e32 v4, 0x7e
	v_mov_b32_e32 v5, 0x7f
	v_cmp_lt_u32_e32 vcc, s6, v6
	s_nop 1
	v_cndmask_b32_e32 v4, v4, v5, vcc
; %bb.2069:
	s_or_b64 exec, exec, s[4:5]
	v_lshrrev_b32_e32 v3, 8, v3
	s_movk_i32 s4, 0x80
	v_and_or_b32 v3, v3, s4, v4
	global_store_byte v[0:1], v3, off
.LBB489_2070:
	s_mov_b64 s[4:5], 0
.LBB489_2071:
	s_andn2_b64 vcc, exec, s[4:5]
	s_cbranch_vccnz .LBB489_2081
; %bb.2072:
	v_lshlrev_b32_e32 v5, 16, v2
	v_and_b32_e32 v6, 0x7fffffff, v5
	s_mov_b32 s4, 0x47800000
	v_and_b32_e32 v3, 0xffff, v2
	v_cmp_gt_u32_e32 vcc, s4, v6
                                        ; implicit-def: $vgpr4
	s_and_saveexec_b64 s[4:5], vcc
	s_xor_b64 s[4:5], exec, s[4:5]
	s_cbranch_execz .LBB489_2078
; %bb.2073:
	s_mov_b32 s6, 0x387fffff
	v_cmp_lt_u32_e32 vcc, s6, v6
                                        ; implicit-def: $vgpr4
	s_and_saveexec_b64 s[6:7], vcc
	s_xor_b64 s[6:7], exec, s[6:7]
; %bb.2074:
	v_bfe_u32 v4, v3, 5, 1
	s_mov_b32 s8, 0x80fffff
	v_add3_u32 v4, v5, v4, s8
	v_lshrrev_b32_e32 v4, 21, v4
                                        ; implicit-def: $vgpr5
; %bb.2075:
	s_andn2_saveexec_b64 s[6:7], s[6:7]
; %bb.2076:
	s_mov_b32 s8, 0x43000000
	v_add_f32_e64 v4, |v5|, s8
; %bb.2077:
	s_or_b64 exec, exec, s[6:7]
                                        ; implicit-def: $vgpr6
.LBB489_2078:
	s_andn2_saveexec_b64 s[4:5], s[4:5]
; %bb.2079:
	s_mov_b32 s6, 0x7f800000
	v_mov_b32_e32 v4, 0x7c
	v_mov_b32_e32 v5, 0x7f
	v_cmp_lt_u32_e32 vcc, s6, v6
	s_nop 1
	v_cndmask_b32_e32 v4, v4, v5, vcc
; %bb.2080:
	s_or_b64 exec, exec, s[4:5]
	v_lshrrev_b32_e32 v3, 8, v3
	s_movk_i32 s4, 0x80
	v_and_or_b32 v3, v3, s4, v4
	global_store_byte v[0:1], v3, off
.LBB489_2081:
	s_mov_b64 s[4:5], 0
.LBB489_2082:
	s_andn2_b64 vcc, exec, s[4:5]
	s_mov_b64 s[4:5], 0
	s_cbranch_vccnz .LBB489_2089
; %bb.2083:
	s_cmp_gt_i32 s12, 14
	s_mov_b64 s[6:7], -1
	s_cbranch_scc0 .LBB489_2087
; %bb.2084:
	s_cmp_eq_u32 s12, 15
	s_mov_b64 s[0:1], -1
	s_cbranch_scc0 .LBB489_2086
; %bb.2085:
	global_store_short v[0:1], v2, off
	s_mov_b64 s[0:1], 0
.LBB489_2086:
	s_mov_b64 s[6:7], 0
.LBB489_2087:
	s_and_b64 vcc, exec, s[6:7]
	s_cbranch_vccz .LBB489_2089
; %bb.2088:
	s_cmp_lg_u32 s12, 11
	s_mov_b64 s[4:5], -1
	s_cselect_b64 s[0:1], -1, 0
.LBB489_2089:
	s_and_b64 vcc, exec, s[0:1]
	s_cbranch_vccnz .LBB489_2155
.LBB489_2090:
	s_mov_b64 s[0:1], 0
	s_branch .LBB489_2092
.LBB489_2091:
	s_mov_b64 s[0:1], 0
	s_mov_b64 s[4:5], 0
                                        ; implicit-def: $vgpr0_vgpr1
                                        ; implicit-def: $sgpr14
                                        ; implicit-def: $vgpr2
.LBB489_2092:
	s_and_b64 s[6:7], s[0:1], exec
	s_andn2_b64 s[0:1], s[24:25], exec
	s_and_b64 s[2:3], s[2:3], exec
	s_and_b64 s[40:41], s[4:5], exec
	s_or_b64 s[24:25], s[0:1], s[2:3]
.LBB489_2093:
	s_or_b64 exec, exec, s[26:27]
	s_and_saveexec_b64 s[0:1], s[24:25]
	s_cbranch_execz .LBB489_2096
; %bb.2094:
	; divergent unreachable
	s_or_b64 exec, exec, s[0:1]
	s_and_saveexec_b64 s[0:1], s[40:41]
	s_xor_b64 s[0:1], exec, s[0:1]
	s_cbranch_execnz .LBB489_2097
.LBB489_2095:
	s_or_b64 exec, exec, s[0:1]
	s_and_saveexec_b64 s[0:1], s[6:7]
	s_cbranch_execnz .LBB489_2098
	s_branch .LBB489_2135
.LBB489_2096:
	s_or_b64 exec, exec, s[0:1]
	s_and_saveexec_b64 s[0:1], s[40:41]
	s_xor_b64 s[0:1], exec, s[0:1]
	s_cbranch_execz .LBB489_2095
.LBB489_2097:
	s_waitcnt vmcnt(0)
	v_and_b32_e32 v3, 0x7fff, v2
	v_cmp_ne_u16_e32 vcc, 0, v3
	s_nop 1
	v_cndmask_b32_e64 v3, 0, 1, vcc
	global_store_byte v[0:1], v3, off
	s_or_b64 exec, exec, s[0:1]
	s_and_saveexec_b64 s[0:1], s[6:7]
	s_cbranch_execz .LBB489_2135
.LBB489_2098:
	s_sext_i32_i16 s2, s14
	s_cmp_lt_i32 s2, 5
	s_mov_b64 s[0:1], -1
	s_cbranch_scc1 .LBB489_2119
; %bb.2099:
	s_cmp_lt_i32 s2, 8
	s_cbranch_scc1 .LBB489_2109
; %bb.2100:
	s_cmp_lt_i32 s2, 9
	s_cbranch_scc1 .LBB489_2106
; %bb.2101:
	s_cmp_gt_i32 s2, 9
	s_cbranch_scc0 .LBB489_2103
; %bb.2102:
	s_waitcnt vmcnt(0)
	v_lshlrev_b32_e32 v3, 16, v2
	v_mov_b32_e32 v6, 0
	v_cvt_f64_f32_e32 v[4:5], v3
	v_mov_b32_e32 v7, v6
	global_store_dwordx4 v[0:1], v[4:7], off
	s_mov_b64 s[0:1], 0
.LBB489_2103:
	s_andn2_b64 vcc, exec, s[0:1]
	s_cbranch_vccnz .LBB489_2105
; %bb.2104:
	v_lshlrev_b32_e32 v4, 16, v2
	v_mov_b32_e32 v5, 0
	s_waitcnt vmcnt(0)
	global_store_dwordx2 v[0:1], v[4:5], off
.LBB489_2105:
	s_mov_b64 s[0:1], 0
.LBB489_2106:
	s_andn2_b64 vcc, exec, s[0:1]
	s_cbranch_vccnz .LBB489_2108
; %bb.2107:
	s_waitcnt vmcnt(0)
	v_lshlrev_b32_e32 v3, 16, v2
	v_cvt_f16_f32_e32 v3, v3
	global_store_dword v[0:1], v3, off
.LBB489_2108:
	s_mov_b64 s[0:1], 0
.LBB489_2109:
	s_andn2_b64 vcc, exec, s[0:1]
	s_cbranch_vccnz .LBB489_2118
; %bb.2110:
	s_sext_i32_i16 s2, s14
	s_cmp_lt_i32 s2, 6
	s_mov_b64 s[0:1], -1
	s_cbranch_scc1 .LBB489_2116
; %bb.2111:
	s_cmp_gt_i32 s2, 6
	s_cbranch_scc0 .LBB489_2113
; %bb.2112:
	s_waitcnt vmcnt(0)
	v_lshlrev_b32_e32 v3, 16, v2
	v_cvt_f64_f32_e32 v[4:5], v3
	global_store_dwordx2 v[0:1], v[4:5], off
	s_mov_b64 s[0:1], 0
.LBB489_2113:
	s_andn2_b64 vcc, exec, s[0:1]
	s_cbranch_vccnz .LBB489_2115
; %bb.2114:
	s_waitcnt vmcnt(0)
	v_lshlrev_b32_e32 v3, 16, v2
	global_store_dword v[0:1], v3, off
.LBB489_2115:
	s_mov_b64 s[0:1], 0
.LBB489_2116:
	s_andn2_b64 vcc, exec, s[0:1]
	s_cbranch_vccnz .LBB489_2118
; %bb.2117:
	s_waitcnt vmcnt(0)
	v_lshlrev_b32_e32 v3, 16, v2
	v_cvt_f16_f32_e32 v3, v3
	global_store_short v[0:1], v3, off
.LBB489_2118:
	s_mov_b64 s[0:1], 0
.LBB489_2119:
	s_andn2_b64 vcc, exec, s[0:1]
	s_cbranch_vccnz .LBB489_2135
; %bb.2120:
	s_sext_i32_i16 s2, s14
	s_cmp_lt_i32 s2, 2
	s_mov_b64 s[0:1], -1
	s_cbranch_scc1 .LBB489_2130
; %bb.2121:
	s_cmp_lt_i32 s2, 3
	s_cbranch_scc1 .LBB489_2127
; %bb.2122:
	s_cmp_gt_i32 s2, 3
	s_cbranch_scc0 .LBB489_2124
; %bb.2123:
	s_waitcnt vmcnt(0)
	v_lshlrev_b32_e32 v3, 16, v2
	v_trunc_f32_e32 v3, v3
	s_mov_b32 s0, 0x2f800000
	v_mul_f32_e64 v4, |v3|, s0
	v_floor_f32_e32 v4, v4
	s_mov_b32 s0, 0xcf800000
	v_cvt_u32_f32_e32 v5, v4
	v_fma_f32 v4, v4, s0, |v3|
	v_cvt_u32_f32_e32 v4, v4
	v_ashrrev_i32_e32 v3, 31, v3
	v_xor_b32_e32 v5, v5, v3
	s_mov_b64 s[0:1], 0
	v_xor_b32_e32 v4, v4, v3
	v_sub_co_u32_e32 v4, vcc, v4, v3
	s_nop 1
	v_subb_co_u32_e32 v5, vcc, v5, v3, vcc
	global_store_dwordx2 v[0:1], v[4:5], off
.LBB489_2124:
	s_andn2_b64 vcc, exec, s[0:1]
	s_cbranch_vccnz .LBB489_2126
; %bb.2125:
	s_waitcnt vmcnt(0)
	v_lshlrev_b32_e32 v3, 16, v2
	v_cvt_i32_f32_e32 v3, v3
	global_store_dword v[0:1], v3, off
.LBB489_2126:
	s_mov_b64 s[0:1], 0
.LBB489_2127:
	s_andn2_b64 vcc, exec, s[0:1]
	s_cbranch_vccnz .LBB489_2129
; %bb.2128:
	s_waitcnt vmcnt(0)
	v_lshlrev_b32_e32 v3, 16, v2
	v_cvt_i32_f32_e32 v3, v3
	global_store_short v[0:1], v3, off
.LBB489_2129:
	s_mov_b64 s[0:1], 0
.LBB489_2130:
	s_andn2_b64 vcc, exec, s[0:1]
	s_cbranch_vccnz .LBB489_2135
; %bb.2131:
	s_sext_i32_i16 s0, s14
	s_cmp_gt_i32 s0, 0
	s_mov_b64 s[0:1], -1
	s_cbranch_scc0 .LBB489_2133
; %bb.2132:
	s_waitcnt vmcnt(0)
	v_lshlrev_b32_e32 v3, 16, v2
	v_cvt_i32_f32_e32 v3, v3
	s_mov_b64 s[0:1], 0
	global_store_byte v[0:1], v3, off
.LBB489_2133:
	s_andn2_b64 vcc, exec, s[0:1]
	s_cbranch_vccnz .LBB489_2135
; %bb.2134:
	v_lshlrev_b32_e32 v2, 16, v2
	v_trunc_f32_e32 v2, v2
	s_mov_b32 s0, 0x2f800000
	s_waitcnt vmcnt(0)
	v_mul_f32_e64 v3, |v2|, s0
	v_floor_f32_e32 v3, v3
	s_mov_b32 s0, 0xcf800000
	v_fma_f32 v3, v3, s0, |v2|
	v_cvt_u32_f32_e32 v3, v3
	v_ashrrev_i32_e32 v2, 31, v2
	v_xor_b32_e32 v3, v3, v2
	v_sub_u32_e32 v2, v3, v2
	global_store_byte v[0:1], v2, off
	s_endpgm
.LBB489_2135:
	s_endpgm
.LBB489_2136:
	s_mov_b64 s[4:5], 0
	s_mov_b64 s[0:1], -1
	s_branch .LBB489_2092
.LBB489_2137:
	s_trap 2
	s_or_b64 s[2:3], s[2:3], exec
	s_cbranch_execz .LBB489_1606
	s_branch .LBB489_1607
.LBB489_2138:
	s_andn2_saveexec_b64 s[12:13], s[12:13]
	s_cbranch_execz .LBB489_1686
.LBB489_2139:
	s_mov_b32 s19, 0x46000000
	v_add_f32_e64 v8, |v9|, s19
	v_and_b32_e32 v8, 0xff, v8
	v_cmp_ne_u32_e32 vcc, 0, v8
	s_andn2_b64 s[10:11], s[10:11], exec
	s_and_b64 s[20:21], vcc, exec
	s_or_b64 s[10:11], s[10:11], s[20:21]
	s_or_b64 exec, exec, s[12:13]
	v_mov_b32_e32 v11, 0
	s_and_saveexec_b64 s[12:13], s[10:11]
	s_cbranch_execnz .LBB489_1687
	s_branch .LBB489_1688
.LBB489_2140:
	s_trap 2
	s_or_b64 s[2:3], s[2:3], exec
	s_cbranch_execz .LBB489_1734
	s_branch .LBB489_1735
.LBB489_2141:
	s_andn2_saveexec_b64 s[10:11], s[10:11]
	s_cbranch_execz .LBB489_1699
.LBB489_2142:
	s_mov_b32 s12, 0x42800000
	v_add_f32_e64 v8, |v9|, s12
	v_and_b32_e32 v8, 0xff, v8
	v_cmp_ne_u32_e32 vcc, 0, v8
	s_andn2_b64 s[8:9], s[8:9], exec
	s_and_b64 s[12:13], vcc, exec
	s_or_b64 s[8:9], s[8:9], s[12:13]
	s_or_b64 exec, exec, s[10:11]
	v_mov_b32_e32 v11, 0
	s_and_saveexec_b64 s[10:11], s[8:9]
	s_cbranch_execnz .LBB489_1700
	s_branch .LBB489_1701
.LBB489_2143:
	s_andn2_saveexec_b64 s[12:13], s[12:13]
	s_cbranch_execz .LBB489_1805
.LBB489_2144:
	s_mov_b32 s18, 0x46000000
	v_add_f32_e64 v6, |v7|, s18
	v_and_b32_e32 v6, 0xff, v6
	v_cmp_ne_u32_e32 vcc, 0, v6
	s_andn2_b64 s[10:11], s[10:11], exec
	s_and_b64 s[18:19], vcc, exec
	s_or_b64 s[10:11], s[10:11], s[18:19]
	s_or_b64 exec, exec, s[12:13]
	v_mov_b32_e32 v8, 0
	s_and_saveexec_b64 s[12:13], s[10:11]
	s_cbranch_execnz .LBB489_1806
	s_branch .LBB489_1807
.LBB489_2145:
	s_trap 2
	s_or_b64 s[2:3], s[2:3], exec
	s_cbranch_execz .LBB489_1853
	s_branch .LBB489_1854
.LBB489_2146:
	s_andn2_saveexec_b64 s[10:11], s[10:11]
	s_cbranch_execz .LBB489_1818
.LBB489_2147:
	s_mov_b32 s12, 0x42800000
	v_add_f32_e64 v6, |v7|, s12
	v_and_b32_e32 v6, 0xff, v6
	v_cmp_ne_u32_e32 vcc, 0, v6
	s_andn2_b64 s[8:9], s[8:9], exec
	s_and_b64 s[12:13], vcc, exec
	s_or_b64 s[8:9], s[8:9], s[12:13]
	s_or_b64 exec, exec, s[10:11]
	v_mov_b32_e32 v8, 0
	s_and_saveexec_b64 s[10:11], s[8:9]
	s_cbranch_execnz .LBB489_1819
	s_branch .LBB489_1820
.LBB489_2148:
	s_andn2_saveexec_b64 s[12:13], s[12:13]
	s_cbranch_execz .LBB489_1924
.LBB489_2149:
	s_mov_b32 s18, 0x46000000
	v_add_f32_e64 v5, |v6|, s18
	v_and_b32_e32 v5, 0xff, v5
	v_cmp_ne_u32_e32 vcc, 0, v5
	s_andn2_b64 s[10:11], s[10:11], exec
	s_and_b64 s[18:19], vcc, exec
	s_or_b64 s[10:11], s[10:11], s[18:19]
	s_or_b64 exec, exec, s[12:13]
	v_mov_b32_e32 v7, 0
	s_and_saveexec_b64 s[12:13], s[10:11]
	s_cbranch_execnz .LBB489_1925
	s_branch .LBB489_1926
.LBB489_2150:
	s_trap 2
	s_or_b64 s[2:3], s[2:3], exec
	s_cbranch_execz .LBB489_1972
	s_branch .LBB489_1973
.LBB489_2151:
	s_andn2_saveexec_b64 s[10:11], s[10:11]
	s_cbranch_execz .LBB489_1937
.LBB489_2152:
	s_mov_b32 s12, 0x42800000
	v_add_f32_e64 v5, |v6|, s12
	v_and_b32_e32 v5, 0xff, v5
	v_cmp_ne_u32_e32 vcc, 0, v5
	s_andn2_b64 s[8:9], s[8:9], exec
	s_and_b64 s[12:13], vcc, exec
	s_or_b64 s[8:9], s[8:9], s[12:13]
	s_or_b64 exec, exec, s[10:11]
	v_mov_b32_e32 v7, 0
	s_and_saveexec_b64 s[10:11], s[8:9]
	s_cbranch_execnz .LBB489_1938
	s_branch .LBB489_1939
.LBB489_2153:
	s_andn2_saveexec_b64 s[10:11], s[10:11]
	s_cbranch_execz .LBB489_2044
.LBB489_2154:
	s_mov_b32 s13, 0x46000000
	v_add_f32_e64 v4, |v5|, s13
	v_and_b32_e32 v4, 0xff, v4
	v_cmp_ne_u32_e32 vcc, 0, v4
	s_andn2_b64 s[8:9], s[8:9], exec
	s_and_b64 s[16:17], vcc, exec
	s_or_b64 s[8:9], s[8:9], s[16:17]
	s_or_b64 exec, exec, s[10:11]
	v_mov_b32_e32 v6, 0
	s_and_saveexec_b64 s[10:11], s[8:9]
	s_cbranch_execnz .LBB489_2045
	s_branch .LBB489_2046
.LBB489_2155:
	s_mov_b64 s[4:5], 0
	s_or_b64 s[2:3], s[2:3], exec
	s_trap 2
	s_branch .LBB489_2090
.LBB489_2156:
	s_andn2_saveexec_b64 s[8:9], s[8:9]
	s_cbranch_execz .LBB489_2056
.LBB489_2157:
	s_mov_b32 s10, 0x42800000
	v_add_f32_e64 v4, |v5|, s10
	v_and_b32_e32 v4, 0xff, v4
	v_cmp_ne_u32_e32 vcc, 0, v4
	s_andn2_b64 s[6:7], s[6:7], exec
	s_and_b64 s[10:11], vcc, exec
	s_or_b64 s[6:7], s[6:7], s[10:11]
	s_or_b64 exec, exec, s[8:9]
	v_mov_b32_e32 v6, 0
	s_and_saveexec_b64 s[8:9], s[6:7]
	s_cbranch_execnz .LBB489_2057
	s_branch .LBB489_2058
	.section	.rodata,"a",@progbits
	.p2align	6, 0x0
	.amdhsa_kernel _ZN2at6native32elementwise_kernel_manual_unrollILi128ELi4EZNS0_15gpu_kernel_implIZZZNS0_21clamp_max_kernel_cudaERNS_18TensorIteratorBaseERKN3c106ScalarEENKUlvE_clEvENKUlvE7_clEvEUlNS5_8BFloat16EE_EEvS4_RKT_EUlibE0_EEviT1_
		.amdhsa_group_segment_fixed_size 0
		.amdhsa_private_segment_fixed_size 0
		.amdhsa_kernarg_size 360
		.amdhsa_user_sgpr_count 2
		.amdhsa_user_sgpr_dispatch_ptr 0
		.amdhsa_user_sgpr_queue_ptr 0
		.amdhsa_user_sgpr_kernarg_segment_ptr 1
		.amdhsa_user_sgpr_dispatch_id 0
		.amdhsa_user_sgpr_kernarg_preload_length 0
		.amdhsa_user_sgpr_kernarg_preload_offset 0
		.amdhsa_user_sgpr_private_segment_size 0
		.amdhsa_uses_dynamic_stack 0
		.amdhsa_enable_private_segment 0
		.amdhsa_system_sgpr_workgroup_id_x 1
		.amdhsa_system_sgpr_workgroup_id_y 0
		.amdhsa_system_sgpr_workgroup_id_z 0
		.amdhsa_system_sgpr_workgroup_info 0
		.amdhsa_system_vgpr_workitem_id 0
		.amdhsa_next_free_vgpr 18
		.amdhsa_next_free_sgpr 80
		.amdhsa_accum_offset 20
		.amdhsa_reserve_vcc 1
		.amdhsa_float_round_mode_32 0
		.amdhsa_float_round_mode_16_64 0
		.amdhsa_float_denorm_mode_32 3
		.amdhsa_float_denorm_mode_16_64 3
		.amdhsa_dx10_clamp 1
		.amdhsa_ieee_mode 1
		.amdhsa_fp16_overflow 0
		.amdhsa_tg_split 0
		.amdhsa_exception_fp_ieee_invalid_op 0
		.amdhsa_exception_fp_denorm_src 0
		.amdhsa_exception_fp_ieee_div_zero 0
		.amdhsa_exception_fp_ieee_overflow 0
		.amdhsa_exception_fp_ieee_underflow 0
		.amdhsa_exception_fp_ieee_inexact 0
		.amdhsa_exception_int_div_zero 0
	.end_amdhsa_kernel
	.section	.text._ZN2at6native32elementwise_kernel_manual_unrollILi128ELi4EZNS0_15gpu_kernel_implIZZZNS0_21clamp_max_kernel_cudaERNS_18TensorIteratorBaseERKN3c106ScalarEENKUlvE_clEvENKUlvE7_clEvEUlNS5_8BFloat16EE_EEvS4_RKT_EUlibE0_EEviT1_,"axG",@progbits,_ZN2at6native32elementwise_kernel_manual_unrollILi128ELi4EZNS0_15gpu_kernel_implIZZZNS0_21clamp_max_kernel_cudaERNS_18TensorIteratorBaseERKN3c106ScalarEENKUlvE_clEvENKUlvE7_clEvEUlNS5_8BFloat16EE_EEvS4_RKT_EUlibE0_EEviT1_,comdat
.Lfunc_end489:
	.size	_ZN2at6native32elementwise_kernel_manual_unrollILi128ELi4EZNS0_15gpu_kernel_implIZZZNS0_21clamp_max_kernel_cudaERNS_18TensorIteratorBaseERKN3c106ScalarEENKUlvE_clEvENKUlvE7_clEvEUlNS5_8BFloat16EE_EEvS4_RKT_EUlibE0_EEviT1_, .Lfunc_end489-_ZN2at6native32elementwise_kernel_manual_unrollILi128ELi4EZNS0_15gpu_kernel_implIZZZNS0_21clamp_max_kernel_cudaERNS_18TensorIteratorBaseERKN3c106ScalarEENKUlvE_clEvENKUlvE7_clEvEUlNS5_8BFloat16EE_EEvS4_RKT_EUlibE0_EEviT1_
                                        ; -- End function
	.set _ZN2at6native32elementwise_kernel_manual_unrollILi128ELi4EZNS0_15gpu_kernel_implIZZZNS0_21clamp_max_kernel_cudaERNS_18TensorIteratorBaseERKN3c106ScalarEENKUlvE_clEvENKUlvE7_clEvEUlNS5_8BFloat16EE_EEvS4_RKT_EUlibE0_EEviT1_.num_vgpr, 18
	.set _ZN2at6native32elementwise_kernel_manual_unrollILi128ELi4EZNS0_15gpu_kernel_implIZZZNS0_21clamp_max_kernel_cudaERNS_18TensorIteratorBaseERKN3c106ScalarEENKUlvE_clEvENKUlvE7_clEvEUlNS5_8BFloat16EE_EEvS4_RKT_EUlibE0_EEviT1_.num_agpr, 0
	.set _ZN2at6native32elementwise_kernel_manual_unrollILi128ELi4EZNS0_15gpu_kernel_implIZZZNS0_21clamp_max_kernel_cudaERNS_18TensorIteratorBaseERKN3c106ScalarEENKUlvE_clEvENKUlvE7_clEvEUlNS5_8BFloat16EE_EEvS4_RKT_EUlibE0_EEviT1_.numbered_sgpr, 80
	.set _ZN2at6native32elementwise_kernel_manual_unrollILi128ELi4EZNS0_15gpu_kernel_implIZZZNS0_21clamp_max_kernel_cudaERNS_18TensorIteratorBaseERKN3c106ScalarEENKUlvE_clEvENKUlvE7_clEvEUlNS5_8BFloat16EE_EEvS4_RKT_EUlibE0_EEviT1_.num_named_barrier, 0
	.set _ZN2at6native32elementwise_kernel_manual_unrollILi128ELi4EZNS0_15gpu_kernel_implIZZZNS0_21clamp_max_kernel_cudaERNS_18TensorIteratorBaseERKN3c106ScalarEENKUlvE_clEvENKUlvE7_clEvEUlNS5_8BFloat16EE_EEvS4_RKT_EUlibE0_EEviT1_.private_seg_size, 0
	.set _ZN2at6native32elementwise_kernel_manual_unrollILi128ELi4EZNS0_15gpu_kernel_implIZZZNS0_21clamp_max_kernel_cudaERNS_18TensorIteratorBaseERKN3c106ScalarEENKUlvE_clEvENKUlvE7_clEvEUlNS5_8BFloat16EE_EEvS4_RKT_EUlibE0_EEviT1_.uses_vcc, 1
	.set _ZN2at6native32elementwise_kernel_manual_unrollILi128ELi4EZNS0_15gpu_kernel_implIZZZNS0_21clamp_max_kernel_cudaERNS_18TensorIteratorBaseERKN3c106ScalarEENKUlvE_clEvENKUlvE7_clEvEUlNS5_8BFloat16EE_EEvS4_RKT_EUlibE0_EEviT1_.uses_flat_scratch, 0
	.set _ZN2at6native32elementwise_kernel_manual_unrollILi128ELi4EZNS0_15gpu_kernel_implIZZZNS0_21clamp_max_kernel_cudaERNS_18TensorIteratorBaseERKN3c106ScalarEENKUlvE_clEvENKUlvE7_clEvEUlNS5_8BFloat16EE_EEvS4_RKT_EUlibE0_EEviT1_.has_dyn_sized_stack, 0
	.set _ZN2at6native32elementwise_kernel_manual_unrollILi128ELi4EZNS0_15gpu_kernel_implIZZZNS0_21clamp_max_kernel_cudaERNS_18TensorIteratorBaseERKN3c106ScalarEENKUlvE_clEvENKUlvE7_clEvEUlNS5_8BFloat16EE_EEvS4_RKT_EUlibE0_EEviT1_.has_recursion, 0
	.set _ZN2at6native32elementwise_kernel_manual_unrollILi128ELi4EZNS0_15gpu_kernel_implIZZZNS0_21clamp_max_kernel_cudaERNS_18TensorIteratorBaseERKN3c106ScalarEENKUlvE_clEvENKUlvE7_clEvEUlNS5_8BFloat16EE_EEvS4_RKT_EUlibE0_EEviT1_.has_indirect_call, 0
	.section	.AMDGPU.csdata,"",@progbits
; Kernel info:
; codeLenInByte = 43760
; TotalNumSgprs: 86
; NumVgprs: 18
; NumAgprs: 0
; TotalNumVgprs: 18
; ScratchSize: 0
; MemoryBound: 0
; FloatMode: 240
; IeeeMode: 1
; LDSByteSize: 0 bytes/workgroup (compile time only)
; SGPRBlocks: 10
; VGPRBlocks: 2
; NumSGPRsForWavesPerEU: 86
; NumVGPRsForWavesPerEU: 18
; AccumOffset: 20
; Occupancy: 8
; WaveLimiterHint : 1
; COMPUTE_PGM_RSRC2:SCRATCH_EN: 0
; COMPUTE_PGM_RSRC2:USER_SGPR: 2
; COMPUTE_PGM_RSRC2:TRAP_HANDLER: 0
; COMPUTE_PGM_RSRC2:TGID_X_EN: 1
; COMPUTE_PGM_RSRC2:TGID_Y_EN: 0
; COMPUTE_PGM_RSRC2:TGID_Z_EN: 0
; COMPUTE_PGM_RSRC2:TIDIG_COMP_CNT: 0
; COMPUTE_PGM_RSRC3_GFX90A:ACCUM_OFFSET: 4
; COMPUTE_PGM_RSRC3_GFX90A:TG_SPLIT: 0
	.section	.text._ZN2at6native29vectorized_elementwise_kernelILi16EZZZNS0_22nan_to_num_kernel_cudaERNS_18TensorIteratorBaseESt8optionalIdES5_S5_ENKUlvE_clEvENKUlvE_clEvEUlN3c107complexIdEEE_St5arrayIPcLm2EEEEviT0_T1_,"axG",@progbits,_ZN2at6native29vectorized_elementwise_kernelILi16EZZZNS0_22nan_to_num_kernel_cudaERNS_18TensorIteratorBaseESt8optionalIdES5_S5_ENKUlvE_clEvENKUlvE_clEvEUlN3c107complexIdEEE_St5arrayIPcLm2EEEEviT0_T1_,comdat
	.globl	_ZN2at6native29vectorized_elementwise_kernelILi16EZZZNS0_22nan_to_num_kernel_cudaERNS_18TensorIteratorBaseESt8optionalIdES5_S5_ENKUlvE_clEvENKUlvE_clEvEUlN3c107complexIdEEE_St5arrayIPcLm2EEEEviT0_T1_ ; -- Begin function _ZN2at6native29vectorized_elementwise_kernelILi16EZZZNS0_22nan_to_num_kernel_cudaERNS_18TensorIteratorBaseESt8optionalIdES5_S5_ENKUlvE_clEvENKUlvE_clEvEUlN3c107complexIdEEE_St5arrayIPcLm2EEEEviT0_T1_
	.p2align	8
	.type	_ZN2at6native29vectorized_elementwise_kernelILi16EZZZNS0_22nan_to_num_kernel_cudaERNS_18TensorIteratorBaseESt8optionalIdES5_S5_ENKUlvE_clEvENKUlvE_clEvEUlN3c107complexIdEEE_St5arrayIPcLm2EEEEviT0_T1_,@function
_ZN2at6native29vectorized_elementwise_kernelILi16EZZZNS0_22nan_to_num_kernel_cudaERNS_18TensorIteratorBaseESt8optionalIdES5_S5_ENKUlvE_clEvENKUlvE_clEvEUlN3c107complexIdEEE_St5arrayIPcLm2EEEEviT0_T1_: ; @_ZN2at6native29vectorized_elementwise_kernelILi16EZZZNS0_22nan_to_num_kernel_cudaERNS_18TensorIteratorBaseESt8optionalIdES5_S5_ENKUlvE_clEvENKUlvE_clEvEUlN3c107complexIdEEE_St5arrayIPcLm2EEEEviT0_T1_
; %bb.0:
	s_load_dword s3, s[0:1], 0x0
	s_load_dwordx8 s[4:11], s[0:1], 0x8
	s_load_dwordx2 s[12:13], s[0:1], 0x28
	s_lshl_b32 s2, s2, 10
	s_mov_b64 s[0:1], -1
	s_waitcnt lgkmcnt(0)
	s_sub_i32 s18, s3, s2
	s_cmpk_gt_i32 s18, 0x3ff
	s_cbranch_scc0 .LBB490_34
; %bb.1:
	s_ashr_i32 s3, s2, 31
	s_lshl_b64 s[0:1], s[2:3], 4
	s_add_u32 s14, s12, s0
	s_addc_u32 s15, s13, s1
	v_lshlrev_b32_e32 v1, 6, v0
	global_load_dwordx4 v[18:21], v1, s[14:15] offset:16
	global_load_dwordx4 v[10:13], v1, s[14:15]
	global_load_dwordx4 v[6:9], v1, s[14:15] offset:48
	global_load_dwordx4 v[14:17], v1, s[14:15] offset:32
	v_mov_b64_e32 v[2:3], s[4:5]
	s_waitcnt vmcnt(2)
	v_cmp_o_f64_e32 vcc, v[10:11], v[10:11]
	s_and_saveexec_b64 s[14:15], vcc
	s_cbranch_execz .LBB490_5
; %bb.2:
	s_mov_b32 s16, 0
	s_mov_b32 s17, 0x7ff00000
	v_cmp_neq_f64_e32 vcc, s[16:17], v[10:11]
	v_mov_b64_e32 v[2:3], s[6:7]
	s_and_saveexec_b64 s[16:17], vcc
; %bb.3:
	s_mov_b32 s20, 0
	s_mov_b32 s21, 0xfff00000
	v_mov_b32_e32 v2, s9
	v_cmp_eq_f64_e32 vcc, s[20:21], v[10:11]
	s_nop 1
	v_cndmask_b32_e32 v3, v11, v2, vcc
	v_mov_b32_e32 v2, s8
	v_cndmask_b32_e32 v2, v10, v2, vcc
; %bb.4:
	s_or_b64 exec, exec, s[16:17]
.LBB490_5:
	s_or_b64 exec, exec, s[14:15]
	v_cmp_o_f64_e32 vcc, v[12:13], v[12:13]
	v_mov_b64_e32 v[4:5], s[4:5]
	s_and_saveexec_b64 s[14:15], vcc
	s_cbranch_execz .LBB490_9
; %bb.6:
	s_mov_b32 s16, 0
	s_mov_b32 s17, 0x7ff00000
	v_cmp_neq_f64_e32 vcc, s[16:17], v[12:13]
	v_mov_b64_e32 v[4:5], s[6:7]
	s_and_saveexec_b64 s[16:17], vcc
; %bb.7:
	s_mov_b32 s20, 0
	s_mov_b32 s21, 0xfff00000
	v_mov_b32_e32 v4, s9
	v_cmp_eq_f64_e32 vcc, s[20:21], v[12:13]
	s_nop 1
	v_cndmask_b32_e32 v5, v13, v4, vcc
	v_mov_b32_e32 v4, s8
	v_cndmask_b32_e32 v4, v12, v4, vcc
; %bb.8:
	s_or_b64 exec, exec, s[16:17]
.LBB490_9:
	s_or_b64 exec, exec, s[14:15]
	v_cmp_o_f64_e32 vcc, v[18:19], v[18:19]
	v_mov_b64_e32 v[10:11], s[4:5]
	;; [unrolled: 23-line block ×3, first 2 shown]
	s_and_saveexec_b64 s[14:15], vcc
	s_cbranch_execz .LBB490_17
; %bb.14:
	s_mov_b32 s16, 0
	s_mov_b32 s17, 0x7ff00000
	v_cmp_neq_f64_e32 vcc, s[16:17], v[20:21]
	v_mov_b64_e32 v[12:13], s[6:7]
	s_and_saveexec_b64 s[16:17], vcc
; %bb.15:
	s_mov_b32 s20, 0
	s_mov_b32 s21, 0xfff00000
	v_mov_b32_e32 v12, s9
	v_cmp_eq_f64_e32 vcc, s[20:21], v[20:21]
	s_nop 1
	v_cndmask_b32_e32 v13, v21, v12, vcc
	v_mov_b32_e32 v12, s8
	v_cndmask_b32_e32 v12, v20, v12, vcc
; %bb.16:
	s_or_b64 exec, exec, s[16:17]
.LBB490_17:
	s_or_b64 exec, exec, s[14:15]
	s_waitcnt vmcnt(0)
	v_cmp_o_f64_e32 vcc, v[14:15], v[14:15]
	v_mov_b64_e32 v[18:19], s[4:5]
	s_and_saveexec_b64 s[14:15], vcc
	s_cbranch_execz .LBB490_21
; %bb.18:
	s_mov_b32 s16, 0
	s_mov_b32 s17, 0x7ff00000
	v_cmp_neq_f64_e32 vcc, s[16:17], v[14:15]
	v_mov_b64_e32 v[18:19], s[6:7]
	s_and_saveexec_b64 s[16:17], vcc
; %bb.19:
	s_mov_b32 s20, 0
	s_mov_b32 s21, 0xfff00000
	v_mov_b32_e32 v18, s9
	v_cmp_eq_f64_e32 vcc, s[20:21], v[14:15]
	s_nop 1
	v_cndmask_b32_e32 v19, v15, v18, vcc
	v_mov_b32_e32 v15, s8
	v_cndmask_b32_e32 v18, v14, v15, vcc
; %bb.20:
	s_or_b64 exec, exec, s[16:17]
.LBB490_21:
	s_or_b64 exec, exec, s[14:15]
	v_cmp_o_f64_e32 vcc, v[16:17], v[16:17]
	v_mov_b64_e32 v[20:21], s[4:5]
	s_and_saveexec_b64 s[14:15], vcc
	s_cbranch_execz .LBB490_25
; %bb.22:
	s_mov_b32 s16, 0
	s_mov_b32 s17, 0x7ff00000
	v_cmp_neq_f64_e32 vcc, s[16:17], v[16:17]
	v_mov_b64_e32 v[20:21], s[6:7]
	s_and_saveexec_b64 s[16:17], vcc
; %bb.23:
	s_mov_b32 s20, 0
	s_mov_b32 s21, 0xfff00000
	v_mov_b32_e32 v14, s9
	v_cmp_eq_f64_e32 vcc, s[20:21], v[16:17]
	s_nop 1
	v_cndmask_b32_e32 v21, v17, v14, vcc
	v_mov_b32_e32 v14, s8
	v_cndmask_b32_e32 v20, v16, v14, vcc
; %bb.24:
	s_or_b64 exec, exec, s[16:17]
.LBB490_25:
	s_or_b64 exec, exec, s[14:15]
	;; [unrolled: 23-line block ×4, first 2 shown]
	s_add_u32 s0, s10, s0
	s_addc_u32 s1, s11, s1
	global_store_dwordx4 v1, v[2:5], s[0:1]
	global_store_dwordx4 v1, v[10:13], s[0:1] offset:16
	global_store_dwordx4 v1, v[18:21], s[0:1] offset:32
	;; [unrolled: 1-line block ×3, first 2 shown]
	s_mov_b64 s[0:1], 0
.LBB490_34:
	s_and_b64 vcc, exec, s[0:1]
	s_cbranch_vccz .LBB490_79
; %bb.35:
	v_cmp_gt_i32_e32 vcc, s18, v0
	v_mov_b64_e32 v[18:19], 0
	v_or_b32_e32 v22, s2, v0
	v_mov_b64_e32 v[14:15], 0
	v_mov_b64_e32 v[16:17], 0
	v_mov_b32_e32 v1, v0
	s_and_saveexec_b64 s[0:1], vcc
	s_cbranch_execz .LBB490_37
; %bb.36:
	v_mov_b32_e32 v23, 0
	v_lshl_add_u64 v[2:3], v[22:23], 4, s[12:13]
	global_load_dwordx4 v[14:17], v[2:3], off
	v_or_b32_e32 v1, 0x100, v0
.LBB490_37:
	s_or_b64 exec, exec, s[0:1]
	v_cmp_gt_i32_e64 s[0:1], s18, v1
	v_mov_b64_e32 v[20:21], 0
	s_and_saveexec_b64 s[14:15], s[0:1]
	s_cbranch_execz .LBB490_39
; %bb.38:
	v_add_u32_e32 v2, s2, v1
	v_mov_b32_e32 v3, 0
	v_lshl_add_u64 v[2:3], v[2:3], 4, s[12:13]
	global_load_dwordx4 v[18:21], v[2:3], off
	v_add_u32_e32 v1, 0x100, v1
.LBB490_39:
	s_or_b64 exec, exec, s[14:15]
	v_cmp_gt_i32_e64 s[0:1], s18, v1
	v_mov_b64_e32 v[2:3], 0
	v_mov_b64_e32 v[10:11], 0
	;; [unrolled: 1-line block ×3, first 2 shown]
	s_and_saveexec_b64 s[14:15], s[0:1]
	s_cbranch_execz .LBB490_41
; %bb.40:
	v_add_u32_e32 v4, s2, v1
	v_mov_b32_e32 v5, 0
	v_lshl_add_u64 v[4:5], v[4:5], 4, s[12:13]
	global_load_dwordx4 v[10:13], v[4:5], off
	v_add_u32_e32 v1, 0x100, v1
.LBB490_41:
	s_or_b64 exec, exec, s[14:15]
	v_cmp_gt_i32_e64 s[0:1], s18, v1
	v_mov_b64_e32 v[4:5], 0
	s_and_saveexec_b64 s[14:15], s[0:1]
	s_cbranch_execz .LBB490_43
; %bb.42:
	v_add_u32_e32 v2, s2, v1
	v_mov_b32_e32 v3, 0
	v_lshl_add_u64 v[2:3], v[2:3], 4, s[12:13]
	global_load_dwordx4 v[2:5], v[2:3], off
.LBB490_43:
	s_or_b64 exec, exec, s[14:15]
	v_mov_b64_e32 v[6:7], 0
	v_mov_b64_e32 v[8:9], 0
	s_and_saveexec_b64 s[12:13], vcc
	s_cbranch_execz .LBB490_53
; %bb.44:
	s_waitcnt vmcnt(0)
	v_cmp_o_f64_e64 s[0:1], v[14:15], v[14:15]
	v_mov_b64_e32 v[6:7], s[4:5]
	s_and_saveexec_b64 s[14:15], s[0:1]
	s_cbranch_execz .LBB490_48
; %bb.45:
	s_mov_b32 s0, 0
	s_mov_b32 s1, 0x7ff00000
	v_cmp_neq_f64_e64 s[0:1], s[0:1], v[14:15]
	v_mov_b64_e32 v[6:7], s[6:7]
	s_and_saveexec_b64 s[16:17], s[0:1]
; %bb.46:
	s_mov_b32 s0, 0
	s_mov_b32 s1, 0xfff00000
	v_mov_b32_e32 v1, s9
	v_cmp_eq_f64_e64 s[0:1], s[0:1], v[14:15]
	s_nop 1
	v_cndmask_b32_e64 v7, v15, v1, s[0:1]
	v_mov_b32_e32 v1, s8
	v_cndmask_b32_e64 v6, v14, v1, s[0:1]
; %bb.47:
	s_or_b64 exec, exec, s[16:17]
.LBB490_48:
	s_or_b64 exec, exec, s[14:15]
	v_cmp_o_f64_e64 s[0:1], v[16:17], v[16:17]
	v_mov_b64_e32 v[8:9], s[4:5]
	s_and_saveexec_b64 s[14:15], s[0:1]
	s_cbranch_execz .LBB490_52
; %bb.49:
	s_mov_b32 s0, 0
	s_mov_b32 s1, 0x7ff00000
	v_cmp_neq_f64_e64 s[0:1], s[0:1], v[16:17]
	v_mov_b64_e32 v[8:9], s[6:7]
	s_and_saveexec_b64 s[16:17], s[0:1]
; %bb.50:
	s_mov_b32 s0, 0
	s_mov_b32 s1, 0xfff00000
	v_mov_b32_e32 v1, s9
	v_cmp_eq_f64_e64 s[0:1], s[0:1], v[16:17]
	s_nop 1
	v_cndmask_b32_e64 v9, v17, v1, s[0:1]
	v_mov_b32_e32 v1, s8
	v_cndmask_b32_e64 v8, v16, v1, s[0:1]
; %bb.51:
	s_or_b64 exec, exec, s[16:17]
.LBB490_52:
	s_or_b64 exec, exec, s[14:15]
.LBB490_53:
	s_or_b64 exec, exec, s[12:13]
	v_or_b32_e32 v1, 0x100, v0
	v_cmp_gt_i32_e64 s[0:1], s18, v1
	s_waitcnt vmcnt(0)
	v_mov_b64_e32 v[14:15], 0
	v_mov_b64_e32 v[16:17], 0
	s_and_saveexec_b64 s[12:13], s[0:1]
	s_cbranch_execz .LBB490_63
; %bb.54:
	v_cmp_o_f64_e64 s[0:1], v[18:19], v[18:19]
	v_mov_b64_e32 v[14:15], s[4:5]
	s_and_saveexec_b64 s[14:15], s[0:1]
	s_cbranch_execz .LBB490_58
; %bb.55:
	s_mov_b32 s0, 0
	s_mov_b32 s1, 0x7ff00000
	v_cmp_neq_f64_e64 s[0:1], s[0:1], v[18:19]
	v_mov_b64_e32 v[14:15], s[6:7]
	s_and_saveexec_b64 s[16:17], s[0:1]
; %bb.56:
	s_mov_b32 s0, 0
	s_mov_b32 s1, 0xfff00000
	v_mov_b32_e32 v14, s9
	v_cmp_eq_f64_e64 s[0:1], s[0:1], v[18:19]
	s_nop 1
	v_cndmask_b32_e64 v15, v19, v14, s[0:1]
	v_mov_b32_e32 v14, s8
	v_cndmask_b32_e64 v14, v18, v14, s[0:1]
; %bb.57:
	s_or_b64 exec, exec, s[16:17]
.LBB490_58:
	s_or_b64 exec, exec, s[14:15]
	v_cmp_o_f64_e64 s[0:1], v[20:21], v[20:21]
	v_mov_b64_e32 v[16:17], s[4:5]
	s_and_saveexec_b64 s[14:15], s[0:1]
	s_cbranch_execz .LBB490_62
; %bb.59:
	s_mov_b32 s0, 0
	s_mov_b32 s1, 0x7ff00000
	v_cmp_neq_f64_e64 s[0:1], s[0:1], v[20:21]
	v_mov_b64_e32 v[16:17], s[6:7]
	s_and_saveexec_b64 s[16:17], s[0:1]
; %bb.60:
	s_mov_b32 s0, 0
	s_mov_b32 s1, 0xfff00000
	v_mov_b32_e32 v16, s9
	v_cmp_eq_f64_e64 s[0:1], s[0:1], v[20:21]
	s_nop 1
	v_cndmask_b32_e64 v17, v21, v16, s[0:1]
	v_mov_b32_e32 v16, s8
	v_cndmask_b32_e64 v16, v20, v16, s[0:1]
; %bb.61:
	s_or_b64 exec, exec, s[16:17]
.LBB490_62:
	s_or_b64 exec, exec, s[14:15]
.LBB490_63:
	s_or_b64 exec, exec, s[12:13]
	v_or_b32_e32 v18, 0x200, v0
	v_cmp_gt_i32_e64 s[0:1], s18, v18
	v_mov_b64_e32 v[18:19], 0
	v_mov_b64_e32 v[20:21], 0
	s_and_saveexec_b64 s[12:13], s[0:1]
	s_cbranch_execz .LBB490_73
; %bb.64:
	v_cmp_o_f64_e64 s[0:1], v[10:11], v[10:11]
	v_mov_b64_e32 v[18:19], s[4:5]
	s_and_saveexec_b64 s[14:15], s[0:1]
	s_cbranch_execz .LBB490_68
; %bb.65:
	s_mov_b32 s0, 0
	s_mov_b32 s1, 0x7ff00000
	v_cmp_neq_f64_e64 s[0:1], s[0:1], v[10:11]
	v_mov_b64_e32 v[18:19], s[6:7]
	s_and_saveexec_b64 s[16:17], s[0:1]
; %bb.66:
	s_mov_b32 s0, 0
	s_mov_b32 s1, 0xfff00000
	v_mov_b32_e32 v18, s9
	v_cmp_eq_f64_e64 s[0:1], s[0:1], v[10:11]
	s_nop 1
	v_cndmask_b32_e64 v19, v11, v18, s[0:1]
	v_mov_b32_e32 v11, s8
	v_cndmask_b32_e64 v18, v10, v11, s[0:1]
; %bb.67:
	s_or_b64 exec, exec, s[16:17]
.LBB490_68:
	s_or_b64 exec, exec, s[14:15]
	v_cmp_o_f64_e64 s[0:1], v[12:13], v[12:13]
	v_mov_b64_e32 v[20:21], s[4:5]
	s_and_saveexec_b64 s[14:15], s[0:1]
	s_cbranch_execz .LBB490_72
; %bb.69:
	s_mov_b32 s0, 0
	s_mov_b32 s1, 0x7ff00000
	v_cmp_neq_f64_e64 s[0:1], s[0:1], v[12:13]
	v_mov_b64_e32 v[20:21], s[6:7]
	s_and_saveexec_b64 s[16:17], s[0:1]
; %bb.70:
	s_mov_b32 s0, 0
	s_mov_b32 s1, 0xfff00000
	v_mov_b32_e32 v10, s9
	v_cmp_eq_f64_e64 s[0:1], s[0:1], v[12:13]
	s_nop 1
	v_cndmask_b32_e64 v21, v13, v10, s[0:1]
	v_mov_b32_e32 v10, s8
	v_cndmask_b32_e64 v20, v12, v10, s[0:1]
; %bb.71:
	s_or_b64 exec, exec, s[16:17]
.LBB490_72:
	s_or_b64 exec, exec, s[14:15]
.LBB490_73:
	s_or_b64 exec, exec, s[12:13]
	v_or_b32_e32 v10, 0x300, v0
	v_cmp_gt_i32_e64 s[0:1], s18, v10
	v_mov_b64_e32 v[10:11], 0
	v_mov_b64_e32 v[12:13], 0
	s_and_saveexec_b64 s[12:13], s[0:1]
	s_cbranch_execnz .LBB490_80
; %bb.74:
	s_or_b64 exec, exec, s[12:13]
	s_and_saveexec_b64 s[0:1], vcc
	s_xor_b64 s[0:1], exec, s[0:1]
	s_cbranch_execnz .LBB490_89
.LBB490_75:
	s_or_b64 exec, exec, s[0:1]
	v_cmp_gt_i32_e32 vcc, s18, v0
	s_and_saveexec_b64 s[0:1], vcc
	s_cbranch_execnz .LBB490_90
.LBB490_76:
	s_or_b64 exec, exec, s[0:1]
	v_cmp_gt_i32_e32 vcc, s18, v0
	s_and_saveexec_b64 s[0:1], vcc
	s_cbranch_execnz .LBB490_91
.LBB490_77:
	s_or_b64 exec, exec, s[0:1]
	v_cmp_gt_i32_e32 vcc, s18, v0
	s_and_saveexec_b64 s[0:1], vcc
	s_cbranch_execz .LBB490_79
.LBB490_78:
	v_add_u32_e32 v0, s2, v0
	v_mov_b32_e32 v1, 0
	v_lshl_add_u64 v[0:1], v[0:1], 4, s[10:11]
	global_store_dwordx4 v[0:1], v[10:13], off
.LBB490_79:
	s_endpgm
.LBB490_80:
	v_cmp_o_f64_e64 s[0:1], v[2:3], v[2:3]
	v_mov_b64_e32 v[10:11], s[4:5]
	s_and_saveexec_b64 s[14:15], s[0:1]
	s_cbranch_execz .LBB490_84
; %bb.81:
	s_mov_b32 s0, 0
	s_mov_b32 s1, 0x7ff00000
	v_cmp_neq_f64_e64 s[0:1], s[0:1], v[2:3]
	v_mov_b64_e32 v[10:11], s[6:7]
	s_and_saveexec_b64 s[16:17], s[0:1]
; %bb.82:
	s_mov_b32 s0, 0
	s_mov_b32 s1, 0xfff00000
	v_mov_b32_e32 v10, s9
	v_cmp_eq_f64_e64 s[0:1], s[0:1], v[2:3]
	s_nop 1
	v_cndmask_b32_e64 v11, v3, v10, s[0:1]
	v_mov_b32_e32 v3, s8
	v_cndmask_b32_e64 v10, v2, v3, s[0:1]
; %bb.83:
	s_or_b64 exec, exec, s[16:17]
.LBB490_84:
	s_or_b64 exec, exec, s[14:15]
	v_cmp_o_f64_e64 s[0:1], v[4:5], v[4:5]
	v_mov_b64_e32 v[12:13], s[4:5]
	s_and_saveexec_b64 s[4:5], s[0:1]
	s_cbranch_execz .LBB490_88
; %bb.85:
	s_mov_b32 s0, 0
	s_mov_b32 s1, 0x7ff00000
	v_cmp_neq_f64_e64 s[0:1], s[0:1], v[4:5]
	v_mov_b64_e32 v[12:13], s[6:7]
	s_and_saveexec_b64 s[6:7], s[0:1]
; %bb.86:
	s_mov_b32 s0, 0
	s_mov_b32 s1, 0xfff00000
	v_mov_b32_e32 v2, s9
	v_cmp_eq_f64_e64 s[0:1], s[0:1], v[4:5]
	s_nop 1
	v_cndmask_b32_e64 v13, v5, v2, s[0:1]
	v_mov_b32_e32 v2, s8
	v_cndmask_b32_e64 v12, v4, v2, s[0:1]
; %bb.87:
	s_or_b64 exec, exec, s[6:7]
.LBB490_88:
	s_or_b64 exec, exec, s[4:5]
	s_or_b64 exec, exec, s[12:13]
	s_and_saveexec_b64 s[0:1], vcc
	s_xor_b64 s[0:1], exec, s[0:1]
	s_cbranch_execz .LBB490_75
.LBB490_89:
	v_mov_b32_e32 v23, 0
	v_lshl_add_u64 v[2:3], v[22:23], 4, s[10:11]
	v_mov_b32_e32 v0, v1
	global_store_dwordx4 v[2:3], v[6:9], off
	s_or_b64 exec, exec, s[0:1]
	v_cmp_gt_i32_e32 vcc, s18, v0
	s_and_saveexec_b64 s[0:1], vcc
	s_cbranch_execz .LBB490_76
.LBB490_90:
	v_add_u32_e32 v2, s2, v0
	v_mov_b32_e32 v3, 0
	v_lshl_add_u64 v[2:3], v[2:3], 4, s[10:11]
	v_add_u32_e32 v0, 0x100, v0
	global_store_dwordx4 v[2:3], v[14:17], off
	s_or_b64 exec, exec, s[0:1]
	v_cmp_gt_i32_e32 vcc, s18, v0
	s_and_saveexec_b64 s[0:1], vcc
	s_cbranch_execz .LBB490_77
.LBB490_91:
	v_add_u32_e32 v2, s2, v0
	v_mov_b32_e32 v3, 0
	v_lshl_add_u64 v[2:3], v[2:3], 4, s[10:11]
	v_add_u32_e32 v0, 0x100, v0
	global_store_dwordx4 v[2:3], v[18:21], off
	s_or_b64 exec, exec, s[0:1]
	v_cmp_gt_i32_e32 vcc, s18, v0
	s_and_saveexec_b64 s[0:1], vcc
	s_cbranch_execnz .LBB490_78
	s_branch .LBB490_79
	.section	.rodata,"a",@progbits
	.p2align	6, 0x0
	.amdhsa_kernel _ZN2at6native29vectorized_elementwise_kernelILi16EZZZNS0_22nan_to_num_kernel_cudaERNS_18TensorIteratorBaseESt8optionalIdES5_S5_ENKUlvE_clEvENKUlvE_clEvEUlN3c107complexIdEEE_St5arrayIPcLm2EEEEviT0_T1_
		.amdhsa_group_segment_fixed_size 0
		.amdhsa_private_segment_fixed_size 0
		.amdhsa_kernarg_size 48
		.amdhsa_user_sgpr_count 2
		.amdhsa_user_sgpr_dispatch_ptr 0
		.amdhsa_user_sgpr_queue_ptr 0
		.amdhsa_user_sgpr_kernarg_segment_ptr 1
		.amdhsa_user_sgpr_dispatch_id 0
		.amdhsa_user_sgpr_kernarg_preload_length 0
		.amdhsa_user_sgpr_kernarg_preload_offset 0
		.amdhsa_user_sgpr_private_segment_size 0
		.amdhsa_uses_dynamic_stack 0
		.amdhsa_enable_private_segment 0
		.amdhsa_system_sgpr_workgroup_id_x 1
		.amdhsa_system_sgpr_workgroup_id_y 0
		.amdhsa_system_sgpr_workgroup_id_z 0
		.amdhsa_system_sgpr_workgroup_info 0
		.amdhsa_system_vgpr_workitem_id 0
		.amdhsa_next_free_vgpr 24
		.amdhsa_next_free_sgpr 22
		.amdhsa_accum_offset 24
		.amdhsa_reserve_vcc 1
		.amdhsa_float_round_mode_32 0
		.amdhsa_float_round_mode_16_64 0
		.amdhsa_float_denorm_mode_32 3
		.amdhsa_float_denorm_mode_16_64 3
		.amdhsa_dx10_clamp 1
		.amdhsa_ieee_mode 1
		.amdhsa_fp16_overflow 0
		.amdhsa_tg_split 0
		.amdhsa_exception_fp_ieee_invalid_op 0
		.amdhsa_exception_fp_denorm_src 0
		.amdhsa_exception_fp_ieee_div_zero 0
		.amdhsa_exception_fp_ieee_overflow 0
		.amdhsa_exception_fp_ieee_underflow 0
		.amdhsa_exception_fp_ieee_inexact 0
		.amdhsa_exception_int_div_zero 0
	.end_amdhsa_kernel
	.section	.text._ZN2at6native29vectorized_elementwise_kernelILi16EZZZNS0_22nan_to_num_kernel_cudaERNS_18TensorIteratorBaseESt8optionalIdES5_S5_ENKUlvE_clEvENKUlvE_clEvEUlN3c107complexIdEEE_St5arrayIPcLm2EEEEviT0_T1_,"axG",@progbits,_ZN2at6native29vectorized_elementwise_kernelILi16EZZZNS0_22nan_to_num_kernel_cudaERNS_18TensorIteratorBaseESt8optionalIdES5_S5_ENKUlvE_clEvENKUlvE_clEvEUlN3c107complexIdEEE_St5arrayIPcLm2EEEEviT0_T1_,comdat
.Lfunc_end490:
	.size	_ZN2at6native29vectorized_elementwise_kernelILi16EZZZNS0_22nan_to_num_kernel_cudaERNS_18TensorIteratorBaseESt8optionalIdES5_S5_ENKUlvE_clEvENKUlvE_clEvEUlN3c107complexIdEEE_St5arrayIPcLm2EEEEviT0_T1_, .Lfunc_end490-_ZN2at6native29vectorized_elementwise_kernelILi16EZZZNS0_22nan_to_num_kernel_cudaERNS_18TensorIteratorBaseESt8optionalIdES5_S5_ENKUlvE_clEvENKUlvE_clEvEUlN3c107complexIdEEE_St5arrayIPcLm2EEEEviT0_T1_
                                        ; -- End function
	.set _ZN2at6native29vectorized_elementwise_kernelILi16EZZZNS0_22nan_to_num_kernel_cudaERNS_18TensorIteratorBaseESt8optionalIdES5_S5_ENKUlvE_clEvENKUlvE_clEvEUlN3c107complexIdEEE_St5arrayIPcLm2EEEEviT0_T1_.num_vgpr, 24
	.set _ZN2at6native29vectorized_elementwise_kernelILi16EZZZNS0_22nan_to_num_kernel_cudaERNS_18TensorIteratorBaseESt8optionalIdES5_S5_ENKUlvE_clEvENKUlvE_clEvEUlN3c107complexIdEEE_St5arrayIPcLm2EEEEviT0_T1_.num_agpr, 0
	.set _ZN2at6native29vectorized_elementwise_kernelILi16EZZZNS0_22nan_to_num_kernel_cudaERNS_18TensorIteratorBaseESt8optionalIdES5_S5_ENKUlvE_clEvENKUlvE_clEvEUlN3c107complexIdEEE_St5arrayIPcLm2EEEEviT0_T1_.numbered_sgpr, 22
	.set _ZN2at6native29vectorized_elementwise_kernelILi16EZZZNS0_22nan_to_num_kernel_cudaERNS_18TensorIteratorBaseESt8optionalIdES5_S5_ENKUlvE_clEvENKUlvE_clEvEUlN3c107complexIdEEE_St5arrayIPcLm2EEEEviT0_T1_.num_named_barrier, 0
	.set _ZN2at6native29vectorized_elementwise_kernelILi16EZZZNS0_22nan_to_num_kernel_cudaERNS_18TensorIteratorBaseESt8optionalIdES5_S5_ENKUlvE_clEvENKUlvE_clEvEUlN3c107complexIdEEE_St5arrayIPcLm2EEEEviT0_T1_.private_seg_size, 0
	.set _ZN2at6native29vectorized_elementwise_kernelILi16EZZZNS0_22nan_to_num_kernel_cudaERNS_18TensorIteratorBaseESt8optionalIdES5_S5_ENKUlvE_clEvENKUlvE_clEvEUlN3c107complexIdEEE_St5arrayIPcLm2EEEEviT0_T1_.uses_vcc, 1
	.set _ZN2at6native29vectorized_elementwise_kernelILi16EZZZNS0_22nan_to_num_kernel_cudaERNS_18TensorIteratorBaseESt8optionalIdES5_S5_ENKUlvE_clEvENKUlvE_clEvEUlN3c107complexIdEEE_St5arrayIPcLm2EEEEviT0_T1_.uses_flat_scratch, 0
	.set _ZN2at6native29vectorized_elementwise_kernelILi16EZZZNS0_22nan_to_num_kernel_cudaERNS_18TensorIteratorBaseESt8optionalIdES5_S5_ENKUlvE_clEvENKUlvE_clEvEUlN3c107complexIdEEE_St5arrayIPcLm2EEEEviT0_T1_.has_dyn_sized_stack, 0
	.set _ZN2at6native29vectorized_elementwise_kernelILi16EZZZNS0_22nan_to_num_kernel_cudaERNS_18TensorIteratorBaseESt8optionalIdES5_S5_ENKUlvE_clEvENKUlvE_clEvEUlN3c107complexIdEEE_St5arrayIPcLm2EEEEviT0_T1_.has_recursion, 0
	.set _ZN2at6native29vectorized_elementwise_kernelILi16EZZZNS0_22nan_to_num_kernel_cudaERNS_18TensorIteratorBaseESt8optionalIdES5_S5_ENKUlvE_clEvENKUlvE_clEvEUlN3c107complexIdEEE_St5arrayIPcLm2EEEEviT0_T1_.has_indirect_call, 0
	.section	.AMDGPU.csdata,"",@progbits
; Kernel info:
; codeLenInByte = 2276
; TotalNumSgprs: 28
; NumVgprs: 24
; NumAgprs: 0
; TotalNumVgprs: 24
; ScratchSize: 0
; MemoryBound: 1
; FloatMode: 240
; IeeeMode: 1
; LDSByteSize: 0 bytes/workgroup (compile time only)
; SGPRBlocks: 3
; VGPRBlocks: 2
; NumSGPRsForWavesPerEU: 28
; NumVGPRsForWavesPerEU: 24
; AccumOffset: 24
; Occupancy: 8
; WaveLimiterHint : 0
; COMPUTE_PGM_RSRC2:SCRATCH_EN: 0
; COMPUTE_PGM_RSRC2:USER_SGPR: 2
; COMPUTE_PGM_RSRC2:TRAP_HANDLER: 0
; COMPUTE_PGM_RSRC2:TGID_X_EN: 1
; COMPUTE_PGM_RSRC2:TGID_Y_EN: 0
; COMPUTE_PGM_RSRC2:TGID_Z_EN: 0
; COMPUTE_PGM_RSRC2:TIDIG_COMP_CNT: 0
; COMPUTE_PGM_RSRC3_GFX90A:ACCUM_OFFSET: 5
; COMPUTE_PGM_RSRC3_GFX90A:TG_SPLIT: 0
	.section	.text._ZN2at6native29vectorized_elementwise_kernelILi8EZZZNS0_22nan_to_num_kernel_cudaERNS_18TensorIteratorBaseESt8optionalIdES5_S5_ENKUlvE_clEvENKUlvE_clEvEUlN3c107complexIdEEE_St5arrayIPcLm2EEEEviT0_T1_,"axG",@progbits,_ZN2at6native29vectorized_elementwise_kernelILi8EZZZNS0_22nan_to_num_kernel_cudaERNS_18TensorIteratorBaseESt8optionalIdES5_S5_ENKUlvE_clEvENKUlvE_clEvEUlN3c107complexIdEEE_St5arrayIPcLm2EEEEviT0_T1_,comdat
	.globl	_ZN2at6native29vectorized_elementwise_kernelILi8EZZZNS0_22nan_to_num_kernel_cudaERNS_18TensorIteratorBaseESt8optionalIdES5_S5_ENKUlvE_clEvENKUlvE_clEvEUlN3c107complexIdEEE_St5arrayIPcLm2EEEEviT0_T1_ ; -- Begin function _ZN2at6native29vectorized_elementwise_kernelILi8EZZZNS0_22nan_to_num_kernel_cudaERNS_18TensorIteratorBaseESt8optionalIdES5_S5_ENKUlvE_clEvENKUlvE_clEvEUlN3c107complexIdEEE_St5arrayIPcLm2EEEEviT0_T1_
	.p2align	8
	.type	_ZN2at6native29vectorized_elementwise_kernelILi8EZZZNS0_22nan_to_num_kernel_cudaERNS_18TensorIteratorBaseESt8optionalIdES5_S5_ENKUlvE_clEvENKUlvE_clEvEUlN3c107complexIdEEE_St5arrayIPcLm2EEEEviT0_T1_,@function
_ZN2at6native29vectorized_elementwise_kernelILi8EZZZNS0_22nan_to_num_kernel_cudaERNS_18TensorIteratorBaseESt8optionalIdES5_S5_ENKUlvE_clEvENKUlvE_clEvEUlN3c107complexIdEEE_St5arrayIPcLm2EEEEviT0_T1_: ; @_ZN2at6native29vectorized_elementwise_kernelILi8EZZZNS0_22nan_to_num_kernel_cudaERNS_18TensorIteratorBaseESt8optionalIdES5_S5_ENKUlvE_clEvENKUlvE_clEvEUlN3c107complexIdEEE_St5arrayIPcLm2EEEEviT0_T1_
; %bb.0:
	s_load_dword s3, s[0:1], 0x0
	s_load_dwordx8 s[4:11], s[0:1], 0x8
	s_load_dwordx2 s[12:13], s[0:1], 0x28
	s_lshl_b32 s2, s2, 10
	s_mov_b64 s[0:1], -1
	s_waitcnt lgkmcnt(0)
	s_sub_i32 s18, s3, s2
	s_cmpk_gt_i32 s18, 0x3ff
	s_cbranch_scc0 .LBB491_34
; %bb.1:
	s_ashr_i32 s3, s2, 31
	s_lshl_b64 s[0:1], s[2:3], 4
	s_add_u32 s14, s12, s0
	s_addc_u32 s15, s13, s1
	v_lshlrev_b32_e32 v1, 6, v0
	global_load_dwordx4 v[18:21], v1, s[14:15] offset:16
	global_load_dwordx4 v[10:13], v1, s[14:15]
	global_load_dwordx4 v[6:9], v1, s[14:15] offset:48
	global_load_dwordx4 v[14:17], v1, s[14:15] offset:32
	v_mov_b64_e32 v[2:3], s[4:5]
	s_waitcnt vmcnt(2)
	v_cmp_o_f64_e32 vcc, v[10:11], v[10:11]
	s_and_saveexec_b64 s[14:15], vcc
	s_cbranch_execz .LBB491_5
; %bb.2:
	s_mov_b32 s16, 0
	s_mov_b32 s17, 0x7ff00000
	v_cmp_neq_f64_e32 vcc, s[16:17], v[10:11]
	v_mov_b64_e32 v[2:3], s[6:7]
	s_and_saveexec_b64 s[16:17], vcc
; %bb.3:
	s_mov_b32 s20, 0
	s_mov_b32 s21, 0xfff00000
	v_mov_b32_e32 v2, s9
	v_cmp_eq_f64_e32 vcc, s[20:21], v[10:11]
	s_nop 1
	v_cndmask_b32_e32 v3, v11, v2, vcc
	v_mov_b32_e32 v2, s8
	v_cndmask_b32_e32 v2, v10, v2, vcc
; %bb.4:
	s_or_b64 exec, exec, s[16:17]
.LBB491_5:
	s_or_b64 exec, exec, s[14:15]
	v_cmp_o_f64_e32 vcc, v[12:13], v[12:13]
	v_mov_b64_e32 v[4:5], s[4:5]
	s_and_saveexec_b64 s[14:15], vcc
	s_cbranch_execz .LBB491_9
; %bb.6:
	s_mov_b32 s16, 0
	s_mov_b32 s17, 0x7ff00000
	v_cmp_neq_f64_e32 vcc, s[16:17], v[12:13]
	v_mov_b64_e32 v[4:5], s[6:7]
	s_and_saveexec_b64 s[16:17], vcc
; %bb.7:
	s_mov_b32 s20, 0
	s_mov_b32 s21, 0xfff00000
	v_mov_b32_e32 v4, s9
	v_cmp_eq_f64_e32 vcc, s[20:21], v[12:13]
	s_nop 1
	v_cndmask_b32_e32 v5, v13, v4, vcc
	v_mov_b32_e32 v4, s8
	v_cndmask_b32_e32 v4, v12, v4, vcc
; %bb.8:
	s_or_b64 exec, exec, s[16:17]
.LBB491_9:
	s_or_b64 exec, exec, s[14:15]
	v_cmp_o_f64_e32 vcc, v[18:19], v[18:19]
	v_mov_b64_e32 v[10:11], s[4:5]
	;; [unrolled: 23-line block ×3, first 2 shown]
	s_and_saveexec_b64 s[14:15], vcc
	s_cbranch_execz .LBB491_17
; %bb.14:
	s_mov_b32 s16, 0
	s_mov_b32 s17, 0x7ff00000
	v_cmp_neq_f64_e32 vcc, s[16:17], v[20:21]
	v_mov_b64_e32 v[12:13], s[6:7]
	s_and_saveexec_b64 s[16:17], vcc
; %bb.15:
	s_mov_b32 s20, 0
	s_mov_b32 s21, 0xfff00000
	v_mov_b32_e32 v12, s9
	v_cmp_eq_f64_e32 vcc, s[20:21], v[20:21]
	s_nop 1
	v_cndmask_b32_e32 v13, v21, v12, vcc
	v_mov_b32_e32 v12, s8
	v_cndmask_b32_e32 v12, v20, v12, vcc
; %bb.16:
	s_or_b64 exec, exec, s[16:17]
.LBB491_17:
	s_or_b64 exec, exec, s[14:15]
	s_waitcnt vmcnt(0)
	v_cmp_o_f64_e32 vcc, v[14:15], v[14:15]
	v_mov_b64_e32 v[18:19], s[4:5]
	s_and_saveexec_b64 s[14:15], vcc
	s_cbranch_execz .LBB491_21
; %bb.18:
	s_mov_b32 s16, 0
	s_mov_b32 s17, 0x7ff00000
	v_cmp_neq_f64_e32 vcc, s[16:17], v[14:15]
	v_mov_b64_e32 v[18:19], s[6:7]
	s_and_saveexec_b64 s[16:17], vcc
; %bb.19:
	s_mov_b32 s20, 0
	s_mov_b32 s21, 0xfff00000
	v_mov_b32_e32 v18, s9
	v_cmp_eq_f64_e32 vcc, s[20:21], v[14:15]
	s_nop 1
	v_cndmask_b32_e32 v19, v15, v18, vcc
	v_mov_b32_e32 v15, s8
	v_cndmask_b32_e32 v18, v14, v15, vcc
; %bb.20:
	s_or_b64 exec, exec, s[16:17]
.LBB491_21:
	s_or_b64 exec, exec, s[14:15]
	v_cmp_o_f64_e32 vcc, v[16:17], v[16:17]
	v_mov_b64_e32 v[20:21], s[4:5]
	s_and_saveexec_b64 s[14:15], vcc
	s_cbranch_execz .LBB491_25
; %bb.22:
	s_mov_b32 s16, 0
	s_mov_b32 s17, 0x7ff00000
	v_cmp_neq_f64_e32 vcc, s[16:17], v[16:17]
	v_mov_b64_e32 v[20:21], s[6:7]
	s_and_saveexec_b64 s[16:17], vcc
; %bb.23:
	s_mov_b32 s20, 0
	s_mov_b32 s21, 0xfff00000
	v_mov_b32_e32 v14, s9
	v_cmp_eq_f64_e32 vcc, s[20:21], v[16:17]
	s_nop 1
	v_cndmask_b32_e32 v21, v17, v14, vcc
	v_mov_b32_e32 v14, s8
	v_cndmask_b32_e32 v20, v16, v14, vcc
; %bb.24:
	s_or_b64 exec, exec, s[16:17]
.LBB491_25:
	s_or_b64 exec, exec, s[14:15]
	;; [unrolled: 23-line block ×4, first 2 shown]
	s_add_u32 s0, s10, s0
	s_addc_u32 s1, s11, s1
	global_store_dwordx4 v1, v[2:5], s[0:1]
	global_store_dwordx4 v1, v[10:13], s[0:1] offset:16
	global_store_dwordx4 v1, v[18:21], s[0:1] offset:32
	;; [unrolled: 1-line block ×3, first 2 shown]
	s_mov_b64 s[0:1], 0
.LBB491_34:
	s_and_b64 vcc, exec, s[0:1]
	s_cbranch_vccz .LBB491_79
; %bb.35:
	v_cmp_gt_i32_e32 vcc, s18, v0
	v_mov_b64_e32 v[18:19], 0
	v_or_b32_e32 v22, s2, v0
	v_mov_b64_e32 v[14:15], 0
	v_mov_b64_e32 v[16:17], 0
	v_mov_b32_e32 v1, v0
	s_and_saveexec_b64 s[0:1], vcc
	s_cbranch_execz .LBB491_37
; %bb.36:
	v_mov_b32_e32 v23, 0
	v_lshl_add_u64 v[2:3], v[22:23], 4, s[12:13]
	global_load_dwordx4 v[14:17], v[2:3], off
	v_or_b32_e32 v1, 0x100, v0
.LBB491_37:
	s_or_b64 exec, exec, s[0:1]
	v_cmp_gt_i32_e64 s[0:1], s18, v1
	v_mov_b64_e32 v[20:21], 0
	s_and_saveexec_b64 s[14:15], s[0:1]
	s_cbranch_execz .LBB491_39
; %bb.38:
	v_add_u32_e32 v2, s2, v1
	v_mov_b32_e32 v3, 0
	v_lshl_add_u64 v[2:3], v[2:3], 4, s[12:13]
	global_load_dwordx4 v[18:21], v[2:3], off
	v_add_u32_e32 v1, 0x100, v1
.LBB491_39:
	s_or_b64 exec, exec, s[14:15]
	v_cmp_gt_i32_e64 s[0:1], s18, v1
	v_mov_b64_e32 v[2:3], 0
	v_mov_b64_e32 v[10:11], 0
	;; [unrolled: 1-line block ×3, first 2 shown]
	s_and_saveexec_b64 s[14:15], s[0:1]
	s_cbranch_execz .LBB491_41
; %bb.40:
	v_add_u32_e32 v4, s2, v1
	v_mov_b32_e32 v5, 0
	v_lshl_add_u64 v[4:5], v[4:5], 4, s[12:13]
	global_load_dwordx4 v[10:13], v[4:5], off
	v_add_u32_e32 v1, 0x100, v1
.LBB491_41:
	s_or_b64 exec, exec, s[14:15]
	v_cmp_gt_i32_e64 s[0:1], s18, v1
	v_mov_b64_e32 v[4:5], 0
	s_and_saveexec_b64 s[14:15], s[0:1]
	s_cbranch_execz .LBB491_43
; %bb.42:
	v_add_u32_e32 v2, s2, v1
	v_mov_b32_e32 v3, 0
	v_lshl_add_u64 v[2:3], v[2:3], 4, s[12:13]
	global_load_dwordx4 v[2:5], v[2:3], off
.LBB491_43:
	s_or_b64 exec, exec, s[14:15]
	v_mov_b64_e32 v[6:7], 0
	v_mov_b64_e32 v[8:9], 0
	s_and_saveexec_b64 s[12:13], vcc
	s_cbranch_execz .LBB491_53
; %bb.44:
	s_waitcnt vmcnt(0)
	v_cmp_o_f64_e64 s[0:1], v[14:15], v[14:15]
	v_mov_b64_e32 v[6:7], s[4:5]
	s_and_saveexec_b64 s[14:15], s[0:1]
	s_cbranch_execz .LBB491_48
; %bb.45:
	s_mov_b32 s0, 0
	s_mov_b32 s1, 0x7ff00000
	v_cmp_neq_f64_e64 s[0:1], s[0:1], v[14:15]
	v_mov_b64_e32 v[6:7], s[6:7]
	s_and_saveexec_b64 s[16:17], s[0:1]
; %bb.46:
	s_mov_b32 s0, 0
	s_mov_b32 s1, 0xfff00000
	v_mov_b32_e32 v1, s9
	v_cmp_eq_f64_e64 s[0:1], s[0:1], v[14:15]
	s_nop 1
	v_cndmask_b32_e64 v7, v15, v1, s[0:1]
	v_mov_b32_e32 v1, s8
	v_cndmask_b32_e64 v6, v14, v1, s[0:1]
; %bb.47:
	s_or_b64 exec, exec, s[16:17]
.LBB491_48:
	s_or_b64 exec, exec, s[14:15]
	v_cmp_o_f64_e64 s[0:1], v[16:17], v[16:17]
	v_mov_b64_e32 v[8:9], s[4:5]
	s_and_saveexec_b64 s[14:15], s[0:1]
	s_cbranch_execz .LBB491_52
; %bb.49:
	s_mov_b32 s0, 0
	s_mov_b32 s1, 0x7ff00000
	v_cmp_neq_f64_e64 s[0:1], s[0:1], v[16:17]
	v_mov_b64_e32 v[8:9], s[6:7]
	s_and_saveexec_b64 s[16:17], s[0:1]
; %bb.50:
	s_mov_b32 s0, 0
	s_mov_b32 s1, 0xfff00000
	v_mov_b32_e32 v1, s9
	v_cmp_eq_f64_e64 s[0:1], s[0:1], v[16:17]
	s_nop 1
	v_cndmask_b32_e64 v9, v17, v1, s[0:1]
	v_mov_b32_e32 v1, s8
	v_cndmask_b32_e64 v8, v16, v1, s[0:1]
; %bb.51:
	s_or_b64 exec, exec, s[16:17]
.LBB491_52:
	s_or_b64 exec, exec, s[14:15]
.LBB491_53:
	s_or_b64 exec, exec, s[12:13]
	v_or_b32_e32 v1, 0x100, v0
	v_cmp_gt_i32_e64 s[0:1], s18, v1
	s_waitcnt vmcnt(0)
	v_mov_b64_e32 v[14:15], 0
	v_mov_b64_e32 v[16:17], 0
	s_and_saveexec_b64 s[12:13], s[0:1]
	s_cbranch_execz .LBB491_63
; %bb.54:
	v_cmp_o_f64_e64 s[0:1], v[18:19], v[18:19]
	v_mov_b64_e32 v[14:15], s[4:5]
	s_and_saveexec_b64 s[14:15], s[0:1]
	s_cbranch_execz .LBB491_58
; %bb.55:
	s_mov_b32 s0, 0
	s_mov_b32 s1, 0x7ff00000
	v_cmp_neq_f64_e64 s[0:1], s[0:1], v[18:19]
	v_mov_b64_e32 v[14:15], s[6:7]
	s_and_saveexec_b64 s[16:17], s[0:1]
; %bb.56:
	s_mov_b32 s0, 0
	s_mov_b32 s1, 0xfff00000
	v_mov_b32_e32 v14, s9
	v_cmp_eq_f64_e64 s[0:1], s[0:1], v[18:19]
	s_nop 1
	v_cndmask_b32_e64 v15, v19, v14, s[0:1]
	v_mov_b32_e32 v14, s8
	v_cndmask_b32_e64 v14, v18, v14, s[0:1]
; %bb.57:
	s_or_b64 exec, exec, s[16:17]
.LBB491_58:
	s_or_b64 exec, exec, s[14:15]
	v_cmp_o_f64_e64 s[0:1], v[20:21], v[20:21]
	v_mov_b64_e32 v[16:17], s[4:5]
	s_and_saveexec_b64 s[14:15], s[0:1]
	s_cbranch_execz .LBB491_62
; %bb.59:
	s_mov_b32 s0, 0
	s_mov_b32 s1, 0x7ff00000
	v_cmp_neq_f64_e64 s[0:1], s[0:1], v[20:21]
	v_mov_b64_e32 v[16:17], s[6:7]
	s_and_saveexec_b64 s[16:17], s[0:1]
; %bb.60:
	s_mov_b32 s0, 0
	s_mov_b32 s1, 0xfff00000
	v_mov_b32_e32 v16, s9
	v_cmp_eq_f64_e64 s[0:1], s[0:1], v[20:21]
	s_nop 1
	v_cndmask_b32_e64 v17, v21, v16, s[0:1]
	v_mov_b32_e32 v16, s8
	v_cndmask_b32_e64 v16, v20, v16, s[0:1]
; %bb.61:
	s_or_b64 exec, exec, s[16:17]
.LBB491_62:
	s_or_b64 exec, exec, s[14:15]
.LBB491_63:
	s_or_b64 exec, exec, s[12:13]
	v_or_b32_e32 v18, 0x200, v0
	v_cmp_gt_i32_e64 s[0:1], s18, v18
	v_mov_b64_e32 v[18:19], 0
	v_mov_b64_e32 v[20:21], 0
	s_and_saveexec_b64 s[12:13], s[0:1]
	s_cbranch_execz .LBB491_73
; %bb.64:
	v_cmp_o_f64_e64 s[0:1], v[10:11], v[10:11]
	v_mov_b64_e32 v[18:19], s[4:5]
	s_and_saveexec_b64 s[14:15], s[0:1]
	s_cbranch_execz .LBB491_68
; %bb.65:
	s_mov_b32 s0, 0
	s_mov_b32 s1, 0x7ff00000
	v_cmp_neq_f64_e64 s[0:1], s[0:1], v[10:11]
	v_mov_b64_e32 v[18:19], s[6:7]
	s_and_saveexec_b64 s[16:17], s[0:1]
; %bb.66:
	s_mov_b32 s0, 0
	s_mov_b32 s1, 0xfff00000
	v_mov_b32_e32 v18, s9
	v_cmp_eq_f64_e64 s[0:1], s[0:1], v[10:11]
	s_nop 1
	v_cndmask_b32_e64 v19, v11, v18, s[0:1]
	v_mov_b32_e32 v11, s8
	v_cndmask_b32_e64 v18, v10, v11, s[0:1]
; %bb.67:
	s_or_b64 exec, exec, s[16:17]
.LBB491_68:
	s_or_b64 exec, exec, s[14:15]
	v_cmp_o_f64_e64 s[0:1], v[12:13], v[12:13]
	v_mov_b64_e32 v[20:21], s[4:5]
	s_and_saveexec_b64 s[14:15], s[0:1]
	s_cbranch_execz .LBB491_72
; %bb.69:
	s_mov_b32 s0, 0
	s_mov_b32 s1, 0x7ff00000
	v_cmp_neq_f64_e64 s[0:1], s[0:1], v[12:13]
	v_mov_b64_e32 v[20:21], s[6:7]
	s_and_saveexec_b64 s[16:17], s[0:1]
; %bb.70:
	s_mov_b32 s0, 0
	s_mov_b32 s1, 0xfff00000
	v_mov_b32_e32 v10, s9
	v_cmp_eq_f64_e64 s[0:1], s[0:1], v[12:13]
	s_nop 1
	v_cndmask_b32_e64 v21, v13, v10, s[0:1]
	v_mov_b32_e32 v10, s8
	v_cndmask_b32_e64 v20, v12, v10, s[0:1]
; %bb.71:
	s_or_b64 exec, exec, s[16:17]
.LBB491_72:
	s_or_b64 exec, exec, s[14:15]
.LBB491_73:
	s_or_b64 exec, exec, s[12:13]
	v_or_b32_e32 v10, 0x300, v0
	v_cmp_gt_i32_e64 s[0:1], s18, v10
	v_mov_b64_e32 v[10:11], 0
	v_mov_b64_e32 v[12:13], 0
	s_and_saveexec_b64 s[12:13], s[0:1]
	s_cbranch_execnz .LBB491_80
; %bb.74:
	s_or_b64 exec, exec, s[12:13]
	s_and_saveexec_b64 s[0:1], vcc
	s_xor_b64 s[0:1], exec, s[0:1]
	s_cbranch_execnz .LBB491_89
.LBB491_75:
	s_or_b64 exec, exec, s[0:1]
	v_cmp_gt_i32_e32 vcc, s18, v0
	s_and_saveexec_b64 s[0:1], vcc
	s_cbranch_execnz .LBB491_90
.LBB491_76:
	s_or_b64 exec, exec, s[0:1]
	v_cmp_gt_i32_e32 vcc, s18, v0
	s_and_saveexec_b64 s[0:1], vcc
	s_cbranch_execnz .LBB491_91
.LBB491_77:
	s_or_b64 exec, exec, s[0:1]
	v_cmp_gt_i32_e32 vcc, s18, v0
	s_and_saveexec_b64 s[0:1], vcc
	s_cbranch_execz .LBB491_79
.LBB491_78:
	v_add_u32_e32 v0, s2, v0
	v_mov_b32_e32 v1, 0
	v_lshl_add_u64 v[0:1], v[0:1], 4, s[10:11]
	global_store_dwordx4 v[0:1], v[10:13], off
.LBB491_79:
	s_endpgm
.LBB491_80:
	v_cmp_o_f64_e64 s[0:1], v[2:3], v[2:3]
	v_mov_b64_e32 v[10:11], s[4:5]
	s_and_saveexec_b64 s[14:15], s[0:1]
	s_cbranch_execz .LBB491_84
; %bb.81:
	s_mov_b32 s0, 0
	s_mov_b32 s1, 0x7ff00000
	v_cmp_neq_f64_e64 s[0:1], s[0:1], v[2:3]
	v_mov_b64_e32 v[10:11], s[6:7]
	s_and_saveexec_b64 s[16:17], s[0:1]
; %bb.82:
	s_mov_b32 s0, 0
	s_mov_b32 s1, 0xfff00000
	v_mov_b32_e32 v10, s9
	v_cmp_eq_f64_e64 s[0:1], s[0:1], v[2:3]
	s_nop 1
	v_cndmask_b32_e64 v11, v3, v10, s[0:1]
	v_mov_b32_e32 v3, s8
	v_cndmask_b32_e64 v10, v2, v3, s[0:1]
; %bb.83:
	s_or_b64 exec, exec, s[16:17]
.LBB491_84:
	s_or_b64 exec, exec, s[14:15]
	v_cmp_o_f64_e64 s[0:1], v[4:5], v[4:5]
	v_mov_b64_e32 v[12:13], s[4:5]
	s_and_saveexec_b64 s[4:5], s[0:1]
	s_cbranch_execz .LBB491_88
; %bb.85:
	s_mov_b32 s0, 0
	s_mov_b32 s1, 0x7ff00000
	v_cmp_neq_f64_e64 s[0:1], s[0:1], v[4:5]
	v_mov_b64_e32 v[12:13], s[6:7]
	s_and_saveexec_b64 s[6:7], s[0:1]
; %bb.86:
	s_mov_b32 s0, 0
	s_mov_b32 s1, 0xfff00000
	v_mov_b32_e32 v2, s9
	v_cmp_eq_f64_e64 s[0:1], s[0:1], v[4:5]
	s_nop 1
	v_cndmask_b32_e64 v13, v5, v2, s[0:1]
	v_mov_b32_e32 v2, s8
	v_cndmask_b32_e64 v12, v4, v2, s[0:1]
; %bb.87:
	s_or_b64 exec, exec, s[6:7]
.LBB491_88:
	s_or_b64 exec, exec, s[4:5]
	s_or_b64 exec, exec, s[12:13]
	s_and_saveexec_b64 s[0:1], vcc
	s_xor_b64 s[0:1], exec, s[0:1]
	s_cbranch_execz .LBB491_75
.LBB491_89:
	v_mov_b32_e32 v23, 0
	v_lshl_add_u64 v[2:3], v[22:23], 4, s[10:11]
	v_mov_b32_e32 v0, v1
	global_store_dwordx4 v[2:3], v[6:9], off
	s_or_b64 exec, exec, s[0:1]
	v_cmp_gt_i32_e32 vcc, s18, v0
	s_and_saveexec_b64 s[0:1], vcc
	s_cbranch_execz .LBB491_76
.LBB491_90:
	v_add_u32_e32 v2, s2, v0
	v_mov_b32_e32 v3, 0
	v_lshl_add_u64 v[2:3], v[2:3], 4, s[10:11]
	v_add_u32_e32 v0, 0x100, v0
	global_store_dwordx4 v[2:3], v[14:17], off
	s_or_b64 exec, exec, s[0:1]
	v_cmp_gt_i32_e32 vcc, s18, v0
	s_and_saveexec_b64 s[0:1], vcc
	s_cbranch_execz .LBB491_77
.LBB491_91:
	v_add_u32_e32 v2, s2, v0
	v_mov_b32_e32 v3, 0
	v_lshl_add_u64 v[2:3], v[2:3], 4, s[10:11]
	v_add_u32_e32 v0, 0x100, v0
	global_store_dwordx4 v[2:3], v[18:21], off
	s_or_b64 exec, exec, s[0:1]
	v_cmp_gt_i32_e32 vcc, s18, v0
	s_and_saveexec_b64 s[0:1], vcc
	s_cbranch_execnz .LBB491_78
	s_branch .LBB491_79
	.section	.rodata,"a",@progbits
	.p2align	6, 0x0
	.amdhsa_kernel _ZN2at6native29vectorized_elementwise_kernelILi8EZZZNS0_22nan_to_num_kernel_cudaERNS_18TensorIteratorBaseESt8optionalIdES5_S5_ENKUlvE_clEvENKUlvE_clEvEUlN3c107complexIdEEE_St5arrayIPcLm2EEEEviT0_T1_
		.amdhsa_group_segment_fixed_size 0
		.amdhsa_private_segment_fixed_size 0
		.amdhsa_kernarg_size 48
		.amdhsa_user_sgpr_count 2
		.amdhsa_user_sgpr_dispatch_ptr 0
		.amdhsa_user_sgpr_queue_ptr 0
		.amdhsa_user_sgpr_kernarg_segment_ptr 1
		.amdhsa_user_sgpr_dispatch_id 0
		.amdhsa_user_sgpr_kernarg_preload_length 0
		.amdhsa_user_sgpr_kernarg_preload_offset 0
		.amdhsa_user_sgpr_private_segment_size 0
		.amdhsa_uses_dynamic_stack 0
		.amdhsa_enable_private_segment 0
		.amdhsa_system_sgpr_workgroup_id_x 1
		.amdhsa_system_sgpr_workgroup_id_y 0
		.amdhsa_system_sgpr_workgroup_id_z 0
		.amdhsa_system_sgpr_workgroup_info 0
		.amdhsa_system_vgpr_workitem_id 0
		.amdhsa_next_free_vgpr 24
		.amdhsa_next_free_sgpr 22
		.amdhsa_accum_offset 24
		.amdhsa_reserve_vcc 1
		.amdhsa_float_round_mode_32 0
		.amdhsa_float_round_mode_16_64 0
		.amdhsa_float_denorm_mode_32 3
		.amdhsa_float_denorm_mode_16_64 3
		.amdhsa_dx10_clamp 1
		.amdhsa_ieee_mode 1
		.amdhsa_fp16_overflow 0
		.amdhsa_tg_split 0
		.amdhsa_exception_fp_ieee_invalid_op 0
		.amdhsa_exception_fp_denorm_src 0
		.amdhsa_exception_fp_ieee_div_zero 0
		.amdhsa_exception_fp_ieee_overflow 0
		.amdhsa_exception_fp_ieee_underflow 0
		.amdhsa_exception_fp_ieee_inexact 0
		.amdhsa_exception_int_div_zero 0
	.end_amdhsa_kernel
	.section	.text._ZN2at6native29vectorized_elementwise_kernelILi8EZZZNS0_22nan_to_num_kernel_cudaERNS_18TensorIteratorBaseESt8optionalIdES5_S5_ENKUlvE_clEvENKUlvE_clEvEUlN3c107complexIdEEE_St5arrayIPcLm2EEEEviT0_T1_,"axG",@progbits,_ZN2at6native29vectorized_elementwise_kernelILi8EZZZNS0_22nan_to_num_kernel_cudaERNS_18TensorIteratorBaseESt8optionalIdES5_S5_ENKUlvE_clEvENKUlvE_clEvEUlN3c107complexIdEEE_St5arrayIPcLm2EEEEviT0_T1_,comdat
.Lfunc_end491:
	.size	_ZN2at6native29vectorized_elementwise_kernelILi8EZZZNS0_22nan_to_num_kernel_cudaERNS_18TensorIteratorBaseESt8optionalIdES5_S5_ENKUlvE_clEvENKUlvE_clEvEUlN3c107complexIdEEE_St5arrayIPcLm2EEEEviT0_T1_, .Lfunc_end491-_ZN2at6native29vectorized_elementwise_kernelILi8EZZZNS0_22nan_to_num_kernel_cudaERNS_18TensorIteratorBaseESt8optionalIdES5_S5_ENKUlvE_clEvENKUlvE_clEvEUlN3c107complexIdEEE_St5arrayIPcLm2EEEEviT0_T1_
                                        ; -- End function
	.set _ZN2at6native29vectorized_elementwise_kernelILi8EZZZNS0_22nan_to_num_kernel_cudaERNS_18TensorIteratorBaseESt8optionalIdES5_S5_ENKUlvE_clEvENKUlvE_clEvEUlN3c107complexIdEEE_St5arrayIPcLm2EEEEviT0_T1_.num_vgpr, 24
	.set _ZN2at6native29vectorized_elementwise_kernelILi8EZZZNS0_22nan_to_num_kernel_cudaERNS_18TensorIteratorBaseESt8optionalIdES5_S5_ENKUlvE_clEvENKUlvE_clEvEUlN3c107complexIdEEE_St5arrayIPcLm2EEEEviT0_T1_.num_agpr, 0
	.set _ZN2at6native29vectorized_elementwise_kernelILi8EZZZNS0_22nan_to_num_kernel_cudaERNS_18TensorIteratorBaseESt8optionalIdES5_S5_ENKUlvE_clEvENKUlvE_clEvEUlN3c107complexIdEEE_St5arrayIPcLm2EEEEviT0_T1_.numbered_sgpr, 22
	.set _ZN2at6native29vectorized_elementwise_kernelILi8EZZZNS0_22nan_to_num_kernel_cudaERNS_18TensorIteratorBaseESt8optionalIdES5_S5_ENKUlvE_clEvENKUlvE_clEvEUlN3c107complexIdEEE_St5arrayIPcLm2EEEEviT0_T1_.num_named_barrier, 0
	.set _ZN2at6native29vectorized_elementwise_kernelILi8EZZZNS0_22nan_to_num_kernel_cudaERNS_18TensorIteratorBaseESt8optionalIdES5_S5_ENKUlvE_clEvENKUlvE_clEvEUlN3c107complexIdEEE_St5arrayIPcLm2EEEEviT0_T1_.private_seg_size, 0
	.set _ZN2at6native29vectorized_elementwise_kernelILi8EZZZNS0_22nan_to_num_kernel_cudaERNS_18TensorIteratorBaseESt8optionalIdES5_S5_ENKUlvE_clEvENKUlvE_clEvEUlN3c107complexIdEEE_St5arrayIPcLm2EEEEviT0_T1_.uses_vcc, 1
	.set _ZN2at6native29vectorized_elementwise_kernelILi8EZZZNS0_22nan_to_num_kernel_cudaERNS_18TensorIteratorBaseESt8optionalIdES5_S5_ENKUlvE_clEvENKUlvE_clEvEUlN3c107complexIdEEE_St5arrayIPcLm2EEEEviT0_T1_.uses_flat_scratch, 0
	.set _ZN2at6native29vectorized_elementwise_kernelILi8EZZZNS0_22nan_to_num_kernel_cudaERNS_18TensorIteratorBaseESt8optionalIdES5_S5_ENKUlvE_clEvENKUlvE_clEvEUlN3c107complexIdEEE_St5arrayIPcLm2EEEEviT0_T1_.has_dyn_sized_stack, 0
	.set _ZN2at6native29vectorized_elementwise_kernelILi8EZZZNS0_22nan_to_num_kernel_cudaERNS_18TensorIteratorBaseESt8optionalIdES5_S5_ENKUlvE_clEvENKUlvE_clEvEUlN3c107complexIdEEE_St5arrayIPcLm2EEEEviT0_T1_.has_recursion, 0
	.set _ZN2at6native29vectorized_elementwise_kernelILi8EZZZNS0_22nan_to_num_kernel_cudaERNS_18TensorIteratorBaseESt8optionalIdES5_S5_ENKUlvE_clEvENKUlvE_clEvEUlN3c107complexIdEEE_St5arrayIPcLm2EEEEviT0_T1_.has_indirect_call, 0
	.section	.AMDGPU.csdata,"",@progbits
; Kernel info:
; codeLenInByte = 2276
; TotalNumSgprs: 28
; NumVgprs: 24
; NumAgprs: 0
; TotalNumVgprs: 24
; ScratchSize: 0
; MemoryBound: 1
; FloatMode: 240
; IeeeMode: 1
; LDSByteSize: 0 bytes/workgroup (compile time only)
; SGPRBlocks: 3
; VGPRBlocks: 2
; NumSGPRsForWavesPerEU: 28
; NumVGPRsForWavesPerEU: 24
; AccumOffset: 24
; Occupancy: 8
; WaveLimiterHint : 0
; COMPUTE_PGM_RSRC2:SCRATCH_EN: 0
; COMPUTE_PGM_RSRC2:USER_SGPR: 2
; COMPUTE_PGM_RSRC2:TRAP_HANDLER: 0
; COMPUTE_PGM_RSRC2:TGID_X_EN: 1
; COMPUTE_PGM_RSRC2:TGID_Y_EN: 0
; COMPUTE_PGM_RSRC2:TGID_Z_EN: 0
; COMPUTE_PGM_RSRC2:TIDIG_COMP_CNT: 0
; COMPUTE_PGM_RSRC3_GFX90A:ACCUM_OFFSET: 5
; COMPUTE_PGM_RSRC3_GFX90A:TG_SPLIT: 0
	.section	.text._ZN2at6native29vectorized_elementwise_kernelILi4EZZZNS0_22nan_to_num_kernel_cudaERNS_18TensorIteratorBaseESt8optionalIdES5_S5_ENKUlvE_clEvENKUlvE_clEvEUlN3c107complexIdEEE_St5arrayIPcLm2EEEEviT0_T1_,"axG",@progbits,_ZN2at6native29vectorized_elementwise_kernelILi4EZZZNS0_22nan_to_num_kernel_cudaERNS_18TensorIteratorBaseESt8optionalIdES5_S5_ENKUlvE_clEvENKUlvE_clEvEUlN3c107complexIdEEE_St5arrayIPcLm2EEEEviT0_T1_,comdat
	.globl	_ZN2at6native29vectorized_elementwise_kernelILi4EZZZNS0_22nan_to_num_kernel_cudaERNS_18TensorIteratorBaseESt8optionalIdES5_S5_ENKUlvE_clEvENKUlvE_clEvEUlN3c107complexIdEEE_St5arrayIPcLm2EEEEviT0_T1_ ; -- Begin function _ZN2at6native29vectorized_elementwise_kernelILi4EZZZNS0_22nan_to_num_kernel_cudaERNS_18TensorIteratorBaseESt8optionalIdES5_S5_ENKUlvE_clEvENKUlvE_clEvEUlN3c107complexIdEEE_St5arrayIPcLm2EEEEviT0_T1_
	.p2align	8
	.type	_ZN2at6native29vectorized_elementwise_kernelILi4EZZZNS0_22nan_to_num_kernel_cudaERNS_18TensorIteratorBaseESt8optionalIdES5_S5_ENKUlvE_clEvENKUlvE_clEvEUlN3c107complexIdEEE_St5arrayIPcLm2EEEEviT0_T1_,@function
_ZN2at6native29vectorized_elementwise_kernelILi4EZZZNS0_22nan_to_num_kernel_cudaERNS_18TensorIteratorBaseESt8optionalIdES5_S5_ENKUlvE_clEvENKUlvE_clEvEUlN3c107complexIdEEE_St5arrayIPcLm2EEEEviT0_T1_: ; @_ZN2at6native29vectorized_elementwise_kernelILi4EZZZNS0_22nan_to_num_kernel_cudaERNS_18TensorIteratorBaseESt8optionalIdES5_S5_ENKUlvE_clEvENKUlvE_clEvEUlN3c107complexIdEEE_St5arrayIPcLm2EEEEviT0_T1_
; %bb.0:
	s_load_dword s3, s[0:1], 0x0
	s_load_dwordx8 s[4:11], s[0:1], 0x8
	s_load_dwordx2 s[12:13], s[0:1], 0x28
	s_lshl_b32 s2, s2, 10
	s_mov_b64 s[0:1], -1
	s_waitcnt lgkmcnt(0)
	s_sub_i32 s18, s3, s2
	s_cmpk_gt_i32 s18, 0x3ff
	s_cbranch_scc0 .LBB492_34
; %bb.1:
	s_ashr_i32 s3, s2, 31
	s_lshl_b64 s[0:1], s[2:3], 4
	s_add_u32 s14, s12, s0
	s_addc_u32 s15, s13, s1
	v_lshlrev_b32_e32 v1, 6, v0
	global_load_dwordx4 v[18:21], v1, s[14:15] offset:16
	global_load_dwordx4 v[10:13], v1, s[14:15]
	global_load_dwordx4 v[6:9], v1, s[14:15] offset:48
	global_load_dwordx4 v[14:17], v1, s[14:15] offset:32
	v_mov_b64_e32 v[2:3], s[4:5]
	s_waitcnt vmcnt(2)
	v_cmp_o_f64_e32 vcc, v[10:11], v[10:11]
	s_and_saveexec_b64 s[14:15], vcc
	s_cbranch_execz .LBB492_5
; %bb.2:
	s_mov_b32 s16, 0
	s_mov_b32 s17, 0x7ff00000
	v_cmp_neq_f64_e32 vcc, s[16:17], v[10:11]
	v_mov_b64_e32 v[2:3], s[6:7]
	s_and_saveexec_b64 s[16:17], vcc
; %bb.3:
	s_mov_b32 s20, 0
	s_mov_b32 s21, 0xfff00000
	v_mov_b32_e32 v2, s9
	v_cmp_eq_f64_e32 vcc, s[20:21], v[10:11]
	s_nop 1
	v_cndmask_b32_e32 v3, v11, v2, vcc
	v_mov_b32_e32 v2, s8
	v_cndmask_b32_e32 v2, v10, v2, vcc
; %bb.4:
	s_or_b64 exec, exec, s[16:17]
.LBB492_5:
	s_or_b64 exec, exec, s[14:15]
	v_cmp_o_f64_e32 vcc, v[12:13], v[12:13]
	v_mov_b64_e32 v[4:5], s[4:5]
	s_and_saveexec_b64 s[14:15], vcc
	s_cbranch_execz .LBB492_9
; %bb.6:
	s_mov_b32 s16, 0
	s_mov_b32 s17, 0x7ff00000
	v_cmp_neq_f64_e32 vcc, s[16:17], v[12:13]
	v_mov_b64_e32 v[4:5], s[6:7]
	s_and_saveexec_b64 s[16:17], vcc
; %bb.7:
	s_mov_b32 s20, 0
	s_mov_b32 s21, 0xfff00000
	v_mov_b32_e32 v4, s9
	v_cmp_eq_f64_e32 vcc, s[20:21], v[12:13]
	s_nop 1
	v_cndmask_b32_e32 v5, v13, v4, vcc
	v_mov_b32_e32 v4, s8
	v_cndmask_b32_e32 v4, v12, v4, vcc
; %bb.8:
	s_or_b64 exec, exec, s[16:17]
.LBB492_9:
	s_or_b64 exec, exec, s[14:15]
	v_cmp_o_f64_e32 vcc, v[18:19], v[18:19]
	v_mov_b64_e32 v[10:11], s[4:5]
	;; [unrolled: 23-line block ×3, first 2 shown]
	s_and_saveexec_b64 s[14:15], vcc
	s_cbranch_execz .LBB492_17
; %bb.14:
	s_mov_b32 s16, 0
	s_mov_b32 s17, 0x7ff00000
	v_cmp_neq_f64_e32 vcc, s[16:17], v[20:21]
	v_mov_b64_e32 v[12:13], s[6:7]
	s_and_saveexec_b64 s[16:17], vcc
; %bb.15:
	s_mov_b32 s20, 0
	s_mov_b32 s21, 0xfff00000
	v_mov_b32_e32 v12, s9
	v_cmp_eq_f64_e32 vcc, s[20:21], v[20:21]
	s_nop 1
	v_cndmask_b32_e32 v13, v21, v12, vcc
	v_mov_b32_e32 v12, s8
	v_cndmask_b32_e32 v12, v20, v12, vcc
; %bb.16:
	s_or_b64 exec, exec, s[16:17]
.LBB492_17:
	s_or_b64 exec, exec, s[14:15]
	s_waitcnt vmcnt(0)
	v_cmp_o_f64_e32 vcc, v[14:15], v[14:15]
	v_mov_b64_e32 v[18:19], s[4:5]
	s_and_saveexec_b64 s[14:15], vcc
	s_cbranch_execz .LBB492_21
; %bb.18:
	s_mov_b32 s16, 0
	s_mov_b32 s17, 0x7ff00000
	v_cmp_neq_f64_e32 vcc, s[16:17], v[14:15]
	v_mov_b64_e32 v[18:19], s[6:7]
	s_and_saveexec_b64 s[16:17], vcc
; %bb.19:
	s_mov_b32 s20, 0
	s_mov_b32 s21, 0xfff00000
	v_mov_b32_e32 v18, s9
	v_cmp_eq_f64_e32 vcc, s[20:21], v[14:15]
	s_nop 1
	v_cndmask_b32_e32 v19, v15, v18, vcc
	v_mov_b32_e32 v15, s8
	v_cndmask_b32_e32 v18, v14, v15, vcc
; %bb.20:
	s_or_b64 exec, exec, s[16:17]
.LBB492_21:
	s_or_b64 exec, exec, s[14:15]
	v_cmp_o_f64_e32 vcc, v[16:17], v[16:17]
	v_mov_b64_e32 v[20:21], s[4:5]
	s_and_saveexec_b64 s[14:15], vcc
	s_cbranch_execz .LBB492_25
; %bb.22:
	s_mov_b32 s16, 0
	s_mov_b32 s17, 0x7ff00000
	v_cmp_neq_f64_e32 vcc, s[16:17], v[16:17]
	v_mov_b64_e32 v[20:21], s[6:7]
	s_and_saveexec_b64 s[16:17], vcc
; %bb.23:
	s_mov_b32 s20, 0
	s_mov_b32 s21, 0xfff00000
	v_mov_b32_e32 v14, s9
	v_cmp_eq_f64_e32 vcc, s[20:21], v[16:17]
	s_nop 1
	v_cndmask_b32_e32 v21, v17, v14, vcc
	v_mov_b32_e32 v14, s8
	v_cndmask_b32_e32 v20, v16, v14, vcc
; %bb.24:
	s_or_b64 exec, exec, s[16:17]
.LBB492_25:
	s_or_b64 exec, exec, s[14:15]
	;; [unrolled: 23-line block ×4, first 2 shown]
	s_add_u32 s0, s10, s0
	s_addc_u32 s1, s11, s1
	global_store_dwordx4 v1, v[2:5], s[0:1]
	global_store_dwordx4 v1, v[10:13], s[0:1] offset:16
	global_store_dwordx4 v1, v[18:21], s[0:1] offset:32
	;; [unrolled: 1-line block ×3, first 2 shown]
	s_mov_b64 s[0:1], 0
.LBB492_34:
	s_and_b64 vcc, exec, s[0:1]
	s_cbranch_vccz .LBB492_79
; %bb.35:
	v_cmp_gt_i32_e32 vcc, s18, v0
	v_mov_b64_e32 v[18:19], 0
	v_or_b32_e32 v22, s2, v0
	v_mov_b64_e32 v[14:15], 0
	v_mov_b64_e32 v[16:17], 0
	v_mov_b32_e32 v1, v0
	s_and_saveexec_b64 s[0:1], vcc
	s_cbranch_execz .LBB492_37
; %bb.36:
	v_mov_b32_e32 v23, 0
	v_lshl_add_u64 v[2:3], v[22:23], 4, s[12:13]
	global_load_dwordx4 v[14:17], v[2:3], off
	v_or_b32_e32 v1, 0x100, v0
.LBB492_37:
	s_or_b64 exec, exec, s[0:1]
	v_cmp_gt_i32_e64 s[0:1], s18, v1
	v_mov_b64_e32 v[20:21], 0
	s_and_saveexec_b64 s[14:15], s[0:1]
	s_cbranch_execz .LBB492_39
; %bb.38:
	v_add_u32_e32 v2, s2, v1
	v_mov_b32_e32 v3, 0
	v_lshl_add_u64 v[2:3], v[2:3], 4, s[12:13]
	global_load_dwordx4 v[18:21], v[2:3], off
	v_add_u32_e32 v1, 0x100, v1
.LBB492_39:
	s_or_b64 exec, exec, s[14:15]
	v_cmp_gt_i32_e64 s[0:1], s18, v1
	v_mov_b64_e32 v[2:3], 0
	v_mov_b64_e32 v[10:11], 0
	;; [unrolled: 1-line block ×3, first 2 shown]
	s_and_saveexec_b64 s[14:15], s[0:1]
	s_cbranch_execz .LBB492_41
; %bb.40:
	v_add_u32_e32 v4, s2, v1
	v_mov_b32_e32 v5, 0
	v_lshl_add_u64 v[4:5], v[4:5], 4, s[12:13]
	global_load_dwordx4 v[10:13], v[4:5], off
	v_add_u32_e32 v1, 0x100, v1
.LBB492_41:
	s_or_b64 exec, exec, s[14:15]
	v_cmp_gt_i32_e64 s[0:1], s18, v1
	v_mov_b64_e32 v[4:5], 0
	s_and_saveexec_b64 s[14:15], s[0:1]
	s_cbranch_execz .LBB492_43
; %bb.42:
	v_add_u32_e32 v2, s2, v1
	v_mov_b32_e32 v3, 0
	v_lshl_add_u64 v[2:3], v[2:3], 4, s[12:13]
	global_load_dwordx4 v[2:5], v[2:3], off
.LBB492_43:
	s_or_b64 exec, exec, s[14:15]
	v_mov_b64_e32 v[6:7], 0
	v_mov_b64_e32 v[8:9], 0
	s_and_saveexec_b64 s[12:13], vcc
	s_cbranch_execz .LBB492_53
; %bb.44:
	s_waitcnt vmcnt(0)
	v_cmp_o_f64_e64 s[0:1], v[14:15], v[14:15]
	v_mov_b64_e32 v[6:7], s[4:5]
	s_and_saveexec_b64 s[14:15], s[0:1]
	s_cbranch_execz .LBB492_48
; %bb.45:
	s_mov_b32 s0, 0
	s_mov_b32 s1, 0x7ff00000
	v_cmp_neq_f64_e64 s[0:1], s[0:1], v[14:15]
	v_mov_b64_e32 v[6:7], s[6:7]
	s_and_saveexec_b64 s[16:17], s[0:1]
; %bb.46:
	s_mov_b32 s0, 0
	s_mov_b32 s1, 0xfff00000
	v_mov_b32_e32 v1, s9
	v_cmp_eq_f64_e64 s[0:1], s[0:1], v[14:15]
	s_nop 1
	v_cndmask_b32_e64 v7, v15, v1, s[0:1]
	v_mov_b32_e32 v1, s8
	v_cndmask_b32_e64 v6, v14, v1, s[0:1]
; %bb.47:
	s_or_b64 exec, exec, s[16:17]
.LBB492_48:
	s_or_b64 exec, exec, s[14:15]
	v_cmp_o_f64_e64 s[0:1], v[16:17], v[16:17]
	v_mov_b64_e32 v[8:9], s[4:5]
	s_and_saveexec_b64 s[14:15], s[0:1]
	s_cbranch_execz .LBB492_52
; %bb.49:
	s_mov_b32 s0, 0
	s_mov_b32 s1, 0x7ff00000
	v_cmp_neq_f64_e64 s[0:1], s[0:1], v[16:17]
	v_mov_b64_e32 v[8:9], s[6:7]
	s_and_saveexec_b64 s[16:17], s[0:1]
; %bb.50:
	s_mov_b32 s0, 0
	s_mov_b32 s1, 0xfff00000
	v_mov_b32_e32 v1, s9
	v_cmp_eq_f64_e64 s[0:1], s[0:1], v[16:17]
	s_nop 1
	v_cndmask_b32_e64 v9, v17, v1, s[0:1]
	v_mov_b32_e32 v1, s8
	v_cndmask_b32_e64 v8, v16, v1, s[0:1]
; %bb.51:
	s_or_b64 exec, exec, s[16:17]
.LBB492_52:
	s_or_b64 exec, exec, s[14:15]
.LBB492_53:
	s_or_b64 exec, exec, s[12:13]
	v_or_b32_e32 v1, 0x100, v0
	v_cmp_gt_i32_e64 s[0:1], s18, v1
	s_waitcnt vmcnt(0)
	v_mov_b64_e32 v[14:15], 0
	v_mov_b64_e32 v[16:17], 0
	s_and_saveexec_b64 s[12:13], s[0:1]
	s_cbranch_execz .LBB492_63
; %bb.54:
	v_cmp_o_f64_e64 s[0:1], v[18:19], v[18:19]
	v_mov_b64_e32 v[14:15], s[4:5]
	s_and_saveexec_b64 s[14:15], s[0:1]
	s_cbranch_execz .LBB492_58
; %bb.55:
	s_mov_b32 s0, 0
	s_mov_b32 s1, 0x7ff00000
	v_cmp_neq_f64_e64 s[0:1], s[0:1], v[18:19]
	v_mov_b64_e32 v[14:15], s[6:7]
	s_and_saveexec_b64 s[16:17], s[0:1]
; %bb.56:
	s_mov_b32 s0, 0
	s_mov_b32 s1, 0xfff00000
	v_mov_b32_e32 v14, s9
	v_cmp_eq_f64_e64 s[0:1], s[0:1], v[18:19]
	s_nop 1
	v_cndmask_b32_e64 v15, v19, v14, s[0:1]
	v_mov_b32_e32 v14, s8
	v_cndmask_b32_e64 v14, v18, v14, s[0:1]
; %bb.57:
	s_or_b64 exec, exec, s[16:17]
.LBB492_58:
	s_or_b64 exec, exec, s[14:15]
	v_cmp_o_f64_e64 s[0:1], v[20:21], v[20:21]
	v_mov_b64_e32 v[16:17], s[4:5]
	s_and_saveexec_b64 s[14:15], s[0:1]
	s_cbranch_execz .LBB492_62
; %bb.59:
	s_mov_b32 s0, 0
	s_mov_b32 s1, 0x7ff00000
	v_cmp_neq_f64_e64 s[0:1], s[0:1], v[20:21]
	v_mov_b64_e32 v[16:17], s[6:7]
	s_and_saveexec_b64 s[16:17], s[0:1]
; %bb.60:
	s_mov_b32 s0, 0
	s_mov_b32 s1, 0xfff00000
	v_mov_b32_e32 v16, s9
	v_cmp_eq_f64_e64 s[0:1], s[0:1], v[20:21]
	s_nop 1
	v_cndmask_b32_e64 v17, v21, v16, s[0:1]
	v_mov_b32_e32 v16, s8
	v_cndmask_b32_e64 v16, v20, v16, s[0:1]
; %bb.61:
	s_or_b64 exec, exec, s[16:17]
.LBB492_62:
	s_or_b64 exec, exec, s[14:15]
.LBB492_63:
	s_or_b64 exec, exec, s[12:13]
	v_or_b32_e32 v18, 0x200, v0
	v_cmp_gt_i32_e64 s[0:1], s18, v18
	v_mov_b64_e32 v[18:19], 0
	v_mov_b64_e32 v[20:21], 0
	s_and_saveexec_b64 s[12:13], s[0:1]
	s_cbranch_execz .LBB492_73
; %bb.64:
	v_cmp_o_f64_e64 s[0:1], v[10:11], v[10:11]
	v_mov_b64_e32 v[18:19], s[4:5]
	s_and_saveexec_b64 s[14:15], s[0:1]
	s_cbranch_execz .LBB492_68
; %bb.65:
	s_mov_b32 s0, 0
	s_mov_b32 s1, 0x7ff00000
	v_cmp_neq_f64_e64 s[0:1], s[0:1], v[10:11]
	v_mov_b64_e32 v[18:19], s[6:7]
	s_and_saveexec_b64 s[16:17], s[0:1]
; %bb.66:
	s_mov_b32 s0, 0
	s_mov_b32 s1, 0xfff00000
	v_mov_b32_e32 v18, s9
	v_cmp_eq_f64_e64 s[0:1], s[0:1], v[10:11]
	s_nop 1
	v_cndmask_b32_e64 v19, v11, v18, s[0:1]
	v_mov_b32_e32 v11, s8
	v_cndmask_b32_e64 v18, v10, v11, s[0:1]
; %bb.67:
	s_or_b64 exec, exec, s[16:17]
.LBB492_68:
	s_or_b64 exec, exec, s[14:15]
	v_cmp_o_f64_e64 s[0:1], v[12:13], v[12:13]
	v_mov_b64_e32 v[20:21], s[4:5]
	s_and_saveexec_b64 s[14:15], s[0:1]
	s_cbranch_execz .LBB492_72
; %bb.69:
	s_mov_b32 s0, 0
	s_mov_b32 s1, 0x7ff00000
	v_cmp_neq_f64_e64 s[0:1], s[0:1], v[12:13]
	v_mov_b64_e32 v[20:21], s[6:7]
	s_and_saveexec_b64 s[16:17], s[0:1]
; %bb.70:
	s_mov_b32 s0, 0
	s_mov_b32 s1, 0xfff00000
	v_mov_b32_e32 v10, s9
	v_cmp_eq_f64_e64 s[0:1], s[0:1], v[12:13]
	s_nop 1
	v_cndmask_b32_e64 v21, v13, v10, s[0:1]
	v_mov_b32_e32 v10, s8
	v_cndmask_b32_e64 v20, v12, v10, s[0:1]
; %bb.71:
	s_or_b64 exec, exec, s[16:17]
.LBB492_72:
	s_or_b64 exec, exec, s[14:15]
.LBB492_73:
	s_or_b64 exec, exec, s[12:13]
	v_or_b32_e32 v10, 0x300, v0
	v_cmp_gt_i32_e64 s[0:1], s18, v10
	v_mov_b64_e32 v[10:11], 0
	v_mov_b64_e32 v[12:13], 0
	s_and_saveexec_b64 s[12:13], s[0:1]
	s_cbranch_execnz .LBB492_80
; %bb.74:
	s_or_b64 exec, exec, s[12:13]
	s_and_saveexec_b64 s[0:1], vcc
	s_xor_b64 s[0:1], exec, s[0:1]
	s_cbranch_execnz .LBB492_89
.LBB492_75:
	s_or_b64 exec, exec, s[0:1]
	v_cmp_gt_i32_e32 vcc, s18, v0
	s_and_saveexec_b64 s[0:1], vcc
	s_cbranch_execnz .LBB492_90
.LBB492_76:
	s_or_b64 exec, exec, s[0:1]
	v_cmp_gt_i32_e32 vcc, s18, v0
	s_and_saveexec_b64 s[0:1], vcc
	s_cbranch_execnz .LBB492_91
.LBB492_77:
	s_or_b64 exec, exec, s[0:1]
	v_cmp_gt_i32_e32 vcc, s18, v0
	s_and_saveexec_b64 s[0:1], vcc
	s_cbranch_execz .LBB492_79
.LBB492_78:
	v_add_u32_e32 v0, s2, v0
	v_mov_b32_e32 v1, 0
	v_lshl_add_u64 v[0:1], v[0:1], 4, s[10:11]
	global_store_dwordx4 v[0:1], v[10:13], off
.LBB492_79:
	s_endpgm
.LBB492_80:
	v_cmp_o_f64_e64 s[0:1], v[2:3], v[2:3]
	v_mov_b64_e32 v[10:11], s[4:5]
	s_and_saveexec_b64 s[14:15], s[0:1]
	s_cbranch_execz .LBB492_84
; %bb.81:
	s_mov_b32 s0, 0
	s_mov_b32 s1, 0x7ff00000
	v_cmp_neq_f64_e64 s[0:1], s[0:1], v[2:3]
	v_mov_b64_e32 v[10:11], s[6:7]
	s_and_saveexec_b64 s[16:17], s[0:1]
; %bb.82:
	s_mov_b32 s0, 0
	s_mov_b32 s1, 0xfff00000
	v_mov_b32_e32 v10, s9
	v_cmp_eq_f64_e64 s[0:1], s[0:1], v[2:3]
	s_nop 1
	v_cndmask_b32_e64 v11, v3, v10, s[0:1]
	v_mov_b32_e32 v3, s8
	v_cndmask_b32_e64 v10, v2, v3, s[0:1]
; %bb.83:
	s_or_b64 exec, exec, s[16:17]
.LBB492_84:
	s_or_b64 exec, exec, s[14:15]
	v_cmp_o_f64_e64 s[0:1], v[4:5], v[4:5]
	v_mov_b64_e32 v[12:13], s[4:5]
	s_and_saveexec_b64 s[4:5], s[0:1]
	s_cbranch_execz .LBB492_88
; %bb.85:
	s_mov_b32 s0, 0
	s_mov_b32 s1, 0x7ff00000
	v_cmp_neq_f64_e64 s[0:1], s[0:1], v[4:5]
	v_mov_b64_e32 v[12:13], s[6:7]
	s_and_saveexec_b64 s[6:7], s[0:1]
; %bb.86:
	s_mov_b32 s0, 0
	s_mov_b32 s1, 0xfff00000
	v_mov_b32_e32 v2, s9
	v_cmp_eq_f64_e64 s[0:1], s[0:1], v[4:5]
	s_nop 1
	v_cndmask_b32_e64 v13, v5, v2, s[0:1]
	v_mov_b32_e32 v2, s8
	v_cndmask_b32_e64 v12, v4, v2, s[0:1]
; %bb.87:
	s_or_b64 exec, exec, s[6:7]
.LBB492_88:
	s_or_b64 exec, exec, s[4:5]
	s_or_b64 exec, exec, s[12:13]
	s_and_saveexec_b64 s[0:1], vcc
	s_xor_b64 s[0:1], exec, s[0:1]
	s_cbranch_execz .LBB492_75
.LBB492_89:
	v_mov_b32_e32 v23, 0
	v_lshl_add_u64 v[2:3], v[22:23], 4, s[10:11]
	v_mov_b32_e32 v0, v1
	global_store_dwordx4 v[2:3], v[6:9], off
	s_or_b64 exec, exec, s[0:1]
	v_cmp_gt_i32_e32 vcc, s18, v0
	s_and_saveexec_b64 s[0:1], vcc
	s_cbranch_execz .LBB492_76
.LBB492_90:
	v_add_u32_e32 v2, s2, v0
	v_mov_b32_e32 v3, 0
	v_lshl_add_u64 v[2:3], v[2:3], 4, s[10:11]
	v_add_u32_e32 v0, 0x100, v0
	global_store_dwordx4 v[2:3], v[14:17], off
	s_or_b64 exec, exec, s[0:1]
	v_cmp_gt_i32_e32 vcc, s18, v0
	s_and_saveexec_b64 s[0:1], vcc
	s_cbranch_execz .LBB492_77
.LBB492_91:
	v_add_u32_e32 v2, s2, v0
	v_mov_b32_e32 v3, 0
	v_lshl_add_u64 v[2:3], v[2:3], 4, s[10:11]
	v_add_u32_e32 v0, 0x100, v0
	global_store_dwordx4 v[2:3], v[18:21], off
	s_or_b64 exec, exec, s[0:1]
	v_cmp_gt_i32_e32 vcc, s18, v0
	s_and_saveexec_b64 s[0:1], vcc
	s_cbranch_execnz .LBB492_78
	s_branch .LBB492_79
	.section	.rodata,"a",@progbits
	.p2align	6, 0x0
	.amdhsa_kernel _ZN2at6native29vectorized_elementwise_kernelILi4EZZZNS0_22nan_to_num_kernel_cudaERNS_18TensorIteratorBaseESt8optionalIdES5_S5_ENKUlvE_clEvENKUlvE_clEvEUlN3c107complexIdEEE_St5arrayIPcLm2EEEEviT0_T1_
		.amdhsa_group_segment_fixed_size 0
		.amdhsa_private_segment_fixed_size 0
		.amdhsa_kernarg_size 48
		.amdhsa_user_sgpr_count 2
		.amdhsa_user_sgpr_dispatch_ptr 0
		.amdhsa_user_sgpr_queue_ptr 0
		.amdhsa_user_sgpr_kernarg_segment_ptr 1
		.amdhsa_user_sgpr_dispatch_id 0
		.amdhsa_user_sgpr_kernarg_preload_length 0
		.amdhsa_user_sgpr_kernarg_preload_offset 0
		.amdhsa_user_sgpr_private_segment_size 0
		.amdhsa_uses_dynamic_stack 0
		.amdhsa_enable_private_segment 0
		.amdhsa_system_sgpr_workgroup_id_x 1
		.amdhsa_system_sgpr_workgroup_id_y 0
		.amdhsa_system_sgpr_workgroup_id_z 0
		.amdhsa_system_sgpr_workgroup_info 0
		.amdhsa_system_vgpr_workitem_id 0
		.amdhsa_next_free_vgpr 24
		.amdhsa_next_free_sgpr 22
		.amdhsa_accum_offset 24
		.amdhsa_reserve_vcc 1
		.amdhsa_float_round_mode_32 0
		.amdhsa_float_round_mode_16_64 0
		.amdhsa_float_denorm_mode_32 3
		.amdhsa_float_denorm_mode_16_64 3
		.amdhsa_dx10_clamp 1
		.amdhsa_ieee_mode 1
		.amdhsa_fp16_overflow 0
		.amdhsa_tg_split 0
		.amdhsa_exception_fp_ieee_invalid_op 0
		.amdhsa_exception_fp_denorm_src 0
		.amdhsa_exception_fp_ieee_div_zero 0
		.amdhsa_exception_fp_ieee_overflow 0
		.amdhsa_exception_fp_ieee_underflow 0
		.amdhsa_exception_fp_ieee_inexact 0
		.amdhsa_exception_int_div_zero 0
	.end_amdhsa_kernel
	.section	.text._ZN2at6native29vectorized_elementwise_kernelILi4EZZZNS0_22nan_to_num_kernel_cudaERNS_18TensorIteratorBaseESt8optionalIdES5_S5_ENKUlvE_clEvENKUlvE_clEvEUlN3c107complexIdEEE_St5arrayIPcLm2EEEEviT0_T1_,"axG",@progbits,_ZN2at6native29vectorized_elementwise_kernelILi4EZZZNS0_22nan_to_num_kernel_cudaERNS_18TensorIteratorBaseESt8optionalIdES5_S5_ENKUlvE_clEvENKUlvE_clEvEUlN3c107complexIdEEE_St5arrayIPcLm2EEEEviT0_T1_,comdat
.Lfunc_end492:
	.size	_ZN2at6native29vectorized_elementwise_kernelILi4EZZZNS0_22nan_to_num_kernel_cudaERNS_18TensorIteratorBaseESt8optionalIdES5_S5_ENKUlvE_clEvENKUlvE_clEvEUlN3c107complexIdEEE_St5arrayIPcLm2EEEEviT0_T1_, .Lfunc_end492-_ZN2at6native29vectorized_elementwise_kernelILi4EZZZNS0_22nan_to_num_kernel_cudaERNS_18TensorIteratorBaseESt8optionalIdES5_S5_ENKUlvE_clEvENKUlvE_clEvEUlN3c107complexIdEEE_St5arrayIPcLm2EEEEviT0_T1_
                                        ; -- End function
	.set _ZN2at6native29vectorized_elementwise_kernelILi4EZZZNS0_22nan_to_num_kernel_cudaERNS_18TensorIteratorBaseESt8optionalIdES5_S5_ENKUlvE_clEvENKUlvE_clEvEUlN3c107complexIdEEE_St5arrayIPcLm2EEEEviT0_T1_.num_vgpr, 24
	.set _ZN2at6native29vectorized_elementwise_kernelILi4EZZZNS0_22nan_to_num_kernel_cudaERNS_18TensorIteratorBaseESt8optionalIdES5_S5_ENKUlvE_clEvENKUlvE_clEvEUlN3c107complexIdEEE_St5arrayIPcLm2EEEEviT0_T1_.num_agpr, 0
	.set _ZN2at6native29vectorized_elementwise_kernelILi4EZZZNS0_22nan_to_num_kernel_cudaERNS_18TensorIteratorBaseESt8optionalIdES5_S5_ENKUlvE_clEvENKUlvE_clEvEUlN3c107complexIdEEE_St5arrayIPcLm2EEEEviT0_T1_.numbered_sgpr, 22
	.set _ZN2at6native29vectorized_elementwise_kernelILi4EZZZNS0_22nan_to_num_kernel_cudaERNS_18TensorIteratorBaseESt8optionalIdES5_S5_ENKUlvE_clEvENKUlvE_clEvEUlN3c107complexIdEEE_St5arrayIPcLm2EEEEviT0_T1_.num_named_barrier, 0
	.set _ZN2at6native29vectorized_elementwise_kernelILi4EZZZNS0_22nan_to_num_kernel_cudaERNS_18TensorIteratorBaseESt8optionalIdES5_S5_ENKUlvE_clEvENKUlvE_clEvEUlN3c107complexIdEEE_St5arrayIPcLm2EEEEviT0_T1_.private_seg_size, 0
	.set _ZN2at6native29vectorized_elementwise_kernelILi4EZZZNS0_22nan_to_num_kernel_cudaERNS_18TensorIteratorBaseESt8optionalIdES5_S5_ENKUlvE_clEvENKUlvE_clEvEUlN3c107complexIdEEE_St5arrayIPcLm2EEEEviT0_T1_.uses_vcc, 1
	.set _ZN2at6native29vectorized_elementwise_kernelILi4EZZZNS0_22nan_to_num_kernel_cudaERNS_18TensorIteratorBaseESt8optionalIdES5_S5_ENKUlvE_clEvENKUlvE_clEvEUlN3c107complexIdEEE_St5arrayIPcLm2EEEEviT0_T1_.uses_flat_scratch, 0
	.set _ZN2at6native29vectorized_elementwise_kernelILi4EZZZNS0_22nan_to_num_kernel_cudaERNS_18TensorIteratorBaseESt8optionalIdES5_S5_ENKUlvE_clEvENKUlvE_clEvEUlN3c107complexIdEEE_St5arrayIPcLm2EEEEviT0_T1_.has_dyn_sized_stack, 0
	.set _ZN2at6native29vectorized_elementwise_kernelILi4EZZZNS0_22nan_to_num_kernel_cudaERNS_18TensorIteratorBaseESt8optionalIdES5_S5_ENKUlvE_clEvENKUlvE_clEvEUlN3c107complexIdEEE_St5arrayIPcLm2EEEEviT0_T1_.has_recursion, 0
	.set _ZN2at6native29vectorized_elementwise_kernelILi4EZZZNS0_22nan_to_num_kernel_cudaERNS_18TensorIteratorBaseESt8optionalIdES5_S5_ENKUlvE_clEvENKUlvE_clEvEUlN3c107complexIdEEE_St5arrayIPcLm2EEEEviT0_T1_.has_indirect_call, 0
	.section	.AMDGPU.csdata,"",@progbits
; Kernel info:
; codeLenInByte = 2276
; TotalNumSgprs: 28
; NumVgprs: 24
; NumAgprs: 0
; TotalNumVgprs: 24
; ScratchSize: 0
; MemoryBound: 1
; FloatMode: 240
; IeeeMode: 1
; LDSByteSize: 0 bytes/workgroup (compile time only)
; SGPRBlocks: 3
; VGPRBlocks: 2
; NumSGPRsForWavesPerEU: 28
; NumVGPRsForWavesPerEU: 24
; AccumOffset: 24
; Occupancy: 8
; WaveLimiterHint : 0
; COMPUTE_PGM_RSRC2:SCRATCH_EN: 0
; COMPUTE_PGM_RSRC2:USER_SGPR: 2
; COMPUTE_PGM_RSRC2:TRAP_HANDLER: 0
; COMPUTE_PGM_RSRC2:TGID_X_EN: 1
; COMPUTE_PGM_RSRC2:TGID_Y_EN: 0
; COMPUTE_PGM_RSRC2:TGID_Z_EN: 0
; COMPUTE_PGM_RSRC2:TIDIG_COMP_CNT: 0
; COMPUTE_PGM_RSRC3_GFX90A:ACCUM_OFFSET: 5
; COMPUTE_PGM_RSRC3_GFX90A:TG_SPLIT: 0
	.section	.text._ZN2at6native29vectorized_elementwise_kernelILi2EZZZNS0_22nan_to_num_kernel_cudaERNS_18TensorIteratorBaseESt8optionalIdES5_S5_ENKUlvE_clEvENKUlvE_clEvEUlN3c107complexIdEEE_St5arrayIPcLm2EEEEviT0_T1_,"axG",@progbits,_ZN2at6native29vectorized_elementwise_kernelILi2EZZZNS0_22nan_to_num_kernel_cudaERNS_18TensorIteratorBaseESt8optionalIdES5_S5_ENKUlvE_clEvENKUlvE_clEvEUlN3c107complexIdEEE_St5arrayIPcLm2EEEEviT0_T1_,comdat
	.globl	_ZN2at6native29vectorized_elementwise_kernelILi2EZZZNS0_22nan_to_num_kernel_cudaERNS_18TensorIteratorBaseESt8optionalIdES5_S5_ENKUlvE_clEvENKUlvE_clEvEUlN3c107complexIdEEE_St5arrayIPcLm2EEEEviT0_T1_ ; -- Begin function _ZN2at6native29vectorized_elementwise_kernelILi2EZZZNS0_22nan_to_num_kernel_cudaERNS_18TensorIteratorBaseESt8optionalIdES5_S5_ENKUlvE_clEvENKUlvE_clEvEUlN3c107complexIdEEE_St5arrayIPcLm2EEEEviT0_T1_
	.p2align	8
	.type	_ZN2at6native29vectorized_elementwise_kernelILi2EZZZNS0_22nan_to_num_kernel_cudaERNS_18TensorIteratorBaseESt8optionalIdES5_S5_ENKUlvE_clEvENKUlvE_clEvEUlN3c107complexIdEEE_St5arrayIPcLm2EEEEviT0_T1_,@function
_ZN2at6native29vectorized_elementwise_kernelILi2EZZZNS0_22nan_to_num_kernel_cudaERNS_18TensorIteratorBaseESt8optionalIdES5_S5_ENKUlvE_clEvENKUlvE_clEvEUlN3c107complexIdEEE_St5arrayIPcLm2EEEEviT0_T1_: ; @_ZN2at6native29vectorized_elementwise_kernelILi2EZZZNS0_22nan_to_num_kernel_cudaERNS_18TensorIteratorBaseESt8optionalIdES5_S5_ENKUlvE_clEvENKUlvE_clEvEUlN3c107complexIdEEE_St5arrayIPcLm2EEEEviT0_T1_
; %bb.0:
	s_load_dword s3, s[0:1], 0x0
	s_load_dwordx8 s[4:11], s[0:1], 0x8
	s_load_dwordx2 s[12:13], s[0:1], 0x28
	s_lshl_b32 s2, s2, 10
	s_mov_b64 s[0:1], -1
	s_waitcnt lgkmcnt(0)
	s_sub_i32 s18, s3, s2
	s_cmpk_gt_i32 s18, 0x3ff
	s_cbranch_scc0 .LBB493_34
; %bb.1:
	s_ashr_i32 s3, s2, 31
	s_lshl_b64 s[0:1], s[2:3], 4
	s_add_u32 s14, s12, s0
	s_addc_u32 s15, s13, s1
	v_mov_b32_e32 v23, 0
	v_lshlrev_b32_e32 v22, 5, v0
	v_lshl_add_u64 v[2:3], s[14:15], 0, v[22:23]
	global_load_dwordx4 v[18:21], v22, s[14:15] offset:16
	global_load_dwordx4 v[10:13], v22, s[14:15]
	s_mov_b64 s[14:15], 0x2000
	v_lshl_add_u64 v[4:5], v[2:3], 0, s[14:15]
	v_add_co_u32_e32 v2, vcc, 0x2000, v2
	s_nop 1
	v_addc_co_u32_e32 v3, vcc, 0, v3, vcc
	global_load_dwordx4 v[14:17], v[2:3], off
	global_load_dwordx4 v[6:9], v[4:5], off offset:16
	v_mov_b64_e32 v[2:3], s[4:5]
	s_waitcnt vmcnt(2)
	v_cmp_o_f64_e32 vcc, v[10:11], v[10:11]
	s_and_saveexec_b64 s[14:15], vcc
	s_cbranch_execz .LBB493_5
; %bb.2:
	s_mov_b32 s16, 0
	s_mov_b32 s17, 0x7ff00000
	v_cmp_neq_f64_e32 vcc, s[16:17], v[10:11]
	v_mov_b64_e32 v[2:3], s[6:7]
	s_and_saveexec_b64 s[16:17], vcc
; %bb.3:
	s_mov_b32 s20, 0
	s_mov_b32 s21, 0xfff00000
	v_mov_b32_e32 v1, s9
	v_cmp_eq_f64_e32 vcc, s[20:21], v[10:11]
	s_nop 1
	v_cndmask_b32_e32 v3, v11, v1, vcc
	v_mov_b32_e32 v1, s8
	v_cndmask_b32_e32 v2, v10, v1, vcc
; %bb.4:
	s_or_b64 exec, exec, s[16:17]
.LBB493_5:
	s_or_b64 exec, exec, s[14:15]
	v_cmp_o_f64_e32 vcc, v[12:13], v[12:13]
	v_mov_b64_e32 v[4:5], s[4:5]
	s_and_saveexec_b64 s[14:15], vcc
	s_cbranch_execz .LBB493_9
; %bb.6:
	s_mov_b32 s16, 0
	s_mov_b32 s17, 0x7ff00000
	v_cmp_neq_f64_e32 vcc, s[16:17], v[12:13]
	v_mov_b64_e32 v[4:5], s[6:7]
	s_and_saveexec_b64 s[16:17], vcc
; %bb.7:
	s_mov_b32 s20, 0
	s_mov_b32 s21, 0xfff00000
	v_mov_b32_e32 v1, s9
	v_cmp_eq_f64_e32 vcc, s[20:21], v[12:13]
	s_nop 1
	v_cndmask_b32_e32 v5, v13, v1, vcc
	v_mov_b32_e32 v1, s8
	v_cndmask_b32_e32 v4, v12, v1, vcc
; %bb.8:
	s_or_b64 exec, exec, s[16:17]
.LBB493_9:
	s_or_b64 exec, exec, s[14:15]
	v_cmp_o_f64_e32 vcc, v[18:19], v[18:19]
	v_mov_b64_e32 v[10:11], s[4:5]
	;; [unrolled: 23-line block ×3, first 2 shown]
	s_and_saveexec_b64 s[14:15], vcc
	s_cbranch_execz .LBB493_17
; %bb.14:
	s_mov_b32 s16, 0
	s_mov_b32 s17, 0x7ff00000
	v_cmp_neq_f64_e32 vcc, s[16:17], v[20:21]
	v_mov_b64_e32 v[12:13], s[6:7]
	s_and_saveexec_b64 s[16:17], vcc
; %bb.15:
	s_mov_b32 s20, 0
	s_mov_b32 s21, 0xfff00000
	v_mov_b32_e32 v1, s9
	v_cmp_eq_f64_e32 vcc, s[20:21], v[20:21]
	s_nop 1
	v_cndmask_b32_e32 v13, v21, v1, vcc
	v_mov_b32_e32 v1, s8
	v_cndmask_b32_e32 v12, v20, v1, vcc
; %bb.16:
	s_or_b64 exec, exec, s[16:17]
.LBB493_17:
	s_or_b64 exec, exec, s[14:15]
	s_waitcnt vmcnt(1)
	v_cmp_o_f64_e32 vcc, v[14:15], v[14:15]
	v_mov_b64_e32 v[18:19], s[4:5]
	s_and_saveexec_b64 s[14:15], vcc
	s_cbranch_execz .LBB493_21
; %bb.18:
	s_mov_b32 s16, 0
	s_mov_b32 s17, 0x7ff00000
	v_cmp_neq_f64_e32 vcc, s[16:17], v[14:15]
	v_mov_b64_e32 v[18:19], s[6:7]
	s_and_saveexec_b64 s[16:17], vcc
; %bb.19:
	s_mov_b32 s20, 0
	s_mov_b32 s21, 0xfff00000
	v_mov_b32_e32 v1, s9
	v_cmp_eq_f64_e32 vcc, s[20:21], v[14:15]
	s_nop 1
	v_cndmask_b32_e32 v19, v15, v1, vcc
	v_mov_b32_e32 v1, s8
	v_cndmask_b32_e32 v18, v14, v1, vcc
; %bb.20:
	s_or_b64 exec, exec, s[16:17]
.LBB493_21:
	s_or_b64 exec, exec, s[14:15]
	v_cmp_o_f64_e32 vcc, v[16:17], v[16:17]
	v_mov_b64_e32 v[20:21], s[4:5]
	s_and_saveexec_b64 s[14:15], vcc
	s_cbranch_execz .LBB493_25
; %bb.22:
	s_mov_b32 s16, 0
	s_mov_b32 s17, 0x7ff00000
	v_cmp_neq_f64_e32 vcc, s[16:17], v[16:17]
	v_mov_b64_e32 v[20:21], s[6:7]
	s_and_saveexec_b64 s[16:17], vcc
; %bb.23:
	s_mov_b32 s20, 0
	s_mov_b32 s21, 0xfff00000
	v_mov_b32_e32 v1, s9
	v_cmp_eq_f64_e32 vcc, s[20:21], v[16:17]
	s_nop 1
	v_cndmask_b32_e32 v21, v17, v1, vcc
	v_mov_b32_e32 v1, s8
	v_cndmask_b32_e32 v20, v16, v1, vcc
; %bb.24:
	s_or_b64 exec, exec, s[16:17]
.LBB493_25:
	s_or_b64 exec, exec, s[14:15]
	s_waitcnt vmcnt(0)
	v_cmp_o_f64_e32 vcc, v[6:7], v[6:7]
	v_mov_b64_e32 v[14:15], s[4:5]
	s_and_saveexec_b64 s[14:15], vcc
	s_cbranch_execz .LBB493_29
; %bb.26:
	s_mov_b32 s16, 0
	s_mov_b32 s17, 0x7ff00000
	v_cmp_neq_f64_e32 vcc, s[16:17], v[6:7]
	v_mov_b64_e32 v[14:15], s[6:7]
	s_and_saveexec_b64 s[16:17], vcc
; %bb.27:
	s_mov_b32 s20, 0
	s_mov_b32 s21, 0xfff00000
	v_mov_b32_e32 v1, s9
	v_cmp_eq_f64_e32 vcc, s[20:21], v[6:7]
	s_nop 1
	v_cndmask_b32_e32 v15, v7, v1, vcc
	v_mov_b32_e32 v1, s8
	v_cndmask_b32_e32 v14, v6, v1, vcc
; %bb.28:
	s_or_b64 exec, exec, s[16:17]
.LBB493_29:
	s_or_b64 exec, exec, s[14:15]
	v_cmp_o_f64_e32 vcc, v[8:9], v[8:9]
	v_mov_b64_e32 v[16:17], s[4:5]
	s_and_saveexec_b64 s[14:15], vcc
	s_cbranch_execz .LBB493_33
; %bb.30:
	s_mov_b32 s16, 0
	s_mov_b32 s17, 0x7ff00000
	v_cmp_neq_f64_e32 vcc, s[16:17], v[8:9]
	v_mov_b64_e32 v[16:17], s[6:7]
	s_and_saveexec_b64 s[16:17], vcc
; %bb.31:
	s_mov_b32 s20, 0
	s_mov_b32 s21, 0xfff00000
	v_mov_b32_e32 v1, s9
	v_cmp_eq_f64_e32 vcc, s[20:21], v[8:9]
	s_nop 1
	v_cndmask_b32_e32 v17, v9, v1, vcc
	v_mov_b32_e32 v1, s8
	v_cndmask_b32_e32 v16, v8, v1, vcc
; %bb.32:
	s_or_b64 exec, exec, s[16:17]
.LBB493_33:
	s_or_b64 exec, exec, s[14:15]
	s_add_u32 s0, s10, s0
	s_addc_u32 s1, s11, s1
	v_mov_b32_e32 v23, 0
	v_lshl_add_u64 v[6:7], s[0:1], 0, v[22:23]
	global_store_dwordx4 v22, v[2:5], s[0:1]
	global_store_dwordx4 v22, v[10:13], s[0:1] offset:16
	s_mov_b64 s[0:1], 0
	v_add_co_u32_e32 v2, vcc, 0x2000, v6
	s_nop 1
	v_addc_co_u32_e32 v3, vcc, 0, v7, vcc
	global_store_dwordx4 v[2:3], v[18:21], off
	global_store_dwordx4 v[2:3], v[14:17], off offset:16
.LBB493_34:
	s_and_b64 vcc, exec, s[0:1]
	s_cbranch_vccz .LBB493_79
; %bb.35:
	v_cmp_gt_i32_e32 vcc, s18, v0
	v_mov_b64_e32 v[18:19], 0
	v_or_b32_e32 v22, s2, v0
	v_mov_b64_e32 v[14:15], 0
	v_mov_b64_e32 v[16:17], 0
	v_mov_b32_e32 v1, v0
	s_and_saveexec_b64 s[0:1], vcc
	s_cbranch_execz .LBB493_37
; %bb.36:
	v_mov_b32_e32 v23, 0
	v_lshl_add_u64 v[2:3], v[22:23], 4, s[12:13]
	global_load_dwordx4 v[14:17], v[2:3], off
	v_or_b32_e32 v1, 0x100, v0
.LBB493_37:
	s_or_b64 exec, exec, s[0:1]
	v_cmp_gt_i32_e64 s[0:1], s18, v1
	v_mov_b64_e32 v[20:21], 0
	s_and_saveexec_b64 s[14:15], s[0:1]
	s_cbranch_execz .LBB493_39
; %bb.38:
	v_add_u32_e32 v2, s2, v1
	v_mov_b32_e32 v3, 0
	v_lshl_add_u64 v[2:3], v[2:3], 4, s[12:13]
	global_load_dwordx4 v[18:21], v[2:3], off
	v_add_u32_e32 v1, 0x100, v1
.LBB493_39:
	s_or_b64 exec, exec, s[14:15]
	v_cmp_gt_i32_e64 s[0:1], s18, v1
	v_mov_b64_e32 v[2:3], 0
	v_mov_b64_e32 v[10:11], 0
	;; [unrolled: 1-line block ×3, first 2 shown]
	s_and_saveexec_b64 s[14:15], s[0:1]
	s_cbranch_execz .LBB493_41
; %bb.40:
	v_add_u32_e32 v4, s2, v1
	v_mov_b32_e32 v5, 0
	v_lshl_add_u64 v[4:5], v[4:5], 4, s[12:13]
	global_load_dwordx4 v[10:13], v[4:5], off
	v_add_u32_e32 v1, 0x100, v1
.LBB493_41:
	s_or_b64 exec, exec, s[14:15]
	v_cmp_gt_i32_e64 s[0:1], s18, v1
	v_mov_b64_e32 v[4:5], 0
	s_and_saveexec_b64 s[14:15], s[0:1]
	s_cbranch_execz .LBB493_43
; %bb.42:
	v_add_u32_e32 v2, s2, v1
	v_mov_b32_e32 v3, 0
	v_lshl_add_u64 v[2:3], v[2:3], 4, s[12:13]
	global_load_dwordx4 v[2:5], v[2:3], off
.LBB493_43:
	s_or_b64 exec, exec, s[14:15]
	v_mov_b64_e32 v[6:7], 0
	v_mov_b64_e32 v[8:9], 0
	s_and_saveexec_b64 s[12:13], vcc
	s_cbranch_execz .LBB493_53
; %bb.44:
	s_waitcnt vmcnt(0)
	v_cmp_o_f64_e64 s[0:1], v[14:15], v[14:15]
	v_mov_b64_e32 v[6:7], s[4:5]
	s_and_saveexec_b64 s[14:15], s[0:1]
	s_cbranch_execz .LBB493_48
; %bb.45:
	s_mov_b32 s0, 0
	s_mov_b32 s1, 0x7ff00000
	v_cmp_neq_f64_e64 s[0:1], s[0:1], v[14:15]
	v_mov_b64_e32 v[6:7], s[6:7]
	s_and_saveexec_b64 s[16:17], s[0:1]
; %bb.46:
	s_mov_b32 s0, 0
	s_mov_b32 s1, 0xfff00000
	v_mov_b32_e32 v1, s9
	v_cmp_eq_f64_e64 s[0:1], s[0:1], v[14:15]
	s_nop 1
	v_cndmask_b32_e64 v7, v15, v1, s[0:1]
	v_mov_b32_e32 v1, s8
	v_cndmask_b32_e64 v6, v14, v1, s[0:1]
; %bb.47:
	s_or_b64 exec, exec, s[16:17]
.LBB493_48:
	s_or_b64 exec, exec, s[14:15]
	v_cmp_o_f64_e64 s[0:1], v[16:17], v[16:17]
	v_mov_b64_e32 v[8:9], s[4:5]
	s_and_saveexec_b64 s[14:15], s[0:1]
	s_cbranch_execz .LBB493_52
; %bb.49:
	s_mov_b32 s0, 0
	s_mov_b32 s1, 0x7ff00000
	v_cmp_neq_f64_e64 s[0:1], s[0:1], v[16:17]
	v_mov_b64_e32 v[8:9], s[6:7]
	s_and_saveexec_b64 s[16:17], s[0:1]
; %bb.50:
	s_mov_b32 s0, 0
	s_mov_b32 s1, 0xfff00000
	v_mov_b32_e32 v1, s9
	v_cmp_eq_f64_e64 s[0:1], s[0:1], v[16:17]
	s_nop 1
	v_cndmask_b32_e64 v9, v17, v1, s[0:1]
	v_mov_b32_e32 v1, s8
	v_cndmask_b32_e64 v8, v16, v1, s[0:1]
; %bb.51:
	s_or_b64 exec, exec, s[16:17]
.LBB493_52:
	s_or_b64 exec, exec, s[14:15]
.LBB493_53:
	s_or_b64 exec, exec, s[12:13]
	v_or_b32_e32 v1, 0x100, v0
	v_cmp_gt_i32_e64 s[0:1], s18, v1
	s_waitcnt vmcnt(0)
	v_mov_b64_e32 v[14:15], 0
	v_mov_b64_e32 v[16:17], 0
	s_and_saveexec_b64 s[12:13], s[0:1]
	s_cbranch_execz .LBB493_63
; %bb.54:
	v_cmp_o_f64_e64 s[0:1], v[18:19], v[18:19]
	v_mov_b64_e32 v[14:15], s[4:5]
	s_and_saveexec_b64 s[14:15], s[0:1]
	s_cbranch_execz .LBB493_58
; %bb.55:
	s_mov_b32 s0, 0
	s_mov_b32 s1, 0x7ff00000
	v_cmp_neq_f64_e64 s[0:1], s[0:1], v[18:19]
	v_mov_b64_e32 v[14:15], s[6:7]
	s_and_saveexec_b64 s[16:17], s[0:1]
; %bb.56:
	s_mov_b32 s0, 0
	s_mov_b32 s1, 0xfff00000
	v_mov_b32_e32 v14, s9
	v_cmp_eq_f64_e64 s[0:1], s[0:1], v[18:19]
	s_nop 1
	v_cndmask_b32_e64 v15, v19, v14, s[0:1]
	v_mov_b32_e32 v14, s8
	v_cndmask_b32_e64 v14, v18, v14, s[0:1]
; %bb.57:
	s_or_b64 exec, exec, s[16:17]
.LBB493_58:
	s_or_b64 exec, exec, s[14:15]
	v_cmp_o_f64_e64 s[0:1], v[20:21], v[20:21]
	v_mov_b64_e32 v[16:17], s[4:5]
	s_and_saveexec_b64 s[14:15], s[0:1]
	s_cbranch_execz .LBB493_62
; %bb.59:
	s_mov_b32 s0, 0
	s_mov_b32 s1, 0x7ff00000
	v_cmp_neq_f64_e64 s[0:1], s[0:1], v[20:21]
	v_mov_b64_e32 v[16:17], s[6:7]
	s_and_saveexec_b64 s[16:17], s[0:1]
; %bb.60:
	s_mov_b32 s0, 0
	s_mov_b32 s1, 0xfff00000
	v_mov_b32_e32 v16, s9
	v_cmp_eq_f64_e64 s[0:1], s[0:1], v[20:21]
	s_nop 1
	v_cndmask_b32_e64 v17, v21, v16, s[0:1]
	v_mov_b32_e32 v16, s8
	v_cndmask_b32_e64 v16, v20, v16, s[0:1]
; %bb.61:
	s_or_b64 exec, exec, s[16:17]
.LBB493_62:
	s_or_b64 exec, exec, s[14:15]
.LBB493_63:
	s_or_b64 exec, exec, s[12:13]
	v_or_b32_e32 v18, 0x200, v0
	v_cmp_gt_i32_e64 s[0:1], s18, v18
	v_mov_b64_e32 v[18:19], 0
	v_mov_b64_e32 v[20:21], 0
	s_and_saveexec_b64 s[12:13], s[0:1]
	s_cbranch_execz .LBB493_73
; %bb.64:
	v_cmp_o_f64_e64 s[0:1], v[10:11], v[10:11]
	v_mov_b64_e32 v[18:19], s[4:5]
	s_and_saveexec_b64 s[14:15], s[0:1]
	s_cbranch_execz .LBB493_68
; %bb.65:
	s_mov_b32 s0, 0
	s_mov_b32 s1, 0x7ff00000
	v_cmp_neq_f64_e64 s[0:1], s[0:1], v[10:11]
	v_mov_b64_e32 v[18:19], s[6:7]
	s_and_saveexec_b64 s[16:17], s[0:1]
; %bb.66:
	s_mov_b32 s0, 0
	s_mov_b32 s1, 0xfff00000
	v_mov_b32_e32 v18, s9
	v_cmp_eq_f64_e64 s[0:1], s[0:1], v[10:11]
	s_nop 1
	v_cndmask_b32_e64 v19, v11, v18, s[0:1]
	v_mov_b32_e32 v11, s8
	v_cndmask_b32_e64 v18, v10, v11, s[0:1]
; %bb.67:
	s_or_b64 exec, exec, s[16:17]
.LBB493_68:
	s_or_b64 exec, exec, s[14:15]
	v_cmp_o_f64_e64 s[0:1], v[12:13], v[12:13]
	v_mov_b64_e32 v[20:21], s[4:5]
	s_and_saveexec_b64 s[14:15], s[0:1]
	s_cbranch_execz .LBB493_72
; %bb.69:
	s_mov_b32 s0, 0
	s_mov_b32 s1, 0x7ff00000
	v_cmp_neq_f64_e64 s[0:1], s[0:1], v[12:13]
	v_mov_b64_e32 v[20:21], s[6:7]
	s_and_saveexec_b64 s[16:17], s[0:1]
; %bb.70:
	s_mov_b32 s0, 0
	s_mov_b32 s1, 0xfff00000
	v_mov_b32_e32 v10, s9
	v_cmp_eq_f64_e64 s[0:1], s[0:1], v[12:13]
	s_nop 1
	v_cndmask_b32_e64 v21, v13, v10, s[0:1]
	v_mov_b32_e32 v10, s8
	v_cndmask_b32_e64 v20, v12, v10, s[0:1]
; %bb.71:
	s_or_b64 exec, exec, s[16:17]
.LBB493_72:
	s_or_b64 exec, exec, s[14:15]
.LBB493_73:
	s_or_b64 exec, exec, s[12:13]
	v_or_b32_e32 v10, 0x300, v0
	v_cmp_gt_i32_e64 s[0:1], s18, v10
	v_mov_b64_e32 v[10:11], 0
	v_mov_b64_e32 v[12:13], 0
	s_and_saveexec_b64 s[12:13], s[0:1]
	s_cbranch_execnz .LBB493_80
; %bb.74:
	s_or_b64 exec, exec, s[12:13]
	s_and_saveexec_b64 s[0:1], vcc
	s_xor_b64 s[0:1], exec, s[0:1]
	s_cbranch_execnz .LBB493_89
.LBB493_75:
	s_or_b64 exec, exec, s[0:1]
	v_cmp_gt_i32_e32 vcc, s18, v0
	s_and_saveexec_b64 s[0:1], vcc
	s_cbranch_execnz .LBB493_90
.LBB493_76:
	s_or_b64 exec, exec, s[0:1]
	v_cmp_gt_i32_e32 vcc, s18, v0
	s_and_saveexec_b64 s[0:1], vcc
	s_cbranch_execnz .LBB493_91
.LBB493_77:
	s_or_b64 exec, exec, s[0:1]
	v_cmp_gt_i32_e32 vcc, s18, v0
	s_and_saveexec_b64 s[0:1], vcc
	s_cbranch_execz .LBB493_79
.LBB493_78:
	v_add_u32_e32 v0, s2, v0
	v_mov_b32_e32 v1, 0
	v_lshl_add_u64 v[0:1], v[0:1], 4, s[10:11]
	global_store_dwordx4 v[0:1], v[10:13], off
.LBB493_79:
	s_endpgm
.LBB493_80:
	v_cmp_o_f64_e64 s[0:1], v[2:3], v[2:3]
	v_mov_b64_e32 v[10:11], s[4:5]
	s_and_saveexec_b64 s[14:15], s[0:1]
	s_cbranch_execz .LBB493_84
; %bb.81:
	s_mov_b32 s0, 0
	s_mov_b32 s1, 0x7ff00000
	v_cmp_neq_f64_e64 s[0:1], s[0:1], v[2:3]
	v_mov_b64_e32 v[10:11], s[6:7]
	s_and_saveexec_b64 s[16:17], s[0:1]
; %bb.82:
	s_mov_b32 s0, 0
	s_mov_b32 s1, 0xfff00000
	v_mov_b32_e32 v10, s9
	v_cmp_eq_f64_e64 s[0:1], s[0:1], v[2:3]
	s_nop 1
	v_cndmask_b32_e64 v11, v3, v10, s[0:1]
	v_mov_b32_e32 v3, s8
	v_cndmask_b32_e64 v10, v2, v3, s[0:1]
; %bb.83:
	s_or_b64 exec, exec, s[16:17]
.LBB493_84:
	s_or_b64 exec, exec, s[14:15]
	v_cmp_o_f64_e64 s[0:1], v[4:5], v[4:5]
	v_mov_b64_e32 v[12:13], s[4:5]
	s_and_saveexec_b64 s[4:5], s[0:1]
	s_cbranch_execz .LBB493_88
; %bb.85:
	s_mov_b32 s0, 0
	s_mov_b32 s1, 0x7ff00000
	v_cmp_neq_f64_e64 s[0:1], s[0:1], v[4:5]
	v_mov_b64_e32 v[12:13], s[6:7]
	s_and_saveexec_b64 s[6:7], s[0:1]
; %bb.86:
	s_mov_b32 s0, 0
	s_mov_b32 s1, 0xfff00000
	v_mov_b32_e32 v2, s9
	v_cmp_eq_f64_e64 s[0:1], s[0:1], v[4:5]
	s_nop 1
	v_cndmask_b32_e64 v13, v5, v2, s[0:1]
	v_mov_b32_e32 v2, s8
	v_cndmask_b32_e64 v12, v4, v2, s[0:1]
; %bb.87:
	s_or_b64 exec, exec, s[6:7]
.LBB493_88:
	s_or_b64 exec, exec, s[4:5]
	s_or_b64 exec, exec, s[12:13]
	s_and_saveexec_b64 s[0:1], vcc
	s_xor_b64 s[0:1], exec, s[0:1]
	s_cbranch_execz .LBB493_75
.LBB493_89:
	v_mov_b32_e32 v23, 0
	v_lshl_add_u64 v[2:3], v[22:23], 4, s[10:11]
	v_mov_b32_e32 v0, v1
	global_store_dwordx4 v[2:3], v[6:9], off
	s_or_b64 exec, exec, s[0:1]
	v_cmp_gt_i32_e32 vcc, s18, v0
	s_and_saveexec_b64 s[0:1], vcc
	s_cbranch_execz .LBB493_76
.LBB493_90:
	v_add_u32_e32 v2, s2, v0
	v_mov_b32_e32 v3, 0
	v_lshl_add_u64 v[2:3], v[2:3], 4, s[10:11]
	v_add_u32_e32 v0, 0x100, v0
	global_store_dwordx4 v[2:3], v[14:17], off
	s_or_b64 exec, exec, s[0:1]
	v_cmp_gt_i32_e32 vcc, s18, v0
	s_and_saveexec_b64 s[0:1], vcc
	s_cbranch_execz .LBB493_77
.LBB493_91:
	v_add_u32_e32 v2, s2, v0
	v_mov_b32_e32 v3, 0
	v_lshl_add_u64 v[2:3], v[2:3], 4, s[10:11]
	v_add_u32_e32 v0, 0x100, v0
	global_store_dwordx4 v[2:3], v[18:21], off
	s_or_b64 exec, exec, s[0:1]
	v_cmp_gt_i32_e32 vcc, s18, v0
	s_and_saveexec_b64 s[0:1], vcc
	s_cbranch_execnz .LBB493_78
	s_branch .LBB493_79
	.section	.rodata,"a",@progbits
	.p2align	6, 0x0
	.amdhsa_kernel _ZN2at6native29vectorized_elementwise_kernelILi2EZZZNS0_22nan_to_num_kernel_cudaERNS_18TensorIteratorBaseESt8optionalIdES5_S5_ENKUlvE_clEvENKUlvE_clEvEUlN3c107complexIdEEE_St5arrayIPcLm2EEEEviT0_T1_
		.amdhsa_group_segment_fixed_size 0
		.amdhsa_private_segment_fixed_size 0
		.amdhsa_kernarg_size 48
		.amdhsa_user_sgpr_count 2
		.amdhsa_user_sgpr_dispatch_ptr 0
		.amdhsa_user_sgpr_queue_ptr 0
		.amdhsa_user_sgpr_kernarg_segment_ptr 1
		.amdhsa_user_sgpr_dispatch_id 0
		.amdhsa_user_sgpr_kernarg_preload_length 0
		.amdhsa_user_sgpr_kernarg_preload_offset 0
		.amdhsa_user_sgpr_private_segment_size 0
		.amdhsa_uses_dynamic_stack 0
		.amdhsa_enable_private_segment 0
		.amdhsa_system_sgpr_workgroup_id_x 1
		.amdhsa_system_sgpr_workgroup_id_y 0
		.amdhsa_system_sgpr_workgroup_id_z 0
		.amdhsa_system_sgpr_workgroup_info 0
		.amdhsa_system_vgpr_workitem_id 0
		.amdhsa_next_free_vgpr 24
		.amdhsa_next_free_sgpr 22
		.amdhsa_accum_offset 24
		.amdhsa_reserve_vcc 1
		.amdhsa_float_round_mode_32 0
		.amdhsa_float_round_mode_16_64 0
		.amdhsa_float_denorm_mode_32 3
		.amdhsa_float_denorm_mode_16_64 3
		.amdhsa_dx10_clamp 1
		.amdhsa_ieee_mode 1
		.amdhsa_fp16_overflow 0
		.amdhsa_tg_split 0
		.amdhsa_exception_fp_ieee_invalid_op 0
		.amdhsa_exception_fp_denorm_src 0
		.amdhsa_exception_fp_ieee_div_zero 0
		.amdhsa_exception_fp_ieee_overflow 0
		.amdhsa_exception_fp_ieee_underflow 0
		.amdhsa_exception_fp_ieee_inexact 0
		.amdhsa_exception_int_div_zero 0
	.end_amdhsa_kernel
	.section	.text._ZN2at6native29vectorized_elementwise_kernelILi2EZZZNS0_22nan_to_num_kernel_cudaERNS_18TensorIteratorBaseESt8optionalIdES5_S5_ENKUlvE_clEvENKUlvE_clEvEUlN3c107complexIdEEE_St5arrayIPcLm2EEEEviT0_T1_,"axG",@progbits,_ZN2at6native29vectorized_elementwise_kernelILi2EZZZNS0_22nan_to_num_kernel_cudaERNS_18TensorIteratorBaseESt8optionalIdES5_S5_ENKUlvE_clEvENKUlvE_clEvEUlN3c107complexIdEEE_St5arrayIPcLm2EEEEviT0_T1_,comdat
.Lfunc_end493:
	.size	_ZN2at6native29vectorized_elementwise_kernelILi2EZZZNS0_22nan_to_num_kernel_cudaERNS_18TensorIteratorBaseESt8optionalIdES5_S5_ENKUlvE_clEvENKUlvE_clEvEUlN3c107complexIdEEE_St5arrayIPcLm2EEEEviT0_T1_, .Lfunc_end493-_ZN2at6native29vectorized_elementwise_kernelILi2EZZZNS0_22nan_to_num_kernel_cudaERNS_18TensorIteratorBaseESt8optionalIdES5_S5_ENKUlvE_clEvENKUlvE_clEvEUlN3c107complexIdEEE_St5arrayIPcLm2EEEEviT0_T1_
                                        ; -- End function
	.set _ZN2at6native29vectorized_elementwise_kernelILi2EZZZNS0_22nan_to_num_kernel_cudaERNS_18TensorIteratorBaseESt8optionalIdES5_S5_ENKUlvE_clEvENKUlvE_clEvEUlN3c107complexIdEEE_St5arrayIPcLm2EEEEviT0_T1_.num_vgpr, 24
	.set _ZN2at6native29vectorized_elementwise_kernelILi2EZZZNS0_22nan_to_num_kernel_cudaERNS_18TensorIteratorBaseESt8optionalIdES5_S5_ENKUlvE_clEvENKUlvE_clEvEUlN3c107complexIdEEE_St5arrayIPcLm2EEEEviT0_T1_.num_agpr, 0
	.set _ZN2at6native29vectorized_elementwise_kernelILi2EZZZNS0_22nan_to_num_kernel_cudaERNS_18TensorIteratorBaseESt8optionalIdES5_S5_ENKUlvE_clEvENKUlvE_clEvEUlN3c107complexIdEEE_St5arrayIPcLm2EEEEviT0_T1_.numbered_sgpr, 22
	.set _ZN2at6native29vectorized_elementwise_kernelILi2EZZZNS0_22nan_to_num_kernel_cudaERNS_18TensorIteratorBaseESt8optionalIdES5_S5_ENKUlvE_clEvENKUlvE_clEvEUlN3c107complexIdEEE_St5arrayIPcLm2EEEEviT0_T1_.num_named_barrier, 0
	.set _ZN2at6native29vectorized_elementwise_kernelILi2EZZZNS0_22nan_to_num_kernel_cudaERNS_18TensorIteratorBaseESt8optionalIdES5_S5_ENKUlvE_clEvENKUlvE_clEvEUlN3c107complexIdEEE_St5arrayIPcLm2EEEEviT0_T1_.private_seg_size, 0
	.set _ZN2at6native29vectorized_elementwise_kernelILi2EZZZNS0_22nan_to_num_kernel_cudaERNS_18TensorIteratorBaseESt8optionalIdES5_S5_ENKUlvE_clEvENKUlvE_clEvEUlN3c107complexIdEEE_St5arrayIPcLm2EEEEviT0_T1_.uses_vcc, 1
	.set _ZN2at6native29vectorized_elementwise_kernelILi2EZZZNS0_22nan_to_num_kernel_cudaERNS_18TensorIteratorBaseESt8optionalIdES5_S5_ENKUlvE_clEvENKUlvE_clEvEUlN3c107complexIdEEE_St5arrayIPcLm2EEEEviT0_T1_.uses_flat_scratch, 0
	.set _ZN2at6native29vectorized_elementwise_kernelILi2EZZZNS0_22nan_to_num_kernel_cudaERNS_18TensorIteratorBaseESt8optionalIdES5_S5_ENKUlvE_clEvENKUlvE_clEvEUlN3c107complexIdEEE_St5arrayIPcLm2EEEEviT0_T1_.has_dyn_sized_stack, 0
	.set _ZN2at6native29vectorized_elementwise_kernelILi2EZZZNS0_22nan_to_num_kernel_cudaERNS_18TensorIteratorBaseESt8optionalIdES5_S5_ENKUlvE_clEvENKUlvE_clEvEUlN3c107complexIdEEE_St5arrayIPcLm2EEEEviT0_T1_.has_recursion, 0
	.set _ZN2at6native29vectorized_elementwise_kernelILi2EZZZNS0_22nan_to_num_kernel_cudaERNS_18TensorIteratorBaseESt8optionalIdES5_S5_ENKUlvE_clEvENKUlvE_clEvEUlN3c107complexIdEEE_St5arrayIPcLm2EEEEviT0_T1_.has_indirect_call, 0
	.section	.AMDGPU.csdata,"",@progbits
; Kernel info:
; codeLenInByte = 2352
; TotalNumSgprs: 28
; NumVgprs: 24
; NumAgprs: 0
; TotalNumVgprs: 24
; ScratchSize: 0
; MemoryBound: 1
; FloatMode: 240
; IeeeMode: 1
; LDSByteSize: 0 bytes/workgroup (compile time only)
; SGPRBlocks: 3
; VGPRBlocks: 2
; NumSGPRsForWavesPerEU: 28
; NumVGPRsForWavesPerEU: 24
; AccumOffset: 24
; Occupancy: 8
; WaveLimiterHint : 1
; COMPUTE_PGM_RSRC2:SCRATCH_EN: 0
; COMPUTE_PGM_RSRC2:USER_SGPR: 2
; COMPUTE_PGM_RSRC2:TRAP_HANDLER: 0
; COMPUTE_PGM_RSRC2:TGID_X_EN: 1
; COMPUTE_PGM_RSRC2:TGID_Y_EN: 0
; COMPUTE_PGM_RSRC2:TGID_Z_EN: 0
; COMPUTE_PGM_RSRC2:TIDIG_COMP_CNT: 0
; COMPUTE_PGM_RSRC3_GFX90A:ACCUM_OFFSET: 5
; COMPUTE_PGM_RSRC3_GFX90A:TG_SPLIT: 0
	.section	.text._ZN2at6native27unrolled_elementwise_kernelIZZZNS0_22nan_to_num_kernel_cudaERNS_18TensorIteratorBaseESt8optionalIdES5_S5_ENKUlvE_clEvENKUlvE_clEvEUlN3c107complexIdEEE_St5arrayIPcLm2EELi4E23TrivialOffsetCalculatorILi1EjESG_NS0_6memory15LoadWithoutCastENSH_16StoreWithoutCastEEEviT_T0_T2_T3_T4_T5_,"axG",@progbits,_ZN2at6native27unrolled_elementwise_kernelIZZZNS0_22nan_to_num_kernel_cudaERNS_18TensorIteratorBaseESt8optionalIdES5_S5_ENKUlvE_clEvENKUlvE_clEvEUlN3c107complexIdEEE_St5arrayIPcLm2EELi4E23TrivialOffsetCalculatorILi1EjESG_NS0_6memory15LoadWithoutCastENSH_16StoreWithoutCastEEEviT_T0_T2_T3_T4_T5_,comdat
	.globl	_ZN2at6native27unrolled_elementwise_kernelIZZZNS0_22nan_to_num_kernel_cudaERNS_18TensorIteratorBaseESt8optionalIdES5_S5_ENKUlvE_clEvENKUlvE_clEvEUlN3c107complexIdEEE_St5arrayIPcLm2EELi4E23TrivialOffsetCalculatorILi1EjESG_NS0_6memory15LoadWithoutCastENSH_16StoreWithoutCastEEEviT_T0_T2_T3_T4_T5_ ; -- Begin function _ZN2at6native27unrolled_elementwise_kernelIZZZNS0_22nan_to_num_kernel_cudaERNS_18TensorIteratorBaseESt8optionalIdES5_S5_ENKUlvE_clEvENKUlvE_clEvEUlN3c107complexIdEEE_St5arrayIPcLm2EELi4E23TrivialOffsetCalculatorILi1EjESG_NS0_6memory15LoadWithoutCastENSH_16StoreWithoutCastEEEviT_T0_T2_T3_T4_T5_
	.p2align	8
	.type	_ZN2at6native27unrolled_elementwise_kernelIZZZNS0_22nan_to_num_kernel_cudaERNS_18TensorIteratorBaseESt8optionalIdES5_S5_ENKUlvE_clEvENKUlvE_clEvEUlN3c107complexIdEEE_St5arrayIPcLm2EELi4E23TrivialOffsetCalculatorILi1EjESG_NS0_6memory15LoadWithoutCastENSH_16StoreWithoutCastEEEviT_T0_T2_T3_T4_T5_,@function
_ZN2at6native27unrolled_elementwise_kernelIZZZNS0_22nan_to_num_kernel_cudaERNS_18TensorIteratorBaseESt8optionalIdES5_S5_ENKUlvE_clEvENKUlvE_clEvEUlN3c107complexIdEEE_St5arrayIPcLm2EELi4E23TrivialOffsetCalculatorILi1EjESG_NS0_6memory15LoadWithoutCastENSH_16StoreWithoutCastEEEviT_T0_T2_T3_T4_T5_: ; @_ZN2at6native27unrolled_elementwise_kernelIZZZNS0_22nan_to_num_kernel_cudaERNS_18TensorIteratorBaseESt8optionalIdES5_S5_ENKUlvE_clEvENKUlvE_clEvEUlN3c107complexIdEEE_St5arrayIPcLm2EELi4E23TrivialOffsetCalculatorILi1EjESG_NS0_6memory15LoadWithoutCastENSH_16StoreWithoutCastEEEviT_T0_T2_T3_T4_T5_
; %bb.0:
	s_load_dword s3, s[0:1], 0x0
	s_load_dwordx2 s[12:13], s[0:1], 0x28
	s_lshl_b32 s16, s2, 10
	v_mov_b64_e32 v[18:19], 0
	v_or_b32_e32 v22, s16, v0
	s_waitcnt lgkmcnt(0)
	s_sub_i32 s17, s3, s16
	v_cmp_gt_i32_e32 vcc, s17, v0
	v_mov_b64_e32 v[14:15], 0
	v_mov_b64_e32 v[16:17], 0
	v_mov_b32_e32 v1, v0
	s_and_saveexec_b64 s[2:3], vcc
	s_cbranch_execz .LBB494_2
; %bb.1:
	v_mov_b32_e32 v23, 0
	v_lshl_add_u64 v[2:3], v[22:23], 4, s[12:13]
	global_load_dwordx4 v[14:17], v[2:3], off
	v_or_b32_e32 v1, 0x100, v0
.LBB494_2:
	s_or_b64 exec, exec, s[2:3]
	s_load_dwordx8 s[4:11], s[0:1], 0x8
	v_cmp_gt_i32_e64 s[0:1], s17, v1
	v_mov_b64_e32 v[20:21], 0
	s_and_saveexec_b64 s[2:3], s[0:1]
	s_cbranch_execz .LBB494_4
; %bb.3:
	v_add_u32_e32 v2, s16, v1
	v_mov_b32_e32 v3, 0
	v_lshl_add_u64 v[2:3], v[2:3], 4, s[12:13]
	global_load_dwordx4 v[18:21], v[2:3], off
	v_add_u32_e32 v1, 0x100, v1
.LBB494_4:
	s_or_b64 exec, exec, s[2:3]
	v_cmp_gt_i32_e64 s[0:1], s17, v1
	v_mov_b64_e32 v[2:3], 0
	v_mov_b64_e32 v[10:11], 0
	;; [unrolled: 1-line block ×3, first 2 shown]
	s_and_saveexec_b64 s[2:3], s[0:1]
	s_cbranch_execz .LBB494_6
; %bb.5:
	v_add_u32_e32 v4, s16, v1
	v_mov_b32_e32 v5, 0
	v_lshl_add_u64 v[4:5], v[4:5], 4, s[12:13]
	global_load_dwordx4 v[10:13], v[4:5], off
	v_add_u32_e32 v1, 0x100, v1
.LBB494_6:
	s_or_b64 exec, exec, s[2:3]
	v_cmp_gt_i32_e64 s[0:1], s17, v1
	v_mov_b64_e32 v[4:5], 0
	s_and_saveexec_b64 s[2:3], s[0:1]
	s_cbranch_execz .LBB494_8
; %bb.7:
	v_add_u32_e32 v2, s16, v1
	v_mov_b32_e32 v3, 0
	v_lshl_add_u64 v[2:3], v[2:3], 4, s[12:13]
	global_load_dwordx4 v[2:5], v[2:3], off
.LBB494_8:
	s_or_b64 exec, exec, s[2:3]
	v_mov_b64_e32 v[6:7], 0
	v_mov_b64_e32 v[8:9], 0
	s_and_saveexec_b64 s[2:3], vcc
	s_cbranch_execz .LBB494_18
; %bb.9:
	s_waitcnt vmcnt(0)
	v_cmp_o_f64_e64 s[0:1], v[14:15], v[14:15]
	s_waitcnt lgkmcnt(0)
	v_mov_b64_e32 v[6:7], s[4:5]
	s_and_saveexec_b64 s[12:13], s[0:1]
	s_cbranch_execz .LBB494_13
; %bb.10:
	s_mov_b32 s0, 0
	s_mov_b32 s1, 0x7ff00000
	v_cmp_neq_f64_e64 s[0:1], s[0:1], v[14:15]
	v_mov_b64_e32 v[6:7], s[6:7]
	s_and_saveexec_b64 s[14:15], s[0:1]
; %bb.11:
	s_mov_b32 s0, 0
	s_mov_b32 s1, 0xfff00000
	v_mov_b32_e32 v1, s9
	v_cmp_eq_f64_e64 s[0:1], s[0:1], v[14:15]
	s_nop 1
	v_cndmask_b32_e64 v7, v15, v1, s[0:1]
	v_mov_b32_e32 v1, s8
	v_cndmask_b32_e64 v6, v14, v1, s[0:1]
; %bb.12:
	s_or_b64 exec, exec, s[14:15]
.LBB494_13:
	s_or_b64 exec, exec, s[12:13]
	v_cmp_o_f64_e64 s[0:1], v[16:17], v[16:17]
	v_mov_b64_e32 v[8:9], s[4:5]
	s_and_saveexec_b64 s[12:13], s[0:1]
	s_cbranch_execz .LBB494_17
; %bb.14:
	s_mov_b32 s0, 0
	s_mov_b32 s1, 0x7ff00000
	v_cmp_neq_f64_e64 s[0:1], s[0:1], v[16:17]
	v_mov_b64_e32 v[8:9], s[6:7]
	s_and_saveexec_b64 s[14:15], s[0:1]
; %bb.15:
	s_mov_b32 s0, 0
	s_mov_b32 s1, 0xfff00000
	v_mov_b32_e32 v1, s9
	v_cmp_eq_f64_e64 s[0:1], s[0:1], v[16:17]
	s_nop 1
	v_cndmask_b32_e64 v9, v17, v1, s[0:1]
	v_mov_b32_e32 v1, s8
	v_cndmask_b32_e64 v8, v16, v1, s[0:1]
; %bb.16:
	s_or_b64 exec, exec, s[14:15]
.LBB494_17:
	s_or_b64 exec, exec, s[12:13]
.LBB494_18:
	s_or_b64 exec, exec, s[2:3]
	v_or_b32_e32 v1, 0x100, v0
	v_cmp_gt_i32_e64 s[0:1], s17, v1
	s_waitcnt vmcnt(0)
	v_mov_b64_e32 v[14:15], 0
	v_mov_b64_e32 v[16:17], 0
	s_and_saveexec_b64 s[2:3], s[0:1]
	s_cbranch_execz .LBB494_28
; %bb.19:
	v_cmp_o_f64_e64 s[0:1], v[18:19], v[18:19]
	s_waitcnt lgkmcnt(0)
	v_mov_b64_e32 v[14:15], s[4:5]
	s_and_saveexec_b64 s[12:13], s[0:1]
	s_cbranch_execz .LBB494_23
; %bb.20:
	s_mov_b32 s0, 0
	s_mov_b32 s1, 0x7ff00000
	v_cmp_neq_f64_e64 s[0:1], s[0:1], v[18:19]
	v_mov_b64_e32 v[14:15], s[6:7]
	s_and_saveexec_b64 s[14:15], s[0:1]
; %bb.21:
	s_mov_b32 s0, 0
	s_mov_b32 s1, 0xfff00000
	v_mov_b32_e32 v14, s9
	v_cmp_eq_f64_e64 s[0:1], s[0:1], v[18:19]
	s_nop 1
	v_cndmask_b32_e64 v15, v19, v14, s[0:1]
	v_mov_b32_e32 v14, s8
	v_cndmask_b32_e64 v14, v18, v14, s[0:1]
; %bb.22:
	s_or_b64 exec, exec, s[14:15]
.LBB494_23:
	s_or_b64 exec, exec, s[12:13]
	v_cmp_o_f64_e64 s[0:1], v[20:21], v[20:21]
	v_mov_b64_e32 v[16:17], s[4:5]
	s_and_saveexec_b64 s[12:13], s[0:1]
	s_cbranch_execz .LBB494_27
; %bb.24:
	s_mov_b32 s0, 0
	s_mov_b32 s1, 0x7ff00000
	v_cmp_neq_f64_e64 s[0:1], s[0:1], v[20:21]
	v_mov_b64_e32 v[16:17], s[6:7]
	s_and_saveexec_b64 s[14:15], s[0:1]
; %bb.25:
	s_mov_b32 s0, 0
	s_mov_b32 s1, 0xfff00000
	v_mov_b32_e32 v16, s9
	v_cmp_eq_f64_e64 s[0:1], s[0:1], v[20:21]
	s_nop 1
	v_cndmask_b32_e64 v17, v21, v16, s[0:1]
	v_mov_b32_e32 v16, s8
	v_cndmask_b32_e64 v16, v20, v16, s[0:1]
; %bb.26:
	s_or_b64 exec, exec, s[14:15]
.LBB494_27:
	s_or_b64 exec, exec, s[12:13]
.LBB494_28:
	s_or_b64 exec, exec, s[2:3]
	v_or_b32_e32 v18, 0x200, v0
	v_cmp_gt_i32_e64 s[0:1], s17, v18
	v_mov_b64_e32 v[18:19], 0
	v_mov_b64_e32 v[20:21], 0
	s_and_saveexec_b64 s[2:3], s[0:1]
	s_cbranch_execz .LBB494_38
; %bb.29:
	v_cmp_o_f64_e64 s[0:1], v[10:11], v[10:11]
	s_waitcnt lgkmcnt(0)
	v_mov_b64_e32 v[18:19], s[4:5]
	s_and_saveexec_b64 s[12:13], s[0:1]
	s_cbranch_execz .LBB494_33
; %bb.30:
	s_mov_b32 s0, 0
	s_mov_b32 s1, 0x7ff00000
	v_cmp_neq_f64_e64 s[0:1], s[0:1], v[10:11]
	v_mov_b64_e32 v[18:19], s[6:7]
	s_and_saveexec_b64 s[14:15], s[0:1]
; %bb.31:
	s_mov_b32 s0, 0
	s_mov_b32 s1, 0xfff00000
	v_mov_b32_e32 v18, s9
	v_cmp_eq_f64_e64 s[0:1], s[0:1], v[10:11]
	s_nop 1
	v_cndmask_b32_e64 v19, v11, v18, s[0:1]
	v_mov_b32_e32 v11, s8
	v_cndmask_b32_e64 v18, v10, v11, s[0:1]
; %bb.32:
	s_or_b64 exec, exec, s[14:15]
.LBB494_33:
	s_or_b64 exec, exec, s[12:13]
	v_cmp_o_f64_e64 s[0:1], v[12:13], v[12:13]
	v_mov_b64_e32 v[20:21], s[4:5]
	s_and_saveexec_b64 s[12:13], s[0:1]
	s_cbranch_execz .LBB494_37
; %bb.34:
	s_mov_b32 s0, 0
	s_mov_b32 s1, 0x7ff00000
	v_cmp_neq_f64_e64 s[0:1], s[0:1], v[12:13]
	v_mov_b64_e32 v[20:21], s[6:7]
	s_and_saveexec_b64 s[14:15], s[0:1]
; %bb.35:
	s_mov_b32 s0, 0
	s_mov_b32 s1, 0xfff00000
	v_mov_b32_e32 v10, s9
	v_cmp_eq_f64_e64 s[0:1], s[0:1], v[12:13]
	s_nop 1
	v_cndmask_b32_e64 v21, v13, v10, s[0:1]
	v_mov_b32_e32 v10, s8
	v_cndmask_b32_e64 v20, v12, v10, s[0:1]
; %bb.36:
	s_or_b64 exec, exec, s[14:15]
.LBB494_37:
	s_or_b64 exec, exec, s[12:13]
.LBB494_38:
	s_or_b64 exec, exec, s[2:3]
	v_or_b32_e32 v10, 0x300, v0
	v_cmp_gt_i32_e64 s[0:1], s17, v10
	v_mov_b64_e32 v[10:11], 0
	v_mov_b64_e32 v[12:13], 0
	s_and_saveexec_b64 s[2:3], s[0:1]
	s_cbranch_execnz .LBB494_44
; %bb.39:
	s_or_b64 exec, exec, s[2:3]
	s_and_saveexec_b64 s[0:1], vcc
	s_xor_b64 s[0:1], exec, s[0:1]
	s_cbranch_execnz .LBB494_53
.LBB494_40:
	s_or_b64 exec, exec, s[0:1]
	v_cmp_gt_i32_e32 vcc, s17, v0
	s_and_saveexec_b64 s[0:1], vcc
	s_cbranch_execnz .LBB494_54
.LBB494_41:
	s_or_b64 exec, exec, s[0:1]
	v_cmp_gt_i32_e32 vcc, s17, v0
	s_and_saveexec_b64 s[0:1], vcc
	s_cbranch_execnz .LBB494_55
.LBB494_42:
	s_or_b64 exec, exec, s[0:1]
	v_cmp_gt_i32_e32 vcc, s17, v0
	s_and_saveexec_b64 s[0:1], vcc
	s_cbranch_execnz .LBB494_56
.LBB494_43:
	s_endpgm
.LBB494_44:
	v_cmp_o_f64_e64 s[0:1], v[2:3], v[2:3]
	s_waitcnt lgkmcnt(0)
	v_mov_b64_e32 v[10:11], s[4:5]
	s_and_saveexec_b64 s[12:13], s[0:1]
	s_cbranch_execz .LBB494_48
; %bb.45:
	s_mov_b32 s0, 0
	s_mov_b32 s1, 0x7ff00000
	v_cmp_neq_f64_e64 s[0:1], s[0:1], v[2:3]
	v_mov_b64_e32 v[10:11], s[6:7]
	s_and_saveexec_b64 s[14:15], s[0:1]
; %bb.46:
	s_mov_b32 s0, 0
	s_mov_b32 s1, 0xfff00000
	v_mov_b32_e32 v10, s9
	v_cmp_eq_f64_e64 s[0:1], s[0:1], v[2:3]
	s_nop 1
	v_cndmask_b32_e64 v11, v3, v10, s[0:1]
	v_mov_b32_e32 v3, s8
	v_cndmask_b32_e64 v10, v2, v3, s[0:1]
; %bb.47:
	s_or_b64 exec, exec, s[14:15]
.LBB494_48:
	s_or_b64 exec, exec, s[12:13]
	v_cmp_o_f64_e64 s[0:1], v[4:5], v[4:5]
	v_mov_b64_e32 v[12:13], s[4:5]
	s_and_saveexec_b64 s[4:5], s[0:1]
	s_cbranch_execz .LBB494_52
; %bb.49:
	s_mov_b32 s0, 0
	s_mov_b32 s1, 0x7ff00000
	v_cmp_neq_f64_e64 s[0:1], s[0:1], v[4:5]
	v_mov_b64_e32 v[12:13], s[6:7]
	s_and_saveexec_b64 s[6:7], s[0:1]
; %bb.50:
	s_mov_b32 s0, 0
	s_mov_b32 s1, 0xfff00000
	v_mov_b32_e32 v2, s9
	v_cmp_eq_f64_e64 s[0:1], s[0:1], v[4:5]
	s_nop 1
	v_cndmask_b32_e64 v13, v5, v2, s[0:1]
	v_mov_b32_e32 v2, s8
	v_cndmask_b32_e64 v12, v4, v2, s[0:1]
; %bb.51:
	s_or_b64 exec, exec, s[6:7]
.LBB494_52:
	s_or_b64 exec, exec, s[4:5]
	s_or_b64 exec, exec, s[2:3]
	s_and_saveexec_b64 s[0:1], vcc
	s_xor_b64 s[0:1], exec, s[0:1]
	s_cbranch_execz .LBB494_40
.LBB494_53:
	v_mov_b32_e32 v23, 0
	s_waitcnt lgkmcnt(0)
	v_lshl_add_u64 v[2:3], v[22:23], 4, s[10:11]
	v_mov_b32_e32 v0, v1
	global_store_dwordx4 v[2:3], v[6:9], off
	s_or_b64 exec, exec, s[0:1]
	v_cmp_gt_i32_e32 vcc, s17, v0
	s_and_saveexec_b64 s[0:1], vcc
	s_cbranch_execz .LBB494_41
.LBB494_54:
	v_add_u32_e32 v2, 0x100, v0
	v_add_u32_e32 v0, s16, v0
	v_mov_b32_e32 v1, 0
	s_waitcnt lgkmcnt(0)
	v_lshl_add_u64 v[0:1], v[0:1], 4, s[10:11]
	global_store_dwordx4 v[0:1], v[14:17], off
	v_mov_b32_e32 v0, v2
	s_or_b64 exec, exec, s[0:1]
	v_cmp_gt_i32_e32 vcc, s17, v0
	s_and_saveexec_b64 s[0:1], vcc
	s_cbranch_execz .LBB494_42
.LBB494_55:
	v_add_u32_e32 v2, 0x100, v0
	v_add_u32_e32 v0, s16, v0
	v_mov_b32_e32 v1, 0
	s_waitcnt lgkmcnt(0)
	v_lshl_add_u64 v[0:1], v[0:1], 4, s[10:11]
	global_store_dwordx4 v[0:1], v[18:21], off
	v_mov_b32_e32 v0, v2
	s_or_b64 exec, exec, s[0:1]
	v_cmp_gt_i32_e32 vcc, s17, v0
	s_and_saveexec_b64 s[0:1], vcc
	s_cbranch_execz .LBB494_43
.LBB494_56:
	v_add_u32_e32 v0, s16, v0
	v_mov_b32_e32 v1, 0
	s_waitcnt lgkmcnt(0)
	v_lshl_add_u64 v[0:1], v[0:1], 4, s[10:11]
	global_store_dwordx4 v[0:1], v[10:13], off
	s_endpgm
	.section	.rodata,"a",@progbits
	.p2align	6, 0x0
	.amdhsa_kernel _ZN2at6native27unrolled_elementwise_kernelIZZZNS0_22nan_to_num_kernel_cudaERNS_18TensorIteratorBaseESt8optionalIdES5_S5_ENKUlvE_clEvENKUlvE_clEvEUlN3c107complexIdEEE_St5arrayIPcLm2EELi4E23TrivialOffsetCalculatorILi1EjESG_NS0_6memory15LoadWithoutCastENSH_16StoreWithoutCastEEEviT_T0_T2_T3_T4_T5_
		.amdhsa_group_segment_fixed_size 0
		.amdhsa_private_segment_fixed_size 0
		.amdhsa_kernarg_size 52
		.amdhsa_user_sgpr_count 2
		.amdhsa_user_sgpr_dispatch_ptr 0
		.amdhsa_user_sgpr_queue_ptr 0
		.amdhsa_user_sgpr_kernarg_segment_ptr 1
		.amdhsa_user_sgpr_dispatch_id 0
		.amdhsa_user_sgpr_kernarg_preload_length 0
		.amdhsa_user_sgpr_kernarg_preload_offset 0
		.amdhsa_user_sgpr_private_segment_size 0
		.amdhsa_uses_dynamic_stack 0
		.amdhsa_enable_private_segment 0
		.amdhsa_system_sgpr_workgroup_id_x 1
		.amdhsa_system_sgpr_workgroup_id_y 0
		.amdhsa_system_sgpr_workgroup_id_z 0
		.amdhsa_system_sgpr_workgroup_info 0
		.amdhsa_system_vgpr_workitem_id 0
		.amdhsa_next_free_vgpr 24
		.amdhsa_next_free_sgpr 18
		.amdhsa_accum_offset 24
		.amdhsa_reserve_vcc 1
		.amdhsa_float_round_mode_32 0
		.amdhsa_float_round_mode_16_64 0
		.amdhsa_float_denorm_mode_32 3
		.amdhsa_float_denorm_mode_16_64 3
		.amdhsa_dx10_clamp 1
		.amdhsa_ieee_mode 1
		.amdhsa_fp16_overflow 0
		.amdhsa_tg_split 0
		.amdhsa_exception_fp_ieee_invalid_op 0
		.amdhsa_exception_fp_denorm_src 0
		.amdhsa_exception_fp_ieee_div_zero 0
		.amdhsa_exception_fp_ieee_overflow 0
		.amdhsa_exception_fp_ieee_underflow 0
		.amdhsa_exception_fp_ieee_inexact 0
		.amdhsa_exception_int_div_zero 0
	.end_amdhsa_kernel
	.section	.text._ZN2at6native27unrolled_elementwise_kernelIZZZNS0_22nan_to_num_kernel_cudaERNS_18TensorIteratorBaseESt8optionalIdES5_S5_ENKUlvE_clEvENKUlvE_clEvEUlN3c107complexIdEEE_St5arrayIPcLm2EELi4E23TrivialOffsetCalculatorILi1EjESG_NS0_6memory15LoadWithoutCastENSH_16StoreWithoutCastEEEviT_T0_T2_T3_T4_T5_,"axG",@progbits,_ZN2at6native27unrolled_elementwise_kernelIZZZNS0_22nan_to_num_kernel_cudaERNS_18TensorIteratorBaseESt8optionalIdES5_S5_ENKUlvE_clEvENKUlvE_clEvEUlN3c107complexIdEEE_St5arrayIPcLm2EELi4E23TrivialOffsetCalculatorILi1EjESG_NS0_6memory15LoadWithoutCastENSH_16StoreWithoutCastEEEviT_T0_T2_T3_T4_T5_,comdat
.Lfunc_end494:
	.size	_ZN2at6native27unrolled_elementwise_kernelIZZZNS0_22nan_to_num_kernel_cudaERNS_18TensorIteratorBaseESt8optionalIdES5_S5_ENKUlvE_clEvENKUlvE_clEvEUlN3c107complexIdEEE_St5arrayIPcLm2EELi4E23TrivialOffsetCalculatorILi1EjESG_NS0_6memory15LoadWithoutCastENSH_16StoreWithoutCastEEEviT_T0_T2_T3_T4_T5_, .Lfunc_end494-_ZN2at6native27unrolled_elementwise_kernelIZZZNS0_22nan_to_num_kernel_cudaERNS_18TensorIteratorBaseESt8optionalIdES5_S5_ENKUlvE_clEvENKUlvE_clEvEUlN3c107complexIdEEE_St5arrayIPcLm2EELi4E23TrivialOffsetCalculatorILi1EjESG_NS0_6memory15LoadWithoutCastENSH_16StoreWithoutCastEEEviT_T0_T2_T3_T4_T5_
                                        ; -- End function
	.set _ZN2at6native27unrolled_elementwise_kernelIZZZNS0_22nan_to_num_kernel_cudaERNS_18TensorIteratorBaseESt8optionalIdES5_S5_ENKUlvE_clEvENKUlvE_clEvEUlN3c107complexIdEEE_St5arrayIPcLm2EELi4E23TrivialOffsetCalculatorILi1EjESG_NS0_6memory15LoadWithoutCastENSH_16StoreWithoutCastEEEviT_T0_T2_T3_T4_T5_.num_vgpr, 24
	.set _ZN2at6native27unrolled_elementwise_kernelIZZZNS0_22nan_to_num_kernel_cudaERNS_18TensorIteratorBaseESt8optionalIdES5_S5_ENKUlvE_clEvENKUlvE_clEvEUlN3c107complexIdEEE_St5arrayIPcLm2EELi4E23TrivialOffsetCalculatorILi1EjESG_NS0_6memory15LoadWithoutCastENSH_16StoreWithoutCastEEEviT_T0_T2_T3_T4_T5_.num_agpr, 0
	.set _ZN2at6native27unrolled_elementwise_kernelIZZZNS0_22nan_to_num_kernel_cudaERNS_18TensorIteratorBaseESt8optionalIdES5_S5_ENKUlvE_clEvENKUlvE_clEvEUlN3c107complexIdEEE_St5arrayIPcLm2EELi4E23TrivialOffsetCalculatorILi1EjESG_NS0_6memory15LoadWithoutCastENSH_16StoreWithoutCastEEEviT_T0_T2_T3_T4_T5_.numbered_sgpr, 18
	.set _ZN2at6native27unrolled_elementwise_kernelIZZZNS0_22nan_to_num_kernel_cudaERNS_18TensorIteratorBaseESt8optionalIdES5_S5_ENKUlvE_clEvENKUlvE_clEvEUlN3c107complexIdEEE_St5arrayIPcLm2EELi4E23TrivialOffsetCalculatorILi1EjESG_NS0_6memory15LoadWithoutCastENSH_16StoreWithoutCastEEEviT_T0_T2_T3_T4_T5_.num_named_barrier, 0
	.set _ZN2at6native27unrolled_elementwise_kernelIZZZNS0_22nan_to_num_kernel_cudaERNS_18TensorIteratorBaseESt8optionalIdES5_S5_ENKUlvE_clEvENKUlvE_clEvEUlN3c107complexIdEEE_St5arrayIPcLm2EELi4E23TrivialOffsetCalculatorILi1EjESG_NS0_6memory15LoadWithoutCastENSH_16StoreWithoutCastEEEviT_T0_T2_T3_T4_T5_.private_seg_size, 0
	.set _ZN2at6native27unrolled_elementwise_kernelIZZZNS0_22nan_to_num_kernel_cudaERNS_18TensorIteratorBaseESt8optionalIdES5_S5_ENKUlvE_clEvENKUlvE_clEvEUlN3c107complexIdEEE_St5arrayIPcLm2EELi4E23TrivialOffsetCalculatorILi1EjESG_NS0_6memory15LoadWithoutCastENSH_16StoreWithoutCastEEEviT_T0_T2_T3_T4_T5_.uses_vcc, 1
	.set _ZN2at6native27unrolled_elementwise_kernelIZZZNS0_22nan_to_num_kernel_cudaERNS_18TensorIteratorBaseESt8optionalIdES5_S5_ENKUlvE_clEvENKUlvE_clEvEUlN3c107complexIdEEE_St5arrayIPcLm2EELi4E23TrivialOffsetCalculatorILi1EjESG_NS0_6memory15LoadWithoutCastENSH_16StoreWithoutCastEEEviT_T0_T2_T3_T4_T5_.uses_flat_scratch, 0
	.set _ZN2at6native27unrolled_elementwise_kernelIZZZNS0_22nan_to_num_kernel_cudaERNS_18TensorIteratorBaseESt8optionalIdES5_S5_ENKUlvE_clEvENKUlvE_clEvEUlN3c107complexIdEEE_St5arrayIPcLm2EELi4E23TrivialOffsetCalculatorILi1EjESG_NS0_6memory15LoadWithoutCastENSH_16StoreWithoutCastEEEviT_T0_T2_T3_T4_T5_.has_dyn_sized_stack, 0
	.set _ZN2at6native27unrolled_elementwise_kernelIZZZNS0_22nan_to_num_kernel_cudaERNS_18TensorIteratorBaseESt8optionalIdES5_S5_ENKUlvE_clEvENKUlvE_clEvEUlN3c107complexIdEEE_St5arrayIPcLm2EELi4E23TrivialOffsetCalculatorILi1EjESG_NS0_6memory15LoadWithoutCastENSH_16StoreWithoutCastEEEviT_T0_T2_T3_T4_T5_.has_recursion, 0
	.set _ZN2at6native27unrolled_elementwise_kernelIZZZNS0_22nan_to_num_kernel_cudaERNS_18TensorIteratorBaseESt8optionalIdES5_S5_ENKUlvE_clEvENKUlvE_clEvEUlN3c107complexIdEEE_St5arrayIPcLm2EELi4E23TrivialOffsetCalculatorILi1EjESG_NS0_6memory15LoadWithoutCastENSH_16StoreWithoutCastEEEviT_T0_T2_T3_T4_T5_.has_indirect_call, 0
	.section	.AMDGPU.csdata,"",@progbits
; Kernel info:
; codeLenInByte = 1520
; TotalNumSgprs: 24
; NumVgprs: 24
; NumAgprs: 0
; TotalNumVgprs: 24
; ScratchSize: 0
; MemoryBound: 0
; FloatMode: 240
; IeeeMode: 1
; LDSByteSize: 0 bytes/workgroup (compile time only)
; SGPRBlocks: 2
; VGPRBlocks: 2
; NumSGPRsForWavesPerEU: 24
; NumVGPRsForWavesPerEU: 24
; AccumOffset: 24
; Occupancy: 8
; WaveLimiterHint : 0
; COMPUTE_PGM_RSRC2:SCRATCH_EN: 0
; COMPUTE_PGM_RSRC2:USER_SGPR: 2
; COMPUTE_PGM_RSRC2:TRAP_HANDLER: 0
; COMPUTE_PGM_RSRC2:TGID_X_EN: 1
; COMPUTE_PGM_RSRC2:TGID_Y_EN: 0
; COMPUTE_PGM_RSRC2:TGID_Z_EN: 0
; COMPUTE_PGM_RSRC2:TIDIG_COMP_CNT: 0
; COMPUTE_PGM_RSRC3_GFX90A:ACCUM_OFFSET: 5
; COMPUTE_PGM_RSRC3_GFX90A:TG_SPLIT: 0
	.section	.text._ZN2at6native32elementwise_kernel_manual_unrollILi128ELi4EZNS0_22gpu_kernel_impl_nocastIZZZNS0_22nan_to_num_kernel_cudaERNS_18TensorIteratorBaseESt8optionalIdES6_S6_ENKUlvE_clEvENKUlvE_clEvEUlN3c107complexIdEEE_EEvS4_RKT_EUlibE_EEviT1_,"axG",@progbits,_ZN2at6native32elementwise_kernel_manual_unrollILi128ELi4EZNS0_22gpu_kernel_impl_nocastIZZZNS0_22nan_to_num_kernel_cudaERNS_18TensorIteratorBaseESt8optionalIdES6_S6_ENKUlvE_clEvENKUlvE_clEvEUlN3c107complexIdEEE_EEvS4_RKT_EUlibE_EEviT1_,comdat
	.globl	_ZN2at6native32elementwise_kernel_manual_unrollILi128ELi4EZNS0_22gpu_kernel_impl_nocastIZZZNS0_22nan_to_num_kernel_cudaERNS_18TensorIteratorBaseESt8optionalIdES6_S6_ENKUlvE_clEvENKUlvE_clEvEUlN3c107complexIdEEE_EEvS4_RKT_EUlibE_EEviT1_ ; -- Begin function _ZN2at6native32elementwise_kernel_manual_unrollILi128ELi4EZNS0_22gpu_kernel_impl_nocastIZZZNS0_22nan_to_num_kernel_cudaERNS_18TensorIteratorBaseESt8optionalIdES6_S6_ENKUlvE_clEvENKUlvE_clEvEUlN3c107complexIdEEE_EEvS4_RKT_EUlibE_EEviT1_
	.p2align	8
	.type	_ZN2at6native32elementwise_kernel_manual_unrollILi128ELi4EZNS0_22gpu_kernel_impl_nocastIZZZNS0_22nan_to_num_kernel_cudaERNS_18TensorIteratorBaseESt8optionalIdES6_S6_ENKUlvE_clEvENKUlvE_clEvEUlN3c107complexIdEEE_EEvS4_RKT_EUlibE_EEviT1_,@function
_ZN2at6native32elementwise_kernel_manual_unrollILi128ELi4EZNS0_22gpu_kernel_impl_nocastIZZZNS0_22nan_to_num_kernel_cudaERNS_18TensorIteratorBaseESt8optionalIdES6_S6_ENKUlvE_clEvENKUlvE_clEvEUlN3c107complexIdEEE_EEvS4_RKT_EUlibE_EEviT1_: ; @_ZN2at6native32elementwise_kernel_manual_unrollILi128ELi4EZNS0_22gpu_kernel_impl_nocastIZZZNS0_22nan_to_num_kernel_cudaERNS_18TensorIteratorBaseESt8optionalIdES6_S6_ENKUlvE_clEvENKUlvE_clEvEUlN3c107complexIdEEE_EEvS4_RKT_EUlibE_EEviT1_
; %bb.0:
	s_load_dword s61, s[0:1], 0x0
	s_load_dword s33, s[0:1], 0x8
	s_add_u32 s34, s0, 8
	s_addc_u32 s35, s1, 0
	v_lshl_or_b32 v8, s2, 9, v0
	v_or_b32_e32 v2, 0x180, v8
	s_waitcnt lgkmcnt(0)
	s_add_i32 s60, s33, -1
	s_cmp_gt_u32 s60, 1
	v_cmp_le_i32_e32 vcc, s61, v2
	s_cselect_b64 s[40:41], -1, 0
	s_mov_b64 s[24:25], 0
                                        ; implicit-def: $vgpr12_vgpr13
                                        ; implicit-def: $vgpr14_vgpr15
	s_and_saveexec_b64 s[0:1], vcc
	s_xor_b64 s[42:43], exec, s[0:1]
	s_cbranch_execnz .LBB495_4
; %bb.1:
	s_andn2_saveexec_b64 s[26:27], s[42:43]
	s_cbranch_execnz .LBB495_105
.LBB495_2:
	s_or_b64 exec, exec, s[26:27]
	s_and_saveexec_b64 s[0:1], s[24:25]
	s_cbranch_execnz .LBB495_194
.LBB495_3:
	s_endpgm
.LBB495_4:
	s_load_dwordx4 s[28:31], s[34:35], 0x4
	s_load_dwordx2 s[46:47], s[34:35], 0x14
	s_load_dwordx4 s[24:27], s[34:35], 0xc4
	s_load_dwordx2 s[44:45], s[34:35], 0x168
	s_load_dwordx8 s[0:7], s[34:35], 0x148
	s_cmp_lg_u32 s33, 0
	s_cselect_b64 s[52:53], -1, 0
	s_add_u32 s50, s34, 0xc4
	s_addc_u32 s51, s35, 0
	s_min_u32 s62, s60, 15
	s_cmp_gt_u32 s33, 1
	s_cselect_b64 s[48:49], -1, 0
	v_cmp_gt_i32_e32 vcc, s61, v8
	s_and_saveexec_b64 s[54:55], vcc
	s_cbranch_execnz .LBB495_7
; %bb.5:
	s_or_b64 exec, exec, s[54:55]
	v_cmp_gt_i32_e32 vcc, s61, v8
	s_and_saveexec_b64 s[54:55], vcc
	s_cbranch_execnz .LBB495_31
.LBB495_6:
	s_or_b64 exec, exec, s[54:55]
	v_cmp_gt_i32_e32 vcc, s61, v8
	s_and_saveexec_b64 s[54:55], vcc
	s_cbranch_execnz .LBB495_55
	s_branch .LBB495_79
.LBB495_7:
	s_andn2_b64 vcc, exec, s[40:41]
	s_cbranch_vccnz .LBB495_13
; %bb.8:
	s_andn2_b64 vcc, exec, s[52:53]
	s_cbranch_vccnz .LBB495_14
; %bb.9:
	s_add_i32 s64, s62, 1
	s_cmp_eq_u32 s60, 2
	s_cbranch_scc1 .LBB495_15
; %bb.10:
	s_and_b32 s63, s64, 28
	s_mov_b32 s65, 0
	v_mov_b32_e32 v6, 0
	v_mov_b32_e32 v0, 0
	s_mov_b64 s[56:57], s[34:35]
	s_mov_b64 s[58:59], s[50:51]
	v_mov_b32_e32 v2, v8
.LBB495_11:                             ; =>This Inner Loop Header: Depth=1
	s_load_dwordx8 s[16:23], s[56:57], 0x4
	s_load_dwordx4 s[36:39], s[56:57], 0x24
	s_load_dwordx8 s[8:15], s[58:59], 0x0
	s_add_u32 s56, s56, 48
	s_addc_u32 s57, s57, 0
	s_waitcnt lgkmcnt(0)
	v_mul_hi_u32 v1, s17, v2
	v_add_u32_e32 v1, v2, v1
	v_lshrrev_b32_e32 v1, s18, v1
	v_mul_lo_u32 v3, v1, s16
	v_mul_hi_u32 v4, s20, v1
	v_sub_u32_e32 v2, v2, v3
	v_add_u32_e32 v3, v1, v4
	v_lshrrev_b32_e32 v3, s21, v3
	v_mul_lo_u32 v5, v3, s19
	v_mul_hi_u32 v7, s23, v3
	v_sub_u32_e32 v1, v1, v5
	v_add_u32_e32 v5, v3, v7
	v_mul_lo_u32 v4, v2, s9
	v_mul_lo_u32 v2, v2, s8
	v_mul_lo_u32 v7, v1, s11
	v_mul_lo_u32 v1, v1, s10
	v_lshrrev_b32_e32 v5, s36, v5
	v_add3_u32 v1, v2, v6, v1
	v_add3_u32 v0, v4, v0, v7
	v_mul_lo_u32 v2, v5, s22
	v_mul_hi_u32 v4, s38, v5
	v_sub_u32_e32 v2, v3, v2
	v_add_u32_e32 v3, v5, v4
	v_mul_lo_u32 v4, v2, s12
	v_mul_lo_u32 v6, v2, s13
	v_lshrrev_b32_e32 v2, s39, v3
	s_add_i32 s65, s65, 4
	v_mul_lo_u32 v3, v2, s37
	s_add_u32 s58, s58, 32
	v_sub_u32_e32 v3, v5, v3
	s_addc_u32 s59, s59, 0
	v_mul_lo_u32 v5, v3, s14
	v_mul_lo_u32 v3, v3, s15
	s_cmp_lg_u32 s63, s65
	v_add3_u32 v0, v6, v0, v3
	v_add3_u32 v6, v4, v1, v5
	s_cbranch_scc1 .LBB495_11
; %bb.12:
	v_mov_b32_e32 v1, v0
	s_branch .LBB495_16
.LBB495_13:
                                        ; implicit-def: $vgpr0
                                        ; implicit-def: $vgpr6
	s_branch .LBB495_20
.LBB495_14:
	v_mov_b32_e32 v0, 0
	v_mov_b32_e32 v6, 0
	s_branch .LBB495_19
.LBB495_15:
	v_mov_b32_e32 v6, 0
	s_mov_b32 s63, 0
	v_mov_b32_e32 v1, v6
                                        ; implicit-def: $vgpr0
	v_mov_b32_e32 v2, v8
.LBB495_16:
	s_and_b32 s12, s64, 3
	s_cmp_eq_u32 s12, 0
	s_cbranch_scc1 .LBB495_19
; %bb.17:
	s_lshl_b32 s8, s63, 3
	s_add_u32 s8, s34, s8
	s_addc_u32 s9, s35, 0
	s_add_u32 s8, s8, 0xc4
	s_addc_u32 s9, s9, 0
	s_mul_i32 s10, s63, 12
	s_add_u32 s10, s34, s10
	s_addc_u32 s11, s35, 0
.LBB495_18:                             ; =>This Inner Loop Header: Depth=1
	s_load_dwordx2 s[14:15], s[10:11], 0x4
	s_load_dword s13, s[10:11], 0xc
	s_load_dwordx2 s[16:17], s[8:9], 0x0
	v_mov_b32_e32 v0, v1
	s_add_u32 s10, s10, 12
	s_waitcnt lgkmcnt(0)
	v_mul_hi_u32 v1, s15, v2
	v_add_u32_e32 v1, v2, v1
	v_lshrrev_b32_e32 v1, s13, v1
	s_addc_u32 s11, s11, 0
	v_mul_lo_u32 v3, v1, s14
	s_add_u32 s8, s8, 8
	v_sub_u32_e32 v3, v2, v3
	s_addc_u32 s9, s9, 0
	s_add_i32 s12, s12, -1
	v_mov_b32_e32 v2, v1
	v_mad_u64_u32 v[0:1], s[14:15], v3, s17, v[0:1]
	s_cmp_lg_u32 s12, 0
	v_mad_u64_u32 v[6:7], s[14:15], v3, s16, v[6:7]
	v_mov_b32_e32 v1, v0
	s_cbranch_scc1 .LBB495_18
.LBB495_19:
	s_cbranch_execnz .LBB495_22
.LBB495_20:
	s_waitcnt lgkmcnt(0)
	v_mul_hi_u32 v0, s29, v8
	v_add_u32_e32 v0, v8, v0
	v_lshrrev_b32_e32 v1, s30, v0
	v_mul_lo_u32 v0, v1, s28
	v_sub_u32_e32 v2, v8, v0
	v_mul_lo_u32 v0, v2, s25
	s_andn2_b64 vcc, exec, s[48:49]
	v_mul_lo_u32 v6, v2, s24
	s_cbranch_vccnz .LBB495_22
; %bb.21:
	v_mul_hi_u32 v2, s46, v1
	v_add_u32_e32 v2, v1, v2
	v_lshrrev_b32_e32 v2, s47, v2
	v_mul_lo_u32 v2, v2, s31
	v_sub_u32_e32 v1, v1, v2
	v_mad_u64_u32 v[6:7], s[8:9], v1, s26, v[6:7]
	v_mad_u64_u32 v[0:1], s[8:9], v1, s27, v[0:1]
.LBB495_22:
	s_waitcnt lgkmcnt(0)
	global_load_dwordx4 v[2:5], v0, s[2:3]
	v_mov_b64_e32 v[0:1], s[4:5]
	s_waitcnt vmcnt(0)
	v_cmp_o_f64_e32 vcc, v[2:3], v[2:3]
	s_and_saveexec_b64 s[8:9], vcc
	s_cbranch_execz .LBB495_26
; %bb.23:
	s_mov_b32 s10, 0
	s_mov_b32 s11, 0x7ff00000
	v_cmp_neq_f64_e32 vcc, s[10:11], v[2:3]
	v_mov_b64_e32 v[0:1], s[6:7]
	s_and_saveexec_b64 s[10:11], vcc
; %bb.24:
	s_mov_b32 s12, 0
	s_mov_b32 s13, 0xfff00000
	v_mov_b32_e32 v0, s45
	v_cmp_eq_f64_e32 vcc, s[12:13], v[2:3]
	s_nop 1
	v_cndmask_b32_e32 v1, v3, v0, vcc
	v_mov_b32_e32 v0, s44
	v_cndmask_b32_e32 v0, v2, v0, vcc
; %bb.25:
	s_or_b64 exec, exec, s[10:11]
.LBB495_26:
	s_or_b64 exec, exec, s[8:9]
	v_cmp_o_f64_e32 vcc, v[4:5], v[4:5]
	v_mov_b64_e32 v[2:3], s[4:5]
	s_and_saveexec_b64 s[8:9], vcc
	s_cbranch_execz .LBB495_30
; %bb.27:
	s_mov_b32 s10, 0
	s_mov_b32 s11, 0x7ff00000
	v_cmp_neq_f64_e32 vcc, s[10:11], v[4:5]
	v_mov_b64_e32 v[2:3], s[6:7]
	s_and_saveexec_b64 s[10:11], vcc
; %bb.28:
	s_mov_b32 s12, 0
	s_mov_b32 s13, 0xfff00000
	v_mov_b32_e32 v2, s45
	v_cmp_eq_f64_e32 vcc, s[12:13], v[4:5]
	s_nop 1
	v_cndmask_b32_e32 v3, v5, v2, vcc
	v_mov_b32_e32 v2, s44
	v_cndmask_b32_e32 v2, v4, v2, vcc
; %bb.29:
	s_or_b64 exec, exec, s[10:11]
.LBB495_30:
	s_or_b64 exec, exec, s[8:9]
	v_add_u32_e32 v8, 0x80, v8
	global_store_dwordx4 v6, v[0:3], s[0:1]
	s_or_b64 exec, exec, s[54:55]
	v_cmp_gt_i32_e32 vcc, s61, v8
	s_and_saveexec_b64 s[54:55], vcc
	s_cbranch_execz .LBB495_6
.LBB495_31:
	s_andn2_b64 vcc, exec, s[40:41]
	s_cbranch_vccnz .LBB495_37
; %bb.32:
	s_andn2_b64 vcc, exec, s[52:53]
	s_cbranch_vccnz .LBB495_38
; %bb.33:
	s_add_i32 s64, s62, 1
	s_cmp_eq_u32 s60, 2
	s_cbranch_scc1 .LBB495_39
; %bb.34:
	s_and_b32 s63, s64, 28
	s_mov_b32 s65, 0
	v_mov_b32_e32 v6, 0
	v_mov_b32_e32 v0, 0
	s_mov_b64 s[56:57], s[34:35]
	s_mov_b64 s[58:59], s[50:51]
	v_mov_b32_e32 v2, v8
.LBB495_35:                             ; =>This Inner Loop Header: Depth=1
	s_load_dwordx8 s[16:23], s[56:57], 0x4
	s_load_dwordx4 s[36:39], s[56:57], 0x24
	s_load_dwordx8 s[8:15], s[58:59], 0x0
	s_add_u32 s56, s56, 48
	s_addc_u32 s57, s57, 0
	s_waitcnt lgkmcnt(0)
	v_mul_hi_u32 v1, s17, v2
	v_add_u32_e32 v1, v2, v1
	v_lshrrev_b32_e32 v1, s18, v1
	v_mul_lo_u32 v3, v1, s16
	v_mul_hi_u32 v4, s20, v1
	v_sub_u32_e32 v2, v2, v3
	v_add_u32_e32 v3, v1, v4
	v_lshrrev_b32_e32 v3, s21, v3
	v_mul_lo_u32 v5, v3, s19
	v_mul_hi_u32 v7, s23, v3
	v_sub_u32_e32 v1, v1, v5
	v_add_u32_e32 v5, v3, v7
	v_mul_lo_u32 v4, v2, s9
	v_mul_lo_u32 v2, v2, s8
	;; [unrolled: 1-line block ×4, first 2 shown]
	v_lshrrev_b32_e32 v5, s36, v5
	v_add3_u32 v1, v2, v6, v1
	v_add3_u32 v0, v4, v0, v7
	v_mul_lo_u32 v2, v5, s22
	v_mul_hi_u32 v4, s38, v5
	v_sub_u32_e32 v2, v3, v2
	v_add_u32_e32 v3, v5, v4
	v_mul_lo_u32 v4, v2, s12
	v_mul_lo_u32 v6, v2, s13
	v_lshrrev_b32_e32 v2, s39, v3
	s_add_i32 s65, s65, 4
	v_mul_lo_u32 v3, v2, s37
	s_add_u32 s58, s58, 32
	v_sub_u32_e32 v3, v5, v3
	s_addc_u32 s59, s59, 0
	v_mul_lo_u32 v5, v3, s14
	v_mul_lo_u32 v3, v3, s15
	s_cmp_eq_u32 s63, s65
	v_add3_u32 v0, v6, v0, v3
	v_add3_u32 v6, v4, v1, v5
	s_cbranch_scc0 .LBB495_35
; %bb.36:
	v_mov_b32_e32 v1, v0
	s_branch .LBB495_40
.LBB495_37:
                                        ; implicit-def: $vgpr0
                                        ; implicit-def: $vgpr6
	s_branch .LBB495_44
.LBB495_38:
	v_mov_b32_e32 v0, 0
	v_mov_b32_e32 v6, 0
	s_branch .LBB495_43
.LBB495_39:
	v_mov_b32_e32 v6, 0
	s_mov_b32 s63, 0
	v_mov_b32_e32 v1, v6
                                        ; implicit-def: $vgpr0
	v_mov_b32_e32 v2, v8
.LBB495_40:
	s_and_b32 s12, s64, 3
	s_cmp_eq_u32 s12, 0
	s_cbranch_scc1 .LBB495_43
; %bb.41:
	s_lshl_b32 s8, s63, 3
	s_add_u32 s8, s34, s8
	s_addc_u32 s9, s35, 0
	s_add_u32 s8, s8, 0xc4
	s_addc_u32 s9, s9, 0
	s_mul_i32 s10, s63, 12
	s_add_u32 s10, s34, s10
	s_addc_u32 s11, s35, 0
.LBB495_42:                             ; =>This Inner Loop Header: Depth=1
	s_load_dwordx2 s[14:15], s[10:11], 0x4
	s_load_dword s13, s[10:11], 0xc
	s_load_dwordx2 s[16:17], s[8:9], 0x0
	v_mov_b32_e32 v0, v1
	s_add_u32 s10, s10, 12
	s_waitcnt lgkmcnt(0)
	v_mul_hi_u32 v1, s15, v2
	v_add_u32_e32 v1, v2, v1
	v_lshrrev_b32_e32 v1, s13, v1
	s_addc_u32 s11, s11, 0
	v_mul_lo_u32 v3, v1, s14
	s_add_u32 s8, s8, 8
	v_sub_u32_e32 v3, v2, v3
	s_addc_u32 s9, s9, 0
	s_add_i32 s12, s12, -1
	v_mov_b32_e32 v2, v1
	v_mad_u64_u32 v[0:1], s[14:15], v3, s17, v[0:1]
	s_cmp_lg_u32 s12, 0
	v_mad_u64_u32 v[6:7], s[14:15], v3, s16, v[6:7]
	v_mov_b32_e32 v1, v0
	s_cbranch_scc1 .LBB495_42
.LBB495_43:
	s_cbranch_execnz .LBB495_46
.LBB495_44:
	s_waitcnt lgkmcnt(0)
	v_mul_hi_u32 v0, s29, v8
	v_add_u32_e32 v0, v8, v0
	v_lshrrev_b32_e32 v1, s30, v0
	v_mul_lo_u32 v0, v1, s28
	v_sub_u32_e32 v2, v8, v0
	v_mul_lo_u32 v0, v2, s25
	s_andn2_b64 vcc, exec, s[48:49]
	v_mul_lo_u32 v6, v2, s24
	s_cbranch_vccnz .LBB495_46
; %bb.45:
	v_mul_hi_u32 v2, s46, v1
	v_add_u32_e32 v2, v1, v2
	v_lshrrev_b32_e32 v2, s47, v2
	v_mul_lo_u32 v2, v2, s31
	v_sub_u32_e32 v1, v1, v2
	v_mad_u64_u32 v[6:7], s[8:9], v1, s26, v[6:7]
	v_mad_u64_u32 v[0:1], s[8:9], v1, s27, v[0:1]
.LBB495_46:
	s_waitcnt lgkmcnt(0)
	global_load_dwordx4 v[2:5], v0, s[2:3]
	v_mov_b64_e32 v[0:1], s[4:5]
	s_waitcnt vmcnt(0)
	v_cmp_o_f64_e32 vcc, v[2:3], v[2:3]
	s_and_saveexec_b64 s[8:9], vcc
	s_cbranch_execz .LBB495_50
; %bb.47:
	s_mov_b32 s10, 0
	s_mov_b32 s11, 0x7ff00000
	v_cmp_neq_f64_e32 vcc, s[10:11], v[2:3]
	v_mov_b64_e32 v[0:1], s[6:7]
	s_and_saveexec_b64 s[10:11], vcc
; %bb.48:
	s_mov_b32 s12, 0
	s_mov_b32 s13, 0xfff00000
	v_mov_b32_e32 v0, s45
	v_cmp_eq_f64_e32 vcc, s[12:13], v[2:3]
	s_nop 1
	v_cndmask_b32_e32 v1, v3, v0, vcc
	v_mov_b32_e32 v0, s44
	v_cndmask_b32_e32 v0, v2, v0, vcc
; %bb.49:
	s_or_b64 exec, exec, s[10:11]
.LBB495_50:
	s_or_b64 exec, exec, s[8:9]
	v_cmp_o_f64_e32 vcc, v[4:5], v[4:5]
	v_mov_b64_e32 v[2:3], s[4:5]
	s_and_saveexec_b64 s[8:9], vcc
	s_cbranch_execz .LBB495_54
; %bb.51:
	s_mov_b32 s10, 0
	s_mov_b32 s11, 0x7ff00000
	v_cmp_neq_f64_e32 vcc, s[10:11], v[4:5]
	v_mov_b64_e32 v[2:3], s[6:7]
	s_and_saveexec_b64 s[10:11], vcc
; %bb.52:
	s_mov_b32 s12, 0
	s_mov_b32 s13, 0xfff00000
	v_mov_b32_e32 v2, s45
	v_cmp_eq_f64_e32 vcc, s[12:13], v[4:5]
	s_nop 1
	v_cndmask_b32_e32 v3, v5, v2, vcc
	v_mov_b32_e32 v2, s44
	v_cndmask_b32_e32 v2, v4, v2, vcc
; %bb.53:
	s_or_b64 exec, exec, s[10:11]
.LBB495_54:
	s_or_b64 exec, exec, s[8:9]
	v_add_u32_e32 v8, 0x80, v8
	global_store_dwordx4 v6, v[0:3], s[0:1]
	s_or_b64 exec, exec, s[54:55]
	v_cmp_gt_i32_e32 vcc, s61, v8
	s_and_saveexec_b64 s[54:55], vcc
	s_cbranch_execz .LBB495_79
.LBB495_55:
	s_andn2_b64 vcc, exec, s[40:41]
	s_cbranch_vccnz .LBB495_61
; %bb.56:
	s_andn2_b64 vcc, exec, s[52:53]
	s_cbranch_vccnz .LBB495_62
; %bb.57:
	s_add_i32 s64, s62, 1
	s_cmp_eq_u32 s60, 2
	s_cbranch_scc1 .LBB495_63
; %bb.58:
	s_and_b32 s63, s64, 28
	s_mov_b32 s65, 0
	v_mov_b32_e32 v6, 0
	v_mov_b32_e32 v0, 0
	s_mov_b64 s[56:57], s[34:35]
	s_mov_b64 s[58:59], s[50:51]
	v_mov_b32_e32 v2, v8
.LBB495_59:                             ; =>This Inner Loop Header: Depth=1
	s_load_dwordx8 s[16:23], s[56:57], 0x4
	s_load_dwordx4 s[36:39], s[56:57], 0x24
	s_load_dwordx8 s[8:15], s[58:59], 0x0
	s_add_u32 s56, s56, 48
	s_addc_u32 s57, s57, 0
	s_waitcnt lgkmcnt(0)
	v_mul_hi_u32 v1, s17, v2
	v_add_u32_e32 v1, v2, v1
	v_lshrrev_b32_e32 v1, s18, v1
	v_mul_lo_u32 v3, v1, s16
	v_mul_hi_u32 v4, s20, v1
	v_sub_u32_e32 v2, v2, v3
	v_add_u32_e32 v3, v1, v4
	v_lshrrev_b32_e32 v3, s21, v3
	v_mul_lo_u32 v5, v3, s19
	v_mul_hi_u32 v7, s23, v3
	v_sub_u32_e32 v1, v1, v5
	v_add_u32_e32 v5, v3, v7
	v_mul_lo_u32 v4, v2, s9
	v_mul_lo_u32 v2, v2, s8
	;; [unrolled: 1-line block ×4, first 2 shown]
	v_lshrrev_b32_e32 v5, s36, v5
	v_add3_u32 v1, v2, v6, v1
	v_add3_u32 v0, v4, v0, v7
	v_mul_lo_u32 v2, v5, s22
	v_mul_hi_u32 v4, s38, v5
	v_sub_u32_e32 v2, v3, v2
	v_add_u32_e32 v3, v5, v4
	v_mul_lo_u32 v4, v2, s12
	v_mul_lo_u32 v6, v2, s13
	v_lshrrev_b32_e32 v2, s39, v3
	s_add_i32 s65, s65, 4
	v_mul_lo_u32 v3, v2, s37
	s_add_u32 s58, s58, 32
	v_sub_u32_e32 v3, v5, v3
	s_addc_u32 s59, s59, 0
	v_mul_lo_u32 v5, v3, s14
	v_mul_lo_u32 v3, v3, s15
	s_cmp_eq_u32 s63, s65
	v_add3_u32 v0, v6, v0, v3
	v_add3_u32 v6, v4, v1, v5
	s_cbranch_scc0 .LBB495_59
; %bb.60:
	v_mov_b32_e32 v1, v0
	s_branch .LBB495_64
.LBB495_61:
                                        ; implicit-def: $vgpr0
                                        ; implicit-def: $vgpr6
	s_branch .LBB495_68
.LBB495_62:
	v_mov_b32_e32 v0, 0
	v_mov_b32_e32 v6, 0
	s_branch .LBB495_67
.LBB495_63:
	v_mov_b32_e32 v6, 0
	s_mov_b32 s63, 0
	v_mov_b32_e32 v1, v6
                                        ; implicit-def: $vgpr0
	v_mov_b32_e32 v2, v8
.LBB495_64:
	s_and_b32 s12, s64, 3
	s_cmp_eq_u32 s12, 0
	s_cbranch_scc1 .LBB495_67
; %bb.65:
	s_lshl_b32 s8, s63, 3
	s_add_u32 s8, s34, s8
	s_addc_u32 s9, s35, 0
	s_add_u32 s8, s8, 0xc4
	s_addc_u32 s9, s9, 0
	s_mul_i32 s10, s63, 12
	s_add_u32 s10, s34, s10
	s_addc_u32 s11, s35, 0
.LBB495_66:                             ; =>This Inner Loop Header: Depth=1
	s_load_dwordx2 s[14:15], s[10:11], 0x4
	s_load_dword s13, s[10:11], 0xc
	s_load_dwordx2 s[16:17], s[8:9], 0x0
	v_mov_b32_e32 v0, v1
	s_add_u32 s10, s10, 12
	s_waitcnt lgkmcnt(0)
	v_mul_hi_u32 v1, s15, v2
	v_add_u32_e32 v1, v2, v1
	v_lshrrev_b32_e32 v1, s13, v1
	s_addc_u32 s11, s11, 0
	v_mul_lo_u32 v3, v1, s14
	s_add_u32 s8, s8, 8
	v_sub_u32_e32 v3, v2, v3
	s_addc_u32 s9, s9, 0
	s_add_i32 s12, s12, -1
	v_mov_b32_e32 v2, v1
	v_mad_u64_u32 v[0:1], s[14:15], v3, s17, v[0:1]
	s_cmp_lg_u32 s12, 0
	v_mad_u64_u32 v[6:7], s[14:15], v3, s16, v[6:7]
	v_mov_b32_e32 v1, v0
	s_cbranch_scc1 .LBB495_66
.LBB495_67:
	s_cbranch_execnz .LBB495_70
.LBB495_68:
	s_waitcnt lgkmcnt(0)
	v_mul_hi_u32 v0, s29, v8
	v_add_u32_e32 v0, v8, v0
	v_lshrrev_b32_e32 v1, s30, v0
	v_mul_lo_u32 v0, v1, s28
	v_sub_u32_e32 v2, v8, v0
	v_mul_lo_u32 v0, v2, s25
	s_andn2_b64 vcc, exec, s[48:49]
	v_mul_lo_u32 v6, v2, s24
	s_cbranch_vccnz .LBB495_70
; %bb.69:
	v_mul_hi_u32 v2, s46, v1
	v_add_u32_e32 v2, v1, v2
	v_lshrrev_b32_e32 v2, s47, v2
	v_mul_lo_u32 v2, v2, s31
	v_sub_u32_e32 v1, v1, v2
	v_mad_u64_u32 v[6:7], s[8:9], v1, s26, v[6:7]
	v_mad_u64_u32 v[0:1], s[8:9], v1, s27, v[0:1]
.LBB495_70:
	s_waitcnt lgkmcnt(0)
	global_load_dwordx4 v[2:5], v0, s[2:3]
	v_mov_b64_e32 v[0:1], s[4:5]
	s_waitcnt vmcnt(0)
	v_cmp_o_f64_e32 vcc, v[2:3], v[2:3]
	s_and_saveexec_b64 s[8:9], vcc
	s_cbranch_execz .LBB495_74
; %bb.71:
	s_mov_b32 s10, 0
	s_mov_b32 s11, 0x7ff00000
	v_cmp_neq_f64_e32 vcc, s[10:11], v[2:3]
	v_mov_b64_e32 v[0:1], s[6:7]
	s_and_saveexec_b64 s[10:11], vcc
; %bb.72:
	s_mov_b32 s12, 0
	s_mov_b32 s13, 0xfff00000
	v_mov_b32_e32 v0, s45
	v_cmp_eq_f64_e32 vcc, s[12:13], v[2:3]
	s_nop 1
	v_cndmask_b32_e32 v1, v3, v0, vcc
	v_mov_b32_e32 v0, s44
	v_cndmask_b32_e32 v0, v2, v0, vcc
; %bb.73:
	s_or_b64 exec, exec, s[10:11]
.LBB495_74:
	s_or_b64 exec, exec, s[8:9]
	v_cmp_o_f64_e32 vcc, v[4:5], v[4:5]
	v_mov_b64_e32 v[2:3], s[4:5]
	s_and_saveexec_b64 s[8:9], vcc
	s_cbranch_execz .LBB495_78
; %bb.75:
	s_mov_b32 s10, 0
	s_mov_b32 s11, 0x7ff00000
	v_cmp_neq_f64_e32 vcc, s[10:11], v[4:5]
	v_mov_b64_e32 v[2:3], s[6:7]
	s_and_saveexec_b64 s[10:11], vcc
; %bb.76:
	s_mov_b32 s12, 0
	s_mov_b32 s13, 0xfff00000
	v_mov_b32_e32 v2, s45
	v_cmp_eq_f64_e32 vcc, s[12:13], v[4:5]
	s_nop 1
	v_cndmask_b32_e32 v3, v5, v2, vcc
	v_mov_b32_e32 v2, s44
	v_cndmask_b32_e32 v2, v4, v2, vcc
; %bb.77:
	s_or_b64 exec, exec, s[10:11]
.LBB495_78:
	s_or_b64 exec, exec, s[8:9]
	v_add_u32_e32 v8, 0x80, v8
	global_store_dwordx4 v6, v[0:3], s[0:1]
.LBB495_79:
	s_or_b64 exec, exec, s[54:55]
	v_cmp_gt_i32_e32 vcc, s61, v8
	s_mov_b64 s[8:9], 0
                                        ; implicit-def: $vgpr12_vgpr13
                                        ; implicit-def: $vgpr14_vgpr15
	s_and_saveexec_b64 s[54:55], vcc
	s_cbranch_execz .LBB495_104
; %bb.80:
	s_andn2_b64 vcc, exec, s[40:41]
	s_cbranch_vccnz .LBB495_86
; %bb.81:
	s_andn2_b64 vcc, exec, s[52:53]
	s_cbranch_vccnz .LBB495_87
; %bb.82:
	s_add_i32 s62, s62, 1
	s_cmp_eq_u32 s60, 2
	s_cbranch_scc1 .LBB495_88
; %bb.83:
	s_and_b32 s56, s62, 28
	s_mov_b32 s57, 0
	v_mov_b32_e32 v4, 0
	v_mov_b32_e32 v0, 0
	s_mov_b64 s[52:53], s[34:35]
	v_mov_b32_e32 v2, v8
.LBB495_84:                             ; =>This Inner Loop Header: Depth=1
	s_load_dwordx8 s[16:23], s[52:53], 0x4
	s_load_dwordx4 s[36:39], s[52:53], 0x24
	s_load_dwordx8 s[8:15], s[50:51], 0x0
	s_add_u32 s52, s52, 48
	s_addc_u32 s53, s53, 0
	s_waitcnt lgkmcnt(0)
	v_mul_hi_u32 v1, s17, v2
	v_add_u32_e32 v1, v2, v1
	v_lshrrev_b32_e32 v1, s18, v1
	v_mul_lo_u32 v3, v1, s16
	v_mul_hi_u32 v5, s20, v1
	v_sub_u32_e32 v2, v2, v3
	v_add_u32_e32 v3, v1, v5
	v_lshrrev_b32_e32 v3, s21, v3
	v_mul_lo_u32 v6, v3, s19
	v_mul_hi_u32 v7, s23, v3
	v_sub_u32_e32 v1, v1, v6
	v_add_u32_e32 v6, v3, v7
	v_mul_lo_u32 v5, v2, s9
	v_mul_lo_u32 v2, v2, s8
	v_mul_lo_u32 v7, v1, s11
	v_mul_lo_u32 v1, v1, s10
	v_lshrrev_b32_e32 v6, s36, v6
	v_add3_u32 v1, v2, v4, v1
	v_mul_lo_u32 v2, v6, s22
	v_mul_hi_u32 v4, s38, v6
	v_sub_u32_e32 v2, v3, v2
	v_add_u32_e32 v3, v6, v4
	v_add3_u32 v0, v5, v0, v7
	v_mul_lo_u32 v4, v2, s12
	v_mul_lo_u32 v5, v2, s13
	v_lshrrev_b32_e32 v2, s39, v3
	s_add_i32 s57, s57, 4
	v_mul_lo_u32 v3, v2, s37
	s_add_u32 s50, s50, 32
	v_sub_u32_e32 v3, v6, v3
	s_addc_u32 s51, s51, 0
	v_mul_lo_u32 v6, v3, s14
	v_mul_lo_u32 v3, v3, s15
	s_cmp_eq_u32 s56, s57
	v_add3_u32 v0, v5, v0, v3
	v_add3_u32 v4, v4, v1, v6
	s_cbranch_scc0 .LBB495_84
; %bb.85:
	v_mov_b32_e32 v1, v0
	s_branch .LBB495_89
.LBB495_86:
                                        ; implicit-def: $vgpr0
                                        ; implicit-def: $vgpr4
	s_branch .LBB495_93
.LBB495_87:
	v_mov_b32_e32 v0, 0
	v_mov_b32_e32 v4, 0
	s_branch .LBB495_92
.LBB495_88:
	v_mov_b32_e32 v4, 0
	s_mov_b32 s56, 0
	v_mov_b32_e32 v1, v4
                                        ; implicit-def: $vgpr0
	v_mov_b32_e32 v2, v8
.LBB495_89:
	s_and_b32 s12, s62, 3
	s_cmp_eq_u32 s12, 0
	s_cbranch_scc1 .LBB495_92
; %bb.90:
	s_lshl_b32 s8, s56, 3
	s_add_u32 s8, s34, s8
	s_addc_u32 s9, s35, 0
	s_add_u32 s8, s8, 0xc4
	s_addc_u32 s9, s9, 0
	s_mul_i32 s10, s56, 12
	s_add_u32 s10, s34, s10
	s_addc_u32 s11, s35, 0
.LBB495_91:                             ; =>This Inner Loop Header: Depth=1
	s_load_dwordx2 s[14:15], s[10:11], 0x4
	s_load_dword s13, s[10:11], 0xc
	s_load_dwordx2 s[16:17], s[8:9], 0x0
	v_mov_b32_e32 v0, v1
	s_add_u32 s10, s10, 12
	s_waitcnt lgkmcnt(0)
	v_mul_hi_u32 v1, s15, v2
	v_add_u32_e32 v1, v2, v1
	v_lshrrev_b32_e32 v1, s13, v1
	s_addc_u32 s11, s11, 0
	v_mul_lo_u32 v3, v1, s14
	s_add_u32 s8, s8, 8
	v_sub_u32_e32 v3, v2, v3
	s_addc_u32 s9, s9, 0
	s_add_i32 s12, s12, -1
	v_mov_b32_e32 v2, v1
	v_mad_u64_u32 v[0:1], s[14:15], v3, s17, v[0:1]
	s_cmp_lg_u32 s12, 0
	v_mad_u64_u32 v[4:5], s[14:15], v3, s16, v[4:5]
	v_mov_b32_e32 v1, v0
	s_cbranch_scc1 .LBB495_91
.LBB495_92:
	s_cbranch_execnz .LBB495_95
.LBB495_93:
	s_waitcnt lgkmcnt(0)
	v_mul_hi_u32 v0, s29, v8
	v_add_u32_e32 v0, v8, v0
	v_lshrrev_b32_e32 v1, s30, v0
	v_mul_lo_u32 v0, v1, s28
	v_sub_u32_e32 v2, v8, v0
	v_mul_lo_u32 v0, v2, s25
	s_andn2_b64 vcc, exec, s[48:49]
	v_mul_lo_u32 v4, v2, s24
	s_cbranch_vccnz .LBB495_95
; %bb.94:
	v_mul_hi_u32 v2, s46, v1
	v_add_u32_e32 v2, v1, v2
	v_lshrrev_b32_e32 v2, s47, v2
	v_mul_lo_u32 v2, v2, s31
	v_sub_u32_e32 v1, v1, v2
	v_mad_u64_u32 v[4:5], s[8:9], v1, s26, v[4:5]
	v_mad_u64_u32 v[0:1], s[8:9], v1, s27, v[0:1]
.LBB495_95:
	s_waitcnt lgkmcnt(0)
	global_load_dwordx4 v[0:3], v0, s[2:3]
	v_mov_b64_e32 v[6:7], s[4:5]
	s_waitcnt vmcnt(0)
	v_cmp_o_f64_e32 vcc, v[0:1], v[0:1]
	s_and_saveexec_b64 s[2:3], vcc
	s_cbranch_execz .LBB495_99
; %bb.96:
	s_mov_b32 s8, 0
	s_mov_b32 s9, 0x7ff00000
	v_cmp_neq_f64_e32 vcc, s[8:9], v[0:1]
	v_mov_b64_e32 v[6:7], s[6:7]
	s_and_saveexec_b64 s[8:9], vcc
; %bb.97:
	s_mov_b32 s10, 0
	s_mov_b32 s11, 0xfff00000
	v_mov_b32_e32 v5, s45
	v_cmp_eq_f64_e32 vcc, s[10:11], v[0:1]
	s_nop 1
	v_cndmask_b32_e32 v7, v1, v5, vcc
	v_mov_b32_e32 v1, s44
	v_cndmask_b32_e32 v6, v0, v1, vcc
; %bb.98:
	s_or_b64 exec, exec, s[8:9]
.LBB495_99:
	s_or_b64 exec, exec, s[2:3]
	v_cmp_o_f64_e32 vcc, v[2:3], v[2:3]
	v_mov_b64_e32 v[12:13], s[4:5]
	s_and_saveexec_b64 s[2:3], vcc
	s_cbranch_execz .LBB495_103
; %bb.100:
	s_mov_b32 s4, 0
	s_mov_b32 s5, 0x7ff00000
	v_cmp_neq_f64_e32 vcc, s[4:5], v[2:3]
	v_mov_b64_e32 v[12:13], s[6:7]
	s_and_saveexec_b64 s[4:5], vcc
; %bb.101:
	s_mov_b32 s6, 0
	s_mov_b32 s7, 0xfff00000
	v_mov_b32_e32 v0, s45
	v_cmp_eq_f64_e32 vcc, s[6:7], v[2:3]
	s_nop 1
	v_cndmask_b32_e32 v13, v3, v0, vcc
	v_mov_b32_e32 v0, s44
	v_cndmask_b32_e32 v12, v2, v0, vcc
; %bb.102:
	s_or_b64 exec, exec, s[4:5]
.LBB495_103:
	s_or_b64 exec, exec, s[2:3]
	v_mov_b32_e32 v5, 0
	s_mov_b64 s[8:9], exec
	v_lshl_add_u64 v[14:15], s[0:1], 0, v[4:5]
	global_store_dwordx2 v4, v[6:7], s[0:1]
.LBB495_104:
	s_or_b64 exec, exec, s[54:55]
	s_waitcnt lgkmcnt(0)
	s_and_b64 s[24:25], s[8:9], exec
                                        ; implicit-def: $vgpr2
                                        ; implicit-def: $vgpr8
	s_andn2_saveexec_b64 s[26:27], s[42:43]
	s_cbranch_execz .LBB495_2
.LBB495_105:
	v_cndmask_b32_e64 v0, 0, 1, s[40:41]
	v_cmp_ne_u32_e64 s[0:1], 1, v0
	s_andn2_b64 vcc, exec, s[40:41]
	s_cbranch_vccnz .LBB495_111
; %bb.106:
	s_cmp_lg_u32 s33, 0
	s_mov_b32 s30, 0
	s_cbranch_scc0 .LBB495_112
; %bb.107:
	s_min_u32 s31, s60, 15
	s_add_i32 s31, s31, 1
	s_cmp_eq_u32 s60, 2
	s_cbranch_scc1 .LBB495_113
; %bb.108:
	s_and_b32 s30, s31, 28
	s_add_u32 s2, s34, 0xc4
	s_addc_u32 s3, s35, 0
	s_mov_b32 s36, 0
	v_mov_b32_e32 v16, 0
	v_mov_b32_e32 v0, 0
	s_mov_b64 s[28:29], s[34:35]
	v_mov_b32_e32 v3, v8
.LBB495_109:                            ; =>This Inner Loop Header: Depth=1
	s_load_dwordx8 s[12:19], s[28:29], 0x4
	s_load_dwordx4 s[20:23], s[28:29], 0x24
	s_load_dwordx8 s[4:11], s[2:3], 0x0
	s_add_u32 s28, s28, 48
	s_addc_u32 s29, s29, 0
	s_waitcnt lgkmcnt(0)
	v_mul_hi_u32 v1, s13, v3
	v_add_u32_e32 v1, v3, v1
	v_lshrrev_b32_e32 v1, s14, v1
	v_mul_lo_u32 v4, v1, s12
	v_mul_hi_u32 v5, s16, v1
	v_sub_u32_e32 v3, v3, v4
	v_add_u32_e32 v4, v1, v5
	v_lshrrev_b32_e32 v4, s17, v4
	v_mul_lo_u32 v6, v4, s15
	v_mul_hi_u32 v7, s19, v4
	v_sub_u32_e32 v1, v1, v6
	v_add_u32_e32 v6, v4, v7
	v_mul_lo_u32 v5, v3, s5
	v_mul_lo_u32 v3, v3, s4
	;; [unrolled: 1-line block ×4, first 2 shown]
	v_lshrrev_b32_e32 v6, s20, v6
	v_add3_u32 v1, v3, v16, v1
	v_add3_u32 v0, v5, v0, v7
	v_mul_lo_u32 v3, v6, s18
	v_mul_hi_u32 v5, s22, v6
	v_sub_u32_e32 v3, v4, v3
	v_add_u32_e32 v4, v6, v5
	v_mul_lo_u32 v5, v3, s8
	v_mul_lo_u32 v7, v3, s9
	v_lshrrev_b32_e32 v3, s23, v4
	s_add_i32 s36, s36, 4
	v_mul_lo_u32 v4, v3, s21
	s_add_u32 s2, s2, 32
	v_sub_u32_e32 v4, v6, v4
	s_addc_u32 s3, s3, 0
	v_mul_lo_u32 v6, v4, s10
	v_mul_lo_u32 v4, v4, s11
	s_cmp_lg_u32 s30, s36
	v_add3_u32 v0, v7, v0, v4
	v_add3_u32 v16, v5, v1, v6
	s_cbranch_scc1 .LBB495_109
; %bb.110:
	v_mov_b32_e32 v1, v0
	s_and_b32 s6, s31, 3
	s_cmp_eq_u32 s6, 0
	s_cbranch_scc0 .LBB495_114
	s_branch .LBB495_116
.LBB495_111:
                                        ; implicit-def: $vgpr0
                                        ; implicit-def: $vgpr16
	s_branch .LBB495_117
.LBB495_112:
	v_mov_b32_e32 v0, 0
	v_mov_b32_e32 v16, 0
	s_branch .LBB495_116
.LBB495_113:
	v_mov_b32_e32 v16, 0
                                        ; implicit-def: $vgpr0
	v_mov_b32_e32 v1, v16
	v_mov_b32_e32 v3, v8
	s_and_b32 s6, s31, 3
	s_cmp_eq_u32 s6, 0
	s_cbranch_scc1 .LBB495_116
.LBB495_114:
	s_lshl_b32 s2, s30, 3
	s_add_u32 s2, s34, s2
	s_addc_u32 s3, s35, 0
	s_add_u32 s2, s2, 0xc4
	s_addc_u32 s3, s3, 0
	s_mul_i32 s4, s30, 12
	s_add_u32 s4, s34, s4
	s_addc_u32 s5, s35, 0
.LBB495_115:                            ; =>This Inner Loop Header: Depth=1
	s_load_dwordx2 s[8:9], s[4:5], 0x4
	s_load_dword s7, s[4:5], 0xc
	s_load_dwordx2 s[10:11], s[2:3], 0x0
	v_mov_b32_e32 v0, v1
	s_add_u32 s4, s4, 12
	s_waitcnt lgkmcnt(0)
	v_mul_hi_u32 v1, s9, v3
	v_add_u32_e32 v1, v3, v1
	v_lshrrev_b32_e32 v1, s7, v1
	s_addc_u32 s5, s5, 0
	v_mul_lo_u32 v4, v1, s8
	s_add_u32 s2, s2, 8
	v_sub_u32_e32 v4, v3, v4
	s_addc_u32 s3, s3, 0
	s_add_i32 s6, s6, -1
	v_mov_b32_e32 v3, v1
	v_mad_u64_u32 v[0:1], s[8:9], v4, s11, v[0:1]
	s_cmp_lg_u32 s6, 0
	v_mad_u64_u32 v[16:17], s[8:9], v4, s10, v[16:17]
	v_mov_b32_e32 v1, v0
	s_cbranch_scc1 .LBB495_115
.LBB495_116:
	s_cbranch_execnz .LBB495_119
.LBB495_117:
	s_load_dwordx4 s[4:7], s[34:35], 0x4
	s_load_dwordx2 s[2:3], s[34:35], 0xc4
	s_cmp_lt_u32 s33, 2
	s_waitcnt lgkmcnt(0)
	v_mul_hi_u32 v0, s5, v8
	v_add_u32_e32 v0, v8, v0
	v_lshrrev_b32_e32 v1, s6, v0
	v_mul_lo_u32 v0, v1, s4
	v_sub_u32_e32 v3, v8, v0
	v_mul_lo_u32 v0, v3, s3
	v_mul_lo_u32 v16, v3, s2
	s_cbranch_scc1 .LBB495_119
; %bb.118:
	s_load_dwordx4 s[4:7], s[34:35], 0x10
	s_load_dwordx2 s[2:3], s[34:35], 0xcc
	s_waitcnt lgkmcnt(0)
	v_mul_hi_u32 v3, s5, v1
	v_add_u32_e32 v3, v1, v3
	v_lshrrev_b32_e32 v3, s6, v3
	v_mul_lo_u32 v3, v3, s4
	v_sub_u32_e32 v1, v1, v3
	v_mad_u64_u32 v[16:17], s[4:5], v1, s2, v[16:17]
	v_mad_u64_u32 v[0:1], s[2:3], v1, s3, v[0:1]
.LBB495_119:
	s_and_b64 vcc, exec, s[0:1]
	v_add_u32_e32 v3, 0x80, v8
	s_cbranch_vccnz .LBB495_125
; %bb.120:
	s_cmp_lg_u32 s33, 0
	s_mov_b32 s30, 0
	s_cbranch_scc0 .LBB495_126
; %bb.121:
	s_min_u32 s31, s60, 15
	s_add_i32 s31, s31, 1
	s_cmp_eq_u32 s60, 2
	s_cbranch_scc1 .LBB495_127
; %bb.122:
	s_and_b32 s30, s31, 28
	s_add_u32 s2, s34, 0xc4
	s_addc_u32 s3, s35, 0
	s_mov_b32 s36, 0
	v_mov_b32_e32 v18, 0
	v_mov_b32_e32 v6, 0
	s_mov_b64 s[28:29], s[34:35]
	v_mov_b32_e32 v4, v3
.LBB495_123:                            ; =>This Inner Loop Header: Depth=1
	s_load_dwordx8 s[12:19], s[28:29], 0x4
	s_load_dwordx4 s[20:23], s[28:29], 0x24
	s_load_dwordx8 s[4:11], s[2:3], 0x0
	s_add_u32 s28, s28, 48
	s_addc_u32 s29, s29, 0
	s_waitcnt lgkmcnt(0)
	v_mul_hi_u32 v1, s13, v4
	v_add_u32_e32 v1, v4, v1
	v_lshrrev_b32_e32 v1, s14, v1
	v_mul_lo_u32 v5, v1, s12
	v_mul_hi_u32 v7, s16, v1
	v_sub_u32_e32 v4, v4, v5
	v_add_u32_e32 v5, v1, v7
	v_lshrrev_b32_e32 v5, s17, v5
	v_mul_lo_u32 v9, v5, s15
	v_mul_hi_u32 v10, s19, v5
	v_sub_u32_e32 v1, v1, v9
	v_add_u32_e32 v9, v5, v10
	v_mul_lo_u32 v7, v4, s5
	v_mul_lo_u32 v4, v4, s4
	;; [unrolled: 1-line block ×4, first 2 shown]
	v_lshrrev_b32_e32 v9, s20, v9
	v_add3_u32 v1, v4, v18, v1
	v_add3_u32 v6, v7, v6, v10
	v_mul_lo_u32 v4, v9, s18
	v_mul_hi_u32 v7, s22, v9
	v_sub_u32_e32 v4, v5, v4
	v_add_u32_e32 v5, v9, v7
	v_mul_lo_u32 v7, v4, s8
	v_mul_lo_u32 v10, v4, s9
	v_lshrrev_b32_e32 v4, s23, v5
	s_add_i32 s36, s36, 4
	v_mul_lo_u32 v5, v4, s21
	s_add_u32 s2, s2, 32
	v_sub_u32_e32 v5, v9, v5
	s_addc_u32 s3, s3, 0
	v_mul_lo_u32 v9, v5, s10
	v_mul_lo_u32 v5, v5, s11
	s_cmp_lg_u32 s30, s36
	v_add3_u32 v6, v10, v6, v5
	v_add3_u32 v18, v7, v1, v9
	s_cbranch_scc1 .LBB495_123
; %bb.124:
	v_mov_b32_e32 v1, v6
	s_and_b32 s6, s31, 3
	s_cmp_eq_u32 s6, 0
	s_cbranch_scc0 .LBB495_128
	s_branch .LBB495_130
.LBB495_125:
                                        ; implicit-def: $vgpr6
                                        ; implicit-def: $vgpr18
	s_branch .LBB495_131
.LBB495_126:
	v_mov_b32_e32 v6, 0
	v_mov_b32_e32 v18, 0
	s_branch .LBB495_130
.LBB495_127:
	v_mov_b32_e32 v18, 0
                                        ; implicit-def: $vgpr6
	v_mov_b32_e32 v1, v18
	v_mov_b32_e32 v4, v3
	s_and_b32 s6, s31, 3
	s_cmp_eq_u32 s6, 0
	s_cbranch_scc1 .LBB495_130
.LBB495_128:
	s_lshl_b32 s2, s30, 3
	s_add_u32 s2, s34, s2
	s_addc_u32 s3, s35, 0
	s_add_u32 s2, s2, 0xc4
	s_addc_u32 s3, s3, 0
	s_mul_i32 s4, s30, 12
	s_add_u32 s4, s34, s4
	s_addc_u32 s5, s35, 0
.LBB495_129:                            ; =>This Inner Loop Header: Depth=1
	s_load_dwordx2 s[8:9], s[4:5], 0x4
	s_load_dword s7, s[4:5], 0xc
	s_load_dwordx2 s[10:11], s[2:3], 0x0
	v_mov_b32_e32 v6, v1
	s_add_u32 s4, s4, 12
	s_waitcnt lgkmcnt(0)
	v_mul_hi_u32 v1, s9, v4
	v_add_u32_e32 v1, v4, v1
	v_lshrrev_b32_e32 v1, s7, v1
	s_addc_u32 s5, s5, 0
	v_mul_lo_u32 v5, v1, s8
	s_add_u32 s2, s2, 8
	v_sub_u32_e32 v5, v4, v5
	s_addc_u32 s3, s3, 0
	s_add_i32 s6, s6, -1
	v_mad_u64_u32 v[6:7], s[8:9], v5, s11, v[6:7]
	s_cmp_lg_u32 s6, 0
	v_mov_b32_e32 v4, v1
	v_mad_u64_u32 v[18:19], s[8:9], v5, s10, v[18:19]
	v_mov_b32_e32 v1, v6
	s_cbranch_scc1 .LBB495_129
.LBB495_130:
	s_cbranch_execnz .LBB495_133
.LBB495_131:
	s_load_dwordx4 s[4:7], s[34:35], 0x4
	s_load_dwordx2 s[2:3], s[34:35], 0xc4
	s_cmp_lt_u32 s33, 2
	s_waitcnt lgkmcnt(0)
	v_mul_hi_u32 v1, s5, v3
	v_add_u32_e32 v1, v3, v1
	v_lshrrev_b32_e32 v1, s6, v1
	v_mul_lo_u32 v4, v1, s4
	v_sub_u32_e32 v3, v3, v4
	v_mul_lo_u32 v6, v3, s3
	v_mul_lo_u32 v18, v3, s2
	s_cbranch_scc1 .LBB495_133
; %bb.132:
	s_load_dwordx4 s[4:7], s[34:35], 0x10
	s_load_dwordx2 s[2:3], s[34:35], 0xcc
	s_waitcnt lgkmcnt(0)
	v_mul_hi_u32 v3, s5, v1
	v_add_u32_e32 v3, v1, v3
	v_lshrrev_b32_e32 v3, s6, v3
	v_mul_lo_u32 v3, v3, s4
	v_sub_u32_e32 v1, v1, v3
	v_mad_u64_u32 v[18:19], s[4:5], v1, s2, v[18:19]
	v_mad_u64_u32 v[6:7], s[2:3], v1, s3, v[6:7]
.LBB495_133:
	s_and_b64 vcc, exec, s[0:1]
	v_add_u32_e32 v3, 0x100, v8
	s_cbranch_vccnz .LBB495_139
; %bb.134:
	s_cmp_lg_u32 s33, 0
	s_mov_b32 s30, 0
	s_cbranch_scc0 .LBB495_140
; %bb.135:
	s_min_u32 s31, s60, 15
	s_add_i32 s31, s31, 1
	s_cmp_eq_u32 s60, 2
	s_cbranch_scc1 .LBB495_141
; %bb.136:
	s_and_b32 s30, s31, 28
	s_add_u32 s2, s34, 0xc4
	s_addc_u32 s3, s35, 0
	s_mov_b32 s36, 0
	v_mov_b32_e32 v20, 0
	v_mov_b32_e32 v10, 0
	s_mov_b64 s[28:29], s[34:35]
	v_mov_b32_e32 v4, v3
.LBB495_137:                            ; =>This Inner Loop Header: Depth=1
	s_load_dwordx8 s[12:19], s[28:29], 0x4
	s_load_dwordx4 s[20:23], s[28:29], 0x24
	s_load_dwordx8 s[4:11], s[2:3], 0x0
	s_add_u32 s28, s28, 48
	s_addc_u32 s29, s29, 0
	s_waitcnt lgkmcnt(0)
	v_mul_hi_u32 v1, s13, v4
	v_add_u32_e32 v1, v4, v1
	v_lshrrev_b32_e32 v1, s14, v1
	v_mul_lo_u32 v5, v1, s12
	v_mul_hi_u32 v7, s16, v1
	v_sub_u32_e32 v4, v4, v5
	v_add_u32_e32 v5, v1, v7
	v_lshrrev_b32_e32 v5, s17, v5
	v_mul_lo_u32 v8, v5, s15
	v_mul_hi_u32 v9, s19, v5
	v_sub_u32_e32 v1, v1, v8
	v_add_u32_e32 v8, v5, v9
	v_mul_lo_u32 v7, v4, s5
	v_mul_lo_u32 v4, v4, s4
	;; [unrolled: 1-line block ×4, first 2 shown]
	v_lshrrev_b32_e32 v8, s20, v8
	v_add3_u32 v1, v4, v20, v1
	v_add3_u32 v7, v7, v10, v9
	v_mul_lo_u32 v4, v8, s18
	v_mul_hi_u32 v9, s22, v8
	v_sub_u32_e32 v4, v5, v4
	v_add_u32_e32 v5, v8, v9
	v_mul_lo_u32 v9, v4, s8
	v_mul_lo_u32 v10, v4, s9
	v_lshrrev_b32_e32 v4, s23, v5
	s_add_i32 s36, s36, 4
	v_mul_lo_u32 v5, v4, s21
	s_add_u32 s2, s2, 32
	v_sub_u32_e32 v5, v8, v5
	s_addc_u32 s3, s3, 0
	v_mul_lo_u32 v8, v5, s10
	v_mul_lo_u32 v5, v5, s11
	s_cmp_lg_u32 s30, s36
	v_add3_u32 v10, v10, v7, v5
	v_add3_u32 v20, v9, v1, v8
	s_cbranch_scc1 .LBB495_137
; %bb.138:
	v_mov_b32_e32 v1, v10
	s_and_b32 s6, s31, 3
	s_cmp_eq_u32 s6, 0
	s_cbranch_scc0 .LBB495_142
	s_branch .LBB495_144
.LBB495_139:
                                        ; implicit-def: $vgpr10
                                        ; implicit-def: $vgpr20
	s_branch .LBB495_145
.LBB495_140:
	v_mov_b32_e32 v10, 0
	v_mov_b32_e32 v20, 0
	s_branch .LBB495_144
.LBB495_141:
	v_mov_b32_e32 v20, 0
                                        ; implicit-def: $vgpr10
	v_mov_b32_e32 v1, v20
	v_mov_b32_e32 v4, v3
	s_and_b32 s6, s31, 3
	s_cmp_eq_u32 s6, 0
	s_cbranch_scc1 .LBB495_144
.LBB495_142:
	s_lshl_b32 s2, s30, 3
	s_add_u32 s2, s34, s2
	s_addc_u32 s3, s35, 0
	s_add_u32 s2, s2, 0xc4
	s_addc_u32 s3, s3, 0
	s_mul_i32 s4, s30, 12
	s_add_u32 s4, s34, s4
	s_addc_u32 s5, s35, 0
.LBB495_143:                            ; =>This Inner Loop Header: Depth=1
	s_load_dwordx2 s[8:9], s[4:5], 0x4
	s_load_dword s7, s[4:5], 0xc
	s_load_dwordx2 s[10:11], s[2:3], 0x0
	v_mov_b32_e32 v8, v1
	s_add_u32 s4, s4, 12
	s_waitcnt lgkmcnt(0)
	v_mul_hi_u32 v1, s9, v4
	v_add_u32_e32 v1, v4, v1
	v_lshrrev_b32_e32 v1, s7, v1
	s_addc_u32 s5, s5, 0
	v_mul_lo_u32 v5, v1, s8
	s_add_u32 s2, s2, 8
	v_sub_u32_e32 v5, v4, v5
	s_addc_u32 s3, s3, 0
	s_add_i32 s6, s6, -1
	v_mad_u64_u32 v[10:11], s[8:9], v5, s11, v[8:9]
	s_cmp_lg_u32 s6, 0
	v_mov_b32_e32 v4, v1
	v_mad_u64_u32 v[20:21], s[8:9], v5, s10, v[20:21]
	v_mov_b32_e32 v1, v10
	s_cbranch_scc1 .LBB495_143
.LBB495_144:
	s_cbranch_execnz .LBB495_147
.LBB495_145:
	s_load_dwordx4 s[4:7], s[34:35], 0x4
	s_load_dwordx2 s[2:3], s[34:35], 0xc4
	s_cmp_lt_u32 s33, 2
	s_waitcnt lgkmcnt(0)
	v_mul_hi_u32 v1, s5, v3
	v_add_u32_e32 v1, v3, v1
	v_lshrrev_b32_e32 v1, s6, v1
	v_mul_lo_u32 v4, v1, s4
	v_sub_u32_e32 v3, v3, v4
	v_mul_lo_u32 v10, v3, s3
	v_mul_lo_u32 v20, v3, s2
	s_cbranch_scc1 .LBB495_147
; %bb.146:
	s_load_dwordx4 s[4:7], s[34:35], 0x10
	s_load_dwordx2 s[2:3], s[34:35], 0xcc
	s_waitcnt lgkmcnt(0)
	v_mul_hi_u32 v3, s5, v1
	v_add_u32_e32 v3, v1, v3
	v_lshrrev_b32_e32 v3, s6, v3
	v_mul_lo_u32 v3, v3, s4
	v_sub_u32_e32 v1, v1, v3
	v_mad_u64_u32 v[20:21], s[4:5], v1, s2, v[20:21]
	v_mad_u64_u32 v[10:11], s[2:3], v1, s3, v[10:11]
.LBB495_147:
	s_and_b64 vcc, exec, s[0:1]
	s_cbranch_vccnz .LBB495_153
; %bb.148:
	s_cmp_lg_u32 s33, 0
	s_mov_b32 s28, 0
	s_cbranch_scc0 .LBB495_154
; %bb.149:
	s_min_u32 s29, s60, 15
	s_add_i32 s29, s29, 1
	s_cmp_eq_u32 s60, 2
	s_cbranch_scc1 .LBB495_155
; %bb.150:
	s_and_b32 s28, s29, 28
	s_add_u32 s20, s34, 0xc4
	s_addc_u32 s21, s35, 0
	s_mov_b32 s30, 0
	v_mov_b32_e32 v22, 0
	v_mov_b32_e32 v14, 0
	s_mov_b64 s[22:23], s[34:35]
	v_mov_b32_e32 v3, v2
.LBB495_151:                            ; =>This Inner Loop Header: Depth=1
	s_load_dwordx8 s[8:15], s[22:23], 0x4
	s_load_dwordx4 s[16:19], s[22:23], 0x24
	s_load_dwordx8 s[0:7], s[20:21], 0x0
	s_add_u32 s22, s22, 48
	s_addc_u32 s23, s23, 0
	s_waitcnt lgkmcnt(0)
	v_mul_hi_u32 v1, s9, v3
	v_add_u32_e32 v1, v3, v1
	v_lshrrev_b32_e32 v1, s10, v1
	v_mul_lo_u32 v4, v1, s8
	v_mul_hi_u32 v5, s12, v1
	v_sub_u32_e32 v3, v3, v4
	v_add_u32_e32 v4, v1, v5
	v_lshrrev_b32_e32 v4, s13, v4
	v_mul_lo_u32 v7, v4, s11
	v_mul_hi_u32 v8, s15, v4
	v_sub_u32_e32 v1, v1, v7
	v_add_u32_e32 v7, v4, v8
	v_mul_lo_u32 v5, v3, s1
	v_mul_lo_u32 v3, v3, s0
	;; [unrolled: 1-line block ×4, first 2 shown]
	v_lshrrev_b32_e32 v7, s16, v7
	v_add3_u32 v1, v3, v22, v1
	v_add3_u32 v5, v5, v14, v8
	v_mul_lo_u32 v3, v7, s14
	v_mul_hi_u32 v8, s18, v7
	v_sub_u32_e32 v3, v4, v3
	v_add_u32_e32 v4, v7, v8
	v_mul_lo_u32 v8, v3, s4
	v_mul_lo_u32 v9, v3, s5
	v_lshrrev_b32_e32 v3, s19, v4
	s_add_i32 s30, s30, 4
	v_mul_lo_u32 v4, v3, s17
	s_add_u32 s20, s20, 32
	v_sub_u32_e32 v4, v7, v4
	s_addc_u32 s21, s21, 0
	v_mul_lo_u32 v7, v4, s6
	v_mul_lo_u32 v4, v4, s7
	s_cmp_lg_u32 s28, s30
	v_add3_u32 v14, v9, v5, v4
	v_add3_u32 v22, v8, v1, v7
	s_cbranch_scc1 .LBB495_151
; %bb.152:
	v_mov_b32_e32 v1, v14
	s_and_b32 s4, s29, 3
	s_cmp_eq_u32 s4, 0
	s_cbranch_scc0 .LBB495_156
	s_branch .LBB495_158
.LBB495_153:
                                        ; implicit-def: $vgpr14
                                        ; implicit-def: $vgpr22
	s_branch .LBB495_159
.LBB495_154:
	v_mov_b32_e32 v14, 0
	v_mov_b32_e32 v22, 0
	s_branch .LBB495_158
.LBB495_155:
	v_mov_b32_e32 v22, 0
                                        ; implicit-def: $vgpr14
	v_mov_b32_e32 v1, v22
	v_mov_b32_e32 v3, v2
	s_and_b32 s4, s29, 3
	s_cmp_eq_u32 s4, 0
	s_cbranch_scc1 .LBB495_158
.LBB495_156:
	s_lshl_b32 s0, s28, 3
	s_add_u32 s0, s34, s0
	s_addc_u32 s1, s35, 0
	s_add_u32 s0, s0, 0xc4
	s_addc_u32 s1, s1, 0
	s_mul_i32 s2, s28, 12
	s_add_u32 s2, s34, s2
	s_addc_u32 s3, s35, 0
.LBB495_157:                            ; =>This Inner Loop Header: Depth=1
	s_load_dwordx2 s[6:7], s[2:3], 0x4
	s_load_dword s5, s[2:3], 0xc
	s_load_dwordx2 s[8:9], s[0:1], 0x0
	v_mov_b32_e32 v4, v1
	s_add_u32 s2, s2, 12
	s_waitcnt lgkmcnt(0)
	v_mul_hi_u32 v1, s7, v3
	v_add_u32_e32 v1, v3, v1
	v_lshrrev_b32_e32 v1, s5, v1
	s_addc_u32 s3, s3, 0
	v_mul_lo_u32 v5, v1, s6
	s_add_u32 s0, s0, 8
	v_sub_u32_e32 v5, v3, v5
	s_addc_u32 s1, s1, 0
	s_add_i32 s4, s4, -1
	v_mad_u64_u32 v[14:15], s[6:7], v5, s9, v[4:5]
	s_cmp_lg_u32 s4, 0
	v_mov_b32_e32 v3, v1
	v_mad_u64_u32 v[22:23], s[6:7], v5, s8, v[22:23]
	v_mov_b32_e32 v1, v14
	s_cbranch_scc1 .LBB495_157
.LBB495_158:
	s_cbranch_execnz .LBB495_161
.LBB495_159:
	s_load_dwordx4 s[0:3], s[34:35], 0x4
	s_load_dwordx2 s[4:5], s[34:35], 0xc4
	s_cmp_lt_u32 s33, 2
	s_waitcnt lgkmcnt(0)
	v_mul_hi_u32 v1, s1, v2
	v_add_u32_e32 v1, v2, v1
	v_lshrrev_b32_e32 v1, s2, v1
	v_mul_lo_u32 v3, v1, s0
	v_sub_u32_e32 v2, v2, v3
	v_mul_lo_u32 v14, v2, s5
	v_mul_lo_u32 v22, v2, s4
	s_cbranch_scc1 .LBB495_161
; %bb.160:
	s_load_dwordx4 s[0:3], s[34:35], 0x10
	s_load_dwordx2 s[4:5], s[34:35], 0xcc
	s_waitcnt lgkmcnt(0)
	v_mul_hi_u32 v2, s1, v1
	v_add_u32_e32 v2, v1, v2
	v_lshrrev_b32_e32 v2, s2, v2
	v_mul_lo_u32 v2, v2, s0
	v_sub_u32_e32 v1, v1, v2
	v_mad_u64_u32 v[22:23], s[0:1], v1, s4, v[22:23]
	v_mad_u64_u32 v[14:15], s[0:1], v1, s5, v[14:15]
.LBB495_161:
	s_load_dwordx8 s[0:7], s[34:35], 0x148
	s_load_dwordx2 s[8:9], s[34:35], 0x168
	s_waitcnt lgkmcnt(0)
	global_load_dwordx4 v[2:5], v0, s[2:3]
	v_mov_b64_e32 v[0:1], s[4:5]
	s_waitcnt vmcnt(0)
	v_cmp_o_f64_e32 vcc, v[2:3], v[2:3]
	s_and_saveexec_b64 s[10:11], vcc
	s_cbranch_execz .LBB495_165
; %bb.162:
	s_mov_b32 s12, 0
	s_mov_b32 s13, 0x7ff00000
	v_cmp_neq_f64_e32 vcc, s[12:13], v[2:3]
	v_mov_b64_e32 v[0:1], s[6:7]
	s_and_saveexec_b64 s[12:13], vcc
; %bb.163:
	s_mov_b32 s14, 0
	s_mov_b32 s15, 0xfff00000
	v_mov_b32_e32 v0, s9
	v_cmp_eq_f64_e32 vcc, s[14:15], v[2:3]
	s_nop 1
	v_cndmask_b32_e32 v1, v3, v0, vcc
	v_mov_b32_e32 v0, s8
	v_cndmask_b32_e32 v0, v2, v0, vcc
; %bb.164:
	s_or_b64 exec, exec, s[12:13]
.LBB495_165:
	s_or_b64 exec, exec, s[10:11]
	v_cmp_o_f64_e32 vcc, v[4:5], v[4:5]
	v_mov_b64_e32 v[2:3], s[4:5]
	s_and_saveexec_b64 s[10:11], vcc
	s_cbranch_execz .LBB495_169
; %bb.166:
	s_mov_b32 s12, 0
	s_mov_b32 s13, 0x7ff00000
	v_cmp_neq_f64_e32 vcc, s[12:13], v[4:5]
	v_mov_b64_e32 v[2:3], s[6:7]
	s_and_saveexec_b64 s[12:13], vcc
; %bb.167:
	s_mov_b32 s14, 0
	s_mov_b32 s15, 0xfff00000
	v_mov_b32_e32 v2, s9
	v_cmp_eq_f64_e32 vcc, s[14:15], v[4:5]
	s_nop 1
	v_cndmask_b32_e32 v3, v5, v2, vcc
	v_mov_b32_e32 v2, s8
	v_cndmask_b32_e32 v2, v4, v2, vcc
; %bb.168:
	s_or_b64 exec, exec, s[12:13]
.LBB495_169:
	s_or_b64 exec, exec, s[10:11]
	global_load_dwordx4 v[6:9], v6, s[2:3]
	v_mov_b64_e32 v[4:5], s[4:5]
	s_waitcnt vmcnt(0)
	v_cmp_o_f64_e32 vcc, v[6:7], v[6:7]
	s_and_saveexec_b64 s[10:11], vcc
	s_cbranch_execz .LBB495_173
; %bb.170:
	s_mov_b32 s12, 0
	s_mov_b32 s13, 0x7ff00000
	v_cmp_neq_f64_e32 vcc, s[12:13], v[6:7]
	v_mov_b64_e32 v[4:5], s[6:7]
	s_and_saveexec_b64 s[12:13], vcc
; %bb.171:
	s_mov_b32 s14, 0
	s_mov_b32 s15, 0xfff00000
	v_mov_b32_e32 v4, s9
	v_cmp_eq_f64_e32 vcc, s[14:15], v[6:7]
	s_nop 1
	v_cndmask_b32_e32 v5, v7, v4, vcc
	v_mov_b32_e32 v4, s8
	v_cndmask_b32_e32 v4, v6, v4, vcc
; %bb.172:
	s_or_b64 exec, exec, s[12:13]
.LBB495_173:
	s_or_b64 exec, exec, s[10:11]
	v_cmp_o_f64_e32 vcc, v[8:9], v[8:9]
	v_mov_b64_e32 v[6:7], s[4:5]
	s_and_saveexec_b64 s[10:11], vcc
	s_cbranch_execz .LBB495_177
; %bb.174:
	s_mov_b32 s12, 0
	s_mov_b32 s13, 0x7ff00000
	v_cmp_neq_f64_e32 vcc, s[12:13], v[8:9]
	v_mov_b64_e32 v[6:7], s[6:7]
	s_and_saveexec_b64 s[12:13], vcc
; %bb.175:
	s_mov_b32 s14, 0
	s_mov_b32 s15, 0xfff00000
	v_mov_b32_e32 v6, s9
	v_cmp_eq_f64_e32 vcc, s[14:15], v[8:9]
	s_nop 1
	v_cndmask_b32_e32 v7, v9, v6, vcc
	v_mov_b32_e32 v6, s8
	v_cndmask_b32_e32 v6, v8, v6, vcc
; %bb.176:
	s_or_b64 exec, exec, s[12:13]
.LBB495_177:
	s_or_b64 exec, exec, s[10:11]
	;; [unrolled: 48-line block ×4, first 2 shown]
	v_mov_b32_e32 v23, 0
	v_lshl_add_u64 v[14:15], s[0:1], 0, v[22:23]
	s_or_b64 s[24:25], s[24:25], exec
	global_store_dwordx4 v16, v[0:3], s[0:1]
	global_store_dwordx4 v18, v[4:7], s[0:1]
	;; [unrolled: 1-line block ×3, first 2 shown]
	global_store_dwordx2 v22, v[24:25], s[0:1]
	s_or_b64 exec, exec, s[26:27]
	s_and_saveexec_b64 s[0:1], s[24:25]
	s_cbranch_execz .LBB495_3
.LBB495_194:
	global_store_dwordx2 v[14:15], v[12:13], off offset:8
	s_endpgm
	.section	.rodata,"a",@progbits
	.p2align	6, 0x0
	.amdhsa_kernel _ZN2at6native32elementwise_kernel_manual_unrollILi128ELi4EZNS0_22gpu_kernel_impl_nocastIZZZNS0_22nan_to_num_kernel_cudaERNS_18TensorIteratorBaseESt8optionalIdES6_S6_ENKUlvE_clEvENKUlvE_clEvEUlN3c107complexIdEEE_EEvS4_RKT_EUlibE_EEviT1_
		.amdhsa_group_segment_fixed_size 0
		.amdhsa_private_segment_fixed_size 0
		.amdhsa_kernarg_size 376
		.amdhsa_user_sgpr_count 2
		.amdhsa_user_sgpr_dispatch_ptr 0
		.amdhsa_user_sgpr_queue_ptr 0
		.amdhsa_user_sgpr_kernarg_segment_ptr 1
		.amdhsa_user_sgpr_dispatch_id 0
		.amdhsa_user_sgpr_kernarg_preload_length 0
		.amdhsa_user_sgpr_kernarg_preload_offset 0
		.amdhsa_user_sgpr_private_segment_size 0
		.amdhsa_uses_dynamic_stack 0
		.amdhsa_enable_private_segment 0
		.amdhsa_system_sgpr_workgroup_id_x 1
		.amdhsa_system_sgpr_workgroup_id_y 0
		.amdhsa_system_sgpr_workgroup_id_z 0
		.amdhsa_system_sgpr_workgroup_info 0
		.amdhsa_system_vgpr_workitem_id 0
		.amdhsa_next_free_vgpr 26
		.amdhsa_next_free_sgpr 66
		.amdhsa_accum_offset 28
		.amdhsa_reserve_vcc 1
		.amdhsa_float_round_mode_32 0
		.amdhsa_float_round_mode_16_64 0
		.amdhsa_float_denorm_mode_32 3
		.amdhsa_float_denorm_mode_16_64 3
		.amdhsa_dx10_clamp 1
		.amdhsa_ieee_mode 1
		.amdhsa_fp16_overflow 0
		.amdhsa_tg_split 0
		.amdhsa_exception_fp_ieee_invalid_op 0
		.amdhsa_exception_fp_denorm_src 0
		.amdhsa_exception_fp_ieee_div_zero 0
		.amdhsa_exception_fp_ieee_overflow 0
		.amdhsa_exception_fp_ieee_underflow 0
		.amdhsa_exception_fp_ieee_inexact 0
		.amdhsa_exception_int_div_zero 0
	.end_amdhsa_kernel
	.section	.text._ZN2at6native32elementwise_kernel_manual_unrollILi128ELi4EZNS0_22gpu_kernel_impl_nocastIZZZNS0_22nan_to_num_kernel_cudaERNS_18TensorIteratorBaseESt8optionalIdES6_S6_ENKUlvE_clEvENKUlvE_clEvEUlN3c107complexIdEEE_EEvS4_RKT_EUlibE_EEviT1_,"axG",@progbits,_ZN2at6native32elementwise_kernel_manual_unrollILi128ELi4EZNS0_22gpu_kernel_impl_nocastIZZZNS0_22nan_to_num_kernel_cudaERNS_18TensorIteratorBaseESt8optionalIdES6_S6_ENKUlvE_clEvENKUlvE_clEvEUlN3c107complexIdEEE_EEvS4_RKT_EUlibE_EEviT1_,comdat
.Lfunc_end495:
	.size	_ZN2at6native32elementwise_kernel_manual_unrollILi128ELi4EZNS0_22gpu_kernel_impl_nocastIZZZNS0_22nan_to_num_kernel_cudaERNS_18TensorIteratorBaseESt8optionalIdES6_S6_ENKUlvE_clEvENKUlvE_clEvEUlN3c107complexIdEEE_EEvS4_RKT_EUlibE_EEviT1_, .Lfunc_end495-_ZN2at6native32elementwise_kernel_manual_unrollILi128ELi4EZNS0_22gpu_kernel_impl_nocastIZZZNS0_22nan_to_num_kernel_cudaERNS_18TensorIteratorBaseESt8optionalIdES6_S6_ENKUlvE_clEvENKUlvE_clEvEUlN3c107complexIdEEE_EEvS4_RKT_EUlibE_EEviT1_
                                        ; -- End function
	.set _ZN2at6native32elementwise_kernel_manual_unrollILi128ELi4EZNS0_22gpu_kernel_impl_nocastIZZZNS0_22nan_to_num_kernel_cudaERNS_18TensorIteratorBaseESt8optionalIdES6_S6_ENKUlvE_clEvENKUlvE_clEvEUlN3c107complexIdEEE_EEvS4_RKT_EUlibE_EEviT1_.num_vgpr, 26
	.set _ZN2at6native32elementwise_kernel_manual_unrollILi128ELi4EZNS0_22gpu_kernel_impl_nocastIZZZNS0_22nan_to_num_kernel_cudaERNS_18TensorIteratorBaseESt8optionalIdES6_S6_ENKUlvE_clEvENKUlvE_clEvEUlN3c107complexIdEEE_EEvS4_RKT_EUlibE_EEviT1_.num_agpr, 0
	.set _ZN2at6native32elementwise_kernel_manual_unrollILi128ELi4EZNS0_22gpu_kernel_impl_nocastIZZZNS0_22nan_to_num_kernel_cudaERNS_18TensorIteratorBaseESt8optionalIdES6_S6_ENKUlvE_clEvENKUlvE_clEvEUlN3c107complexIdEEE_EEvS4_RKT_EUlibE_EEviT1_.numbered_sgpr, 66
	.set _ZN2at6native32elementwise_kernel_manual_unrollILi128ELi4EZNS0_22gpu_kernel_impl_nocastIZZZNS0_22nan_to_num_kernel_cudaERNS_18TensorIteratorBaseESt8optionalIdES6_S6_ENKUlvE_clEvENKUlvE_clEvEUlN3c107complexIdEEE_EEvS4_RKT_EUlibE_EEviT1_.num_named_barrier, 0
	.set _ZN2at6native32elementwise_kernel_manual_unrollILi128ELi4EZNS0_22gpu_kernel_impl_nocastIZZZNS0_22nan_to_num_kernel_cudaERNS_18TensorIteratorBaseESt8optionalIdES6_S6_ENKUlvE_clEvENKUlvE_clEvEUlN3c107complexIdEEE_EEvS4_RKT_EUlibE_EEviT1_.private_seg_size, 0
	.set _ZN2at6native32elementwise_kernel_manual_unrollILi128ELi4EZNS0_22gpu_kernel_impl_nocastIZZZNS0_22nan_to_num_kernel_cudaERNS_18TensorIteratorBaseESt8optionalIdES6_S6_ENKUlvE_clEvENKUlvE_clEvEUlN3c107complexIdEEE_EEvS4_RKT_EUlibE_EEviT1_.uses_vcc, 1
	.set _ZN2at6native32elementwise_kernel_manual_unrollILi128ELi4EZNS0_22gpu_kernel_impl_nocastIZZZNS0_22nan_to_num_kernel_cudaERNS_18TensorIteratorBaseESt8optionalIdES6_S6_ENKUlvE_clEvENKUlvE_clEvEUlN3c107complexIdEEE_EEvS4_RKT_EUlibE_EEviT1_.uses_flat_scratch, 0
	.set _ZN2at6native32elementwise_kernel_manual_unrollILi128ELi4EZNS0_22gpu_kernel_impl_nocastIZZZNS0_22nan_to_num_kernel_cudaERNS_18TensorIteratorBaseESt8optionalIdES6_S6_ENKUlvE_clEvENKUlvE_clEvEUlN3c107complexIdEEE_EEvS4_RKT_EUlibE_EEviT1_.has_dyn_sized_stack, 0
	.set _ZN2at6native32elementwise_kernel_manual_unrollILi128ELi4EZNS0_22gpu_kernel_impl_nocastIZZZNS0_22nan_to_num_kernel_cudaERNS_18TensorIteratorBaseESt8optionalIdES6_S6_ENKUlvE_clEvENKUlvE_clEvEUlN3c107complexIdEEE_EEvS4_RKT_EUlibE_EEviT1_.has_recursion, 0
	.set _ZN2at6native32elementwise_kernel_manual_unrollILi128ELi4EZNS0_22gpu_kernel_impl_nocastIZZZNS0_22nan_to_num_kernel_cudaERNS_18TensorIteratorBaseESt8optionalIdES6_S6_ENKUlvE_clEvENKUlvE_clEvEUlN3c107complexIdEEE_EEvS4_RKT_EUlibE_EEviT1_.has_indirect_call, 0
	.section	.AMDGPU.csdata,"",@progbits
; Kernel info:
; codeLenInByte = 7172
; TotalNumSgprs: 72
; NumVgprs: 26
; NumAgprs: 0
; TotalNumVgprs: 26
; ScratchSize: 0
; MemoryBound: 0
; FloatMode: 240
; IeeeMode: 1
; LDSByteSize: 0 bytes/workgroup (compile time only)
; SGPRBlocks: 8
; VGPRBlocks: 3
; NumSGPRsForWavesPerEU: 72
; NumVGPRsForWavesPerEU: 26
; AccumOffset: 28
; Occupancy: 8
; WaveLimiterHint : 1
; COMPUTE_PGM_RSRC2:SCRATCH_EN: 0
; COMPUTE_PGM_RSRC2:USER_SGPR: 2
; COMPUTE_PGM_RSRC2:TRAP_HANDLER: 0
; COMPUTE_PGM_RSRC2:TGID_X_EN: 1
; COMPUTE_PGM_RSRC2:TGID_Y_EN: 0
; COMPUTE_PGM_RSRC2:TGID_Z_EN: 0
; COMPUTE_PGM_RSRC2:TIDIG_COMP_CNT: 0
; COMPUTE_PGM_RSRC3_GFX90A:ACCUM_OFFSET: 6
; COMPUTE_PGM_RSRC3_GFX90A:TG_SPLIT: 0
	.section	.text._ZN2at6native32elementwise_kernel_manual_unrollILi128ELi4EZNS0_15gpu_kernel_implIZZZNS0_22nan_to_num_kernel_cudaERNS_18TensorIteratorBaseESt8optionalIdES6_S6_ENKUlvE_clEvENKUlvE_clEvEUlN3c107complexIdEEE_EEvS4_RKT_EUlibE_EEviT1_,"axG",@progbits,_ZN2at6native32elementwise_kernel_manual_unrollILi128ELi4EZNS0_15gpu_kernel_implIZZZNS0_22nan_to_num_kernel_cudaERNS_18TensorIteratorBaseESt8optionalIdES6_S6_ENKUlvE_clEvENKUlvE_clEvEUlN3c107complexIdEEE_EEvS4_RKT_EUlibE_EEviT1_,comdat
	.globl	_ZN2at6native32elementwise_kernel_manual_unrollILi128ELi4EZNS0_15gpu_kernel_implIZZZNS0_22nan_to_num_kernel_cudaERNS_18TensorIteratorBaseESt8optionalIdES6_S6_ENKUlvE_clEvENKUlvE_clEvEUlN3c107complexIdEEE_EEvS4_RKT_EUlibE_EEviT1_ ; -- Begin function _ZN2at6native32elementwise_kernel_manual_unrollILi128ELi4EZNS0_15gpu_kernel_implIZZZNS0_22nan_to_num_kernel_cudaERNS_18TensorIteratorBaseESt8optionalIdES6_S6_ENKUlvE_clEvENKUlvE_clEvEUlN3c107complexIdEEE_EEvS4_RKT_EUlibE_EEviT1_
	.p2align	8
	.type	_ZN2at6native32elementwise_kernel_manual_unrollILi128ELi4EZNS0_15gpu_kernel_implIZZZNS0_22nan_to_num_kernel_cudaERNS_18TensorIteratorBaseESt8optionalIdES6_S6_ENKUlvE_clEvENKUlvE_clEvEUlN3c107complexIdEEE_EEvS4_RKT_EUlibE_EEviT1_,@function
_ZN2at6native32elementwise_kernel_manual_unrollILi128ELi4EZNS0_15gpu_kernel_implIZZZNS0_22nan_to_num_kernel_cudaERNS_18TensorIteratorBaseESt8optionalIdES6_S6_ENKUlvE_clEvENKUlvE_clEvEUlN3c107complexIdEEE_EEvS4_RKT_EUlibE_EEviT1_: ; @_ZN2at6native32elementwise_kernel_manual_unrollILi128ELi4EZNS0_15gpu_kernel_implIZZZNS0_22nan_to_num_kernel_cudaERNS_18TensorIteratorBaseESt8optionalIdES6_S6_ENKUlvE_clEvENKUlvE_clEvEUlN3c107complexIdEEE_EEvS4_RKT_EUlibE_EEviT1_
; %bb.0:
	s_load_dwordx2 s[14:15], s[0:1], 0x30
	s_load_dword s33, s[0:1], 0x38
	s_load_dword s44, s[0:1], 0x0
	s_load_dwordx4 s[4:7], s[0:1], 0x8
	s_load_dwordx2 s[12:13], s[0:1], 0x18
	s_load_dwordx4 s[8:11], s[0:1], 0x20
	v_lshl_or_b32 v20, s2, 9, v0
	v_or_b32_e32 v0, 0x180, v20
	s_waitcnt lgkmcnt(0)
	s_bfe_u32 s48, s33, 0x80008
	v_cmp_le_i32_e32 vcc, s44, v0
	s_mov_b64 s[2:3], 0
	s_mov_b64 s[18:19], 0
	s_and_saveexec_b64 s[0:1], vcc
	s_xor_b64 s[16:17], exec, s[0:1]
	s_cbranch_execz .LBB496_1078
; %bb.1:
	v_cmp_gt_i32_e32 vcc, s44, v20
	s_mov_b64 s[24:25], -1
	s_mov_b64 s[26:27], 0
	s_mov_b64 s[20:21], 0
	s_and_saveexec_b64 s[22:23], vcc
	s_cbranch_execz .LBB496_264
; %bb.2:
	v_mul_lo_u32 v0, v20, s13
	v_ashrrev_i32_e32 v1, 31, v0
	s_and_b32 s28, 0xffff, s48
	s_cmp_lt_i32 s28, 11
	v_lshl_add_u64 v[0:1], s[6:7], 0, v[0:1]
	s_cbranch_scc1 .LBB496_9
; %bb.3:
	s_cmp_gt_i32 s28, 25
	s_cbranch_scc0 .LBB496_26
; %bb.4:
	s_cmp_gt_i32 s28, 28
	s_cbranch_scc0 .LBB496_30
	;; [unrolled: 3-line block ×4, first 2 shown]
; %bb.7:
	s_cmp_eq_u32 s28, 46
	s_cbranch_scc0 .LBB496_36
; %bb.8:
	global_load_dword v2, v[0:1], off
	s_mov_b64 s[0:1], -1
	s_waitcnt vmcnt(0)
	v_and_b32_e32 v4, 0xffff0000, v2
	v_lshlrev_b32_e32 v2, 16, v2
	v_cvt_f64_f32_e32 v[2:3], v2
	v_cvt_f64_f32_e32 v[4:5], v4
	s_branch .LBB496_38
.LBB496_9:
                                        ; implicit-def: $vgpr4_vgpr5
	s_mov_b64 s[0:1], 0
	s_cbranch_execnz .LBB496_213
.LBB496_10:
	s_andn2_b64 vcc, exec, s[0:1]
	s_cbranch_vccnz .LBB496_262
.LBB496_11:
	s_waitcnt vmcnt(0)
	v_cmp_o_f64_e32 vcc, v[2:3], v[2:3]
	v_mov_b64_e32 v[0:1], s[8:9]
	s_and_saveexec_b64 s[0:1], vcc
	s_cbranch_execz .LBB496_15
; %bb.12:
	s_mov_b32 s18, 0
	s_mov_b32 s19, 0x7ff00000
	v_cmp_neq_f64_e32 vcc, s[18:19], v[2:3]
	v_mov_b64_e32 v[0:1], s[10:11]
	s_and_saveexec_b64 s[18:19], vcc
; %bb.13:
	s_mov_b32 s24, 0
	s_mov_b32 s25, 0xfff00000
	v_mov_b32_e32 v0, s15
	v_cmp_eq_f64_e32 vcc, s[24:25], v[2:3]
	s_nop 1
	v_cndmask_b32_e32 v1, v3, v0, vcc
	v_mov_b32_e32 v0, s14
	v_cndmask_b32_e32 v0, v2, v0, vcc
; %bb.14:
	s_or_b64 exec, exec, s[18:19]
.LBB496_15:
	s_or_b64 exec, exec, s[0:1]
	v_cmp_o_f64_e32 vcc, v[4:5], v[4:5]
	v_mov_b64_e32 v[2:3], s[8:9]
	s_and_saveexec_b64 s[0:1], vcc
	s_cbranch_execz .LBB496_19
; %bb.16:
	s_mov_b32 s18, 0
	s_mov_b32 s19, 0x7ff00000
	v_cmp_neq_f64_e32 vcc, s[18:19], v[4:5]
	v_mov_b64_e32 v[2:3], s[10:11]
	s_and_saveexec_b64 s[18:19], vcc
; %bb.17:
	s_mov_b32 s24, 0
	s_mov_b32 s25, 0xfff00000
	v_mov_b32_e32 v2, s15
	v_cmp_eq_f64_e32 vcc, s[24:25], v[4:5]
	s_nop 1
	v_cndmask_b32_e32 v3, v5, v2, vcc
	v_mov_b32_e32 v2, s14
	v_cndmask_b32_e32 v2, v4, v2, vcc
; %bb.18:
	s_or_b64 exec, exec, s[18:19]
.LBB496_19:
	s_or_b64 exec, exec, s[0:1]
	v_mul_lo_u32 v4, v20, s12
	v_ashrrev_i32_e32 v5, 31, v4
	s_and_b32 s30, s33, 0xff
	s_cmp_lt_i32 s30, 11
	v_lshl_add_u64 v[4:5], s[4:5], 0, v[4:5]
	s_cbranch_scc1 .LBB496_27
; %bb.20:
	s_and_b32 s31, 0xffff, s30
	s_cmp_gt_i32 s31, 25
	s_cbranch_scc0 .LBB496_31
; %bb.21:
	s_cmp_gt_i32 s31, 28
	s_cbranch_scc0 .LBB496_33
; %bb.22:
	;; [unrolled: 3-line block ×4, first 2 shown]
	s_mov_b64 s[24:25], 0
	s_mov_b64 s[18:19], -1
	s_cmp_eq_u32 s31, 46
	s_mov_b64 s[0:1], 0
	s_cbranch_scc0 .LBB496_42
; %bb.25:
	v_cvt_f32_f64_e32 v7, v[2:3]
	s_movk_i32 s0, 0x7fff
	v_bfe_u32 v9, v7, 16, 1
	v_cvt_f32_f64_e32 v6, v[0:1]
	v_add3_u32 v9, v7, v9, s0
	v_bfe_u32 v8, v6, 16, 1
	v_and_b32_e32 v9, 0xffff0000, v9
	v_mov_b32_e32 v10, 0x7fc00000
	v_cmp_o_f32_e32 vcc, v7, v7
	v_add3_u32 v8, v6, v8, s0
	s_mov_b64 s[0:1], -1
	v_cndmask_b32_e32 v7, v10, v9, vcc
	v_cmp_o_f32_e32 vcc, v6, v6
	v_mov_b32_e32 v6, 0x7fc0
	s_mov_b64 s[18:19], 0
	v_cndmask_b32_sdwa v6, v6, v8, vcc dst_sel:DWORD dst_unused:UNUSED_PAD src0_sel:DWORD src1_sel:WORD_1
	v_or_b32_e32 v6, v7, v6
	global_store_dword v[4:5], v6, off
	s_branch .LBB496_42
.LBB496_26:
	s_mov_b64 s[0:1], 0
                                        ; implicit-def: $vgpr4_vgpr5
	s_cbranch_execnz .LBB496_180
	s_branch .LBB496_212
.LBB496_27:
	s_mov_b64 s[18:19], 0
	s_mov_b64 s[0:1], 0
	s_cbranch_execnz .LBB496_111
.LBB496_28:
	s_andn2_b64 vcc, exec, s[0:1]
	s_cbranch_vccnz .LBB496_149
.LBB496_29:
	v_add_u32_e32 v20, 0x80, v20
	s_mov_b64 s[0:1], -1
	s_branch .LBB496_263
.LBB496_30:
	s_mov_b64 s[18:19], -1
	s_mov_b64 s[0:1], 0
                                        ; implicit-def: $vgpr4_vgpr5
	s_branch .LBB496_159
.LBB496_31:
	s_mov_b64 s[24:25], -1
	s_mov_b64 s[18:19], 0
	s_mov_b64 s[0:1], 0
	s_branch .LBB496_69
.LBB496_32:
	s_mov_b64 s[18:19], -1
	s_mov_b64 s[0:1], 0
                                        ; implicit-def: $vgpr4_vgpr5
	s_branch .LBB496_153
.LBB496_33:
	s_mov_b64 s[24:25], -1
	s_mov_b64 s[18:19], 0
	s_mov_b64 s[0:1], 0
	s_branch .LBB496_52
.LBB496_34:
	s_mov_b64 s[18:19], -1
	s_branch .LBB496_37
.LBB496_35:
	s_mov_b64 s[24:25], -1
	s_mov_b64 s[18:19], 0
	s_mov_b64 s[0:1], 0
	s_branch .LBB496_48
.LBB496_36:
	s_mov_b64 s[20:21], -1
.LBB496_37:
	s_mov_b64 s[0:1], 0
                                        ; implicit-def: $vgpr4_vgpr5
.LBB496_38:
	s_and_b64 vcc, exec, s[18:19]
	s_cbranch_vccz .LBB496_152
; %bb.39:
	s_cmp_eq_u32 s28, 44
	s_cbranch_scc0 .LBB496_150
; %bb.40:
	global_load_ubyte v4, v[0:1], off
	s_movk_i32 s18, 0xff
	v_bfrev_b32_e32 v5, 4
	v_mov_b32_e32 v6, 0x7ff80000
	v_bfrev_b32_e32 v7, 28
	s_mov_b64 s[0:1], -1
	s_mov_b64 s[20:21], 0
	s_waitcnt vmcnt(0)
	v_lshlrev_b32_e32 v2, 23, v4
	v_cvt_f64_f32_e32 v[2:3], v2
	v_cmp_ne_u32_e32 vcc, s18, v4
	s_nop 1
	v_cndmask_b32_e32 v2, v5, v2, vcc
	v_cndmask_b32_e32 v3, v6, v3, vcc
	v_cmp_ne_u32_e32 vcc, 0, v4
	s_nop 1
	v_cndmask_b32_e32 v3, v7, v3, vcc
	v_cndmask_b32_e32 v2, 0, v2, vcc
	s_branch .LBB496_151
.LBB496_41:
	s_mov_b64 s[24:25], -1
	s_mov_b64 s[18:19], 0
	s_mov_b64 s[0:1], 0
.LBB496_42:
	s_and_b64 vcc, exec, s[24:25]
	s_cbranch_vccz .LBB496_47
; %bb.43:
	s_cmp_eq_u32 s31, 44
	s_mov_b64 s[18:19], -1
	s_cbranch_scc0 .LBB496_47
; %bb.44:
	v_cvt_f32_f64_e32 v6, v[0:1]
	v_bfe_u32 v7, v6, 23, 8
	s_movk_i32 s0, 0xff
	v_cmp_ne_u32_e32 vcc, s0, v7
	v_mov_b32_e32 v8, 0xff
	s_and_saveexec_b64 s[18:19], vcc
; %bb.45:
	s_mov_b32 s0, 0x3fffff
	v_lshrrev_b32_e32 v8, 23, v6
	v_and_b32_e32 v9, 0x400000, v6
	v_and_or_b32 v6, v6, s0, v7
	v_cmp_ne_u32_e32 vcc, 0, v9
	v_cmp_ne_u32_e64 s[0:1], 0, v6
	s_and_b64 s[0:1], vcc, s[0:1]
	s_nop 0
	v_cndmask_b32_e64 v6, 0, 1, s[0:1]
	v_add_u32_e32 v8, v8, v6
; %bb.46:
	s_or_b64 exec, exec, s[18:19]
	s_mov_b64 s[0:1], -1
	s_mov_b64 s[18:19], 0
	global_store_byte v[4:5], v8, off
.LBB496_47:
	s_mov_b64 s[24:25], 0
.LBB496_48:
	s_and_b64 vcc, exec, s[24:25]
	s_cbranch_vccz .LBB496_51
; %bb.49:
	s_cmp_eq_u32 s31, 29
	s_mov_b64 s[18:19], -1
	s_cbranch_scc0 .LBB496_51
; %bb.50:
	v_trunc_f64_e32 v[6:7], v[0:1]
	s_movk_i32 s0, 0xffe0
	v_ldexp_f64 v[8:9], v[6:7], s0
	v_floor_f64_e32 v[8:9], v[8:9]
	v_fmac_f64_e32 v[6:7], 0xc1f00000, v[8:9]
	v_cvt_u32_f64_e32 v11, v[8:9]
	v_cvt_u32_f64_e32 v10, v[6:7]
	global_store_dwordx2 v[4:5], v[10:11], off
	s_mov_b64 s[0:1], -1
	s_mov_b64 s[18:19], 0
.LBB496_51:
	s_mov_b64 s[24:25], 0
.LBB496_52:
	s_and_b64 vcc, exec, s[24:25]
	s_cbranch_vccz .LBB496_68
; %bb.53:
	s_cmp_lt_i32 s31, 27
	s_mov_b64 s[0:1], -1
	s_cbranch_scc1 .LBB496_59
; %bb.54:
	s_cmp_gt_i32 s31, 27
	v_cvt_u32_f64_e32 v6, v[0:1]
	s_cbranch_scc0 .LBB496_56
; %bb.55:
	s_mov_b64 s[0:1], 0
	global_store_dword v[4:5], v6, off
.LBB496_56:
	s_andn2_b64 vcc, exec, s[0:1]
	s_cbranch_vccnz .LBB496_58
; %bb.57:
	global_store_short v[4:5], v6, off
.LBB496_58:
	s_mov_b64 s[0:1], 0
.LBB496_59:
	s_andn2_b64 vcc, exec, s[0:1]
	s_cbranch_vccnz .LBB496_67
; %bb.60:
	v_cvt_f32_f64_e32 v6, v[0:1]
	v_and_b32_e32 v7, 0x7fffffff, v6
	s_mov_b32 s0, 0x43800000
	v_cmp_gt_u32_e32 vcc, s0, v7
	v_mov_b32_e32 v8, 0x80
	s_and_saveexec_b64 s[0:1], vcc
	s_cbranch_execz .LBB496_66
; %bb.61:
	s_mov_b32 s24, 0x3bffffff
	v_cmp_lt_u32_e32 vcc, s24, v7
	s_mov_b64 s[24:25], 0
                                        ; implicit-def: $vgpr7
	s_and_saveexec_b64 s[28:29], vcc
	s_xor_b64 s[28:29], exec, s[28:29]
	s_cbranch_execz .LBB496_299
; %bb.62:
	v_bfe_u32 v7, v6, 20, 1
	s_mov_b32 s34, 0x487ffff
	v_add3_u32 v7, v6, v7, s34
	s_mov_b64 s[24:25], exec
	v_lshrrev_b32_e32 v7, 20, v7
	s_andn2_saveexec_b64 s[28:29], s[28:29]
	s_cbranch_execnz .LBB496_300
.LBB496_63:
	s_or_b64 exec, exec, s[28:29]
	v_mov_b32_e32 v8, 0
	s_and_saveexec_b64 s[28:29], s[24:25]
.LBB496_64:
	v_lshrrev_b32_e32 v6, 24, v6
	s_movk_i32 s24, 0x80
	v_and_or_b32 v8, v6, s24, v7
.LBB496_65:
	s_or_b64 exec, exec, s[28:29]
.LBB496_66:
	s_or_b64 exec, exec, s[0:1]
	global_store_byte v[4:5], v8, off
.LBB496_67:
	s_mov_b64 s[0:1], -1
.LBB496_68:
	s_mov_b64 s[24:25], 0
.LBB496_69:
	s_and_b64 vcc, exec, s[24:25]
	s_cbranch_vccz .LBB496_110
; %bb.70:
	s_cmp_gt_i32 s31, 22
	s_mov_b64 s[24:25], -1
	s_cbranch_scc0 .LBB496_102
; %bb.71:
	s_cmp_lt_i32 s31, 24
	s_mov_b64 s[0:1], -1
	s_cbranch_scc1 .LBB496_91
; %bb.72:
	s_cmp_gt_i32 s31, 24
	s_cbranch_scc0 .LBB496_80
; %bb.73:
	v_cvt_f32_f64_e32 v6, v[0:1]
	v_and_b32_e32 v7, 0x7fffffff, v6
	s_mov_b32 s0, 0x47800000
	v_cmp_gt_u32_e32 vcc, s0, v7
	v_mov_b32_e32 v8, 0x80
	s_and_saveexec_b64 s[0:1], vcc
	s_cbranch_execz .LBB496_79
; %bb.74:
	s_mov_b32 s24, 0x37ffffff
	v_cmp_lt_u32_e32 vcc, s24, v7
	s_mov_b64 s[24:25], 0
                                        ; implicit-def: $vgpr7
	s_and_saveexec_b64 s[28:29], vcc
	s_xor_b64 s[28:29], exec, s[28:29]
	s_cbranch_execz .LBB496_303
; %bb.75:
	v_bfe_u32 v7, v6, 21, 1
	s_mov_b32 s34, 0x88fffff
	v_add3_u32 v7, v6, v7, s34
	s_mov_b64 s[24:25], exec
	v_lshrrev_b32_e32 v7, 21, v7
	s_andn2_saveexec_b64 s[28:29], s[28:29]
	s_cbranch_execnz .LBB496_304
.LBB496_76:
	s_or_b64 exec, exec, s[28:29]
	v_mov_b32_e32 v8, 0
	s_and_saveexec_b64 s[28:29], s[24:25]
.LBB496_77:
	v_lshrrev_b32_e32 v6, 24, v6
	s_movk_i32 s24, 0x80
	v_and_or_b32 v8, v6, s24, v7
.LBB496_78:
	s_or_b64 exec, exec, s[28:29]
.LBB496_79:
	s_or_b64 exec, exec, s[0:1]
	s_mov_b64 s[0:1], 0
	global_store_byte v[4:5], v8, off
.LBB496_80:
	s_and_b64 vcc, exec, s[0:1]
	s_cbranch_vccz .LBB496_90
; %bb.81:
	v_cvt_f32_f64_e32 v6, v[0:1]
	v_and_b32_e32 v8, 0x7fffffff, v6
	s_mov_b32 s0, 0x43f00000
	v_cmp_gt_u32_e32 vcc, s0, v8
                                        ; implicit-def: $vgpr7
	s_and_saveexec_b64 s[0:1], vcc
	s_xor_b64 s[0:1], exec, s[0:1]
	s_cbranch_execz .LBB496_87
; %bb.82:
	s_mov_b32 s24, 0x3c7fffff
	v_cmp_lt_u32_e32 vcc, s24, v8
                                        ; implicit-def: $vgpr7
	s_and_saveexec_b64 s[24:25], vcc
	s_xor_b64 s[24:25], exec, s[24:25]
; %bb.83:
	v_bfe_u32 v7, v6, 20, 1
	s_mov_b32 s28, 0x407ffff
	v_add3_u32 v7, v6, v7, s28
	v_lshrrev_b32_e32 v8, 20, v7
	v_and_b32_e32 v7, 0xff00000, v7
	s_mov_b32 s28, 0x7f00000
	v_mov_b32_e32 v9, 0x7e
	v_cmp_ne_u32_e32 vcc, s28, v7
	s_nop 1
	v_cndmask_b32_e32 v7, v9, v8, vcc
; %bb.84:
	s_andn2_saveexec_b64 s[24:25], s[24:25]
; %bb.85:
	s_mov_b32 s28, 0x46800000
	v_add_f32_e64 v7, |v6|, s28
; %bb.86:
	s_or_b64 exec, exec, s[24:25]
                                        ; implicit-def: $vgpr8
.LBB496_87:
	s_andn2_saveexec_b64 s[0:1], s[0:1]
; %bb.88:
	s_mov_b32 s24, 0x7f800000
	v_mov_b32_e32 v7, 0x7e
	v_mov_b32_e32 v9, 0x7f
	v_cmp_lt_u32_e32 vcc, s24, v8
	s_nop 1
	v_cndmask_b32_e32 v7, v7, v9, vcc
; %bb.89:
	s_or_b64 exec, exec, s[0:1]
	v_lshrrev_b32_e32 v6, 24, v6
	s_movk_i32 s0, 0x80
	v_and_or_b32 v6, v6, s0, v7
	global_store_byte v[4:5], v6, off
.LBB496_90:
	s_mov_b64 s[0:1], 0
.LBB496_91:
	s_andn2_b64 vcc, exec, s[0:1]
	s_cbranch_vccnz .LBB496_101
; %bb.92:
	v_cvt_f32_f64_e32 v6, v[0:1]
	v_and_b32_e32 v8, 0x7fffffff, v6
	s_mov_b32 s0, 0x47800000
	v_cmp_gt_u32_e32 vcc, s0, v8
                                        ; implicit-def: $vgpr7
	s_and_saveexec_b64 s[0:1], vcc
	s_xor_b64 s[0:1], exec, s[0:1]
	s_cbranch_execz .LBB496_98
; %bb.93:
	s_mov_b32 s24, 0x387fffff
	v_cmp_lt_u32_e32 vcc, s24, v8
                                        ; implicit-def: $vgpr7
	s_and_saveexec_b64 s[24:25], vcc
	s_xor_b64 s[24:25], exec, s[24:25]
; %bb.94:
	v_bfe_u32 v7, v6, 21, 1
	s_mov_b32 s28, 0x80fffff
	v_add3_u32 v7, v6, v7, s28
	v_lshrrev_b32_e32 v7, 21, v7
; %bb.95:
	s_andn2_saveexec_b64 s[24:25], s[24:25]
; %bb.96:
	s_mov_b32 s28, 0x43000000
	v_add_f32_e64 v7, |v6|, s28
; %bb.97:
	s_or_b64 exec, exec, s[24:25]
                                        ; implicit-def: $vgpr8
.LBB496_98:
	s_andn2_saveexec_b64 s[0:1], s[0:1]
; %bb.99:
	s_mov_b32 s24, 0x7f800000
	v_mov_b32_e32 v7, 0x7c
	v_mov_b32_e32 v9, 0x7f
	v_cmp_lt_u32_e32 vcc, s24, v8
	s_nop 1
	v_cndmask_b32_e32 v7, v7, v9, vcc
; %bb.100:
	s_or_b64 exec, exec, s[0:1]
	v_lshrrev_b32_e32 v6, 24, v6
	s_movk_i32 s0, 0x80
	v_and_or_b32 v6, v6, s0, v7
	global_store_byte v[4:5], v6, off
.LBB496_101:
	s_mov_b64 s[24:25], 0
	s_mov_b64 s[0:1], -1
.LBB496_102:
	s_andn2_b64 vcc, exec, s[24:25]
	s_cbranch_vccnz .LBB496_110
; %bb.103:
	s_cmp_gt_i32 s31, 14
	s_mov_b64 s[24:25], -1
	s_cbranch_scc0 .LBB496_107
; %bb.104:
	s_cmp_eq_u32 s31, 15
	s_mov_b64 s[18:19], -1
	s_cbranch_scc0 .LBB496_106
; %bb.105:
	v_cvt_f32_f64_e32 v6, v[0:1]
	v_bfe_u32 v7, v6, 16, 1
	s_movk_i32 s0, 0x7fff
	v_add3_u32 v7, v6, v7, s0
	v_cmp_o_f32_e32 vcc, v6, v6
	v_mov_b32_e32 v6, 0x7fc0
	s_mov_b64 s[0:1], -1
	v_cndmask_b32_sdwa v6, v6, v7, vcc dst_sel:DWORD dst_unused:UNUSED_PAD src0_sel:DWORD src1_sel:WORD_1
	global_store_short v[4:5], v6, off
	s_mov_b64 s[18:19], 0
.LBB496_106:
	s_mov_b64 s[24:25], 0
.LBB496_107:
	s_and_b64 vcc, exec, s[24:25]
	s_cbranch_vccz .LBB496_110
; %bb.108:
	s_cmp_eq_u32 s31, 11
	s_mov_b64 s[18:19], -1
	s_cbranch_scc0 .LBB496_110
; %bb.109:
	v_cmp_neq_f64_e32 vcc, 0, v[0:1]
	v_cmp_neq_f64_e64 s[0:1], 0, v[2:3]
	s_or_b64 s[0:1], vcc, s[0:1]
	s_mov_b64 s[18:19], 0
	v_cndmask_b32_e64 v6, 0, 1, s[0:1]
	s_mov_b64 s[0:1], -1
	global_store_byte v[4:5], v6, off
.LBB496_110:
	s_branch .LBB496_28
.LBB496_111:
	s_and_b32 s24, 0xffff, s30
	s_cmp_lt_i32 s24, 5
	s_mov_b64 s[0:1], -1
	s_cbranch_scc1 .LBB496_132
; %bb.112:
	s_cmp_lt_i32 s24, 8
	s_cbranch_scc1 .LBB496_122
; %bb.113:
	s_cmp_lt_i32 s24, 9
	s_cbranch_scc1 .LBB496_119
; %bb.114:
	s_cmp_gt_i32 s24, 9
	s_cbranch_scc0 .LBB496_116
; %bb.115:
	global_store_dwordx4 v[4:5], v[0:3], off
	s_mov_b64 s[0:1], 0
.LBB496_116:
	s_andn2_b64 vcc, exec, s[0:1]
	s_cbranch_vccnz .LBB496_118
; %bb.117:
	v_cvt_f32_f64_e32 v7, v[2:3]
	v_cvt_f32_f64_e32 v6, v[0:1]
	global_store_dwordx2 v[4:5], v[6:7], off
.LBB496_118:
	s_mov_b64 s[0:1], 0
.LBB496_119:
	s_andn2_b64 vcc, exec, s[0:1]
	s_cbranch_vccnz .LBB496_121
; %bb.120:
	s_movk_i32 s0, 0x1ff
	v_and_or_b32 v6, v1, s0, v0
	v_cmp_ne_u32_e32 vcc, 0, v6
	v_lshrrev_b32_e32 v7, 8, v1
	s_movk_i32 s1, 0xffe
	v_cndmask_b32_e64 v6, 0, 1, vcc
	v_bfe_u32 v8, v1, 20, 11
	v_and_or_b32 v6, v7, s1, v6
	v_sub_u32_e32 v9, 0x3f1, v8
	v_or_b32_e32 v7, 0x1000, v6
	v_med3_i32 v9, v9, 0, 13
	v_lshrrev_b32_e32 v10, v9, v7
	v_lshlrev_b32_e32 v9, v9, v10
	v_cmp_ne_u32_e32 vcc, v9, v7
	v_add_u32_e32 v8, 0xfffffc10, v8
	v_lshl_or_b32 v9, v8, 12, v6
	v_cndmask_b32_e64 v7, 0, 1, vcc
	v_or_b32_e32 v7, v10, v7
	v_cmp_gt_i32_e32 vcc, 1, v8
	s_movk_i32 s25, 0x40f
	v_and_or_b32 v2, v3, s0, v2
	v_cndmask_b32_e32 v7, v9, v7, vcc
	v_and_b32_e32 v9, 7, v7
	v_cmp_lt_i32_e32 vcc, 5, v9
	v_lshrrev_b32_e32 v7, 2, v7
	v_bfe_u32 v11, v3, 20, 11
	v_cndmask_b32_e64 v10, 0, 1, vcc
	v_cmp_eq_u32_e32 vcc, 3, v9
	v_sub_u32_e32 v12, 0x3f1, v11
	v_med3_i32 v12, v12, 0, 13
	v_cndmask_b32_e64 v9, 0, 1, vcc
	v_or_b32_e32 v9, v9, v10
	v_add_u32_e32 v7, v7, v9
	v_mov_b32_e32 v9, 0x7c00
	v_cmp_gt_i32_e32 vcc, 31, v8
	v_mov_b32_e32 v10, 0x7e00
	v_add_u32_e32 v11, 0xfffffc10, v11
	v_cndmask_b32_e32 v7, v9, v7, vcc
	v_cmp_ne_u32_e32 vcc, 0, v6
	s_mov_b32 s28, 0x8000
	s_mov_b32 s0, 0xffff
	v_cndmask_b32_e32 v6, v9, v10, vcc
	v_cmp_eq_u32_e32 vcc, s25, v8
	v_lshrrev_b32_e32 v8, 8, v3
	v_lshrrev_b32_e32 v3, 16, v3
	v_cndmask_b32_e32 v6, v7, v6, vcc
	v_cmp_ne_u32_e32 vcc, 0, v2
	v_and_b32_sdwa v7, v1, s28 dst_sel:DWORD dst_unused:UNUSED_PAD src0_sel:WORD_1 src1_sel:DWORD
	s_nop 0
	v_cndmask_b32_e64 v2, 0, 1, vcc
	v_and_or_b32 v2, v8, s1, v2
	v_or_b32_e32 v8, 0x1000, v2
	v_lshrrev_b32_e32 v13, v12, v8
	v_lshlrev_b32_e32 v12, v12, v13
	v_cmp_ne_u32_e32 vcc, v12, v8
	v_lshl_or_b32 v12, v11, 12, v2
	s_nop 0
	v_cndmask_b32_e64 v8, 0, 1, vcc
	v_or_b32_e32 v8, v13, v8
	v_cmp_gt_i32_e32 vcc, 1, v11
	s_nop 1
	v_cndmask_b32_e32 v8, v12, v8, vcc
	v_and_b32_e32 v12, 7, v8
	v_cmp_lt_i32_e32 vcc, 5, v12
	v_lshrrev_b32_e32 v8, 2, v8
	s_nop 0
	v_cndmask_b32_e64 v13, 0, 1, vcc
	v_cmp_eq_u32_e32 vcc, 3, v12
	s_nop 1
	v_cndmask_b32_e64 v12, 0, 1, vcc
	v_or_b32_e32 v12, v12, v13
	v_add_u32_e32 v8, v8, v12
	v_cmp_gt_i32_e32 vcc, 31, v11
	s_nop 1
	v_cndmask_b32_e32 v8, v9, v8, vcc
	v_cmp_ne_u32_e32 vcc, 0, v2
	s_nop 1
	v_cndmask_b32_e32 v2, v9, v10, vcc
	v_cmp_eq_u32_e32 vcc, s25, v11
	s_nop 1
	v_cndmask_b32_e32 v2, v8, v2, vcc
	v_and_or_b32 v2, v3, s28, v2
	v_bitop3_b32 v3, v7, s0, v6 bitop3:0xc8
	v_lshl_or_b32 v2, v2, 16, v3
	global_store_dword v[4:5], v2, off
.LBB496_121:
	s_mov_b64 s[0:1], 0
.LBB496_122:
	s_andn2_b64 vcc, exec, s[0:1]
	s_cbranch_vccnz .LBB496_131
; %bb.123:
	s_cmp_lt_i32 s24, 6
	s_mov_b64 s[0:1], -1
	s_cbranch_scc1 .LBB496_129
; %bb.124:
	s_cmp_gt_i32 s24, 6
	s_cbranch_scc0 .LBB496_126
; %bb.125:
	global_store_dwordx2 v[4:5], v[0:1], off
	s_mov_b64 s[0:1], 0
.LBB496_126:
	s_andn2_b64 vcc, exec, s[0:1]
	s_cbranch_vccnz .LBB496_128
; %bb.127:
	v_cvt_f32_f64_e32 v2, v[0:1]
	global_store_dword v[4:5], v2, off
.LBB496_128:
	s_mov_b64 s[0:1], 0
.LBB496_129:
	s_andn2_b64 vcc, exec, s[0:1]
	s_cbranch_vccnz .LBB496_131
; %bb.130:
	s_movk_i32 s0, 0x1ff
	v_and_or_b32 v2, v1, s0, v0
	v_cmp_ne_u32_e32 vcc, 0, v2
	v_lshrrev_b32_e32 v3, 8, v1
	s_movk_i32 s0, 0xffe
	v_cndmask_b32_e64 v2, 0, 1, vcc
	v_bfe_u32 v6, v1, 20, 11
	v_and_or_b32 v2, v3, s0, v2
	v_sub_u32_e32 v7, 0x3f1, v6
	v_or_b32_e32 v3, 0x1000, v2
	v_med3_i32 v7, v7, 0, 13
	v_lshrrev_b32_e32 v8, v7, v3
	v_lshlrev_b32_e32 v7, v7, v8
	v_cmp_ne_u32_e32 vcc, v7, v3
	v_add_u32_e32 v6, 0xfffffc10, v6
	v_lshl_or_b32 v7, v6, 12, v2
	v_cndmask_b32_e64 v3, 0, 1, vcc
	v_or_b32_e32 v3, v8, v3
	v_cmp_gt_i32_e32 vcc, 1, v6
	s_movk_i32 s0, 0x40f
	s_nop 0
	v_cndmask_b32_e32 v3, v7, v3, vcc
	v_and_b32_e32 v7, 7, v3
	v_cmp_lt_i32_e32 vcc, 5, v7
	v_lshrrev_b32_e32 v3, 2, v3
	s_nop 0
	v_cndmask_b32_e64 v8, 0, 1, vcc
	v_cmp_eq_u32_e32 vcc, 3, v7
	s_nop 1
	v_cndmask_b32_e64 v7, 0, 1, vcc
	v_or_b32_e32 v7, v7, v8
	v_add_u32_e32 v3, v3, v7
	v_mov_b32_e32 v7, 0x7c00
	v_cmp_gt_i32_e32 vcc, 31, v6
	v_mov_b32_e32 v8, 0x7e00
	s_nop 0
	v_cndmask_b32_e32 v3, v7, v3, vcc
	v_cmp_ne_u32_e32 vcc, 0, v2
	s_nop 1
	v_cndmask_b32_e32 v2, v7, v8, vcc
	v_cmp_eq_u32_e32 vcc, s0, v6
	s_mov_b32 s0, 0x8000
	s_nop 0
	v_cndmask_b32_e32 v2, v3, v2, vcc
	v_lshrrev_b32_e32 v3, 16, v1
	v_and_or_b32 v2, v3, s0, v2
	global_store_short v[4:5], v2, off
.LBB496_131:
	s_mov_b64 s[0:1], 0
.LBB496_132:
	s_andn2_b64 vcc, exec, s[0:1]
	s_cbranch_vccnz .LBB496_148
; %bb.133:
	s_cmp_lt_i32 s24, 2
	s_mov_b64 s[0:1], -1
	s_cbranch_scc1 .LBB496_143
; %bb.134:
	s_cmp_lt_i32 s24, 3
	s_cbranch_scc1 .LBB496_140
; %bb.135:
	s_cmp_gt_i32 s24, 3
	s_cbranch_scc0 .LBB496_137
; %bb.136:
	v_trunc_f64_e32 v[2:3], v[0:1]
	s_movk_i32 s0, 0xffe0
	v_ldexp_f64 v[6:7], v[2:3], s0
	v_floor_f64_e32 v[6:7], v[6:7]
	v_fmac_f64_e32 v[2:3], 0xc1f00000, v[6:7]
	v_cvt_i32_f64_e32 v9, v[6:7]
	v_cvt_u32_f64_e32 v8, v[2:3]
	global_store_dwordx2 v[4:5], v[8:9], off
	s_mov_b64 s[0:1], 0
.LBB496_137:
	s_andn2_b64 vcc, exec, s[0:1]
	s_cbranch_vccnz .LBB496_139
; %bb.138:
	v_cvt_i32_f64_e32 v2, v[0:1]
	global_store_dword v[4:5], v2, off
.LBB496_139:
	s_mov_b64 s[0:1], 0
.LBB496_140:
	s_andn2_b64 vcc, exec, s[0:1]
	s_cbranch_vccnz .LBB496_142
; %bb.141:
	v_cvt_i32_f64_e32 v2, v[0:1]
	global_store_short v[4:5], v2, off
.LBB496_142:
	s_mov_b64 s[0:1], 0
.LBB496_143:
	s_andn2_b64 vcc, exec, s[0:1]
	s_cbranch_vccnz .LBB496_148
; %bb.144:
	s_cmp_gt_i32 s24, 0
	s_mov_b64 s[0:1], -1
	s_cbranch_scc0 .LBB496_146
; %bb.145:
	v_cvt_i32_f64_e32 v2, v[0:1]
	global_store_byte v[4:5], v2, off
	s_mov_b64 s[0:1], 0
.LBB496_146:
	s_andn2_b64 vcc, exec, s[0:1]
	s_cbranch_vccnz .LBB496_148
; %bb.147:
	v_trunc_f64_e32 v[0:1], v[0:1]
	s_movk_i32 s0, 0xffe0
	v_ldexp_f64 v[2:3], v[0:1], s0
	v_floor_f64_e32 v[2:3], v[2:3]
	v_fmac_f64_e32 v[0:1], 0xc1f00000, v[2:3]
	v_cvt_u32_f64_e32 v0, v[0:1]
	global_store_byte v[4:5], v0, off
.LBB496_148:
	s_branch .LBB496_29
.LBB496_149:
	s_mov_b64 s[0:1], 0
                                        ; implicit-def: $vgpr20
	s_branch .LBB496_263
.LBB496_150:
	s_mov_b64 s[20:21], -1
                                        ; implicit-def: $vgpr2_vgpr3
.LBB496_151:
	v_mov_b64_e32 v[4:5], 0
.LBB496_152:
	s_mov_b64 s[18:19], 0
.LBB496_153:
	s_and_b64 vcc, exec, s[18:19]
	s_cbranch_vccz .LBB496_158
; %bb.154:
	s_cmp_eq_u32 s28, 29
	s_cbranch_scc0 .LBB496_156
; %bb.155:
	global_load_dwordx2 v[2:3], v[0:1], off
	s_mov_b64 s[0:1], -1
	s_mov_b64 s[20:21], 0
	s_waitcnt vmcnt(0)
	v_cvt_f64_u32_e32 v[4:5], v3
	v_cvt_f64_u32_e32 v[2:3], v2
	v_ldexp_f64 v[4:5], v[4:5], 32
	v_add_f64 v[2:3], v[4:5], v[2:3]
	s_branch .LBB496_157
.LBB496_156:
	s_mov_b64 s[20:21], -1
                                        ; implicit-def: $vgpr2_vgpr3
.LBB496_157:
	v_mov_b64_e32 v[4:5], 0
.LBB496_158:
	s_mov_b64 s[18:19], 0
.LBB496_159:
	s_and_b64 vcc, exec, s[18:19]
	s_cbranch_vccz .LBB496_179
; %bb.160:
	s_cmp_lt_i32 s28, 27
	s_cbranch_scc1 .LBB496_163
; %bb.161:
	s_cmp_gt_i32 s28, 27
	s_cbranch_scc0 .LBB496_164
; %bb.162:
	global_load_dword v2, v[0:1], off
	s_mov_b64 s[0:1], 0
	s_waitcnt vmcnt(0)
	v_cvt_f64_u32_e32 v[2:3], v2
	s_branch .LBB496_165
.LBB496_163:
	s_mov_b64 s[0:1], -1
                                        ; implicit-def: $vgpr2_vgpr3
	s_branch .LBB496_168
.LBB496_164:
	s_mov_b64 s[0:1], -1
                                        ; implicit-def: $vgpr2_vgpr3
.LBB496_165:
	s_andn2_b64 vcc, exec, s[0:1]
	s_cbranch_vccnz .LBB496_167
; %bb.166:
	global_load_ushort v2, v[0:1], off
	s_waitcnt vmcnt(0)
	v_cvt_f64_u32_e32 v[2:3], v2
.LBB496_167:
	s_mov_b64 s[0:1], 0
.LBB496_168:
	s_andn2_b64 vcc, exec, s[0:1]
	s_cbranch_vccnz .LBB496_178
; %bb.169:
	global_load_ubyte v4, v[0:1], off
	s_movk_i32 s0, 0x7f
	s_waitcnt vmcnt(0)
	v_cmp_lt_i16_e32 vcc, s0, v4
	s_mov_b64 s[0:1], 0
	s_and_saveexec_b64 s[18:19], vcc
	s_xor_b64 s[18:19], exec, s[18:19]
	s_cbranch_execz .LBB496_173
; %bb.170:
	s_movk_i32 s0, 0x80
	v_cmp_eq_u16_e32 vcc, s0, v4
	s_mov_b64 s[0:1], -1
	s_and_saveexec_b64 s[24:25], vcc
; %bb.171:
	s_xor_b64 s[0:1], exec, -1
; %bb.172:
	s_or_b64 exec, exec, s[24:25]
	s_and_b64 s[0:1], s[0:1], exec
.LBB496_173:
	s_or_saveexec_b64 s[18:19], s[18:19]
	v_bfrev_b32_e32 v2, 4
	v_mov_b32_e32 v3, 0x7ff80000
	s_xor_b64 exec, exec, s[18:19]
; %bb.174:
	v_cmp_ne_u16_e32 vcc, 0, v4
	s_andn2_b64 s[0:1], s[0:1], exec
	s_and_b64 s[24:25], vcc, exec
	v_mov_b64_e32 v[2:3], 0
	s_or_b64 s[0:1], s[0:1], s[24:25]
; %bb.175:
	s_or_b64 exec, exec, s[18:19]
	s_and_saveexec_b64 s[18:19], s[0:1]
	s_cbranch_execz .LBB496_177
; %bb.176:
	v_and_b32_e32 v3, 0xffff, v4
	v_lshlrev_b32_e32 v2, 24, v4
	v_and_b32_e32 v4, 7, v3
	v_ffbh_u32_e32 v6, v4
	v_min_u32_e32 v6, 32, v6
	v_subrev_u32_e32 v7, 28, v6
	v_bfe_u32 v5, v3, 3, 4
	v_lshlrev_b32_e32 v3, v7, v3
	v_sub_u32_e32 v6, 29, v6
	v_and_b32_e32 v3, 7, v3
	v_cmp_eq_u32_e32 vcc, 0, v5
	v_and_b32_e32 v2, 0x80000000, v2
	s_nop 0
	v_cndmask_b32_e32 v5, v5, v6, vcc
	v_cndmask_b32_e32 v3, v4, v3, vcc
	v_mov_b32_e32 v4, 0x3b800000
	v_lshlrev_b32_e32 v3, 20, v3
	v_lshl_add_u32 v4, v5, 23, v4
	v_or3_b32 v2, v2, v4, v3
	v_cvt_f64_f32_e32 v[2:3], v2
.LBB496_177:
	s_or_b64 exec, exec, s[18:19]
.LBB496_178:
	s_mov_b64 s[0:1], -1
	v_mov_b64_e32 v[4:5], 0
.LBB496_179:
	s_branch .LBB496_212
.LBB496_180:
	s_cmp_gt_i32 s28, 22
	s_cbranch_scc0 .LBB496_192
; %bb.181:
	s_cmp_lt_i32 s28, 24
	s_cbranch_scc1 .LBB496_193
; %bb.182:
	s_cmp_gt_i32 s28, 24
	s_cbranch_scc0 .LBB496_194
; %bb.183:
	global_load_ubyte v4, v[0:1], off
	s_movk_i32 s0, 0x7f
	s_waitcnt vmcnt(0)
	v_cmp_lt_i16_e32 vcc, s0, v4
	s_mov_b64 s[0:1], 0
	s_and_saveexec_b64 s[18:19], vcc
	s_xor_b64 s[18:19], exec, s[18:19]
	s_cbranch_execz .LBB496_187
; %bb.184:
	s_movk_i32 s0, 0x80
	v_cmp_eq_u16_e32 vcc, s0, v4
	s_mov_b64 s[0:1], -1
	s_and_saveexec_b64 s[24:25], vcc
; %bb.185:
	s_xor_b64 s[0:1], exec, -1
; %bb.186:
	s_or_b64 exec, exec, s[24:25]
	s_and_b64 s[0:1], s[0:1], exec
.LBB496_187:
	s_or_saveexec_b64 s[18:19], s[18:19]
	v_bfrev_b32_e32 v2, 4
	v_mov_b32_e32 v3, 0x7ff80000
	s_xor_b64 exec, exec, s[18:19]
; %bb.188:
	v_cmp_ne_u16_e32 vcc, 0, v4
	s_andn2_b64 s[0:1], s[0:1], exec
	s_and_b64 s[24:25], vcc, exec
	v_mov_b64_e32 v[2:3], 0
	s_or_b64 s[0:1], s[0:1], s[24:25]
; %bb.189:
	s_or_b64 exec, exec, s[18:19]
	s_and_saveexec_b64 s[18:19], s[0:1]
	s_cbranch_execz .LBB496_191
; %bb.190:
	v_and_b32_e32 v3, 0xffff, v4
	v_lshlrev_b32_e32 v2, 24, v4
	v_and_b32_e32 v4, 3, v3
	v_ffbh_u32_e32 v6, v4
	v_min_u32_e32 v6, 32, v6
	v_subrev_u32_e32 v7, 29, v6
	v_bfe_u32 v5, v3, 2, 5
	v_lshlrev_b32_e32 v3, v7, v3
	v_sub_u32_e32 v6, 30, v6
	v_and_b32_e32 v3, 3, v3
	v_cmp_eq_u32_e32 vcc, 0, v5
	v_and_b32_e32 v2, 0x80000000, v2
	s_nop 0
	v_cndmask_b32_e32 v5, v5, v6, vcc
	v_cndmask_b32_e32 v3, v4, v3, vcc
	v_mov_b32_e32 v4, 0x37800000
	v_lshlrev_b32_e32 v3, 21, v3
	v_lshl_add_u32 v4, v5, 23, v4
	v_or3_b32 v2, v2, v4, v3
	v_cvt_f64_f32_e32 v[2:3], v2
.LBB496_191:
	s_or_b64 exec, exec, s[18:19]
	s_mov_b64 s[0:1], 0
	s_branch .LBB496_195
.LBB496_192:
                                        ; implicit-def: $vgpr2_vgpr3
	s_branch .LBB496_201
.LBB496_193:
	s_mov_b64 s[0:1], -1
                                        ; implicit-def: $vgpr2_vgpr3
	s_branch .LBB496_198
.LBB496_194:
	s_mov_b64 s[0:1], -1
                                        ; implicit-def: $vgpr2_vgpr3
.LBB496_195:
	s_and_b64 vcc, exec, s[0:1]
	s_cbranch_vccz .LBB496_197
; %bb.196:
	global_load_ubyte v2, v[0:1], off
	s_mov_b32 s0, 0x7f800000
	s_waitcnt vmcnt(0)
	v_lshlrev_b32_e32 v2, 24, v2
	v_and_b32_e32 v3, 0x7f000000, v2
	v_ffbh_u32_e32 v4, v3
	v_min_u32_e32 v4, 32, v4
	v_sub_u32_e64 v4, v4, 4 clamp
	v_lshlrev_b32_e32 v6, v4, v3
	v_lshlrev_b32_e32 v4, 23, v4
	v_lshrrev_b32_e32 v6, 4, v6
	v_add_u32_e32 v5, 0x1000000, v3
	v_sub_u32_e32 v4, v6, v4
	v_ashrrev_i32_e32 v5, 8, v5
	v_add_u32_e32 v4, 0x3c000000, v4
	v_and_or_b32 v4, v5, s0, v4
	v_cmp_ne_u32_e32 vcc, 0, v3
	s_brev_b32 s0, 1
	s_nop 0
	v_cndmask_b32_e32 v3, 0, v4, vcc
	v_and_or_b32 v2, v2, s0, v3
	v_cvt_f64_f32_e32 v[2:3], v2
.LBB496_197:
	s_mov_b64 s[0:1], 0
.LBB496_198:
	s_andn2_b64 vcc, exec, s[0:1]
	s_cbranch_vccnz .LBB496_200
; %bb.199:
	global_load_ubyte v2, v[0:1], off
	s_movk_i32 s0, 0x7f00
	s_brev_b32 s1, 16
	s_waitcnt vmcnt(0)
	v_lshlrev_b16_e32 v3, 8, v2
	v_lshlrev_b32_e32 v2, 25, v2
	v_lshrrev_b32_e32 v4, 4, v2
	v_and_or_b32 v5, v3, s0, 0.5
	v_or_b32_e32 v4, 0x70000000, v4
	v_add_f32_e32 v5, -0.5, v5
	v_mul_f32_e32 v4, 0x7800000, v4
	v_cmp_gt_u32_e32 vcc, s1, v2
	v_bfe_i32 v3, v3, 0, 16
	s_brev_b32 s0, 1
	v_cndmask_b32_e32 v2, v4, v5, vcc
	v_and_or_b32 v2, v3, s0, v2
	v_cvt_f64_f32_e32 v[2:3], v2
.LBB496_200:
	s_mov_b64 s[0:1], -1
	s_cbranch_execnz .LBB496_211
.LBB496_201:
	s_cmp_gt_i32 s28, 14
	s_cbranch_scc0 .LBB496_204
; %bb.202:
	s_cmp_eq_u32 s28, 15
	s_cbranch_scc0 .LBB496_205
; %bb.203:
	global_load_ushort v2, v[0:1], off
	s_mov_b64 s[0:1], -1
	s_mov_b64 s[20:21], 0
	s_waitcnt vmcnt(0)
	v_lshlrev_b32_e32 v2, 16, v2
	v_cvt_f64_f32_e32 v[2:3], v2
	s_branch .LBB496_206
.LBB496_204:
	s_mov_b64 s[18:19], -1
                                        ; implicit-def: $vgpr2_vgpr3
	s_branch .LBB496_207
.LBB496_205:
	s_mov_b64 s[20:21], -1
                                        ; implicit-def: $vgpr2_vgpr3
.LBB496_206:
	s_mov_b64 s[18:19], 0
.LBB496_207:
	s_and_b64 vcc, exec, s[18:19]
	s_cbranch_vccz .LBB496_211
; %bb.208:
	s_cmp_eq_u32 s28, 11
	s_cbranch_scc0 .LBB496_210
; %bb.209:
	global_load_ubyte v3, v[0:1], off
	v_mov_b32_e32 v4, 0x3ff00000
	v_mov_b32_e32 v2, 0
	s_mov_b64 s[0:1], -1
	s_mov_b64 s[20:21], 0
	s_waitcnt vmcnt(0)
	v_cmp_ne_u16_e32 vcc, 0, v3
	s_nop 1
	v_cndmask_b32_e32 v3, 0, v4, vcc
	s_branch .LBB496_211
.LBB496_210:
	s_mov_b64 s[20:21], -1
                                        ; implicit-def: $vgpr2_vgpr3
.LBB496_211:
	v_mov_b64_e32 v[4:5], 0
.LBB496_212:
	s_branch .LBB496_10
.LBB496_213:
	s_cmp_lt_i32 s28, 5
	s_cbranch_scc1 .LBB496_218
; %bb.214:
	s_cmp_lt_i32 s28, 8
	s_cbranch_scc1 .LBB496_219
; %bb.215:
	;; [unrolled: 3-line block ×3, first 2 shown]
	s_cmp_gt_i32 s28, 9
	s_cbranch_scc0 .LBB496_221
; %bb.217:
	global_load_dwordx4 v[2:5], v[0:1], off
	s_mov_b64 s[0:1], 0
	s_branch .LBB496_222
.LBB496_218:
                                        ; implicit-def: $vgpr4_vgpr5
	s_branch .LBB496_241
.LBB496_219:
	s_mov_b64 s[0:1], -1
                                        ; implicit-def: $vgpr4_vgpr5
	s_branch .LBB496_228
.LBB496_220:
	s_mov_b64 s[0:1], -1
                                        ; implicit-def: $vgpr4_vgpr5
	s_branch .LBB496_225
.LBB496_221:
	s_mov_b64 s[0:1], -1
                                        ; implicit-def: $vgpr4_vgpr5
.LBB496_222:
	s_andn2_b64 vcc, exec, s[0:1]
	s_cbranch_vccnz .LBB496_224
; %bb.223:
	global_load_dwordx2 v[4:5], v[0:1], off
	s_waitcnt vmcnt(0)
	v_cvt_f64_f32_e32 v[2:3], v4
	v_cvt_f64_f32_e32 v[4:5], v5
.LBB496_224:
	s_mov_b64 s[0:1], 0
.LBB496_225:
	s_andn2_b64 vcc, exec, s[0:1]
	s_cbranch_vccnz .LBB496_227
; %bb.226:
	global_load_dword v2, v[0:1], off
	s_waitcnt vmcnt(0)
	v_cvt_f32_f16_e32 v3, v2
	v_cvt_f32_f16_sdwa v4, v2 dst_sel:DWORD dst_unused:UNUSED_PAD src0_sel:WORD_1
	v_cvt_f64_f32_e32 v[2:3], v3
	v_cvt_f64_f32_e32 v[4:5], v4
.LBB496_227:
	s_mov_b64 s[0:1], 0
.LBB496_228:
	s_andn2_b64 vcc, exec, s[0:1]
	s_cbranch_vccnz .LBB496_240
; %bb.229:
	s_cmp_lt_i32 s28, 6
	s_cbranch_scc1 .LBB496_232
; %bb.230:
	s_cmp_gt_i32 s28, 6
	s_cbranch_scc0 .LBB496_233
; %bb.231:
	global_load_dwordx2 v[2:3], v[0:1], off
	s_mov_b64 s[0:1], 0
	s_branch .LBB496_234
.LBB496_232:
	s_mov_b64 s[0:1], -1
                                        ; implicit-def: $vgpr2_vgpr3
	s_branch .LBB496_237
.LBB496_233:
	s_mov_b64 s[0:1], -1
                                        ; implicit-def: $vgpr2_vgpr3
.LBB496_234:
	s_andn2_b64 vcc, exec, s[0:1]
	s_cbranch_vccnz .LBB496_236
; %bb.235:
	global_load_dword v2, v[0:1], off
	s_waitcnt vmcnt(0)
	v_cvt_f64_f32_e32 v[2:3], v2
.LBB496_236:
	s_mov_b64 s[0:1], 0
.LBB496_237:
	s_andn2_b64 vcc, exec, s[0:1]
	s_cbranch_vccnz .LBB496_239
; %bb.238:
	global_load_ushort v2, v[0:1], off
	s_waitcnt vmcnt(0)
	v_cvt_f32_f16_e32 v2, v2
	v_cvt_f64_f32_e32 v[2:3], v2
.LBB496_239:
	s_waitcnt vmcnt(0)
	v_mov_b64_e32 v[4:5], 0
.LBB496_240:
	s_cbranch_execnz .LBB496_261
.LBB496_241:
	s_cmp_lt_i32 s28, 2
	s_cbranch_scc1 .LBB496_245
; %bb.242:
	s_cmp_lt_i32 s28, 3
	s_cbranch_scc1 .LBB496_246
; %bb.243:
	s_cmp_gt_i32 s28, 3
	s_cbranch_scc0 .LBB496_247
; %bb.244:
	global_load_dwordx2 v[2:3], v[0:1], off
	s_mov_b64 s[0:1], 0
	s_waitcnt vmcnt(0)
	v_cvt_f64_i32_e32 v[4:5], v3
	v_cvt_f64_u32_e32 v[2:3], v2
	v_ldexp_f64 v[4:5], v[4:5], 32
	v_add_f64 v[2:3], v[4:5], v[2:3]
	s_branch .LBB496_248
.LBB496_245:
	s_mov_b64 s[0:1], -1
                                        ; implicit-def: $vgpr2_vgpr3
	s_branch .LBB496_254
.LBB496_246:
	s_mov_b64 s[0:1], -1
                                        ; implicit-def: $vgpr2_vgpr3
	s_branch .LBB496_251
.LBB496_247:
	s_mov_b64 s[0:1], -1
                                        ; implicit-def: $vgpr2_vgpr3
.LBB496_248:
	s_andn2_b64 vcc, exec, s[0:1]
	s_cbranch_vccnz .LBB496_250
; %bb.249:
	global_load_dword v2, v[0:1], off
	s_waitcnt vmcnt(0)
	v_cvt_f64_i32_e32 v[2:3], v2
.LBB496_250:
	s_mov_b64 s[0:1], 0
.LBB496_251:
	s_andn2_b64 vcc, exec, s[0:1]
	s_cbranch_vccnz .LBB496_253
; %bb.252:
	global_load_sshort v2, v[0:1], off
	s_waitcnt vmcnt(0)
	v_cvt_f64_i32_e32 v[2:3], v2
.LBB496_253:
	s_mov_b64 s[0:1], 0
.LBB496_254:
	s_andn2_b64 vcc, exec, s[0:1]
	s_cbranch_vccnz .LBB496_260
; %bb.255:
	s_cmp_gt_i32 s28, 0
	s_cbranch_scc0 .LBB496_257
; %bb.256:
	global_load_sbyte v2, v[0:1], off
	s_mov_b64 s[0:1], 0
	s_waitcnt vmcnt(0)
	v_cvt_f64_i32_e32 v[2:3], v2
	s_branch .LBB496_258
.LBB496_257:
	s_mov_b64 s[0:1], -1
                                        ; implicit-def: $vgpr2_vgpr3
.LBB496_258:
	s_andn2_b64 vcc, exec, s[0:1]
	s_cbranch_vccnz .LBB496_260
; %bb.259:
	global_load_ubyte v0, v[0:1], off
	s_waitcnt vmcnt(0)
	v_cvt_f64_u32_e32 v[2:3], v0
.LBB496_260:
	s_waitcnt vmcnt(0)
	v_mov_b64_e32 v[4:5], 0
.LBB496_261:
	s_branch .LBB496_11
.LBB496_262:
	s_mov_b64 s[18:19], 0
                                        ; implicit-def: $vgpr20
	s_mov_b64 s[0:1], 0
.LBB496_263:
	s_and_b64 s[18:19], s[18:19], exec
	s_and_b64 s[20:21], s[20:21], exec
	s_orn2_b64 s[24:25], s[0:1], exec
.LBB496_264:
	s_or_b64 exec, exec, s[22:23]
	s_mov_b64 s[28:29], 0
	s_mov_b64 s[0:1], 0
                                        ; implicit-def: $vgpr0_vgpr1
                                        ; implicit-def: $vgpr6_vgpr7
	s_and_saveexec_b64 s[22:23], s[24:25]
	s_cbranch_execz .LBB496_273
; %bb.265:
	v_cmp_gt_i32_e32 vcc, s44, v20
	s_mov_b64 s[0:1], -1
	s_mov_b64 s[24:25], s[20:21]
	s_mov_b64 s[26:27], s[18:19]
	s_and_saveexec_b64 s[28:29], vcc
	s_cbranch_execz .LBB496_538
; %bb.266:
	v_mul_lo_u32 v0, v20, s13
	v_ashrrev_i32_e32 v1, 31, v0
	s_and_b32 s34, 0xffff, s48
	s_cmp_lt_i32 s34, 11
	v_lshl_add_u64 v[0:1], s[6:7], 0, v[0:1]
	s_cbranch_scc1 .LBB496_276
; %bb.267:
	s_cmp_gt_i32 s34, 25
	s_cbranch_scc0 .LBB496_293
; %bb.268:
	s_cmp_gt_i32 s34, 28
	s_cbranch_scc0 .LBB496_295
	;; [unrolled: 3-line block ×4, first 2 shown]
; %bb.271:
	s_cmp_eq_u32 s34, 46
	s_mov_b64 s[26:27], 0
	s_cbranch_scc0 .LBB496_305
; %bb.272:
	global_load_dword v2, v[0:1], off
	s_mov_b64 s[24:25], 0
	s_waitcnt vmcnt(0)
	v_and_b32_e32 v4, 0xffff0000, v2
	v_lshlrev_b32_e32 v2, 16, v2
	v_cvt_f64_f32_e32 v[2:3], v2
	v_cvt_f64_f32_e32 v[4:5], v4
	s_branch .LBB496_306
.LBB496_273:
	s_or_b64 exec, exec, s[22:23]
	s_mov_b64 s[22:23], 0
	s_and_saveexec_b64 s[24:25], s[20:21]
	s_cbranch_execnz .LBB496_900
.LBB496_274:
	s_or_b64 exec, exec, s[24:25]
	s_and_saveexec_b64 s[20:21], s[26:27]
	s_xor_b64 s[20:21], exec, s[20:21]
	s_cbranch_execz .LBB496_901
.LBB496_275:
	global_load_ubyte v2, v[0:1], off
	s_waitcnt vmcnt(1)
	v_mov_b32_e32 v3, 0x3ff00000
	v_mov_b32_e32 v4, 0
	v_mov_b64_e32 v[6:7], 0
	s_or_b64 s[0:1], s[0:1], exec
	s_waitcnt vmcnt(0)
	v_cmp_ne_u16_e32 vcc, 0, v2
	s_nop 1
	v_cndmask_b32_e32 v5, 0, v3, vcc
	s_or_b64 exec, exec, s[20:21]
	s_and_saveexec_b64 s[20:21], s[28:29]
	s_cbranch_execz .LBB496_949
	s_branch .LBB496_902
.LBB496_276:
	s_mov_b64 s[0:1], 0
                                        ; implicit-def: $vgpr4_vgpr5
	s_mov_b64 s[24:25], s[20:21]
	s_cbranch_execnz .LBB496_486
.LBB496_277:
	s_andn2_b64 vcc, exec, s[0:1]
	s_cbranch_vccnz .LBB496_536
.LBB496_278:
	s_waitcnt vmcnt(0)
	v_cmp_o_f64_e32 vcc, v[2:3], v[2:3]
	v_mov_b64_e32 v[0:1], s[8:9]
	s_and_saveexec_b64 s[0:1], vcc
	s_cbranch_execz .LBB496_282
; %bb.279:
	s_mov_b32 s26, 0
	s_mov_b32 s27, 0x7ff00000
	v_cmp_neq_f64_e32 vcc, s[26:27], v[2:3]
	v_mov_b64_e32 v[0:1], s[10:11]
	s_and_saveexec_b64 s[26:27], vcc
; %bb.280:
	s_mov_b32 s30, 0
	s_mov_b32 s31, 0xfff00000
	v_mov_b32_e32 v0, s15
	v_cmp_eq_f64_e32 vcc, s[30:31], v[2:3]
	s_nop 1
	v_cndmask_b32_e32 v1, v3, v0, vcc
	v_mov_b32_e32 v0, s14
	v_cndmask_b32_e32 v0, v2, v0, vcc
; %bb.281:
	s_or_b64 exec, exec, s[26:27]
.LBB496_282:
	s_or_b64 exec, exec, s[0:1]
	v_cmp_o_f64_e32 vcc, v[4:5], v[4:5]
	v_mov_b64_e32 v[2:3], s[8:9]
	s_and_saveexec_b64 s[0:1], vcc
	s_cbranch_execz .LBB496_286
; %bb.283:
	s_mov_b32 s26, 0
	s_mov_b32 s27, 0x7ff00000
	v_cmp_neq_f64_e32 vcc, s[26:27], v[4:5]
	v_mov_b64_e32 v[2:3], s[10:11]
	s_and_saveexec_b64 s[26:27], vcc
; %bb.284:
	s_mov_b32 s30, 0
	s_mov_b32 s31, 0xfff00000
	v_mov_b32_e32 v2, s15
	v_cmp_eq_f64_e32 vcc, s[30:31], v[4:5]
	s_nop 1
	v_cndmask_b32_e32 v3, v5, v2, vcc
	v_mov_b32_e32 v2, s14
	v_cndmask_b32_e32 v2, v4, v2, vcc
; %bb.285:
	s_or_b64 exec, exec, s[26:27]
.LBB496_286:
	s_or_b64 exec, exec, s[0:1]
	v_mul_lo_u32 v4, v20, s12
	v_ashrrev_i32_e32 v5, 31, v4
	s_and_b32 s36, s33, 0xff
	s_cmp_lt_i32 s36, 11
	v_lshl_add_u64 v[4:5], s[4:5], 0, v[4:5]
	s_cbranch_scc1 .LBB496_294
; %bb.287:
	s_and_b32 s37, 0xffff, s36
	s_cmp_gt_i32 s37, 25
	s_cbranch_scc0 .LBB496_296
; %bb.288:
	s_cmp_gt_i32 s37, 28
	s_cbranch_scc0 .LBB496_298
; %bb.289:
	;; [unrolled: 3-line block ×4, first 2 shown]
	s_mov_b64 s[30:31], 0
	s_mov_b64 s[26:27], -1
	s_cmp_eq_u32 s37, 46
	s_mov_b64 s[0:1], 0
	s_cbranch_scc0 .LBB496_310
; %bb.292:
	v_cvt_f32_f64_e32 v7, v[2:3]
	s_movk_i32 s0, 0x7fff
	v_bfe_u32 v9, v7, 16, 1
	v_cvt_f32_f64_e32 v6, v[0:1]
	v_add3_u32 v9, v7, v9, s0
	v_bfe_u32 v8, v6, 16, 1
	v_and_b32_e32 v9, 0xffff0000, v9
	v_mov_b32_e32 v10, 0x7fc00000
	v_cmp_o_f32_e32 vcc, v7, v7
	v_add3_u32 v8, v6, v8, s0
	s_mov_b64 s[0:1], -1
	v_cndmask_b32_e32 v7, v10, v9, vcc
	v_cmp_o_f32_e32 vcc, v6, v6
	v_mov_b32_e32 v6, 0x7fc0
	s_mov_b64 s[26:27], 0
	v_cndmask_b32_sdwa v6, v6, v8, vcc dst_sel:DWORD dst_unused:UNUSED_PAD src0_sel:DWORD src1_sel:WORD_1
	v_or_b32_e32 v6, v7, v6
	global_store_dword v[4:5], v6, off
	s_branch .LBB496_310
.LBB496_293:
	s_mov_b64 s[26:27], -1
	s_mov_b64 s[0:1], 0
	s_mov_b64 s[24:25], s[20:21]
                                        ; implicit-def: $vgpr4_vgpr5
	s_branch .LBB496_451
.LBB496_294:
	s_mov_b64 s[30:31], -1
	s_mov_b64 s[0:1], 0
	s_mov_b64 s[26:27], s[18:19]
	s_branch .LBB496_379
.LBB496_295:
	s_mov_b64 s[26:27], -1
	s_mov_b64 s[0:1], 0
	s_mov_b64 s[24:25], s[20:21]
                                        ; implicit-def: $vgpr4_vgpr5
	s_branch .LBB496_430
.LBB496_296:
	s_mov_b64 s[30:31], -1
	s_mov_b64 s[0:1], 0
	s_mov_b64 s[26:27], s[18:19]
	s_branch .LBB496_337
.LBB496_297:
	s_mov_b64 s[26:27], -1
	s_mov_b64 s[0:1], 0
	s_mov_b64 s[24:25], s[20:21]
                                        ; implicit-def: $vgpr4_vgpr5
	s_branch .LBB496_424
.LBB496_298:
	s_mov_b64 s[30:31], -1
	s_mov_b64 s[0:1], 0
	s_mov_b64 s[26:27], s[18:19]
	s_branch .LBB496_320
.LBB496_299:
	s_andn2_saveexec_b64 s[28:29], s[28:29]
	s_cbranch_execz .LBB496_63
.LBB496_300:
	s_mov_b32 s34, 0x46000000
	v_add_f32_e64 v7, |v6|, s34
	v_and_b32_e32 v7, 0xff, v7
	v_cmp_ne_u32_e32 vcc, 0, v7
	s_andn2_b64 s[24:25], s[24:25], exec
	s_and_b64 s[34:35], vcc, exec
	s_or_b64 s[24:25], s[24:25], s[34:35]
	s_or_b64 exec, exec, s[28:29]
	v_mov_b32_e32 v8, 0
	s_and_saveexec_b64 s[28:29], s[24:25]
	s_cbranch_execnz .LBB496_64
	s_branch .LBB496_65
.LBB496_301:
	s_mov_b64 s[26:27], -1
	s_mov_b64 s[0:1], 0
	s_mov_b64 s[24:25], s[20:21]
                                        ; implicit-def: $vgpr4_vgpr5
	s_branch .LBB496_306
.LBB496_302:
	s_mov_b64 s[30:31], -1
	s_mov_b64 s[0:1], 0
	s_mov_b64 s[26:27], s[18:19]
	s_branch .LBB496_316
.LBB496_303:
	s_andn2_saveexec_b64 s[28:29], s[28:29]
	s_cbranch_execz .LBB496_76
.LBB496_304:
	s_mov_b32 s34, 0x42800000
	v_add_f32_e64 v7, |v6|, s34
	v_and_b32_e32 v7, 0xff, v7
	v_cmp_ne_u32_e32 vcc, 0, v7
	s_andn2_b64 s[24:25], s[24:25], exec
	s_and_b64 s[34:35], vcc, exec
	s_or_b64 s[24:25], s[24:25], s[34:35]
	s_or_b64 exec, exec, s[28:29]
	v_mov_b32_e32 v8, 0
	s_and_saveexec_b64 s[28:29], s[24:25]
	s_cbranch_execnz .LBB496_77
	s_branch .LBB496_78
.LBB496_305:
	s_mov_b64 s[24:25], -1
                                        ; implicit-def: $vgpr4_vgpr5
	s_mov_b64 s[0:1], 0
.LBB496_306:
	s_and_b64 vcc, exec, s[26:27]
	s_cbranch_vccz .LBB496_423
; %bb.307:
	s_cmp_eq_u32 s34, 44
	s_cbranch_scc0 .LBB496_421
; %bb.308:
	global_load_ubyte v4, v[0:1], off
	s_movk_i32 s24, 0xff
	s_waitcnt vmcnt(1)
	v_bfrev_b32_e32 v5, 4
	v_mov_b32_e32 v6, 0x7ff80000
	v_bfrev_b32_e32 v7, 28
	s_mov_b64 s[0:1], -1
	s_waitcnt vmcnt(0)
	v_lshlrev_b32_e32 v2, 23, v4
	v_cvt_f64_f32_e32 v[2:3], v2
	v_cmp_ne_u32_e32 vcc, s24, v4
	s_mov_b64 s[24:25], 0
	s_nop 0
	v_cndmask_b32_e32 v2, v5, v2, vcc
	v_cndmask_b32_e32 v3, v6, v3, vcc
	v_cmp_ne_u32_e32 vcc, 0, v4
	s_nop 1
	v_cndmask_b32_e32 v3, v7, v3, vcc
	v_cndmask_b32_e32 v2, 0, v2, vcc
	s_branch .LBB496_422
.LBB496_309:
	s_mov_b64 s[30:31], -1
	s_mov_b64 s[0:1], 0
	s_mov_b64 s[26:27], s[18:19]
.LBB496_310:
	s_and_b64 vcc, exec, s[30:31]
	s_cbranch_vccz .LBB496_315
; %bb.311:
	s_cmp_eq_u32 s37, 44
	s_mov_b64 s[26:27], -1
	s_cbranch_scc0 .LBB496_315
; %bb.312:
	v_cvt_f32_f64_e32 v6, v[0:1]
	v_bfe_u32 v7, v6, 23, 8
	s_movk_i32 s0, 0xff
	v_cmp_ne_u32_e32 vcc, s0, v7
	v_mov_b32_e32 v8, 0xff
	s_and_saveexec_b64 s[26:27], vcc
; %bb.313:
	s_mov_b32 s0, 0x3fffff
	v_lshrrev_b32_e32 v8, 23, v6
	v_and_b32_e32 v9, 0x400000, v6
	v_and_or_b32 v6, v6, s0, v7
	v_cmp_ne_u32_e32 vcc, 0, v9
	v_cmp_ne_u32_e64 s[0:1], 0, v6
	s_and_b64 s[0:1], vcc, s[0:1]
	s_nop 0
	v_cndmask_b32_e64 v6, 0, 1, s[0:1]
	v_add_u32_e32 v8, v8, v6
; %bb.314:
	s_or_b64 exec, exec, s[26:27]
	s_mov_b64 s[0:1], -1
	s_mov_b64 s[26:27], 0
	global_store_byte v[4:5], v8, off
.LBB496_315:
	s_mov_b64 s[30:31], 0
.LBB496_316:
	s_and_b64 vcc, exec, s[30:31]
	s_cbranch_vccz .LBB496_319
; %bb.317:
	s_cmp_eq_u32 s37, 29
	s_mov_b64 s[26:27], -1
	s_cbranch_scc0 .LBB496_319
; %bb.318:
	v_trunc_f64_e32 v[6:7], v[0:1]
	s_movk_i32 s0, 0xffe0
	v_ldexp_f64 v[8:9], v[6:7], s0
	v_floor_f64_e32 v[8:9], v[8:9]
	v_fmac_f64_e32 v[6:7], 0xc1f00000, v[8:9]
	v_cvt_u32_f64_e32 v11, v[8:9]
	v_cvt_u32_f64_e32 v10, v[6:7]
	global_store_dwordx2 v[4:5], v[10:11], off
	s_mov_b64 s[0:1], -1
	s_mov_b64 s[26:27], 0
.LBB496_319:
	s_mov_b64 s[30:31], 0
.LBB496_320:
	s_and_b64 vcc, exec, s[30:31]
	s_cbranch_vccz .LBB496_336
; %bb.321:
	s_cmp_lt_i32 s37, 27
	s_mov_b64 s[0:1], -1
	s_cbranch_scc1 .LBB496_327
; %bb.322:
	s_cmp_gt_i32 s37, 27
	v_cvt_u32_f64_e32 v6, v[0:1]
	s_cbranch_scc0 .LBB496_324
; %bb.323:
	s_mov_b64 s[0:1], 0
	global_store_dword v[4:5], v6, off
.LBB496_324:
	s_andn2_b64 vcc, exec, s[0:1]
	s_cbranch_vccnz .LBB496_326
; %bb.325:
	global_store_short v[4:5], v6, off
.LBB496_326:
	s_mov_b64 s[0:1], 0
.LBB496_327:
	s_andn2_b64 vcc, exec, s[0:1]
	s_cbranch_vccnz .LBB496_335
; %bb.328:
	v_cvt_f32_f64_e32 v6, v[0:1]
	v_and_b32_e32 v7, 0x7fffffff, v6
	s_mov_b32 s0, 0x43800000
	v_cmp_gt_u32_e32 vcc, s0, v7
	v_mov_b32_e32 v8, 0x80
	s_and_saveexec_b64 s[0:1], vcc
	s_cbranch_execz .LBB496_334
; %bb.329:
	s_mov_b32 s30, 0x3bffffff
	v_cmp_lt_u32_e32 vcc, s30, v7
	s_mov_b64 s[30:31], 0
                                        ; implicit-def: $vgpr7
	s_and_saveexec_b64 s[34:35], vcc
	s_xor_b64 s[34:35], exec, s[34:35]
	s_cbranch_execz .LBB496_551
; %bb.330:
	v_bfe_u32 v7, v6, 20, 1
	s_mov_b32 s38, 0x487ffff
	v_add3_u32 v7, v6, v7, s38
	s_mov_b64 s[30:31], exec
	v_lshrrev_b32_e32 v7, 20, v7
	s_andn2_saveexec_b64 s[34:35], s[34:35]
	s_cbranch_execnz .LBB496_552
.LBB496_331:
	s_or_b64 exec, exec, s[34:35]
	v_mov_b32_e32 v8, 0
	s_and_saveexec_b64 s[34:35], s[30:31]
.LBB496_332:
	v_lshrrev_b32_e32 v6, 24, v6
	s_movk_i32 s30, 0x80
	v_and_or_b32 v8, v6, s30, v7
.LBB496_333:
	s_or_b64 exec, exec, s[34:35]
.LBB496_334:
	s_or_b64 exec, exec, s[0:1]
	global_store_byte v[4:5], v8, off
.LBB496_335:
	s_mov_b64 s[0:1], -1
.LBB496_336:
	s_mov_b64 s[30:31], 0
.LBB496_337:
	s_and_b64 vcc, exec, s[30:31]
	s_cbranch_vccz .LBB496_378
; %bb.338:
	s_cmp_gt_i32 s37, 22
	s_mov_b64 s[30:31], -1
	s_cbranch_scc0 .LBB496_370
; %bb.339:
	s_cmp_lt_i32 s37, 24
	s_mov_b64 s[0:1], -1
	s_cbranch_scc1 .LBB496_359
; %bb.340:
	s_cmp_gt_i32 s37, 24
	s_cbranch_scc0 .LBB496_348
; %bb.341:
	v_cvt_f32_f64_e32 v6, v[0:1]
	v_and_b32_e32 v7, 0x7fffffff, v6
	s_mov_b32 s0, 0x47800000
	v_cmp_gt_u32_e32 vcc, s0, v7
	v_mov_b32_e32 v8, 0x80
	s_and_saveexec_b64 s[0:1], vcc
	s_cbranch_execz .LBB496_347
; %bb.342:
	s_mov_b32 s30, 0x37ffffff
	v_cmp_lt_u32_e32 vcc, s30, v7
	s_mov_b64 s[30:31], 0
                                        ; implicit-def: $vgpr7
	s_and_saveexec_b64 s[34:35], vcc
	s_xor_b64 s[34:35], exec, s[34:35]
	s_cbranch_execz .LBB496_554
; %bb.343:
	v_bfe_u32 v7, v6, 21, 1
	s_mov_b32 s38, 0x88fffff
	v_add3_u32 v7, v6, v7, s38
	s_mov_b64 s[30:31], exec
	v_lshrrev_b32_e32 v7, 21, v7
	s_andn2_saveexec_b64 s[34:35], s[34:35]
	s_cbranch_execnz .LBB496_555
.LBB496_344:
	s_or_b64 exec, exec, s[34:35]
	v_mov_b32_e32 v8, 0
	s_and_saveexec_b64 s[34:35], s[30:31]
.LBB496_345:
	v_lshrrev_b32_e32 v6, 24, v6
	s_movk_i32 s30, 0x80
	v_and_or_b32 v8, v6, s30, v7
.LBB496_346:
	s_or_b64 exec, exec, s[34:35]
.LBB496_347:
	s_or_b64 exec, exec, s[0:1]
	s_mov_b64 s[0:1], 0
	global_store_byte v[4:5], v8, off
.LBB496_348:
	s_and_b64 vcc, exec, s[0:1]
	s_cbranch_vccz .LBB496_358
; %bb.349:
	v_cvt_f32_f64_e32 v6, v[0:1]
	v_and_b32_e32 v8, 0x7fffffff, v6
	s_mov_b32 s0, 0x43f00000
	v_cmp_gt_u32_e32 vcc, s0, v8
                                        ; implicit-def: $vgpr7
	s_and_saveexec_b64 s[0:1], vcc
	s_xor_b64 s[0:1], exec, s[0:1]
	s_cbranch_execz .LBB496_355
; %bb.350:
	s_mov_b32 s30, 0x3c7fffff
	v_cmp_lt_u32_e32 vcc, s30, v8
                                        ; implicit-def: $vgpr7
	s_and_saveexec_b64 s[30:31], vcc
	s_xor_b64 s[30:31], exec, s[30:31]
; %bb.351:
	v_bfe_u32 v7, v6, 20, 1
	s_mov_b32 s34, 0x407ffff
	v_add3_u32 v7, v6, v7, s34
	v_lshrrev_b32_e32 v8, 20, v7
	v_and_b32_e32 v7, 0xff00000, v7
	s_mov_b32 s34, 0x7f00000
	v_mov_b32_e32 v9, 0x7e
	v_cmp_ne_u32_e32 vcc, s34, v7
	s_nop 1
	v_cndmask_b32_e32 v7, v9, v8, vcc
; %bb.352:
	s_andn2_saveexec_b64 s[30:31], s[30:31]
; %bb.353:
	s_mov_b32 s34, 0x46800000
	v_add_f32_e64 v7, |v6|, s34
; %bb.354:
	s_or_b64 exec, exec, s[30:31]
                                        ; implicit-def: $vgpr8
.LBB496_355:
	s_andn2_saveexec_b64 s[0:1], s[0:1]
; %bb.356:
	s_mov_b32 s30, 0x7f800000
	v_mov_b32_e32 v7, 0x7e
	v_mov_b32_e32 v9, 0x7f
	v_cmp_lt_u32_e32 vcc, s30, v8
	s_nop 1
	v_cndmask_b32_e32 v7, v7, v9, vcc
; %bb.357:
	s_or_b64 exec, exec, s[0:1]
	v_lshrrev_b32_e32 v6, 24, v6
	s_movk_i32 s0, 0x80
	v_and_or_b32 v6, v6, s0, v7
	global_store_byte v[4:5], v6, off
.LBB496_358:
	s_mov_b64 s[0:1], 0
.LBB496_359:
	s_andn2_b64 vcc, exec, s[0:1]
	s_cbranch_vccnz .LBB496_369
; %bb.360:
	v_cvt_f32_f64_e32 v6, v[0:1]
	v_and_b32_e32 v8, 0x7fffffff, v6
	s_mov_b32 s0, 0x47800000
	v_cmp_gt_u32_e32 vcc, s0, v8
                                        ; implicit-def: $vgpr7
	s_and_saveexec_b64 s[0:1], vcc
	s_xor_b64 s[0:1], exec, s[0:1]
	s_cbranch_execz .LBB496_366
; %bb.361:
	s_mov_b32 s30, 0x387fffff
	v_cmp_lt_u32_e32 vcc, s30, v8
                                        ; implicit-def: $vgpr7
	s_and_saveexec_b64 s[30:31], vcc
	s_xor_b64 s[30:31], exec, s[30:31]
; %bb.362:
	v_bfe_u32 v7, v6, 21, 1
	s_mov_b32 s34, 0x80fffff
	v_add3_u32 v7, v6, v7, s34
	v_lshrrev_b32_e32 v7, 21, v7
; %bb.363:
	s_andn2_saveexec_b64 s[30:31], s[30:31]
; %bb.364:
	s_mov_b32 s34, 0x43000000
	v_add_f32_e64 v7, |v6|, s34
; %bb.365:
	s_or_b64 exec, exec, s[30:31]
                                        ; implicit-def: $vgpr8
.LBB496_366:
	s_andn2_saveexec_b64 s[0:1], s[0:1]
; %bb.367:
	s_mov_b32 s30, 0x7f800000
	v_mov_b32_e32 v7, 0x7c
	v_mov_b32_e32 v9, 0x7f
	v_cmp_lt_u32_e32 vcc, s30, v8
	s_nop 1
	v_cndmask_b32_e32 v7, v7, v9, vcc
; %bb.368:
	s_or_b64 exec, exec, s[0:1]
	v_lshrrev_b32_e32 v6, 24, v6
	s_movk_i32 s0, 0x80
	v_and_or_b32 v6, v6, s0, v7
	global_store_byte v[4:5], v6, off
.LBB496_369:
	s_mov_b64 s[30:31], 0
	s_mov_b64 s[0:1], -1
.LBB496_370:
	s_andn2_b64 vcc, exec, s[30:31]
	s_cbranch_vccnz .LBB496_378
; %bb.371:
	s_cmp_gt_i32 s37, 14
	s_mov_b64 s[30:31], -1
	s_cbranch_scc0 .LBB496_375
; %bb.372:
	s_cmp_eq_u32 s37, 15
	s_mov_b64 s[26:27], -1
	s_cbranch_scc0 .LBB496_374
; %bb.373:
	v_cvt_f32_f64_e32 v6, v[0:1]
	v_bfe_u32 v7, v6, 16, 1
	s_movk_i32 s0, 0x7fff
	v_add3_u32 v7, v6, v7, s0
	v_cmp_o_f32_e32 vcc, v6, v6
	v_mov_b32_e32 v6, 0x7fc0
	s_mov_b64 s[0:1], -1
	v_cndmask_b32_sdwa v6, v6, v7, vcc dst_sel:DWORD dst_unused:UNUSED_PAD src0_sel:DWORD src1_sel:WORD_1
	global_store_short v[4:5], v6, off
	s_mov_b64 s[26:27], 0
.LBB496_374:
	s_mov_b64 s[30:31], 0
.LBB496_375:
	s_and_b64 vcc, exec, s[30:31]
	s_cbranch_vccz .LBB496_378
; %bb.376:
	s_cmp_eq_u32 s37, 11
	s_mov_b64 s[26:27], -1
	s_cbranch_scc0 .LBB496_378
; %bb.377:
	v_cmp_neq_f64_e32 vcc, 0, v[0:1]
	v_cmp_neq_f64_e64 s[0:1], 0, v[2:3]
	s_or_b64 s[0:1], vcc, s[0:1]
	s_mov_b64 s[26:27], 0
	v_cndmask_b32_e64 v6, 0, 1, s[0:1]
	s_mov_b64 s[0:1], -1
	global_store_byte v[4:5], v6, off
.LBB496_378:
	s_mov_b64 s[30:31], 0
.LBB496_379:
	s_and_b64 vcc, exec, s[30:31]
	s_cbranch_vccz .LBB496_418
; %bb.380:
	s_and_b32 s30, 0xffff, s36
	s_cmp_lt_i32 s30, 5
	s_mov_b64 s[0:1], -1
	s_cbranch_scc1 .LBB496_401
; %bb.381:
	s_cmp_lt_i32 s30, 8
	s_cbranch_scc1 .LBB496_391
; %bb.382:
	s_cmp_lt_i32 s30, 9
	s_cbranch_scc1 .LBB496_388
; %bb.383:
	s_cmp_gt_i32 s30, 9
	s_cbranch_scc0 .LBB496_385
; %bb.384:
	s_mov_b64 s[0:1], 0
	global_store_dwordx4 v[4:5], v[0:3], off
.LBB496_385:
	s_andn2_b64 vcc, exec, s[0:1]
	s_cbranch_vccnz .LBB496_387
; %bb.386:
	v_cvt_f32_f64_e32 v7, v[2:3]
	v_cvt_f32_f64_e32 v6, v[0:1]
	global_store_dwordx2 v[4:5], v[6:7], off
.LBB496_387:
	s_mov_b64 s[0:1], 0
.LBB496_388:
	s_andn2_b64 vcc, exec, s[0:1]
	s_cbranch_vccnz .LBB496_390
; %bb.389:
	s_movk_i32 s0, 0x1ff
	v_and_or_b32 v6, v1, s0, v0
	v_cmp_ne_u32_e32 vcc, 0, v6
	v_lshrrev_b32_e32 v7, 8, v1
	s_movk_i32 s1, 0xffe
	v_cndmask_b32_e64 v6, 0, 1, vcc
	v_bfe_u32 v8, v1, 20, 11
	v_and_or_b32 v6, v7, s1, v6
	v_sub_u32_e32 v9, 0x3f1, v8
	v_or_b32_e32 v7, 0x1000, v6
	v_med3_i32 v9, v9, 0, 13
	v_lshrrev_b32_e32 v10, v9, v7
	v_lshlrev_b32_e32 v9, v9, v10
	v_cmp_ne_u32_e32 vcc, v9, v7
	v_add_u32_e32 v8, 0xfffffc10, v8
	v_lshl_or_b32 v9, v8, 12, v6
	v_cndmask_b32_e64 v7, 0, 1, vcc
	v_or_b32_e32 v7, v10, v7
	v_cmp_gt_i32_e32 vcc, 1, v8
	s_movk_i32 s31, 0x40f
	v_and_or_b32 v2, v3, s0, v2
	v_cndmask_b32_e32 v7, v9, v7, vcc
	v_and_b32_e32 v9, 7, v7
	v_cmp_lt_i32_e32 vcc, 5, v9
	v_lshrrev_b32_e32 v7, 2, v7
	v_bfe_u32 v11, v3, 20, 11
	v_cndmask_b32_e64 v10, 0, 1, vcc
	v_cmp_eq_u32_e32 vcc, 3, v9
	v_sub_u32_e32 v12, 0x3f1, v11
	v_med3_i32 v12, v12, 0, 13
	v_cndmask_b32_e64 v9, 0, 1, vcc
	v_or_b32_e32 v9, v9, v10
	v_add_u32_e32 v7, v7, v9
	v_mov_b32_e32 v9, 0x7c00
	v_cmp_gt_i32_e32 vcc, 31, v8
	v_mov_b32_e32 v10, 0x7e00
	v_add_u32_e32 v11, 0xfffffc10, v11
	v_cndmask_b32_e32 v7, v9, v7, vcc
	v_cmp_ne_u32_e32 vcc, 0, v6
	s_mov_b32 s34, 0x8000
	s_mov_b32 s0, 0xffff
	v_cndmask_b32_e32 v6, v9, v10, vcc
	v_cmp_eq_u32_e32 vcc, s31, v8
	v_lshrrev_b32_e32 v8, 8, v3
	v_lshrrev_b32_e32 v3, 16, v3
	v_cndmask_b32_e32 v6, v7, v6, vcc
	v_cmp_ne_u32_e32 vcc, 0, v2
	v_and_b32_sdwa v7, v1, s34 dst_sel:DWORD dst_unused:UNUSED_PAD src0_sel:WORD_1 src1_sel:DWORD
	s_nop 0
	v_cndmask_b32_e64 v2, 0, 1, vcc
	v_and_or_b32 v2, v8, s1, v2
	v_or_b32_e32 v8, 0x1000, v2
	v_lshrrev_b32_e32 v13, v12, v8
	v_lshlrev_b32_e32 v12, v12, v13
	v_cmp_ne_u32_e32 vcc, v12, v8
	v_lshl_or_b32 v12, v11, 12, v2
	s_nop 0
	v_cndmask_b32_e64 v8, 0, 1, vcc
	v_or_b32_e32 v8, v13, v8
	v_cmp_gt_i32_e32 vcc, 1, v11
	s_nop 1
	v_cndmask_b32_e32 v8, v12, v8, vcc
	v_and_b32_e32 v12, 7, v8
	v_cmp_lt_i32_e32 vcc, 5, v12
	v_lshrrev_b32_e32 v8, 2, v8
	s_nop 0
	v_cndmask_b32_e64 v13, 0, 1, vcc
	v_cmp_eq_u32_e32 vcc, 3, v12
	s_nop 1
	v_cndmask_b32_e64 v12, 0, 1, vcc
	v_or_b32_e32 v12, v12, v13
	v_add_u32_e32 v8, v8, v12
	v_cmp_gt_i32_e32 vcc, 31, v11
	s_nop 1
	v_cndmask_b32_e32 v8, v9, v8, vcc
	v_cmp_ne_u32_e32 vcc, 0, v2
	s_nop 1
	v_cndmask_b32_e32 v2, v9, v10, vcc
	v_cmp_eq_u32_e32 vcc, s31, v11
	s_nop 1
	v_cndmask_b32_e32 v2, v8, v2, vcc
	v_and_or_b32 v2, v3, s34, v2
	v_bitop3_b32 v3, v7, s0, v6 bitop3:0xc8
	v_lshl_or_b32 v2, v2, 16, v3
	global_store_dword v[4:5], v2, off
.LBB496_390:
	s_mov_b64 s[0:1], 0
.LBB496_391:
	s_andn2_b64 vcc, exec, s[0:1]
	s_cbranch_vccnz .LBB496_400
; %bb.392:
	s_cmp_lt_i32 s30, 6
	s_mov_b64 s[0:1], -1
	s_cbranch_scc1 .LBB496_398
; %bb.393:
	s_cmp_gt_i32 s30, 6
	s_cbranch_scc0 .LBB496_395
; %bb.394:
	s_mov_b64 s[0:1], 0
	global_store_dwordx2 v[4:5], v[0:1], off
.LBB496_395:
	s_andn2_b64 vcc, exec, s[0:1]
	s_cbranch_vccnz .LBB496_397
; %bb.396:
	v_cvt_f32_f64_e32 v2, v[0:1]
	global_store_dword v[4:5], v2, off
.LBB496_397:
	s_mov_b64 s[0:1], 0
.LBB496_398:
	s_andn2_b64 vcc, exec, s[0:1]
	s_cbranch_vccnz .LBB496_400
; %bb.399:
	s_movk_i32 s0, 0x1ff
	v_and_or_b32 v2, v1, s0, v0
	v_cmp_ne_u32_e32 vcc, 0, v2
	v_lshrrev_b32_e32 v3, 8, v1
	s_movk_i32 s0, 0xffe
	v_cndmask_b32_e64 v2, 0, 1, vcc
	v_bfe_u32 v6, v1, 20, 11
	v_and_or_b32 v2, v3, s0, v2
	v_sub_u32_e32 v7, 0x3f1, v6
	v_or_b32_e32 v3, 0x1000, v2
	v_med3_i32 v7, v7, 0, 13
	v_lshrrev_b32_e32 v8, v7, v3
	v_lshlrev_b32_e32 v7, v7, v8
	v_cmp_ne_u32_e32 vcc, v7, v3
	v_add_u32_e32 v6, 0xfffffc10, v6
	v_lshl_or_b32 v7, v6, 12, v2
	v_cndmask_b32_e64 v3, 0, 1, vcc
	v_or_b32_e32 v3, v8, v3
	v_cmp_gt_i32_e32 vcc, 1, v6
	s_movk_i32 s0, 0x40f
	s_nop 0
	v_cndmask_b32_e32 v3, v7, v3, vcc
	v_and_b32_e32 v7, 7, v3
	v_cmp_lt_i32_e32 vcc, 5, v7
	v_lshrrev_b32_e32 v3, 2, v3
	s_nop 0
	v_cndmask_b32_e64 v8, 0, 1, vcc
	v_cmp_eq_u32_e32 vcc, 3, v7
	s_nop 1
	v_cndmask_b32_e64 v7, 0, 1, vcc
	v_or_b32_e32 v7, v7, v8
	v_add_u32_e32 v3, v3, v7
	v_mov_b32_e32 v7, 0x7c00
	v_cmp_gt_i32_e32 vcc, 31, v6
	v_mov_b32_e32 v8, 0x7e00
	s_nop 0
	v_cndmask_b32_e32 v3, v7, v3, vcc
	v_cmp_ne_u32_e32 vcc, 0, v2
	s_nop 1
	v_cndmask_b32_e32 v2, v7, v8, vcc
	v_cmp_eq_u32_e32 vcc, s0, v6
	s_mov_b32 s0, 0x8000
	s_nop 0
	v_cndmask_b32_e32 v2, v3, v2, vcc
	v_lshrrev_b32_e32 v3, 16, v1
	v_and_or_b32 v2, v3, s0, v2
	global_store_short v[4:5], v2, off
.LBB496_400:
	s_mov_b64 s[0:1], 0
.LBB496_401:
	s_andn2_b64 vcc, exec, s[0:1]
	s_cbranch_vccnz .LBB496_417
; %bb.402:
	s_cmp_lt_i32 s30, 2
	s_mov_b64 s[0:1], -1
	s_cbranch_scc1 .LBB496_412
; %bb.403:
	s_cmp_lt_i32 s30, 3
	s_cbranch_scc1 .LBB496_409
; %bb.404:
	s_cmp_gt_i32 s30, 3
	s_cbranch_scc0 .LBB496_406
; %bb.405:
	v_trunc_f64_e32 v[2:3], v[0:1]
	s_movk_i32 s0, 0xffe0
	v_ldexp_f64 v[6:7], v[2:3], s0
	v_floor_f64_e32 v[6:7], v[6:7]
	v_fmac_f64_e32 v[2:3], 0xc1f00000, v[6:7]
	v_cvt_i32_f64_e32 v9, v[6:7]
	v_cvt_u32_f64_e32 v8, v[2:3]
	s_mov_b64 s[0:1], 0
	global_store_dwordx2 v[4:5], v[8:9], off
.LBB496_406:
	s_andn2_b64 vcc, exec, s[0:1]
	s_cbranch_vccnz .LBB496_408
; %bb.407:
	v_cvt_i32_f64_e32 v2, v[0:1]
	global_store_dword v[4:5], v2, off
.LBB496_408:
	s_mov_b64 s[0:1], 0
.LBB496_409:
	s_andn2_b64 vcc, exec, s[0:1]
	s_cbranch_vccnz .LBB496_411
; %bb.410:
	v_cvt_i32_f64_e32 v2, v[0:1]
	global_store_short v[4:5], v2, off
.LBB496_411:
	s_mov_b64 s[0:1], 0
.LBB496_412:
	s_andn2_b64 vcc, exec, s[0:1]
	s_cbranch_vccnz .LBB496_417
; %bb.413:
	s_cmp_gt_i32 s30, 0
	s_mov_b64 s[0:1], -1
	s_cbranch_scc0 .LBB496_415
; %bb.414:
	v_cvt_i32_f64_e32 v2, v[0:1]
	s_mov_b64 s[0:1], 0
	global_store_byte v[4:5], v2, off
.LBB496_415:
	s_andn2_b64 vcc, exec, s[0:1]
	s_cbranch_vccnz .LBB496_417
; %bb.416:
	v_trunc_f64_e32 v[0:1], v[0:1]
	s_movk_i32 s0, 0xffe0
	v_ldexp_f64 v[2:3], v[0:1], s0
	v_floor_f64_e32 v[2:3], v[2:3]
	v_fmac_f64_e32 v[0:1], 0xc1f00000, v[2:3]
	v_cvt_u32_f64_e32 v0, v[0:1]
	global_store_byte v[4:5], v0, off
.LBB496_417:
	s_mov_b64 s[0:1], -1
.LBB496_418:
	s_andn2_b64 vcc, exec, s[0:1]
	s_cbranch_vccnz .LBB496_420
; %bb.419:
	v_add_u32_e32 v20, 0x80, v20
	s_mov_b64 s[0:1], -1
	s_branch .LBB496_537
.LBB496_420:
	s_mov_b64 s[0:1], 0
                                        ; implicit-def: $vgpr20
	s_branch .LBB496_537
.LBB496_421:
	s_mov_b64 s[24:25], -1
                                        ; implicit-def: $vgpr2_vgpr3
.LBB496_422:
	s_waitcnt vmcnt(0)
	v_mov_b64_e32 v[4:5], 0
.LBB496_423:
	s_mov_b64 s[26:27], 0
.LBB496_424:
	s_and_b64 vcc, exec, s[26:27]
	s_cbranch_vccz .LBB496_429
; %bb.425:
	s_cmp_eq_u32 s34, 29
	s_cbranch_scc0 .LBB496_427
; %bb.426:
	global_load_dwordx2 v[2:3], v[0:1], off
	s_mov_b64 s[0:1], -1
	s_mov_b64 s[24:25], 0
	s_waitcnt vmcnt(0)
	v_cvt_f64_u32_e32 v[4:5], v3
	v_cvt_f64_u32_e32 v[2:3], v2
	v_ldexp_f64 v[4:5], v[4:5], 32
	v_add_f64 v[2:3], v[4:5], v[2:3]
	s_branch .LBB496_428
.LBB496_427:
	s_mov_b64 s[24:25], -1
                                        ; implicit-def: $vgpr2_vgpr3
.LBB496_428:
	s_waitcnt vmcnt(0)
	v_mov_b64_e32 v[4:5], 0
.LBB496_429:
	s_mov_b64 s[26:27], 0
.LBB496_430:
	s_and_b64 vcc, exec, s[26:27]
	s_cbranch_vccz .LBB496_450
; %bb.431:
	s_cmp_lt_i32 s34, 27
	s_cbranch_scc1 .LBB496_434
; %bb.432:
	s_cmp_gt_i32 s34, 27
	s_cbranch_scc0 .LBB496_435
; %bb.433:
	global_load_dword v2, v[0:1], off
	s_mov_b64 s[0:1], 0
	s_waitcnt vmcnt(0)
	v_cvt_f64_u32_e32 v[2:3], v2
	s_branch .LBB496_436
.LBB496_434:
	s_mov_b64 s[0:1], -1
                                        ; implicit-def: $vgpr2_vgpr3
	s_branch .LBB496_439
.LBB496_435:
	s_mov_b64 s[0:1], -1
                                        ; implicit-def: $vgpr2_vgpr3
.LBB496_436:
	s_andn2_b64 vcc, exec, s[0:1]
	s_cbranch_vccnz .LBB496_438
; %bb.437:
	global_load_ushort v2, v[0:1], off
	s_waitcnt vmcnt(0)
	v_cvt_f64_u32_e32 v[2:3], v2
.LBB496_438:
	s_mov_b64 s[0:1], 0
.LBB496_439:
	s_andn2_b64 vcc, exec, s[0:1]
	s_cbranch_vccnz .LBB496_449
; %bb.440:
	global_load_ubyte v4, v[0:1], off
	s_movk_i32 s0, 0x7f
	s_waitcnt vmcnt(0)
	v_cmp_lt_i16_e32 vcc, s0, v4
	s_mov_b64 s[0:1], 0
	s_and_saveexec_b64 s[26:27], vcc
	s_xor_b64 s[26:27], exec, s[26:27]
	s_cbranch_execz .LBB496_444
; %bb.441:
	s_movk_i32 s0, 0x80
	v_cmp_eq_u16_e32 vcc, s0, v4
	s_mov_b64 s[0:1], -1
	s_and_saveexec_b64 s[30:31], vcc
; %bb.442:
	s_xor_b64 s[0:1], exec, -1
; %bb.443:
	s_or_b64 exec, exec, s[30:31]
	s_and_b64 s[0:1], s[0:1], exec
.LBB496_444:
	s_or_saveexec_b64 s[26:27], s[26:27]
	v_bfrev_b32_e32 v2, 4
	v_mov_b32_e32 v3, 0x7ff80000
	s_xor_b64 exec, exec, s[26:27]
; %bb.445:
	v_cmp_ne_u16_e32 vcc, 0, v4
	s_andn2_b64 s[0:1], s[0:1], exec
	s_and_b64 s[30:31], vcc, exec
	v_mov_b64_e32 v[2:3], 0
	s_or_b64 s[0:1], s[0:1], s[30:31]
; %bb.446:
	s_or_b64 exec, exec, s[26:27]
	s_and_saveexec_b64 s[26:27], s[0:1]
	s_cbranch_execz .LBB496_448
; %bb.447:
	v_and_b32_e32 v3, 0xffff, v4
	v_lshlrev_b32_e32 v2, 24, v4
	v_and_b32_e32 v4, 7, v3
	v_ffbh_u32_e32 v6, v4
	v_min_u32_e32 v6, 32, v6
	v_subrev_u32_e32 v7, 28, v6
	v_bfe_u32 v5, v3, 3, 4
	v_lshlrev_b32_e32 v3, v7, v3
	v_sub_u32_e32 v6, 29, v6
	v_and_b32_e32 v3, 7, v3
	v_cmp_eq_u32_e32 vcc, 0, v5
	v_and_b32_e32 v2, 0x80000000, v2
	s_nop 0
	v_cndmask_b32_e32 v5, v5, v6, vcc
	v_cndmask_b32_e32 v3, v4, v3, vcc
	v_mov_b32_e32 v4, 0x3b800000
	v_lshlrev_b32_e32 v3, 20, v3
	v_lshl_add_u32 v4, v5, 23, v4
	v_or3_b32 v2, v2, v4, v3
	v_cvt_f64_f32_e32 v[2:3], v2
.LBB496_448:
	s_or_b64 exec, exec, s[26:27]
.LBB496_449:
	s_mov_b64 s[0:1], -1
	s_waitcnt vmcnt(0)
	v_mov_b64_e32 v[4:5], 0
.LBB496_450:
	s_mov_b64 s[26:27], 0
.LBB496_451:
	s_and_b64 vcc, exec, s[26:27]
	s_cbranch_vccz .LBB496_485
; %bb.452:
	s_cmp_gt_i32 s34, 22
	s_cbranch_scc0 .LBB496_464
; %bb.453:
	s_cmp_lt_i32 s34, 24
	s_cbranch_scc1 .LBB496_465
; %bb.454:
	s_cmp_gt_i32 s34, 24
	s_cbranch_scc0 .LBB496_466
; %bb.455:
	global_load_ubyte v4, v[0:1], off
	s_movk_i32 s0, 0x7f
	s_waitcnt vmcnt(0)
	v_cmp_lt_i16_e32 vcc, s0, v4
	s_mov_b64 s[0:1], 0
	s_and_saveexec_b64 s[26:27], vcc
	s_xor_b64 s[26:27], exec, s[26:27]
	s_cbranch_execz .LBB496_459
; %bb.456:
	s_movk_i32 s0, 0x80
	v_cmp_eq_u16_e32 vcc, s0, v4
	s_mov_b64 s[0:1], -1
	s_and_saveexec_b64 s[30:31], vcc
; %bb.457:
	s_xor_b64 s[0:1], exec, -1
; %bb.458:
	s_or_b64 exec, exec, s[30:31]
	s_and_b64 s[0:1], s[0:1], exec
.LBB496_459:
	s_or_saveexec_b64 s[26:27], s[26:27]
	v_bfrev_b32_e32 v2, 4
	v_mov_b32_e32 v3, 0x7ff80000
	s_xor_b64 exec, exec, s[26:27]
; %bb.460:
	v_cmp_ne_u16_e32 vcc, 0, v4
	s_andn2_b64 s[0:1], s[0:1], exec
	s_and_b64 s[30:31], vcc, exec
	v_mov_b64_e32 v[2:3], 0
	s_or_b64 s[0:1], s[0:1], s[30:31]
; %bb.461:
	s_or_b64 exec, exec, s[26:27]
	s_and_saveexec_b64 s[26:27], s[0:1]
	s_cbranch_execz .LBB496_463
; %bb.462:
	v_and_b32_e32 v3, 0xffff, v4
	v_lshlrev_b32_e32 v2, 24, v4
	v_and_b32_e32 v4, 3, v3
	v_ffbh_u32_e32 v6, v4
	v_min_u32_e32 v6, 32, v6
	v_subrev_u32_e32 v7, 29, v6
	v_bfe_u32 v5, v3, 2, 5
	v_lshlrev_b32_e32 v3, v7, v3
	v_sub_u32_e32 v6, 30, v6
	v_and_b32_e32 v3, 3, v3
	v_cmp_eq_u32_e32 vcc, 0, v5
	v_and_b32_e32 v2, 0x80000000, v2
	s_nop 0
	v_cndmask_b32_e32 v5, v5, v6, vcc
	v_cndmask_b32_e32 v3, v4, v3, vcc
	v_mov_b32_e32 v4, 0x37800000
	v_lshlrev_b32_e32 v3, 21, v3
	v_lshl_add_u32 v4, v5, 23, v4
	v_or3_b32 v2, v2, v4, v3
	v_cvt_f64_f32_e32 v[2:3], v2
.LBB496_463:
	s_or_b64 exec, exec, s[26:27]
	s_mov_b64 s[0:1], 0
	s_branch .LBB496_467
.LBB496_464:
	s_mov_b64 s[26:27], -1
                                        ; implicit-def: $vgpr2_vgpr3
	s_branch .LBB496_473
.LBB496_465:
	s_mov_b64 s[0:1], -1
                                        ; implicit-def: $vgpr2_vgpr3
	s_branch .LBB496_470
.LBB496_466:
	s_mov_b64 s[0:1], -1
                                        ; implicit-def: $vgpr2_vgpr3
.LBB496_467:
	s_and_b64 vcc, exec, s[0:1]
	s_cbranch_vccz .LBB496_469
; %bb.468:
	global_load_ubyte v2, v[0:1], off
	s_mov_b32 s0, 0x7f800000
	s_waitcnt vmcnt(0)
	v_lshlrev_b32_e32 v2, 24, v2
	v_and_b32_e32 v3, 0x7f000000, v2
	v_ffbh_u32_e32 v4, v3
	v_min_u32_e32 v4, 32, v4
	v_sub_u32_e64 v4, v4, 4 clamp
	v_lshlrev_b32_e32 v6, v4, v3
	v_lshlrev_b32_e32 v4, 23, v4
	v_lshrrev_b32_e32 v6, 4, v6
	v_add_u32_e32 v5, 0x1000000, v3
	v_sub_u32_e32 v4, v6, v4
	v_ashrrev_i32_e32 v5, 8, v5
	v_add_u32_e32 v4, 0x3c000000, v4
	v_and_or_b32 v4, v5, s0, v4
	v_cmp_ne_u32_e32 vcc, 0, v3
	s_brev_b32 s0, 1
	s_nop 0
	v_cndmask_b32_e32 v3, 0, v4, vcc
	v_and_or_b32 v2, v2, s0, v3
	v_cvt_f64_f32_e32 v[2:3], v2
.LBB496_469:
	s_mov_b64 s[0:1], 0
.LBB496_470:
	s_andn2_b64 vcc, exec, s[0:1]
	s_cbranch_vccnz .LBB496_472
; %bb.471:
	global_load_ubyte v2, v[0:1], off
	s_movk_i32 s0, 0x7f00
	s_brev_b32 s1, 16
	s_waitcnt vmcnt(0)
	v_lshlrev_b16_e32 v3, 8, v2
	v_lshlrev_b32_e32 v2, 25, v2
	v_lshrrev_b32_e32 v4, 4, v2
	v_and_or_b32 v5, v3, s0, 0.5
	v_or_b32_e32 v4, 0x70000000, v4
	v_add_f32_e32 v5, -0.5, v5
	v_mul_f32_e32 v4, 0x7800000, v4
	v_cmp_gt_u32_e32 vcc, s1, v2
	v_bfe_i32 v3, v3, 0, 16
	s_brev_b32 s0, 1
	v_cndmask_b32_e32 v2, v4, v5, vcc
	v_and_or_b32 v2, v3, s0, v2
	v_cvt_f64_f32_e32 v[2:3], v2
.LBB496_472:
	s_mov_b64 s[26:27], 0
	s_mov_b64 s[0:1], -1
.LBB496_473:
	s_andn2_b64 vcc, exec, s[26:27]
	s_cbranch_vccnz .LBB496_484
; %bb.474:
	s_cmp_gt_i32 s34, 14
	s_cbranch_scc0 .LBB496_477
; %bb.475:
	s_cmp_eq_u32 s34, 15
	s_cbranch_scc0 .LBB496_478
; %bb.476:
	global_load_ushort v2, v[0:1], off
	s_mov_b64 s[0:1], -1
	s_mov_b64 s[24:25], 0
	s_waitcnt vmcnt(0)
	v_lshlrev_b32_e32 v2, 16, v2
	v_cvt_f64_f32_e32 v[2:3], v2
	s_branch .LBB496_479
.LBB496_477:
	s_mov_b64 s[26:27], -1
                                        ; implicit-def: $vgpr2_vgpr3
	s_branch .LBB496_480
.LBB496_478:
	s_mov_b64 s[24:25], -1
                                        ; implicit-def: $vgpr2_vgpr3
.LBB496_479:
	s_mov_b64 s[26:27], 0
.LBB496_480:
	s_and_b64 vcc, exec, s[26:27]
	s_cbranch_vccz .LBB496_484
; %bb.481:
	s_cmp_eq_u32 s34, 11
	s_cbranch_scc0 .LBB496_483
; %bb.482:
	global_load_ubyte v3, v[0:1], off
	s_waitcnt vmcnt(1)
	v_mov_b32_e32 v4, 0x3ff00000
	v_mov_b32_e32 v2, 0
	s_mov_b64 s[0:1], -1
	s_mov_b64 s[24:25], 0
	s_waitcnt vmcnt(0)
	v_cmp_ne_u16_e32 vcc, 0, v3
	s_nop 1
	v_cndmask_b32_e32 v3, 0, v4, vcc
	s_branch .LBB496_484
.LBB496_483:
	s_mov_b64 s[24:25], -1
                                        ; implicit-def: $vgpr2_vgpr3
.LBB496_484:
	s_waitcnt vmcnt(0)
	v_mov_b64_e32 v[4:5], 0
.LBB496_485:
	s_branch .LBB496_277
.LBB496_486:
	s_cmp_lt_i32 s34, 5
	s_cbranch_scc1 .LBB496_491
; %bb.487:
	s_cmp_lt_i32 s34, 8
	s_cbranch_scc1 .LBB496_492
; %bb.488:
	;; [unrolled: 3-line block ×3, first 2 shown]
	s_cmp_gt_i32 s34, 9
	s_cbranch_scc0 .LBB496_494
; %bb.490:
	global_load_dwordx4 v[2:5], v[0:1], off
	s_mov_b64 s[0:1], 0
	s_branch .LBB496_495
.LBB496_491:
	s_mov_b64 s[0:1], -1
                                        ; implicit-def: $vgpr4_vgpr5
	s_branch .LBB496_514
.LBB496_492:
	s_mov_b64 s[0:1], -1
                                        ; implicit-def: $vgpr4_vgpr5
	s_branch .LBB496_501
.LBB496_493:
	s_mov_b64 s[0:1], -1
                                        ; implicit-def: $vgpr4_vgpr5
	s_branch .LBB496_498
.LBB496_494:
	s_mov_b64 s[0:1], -1
                                        ; implicit-def: $vgpr4_vgpr5
.LBB496_495:
	s_andn2_b64 vcc, exec, s[0:1]
	s_cbranch_vccnz .LBB496_497
; %bb.496:
	global_load_dwordx2 v[4:5], v[0:1], off
	s_waitcnt vmcnt(0)
	v_cvt_f64_f32_e32 v[2:3], v4
	v_cvt_f64_f32_e32 v[4:5], v5
.LBB496_497:
	s_mov_b64 s[0:1], 0
.LBB496_498:
	s_andn2_b64 vcc, exec, s[0:1]
	s_cbranch_vccnz .LBB496_500
; %bb.499:
	global_load_dword v2, v[0:1], off
	s_waitcnt vmcnt(0)
	v_cvt_f32_f16_e32 v3, v2
	v_cvt_f32_f16_sdwa v4, v2 dst_sel:DWORD dst_unused:UNUSED_PAD src0_sel:WORD_1
	v_cvt_f64_f32_e32 v[2:3], v3
	v_cvt_f64_f32_e32 v[4:5], v4
.LBB496_500:
	s_mov_b64 s[0:1], 0
.LBB496_501:
	s_andn2_b64 vcc, exec, s[0:1]
	s_cbranch_vccnz .LBB496_513
; %bb.502:
	s_cmp_lt_i32 s34, 6
	s_cbranch_scc1 .LBB496_505
; %bb.503:
	s_cmp_gt_i32 s34, 6
	s_cbranch_scc0 .LBB496_506
; %bb.504:
	global_load_dwordx2 v[2:3], v[0:1], off
	s_mov_b64 s[0:1], 0
	s_branch .LBB496_507
.LBB496_505:
	s_mov_b64 s[0:1], -1
                                        ; implicit-def: $vgpr2_vgpr3
	s_branch .LBB496_510
.LBB496_506:
	s_mov_b64 s[0:1], -1
                                        ; implicit-def: $vgpr2_vgpr3
.LBB496_507:
	s_andn2_b64 vcc, exec, s[0:1]
	s_cbranch_vccnz .LBB496_509
; %bb.508:
	global_load_dword v2, v[0:1], off
	s_waitcnt vmcnt(0)
	v_cvt_f64_f32_e32 v[2:3], v2
.LBB496_509:
	s_mov_b64 s[0:1], 0
.LBB496_510:
	s_andn2_b64 vcc, exec, s[0:1]
	s_cbranch_vccnz .LBB496_512
; %bb.511:
	global_load_ushort v2, v[0:1], off
	s_waitcnt vmcnt(0)
	v_cvt_f32_f16_e32 v2, v2
	v_cvt_f64_f32_e32 v[2:3], v2
.LBB496_512:
	s_waitcnt vmcnt(0)
	v_mov_b64_e32 v[4:5], 0
.LBB496_513:
	s_mov_b64 s[0:1], 0
.LBB496_514:
	s_andn2_b64 vcc, exec, s[0:1]
	s_cbranch_vccnz .LBB496_535
; %bb.515:
	s_cmp_lt_i32 s34, 2
	s_cbranch_scc1 .LBB496_519
; %bb.516:
	s_cmp_lt_i32 s34, 3
	s_cbranch_scc1 .LBB496_520
; %bb.517:
	s_cmp_gt_i32 s34, 3
	s_cbranch_scc0 .LBB496_521
; %bb.518:
	global_load_dwordx2 v[2:3], v[0:1], off
	s_mov_b64 s[0:1], 0
	s_waitcnt vmcnt(0)
	v_cvt_f64_i32_e32 v[4:5], v3
	v_cvt_f64_u32_e32 v[2:3], v2
	v_ldexp_f64 v[4:5], v[4:5], 32
	v_add_f64 v[2:3], v[4:5], v[2:3]
	s_branch .LBB496_522
.LBB496_519:
	s_mov_b64 s[0:1], -1
                                        ; implicit-def: $vgpr2_vgpr3
	s_branch .LBB496_528
.LBB496_520:
	s_mov_b64 s[0:1], -1
                                        ; implicit-def: $vgpr2_vgpr3
	s_branch .LBB496_525
.LBB496_521:
	s_mov_b64 s[0:1], -1
                                        ; implicit-def: $vgpr2_vgpr3
.LBB496_522:
	s_andn2_b64 vcc, exec, s[0:1]
	s_cbranch_vccnz .LBB496_524
; %bb.523:
	global_load_dword v2, v[0:1], off
	s_waitcnt vmcnt(0)
	v_cvt_f64_i32_e32 v[2:3], v2
.LBB496_524:
	s_mov_b64 s[0:1], 0
.LBB496_525:
	s_andn2_b64 vcc, exec, s[0:1]
	s_cbranch_vccnz .LBB496_527
; %bb.526:
	global_load_sshort v2, v[0:1], off
	s_waitcnt vmcnt(0)
	v_cvt_f64_i32_e32 v[2:3], v2
.LBB496_527:
	s_mov_b64 s[0:1], 0
.LBB496_528:
	s_andn2_b64 vcc, exec, s[0:1]
	s_cbranch_vccnz .LBB496_534
; %bb.529:
	s_cmp_gt_i32 s34, 0
	s_cbranch_scc0 .LBB496_531
; %bb.530:
	global_load_sbyte v2, v[0:1], off
	s_mov_b64 s[0:1], 0
	s_waitcnt vmcnt(0)
	v_cvt_f64_i32_e32 v[2:3], v2
	s_branch .LBB496_532
.LBB496_531:
	s_mov_b64 s[0:1], -1
                                        ; implicit-def: $vgpr2_vgpr3
.LBB496_532:
	s_andn2_b64 vcc, exec, s[0:1]
	s_cbranch_vccnz .LBB496_534
; %bb.533:
	global_load_ubyte v0, v[0:1], off
	s_waitcnt vmcnt(0)
	v_cvt_f64_u32_e32 v[2:3], v0
.LBB496_534:
	s_waitcnt vmcnt(0)
	v_mov_b64_e32 v[4:5], 0
.LBB496_535:
	s_branch .LBB496_278
.LBB496_536:
	s_mov_b64 s[0:1], 0
                                        ; implicit-def: $vgpr20
	s_mov_b64 s[26:27], s[18:19]
.LBB496_537:
	s_andn2_b64 s[30:31], s[18:19], exec
	s_and_b64 s[26:27], s[26:27], exec
	s_or_b64 s[26:27], s[30:31], s[26:27]
	s_andn2_b64 s[30:31], s[20:21], exec
	s_and_b64 s[24:25], s[24:25], exec
	s_or_b64 s[24:25], s[30:31], s[24:25]
	s_orn2_b64 s[0:1], s[0:1], exec
.LBB496_538:
	s_or_b64 exec, exec, s[28:29]
	s_mov_b64 s[30:31], 0
	s_mov_b64 s[34:35], 0
	;; [unrolled: 1-line block ×3, first 2 shown]
                                        ; implicit-def: $vgpr0_vgpr1
                                        ; implicit-def: $vgpr6_vgpr7
	s_and_saveexec_b64 s[28:29], s[0:1]
	s_cbranch_execz .LBB496_899
; %bb.539:
	v_cmp_gt_i32_e32 vcc, s44, v20
	s_mov_b64 s[40:41], -1
	s_mov_b64 s[0:1], s[24:25]
	s_mov_b64 s[36:37], s[26:27]
	s_and_saveexec_b64 s[30:31], vcc
	s_cbranch_execz .LBB496_810
; %bb.540:
	v_mul_lo_u32 v0, v20, s13
	v_ashrrev_i32_e32 v1, 31, v0
	s_and_b32 s40, 0xffff, s48
	s_cmp_lt_i32 s40, 11
	v_lshl_add_u64 v[0:1], s[6:7], 0, v[0:1]
	s_cbranch_scc1 .LBB496_547
; %bb.541:
	s_cmp_gt_i32 s40, 25
	s_cbranch_scc0 .LBB496_548
; %bb.542:
	s_cmp_gt_i32 s40, 28
	s_cbranch_scc0 .LBB496_549
	;; [unrolled: 3-line block ×4, first 2 shown]
; %bb.545:
	s_cmp_eq_u32 s40, 46
	s_mov_b64 s[36:37], 0
	s_cbranch_scc0 .LBB496_556
; %bb.546:
	global_load_dword v2, v[0:1], off
	s_mov_b64 s[0:1], -1
	s_waitcnt vmcnt(0)
	v_and_b32_e32 v4, 0xffff0000, v2
	v_lshlrev_b32_e32 v2, 16, v2
	v_cvt_f64_f32_e32 v[2:3], v2
	v_cvt_f64_f32_e32 v[4:5], v4
	s_branch .LBB496_557
.LBB496_547:
	s_mov_b64 s[36:37], -1
	s_mov_b64 s[0:1], 0
                                        ; implicit-def: $vgpr4_vgpr5
	s_mov_b64 s[34:35], s[24:25]
	s_branch .LBB496_625
.LBB496_548:
	s_mov_b64 s[36:37], -1
	s_mov_b64 s[0:1], 0
	s_mov_b64 s[34:35], s[24:25]
                                        ; implicit-def: $vgpr4_vgpr5
	s_branch .LBB496_590
.LBB496_549:
	s_mov_b64 s[36:37], -1
	s_mov_b64 s[0:1], 0
	s_mov_b64 s[34:35], s[24:25]
                                        ; implicit-def: $vgpr4_vgpr5
	s_branch .LBB496_569
.LBB496_550:
	s_mov_b64 s[36:37], -1
	s_mov_b64 s[0:1], 0
	s_mov_b64 s[34:35], s[24:25]
                                        ; implicit-def: $vgpr4_vgpr5
	s_branch .LBB496_563
.LBB496_551:
	s_andn2_saveexec_b64 s[34:35], s[34:35]
	s_cbranch_execz .LBB496_331
.LBB496_552:
	s_mov_b32 s38, 0x46000000
	v_add_f32_e64 v7, |v6|, s38
	v_and_b32_e32 v7, 0xff, v7
	v_cmp_ne_u32_e32 vcc, 0, v7
	s_andn2_b64 s[30:31], s[30:31], exec
	s_and_b64 s[38:39], vcc, exec
	s_or_b64 s[30:31], s[30:31], s[38:39]
	s_or_b64 exec, exec, s[34:35]
	v_mov_b32_e32 v8, 0
	s_and_saveexec_b64 s[34:35], s[30:31]
	s_cbranch_execnz .LBB496_332
	s_branch .LBB496_333
.LBB496_553:
	s_mov_b64 s[36:37], -1
	s_mov_b64 s[0:1], 0
	s_mov_b64 s[34:35], s[24:25]
                                        ; implicit-def: $vgpr4_vgpr5
	s_branch .LBB496_557
.LBB496_554:
	s_andn2_saveexec_b64 s[34:35], s[34:35]
	s_cbranch_execz .LBB496_344
.LBB496_555:
	s_mov_b32 s38, 0x42800000
	v_add_f32_e64 v7, |v6|, s38
	v_and_b32_e32 v7, 0xff, v7
	v_cmp_ne_u32_e32 vcc, 0, v7
	s_andn2_b64 s[30:31], s[30:31], exec
	s_and_b64 s[38:39], vcc, exec
	s_or_b64 s[30:31], s[30:31], s[38:39]
	s_or_b64 exec, exec, s[34:35]
	v_mov_b32_e32 v8, 0
	s_and_saveexec_b64 s[34:35], s[30:31]
	s_cbranch_execnz .LBB496_345
	s_branch .LBB496_346
.LBB496_556:
	s_mov_b64 s[34:35], -1
                                        ; implicit-def: $vgpr4_vgpr5
	s_mov_b64 s[0:1], 0
.LBB496_557:
	s_and_b64 vcc, exec, s[36:37]
	s_cbranch_vccz .LBB496_562
; %bb.558:
	s_cmp_eq_u32 s40, 44
	s_cbranch_scc0 .LBB496_560
; %bb.559:
	global_load_ubyte v4, v[0:1], off
	s_movk_i32 s34, 0xff
	s_waitcnt vmcnt(1)
	v_bfrev_b32_e32 v5, 4
	v_mov_b32_e32 v6, 0x7ff80000
	v_bfrev_b32_e32 v7, 28
	s_mov_b64 s[0:1], -1
	s_waitcnt vmcnt(0)
	v_lshlrev_b32_e32 v2, 23, v4
	v_cvt_f64_f32_e32 v[2:3], v2
	v_cmp_ne_u32_e32 vcc, s34, v4
	s_mov_b64 s[34:35], 0
	s_nop 0
	v_cndmask_b32_e32 v2, v5, v2, vcc
	v_cndmask_b32_e32 v3, v6, v3, vcc
	v_cmp_ne_u32_e32 vcc, 0, v4
	s_nop 1
	v_cndmask_b32_e32 v3, v7, v3, vcc
	v_cndmask_b32_e32 v2, 0, v2, vcc
	s_branch .LBB496_561
.LBB496_560:
	s_mov_b64 s[34:35], -1
                                        ; implicit-def: $vgpr2_vgpr3
.LBB496_561:
	s_waitcnt vmcnt(0)
	v_mov_b64_e32 v[4:5], 0
.LBB496_562:
	s_mov_b64 s[36:37], 0
.LBB496_563:
	s_and_b64 vcc, exec, s[36:37]
	s_cbranch_vccz .LBB496_568
; %bb.564:
	s_cmp_eq_u32 s40, 29
	s_cbranch_scc0 .LBB496_566
; %bb.565:
	global_load_dwordx2 v[2:3], v[0:1], off
	s_mov_b64 s[0:1], -1
	s_mov_b64 s[34:35], 0
	s_waitcnt vmcnt(0)
	v_cvt_f64_u32_e32 v[4:5], v3
	v_cvt_f64_u32_e32 v[2:3], v2
	v_ldexp_f64 v[4:5], v[4:5], 32
	v_add_f64 v[2:3], v[4:5], v[2:3]
	s_branch .LBB496_567
.LBB496_566:
	s_mov_b64 s[34:35], -1
                                        ; implicit-def: $vgpr2_vgpr3
.LBB496_567:
	s_waitcnt vmcnt(0)
	v_mov_b64_e32 v[4:5], 0
.LBB496_568:
	s_mov_b64 s[36:37], 0
.LBB496_569:
	s_and_b64 vcc, exec, s[36:37]
	s_cbranch_vccz .LBB496_589
; %bb.570:
	s_cmp_lt_i32 s40, 27
	s_cbranch_scc1 .LBB496_573
; %bb.571:
	s_cmp_gt_i32 s40, 27
	s_cbranch_scc0 .LBB496_574
; %bb.572:
	global_load_dword v2, v[0:1], off
	s_mov_b64 s[0:1], 0
	s_waitcnt vmcnt(0)
	v_cvt_f64_u32_e32 v[2:3], v2
	s_branch .LBB496_575
.LBB496_573:
	s_mov_b64 s[0:1], -1
                                        ; implicit-def: $vgpr2_vgpr3
	s_branch .LBB496_578
.LBB496_574:
	s_mov_b64 s[0:1], -1
                                        ; implicit-def: $vgpr2_vgpr3
.LBB496_575:
	s_andn2_b64 vcc, exec, s[0:1]
	s_cbranch_vccnz .LBB496_577
; %bb.576:
	global_load_ushort v2, v[0:1], off
	s_waitcnt vmcnt(0)
	v_cvt_f64_u32_e32 v[2:3], v2
.LBB496_577:
	s_mov_b64 s[0:1], 0
.LBB496_578:
	s_andn2_b64 vcc, exec, s[0:1]
	s_cbranch_vccnz .LBB496_588
; %bb.579:
	global_load_ubyte v4, v[0:1], off
	s_movk_i32 s0, 0x7f
	s_waitcnt vmcnt(0)
	v_cmp_lt_i16_e32 vcc, s0, v4
	s_mov_b64 s[0:1], 0
	s_and_saveexec_b64 s[36:37], vcc
	s_xor_b64 s[36:37], exec, s[36:37]
	s_cbranch_execz .LBB496_583
; %bb.580:
	s_movk_i32 s0, 0x80
	v_cmp_eq_u16_e32 vcc, s0, v4
	s_mov_b64 s[0:1], -1
	s_and_saveexec_b64 s[38:39], vcc
; %bb.581:
	s_xor_b64 s[0:1], exec, -1
; %bb.582:
	s_or_b64 exec, exec, s[38:39]
	s_and_b64 s[0:1], s[0:1], exec
.LBB496_583:
	s_or_saveexec_b64 s[36:37], s[36:37]
	v_bfrev_b32_e32 v2, 4
	v_mov_b32_e32 v3, 0x7ff80000
	s_xor_b64 exec, exec, s[36:37]
; %bb.584:
	v_cmp_ne_u16_e32 vcc, 0, v4
	s_andn2_b64 s[0:1], s[0:1], exec
	s_and_b64 s[38:39], vcc, exec
	v_mov_b64_e32 v[2:3], 0
	s_or_b64 s[0:1], s[0:1], s[38:39]
; %bb.585:
	s_or_b64 exec, exec, s[36:37]
	s_and_saveexec_b64 s[36:37], s[0:1]
	s_cbranch_execz .LBB496_587
; %bb.586:
	v_and_b32_e32 v3, 0xffff, v4
	v_lshlrev_b32_e32 v2, 24, v4
	v_and_b32_e32 v4, 7, v3
	v_ffbh_u32_e32 v6, v4
	v_min_u32_e32 v6, 32, v6
	v_subrev_u32_e32 v7, 28, v6
	v_bfe_u32 v5, v3, 3, 4
	v_lshlrev_b32_e32 v3, v7, v3
	v_sub_u32_e32 v6, 29, v6
	v_and_b32_e32 v3, 7, v3
	v_cmp_eq_u32_e32 vcc, 0, v5
	v_and_b32_e32 v2, 0x80000000, v2
	s_nop 0
	v_cndmask_b32_e32 v5, v5, v6, vcc
	v_cndmask_b32_e32 v3, v4, v3, vcc
	v_mov_b32_e32 v4, 0x3b800000
	v_lshlrev_b32_e32 v3, 20, v3
	v_lshl_add_u32 v4, v5, 23, v4
	v_or3_b32 v2, v2, v4, v3
	v_cvt_f64_f32_e32 v[2:3], v2
.LBB496_587:
	s_or_b64 exec, exec, s[36:37]
.LBB496_588:
	s_mov_b64 s[0:1], -1
	s_waitcnt vmcnt(0)
	v_mov_b64_e32 v[4:5], 0
.LBB496_589:
	s_mov_b64 s[36:37], 0
.LBB496_590:
	s_and_b64 vcc, exec, s[36:37]
	s_cbranch_vccz .LBB496_624
; %bb.591:
	s_cmp_gt_i32 s40, 22
	s_cbranch_scc0 .LBB496_603
; %bb.592:
	s_cmp_lt_i32 s40, 24
	s_cbranch_scc1 .LBB496_604
; %bb.593:
	s_cmp_gt_i32 s40, 24
	s_cbranch_scc0 .LBB496_605
; %bb.594:
	global_load_ubyte v4, v[0:1], off
	s_movk_i32 s0, 0x7f
	s_waitcnt vmcnt(0)
	v_cmp_lt_i16_e32 vcc, s0, v4
	s_mov_b64 s[0:1], 0
	s_and_saveexec_b64 s[36:37], vcc
	s_xor_b64 s[36:37], exec, s[36:37]
	s_cbranch_execz .LBB496_598
; %bb.595:
	s_movk_i32 s0, 0x80
	v_cmp_eq_u16_e32 vcc, s0, v4
	s_mov_b64 s[0:1], -1
	s_and_saveexec_b64 s[38:39], vcc
; %bb.596:
	s_xor_b64 s[0:1], exec, -1
; %bb.597:
	s_or_b64 exec, exec, s[38:39]
	s_and_b64 s[0:1], s[0:1], exec
.LBB496_598:
	s_or_saveexec_b64 s[36:37], s[36:37]
	v_bfrev_b32_e32 v2, 4
	v_mov_b32_e32 v3, 0x7ff80000
	s_xor_b64 exec, exec, s[36:37]
; %bb.599:
	v_cmp_ne_u16_e32 vcc, 0, v4
	s_andn2_b64 s[0:1], s[0:1], exec
	s_and_b64 s[38:39], vcc, exec
	v_mov_b64_e32 v[2:3], 0
	s_or_b64 s[0:1], s[0:1], s[38:39]
; %bb.600:
	s_or_b64 exec, exec, s[36:37]
	s_and_saveexec_b64 s[36:37], s[0:1]
	s_cbranch_execz .LBB496_602
; %bb.601:
	v_and_b32_e32 v3, 0xffff, v4
	v_lshlrev_b32_e32 v2, 24, v4
	v_and_b32_e32 v4, 3, v3
	v_ffbh_u32_e32 v6, v4
	v_min_u32_e32 v6, 32, v6
	v_subrev_u32_e32 v7, 29, v6
	v_bfe_u32 v5, v3, 2, 5
	v_lshlrev_b32_e32 v3, v7, v3
	v_sub_u32_e32 v6, 30, v6
	v_and_b32_e32 v3, 3, v3
	v_cmp_eq_u32_e32 vcc, 0, v5
	v_and_b32_e32 v2, 0x80000000, v2
	s_nop 0
	v_cndmask_b32_e32 v5, v5, v6, vcc
	v_cndmask_b32_e32 v3, v4, v3, vcc
	v_mov_b32_e32 v4, 0x37800000
	v_lshlrev_b32_e32 v3, 21, v3
	v_lshl_add_u32 v4, v5, 23, v4
	v_or3_b32 v2, v2, v4, v3
	v_cvt_f64_f32_e32 v[2:3], v2
.LBB496_602:
	s_or_b64 exec, exec, s[36:37]
	s_mov_b64 s[0:1], 0
	s_branch .LBB496_606
.LBB496_603:
	s_mov_b64 s[36:37], -1
                                        ; implicit-def: $vgpr2_vgpr3
	s_branch .LBB496_612
.LBB496_604:
	s_mov_b64 s[0:1], -1
                                        ; implicit-def: $vgpr2_vgpr3
	s_branch .LBB496_609
.LBB496_605:
	s_mov_b64 s[0:1], -1
                                        ; implicit-def: $vgpr2_vgpr3
.LBB496_606:
	s_and_b64 vcc, exec, s[0:1]
	s_cbranch_vccz .LBB496_608
; %bb.607:
	global_load_ubyte v2, v[0:1], off
	s_mov_b32 s0, 0x7f800000
	s_waitcnt vmcnt(0)
	v_lshlrev_b32_e32 v2, 24, v2
	v_and_b32_e32 v3, 0x7f000000, v2
	v_ffbh_u32_e32 v4, v3
	v_min_u32_e32 v4, 32, v4
	v_sub_u32_e64 v4, v4, 4 clamp
	v_lshlrev_b32_e32 v6, v4, v3
	v_lshlrev_b32_e32 v4, 23, v4
	v_lshrrev_b32_e32 v6, 4, v6
	v_add_u32_e32 v5, 0x1000000, v3
	v_sub_u32_e32 v4, v6, v4
	v_ashrrev_i32_e32 v5, 8, v5
	v_add_u32_e32 v4, 0x3c000000, v4
	v_and_or_b32 v4, v5, s0, v4
	v_cmp_ne_u32_e32 vcc, 0, v3
	s_brev_b32 s0, 1
	s_nop 0
	v_cndmask_b32_e32 v3, 0, v4, vcc
	v_and_or_b32 v2, v2, s0, v3
	v_cvt_f64_f32_e32 v[2:3], v2
.LBB496_608:
	s_mov_b64 s[0:1], 0
.LBB496_609:
	s_andn2_b64 vcc, exec, s[0:1]
	s_cbranch_vccnz .LBB496_611
; %bb.610:
	global_load_ubyte v2, v[0:1], off
	s_movk_i32 s0, 0x7f00
	s_brev_b32 s1, 16
	s_waitcnt vmcnt(0)
	v_lshlrev_b16_e32 v3, 8, v2
	v_lshlrev_b32_e32 v2, 25, v2
	v_lshrrev_b32_e32 v4, 4, v2
	v_and_or_b32 v5, v3, s0, 0.5
	v_or_b32_e32 v4, 0x70000000, v4
	v_add_f32_e32 v5, -0.5, v5
	v_mul_f32_e32 v4, 0x7800000, v4
	v_cmp_gt_u32_e32 vcc, s1, v2
	v_bfe_i32 v3, v3, 0, 16
	s_brev_b32 s0, 1
	v_cndmask_b32_e32 v2, v4, v5, vcc
	v_and_or_b32 v2, v3, s0, v2
	v_cvt_f64_f32_e32 v[2:3], v2
.LBB496_611:
	s_mov_b64 s[36:37], 0
	s_mov_b64 s[0:1], -1
.LBB496_612:
	s_andn2_b64 vcc, exec, s[36:37]
	s_cbranch_vccnz .LBB496_623
; %bb.613:
	s_cmp_gt_i32 s40, 14
	s_cbranch_scc0 .LBB496_616
; %bb.614:
	s_cmp_eq_u32 s40, 15
	s_cbranch_scc0 .LBB496_617
; %bb.615:
	global_load_ushort v2, v[0:1], off
	s_mov_b64 s[0:1], -1
	s_mov_b64 s[34:35], 0
	s_waitcnt vmcnt(0)
	v_lshlrev_b32_e32 v2, 16, v2
	v_cvt_f64_f32_e32 v[2:3], v2
	s_branch .LBB496_618
.LBB496_616:
	s_mov_b64 s[36:37], -1
                                        ; implicit-def: $vgpr2_vgpr3
	s_branch .LBB496_619
.LBB496_617:
	s_mov_b64 s[34:35], -1
                                        ; implicit-def: $vgpr2_vgpr3
.LBB496_618:
	s_mov_b64 s[36:37], 0
.LBB496_619:
	s_and_b64 vcc, exec, s[36:37]
	s_cbranch_vccz .LBB496_623
; %bb.620:
	s_cmp_eq_u32 s40, 11
	s_cbranch_scc0 .LBB496_622
; %bb.621:
	global_load_ubyte v3, v[0:1], off
	s_waitcnt vmcnt(1)
	v_mov_b32_e32 v4, 0x3ff00000
	v_mov_b32_e32 v2, 0
	s_mov_b64 s[0:1], -1
	s_mov_b64 s[34:35], 0
	s_waitcnt vmcnt(0)
	v_cmp_ne_u16_e32 vcc, 0, v3
	s_nop 1
	v_cndmask_b32_e32 v3, 0, v4, vcc
	s_branch .LBB496_623
.LBB496_622:
	s_mov_b64 s[34:35], -1
                                        ; implicit-def: $vgpr2_vgpr3
.LBB496_623:
	s_waitcnt vmcnt(0)
	v_mov_b64_e32 v[4:5], 0
.LBB496_624:
	s_mov_b64 s[36:37], 0
.LBB496_625:
	s_and_b64 vcc, exec, s[36:37]
	s_cbranch_vccz .LBB496_676
; %bb.626:
	s_cmp_lt_i32 s40, 5
	s_cbranch_scc1 .LBB496_631
; %bb.627:
	s_cmp_lt_i32 s40, 8
	s_cbranch_scc1 .LBB496_632
	;; [unrolled: 3-line block ×3, first 2 shown]
; %bb.629:
	s_cmp_gt_i32 s40, 9
	s_cbranch_scc0 .LBB496_634
; %bb.630:
	global_load_dwordx4 v[2:5], v[0:1], off
	s_mov_b64 s[0:1], 0
	s_branch .LBB496_635
.LBB496_631:
	s_mov_b64 s[0:1], -1
                                        ; implicit-def: $vgpr4_vgpr5
	s_branch .LBB496_654
.LBB496_632:
	s_mov_b64 s[0:1], -1
                                        ; implicit-def: $vgpr4_vgpr5
	s_branch .LBB496_641
.LBB496_633:
	s_mov_b64 s[0:1], -1
                                        ; implicit-def: $vgpr4_vgpr5
	s_branch .LBB496_638
.LBB496_634:
	s_mov_b64 s[0:1], -1
                                        ; implicit-def: $vgpr4_vgpr5
.LBB496_635:
	s_andn2_b64 vcc, exec, s[0:1]
	s_cbranch_vccnz .LBB496_637
; %bb.636:
	global_load_dwordx2 v[4:5], v[0:1], off
	s_waitcnt vmcnt(0)
	v_cvt_f64_f32_e32 v[2:3], v4
	v_cvt_f64_f32_e32 v[4:5], v5
.LBB496_637:
	s_mov_b64 s[0:1], 0
.LBB496_638:
	s_andn2_b64 vcc, exec, s[0:1]
	s_cbranch_vccnz .LBB496_640
; %bb.639:
	global_load_dword v2, v[0:1], off
	s_waitcnt vmcnt(0)
	v_cvt_f32_f16_e32 v3, v2
	v_cvt_f32_f16_sdwa v4, v2 dst_sel:DWORD dst_unused:UNUSED_PAD src0_sel:WORD_1
	v_cvt_f64_f32_e32 v[2:3], v3
	v_cvt_f64_f32_e32 v[4:5], v4
.LBB496_640:
	s_mov_b64 s[0:1], 0
.LBB496_641:
	s_andn2_b64 vcc, exec, s[0:1]
	s_cbranch_vccnz .LBB496_653
; %bb.642:
	s_cmp_lt_i32 s40, 6
	s_cbranch_scc1 .LBB496_645
; %bb.643:
	s_cmp_gt_i32 s40, 6
	s_cbranch_scc0 .LBB496_646
; %bb.644:
	global_load_dwordx2 v[2:3], v[0:1], off
	s_mov_b64 s[0:1], 0
	s_branch .LBB496_647
.LBB496_645:
	s_mov_b64 s[0:1], -1
                                        ; implicit-def: $vgpr2_vgpr3
	s_branch .LBB496_650
.LBB496_646:
	s_mov_b64 s[0:1], -1
                                        ; implicit-def: $vgpr2_vgpr3
.LBB496_647:
	s_andn2_b64 vcc, exec, s[0:1]
	s_cbranch_vccnz .LBB496_649
; %bb.648:
	global_load_dword v2, v[0:1], off
	s_waitcnt vmcnt(0)
	v_cvt_f64_f32_e32 v[2:3], v2
.LBB496_649:
	s_mov_b64 s[0:1], 0
.LBB496_650:
	s_andn2_b64 vcc, exec, s[0:1]
	s_cbranch_vccnz .LBB496_652
; %bb.651:
	global_load_ushort v2, v[0:1], off
	s_waitcnt vmcnt(0)
	v_cvt_f32_f16_e32 v2, v2
	v_cvt_f64_f32_e32 v[2:3], v2
.LBB496_652:
	s_waitcnt vmcnt(0)
	v_mov_b64_e32 v[4:5], 0
.LBB496_653:
	s_mov_b64 s[0:1], 0
.LBB496_654:
	s_andn2_b64 vcc, exec, s[0:1]
	s_cbranch_vccnz .LBB496_675
; %bb.655:
	s_cmp_lt_i32 s40, 2
	s_cbranch_scc1 .LBB496_659
; %bb.656:
	s_cmp_lt_i32 s40, 3
	s_cbranch_scc1 .LBB496_660
; %bb.657:
	s_cmp_gt_i32 s40, 3
	s_cbranch_scc0 .LBB496_661
; %bb.658:
	global_load_dwordx2 v[2:3], v[0:1], off
	s_mov_b64 s[0:1], 0
	s_waitcnt vmcnt(0)
	v_cvt_f64_i32_e32 v[4:5], v3
	v_cvt_f64_u32_e32 v[2:3], v2
	v_ldexp_f64 v[4:5], v[4:5], 32
	v_add_f64 v[2:3], v[4:5], v[2:3]
	s_branch .LBB496_662
.LBB496_659:
	s_mov_b64 s[0:1], -1
                                        ; implicit-def: $vgpr2_vgpr3
	s_branch .LBB496_668
.LBB496_660:
	s_mov_b64 s[0:1], -1
                                        ; implicit-def: $vgpr2_vgpr3
	s_branch .LBB496_665
.LBB496_661:
	s_mov_b64 s[0:1], -1
                                        ; implicit-def: $vgpr2_vgpr3
.LBB496_662:
	s_andn2_b64 vcc, exec, s[0:1]
	s_cbranch_vccnz .LBB496_664
; %bb.663:
	global_load_dword v2, v[0:1], off
	s_waitcnt vmcnt(0)
	v_cvt_f64_i32_e32 v[2:3], v2
.LBB496_664:
	s_mov_b64 s[0:1], 0
.LBB496_665:
	s_andn2_b64 vcc, exec, s[0:1]
	s_cbranch_vccnz .LBB496_667
; %bb.666:
	global_load_sshort v2, v[0:1], off
	s_waitcnt vmcnt(0)
	v_cvt_f64_i32_e32 v[2:3], v2
.LBB496_667:
	s_mov_b64 s[0:1], 0
.LBB496_668:
	s_andn2_b64 vcc, exec, s[0:1]
	s_cbranch_vccnz .LBB496_674
; %bb.669:
	s_cmp_gt_i32 s40, 0
	s_cbranch_scc0 .LBB496_671
; %bb.670:
	global_load_sbyte v2, v[0:1], off
	s_mov_b64 s[0:1], 0
	s_waitcnt vmcnt(0)
	v_cvt_f64_i32_e32 v[2:3], v2
	s_branch .LBB496_672
.LBB496_671:
	s_mov_b64 s[0:1], -1
                                        ; implicit-def: $vgpr2_vgpr3
.LBB496_672:
	s_andn2_b64 vcc, exec, s[0:1]
	s_cbranch_vccnz .LBB496_674
; %bb.673:
	global_load_ubyte v0, v[0:1], off
	s_waitcnt vmcnt(0)
	v_cvt_f64_u32_e32 v[2:3], v0
.LBB496_674:
	s_waitcnt vmcnt(0)
	v_mov_b64_e32 v[4:5], 0
.LBB496_675:
	s_mov_b64 s[0:1], -1
.LBB496_676:
	s_andn2_b64 vcc, exec, s[0:1]
	s_cbranch_vccnz .LBB496_692
; %bb.677:
	s_waitcnt vmcnt(0)
	v_cmp_o_f64_e32 vcc, v[2:3], v[2:3]
	v_mov_b64_e32 v[0:1], s[8:9]
	s_and_saveexec_b64 s[0:1], vcc
	s_cbranch_execz .LBB496_681
; %bb.678:
	s_mov_b32 s36, 0
	s_mov_b32 s37, 0x7ff00000
	v_cmp_neq_f64_e32 vcc, s[36:37], v[2:3]
	v_mov_b64_e32 v[0:1], s[10:11]
	s_and_saveexec_b64 s[36:37], vcc
; %bb.679:
	s_mov_b32 s38, 0
	s_mov_b32 s39, 0xfff00000
	v_mov_b32_e32 v0, s15
	v_cmp_eq_f64_e32 vcc, s[38:39], v[2:3]
	s_nop 1
	v_cndmask_b32_e32 v1, v3, v0, vcc
	v_mov_b32_e32 v0, s14
	v_cndmask_b32_e32 v0, v2, v0, vcc
; %bb.680:
	s_or_b64 exec, exec, s[36:37]
.LBB496_681:
	s_or_b64 exec, exec, s[0:1]
	v_cmp_o_f64_e32 vcc, v[4:5], v[4:5]
	v_mov_b64_e32 v[2:3], s[8:9]
	s_and_saveexec_b64 s[0:1], vcc
	s_cbranch_execz .LBB496_685
; %bb.682:
	s_mov_b32 s36, 0
	s_mov_b32 s37, 0x7ff00000
	v_cmp_neq_f64_e32 vcc, s[36:37], v[4:5]
	v_mov_b64_e32 v[2:3], s[10:11]
	s_and_saveexec_b64 s[36:37], vcc
; %bb.683:
	s_mov_b32 s38, 0
	s_mov_b32 s39, 0xfff00000
	v_mov_b32_e32 v2, s15
	v_cmp_eq_f64_e32 vcc, s[38:39], v[4:5]
	s_nop 1
	v_cndmask_b32_e32 v3, v5, v2, vcc
	v_mov_b32_e32 v2, s14
	v_cndmask_b32_e32 v2, v4, v2, vcc
; %bb.684:
	s_or_b64 exec, exec, s[36:37]
.LBB496_685:
	s_or_b64 exec, exec, s[0:1]
	v_mul_lo_u32 v4, v20, s12
	v_ashrrev_i32_e32 v5, 31, v4
	s_and_b32 s42, s33, 0xff
	s_cmp_lt_i32 s42, 11
	v_lshl_add_u64 v[4:5], s[4:5], 0, v[4:5]
	s_cbranch_scc1 .LBB496_693
; %bb.686:
	s_and_b32 s43, 0xffff, s42
	s_cmp_gt_i32 s43, 25
	s_cbranch_scc0 .LBB496_694
; %bb.687:
	s_cmp_gt_i32 s43, 28
	s_cbranch_scc0 .LBB496_695
; %bb.688:
	s_cmp_gt_i32 s43, 43
	s_cbranch_scc0 .LBB496_696
; %bb.689:
	s_cmp_gt_i32 s43, 45
	s_cbranch_scc0 .LBB496_697
; %bb.690:
	s_mov_b64 s[38:39], 0
	s_mov_b64 s[36:37], -1
	s_cmp_eq_u32 s43, 46
	s_mov_b64 s[0:1], 0
	s_cbranch_scc0 .LBB496_698
; %bb.691:
	v_cvt_f32_f64_e32 v7, v[2:3]
	s_movk_i32 s0, 0x7fff
	v_bfe_u32 v9, v7, 16, 1
	v_cvt_f32_f64_e32 v6, v[0:1]
	v_add3_u32 v9, v7, v9, s0
	v_bfe_u32 v8, v6, 16, 1
	v_and_b32_e32 v9, 0xffff0000, v9
	v_mov_b32_e32 v10, 0x7fc00000
	v_cmp_o_f32_e32 vcc, v7, v7
	v_add3_u32 v8, v6, v8, s0
	s_mov_b64 s[0:1], -1
	v_cndmask_b32_e32 v7, v10, v9, vcc
	v_cmp_o_f32_e32 vcc, v6, v6
	v_mov_b32_e32 v6, 0x7fc0
	s_mov_b64 s[36:37], 0
	v_cndmask_b32_sdwa v6, v6, v8, vcc dst_sel:DWORD dst_unused:UNUSED_PAD src0_sel:DWORD src1_sel:WORD_1
	v_or_b32_e32 v6, v7, v6
	global_store_dword v[4:5], v6, off
	s_branch .LBB496_698
.LBB496_692:
	s_mov_b64 s[38:39], 0
                                        ; implicit-def: $vgpr20
	s_mov_b64 s[36:37], s[26:27]
	s_branch .LBB496_809
.LBB496_693:
	s_mov_b64 s[38:39], -1
	s_mov_b64 s[0:1], 0
	s_mov_b64 s[36:37], s[26:27]
	s_branch .LBB496_767
.LBB496_694:
	s_mov_b64 s[38:39], -1
	s_mov_b64 s[0:1], 0
	s_mov_b64 s[36:37], s[26:27]
	s_branch .LBB496_725
.LBB496_695:
	s_mov_b64 s[38:39], -1
	s_mov_b64 s[0:1], 0
	s_mov_b64 s[36:37], s[26:27]
	s_branch .LBB496_708
.LBB496_696:
	s_mov_b64 s[38:39], -1
	s_mov_b64 s[0:1], 0
	s_mov_b64 s[36:37], s[26:27]
	s_branch .LBB496_704
.LBB496_697:
	s_mov_b64 s[38:39], -1
	s_mov_b64 s[0:1], 0
	s_mov_b64 s[36:37], s[26:27]
.LBB496_698:
	s_and_b64 vcc, exec, s[38:39]
	s_cbranch_vccz .LBB496_703
; %bb.699:
	s_cmp_eq_u32 s43, 44
	s_mov_b64 s[36:37], -1
	s_cbranch_scc0 .LBB496_703
; %bb.700:
	v_cvt_f32_f64_e32 v6, v[0:1]
	v_bfe_u32 v7, v6, 23, 8
	s_movk_i32 s0, 0xff
	v_cmp_ne_u32_e32 vcc, s0, v7
	v_mov_b32_e32 v8, 0xff
	s_and_saveexec_b64 s[36:37], vcc
; %bb.701:
	s_mov_b32 s0, 0x3fffff
	v_lshrrev_b32_e32 v8, 23, v6
	v_and_b32_e32 v9, 0x400000, v6
	v_and_or_b32 v6, v6, s0, v7
	v_cmp_ne_u32_e32 vcc, 0, v9
	v_cmp_ne_u32_e64 s[0:1], 0, v6
	s_and_b64 s[0:1], vcc, s[0:1]
	s_nop 0
	v_cndmask_b32_e64 v6, 0, 1, s[0:1]
	v_add_u32_e32 v8, v8, v6
; %bb.702:
	s_or_b64 exec, exec, s[36:37]
	s_mov_b64 s[0:1], -1
	s_mov_b64 s[36:37], 0
	global_store_byte v[4:5], v8, off
.LBB496_703:
	s_mov_b64 s[38:39], 0
.LBB496_704:
	s_and_b64 vcc, exec, s[38:39]
	s_cbranch_vccz .LBB496_707
; %bb.705:
	s_cmp_eq_u32 s43, 29
	s_mov_b64 s[36:37], -1
	s_cbranch_scc0 .LBB496_707
; %bb.706:
	v_trunc_f64_e32 v[6:7], v[0:1]
	s_movk_i32 s0, 0xffe0
	v_ldexp_f64 v[8:9], v[6:7], s0
	v_floor_f64_e32 v[8:9], v[8:9]
	v_fmac_f64_e32 v[6:7], 0xc1f00000, v[8:9]
	v_cvt_u32_f64_e32 v11, v[8:9]
	v_cvt_u32_f64_e32 v10, v[6:7]
	global_store_dwordx2 v[4:5], v[10:11], off
	s_mov_b64 s[0:1], -1
	s_mov_b64 s[36:37], 0
.LBB496_707:
	s_mov_b64 s[38:39], 0
.LBB496_708:
	s_and_b64 vcc, exec, s[38:39]
	s_cbranch_vccz .LBB496_724
; %bb.709:
	s_cmp_lt_i32 s43, 27
	s_mov_b64 s[0:1], -1
	s_cbranch_scc1 .LBB496_715
; %bb.710:
	s_cmp_gt_i32 s43, 27
	v_cvt_u32_f64_e32 v6, v[0:1]
	s_cbranch_scc0 .LBB496_712
; %bb.711:
	s_mov_b64 s[0:1], 0
	global_store_dword v[4:5], v6, off
.LBB496_712:
	s_andn2_b64 vcc, exec, s[0:1]
	s_cbranch_vccnz .LBB496_714
; %bb.713:
	global_store_short v[4:5], v6, off
.LBB496_714:
	s_mov_b64 s[0:1], 0
.LBB496_715:
	s_andn2_b64 vcc, exec, s[0:1]
	s_cbranch_vccnz .LBB496_723
; %bb.716:
	v_cvt_f32_f64_e32 v6, v[0:1]
	v_and_b32_e32 v7, 0x7fffffff, v6
	s_mov_b32 s0, 0x43800000
	v_cmp_gt_u32_e32 vcc, s0, v7
	v_mov_b32_e32 v8, 0x80
	s_and_saveexec_b64 s[0:1], vcc
	s_cbranch_execz .LBB496_722
; %bb.717:
	s_mov_b32 s38, 0x3bffffff
	v_cmp_lt_u32_e32 vcc, s38, v7
	s_mov_b64 s[38:39], 0
                                        ; implicit-def: $vgpr7
	s_and_saveexec_b64 s[40:41], vcc
	s_xor_b64 s[40:41], exec, s[40:41]
	s_cbranch_execz .LBB496_823
; %bb.718:
	v_bfe_u32 v7, v6, 20, 1
	s_mov_b32 s45, 0x487ffff
	v_add3_u32 v7, v6, v7, s45
	s_mov_b64 s[38:39], exec
	v_lshrrev_b32_e32 v7, 20, v7
	s_andn2_saveexec_b64 s[40:41], s[40:41]
	s_cbranch_execnz .LBB496_824
.LBB496_719:
	s_or_b64 exec, exec, s[40:41]
	v_mov_b32_e32 v8, 0
	s_and_saveexec_b64 s[40:41], s[38:39]
.LBB496_720:
	v_lshrrev_b32_e32 v6, 24, v6
	s_movk_i32 s38, 0x80
	v_and_or_b32 v8, v6, s38, v7
.LBB496_721:
	s_or_b64 exec, exec, s[40:41]
.LBB496_722:
	s_or_b64 exec, exec, s[0:1]
	global_store_byte v[4:5], v8, off
.LBB496_723:
	s_mov_b64 s[0:1], -1
.LBB496_724:
	s_mov_b64 s[38:39], 0
.LBB496_725:
	s_and_b64 vcc, exec, s[38:39]
	s_cbranch_vccz .LBB496_766
; %bb.726:
	s_cmp_gt_i32 s43, 22
	s_mov_b64 s[38:39], -1
	s_cbranch_scc0 .LBB496_758
; %bb.727:
	s_cmp_lt_i32 s43, 24
	s_mov_b64 s[0:1], -1
	s_cbranch_scc1 .LBB496_747
; %bb.728:
	s_cmp_gt_i32 s43, 24
	s_cbranch_scc0 .LBB496_736
; %bb.729:
	v_cvt_f32_f64_e32 v6, v[0:1]
	v_and_b32_e32 v7, 0x7fffffff, v6
	s_mov_b32 s0, 0x47800000
	v_cmp_gt_u32_e32 vcc, s0, v7
	v_mov_b32_e32 v8, 0x80
	s_and_saveexec_b64 s[0:1], vcc
	s_cbranch_execz .LBB496_735
; %bb.730:
	s_mov_b32 s38, 0x37ffffff
	v_cmp_lt_u32_e32 vcc, s38, v7
	s_mov_b64 s[38:39], 0
                                        ; implicit-def: $vgpr7
	s_and_saveexec_b64 s[40:41], vcc
	s_xor_b64 s[40:41], exec, s[40:41]
	s_cbranch_execz .LBB496_826
; %bb.731:
	v_bfe_u32 v7, v6, 21, 1
	s_mov_b32 s45, 0x88fffff
	v_add3_u32 v7, v6, v7, s45
	s_mov_b64 s[38:39], exec
	v_lshrrev_b32_e32 v7, 21, v7
	s_andn2_saveexec_b64 s[40:41], s[40:41]
	s_cbranch_execnz .LBB496_827
.LBB496_732:
	s_or_b64 exec, exec, s[40:41]
	v_mov_b32_e32 v8, 0
	s_and_saveexec_b64 s[40:41], s[38:39]
.LBB496_733:
	v_lshrrev_b32_e32 v6, 24, v6
	s_movk_i32 s38, 0x80
	v_and_or_b32 v8, v6, s38, v7
.LBB496_734:
	s_or_b64 exec, exec, s[40:41]
.LBB496_735:
	s_or_b64 exec, exec, s[0:1]
	s_mov_b64 s[0:1], 0
	global_store_byte v[4:5], v8, off
.LBB496_736:
	s_and_b64 vcc, exec, s[0:1]
	s_cbranch_vccz .LBB496_746
; %bb.737:
	v_cvt_f32_f64_e32 v6, v[0:1]
	v_and_b32_e32 v8, 0x7fffffff, v6
	s_mov_b32 s0, 0x43f00000
	v_cmp_gt_u32_e32 vcc, s0, v8
                                        ; implicit-def: $vgpr7
	s_and_saveexec_b64 s[0:1], vcc
	s_xor_b64 s[0:1], exec, s[0:1]
	s_cbranch_execz .LBB496_743
; %bb.738:
	s_mov_b32 s38, 0x3c7fffff
	v_cmp_lt_u32_e32 vcc, s38, v8
                                        ; implicit-def: $vgpr7
	s_and_saveexec_b64 s[38:39], vcc
	s_xor_b64 s[38:39], exec, s[38:39]
; %bb.739:
	v_bfe_u32 v7, v6, 20, 1
	s_mov_b32 s40, 0x407ffff
	v_add3_u32 v7, v6, v7, s40
	v_lshrrev_b32_e32 v8, 20, v7
	v_and_b32_e32 v7, 0xff00000, v7
	s_mov_b32 s40, 0x7f00000
	v_mov_b32_e32 v9, 0x7e
	v_cmp_ne_u32_e32 vcc, s40, v7
	s_nop 1
	v_cndmask_b32_e32 v7, v9, v8, vcc
; %bb.740:
	s_andn2_saveexec_b64 s[38:39], s[38:39]
; %bb.741:
	s_mov_b32 s40, 0x46800000
	v_add_f32_e64 v7, |v6|, s40
; %bb.742:
	s_or_b64 exec, exec, s[38:39]
                                        ; implicit-def: $vgpr8
.LBB496_743:
	s_andn2_saveexec_b64 s[0:1], s[0:1]
; %bb.744:
	s_mov_b32 s38, 0x7f800000
	v_mov_b32_e32 v7, 0x7e
	v_mov_b32_e32 v9, 0x7f
	v_cmp_lt_u32_e32 vcc, s38, v8
	s_nop 1
	v_cndmask_b32_e32 v7, v7, v9, vcc
; %bb.745:
	s_or_b64 exec, exec, s[0:1]
	v_lshrrev_b32_e32 v6, 24, v6
	s_movk_i32 s0, 0x80
	v_and_or_b32 v6, v6, s0, v7
	global_store_byte v[4:5], v6, off
.LBB496_746:
	s_mov_b64 s[0:1], 0
.LBB496_747:
	s_andn2_b64 vcc, exec, s[0:1]
	s_cbranch_vccnz .LBB496_757
; %bb.748:
	v_cvt_f32_f64_e32 v6, v[0:1]
	v_and_b32_e32 v8, 0x7fffffff, v6
	s_mov_b32 s0, 0x47800000
	v_cmp_gt_u32_e32 vcc, s0, v8
                                        ; implicit-def: $vgpr7
	s_and_saveexec_b64 s[0:1], vcc
	s_xor_b64 s[0:1], exec, s[0:1]
	s_cbranch_execz .LBB496_754
; %bb.749:
	s_mov_b32 s38, 0x387fffff
	v_cmp_lt_u32_e32 vcc, s38, v8
                                        ; implicit-def: $vgpr7
	s_and_saveexec_b64 s[38:39], vcc
	s_xor_b64 s[38:39], exec, s[38:39]
; %bb.750:
	v_bfe_u32 v7, v6, 21, 1
	s_mov_b32 s40, 0x80fffff
	v_add3_u32 v7, v6, v7, s40
	v_lshrrev_b32_e32 v7, 21, v7
; %bb.751:
	s_andn2_saveexec_b64 s[38:39], s[38:39]
; %bb.752:
	s_mov_b32 s40, 0x43000000
	v_add_f32_e64 v7, |v6|, s40
; %bb.753:
	s_or_b64 exec, exec, s[38:39]
                                        ; implicit-def: $vgpr8
.LBB496_754:
	s_andn2_saveexec_b64 s[0:1], s[0:1]
; %bb.755:
	s_mov_b32 s38, 0x7f800000
	v_mov_b32_e32 v7, 0x7c
	v_mov_b32_e32 v9, 0x7f
	v_cmp_lt_u32_e32 vcc, s38, v8
	s_nop 1
	v_cndmask_b32_e32 v7, v7, v9, vcc
; %bb.756:
	s_or_b64 exec, exec, s[0:1]
	v_lshrrev_b32_e32 v6, 24, v6
	s_movk_i32 s0, 0x80
	v_and_or_b32 v6, v6, s0, v7
	global_store_byte v[4:5], v6, off
.LBB496_757:
	s_mov_b64 s[38:39], 0
	s_mov_b64 s[0:1], -1
.LBB496_758:
	s_andn2_b64 vcc, exec, s[38:39]
	s_cbranch_vccnz .LBB496_766
; %bb.759:
	s_cmp_gt_i32 s43, 14
	s_mov_b64 s[38:39], -1
	s_cbranch_scc0 .LBB496_763
; %bb.760:
	s_cmp_eq_u32 s43, 15
	s_mov_b64 s[36:37], -1
	s_cbranch_scc0 .LBB496_762
; %bb.761:
	v_cvt_f32_f64_e32 v6, v[0:1]
	v_bfe_u32 v7, v6, 16, 1
	s_movk_i32 s0, 0x7fff
	v_add3_u32 v7, v6, v7, s0
	v_cmp_o_f32_e32 vcc, v6, v6
	v_mov_b32_e32 v6, 0x7fc0
	s_mov_b64 s[0:1], -1
	v_cndmask_b32_sdwa v6, v6, v7, vcc dst_sel:DWORD dst_unused:UNUSED_PAD src0_sel:DWORD src1_sel:WORD_1
	global_store_short v[4:5], v6, off
	s_mov_b64 s[36:37], 0
.LBB496_762:
	s_mov_b64 s[38:39], 0
.LBB496_763:
	s_and_b64 vcc, exec, s[38:39]
	s_cbranch_vccz .LBB496_766
; %bb.764:
	s_cmp_eq_u32 s43, 11
	s_mov_b64 s[36:37], -1
	s_cbranch_scc0 .LBB496_766
; %bb.765:
	v_cmp_neq_f64_e32 vcc, 0, v[0:1]
	v_cmp_neq_f64_e64 s[0:1], 0, v[2:3]
	s_or_b64 s[0:1], vcc, s[0:1]
	s_mov_b64 s[36:37], 0
	v_cndmask_b32_e64 v6, 0, 1, s[0:1]
	s_mov_b64 s[0:1], -1
	global_store_byte v[4:5], v6, off
.LBB496_766:
	s_mov_b64 s[38:39], 0
.LBB496_767:
	s_and_b64 vcc, exec, s[38:39]
	s_cbranch_vccz .LBB496_806
; %bb.768:
	s_and_b32 s38, 0xffff, s42
	s_cmp_lt_i32 s38, 5
	s_mov_b64 s[0:1], -1
	s_cbranch_scc1 .LBB496_789
; %bb.769:
	s_cmp_lt_i32 s38, 8
	s_cbranch_scc1 .LBB496_779
; %bb.770:
	s_cmp_lt_i32 s38, 9
	s_cbranch_scc1 .LBB496_776
; %bb.771:
	s_cmp_gt_i32 s38, 9
	s_cbranch_scc0 .LBB496_773
; %bb.772:
	s_mov_b64 s[0:1], 0
	global_store_dwordx4 v[4:5], v[0:3], off
.LBB496_773:
	s_andn2_b64 vcc, exec, s[0:1]
	s_cbranch_vccnz .LBB496_775
; %bb.774:
	v_cvt_f32_f64_e32 v7, v[2:3]
	v_cvt_f32_f64_e32 v6, v[0:1]
	global_store_dwordx2 v[4:5], v[6:7], off
.LBB496_775:
	s_mov_b64 s[0:1], 0
.LBB496_776:
	s_andn2_b64 vcc, exec, s[0:1]
	s_cbranch_vccnz .LBB496_778
; %bb.777:
	s_movk_i32 s0, 0x1ff
	v_and_or_b32 v6, v1, s0, v0
	v_cmp_ne_u32_e32 vcc, 0, v6
	v_lshrrev_b32_e32 v7, 8, v1
	s_movk_i32 s1, 0xffe
	v_cndmask_b32_e64 v6, 0, 1, vcc
	v_bfe_u32 v8, v1, 20, 11
	v_and_or_b32 v6, v7, s1, v6
	v_sub_u32_e32 v9, 0x3f1, v8
	v_or_b32_e32 v7, 0x1000, v6
	v_med3_i32 v9, v9, 0, 13
	v_lshrrev_b32_e32 v10, v9, v7
	v_lshlrev_b32_e32 v9, v9, v10
	v_cmp_ne_u32_e32 vcc, v9, v7
	v_add_u32_e32 v8, 0xfffffc10, v8
	v_lshl_or_b32 v9, v8, 12, v6
	v_cndmask_b32_e64 v7, 0, 1, vcc
	v_or_b32_e32 v7, v10, v7
	v_cmp_gt_i32_e32 vcc, 1, v8
	s_movk_i32 s39, 0x40f
	v_and_or_b32 v2, v3, s0, v2
	v_cndmask_b32_e32 v7, v9, v7, vcc
	v_and_b32_e32 v9, 7, v7
	v_cmp_lt_i32_e32 vcc, 5, v9
	v_lshrrev_b32_e32 v7, 2, v7
	v_bfe_u32 v11, v3, 20, 11
	v_cndmask_b32_e64 v10, 0, 1, vcc
	v_cmp_eq_u32_e32 vcc, 3, v9
	v_sub_u32_e32 v12, 0x3f1, v11
	v_med3_i32 v12, v12, 0, 13
	v_cndmask_b32_e64 v9, 0, 1, vcc
	v_or_b32_e32 v9, v9, v10
	v_add_u32_e32 v7, v7, v9
	v_mov_b32_e32 v9, 0x7c00
	v_cmp_gt_i32_e32 vcc, 31, v8
	v_mov_b32_e32 v10, 0x7e00
	v_add_u32_e32 v11, 0xfffffc10, v11
	v_cndmask_b32_e32 v7, v9, v7, vcc
	v_cmp_ne_u32_e32 vcc, 0, v6
	s_mov_b32 s40, 0x8000
	s_mov_b32 s0, 0xffff
	v_cndmask_b32_e32 v6, v9, v10, vcc
	v_cmp_eq_u32_e32 vcc, s39, v8
	v_lshrrev_b32_e32 v8, 8, v3
	v_lshrrev_b32_e32 v3, 16, v3
	v_cndmask_b32_e32 v6, v7, v6, vcc
	v_cmp_ne_u32_e32 vcc, 0, v2
	v_and_b32_sdwa v7, v1, s40 dst_sel:DWORD dst_unused:UNUSED_PAD src0_sel:WORD_1 src1_sel:DWORD
	s_nop 0
	v_cndmask_b32_e64 v2, 0, 1, vcc
	v_and_or_b32 v2, v8, s1, v2
	v_or_b32_e32 v8, 0x1000, v2
	v_lshrrev_b32_e32 v13, v12, v8
	v_lshlrev_b32_e32 v12, v12, v13
	v_cmp_ne_u32_e32 vcc, v12, v8
	v_lshl_or_b32 v12, v11, 12, v2
	s_nop 0
	v_cndmask_b32_e64 v8, 0, 1, vcc
	v_or_b32_e32 v8, v13, v8
	v_cmp_gt_i32_e32 vcc, 1, v11
	s_nop 1
	v_cndmask_b32_e32 v8, v12, v8, vcc
	v_and_b32_e32 v12, 7, v8
	v_cmp_lt_i32_e32 vcc, 5, v12
	v_lshrrev_b32_e32 v8, 2, v8
	s_nop 0
	v_cndmask_b32_e64 v13, 0, 1, vcc
	v_cmp_eq_u32_e32 vcc, 3, v12
	s_nop 1
	v_cndmask_b32_e64 v12, 0, 1, vcc
	v_or_b32_e32 v12, v12, v13
	v_add_u32_e32 v8, v8, v12
	v_cmp_gt_i32_e32 vcc, 31, v11
	s_nop 1
	v_cndmask_b32_e32 v8, v9, v8, vcc
	v_cmp_ne_u32_e32 vcc, 0, v2
	s_nop 1
	v_cndmask_b32_e32 v2, v9, v10, vcc
	v_cmp_eq_u32_e32 vcc, s39, v11
	s_nop 1
	v_cndmask_b32_e32 v2, v8, v2, vcc
	v_and_or_b32 v2, v3, s40, v2
	v_bitop3_b32 v3, v7, s0, v6 bitop3:0xc8
	v_lshl_or_b32 v2, v2, 16, v3
	global_store_dword v[4:5], v2, off
.LBB496_778:
	s_mov_b64 s[0:1], 0
.LBB496_779:
	s_andn2_b64 vcc, exec, s[0:1]
	s_cbranch_vccnz .LBB496_788
; %bb.780:
	s_cmp_lt_i32 s38, 6
	s_mov_b64 s[0:1], -1
	s_cbranch_scc1 .LBB496_786
; %bb.781:
	s_cmp_gt_i32 s38, 6
	s_cbranch_scc0 .LBB496_783
; %bb.782:
	s_mov_b64 s[0:1], 0
	global_store_dwordx2 v[4:5], v[0:1], off
.LBB496_783:
	s_andn2_b64 vcc, exec, s[0:1]
	s_cbranch_vccnz .LBB496_785
; %bb.784:
	v_cvt_f32_f64_e32 v2, v[0:1]
	global_store_dword v[4:5], v2, off
.LBB496_785:
	s_mov_b64 s[0:1], 0
.LBB496_786:
	s_andn2_b64 vcc, exec, s[0:1]
	s_cbranch_vccnz .LBB496_788
; %bb.787:
	s_movk_i32 s0, 0x1ff
	v_and_or_b32 v2, v1, s0, v0
	v_cmp_ne_u32_e32 vcc, 0, v2
	v_lshrrev_b32_e32 v3, 8, v1
	s_movk_i32 s0, 0xffe
	v_cndmask_b32_e64 v2, 0, 1, vcc
	v_bfe_u32 v6, v1, 20, 11
	v_and_or_b32 v2, v3, s0, v2
	v_sub_u32_e32 v7, 0x3f1, v6
	v_or_b32_e32 v3, 0x1000, v2
	v_med3_i32 v7, v7, 0, 13
	v_lshrrev_b32_e32 v8, v7, v3
	v_lshlrev_b32_e32 v7, v7, v8
	v_cmp_ne_u32_e32 vcc, v7, v3
	v_add_u32_e32 v6, 0xfffffc10, v6
	v_lshl_or_b32 v7, v6, 12, v2
	v_cndmask_b32_e64 v3, 0, 1, vcc
	v_or_b32_e32 v3, v8, v3
	v_cmp_gt_i32_e32 vcc, 1, v6
	s_movk_i32 s0, 0x40f
	s_nop 0
	v_cndmask_b32_e32 v3, v7, v3, vcc
	v_and_b32_e32 v7, 7, v3
	v_cmp_lt_i32_e32 vcc, 5, v7
	v_lshrrev_b32_e32 v3, 2, v3
	s_nop 0
	v_cndmask_b32_e64 v8, 0, 1, vcc
	v_cmp_eq_u32_e32 vcc, 3, v7
	s_nop 1
	v_cndmask_b32_e64 v7, 0, 1, vcc
	v_or_b32_e32 v7, v7, v8
	v_add_u32_e32 v3, v3, v7
	v_mov_b32_e32 v7, 0x7c00
	v_cmp_gt_i32_e32 vcc, 31, v6
	v_mov_b32_e32 v8, 0x7e00
	s_nop 0
	v_cndmask_b32_e32 v3, v7, v3, vcc
	v_cmp_ne_u32_e32 vcc, 0, v2
	s_nop 1
	v_cndmask_b32_e32 v2, v7, v8, vcc
	v_cmp_eq_u32_e32 vcc, s0, v6
	s_mov_b32 s0, 0x8000
	s_nop 0
	v_cndmask_b32_e32 v2, v3, v2, vcc
	v_lshrrev_b32_e32 v3, 16, v1
	v_and_or_b32 v2, v3, s0, v2
	global_store_short v[4:5], v2, off
.LBB496_788:
	s_mov_b64 s[0:1], 0
.LBB496_789:
	s_andn2_b64 vcc, exec, s[0:1]
	s_cbranch_vccnz .LBB496_805
; %bb.790:
	s_cmp_lt_i32 s38, 2
	s_mov_b64 s[0:1], -1
	s_cbranch_scc1 .LBB496_800
; %bb.791:
	s_cmp_lt_i32 s38, 3
	s_cbranch_scc1 .LBB496_797
; %bb.792:
	s_cmp_gt_i32 s38, 3
	s_cbranch_scc0 .LBB496_794
; %bb.793:
	v_trunc_f64_e32 v[2:3], v[0:1]
	s_movk_i32 s0, 0xffe0
	v_ldexp_f64 v[6:7], v[2:3], s0
	v_floor_f64_e32 v[6:7], v[6:7]
	v_fmac_f64_e32 v[2:3], 0xc1f00000, v[6:7]
	v_cvt_i32_f64_e32 v9, v[6:7]
	v_cvt_u32_f64_e32 v8, v[2:3]
	s_mov_b64 s[0:1], 0
	global_store_dwordx2 v[4:5], v[8:9], off
.LBB496_794:
	s_andn2_b64 vcc, exec, s[0:1]
	s_cbranch_vccnz .LBB496_796
; %bb.795:
	v_cvt_i32_f64_e32 v2, v[0:1]
	global_store_dword v[4:5], v2, off
.LBB496_796:
	s_mov_b64 s[0:1], 0
.LBB496_797:
	s_andn2_b64 vcc, exec, s[0:1]
	s_cbranch_vccnz .LBB496_799
; %bb.798:
	v_cvt_i32_f64_e32 v2, v[0:1]
	global_store_short v[4:5], v2, off
.LBB496_799:
	s_mov_b64 s[0:1], 0
.LBB496_800:
	s_andn2_b64 vcc, exec, s[0:1]
	s_cbranch_vccnz .LBB496_805
; %bb.801:
	s_cmp_gt_i32 s38, 0
	s_mov_b64 s[0:1], -1
	s_cbranch_scc0 .LBB496_803
; %bb.802:
	v_cvt_i32_f64_e32 v2, v[0:1]
	s_mov_b64 s[0:1], 0
	global_store_byte v[4:5], v2, off
.LBB496_803:
	s_andn2_b64 vcc, exec, s[0:1]
	s_cbranch_vccnz .LBB496_805
; %bb.804:
	v_trunc_f64_e32 v[0:1], v[0:1]
	s_movk_i32 s0, 0xffe0
	v_ldexp_f64 v[2:3], v[0:1], s0
	v_floor_f64_e32 v[2:3], v[2:3]
	v_fmac_f64_e32 v[0:1], 0xc1f00000, v[2:3]
	v_cvt_u32_f64_e32 v0, v[0:1]
	global_store_byte v[4:5], v0, off
.LBB496_805:
	s_mov_b64 s[0:1], -1
.LBB496_806:
	s_andn2_b64 vcc, exec, s[0:1]
	s_cbranch_vccnz .LBB496_808
; %bb.807:
	v_add_u32_e32 v20, 0x80, v20
	s_mov_b64 s[38:39], -1
	s_branch .LBB496_809
.LBB496_808:
	s_mov_b64 s[38:39], 0
                                        ; implicit-def: $vgpr20
.LBB496_809:
	s_andn2_b64 s[0:1], s[26:27], exec
	s_and_b64 s[36:37], s[36:37], exec
	s_or_b64 s[36:37], s[0:1], s[36:37]
	s_andn2_b64 s[0:1], s[24:25], exec
	s_and_b64 s[34:35], s[34:35], exec
	s_or_b64 s[0:1], s[0:1], s[34:35]
	s_orn2_b64 s[40:41], s[38:39], exec
.LBB496_810:
	s_or_b64 exec, exec, s[30:31]
	s_mov_b64 s[38:39], 0
	s_mov_b64 s[34:35], 0
	s_mov_b64 s[42:43], 0
                                        ; implicit-def: $vgpr0_vgpr1
                                        ; implicit-def: $vgpr6_vgpr7
	s_and_saveexec_b64 s[30:31], s[40:41]
	s_cbranch_execz .LBB496_898
; %bb.811:
	v_cmp_gt_i32_e32 vcc, s44, v20
	s_mov_b64 s[40:41], 0
	s_mov_b64 s[44:45], s[0:1]
	;; [unrolled: 1-line block ×3, first 2 shown]
                                        ; implicit-def: $vgpr0_vgpr1
                                        ; implicit-def: $vgpr6_vgpr7
	s_and_saveexec_b64 s[34:35], vcc
	s_cbranch_execz .LBB496_897
; %bb.812:
	v_mul_lo_u32 v0, v20, s13
	v_ashrrev_i32_e32 v1, 31, v0
	s_and_b32 s49, 0xffff, s48
	s_cmp_lt_i32 s49, 11
	v_lshl_add_u64 v[0:1], s[6:7], 0, v[0:1]
	s_cbranch_scc1 .LBB496_819
; %bb.813:
	s_cmp_gt_i32 s49, 25
	s_cbranch_scc0 .LBB496_820
; %bb.814:
	s_cmp_gt_i32 s49, 28
	s_cbranch_scc0 .LBB496_821
; %bb.815:
	s_cmp_gt_i32 s49, 43
	s_cbranch_scc0 .LBB496_822
; %bb.816:
	s_cmp_gt_i32 s49, 45
	s_cbranch_scc0 .LBB496_825
; %bb.817:
	s_cmp_eq_u32 s49, 46
	s_mov_b64 s[44:45], 0
	s_cbranch_scc0 .LBB496_828
; %bb.818:
	global_load_dword v2, v[0:1], off
	s_mov_b64 s[42:43], -1
	s_waitcnt vmcnt(0)
	v_and_b32_e32 v3, 0xffff0000, v2
	v_lshlrev_b32_e32 v2, 16, v2
	v_cvt_f64_f32_e32 v[4:5], v2
	v_cvt_f64_f32_e32 v[6:7], v3
	s_branch .LBB496_830
.LBB496_819:
	s_mov_b64 s[44:45], -1
                                        ; implicit-def: $vgpr6_vgpr7
	s_mov_b64 s[38:39], s[0:1]
	s_branch .LBB496_896
.LBB496_820:
	s_mov_b64 s[44:45], -1
	s_mov_b64 s[38:39], s[0:1]
                                        ; implicit-def: $vgpr6_vgpr7
	s_branch .LBB496_863
.LBB496_821:
	s_mov_b64 s[44:45], -1
	s_mov_b64 s[38:39], s[0:1]
                                        ; implicit-def: $vgpr6_vgpr7
	s_branch .LBB496_842
.LBB496_822:
	s_mov_b64 s[44:45], -1
	s_mov_b64 s[38:39], s[0:1]
                                        ; implicit-def: $vgpr6_vgpr7
	s_branch .LBB496_836
.LBB496_823:
	s_andn2_saveexec_b64 s[40:41], s[40:41]
	s_cbranch_execz .LBB496_719
.LBB496_824:
	s_mov_b32 s45, 0x46000000
	v_add_f32_e64 v7, |v6|, s45
	v_and_b32_e32 v7, 0xff, v7
	v_cmp_ne_u32_e32 vcc, 0, v7
	s_andn2_b64 s[38:39], s[38:39], exec
	s_and_b64 s[46:47], vcc, exec
	s_or_b64 s[38:39], s[38:39], s[46:47]
	s_or_b64 exec, exec, s[40:41]
	v_mov_b32_e32 v8, 0
	s_and_saveexec_b64 s[40:41], s[38:39]
	s_cbranch_execnz .LBB496_720
	s_branch .LBB496_721
.LBB496_825:
	s_mov_b64 s[44:45], -1
	s_mov_b64 s[38:39], s[0:1]
	s_branch .LBB496_829
.LBB496_826:
	s_andn2_saveexec_b64 s[40:41], s[40:41]
	s_cbranch_execz .LBB496_732
.LBB496_827:
	s_mov_b32 s45, 0x42800000
	v_add_f32_e64 v7, |v6|, s45
	v_and_b32_e32 v7, 0xff, v7
	v_cmp_ne_u32_e32 vcc, 0, v7
	s_andn2_b64 s[38:39], s[38:39], exec
	s_and_b64 s[46:47], vcc, exec
	s_or_b64 s[38:39], s[38:39], s[46:47]
	s_or_b64 exec, exec, s[40:41]
	v_mov_b32_e32 v8, 0
	s_and_saveexec_b64 s[40:41], s[38:39]
	s_cbranch_execnz .LBB496_733
	s_branch .LBB496_734
.LBB496_828:
	s_mov_b64 s[38:39], -1
.LBB496_829:
                                        ; implicit-def: $vgpr6_vgpr7
.LBB496_830:
	s_and_b64 vcc, exec, s[44:45]
	s_cbranch_vccz .LBB496_835
; %bb.831:
	s_cmp_eq_u32 s49, 44
	s_cbranch_scc0 .LBB496_833
; %bb.832:
	global_load_ubyte v4, v[0:1], off
	s_movk_i32 s42, 0xff
	s_waitcnt vmcnt(1)
	v_bfrev_b32_e32 v5, 4
	v_mov_b32_e32 v6, 0x7ff80000
	v_bfrev_b32_e32 v7, 28
	s_mov_b64 s[38:39], 0
	s_waitcnt vmcnt(0)
	v_lshlrev_b32_e32 v2, 23, v4
	v_cvt_f64_f32_e32 v[2:3], v2
	v_cmp_ne_u32_e32 vcc, s42, v4
	s_mov_b64 s[42:43], -1
	s_nop 0
	v_cndmask_b32_e32 v2, v5, v2, vcc
	v_cndmask_b32_e32 v3, v6, v3, vcc
	v_cmp_ne_u32_e32 vcc, 0, v4
	s_nop 1
	v_cndmask_b32_e32 v5, v7, v3, vcc
	v_cndmask_b32_e32 v4, 0, v2, vcc
	s_branch .LBB496_834
.LBB496_833:
	s_mov_b64 s[38:39], -1
                                        ; implicit-def: $vgpr4_vgpr5
.LBB496_834:
	v_mov_b64_e32 v[6:7], 0
.LBB496_835:
	s_mov_b64 s[44:45], 0
.LBB496_836:
	s_and_b64 vcc, exec, s[44:45]
	s_cbranch_vccz .LBB496_841
; %bb.837:
	s_cmp_eq_u32 s49, 29
	s_cbranch_scc0 .LBB496_839
; %bb.838:
	global_load_dwordx2 v[2:3], v[0:1], off
	s_mov_b64 s[38:39], 0
	s_mov_b64 s[42:43], -1
	s_waitcnt vmcnt(0)
	v_cvt_f64_u32_e32 v[4:5], v3
	v_cvt_f64_u32_e32 v[2:3], v2
	v_ldexp_f64 v[4:5], v[4:5], 32
	v_add_f64 v[4:5], v[4:5], v[2:3]
	s_branch .LBB496_840
.LBB496_839:
	s_mov_b64 s[38:39], -1
                                        ; implicit-def: $vgpr4_vgpr5
.LBB496_840:
	v_mov_b64_e32 v[6:7], 0
.LBB496_841:
	s_mov_b64 s[44:45], 0
.LBB496_842:
	s_and_b64 vcc, exec, s[44:45]
	s_cbranch_vccz .LBB496_862
; %bb.843:
	s_cmp_lt_i32 s49, 27
	s_cbranch_scc1 .LBB496_846
; %bb.844:
	s_cmp_gt_i32 s49, 27
	s_cbranch_scc0 .LBB496_847
; %bb.845:
	global_load_dword v2, v[0:1], off
	s_mov_b64 s[42:43], 0
	s_waitcnt vmcnt(0)
	v_cvt_f64_u32_e32 v[4:5], v2
	s_branch .LBB496_848
.LBB496_846:
	s_mov_b64 s[42:43], -1
                                        ; implicit-def: $vgpr4_vgpr5
	s_branch .LBB496_851
.LBB496_847:
	s_mov_b64 s[42:43], -1
                                        ; implicit-def: $vgpr4_vgpr5
.LBB496_848:
	s_andn2_b64 vcc, exec, s[42:43]
	s_cbranch_vccnz .LBB496_850
; %bb.849:
	global_load_ushort v2, v[0:1], off
	s_waitcnt vmcnt(0)
	v_cvt_f64_u32_e32 v[4:5], v2
.LBB496_850:
	s_mov_b64 s[42:43], 0
.LBB496_851:
	s_andn2_b64 vcc, exec, s[42:43]
	s_cbranch_vccnz .LBB496_861
; %bb.852:
	global_load_ubyte v2, v[0:1], off
	s_movk_i32 s42, 0x7f
	s_waitcnt vmcnt(0)
	v_cmp_lt_i16_e32 vcc, s42, v2
	s_mov_b64 s[42:43], 0
	s_and_saveexec_b64 s[44:45], vcc
	s_xor_b64 s[44:45], exec, s[44:45]
	s_cbranch_execz .LBB496_856
; %bb.853:
	s_movk_i32 s42, 0x80
	v_cmp_eq_u16_e32 vcc, s42, v2
	s_mov_b64 s[42:43], -1
	s_and_saveexec_b64 s[46:47], vcc
; %bb.854:
	s_xor_b64 s[42:43], exec, -1
; %bb.855:
	s_or_b64 exec, exec, s[46:47]
	s_and_b64 s[42:43], s[42:43], exec
.LBB496_856:
	s_or_saveexec_b64 s[44:45], s[44:45]
	v_bfrev_b32_e32 v4, 4
	v_mov_b32_e32 v5, 0x7ff80000
	s_xor_b64 exec, exec, s[44:45]
; %bb.857:
	v_cmp_ne_u16_e32 vcc, 0, v2
	s_andn2_b64 s[42:43], s[42:43], exec
	s_and_b64 s[46:47], vcc, exec
	v_mov_b64_e32 v[4:5], 0
	s_or_b64 s[42:43], s[42:43], s[46:47]
; %bb.858:
	s_or_b64 exec, exec, s[44:45]
	s_and_saveexec_b64 s[44:45], s[42:43]
	s_cbranch_execz .LBB496_860
; %bb.859:
	v_lshlrev_b32_e32 v3, 24, v2
	v_and_b32_e32 v2, 0xffff, v2
	v_and_b32_e32 v4, 7, v2
	v_ffbh_u32_e32 v6, v4
	v_min_u32_e32 v6, 32, v6
	v_subrev_u32_e32 v7, 28, v6
	v_bfe_u32 v5, v2, 3, 4
	v_lshlrev_b32_e32 v2, v7, v2
	v_sub_u32_e32 v6, 29, v6
	v_and_b32_e32 v2, 7, v2
	v_cmp_eq_u32_e32 vcc, 0, v5
	v_and_b32_e32 v3, 0x80000000, v3
	s_nop 0
	v_cndmask_b32_e32 v5, v5, v6, vcc
	v_cndmask_b32_e32 v2, v4, v2, vcc
	v_mov_b32_e32 v4, 0x3b800000
	v_lshlrev_b32_e32 v2, 20, v2
	v_lshl_add_u32 v4, v5, 23, v4
	v_or3_b32 v2, v3, v4, v2
	v_cvt_f64_f32_e32 v[4:5], v2
.LBB496_860:
	s_or_b64 exec, exec, s[44:45]
.LBB496_861:
	s_mov_b64 s[42:43], -1
	v_mov_b64_e32 v[6:7], 0
.LBB496_862:
	s_mov_b64 s[44:45], 0
.LBB496_863:
	s_and_b64 vcc, exec, s[44:45]
	s_cbranch_vccz .LBB496_895
; %bb.864:
	s_cmp_gt_i32 s49, 22
	s_cbranch_scc0 .LBB496_876
; %bb.865:
	s_cmp_lt_i32 s49, 24
	s_cbranch_scc1 .LBB496_877
; %bb.866:
	s_cmp_gt_i32 s49, 24
	s_cbranch_scc0 .LBB496_878
; %bb.867:
	global_load_ubyte v2, v[0:1], off
	s_movk_i32 s40, 0x7f
	s_waitcnt vmcnt(0)
	v_cmp_lt_i16_e32 vcc, s40, v2
	s_mov_b64 s[40:41], 0
	s_and_saveexec_b64 s[42:43], vcc
	s_xor_b64 s[42:43], exec, s[42:43]
	s_cbranch_execz .LBB496_871
; %bb.868:
	s_movk_i32 s40, 0x80
	v_cmp_eq_u16_e32 vcc, s40, v2
	s_mov_b64 s[40:41], -1
	s_and_saveexec_b64 s[44:45], vcc
; %bb.869:
	s_xor_b64 s[40:41], exec, -1
; %bb.870:
	s_or_b64 exec, exec, s[44:45]
	s_and_b64 s[40:41], s[40:41], exec
.LBB496_871:
	s_or_saveexec_b64 s[42:43], s[42:43]
	v_bfrev_b32_e32 v4, 4
	v_mov_b32_e32 v5, 0x7ff80000
	s_xor_b64 exec, exec, s[42:43]
; %bb.872:
	v_cmp_ne_u16_e32 vcc, 0, v2
	s_andn2_b64 s[40:41], s[40:41], exec
	s_and_b64 s[44:45], vcc, exec
	v_mov_b64_e32 v[4:5], 0
	s_or_b64 s[40:41], s[40:41], s[44:45]
; %bb.873:
	s_or_b64 exec, exec, s[42:43]
	s_and_saveexec_b64 s[42:43], s[40:41]
	s_cbranch_execz .LBB496_875
; %bb.874:
	v_lshlrev_b32_e32 v3, 24, v2
	v_and_b32_e32 v2, 0xffff, v2
	v_and_b32_e32 v4, 3, v2
	v_ffbh_u32_e32 v6, v4
	v_min_u32_e32 v6, 32, v6
	v_subrev_u32_e32 v7, 29, v6
	v_bfe_u32 v5, v2, 2, 5
	v_lshlrev_b32_e32 v2, v7, v2
	v_sub_u32_e32 v6, 30, v6
	v_and_b32_e32 v2, 3, v2
	v_cmp_eq_u32_e32 vcc, 0, v5
	v_and_b32_e32 v3, 0x80000000, v3
	s_nop 0
	v_cndmask_b32_e32 v5, v5, v6, vcc
	v_cndmask_b32_e32 v2, v4, v2, vcc
	v_mov_b32_e32 v4, 0x37800000
	v_lshlrev_b32_e32 v2, 21, v2
	v_lshl_add_u32 v4, v5, 23, v4
	v_or3_b32 v2, v3, v4, v2
	v_cvt_f64_f32_e32 v[4:5], v2
.LBB496_875:
	s_or_b64 exec, exec, s[42:43]
	s_mov_b64 s[40:41], 0
	s_branch .LBB496_879
.LBB496_876:
	s_mov_b64 s[40:41], -1
                                        ; implicit-def: $vgpr4_vgpr5
	s_branch .LBB496_885
.LBB496_877:
	s_mov_b64 s[40:41], -1
                                        ; implicit-def: $vgpr4_vgpr5
	s_branch .LBB496_882
.LBB496_878:
	s_mov_b64 s[40:41], -1
                                        ; implicit-def: $vgpr4_vgpr5
.LBB496_879:
	s_and_b64 vcc, exec, s[40:41]
	s_cbranch_vccz .LBB496_881
; %bb.880:
	global_load_ubyte v2, v[0:1], off
	s_mov_b32 s40, 0x7f800000
	s_waitcnt vmcnt(0)
	v_lshlrev_b32_e32 v2, 24, v2
	v_and_b32_e32 v3, 0x7f000000, v2
	v_ffbh_u32_e32 v4, v3
	v_min_u32_e32 v4, 32, v4
	v_sub_u32_e64 v4, v4, 4 clamp
	v_lshlrev_b32_e32 v6, v4, v3
	v_lshlrev_b32_e32 v4, 23, v4
	v_lshrrev_b32_e32 v6, 4, v6
	v_add_u32_e32 v5, 0x1000000, v3
	v_sub_u32_e32 v4, v6, v4
	v_ashrrev_i32_e32 v5, 8, v5
	v_add_u32_e32 v4, 0x3c000000, v4
	v_and_or_b32 v4, v5, s40, v4
	v_cmp_ne_u32_e32 vcc, 0, v3
	s_brev_b32 s40, 1
	s_nop 0
	v_cndmask_b32_e32 v3, 0, v4, vcc
	v_and_or_b32 v2, v2, s40, v3
	v_cvt_f64_f32_e32 v[4:5], v2
.LBB496_881:
	s_mov_b64 s[40:41], 0
.LBB496_882:
	s_andn2_b64 vcc, exec, s[40:41]
	s_cbranch_vccnz .LBB496_884
; %bb.883:
	global_load_ubyte v2, v[0:1], off
	s_movk_i32 s40, 0x7f00
	s_brev_b32 s41, 16
	s_waitcnt vmcnt(0)
	v_lshlrev_b16_e32 v3, 8, v2
	v_lshlrev_b32_e32 v2, 25, v2
	v_lshrrev_b32_e32 v4, 4, v2
	v_and_or_b32 v5, v3, s40, 0.5
	v_or_b32_e32 v4, 0x70000000, v4
	v_add_f32_e32 v5, -0.5, v5
	v_mul_f32_e32 v4, 0x7800000, v4
	v_cmp_gt_u32_e32 vcc, s41, v2
	v_bfe_i32 v3, v3, 0, 16
	s_brev_b32 s40, 1
	v_cndmask_b32_e32 v2, v4, v5, vcc
	v_and_or_b32 v2, v3, s40, v2
	v_cvt_f64_f32_e32 v[4:5], v2
.LBB496_884:
	s_mov_b64 s[40:41], 0
	s_mov_b64 s[42:43], -1
.LBB496_885:
	s_andn2_b64 vcc, exec, s[40:41]
	s_mov_b64 s[40:41], 0
	s_cbranch_vccnz .LBB496_894
; %bb.886:
	s_cmp_gt_i32 s49, 14
	s_cbranch_scc0 .LBB496_889
; %bb.887:
	s_cmp_eq_u32 s49, 15
	s_cbranch_scc0 .LBB496_890
; %bb.888:
	global_load_ushort v2, v[0:1], off
	s_mov_b64 s[38:39], 0
	s_mov_b64 s[42:43], -1
	s_waitcnt vmcnt(0)
	v_lshlrev_b32_e32 v2, 16, v2
	v_cvt_f64_f32_e32 v[4:5], v2
	s_branch .LBB496_891
.LBB496_889:
	s_mov_b64 s[44:45], -1
                                        ; implicit-def: $vgpr4_vgpr5
	s_branch .LBB496_892
.LBB496_890:
	s_mov_b64 s[38:39], -1
                                        ; implicit-def: $vgpr4_vgpr5
.LBB496_891:
	s_mov_b64 s[44:45], 0
.LBB496_892:
	s_and_b64 vcc, exec, s[44:45]
	s_cbranch_vccz .LBB496_894
; %bb.893:
	s_cmp_lg_u32 s49, 11
	s_cselect_b64 s[44:45], -1, 0
	s_andn2_b64 s[38:39], s[38:39], exec
	s_and_b64 s[44:45], s[44:45], exec
	s_mov_b64 s[40:41], -1
	s_or_b64 s[38:39], s[38:39], s[44:45]
.LBB496_894:
	v_mov_b64_e32 v[6:7], 0
.LBB496_895:
	s_mov_b64 s[44:45], 0
.LBB496_896:
	s_and_b64 s[46:47], s[44:45], exec
	s_andn2_b64 s[44:45], s[0:1], exec
	s_and_b64 s[38:39], s[38:39], exec
	s_and_b64 s[42:43], s[42:43], exec
	;; [unrolled: 1-line block ×3, first 2 shown]
	s_or_b64 s[44:45], s[44:45], s[38:39]
.LBB496_897:
	s_or_b64 exec, exec, s[34:35]
	s_and_b64 s[38:39], s[40:41], exec
	s_andn2_b64 s[0:1], s[0:1], exec
	s_and_b64 s[40:41], s[44:45], exec
	s_and_b64 s[42:43], s[42:43], exec
	;; [unrolled: 1-line block ×3, first 2 shown]
	s_or_b64 s[0:1], s[0:1], s[40:41]
.LBB496_898:
	s_or_b64 exec, exec, s[30:31]
	s_andn2_b64 s[26:27], s[26:27], exec
	s_and_b64 s[30:31], s[36:37], exec
	s_andn2_b64 s[24:25], s[24:25], exec
	s_and_b64 s[0:1], s[0:1], exec
	s_or_b64 s[26:27], s[26:27], s[30:31]
	s_and_b64 s[36:37], s[42:43], exec
	s_and_b64 s[34:35], s[34:35], exec
	;; [unrolled: 1-line block ×3, first 2 shown]
	s_or_b64 s[24:25], s[24:25], s[0:1]
.LBB496_899:
	s_or_b64 exec, exec, s[28:29]
	s_andn2_b64 s[0:1], s[18:19], exec
	s_and_b64 s[18:19], s[26:27], exec
	s_andn2_b64 s[20:21], s[20:21], exec
	s_and_b64 s[24:25], s[24:25], exec
	s_or_b64 s[18:19], s[0:1], s[18:19]
	s_and_b64 s[0:1], s[36:37], exec
	s_and_b64 s[28:29], s[34:35], exec
	;; [unrolled: 1-line block ×3, first 2 shown]
	s_or_b64 s[20:21], s[20:21], s[24:25]
	s_or_b64 exec, exec, s[22:23]
	s_mov_b64 s[22:23], 0
	s_and_saveexec_b64 s[24:25], s[20:21]
	s_cbranch_execz .LBB496_274
.LBB496_900:
	s_mov_b64 s[22:23], exec
	s_andn2_b64 s[26:27], s[26:27], exec
	s_trap 2
	s_or_b64 exec, exec, s[24:25]
	s_and_saveexec_b64 s[20:21], s[26:27]
	s_xor_b64 s[20:21], exec, s[20:21]
	s_cbranch_execnz .LBB496_275
.LBB496_901:
	s_or_b64 exec, exec, s[20:21]
	s_and_saveexec_b64 s[20:21], s[28:29]
	s_cbranch_execz .LBB496_949
.LBB496_902:
	s_sext_i32_i16 s24, s48
	s_cmp_lt_i32 s24, 5
	s_cbranch_scc1 .LBB496_907
; %bb.903:
	s_cmp_lt_i32 s24, 8
	s_cbranch_scc1 .LBB496_908
; %bb.904:
	;; [unrolled: 3-line block ×3, first 2 shown]
	s_cmp_gt_i32 s24, 9
	s_cbranch_scc0 .LBB496_910
; %bb.906:
	global_load_dwordx4 v[4:7], v[0:1], off
	s_mov_b64 s[24:25], 0
	s_branch .LBB496_911
.LBB496_907:
                                        ; implicit-def: $vgpr6_vgpr7
	s_branch .LBB496_929
.LBB496_908:
                                        ; implicit-def: $vgpr6_vgpr7
	s_branch .LBB496_917
.LBB496_909:
	s_mov_b64 s[24:25], -1
                                        ; implicit-def: $vgpr6_vgpr7
	s_branch .LBB496_914
.LBB496_910:
	s_mov_b64 s[24:25], -1
                                        ; implicit-def: $vgpr6_vgpr7
.LBB496_911:
	s_andn2_b64 vcc, exec, s[24:25]
	s_cbranch_vccnz .LBB496_913
; %bb.912:
	global_load_dwordx2 v[2:3], v[0:1], off
	s_waitcnt vmcnt(0)
	v_cvt_f64_f32_e32 v[4:5], v2
	v_cvt_f64_f32_e32 v[6:7], v3
.LBB496_913:
	s_mov_b64 s[24:25], 0
.LBB496_914:
	s_andn2_b64 vcc, exec, s[24:25]
	s_cbranch_vccnz .LBB496_916
; %bb.915:
	global_load_dword v2, v[0:1], off
	s_waitcnt vmcnt(0)
	v_cvt_f32_f16_e32 v3, v2
	v_cvt_f32_f16_sdwa v2, v2 dst_sel:DWORD dst_unused:UNUSED_PAD src0_sel:WORD_1
	v_cvt_f64_f32_e32 v[4:5], v3
	v_cvt_f64_f32_e32 v[6:7], v2
.LBB496_916:
	s_cbranch_execnz .LBB496_928
.LBB496_917:
	s_sext_i32_i16 s24, s48
	s_cmp_lt_i32 s24, 6
	s_cbranch_scc1 .LBB496_920
; %bb.918:
	s_cmp_gt_i32 s24, 6
	s_cbranch_scc0 .LBB496_921
; %bb.919:
	global_load_dwordx2 v[4:5], v[0:1], off
	s_mov_b64 s[24:25], 0
	s_branch .LBB496_922
.LBB496_920:
	s_mov_b64 s[24:25], -1
                                        ; implicit-def: $vgpr4_vgpr5
	s_branch .LBB496_925
.LBB496_921:
	s_mov_b64 s[24:25], -1
                                        ; implicit-def: $vgpr4_vgpr5
.LBB496_922:
	s_andn2_b64 vcc, exec, s[24:25]
	s_cbranch_vccnz .LBB496_924
; %bb.923:
	global_load_dword v2, v[0:1], off
	s_waitcnt vmcnt(0)
	v_cvt_f64_f32_e32 v[4:5], v2
.LBB496_924:
	s_mov_b64 s[24:25], 0
.LBB496_925:
	s_andn2_b64 vcc, exec, s[24:25]
	s_cbranch_vccnz .LBB496_927
; %bb.926:
	global_load_ushort v2, v[0:1], off
	s_waitcnt vmcnt(0)
	v_cvt_f32_f16_e32 v2, v2
	v_cvt_f64_f32_e32 v[4:5], v2
.LBB496_927:
	s_waitcnt vmcnt(0)
	v_mov_b64_e32 v[6:7], 0
.LBB496_928:
	s_cbranch_execnz .LBB496_948
.LBB496_929:
	s_sext_i32_i16 s24, s48
	s_cmp_lt_i32 s24, 2
	s_cbranch_scc1 .LBB496_933
; %bb.930:
	s_cmp_lt_i32 s24, 3
	s_cbranch_scc1 .LBB496_934
; %bb.931:
	s_cmp_gt_i32 s24, 3
	s_cbranch_scc0 .LBB496_935
; %bb.932:
	global_load_dwordx2 v[2:3], v[0:1], off
	s_mov_b64 s[24:25], 0
	s_waitcnt vmcnt(0)
	v_cvt_f64_i32_e32 v[4:5], v3
	v_cvt_f64_u32_e32 v[2:3], v2
	v_ldexp_f64 v[4:5], v[4:5], 32
	v_add_f64 v[4:5], v[4:5], v[2:3]
	s_branch .LBB496_936
.LBB496_933:
                                        ; implicit-def: $vgpr4_vgpr5
	s_branch .LBB496_942
.LBB496_934:
	s_mov_b64 s[24:25], -1
                                        ; implicit-def: $vgpr4_vgpr5
	s_branch .LBB496_939
.LBB496_935:
	s_mov_b64 s[24:25], -1
                                        ; implicit-def: $vgpr4_vgpr5
.LBB496_936:
	s_andn2_b64 vcc, exec, s[24:25]
	s_cbranch_vccnz .LBB496_938
; %bb.937:
	global_load_dword v2, v[0:1], off
	s_waitcnt vmcnt(0)
	v_cvt_f64_i32_e32 v[4:5], v2
.LBB496_938:
	s_mov_b64 s[24:25], 0
.LBB496_939:
	s_andn2_b64 vcc, exec, s[24:25]
	s_cbranch_vccnz .LBB496_941
; %bb.940:
	global_load_sshort v2, v[0:1], off
	s_waitcnt vmcnt(0)
	v_cvt_f64_i32_e32 v[4:5], v2
.LBB496_941:
	s_cbranch_execnz .LBB496_947
.LBB496_942:
	s_sext_i32_i16 s24, s48
	s_cmp_gt_i32 s24, 0
	s_cbranch_scc0 .LBB496_944
; %bb.943:
	global_load_sbyte v2, v[0:1], off
	s_mov_b64 s[24:25], 0
	s_waitcnt vmcnt(0)
	v_cvt_f64_i32_e32 v[4:5], v2
	s_branch .LBB496_945
.LBB496_944:
	s_mov_b64 s[24:25], -1
                                        ; implicit-def: $vgpr4_vgpr5
.LBB496_945:
	s_andn2_b64 vcc, exec, s[24:25]
	s_cbranch_vccnz .LBB496_947
; %bb.946:
	global_load_ubyte v0, v[0:1], off
	s_waitcnt vmcnt(0)
	v_cvt_f64_u32_e32 v[4:5], v0
.LBB496_947:
	s_waitcnt vmcnt(0)
	v_mov_b64_e32 v[6:7], 0
.LBB496_948:
	s_or_b64 s[0:1], s[0:1], exec
.LBB496_949:
	s_or_b64 exec, exec, s[20:21]
	s_mov_b64 s[26:27], 0
	s_mov_b64 s[24:25], 0
                                        ; implicit-def: $sgpr34
                                        ; implicit-def: $vgpr8_vgpr9
                                        ; implicit-def: $vgpr2_vgpr3
	s_and_saveexec_b64 s[20:21], s[0:1]
	s_cbranch_execz .LBB496_965
; %bb.950:
	s_waitcnt vmcnt(0)
	v_cmp_o_f64_e32 vcc, v[4:5], v[4:5]
	v_mov_b64_e32 v[0:1], s[8:9]
	s_and_saveexec_b64 s[0:1], vcc
	s_cbranch_execz .LBB496_954
; %bb.951:
	s_mov_b32 s24, 0
	s_mov_b32 s25, 0x7ff00000
	v_cmp_neq_f64_e32 vcc, s[24:25], v[4:5]
	v_mov_b64_e32 v[0:1], s[10:11]
	s_and_saveexec_b64 s[24:25], vcc
; %bb.952:
	s_mov_b32 s26, 0
	s_mov_b32 s27, 0xfff00000
	v_mov_b32_e32 v0, s15
	v_cmp_eq_f64_e32 vcc, s[26:27], v[4:5]
	s_nop 1
	v_cndmask_b32_e32 v1, v5, v0, vcc
	v_mov_b32_e32 v0, s14
	v_cndmask_b32_e32 v0, v4, v0, vcc
; %bb.953:
	s_or_b64 exec, exec, s[24:25]
.LBB496_954:
	s_or_b64 exec, exec, s[0:1]
	v_cmp_o_f64_e32 vcc, v[6:7], v[6:7]
	v_mov_b64_e32 v[2:3], s[8:9]
	s_and_saveexec_b64 s[0:1], vcc
	s_cbranch_execz .LBB496_958
; %bb.955:
	s_mov_b32 s24, 0
	s_mov_b32 s25, 0x7ff00000
	v_cmp_neq_f64_e32 vcc, s[24:25], v[6:7]
	v_mov_b64_e32 v[2:3], s[10:11]
	s_and_saveexec_b64 s[24:25], vcc
; %bb.956:
	s_mov_b32 s26, 0
	s_mov_b32 s27, 0xfff00000
	v_mov_b32_e32 v2, s15
	v_cmp_eq_f64_e32 vcc, s[26:27], v[6:7]
	s_nop 1
	v_cndmask_b32_e32 v3, v7, v2, vcc
	v_mov_b32_e32 v2, s14
	v_cndmask_b32_e32 v2, v6, v2, vcc
; %bb.957:
	s_or_b64 exec, exec, s[24:25]
.LBB496_958:
	s_or_b64 exec, exec, s[0:1]
	v_mul_lo_u32 v4, v20, s12
	v_ashrrev_i32_e32 v5, 31, v4
	s_and_b32 s34, s33, 0xff
	s_cmp_lt_i32 s34, 11
	v_lshl_add_u64 v[8:9], s[4:5], 0, v[4:5]
	s_cbranch_scc1 .LBB496_968
; %bb.959:
	s_and_b32 s35, 0xffff, s34
	s_mov_b64 s[26:27], -1
	s_cmp_gt_i32 s35, 25
	s_mov_b64 s[0:1], s[18:19]
	s_cbranch_scc0 .LBB496_996
; %bb.960:
	s_mov_b64 s[24:25], -1
	s_cmp_gt_i32 s35, 28
	s_mov_b64 s[0:1], s[18:19]
	s_cbranch_scc0 .LBB496_980
; %bb.961:
	s_cmp_gt_i32 s35, 43
	s_mov_b64 s[0:1], s[18:19]
	s_cbranch_scc0 .LBB496_976
; %bb.962:
	;; [unrolled: 4-line block ×3, first 2 shown]
	s_cmp_eq_u32 s35, 46
	s_mov_b64 s[0:1], -1
	s_cbranch_scc0 .LBB496_969
; %bb.964:
	v_cvt_f32_f64_e32 v5, v[2:3]
	s_movk_i32 s0, 0x7fff
	v_bfe_u32 v7, v5, 16, 1
	v_cvt_f32_f64_e32 v4, v[0:1]
	v_add3_u32 v7, v5, v7, s0
	v_bfe_u32 v6, v4, 16, 1
	v_and_b32_e32 v7, 0xffff0000, v7
	v_mov_b32_e32 v10, 0x7fc00000
	v_cmp_o_f32_e32 vcc, v5, v5
	v_add3_u32 v6, v4, v6, s0
	s_mov_b64 s[0:1], 0
	v_cndmask_b32_e32 v5, v10, v7, vcc
	v_cmp_o_f32_e32 vcc, v4, v4
	v_mov_b32_e32 v4, 0x7fc0
	s_mov_b64 s[24:25], 0
	v_cndmask_b32_sdwa v4, v4, v6, vcc dst_sel:DWORD dst_unused:UNUSED_PAD src0_sel:DWORD src1_sel:WORD_1
	v_or_b32_e32 v4, v5, v4
	global_store_dword v[8:9], v4, off
	s_branch .LBB496_970
.LBB496_965:
	s_or_b64 exec, exec, s[20:21]
	s_and_saveexec_b64 s[0:1], s[18:19]
	s_cbranch_execnz .LBB496_1038
.LBB496_966:
	s_or_b64 exec, exec, s[0:1]
	s_and_saveexec_b64 s[0:1], s[26:27]
	s_xor_b64 s[18:19], exec, s[0:1]
	s_cbranch_execz .LBB496_1039
.LBB496_967:
	v_cmp_neq_f64_e32 vcc, 0, v[0:1]
	s_waitcnt vmcnt(0)
	v_cmp_neq_f64_e64 s[0:1], 0, v[2:3]
	s_or_b64 s[0:1], vcc, s[0:1]
	s_nop 0
	v_cndmask_b32_e64 v4, 0, 1, s[0:1]
	global_store_byte v[8:9], v4, off
	s_or_b64 exec, exec, s[18:19]
	s_and_saveexec_b64 s[0:1], s[24:25]
	s_xor_b64 s[0:1], exec, s[0:1]
	s_cbranch_execz .LBB496_1077
	s_branch .LBB496_1040
.LBB496_968:
	s_mov_b64 s[26:27], 0
	s_mov_b64 s[24:25], -1
	s_mov_b64 s[0:1], s[18:19]
	s_branch .LBB496_1037
.LBB496_969:
	s_mov_b64 s[24:25], 0
.LBB496_970:
	s_and_b64 vcc, exec, s[24:25]
	s_cbranch_vccz .LBB496_975
; %bb.971:
	s_cmp_eq_u32 s35, 44
	s_mov_b64 s[0:1], -1
	s_cbranch_scc0 .LBB496_975
; %bb.972:
	v_cvt_f32_f64_e32 v4, v[0:1]
	v_bfe_u32 v5, v4, 23, 8
	s_movk_i32 s0, 0xff
	v_cmp_ne_u32_e32 vcc, s0, v5
	v_mov_b32_e32 v6, 0xff
	s_and_saveexec_b64 s[24:25], vcc
; %bb.973:
	s_mov_b32 s0, 0x3fffff
	v_lshrrev_b32_e32 v6, 23, v4
	v_and_b32_e32 v7, 0x400000, v4
	v_and_or_b32 v4, v4, s0, v5
	v_cmp_ne_u32_e32 vcc, 0, v7
	v_cmp_ne_u32_e64 s[0:1], 0, v4
	s_and_b64 s[0:1], vcc, s[0:1]
	s_nop 0
	v_cndmask_b32_e64 v4, 0, 1, s[0:1]
	v_add_u32_e32 v6, v6, v4
; %bb.974:
	s_or_b64 exec, exec, s[24:25]
	s_mov_b64 s[0:1], 0
	global_store_byte v[8:9], v6, off
.LBB496_975:
	s_mov_b64 s[24:25], 0
.LBB496_976:
	s_and_b64 vcc, exec, s[24:25]
	s_cbranch_vccz .LBB496_979
; %bb.977:
	s_cmp_eq_u32 s35, 29
	s_mov_b64 s[0:1], -1
	s_cbranch_scc0 .LBB496_979
; %bb.978:
	v_trunc_f64_e32 v[4:5], v[0:1]
	s_movk_i32 s0, 0xffe0
	v_ldexp_f64 v[6:7], v[4:5], s0
	v_floor_f64_e32 v[6:7], v[6:7]
	v_fmac_f64_e32 v[4:5], 0xc1f00000, v[6:7]
	v_cvt_u32_f64_e32 v11, v[6:7]
	v_cvt_u32_f64_e32 v10, v[4:5]
	global_store_dwordx2 v[8:9], v[10:11], off
	s_mov_b64 s[0:1], 0
.LBB496_979:
	s_mov_b64 s[24:25], 0
.LBB496_980:
	s_and_b64 vcc, exec, s[24:25]
	s_cbranch_vccz .LBB496_995
; %bb.981:
	s_cmp_lt_i32 s35, 27
	s_mov_b64 s[24:25], -1
	s_cbranch_scc1 .LBB496_987
; %bb.982:
	s_cmp_gt_i32 s35, 27
	v_cvt_u32_f64_e32 v4, v[0:1]
	s_cbranch_scc0 .LBB496_984
; %bb.983:
	s_mov_b64 s[24:25], 0
	global_store_dword v[8:9], v4, off
.LBB496_984:
	s_andn2_b64 vcc, exec, s[24:25]
	s_cbranch_vccnz .LBB496_986
; %bb.985:
	global_store_short v[8:9], v4, off
.LBB496_986:
	s_mov_b64 s[24:25], 0
.LBB496_987:
	s_andn2_b64 vcc, exec, s[24:25]
	s_cbranch_vccnz .LBB496_995
; %bb.988:
	v_cvt_f32_f64_e32 v4, v[0:1]
	v_and_b32_e32 v5, 0x7fffffff, v4
	s_mov_b32 s24, 0x43800000
	v_cmp_gt_u32_e32 vcc, s24, v5
	v_mov_b32_e32 v6, 0x80
	s_and_saveexec_b64 s[24:25], vcc
	s_cbranch_execz .LBB496_994
; %bb.989:
	s_mov_b32 s26, 0x3bffffff
	v_cmp_lt_u32_e32 vcc, s26, v5
	s_mov_b64 s[26:27], 0
                                        ; implicit-def: $vgpr5
	s_and_saveexec_b64 s[28:29], vcc
	s_xor_b64 s[28:29], exec, s[28:29]
	s_cbranch_execz .LBB496_1092
; %bb.990:
	v_bfe_u32 v5, v4, 20, 1
	s_mov_b32 s30, 0x487ffff
	v_add3_u32 v5, v4, v5, s30
	s_mov_b64 s[26:27], exec
	v_lshrrev_b32_e32 v5, 20, v5
	s_andn2_saveexec_b64 s[28:29], s[28:29]
	s_cbranch_execnz .LBB496_1093
.LBB496_991:
	s_or_b64 exec, exec, s[28:29]
	v_mov_b32_e32 v6, 0
	s_and_saveexec_b64 s[28:29], s[26:27]
.LBB496_992:
	v_lshrrev_b32_e32 v4, 24, v4
	s_movk_i32 s26, 0x80
	v_and_or_b32 v6, v4, s26, v5
.LBB496_993:
	s_or_b64 exec, exec, s[28:29]
.LBB496_994:
	s_or_b64 exec, exec, s[24:25]
	global_store_byte v[8:9], v6, off
.LBB496_995:
	s_mov_b64 s[26:27], 0
.LBB496_996:
	s_mov_b64 s[24:25], 0
	s_and_b64 vcc, exec, s[26:27]
	s_cbranch_vccz .LBB496_1036
; %bb.997:
	s_cmp_gt_i32 s35, 22
	s_mov_b64 s[26:27], -1
	s_cbranch_scc0 .LBB496_1029
; %bb.998:
	s_cmp_lt_i32 s35, 24
	s_cbranch_scc1 .LBB496_1018
; %bb.999:
	s_cmp_gt_i32 s35, 24
	s_cbranch_scc0 .LBB496_1007
; %bb.1000:
	v_cvt_f32_f64_e32 v4, v[0:1]
	v_and_b32_e32 v5, 0x7fffffff, v4
	s_mov_b32 s26, 0x47800000
	v_cmp_gt_u32_e32 vcc, s26, v5
	v_mov_b32_e32 v6, 0x80
	s_and_saveexec_b64 s[26:27], vcc
	s_cbranch_execz .LBB496_1006
; %bb.1001:
	s_mov_b32 s28, 0x37ffffff
	v_cmp_lt_u32_e32 vcc, s28, v5
	s_mov_b64 s[28:29], 0
                                        ; implicit-def: $vgpr5
	s_and_saveexec_b64 s[30:31], vcc
	s_xor_b64 s[30:31], exec, s[30:31]
	s_cbranch_execz .LBB496_1231
; %bb.1002:
	v_bfe_u32 v5, v4, 21, 1
	s_mov_b32 s36, 0x88fffff
	v_add3_u32 v5, v4, v5, s36
	s_mov_b64 s[28:29], exec
	v_lshrrev_b32_e32 v5, 21, v5
	s_andn2_saveexec_b64 s[30:31], s[30:31]
	s_cbranch_execnz .LBB496_1232
.LBB496_1003:
	s_or_b64 exec, exec, s[30:31]
	v_mov_b32_e32 v6, 0
	s_and_saveexec_b64 s[30:31], s[28:29]
.LBB496_1004:
	v_lshrrev_b32_e32 v4, 24, v4
	s_movk_i32 s28, 0x80
	v_and_or_b32 v6, v4, s28, v5
.LBB496_1005:
	s_or_b64 exec, exec, s[30:31]
.LBB496_1006:
	s_or_b64 exec, exec, s[26:27]
	s_mov_b64 s[26:27], 0
	global_store_byte v[8:9], v6, off
.LBB496_1007:
	s_and_b64 vcc, exec, s[26:27]
	s_cbranch_vccz .LBB496_1017
; %bb.1008:
	v_cvt_f32_f64_e32 v4, v[0:1]
	v_and_b32_e32 v6, 0x7fffffff, v4
	s_mov_b32 s26, 0x43f00000
	v_cmp_gt_u32_e32 vcc, s26, v6
                                        ; implicit-def: $vgpr5
	s_and_saveexec_b64 s[26:27], vcc
	s_xor_b64 s[26:27], exec, s[26:27]
	s_cbranch_execz .LBB496_1014
; %bb.1009:
	s_mov_b32 s28, 0x3c7fffff
	v_cmp_lt_u32_e32 vcc, s28, v6
                                        ; implicit-def: $vgpr5
	s_and_saveexec_b64 s[28:29], vcc
	s_xor_b64 s[28:29], exec, s[28:29]
; %bb.1010:
	v_bfe_u32 v5, v4, 20, 1
	s_mov_b32 s30, 0x407ffff
	v_add3_u32 v5, v4, v5, s30
	v_lshrrev_b32_e32 v6, 20, v5
	v_and_b32_e32 v5, 0xff00000, v5
	s_mov_b32 s30, 0x7f00000
	v_mov_b32_e32 v7, 0x7e
	v_cmp_ne_u32_e32 vcc, s30, v5
	s_nop 1
	v_cndmask_b32_e32 v5, v7, v6, vcc
; %bb.1011:
	s_andn2_saveexec_b64 s[28:29], s[28:29]
; %bb.1012:
	s_mov_b32 s30, 0x46800000
	v_add_f32_e64 v5, |v4|, s30
; %bb.1013:
	s_or_b64 exec, exec, s[28:29]
                                        ; implicit-def: $vgpr6
.LBB496_1014:
	s_andn2_saveexec_b64 s[26:27], s[26:27]
; %bb.1015:
	s_mov_b32 s28, 0x7f800000
	v_mov_b32_e32 v5, 0x7e
	v_mov_b32_e32 v7, 0x7f
	v_cmp_lt_u32_e32 vcc, s28, v6
	s_nop 1
	v_cndmask_b32_e32 v5, v5, v7, vcc
; %bb.1016:
	s_or_b64 exec, exec, s[26:27]
	v_lshrrev_b32_e32 v4, 24, v4
	s_movk_i32 s26, 0x80
	v_and_or_b32 v4, v4, s26, v5
	global_store_byte v[8:9], v4, off
.LBB496_1017:
	s_mov_b64 s[26:27], 0
.LBB496_1018:
	s_andn2_b64 vcc, exec, s[26:27]
	s_cbranch_vccnz .LBB496_1028
; %bb.1019:
	v_cvt_f32_f64_e32 v4, v[0:1]
	v_and_b32_e32 v6, 0x7fffffff, v4
	s_mov_b32 s26, 0x47800000
	v_cmp_gt_u32_e32 vcc, s26, v6
                                        ; implicit-def: $vgpr5
	s_and_saveexec_b64 s[26:27], vcc
	s_xor_b64 s[26:27], exec, s[26:27]
	s_cbranch_execz .LBB496_1025
; %bb.1020:
	s_mov_b32 s28, 0x387fffff
	v_cmp_lt_u32_e32 vcc, s28, v6
                                        ; implicit-def: $vgpr5
	s_and_saveexec_b64 s[28:29], vcc
	s_xor_b64 s[28:29], exec, s[28:29]
; %bb.1021:
	v_bfe_u32 v5, v4, 21, 1
	s_mov_b32 s30, 0x80fffff
	v_add3_u32 v5, v4, v5, s30
	v_lshrrev_b32_e32 v5, 21, v5
; %bb.1022:
	s_andn2_saveexec_b64 s[28:29], s[28:29]
; %bb.1023:
	s_mov_b32 s30, 0x43000000
	v_add_f32_e64 v5, |v4|, s30
; %bb.1024:
	s_or_b64 exec, exec, s[28:29]
                                        ; implicit-def: $vgpr6
.LBB496_1025:
	s_andn2_saveexec_b64 s[26:27], s[26:27]
; %bb.1026:
	s_mov_b32 s28, 0x7f800000
	v_mov_b32_e32 v5, 0x7c
	v_mov_b32_e32 v7, 0x7f
	v_cmp_lt_u32_e32 vcc, s28, v6
	s_nop 1
	v_cndmask_b32_e32 v5, v5, v7, vcc
; %bb.1027:
	s_or_b64 exec, exec, s[26:27]
	v_lshrrev_b32_e32 v4, 24, v4
	s_movk_i32 s26, 0x80
	v_and_or_b32 v4, v4, s26, v5
	global_store_byte v[8:9], v4, off
.LBB496_1028:
	s_mov_b64 s[26:27], 0
.LBB496_1029:
	s_andn2_b64 vcc, exec, s[26:27]
	s_mov_b64 s[26:27], 0
	s_cbranch_vccnz .LBB496_1037
; %bb.1030:
	s_cmp_gt_i32 s35, 14
	s_mov_b64 s[28:29], -1
	s_cbranch_scc0 .LBB496_1034
; %bb.1031:
	s_cmp_eq_u32 s35, 15
	s_mov_b64 s[0:1], -1
	s_cbranch_scc0 .LBB496_1033
; %bb.1032:
	v_cvt_f32_f64_e32 v4, v[0:1]
	v_bfe_u32 v5, v4, 16, 1
	s_movk_i32 s0, 0x7fff
	v_add3_u32 v5, v4, v5, s0
	v_cmp_o_f32_e32 vcc, v4, v4
	v_mov_b32_e32 v4, 0x7fc0
	s_mov_b64 s[0:1], 0
	v_cndmask_b32_sdwa v4, v4, v5, vcc dst_sel:DWORD dst_unused:UNUSED_PAD src0_sel:DWORD src1_sel:WORD_1
	global_store_short v[8:9], v4, off
.LBB496_1033:
	s_mov_b64 s[28:29], 0
.LBB496_1034:
	s_and_b64 vcc, exec, s[28:29]
	s_cbranch_vccz .LBB496_1037
; %bb.1035:
	s_cmp_lg_u32 s35, 11
	s_cselect_b64 s[28:29], -1, 0
	s_andn2_b64 s[0:1], s[0:1], exec
	s_and_b64 s[28:29], s[28:29], exec
	s_mov_b64 s[26:27], -1
	s_or_b64 s[0:1], s[0:1], s[28:29]
	s_branch .LBB496_1037
.LBB496_1036:
	s_mov_b64 s[26:27], 0
.LBB496_1037:
	s_andn2_b64 s[18:19], s[18:19], exec
	s_and_b64 s[0:1], s[0:1], exec
	s_and_b64 s[24:25], s[24:25], exec
	;; [unrolled: 1-line block ×3, first 2 shown]
	s_or_b64 s[18:19], s[18:19], s[0:1]
	s_or_b64 exec, exec, s[20:21]
	s_and_saveexec_b64 s[0:1], s[18:19]
	s_cbranch_execz .LBB496_966
.LBB496_1038:
	s_or_b64 s[22:23], s[22:23], exec
	s_andn2_b64 s[26:27], s[26:27], exec
	s_trap 2
	s_or_b64 exec, exec, s[0:1]
	s_and_saveexec_b64 s[0:1], s[26:27]
	s_xor_b64 s[18:19], exec, s[0:1]
	s_cbranch_execnz .LBB496_967
.LBB496_1039:
	s_or_b64 exec, exec, s[18:19]
	s_and_saveexec_b64 s[0:1], s[24:25]
	s_xor_b64 s[0:1], exec, s[0:1]
	s_cbranch_execz .LBB496_1077
.LBB496_1040:
	s_sext_i32_i16 s20, s34
	s_cmp_lt_i32 s20, 5
	s_mov_b64 s[18:19], -1
	s_cbranch_scc1 .LBB496_1061
; %bb.1041:
	s_cmp_lt_i32 s20, 8
	s_cbranch_scc1 .LBB496_1051
; %bb.1042:
	s_cmp_lt_i32 s20, 9
	s_cbranch_scc1 .LBB496_1048
; %bb.1043:
	s_cmp_gt_i32 s20, 9
	s_cbranch_scc0 .LBB496_1045
; %bb.1044:
	s_mov_b64 s[18:19], 0
	s_waitcnt vmcnt(0)
	global_store_dwordx4 v[8:9], v[0:3], off
.LBB496_1045:
	s_andn2_b64 vcc, exec, s[18:19]
	s_cbranch_vccnz .LBB496_1047
; %bb.1046:
	s_waitcnt vmcnt(0)
	v_cvt_f32_f64_e32 v5, v[2:3]
	v_cvt_f32_f64_e32 v4, v[0:1]
	global_store_dwordx2 v[8:9], v[4:5], off
.LBB496_1047:
	s_mov_b64 s[18:19], 0
.LBB496_1048:
	s_andn2_b64 vcc, exec, s[18:19]
	s_cbranch_vccnz .LBB496_1050
; %bb.1049:
	s_movk_i32 s18, 0x1ff
	s_waitcnt vmcnt(0)
	v_and_or_b32 v4, v1, s18, v0
	v_cmp_ne_u32_e32 vcc, 0, v4
	v_lshrrev_b32_e32 v5, 8, v1
	s_movk_i32 s19, 0xffe
	v_cndmask_b32_e64 v4, 0, 1, vcc
	v_bfe_u32 v6, v1, 20, 11
	v_and_or_b32 v4, v5, s19, v4
	v_sub_u32_e32 v7, 0x3f1, v6
	v_or_b32_e32 v5, 0x1000, v4
	v_med3_i32 v7, v7, 0, 13
	v_lshrrev_b32_e32 v10, v7, v5
	v_lshlrev_b32_e32 v7, v7, v10
	v_cmp_ne_u32_e32 vcc, v7, v5
	v_add_u32_e32 v6, 0xfffffc10, v6
	v_lshl_or_b32 v7, v6, 12, v4
	v_cndmask_b32_e64 v5, 0, 1, vcc
	v_or_b32_e32 v5, v10, v5
	v_cmp_gt_i32_e32 vcc, 1, v6
	s_movk_i32 s20, 0x40f
	v_and_or_b32 v2, v3, s18, v2
	v_cndmask_b32_e32 v5, v7, v5, vcc
	v_and_b32_e32 v7, 7, v5
	v_cmp_lt_i32_e32 vcc, 5, v7
	v_lshrrev_b32_e32 v5, 2, v5
	v_bfe_u32 v11, v3, 20, 11
	v_cndmask_b32_e64 v10, 0, 1, vcc
	v_cmp_eq_u32_e32 vcc, 3, v7
	v_sub_u32_e32 v12, 0x3f1, v11
	v_med3_i32 v12, v12, 0, 13
	v_cndmask_b32_e64 v7, 0, 1, vcc
	v_or_b32_e32 v7, v7, v10
	v_add_u32_e32 v5, v5, v7
	v_mov_b32_e32 v7, 0x7c00
	v_cmp_gt_i32_e32 vcc, 31, v6
	v_mov_b32_e32 v10, 0x7e00
	v_add_u32_e32 v11, 0xfffffc10, v11
	v_cndmask_b32_e32 v5, v7, v5, vcc
	v_cmp_ne_u32_e32 vcc, 0, v4
	s_mov_b32 s21, 0x8000
	s_mov_b32 s18, 0xffff
	v_cndmask_b32_e32 v4, v7, v10, vcc
	v_cmp_eq_u32_e32 vcc, s20, v6
	v_lshrrev_b32_e32 v6, 8, v3
	v_lshrrev_b32_e32 v3, 16, v3
	v_cndmask_b32_e32 v4, v5, v4, vcc
	v_cmp_ne_u32_e32 vcc, 0, v2
	v_and_b32_sdwa v5, v1, s21 dst_sel:DWORD dst_unused:UNUSED_PAD src0_sel:WORD_1 src1_sel:DWORD
	s_nop 0
	v_cndmask_b32_e64 v2, 0, 1, vcc
	v_and_or_b32 v2, v6, s19, v2
	v_or_b32_e32 v6, 0x1000, v2
	v_lshrrev_b32_e32 v13, v12, v6
	v_lshlrev_b32_e32 v12, v12, v13
	v_cmp_ne_u32_e32 vcc, v12, v6
	v_lshl_or_b32 v12, v11, 12, v2
	s_nop 0
	v_cndmask_b32_e64 v6, 0, 1, vcc
	v_or_b32_e32 v6, v13, v6
	v_cmp_gt_i32_e32 vcc, 1, v11
	s_nop 1
	v_cndmask_b32_e32 v6, v12, v6, vcc
	v_and_b32_e32 v12, 7, v6
	v_cmp_lt_i32_e32 vcc, 5, v12
	v_lshrrev_b32_e32 v6, 2, v6
	s_nop 0
	v_cndmask_b32_e64 v13, 0, 1, vcc
	v_cmp_eq_u32_e32 vcc, 3, v12
	s_nop 1
	v_cndmask_b32_e64 v12, 0, 1, vcc
	v_or_b32_e32 v12, v12, v13
	v_add_u32_e32 v6, v6, v12
	v_cmp_gt_i32_e32 vcc, 31, v11
	s_nop 1
	v_cndmask_b32_e32 v6, v7, v6, vcc
	v_cmp_ne_u32_e32 vcc, 0, v2
	s_nop 1
	v_cndmask_b32_e32 v2, v7, v10, vcc
	v_cmp_eq_u32_e32 vcc, s20, v11
	s_nop 1
	v_cndmask_b32_e32 v2, v6, v2, vcc
	v_and_or_b32 v2, v3, s21, v2
	v_bitop3_b32 v3, v5, s18, v4 bitop3:0xc8
	v_lshl_or_b32 v2, v2, 16, v3
	global_store_dword v[8:9], v2, off
.LBB496_1050:
	s_mov_b64 s[18:19], 0
.LBB496_1051:
	s_andn2_b64 vcc, exec, s[18:19]
	s_cbranch_vccnz .LBB496_1060
; %bb.1052:
	s_sext_i32_i16 s20, s34
	s_cmp_lt_i32 s20, 6
	s_mov_b64 s[18:19], -1
	s_cbranch_scc1 .LBB496_1058
; %bb.1053:
	s_cmp_gt_i32 s20, 6
	s_cbranch_scc0 .LBB496_1055
; %bb.1054:
	s_mov_b64 s[18:19], 0
	global_store_dwordx2 v[8:9], v[0:1], off
.LBB496_1055:
	s_andn2_b64 vcc, exec, s[18:19]
	s_cbranch_vccnz .LBB496_1057
; %bb.1056:
	s_waitcnt vmcnt(0)
	v_cvt_f32_f64_e32 v2, v[0:1]
	global_store_dword v[8:9], v2, off
.LBB496_1057:
	s_mov_b64 s[18:19], 0
.LBB496_1058:
	s_andn2_b64 vcc, exec, s[18:19]
	s_cbranch_vccnz .LBB496_1060
; %bb.1059:
	s_movk_i32 s18, 0x1ff
	s_waitcnt vmcnt(0)
	v_and_or_b32 v2, v1, s18, v0
	v_cmp_ne_u32_e32 vcc, 0, v2
	v_lshrrev_b32_e32 v3, 8, v1
	s_movk_i32 s18, 0xffe
	v_cndmask_b32_e64 v2, 0, 1, vcc
	v_bfe_u32 v4, v1, 20, 11
	v_and_or_b32 v2, v3, s18, v2
	v_sub_u32_e32 v5, 0x3f1, v4
	v_or_b32_e32 v3, 0x1000, v2
	v_med3_i32 v5, v5, 0, 13
	v_lshrrev_b32_e32 v6, v5, v3
	v_lshlrev_b32_e32 v5, v5, v6
	v_cmp_ne_u32_e32 vcc, v5, v3
	v_add_u32_e32 v4, 0xfffffc10, v4
	v_lshl_or_b32 v5, v4, 12, v2
	v_cndmask_b32_e64 v3, 0, 1, vcc
	v_or_b32_e32 v3, v6, v3
	v_cmp_gt_i32_e32 vcc, 1, v4
	s_movk_i32 s18, 0x40f
	s_nop 0
	v_cndmask_b32_e32 v3, v5, v3, vcc
	v_and_b32_e32 v5, 7, v3
	v_cmp_lt_i32_e32 vcc, 5, v5
	v_lshrrev_b32_e32 v3, 2, v3
	s_nop 0
	v_cndmask_b32_e64 v6, 0, 1, vcc
	v_cmp_eq_u32_e32 vcc, 3, v5
	s_nop 1
	v_cndmask_b32_e64 v5, 0, 1, vcc
	v_or_b32_e32 v5, v5, v6
	v_add_u32_e32 v3, v3, v5
	v_mov_b32_e32 v5, 0x7c00
	v_cmp_gt_i32_e32 vcc, 31, v4
	v_mov_b32_e32 v6, 0x7e00
	s_nop 0
	v_cndmask_b32_e32 v3, v5, v3, vcc
	v_cmp_ne_u32_e32 vcc, 0, v2
	s_nop 1
	v_cndmask_b32_e32 v2, v5, v6, vcc
	v_cmp_eq_u32_e32 vcc, s18, v4
	s_mov_b32 s18, 0x8000
	s_nop 0
	v_cndmask_b32_e32 v2, v3, v2, vcc
	v_lshrrev_b32_e32 v3, 16, v1
	v_and_or_b32 v2, v3, s18, v2
	global_store_short v[8:9], v2, off
.LBB496_1060:
	s_mov_b64 s[18:19], 0
.LBB496_1061:
	s_andn2_b64 vcc, exec, s[18:19]
	s_cbranch_vccnz .LBB496_1077
; %bb.1062:
	s_sext_i32_i16 s20, s34
	s_cmp_lt_i32 s20, 2
	s_mov_b64 s[18:19], -1
	s_cbranch_scc1 .LBB496_1072
; %bb.1063:
	s_cmp_lt_i32 s20, 3
	s_cbranch_scc1 .LBB496_1069
; %bb.1064:
	s_cmp_gt_i32 s20, 3
	s_cbranch_scc0 .LBB496_1066
; %bb.1065:
	s_waitcnt vmcnt(0)
	v_trunc_f64_e32 v[2:3], v[0:1]
	s_movk_i32 s18, 0xffe0
	v_ldexp_f64 v[4:5], v[2:3], s18
	v_floor_f64_e32 v[4:5], v[4:5]
	v_fmac_f64_e32 v[2:3], 0xc1f00000, v[4:5]
	v_cvt_i32_f64_e32 v7, v[4:5]
	v_cvt_u32_f64_e32 v6, v[2:3]
	s_mov_b64 s[18:19], 0
	global_store_dwordx2 v[8:9], v[6:7], off
.LBB496_1066:
	s_andn2_b64 vcc, exec, s[18:19]
	s_cbranch_vccnz .LBB496_1068
; %bb.1067:
	s_waitcnt vmcnt(0)
	v_cvt_i32_f64_e32 v2, v[0:1]
	global_store_dword v[8:9], v2, off
.LBB496_1068:
	s_mov_b64 s[18:19], 0
.LBB496_1069:
	s_andn2_b64 vcc, exec, s[18:19]
	s_cbranch_vccnz .LBB496_1071
; %bb.1070:
	s_waitcnt vmcnt(0)
	v_cvt_i32_f64_e32 v2, v[0:1]
	global_store_short v[8:9], v2, off
.LBB496_1071:
	s_mov_b64 s[18:19], 0
.LBB496_1072:
	s_andn2_b64 vcc, exec, s[18:19]
	s_cbranch_vccnz .LBB496_1077
; %bb.1073:
	s_sext_i32_i16 s18, s34
	s_cmp_gt_i32 s18, 0
	s_mov_b64 s[18:19], -1
	s_cbranch_scc0 .LBB496_1075
; %bb.1074:
	s_waitcnt vmcnt(0)
	v_cvt_i32_f64_e32 v2, v[0:1]
	s_mov_b64 s[18:19], 0
	global_store_byte v[8:9], v2, off
.LBB496_1075:
	s_andn2_b64 vcc, exec, s[18:19]
	s_cbranch_vccnz .LBB496_1077
; %bb.1076:
	v_trunc_f64_e32 v[0:1], v[0:1]
	s_movk_i32 s18, 0xffe0
	s_waitcnt vmcnt(0)
	v_ldexp_f64 v[2:3], v[0:1], s18
	v_floor_f64_e32 v[2:3], v[2:3]
	v_fmac_f64_e32 v[0:1], 0xc1f00000, v[2:3]
	v_cvt_u32_f64_e32 v0, v[0:1]
	global_store_byte v[8:9], v0, off
.LBB496_1077:
	s_or_b64 exec, exec, s[0:1]
	s_and_b64 s[18:19], s[22:23], exec
                                        ; implicit-def: $vgpr20
.LBB496_1078:
	s_or_saveexec_b64 s[16:17], s[16:17]
	s_mov_b64 s[22:23], 0
                                        ; implicit-def: $sgpr24
                                        ; implicit-def: $vgpr0_vgpr1
                                        ; implicit-def: $vgpr6_vgpr7
	s_xor_b64 exec, exec, s[16:17]
	s_cbranch_execz .LBB496_1725
; %bb.1079:
	s_waitcnt vmcnt(0)
	v_mul_lo_u32 v6, s13, v20
	v_ashrrev_i32_e32 v7, 31, v6
	s_and_b32 s28, 0xffff, s48
	s_cmp_lt_i32 s28, 11
	v_lshl_add_u64 v[0:1], s[6:7], 0, v[6:7]
	s_cbranch_scc1 .LBB496_1086
; %bb.1080:
	s_cmp_gt_i32 s28, 25
	s_cbranch_scc0 .LBB496_1088
; %bb.1081:
	s_cmp_gt_i32 s28, 28
	s_cbranch_scc0 .LBB496_1089
; %bb.1082:
	s_cmp_gt_i32 s28, 43
	s_cbranch_scc0 .LBB496_1090
; %bb.1083:
	s_cmp_gt_i32 s28, 45
	s_cbranch_scc0 .LBB496_1091
; %bb.1084:
	s_cmp_eq_u32 s28, 46
	s_mov_b64 s[20:21], 0
	s_cbranch_scc0 .LBB496_1094
; %bb.1085:
	global_load_dword v2, v[0:1], off
	s_mov_b64 s[0:1], 0
	s_mov_b64 s[22:23], -1
	s_waitcnt vmcnt(0)
	v_and_b32_e32 v4, 0xffff0000, v2
	v_lshlrev_b32_e32 v2, 16, v2
	v_cvt_f64_f32_e32 v[2:3], v2
	v_cvt_f64_f32_e32 v[4:5], v4
	s_branch .LBB496_1096
.LBB496_1086:
                                        ; implicit-def: $vgpr4_vgpr5
	s_mov_b64 s[20:21], s[18:19]
	s_cbranch_execnz .LBB496_1162
.LBB496_1087:
	s_andn2_b64 vcc, exec, s[22:23]
	s_cbranch_vccz .LBB496_1209
	s_branch .LBB496_1722
.LBB496_1088:
	s_mov_b64 s[0:1], 0
                                        ; implicit-def: $vgpr4_vgpr5
	s_cbranch_execnz .LBB496_1128
	s_branch .LBB496_1158
.LBB496_1089:
	s_mov_b64 s[0:1], 0
                                        ; implicit-def: $vgpr4_vgpr5
	s_cbranch_execnz .LBB496_1108
	s_branch .LBB496_1127
.LBB496_1090:
	s_mov_b64 s[20:21], -1
	s_mov_b64 s[0:1], 0
                                        ; implicit-def: $vgpr4_vgpr5
	s_branch .LBB496_1102
.LBB496_1091:
	s_mov_b64 s[20:21], -1
	s_mov_b64 s[0:1], 0
	s_branch .LBB496_1095
.LBB496_1092:
	s_andn2_saveexec_b64 s[28:29], s[28:29]
	s_cbranch_execz .LBB496_991
.LBB496_1093:
	s_mov_b32 s30, 0x46000000
	v_add_f32_e64 v5, |v4|, s30
	v_and_b32_e32 v5, 0xff, v5
	v_cmp_ne_u32_e32 vcc, 0, v5
	s_andn2_b64 s[26:27], s[26:27], exec
	s_and_b64 s[30:31], vcc, exec
	s_or_b64 s[26:27], s[26:27], s[30:31]
	s_or_b64 exec, exec, s[28:29]
	v_mov_b32_e32 v6, 0
	s_and_saveexec_b64 s[28:29], s[26:27]
	s_cbranch_execnz .LBB496_992
	s_branch .LBB496_993
.LBB496_1094:
	s_mov_b64 s[0:1], -1
.LBB496_1095:
                                        ; implicit-def: $vgpr4_vgpr5
.LBB496_1096:
	s_and_b64 vcc, exec, s[20:21]
	s_cbranch_vccz .LBB496_1101
; %bb.1097:
	s_cmp_eq_u32 s28, 44
	s_cbranch_scc0 .LBB496_1099
; %bb.1098:
	global_load_ubyte v4, v[0:1], off
	s_movk_i32 s20, 0xff
	v_bfrev_b32_e32 v5, 4
	v_mov_b32_e32 v7, 0x7ff80000
	v_bfrev_b32_e32 v8, 28
	s_mov_b64 s[0:1], 0
	s_mov_b64 s[22:23], -1
	s_waitcnt vmcnt(0)
	v_lshlrev_b32_e32 v2, 23, v4
	v_cvt_f64_f32_e32 v[2:3], v2
	v_cmp_ne_u32_e32 vcc, s20, v4
	s_nop 1
	v_cndmask_b32_e32 v2, v5, v2, vcc
	v_cndmask_b32_e32 v3, v7, v3, vcc
	v_cmp_ne_u32_e32 vcc, 0, v4
	s_nop 1
	v_cndmask_b32_e32 v3, v8, v3, vcc
	v_cndmask_b32_e32 v2, 0, v2, vcc
	s_branch .LBB496_1100
.LBB496_1099:
	s_mov_b64 s[0:1], -1
                                        ; implicit-def: $vgpr2_vgpr3
.LBB496_1100:
	v_mov_b64_e32 v[4:5], 0
.LBB496_1101:
	s_mov_b64 s[20:21], 0
.LBB496_1102:
	s_and_b64 vcc, exec, s[20:21]
	s_cbranch_vccz .LBB496_1107
; %bb.1103:
	s_cmp_eq_u32 s28, 29
	s_cbranch_scc0 .LBB496_1105
; %bb.1104:
	global_load_dwordx2 v[2:3], v[0:1], off
	s_mov_b64 s[0:1], 0
	s_mov_b64 s[22:23], -1
	s_waitcnt vmcnt(0)
	v_cvt_f64_u32_e32 v[4:5], v3
	v_cvt_f64_u32_e32 v[2:3], v2
	v_ldexp_f64 v[4:5], v[4:5], 32
	v_add_f64 v[2:3], v[4:5], v[2:3]
	s_branch .LBB496_1106
.LBB496_1105:
	s_mov_b64 s[0:1], -1
                                        ; implicit-def: $vgpr2_vgpr3
.LBB496_1106:
	v_mov_b64_e32 v[4:5], 0
.LBB496_1107:
	s_branch .LBB496_1127
.LBB496_1108:
	s_cmp_lt_i32 s28, 27
	s_cbranch_scc1 .LBB496_1111
; %bb.1109:
	s_cmp_gt_i32 s28, 27
	s_cbranch_scc0 .LBB496_1112
; %bb.1110:
	global_load_dword v2, v[0:1], off
	s_mov_b64 s[20:21], 0
	s_waitcnt vmcnt(0)
	v_cvt_f64_u32_e32 v[2:3], v2
	s_branch .LBB496_1113
.LBB496_1111:
	s_mov_b64 s[20:21], -1
                                        ; implicit-def: $vgpr2_vgpr3
	s_branch .LBB496_1116
.LBB496_1112:
	s_mov_b64 s[20:21], -1
                                        ; implicit-def: $vgpr2_vgpr3
.LBB496_1113:
	s_andn2_b64 vcc, exec, s[20:21]
	s_cbranch_vccnz .LBB496_1115
; %bb.1114:
	global_load_ushort v2, v[0:1], off
	s_waitcnt vmcnt(0)
	v_cvt_f64_u32_e32 v[2:3], v2
.LBB496_1115:
	s_mov_b64 s[20:21], 0
.LBB496_1116:
	s_andn2_b64 vcc, exec, s[20:21]
	s_cbranch_vccnz .LBB496_1126
; %bb.1117:
	global_load_ubyte v4, v[0:1], off
	s_movk_i32 s20, 0x7f
	s_waitcnt vmcnt(0)
	v_cmp_lt_i16_e32 vcc, s20, v4
	s_mov_b64 s[20:21], 0
	s_and_saveexec_b64 s[22:23], vcc
	s_xor_b64 s[22:23], exec, s[22:23]
	s_cbranch_execz .LBB496_1121
; %bb.1118:
	s_movk_i32 s20, 0x80
	v_cmp_eq_u16_e32 vcc, s20, v4
	s_mov_b64 s[20:21], -1
	s_and_saveexec_b64 s[24:25], vcc
; %bb.1119:
	s_xor_b64 s[20:21], exec, -1
; %bb.1120:
	s_or_b64 exec, exec, s[24:25]
	s_and_b64 s[20:21], s[20:21], exec
.LBB496_1121:
	s_or_saveexec_b64 s[22:23], s[22:23]
	v_bfrev_b32_e32 v2, 4
	v_mov_b32_e32 v3, 0x7ff80000
	s_xor_b64 exec, exec, s[22:23]
; %bb.1122:
	v_cmp_ne_u16_e32 vcc, 0, v4
	s_andn2_b64 s[20:21], s[20:21], exec
	s_and_b64 s[24:25], vcc, exec
	v_mov_b64_e32 v[2:3], 0
	s_or_b64 s[20:21], s[20:21], s[24:25]
; %bb.1123:
	s_or_b64 exec, exec, s[22:23]
	s_and_saveexec_b64 s[22:23], s[20:21]
	s_cbranch_execz .LBB496_1125
; %bb.1124:
	v_and_b32_e32 v3, 0xffff, v4
	v_lshlrev_b32_e32 v2, 24, v4
	v_and_b32_e32 v4, 7, v3
	v_ffbh_u32_e32 v7, v4
	v_min_u32_e32 v7, 32, v7
	v_subrev_u32_e32 v8, 28, v7
	v_bfe_u32 v5, v3, 3, 4
	v_lshlrev_b32_e32 v3, v8, v3
	v_sub_u32_e32 v7, 29, v7
	v_and_b32_e32 v3, 7, v3
	v_cmp_eq_u32_e32 vcc, 0, v5
	v_and_b32_e32 v2, 0x80000000, v2
	s_nop 0
	v_cndmask_b32_e32 v5, v5, v7, vcc
	v_cndmask_b32_e32 v3, v4, v3, vcc
	v_mov_b32_e32 v4, 0x3b800000
	v_lshlrev_b32_e32 v3, 20, v3
	v_lshl_add_u32 v4, v5, 23, v4
	v_or3_b32 v2, v2, v4, v3
	v_cvt_f64_f32_e32 v[2:3], v2
.LBB496_1125:
	s_or_b64 exec, exec, s[22:23]
.LBB496_1126:
	s_mov_b64 s[22:23], -1
	v_mov_b64_e32 v[4:5], 0
.LBB496_1127:
	s_branch .LBB496_1158
.LBB496_1128:
	s_cmp_gt_i32 s28, 22
	s_cbranch_scc0 .LBB496_1140
; %bb.1129:
	s_cmp_lt_i32 s28, 24
	s_cbranch_scc1 .LBB496_1141
; %bb.1130:
	s_cmp_gt_i32 s28, 24
	s_cbranch_scc0 .LBB496_1142
; %bb.1131:
	global_load_ubyte v4, v[0:1], off
	s_movk_i32 s2, 0x7f
	s_waitcnt vmcnt(0)
	v_cmp_lt_i16_e32 vcc, s2, v4
	s_mov_b64 s[2:3], 0
	s_and_saveexec_b64 s[20:21], vcc
	s_xor_b64 s[20:21], exec, s[20:21]
	s_cbranch_execz .LBB496_1135
; %bb.1132:
	s_movk_i32 s2, 0x80
	v_cmp_eq_u16_e32 vcc, s2, v4
	s_mov_b64 s[2:3], -1
	s_and_saveexec_b64 s[22:23], vcc
; %bb.1133:
	s_xor_b64 s[2:3], exec, -1
; %bb.1134:
	s_or_b64 exec, exec, s[22:23]
	s_and_b64 s[2:3], s[2:3], exec
.LBB496_1135:
	s_or_saveexec_b64 s[20:21], s[20:21]
	v_bfrev_b32_e32 v2, 4
	v_mov_b32_e32 v3, 0x7ff80000
	s_xor_b64 exec, exec, s[20:21]
; %bb.1136:
	v_cmp_ne_u16_e32 vcc, 0, v4
	s_andn2_b64 s[2:3], s[2:3], exec
	s_and_b64 s[22:23], vcc, exec
	v_mov_b64_e32 v[2:3], 0
	s_or_b64 s[2:3], s[2:3], s[22:23]
; %bb.1137:
	s_or_b64 exec, exec, s[20:21]
	s_and_saveexec_b64 s[20:21], s[2:3]
	s_cbranch_execz .LBB496_1139
; %bb.1138:
	v_and_b32_e32 v3, 0xffff, v4
	v_lshlrev_b32_e32 v2, 24, v4
	v_and_b32_e32 v4, 3, v3
	v_ffbh_u32_e32 v7, v4
	v_min_u32_e32 v7, 32, v7
	v_subrev_u32_e32 v8, 29, v7
	v_bfe_u32 v5, v3, 2, 5
	v_lshlrev_b32_e32 v3, v8, v3
	v_sub_u32_e32 v7, 30, v7
	v_and_b32_e32 v3, 3, v3
	v_cmp_eq_u32_e32 vcc, 0, v5
	v_and_b32_e32 v2, 0x80000000, v2
	s_nop 0
	v_cndmask_b32_e32 v5, v5, v7, vcc
	v_cndmask_b32_e32 v3, v4, v3, vcc
	v_mov_b32_e32 v4, 0x37800000
	v_lshlrev_b32_e32 v3, 21, v3
	v_lshl_add_u32 v4, v5, 23, v4
	v_or3_b32 v2, v2, v4, v3
	v_cvt_f64_f32_e32 v[2:3], v2
.LBB496_1139:
	s_or_b64 exec, exec, s[20:21]
	s_mov_b64 s[2:3], 0
	s_branch .LBB496_1143
.LBB496_1140:
                                        ; implicit-def: $vgpr2_vgpr3
	s_mov_b64 s[2:3], 0
	s_branch .LBB496_1149
.LBB496_1141:
	s_mov_b64 s[2:3], -1
                                        ; implicit-def: $vgpr2_vgpr3
	s_branch .LBB496_1146
.LBB496_1142:
	s_mov_b64 s[2:3], -1
                                        ; implicit-def: $vgpr2_vgpr3
.LBB496_1143:
	s_and_b64 vcc, exec, s[2:3]
	s_cbranch_vccz .LBB496_1145
; %bb.1144:
	global_load_ubyte v2, v[0:1], off
	s_mov_b32 s2, 0x7f800000
	s_waitcnt vmcnt(0)
	v_lshlrev_b32_e32 v2, 24, v2
	v_and_b32_e32 v3, 0x7f000000, v2
	v_ffbh_u32_e32 v4, v3
	v_min_u32_e32 v4, 32, v4
	v_sub_u32_e64 v4, v4, 4 clamp
	v_lshlrev_b32_e32 v7, v4, v3
	v_lshlrev_b32_e32 v4, 23, v4
	v_lshrrev_b32_e32 v7, 4, v7
	v_add_u32_e32 v5, 0x1000000, v3
	v_sub_u32_e32 v4, v7, v4
	v_ashrrev_i32_e32 v5, 8, v5
	v_add_u32_e32 v4, 0x3c000000, v4
	v_and_or_b32 v4, v5, s2, v4
	v_cmp_ne_u32_e32 vcc, 0, v3
	s_brev_b32 s2, 1
	s_nop 0
	v_cndmask_b32_e32 v3, 0, v4, vcc
	v_and_or_b32 v2, v2, s2, v3
	v_cvt_f64_f32_e32 v[2:3], v2
.LBB496_1145:
	s_mov_b64 s[2:3], 0
.LBB496_1146:
	s_andn2_b64 vcc, exec, s[2:3]
	s_cbranch_vccnz .LBB496_1148
; %bb.1147:
	global_load_ubyte v2, v[0:1], off
	s_movk_i32 s2, 0x7f00
	s_brev_b32 s3, 16
	s_waitcnt vmcnt(0)
	v_lshlrev_b16_e32 v3, 8, v2
	v_lshlrev_b32_e32 v2, 25, v2
	v_lshrrev_b32_e32 v4, 4, v2
	v_and_or_b32 v5, v3, s2, 0.5
	v_or_b32_e32 v4, 0x70000000, v4
	v_add_f32_e32 v5, -0.5, v5
	v_mul_f32_e32 v4, 0x7800000, v4
	v_cmp_gt_u32_e32 vcc, s3, v2
	v_bfe_i32 v3, v3, 0, 16
	s_brev_b32 s2, 1
	v_cndmask_b32_e32 v2, v4, v5, vcc
	v_and_or_b32 v2, v3, s2, v2
	v_cvt_f64_f32_e32 v[2:3], v2
.LBB496_1148:
	s_mov_b64 s[22:23], -1
	s_mov_b64 s[2:3], 0
	s_cbranch_execnz .LBB496_1157
.LBB496_1149:
	s_cmp_gt_i32 s28, 14
	s_cbranch_scc0 .LBB496_1152
; %bb.1150:
	s_cmp_eq_u32 s28, 15
	s_cbranch_scc0 .LBB496_1153
; %bb.1151:
	global_load_ushort v2, v[0:1], off
	s_mov_b64 s[0:1], 0
	s_mov_b64 s[22:23], -1
	s_waitcnt vmcnt(0)
	v_lshlrev_b32_e32 v2, 16, v2
	v_cvt_f64_f32_e32 v[2:3], v2
	s_branch .LBB496_1154
.LBB496_1152:
	s_mov_b64 s[20:21], -1
                                        ; implicit-def: $vgpr2_vgpr3
	s_branch .LBB496_1155
.LBB496_1153:
	s_mov_b64 s[0:1], -1
                                        ; implicit-def: $vgpr2_vgpr3
.LBB496_1154:
	s_mov_b64 s[20:21], 0
.LBB496_1155:
	s_and_b64 vcc, exec, s[20:21]
	s_cbranch_vccz .LBB496_1157
; %bb.1156:
	s_cmp_lg_u32 s28, 11
	s_mov_b64 s[2:3], -1
	s_cselect_b64 s[0:1], -1, 0
.LBB496_1157:
	v_mov_b64_e32 v[4:5], 0
.LBB496_1158:
	s_and_b64 vcc, exec, s[0:1]
	s_mov_b64 s[20:21], s[18:19]
	s_cbranch_vccnz .LBB496_1229
; %bb.1159:
	s_andn2_b64 vcc, exec, s[2:3]
	s_cbranch_vccnz .LBB496_1161
.LBB496_1160:
	global_load_ubyte v3, v[0:1], off
	v_mov_b32_e32 v4, 0x3ff00000
	v_mov_b32_e32 v2, 0
	s_mov_b64 s[22:23], -1
	s_waitcnt vmcnt(0)
	v_cmp_ne_u16_e32 vcc, 0, v3
	s_nop 1
	v_cndmask_b32_e32 v3, 0, v4, vcc
	v_mov_b64_e32 v[4:5], 0
.LBB496_1161:
	s_branch .LBB496_1087
.LBB496_1162:
	s_cmp_lt_i32 s28, 5
	s_cbranch_scc1 .LBB496_1167
; %bb.1163:
	s_cmp_lt_i32 s28, 8
	s_cbranch_scc1 .LBB496_1169
; %bb.1164:
	;; [unrolled: 3-line block ×3, first 2 shown]
	s_cmp_gt_i32 s28, 9
	s_cbranch_scc0 .LBB496_1171
; %bb.1166:
	global_load_dwordx4 v[2:5], v[0:1], off
	s_mov_b64 s[0:1], 0
	s_branch .LBB496_1172
.LBB496_1167:
                                        ; implicit-def: $vgpr4_vgpr5
	s_branch .LBB496_1190
.LBB496_1168:
	s_branch .LBB496_1209
.LBB496_1169:
                                        ; implicit-def: $vgpr4_vgpr5
	s_branch .LBB496_1178
.LBB496_1170:
	s_mov_b64 s[0:1], -1
                                        ; implicit-def: $vgpr4_vgpr5
	s_branch .LBB496_1175
.LBB496_1171:
	s_mov_b64 s[0:1], -1
                                        ; implicit-def: $vgpr4_vgpr5
.LBB496_1172:
	s_andn2_b64 vcc, exec, s[0:1]
	s_cbranch_vccnz .LBB496_1174
; %bb.1173:
	global_load_dwordx2 v[4:5], v[0:1], off
	s_waitcnt vmcnt(0)
	v_cvt_f64_f32_e32 v[2:3], v4
	v_cvt_f64_f32_e32 v[4:5], v5
.LBB496_1174:
	s_mov_b64 s[0:1], 0
.LBB496_1175:
	s_andn2_b64 vcc, exec, s[0:1]
	s_cbranch_vccnz .LBB496_1177
; %bb.1176:
	global_load_dword v2, v[0:1], off
	s_waitcnt vmcnt(0)
	v_cvt_f32_f16_e32 v3, v2
	v_cvt_f32_f16_sdwa v4, v2 dst_sel:DWORD dst_unused:UNUSED_PAD src0_sel:WORD_1
	v_cvt_f64_f32_e32 v[2:3], v3
	v_cvt_f64_f32_e32 v[4:5], v4
.LBB496_1177:
	s_cbranch_execnz .LBB496_1189
.LBB496_1178:
	s_cmp_lt_i32 s28, 6
	s_cbranch_scc1 .LBB496_1181
; %bb.1179:
	s_cmp_gt_i32 s28, 6
	s_cbranch_scc0 .LBB496_1182
; %bb.1180:
	global_load_dwordx2 v[2:3], v[0:1], off
	s_mov_b64 s[0:1], 0
	s_branch .LBB496_1183
.LBB496_1181:
	s_mov_b64 s[0:1], -1
                                        ; implicit-def: $vgpr2_vgpr3
	s_branch .LBB496_1186
.LBB496_1182:
	s_mov_b64 s[0:1], -1
                                        ; implicit-def: $vgpr2_vgpr3
.LBB496_1183:
	s_andn2_b64 vcc, exec, s[0:1]
	s_cbranch_vccnz .LBB496_1185
; %bb.1184:
	global_load_dword v2, v[0:1], off
	s_waitcnt vmcnt(0)
	v_cvt_f64_f32_e32 v[2:3], v2
.LBB496_1185:
	s_mov_b64 s[0:1], 0
.LBB496_1186:
	s_andn2_b64 vcc, exec, s[0:1]
	s_cbranch_vccnz .LBB496_1188
; %bb.1187:
	global_load_ushort v2, v[0:1], off
	s_waitcnt vmcnt(0)
	v_cvt_f32_f16_e32 v2, v2
	v_cvt_f64_f32_e32 v[2:3], v2
.LBB496_1188:
	s_waitcnt vmcnt(0)
	v_mov_b64_e32 v[4:5], 0
.LBB496_1189:
	s_cbranch_execnz .LBB496_1168
.LBB496_1190:
	s_cmp_lt_i32 s28, 2
	s_cbranch_scc1 .LBB496_1194
; %bb.1191:
	s_cmp_lt_i32 s28, 3
	s_cbranch_scc1 .LBB496_1195
; %bb.1192:
	s_cmp_gt_i32 s28, 3
	s_cbranch_scc0 .LBB496_1196
; %bb.1193:
	global_load_dwordx2 v[2:3], v[0:1], off
	s_mov_b64 s[0:1], 0
	s_waitcnt vmcnt(0)
	v_cvt_f64_i32_e32 v[4:5], v3
	v_cvt_f64_u32_e32 v[2:3], v2
	v_ldexp_f64 v[4:5], v[4:5], 32
	v_add_f64 v[2:3], v[4:5], v[2:3]
	s_branch .LBB496_1197
.LBB496_1194:
                                        ; implicit-def: $vgpr2_vgpr3
	s_branch .LBB496_1203
.LBB496_1195:
	s_mov_b64 s[0:1], -1
                                        ; implicit-def: $vgpr2_vgpr3
	s_branch .LBB496_1200
.LBB496_1196:
	s_mov_b64 s[0:1], -1
                                        ; implicit-def: $vgpr2_vgpr3
.LBB496_1197:
	s_andn2_b64 vcc, exec, s[0:1]
	s_cbranch_vccnz .LBB496_1199
; %bb.1198:
	global_load_dword v2, v[0:1], off
	s_waitcnt vmcnt(0)
	v_cvt_f64_i32_e32 v[2:3], v2
.LBB496_1199:
	s_mov_b64 s[0:1], 0
.LBB496_1200:
	s_andn2_b64 vcc, exec, s[0:1]
	s_cbranch_vccnz .LBB496_1202
; %bb.1201:
	global_load_sshort v2, v[0:1], off
	s_waitcnt vmcnt(0)
	v_cvt_f64_i32_e32 v[2:3], v2
.LBB496_1202:
	s_cbranch_execnz .LBB496_1208
.LBB496_1203:
	s_cmp_gt_i32 s28, 0
	s_cbranch_scc0 .LBB496_1205
; %bb.1204:
	global_load_sbyte v2, v[0:1], off
	s_mov_b64 s[0:1], 0
	s_waitcnt vmcnt(0)
	v_cvt_f64_i32_e32 v[2:3], v2
	s_branch .LBB496_1206
.LBB496_1205:
	s_mov_b64 s[0:1], -1
                                        ; implicit-def: $vgpr2_vgpr3
.LBB496_1206:
	s_andn2_b64 vcc, exec, s[0:1]
	s_cbranch_vccnz .LBB496_1208
; %bb.1207:
	global_load_ubyte v0, v[0:1], off
	s_waitcnt vmcnt(0)
	v_cvt_f64_u32_e32 v[2:3], v0
.LBB496_1208:
	s_waitcnt vmcnt(0)
	v_mov_b64_e32 v[4:5], 0
.LBB496_1209:
	s_waitcnt vmcnt(0)
	v_cmp_o_f64_e32 vcc, v[2:3], v[2:3]
	v_mov_b64_e32 v[0:1], s[8:9]
	s_and_saveexec_b64 s[0:1], vcc
	s_cbranch_execz .LBB496_1213
; %bb.1210:
	s_mov_b32 s2, 0
	s_mov_b32 s3, 0x7ff00000
	v_cmp_neq_f64_e32 vcc, s[2:3], v[2:3]
	v_mov_b64_e32 v[0:1], s[10:11]
	s_and_saveexec_b64 s[2:3], vcc
; %bb.1211:
	s_mov_b32 s22, 0
	s_mov_b32 s23, 0xfff00000
	v_mov_b32_e32 v0, s15
	v_cmp_eq_f64_e32 vcc, s[22:23], v[2:3]
	s_nop 1
	v_cndmask_b32_e32 v1, v3, v0, vcc
	v_mov_b32_e32 v0, s14
	v_cndmask_b32_e32 v0, v2, v0, vcc
; %bb.1212:
	s_or_b64 exec, exec, s[2:3]
.LBB496_1213:
	s_or_b64 exec, exec, s[0:1]
	v_cmp_o_f64_e32 vcc, v[4:5], v[4:5]
	v_mov_b64_e32 v[2:3], s[8:9]
	s_and_saveexec_b64 s[0:1], vcc
	s_cbranch_execz .LBB496_1217
; %bb.1214:
	s_mov_b32 s2, 0
	s_mov_b32 s3, 0x7ff00000
	v_cmp_neq_f64_e32 vcc, s[2:3], v[4:5]
	v_mov_b64_e32 v[2:3], s[10:11]
	s_and_saveexec_b64 s[2:3], vcc
; %bb.1215:
	s_mov_b32 s22, 0
	s_mov_b32 s23, 0xfff00000
	v_mov_b32_e32 v2, s15
	v_cmp_eq_f64_e32 vcc, s[22:23], v[4:5]
	s_nop 1
	v_cndmask_b32_e32 v3, v5, v2, vcc
	v_mov_b32_e32 v2, s14
	v_cndmask_b32_e32 v2, v4, v2, vcc
; %bb.1216:
	s_or_b64 exec, exec, s[2:3]
.LBB496_1217:
	s_or_b64 exec, exec, s[0:1]
	s_lshl_b32 s13, s13, 7
	v_add_u32_e32 v12, s13, v6
	v_ashrrev_i32_e32 v13, 31, v12
	s_cmp_lt_i32 s28, 11
	v_lshl_add_u64 v[8:9], s[6:7], 0, v[12:13]
	s_cbranch_scc1 .LBB496_1224
; %bb.1218:
	s_cmp_gt_i32 s28, 25
	s_mov_b64 s[2:3], 0
	s_cbranch_scc0 .LBB496_1226
; %bb.1219:
	s_cmp_gt_i32 s28, 28
	s_cbranch_scc0 .LBB496_1227
; %bb.1220:
	s_cmp_gt_i32 s28, 43
	;; [unrolled: 3-line block ×3, first 2 shown]
	s_cbranch_scc0 .LBB496_1230
; %bb.1222:
	s_cmp_eq_u32 s28, 46
	s_mov_b64 s[24:25], 0
	s_cbranch_scc0 .LBB496_1233
; %bb.1223:
	global_load_dword v4, v[8:9], off
	s_mov_b64 s[0:1], 0
	s_mov_b64 s[22:23], -1
	s_waitcnt vmcnt(0)
	v_and_b32_e32 v6, 0xffff0000, v4
	v_lshlrev_b32_e32 v4, 16, v4
	v_cvt_f64_f32_e32 v[4:5], v4
	v_cvt_f64_f32_e32 v[6:7], v6
	s_branch .LBB496_1234
.LBB496_1224:
	s_mov_b64 s[22:23], 0
                                        ; implicit-def: $vgpr6_vgpr7
	s_cbranch_execnz .LBB496_1302
.LBB496_1225:
	s_andn2_b64 vcc, exec, s[22:23]
	s_cbranch_vccnz .LBB496_1722
	s_branch .LBB496_1351
.LBB496_1226:
	s_mov_b64 s[22:23], 0
	s_mov_b64 s[0:1], 0
                                        ; implicit-def: $vgpr6_vgpr7
	s_cbranch_execnz .LBB496_1267
	s_branch .LBB496_1298
.LBB496_1227:
	s_mov_b64 s[24:25], -1
	s_mov_b64 s[22:23], 0
	s_mov_b64 s[0:1], 0
                                        ; implicit-def: $vgpr6_vgpr7
	s_branch .LBB496_1246
.LBB496_1228:
	s_mov_b64 s[24:25], -1
	s_mov_b64 s[22:23], 0
	s_mov_b64 s[0:1], 0
                                        ; implicit-def: $vgpr6_vgpr7
	s_branch .LBB496_1240
.LBB496_1229:
	s_trap 2
	s_or_b64 s[20:21], s[18:19], exec
	s_cbranch_execz .LBB496_1160
	s_branch .LBB496_1161
.LBB496_1230:
	s_mov_b64 s[24:25], -1
	s_mov_b64 s[22:23], 0
	s_mov_b64 s[0:1], 0
                                        ; implicit-def: $vgpr6_vgpr7
	s_branch .LBB496_1234
.LBB496_1231:
	s_andn2_saveexec_b64 s[30:31], s[30:31]
	s_cbranch_execz .LBB496_1003
.LBB496_1232:
	s_mov_b32 s36, 0x42800000
	v_add_f32_e64 v5, |v4|, s36
	v_and_b32_e32 v5, 0xff, v5
	v_cmp_ne_u32_e32 vcc, 0, v5
	s_andn2_b64 s[28:29], s[28:29], exec
	s_and_b64 s[36:37], vcc, exec
	s_or_b64 s[28:29], s[28:29], s[36:37]
	s_or_b64 exec, exec, s[30:31]
	v_mov_b32_e32 v6, 0
	s_and_saveexec_b64 s[30:31], s[28:29]
	s_cbranch_execnz .LBB496_1004
	s_branch .LBB496_1005
.LBB496_1233:
	s_mov_b64 s[0:1], -1
                                        ; implicit-def: $vgpr6_vgpr7
	s_mov_b64 s[22:23], 0
.LBB496_1234:
	s_and_b64 vcc, exec, s[24:25]
	s_cbranch_vccz .LBB496_1239
; %bb.1235:
	s_cmp_eq_u32 s28, 44
	s_cbranch_scc0 .LBB496_1237
; %bb.1236:
	global_load_ubyte v6, v[8:9], off
	s_movk_i32 s22, 0xff
	v_bfrev_b32_e32 v7, 4
	v_mov_b32_e32 v10, 0x7ff80000
	v_bfrev_b32_e32 v11, 28
	s_mov_b64 s[0:1], 0
	s_waitcnt vmcnt(0)
	v_lshlrev_b32_e32 v4, 23, v6
	v_cvt_f64_f32_e32 v[4:5], v4
	v_cmp_ne_u32_e32 vcc, s22, v6
	s_mov_b64 s[22:23], -1
	s_nop 0
	v_cndmask_b32_e32 v4, v7, v4, vcc
	v_cndmask_b32_e32 v5, v10, v5, vcc
	v_cmp_ne_u32_e32 vcc, 0, v6
	s_nop 1
	v_cndmask_b32_e32 v5, v11, v5, vcc
	v_cndmask_b32_e32 v4, 0, v4, vcc
	s_branch .LBB496_1238
.LBB496_1237:
	s_mov_b64 s[0:1], -1
                                        ; implicit-def: $vgpr4_vgpr5
.LBB496_1238:
	v_mov_b64_e32 v[6:7], 0
.LBB496_1239:
	s_mov_b64 s[24:25], 0
.LBB496_1240:
	s_and_b64 vcc, exec, s[24:25]
	s_cbranch_vccz .LBB496_1245
; %bb.1241:
	s_cmp_eq_u32 s28, 29
	s_cbranch_scc0 .LBB496_1243
; %bb.1242:
	global_load_dwordx2 v[4:5], v[8:9], off
	s_mov_b64 s[0:1], 0
	s_mov_b64 s[22:23], -1
	s_waitcnt vmcnt(0)
	v_cvt_f64_u32_e32 v[6:7], v5
	v_cvt_f64_u32_e32 v[4:5], v4
	v_ldexp_f64 v[6:7], v[6:7], 32
	v_add_f64 v[4:5], v[6:7], v[4:5]
	s_branch .LBB496_1244
.LBB496_1243:
	s_mov_b64 s[0:1], -1
                                        ; implicit-def: $vgpr4_vgpr5
.LBB496_1244:
	v_mov_b64_e32 v[6:7], 0
.LBB496_1245:
	s_mov_b64 s[24:25], 0
.LBB496_1246:
	s_and_b64 vcc, exec, s[24:25]
	s_cbranch_vccz .LBB496_1266
; %bb.1247:
	s_cmp_lt_i32 s28, 27
	s_cbranch_scc1 .LBB496_1250
; %bb.1248:
	s_cmp_gt_i32 s28, 27
	s_cbranch_scc0 .LBB496_1251
; %bb.1249:
	global_load_dword v4, v[8:9], off
	s_mov_b64 s[22:23], 0
	s_waitcnt vmcnt(0)
	v_cvt_f64_u32_e32 v[4:5], v4
	s_branch .LBB496_1252
.LBB496_1250:
	s_mov_b64 s[22:23], -1
                                        ; implicit-def: $vgpr4_vgpr5
	s_branch .LBB496_1255
.LBB496_1251:
	s_mov_b64 s[22:23], -1
                                        ; implicit-def: $vgpr4_vgpr5
.LBB496_1252:
	s_andn2_b64 vcc, exec, s[22:23]
	s_cbranch_vccnz .LBB496_1254
; %bb.1253:
	global_load_ushort v4, v[8:9], off
	s_waitcnt vmcnt(0)
	v_cvt_f64_u32_e32 v[4:5], v4
.LBB496_1254:
	s_mov_b64 s[22:23], 0
.LBB496_1255:
	s_andn2_b64 vcc, exec, s[22:23]
	s_cbranch_vccnz .LBB496_1265
; %bb.1256:
	global_load_ubyte v6, v[8:9], off
	s_movk_i32 s22, 0x7f
	s_waitcnt vmcnt(0)
	v_cmp_lt_i16_e32 vcc, s22, v6
	s_mov_b64 s[22:23], 0
	s_and_saveexec_b64 s[24:25], vcc
	s_xor_b64 s[24:25], exec, s[24:25]
	s_cbranch_execz .LBB496_1260
; %bb.1257:
	s_movk_i32 s22, 0x80
	v_cmp_eq_u16_e32 vcc, s22, v6
	s_mov_b64 s[22:23], -1
	s_and_saveexec_b64 s[26:27], vcc
; %bb.1258:
	s_xor_b64 s[22:23], exec, -1
; %bb.1259:
	s_or_b64 exec, exec, s[26:27]
	s_and_b64 s[22:23], s[22:23], exec
.LBB496_1260:
	s_or_saveexec_b64 s[24:25], s[24:25]
	v_bfrev_b32_e32 v4, 4
	v_mov_b32_e32 v5, 0x7ff80000
	s_xor_b64 exec, exec, s[24:25]
; %bb.1261:
	v_cmp_ne_u16_e32 vcc, 0, v6
	s_andn2_b64 s[22:23], s[22:23], exec
	s_and_b64 s[26:27], vcc, exec
	v_mov_b64_e32 v[4:5], 0
	s_or_b64 s[22:23], s[22:23], s[26:27]
; %bb.1262:
	s_or_b64 exec, exec, s[24:25]
	s_and_saveexec_b64 s[24:25], s[22:23]
	s_cbranch_execz .LBB496_1264
; %bb.1263:
	v_and_b32_e32 v5, 0xffff, v6
	v_lshlrev_b32_e32 v4, 24, v6
	v_and_b32_e32 v6, 7, v5
	v_ffbh_u32_e32 v10, v6
	v_min_u32_e32 v10, 32, v10
	v_subrev_u32_e32 v11, 28, v10
	v_bfe_u32 v7, v5, 3, 4
	v_lshlrev_b32_e32 v5, v11, v5
	v_sub_u32_e32 v10, 29, v10
	v_and_b32_e32 v5, 7, v5
	v_cmp_eq_u32_e32 vcc, 0, v7
	v_and_b32_e32 v4, 0x80000000, v4
	s_nop 0
	v_cndmask_b32_e32 v7, v7, v10, vcc
	v_cndmask_b32_e32 v5, v6, v5, vcc
	v_mov_b32_e32 v6, 0x3b800000
	v_lshlrev_b32_e32 v5, 20, v5
	v_lshl_add_u32 v6, v7, 23, v6
	v_or3_b32 v4, v4, v6, v5
	v_cvt_f64_f32_e32 v[4:5], v4
.LBB496_1264:
	s_or_b64 exec, exec, s[24:25]
.LBB496_1265:
	s_mov_b64 s[22:23], -1
	v_mov_b64_e32 v[6:7], 0
.LBB496_1266:
	s_branch .LBB496_1298
.LBB496_1267:
	s_cmp_gt_i32 s28, 22
	s_cbranch_scc0 .LBB496_1279
; %bb.1268:
	s_cmp_lt_i32 s28, 24
	s_cbranch_scc1 .LBB496_1280
; %bb.1269:
	s_cmp_gt_i32 s28, 24
	s_cbranch_scc0 .LBB496_1281
; %bb.1270:
	global_load_ubyte v6, v[8:9], off
	s_movk_i32 s2, 0x7f
	s_waitcnt vmcnt(0)
	v_cmp_lt_i16_e32 vcc, s2, v6
	s_mov_b64 s[2:3], 0
	s_and_saveexec_b64 s[22:23], vcc
	s_xor_b64 s[22:23], exec, s[22:23]
	s_cbranch_execz .LBB496_1274
; %bb.1271:
	s_movk_i32 s2, 0x80
	v_cmp_eq_u16_e32 vcc, s2, v6
	s_mov_b64 s[2:3], -1
	s_and_saveexec_b64 s[24:25], vcc
; %bb.1272:
	s_xor_b64 s[2:3], exec, -1
; %bb.1273:
	s_or_b64 exec, exec, s[24:25]
	s_and_b64 s[2:3], s[2:3], exec
.LBB496_1274:
	s_or_saveexec_b64 s[22:23], s[22:23]
	v_bfrev_b32_e32 v4, 4
	v_mov_b32_e32 v5, 0x7ff80000
	s_xor_b64 exec, exec, s[22:23]
; %bb.1275:
	v_cmp_ne_u16_e32 vcc, 0, v6
	s_andn2_b64 s[2:3], s[2:3], exec
	s_and_b64 s[24:25], vcc, exec
	v_mov_b64_e32 v[4:5], 0
	s_or_b64 s[2:3], s[2:3], s[24:25]
; %bb.1276:
	s_or_b64 exec, exec, s[22:23]
	s_and_saveexec_b64 s[22:23], s[2:3]
	s_cbranch_execz .LBB496_1278
; %bb.1277:
	v_and_b32_e32 v5, 0xffff, v6
	v_lshlrev_b32_e32 v4, 24, v6
	v_and_b32_e32 v6, 3, v5
	v_ffbh_u32_e32 v10, v6
	v_min_u32_e32 v10, 32, v10
	v_subrev_u32_e32 v11, 29, v10
	v_bfe_u32 v7, v5, 2, 5
	v_lshlrev_b32_e32 v5, v11, v5
	v_sub_u32_e32 v10, 30, v10
	v_and_b32_e32 v5, 3, v5
	v_cmp_eq_u32_e32 vcc, 0, v7
	v_and_b32_e32 v4, 0x80000000, v4
	s_nop 0
	v_cndmask_b32_e32 v7, v7, v10, vcc
	v_cndmask_b32_e32 v5, v6, v5, vcc
	v_mov_b32_e32 v6, 0x37800000
	v_lshlrev_b32_e32 v5, 21, v5
	v_lshl_add_u32 v6, v7, 23, v6
	v_or3_b32 v4, v4, v6, v5
	v_cvt_f64_f32_e32 v[4:5], v4
.LBB496_1278:
	s_or_b64 exec, exec, s[22:23]
	s_mov_b64 s[2:3], 0
	s_branch .LBB496_1282
.LBB496_1279:
	s_mov_b64 s[2:3], -1
                                        ; implicit-def: $vgpr4_vgpr5
	s_branch .LBB496_1288
.LBB496_1280:
	s_mov_b64 s[2:3], -1
                                        ; implicit-def: $vgpr4_vgpr5
	s_branch .LBB496_1285
.LBB496_1281:
	s_mov_b64 s[2:3], -1
                                        ; implicit-def: $vgpr4_vgpr5
.LBB496_1282:
	s_and_b64 vcc, exec, s[2:3]
	s_cbranch_vccz .LBB496_1284
; %bb.1283:
	global_load_ubyte v4, v[8:9], off
	s_mov_b32 s2, 0x7f800000
	s_waitcnt vmcnt(0)
	v_lshlrev_b32_e32 v4, 24, v4
	v_and_b32_e32 v5, 0x7f000000, v4
	v_ffbh_u32_e32 v6, v5
	v_min_u32_e32 v6, 32, v6
	v_sub_u32_e64 v6, v6, 4 clamp
	v_lshlrev_b32_e32 v10, v6, v5
	v_lshlrev_b32_e32 v6, 23, v6
	v_lshrrev_b32_e32 v10, 4, v10
	v_add_u32_e32 v7, 0x1000000, v5
	v_sub_u32_e32 v6, v10, v6
	v_ashrrev_i32_e32 v7, 8, v7
	v_add_u32_e32 v6, 0x3c000000, v6
	v_and_or_b32 v6, v7, s2, v6
	v_cmp_ne_u32_e32 vcc, 0, v5
	s_brev_b32 s2, 1
	s_nop 0
	v_cndmask_b32_e32 v5, 0, v6, vcc
	v_and_or_b32 v4, v4, s2, v5
	v_cvt_f64_f32_e32 v[4:5], v4
.LBB496_1284:
	s_mov_b64 s[2:3], 0
.LBB496_1285:
	s_andn2_b64 vcc, exec, s[2:3]
	s_cbranch_vccnz .LBB496_1287
; %bb.1286:
	global_load_ubyte v4, v[8:9], off
	s_movk_i32 s2, 0x7f00
	s_brev_b32 s3, 16
	s_waitcnt vmcnt(0)
	v_lshlrev_b16_e32 v5, 8, v4
	v_lshlrev_b32_e32 v4, 25, v4
	v_lshrrev_b32_e32 v6, 4, v4
	v_and_or_b32 v7, v5, s2, 0.5
	v_or_b32_e32 v6, 0x70000000, v6
	v_add_f32_e32 v7, -0.5, v7
	v_mul_f32_e32 v6, 0x7800000, v6
	v_cmp_gt_u32_e32 vcc, s3, v4
	v_bfe_i32 v5, v5, 0, 16
	s_brev_b32 s2, 1
	v_cndmask_b32_e32 v4, v6, v7, vcc
	v_and_or_b32 v4, v5, s2, v4
	v_cvt_f64_f32_e32 v[4:5], v4
.LBB496_1287:
	s_mov_b64 s[2:3], 0
	s_mov_b64 s[22:23], -1
.LBB496_1288:
	s_andn2_b64 vcc, exec, s[2:3]
	s_mov_b64 s[2:3], 0
	s_cbranch_vccnz .LBB496_1297
; %bb.1289:
	s_cmp_gt_i32 s28, 14
	s_cbranch_scc0 .LBB496_1292
; %bb.1290:
	s_cmp_eq_u32 s28, 15
	s_cbranch_scc0 .LBB496_1293
; %bb.1291:
	global_load_ushort v4, v[8:9], off
	s_mov_b64 s[0:1], 0
	s_mov_b64 s[22:23], -1
	s_waitcnt vmcnt(0)
	v_lshlrev_b32_e32 v4, 16, v4
	v_cvt_f64_f32_e32 v[4:5], v4
	s_branch .LBB496_1294
.LBB496_1292:
	s_mov_b64 s[24:25], -1
                                        ; implicit-def: $vgpr4_vgpr5
	s_branch .LBB496_1295
.LBB496_1293:
	s_mov_b64 s[0:1], -1
                                        ; implicit-def: $vgpr4_vgpr5
.LBB496_1294:
	s_mov_b64 s[24:25], 0
.LBB496_1295:
	s_and_b64 vcc, exec, s[24:25]
	s_cbranch_vccz .LBB496_1297
; %bb.1296:
	s_cmp_lg_u32 s28, 11
	s_mov_b64 s[2:3], -1
	s_cselect_b64 s[0:1], -1, 0
.LBB496_1297:
	v_mov_b64_e32 v[6:7], 0
.LBB496_1298:
	s_and_b64 vcc, exec, s[0:1]
	s_cbranch_vccnz .LBB496_1383
; %bb.1299:
	s_andn2_b64 vcc, exec, s[2:3]
	s_cbranch_vccnz .LBB496_1301
.LBB496_1300:
	global_load_ubyte v5, v[8:9], off
	v_mov_b32_e32 v6, 0x3ff00000
	v_mov_b32_e32 v4, 0
	s_mov_b64 s[22:23], -1
	s_waitcnt vmcnt(0)
	v_cmp_ne_u16_e32 vcc, 0, v5
	s_nop 1
	v_cndmask_b32_e32 v5, 0, v6, vcc
	v_mov_b64_e32 v[6:7], 0
.LBB496_1301:
	s_branch .LBB496_1225
.LBB496_1302:
	s_cmp_lt_i32 s28, 5
	s_cbranch_scc1 .LBB496_1307
; %bb.1303:
	s_cmp_lt_i32 s28, 8
	s_cbranch_scc1 .LBB496_1309
; %bb.1304:
	;; [unrolled: 3-line block ×3, first 2 shown]
	s_cmp_gt_i32 s28, 9
	s_cbranch_scc0 .LBB496_1311
; %bb.1306:
	global_load_dwordx4 v[4:7], v[8:9], off
	s_mov_b64 s[0:1], 0
	s_branch .LBB496_1312
.LBB496_1307:
                                        ; implicit-def: $vgpr6_vgpr7
	s_branch .LBB496_1331
.LBB496_1308:
	s_branch .LBB496_1351
.LBB496_1309:
	s_mov_b64 s[0:1], -1
                                        ; implicit-def: $vgpr6_vgpr7
	s_branch .LBB496_1318
.LBB496_1310:
	s_mov_b64 s[0:1], -1
                                        ; implicit-def: $vgpr6_vgpr7
	s_branch .LBB496_1315
.LBB496_1311:
	s_mov_b64 s[0:1], -1
                                        ; implicit-def: $vgpr6_vgpr7
.LBB496_1312:
	s_andn2_b64 vcc, exec, s[0:1]
	s_cbranch_vccnz .LBB496_1314
; %bb.1313:
	global_load_dwordx2 v[6:7], v[8:9], off
	s_waitcnt vmcnt(0)
	v_cvt_f64_f32_e32 v[4:5], v6
	v_cvt_f64_f32_e32 v[6:7], v7
.LBB496_1314:
	s_mov_b64 s[0:1], 0
.LBB496_1315:
	s_andn2_b64 vcc, exec, s[0:1]
	s_cbranch_vccnz .LBB496_1317
; %bb.1316:
	global_load_dword v4, v[8:9], off
	s_waitcnt vmcnt(0)
	v_cvt_f32_f16_e32 v5, v4
	v_cvt_f32_f16_sdwa v6, v4 dst_sel:DWORD dst_unused:UNUSED_PAD src0_sel:WORD_1
	v_cvt_f64_f32_e32 v[4:5], v5
	v_cvt_f64_f32_e32 v[6:7], v6
.LBB496_1317:
	s_mov_b64 s[0:1], 0
.LBB496_1318:
	s_andn2_b64 vcc, exec, s[0:1]
	s_cbranch_vccnz .LBB496_1330
; %bb.1319:
	s_cmp_lt_i32 s28, 6
	s_cbranch_scc1 .LBB496_1322
; %bb.1320:
	s_cmp_gt_i32 s28, 6
	s_cbranch_scc0 .LBB496_1323
; %bb.1321:
	global_load_dwordx2 v[4:5], v[8:9], off
	s_mov_b64 s[0:1], 0
	s_branch .LBB496_1324
.LBB496_1322:
	s_mov_b64 s[0:1], -1
                                        ; implicit-def: $vgpr4_vgpr5
	s_branch .LBB496_1327
.LBB496_1323:
	s_mov_b64 s[0:1], -1
                                        ; implicit-def: $vgpr4_vgpr5
.LBB496_1324:
	s_andn2_b64 vcc, exec, s[0:1]
	s_cbranch_vccnz .LBB496_1326
; %bb.1325:
	global_load_dword v4, v[8:9], off
	s_waitcnt vmcnt(0)
	v_cvt_f64_f32_e32 v[4:5], v4
.LBB496_1326:
	s_mov_b64 s[0:1], 0
.LBB496_1327:
	s_andn2_b64 vcc, exec, s[0:1]
	s_cbranch_vccnz .LBB496_1329
; %bb.1328:
	global_load_ushort v4, v[8:9], off
	s_waitcnt vmcnt(0)
	v_cvt_f32_f16_e32 v4, v4
	v_cvt_f64_f32_e32 v[4:5], v4
.LBB496_1329:
	s_waitcnt vmcnt(0)
	v_mov_b64_e32 v[6:7], 0
.LBB496_1330:
	s_cbranch_execnz .LBB496_1308
.LBB496_1331:
	s_cmp_lt_i32 s28, 2
	s_cbranch_scc1 .LBB496_1335
; %bb.1332:
	s_cmp_lt_i32 s28, 3
	s_cbranch_scc1 .LBB496_1336
; %bb.1333:
	s_cmp_gt_i32 s28, 3
	s_cbranch_scc0 .LBB496_1337
; %bb.1334:
	global_load_dwordx2 v[4:5], v[8:9], off
	s_mov_b64 s[0:1], 0
	s_waitcnt vmcnt(0)
	v_cvt_f64_i32_e32 v[6:7], v5
	v_cvt_f64_u32_e32 v[4:5], v4
	v_ldexp_f64 v[6:7], v[6:7], 32
	v_add_f64 v[4:5], v[6:7], v[4:5]
	s_branch .LBB496_1338
.LBB496_1335:
	s_mov_b64 s[0:1], -1
                                        ; implicit-def: $vgpr4_vgpr5
	s_branch .LBB496_1344
.LBB496_1336:
	s_mov_b64 s[0:1], -1
                                        ; implicit-def: $vgpr4_vgpr5
	s_branch .LBB496_1341
.LBB496_1337:
	s_mov_b64 s[0:1], -1
                                        ; implicit-def: $vgpr4_vgpr5
.LBB496_1338:
	s_andn2_b64 vcc, exec, s[0:1]
	s_cbranch_vccnz .LBB496_1340
; %bb.1339:
	global_load_dword v4, v[8:9], off
	s_waitcnt vmcnt(0)
	v_cvt_f64_i32_e32 v[4:5], v4
.LBB496_1340:
	s_mov_b64 s[0:1], 0
.LBB496_1341:
	s_andn2_b64 vcc, exec, s[0:1]
	s_cbranch_vccnz .LBB496_1343
; %bb.1342:
	global_load_sshort v4, v[8:9], off
	s_waitcnt vmcnt(0)
	v_cvt_f64_i32_e32 v[4:5], v4
.LBB496_1343:
	s_mov_b64 s[0:1], 0
.LBB496_1344:
	s_andn2_b64 vcc, exec, s[0:1]
	s_cbranch_vccnz .LBB496_1350
; %bb.1345:
	s_cmp_gt_i32 s28, 0
	s_cbranch_scc0 .LBB496_1347
; %bb.1346:
	global_load_sbyte v4, v[8:9], off
	s_mov_b64 s[0:1], 0
	s_waitcnt vmcnt(0)
	v_cvt_f64_i32_e32 v[4:5], v4
	s_branch .LBB496_1348
.LBB496_1347:
	s_mov_b64 s[0:1], -1
                                        ; implicit-def: $vgpr4_vgpr5
.LBB496_1348:
	s_andn2_b64 vcc, exec, s[0:1]
	s_cbranch_vccnz .LBB496_1350
; %bb.1349:
	global_load_ubyte v4, v[8:9], off
	s_waitcnt vmcnt(0)
	v_cvt_f64_u32_e32 v[4:5], v4
.LBB496_1350:
	s_waitcnt vmcnt(0)
	v_mov_b64_e32 v[6:7], 0
.LBB496_1351:
	s_waitcnt vmcnt(0)
	v_cmp_o_f64_e32 vcc, v[4:5], v[4:5]
	v_mov_b64_e32 v[8:9], s[8:9]
	s_and_saveexec_b64 s[0:1], vcc
	s_cbranch_execz .LBB496_1355
; %bb.1352:
	s_mov_b32 s2, 0
	s_mov_b32 s3, 0x7ff00000
	v_cmp_neq_f64_e32 vcc, s[2:3], v[4:5]
	v_mov_b64_e32 v[8:9], s[10:11]
	s_and_saveexec_b64 s[2:3], vcc
; %bb.1353:
	s_mov_b32 s22, 0
	s_mov_b32 s23, 0xfff00000
	v_mov_b32_e32 v8, s15
	v_cmp_eq_f64_e32 vcc, s[22:23], v[4:5]
	s_nop 1
	v_cndmask_b32_e32 v9, v5, v8, vcc
	v_mov_b32_e32 v5, s14
	v_cndmask_b32_e32 v8, v4, v5, vcc
; %bb.1354:
	s_or_b64 exec, exec, s[2:3]
.LBB496_1355:
	s_or_b64 exec, exec, s[0:1]
	v_cmp_o_f64_e32 vcc, v[6:7], v[6:7]
	v_mov_b64_e32 v[10:11], s[8:9]
	s_and_saveexec_b64 s[0:1], vcc
	s_cbranch_execz .LBB496_1359
; %bb.1356:
	s_mov_b32 s2, 0
	s_mov_b32 s3, 0x7ff00000
	v_cmp_neq_f64_e32 vcc, s[2:3], v[6:7]
	v_mov_b64_e32 v[10:11], s[10:11]
	s_and_saveexec_b64 s[2:3], vcc
; %bb.1357:
	s_mov_b32 s22, 0
	s_mov_b32 s23, 0xfff00000
	v_mov_b32_e32 v4, s15
	v_cmp_eq_f64_e32 vcc, s[22:23], v[6:7]
	s_nop 1
	v_cndmask_b32_e32 v11, v7, v4, vcc
	v_mov_b32_e32 v4, s14
	v_cndmask_b32_e32 v10, v6, v4, vcc
; %bb.1358:
	s_or_b64 exec, exec, s[2:3]
.LBB496_1359:
	s_or_b64 exec, exec, s[0:1]
	v_add_u32_e32 v16, s13, v12
	v_ashrrev_i32_e32 v17, 31, v16
	s_cmp_lt_i32 s28, 11
	v_lshl_add_u64 v[12:13], s[6:7], 0, v[16:17]
	s_cbranch_scc1 .LBB496_1366
; %bb.1360:
	s_cmp_gt_i32 s28, 25
	s_mov_b64 s[2:3], 0
	s_cbranch_scc0 .LBB496_1368
; %bb.1361:
	s_cmp_gt_i32 s28, 28
	s_cbranch_scc0 .LBB496_1379
; %bb.1362:
	s_cmp_gt_i32 s28, 43
	;; [unrolled: 3-line block ×3, first 2 shown]
	s_cbranch_scc0 .LBB496_1384
; %bb.1364:
	s_cmp_eq_u32 s28, 46
	s_mov_b64 s[24:25], 0
	s_cbranch_scc0 .LBB496_1446
; %bb.1365:
	global_load_dword v4, v[12:13], off
	s_mov_b64 s[0:1], 0
	s_mov_b64 s[22:23], -1
	s_waitcnt vmcnt(0)
	v_and_b32_e32 v6, 0xffff0000, v4
	v_lshlrev_b32_e32 v4, 16, v4
	v_cvt_f64_f32_e32 v[4:5], v4
	v_cvt_f64_f32_e32 v[6:7], v6
	s_branch .LBB496_1447
.LBB496_1366:
	s_mov_b64 s[22:23], 0
                                        ; implicit-def: $vgpr6_vgpr7
	s_cbranch_execnz .LBB496_1373
.LBB496_1367:
	s_andn2_b64 vcc, exec, s[22:23]
	s_cbranch_vccnz .LBB496_1722
	s_branch .LBB496_1427
.LBB496_1368:
	s_mov_b64 s[22:23], 0
	s_mov_b64 s[0:1], 0
                                        ; implicit-def: $vgpr6_vgpr7
	s_cbranch_execnz .LBB496_1481
.LBB496_1369:
	s_and_b64 vcc, exec, s[0:1]
	s_cbranch_vccnz .LBB496_1512
.LBB496_1370:
	s_andn2_b64 vcc, exec, s[2:3]
	s_cbranch_vccnz .LBB496_1372
.LBB496_1371:
	global_load_ubyte v5, v[12:13], off
	v_mov_b32_e32 v6, 0x3ff00000
	v_mov_b32_e32 v4, 0
	s_mov_b64 s[22:23], -1
	s_waitcnt vmcnt(0)
	v_cmp_ne_u16_e32 vcc, 0, v5
	s_nop 1
	v_cndmask_b32_e32 v5, 0, v6, vcc
	v_mov_b64_e32 v[6:7], 0
.LBB496_1372:
	s_branch .LBB496_1367
.LBB496_1373:
	s_cmp_lt_i32 s28, 5
	s_cbranch_scc1 .LBB496_1378
; %bb.1374:
	s_cmp_lt_i32 s28, 8
	s_cbranch_scc1 .LBB496_1380
; %bb.1375:
	;; [unrolled: 3-line block ×3, first 2 shown]
	s_cmp_gt_i32 s28, 9
	s_cbranch_scc0 .LBB496_1385
; %bb.1377:
	global_load_dwordx4 v[4:7], v[12:13], off
	s_mov_b64 s[0:1], 0
	s_branch .LBB496_1386
.LBB496_1378:
	s_mov_b64 s[0:1], -1
                                        ; implicit-def: $vgpr6_vgpr7
	s_branch .LBB496_1405
.LBB496_1379:
	s_mov_b64 s[24:25], -1
	s_mov_b64 s[22:23], 0
	s_mov_b64 s[0:1], 0
                                        ; implicit-def: $vgpr6_vgpr7
	s_branch .LBB496_1460
.LBB496_1380:
	s_mov_b64 s[0:1], -1
                                        ; implicit-def: $vgpr6_vgpr7
	s_branch .LBB496_1392
.LBB496_1381:
	s_mov_b64 s[24:25], -1
	s_mov_b64 s[22:23], 0
	s_mov_b64 s[0:1], 0
                                        ; implicit-def: $vgpr6_vgpr7
	s_branch .LBB496_1454
.LBB496_1382:
	s_mov_b64 s[0:1], -1
                                        ; implicit-def: $vgpr6_vgpr7
	s_branch .LBB496_1389
.LBB496_1383:
	s_trap 2
	s_or_b64 s[20:21], s[20:21], exec
	s_cbranch_execz .LBB496_1300
	s_branch .LBB496_1301
.LBB496_1384:
	s_mov_b64 s[24:25], -1
	s_mov_b64 s[22:23], 0
	s_mov_b64 s[0:1], 0
                                        ; implicit-def: $vgpr6_vgpr7
	s_branch .LBB496_1447
.LBB496_1385:
	s_mov_b64 s[0:1], -1
                                        ; implicit-def: $vgpr6_vgpr7
.LBB496_1386:
	s_andn2_b64 vcc, exec, s[0:1]
	s_cbranch_vccnz .LBB496_1388
; %bb.1387:
	global_load_dwordx2 v[6:7], v[12:13], off
	s_waitcnt vmcnt(0)
	v_cvt_f64_f32_e32 v[4:5], v6
	v_cvt_f64_f32_e32 v[6:7], v7
.LBB496_1388:
	s_mov_b64 s[0:1], 0
.LBB496_1389:
	s_andn2_b64 vcc, exec, s[0:1]
	s_cbranch_vccnz .LBB496_1391
; %bb.1390:
	global_load_dword v4, v[12:13], off
	s_waitcnt vmcnt(0)
	v_cvt_f32_f16_e32 v5, v4
	v_cvt_f32_f16_sdwa v6, v4 dst_sel:DWORD dst_unused:UNUSED_PAD src0_sel:WORD_1
	v_cvt_f64_f32_e32 v[4:5], v5
	v_cvt_f64_f32_e32 v[6:7], v6
.LBB496_1391:
	s_mov_b64 s[0:1], 0
.LBB496_1392:
	s_andn2_b64 vcc, exec, s[0:1]
	s_cbranch_vccnz .LBB496_1404
; %bb.1393:
	s_cmp_lt_i32 s28, 6
	s_cbranch_scc1 .LBB496_1396
; %bb.1394:
	s_cmp_gt_i32 s28, 6
	s_cbranch_scc0 .LBB496_1397
; %bb.1395:
	global_load_dwordx2 v[4:5], v[12:13], off
	s_mov_b64 s[0:1], 0
	s_branch .LBB496_1398
.LBB496_1396:
	s_mov_b64 s[0:1], -1
                                        ; implicit-def: $vgpr4_vgpr5
	s_branch .LBB496_1401
.LBB496_1397:
	s_mov_b64 s[0:1], -1
                                        ; implicit-def: $vgpr4_vgpr5
.LBB496_1398:
	s_andn2_b64 vcc, exec, s[0:1]
	s_cbranch_vccnz .LBB496_1400
; %bb.1399:
	global_load_dword v4, v[12:13], off
	s_waitcnt vmcnt(0)
	v_cvt_f64_f32_e32 v[4:5], v4
.LBB496_1400:
	s_mov_b64 s[0:1], 0
.LBB496_1401:
	s_andn2_b64 vcc, exec, s[0:1]
	s_cbranch_vccnz .LBB496_1403
; %bb.1402:
	global_load_ushort v4, v[12:13], off
	s_waitcnt vmcnt(0)
	v_cvt_f32_f16_e32 v4, v4
	v_cvt_f64_f32_e32 v[4:5], v4
.LBB496_1403:
	s_waitcnt vmcnt(0)
	v_mov_b64_e32 v[6:7], 0
.LBB496_1404:
	s_mov_b64 s[0:1], 0
.LBB496_1405:
	s_andn2_b64 vcc, exec, s[0:1]
	s_cbranch_vccnz .LBB496_1426
; %bb.1406:
	s_cmp_lt_i32 s28, 2
	s_cbranch_scc1 .LBB496_1410
; %bb.1407:
	s_cmp_lt_i32 s28, 3
	s_cbranch_scc1 .LBB496_1411
; %bb.1408:
	s_cmp_gt_i32 s28, 3
	s_cbranch_scc0 .LBB496_1412
; %bb.1409:
	global_load_dwordx2 v[4:5], v[12:13], off
	s_mov_b64 s[0:1], 0
	s_waitcnt vmcnt(0)
	v_cvt_f64_i32_e32 v[6:7], v5
	v_cvt_f64_u32_e32 v[4:5], v4
	v_ldexp_f64 v[6:7], v[6:7], 32
	v_add_f64 v[4:5], v[6:7], v[4:5]
	s_branch .LBB496_1413
.LBB496_1410:
	s_mov_b64 s[0:1], -1
                                        ; implicit-def: $vgpr4_vgpr5
	s_branch .LBB496_1419
.LBB496_1411:
	s_mov_b64 s[0:1], -1
                                        ; implicit-def: $vgpr4_vgpr5
	s_branch .LBB496_1416
.LBB496_1412:
	s_mov_b64 s[0:1], -1
                                        ; implicit-def: $vgpr4_vgpr5
.LBB496_1413:
	s_andn2_b64 vcc, exec, s[0:1]
	s_cbranch_vccnz .LBB496_1415
; %bb.1414:
	global_load_dword v4, v[12:13], off
	s_waitcnt vmcnt(0)
	v_cvt_f64_i32_e32 v[4:5], v4
.LBB496_1415:
	s_mov_b64 s[0:1], 0
.LBB496_1416:
	s_andn2_b64 vcc, exec, s[0:1]
	s_cbranch_vccnz .LBB496_1418
; %bb.1417:
	global_load_sshort v4, v[12:13], off
	s_waitcnt vmcnt(0)
	v_cvt_f64_i32_e32 v[4:5], v4
.LBB496_1418:
	s_mov_b64 s[0:1], 0
.LBB496_1419:
	s_andn2_b64 vcc, exec, s[0:1]
	s_cbranch_vccnz .LBB496_1425
; %bb.1420:
	s_cmp_gt_i32 s28, 0
	s_cbranch_scc0 .LBB496_1422
; %bb.1421:
	global_load_sbyte v4, v[12:13], off
	s_mov_b64 s[0:1], 0
	s_waitcnt vmcnt(0)
	v_cvt_f64_i32_e32 v[4:5], v4
	s_branch .LBB496_1423
.LBB496_1422:
	s_mov_b64 s[0:1], -1
                                        ; implicit-def: $vgpr4_vgpr5
.LBB496_1423:
	s_andn2_b64 vcc, exec, s[0:1]
	s_cbranch_vccnz .LBB496_1425
; %bb.1424:
	global_load_ubyte v4, v[12:13], off
	s_waitcnt vmcnt(0)
	v_cvt_f64_u32_e32 v[4:5], v4
.LBB496_1425:
	s_waitcnt vmcnt(0)
	v_mov_b64_e32 v[6:7], 0
.LBB496_1426:
.LBB496_1427:
	s_waitcnt vmcnt(0)
	v_cmp_o_f64_e32 vcc, v[4:5], v[4:5]
	v_mov_b64_e32 v[12:13], s[8:9]
	s_and_saveexec_b64 s[0:1], vcc
	s_cbranch_execz .LBB496_1431
; %bb.1428:
	s_mov_b32 s2, 0
	s_mov_b32 s3, 0x7ff00000
	v_cmp_neq_f64_e32 vcc, s[2:3], v[4:5]
	v_mov_b64_e32 v[12:13], s[10:11]
	s_and_saveexec_b64 s[2:3], vcc
; %bb.1429:
	s_mov_b32 s22, 0
	s_mov_b32 s23, 0xfff00000
	v_mov_b32_e32 v12, s15
	v_cmp_eq_f64_e32 vcc, s[22:23], v[4:5]
	s_nop 1
	v_cndmask_b32_e32 v13, v5, v12, vcc
	v_mov_b32_e32 v5, s14
	v_cndmask_b32_e32 v12, v4, v5, vcc
; %bb.1430:
	s_or_b64 exec, exec, s[2:3]
.LBB496_1431:
	s_or_b64 exec, exec, s[0:1]
	v_cmp_o_f64_e32 vcc, v[6:7], v[6:7]
	v_mov_b64_e32 v[14:15], s[8:9]
	s_and_saveexec_b64 s[0:1], vcc
	s_cbranch_execz .LBB496_1435
; %bb.1432:
	s_mov_b32 s2, 0
	s_mov_b32 s3, 0x7ff00000
	v_cmp_neq_f64_e32 vcc, s[2:3], v[6:7]
	v_mov_b64_e32 v[14:15], s[10:11]
	s_and_saveexec_b64 s[2:3], vcc
; %bb.1433:
	s_mov_b32 s22, 0
	s_mov_b32 s23, 0xfff00000
	v_mov_b32_e32 v4, s15
	v_cmp_eq_f64_e32 vcc, s[22:23], v[6:7]
	s_nop 1
	v_cndmask_b32_e32 v15, v7, v4, vcc
	v_mov_b32_e32 v4, s14
	v_cndmask_b32_e32 v14, v6, v4, vcc
; %bb.1434:
	s_or_b64 exec, exec, s[2:3]
.LBB496_1435:
	s_or_b64 exec, exec, s[0:1]
	v_add_u32_e32 v4, s13, v16
	v_ashrrev_i32_e32 v5, 31, v4
	s_cmp_lt_i32 s28, 11
	v_lshl_add_u64 v[4:5], s[6:7], 0, v[4:5]
	s_cbranch_scc1 .LBB496_1442
; %bb.1436:
	s_cmp_gt_i32 s28, 25
	s_mov_b64 s[2:3], 0
	s_cbranch_scc0 .LBB496_1443
; %bb.1437:
	s_cmp_gt_i32 s28, 28
	s_cbranch_scc0 .LBB496_1444
; %bb.1438:
	s_cmp_gt_i32 s28, 43
	;; [unrolled: 3-line block ×3, first 2 shown]
	s_cbranch_scc0 .LBB496_1450
; %bb.1440:
	s_cmp_eq_u32 s28, 46
	s_mov_b64 s[22:23], 0
	s_cbranch_scc0 .LBB496_1513
; %bb.1441:
	global_load_dword v6, v[4:5], off
	s_mov_b64 s[0:1], 0
	s_mov_b64 s[6:7], -1
	s_waitcnt vmcnt(0)
	v_and_b32_e32 v7, 0xffff0000, v6
	v_lshlrev_b32_e32 v6, 16, v6
	v_cvt_f64_f32_e32 v[16:17], v6
	v_cvt_f64_f32_e32 v[18:19], v7
	s_branch .LBB496_1514
.LBB496_1442:
	s_mov_b64 s[0:1], -1
	s_mov_b64 s[6:7], 0
                                        ; implicit-def: $vgpr18_vgpr19
	s_branch .LBB496_1564
.LBB496_1443:
	s_mov_b64 s[22:23], -1
	s_mov_b64 s[6:7], 0
	s_mov_b64 s[0:1], 0
                                        ; implicit-def: $vgpr18_vgpr19
	s_branch .LBB496_1547
.LBB496_1444:
	s_mov_b64 s[22:23], -1
	s_mov_b64 s[6:7], 0
	s_mov_b64 s[0:1], 0
                                        ; implicit-def: $vgpr18_vgpr19
	s_branch .LBB496_1526
.LBB496_1445:
	s_mov_b64 s[22:23], -1
	s_mov_b64 s[6:7], 0
	s_mov_b64 s[0:1], 0
                                        ; implicit-def: $vgpr18_vgpr19
	s_branch .LBB496_1520
.LBB496_1446:
	s_mov_b64 s[0:1], -1
                                        ; implicit-def: $vgpr6_vgpr7
	s_mov_b64 s[22:23], 0
.LBB496_1447:
	s_and_b64 vcc, exec, s[24:25]
	s_cbranch_vccz .LBB496_1453
; %bb.1448:
	s_cmp_eq_u32 s28, 44
	s_cbranch_scc0 .LBB496_1451
; %bb.1449:
	global_load_ubyte v6, v[12:13], off
	s_movk_i32 s22, 0xff
	v_bfrev_b32_e32 v7, 4
	v_mov_b32_e32 v14, 0x7ff80000
	v_bfrev_b32_e32 v15, 28
	s_mov_b64 s[0:1], 0
	s_waitcnt vmcnt(0)
	v_lshlrev_b32_e32 v4, 23, v6
	v_cvt_f64_f32_e32 v[4:5], v4
	v_cmp_ne_u32_e32 vcc, s22, v6
	s_mov_b64 s[22:23], -1
	s_nop 0
	v_cndmask_b32_e32 v4, v7, v4, vcc
	v_cndmask_b32_e32 v5, v14, v5, vcc
	v_cmp_ne_u32_e32 vcc, 0, v6
	s_nop 1
	v_cndmask_b32_e32 v5, v15, v5, vcc
	v_cndmask_b32_e32 v4, 0, v4, vcc
	s_branch .LBB496_1452
.LBB496_1450:
	s_mov_b64 s[22:23], -1
	s_mov_b64 s[6:7], 0
	s_mov_b64 s[0:1], 0
                                        ; implicit-def: $vgpr18_vgpr19
	s_branch .LBB496_1514
.LBB496_1451:
	s_mov_b64 s[0:1], -1
                                        ; implicit-def: $vgpr4_vgpr5
.LBB496_1452:
	v_mov_b64_e32 v[6:7], 0
.LBB496_1453:
	s_mov_b64 s[24:25], 0
.LBB496_1454:
	s_and_b64 vcc, exec, s[24:25]
	s_cbranch_vccz .LBB496_1459
; %bb.1455:
	s_cmp_eq_u32 s28, 29
	s_cbranch_scc0 .LBB496_1457
; %bb.1456:
	global_load_dwordx2 v[4:5], v[12:13], off
	s_mov_b64 s[0:1], 0
	s_mov_b64 s[22:23], -1
	s_waitcnt vmcnt(0)
	v_cvt_f64_u32_e32 v[6:7], v5
	v_cvt_f64_u32_e32 v[4:5], v4
	v_ldexp_f64 v[6:7], v[6:7], 32
	v_add_f64 v[4:5], v[6:7], v[4:5]
	s_branch .LBB496_1458
.LBB496_1457:
	s_mov_b64 s[0:1], -1
                                        ; implicit-def: $vgpr4_vgpr5
.LBB496_1458:
	v_mov_b64_e32 v[6:7], 0
.LBB496_1459:
	s_mov_b64 s[24:25], 0
.LBB496_1460:
	s_and_b64 vcc, exec, s[24:25]
	s_cbranch_vccz .LBB496_1480
; %bb.1461:
	s_cmp_lt_i32 s28, 27
	s_cbranch_scc1 .LBB496_1464
; %bb.1462:
	s_cmp_gt_i32 s28, 27
	s_cbranch_scc0 .LBB496_1465
; %bb.1463:
	global_load_dword v4, v[12:13], off
	s_mov_b64 s[22:23], 0
	s_waitcnt vmcnt(0)
	v_cvt_f64_u32_e32 v[4:5], v4
	s_branch .LBB496_1466
.LBB496_1464:
	s_mov_b64 s[22:23], -1
                                        ; implicit-def: $vgpr4_vgpr5
	s_branch .LBB496_1469
.LBB496_1465:
	s_mov_b64 s[22:23], -1
                                        ; implicit-def: $vgpr4_vgpr5
.LBB496_1466:
	s_andn2_b64 vcc, exec, s[22:23]
	s_cbranch_vccnz .LBB496_1468
; %bb.1467:
	global_load_ushort v4, v[12:13], off
	s_waitcnt vmcnt(0)
	v_cvt_f64_u32_e32 v[4:5], v4
.LBB496_1468:
	s_mov_b64 s[22:23], 0
.LBB496_1469:
	s_andn2_b64 vcc, exec, s[22:23]
	s_cbranch_vccnz .LBB496_1479
; %bb.1470:
	global_load_ubyte v6, v[12:13], off
	s_movk_i32 s22, 0x7f
	s_waitcnt vmcnt(0)
	v_cmp_lt_i16_e32 vcc, s22, v6
	s_mov_b64 s[22:23], 0
	s_and_saveexec_b64 s[24:25], vcc
	s_xor_b64 s[24:25], exec, s[24:25]
	s_cbranch_execz .LBB496_1474
; %bb.1471:
	s_movk_i32 s22, 0x80
	v_cmp_eq_u16_e32 vcc, s22, v6
	s_mov_b64 s[22:23], -1
	s_and_saveexec_b64 s[26:27], vcc
; %bb.1472:
	s_xor_b64 s[22:23], exec, -1
; %bb.1473:
	s_or_b64 exec, exec, s[26:27]
	s_and_b64 s[22:23], s[22:23], exec
.LBB496_1474:
	s_or_saveexec_b64 s[24:25], s[24:25]
	v_bfrev_b32_e32 v4, 4
	v_mov_b32_e32 v5, 0x7ff80000
	s_xor_b64 exec, exec, s[24:25]
; %bb.1475:
	v_cmp_ne_u16_e32 vcc, 0, v6
	s_andn2_b64 s[22:23], s[22:23], exec
	s_and_b64 s[26:27], vcc, exec
	v_mov_b64_e32 v[4:5], 0
	s_or_b64 s[22:23], s[22:23], s[26:27]
; %bb.1476:
	s_or_b64 exec, exec, s[24:25]
	s_and_saveexec_b64 s[24:25], s[22:23]
	s_cbranch_execz .LBB496_1478
; %bb.1477:
	v_and_b32_e32 v5, 0xffff, v6
	v_lshlrev_b32_e32 v4, 24, v6
	v_and_b32_e32 v6, 7, v5
	v_ffbh_u32_e32 v14, v6
	v_min_u32_e32 v14, 32, v14
	v_subrev_u32_e32 v15, 28, v14
	v_bfe_u32 v7, v5, 3, 4
	v_lshlrev_b32_e32 v5, v15, v5
	v_sub_u32_e32 v14, 29, v14
	v_and_b32_e32 v5, 7, v5
	v_cmp_eq_u32_e32 vcc, 0, v7
	v_and_b32_e32 v4, 0x80000000, v4
	s_nop 0
	v_cndmask_b32_e32 v7, v7, v14, vcc
	v_cndmask_b32_e32 v5, v6, v5, vcc
	v_mov_b32_e32 v6, 0x3b800000
	v_lshlrev_b32_e32 v5, 20, v5
	v_lshl_add_u32 v6, v7, 23, v6
	v_or3_b32 v4, v4, v6, v5
	v_cvt_f64_f32_e32 v[4:5], v4
.LBB496_1478:
	s_or_b64 exec, exec, s[24:25]
.LBB496_1479:
	s_mov_b64 s[22:23], -1
	v_mov_b64_e32 v[6:7], 0
.LBB496_1480:
	s_branch .LBB496_1369
.LBB496_1481:
	s_cmp_gt_i32 s28, 22
	s_cbranch_scc0 .LBB496_1493
; %bb.1482:
	s_cmp_lt_i32 s28, 24
	s_cbranch_scc1 .LBB496_1494
; %bb.1483:
	s_cmp_gt_i32 s28, 24
	s_cbranch_scc0 .LBB496_1495
; %bb.1484:
	global_load_ubyte v6, v[12:13], off
	s_movk_i32 s2, 0x7f
	s_waitcnt vmcnt(0)
	v_cmp_lt_i16_e32 vcc, s2, v6
	s_mov_b64 s[2:3], 0
	s_and_saveexec_b64 s[22:23], vcc
	s_xor_b64 s[22:23], exec, s[22:23]
	s_cbranch_execz .LBB496_1488
; %bb.1485:
	s_movk_i32 s2, 0x80
	v_cmp_eq_u16_e32 vcc, s2, v6
	s_mov_b64 s[2:3], -1
	s_and_saveexec_b64 s[24:25], vcc
; %bb.1486:
	s_xor_b64 s[2:3], exec, -1
; %bb.1487:
	s_or_b64 exec, exec, s[24:25]
	s_and_b64 s[2:3], s[2:3], exec
.LBB496_1488:
	s_or_saveexec_b64 s[22:23], s[22:23]
	v_bfrev_b32_e32 v4, 4
	v_mov_b32_e32 v5, 0x7ff80000
	s_xor_b64 exec, exec, s[22:23]
; %bb.1489:
	v_cmp_ne_u16_e32 vcc, 0, v6
	s_andn2_b64 s[2:3], s[2:3], exec
	s_and_b64 s[24:25], vcc, exec
	v_mov_b64_e32 v[4:5], 0
	s_or_b64 s[2:3], s[2:3], s[24:25]
; %bb.1490:
	s_or_b64 exec, exec, s[22:23]
	s_and_saveexec_b64 s[22:23], s[2:3]
	s_cbranch_execz .LBB496_1492
; %bb.1491:
	v_and_b32_e32 v5, 0xffff, v6
	v_lshlrev_b32_e32 v4, 24, v6
	v_and_b32_e32 v6, 3, v5
	v_ffbh_u32_e32 v14, v6
	v_min_u32_e32 v14, 32, v14
	v_subrev_u32_e32 v15, 29, v14
	v_bfe_u32 v7, v5, 2, 5
	v_lshlrev_b32_e32 v5, v15, v5
	v_sub_u32_e32 v14, 30, v14
	v_and_b32_e32 v5, 3, v5
	v_cmp_eq_u32_e32 vcc, 0, v7
	v_and_b32_e32 v4, 0x80000000, v4
	s_nop 0
	v_cndmask_b32_e32 v7, v7, v14, vcc
	v_cndmask_b32_e32 v5, v6, v5, vcc
	v_mov_b32_e32 v6, 0x37800000
	v_lshlrev_b32_e32 v5, 21, v5
	v_lshl_add_u32 v6, v7, 23, v6
	v_or3_b32 v4, v4, v6, v5
	v_cvt_f64_f32_e32 v[4:5], v4
.LBB496_1492:
	s_or_b64 exec, exec, s[22:23]
	s_mov_b64 s[2:3], 0
	s_branch .LBB496_1496
.LBB496_1493:
	s_mov_b64 s[2:3], -1
                                        ; implicit-def: $vgpr4_vgpr5
	s_branch .LBB496_1502
.LBB496_1494:
	s_mov_b64 s[2:3], -1
                                        ; implicit-def: $vgpr4_vgpr5
	s_branch .LBB496_1499
.LBB496_1495:
	s_mov_b64 s[2:3], -1
                                        ; implicit-def: $vgpr4_vgpr5
.LBB496_1496:
	s_and_b64 vcc, exec, s[2:3]
	s_cbranch_vccz .LBB496_1498
; %bb.1497:
	global_load_ubyte v4, v[12:13], off
	s_mov_b32 s2, 0x7f800000
	s_waitcnt vmcnt(0)
	v_lshlrev_b32_e32 v4, 24, v4
	v_and_b32_e32 v5, 0x7f000000, v4
	v_ffbh_u32_e32 v6, v5
	v_min_u32_e32 v6, 32, v6
	v_sub_u32_e64 v6, v6, 4 clamp
	v_lshlrev_b32_e32 v14, v6, v5
	v_lshlrev_b32_e32 v6, 23, v6
	v_lshrrev_b32_e32 v14, 4, v14
	v_add_u32_e32 v7, 0x1000000, v5
	v_sub_u32_e32 v6, v14, v6
	v_ashrrev_i32_e32 v7, 8, v7
	v_add_u32_e32 v6, 0x3c000000, v6
	v_and_or_b32 v6, v7, s2, v6
	v_cmp_ne_u32_e32 vcc, 0, v5
	s_brev_b32 s2, 1
	s_nop 0
	v_cndmask_b32_e32 v5, 0, v6, vcc
	v_and_or_b32 v4, v4, s2, v5
	v_cvt_f64_f32_e32 v[4:5], v4
.LBB496_1498:
	s_mov_b64 s[2:3], 0
.LBB496_1499:
	s_andn2_b64 vcc, exec, s[2:3]
	s_cbranch_vccnz .LBB496_1501
; %bb.1500:
	global_load_ubyte v4, v[12:13], off
	s_movk_i32 s2, 0x7f00
	s_brev_b32 s3, 16
	s_waitcnt vmcnt(0)
	v_lshlrev_b16_e32 v5, 8, v4
	v_lshlrev_b32_e32 v4, 25, v4
	v_lshrrev_b32_e32 v6, 4, v4
	v_and_or_b32 v7, v5, s2, 0.5
	v_or_b32_e32 v6, 0x70000000, v6
	v_add_f32_e32 v7, -0.5, v7
	v_mul_f32_e32 v6, 0x7800000, v6
	v_cmp_gt_u32_e32 vcc, s3, v4
	v_bfe_i32 v5, v5, 0, 16
	s_brev_b32 s2, 1
	v_cndmask_b32_e32 v4, v6, v7, vcc
	v_and_or_b32 v4, v5, s2, v4
	v_cvt_f64_f32_e32 v[4:5], v4
.LBB496_1501:
	s_mov_b64 s[2:3], 0
	s_mov_b64 s[22:23], -1
.LBB496_1502:
	s_andn2_b64 vcc, exec, s[2:3]
	s_mov_b64 s[2:3], 0
	s_cbranch_vccnz .LBB496_1511
; %bb.1503:
	s_cmp_gt_i32 s28, 14
	s_cbranch_scc0 .LBB496_1506
; %bb.1504:
	s_cmp_eq_u32 s28, 15
	s_cbranch_scc0 .LBB496_1507
; %bb.1505:
	global_load_ushort v4, v[12:13], off
	s_mov_b64 s[0:1], 0
	s_mov_b64 s[22:23], -1
	s_waitcnt vmcnt(0)
	v_lshlrev_b32_e32 v4, 16, v4
	v_cvt_f64_f32_e32 v[4:5], v4
	s_branch .LBB496_1508
.LBB496_1506:
	s_mov_b64 s[24:25], -1
                                        ; implicit-def: $vgpr4_vgpr5
	s_branch .LBB496_1509
.LBB496_1507:
	s_mov_b64 s[0:1], -1
                                        ; implicit-def: $vgpr4_vgpr5
.LBB496_1508:
	s_mov_b64 s[24:25], 0
.LBB496_1509:
	s_and_b64 vcc, exec, s[24:25]
	s_cbranch_vccz .LBB496_1511
; %bb.1510:
	s_cmp_lg_u32 s28, 11
	s_mov_b64 s[2:3], -1
	s_cselect_b64 s[0:1], -1, 0
.LBB496_1511:
	v_mov_b64_e32 v[6:7], 0
	s_and_b64 vcc, exec, s[0:1]
	s_cbranch_vccz .LBB496_1370
.LBB496_1512:
	s_trap 2
	s_or_b64 s[20:21], s[20:21], exec
	s_cbranch_execz .LBB496_1371
	s_branch .LBB496_1372
.LBB496_1513:
	s_mov_b64 s[0:1], -1
                                        ; implicit-def: $vgpr18_vgpr19
	s_mov_b64 s[6:7], 0
.LBB496_1514:
	s_and_b64 vcc, exec, s[22:23]
	s_cbranch_vccz .LBB496_1519
; %bb.1515:
	s_cmp_eq_u32 s28, 44
	s_cbranch_scc0 .LBB496_1517
; %bb.1516:
	global_load_ubyte v16, v[4:5], off
	s_movk_i32 s6, 0xff
	v_bfrev_b32_e32 v17, 4
	v_mov_b32_e32 v18, 0x7ff80000
	v_bfrev_b32_e32 v19, 28
	s_mov_b64 s[0:1], 0
	s_waitcnt vmcnt(0)
	v_lshlrev_b32_e32 v6, 23, v16
	v_cvt_f64_f32_e32 v[6:7], v6
	v_cmp_ne_u32_e32 vcc, s6, v16
	s_mov_b64 s[6:7], -1
	s_nop 0
	v_cndmask_b32_e32 v6, v17, v6, vcc
	v_cndmask_b32_e32 v7, v18, v7, vcc
	v_cmp_ne_u32_e32 vcc, 0, v16
	s_nop 1
	v_cndmask_b32_e32 v17, v19, v7, vcc
	v_cndmask_b32_e32 v16, 0, v6, vcc
	s_branch .LBB496_1518
.LBB496_1517:
	s_mov_b64 s[0:1], -1
                                        ; implicit-def: $vgpr16_vgpr17
.LBB496_1518:
	v_mov_b64_e32 v[18:19], 0
.LBB496_1519:
	s_mov_b64 s[22:23], 0
.LBB496_1520:
	s_and_b64 vcc, exec, s[22:23]
	s_cbranch_vccz .LBB496_1525
; %bb.1521:
	s_cmp_eq_u32 s28, 29
	s_cbranch_scc0 .LBB496_1523
; %bb.1522:
	global_load_dwordx2 v[6:7], v[4:5], off
	s_mov_b64 s[0:1], 0
	s_mov_b64 s[6:7], -1
	s_waitcnt vmcnt(0)
	v_cvt_f64_u32_e32 v[16:17], v7
	v_cvt_f64_u32_e32 v[6:7], v6
	v_ldexp_f64 v[16:17], v[16:17], 32
	v_add_f64 v[16:17], v[16:17], v[6:7]
	s_branch .LBB496_1524
.LBB496_1523:
	s_mov_b64 s[0:1], -1
                                        ; implicit-def: $vgpr16_vgpr17
.LBB496_1524:
	v_mov_b64_e32 v[18:19], 0
.LBB496_1525:
	s_mov_b64 s[22:23], 0
.LBB496_1526:
	s_and_b64 vcc, exec, s[22:23]
	s_cbranch_vccz .LBB496_1546
; %bb.1527:
	s_cmp_lt_i32 s28, 27
	s_cbranch_scc1 .LBB496_1530
; %bb.1528:
	s_cmp_gt_i32 s28, 27
	s_cbranch_scc0 .LBB496_1531
; %bb.1529:
	global_load_dword v6, v[4:5], off
	s_mov_b64 s[6:7], 0
	s_waitcnt vmcnt(0)
	v_cvt_f64_u32_e32 v[16:17], v6
	s_branch .LBB496_1532
.LBB496_1530:
	s_mov_b64 s[6:7], -1
                                        ; implicit-def: $vgpr16_vgpr17
	s_branch .LBB496_1535
.LBB496_1531:
	s_mov_b64 s[6:7], -1
                                        ; implicit-def: $vgpr16_vgpr17
.LBB496_1532:
	s_andn2_b64 vcc, exec, s[6:7]
	s_cbranch_vccnz .LBB496_1534
; %bb.1533:
	global_load_ushort v6, v[4:5], off
	s_waitcnt vmcnt(0)
	v_cvt_f64_u32_e32 v[16:17], v6
.LBB496_1534:
	s_mov_b64 s[6:7], 0
.LBB496_1535:
	s_andn2_b64 vcc, exec, s[6:7]
	s_cbranch_vccnz .LBB496_1545
; %bb.1536:
	global_load_ubyte v6, v[4:5], off
	s_movk_i32 s6, 0x7f
	s_waitcnt vmcnt(0)
	v_cmp_lt_i16_e32 vcc, s6, v6
	s_mov_b64 s[6:7], 0
	s_and_saveexec_b64 s[22:23], vcc
	s_xor_b64 s[22:23], exec, s[22:23]
	s_cbranch_execz .LBB496_1540
; %bb.1537:
	s_movk_i32 s6, 0x80
	v_cmp_eq_u16_e32 vcc, s6, v6
	s_mov_b64 s[6:7], -1
	s_and_saveexec_b64 s[24:25], vcc
; %bb.1538:
	s_xor_b64 s[6:7], exec, -1
; %bb.1539:
	s_or_b64 exec, exec, s[24:25]
	s_and_b64 s[6:7], s[6:7], exec
.LBB496_1540:
	s_or_saveexec_b64 s[22:23], s[22:23]
	v_bfrev_b32_e32 v16, 4
	v_mov_b32_e32 v17, 0x7ff80000
	s_xor_b64 exec, exec, s[22:23]
; %bb.1541:
	v_cmp_ne_u16_e32 vcc, 0, v6
	s_andn2_b64 s[6:7], s[6:7], exec
	s_and_b64 s[24:25], vcc, exec
	v_mov_b64_e32 v[16:17], 0
	s_or_b64 s[6:7], s[6:7], s[24:25]
; %bb.1542:
	s_or_b64 exec, exec, s[22:23]
	s_and_saveexec_b64 s[22:23], s[6:7]
	s_cbranch_execz .LBB496_1544
; %bb.1543:
	v_lshlrev_b32_e32 v7, 24, v6
	v_and_b32_e32 v6, 0xffff, v6
	v_and_b32_e32 v16, 7, v6
	v_ffbh_u32_e32 v18, v16
	v_min_u32_e32 v18, 32, v18
	v_subrev_u32_e32 v19, 28, v18
	v_bfe_u32 v17, v6, 3, 4
	v_lshlrev_b32_e32 v6, v19, v6
	v_sub_u32_e32 v18, 29, v18
	v_and_b32_e32 v6, 7, v6
	v_cmp_eq_u32_e32 vcc, 0, v17
	v_and_b32_e32 v7, 0x80000000, v7
	s_nop 0
	v_cndmask_b32_e32 v17, v17, v18, vcc
	v_cndmask_b32_e32 v6, v16, v6, vcc
	v_mov_b32_e32 v16, 0x3b800000
	v_lshlrev_b32_e32 v6, 20, v6
	v_lshl_add_u32 v16, v17, 23, v16
	v_or3_b32 v6, v7, v16, v6
	v_cvt_f64_f32_e32 v[16:17], v6
.LBB496_1544:
	s_or_b64 exec, exec, s[22:23]
.LBB496_1545:
	s_mov_b64 s[6:7], -1
	v_mov_b64_e32 v[18:19], 0
.LBB496_1546:
	s_mov_b64 s[22:23], 0
.LBB496_1547:
	s_and_b64 vcc, exec, s[22:23]
	s_cbranch_vccz .LBB496_1560
; %bb.1548:
	s_cmp_gt_i32 s28, 22
	s_cbranch_scc0 .LBB496_1571
; %bb.1549:
	s_cmp_lt_i32 s28, 24
	s_cbranch_scc1 .LBB496_1573
; %bb.1550:
	s_cmp_gt_i32 s28, 24
	s_cbranch_scc0 .LBB496_1575
; %bb.1551:
	global_load_ubyte v6, v[4:5], off
	s_movk_i32 s2, 0x7f
	s_waitcnt vmcnt(0)
	v_cmp_lt_i16_e32 vcc, s2, v6
	s_mov_b64 s[2:3], 0
	s_and_saveexec_b64 s[6:7], vcc
	s_xor_b64 s[6:7], exec, s[6:7]
	s_cbranch_execz .LBB496_1555
; %bb.1552:
	s_movk_i32 s2, 0x80
	v_cmp_eq_u16_e32 vcc, s2, v6
	s_mov_b64 s[2:3], -1
	s_and_saveexec_b64 s[22:23], vcc
; %bb.1553:
	s_xor_b64 s[2:3], exec, -1
; %bb.1554:
	s_or_b64 exec, exec, s[22:23]
	s_and_b64 s[2:3], s[2:3], exec
.LBB496_1555:
	s_or_saveexec_b64 s[6:7], s[6:7]
	v_bfrev_b32_e32 v16, 4
	v_mov_b32_e32 v17, 0x7ff80000
	s_xor_b64 exec, exec, s[6:7]
; %bb.1556:
	v_cmp_ne_u16_e32 vcc, 0, v6
	s_andn2_b64 s[2:3], s[2:3], exec
	s_and_b64 s[22:23], vcc, exec
	v_mov_b64_e32 v[16:17], 0
	s_or_b64 s[2:3], s[2:3], s[22:23]
; %bb.1557:
	s_or_b64 exec, exec, s[6:7]
	s_and_saveexec_b64 s[6:7], s[2:3]
	s_cbranch_execz .LBB496_1559
; %bb.1558:
	v_lshlrev_b32_e32 v7, 24, v6
	v_and_b32_e32 v6, 0xffff, v6
	v_and_b32_e32 v16, 3, v6
	v_ffbh_u32_e32 v18, v16
	v_min_u32_e32 v18, 32, v18
	v_subrev_u32_e32 v19, 29, v18
	v_bfe_u32 v17, v6, 2, 5
	v_lshlrev_b32_e32 v6, v19, v6
	v_sub_u32_e32 v18, 30, v18
	v_and_b32_e32 v6, 3, v6
	v_cmp_eq_u32_e32 vcc, 0, v17
	v_and_b32_e32 v7, 0x80000000, v7
	s_nop 0
	v_cndmask_b32_e32 v17, v17, v18, vcc
	v_cndmask_b32_e32 v6, v16, v6, vcc
	v_mov_b32_e32 v16, 0x37800000
	v_lshlrev_b32_e32 v6, 21, v6
	v_lshl_add_u32 v16, v17, 23, v16
	v_or3_b32 v6, v7, v16, v6
	v_cvt_f64_f32_e32 v[16:17], v6
.LBB496_1559:
	s_or_b64 exec, exec, s[6:7]
	s_mov_b64 s[2:3], 0
	s_branch .LBB496_1576
.LBB496_1560:
	s_and_b64 vcc, exec, s[0:1]
	s_cbranch_vccnz .LBB496_1604
.LBB496_1561:
	s_andn2_b64 vcc, exec, s[2:3]
	s_cbranch_vccnz .LBB496_1563
.LBB496_1562:
	global_load_ubyte v6, v[4:5], off
	v_mov_b32_e32 v7, 0x3ff00000
	v_mov_b32_e32 v16, 0
	s_mov_b64 s[6:7], -1
	v_mov_b64_e32 v[18:19], 0
	s_waitcnt vmcnt(0)
	v_cmp_ne_u16_e32 vcc, 0, v6
	s_nop 1
	v_cndmask_b32_e32 v17, 0, v7, vcc
.LBB496_1563:
	s_mov_b64 s[0:1], 0
.LBB496_1564:
	s_and_b64 vcc, exec, s[0:1]
	s_cbranch_vccz .LBB496_1635
; %bb.1565:
	s_cmp_lt_i32 s28, 5
	s_cbranch_scc1 .LBB496_1570
; %bb.1566:
	s_cmp_lt_i32 s28, 8
	s_cbranch_scc1 .LBB496_1572
; %bb.1567:
	s_cmp_lt_i32 s28, 9
	s_cbranch_scc1 .LBB496_1574
; %bb.1568:
	s_cmp_gt_i32 s28, 9
	s_cbranch_scc0 .LBB496_1587
; %bb.1569:
	global_load_dwordx4 v[16:19], v[4:5], off
	s_mov_b64 s[0:1], 0
	s_branch .LBB496_1588
.LBB496_1570:
	s_mov_b64 s[0:1], -1
                                        ; implicit-def: $vgpr18_vgpr19
	s_branch .LBB496_1613
.LBB496_1571:
	s_mov_b64 s[2:3], -1
                                        ; implicit-def: $vgpr16_vgpr17
	s_branch .LBB496_1582
.LBB496_1572:
	s_mov_b64 s[0:1], -1
                                        ; implicit-def: $vgpr18_vgpr19
	s_branch .LBB496_1594
.LBB496_1573:
	s_mov_b64 s[2:3], -1
                                        ; implicit-def: $vgpr16_vgpr17
	s_branch .LBB496_1579
.LBB496_1574:
	s_mov_b64 s[0:1], -1
                                        ; implicit-def: $vgpr18_vgpr19
	s_branch .LBB496_1591
.LBB496_1575:
	s_mov_b64 s[2:3], -1
                                        ; implicit-def: $vgpr16_vgpr17
.LBB496_1576:
	s_and_b64 vcc, exec, s[2:3]
	s_cbranch_vccz .LBB496_1578
; %bb.1577:
	global_load_ubyte v6, v[4:5], off
	s_mov_b32 s2, 0x7f800000
	s_waitcnt vmcnt(0)
	v_lshlrev_b32_e32 v6, 24, v6
	v_and_b32_e32 v7, 0x7f000000, v6
	v_ffbh_u32_e32 v16, v7
	v_min_u32_e32 v16, 32, v16
	v_sub_u32_e64 v16, v16, 4 clamp
	v_lshlrev_b32_e32 v18, v16, v7
	v_lshlrev_b32_e32 v16, 23, v16
	v_lshrrev_b32_e32 v18, 4, v18
	v_add_u32_e32 v17, 0x1000000, v7
	v_sub_u32_e32 v16, v18, v16
	v_ashrrev_i32_e32 v17, 8, v17
	v_add_u32_e32 v16, 0x3c000000, v16
	v_and_or_b32 v16, v17, s2, v16
	v_cmp_ne_u32_e32 vcc, 0, v7
	s_brev_b32 s2, 1
	s_nop 0
	v_cndmask_b32_e32 v7, 0, v16, vcc
	v_and_or_b32 v6, v6, s2, v7
	v_cvt_f64_f32_e32 v[16:17], v6
.LBB496_1578:
	s_mov_b64 s[2:3], 0
.LBB496_1579:
	s_andn2_b64 vcc, exec, s[2:3]
	s_cbranch_vccnz .LBB496_1581
; %bb.1580:
	global_load_ubyte v6, v[4:5], off
	s_movk_i32 s2, 0x7f00
	s_brev_b32 s3, 16
	s_waitcnt vmcnt(0)
	v_lshlrev_b16_e32 v7, 8, v6
	v_lshlrev_b32_e32 v6, 25, v6
	v_lshrrev_b32_e32 v16, 4, v6
	v_and_or_b32 v17, v7, s2, 0.5
	v_or_b32_e32 v16, 0x70000000, v16
	v_add_f32_e32 v17, -0.5, v17
	v_mul_f32_e32 v16, 0x7800000, v16
	v_cmp_gt_u32_e32 vcc, s3, v6
	v_bfe_i32 v7, v7, 0, 16
	s_brev_b32 s2, 1
	v_cndmask_b32_e32 v6, v16, v17, vcc
	v_and_or_b32 v6, v7, s2, v6
	v_cvt_f64_f32_e32 v[16:17], v6
.LBB496_1581:
	s_mov_b64 s[2:3], 0
	s_mov_b64 s[6:7], -1
.LBB496_1582:
	s_andn2_b64 vcc, exec, s[2:3]
	s_mov_b64 s[2:3], 0
	s_cbranch_vccnz .LBB496_1603
; %bb.1583:
	s_cmp_gt_i32 s28, 14
	s_cbranch_scc0 .LBB496_1586
; %bb.1584:
	s_cmp_eq_u32 s28, 15
	s_cbranch_scc0 .LBB496_1599
; %bb.1585:
	global_load_ushort v6, v[4:5], off
	s_mov_b64 s[0:1], 0
	s_mov_b64 s[6:7], -1
	s_waitcnt vmcnt(0)
	v_lshlrev_b32_e32 v6, 16, v6
	v_cvt_f64_f32_e32 v[16:17], v6
	s_branch .LBB496_1600
.LBB496_1586:
	s_mov_b64 s[22:23], -1
                                        ; implicit-def: $vgpr16_vgpr17
	s_branch .LBB496_1601
.LBB496_1587:
	s_mov_b64 s[0:1], -1
                                        ; implicit-def: $vgpr18_vgpr19
.LBB496_1588:
	s_andn2_b64 vcc, exec, s[0:1]
	s_cbranch_vccnz .LBB496_1590
; %bb.1589:
	global_load_dwordx2 v[6:7], v[4:5], off
	s_waitcnt vmcnt(0)
	v_cvt_f64_f32_e32 v[16:17], v6
	v_cvt_f64_f32_e32 v[18:19], v7
.LBB496_1590:
	s_mov_b64 s[0:1], 0
.LBB496_1591:
	s_andn2_b64 vcc, exec, s[0:1]
	s_cbranch_vccnz .LBB496_1593
; %bb.1592:
	global_load_dword v6, v[4:5], off
	s_waitcnt vmcnt(0)
	v_cvt_f32_f16_e32 v7, v6
	v_cvt_f32_f16_sdwa v6, v6 dst_sel:DWORD dst_unused:UNUSED_PAD src0_sel:WORD_1
	v_cvt_f64_f32_e32 v[16:17], v7
	v_cvt_f64_f32_e32 v[18:19], v6
.LBB496_1593:
	s_mov_b64 s[0:1], 0
.LBB496_1594:
	s_andn2_b64 vcc, exec, s[0:1]
	s_cbranch_vccnz .LBB496_1612
; %bb.1595:
	s_cmp_lt_i32 s28, 6
	s_cbranch_scc1 .LBB496_1598
; %bb.1596:
	s_cmp_gt_i32 s28, 6
	s_cbranch_scc0 .LBB496_1605
; %bb.1597:
	global_load_dwordx2 v[16:17], v[4:5], off
	s_mov_b64 s[0:1], 0
	s_branch .LBB496_1606
.LBB496_1598:
	s_mov_b64 s[0:1], -1
                                        ; implicit-def: $vgpr16_vgpr17
	s_branch .LBB496_1609
.LBB496_1599:
	s_mov_b64 s[0:1], -1
                                        ; implicit-def: $vgpr16_vgpr17
.LBB496_1600:
	s_mov_b64 s[22:23], 0
.LBB496_1601:
	s_and_b64 vcc, exec, s[22:23]
	s_cbranch_vccz .LBB496_1603
; %bb.1602:
	s_cmp_lg_u32 s28, 11
	s_mov_b64 s[2:3], -1
	s_cselect_b64 s[0:1], -1, 0
.LBB496_1603:
	v_mov_b64_e32 v[18:19], 0
	s_and_b64 vcc, exec, s[0:1]
	s_cbranch_vccz .LBB496_1561
.LBB496_1604:
	s_trap 2
	s_or_b64 s[20:21], s[20:21], exec
	s_cbranch_execz .LBB496_1562
	s_branch .LBB496_1563
.LBB496_1605:
	s_mov_b64 s[0:1], -1
                                        ; implicit-def: $vgpr16_vgpr17
.LBB496_1606:
	s_andn2_b64 vcc, exec, s[0:1]
	s_cbranch_vccnz .LBB496_1608
; %bb.1607:
	global_load_dword v6, v[4:5], off
	s_waitcnt vmcnt(0)
	v_cvt_f64_f32_e32 v[16:17], v6
.LBB496_1608:
	s_mov_b64 s[0:1], 0
.LBB496_1609:
	s_andn2_b64 vcc, exec, s[0:1]
	s_cbranch_vccnz .LBB496_1611
; %bb.1610:
	global_load_ushort v6, v[4:5], off
	s_waitcnt vmcnt(0)
	v_cvt_f32_f16_e32 v6, v6
	v_cvt_f64_f32_e32 v[16:17], v6
.LBB496_1611:
	s_waitcnt vmcnt(0)
	v_mov_b64_e32 v[18:19], 0
.LBB496_1612:
	s_mov_b64 s[0:1], 0
.LBB496_1613:
	s_andn2_b64 vcc, exec, s[0:1]
	s_cbranch_vccnz .LBB496_1634
; %bb.1614:
	s_cmp_lt_i32 s28, 2
	s_cbranch_scc1 .LBB496_1618
; %bb.1615:
	s_cmp_lt_i32 s28, 3
	s_cbranch_scc1 .LBB496_1619
; %bb.1616:
	s_cmp_gt_i32 s28, 3
	s_cbranch_scc0 .LBB496_1620
; %bb.1617:
	global_load_dwordx2 v[6:7], v[4:5], off
	s_mov_b64 s[0:1], 0
	s_waitcnt vmcnt(0)
	v_cvt_f64_i32_e32 v[16:17], v7
	v_cvt_f64_u32_e32 v[6:7], v6
	v_ldexp_f64 v[16:17], v[16:17], 32
	v_add_f64 v[16:17], v[16:17], v[6:7]
	s_branch .LBB496_1621
.LBB496_1618:
	s_mov_b64 s[0:1], -1
                                        ; implicit-def: $vgpr16_vgpr17
	s_branch .LBB496_1627
.LBB496_1619:
	s_mov_b64 s[0:1], -1
                                        ; implicit-def: $vgpr16_vgpr17
	s_branch .LBB496_1624
.LBB496_1620:
	s_mov_b64 s[0:1], -1
                                        ; implicit-def: $vgpr16_vgpr17
.LBB496_1621:
	s_andn2_b64 vcc, exec, s[0:1]
	s_cbranch_vccnz .LBB496_1623
; %bb.1622:
	global_load_dword v6, v[4:5], off
	s_waitcnt vmcnt(0)
	v_cvt_f64_i32_e32 v[16:17], v6
.LBB496_1623:
	s_mov_b64 s[0:1], 0
.LBB496_1624:
	s_andn2_b64 vcc, exec, s[0:1]
	s_cbranch_vccnz .LBB496_1626
; %bb.1625:
	global_load_sshort v6, v[4:5], off
	s_waitcnt vmcnt(0)
	v_cvt_f64_i32_e32 v[16:17], v6
.LBB496_1626:
	s_mov_b64 s[0:1], 0
.LBB496_1627:
	s_andn2_b64 vcc, exec, s[0:1]
	s_cbranch_vccnz .LBB496_1633
; %bb.1628:
	s_cmp_gt_i32 s28, 0
	s_cbranch_scc0 .LBB496_1630
; %bb.1629:
	global_load_sbyte v6, v[4:5], off
	s_mov_b64 s[0:1], 0
	s_waitcnt vmcnt(0)
	v_cvt_f64_i32_e32 v[16:17], v6
	s_branch .LBB496_1631
.LBB496_1630:
	s_mov_b64 s[0:1], -1
                                        ; implicit-def: $vgpr16_vgpr17
.LBB496_1631:
	s_andn2_b64 vcc, exec, s[0:1]
	s_cbranch_vccnz .LBB496_1633
; %bb.1632:
	global_load_ubyte v4, v[4:5], off
	s_waitcnt vmcnt(0)
	v_cvt_f64_u32_e32 v[16:17], v4
.LBB496_1633:
	s_waitcnt vmcnt(0)
	v_mov_b64_e32 v[18:19], 0
.LBB496_1634:
	s_mov_b64 s[6:7], -1
.LBB496_1635:
	s_andn2_b64 vcc, exec, s[6:7]
	s_cbranch_vccnz .LBB496_1722
; %bb.1636:
	s_waitcnt vmcnt(0)
	v_cmp_o_f64_e32 vcc, v[16:17], v[16:17]
	v_mov_b64_e32 v[4:5], s[8:9]
	s_and_saveexec_b64 s[0:1], vcc
	s_cbranch_execz .LBB496_1640
; %bb.1637:
	s_mov_b32 s2, 0
	s_mov_b32 s3, 0x7ff00000
	v_cmp_neq_f64_e32 vcc, s[2:3], v[16:17]
	v_mov_b64_e32 v[4:5], s[10:11]
	s_and_saveexec_b64 s[2:3], vcc
; %bb.1638:
	s_mov_b32 s6, 0
	s_mov_b32 s7, 0xfff00000
	v_mov_b32_e32 v4, s15
	v_cmp_eq_f64_e32 vcc, s[6:7], v[16:17]
	s_nop 1
	v_cndmask_b32_e32 v5, v17, v4, vcc
	v_mov_b32_e32 v4, s14
	v_cndmask_b32_e32 v4, v16, v4, vcc
; %bb.1639:
	s_or_b64 exec, exec, s[2:3]
.LBB496_1640:
	s_or_b64 exec, exec, s[0:1]
	v_cmp_o_f64_e32 vcc, v[18:19], v[18:19]
	v_mov_b64_e32 v[6:7], s[8:9]
	s_and_saveexec_b64 s[0:1], vcc
	s_cbranch_execz .LBB496_1644
; %bb.1641:
	s_mov_b32 s2, 0
	s_mov_b32 s3, 0x7ff00000
	v_cmp_neq_f64_e32 vcc, s[2:3], v[18:19]
	v_mov_b64_e32 v[6:7], s[10:11]
	s_and_saveexec_b64 s[2:3], vcc
; %bb.1642:
	s_mov_b32 s6, 0
	s_mov_b32 s7, 0xfff00000
	v_mov_b32_e32 v6, s15
	v_cmp_eq_f64_e32 vcc, s[6:7], v[18:19]
	s_nop 1
	v_cndmask_b32_e32 v7, v19, v6, vcc
	v_mov_b32_e32 v6, s14
	v_cndmask_b32_e32 v6, v18, v6, vcc
; %bb.1643:
	s_or_b64 exec, exec, s[2:3]
.LBB496_1644:
	s_or_b64 exec, exec, s[0:1]
	v_mul_lo_u32 v16, s12, v20
	v_ashrrev_i32_e32 v17, 31, v16
	s_and_b32 s24, s33, 0xff
	s_cmp_lt_i32 s24, 11
	v_lshl_add_u64 v[18:19], s[4:5], 0, v[16:17]
	s_cbranch_scc1 .LBB496_1768
; %bb.1645:
	s_and_b32 s13, 0xffff, s24
	s_mov_b64 s[8:9], -1
	s_mov_b64 s[2:3], 0
	s_cmp_gt_i32 s13, 25
	s_mov_b64 s[6:7], 0
	s_mov_b64 s[0:1], 0
	s_cbranch_scc0 .LBB496_1678
; %bb.1646:
	s_cmp_gt_i32 s13, 28
	s_cbranch_scc0 .LBB496_1661
; %bb.1647:
	s_cmp_gt_i32 s13, 43
	;; [unrolled: 3-line block ×3, first 2 shown]
	s_cbranch_scc0 .LBB496_1651
; %bb.1649:
	s_mov_b64 s[0:1], -1
	s_mov_b64 s[8:9], 0
	s_cmp_eq_u32 s13, 46
	s_cbranch_scc0 .LBB496_1651
; %bb.1650:
	v_cvt_f32_f64_e32 v20, v[2:3]
	s_movk_i32 s0, 0x7fff
	v_bfe_u32 v22, v20, 16, 1
	v_cvt_f32_f64_e32 v17, v[0:1]
	v_add3_u32 v22, v20, v22, s0
	v_bfe_u32 v21, v17, 16, 1
	v_and_b32_e32 v22, 0xffff0000, v22
	v_mov_b32_e32 v23, 0x7fc00000
	v_cmp_o_f32_e32 vcc, v20, v20
	v_add3_u32 v21, v17, v21, s0
	s_mov_b64 s[0:1], 0
	v_cndmask_b32_e32 v20, v23, v22, vcc
	v_cmp_o_f32_e32 vcc, v17, v17
	v_mov_b32_e32 v17, 0x7fc0
	s_mov_b64 s[6:7], -1
	v_cndmask_b32_sdwa v17, v17, v21, vcc dst_sel:DWORD dst_unused:UNUSED_PAD src0_sel:DWORD src1_sel:WORD_1
	v_or_b32_e32 v17, v20, v17
	global_store_dword v[18:19], v17, off
.LBB496_1651:
	s_and_b64 vcc, exec, s[8:9]
	s_cbranch_vccz .LBB496_1656
; %bb.1652:
	s_cmp_eq_u32 s13, 44
	s_mov_b64 s[0:1], -1
	s_cbranch_scc0 .LBB496_1656
; %bb.1653:
	v_cvt_f32_f64_e32 v17, v[0:1]
	v_bfe_u32 v20, v17, 23, 8
	s_movk_i32 s0, 0xff
	v_cmp_ne_u32_e32 vcc, s0, v20
	v_mov_b32_e32 v21, 0xff
	s_and_saveexec_b64 s[6:7], vcc
; %bb.1654:
	s_mov_b32 s0, 0x3fffff
	v_lshrrev_b32_e32 v21, 23, v17
	v_and_b32_e32 v22, 0x400000, v17
	v_and_or_b32 v17, v17, s0, v20
	v_cmp_ne_u32_e32 vcc, 0, v22
	v_cmp_ne_u32_e64 s[0:1], 0, v17
	s_and_b64 s[0:1], vcc, s[0:1]
	s_nop 0
	v_cndmask_b32_e64 v17, 0, 1, s[0:1]
	v_add_u32_e32 v21, v21, v17
; %bb.1655:
	s_or_b64 exec, exec, s[6:7]
	s_mov_b64 s[0:1], 0
	s_mov_b64 s[6:7], -1
	global_store_byte v[18:19], v21, off
.LBB496_1656:
	s_mov_b64 s[8:9], 0
.LBB496_1657:
	s_and_b64 vcc, exec, s[8:9]
	s_cbranch_vccz .LBB496_1660
; %bb.1658:
	s_cmp_eq_u32 s13, 29
	s_mov_b64 s[0:1], -1
	s_cbranch_scc0 .LBB496_1660
; %bb.1659:
	v_trunc_f64_e32 v[20:21], v[0:1]
	s_movk_i32 s0, 0xffe0
	v_ldexp_f64 v[22:23], v[20:21], s0
	v_floor_f64_e32 v[22:23], v[22:23]
	v_fmac_f64_e32 v[20:21], 0xc1f00000, v[22:23]
	v_cvt_u32_f64_e32 v25, v[22:23]
	v_cvt_u32_f64_e32 v24, v[20:21]
	global_store_dwordx2 v[18:19], v[24:25], off
	s_mov_b64 s[0:1], 0
	s_mov_b64 s[6:7], -1
.LBB496_1660:
	s_mov_b64 s[8:9], 0
.LBB496_1661:
	s_and_b64 vcc, exec, s[8:9]
	s_cbranch_vccz .LBB496_1677
; %bb.1662:
	s_cmp_lt_i32 s13, 27
	s_mov_b64 s[6:7], -1
	s_cbranch_scc1 .LBB496_1668
; %bb.1663:
	s_cmp_gt_i32 s13, 27
	v_cvt_u32_f64_e32 v17, v[0:1]
	s_cbranch_scc0 .LBB496_1665
; %bb.1664:
	s_mov_b64 s[6:7], 0
	global_store_dword v[18:19], v17, off
.LBB496_1665:
	s_andn2_b64 vcc, exec, s[6:7]
	s_cbranch_vccnz .LBB496_1667
; %bb.1666:
	global_store_short v[18:19], v17, off
.LBB496_1667:
	s_mov_b64 s[6:7], 0
.LBB496_1668:
	s_andn2_b64 vcc, exec, s[6:7]
	s_cbranch_vccnz .LBB496_1676
; %bb.1669:
	v_cvt_f32_f64_e32 v17, v[0:1]
	v_and_b32_e32 v20, 0x7fffffff, v17
	s_mov_b32 s6, 0x43800000
	v_cmp_gt_u32_e32 vcc, s6, v20
	v_mov_b32_e32 v21, 0x80
	s_and_saveexec_b64 s[6:7], vcc
	s_cbranch_execz .LBB496_1675
; %bb.1670:
	s_mov_b32 s8, 0x3bffffff
	v_cmp_lt_u32_e32 vcc, s8, v20
	s_mov_b64 s[8:9], 0
                                        ; implicit-def: $vgpr20
	s_and_saveexec_b64 s[10:11], vcc
	s_xor_b64 s[10:11], exec, s[10:11]
	s_cbranch_execz .LBB496_2125
; %bb.1671:
	v_bfe_u32 v20, v17, 20, 1
	s_mov_b32 s14, 0x487ffff
	v_add3_u32 v20, v17, v20, s14
	s_mov_b64 s[8:9], exec
	v_lshrrev_b32_e32 v20, 20, v20
	s_andn2_saveexec_b64 s[10:11], s[10:11]
	s_cbranch_execnz .LBB496_2126
.LBB496_1672:
	s_or_b64 exec, exec, s[10:11]
	v_mov_b32_e32 v21, 0
	s_and_saveexec_b64 s[10:11], s[8:9]
.LBB496_1673:
	v_lshrrev_b32_e32 v17, 24, v17
	s_movk_i32 s8, 0x80
	v_and_or_b32 v21, v17, s8, v20
.LBB496_1674:
	s_or_b64 exec, exec, s[10:11]
.LBB496_1675:
	s_or_b64 exec, exec, s[6:7]
	global_store_byte v[18:19], v21, off
.LBB496_1676:
	s_mov_b64 s[6:7], -1
.LBB496_1677:
	s_mov_b64 s[8:9], 0
.LBB496_1678:
	s_and_b64 vcc, exec, s[8:9]
	s_cbranch_vccz .LBB496_1718
; %bb.1679:
	s_cmp_gt_i32 s13, 22
	s_mov_b64 s[2:3], -1
	s_cbranch_scc0 .LBB496_1711
; %bb.1680:
	s_cmp_lt_i32 s13, 24
	s_cbranch_scc1 .LBB496_1700
; %bb.1681:
	s_cmp_gt_i32 s13, 24
	s_cbranch_scc0 .LBB496_1689
; %bb.1682:
	v_cvt_f32_f64_e32 v17, v[0:1]
	v_and_b32_e32 v20, 0x7fffffff, v17
	s_mov_b32 s2, 0x47800000
	v_cmp_gt_u32_e32 vcc, s2, v20
	v_mov_b32_e32 v21, 0x80
	s_and_saveexec_b64 s[2:3], vcc
	s_cbranch_execz .LBB496_1688
; %bb.1683:
	s_mov_b32 s6, 0x37ffffff
	v_cmp_lt_u32_e32 vcc, s6, v20
	s_mov_b64 s[6:7], 0
                                        ; implicit-def: $vgpr20
	s_and_saveexec_b64 s[8:9], vcc
	s_xor_b64 s[8:9], exec, s[8:9]
	s_cbranch_execz .LBB496_2128
; %bb.1684:
	v_bfe_u32 v20, v17, 21, 1
	s_mov_b32 s10, 0x88fffff
	v_add3_u32 v20, v17, v20, s10
	s_mov_b64 s[6:7], exec
	v_lshrrev_b32_e32 v20, 21, v20
	s_andn2_saveexec_b64 s[8:9], s[8:9]
	s_cbranch_execnz .LBB496_2129
.LBB496_1685:
	s_or_b64 exec, exec, s[8:9]
	v_mov_b32_e32 v21, 0
	s_and_saveexec_b64 s[8:9], s[6:7]
.LBB496_1686:
	v_lshrrev_b32_e32 v17, 24, v17
	s_movk_i32 s6, 0x80
	v_and_or_b32 v21, v17, s6, v20
.LBB496_1687:
	s_or_b64 exec, exec, s[8:9]
.LBB496_1688:
	s_or_b64 exec, exec, s[2:3]
	s_mov_b64 s[2:3], 0
	global_store_byte v[18:19], v21, off
.LBB496_1689:
	s_and_b64 vcc, exec, s[2:3]
	s_cbranch_vccz .LBB496_1699
; %bb.1690:
	v_cvt_f32_f64_e32 v17, v[0:1]
	v_and_b32_e32 v21, 0x7fffffff, v17
	s_mov_b32 s2, 0x43f00000
	v_cmp_gt_u32_e32 vcc, s2, v21
                                        ; implicit-def: $vgpr20
	s_and_saveexec_b64 s[2:3], vcc
	s_xor_b64 s[2:3], exec, s[2:3]
	s_cbranch_execz .LBB496_1696
; %bb.1691:
	s_mov_b32 s6, 0x3c7fffff
	v_cmp_lt_u32_e32 vcc, s6, v21
                                        ; implicit-def: $vgpr20
	s_and_saveexec_b64 s[6:7], vcc
	s_xor_b64 s[6:7], exec, s[6:7]
; %bb.1692:
	v_bfe_u32 v20, v17, 20, 1
	s_mov_b32 s8, 0x407ffff
	v_add3_u32 v20, v17, v20, s8
	v_lshrrev_b32_e32 v21, 20, v20
	v_and_b32_e32 v20, 0xff00000, v20
	s_mov_b32 s8, 0x7f00000
	v_mov_b32_e32 v22, 0x7e
	v_cmp_ne_u32_e32 vcc, s8, v20
	s_nop 1
	v_cndmask_b32_e32 v20, v22, v21, vcc
; %bb.1693:
	s_andn2_saveexec_b64 s[6:7], s[6:7]
; %bb.1694:
	s_mov_b32 s8, 0x46800000
	v_add_f32_e64 v20, |v17|, s8
; %bb.1695:
	s_or_b64 exec, exec, s[6:7]
                                        ; implicit-def: $vgpr21
.LBB496_1696:
	s_andn2_saveexec_b64 s[2:3], s[2:3]
; %bb.1697:
	s_mov_b32 s6, 0x7f800000
	v_mov_b32_e32 v20, 0x7e
	v_mov_b32_e32 v22, 0x7f
	v_cmp_lt_u32_e32 vcc, s6, v21
	s_nop 1
	v_cndmask_b32_e32 v20, v20, v22, vcc
; %bb.1698:
	s_or_b64 exec, exec, s[2:3]
	v_lshrrev_b32_e32 v17, 24, v17
	s_movk_i32 s2, 0x80
	v_and_or_b32 v17, v17, s2, v20
	global_store_byte v[18:19], v17, off
.LBB496_1699:
	s_mov_b64 s[2:3], 0
.LBB496_1700:
	s_andn2_b64 vcc, exec, s[2:3]
	s_cbranch_vccnz .LBB496_1710
; %bb.1701:
	v_cvt_f32_f64_e32 v17, v[0:1]
	v_and_b32_e32 v21, 0x7fffffff, v17
	s_mov_b32 s2, 0x47800000
	v_cmp_gt_u32_e32 vcc, s2, v21
                                        ; implicit-def: $vgpr20
	s_and_saveexec_b64 s[2:3], vcc
	s_xor_b64 s[2:3], exec, s[2:3]
	s_cbranch_execz .LBB496_1707
; %bb.1702:
	s_mov_b32 s6, 0x387fffff
	v_cmp_lt_u32_e32 vcc, s6, v21
                                        ; implicit-def: $vgpr20
	s_and_saveexec_b64 s[6:7], vcc
	s_xor_b64 s[6:7], exec, s[6:7]
; %bb.1703:
	v_bfe_u32 v20, v17, 21, 1
	s_mov_b32 s8, 0x80fffff
	v_add3_u32 v20, v17, v20, s8
	v_lshrrev_b32_e32 v20, 21, v20
; %bb.1704:
	s_andn2_saveexec_b64 s[6:7], s[6:7]
; %bb.1705:
	s_mov_b32 s8, 0x43000000
	v_add_f32_e64 v20, |v17|, s8
; %bb.1706:
	s_or_b64 exec, exec, s[6:7]
                                        ; implicit-def: $vgpr21
.LBB496_1707:
	s_andn2_saveexec_b64 s[2:3], s[2:3]
; %bb.1708:
	s_mov_b32 s6, 0x7f800000
	v_mov_b32_e32 v20, 0x7c
	v_mov_b32_e32 v22, 0x7f
	v_cmp_lt_u32_e32 vcc, s6, v21
	s_nop 1
	v_cndmask_b32_e32 v20, v20, v22, vcc
; %bb.1709:
	s_or_b64 exec, exec, s[2:3]
	v_lshrrev_b32_e32 v17, 24, v17
	s_movk_i32 s2, 0x80
	v_and_or_b32 v17, v17, s2, v20
	global_store_byte v[18:19], v17, off
.LBB496_1710:
	s_mov_b64 s[2:3], 0
	s_mov_b64 s[6:7], -1
.LBB496_1711:
	s_andn2_b64 vcc, exec, s[2:3]
	s_mov_b64 s[2:3], 0
	s_cbranch_vccnz .LBB496_1718
; %bb.1712:
	s_cmp_gt_i32 s13, 14
	s_mov_b64 s[8:9], -1
	s_cbranch_scc0 .LBB496_1716
; %bb.1713:
	s_cmp_eq_u32 s13, 15
	s_mov_b64 s[0:1], -1
	s_cbranch_scc0 .LBB496_1715
; %bb.1714:
	v_cvt_f32_f64_e32 v17, v[0:1]
	v_bfe_u32 v20, v17, 16, 1
	s_movk_i32 s0, 0x7fff
	v_add3_u32 v20, v17, v20, s0
	v_cmp_o_f32_e32 vcc, v17, v17
	v_mov_b32_e32 v17, 0x7fc0
	s_mov_b64 s[0:1], 0
	v_cndmask_b32_sdwa v17, v17, v20, vcc dst_sel:DWORD dst_unused:UNUSED_PAD src0_sel:DWORD src1_sel:WORD_1
	global_store_short v[18:19], v17, off
	s_mov_b64 s[6:7], -1
.LBB496_1715:
	s_mov_b64 s[8:9], 0
.LBB496_1716:
	s_and_b64 vcc, exec, s[8:9]
	s_cbranch_vccz .LBB496_1718
; %bb.1717:
	s_cmp_lg_u32 s13, 11
	s_mov_b64 s[2:3], -1
	s_cselect_b64 s[0:1], -1, 0
.LBB496_1718:
	s_and_b64 vcc, exec, s[0:1]
	s_cbranch_vccnz .LBB496_2127
; %bb.1719:
	s_andn2_b64 vcc, exec, s[2:3]
	s_cbranch_vccnz .LBB496_1721
.LBB496_1720:
	v_cmp_neq_f64_e32 vcc, 0, v[0:1]
	v_cmp_neq_f64_e64 s[0:1], 0, v[2:3]
	s_or_b64 s[0:1], vcc, s[0:1]
	s_mov_b64 s[6:7], -1
	v_cndmask_b32_e64 v17, 0, 1, s[0:1]
	global_store_byte v[18:19], v17, off
.LBB496_1721:
	s_mov_b64 s[0:1], 0
	s_branch .LBB496_1769
.LBB496_1722:
	s_mov_b64 s[0:1], 0
                                        ; implicit-def: $sgpr24
                                        ; implicit-def: $vgpr0_vgpr1
                                        ; implicit-def: $vgpr6_vgpr7
.LBB496_1723:
	s_mov_b64 s[2:3], 0
.LBB496_1724:
	s_and_b64 s[22:23], s[0:1], exec
	s_andn2_b64 s[0:1], s[18:19], exec
	s_and_b64 s[4:5], s[20:21], exec
	s_and_b64 s[2:3], s[2:3], exec
	s_or_b64 s[18:19], s[0:1], s[4:5]
.LBB496_1725:
	s_or_b64 exec, exec, s[16:17]
	s_and_saveexec_b64 s[0:1], s[18:19]
	s_cbranch_execz .LBB496_1728
; %bb.1726:
	; divergent unreachable
	s_or_b64 exec, exec, s[0:1]
	s_and_saveexec_b64 s[0:1], s[2:3]
	s_xor_b64 s[2:3], exec, s[0:1]
	s_cbranch_execnz .LBB496_1729
.LBB496_1727:
	s_or_b64 exec, exec, s[2:3]
	s_and_saveexec_b64 s[0:1], s[22:23]
	s_cbranch_execnz .LBB496_1730
	s_branch .LBB496_1767
.LBB496_1728:
	s_or_b64 exec, exec, s[0:1]
	s_and_saveexec_b64 s[0:1], s[2:3]
	s_xor_b64 s[2:3], exec, s[0:1]
	s_cbranch_execz .LBB496_1727
.LBB496_1729:
	s_waitcnt vmcnt(0)
	v_cmp_neq_f64_e32 vcc, 0, v[4:5]
	v_cmp_neq_f64_e64 s[0:1], 0, v[6:7]
	s_or_b64 s[0:1], vcc, s[0:1]
	s_nop 0
	v_cndmask_b32_e64 v2, 0, 1, s[0:1]
	global_store_byte v[0:1], v2, off
	s_or_b64 exec, exec, s[2:3]
	s_and_saveexec_b64 s[0:1], s[22:23]
	s_cbranch_execz .LBB496_1767
.LBB496_1730:
	s_sext_i32_i16 s2, s24
	s_cmp_lt_i32 s2, 5
	s_mov_b64 s[0:1], -1
	s_cbranch_scc1 .LBB496_1751
; %bb.1731:
	s_cmp_lt_i32 s2, 8
	s_cbranch_scc1 .LBB496_1741
; %bb.1732:
	s_cmp_lt_i32 s2, 9
	s_cbranch_scc1 .LBB496_1738
; %bb.1733:
	s_cmp_gt_i32 s2, 9
	s_cbranch_scc0 .LBB496_1735
; %bb.1734:
	s_waitcnt vmcnt(0)
	global_store_dwordx4 v[0:1], v[4:7], off
	s_mov_b64 s[0:1], 0
.LBB496_1735:
	s_andn2_b64 vcc, exec, s[0:1]
	s_cbranch_vccnz .LBB496_1737
; %bb.1736:
	s_waitcnt vmcnt(0)
	v_cvt_f32_f64_e32 v3, v[6:7]
	v_cvt_f32_f64_e32 v2, v[4:5]
	global_store_dwordx2 v[0:1], v[2:3], off
.LBB496_1737:
	s_mov_b64 s[0:1], 0
.LBB496_1738:
	s_andn2_b64 vcc, exec, s[0:1]
	s_cbranch_vccnz .LBB496_1740
; %bb.1739:
	s_movk_i32 s0, 0x1ff
	s_waitcnt vmcnt(0)
	v_and_or_b32 v2, v5, s0, v4
	v_cmp_ne_u32_e32 vcc, 0, v2
	v_lshrrev_b32_e32 v3, 8, v5
	s_movk_i32 s1, 0xffe
	v_cndmask_b32_e64 v2, 0, 1, vcc
	v_bfe_u32 v8, v5, 20, 11
	v_and_or_b32 v2, v3, s1, v2
	v_sub_u32_e32 v9, 0x3f1, v8
	v_or_b32_e32 v3, 0x1000, v2
	v_med3_i32 v9, v9, 0, 13
	v_lshrrev_b32_e32 v10, v9, v3
	v_lshlrev_b32_e32 v9, v9, v10
	v_cmp_ne_u32_e32 vcc, v9, v3
	v_add_u32_e32 v8, 0xfffffc10, v8
	v_lshl_or_b32 v9, v8, 12, v2
	v_cndmask_b32_e64 v3, 0, 1, vcc
	v_or_b32_e32 v3, v10, v3
	v_cmp_gt_i32_e32 vcc, 1, v8
	s_movk_i32 s2, 0x40f
	v_and_or_b32 v6, v7, s0, v6
	v_cndmask_b32_e32 v3, v9, v3, vcc
	v_and_b32_e32 v9, 7, v3
	v_cmp_lt_i32_e32 vcc, 5, v9
	v_lshrrev_b32_e32 v3, 2, v3
	v_bfe_u32 v11, v7, 20, 11
	v_cndmask_b32_e64 v10, 0, 1, vcc
	v_cmp_eq_u32_e32 vcc, 3, v9
	v_sub_u32_e32 v12, 0x3f1, v11
	v_med3_i32 v12, v12, 0, 13
	v_cndmask_b32_e64 v9, 0, 1, vcc
	v_or_b32_e32 v9, v9, v10
	v_add_u32_e32 v3, v3, v9
	v_mov_b32_e32 v9, 0x7c00
	v_cmp_gt_i32_e32 vcc, 31, v8
	v_mov_b32_e32 v10, 0x7e00
	v_add_u32_e32 v11, 0xfffffc10, v11
	v_cndmask_b32_e32 v3, v9, v3, vcc
	v_cmp_ne_u32_e32 vcc, 0, v2
	s_mov_b32 s3, 0x8000
	s_mov_b32 s0, 0xffff
	v_cndmask_b32_e32 v2, v9, v10, vcc
	v_cmp_eq_u32_e32 vcc, s2, v8
	v_lshrrev_b32_e32 v8, 8, v7
	v_lshrrev_b32_e32 v7, 16, v7
	v_cndmask_b32_e32 v2, v3, v2, vcc
	v_cmp_ne_u32_e32 vcc, 0, v6
	v_and_b32_sdwa v3, v5, s3 dst_sel:DWORD dst_unused:UNUSED_PAD src0_sel:WORD_1 src1_sel:DWORD
	v_bitop3_b32 v2, v3, s0, v2 bitop3:0xc8
	v_cndmask_b32_e64 v6, 0, 1, vcc
	v_and_or_b32 v6, v8, s1, v6
	v_or_b32_e32 v8, 0x1000, v6
	v_lshrrev_b32_e32 v13, v12, v8
	v_lshlrev_b32_e32 v12, v12, v13
	v_cmp_ne_u32_e32 vcc, v12, v8
	v_lshl_or_b32 v12, v11, 12, v6
	s_nop 0
	v_cndmask_b32_e64 v8, 0, 1, vcc
	v_or_b32_e32 v8, v13, v8
	v_cmp_gt_i32_e32 vcc, 1, v11
	s_nop 1
	v_cndmask_b32_e32 v8, v12, v8, vcc
	v_and_b32_e32 v12, 7, v8
	v_cmp_lt_i32_e32 vcc, 5, v12
	v_lshrrev_b32_e32 v8, 2, v8
	s_nop 0
	v_cndmask_b32_e64 v13, 0, 1, vcc
	v_cmp_eq_u32_e32 vcc, 3, v12
	s_nop 1
	v_cndmask_b32_e64 v12, 0, 1, vcc
	v_or_b32_e32 v12, v12, v13
	v_add_u32_e32 v8, v8, v12
	v_cmp_gt_i32_e32 vcc, 31, v11
	s_nop 1
	v_cndmask_b32_e32 v8, v9, v8, vcc
	v_cmp_ne_u32_e32 vcc, 0, v6
	s_nop 1
	v_cndmask_b32_e32 v6, v9, v10, vcc
	v_cmp_eq_u32_e32 vcc, s2, v11
	s_nop 1
	v_cndmask_b32_e32 v6, v8, v6, vcc
	v_and_or_b32 v6, v7, s3, v6
	v_lshl_or_b32 v2, v6, 16, v2
	global_store_dword v[0:1], v2, off
.LBB496_1740:
	s_mov_b64 s[0:1], 0
.LBB496_1741:
	s_andn2_b64 vcc, exec, s[0:1]
	s_cbranch_vccnz .LBB496_1750
; %bb.1742:
	s_sext_i32_i16 s2, s24
	s_cmp_lt_i32 s2, 6
	s_mov_b64 s[0:1], -1
	s_cbranch_scc1 .LBB496_1748
; %bb.1743:
	s_cmp_gt_i32 s2, 6
	s_cbranch_scc0 .LBB496_1745
; %bb.1744:
	s_waitcnt vmcnt(0)
	global_store_dwordx2 v[0:1], v[4:5], off
	s_mov_b64 s[0:1], 0
.LBB496_1745:
	s_andn2_b64 vcc, exec, s[0:1]
	s_cbranch_vccnz .LBB496_1747
; %bb.1746:
	s_waitcnt vmcnt(0)
	v_cvt_f32_f64_e32 v2, v[4:5]
	global_store_dword v[0:1], v2, off
.LBB496_1747:
	s_mov_b64 s[0:1], 0
.LBB496_1748:
	s_andn2_b64 vcc, exec, s[0:1]
	s_cbranch_vccnz .LBB496_1750
; %bb.1749:
	s_movk_i32 s0, 0x1ff
	s_waitcnt vmcnt(0)
	v_and_or_b32 v2, v5, s0, v4
	v_cmp_ne_u32_e32 vcc, 0, v2
	v_lshrrev_b32_e32 v3, 8, v5
	s_movk_i32 s0, 0xffe
	v_cndmask_b32_e64 v2, 0, 1, vcc
	v_bfe_u32 v6, v5, 20, 11
	v_and_or_b32 v2, v3, s0, v2
	v_sub_u32_e32 v7, 0x3f1, v6
	v_or_b32_e32 v3, 0x1000, v2
	v_med3_i32 v7, v7, 0, 13
	v_lshrrev_b32_e32 v8, v7, v3
	v_lshlrev_b32_e32 v7, v7, v8
	v_cmp_ne_u32_e32 vcc, v7, v3
	v_add_u32_e32 v6, 0xfffffc10, v6
	v_lshl_or_b32 v7, v6, 12, v2
	v_cndmask_b32_e64 v3, 0, 1, vcc
	v_or_b32_e32 v3, v8, v3
	v_cmp_gt_i32_e32 vcc, 1, v6
	s_movk_i32 s0, 0x40f
	s_nop 0
	v_cndmask_b32_e32 v3, v7, v3, vcc
	v_and_b32_e32 v7, 7, v3
	v_cmp_lt_i32_e32 vcc, 5, v7
	v_lshrrev_b32_e32 v3, 2, v3
	s_nop 0
	v_cndmask_b32_e64 v8, 0, 1, vcc
	v_cmp_eq_u32_e32 vcc, 3, v7
	s_nop 1
	v_cndmask_b32_e64 v7, 0, 1, vcc
	v_or_b32_e32 v7, v7, v8
	v_add_u32_e32 v3, v3, v7
	v_mov_b32_e32 v7, 0x7c00
	v_cmp_gt_i32_e32 vcc, 31, v6
	v_mov_b32_e32 v8, 0x7e00
	s_nop 0
	v_cndmask_b32_e32 v3, v7, v3, vcc
	v_cmp_ne_u32_e32 vcc, 0, v2
	s_nop 1
	v_cndmask_b32_e32 v2, v7, v8, vcc
	v_cmp_eq_u32_e32 vcc, s0, v6
	s_mov_b32 s0, 0x8000
	s_nop 0
	v_cndmask_b32_e32 v2, v3, v2, vcc
	v_lshrrev_b32_e32 v3, 16, v5
	v_and_or_b32 v2, v3, s0, v2
	global_store_short v[0:1], v2, off
.LBB496_1750:
	s_mov_b64 s[0:1], 0
.LBB496_1751:
	s_andn2_b64 vcc, exec, s[0:1]
	s_cbranch_vccnz .LBB496_1767
; %bb.1752:
	s_sext_i32_i16 s2, s24
	s_cmp_lt_i32 s2, 2
	s_mov_b64 s[0:1], -1
	s_cbranch_scc1 .LBB496_1762
; %bb.1753:
	s_cmp_lt_i32 s2, 3
	s_cbranch_scc1 .LBB496_1759
; %bb.1754:
	s_cmp_gt_i32 s2, 3
	s_cbranch_scc0 .LBB496_1756
; %bb.1755:
	s_waitcnt vmcnt(0)
	v_trunc_f64_e32 v[2:3], v[4:5]
	s_movk_i32 s0, 0xffe0
	v_ldexp_f64 v[6:7], v[2:3], s0
	v_floor_f64_e32 v[6:7], v[6:7]
	v_fmac_f64_e32 v[2:3], 0xc1f00000, v[6:7]
	v_cvt_i32_f64_e32 v9, v[6:7]
	v_cvt_u32_f64_e32 v8, v[2:3]
	global_store_dwordx2 v[0:1], v[8:9], off
	s_mov_b64 s[0:1], 0
.LBB496_1756:
	s_andn2_b64 vcc, exec, s[0:1]
	s_cbranch_vccnz .LBB496_1758
; %bb.1757:
	s_waitcnt vmcnt(0)
	v_cvt_i32_f64_e32 v2, v[4:5]
	global_store_dword v[0:1], v2, off
.LBB496_1758:
	s_mov_b64 s[0:1], 0
.LBB496_1759:
	s_andn2_b64 vcc, exec, s[0:1]
	s_cbranch_vccnz .LBB496_1761
; %bb.1760:
	s_waitcnt vmcnt(0)
	v_cvt_i32_f64_e32 v2, v[4:5]
	global_store_short v[0:1], v2, off
.LBB496_1761:
	s_mov_b64 s[0:1], 0
.LBB496_1762:
	s_andn2_b64 vcc, exec, s[0:1]
	s_cbranch_vccnz .LBB496_1767
; %bb.1763:
	s_sext_i32_i16 s0, s24
	s_cmp_gt_i32 s0, 0
	s_mov_b64 s[0:1], -1
	s_cbranch_scc0 .LBB496_1765
; %bb.1764:
	s_waitcnt vmcnt(0)
	v_cvt_i32_f64_e32 v2, v[4:5]
	global_store_byte v[0:1], v2, off
	s_mov_b64 s[0:1], 0
.LBB496_1765:
	s_andn2_b64 vcc, exec, s[0:1]
	s_cbranch_vccnz .LBB496_1767
; %bb.1766:
	s_waitcnt vmcnt(0)
	v_trunc_f64_e32 v[2:3], v[4:5]
	s_movk_i32 s0, 0xffe0
	v_ldexp_f64 v[4:5], v[2:3], s0
	v_floor_f64_e32 v[4:5], v[4:5]
	v_fmac_f64_e32 v[2:3], 0xc1f00000, v[4:5]
	v_cvt_u32_f64_e32 v2, v[2:3]
	global_store_byte v[0:1], v2, off
	s_endpgm
.LBB496_1767:
	s_endpgm
.LBB496_1768:
	s_mov_b64 s[0:1], -1
	s_mov_b64 s[6:7], 0
.LBB496_1769:
	s_and_b64 vcc, exec, s[0:1]
	s_cbranch_vccz .LBB496_1808
; %bb.1770:
	s_and_b32 s2, 0xffff, s24
	s_cmp_lt_i32 s2, 5
	s_mov_b64 s[0:1], -1
	s_cbranch_scc1 .LBB496_1791
; %bb.1771:
	s_cmp_lt_i32 s2, 8
	s_cbranch_scc1 .LBB496_1781
; %bb.1772:
	s_cmp_lt_i32 s2, 9
	s_cbranch_scc1 .LBB496_1778
; %bb.1773:
	s_cmp_gt_i32 s2, 9
	s_cbranch_scc0 .LBB496_1775
; %bb.1774:
	global_store_dwordx4 v[18:19], v[0:3], off
	s_mov_b64 s[0:1], 0
.LBB496_1775:
	s_andn2_b64 vcc, exec, s[0:1]
	s_cbranch_vccnz .LBB496_1777
; %bb.1776:
	v_cvt_f32_f64_e32 v21, v[2:3]
	v_cvt_f32_f64_e32 v20, v[0:1]
	global_store_dwordx2 v[18:19], v[20:21], off
.LBB496_1777:
	s_mov_b64 s[0:1], 0
.LBB496_1778:
	s_andn2_b64 vcc, exec, s[0:1]
	s_cbranch_vccnz .LBB496_1780
; %bb.1779:
	s_movk_i32 s0, 0x1ff
	v_and_or_b32 v17, v1, s0, v0
	v_cmp_ne_u32_e32 vcc, 0, v17
	v_lshrrev_b32_e32 v20, 8, v1
	s_movk_i32 s1, 0xffe
	v_cndmask_b32_e64 v17, 0, 1, vcc
	v_bfe_u32 v21, v1, 20, 11
	v_and_or_b32 v17, v20, s1, v17
	v_sub_u32_e32 v22, 0x3f1, v21
	v_or_b32_e32 v20, 0x1000, v17
	v_med3_i32 v22, v22, 0, 13
	v_lshrrev_b32_e32 v23, v22, v20
	v_lshlrev_b32_e32 v22, v22, v23
	v_cmp_ne_u32_e32 vcc, v22, v20
	v_add_u32_e32 v21, 0xfffffc10, v21
	v_lshl_or_b32 v22, v21, 12, v17
	v_cndmask_b32_e64 v20, 0, 1, vcc
	v_or_b32_e32 v20, v23, v20
	v_cmp_gt_i32_e32 vcc, 1, v21
	s_movk_i32 s3, 0x40f
	v_and_or_b32 v2, v3, s0, v2
	v_cndmask_b32_e32 v20, v22, v20, vcc
	v_and_b32_e32 v22, 7, v20
	v_cmp_lt_i32_e32 vcc, 5, v22
	v_lshrrev_b32_e32 v20, 2, v20
	v_bfe_u32 v24, v3, 20, 11
	v_cndmask_b32_e64 v23, 0, 1, vcc
	v_cmp_eq_u32_e32 vcc, 3, v22
	v_sub_u32_e32 v25, 0x3f1, v24
	v_med3_i32 v25, v25, 0, 13
	v_cndmask_b32_e64 v22, 0, 1, vcc
	v_or_b32_e32 v22, v22, v23
	v_add_u32_e32 v20, v20, v22
	v_mov_b32_e32 v22, 0x7c00
	v_cmp_gt_i32_e32 vcc, 31, v21
	v_mov_b32_e32 v23, 0x7e00
	v_add_u32_e32 v24, 0xfffffc10, v24
	v_cndmask_b32_e32 v20, v22, v20, vcc
	v_cmp_ne_u32_e32 vcc, 0, v17
	s_mov_b32 s6, 0x8000
	s_mov_b32 s0, 0xffff
	v_cndmask_b32_e32 v17, v22, v23, vcc
	v_cmp_eq_u32_e32 vcc, s3, v21
	v_lshrrev_b32_e32 v21, 8, v3
	v_lshrrev_b32_e32 v3, 16, v3
	v_cndmask_b32_e32 v17, v20, v17, vcc
	v_cmp_ne_u32_e32 vcc, 0, v2
	v_and_b32_sdwa v20, v1, s6 dst_sel:DWORD dst_unused:UNUSED_PAD src0_sel:WORD_1 src1_sel:DWORD
	s_nop 0
	v_cndmask_b32_e64 v2, 0, 1, vcc
	v_and_or_b32 v2, v21, s1, v2
	v_or_b32_e32 v21, 0x1000, v2
	v_lshrrev_b32_e32 v26, v25, v21
	v_lshlrev_b32_e32 v25, v25, v26
	v_cmp_ne_u32_e32 vcc, v25, v21
	v_lshl_or_b32 v25, v24, 12, v2
	s_nop 0
	v_cndmask_b32_e64 v21, 0, 1, vcc
	v_or_b32_e32 v21, v26, v21
	v_cmp_gt_i32_e32 vcc, 1, v24
	s_nop 1
	v_cndmask_b32_e32 v21, v25, v21, vcc
	v_and_b32_e32 v25, 7, v21
	v_cmp_lt_i32_e32 vcc, 5, v25
	v_lshrrev_b32_e32 v21, 2, v21
	s_nop 0
	v_cndmask_b32_e64 v26, 0, 1, vcc
	v_cmp_eq_u32_e32 vcc, 3, v25
	s_nop 1
	v_cndmask_b32_e64 v25, 0, 1, vcc
	v_or_b32_e32 v25, v25, v26
	v_add_u32_e32 v21, v21, v25
	v_cmp_gt_i32_e32 vcc, 31, v24
	s_nop 1
	v_cndmask_b32_e32 v21, v22, v21, vcc
	v_cmp_ne_u32_e32 vcc, 0, v2
	s_nop 1
	v_cndmask_b32_e32 v2, v22, v23, vcc
	v_cmp_eq_u32_e32 vcc, s3, v24
	s_nop 1
	v_cndmask_b32_e32 v2, v21, v2, vcc
	v_and_or_b32 v2, v3, s6, v2
	v_bitop3_b32 v3, v20, s0, v17 bitop3:0xc8
	v_lshl_or_b32 v2, v2, 16, v3
	global_store_dword v[18:19], v2, off
.LBB496_1780:
	s_mov_b64 s[0:1], 0
.LBB496_1781:
	s_andn2_b64 vcc, exec, s[0:1]
	s_cbranch_vccnz .LBB496_1790
; %bb.1782:
	s_cmp_lt_i32 s2, 6
	s_mov_b64 s[0:1], -1
	s_cbranch_scc1 .LBB496_1788
; %bb.1783:
	s_cmp_gt_i32 s2, 6
	s_cbranch_scc0 .LBB496_1785
; %bb.1784:
	global_store_dwordx2 v[18:19], v[0:1], off
	s_mov_b64 s[0:1], 0
.LBB496_1785:
	s_andn2_b64 vcc, exec, s[0:1]
	s_cbranch_vccnz .LBB496_1787
; %bb.1786:
	v_cvt_f32_f64_e32 v2, v[0:1]
	global_store_dword v[18:19], v2, off
.LBB496_1787:
	s_mov_b64 s[0:1], 0
.LBB496_1788:
	s_andn2_b64 vcc, exec, s[0:1]
	s_cbranch_vccnz .LBB496_1790
; %bb.1789:
	s_movk_i32 s0, 0x1ff
	v_and_or_b32 v2, v1, s0, v0
	v_cmp_ne_u32_e32 vcc, 0, v2
	v_lshrrev_b32_e32 v3, 8, v1
	s_movk_i32 s0, 0xffe
	v_cndmask_b32_e64 v2, 0, 1, vcc
	v_bfe_u32 v17, v1, 20, 11
	v_and_or_b32 v2, v3, s0, v2
	v_sub_u32_e32 v20, 0x3f1, v17
	v_or_b32_e32 v3, 0x1000, v2
	v_med3_i32 v20, v20, 0, 13
	v_lshrrev_b32_e32 v21, v20, v3
	v_lshlrev_b32_e32 v20, v20, v21
	v_cmp_ne_u32_e32 vcc, v20, v3
	v_add_u32_e32 v17, 0xfffffc10, v17
	v_lshl_or_b32 v20, v17, 12, v2
	v_cndmask_b32_e64 v3, 0, 1, vcc
	v_or_b32_e32 v3, v21, v3
	v_cmp_gt_i32_e32 vcc, 1, v17
	s_movk_i32 s0, 0x40f
	s_nop 0
	v_cndmask_b32_e32 v3, v20, v3, vcc
	v_and_b32_e32 v20, 7, v3
	v_cmp_lt_i32_e32 vcc, 5, v20
	v_lshrrev_b32_e32 v3, 2, v3
	s_nop 0
	v_cndmask_b32_e64 v21, 0, 1, vcc
	v_cmp_eq_u32_e32 vcc, 3, v20
	s_nop 1
	v_cndmask_b32_e64 v20, 0, 1, vcc
	v_or_b32_e32 v20, v20, v21
	v_add_u32_e32 v3, v3, v20
	v_mov_b32_e32 v20, 0x7c00
	v_cmp_gt_i32_e32 vcc, 31, v17
	v_mov_b32_e32 v21, 0x7e00
	s_nop 0
	v_cndmask_b32_e32 v3, v20, v3, vcc
	v_cmp_ne_u32_e32 vcc, 0, v2
	s_nop 1
	v_cndmask_b32_e32 v2, v20, v21, vcc
	v_cmp_eq_u32_e32 vcc, s0, v17
	s_mov_b32 s0, 0x8000
	s_nop 0
	v_cndmask_b32_e32 v2, v3, v2, vcc
	v_lshrrev_b32_e32 v3, 16, v1
	v_and_or_b32 v2, v3, s0, v2
	global_store_short v[18:19], v2, off
.LBB496_1790:
	s_mov_b64 s[0:1], 0
.LBB496_1791:
	s_andn2_b64 vcc, exec, s[0:1]
	s_cbranch_vccnz .LBB496_1807
; %bb.1792:
	s_cmp_lt_i32 s2, 2
	s_mov_b64 s[0:1], -1
	s_cbranch_scc1 .LBB496_1802
; %bb.1793:
	s_cmp_lt_i32 s2, 3
	s_cbranch_scc1 .LBB496_1799
; %bb.1794:
	s_cmp_gt_i32 s2, 3
	s_cbranch_scc0 .LBB496_1796
; %bb.1795:
	v_trunc_f64_e32 v[2:3], v[0:1]
	s_movk_i32 s0, 0xffe0
	v_ldexp_f64 v[20:21], v[2:3], s0
	v_floor_f64_e32 v[20:21], v[20:21]
	v_fmac_f64_e32 v[2:3], 0xc1f00000, v[20:21]
	v_cvt_i32_f64_e32 v23, v[20:21]
	v_cvt_u32_f64_e32 v22, v[2:3]
	global_store_dwordx2 v[18:19], v[22:23], off
	s_mov_b64 s[0:1], 0
.LBB496_1796:
	s_andn2_b64 vcc, exec, s[0:1]
	s_cbranch_vccnz .LBB496_1798
; %bb.1797:
	v_cvt_i32_f64_e32 v2, v[0:1]
	global_store_dword v[18:19], v2, off
.LBB496_1798:
	s_mov_b64 s[0:1], 0
.LBB496_1799:
	s_andn2_b64 vcc, exec, s[0:1]
	s_cbranch_vccnz .LBB496_1801
; %bb.1800:
	v_cvt_i32_f64_e32 v2, v[0:1]
	global_store_short v[18:19], v2, off
.LBB496_1801:
	s_mov_b64 s[0:1], 0
.LBB496_1802:
	s_andn2_b64 vcc, exec, s[0:1]
	s_cbranch_vccnz .LBB496_1807
; %bb.1803:
	s_cmp_gt_i32 s2, 0
	s_mov_b64 s[0:1], -1
	s_cbranch_scc0 .LBB496_1805
; %bb.1804:
	v_cvt_i32_f64_e32 v2, v[0:1]
	global_store_byte v[18:19], v2, off
	s_mov_b64 s[0:1], 0
.LBB496_1805:
	s_andn2_b64 vcc, exec, s[0:1]
	s_cbranch_vccnz .LBB496_1807
; %bb.1806:
	v_trunc_f64_e32 v[0:1], v[0:1]
	s_movk_i32 s0, 0xffe0
	v_ldexp_f64 v[2:3], v[0:1], s0
	v_floor_f64_e32 v[2:3], v[2:3]
	v_fmac_f64_e32 v[0:1], 0xc1f00000, v[2:3]
	v_cvt_u32_f64_e32 v0, v[0:1]
	global_store_byte v[18:19], v0, off
.LBB496_1807:
	s_mov_b64 s[6:7], -1
.LBB496_1808:
	s_andn2_b64 vcc, exec, s[6:7]
	s_cbranch_vccnz .LBB496_2123
; %bb.1809:
	s_lshl_b32 s12, s12, 7
	v_add_u32_e32 v0, s12, v16
	v_ashrrev_i32_e32 v1, 31, v0
	s_cmp_lt_i32 s24, 11
	v_lshl_add_u64 v[2:3], s[4:5], 0, v[0:1]
	s_cbranch_scc1 .LBB496_1887
; %bb.1810:
	s_and_b32 s13, 0xffff, s24
	s_mov_b64 s[8:9], -1
	s_mov_b64 s[2:3], 0
	s_cmp_gt_i32 s13, 25
	s_mov_b64 s[6:7], 0
	s_mov_b64 s[0:1], 0
	s_cbranch_scc0 .LBB496_1843
; %bb.1811:
	s_cmp_gt_i32 s13, 28
	s_cbranch_scc0 .LBB496_1826
; %bb.1812:
	s_cmp_gt_i32 s13, 43
	;; [unrolled: 3-line block ×3, first 2 shown]
	s_cbranch_scc0 .LBB496_1816
; %bb.1814:
	s_mov_b64 s[0:1], -1
	s_mov_b64 s[8:9], 0
	s_cmp_eq_u32 s13, 46
	s_cbranch_scc0 .LBB496_1816
; %bb.1815:
	v_cvt_f32_f64_e32 v16, v[10:11]
	s_movk_i32 s0, 0x7fff
	v_bfe_u32 v18, v16, 16, 1
	v_cvt_f32_f64_e32 v1, v[8:9]
	v_add3_u32 v18, v16, v18, s0
	v_bfe_u32 v17, v1, 16, 1
	v_and_b32_e32 v18, 0xffff0000, v18
	v_mov_b32_e32 v19, 0x7fc00000
	v_cmp_o_f32_e32 vcc, v16, v16
	v_add3_u32 v17, v1, v17, s0
	s_mov_b64 s[0:1], 0
	v_cndmask_b32_e32 v16, v19, v18, vcc
	v_cmp_o_f32_e32 vcc, v1, v1
	v_mov_b32_e32 v1, 0x7fc0
	s_mov_b64 s[6:7], -1
	v_cndmask_b32_sdwa v1, v1, v17, vcc dst_sel:DWORD dst_unused:UNUSED_PAD src0_sel:DWORD src1_sel:WORD_1
	v_or_b32_e32 v1, v16, v1
	global_store_dword v[2:3], v1, off
.LBB496_1816:
	s_and_b64 vcc, exec, s[8:9]
	s_cbranch_vccz .LBB496_1821
; %bb.1817:
	s_cmp_eq_u32 s13, 44
	s_mov_b64 s[0:1], -1
	s_cbranch_scc0 .LBB496_1821
; %bb.1818:
	v_cvt_f32_f64_e32 v1, v[8:9]
	v_bfe_u32 v16, v1, 23, 8
	s_movk_i32 s0, 0xff
	v_cmp_ne_u32_e32 vcc, s0, v16
	v_mov_b32_e32 v17, 0xff
	s_and_saveexec_b64 s[6:7], vcc
; %bb.1819:
	s_mov_b32 s0, 0x3fffff
	v_lshrrev_b32_e32 v17, 23, v1
	v_and_b32_e32 v18, 0x400000, v1
	v_and_or_b32 v1, v1, s0, v16
	v_cmp_ne_u32_e32 vcc, 0, v18
	v_cmp_ne_u32_e64 s[0:1], 0, v1
	s_and_b64 s[0:1], vcc, s[0:1]
	s_nop 0
	v_cndmask_b32_e64 v1, 0, 1, s[0:1]
	v_add_u32_e32 v17, v17, v1
; %bb.1820:
	s_or_b64 exec, exec, s[6:7]
	s_mov_b64 s[0:1], 0
	s_mov_b64 s[6:7], -1
	global_store_byte v[2:3], v17, off
.LBB496_1821:
	s_mov_b64 s[8:9], 0
.LBB496_1822:
	s_and_b64 vcc, exec, s[8:9]
	s_cbranch_vccz .LBB496_1825
; %bb.1823:
	s_cmp_eq_u32 s13, 29
	s_mov_b64 s[0:1], -1
	s_cbranch_scc0 .LBB496_1825
; %bb.1824:
	v_trunc_f64_e32 v[16:17], v[8:9]
	s_movk_i32 s0, 0xffe0
	v_ldexp_f64 v[18:19], v[16:17], s0
	v_floor_f64_e32 v[18:19], v[18:19]
	v_fmac_f64_e32 v[16:17], 0xc1f00000, v[18:19]
	v_cvt_u32_f64_e32 v21, v[18:19]
	v_cvt_u32_f64_e32 v20, v[16:17]
	global_store_dwordx2 v[2:3], v[20:21], off
	s_mov_b64 s[0:1], 0
	s_mov_b64 s[6:7], -1
.LBB496_1825:
	s_mov_b64 s[8:9], 0
.LBB496_1826:
	s_and_b64 vcc, exec, s[8:9]
	s_cbranch_vccz .LBB496_1842
; %bb.1827:
	s_cmp_lt_i32 s13, 27
	s_mov_b64 s[6:7], -1
	s_cbranch_scc1 .LBB496_1833
; %bb.1828:
	s_cmp_gt_i32 s13, 27
	v_cvt_u32_f64_e32 v1, v[8:9]
	s_cbranch_scc0 .LBB496_1830
; %bb.1829:
	s_mov_b64 s[6:7], 0
	global_store_dword v[2:3], v1, off
.LBB496_1830:
	s_andn2_b64 vcc, exec, s[6:7]
	s_cbranch_vccnz .LBB496_1832
; %bb.1831:
	global_store_short v[2:3], v1, off
.LBB496_1832:
	s_mov_b64 s[6:7], 0
.LBB496_1833:
	s_andn2_b64 vcc, exec, s[6:7]
	s_cbranch_vccnz .LBB496_1841
; %bb.1834:
	v_cvt_f32_f64_e32 v1, v[8:9]
	v_and_b32_e32 v16, 0x7fffffff, v1
	s_mov_b32 s6, 0x43800000
	v_cmp_gt_u32_e32 vcc, s6, v16
	v_mov_b32_e32 v17, 0x80
	s_and_saveexec_b64 s[6:7], vcc
	s_cbranch_execz .LBB496_1840
; %bb.1835:
	s_mov_b32 s8, 0x3bffffff
	v_cmp_lt_u32_e32 vcc, s8, v16
	s_mov_b64 s[8:9], 0
                                        ; implicit-def: $vgpr16
	s_and_saveexec_b64 s[10:11], vcc
	s_xor_b64 s[10:11], exec, s[10:11]
	s_cbranch_execz .LBB496_2130
; %bb.1836:
	v_bfe_u32 v16, v1, 20, 1
	s_mov_b32 s14, 0x487ffff
	v_add3_u32 v16, v1, v16, s14
	s_mov_b64 s[8:9], exec
	v_lshrrev_b32_e32 v16, 20, v16
	s_andn2_saveexec_b64 s[10:11], s[10:11]
	s_cbranch_execnz .LBB496_2131
.LBB496_1837:
	s_or_b64 exec, exec, s[10:11]
	v_mov_b32_e32 v17, 0
	s_and_saveexec_b64 s[10:11], s[8:9]
.LBB496_1838:
	v_lshrrev_b32_e32 v1, 24, v1
	s_movk_i32 s8, 0x80
	v_and_or_b32 v17, v1, s8, v16
.LBB496_1839:
	s_or_b64 exec, exec, s[10:11]
.LBB496_1840:
	s_or_b64 exec, exec, s[6:7]
	global_store_byte v[2:3], v17, off
.LBB496_1841:
	s_mov_b64 s[6:7], -1
.LBB496_1842:
	s_mov_b64 s[8:9], 0
.LBB496_1843:
	s_and_b64 vcc, exec, s[8:9]
	s_cbranch_vccz .LBB496_1883
; %bb.1844:
	s_cmp_gt_i32 s13, 22
	s_mov_b64 s[2:3], -1
	s_cbranch_scc0 .LBB496_1876
; %bb.1845:
	s_cmp_lt_i32 s13, 24
	s_cbranch_scc1 .LBB496_1865
; %bb.1846:
	s_cmp_gt_i32 s13, 24
	s_cbranch_scc0 .LBB496_1854
; %bb.1847:
	v_cvt_f32_f64_e32 v1, v[8:9]
	v_and_b32_e32 v16, 0x7fffffff, v1
	s_mov_b32 s2, 0x47800000
	v_cmp_gt_u32_e32 vcc, s2, v16
	v_mov_b32_e32 v17, 0x80
	s_and_saveexec_b64 s[2:3], vcc
	s_cbranch_execz .LBB496_1853
; %bb.1848:
	s_mov_b32 s6, 0x37ffffff
	v_cmp_lt_u32_e32 vcc, s6, v16
	s_mov_b64 s[6:7], 0
                                        ; implicit-def: $vgpr16
	s_and_saveexec_b64 s[8:9], vcc
	s_xor_b64 s[8:9], exec, s[8:9]
	s_cbranch_execz .LBB496_2133
; %bb.1849:
	v_bfe_u32 v16, v1, 21, 1
	s_mov_b32 s10, 0x88fffff
	v_add3_u32 v16, v1, v16, s10
	s_mov_b64 s[6:7], exec
	v_lshrrev_b32_e32 v16, 21, v16
	s_andn2_saveexec_b64 s[8:9], s[8:9]
	s_cbranch_execnz .LBB496_2134
.LBB496_1850:
	s_or_b64 exec, exec, s[8:9]
	v_mov_b32_e32 v17, 0
	s_and_saveexec_b64 s[8:9], s[6:7]
.LBB496_1851:
	v_lshrrev_b32_e32 v1, 24, v1
	s_movk_i32 s6, 0x80
	v_and_or_b32 v17, v1, s6, v16
.LBB496_1852:
	s_or_b64 exec, exec, s[8:9]
.LBB496_1853:
	s_or_b64 exec, exec, s[2:3]
	s_mov_b64 s[2:3], 0
	global_store_byte v[2:3], v17, off
.LBB496_1854:
	s_and_b64 vcc, exec, s[2:3]
	s_cbranch_vccz .LBB496_1864
; %bb.1855:
	v_cvt_f32_f64_e32 v1, v[8:9]
	v_and_b32_e32 v17, 0x7fffffff, v1
	s_mov_b32 s2, 0x43f00000
	v_cmp_gt_u32_e32 vcc, s2, v17
                                        ; implicit-def: $vgpr16
	s_and_saveexec_b64 s[2:3], vcc
	s_xor_b64 s[2:3], exec, s[2:3]
	s_cbranch_execz .LBB496_1861
; %bb.1856:
	s_mov_b32 s6, 0x3c7fffff
	v_cmp_lt_u32_e32 vcc, s6, v17
                                        ; implicit-def: $vgpr16
	s_and_saveexec_b64 s[6:7], vcc
	s_xor_b64 s[6:7], exec, s[6:7]
; %bb.1857:
	v_bfe_u32 v16, v1, 20, 1
	s_mov_b32 s8, 0x407ffff
	v_add3_u32 v16, v1, v16, s8
	v_lshrrev_b32_e32 v17, 20, v16
	v_and_b32_e32 v16, 0xff00000, v16
	s_mov_b32 s8, 0x7f00000
	v_mov_b32_e32 v18, 0x7e
	v_cmp_ne_u32_e32 vcc, s8, v16
	s_nop 1
	v_cndmask_b32_e32 v16, v18, v17, vcc
; %bb.1858:
	s_andn2_saveexec_b64 s[6:7], s[6:7]
; %bb.1859:
	s_mov_b32 s8, 0x46800000
	v_add_f32_e64 v16, |v1|, s8
; %bb.1860:
	s_or_b64 exec, exec, s[6:7]
                                        ; implicit-def: $vgpr17
.LBB496_1861:
	s_andn2_saveexec_b64 s[2:3], s[2:3]
; %bb.1862:
	s_mov_b32 s6, 0x7f800000
	v_mov_b32_e32 v16, 0x7e
	v_mov_b32_e32 v18, 0x7f
	v_cmp_lt_u32_e32 vcc, s6, v17
	s_nop 1
	v_cndmask_b32_e32 v16, v16, v18, vcc
; %bb.1863:
	s_or_b64 exec, exec, s[2:3]
	v_lshrrev_b32_e32 v1, 24, v1
	s_movk_i32 s2, 0x80
	v_and_or_b32 v1, v1, s2, v16
	global_store_byte v[2:3], v1, off
.LBB496_1864:
	s_mov_b64 s[2:3], 0
.LBB496_1865:
	s_andn2_b64 vcc, exec, s[2:3]
	s_cbranch_vccnz .LBB496_1875
; %bb.1866:
	v_cvt_f32_f64_e32 v1, v[8:9]
	v_and_b32_e32 v17, 0x7fffffff, v1
	s_mov_b32 s2, 0x47800000
	v_cmp_gt_u32_e32 vcc, s2, v17
                                        ; implicit-def: $vgpr16
	s_and_saveexec_b64 s[2:3], vcc
	s_xor_b64 s[2:3], exec, s[2:3]
	s_cbranch_execz .LBB496_1872
; %bb.1867:
	s_mov_b32 s6, 0x387fffff
	v_cmp_lt_u32_e32 vcc, s6, v17
                                        ; implicit-def: $vgpr16
	s_and_saveexec_b64 s[6:7], vcc
	s_xor_b64 s[6:7], exec, s[6:7]
; %bb.1868:
	v_bfe_u32 v16, v1, 21, 1
	s_mov_b32 s8, 0x80fffff
	v_add3_u32 v16, v1, v16, s8
	v_lshrrev_b32_e32 v16, 21, v16
; %bb.1869:
	s_andn2_saveexec_b64 s[6:7], s[6:7]
; %bb.1870:
	s_mov_b32 s8, 0x43000000
	v_add_f32_e64 v16, |v1|, s8
; %bb.1871:
	s_or_b64 exec, exec, s[6:7]
                                        ; implicit-def: $vgpr17
.LBB496_1872:
	s_andn2_saveexec_b64 s[2:3], s[2:3]
; %bb.1873:
	s_mov_b32 s6, 0x7f800000
	v_mov_b32_e32 v16, 0x7c
	v_mov_b32_e32 v18, 0x7f
	v_cmp_lt_u32_e32 vcc, s6, v17
	s_nop 1
	v_cndmask_b32_e32 v16, v16, v18, vcc
; %bb.1874:
	s_or_b64 exec, exec, s[2:3]
	v_lshrrev_b32_e32 v1, 24, v1
	s_movk_i32 s2, 0x80
	v_and_or_b32 v1, v1, s2, v16
	global_store_byte v[2:3], v1, off
.LBB496_1875:
	s_mov_b64 s[2:3], 0
	s_mov_b64 s[6:7], -1
.LBB496_1876:
	s_andn2_b64 vcc, exec, s[2:3]
	s_mov_b64 s[2:3], 0
	s_cbranch_vccnz .LBB496_1883
; %bb.1877:
	s_cmp_gt_i32 s13, 14
	s_mov_b64 s[8:9], -1
	s_cbranch_scc0 .LBB496_1881
; %bb.1878:
	s_cmp_eq_u32 s13, 15
	s_mov_b64 s[0:1], -1
	s_cbranch_scc0 .LBB496_1880
; %bb.1879:
	v_cvt_f32_f64_e32 v1, v[8:9]
	v_bfe_u32 v16, v1, 16, 1
	s_movk_i32 s0, 0x7fff
	v_add3_u32 v16, v1, v16, s0
	v_cmp_o_f32_e32 vcc, v1, v1
	v_mov_b32_e32 v1, 0x7fc0
	s_mov_b64 s[0:1], 0
	v_cndmask_b32_sdwa v1, v1, v16, vcc dst_sel:DWORD dst_unused:UNUSED_PAD src0_sel:DWORD src1_sel:WORD_1
	global_store_short v[2:3], v1, off
	s_mov_b64 s[6:7], -1
.LBB496_1880:
	s_mov_b64 s[8:9], 0
.LBB496_1881:
	s_and_b64 vcc, exec, s[8:9]
	s_cbranch_vccz .LBB496_1883
; %bb.1882:
	s_cmp_lg_u32 s13, 11
	s_mov_b64 s[2:3], -1
	s_cselect_b64 s[0:1], -1, 0
.LBB496_1883:
	s_and_b64 vcc, exec, s[0:1]
	s_cbranch_vccnz .LBB496_2132
; %bb.1884:
	s_andn2_b64 vcc, exec, s[2:3]
	s_cbranch_vccnz .LBB496_1886
.LBB496_1885:
	v_cmp_neq_f64_e32 vcc, 0, v[8:9]
	v_cmp_neq_f64_e64 s[0:1], 0, v[10:11]
	s_or_b64 s[0:1], vcc, s[0:1]
	s_mov_b64 s[6:7], -1
	v_cndmask_b32_e64 v1, 0, 1, s[0:1]
	global_store_byte v[2:3], v1, off
.LBB496_1886:
	s_mov_b64 s[0:1], 0
	s_branch .LBB496_1888
.LBB496_1887:
	s_mov_b64 s[0:1], -1
	s_mov_b64 s[6:7], 0
.LBB496_1888:
	s_and_b64 vcc, exec, s[0:1]
	s_cbranch_vccz .LBB496_1927
; %bb.1889:
	s_and_b32 s2, 0xffff, s24
	s_cmp_lt_i32 s2, 5
	s_mov_b64 s[0:1], -1
	s_cbranch_scc1 .LBB496_1910
; %bb.1890:
	s_cmp_lt_i32 s2, 8
	s_cbranch_scc1 .LBB496_1900
; %bb.1891:
	s_cmp_lt_i32 s2, 9
	s_cbranch_scc1 .LBB496_1897
; %bb.1892:
	s_cmp_gt_i32 s2, 9
	s_cbranch_scc0 .LBB496_1894
; %bb.1893:
	global_store_dwordx4 v[2:3], v[8:11], off
	s_mov_b64 s[0:1], 0
.LBB496_1894:
	s_andn2_b64 vcc, exec, s[0:1]
	s_cbranch_vccnz .LBB496_1896
; %bb.1895:
	v_cvt_f32_f64_e32 v17, v[10:11]
	v_cvt_f32_f64_e32 v16, v[8:9]
	global_store_dwordx2 v[2:3], v[16:17], off
.LBB496_1896:
	s_mov_b64 s[0:1], 0
.LBB496_1897:
	s_andn2_b64 vcc, exec, s[0:1]
	s_cbranch_vccnz .LBB496_1899
; %bb.1898:
	s_movk_i32 s0, 0x1ff
	v_and_or_b32 v1, v9, s0, v8
	v_cmp_ne_u32_e32 vcc, 0, v1
	v_lshrrev_b32_e32 v16, 8, v9
	s_movk_i32 s1, 0xffe
	v_cndmask_b32_e64 v1, 0, 1, vcc
	v_bfe_u32 v17, v9, 20, 11
	v_and_or_b32 v1, v16, s1, v1
	v_sub_u32_e32 v18, 0x3f1, v17
	v_or_b32_e32 v16, 0x1000, v1
	v_med3_i32 v18, v18, 0, 13
	v_lshrrev_b32_e32 v19, v18, v16
	v_lshlrev_b32_e32 v18, v18, v19
	v_cmp_ne_u32_e32 vcc, v18, v16
	v_add_u32_e32 v17, 0xfffffc10, v17
	v_lshl_or_b32 v18, v17, 12, v1
	v_cndmask_b32_e64 v16, 0, 1, vcc
	v_or_b32_e32 v16, v19, v16
	v_cmp_gt_i32_e32 vcc, 1, v17
	s_movk_i32 s3, 0x40f
	v_and_or_b32 v10, v11, s0, v10
	v_cndmask_b32_e32 v16, v18, v16, vcc
	v_and_b32_e32 v18, 7, v16
	v_cmp_lt_i32_e32 vcc, 5, v18
	v_lshrrev_b32_e32 v16, 2, v16
	v_bfe_u32 v20, v11, 20, 11
	v_cndmask_b32_e64 v19, 0, 1, vcc
	v_cmp_eq_u32_e32 vcc, 3, v18
	v_sub_u32_e32 v21, 0x3f1, v20
	v_med3_i32 v21, v21, 0, 13
	v_cndmask_b32_e64 v18, 0, 1, vcc
	v_or_b32_e32 v18, v18, v19
	v_add_u32_e32 v16, v16, v18
	v_mov_b32_e32 v18, 0x7c00
	v_cmp_gt_i32_e32 vcc, 31, v17
	v_mov_b32_e32 v19, 0x7e00
	v_add_u32_e32 v20, 0xfffffc10, v20
	v_cndmask_b32_e32 v16, v18, v16, vcc
	v_cmp_ne_u32_e32 vcc, 0, v1
	s_mov_b32 s6, 0x8000
	s_mov_b32 s0, 0xffff
	v_cndmask_b32_e32 v1, v18, v19, vcc
	v_cmp_eq_u32_e32 vcc, s3, v17
	v_lshrrev_b32_e32 v17, 8, v11
	v_lshrrev_b32_e32 v11, 16, v11
	v_cndmask_b32_e32 v1, v16, v1, vcc
	v_cmp_ne_u32_e32 vcc, 0, v10
	v_and_b32_sdwa v16, v9, s6 dst_sel:DWORD dst_unused:UNUSED_PAD src0_sel:WORD_1 src1_sel:DWORD
	v_bitop3_b32 v1, v16, s0, v1 bitop3:0xc8
	v_cndmask_b32_e64 v10, 0, 1, vcc
	v_and_or_b32 v10, v17, s1, v10
	v_or_b32_e32 v17, 0x1000, v10
	v_lshrrev_b32_e32 v22, v21, v17
	v_lshlrev_b32_e32 v21, v21, v22
	v_cmp_ne_u32_e32 vcc, v21, v17
	v_lshl_or_b32 v21, v20, 12, v10
	s_nop 0
	v_cndmask_b32_e64 v17, 0, 1, vcc
	v_or_b32_e32 v17, v22, v17
	v_cmp_gt_i32_e32 vcc, 1, v20
	s_nop 1
	v_cndmask_b32_e32 v17, v21, v17, vcc
	v_and_b32_e32 v21, 7, v17
	v_cmp_lt_i32_e32 vcc, 5, v21
	v_lshrrev_b32_e32 v17, 2, v17
	s_nop 0
	v_cndmask_b32_e64 v22, 0, 1, vcc
	v_cmp_eq_u32_e32 vcc, 3, v21
	s_nop 1
	v_cndmask_b32_e64 v21, 0, 1, vcc
	v_or_b32_e32 v21, v21, v22
	v_add_u32_e32 v17, v17, v21
	v_cmp_gt_i32_e32 vcc, 31, v20
	s_nop 1
	v_cndmask_b32_e32 v17, v18, v17, vcc
	v_cmp_ne_u32_e32 vcc, 0, v10
	s_nop 1
	v_cndmask_b32_e32 v10, v18, v19, vcc
	v_cmp_eq_u32_e32 vcc, s3, v20
	s_nop 1
	v_cndmask_b32_e32 v10, v17, v10, vcc
	v_and_or_b32 v10, v11, s6, v10
	v_lshl_or_b32 v1, v10, 16, v1
	global_store_dword v[2:3], v1, off
.LBB496_1899:
	s_mov_b64 s[0:1], 0
.LBB496_1900:
	s_andn2_b64 vcc, exec, s[0:1]
	s_cbranch_vccnz .LBB496_1909
; %bb.1901:
	s_cmp_lt_i32 s2, 6
	s_mov_b64 s[0:1], -1
	s_cbranch_scc1 .LBB496_1907
; %bb.1902:
	s_cmp_gt_i32 s2, 6
	s_cbranch_scc0 .LBB496_1904
; %bb.1903:
	global_store_dwordx2 v[2:3], v[8:9], off
	s_mov_b64 s[0:1], 0
.LBB496_1904:
	s_andn2_b64 vcc, exec, s[0:1]
	s_cbranch_vccnz .LBB496_1906
; %bb.1905:
	v_cvt_f32_f64_e32 v1, v[8:9]
	global_store_dword v[2:3], v1, off
.LBB496_1906:
	s_mov_b64 s[0:1], 0
.LBB496_1907:
	s_andn2_b64 vcc, exec, s[0:1]
	s_cbranch_vccnz .LBB496_1909
; %bb.1908:
	s_movk_i32 s0, 0x1ff
	v_and_or_b32 v1, v9, s0, v8
	v_cmp_ne_u32_e32 vcc, 0, v1
	v_lshrrev_b32_e32 v10, 8, v9
	s_movk_i32 s0, 0xffe
	v_cndmask_b32_e64 v1, 0, 1, vcc
	v_bfe_u32 v11, v9, 20, 11
	v_and_or_b32 v1, v10, s0, v1
	v_sub_u32_e32 v16, 0x3f1, v11
	v_or_b32_e32 v10, 0x1000, v1
	v_med3_i32 v16, v16, 0, 13
	v_lshrrev_b32_e32 v17, v16, v10
	v_lshlrev_b32_e32 v16, v16, v17
	v_cmp_ne_u32_e32 vcc, v16, v10
	v_add_u32_e32 v11, 0xfffffc10, v11
	v_lshl_or_b32 v16, v11, 12, v1
	v_cndmask_b32_e64 v10, 0, 1, vcc
	v_or_b32_e32 v10, v17, v10
	v_cmp_gt_i32_e32 vcc, 1, v11
	s_movk_i32 s0, 0x40f
	s_nop 0
	v_cndmask_b32_e32 v10, v16, v10, vcc
	v_and_b32_e32 v16, 7, v10
	v_cmp_lt_i32_e32 vcc, 5, v16
	v_lshrrev_b32_e32 v10, 2, v10
	s_nop 0
	v_cndmask_b32_e64 v17, 0, 1, vcc
	v_cmp_eq_u32_e32 vcc, 3, v16
	s_nop 1
	v_cndmask_b32_e64 v16, 0, 1, vcc
	v_or_b32_e32 v16, v16, v17
	v_add_u32_e32 v10, v10, v16
	v_mov_b32_e32 v16, 0x7c00
	v_cmp_gt_i32_e32 vcc, 31, v11
	v_mov_b32_e32 v17, 0x7e00
	s_nop 0
	v_cndmask_b32_e32 v10, v16, v10, vcc
	v_cmp_ne_u32_e32 vcc, 0, v1
	s_nop 1
	v_cndmask_b32_e32 v1, v16, v17, vcc
	v_cmp_eq_u32_e32 vcc, s0, v11
	s_mov_b32 s0, 0x8000
	s_nop 0
	v_cndmask_b32_e32 v1, v10, v1, vcc
	v_lshrrev_b32_e32 v10, 16, v9
	v_and_or_b32 v1, v10, s0, v1
	global_store_short v[2:3], v1, off
.LBB496_1909:
	s_mov_b64 s[0:1], 0
.LBB496_1910:
	s_andn2_b64 vcc, exec, s[0:1]
	s_cbranch_vccnz .LBB496_1926
; %bb.1911:
	s_cmp_lt_i32 s2, 2
	s_mov_b64 s[0:1], -1
	s_cbranch_scc1 .LBB496_1921
; %bb.1912:
	s_cmp_lt_i32 s2, 3
	s_cbranch_scc1 .LBB496_1918
; %bb.1913:
	s_cmp_gt_i32 s2, 3
	s_cbranch_scc0 .LBB496_1915
; %bb.1914:
	v_trunc_f64_e32 v[10:11], v[8:9]
	s_movk_i32 s0, 0xffe0
	v_ldexp_f64 v[16:17], v[10:11], s0
	v_floor_f64_e32 v[16:17], v[16:17]
	v_fmac_f64_e32 v[10:11], 0xc1f00000, v[16:17]
	v_cvt_i32_f64_e32 v19, v[16:17]
	v_cvt_u32_f64_e32 v18, v[10:11]
	global_store_dwordx2 v[2:3], v[18:19], off
	s_mov_b64 s[0:1], 0
.LBB496_1915:
	s_andn2_b64 vcc, exec, s[0:1]
	s_cbranch_vccnz .LBB496_1917
; %bb.1916:
	v_cvt_i32_f64_e32 v1, v[8:9]
	global_store_dword v[2:3], v1, off
.LBB496_1917:
	s_mov_b64 s[0:1], 0
.LBB496_1918:
	s_andn2_b64 vcc, exec, s[0:1]
	s_cbranch_vccnz .LBB496_1920
; %bb.1919:
	v_cvt_i32_f64_e32 v1, v[8:9]
	global_store_short v[2:3], v1, off
.LBB496_1920:
	s_mov_b64 s[0:1], 0
.LBB496_1921:
	s_andn2_b64 vcc, exec, s[0:1]
	s_cbranch_vccnz .LBB496_1926
; %bb.1922:
	s_cmp_gt_i32 s2, 0
	s_mov_b64 s[0:1], -1
	s_cbranch_scc0 .LBB496_1924
; %bb.1923:
	v_cvt_i32_f64_e32 v1, v[8:9]
	global_store_byte v[2:3], v1, off
	s_mov_b64 s[0:1], 0
.LBB496_1924:
	s_andn2_b64 vcc, exec, s[0:1]
	s_cbranch_vccnz .LBB496_1926
; %bb.1925:
	v_trunc_f64_e32 v[8:9], v[8:9]
	s_movk_i32 s0, 0xffe0
	v_ldexp_f64 v[10:11], v[8:9], s0
	v_floor_f64_e32 v[10:11], v[10:11]
	v_fmac_f64_e32 v[8:9], 0xc1f00000, v[10:11]
	v_cvt_u32_f64_e32 v1, v[8:9]
	global_store_byte v[2:3], v1, off
.LBB496_1926:
	s_mov_b64 s[6:7], -1
.LBB496_1927:
	s_andn2_b64 vcc, exec, s[6:7]
	s_cbranch_vccnz .LBB496_2123
; %bb.1928:
	v_add_u32_e32 v0, s12, v0
	v_ashrrev_i32_e32 v1, 31, v0
	s_cmp_lt_i32 s24, 11
	v_lshl_add_u64 v[2:3], s[4:5], 0, v[0:1]
	s_cbranch_scc1 .LBB496_2006
; %bb.1929:
	s_and_b32 s13, 0xffff, s24
	s_mov_b64 s[8:9], -1
	s_mov_b64 s[2:3], 0
	s_cmp_gt_i32 s13, 25
	s_mov_b64 s[6:7], 0
	s_mov_b64 s[0:1], 0
	s_cbranch_scc0 .LBB496_1962
; %bb.1930:
	s_cmp_gt_i32 s13, 28
	s_cbranch_scc0 .LBB496_1945
; %bb.1931:
	s_cmp_gt_i32 s13, 43
	;; [unrolled: 3-line block ×3, first 2 shown]
	s_cbranch_scc0 .LBB496_1935
; %bb.1933:
	s_mov_b64 s[0:1], -1
	s_mov_b64 s[8:9], 0
	s_cmp_eq_u32 s13, 46
	s_cbranch_scc0 .LBB496_1935
; %bb.1934:
	v_cvt_f32_f64_e32 v8, v[14:15]
	s_movk_i32 s0, 0x7fff
	v_bfe_u32 v10, v8, 16, 1
	v_cvt_f32_f64_e32 v1, v[12:13]
	v_add3_u32 v10, v8, v10, s0
	v_bfe_u32 v9, v1, 16, 1
	v_and_b32_e32 v10, 0xffff0000, v10
	v_mov_b32_e32 v11, 0x7fc00000
	v_cmp_o_f32_e32 vcc, v8, v8
	v_add3_u32 v9, v1, v9, s0
	s_mov_b64 s[0:1], 0
	v_cndmask_b32_e32 v8, v11, v10, vcc
	v_cmp_o_f32_e32 vcc, v1, v1
	v_mov_b32_e32 v1, 0x7fc0
	s_mov_b64 s[6:7], -1
	v_cndmask_b32_sdwa v1, v1, v9, vcc dst_sel:DWORD dst_unused:UNUSED_PAD src0_sel:DWORD src1_sel:WORD_1
	v_or_b32_e32 v1, v8, v1
	global_store_dword v[2:3], v1, off
.LBB496_1935:
	s_and_b64 vcc, exec, s[8:9]
	s_cbranch_vccz .LBB496_1940
; %bb.1936:
	s_cmp_eq_u32 s13, 44
	s_mov_b64 s[0:1], -1
	s_cbranch_scc0 .LBB496_1940
; %bb.1937:
	v_cvt_f32_f64_e32 v1, v[12:13]
	v_bfe_u32 v8, v1, 23, 8
	s_movk_i32 s0, 0xff
	v_cmp_ne_u32_e32 vcc, s0, v8
	v_mov_b32_e32 v9, 0xff
	s_and_saveexec_b64 s[6:7], vcc
; %bb.1938:
	s_mov_b32 s0, 0x3fffff
	v_lshrrev_b32_e32 v9, 23, v1
	v_and_b32_e32 v10, 0x400000, v1
	v_and_or_b32 v1, v1, s0, v8
	v_cmp_ne_u32_e32 vcc, 0, v10
	v_cmp_ne_u32_e64 s[0:1], 0, v1
	s_and_b64 s[0:1], vcc, s[0:1]
	s_nop 0
	v_cndmask_b32_e64 v1, 0, 1, s[0:1]
	v_add_u32_e32 v9, v9, v1
; %bb.1939:
	s_or_b64 exec, exec, s[6:7]
	s_mov_b64 s[0:1], 0
	s_mov_b64 s[6:7], -1
	global_store_byte v[2:3], v9, off
.LBB496_1940:
	s_mov_b64 s[8:9], 0
.LBB496_1941:
	s_and_b64 vcc, exec, s[8:9]
	s_cbranch_vccz .LBB496_1944
; %bb.1942:
	s_cmp_eq_u32 s13, 29
	s_mov_b64 s[0:1], -1
	s_cbranch_scc0 .LBB496_1944
; %bb.1943:
	v_trunc_f64_e32 v[8:9], v[12:13]
	s_movk_i32 s0, 0xffe0
	v_ldexp_f64 v[10:11], v[8:9], s0
	v_floor_f64_e32 v[10:11], v[10:11]
	v_fmac_f64_e32 v[8:9], 0xc1f00000, v[10:11]
	v_cvt_u32_f64_e32 v17, v[10:11]
	v_cvt_u32_f64_e32 v16, v[8:9]
	global_store_dwordx2 v[2:3], v[16:17], off
	s_mov_b64 s[0:1], 0
	s_mov_b64 s[6:7], -1
.LBB496_1944:
	s_mov_b64 s[8:9], 0
.LBB496_1945:
	s_and_b64 vcc, exec, s[8:9]
	s_cbranch_vccz .LBB496_1961
; %bb.1946:
	s_cmp_lt_i32 s13, 27
	s_mov_b64 s[6:7], -1
	s_cbranch_scc1 .LBB496_1952
; %bb.1947:
	s_cmp_gt_i32 s13, 27
	v_cvt_u32_f64_e32 v1, v[12:13]
	s_cbranch_scc0 .LBB496_1949
; %bb.1948:
	s_mov_b64 s[6:7], 0
	global_store_dword v[2:3], v1, off
.LBB496_1949:
	s_andn2_b64 vcc, exec, s[6:7]
	s_cbranch_vccnz .LBB496_1951
; %bb.1950:
	global_store_short v[2:3], v1, off
.LBB496_1951:
	s_mov_b64 s[6:7], 0
.LBB496_1952:
	s_andn2_b64 vcc, exec, s[6:7]
	s_cbranch_vccnz .LBB496_1960
; %bb.1953:
	v_cvt_f32_f64_e32 v1, v[12:13]
	v_and_b32_e32 v8, 0x7fffffff, v1
	s_mov_b32 s6, 0x43800000
	v_cmp_gt_u32_e32 vcc, s6, v8
	v_mov_b32_e32 v9, 0x80
	s_and_saveexec_b64 s[6:7], vcc
	s_cbranch_execz .LBB496_1959
; %bb.1954:
	s_mov_b32 s8, 0x3bffffff
	v_cmp_lt_u32_e32 vcc, s8, v8
	s_mov_b64 s[8:9], 0
                                        ; implicit-def: $vgpr8
	s_and_saveexec_b64 s[10:11], vcc
	s_xor_b64 s[10:11], exec, s[10:11]
	s_cbranch_execz .LBB496_2135
; %bb.1955:
	v_bfe_u32 v8, v1, 20, 1
	s_mov_b32 s14, 0x487ffff
	v_add3_u32 v8, v1, v8, s14
	s_mov_b64 s[8:9], exec
	v_lshrrev_b32_e32 v8, 20, v8
	s_andn2_saveexec_b64 s[10:11], s[10:11]
	s_cbranch_execnz .LBB496_2136
.LBB496_1956:
	s_or_b64 exec, exec, s[10:11]
	v_mov_b32_e32 v9, 0
	s_and_saveexec_b64 s[10:11], s[8:9]
.LBB496_1957:
	v_lshrrev_b32_e32 v1, 24, v1
	s_movk_i32 s8, 0x80
	v_and_or_b32 v9, v1, s8, v8
.LBB496_1958:
	s_or_b64 exec, exec, s[10:11]
.LBB496_1959:
	s_or_b64 exec, exec, s[6:7]
	global_store_byte v[2:3], v9, off
.LBB496_1960:
	s_mov_b64 s[6:7], -1
.LBB496_1961:
	s_mov_b64 s[8:9], 0
.LBB496_1962:
	s_and_b64 vcc, exec, s[8:9]
	s_cbranch_vccz .LBB496_2002
; %bb.1963:
	s_cmp_gt_i32 s13, 22
	s_mov_b64 s[2:3], -1
	s_cbranch_scc0 .LBB496_1995
; %bb.1964:
	s_cmp_lt_i32 s13, 24
	s_cbranch_scc1 .LBB496_1984
; %bb.1965:
	s_cmp_gt_i32 s13, 24
	s_cbranch_scc0 .LBB496_1973
; %bb.1966:
	v_cvt_f32_f64_e32 v1, v[12:13]
	v_and_b32_e32 v8, 0x7fffffff, v1
	s_mov_b32 s2, 0x47800000
	v_cmp_gt_u32_e32 vcc, s2, v8
	v_mov_b32_e32 v9, 0x80
	s_and_saveexec_b64 s[2:3], vcc
	s_cbranch_execz .LBB496_1972
; %bb.1967:
	s_mov_b32 s6, 0x37ffffff
	v_cmp_lt_u32_e32 vcc, s6, v8
	s_mov_b64 s[6:7], 0
                                        ; implicit-def: $vgpr8
	s_and_saveexec_b64 s[8:9], vcc
	s_xor_b64 s[8:9], exec, s[8:9]
	s_cbranch_execz .LBB496_2138
; %bb.1968:
	v_bfe_u32 v8, v1, 21, 1
	s_mov_b32 s10, 0x88fffff
	v_add3_u32 v8, v1, v8, s10
	s_mov_b64 s[6:7], exec
	v_lshrrev_b32_e32 v8, 21, v8
	s_andn2_saveexec_b64 s[8:9], s[8:9]
	s_cbranch_execnz .LBB496_2139
.LBB496_1969:
	s_or_b64 exec, exec, s[8:9]
	v_mov_b32_e32 v9, 0
	s_and_saveexec_b64 s[8:9], s[6:7]
.LBB496_1970:
	v_lshrrev_b32_e32 v1, 24, v1
	s_movk_i32 s6, 0x80
	v_and_or_b32 v9, v1, s6, v8
.LBB496_1971:
	s_or_b64 exec, exec, s[8:9]
.LBB496_1972:
	s_or_b64 exec, exec, s[2:3]
	s_mov_b64 s[2:3], 0
	global_store_byte v[2:3], v9, off
.LBB496_1973:
	s_and_b64 vcc, exec, s[2:3]
	s_cbranch_vccz .LBB496_1983
; %bb.1974:
	v_cvt_f32_f64_e32 v1, v[12:13]
	v_and_b32_e32 v9, 0x7fffffff, v1
	s_mov_b32 s2, 0x43f00000
	v_cmp_gt_u32_e32 vcc, s2, v9
                                        ; implicit-def: $vgpr8
	s_and_saveexec_b64 s[2:3], vcc
	s_xor_b64 s[2:3], exec, s[2:3]
	s_cbranch_execz .LBB496_1980
; %bb.1975:
	s_mov_b32 s6, 0x3c7fffff
	v_cmp_lt_u32_e32 vcc, s6, v9
                                        ; implicit-def: $vgpr8
	s_and_saveexec_b64 s[6:7], vcc
	s_xor_b64 s[6:7], exec, s[6:7]
; %bb.1976:
	v_bfe_u32 v8, v1, 20, 1
	s_mov_b32 s8, 0x407ffff
	v_add3_u32 v8, v1, v8, s8
	v_lshrrev_b32_e32 v9, 20, v8
	v_and_b32_e32 v8, 0xff00000, v8
	s_mov_b32 s8, 0x7f00000
	v_mov_b32_e32 v10, 0x7e
	v_cmp_ne_u32_e32 vcc, s8, v8
	s_nop 1
	v_cndmask_b32_e32 v8, v10, v9, vcc
; %bb.1977:
	s_andn2_saveexec_b64 s[6:7], s[6:7]
; %bb.1978:
	s_mov_b32 s8, 0x46800000
	v_add_f32_e64 v8, |v1|, s8
; %bb.1979:
	s_or_b64 exec, exec, s[6:7]
                                        ; implicit-def: $vgpr9
.LBB496_1980:
	s_andn2_saveexec_b64 s[2:3], s[2:3]
; %bb.1981:
	s_mov_b32 s6, 0x7f800000
	v_mov_b32_e32 v8, 0x7e
	v_mov_b32_e32 v10, 0x7f
	v_cmp_lt_u32_e32 vcc, s6, v9
	s_nop 1
	v_cndmask_b32_e32 v8, v8, v10, vcc
; %bb.1982:
	s_or_b64 exec, exec, s[2:3]
	v_lshrrev_b32_e32 v1, 24, v1
	s_movk_i32 s2, 0x80
	v_and_or_b32 v1, v1, s2, v8
	global_store_byte v[2:3], v1, off
.LBB496_1983:
	s_mov_b64 s[2:3], 0
.LBB496_1984:
	s_andn2_b64 vcc, exec, s[2:3]
	s_cbranch_vccnz .LBB496_1994
; %bb.1985:
	v_cvt_f32_f64_e32 v1, v[12:13]
	v_and_b32_e32 v9, 0x7fffffff, v1
	s_mov_b32 s2, 0x47800000
	v_cmp_gt_u32_e32 vcc, s2, v9
                                        ; implicit-def: $vgpr8
	s_and_saveexec_b64 s[2:3], vcc
	s_xor_b64 s[2:3], exec, s[2:3]
	s_cbranch_execz .LBB496_1991
; %bb.1986:
	s_mov_b32 s6, 0x387fffff
	v_cmp_lt_u32_e32 vcc, s6, v9
                                        ; implicit-def: $vgpr8
	s_and_saveexec_b64 s[6:7], vcc
	s_xor_b64 s[6:7], exec, s[6:7]
; %bb.1987:
	v_bfe_u32 v8, v1, 21, 1
	s_mov_b32 s8, 0x80fffff
	v_add3_u32 v8, v1, v8, s8
	v_lshrrev_b32_e32 v8, 21, v8
; %bb.1988:
	s_andn2_saveexec_b64 s[6:7], s[6:7]
; %bb.1989:
	s_mov_b32 s8, 0x43000000
	v_add_f32_e64 v8, |v1|, s8
; %bb.1990:
	s_or_b64 exec, exec, s[6:7]
                                        ; implicit-def: $vgpr9
.LBB496_1991:
	s_andn2_saveexec_b64 s[2:3], s[2:3]
; %bb.1992:
	s_mov_b32 s6, 0x7f800000
	v_mov_b32_e32 v8, 0x7c
	v_mov_b32_e32 v10, 0x7f
	v_cmp_lt_u32_e32 vcc, s6, v9
	s_nop 1
	v_cndmask_b32_e32 v8, v8, v10, vcc
; %bb.1993:
	s_or_b64 exec, exec, s[2:3]
	v_lshrrev_b32_e32 v1, 24, v1
	s_movk_i32 s2, 0x80
	v_and_or_b32 v1, v1, s2, v8
	global_store_byte v[2:3], v1, off
.LBB496_1994:
	s_mov_b64 s[2:3], 0
	s_mov_b64 s[6:7], -1
.LBB496_1995:
	s_andn2_b64 vcc, exec, s[2:3]
	s_mov_b64 s[2:3], 0
	s_cbranch_vccnz .LBB496_2002
; %bb.1996:
	s_cmp_gt_i32 s13, 14
	s_mov_b64 s[8:9], -1
	s_cbranch_scc0 .LBB496_2000
; %bb.1997:
	s_cmp_eq_u32 s13, 15
	s_mov_b64 s[0:1], -1
	s_cbranch_scc0 .LBB496_1999
; %bb.1998:
	v_cvt_f32_f64_e32 v1, v[12:13]
	v_bfe_u32 v8, v1, 16, 1
	s_movk_i32 s0, 0x7fff
	v_add3_u32 v8, v1, v8, s0
	v_cmp_o_f32_e32 vcc, v1, v1
	v_mov_b32_e32 v1, 0x7fc0
	s_mov_b64 s[0:1], 0
	v_cndmask_b32_sdwa v1, v1, v8, vcc dst_sel:DWORD dst_unused:UNUSED_PAD src0_sel:DWORD src1_sel:WORD_1
	global_store_short v[2:3], v1, off
	s_mov_b64 s[6:7], -1
.LBB496_1999:
	s_mov_b64 s[8:9], 0
.LBB496_2000:
	s_and_b64 vcc, exec, s[8:9]
	s_cbranch_vccz .LBB496_2002
; %bb.2001:
	s_cmp_lg_u32 s13, 11
	s_mov_b64 s[2:3], -1
	s_cselect_b64 s[0:1], -1, 0
.LBB496_2002:
	s_and_b64 vcc, exec, s[0:1]
	s_cbranch_vccnz .LBB496_2137
; %bb.2003:
	s_andn2_b64 vcc, exec, s[2:3]
	s_cbranch_vccnz .LBB496_2005
.LBB496_2004:
	v_cmp_neq_f64_e32 vcc, 0, v[12:13]
	v_cmp_neq_f64_e64 s[0:1], 0, v[14:15]
	s_or_b64 s[0:1], vcc, s[0:1]
	s_mov_b64 s[6:7], -1
	v_cndmask_b32_e64 v1, 0, 1, s[0:1]
	global_store_byte v[2:3], v1, off
.LBB496_2005:
	s_mov_b64 s[0:1], 0
	s_branch .LBB496_2007
.LBB496_2006:
	s_mov_b64 s[0:1], -1
	s_mov_b64 s[6:7], 0
.LBB496_2007:
	s_and_b64 vcc, exec, s[0:1]
	s_cbranch_vccz .LBB496_2046
; %bb.2008:
	s_and_b32 s2, 0xffff, s24
	s_cmp_lt_i32 s2, 5
	s_mov_b64 s[0:1], -1
	s_cbranch_scc1 .LBB496_2029
; %bb.2009:
	s_cmp_lt_i32 s2, 8
	s_cbranch_scc1 .LBB496_2019
; %bb.2010:
	s_cmp_lt_i32 s2, 9
	s_cbranch_scc1 .LBB496_2016
; %bb.2011:
	s_cmp_gt_i32 s2, 9
	s_cbranch_scc0 .LBB496_2013
; %bb.2012:
	global_store_dwordx4 v[2:3], v[12:15], off
	s_mov_b64 s[0:1], 0
.LBB496_2013:
	s_andn2_b64 vcc, exec, s[0:1]
	s_cbranch_vccnz .LBB496_2015
; %bb.2014:
	v_cvt_f32_f64_e32 v9, v[14:15]
	v_cvt_f32_f64_e32 v8, v[12:13]
	global_store_dwordx2 v[2:3], v[8:9], off
.LBB496_2015:
	s_mov_b64 s[0:1], 0
.LBB496_2016:
	s_andn2_b64 vcc, exec, s[0:1]
	s_cbranch_vccnz .LBB496_2018
; %bb.2017:
	s_movk_i32 s0, 0x1ff
	v_and_or_b32 v1, v13, s0, v12
	v_cmp_ne_u32_e32 vcc, 0, v1
	v_lshrrev_b32_e32 v8, 8, v13
	s_movk_i32 s1, 0xffe
	v_cndmask_b32_e64 v1, 0, 1, vcc
	v_bfe_u32 v9, v13, 20, 11
	v_and_or_b32 v1, v8, s1, v1
	v_sub_u32_e32 v10, 0x3f1, v9
	v_or_b32_e32 v8, 0x1000, v1
	v_med3_i32 v10, v10, 0, 13
	v_lshrrev_b32_e32 v11, v10, v8
	v_lshlrev_b32_e32 v10, v10, v11
	v_cmp_ne_u32_e32 vcc, v10, v8
	v_add_u32_e32 v9, 0xfffffc10, v9
	v_lshl_or_b32 v10, v9, 12, v1
	v_cndmask_b32_e64 v8, 0, 1, vcc
	v_or_b32_e32 v8, v11, v8
	v_cmp_gt_i32_e32 vcc, 1, v9
	s_movk_i32 s3, 0x40f
	v_bfe_u32 v16, v15, 20, 11
	v_cndmask_b32_e32 v8, v10, v8, vcc
	v_and_b32_e32 v10, 7, v8
	v_cmp_lt_i32_e32 vcc, 5, v10
	v_lshrrev_b32_e32 v8, 2, v8
	v_sub_u32_e32 v17, 0x3f1, v16
	v_cndmask_b32_e64 v11, 0, 1, vcc
	v_cmp_eq_u32_e32 vcc, 3, v10
	v_med3_i32 v17, v17, 0, 13
	v_add_u32_e32 v16, 0xfffffc10, v16
	v_cndmask_b32_e64 v10, 0, 1, vcc
	v_or_b32_e32 v10, v10, v11
	v_add_u32_e32 v8, v8, v10
	v_mov_b32_e32 v10, 0x7c00
	v_cmp_gt_i32_e32 vcc, 31, v9
	v_mov_b32_e32 v11, 0x7e00
	s_mov_b32 s6, 0x8000
	v_cndmask_b32_e32 v8, v10, v8, vcc
	v_cmp_ne_u32_e32 vcc, 0, v1
	s_nop 1
	v_cndmask_b32_e32 v1, v10, v11, vcc
	v_cmp_eq_u32_e32 vcc, s3, v9
	v_and_or_b32 v9, v15, s0, v14
	v_lshrrev_b32_e32 v14, 8, v15
	v_cndmask_b32_e32 v1, v8, v1, vcc
	v_cmp_ne_u32_e32 vcc, 0, v9
	v_and_b32_sdwa v8, v13, s6 dst_sel:DWORD dst_unused:UNUSED_PAD src0_sel:WORD_1 src1_sel:DWORD
	s_mov_b32 s0, 0xffff
	v_cndmask_b32_e64 v9, 0, 1, vcc
	v_and_or_b32 v9, v14, s1, v9
	v_or_b32_e32 v14, 0x1000, v9
	v_lshrrev_b32_e32 v18, v17, v14
	v_lshlrev_b32_e32 v17, v17, v18
	v_cmp_ne_u32_e32 vcc, v17, v14
	v_lshl_or_b32 v17, v16, 12, v9
	v_bitop3_b32 v1, v8, s0, v1 bitop3:0xc8
	v_cndmask_b32_e64 v14, 0, 1, vcc
	v_or_b32_e32 v14, v18, v14
	v_cmp_gt_i32_e32 vcc, 1, v16
	s_nop 1
	v_cndmask_b32_e32 v14, v17, v14, vcc
	v_and_b32_e32 v17, 7, v14
	v_cmp_lt_i32_e32 vcc, 5, v17
	v_lshrrev_b32_e32 v14, 2, v14
	s_nop 0
	v_cndmask_b32_e64 v18, 0, 1, vcc
	v_cmp_eq_u32_e32 vcc, 3, v17
	s_nop 1
	v_cndmask_b32_e64 v17, 0, 1, vcc
	v_or_b32_e32 v17, v17, v18
	v_add_u32_e32 v14, v14, v17
	v_cmp_gt_i32_e32 vcc, 31, v16
	s_nop 1
	v_cndmask_b32_e32 v14, v10, v14, vcc
	v_cmp_ne_u32_e32 vcc, 0, v9
	s_nop 1
	v_cndmask_b32_e32 v9, v10, v11, vcc
	v_cmp_eq_u32_e32 vcc, s3, v16
	v_lshrrev_b32_e32 v10, 16, v15
	s_nop 0
	v_cndmask_b32_e32 v9, v14, v9, vcc
	v_and_or_b32 v9, v10, s6, v9
	v_lshl_or_b32 v1, v9, 16, v1
	global_store_dword v[2:3], v1, off
.LBB496_2018:
	s_mov_b64 s[0:1], 0
.LBB496_2019:
	s_andn2_b64 vcc, exec, s[0:1]
	s_cbranch_vccnz .LBB496_2028
; %bb.2020:
	s_cmp_lt_i32 s2, 6
	s_mov_b64 s[0:1], -1
	s_cbranch_scc1 .LBB496_2026
; %bb.2021:
	s_cmp_gt_i32 s2, 6
	s_cbranch_scc0 .LBB496_2023
; %bb.2022:
	global_store_dwordx2 v[2:3], v[12:13], off
	s_mov_b64 s[0:1], 0
.LBB496_2023:
	s_andn2_b64 vcc, exec, s[0:1]
	s_cbranch_vccnz .LBB496_2025
; %bb.2024:
	v_cvt_f32_f64_e32 v1, v[12:13]
	global_store_dword v[2:3], v1, off
.LBB496_2025:
	s_mov_b64 s[0:1], 0
.LBB496_2026:
	s_andn2_b64 vcc, exec, s[0:1]
	s_cbranch_vccnz .LBB496_2028
; %bb.2027:
	s_movk_i32 s0, 0x1ff
	v_and_or_b32 v1, v13, s0, v12
	v_cmp_ne_u32_e32 vcc, 0, v1
	v_lshrrev_b32_e32 v8, 8, v13
	s_movk_i32 s0, 0xffe
	v_cndmask_b32_e64 v1, 0, 1, vcc
	v_bfe_u32 v9, v13, 20, 11
	v_and_or_b32 v1, v8, s0, v1
	v_sub_u32_e32 v10, 0x3f1, v9
	v_or_b32_e32 v8, 0x1000, v1
	v_med3_i32 v10, v10, 0, 13
	v_lshrrev_b32_e32 v11, v10, v8
	v_lshlrev_b32_e32 v10, v10, v11
	v_cmp_ne_u32_e32 vcc, v10, v8
	v_add_u32_e32 v9, 0xfffffc10, v9
	v_lshl_or_b32 v10, v9, 12, v1
	v_cndmask_b32_e64 v8, 0, 1, vcc
	v_or_b32_e32 v8, v11, v8
	v_cmp_gt_i32_e32 vcc, 1, v9
	s_movk_i32 s0, 0x40f
	s_nop 0
	v_cndmask_b32_e32 v8, v10, v8, vcc
	v_and_b32_e32 v10, 7, v8
	v_cmp_lt_i32_e32 vcc, 5, v10
	v_lshrrev_b32_e32 v8, 2, v8
	s_nop 0
	v_cndmask_b32_e64 v11, 0, 1, vcc
	v_cmp_eq_u32_e32 vcc, 3, v10
	s_nop 1
	v_cndmask_b32_e64 v10, 0, 1, vcc
	v_or_b32_e32 v10, v10, v11
	v_add_u32_e32 v8, v8, v10
	v_mov_b32_e32 v10, 0x7c00
	v_cmp_gt_i32_e32 vcc, 31, v9
	v_mov_b32_e32 v11, 0x7e00
	s_nop 0
	v_cndmask_b32_e32 v8, v10, v8, vcc
	v_cmp_ne_u32_e32 vcc, 0, v1
	s_nop 1
	v_cndmask_b32_e32 v1, v10, v11, vcc
	v_cmp_eq_u32_e32 vcc, s0, v9
	s_mov_b32 s0, 0x8000
	s_nop 0
	v_cndmask_b32_e32 v1, v8, v1, vcc
	v_lshrrev_b32_e32 v8, 16, v13
	v_and_or_b32 v1, v8, s0, v1
	global_store_short v[2:3], v1, off
.LBB496_2028:
	s_mov_b64 s[0:1], 0
.LBB496_2029:
	s_andn2_b64 vcc, exec, s[0:1]
	s_cbranch_vccnz .LBB496_2045
; %bb.2030:
	s_cmp_lt_i32 s2, 2
	s_mov_b64 s[0:1], -1
	s_cbranch_scc1 .LBB496_2040
; %bb.2031:
	s_cmp_lt_i32 s2, 3
	s_cbranch_scc1 .LBB496_2037
; %bb.2032:
	s_cmp_gt_i32 s2, 3
	s_cbranch_scc0 .LBB496_2034
; %bb.2033:
	v_trunc_f64_e32 v[8:9], v[12:13]
	s_movk_i32 s0, 0xffe0
	v_ldexp_f64 v[10:11], v[8:9], s0
	v_floor_f64_e32 v[10:11], v[10:11]
	v_fmac_f64_e32 v[8:9], 0xc1f00000, v[10:11]
	v_cvt_i32_f64_e32 v15, v[10:11]
	v_cvt_u32_f64_e32 v14, v[8:9]
	global_store_dwordx2 v[2:3], v[14:15], off
	s_mov_b64 s[0:1], 0
.LBB496_2034:
	s_andn2_b64 vcc, exec, s[0:1]
	s_cbranch_vccnz .LBB496_2036
; %bb.2035:
	v_cvt_i32_f64_e32 v1, v[12:13]
	global_store_dword v[2:3], v1, off
.LBB496_2036:
	s_mov_b64 s[0:1], 0
.LBB496_2037:
	s_andn2_b64 vcc, exec, s[0:1]
	s_cbranch_vccnz .LBB496_2039
; %bb.2038:
	v_cvt_i32_f64_e32 v1, v[12:13]
	global_store_short v[2:3], v1, off
.LBB496_2039:
	s_mov_b64 s[0:1], 0
.LBB496_2040:
	s_andn2_b64 vcc, exec, s[0:1]
	s_cbranch_vccnz .LBB496_2045
; %bb.2041:
	s_cmp_gt_i32 s2, 0
	s_mov_b64 s[0:1], -1
	s_cbranch_scc0 .LBB496_2043
; %bb.2042:
	v_cvt_i32_f64_e32 v1, v[12:13]
	global_store_byte v[2:3], v1, off
	s_mov_b64 s[0:1], 0
.LBB496_2043:
	s_andn2_b64 vcc, exec, s[0:1]
	s_cbranch_vccnz .LBB496_2045
; %bb.2044:
	v_trunc_f64_e32 v[8:9], v[12:13]
	s_movk_i32 s0, 0xffe0
	v_ldexp_f64 v[10:11], v[8:9], s0
	v_floor_f64_e32 v[10:11], v[10:11]
	v_fmac_f64_e32 v[8:9], 0xc1f00000, v[10:11]
	v_cvt_u32_f64_e32 v1, v[8:9]
	global_store_byte v[2:3], v1, off
.LBB496_2045:
	s_mov_b64 s[6:7], -1
.LBB496_2046:
	s_andn2_b64 vcc, exec, s[6:7]
	s_cbranch_vccnz .LBB496_2123
; %bb.2047:
	v_add_u32_e32 v0, s12, v0
	v_ashrrev_i32_e32 v1, 31, v0
	s_cmp_lt_i32 s24, 11
	v_lshl_add_u64 v[0:1], s[4:5], 0, v[0:1]
	s_cbranch_scc1 .LBB496_2124
; %bb.2048:
	s_and_b32 s10, 0xffff, s24
	s_mov_b64 s[4:5], -1
	s_mov_b64 s[2:3], 0
	s_cmp_gt_i32 s10, 25
	s_mov_b64 s[0:1], 0
	s_cbranch_scc0 .LBB496_2081
; %bb.2049:
	s_cmp_gt_i32 s10, 28
	s_cbranch_scc0 .LBB496_2065
; %bb.2050:
	s_cmp_gt_i32 s10, 43
	;; [unrolled: 3-line block ×3, first 2 shown]
	s_cbranch_scc0 .LBB496_2055
; %bb.2052:
	s_cmp_eq_u32 s10, 46
	s_mov_b64 s[0:1], -1
	s_cbranch_scc0 .LBB496_2054
; %bb.2053:
	v_cvt_f32_f64_e32 v3, v[6:7]
	s_movk_i32 s0, 0x7fff
	v_bfe_u32 v9, v3, 16, 1
	v_cvt_f32_f64_e32 v2, v[4:5]
	v_add3_u32 v9, v3, v9, s0
	v_bfe_u32 v8, v2, 16, 1
	v_and_b32_e32 v9, 0xffff0000, v9
	v_mov_b32_e32 v10, 0x7fc00000
	v_cmp_o_f32_e32 vcc, v3, v3
	v_add3_u32 v8, v2, v8, s0
	s_mov_b64 s[0:1], 0
	v_cndmask_b32_e32 v3, v10, v9, vcc
	v_cmp_o_f32_e32 vcc, v2, v2
	v_mov_b32_e32 v2, 0x7fc0
	s_nop 0
	v_cndmask_b32_sdwa v2, v2, v8, vcc dst_sel:DWORD dst_unused:UNUSED_PAD src0_sel:DWORD src1_sel:WORD_1
	v_or_b32_e32 v2, v3, v2
	global_store_dword v[0:1], v2, off
.LBB496_2054:
	s_mov_b64 s[4:5], 0
.LBB496_2055:
	s_and_b64 vcc, exec, s[4:5]
	s_cbranch_vccz .LBB496_2060
; %bb.2056:
	s_cmp_eq_u32 s10, 44
	s_mov_b64 s[0:1], -1
	s_cbranch_scc0 .LBB496_2060
; %bb.2057:
	v_cvt_f32_f64_e32 v2, v[4:5]
	v_bfe_u32 v3, v2, 23, 8
	s_movk_i32 s0, 0xff
	v_cmp_ne_u32_e32 vcc, s0, v3
	v_mov_b32_e32 v8, 0xff
	s_and_saveexec_b64 s[4:5], vcc
; %bb.2058:
	s_mov_b32 s0, 0x3fffff
	v_lshrrev_b32_e32 v8, 23, v2
	v_and_b32_e32 v9, 0x400000, v2
	v_and_or_b32 v2, v2, s0, v3
	v_cmp_ne_u32_e32 vcc, 0, v9
	v_cmp_ne_u32_e64 s[0:1], 0, v2
	s_and_b64 s[0:1], vcc, s[0:1]
	s_nop 0
	v_cndmask_b32_e64 v2, 0, 1, s[0:1]
	v_add_u32_e32 v8, v8, v2
; %bb.2059:
	s_or_b64 exec, exec, s[4:5]
	s_mov_b64 s[0:1], 0
	global_store_byte v[0:1], v8, off
.LBB496_2060:
	s_mov_b64 s[4:5], 0
.LBB496_2061:
	s_and_b64 vcc, exec, s[4:5]
	s_cbranch_vccz .LBB496_2064
; %bb.2062:
	s_cmp_eq_u32 s10, 29
	s_mov_b64 s[0:1], -1
	s_cbranch_scc0 .LBB496_2064
; %bb.2063:
	v_trunc_f64_e32 v[2:3], v[4:5]
	s_movk_i32 s0, 0xffe0
	v_ldexp_f64 v[8:9], v[2:3], s0
	v_floor_f64_e32 v[8:9], v[8:9]
	v_fmac_f64_e32 v[2:3], 0xc1f00000, v[8:9]
	v_cvt_u32_f64_e32 v11, v[8:9]
	v_cvt_u32_f64_e32 v10, v[2:3]
	global_store_dwordx2 v[0:1], v[10:11], off
	s_mov_b64 s[0:1], 0
.LBB496_2064:
	s_mov_b64 s[4:5], 0
.LBB496_2065:
	s_and_b64 vcc, exec, s[4:5]
	s_cbranch_vccz .LBB496_2080
; %bb.2066:
	s_cmp_lt_i32 s10, 27
	s_mov_b64 s[4:5], -1
	s_cbranch_scc1 .LBB496_2072
; %bb.2067:
	s_cmp_gt_i32 s10, 27
	v_cvt_u32_f64_e32 v2, v[4:5]
	s_cbranch_scc0 .LBB496_2069
; %bb.2068:
	global_store_dword v[0:1], v2, off
	s_mov_b64 s[4:5], 0
.LBB496_2069:
	s_andn2_b64 vcc, exec, s[4:5]
	s_cbranch_vccnz .LBB496_2071
; %bb.2070:
	global_store_short v[0:1], v2, off
.LBB496_2071:
	s_mov_b64 s[4:5], 0
.LBB496_2072:
	s_andn2_b64 vcc, exec, s[4:5]
	s_cbranch_vccnz .LBB496_2080
; %bb.2073:
	v_cvt_f32_f64_e32 v2, v[4:5]
	v_and_b32_e32 v3, 0x7fffffff, v2
	s_mov_b32 s4, 0x43800000
	v_cmp_gt_u32_e32 vcc, s4, v3
	v_mov_b32_e32 v8, 0x80
	s_and_saveexec_b64 s[4:5], vcc
	s_cbranch_execz .LBB496_2079
; %bb.2074:
	s_mov_b32 s6, 0x3bffffff
	v_cmp_lt_u32_e32 vcc, s6, v3
	s_mov_b64 s[6:7], 0
                                        ; implicit-def: $vgpr3
	s_and_saveexec_b64 s[8:9], vcc
	s_xor_b64 s[8:9], exec, s[8:9]
	s_cbranch_execz .LBB496_2140
; %bb.2075:
	v_bfe_u32 v3, v2, 20, 1
	s_mov_b32 s11, 0x487ffff
	v_add3_u32 v3, v2, v3, s11
	s_mov_b64 s[6:7], exec
	v_lshrrev_b32_e32 v3, 20, v3
	s_andn2_saveexec_b64 s[8:9], s[8:9]
	s_cbranch_execnz .LBB496_2141
.LBB496_2076:
	s_or_b64 exec, exec, s[8:9]
	v_mov_b32_e32 v8, 0
	s_and_saveexec_b64 s[8:9], s[6:7]
.LBB496_2077:
	v_lshrrev_b32_e32 v2, 24, v2
	s_movk_i32 s6, 0x80
	v_and_or_b32 v8, v2, s6, v3
.LBB496_2078:
	s_or_b64 exec, exec, s[8:9]
.LBB496_2079:
	s_or_b64 exec, exec, s[4:5]
	global_store_byte v[0:1], v8, off
.LBB496_2080:
	s_mov_b64 s[4:5], 0
.LBB496_2081:
	s_and_b64 vcc, exec, s[4:5]
	s_cbranch_vccz .LBB496_2121
; %bb.2082:
	s_cmp_gt_i32 s10, 22
	s_mov_b64 s[2:3], -1
	s_cbranch_scc0 .LBB496_2114
; %bb.2083:
	s_cmp_lt_i32 s10, 24
	s_cbranch_scc1 .LBB496_2103
; %bb.2084:
	s_cmp_gt_i32 s10, 24
	s_cbranch_scc0 .LBB496_2092
; %bb.2085:
	v_cvt_f32_f64_e32 v2, v[4:5]
	v_and_b32_e32 v3, 0x7fffffff, v2
	s_mov_b32 s2, 0x47800000
	v_cmp_gt_u32_e32 vcc, s2, v3
	v_mov_b32_e32 v8, 0x80
	s_and_saveexec_b64 s[2:3], vcc
	s_cbranch_execz .LBB496_2091
; %bb.2086:
	s_mov_b32 s4, 0x37ffffff
	v_cmp_lt_u32_e32 vcc, s4, v3
	s_mov_b64 s[4:5], 0
                                        ; implicit-def: $vgpr3
	s_and_saveexec_b64 s[6:7], vcc
	s_xor_b64 s[6:7], exec, s[6:7]
	s_cbranch_execz .LBB496_2143
; %bb.2087:
	v_bfe_u32 v3, v2, 21, 1
	s_mov_b32 s8, 0x88fffff
	v_add3_u32 v3, v2, v3, s8
	s_mov_b64 s[4:5], exec
	v_lshrrev_b32_e32 v3, 21, v3
	s_andn2_saveexec_b64 s[6:7], s[6:7]
	s_cbranch_execnz .LBB496_2144
.LBB496_2088:
	s_or_b64 exec, exec, s[6:7]
	v_mov_b32_e32 v8, 0
	s_and_saveexec_b64 s[6:7], s[4:5]
.LBB496_2089:
	v_lshrrev_b32_e32 v2, 24, v2
	s_movk_i32 s4, 0x80
	v_and_or_b32 v8, v2, s4, v3
.LBB496_2090:
	s_or_b64 exec, exec, s[6:7]
.LBB496_2091:
	s_or_b64 exec, exec, s[2:3]
	s_mov_b64 s[2:3], 0
	global_store_byte v[0:1], v8, off
.LBB496_2092:
	s_and_b64 vcc, exec, s[2:3]
	s_cbranch_vccz .LBB496_2102
; %bb.2093:
	v_cvt_f32_f64_e32 v2, v[4:5]
	v_and_b32_e32 v8, 0x7fffffff, v2
	s_mov_b32 s2, 0x43f00000
	v_cmp_gt_u32_e32 vcc, s2, v8
                                        ; implicit-def: $vgpr3
	s_and_saveexec_b64 s[2:3], vcc
	s_xor_b64 s[2:3], exec, s[2:3]
	s_cbranch_execz .LBB496_2099
; %bb.2094:
	s_mov_b32 s4, 0x3c7fffff
	v_cmp_lt_u32_e32 vcc, s4, v8
                                        ; implicit-def: $vgpr3
	s_and_saveexec_b64 s[4:5], vcc
	s_xor_b64 s[4:5], exec, s[4:5]
; %bb.2095:
	v_bfe_u32 v3, v2, 20, 1
	s_mov_b32 s6, 0x407ffff
	v_add3_u32 v3, v2, v3, s6
	v_lshrrev_b32_e32 v8, 20, v3
	v_and_b32_e32 v3, 0xff00000, v3
	s_mov_b32 s6, 0x7f00000
	v_mov_b32_e32 v9, 0x7e
	v_cmp_ne_u32_e32 vcc, s6, v3
	s_nop 1
	v_cndmask_b32_e32 v3, v9, v8, vcc
; %bb.2096:
	s_andn2_saveexec_b64 s[4:5], s[4:5]
; %bb.2097:
	s_mov_b32 s6, 0x46800000
	v_add_f32_e64 v3, |v2|, s6
; %bb.2098:
	s_or_b64 exec, exec, s[4:5]
                                        ; implicit-def: $vgpr8
.LBB496_2099:
	s_andn2_saveexec_b64 s[2:3], s[2:3]
; %bb.2100:
	s_mov_b32 s4, 0x7f800000
	v_mov_b32_e32 v3, 0x7e
	v_mov_b32_e32 v9, 0x7f
	v_cmp_lt_u32_e32 vcc, s4, v8
	s_nop 1
	v_cndmask_b32_e32 v3, v3, v9, vcc
; %bb.2101:
	s_or_b64 exec, exec, s[2:3]
	v_lshrrev_b32_e32 v2, 24, v2
	s_movk_i32 s2, 0x80
	v_and_or_b32 v2, v2, s2, v3
	global_store_byte v[0:1], v2, off
.LBB496_2102:
	s_mov_b64 s[2:3], 0
.LBB496_2103:
	s_andn2_b64 vcc, exec, s[2:3]
	s_cbranch_vccnz .LBB496_2113
; %bb.2104:
	v_cvt_f32_f64_e32 v2, v[4:5]
	v_and_b32_e32 v8, 0x7fffffff, v2
	s_mov_b32 s2, 0x47800000
	v_cmp_gt_u32_e32 vcc, s2, v8
                                        ; implicit-def: $vgpr3
	s_and_saveexec_b64 s[2:3], vcc
	s_xor_b64 s[2:3], exec, s[2:3]
	s_cbranch_execz .LBB496_2110
; %bb.2105:
	s_mov_b32 s4, 0x387fffff
	v_cmp_lt_u32_e32 vcc, s4, v8
                                        ; implicit-def: $vgpr3
	s_and_saveexec_b64 s[4:5], vcc
	s_xor_b64 s[4:5], exec, s[4:5]
; %bb.2106:
	v_bfe_u32 v3, v2, 21, 1
	s_mov_b32 s6, 0x80fffff
	v_add3_u32 v3, v2, v3, s6
	v_lshrrev_b32_e32 v3, 21, v3
; %bb.2107:
	s_andn2_saveexec_b64 s[4:5], s[4:5]
; %bb.2108:
	s_mov_b32 s6, 0x43000000
	v_add_f32_e64 v3, |v2|, s6
; %bb.2109:
	s_or_b64 exec, exec, s[4:5]
                                        ; implicit-def: $vgpr8
.LBB496_2110:
	s_andn2_saveexec_b64 s[2:3], s[2:3]
; %bb.2111:
	s_mov_b32 s4, 0x7f800000
	v_mov_b32_e32 v3, 0x7c
	v_mov_b32_e32 v9, 0x7f
	v_cmp_lt_u32_e32 vcc, s4, v8
	s_nop 1
	v_cndmask_b32_e32 v3, v3, v9, vcc
; %bb.2112:
	s_or_b64 exec, exec, s[2:3]
	v_lshrrev_b32_e32 v2, 24, v2
	s_movk_i32 s2, 0x80
	v_and_or_b32 v2, v2, s2, v3
	global_store_byte v[0:1], v2, off
.LBB496_2113:
	s_mov_b64 s[2:3], 0
.LBB496_2114:
	s_andn2_b64 vcc, exec, s[2:3]
	s_mov_b64 s[2:3], 0
	s_cbranch_vccnz .LBB496_2121
; %bb.2115:
	s_cmp_gt_i32 s10, 14
	s_mov_b64 s[4:5], -1
	s_cbranch_scc0 .LBB496_2119
; %bb.2116:
	s_cmp_eq_u32 s10, 15
	s_mov_b64 s[0:1], -1
	s_cbranch_scc0 .LBB496_2118
; %bb.2117:
	v_cvt_f32_f64_e32 v2, v[4:5]
	v_bfe_u32 v3, v2, 16, 1
	s_movk_i32 s0, 0x7fff
	v_add3_u32 v3, v2, v3, s0
	v_cmp_o_f32_e32 vcc, v2, v2
	v_mov_b32_e32 v2, 0x7fc0
	s_mov_b64 s[0:1], 0
	v_cndmask_b32_sdwa v2, v2, v3, vcc dst_sel:DWORD dst_unused:UNUSED_PAD src0_sel:DWORD src1_sel:WORD_1
	global_store_short v[0:1], v2, off
.LBB496_2118:
	s_mov_b64 s[4:5], 0
.LBB496_2119:
	s_and_b64 vcc, exec, s[4:5]
	s_cbranch_vccz .LBB496_2121
; %bb.2120:
	s_cmp_lg_u32 s10, 11
	s_mov_b64 s[2:3], -1
	s_cselect_b64 s[0:1], -1, 0
.LBB496_2121:
	s_and_b64 vcc, exec, s[0:1]
	s_cbranch_vccnz .LBB496_2142
.LBB496_2122:
	s_mov_b64 s[0:1], 0
	s_branch .LBB496_1724
.LBB496_2123:
	s_mov_b64 s[0:1], 0
                                        ; implicit-def: $sgpr24
                                        ; implicit-def: $vgpr0_vgpr1
	s_branch .LBB496_1723
.LBB496_2124:
	s_mov_b64 s[2:3], 0
	s_mov_b64 s[0:1], -1
	s_branch .LBB496_1724
.LBB496_2125:
	s_andn2_saveexec_b64 s[10:11], s[10:11]
	s_cbranch_execz .LBB496_1672
.LBB496_2126:
	s_mov_b32 s14, 0x46000000
	v_add_f32_e64 v20, |v17|, s14
	v_and_b32_e32 v20, 0xff, v20
	v_cmp_ne_u32_e32 vcc, 0, v20
	s_andn2_b64 s[8:9], s[8:9], exec
	s_and_b64 s[14:15], vcc, exec
	s_or_b64 s[8:9], s[8:9], s[14:15]
	s_or_b64 exec, exec, s[10:11]
	v_mov_b32_e32 v21, 0
	s_and_saveexec_b64 s[10:11], s[8:9]
	s_cbranch_execnz .LBB496_1673
	s_branch .LBB496_1674
.LBB496_2127:
	s_trap 2
	s_or_b64 s[20:21], s[20:21], exec
	s_cbranch_execz .LBB496_1720
	s_branch .LBB496_1721
.LBB496_2128:
	s_andn2_saveexec_b64 s[8:9], s[8:9]
	s_cbranch_execz .LBB496_1685
.LBB496_2129:
	s_mov_b32 s10, 0x42800000
	v_add_f32_e64 v20, |v17|, s10
	v_and_b32_e32 v20, 0xff, v20
	v_cmp_ne_u32_e32 vcc, 0, v20
	s_andn2_b64 s[6:7], s[6:7], exec
	s_and_b64 s[10:11], vcc, exec
	s_or_b64 s[6:7], s[6:7], s[10:11]
	s_or_b64 exec, exec, s[8:9]
	v_mov_b32_e32 v21, 0
	s_and_saveexec_b64 s[8:9], s[6:7]
	s_cbranch_execnz .LBB496_1686
	s_branch .LBB496_1687
.LBB496_2130:
	s_andn2_saveexec_b64 s[10:11], s[10:11]
	s_cbranch_execz .LBB496_1837
.LBB496_2131:
	s_mov_b32 s14, 0x46000000
	v_add_f32_e64 v16, |v1|, s14
	v_and_b32_e32 v16, 0xff, v16
	v_cmp_ne_u32_e32 vcc, 0, v16
	s_andn2_b64 s[8:9], s[8:9], exec
	s_and_b64 s[14:15], vcc, exec
	s_or_b64 s[8:9], s[8:9], s[14:15]
	s_or_b64 exec, exec, s[10:11]
	v_mov_b32_e32 v17, 0
	s_and_saveexec_b64 s[10:11], s[8:9]
	s_cbranch_execnz .LBB496_1838
	s_branch .LBB496_1839
.LBB496_2132:
	s_trap 2
	s_or_b64 s[20:21], s[20:21], exec
	s_cbranch_execz .LBB496_1885
	s_branch .LBB496_1886
.LBB496_2133:
	s_andn2_saveexec_b64 s[8:9], s[8:9]
	s_cbranch_execz .LBB496_1850
.LBB496_2134:
	s_mov_b32 s10, 0x42800000
	v_add_f32_e64 v16, |v1|, s10
	v_and_b32_e32 v16, 0xff, v16
	v_cmp_ne_u32_e32 vcc, 0, v16
	s_andn2_b64 s[6:7], s[6:7], exec
	s_and_b64 s[10:11], vcc, exec
	s_or_b64 s[6:7], s[6:7], s[10:11]
	s_or_b64 exec, exec, s[8:9]
	v_mov_b32_e32 v17, 0
	s_and_saveexec_b64 s[8:9], s[6:7]
	s_cbranch_execnz .LBB496_1851
	s_branch .LBB496_1852
.LBB496_2135:
	s_andn2_saveexec_b64 s[10:11], s[10:11]
	s_cbranch_execz .LBB496_1956
.LBB496_2136:
	s_mov_b32 s14, 0x46000000
	v_add_f32_e64 v8, |v1|, s14
	v_and_b32_e32 v8, 0xff, v8
	v_cmp_ne_u32_e32 vcc, 0, v8
	s_andn2_b64 s[8:9], s[8:9], exec
	s_and_b64 s[14:15], vcc, exec
	s_or_b64 s[8:9], s[8:9], s[14:15]
	s_or_b64 exec, exec, s[10:11]
	v_mov_b32_e32 v9, 0
	s_and_saveexec_b64 s[10:11], s[8:9]
	s_cbranch_execnz .LBB496_1957
	s_branch .LBB496_1958
.LBB496_2137:
	s_trap 2
	s_or_b64 s[20:21], s[20:21], exec
	s_cbranch_execz .LBB496_2004
	s_branch .LBB496_2005
.LBB496_2138:
	s_andn2_saveexec_b64 s[8:9], s[8:9]
	s_cbranch_execz .LBB496_1969
.LBB496_2139:
	s_mov_b32 s10, 0x42800000
	v_add_f32_e64 v8, |v1|, s10
	v_and_b32_e32 v8, 0xff, v8
	v_cmp_ne_u32_e32 vcc, 0, v8
	s_andn2_b64 s[6:7], s[6:7], exec
	s_and_b64 s[10:11], vcc, exec
	s_or_b64 s[6:7], s[6:7], s[10:11]
	s_or_b64 exec, exec, s[8:9]
	v_mov_b32_e32 v9, 0
	s_and_saveexec_b64 s[8:9], s[6:7]
	s_cbranch_execnz .LBB496_1970
	s_branch .LBB496_1971
.LBB496_2140:
	s_andn2_saveexec_b64 s[8:9], s[8:9]
	s_cbranch_execz .LBB496_2076
.LBB496_2141:
	s_mov_b32 s11, 0x46000000
	v_add_f32_e64 v3, |v2|, s11
	v_and_b32_e32 v3, 0xff, v3
	v_cmp_ne_u32_e32 vcc, 0, v3
	s_andn2_b64 s[6:7], s[6:7], exec
	s_and_b64 s[12:13], vcc, exec
	s_or_b64 s[6:7], s[6:7], s[12:13]
	s_or_b64 exec, exec, s[8:9]
	v_mov_b32_e32 v8, 0
	s_and_saveexec_b64 s[8:9], s[6:7]
	s_cbranch_execnz .LBB496_2077
	s_branch .LBB496_2078
.LBB496_2142:
	s_mov_b64 s[2:3], 0
	s_or_b64 s[20:21], s[20:21], exec
	s_trap 2
	s_branch .LBB496_2122
.LBB496_2143:
	s_andn2_saveexec_b64 s[6:7], s[6:7]
	s_cbranch_execz .LBB496_2088
.LBB496_2144:
	s_mov_b32 s8, 0x42800000
	v_add_f32_e64 v3, |v2|, s8
	v_and_b32_e32 v3, 0xff, v3
	v_cmp_ne_u32_e32 vcc, 0, v3
	s_andn2_b64 s[4:5], s[4:5], exec
	s_and_b64 s[8:9], vcc, exec
	s_or_b64 s[4:5], s[4:5], s[8:9]
	s_or_b64 exec, exec, s[6:7]
	v_mov_b32_e32 v8, 0
	s_and_saveexec_b64 s[6:7], s[4:5]
	s_cbranch_execnz .LBB496_2089
	s_branch .LBB496_2090
	.section	.rodata,"a",@progbits
	.p2align	6, 0x0
	.amdhsa_kernel _ZN2at6native32elementwise_kernel_manual_unrollILi128ELi4EZNS0_15gpu_kernel_implIZZZNS0_22nan_to_num_kernel_cudaERNS_18TensorIteratorBaseESt8optionalIdES6_S6_ENKUlvE_clEvENKUlvE_clEvEUlN3c107complexIdEEE_EEvS4_RKT_EUlibE_EEviT1_
		.amdhsa_group_segment_fixed_size 0
		.amdhsa_private_segment_fixed_size 0
		.amdhsa_kernarg_size 64
		.amdhsa_user_sgpr_count 2
		.amdhsa_user_sgpr_dispatch_ptr 0
		.amdhsa_user_sgpr_queue_ptr 0
		.amdhsa_user_sgpr_kernarg_segment_ptr 1
		.amdhsa_user_sgpr_dispatch_id 0
		.amdhsa_user_sgpr_kernarg_preload_length 0
		.amdhsa_user_sgpr_kernarg_preload_offset 0
		.amdhsa_user_sgpr_private_segment_size 0
		.amdhsa_uses_dynamic_stack 0
		.amdhsa_enable_private_segment 0
		.amdhsa_system_sgpr_workgroup_id_x 1
		.amdhsa_system_sgpr_workgroup_id_y 0
		.amdhsa_system_sgpr_workgroup_id_z 0
		.amdhsa_system_sgpr_workgroup_info 0
		.amdhsa_system_vgpr_workitem_id 0
		.amdhsa_next_free_vgpr 27
		.amdhsa_next_free_sgpr 50
		.amdhsa_accum_offset 28
		.amdhsa_reserve_vcc 1
		.amdhsa_float_round_mode_32 0
		.amdhsa_float_round_mode_16_64 0
		.amdhsa_float_denorm_mode_32 3
		.amdhsa_float_denorm_mode_16_64 3
		.amdhsa_dx10_clamp 1
		.amdhsa_ieee_mode 1
		.amdhsa_fp16_overflow 0
		.amdhsa_tg_split 0
		.amdhsa_exception_fp_ieee_invalid_op 0
		.amdhsa_exception_fp_denorm_src 0
		.amdhsa_exception_fp_ieee_div_zero 0
		.amdhsa_exception_fp_ieee_overflow 0
		.amdhsa_exception_fp_ieee_underflow 0
		.amdhsa_exception_fp_ieee_inexact 0
		.amdhsa_exception_int_div_zero 0
	.end_amdhsa_kernel
	.section	.text._ZN2at6native32elementwise_kernel_manual_unrollILi128ELi4EZNS0_15gpu_kernel_implIZZZNS0_22nan_to_num_kernel_cudaERNS_18TensorIteratorBaseESt8optionalIdES6_S6_ENKUlvE_clEvENKUlvE_clEvEUlN3c107complexIdEEE_EEvS4_RKT_EUlibE_EEviT1_,"axG",@progbits,_ZN2at6native32elementwise_kernel_manual_unrollILi128ELi4EZNS0_15gpu_kernel_implIZZZNS0_22nan_to_num_kernel_cudaERNS_18TensorIteratorBaseESt8optionalIdES6_S6_ENKUlvE_clEvENKUlvE_clEvEUlN3c107complexIdEEE_EEvS4_RKT_EUlibE_EEviT1_,comdat
.Lfunc_end496:
	.size	_ZN2at6native32elementwise_kernel_manual_unrollILi128ELi4EZNS0_15gpu_kernel_implIZZZNS0_22nan_to_num_kernel_cudaERNS_18TensorIteratorBaseESt8optionalIdES6_S6_ENKUlvE_clEvENKUlvE_clEvEUlN3c107complexIdEEE_EEvS4_RKT_EUlibE_EEviT1_, .Lfunc_end496-_ZN2at6native32elementwise_kernel_manual_unrollILi128ELi4EZNS0_15gpu_kernel_implIZZZNS0_22nan_to_num_kernel_cudaERNS_18TensorIteratorBaseESt8optionalIdES6_S6_ENKUlvE_clEvENKUlvE_clEvEUlN3c107complexIdEEE_EEvS4_RKT_EUlibE_EEviT1_
                                        ; -- End function
	.set _ZN2at6native32elementwise_kernel_manual_unrollILi128ELi4EZNS0_15gpu_kernel_implIZZZNS0_22nan_to_num_kernel_cudaERNS_18TensorIteratorBaseESt8optionalIdES6_S6_ENKUlvE_clEvENKUlvE_clEvEUlN3c107complexIdEEE_EEvS4_RKT_EUlibE_EEviT1_.num_vgpr, 27
	.set _ZN2at6native32elementwise_kernel_manual_unrollILi128ELi4EZNS0_15gpu_kernel_implIZZZNS0_22nan_to_num_kernel_cudaERNS_18TensorIteratorBaseESt8optionalIdES6_S6_ENKUlvE_clEvENKUlvE_clEvEUlN3c107complexIdEEE_EEvS4_RKT_EUlibE_EEviT1_.num_agpr, 0
	.set _ZN2at6native32elementwise_kernel_manual_unrollILi128ELi4EZNS0_15gpu_kernel_implIZZZNS0_22nan_to_num_kernel_cudaERNS_18TensorIteratorBaseESt8optionalIdES6_S6_ENKUlvE_clEvENKUlvE_clEvEUlN3c107complexIdEEE_EEvS4_RKT_EUlibE_EEviT1_.numbered_sgpr, 50
	.set _ZN2at6native32elementwise_kernel_manual_unrollILi128ELi4EZNS0_15gpu_kernel_implIZZZNS0_22nan_to_num_kernel_cudaERNS_18TensorIteratorBaseESt8optionalIdES6_S6_ENKUlvE_clEvENKUlvE_clEvEUlN3c107complexIdEEE_EEvS4_RKT_EUlibE_EEviT1_.num_named_barrier, 0
	.set _ZN2at6native32elementwise_kernel_manual_unrollILi128ELi4EZNS0_15gpu_kernel_implIZZZNS0_22nan_to_num_kernel_cudaERNS_18TensorIteratorBaseESt8optionalIdES6_S6_ENKUlvE_clEvENKUlvE_clEvEUlN3c107complexIdEEE_EEvS4_RKT_EUlibE_EEviT1_.private_seg_size, 0
	.set _ZN2at6native32elementwise_kernel_manual_unrollILi128ELi4EZNS0_15gpu_kernel_implIZZZNS0_22nan_to_num_kernel_cudaERNS_18TensorIteratorBaseESt8optionalIdES6_S6_ENKUlvE_clEvENKUlvE_clEvEUlN3c107complexIdEEE_EEvS4_RKT_EUlibE_EEviT1_.uses_vcc, 1
	.set _ZN2at6native32elementwise_kernel_manual_unrollILi128ELi4EZNS0_15gpu_kernel_implIZZZNS0_22nan_to_num_kernel_cudaERNS_18TensorIteratorBaseESt8optionalIdES6_S6_ENKUlvE_clEvENKUlvE_clEvEUlN3c107complexIdEEE_EEvS4_RKT_EUlibE_EEviT1_.uses_flat_scratch, 0
	.set _ZN2at6native32elementwise_kernel_manual_unrollILi128ELi4EZNS0_15gpu_kernel_implIZZZNS0_22nan_to_num_kernel_cudaERNS_18TensorIteratorBaseESt8optionalIdES6_S6_ENKUlvE_clEvENKUlvE_clEvEUlN3c107complexIdEEE_EEvS4_RKT_EUlibE_EEviT1_.has_dyn_sized_stack, 0
	.set _ZN2at6native32elementwise_kernel_manual_unrollILi128ELi4EZNS0_15gpu_kernel_implIZZZNS0_22nan_to_num_kernel_cudaERNS_18TensorIteratorBaseESt8optionalIdES6_S6_ENKUlvE_clEvENKUlvE_clEvEUlN3c107complexIdEEE_EEvS4_RKT_EUlibE_EEviT1_.has_recursion, 0
	.set _ZN2at6native32elementwise_kernel_manual_unrollILi128ELi4EZNS0_15gpu_kernel_implIZZZNS0_22nan_to_num_kernel_cudaERNS_18TensorIteratorBaseESt8optionalIdES6_S6_ENKUlvE_clEvENKUlvE_clEvEUlN3c107complexIdEEE_EEvS4_RKT_EUlibE_EEviT1_.has_indirect_call, 0
	.section	.AMDGPU.csdata,"",@progbits
; Kernel info:
; codeLenInByte = 39604
; TotalNumSgprs: 56
; NumVgprs: 27
; NumAgprs: 0
; TotalNumVgprs: 27
; ScratchSize: 0
; MemoryBound: 1
; FloatMode: 240
; IeeeMode: 1
; LDSByteSize: 0 bytes/workgroup (compile time only)
; SGPRBlocks: 6
; VGPRBlocks: 3
; NumSGPRsForWavesPerEU: 56
; NumVGPRsForWavesPerEU: 27
; AccumOffset: 28
; Occupancy: 8
; WaveLimiterHint : 0
; COMPUTE_PGM_RSRC2:SCRATCH_EN: 0
; COMPUTE_PGM_RSRC2:USER_SGPR: 2
; COMPUTE_PGM_RSRC2:TRAP_HANDLER: 0
; COMPUTE_PGM_RSRC2:TGID_X_EN: 1
; COMPUTE_PGM_RSRC2:TGID_Y_EN: 0
; COMPUTE_PGM_RSRC2:TGID_Z_EN: 0
; COMPUTE_PGM_RSRC2:TIDIG_COMP_CNT: 0
; COMPUTE_PGM_RSRC3_GFX90A:ACCUM_OFFSET: 6
; COMPUTE_PGM_RSRC3_GFX90A:TG_SPLIT: 0
	.section	.text._ZN2at6native32elementwise_kernel_manual_unrollILi128ELi4EZNS0_15gpu_kernel_implIZZZNS0_22nan_to_num_kernel_cudaERNS_18TensorIteratorBaseESt8optionalIdES6_S6_ENKUlvE_clEvENKUlvE_clEvEUlN3c107complexIdEEE_EEvS4_RKT_EUlibE0_EEviT1_,"axG",@progbits,_ZN2at6native32elementwise_kernel_manual_unrollILi128ELi4EZNS0_15gpu_kernel_implIZZZNS0_22nan_to_num_kernel_cudaERNS_18TensorIteratorBaseESt8optionalIdES6_S6_ENKUlvE_clEvENKUlvE_clEvEUlN3c107complexIdEEE_EEvS4_RKT_EUlibE0_EEviT1_,comdat
	.globl	_ZN2at6native32elementwise_kernel_manual_unrollILi128ELi4EZNS0_15gpu_kernel_implIZZZNS0_22nan_to_num_kernel_cudaERNS_18TensorIteratorBaseESt8optionalIdES6_S6_ENKUlvE_clEvENKUlvE_clEvEUlN3c107complexIdEEE_EEvS4_RKT_EUlibE0_EEviT1_ ; -- Begin function _ZN2at6native32elementwise_kernel_manual_unrollILi128ELi4EZNS0_15gpu_kernel_implIZZZNS0_22nan_to_num_kernel_cudaERNS_18TensorIteratorBaseESt8optionalIdES6_S6_ENKUlvE_clEvENKUlvE_clEvEUlN3c107complexIdEEE_EEvS4_RKT_EUlibE0_EEviT1_
	.p2align	8
	.type	_ZN2at6native32elementwise_kernel_manual_unrollILi128ELi4EZNS0_15gpu_kernel_implIZZZNS0_22nan_to_num_kernel_cudaERNS_18TensorIteratorBaseESt8optionalIdES6_S6_ENKUlvE_clEvENKUlvE_clEvEUlN3c107complexIdEEE_EEvS4_RKT_EUlibE0_EEviT1_,@function
_ZN2at6native32elementwise_kernel_manual_unrollILi128ELi4EZNS0_15gpu_kernel_implIZZZNS0_22nan_to_num_kernel_cudaERNS_18TensorIteratorBaseESt8optionalIdES6_S6_ENKUlvE_clEvENKUlvE_clEvEUlN3c107complexIdEEE_EEvS4_RKT_EUlibE0_EEviT1_: ; @_ZN2at6native32elementwise_kernel_manual_unrollILi128ELi4EZNS0_15gpu_kernel_implIZZZNS0_22nan_to_num_kernel_cudaERNS_18TensorIteratorBaseESt8optionalIdES6_S6_ENKUlvE_clEvENKUlvE_clEvEUlN3c107complexIdEEE_EEvS4_RKT_EUlibE0_EEviT1_
; %bb.0:
	s_load_dword s76, s[0:1], 0x0
	s_load_dword s33, s[0:1], 0x8
	s_add_u32 s34, s0, 8
	s_addc_u32 s35, s1, 0
	v_lshl_or_b32 v10, s2, 9, v0
	v_or_b32_e32 v2, 0x180, v10
	s_waitcnt lgkmcnt(0)
	s_add_i32 s78, s33, -1
	s_cmp_gt_u32 s78, 1
	v_cmp_le_i32_e32 vcc, s76, v2
	s_cselect_b64 s[46:47], -1, 0
	s_mov_b64 s[44:45], 0
	s_mov_b64 s[24:25], 0
	s_and_saveexec_b64 s[2:3], vcc
	s_xor_b64 s[48:49], exec, s[2:3]
	s_cbranch_execz .LBB497_1141
; %bb.1:
	s_load_dwordx4 s[28:31], s[34:35], 0x4
	s_load_dwordx2 s[52:53], s[34:35], 0x14
	s_load_dwordx2 s[50:51], s[34:35], 0x168
	s_load_dword s79, s[34:35], 0x170
	s_cmp_lg_u32 s33, 0
	s_load_dwordx4 s[36:39], s[34:35], 0xc4
	s_load_dwordx8 s[4:11], s[34:35], 0x148
	s_cselect_b64 s[58:59], -1, 0
	s_add_u32 s56, s34, 0xc4
	s_addc_u32 s57, s35, 0
	s_min_u32 s81, s78, 15
	s_cmp_gt_u32 s33, 1
	s_cselect_b64 s[54:55], -1, 0
	s_waitcnt lgkmcnt(0)
	s_bfe_u32 s80, s79, 0x80008
	v_cmp_gt_i32_e32 vcc, s76, v10
	s_mov_b64 s[12:13], -1
	s_mov_b64 s[68:69], 0
	s_mov_b64 s[62:63], 0
	;; [unrolled: 1-line block ×3, first 2 shown]
	s_and_saveexec_b64 s[64:65], vcc
	s_cbranch_execz .LBB497_279
; %bb.2:
	s_andn2_b64 vcc, exec, s[46:47]
	s_cbranch_vccnz .LBB497_8
; %bb.3:
	s_andn2_b64 vcc, exec, s[58:59]
	s_cbranch_vccnz .LBB497_9
; %bb.4:
	s_add_i32 s63, s81, 1
	s_cmp_eq_u32 s78, 2
	s_cbranch_scc1 .LBB497_10
; %bb.5:
	s_and_b32 s62, s63, 28
	s_mov_b32 s66, 0
	v_mov_b32_e32 v6, 0
	v_mov_b32_e32 v0, 0
	s_mov_b64 s[2:3], s[34:35]
	s_mov_b64 s[60:61], s[56:57]
	v_mov_b32_e32 v2, v10
.LBB497_6:                              ; =>This Inner Loop Header: Depth=1
	s_load_dwordx8 s[20:27], s[2:3], 0x4
	s_load_dwordx4 s[40:43], s[2:3], 0x24
	s_load_dwordx8 s[12:19], s[60:61], 0x0
	s_add_u32 s2, s2, 48
	s_addc_u32 s3, s3, 0
	s_waitcnt lgkmcnt(0)
	v_mul_hi_u32 v1, s21, v2
	v_add_u32_e32 v1, v2, v1
	v_lshrrev_b32_e32 v1, s22, v1
	v_mul_lo_u32 v3, v1, s20
	v_mul_hi_u32 v4, s24, v1
	v_sub_u32_e32 v2, v2, v3
	v_add_u32_e32 v3, v1, v4
	v_lshrrev_b32_e32 v3, s25, v3
	v_mul_lo_u32 v5, v3, s23
	v_mul_hi_u32 v7, s27, v3
	v_sub_u32_e32 v1, v1, v5
	v_add_u32_e32 v5, v3, v7
	v_mul_lo_u32 v4, v2, s13
	v_mul_lo_u32 v2, v2, s12
	;; [unrolled: 1-line block ×4, first 2 shown]
	v_lshrrev_b32_e32 v5, s40, v5
	v_add3_u32 v1, v2, v6, v1
	v_add3_u32 v0, v4, v0, v7
	v_mul_lo_u32 v2, v5, s26
	v_mul_hi_u32 v4, s42, v5
	v_sub_u32_e32 v2, v3, v2
	v_add_u32_e32 v3, v5, v4
	v_mul_lo_u32 v4, v2, s16
	v_mul_lo_u32 v6, v2, s17
	v_lshrrev_b32_e32 v2, s43, v3
	s_add_i32 s66, s66, 4
	v_mul_lo_u32 v3, v2, s41
	s_add_u32 s60, s60, 32
	v_sub_u32_e32 v3, v5, v3
	s_addc_u32 s61, s61, 0
	v_mul_lo_u32 v5, v3, s18
	v_mul_lo_u32 v3, v3, s19
	s_cmp_lg_u32 s62, s66
	v_add3_u32 v0, v6, v0, v3
	v_add3_u32 v6, v4, v1, v5
	s_cbranch_scc1 .LBB497_6
; %bb.7:
	v_mov_b32_e32 v1, v0
	s_branch .LBB497_11
.LBB497_8:
                                        ; implicit-def: $vgpr0
                                        ; implicit-def: $vgpr6
	s_branch .LBB497_15
.LBB497_9:
	v_mov_b32_e32 v0, 0
	v_mov_b32_e32 v6, 0
	s_branch .LBB497_14
.LBB497_10:
	v_mov_b32_e32 v6, 0
	s_mov_b32 s62, 0
	v_mov_b32_e32 v1, v6
                                        ; implicit-def: $vgpr0
	v_mov_b32_e32 v2, v10
.LBB497_11:
	s_and_b32 s14, s63, 3
	s_cmp_eq_u32 s14, 0
	s_cbranch_scc1 .LBB497_14
; %bb.12:
	s_lshl_b32 s2, s62, 3
	s_add_u32 s2, s34, s2
	s_addc_u32 s3, s35, 0
	s_add_u32 s2, s2, 0xc4
	s_addc_u32 s3, s3, 0
	s_mul_i32 s12, s62, 12
	s_add_u32 s12, s34, s12
	s_addc_u32 s13, s35, 0
.LBB497_13:                             ; =>This Inner Loop Header: Depth=1
	s_load_dwordx2 s[16:17], s[12:13], 0x4
	s_load_dword s15, s[12:13], 0xc
	s_load_dwordx2 s[18:19], s[2:3], 0x0
	v_mov_b32_e32 v0, v1
	s_add_u32 s12, s12, 12
	s_waitcnt lgkmcnt(0)
	v_mul_hi_u32 v1, s17, v2
	v_add_u32_e32 v1, v2, v1
	v_lshrrev_b32_e32 v1, s15, v1
	s_addc_u32 s13, s13, 0
	v_mul_lo_u32 v3, v1, s16
	s_add_u32 s2, s2, 8
	v_sub_u32_e32 v3, v2, v3
	s_addc_u32 s3, s3, 0
	s_add_i32 s14, s14, -1
	v_mov_b32_e32 v2, v1
	v_mad_u64_u32 v[0:1], s[16:17], v3, s19, v[0:1]
	s_cmp_lg_u32 s14, 0
	v_mad_u64_u32 v[6:7], s[16:17], v3, s18, v[6:7]
	v_mov_b32_e32 v1, v0
	s_cbranch_scc1 .LBB497_13
.LBB497_14:
	s_cbranch_execnz .LBB497_17
.LBB497_15:
	v_mul_hi_u32 v0, s29, v10
	v_add_u32_e32 v0, v10, v0
	v_lshrrev_b32_e32 v1, s30, v0
	v_mul_lo_u32 v0, v1, s28
	v_sub_u32_e32 v2, v10, v0
	v_mul_lo_u32 v0, v2, s37
	s_andn2_b64 vcc, exec, s[54:55]
	v_mul_lo_u32 v6, v2, s36
	s_cbranch_vccnz .LBB497_17
; %bb.16:
	v_mul_hi_u32 v2, s52, v1
	v_add_u32_e32 v2, v1, v2
	v_lshrrev_b32_e32 v2, s53, v2
	v_mul_lo_u32 v2, v2, s31
	v_sub_u32_e32 v1, v1, v2
	v_mad_u64_u32 v[6:7], s[2:3], v1, s38, v[6:7]
	v_mad_u64_u32 v[0:1], s[2:3], v1, s39, v[0:1]
.LBB497_17:
	v_mov_b32_e32 v1, 0
	s_and_b32 s18, 0xffff, s80
	s_cmp_lt_i32 s18, 11
	v_lshl_add_u64 v[0:1], s[6:7], 0, v[0:1]
	s_cbranch_scc1 .LBB497_24
; %bb.18:
	s_cmp_gt_i32 s18, 25
	s_cbranch_scc0 .LBB497_41
; %bb.19:
	s_cmp_gt_i32 s18, 28
	s_cbranch_scc0 .LBB497_44
; %bb.20:
	s_cmp_gt_i32 s18, 43
	s_cbranch_scc0 .LBB497_46
; %bb.21:
	s_cmp_gt_i32 s18, 45
	s_cbranch_scc0 .LBB497_48
; %bb.22:
	s_cmp_eq_u32 s18, 46
	s_mov_b64 s[14:15], 0
	s_cbranch_scc0 .LBB497_50
; %bb.23:
	global_load_dword v2, v[0:1], off
	s_mov_b64 s[2:3], -1
	s_mov_b64 s[12:13], 0
	s_waitcnt vmcnt(0)
	v_and_b32_e32 v4, 0xffff0000, v2
	v_lshlrev_b32_e32 v2, 16, v2
	v_cvt_f64_f32_e32 v[2:3], v2
	v_cvt_f64_f32_e32 v[4:5], v4
	s_branch .LBB497_52
.LBB497_24:
	s_mov_b64 s[12:13], 0
                                        ; implicit-def: $vgpr4_vgpr5
	s_mov_b64 s[2:3], 0
	s_cbranch_execnz .LBB497_227
.LBB497_25:
	s_andn2_b64 vcc, exec, s[2:3]
	s_cbranch_vccnz .LBB497_276
.LBB497_26:
	s_waitcnt vmcnt(0)
	v_cmp_o_f64_e32 vcc, v[2:3], v[2:3]
	v_mov_b64_e32 v[0:1], s[8:9]
	s_and_saveexec_b64 s[2:3], vcc
	s_cbranch_execz .LBB497_30
; %bb.27:
	s_mov_b32 s14, 0
	s_mov_b32 s15, 0x7ff00000
	v_cmp_neq_f64_e32 vcc, s[14:15], v[2:3]
	v_mov_b64_e32 v[0:1], s[10:11]
	s_and_saveexec_b64 s[14:15], vcc
; %bb.28:
	s_mov_b32 s16, 0
	s_mov_b32 s17, 0xfff00000
	v_mov_b32_e32 v0, s51
	v_cmp_eq_f64_e32 vcc, s[16:17], v[2:3]
	s_nop 1
	v_cndmask_b32_e32 v1, v3, v0, vcc
	v_mov_b32_e32 v0, s50
	v_cndmask_b32_e32 v0, v2, v0, vcc
; %bb.29:
	s_or_b64 exec, exec, s[14:15]
.LBB497_30:
	s_or_b64 exec, exec, s[2:3]
	v_cmp_o_f64_e32 vcc, v[4:5], v[4:5]
	v_mov_b64_e32 v[2:3], s[8:9]
	s_and_saveexec_b64 s[2:3], vcc
	s_cbranch_execz .LBB497_34
; %bb.31:
	s_mov_b32 s14, 0
	s_mov_b32 s15, 0x7ff00000
	v_cmp_neq_f64_e32 vcc, s[14:15], v[4:5]
	v_mov_b64_e32 v[2:3], s[10:11]
	s_and_saveexec_b64 s[14:15], vcc
; %bb.32:
	s_mov_b32 s16, 0
	s_mov_b32 s17, 0xfff00000
	v_mov_b32_e32 v2, s51
	v_cmp_eq_f64_e32 vcc, s[16:17], v[4:5]
	s_nop 1
	v_cndmask_b32_e32 v3, v5, v2, vcc
	v_mov_b32_e32 v2, s50
	v_cndmask_b32_e32 v2, v4, v2, vcc
; %bb.33:
	s_or_b64 exec, exec, s[14:15]
.LBB497_34:
	s_or_b64 exec, exec, s[2:3]
	v_mov_b32_e32 v7, 0
	s_and_b32 s20, s79, 0xff
	s_cmp_lt_i32 s20, 11
	v_lshl_add_u64 v[4:5], s[4:5], 0, v[6:7]
	s_cbranch_scc1 .LBB497_42
; %bb.35:
	s_and_b32 s21, 0xffff, s20
	s_cmp_gt_i32 s21, 25
	s_cbranch_scc0 .LBB497_45
; %bb.36:
	s_cmp_gt_i32 s21, 28
	s_cbranch_scc0 .LBB497_47
; %bb.37:
	;; [unrolled: 3-line block ×4, first 2 shown]
	s_mov_b64 s[16:17], 0
	s_mov_b64 s[14:15], -1
	s_cmp_eq_u32 s21, 46
	s_mov_b64 s[2:3], 0
	s_cbranch_scc0 .LBB497_56
; %bb.40:
	v_cvt_f32_f64_e32 v7, v[2:3]
	s_movk_i32 s2, 0x7fff
	v_bfe_u32 v9, v7, 16, 1
	v_cvt_f32_f64_e32 v6, v[0:1]
	v_add3_u32 v9, v7, v9, s2
	v_bfe_u32 v8, v6, 16, 1
	v_and_b32_e32 v9, 0xffff0000, v9
	v_mov_b32_e32 v11, 0x7fc00000
	v_cmp_o_f32_e32 vcc, v7, v7
	v_add3_u32 v8, v6, v8, s2
	s_mov_b64 s[2:3], -1
	v_cndmask_b32_e32 v7, v11, v9, vcc
	v_cmp_o_f32_e32 vcc, v6, v6
	v_mov_b32_e32 v6, 0x7fc0
	s_mov_b64 s[14:15], 0
	v_cndmask_b32_sdwa v6, v6, v8, vcc dst_sel:DWORD dst_unused:UNUSED_PAD src0_sel:DWORD src1_sel:WORD_1
	v_or_b32_e32 v6, v7, v6
	global_store_dword v[4:5], v6, off
	s_branch .LBB497_56
.LBB497_41:
	s_mov_b64 s[12:13], 0
	s_mov_b64 s[2:3], 0
                                        ; implicit-def: $vgpr4_vgpr5
	s_cbranch_execnz .LBB497_194
	s_branch .LBB497_226
.LBB497_42:
	s_mov_b64 s[14:15], 0
	s_mov_b64 s[2:3], 0
	s_cbranch_execnz .LBB497_125
.LBB497_43:
	s_andn2_b64 vcc, exec, s[2:3]
	s_cbranch_vccnz .LBB497_277
	s_branch .LBB497_163
.LBB497_44:
	s_mov_b64 s[14:15], -1
	s_mov_b64 s[12:13], 0
	s_mov_b64 s[2:3], 0
                                        ; implicit-def: $vgpr4_vgpr5
	s_branch .LBB497_173
.LBB497_45:
	s_mov_b64 s[16:17], -1
	s_mov_b64 s[14:15], 0
	s_mov_b64 s[2:3], 0
	s_branch .LBB497_83
.LBB497_46:
	s_mov_b64 s[14:15], -1
	s_mov_b64 s[12:13], 0
	s_mov_b64 s[2:3], 0
                                        ; implicit-def: $vgpr4_vgpr5
	s_branch .LBB497_167
.LBB497_47:
	s_mov_b64 s[16:17], -1
	s_mov_b64 s[14:15], 0
	s_mov_b64 s[2:3], 0
	s_branch .LBB497_66
.LBB497_48:
	s_mov_b64 s[14:15], -1
	s_mov_b64 s[12:13], 0
	s_branch .LBB497_51
.LBB497_49:
	s_mov_b64 s[16:17], -1
	s_mov_b64 s[14:15], 0
	s_mov_b64 s[2:3], 0
	s_branch .LBB497_62
.LBB497_50:
	s_mov_b64 s[12:13], -1
.LBB497_51:
	s_mov_b64 s[2:3], 0
                                        ; implicit-def: $vgpr4_vgpr5
.LBB497_52:
	s_and_b64 vcc, exec, s[14:15]
	s_cbranch_vccz .LBB497_166
; %bb.53:
	s_cmp_eq_u32 s18, 44
	s_cbranch_scc0 .LBB497_164
; %bb.54:
	global_load_ubyte v4, v[0:1], off
	s_movk_i32 s12, 0xff
	v_bfrev_b32_e32 v5, 4
	v_mov_b32_e32 v7, 0x7ff80000
	v_bfrev_b32_e32 v8, 28
	s_mov_b64 s[2:3], -1
	s_waitcnt vmcnt(0)
	v_lshlrev_b32_e32 v2, 23, v4
	v_cvt_f64_f32_e32 v[2:3], v2
	v_cmp_ne_u32_e32 vcc, s12, v4
	s_mov_b64 s[12:13], 0
	s_nop 0
	v_cndmask_b32_e32 v2, v5, v2, vcc
	v_cndmask_b32_e32 v3, v7, v3, vcc
	v_cmp_ne_u32_e32 vcc, 0, v4
	s_nop 1
	v_cndmask_b32_e32 v3, v8, v3, vcc
	v_cndmask_b32_e32 v2, 0, v2, vcc
	s_branch .LBB497_165
.LBB497_55:
	s_mov_b64 s[16:17], -1
	s_mov_b64 s[14:15], 0
	s_mov_b64 s[2:3], 0
.LBB497_56:
	s_and_b64 vcc, exec, s[16:17]
	s_cbranch_vccz .LBB497_61
; %bb.57:
	s_cmp_eq_u32 s21, 44
	s_mov_b64 s[14:15], -1
	s_cbranch_scc0 .LBB497_61
; %bb.58:
	v_cvt_f32_f64_e32 v6, v[0:1]
	v_bfe_u32 v7, v6, 23, 8
	s_movk_i32 s2, 0xff
	v_cmp_ne_u32_e32 vcc, s2, v7
	v_mov_b32_e32 v8, 0xff
	s_and_saveexec_b64 s[14:15], vcc
; %bb.59:
	s_mov_b32 s2, 0x3fffff
	v_lshrrev_b32_e32 v8, 23, v6
	v_and_b32_e32 v9, 0x400000, v6
	v_and_or_b32 v6, v6, s2, v7
	v_cmp_ne_u32_e32 vcc, 0, v9
	v_cmp_ne_u32_e64 s[2:3], 0, v6
	s_and_b64 s[2:3], vcc, s[2:3]
	s_nop 0
	v_cndmask_b32_e64 v6, 0, 1, s[2:3]
	v_add_u32_e32 v8, v8, v6
; %bb.60:
	s_or_b64 exec, exec, s[14:15]
	s_mov_b64 s[2:3], -1
	s_mov_b64 s[14:15], 0
	global_store_byte v[4:5], v8, off
.LBB497_61:
	s_mov_b64 s[16:17], 0
.LBB497_62:
	s_and_b64 vcc, exec, s[16:17]
	s_cbranch_vccz .LBB497_65
; %bb.63:
	s_cmp_eq_u32 s21, 29
	s_mov_b64 s[14:15], -1
	s_cbranch_scc0 .LBB497_65
; %bb.64:
	v_trunc_f64_e32 v[6:7], v[0:1]
	s_movk_i32 s2, 0xffe0
	v_ldexp_f64 v[8:9], v[6:7], s2
	v_floor_f64_e32 v[8:9], v[8:9]
	v_fmac_f64_e32 v[6:7], 0xc1f00000, v[8:9]
	v_cvt_u32_f64_e32 v13, v[8:9]
	v_cvt_u32_f64_e32 v12, v[6:7]
	global_store_dwordx2 v[4:5], v[12:13], off
	s_mov_b64 s[2:3], -1
	s_mov_b64 s[14:15], 0
.LBB497_65:
	s_mov_b64 s[16:17], 0
.LBB497_66:
	s_and_b64 vcc, exec, s[16:17]
	s_cbranch_vccz .LBB497_82
; %bb.67:
	s_cmp_lt_i32 s21, 27
	s_mov_b64 s[2:3], -1
	s_cbranch_scc1 .LBB497_73
; %bb.68:
	s_cmp_gt_i32 s21, 27
	v_cvt_u32_f64_e32 v6, v[0:1]
	s_cbranch_scc0 .LBB497_70
; %bb.69:
	s_mov_b64 s[2:3], 0
	global_store_dword v[4:5], v6, off
.LBB497_70:
	s_andn2_b64 vcc, exec, s[2:3]
	s_cbranch_vccnz .LBB497_72
; %bb.71:
	global_store_short v[4:5], v6, off
.LBB497_72:
	s_mov_b64 s[2:3], 0
.LBB497_73:
	s_andn2_b64 vcc, exec, s[2:3]
	s_cbranch_vccnz .LBB497_81
; %bb.74:
	v_cvt_f32_f64_e32 v6, v[0:1]
	v_and_b32_e32 v7, 0x7fffffff, v6
	s_mov_b32 s2, 0x43800000
	v_cmp_gt_u32_e32 vcc, s2, v7
	v_mov_b32_e32 v8, 0x80
	s_and_saveexec_b64 s[2:3], vcc
	s_cbranch_execz .LBB497_80
; %bb.75:
	s_mov_b32 s16, 0x3bffffff
	v_cmp_lt_u32_e32 vcc, s16, v7
	s_mov_b64 s[16:17], 0
                                        ; implicit-def: $vgpr7
	s_and_saveexec_b64 s[18:19], vcc
	s_xor_b64 s[18:19], exec, s[18:19]
	s_cbranch_execz .LBB497_329
; %bb.76:
	v_bfe_u32 v7, v6, 20, 1
	s_mov_b32 s22, 0x487ffff
	v_add3_u32 v7, v6, v7, s22
	s_mov_b64 s[16:17], exec
	v_lshrrev_b32_e32 v7, 20, v7
	s_andn2_saveexec_b64 s[18:19], s[18:19]
	s_cbranch_execnz .LBB497_330
.LBB497_77:
	s_or_b64 exec, exec, s[18:19]
	v_mov_b32_e32 v8, 0
	s_and_saveexec_b64 s[18:19], s[16:17]
.LBB497_78:
	v_lshrrev_b32_e32 v6, 24, v6
	s_movk_i32 s16, 0x80
	v_and_or_b32 v8, v6, s16, v7
.LBB497_79:
	s_or_b64 exec, exec, s[18:19]
.LBB497_80:
	s_or_b64 exec, exec, s[2:3]
	global_store_byte v[4:5], v8, off
.LBB497_81:
	s_mov_b64 s[2:3], -1
.LBB497_82:
	s_mov_b64 s[16:17], 0
.LBB497_83:
	s_and_b64 vcc, exec, s[16:17]
	s_cbranch_vccz .LBB497_124
; %bb.84:
	s_cmp_gt_i32 s21, 22
	s_mov_b64 s[16:17], -1
	s_cbranch_scc0 .LBB497_116
; %bb.85:
	s_cmp_lt_i32 s21, 24
	s_mov_b64 s[2:3], -1
	s_cbranch_scc1 .LBB497_105
; %bb.86:
	s_cmp_gt_i32 s21, 24
	s_cbranch_scc0 .LBB497_94
; %bb.87:
	v_cvt_f32_f64_e32 v6, v[0:1]
	v_and_b32_e32 v7, 0x7fffffff, v6
	s_mov_b32 s2, 0x47800000
	v_cmp_gt_u32_e32 vcc, s2, v7
	v_mov_b32_e32 v8, 0x80
	s_and_saveexec_b64 s[2:3], vcc
	s_cbranch_execz .LBB497_93
; %bb.88:
	s_mov_b32 s16, 0x37ffffff
	v_cmp_lt_u32_e32 vcc, s16, v7
	s_mov_b64 s[16:17], 0
                                        ; implicit-def: $vgpr7
	s_and_saveexec_b64 s[18:19], vcc
	s_xor_b64 s[18:19], exec, s[18:19]
	s_cbranch_execz .LBB497_333
; %bb.89:
	v_bfe_u32 v7, v6, 21, 1
	s_mov_b32 s22, 0x88fffff
	v_add3_u32 v7, v6, v7, s22
	s_mov_b64 s[16:17], exec
	v_lshrrev_b32_e32 v7, 21, v7
	s_andn2_saveexec_b64 s[18:19], s[18:19]
	s_cbranch_execnz .LBB497_334
.LBB497_90:
	s_or_b64 exec, exec, s[18:19]
	v_mov_b32_e32 v8, 0
	s_and_saveexec_b64 s[18:19], s[16:17]
.LBB497_91:
	v_lshrrev_b32_e32 v6, 24, v6
	s_movk_i32 s16, 0x80
	v_and_or_b32 v8, v6, s16, v7
.LBB497_92:
	s_or_b64 exec, exec, s[18:19]
.LBB497_93:
	s_or_b64 exec, exec, s[2:3]
	s_mov_b64 s[2:3], 0
	global_store_byte v[4:5], v8, off
.LBB497_94:
	s_and_b64 vcc, exec, s[2:3]
	s_cbranch_vccz .LBB497_104
; %bb.95:
	v_cvt_f32_f64_e32 v6, v[0:1]
	v_and_b32_e32 v8, 0x7fffffff, v6
	s_mov_b32 s2, 0x43f00000
	v_cmp_gt_u32_e32 vcc, s2, v8
                                        ; implicit-def: $vgpr7
	s_and_saveexec_b64 s[2:3], vcc
	s_xor_b64 s[2:3], exec, s[2:3]
	s_cbranch_execz .LBB497_101
; %bb.96:
	s_mov_b32 s16, 0x3c7fffff
	v_cmp_lt_u32_e32 vcc, s16, v8
                                        ; implicit-def: $vgpr7
	s_and_saveexec_b64 s[16:17], vcc
	s_xor_b64 s[16:17], exec, s[16:17]
; %bb.97:
	v_bfe_u32 v7, v6, 20, 1
	s_mov_b32 s18, 0x407ffff
	v_add3_u32 v7, v6, v7, s18
	v_lshrrev_b32_e32 v8, 20, v7
	v_and_b32_e32 v7, 0xff00000, v7
	s_mov_b32 s18, 0x7f00000
	v_mov_b32_e32 v9, 0x7e
	v_cmp_ne_u32_e32 vcc, s18, v7
	s_nop 1
	v_cndmask_b32_e32 v7, v9, v8, vcc
; %bb.98:
	s_andn2_saveexec_b64 s[16:17], s[16:17]
; %bb.99:
	s_mov_b32 s18, 0x46800000
	v_add_f32_e64 v7, |v6|, s18
; %bb.100:
	s_or_b64 exec, exec, s[16:17]
                                        ; implicit-def: $vgpr8
.LBB497_101:
	s_andn2_saveexec_b64 s[2:3], s[2:3]
; %bb.102:
	s_mov_b32 s16, 0x7f800000
	v_mov_b32_e32 v7, 0x7e
	v_mov_b32_e32 v9, 0x7f
	v_cmp_lt_u32_e32 vcc, s16, v8
	s_nop 1
	v_cndmask_b32_e32 v7, v7, v9, vcc
; %bb.103:
	s_or_b64 exec, exec, s[2:3]
	v_lshrrev_b32_e32 v6, 24, v6
	s_movk_i32 s2, 0x80
	v_and_or_b32 v6, v6, s2, v7
	global_store_byte v[4:5], v6, off
.LBB497_104:
	s_mov_b64 s[2:3], 0
.LBB497_105:
	s_andn2_b64 vcc, exec, s[2:3]
	s_cbranch_vccnz .LBB497_115
; %bb.106:
	v_cvt_f32_f64_e32 v6, v[0:1]
	v_and_b32_e32 v8, 0x7fffffff, v6
	s_mov_b32 s2, 0x47800000
	v_cmp_gt_u32_e32 vcc, s2, v8
                                        ; implicit-def: $vgpr7
	s_and_saveexec_b64 s[2:3], vcc
	s_xor_b64 s[2:3], exec, s[2:3]
	s_cbranch_execz .LBB497_112
; %bb.107:
	s_mov_b32 s16, 0x387fffff
	v_cmp_lt_u32_e32 vcc, s16, v8
                                        ; implicit-def: $vgpr7
	s_and_saveexec_b64 s[16:17], vcc
	s_xor_b64 s[16:17], exec, s[16:17]
; %bb.108:
	v_bfe_u32 v7, v6, 21, 1
	s_mov_b32 s18, 0x80fffff
	v_add3_u32 v7, v6, v7, s18
	v_lshrrev_b32_e32 v7, 21, v7
; %bb.109:
	s_andn2_saveexec_b64 s[16:17], s[16:17]
; %bb.110:
	s_mov_b32 s18, 0x43000000
	v_add_f32_e64 v7, |v6|, s18
; %bb.111:
	s_or_b64 exec, exec, s[16:17]
                                        ; implicit-def: $vgpr8
.LBB497_112:
	s_andn2_saveexec_b64 s[2:3], s[2:3]
; %bb.113:
	s_mov_b32 s16, 0x7f800000
	v_mov_b32_e32 v7, 0x7c
	v_mov_b32_e32 v9, 0x7f
	v_cmp_lt_u32_e32 vcc, s16, v8
	s_nop 1
	v_cndmask_b32_e32 v7, v7, v9, vcc
; %bb.114:
	s_or_b64 exec, exec, s[2:3]
	v_lshrrev_b32_e32 v6, 24, v6
	s_movk_i32 s2, 0x80
	v_and_or_b32 v6, v6, s2, v7
	global_store_byte v[4:5], v6, off
.LBB497_115:
	s_mov_b64 s[16:17], 0
	s_mov_b64 s[2:3], -1
.LBB497_116:
	s_andn2_b64 vcc, exec, s[16:17]
	s_cbranch_vccnz .LBB497_124
; %bb.117:
	s_cmp_gt_i32 s21, 14
	s_mov_b64 s[16:17], -1
	s_cbranch_scc0 .LBB497_121
; %bb.118:
	s_cmp_eq_u32 s21, 15
	s_mov_b64 s[14:15], -1
	s_cbranch_scc0 .LBB497_120
; %bb.119:
	v_cvt_f32_f64_e32 v6, v[0:1]
	v_bfe_u32 v7, v6, 16, 1
	s_movk_i32 s2, 0x7fff
	v_add3_u32 v7, v6, v7, s2
	v_cmp_o_f32_e32 vcc, v6, v6
	v_mov_b32_e32 v6, 0x7fc0
	s_mov_b64 s[2:3], -1
	v_cndmask_b32_sdwa v6, v6, v7, vcc dst_sel:DWORD dst_unused:UNUSED_PAD src0_sel:DWORD src1_sel:WORD_1
	global_store_short v[4:5], v6, off
	s_mov_b64 s[14:15], 0
.LBB497_120:
	s_mov_b64 s[16:17], 0
.LBB497_121:
	s_and_b64 vcc, exec, s[16:17]
	s_cbranch_vccz .LBB497_124
; %bb.122:
	s_cmp_eq_u32 s21, 11
	s_mov_b64 s[14:15], -1
	s_cbranch_scc0 .LBB497_124
; %bb.123:
	v_cmp_neq_f64_e32 vcc, 0, v[0:1]
	v_cmp_neq_f64_e64 s[2:3], 0, v[2:3]
	s_or_b64 s[2:3], vcc, s[2:3]
	s_mov_b64 s[14:15], 0
	v_cndmask_b32_e64 v6, 0, 1, s[2:3]
	s_mov_b64 s[2:3], -1
	global_store_byte v[4:5], v6, off
.LBB497_124:
	s_branch .LBB497_43
.LBB497_125:
	s_and_b32 s16, 0xffff, s20
	s_cmp_lt_i32 s16, 5
	s_mov_b64 s[2:3], -1
	s_cbranch_scc1 .LBB497_146
; %bb.126:
	s_cmp_lt_i32 s16, 8
	s_cbranch_scc1 .LBB497_136
; %bb.127:
	s_cmp_lt_i32 s16, 9
	s_cbranch_scc1 .LBB497_133
; %bb.128:
	s_cmp_gt_i32 s16, 9
	s_cbranch_scc0 .LBB497_130
; %bb.129:
	global_store_dwordx4 v[4:5], v[0:3], off
	s_mov_b64 s[2:3], 0
.LBB497_130:
	s_andn2_b64 vcc, exec, s[2:3]
	s_cbranch_vccnz .LBB497_132
; %bb.131:
	v_cvt_f32_f64_e32 v7, v[2:3]
	v_cvt_f32_f64_e32 v6, v[0:1]
	global_store_dwordx2 v[4:5], v[6:7], off
.LBB497_132:
	s_mov_b64 s[2:3], 0
.LBB497_133:
	s_andn2_b64 vcc, exec, s[2:3]
	s_cbranch_vccnz .LBB497_135
; %bb.134:
	s_movk_i32 s2, 0x1ff
	v_and_or_b32 v6, v1, s2, v0
	v_cmp_ne_u32_e32 vcc, 0, v6
	v_lshrrev_b32_e32 v7, 8, v1
	s_movk_i32 s3, 0xffe
	v_cndmask_b32_e64 v6, 0, 1, vcc
	v_bfe_u32 v8, v1, 20, 11
	v_and_or_b32 v6, v7, s3, v6
	v_sub_u32_e32 v9, 0x3f1, v8
	v_or_b32_e32 v7, 0x1000, v6
	v_med3_i32 v9, v9, 0, 13
	v_lshrrev_b32_e32 v11, v9, v7
	v_lshlrev_b32_e32 v9, v9, v11
	v_cmp_ne_u32_e32 vcc, v9, v7
	v_add_u32_e32 v8, 0xfffffc10, v8
	v_lshl_or_b32 v9, v8, 12, v6
	v_cndmask_b32_e64 v7, 0, 1, vcc
	v_or_b32_e32 v7, v11, v7
	v_cmp_gt_i32_e32 vcc, 1, v8
	s_movk_i32 s17, 0x40f
	v_and_or_b32 v2, v3, s2, v2
	v_cndmask_b32_e32 v7, v9, v7, vcc
	v_and_b32_e32 v9, 7, v7
	v_cmp_lt_i32_e32 vcc, 5, v9
	v_lshrrev_b32_e32 v7, 2, v7
	v_bfe_u32 v12, v3, 20, 11
	v_cndmask_b32_e64 v11, 0, 1, vcc
	v_cmp_eq_u32_e32 vcc, 3, v9
	v_sub_u32_e32 v13, 0x3f1, v12
	v_med3_i32 v13, v13, 0, 13
	v_cndmask_b32_e64 v9, 0, 1, vcc
	v_or_b32_e32 v9, v9, v11
	v_add_u32_e32 v7, v7, v9
	v_mov_b32_e32 v9, 0x7c00
	v_cmp_gt_i32_e32 vcc, 31, v8
	v_mov_b32_e32 v11, 0x7e00
	v_add_u32_e32 v12, 0xfffffc10, v12
	v_cndmask_b32_e32 v7, v9, v7, vcc
	v_cmp_ne_u32_e32 vcc, 0, v6
	s_mov_b32 s18, 0x8000
	s_mov_b32 s2, 0xffff
	v_cndmask_b32_e32 v6, v9, v11, vcc
	v_cmp_eq_u32_e32 vcc, s17, v8
	v_lshrrev_b32_e32 v8, 8, v3
	v_lshrrev_b32_e32 v3, 16, v3
	v_cndmask_b32_e32 v6, v7, v6, vcc
	v_cmp_ne_u32_e32 vcc, 0, v2
	v_and_b32_sdwa v7, v1, s18 dst_sel:DWORD dst_unused:UNUSED_PAD src0_sel:WORD_1 src1_sel:DWORD
	s_nop 0
	v_cndmask_b32_e64 v2, 0, 1, vcc
	v_and_or_b32 v2, v8, s3, v2
	v_or_b32_e32 v8, 0x1000, v2
	v_lshrrev_b32_e32 v14, v13, v8
	v_lshlrev_b32_e32 v13, v13, v14
	v_cmp_ne_u32_e32 vcc, v13, v8
	v_lshl_or_b32 v13, v12, 12, v2
	s_nop 0
	v_cndmask_b32_e64 v8, 0, 1, vcc
	v_or_b32_e32 v8, v14, v8
	v_cmp_gt_i32_e32 vcc, 1, v12
	s_nop 1
	v_cndmask_b32_e32 v8, v13, v8, vcc
	v_and_b32_e32 v13, 7, v8
	v_cmp_lt_i32_e32 vcc, 5, v13
	v_lshrrev_b32_e32 v8, 2, v8
	s_nop 0
	v_cndmask_b32_e64 v14, 0, 1, vcc
	v_cmp_eq_u32_e32 vcc, 3, v13
	s_nop 1
	v_cndmask_b32_e64 v13, 0, 1, vcc
	v_or_b32_e32 v13, v13, v14
	v_add_u32_e32 v8, v8, v13
	v_cmp_gt_i32_e32 vcc, 31, v12
	s_nop 1
	v_cndmask_b32_e32 v8, v9, v8, vcc
	v_cmp_ne_u32_e32 vcc, 0, v2
	s_nop 1
	v_cndmask_b32_e32 v2, v9, v11, vcc
	v_cmp_eq_u32_e32 vcc, s17, v12
	s_nop 1
	v_cndmask_b32_e32 v2, v8, v2, vcc
	v_and_or_b32 v2, v3, s18, v2
	v_bitop3_b32 v3, v7, s2, v6 bitop3:0xc8
	v_lshl_or_b32 v2, v2, 16, v3
	global_store_dword v[4:5], v2, off
.LBB497_135:
	s_mov_b64 s[2:3], 0
.LBB497_136:
	s_andn2_b64 vcc, exec, s[2:3]
	s_cbranch_vccnz .LBB497_145
; %bb.137:
	s_cmp_lt_i32 s16, 6
	s_mov_b64 s[2:3], -1
	s_cbranch_scc1 .LBB497_143
; %bb.138:
	s_cmp_gt_i32 s16, 6
	s_cbranch_scc0 .LBB497_140
; %bb.139:
	global_store_dwordx2 v[4:5], v[0:1], off
	s_mov_b64 s[2:3], 0
.LBB497_140:
	s_andn2_b64 vcc, exec, s[2:3]
	s_cbranch_vccnz .LBB497_142
; %bb.141:
	v_cvt_f32_f64_e32 v2, v[0:1]
	global_store_dword v[4:5], v2, off
.LBB497_142:
	s_mov_b64 s[2:3], 0
.LBB497_143:
	s_andn2_b64 vcc, exec, s[2:3]
	s_cbranch_vccnz .LBB497_145
; %bb.144:
	s_movk_i32 s2, 0x1ff
	v_and_or_b32 v2, v1, s2, v0
	v_cmp_ne_u32_e32 vcc, 0, v2
	v_lshrrev_b32_e32 v3, 8, v1
	s_movk_i32 s2, 0xffe
	v_cndmask_b32_e64 v2, 0, 1, vcc
	v_bfe_u32 v6, v1, 20, 11
	v_and_or_b32 v2, v3, s2, v2
	v_sub_u32_e32 v7, 0x3f1, v6
	v_or_b32_e32 v3, 0x1000, v2
	v_med3_i32 v7, v7, 0, 13
	v_lshrrev_b32_e32 v8, v7, v3
	v_lshlrev_b32_e32 v7, v7, v8
	v_cmp_ne_u32_e32 vcc, v7, v3
	v_add_u32_e32 v6, 0xfffffc10, v6
	v_lshl_or_b32 v7, v6, 12, v2
	v_cndmask_b32_e64 v3, 0, 1, vcc
	v_or_b32_e32 v3, v8, v3
	v_cmp_gt_i32_e32 vcc, 1, v6
	s_movk_i32 s2, 0x40f
	s_nop 0
	v_cndmask_b32_e32 v3, v7, v3, vcc
	v_and_b32_e32 v7, 7, v3
	v_cmp_lt_i32_e32 vcc, 5, v7
	v_lshrrev_b32_e32 v3, 2, v3
	s_nop 0
	v_cndmask_b32_e64 v8, 0, 1, vcc
	v_cmp_eq_u32_e32 vcc, 3, v7
	s_nop 1
	v_cndmask_b32_e64 v7, 0, 1, vcc
	v_or_b32_e32 v7, v7, v8
	v_add_u32_e32 v3, v3, v7
	v_mov_b32_e32 v7, 0x7c00
	v_cmp_gt_i32_e32 vcc, 31, v6
	v_mov_b32_e32 v8, 0x7e00
	s_nop 0
	v_cndmask_b32_e32 v3, v7, v3, vcc
	v_cmp_ne_u32_e32 vcc, 0, v2
	s_nop 1
	v_cndmask_b32_e32 v2, v7, v8, vcc
	v_cmp_eq_u32_e32 vcc, s2, v6
	s_mov_b32 s2, 0x8000
	s_nop 0
	v_cndmask_b32_e32 v2, v3, v2, vcc
	v_lshrrev_b32_e32 v3, 16, v1
	v_and_or_b32 v2, v3, s2, v2
	global_store_short v[4:5], v2, off
.LBB497_145:
	s_mov_b64 s[2:3], 0
.LBB497_146:
	s_andn2_b64 vcc, exec, s[2:3]
	s_cbranch_vccnz .LBB497_162
; %bb.147:
	s_cmp_lt_i32 s16, 2
	s_mov_b64 s[2:3], -1
	s_cbranch_scc1 .LBB497_157
; %bb.148:
	s_cmp_lt_i32 s16, 3
	s_cbranch_scc1 .LBB497_154
; %bb.149:
	s_cmp_gt_i32 s16, 3
	s_cbranch_scc0 .LBB497_151
; %bb.150:
	v_trunc_f64_e32 v[2:3], v[0:1]
	s_movk_i32 s2, 0xffe0
	v_ldexp_f64 v[6:7], v[2:3], s2
	v_floor_f64_e32 v[6:7], v[6:7]
	v_fmac_f64_e32 v[2:3], 0xc1f00000, v[6:7]
	v_cvt_i32_f64_e32 v9, v[6:7]
	v_cvt_u32_f64_e32 v8, v[2:3]
	global_store_dwordx2 v[4:5], v[8:9], off
	s_mov_b64 s[2:3], 0
.LBB497_151:
	s_andn2_b64 vcc, exec, s[2:3]
	s_cbranch_vccnz .LBB497_153
; %bb.152:
	v_cvt_i32_f64_e32 v2, v[0:1]
	global_store_dword v[4:5], v2, off
.LBB497_153:
	s_mov_b64 s[2:3], 0
.LBB497_154:
	s_andn2_b64 vcc, exec, s[2:3]
	s_cbranch_vccnz .LBB497_156
; %bb.155:
	v_cvt_i32_f64_e32 v2, v[0:1]
	global_store_short v[4:5], v2, off
.LBB497_156:
	s_mov_b64 s[2:3], 0
.LBB497_157:
	s_andn2_b64 vcc, exec, s[2:3]
	s_cbranch_vccnz .LBB497_162
; %bb.158:
	s_cmp_gt_i32 s16, 0
	s_mov_b64 s[2:3], -1
	s_cbranch_scc0 .LBB497_160
; %bb.159:
	v_cvt_i32_f64_e32 v2, v[0:1]
	global_store_byte v[4:5], v2, off
	s_mov_b64 s[2:3], 0
.LBB497_160:
	s_andn2_b64 vcc, exec, s[2:3]
	s_cbranch_vccnz .LBB497_162
; %bb.161:
	v_trunc_f64_e32 v[0:1], v[0:1]
	s_movk_i32 s2, 0xffe0
	v_ldexp_f64 v[2:3], v[0:1], s2
	v_floor_f64_e32 v[2:3], v[2:3]
	v_fmac_f64_e32 v[0:1], 0xc1f00000, v[2:3]
	v_cvt_u32_f64_e32 v0, v[0:1]
	global_store_byte v[4:5], v0, off
.LBB497_162:
.LBB497_163:
	v_add_u32_e32 v10, 0x80, v10
	s_mov_b64 s[2:3], -1
	s_branch .LBB497_278
.LBB497_164:
	s_mov_b64 s[12:13], -1
                                        ; implicit-def: $vgpr2_vgpr3
.LBB497_165:
	v_mov_b64_e32 v[4:5], 0
.LBB497_166:
	s_mov_b64 s[14:15], 0
.LBB497_167:
	s_and_b64 vcc, exec, s[14:15]
	s_cbranch_vccz .LBB497_172
; %bb.168:
	s_cmp_eq_u32 s18, 29
	s_cbranch_scc0 .LBB497_170
; %bb.169:
	global_load_dwordx2 v[2:3], v[0:1], off
	s_mov_b64 s[2:3], -1
	s_mov_b64 s[12:13], 0
	s_waitcnt vmcnt(0)
	v_cvt_f64_u32_e32 v[4:5], v3
	v_cvt_f64_u32_e32 v[2:3], v2
	v_ldexp_f64 v[4:5], v[4:5], 32
	v_add_f64 v[2:3], v[4:5], v[2:3]
	s_branch .LBB497_171
.LBB497_170:
	s_mov_b64 s[12:13], -1
                                        ; implicit-def: $vgpr2_vgpr3
.LBB497_171:
	v_mov_b64_e32 v[4:5], 0
.LBB497_172:
	s_mov_b64 s[14:15], 0
.LBB497_173:
	s_and_b64 vcc, exec, s[14:15]
	s_cbranch_vccz .LBB497_193
; %bb.174:
	s_cmp_lt_i32 s18, 27
	s_cbranch_scc1 .LBB497_177
; %bb.175:
	s_cmp_gt_i32 s18, 27
	s_cbranch_scc0 .LBB497_178
; %bb.176:
	global_load_dword v2, v[0:1], off
	s_mov_b64 s[2:3], 0
	s_waitcnt vmcnt(0)
	v_cvt_f64_u32_e32 v[2:3], v2
	s_branch .LBB497_179
.LBB497_177:
	s_mov_b64 s[2:3], -1
                                        ; implicit-def: $vgpr2_vgpr3
	s_branch .LBB497_182
.LBB497_178:
	s_mov_b64 s[2:3], -1
                                        ; implicit-def: $vgpr2_vgpr3
.LBB497_179:
	s_andn2_b64 vcc, exec, s[2:3]
	s_cbranch_vccnz .LBB497_181
; %bb.180:
	global_load_ushort v2, v[0:1], off
	s_waitcnt vmcnt(0)
	v_cvt_f64_u32_e32 v[2:3], v2
.LBB497_181:
	s_mov_b64 s[2:3], 0
.LBB497_182:
	s_andn2_b64 vcc, exec, s[2:3]
	s_cbranch_vccnz .LBB497_192
; %bb.183:
	global_load_ubyte v4, v[0:1], off
	s_movk_i32 s2, 0x7f
	s_waitcnt vmcnt(0)
	v_cmp_lt_i16_e32 vcc, s2, v4
	s_mov_b64 s[2:3], 0
	s_and_saveexec_b64 s[14:15], vcc
	s_xor_b64 s[14:15], exec, s[14:15]
	s_cbranch_execz .LBB497_187
; %bb.184:
	s_movk_i32 s2, 0x80
	v_cmp_eq_u16_e32 vcc, s2, v4
	s_mov_b64 s[2:3], -1
	s_and_saveexec_b64 s[16:17], vcc
; %bb.185:
	s_xor_b64 s[2:3], exec, -1
; %bb.186:
	s_or_b64 exec, exec, s[16:17]
	s_and_b64 s[2:3], s[2:3], exec
.LBB497_187:
	s_or_saveexec_b64 s[14:15], s[14:15]
	v_bfrev_b32_e32 v2, 4
	v_mov_b32_e32 v3, 0x7ff80000
	s_xor_b64 exec, exec, s[14:15]
; %bb.188:
	v_cmp_ne_u16_e32 vcc, 0, v4
	s_andn2_b64 s[2:3], s[2:3], exec
	s_and_b64 s[16:17], vcc, exec
	v_mov_b64_e32 v[2:3], 0
	s_or_b64 s[2:3], s[2:3], s[16:17]
; %bb.189:
	s_or_b64 exec, exec, s[14:15]
	s_and_saveexec_b64 s[14:15], s[2:3]
	s_cbranch_execz .LBB497_191
; %bb.190:
	v_and_b32_e32 v3, 0xffff, v4
	v_lshlrev_b32_e32 v2, 24, v4
	v_and_b32_e32 v4, 7, v3
	v_ffbh_u32_e32 v7, v4
	v_min_u32_e32 v7, 32, v7
	v_subrev_u32_e32 v8, 28, v7
	v_bfe_u32 v5, v3, 3, 4
	v_lshlrev_b32_e32 v3, v8, v3
	v_sub_u32_e32 v7, 29, v7
	v_and_b32_e32 v3, 7, v3
	v_cmp_eq_u32_e32 vcc, 0, v5
	v_and_b32_e32 v2, 0x80000000, v2
	s_nop 0
	v_cndmask_b32_e32 v5, v5, v7, vcc
	v_cndmask_b32_e32 v3, v4, v3, vcc
	v_mov_b32_e32 v4, 0x3b800000
	v_lshlrev_b32_e32 v3, 20, v3
	v_lshl_add_u32 v4, v5, 23, v4
	v_or3_b32 v2, v2, v4, v3
	v_cvt_f64_f32_e32 v[2:3], v2
.LBB497_191:
	s_or_b64 exec, exec, s[14:15]
.LBB497_192:
	s_mov_b64 s[2:3], -1
	v_mov_b64_e32 v[4:5], 0
.LBB497_193:
	s_branch .LBB497_226
.LBB497_194:
	s_cmp_gt_i32 s18, 22
	s_cbranch_scc0 .LBB497_206
; %bb.195:
	s_cmp_lt_i32 s18, 24
	s_cbranch_scc1 .LBB497_207
; %bb.196:
	s_cmp_gt_i32 s18, 24
	s_cbranch_scc0 .LBB497_208
; %bb.197:
	global_load_ubyte v4, v[0:1], off
	s_movk_i32 s2, 0x7f
	s_waitcnt vmcnt(0)
	v_cmp_lt_i16_e32 vcc, s2, v4
	s_mov_b64 s[2:3], 0
	s_and_saveexec_b64 s[14:15], vcc
	s_xor_b64 s[14:15], exec, s[14:15]
	s_cbranch_execz .LBB497_201
; %bb.198:
	s_movk_i32 s2, 0x80
	v_cmp_eq_u16_e32 vcc, s2, v4
	s_mov_b64 s[2:3], -1
	s_and_saveexec_b64 s[16:17], vcc
; %bb.199:
	s_xor_b64 s[2:3], exec, -1
; %bb.200:
	s_or_b64 exec, exec, s[16:17]
	s_and_b64 s[2:3], s[2:3], exec
.LBB497_201:
	s_or_saveexec_b64 s[14:15], s[14:15]
	v_bfrev_b32_e32 v2, 4
	v_mov_b32_e32 v3, 0x7ff80000
	s_xor_b64 exec, exec, s[14:15]
; %bb.202:
	v_cmp_ne_u16_e32 vcc, 0, v4
	s_andn2_b64 s[2:3], s[2:3], exec
	s_and_b64 s[16:17], vcc, exec
	v_mov_b64_e32 v[2:3], 0
	s_or_b64 s[2:3], s[2:3], s[16:17]
; %bb.203:
	s_or_b64 exec, exec, s[14:15]
	s_and_saveexec_b64 s[14:15], s[2:3]
	s_cbranch_execz .LBB497_205
; %bb.204:
	v_and_b32_e32 v3, 0xffff, v4
	v_lshlrev_b32_e32 v2, 24, v4
	v_and_b32_e32 v4, 3, v3
	v_ffbh_u32_e32 v7, v4
	v_min_u32_e32 v7, 32, v7
	v_subrev_u32_e32 v8, 29, v7
	v_bfe_u32 v5, v3, 2, 5
	v_lshlrev_b32_e32 v3, v8, v3
	v_sub_u32_e32 v7, 30, v7
	v_and_b32_e32 v3, 3, v3
	v_cmp_eq_u32_e32 vcc, 0, v5
	v_and_b32_e32 v2, 0x80000000, v2
	s_nop 0
	v_cndmask_b32_e32 v5, v5, v7, vcc
	v_cndmask_b32_e32 v3, v4, v3, vcc
	v_mov_b32_e32 v4, 0x37800000
	v_lshlrev_b32_e32 v3, 21, v3
	v_lshl_add_u32 v4, v5, 23, v4
	v_or3_b32 v2, v2, v4, v3
	v_cvt_f64_f32_e32 v[2:3], v2
.LBB497_205:
	s_or_b64 exec, exec, s[14:15]
	s_mov_b64 s[2:3], 0
	s_branch .LBB497_209
.LBB497_206:
                                        ; implicit-def: $vgpr2_vgpr3
	s_branch .LBB497_215
.LBB497_207:
	s_mov_b64 s[2:3], -1
                                        ; implicit-def: $vgpr2_vgpr3
	s_branch .LBB497_212
.LBB497_208:
	s_mov_b64 s[2:3], -1
                                        ; implicit-def: $vgpr2_vgpr3
.LBB497_209:
	s_and_b64 vcc, exec, s[2:3]
	s_cbranch_vccz .LBB497_211
; %bb.210:
	global_load_ubyte v2, v[0:1], off
	s_mov_b32 s2, 0x7f800000
	s_waitcnt vmcnt(0)
	v_lshlrev_b32_e32 v2, 24, v2
	v_and_b32_e32 v3, 0x7f000000, v2
	v_ffbh_u32_e32 v4, v3
	v_min_u32_e32 v4, 32, v4
	v_sub_u32_e64 v4, v4, 4 clamp
	v_lshlrev_b32_e32 v7, v4, v3
	v_lshlrev_b32_e32 v4, 23, v4
	v_lshrrev_b32_e32 v7, 4, v7
	v_add_u32_e32 v5, 0x1000000, v3
	v_sub_u32_e32 v4, v7, v4
	v_ashrrev_i32_e32 v5, 8, v5
	v_add_u32_e32 v4, 0x3c000000, v4
	v_and_or_b32 v4, v5, s2, v4
	v_cmp_ne_u32_e32 vcc, 0, v3
	s_brev_b32 s2, 1
	s_nop 0
	v_cndmask_b32_e32 v3, 0, v4, vcc
	v_and_or_b32 v2, v2, s2, v3
	v_cvt_f64_f32_e32 v[2:3], v2
.LBB497_211:
	s_mov_b64 s[2:3], 0
.LBB497_212:
	s_andn2_b64 vcc, exec, s[2:3]
	s_cbranch_vccnz .LBB497_214
; %bb.213:
	global_load_ubyte v2, v[0:1], off
	s_movk_i32 s2, 0x7f00
	s_brev_b32 s3, 16
	s_waitcnt vmcnt(0)
	v_lshlrev_b16_e32 v3, 8, v2
	v_lshlrev_b32_e32 v2, 25, v2
	v_lshrrev_b32_e32 v4, 4, v2
	v_and_or_b32 v5, v3, s2, 0.5
	v_or_b32_e32 v4, 0x70000000, v4
	v_add_f32_e32 v5, -0.5, v5
	v_mul_f32_e32 v4, 0x7800000, v4
	v_cmp_gt_u32_e32 vcc, s3, v2
	v_bfe_i32 v3, v3, 0, 16
	s_brev_b32 s2, 1
	v_cndmask_b32_e32 v2, v4, v5, vcc
	v_and_or_b32 v2, v3, s2, v2
	v_cvt_f64_f32_e32 v[2:3], v2
.LBB497_214:
	s_mov_b64 s[2:3], -1
	s_cbranch_execnz .LBB497_225
.LBB497_215:
	s_cmp_gt_i32 s18, 14
	s_cbranch_scc0 .LBB497_218
; %bb.216:
	s_cmp_eq_u32 s18, 15
	s_cbranch_scc0 .LBB497_219
; %bb.217:
	global_load_ushort v2, v[0:1], off
	s_mov_b64 s[2:3], -1
	s_mov_b64 s[12:13], 0
	s_waitcnt vmcnt(0)
	v_lshlrev_b32_e32 v2, 16, v2
	v_cvt_f64_f32_e32 v[2:3], v2
	s_branch .LBB497_220
.LBB497_218:
	s_mov_b64 s[14:15], -1
                                        ; implicit-def: $vgpr2_vgpr3
	s_branch .LBB497_221
.LBB497_219:
	s_mov_b64 s[12:13], -1
                                        ; implicit-def: $vgpr2_vgpr3
.LBB497_220:
	s_mov_b64 s[14:15], 0
.LBB497_221:
	s_and_b64 vcc, exec, s[14:15]
	s_cbranch_vccz .LBB497_225
; %bb.222:
	s_cmp_eq_u32 s18, 11
	s_cbranch_scc0 .LBB497_224
; %bb.223:
	global_load_ubyte v3, v[0:1], off
	v_mov_b32_e32 v4, 0x3ff00000
	v_mov_b32_e32 v2, 0
	s_mov_b64 s[2:3], -1
	s_mov_b64 s[12:13], 0
	s_waitcnt vmcnt(0)
	v_cmp_ne_u16_e32 vcc, 0, v3
	s_nop 1
	v_cndmask_b32_e32 v3, 0, v4, vcc
	s_branch .LBB497_225
.LBB497_224:
	s_mov_b64 s[12:13], -1
                                        ; implicit-def: $vgpr2_vgpr3
.LBB497_225:
	v_mov_b64_e32 v[4:5], 0
.LBB497_226:
	s_branch .LBB497_25
.LBB497_227:
	s_cmp_lt_i32 s18, 5
	s_cbranch_scc1 .LBB497_232
; %bb.228:
	s_cmp_lt_i32 s18, 8
	s_cbranch_scc1 .LBB497_233
; %bb.229:
	;; [unrolled: 3-line block ×3, first 2 shown]
	s_cmp_gt_i32 s18, 9
	s_cbranch_scc0 .LBB497_235
; %bb.231:
	global_load_dwordx4 v[2:5], v[0:1], off
	s_mov_b64 s[2:3], 0
	s_branch .LBB497_236
.LBB497_232:
                                        ; implicit-def: $vgpr4_vgpr5
	s_branch .LBB497_255
.LBB497_233:
	s_mov_b64 s[2:3], -1
                                        ; implicit-def: $vgpr4_vgpr5
	s_branch .LBB497_242
.LBB497_234:
	s_mov_b64 s[2:3], -1
                                        ; implicit-def: $vgpr4_vgpr5
	s_branch .LBB497_239
.LBB497_235:
	s_mov_b64 s[2:3], -1
                                        ; implicit-def: $vgpr4_vgpr5
.LBB497_236:
	s_andn2_b64 vcc, exec, s[2:3]
	s_cbranch_vccnz .LBB497_238
; %bb.237:
	global_load_dwordx2 v[4:5], v[0:1], off
	s_waitcnt vmcnt(0)
	v_cvt_f64_f32_e32 v[2:3], v4
	v_cvt_f64_f32_e32 v[4:5], v5
.LBB497_238:
	s_mov_b64 s[2:3], 0
.LBB497_239:
	s_andn2_b64 vcc, exec, s[2:3]
	s_cbranch_vccnz .LBB497_241
; %bb.240:
	global_load_dword v2, v[0:1], off
	s_waitcnt vmcnt(0)
	v_cvt_f32_f16_e32 v3, v2
	v_cvt_f32_f16_sdwa v4, v2 dst_sel:DWORD dst_unused:UNUSED_PAD src0_sel:WORD_1
	v_cvt_f64_f32_e32 v[2:3], v3
	v_cvt_f64_f32_e32 v[4:5], v4
.LBB497_241:
	s_mov_b64 s[2:3], 0
.LBB497_242:
	s_andn2_b64 vcc, exec, s[2:3]
	s_cbranch_vccnz .LBB497_254
; %bb.243:
	s_cmp_lt_i32 s18, 6
	s_cbranch_scc1 .LBB497_246
; %bb.244:
	s_cmp_gt_i32 s18, 6
	s_cbranch_scc0 .LBB497_247
; %bb.245:
	global_load_dwordx2 v[2:3], v[0:1], off
	s_mov_b64 s[2:3], 0
	s_branch .LBB497_248
.LBB497_246:
	s_mov_b64 s[2:3], -1
                                        ; implicit-def: $vgpr2_vgpr3
	s_branch .LBB497_251
.LBB497_247:
	s_mov_b64 s[2:3], -1
                                        ; implicit-def: $vgpr2_vgpr3
.LBB497_248:
	s_andn2_b64 vcc, exec, s[2:3]
	s_cbranch_vccnz .LBB497_250
; %bb.249:
	global_load_dword v2, v[0:1], off
	s_waitcnt vmcnt(0)
	v_cvt_f64_f32_e32 v[2:3], v2
.LBB497_250:
	s_mov_b64 s[2:3], 0
.LBB497_251:
	s_andn2_b64 vcc, exec, s[2:3]
	s_cbranch_vccnz .LBB497_253
; %bb.252:
	global_load_ushort v2, v[0:1], off
	s_waitcnt vmcnt(0)
	v_cvt_f32_f16_e32 v2, v2
	v_cvt_f64_f32_e32 v[2:3], v2
.LBB497_253:
	s_waitcnt vmcnt(0)
	v_mov_b64_e32 v[4:5], 0
.LBB497_254:
	s_cbranch_execnz .LBB497_275
.LBB497_255:
	s_cmp_lt_i32 s18, 2
	s_cbranch_scc1 .LBB497_259
; %bb.256:
	s_cmp_lt_i32 s18, 3
	s_cbranch_scc1 .LBB497_260
; %bb.257:
	s_cmp_gt_i32 s18, 3
	s_cbranch_scc0 .LBB497_261
; %bb.258:
	global_load_dwordx2 v[2:3], v[0:1], off
	s_mov_b64 s[2:3], 0
	s_waitcnt vmcnt(0)
	v_cvt_f64_i32_e32 v[4:5], v3
	v_cvt_f64_u32_e32 v[2:3], v2
	v_ldexp_f64 v[4:5], v[4:5], 32
	v_add_f64 v[2:3], v[4:5], v[2:3]
	s_branch .LBB497_262
.LBB497_259:
	s_mov_b64 s[2:3], -1
                                        ; implicit-def: $vgpr2_vgpr3
	s_branch .LBB497_268
.LBB497_260:
	s_mov_b64 s[2:3], -1
                                        ; implicit-def: $vgpr2_vgpr3
	s_branch .LBB497_265
.LBB497_261:
	s_mov_b64 s[2:3], -1
                                        ; implicit-def: $vgpr2_vgpr3
.LBB497_262:
	s_andn2_b64 vcc, exec, s[2:3]
	s_cbranch_vccnz .LBB497_264
; %bb.263:
	global_load_dword v2, v[0:1], off
	s_waitcnt vmcnt(0)
	v_cvt_f64_i32_e32 v[2:3], v2
.LBB497_264:
	s_mov_b64 s[2:3], 0
.LBB497_265:
	s_andn2_b64 vcc, exec, s[2:3]
	s_cbranch_vccnz .LBB497_267
; %bb.266:
	global_load_sshort v2, v[0:1], off
	s_waitcnt vmcnt(0)
	v_cvt_f64_i32_e32 v[2:3], v2
.LBB497_267:
	s_mov_b64 s[2:3], 0
.LBB497_268:
	s_andn2_b64 vcc, exec, s[2:3]
	s_cbranch_vccnz .LBB497_274
; %bb.269:
	s_cmp_gt_i32 s18, 0
	s_cbranch_scc0 .LBB497_271
; %bb.270:
	global_load_sbyte v2, v[0:1], off
	s_mov_b64 s[2:3], 0
	s_waitcnt vmcnt(0)
	v_cvt_f64_i32_e32 v[2:3], v2
	s_branch .LBB497_272
.LBB497_271:
	s_mov_b64 s[2:3], -1
                                        ; implicit-def: $vgpr2_vgpr3
.LBB497_272:
	s_andn2_b64 vcc, exec, s[2:3]
	s_cbranch_vccnz .LBB497_274
; %bb.273:
	global_load_ubyte v0, v[0:1], off
	s_waitcnt vmcnt(0)
	v_cvt_f64_u32_e32 v[2:3], v0
.LBB497_274:
	s_waitcnt vmcnt(0)
	v_mov_b64_e32 v[4:5], 0
.LBB497_275:
	s_branch .LBB497_26
.LBB497_276:
	s_mov_b64 s[14:15], 0
.LBB497_277:
	s_mov_b64 s[2:3], 0
                                        ; implicit-def: $vgpr10
.LBB497_278:
	s_and_b64 s[60:61], s[14:15], exec
	s_and_b64 s[62:63], s[12:13], exec
	s_orn2_b64 s[12:13], s[2:3], exec
.LBB497_279:
	s_or_b64 exec, exec, s[64:65]
	s_mov_b64 s[14:15], 0
	s_mov_b64 s[2:3], 0
                                        ; implicit-def: $vgpr0_vgpr1
                                        ; implicit-def: $vgpr8
                                        ; implicit-def: $vgpr6_vgpr7
	s_and_saveexec_b64 s[64:65], s[12:13]
	s_cbranch_execz .LBB497_287
; %bb.280:
	v_cmp_gt_i32_e32 vcc, s76, v10
	s_mov_b64 s[2:3], -1
	s_mov_b64 s[66:67], s[62:63]
	s_mov_b64 s[68:69], s[60:61]
	s_and_saveexec_b64 s[70:71], vcc
	s_cbranch_execz .LBB497_569
; %bb.281:
	s_andn2_b64 vcc, exec, s[46:47]
	s_cbranch_vccnz .LBB497_290
; %bb.282:
	s_andn2_b64 vcc, exec, s[58:59]
	s_cbranch_vccnz .LBB497_291
; %bb.283:
	s_add_i32 s69, s81, 1
	s_cmp_eq_u32 s78, 2
	s_cbranch_scc1 .LBB497_292
; %bb.284:
	s_and_b32 s68, s69, 28
	s_mov_b32 s72, 0
	v_mov_b32_e32 v6, 0
	v_mov_b32_e32 v0, 0
	s_mov_b64 s[2:3], s[34:35]
	s_mov_b64 s[66:67], s[56:57]
	s_waitcnt vmcnt(0)
	v_mov_b32_e32 v2, v10
.LBB497_285:                            ; =>This Inner Loop Header: Depth=1
	s_load_dwordx8 s[20:27], s[2:3], 0x4
	s_load_dwordx4 s[40:43], s[2:3], 0x24
	s_load_dwordx8 s[12:19], s[66:67], 0x0
	s_add_u32 s2, s2, 48
	s_addc_u32 s3, s3, 0
	s_waitcnt lgkmcnt(0)
	v_mul_hi_u32 v1, s21, v2
	v_add_u32_e32 v1, v2, v1
	v_lshrrev_b32_e32 v1, s22, v1
	v_mul_lo_u32 v3, v1, s20
	v_mul_hi_u32 v4, s24, v1
	v_sub_u32_e32 v2, v2, v3
	v_add_u32_e32 v3, v1, v4
	v_lshrrev_b32_e32 v3, s25, v3
	v_mul_lo_u32 v5, v3, s23
	v_mul_hi_u32 v7, s27, v3
	v_sub_u32_e32 v1, v1, v5
	v_add_u32_e32 v5, v3, v7
	v_mul_lo_u32 v4, v2, s13
	v_mul_lo_u32 v2, v2, s12
	;; [unrolled: 1-line block ×4, first 2 shown]
	v_lshrrev_b32_e32 v5, s40, v5
	v_add3_u32 v1, v2, v6, v1
	v_add3_u32 v0, v4, v0, v7
	v_mul_lo_u32 v2, v5, s26
	v_mul_hi_u32 v4, s42, v5
	v_sub_u32_e32 v2, v3, v2
	v_add_u32_e32 v3, v5, v4
	v_mul_lo_u32 v4, v2, s16
	v_mul_lo_u32 v6, v2, s17
	v_lshrrev_b32_e32 v2, s43, v3
	s_add_i32 s72, s72, 4
	v_mul_lo_u32 v3, v2, s41
	s_add_u32 s66, s66, 32
	v_sub_u32_e32 v3, v5, v3
	s_addc_u32 s67, s67, 0
	v_mul_lo_u32 v5, v3, s18
	v_mul_lo_u32 v3, v3, s19
	s_cmp_eq_u32 s68, s72
	v_add3_u32 v0, v6, v0, v3
	v_add3_u32 v6, v4, v1, v5
	s_cbranch_scc0 .LBB497_285
; %bb.286:
	v_mov_b32_e32 v1, v0
	s_branch .LBB497_293
.LBB497_287:
	s_or_b64 exec, exec, s[64:65]
	s_mov_b64 s[6:7], 0
	s_and_saveexec_b64 s[12:13], s[62:63]
	s_cbranch_execnz .LBB497_963
.LBB497_288:
	s_or_b64 exec, exec, s[12:13]
	s_and_saveexec_b64 s[12:13], s[68:69]
	s_xor_b64 s[12:13], exec, s[12:13]
	s_cbranch_execz .LBB497_964
.LBB497_289:
	global_load_ubyte v2, v[0:1], off
	s_waitcnt vmcnt(1)
	v_mov_b32_e32 v3, 0x3ff00000
	v_mov_b32_e32 v4, 0
	v_mov_b64_e32 v[6:7], 0
	s_or_b64 s[2:3], s[2:3], exec
	s_waitcnt vmcnt(0)
	v_cmp_ne_u16_e32 vcc, 0, v2
	s_nop 1
	v_cndmask_b32_e32 v5, 0, v3, vcc
	s_or_b64 exec, exec, s[12:13]
	s_and_saveexec_b64 s[12:13], s[14:15]
	s_cbranch_execz .LBB497_1012
	s_branch .LBB497_965
.LBB497_290:
                                        ; implicit-def: $vgpr0
                                        ; implicit-def: $vgpr6
	s_andn2_b64 vcc, exec, s[2:3]
	s_cbranch_vccz .LBB497_297
	s_branch .LBB497_299
.LBB497_291:
	v_mov_b32_e32 v0, 0
	v_mov_b32_e32 v6, 0
	s_branch .LBB497_296
.LBB497_292:
	v_mov_b32_e32 v6, 0
	s_mov_b32 s68, 0
	v_mov_b32_e32 v1, v6
                                        ; implicit-def: $vgpr0
	s_waitcnt vmcnt(0)
	v_mov_b32_e32 v2, v10
.LBB497_293:
	s_and_b32 s14, s69, 3
	s_cmp_eq_u32 s14, 0
	s_cbranch_scc1 .LBB497_296
; %bb.294:
	s_lshl_b32 s2, s68, 3
	s_add_u32 s2, s34, s2
	s_addc_u32 s3, s35, 0
	s_add_u32 s2, s2, 0xc4
	s_addc_u32 s3, s3, 0
	s_mul_i32 s12, s68, 12
	s_add_u32 s12, s34, s12
	s_addc_u32 s13, s35, 0
.LBB497_295:                            ; =>This Inner Loop Header: Depth=1
	s_load_dwordx2 s[16:17], s[12:13], 0x4
	s_load_dword s15, s[12:13], 0xc
	s_load_dwordx2 s[18:19], s[2:3], 0x0
	v_mov_b32_e32 v0, v1
	s_add_u32 s12, s12, 12
	s_waitcnt lgkmcnt(0)
	v_mul_hi_u32 v1, s17, v2
	v_add_u32_e32 v1, v2, v1
	v_lshrrev_b32_e32 v1, s15, v1
	s_addc_u32 s13, s13, 0
	v_mul_lo_u32 v3, v1, s16
	s_add_u32 s2, s2, 8
	v_sub_u32_e32 v3, v2, v3
	s_addc_u32 s3, s3, 0
	s_add_i32 s14, s14, -1
	v_mov_b32_e32 v2, v1
	v_mad_u64_u32 v[0:1], s[16:17], v3, s19, v[0:1]
	s_cmp_lg_u32 s14, 0
	v_mad_u64_u32 v[6:7], s[16:17], v3, s18, v[6:7]
	v_mov_b32_e32 v1, v0
	s_cbranch_scc1 .LBB497_295
.LBB497_296:
	s_cbranch_execnz .LBB497_299
.LBB497_297:
	v_mul_hi_u32 v0, s29, v10
	v_add_u32_e32 v0, v10, v0
	v_lshrrev_b32_e32 v1, s30, v0
	v_mul_lo_u32 v0, v1, s28
	s_waitcnt vmcnt(0)
	v_sub_u32_e32 v2, v10, v0
	v_mul_lo_u32 v0, v2, s37
	s_andn2_b64 vcc, exec, s[54:55]
	v_mul_lo_u32 v6, v2, s36
	s_cbranch_vccnz .LBB497_299
; %bb.298:
	v_mul_hi_u32 v2, s52, v1
	v_add_u32_e32 v2, v1, v2
	v_lshrrev_b32_e32 v2, s53, v2
	v_mul_lo_u32 v2, v2, s31
	v_sub_u32_e32 v1, v1, v2
	v_mad_u64_u32 v[6:7], s[2:3], v1, s38, v[6:7]
	v_mad_u64_u32 v[0:1], s[2:3], v1, s39, v[0:1]
.LBB497_299:
	v_mov_b32_e32 v1, 0
	s_and_b32 s18, 0xffff, s80
	s_cmp_lt_i32 s18, 11
	v_lshl_add_u64 v[0:1], s[6:7], 0, v[0:1]
	s_cbranch_scc1 .LBB497_306
; %bb.300:
	s_cmp_gt_i32 s18, 25
	s_cbranch_scc0 .LBB497_323
; %bb.301:
	s_cmp_gt_i32 s18, 28
	s_cbranch_scc0 .LBB497_325
; %bb.302:
	s_cmp_gt_i32 s18, 43
	s_cbranch_scc0 .LBB497_327
; %bb.303:
	s_cmp_gt_i32 s18, 45
	s_cbranch_scc0 .LBB497_331
; %bb.304:
	s_cmp_eq_u32 s18, 46
	s_mov_b64 s[14:15], 0
	s_cbranch_scc0 .LBB497_335
; %bb.305:
	global_load_dword v2, v[0:1], off
	s_mov_b64 s[2:3], -1
	s_mov_b64 s[12:13], 0
	s_waitcnt vmcnt(0)
	v_and_b32_e32 v4, 0xffff0000, v2
	v_lshlrev_b32_e32 v2, 16, v2
	v_cvt_f64_f32_e32 v[2:3], v2
	v_cvt_f64_f32_e32 v[4:5], v4
	s_branch .LBB497_336
.LBB497_306:
	s_mov_b64 s[2:3], 0
                                        ; implicit-def: $vgpr4_vgpr5
	s_mov_b64 s[12:13], s[62:63]
	s_cbranch_execnz .LBB497_516
.LBB497_307:
	s_andn2_b64 vcc, exec, s[2:3]
	s_cbranch_vccnz .LBB497_566
.LBB497_308:
	s_waitcnt vmcnt(0)
	v_cmp_o_f64_e32 vcc, v[2:3], v[2:3]
	v_mov_b64_e32 v[0:1], s[8:9]
	s_and_saveexec_b64 s[2:3], vcc
	s_cbranch_execz .LBB497_312
; %bb.309:
	s_mov_b32 s14, 0
	s_mov_b32 s15, 0x7ff00000
	v_cmp_neq_f64_e32 vcc, s[14:15], v[2:3]
	v_mov_b64_e32 v[0:1], s[10:11]
	s_and_saveexec_b64 s[14:15], vcc
; %bb.310:
	s_mov_b32 s16, 0
	s_mov_b32 s17, 0xfff00000
	v_mov_b32_e32 v0, s51
	v_cmp_eq_f64_e32 vcc, s[16:17], v[2:3]
	s_nop 1
	v_cndmask_b32_e32 v1, v3, v0, vcc
	v_mov_b32_e32 v0, s50
	v_cndmask_b32_e32 v0, v2, v0, vcc
; %bb.311:
	s_or_b64 exec, exec, s[14:15]
.LBB497_312:
	s_or_b64 exec, exec, s[2:3]
	v_cmp_o_f64_e32 vcc, v[4:5], v[4:5]
	v_mov_b64_e32 v[2:3], s[8:9]
	s_and_saveexec_b64 s[2:3], vcc
	s_cbranch_execz .LBB497_316
; %bb.313:
	s_mov_b32 s14, 0
	s_mov_b32 s15, 0x7ff00000
	v_cmp_neq_f64_e32 vcc, s[14:15], v[4:5]
	v_mov_b64_e32 v[2:3], s[10:11]
	s_and_saveexec_b64 s[14:15], vcc
; %bb.314:
	s_mov_b32 s16, 0
	s_mov_b32 s17, 0xfff00000
	v_mov_b32_e32 v2, s51
	v_cmp_eq_f64_e32 vcc, s[16:17], v[4:5]
	s_nop 1
	v_cndmask_b32_e32 v3, v5, v2, vcc
	v_mov_b32_e32 v2, s50
	v_cndmask_b32_e32 v2, v4, v2, vcc
; %bb.315:
	s_or_b64 exec, exec, s[14:15]
.LBB497_316:
	s_or_b64 exec, exec, s[2:3]
	v_mov_b32_e32 v7, 0
	s_and_b32 s20, s79, 0xff
	s_cmp_lt_i32 s20, 11
	v_lshl_add_u64 v[4:5], s[4:5], 0, v[6:7]
	s_cbranch_scc1 .LBB497_324
; %bb.317:
	s_and_b32 s21, 0xffff, s20
	s_cmp_gt_i32 s21, 25
	s_cbranch_scc0 .LBB497_326
; %bb.318:
	s_cmp_gt_i32 s21, 28
	s_cbranch_scc0 .LBB497_328
; %bb.319:
	;; [unrolled: 3-line block ×4, first 2 shown]
	s_mov_b64 s[16:17], 0
	s_mov_b64 s[14:15], -1
	s_cmp_eq_u32 s21, 46
	s_mov_b64 s[2:3], 0
	s_cbranch_scc0 .LBB497_340
; %bb.322:
	v_cvt_f32_f64_e32 v7, v[2:3]
	s_movk_i32 s2, 0x7fff
	v_bfe_u32 v9, v7, 16, 1
	v_cvt_f32_f64_e32 v6, v[0:1]
	v_add3_u32 v9, v7, v9, s2
	v_bfe_u32 v8, v6, 16, 1
	v_and_b32_e32 v9, 0xffff0000, v9
	v_mov_b32_e32 v11, 0x7fc00000
	v_cmp_o_f32_e32 vcc, v7, v7
	v_add3_u32 v8, v6, v8, s2
	s_mov_b64 s[2:3], -1
	v_cndmask_b32_e32 v7, v11, v9, vcc
	v_cmp_o_f32_e32 vcc, v6, v6
	v_mov_b32_e32 v6, 0x7fc0
	s_mov_b64 s[14:15], 0
	v_cndmask_b32_sdwa v6, v6, v8, vcc dst_sel:DWORD dst_unused:UNUSED_PAD src0_sel:DWORD src1_sel:WORD_1
	v_or_b32_e32 v6, v7, v6
	global_store_dword v[4:5], v6, off
	s_branch .LBB497_340
.LBB497_323:
	s_mov_b64 s[14:15], -1
	s_mov_b64 s[2:3], 0
	s_mov_b64 s[12:13], s[62:63]
                                        ; implicit-def: $vgpr4_vgpr5
	s_branch .LBB497_481
.LBB497_324:
	s_mov_b64 s[16:17], -1
	s_mov_b64 s[2:3], 0
	s_mov_b64 s[14:15], s[60:61]
	s_branch .LBB497_409
.LBB497_325:
	s_mov_b64 s[14:15], -1
	s_mov_b64 s[2:3], 0
	s_mov_b64 s[12:13], s[62:63]
                                        ; implicit-def: $vgpr4_vgpr5
	s_branch .LBB497_460
.LBB497_326:
	s_mov_b64 s[16:17], -1
	s_mov_b64 s[2:3], 0
	s_mov_b64 s[14:15], s[60:61]
	s_branch .LBB497_367
.LBB497_327:
	s_mov_b64 s[14:15], -1
	s_mov_b64 s[2:3], 0
	s_mov_b64 s[12:13], s[62:63]
                                        ; implicit-def: $vgpr4_vgpr5
	s_branch .LBB497_454
.LBB497_328:
	s_mov_b64 s[16:17], -1
	s_mov_b64 s[2:3], 0
	s_mov_b64 s[14:15], s[60:61]
	s_branch .LBB497_350
.LBB497_329:
	s_andn2_saveexec_b64 s[18:19], s[18:19]
	s_cbranch_execz .LBB497_77
.LBB497_330:
	s_mov_b32 s22, 0x46000000
	v_add_f32_e64 v7, |v6|, s22
	v_and_b32_e32 v7, 0xff, v7
	v_cmp_ne_u32_e32 vcc, 0, v7
	s_andn2_b64 s[16:17], s[16:17], exec
	s_and_b64 s[22:23], vcc, exec
	s_or_b64 s[16:17], s[16:17], s[22:23]
	s_or_b64 exec, exec, s[18:19]
	v_mov_b32_e32 v8, 0
	s_and_saveexec_b64 s[18:19], s[16:17]
	s_cbranch_execnz .LBB497_78
	s_branch .LBB497_79
.LBB497_331:
	s_mov_b64 s[14:15], -1
	s_mov_b64 s[2:3], 0
	s_mov_b64 s[12:13], s[62:63]
                                        ; implicit-def: $vgpr4_vgpr5
	s_branch .LBB497_336
.LBB497_332:
	s_mov_b64 s[16:17], -1
	s_mov_b64 s[2:3], 0
	s_mov_b64 s[14:15], s[60:61]
	s_branch .LBB497_346
.LBB497_333:
	s_andn2_saveexec_b64 s[18:19], s[18:19]
	s_cbranch_execz .LBB497_90
.LBB497_334:
	s_mov_b32 s22, 0x42800000
	v_add_f32_e64 v7, |v6|, s22
	v_and_b32_e32 v7, 0xff, v7
	v_cmp_ne_u32_e32 vcc, 0, v7
	s_andn2_b64 s[16:17], s[16:17], exec
	s_and_b64 s[22:23], vcc, exec
	s_or_b64 s[16:17], s[16:17], s[22:23]
	s_or_b64 exec, exec, s[18:19]
	v_mov_b32_e32 v8, 0
	s_and_saveexec_b64 s[18:19], s[16:17]
	s_cbranch_execnz .LBB497_91
	s_branch .LBB497_92
.LBB497_335:
	s_mov_b64 s[12:13], -1
                                        ; implicit-def: $vgpr4_vgpr5
	s_mov_b64 s[2:3], 0
.LBB497_336:
	s_and_b64 vcc, exec, s[14:15]
	s_cbranch_vccz .LBB497_453
; %bb.337:
	s_cmp_eq_u32 s18, 44
	s_cbranch_scc0 .LBB497_451
; %bb.338:
	global_load_ubyte v4, v[0:1], off
	s_movk_i32 s12, 0xff
	s_waitcnt vmcnt(1)
	v_bfrev_b32_e32 v5, 4
	v_mov_b32_e32 v7, 0x7ff80000
	v_bfrev_b32_e32 v8, 28
	s_mov_b64 s[2:3], -1
	s_waitcnt vmcnt(0)
	v_lshlrev_b32_e32 v2, 23, v4
	v_cvt_f64_f32_e32 v[2:3], v2
	v_cmp_ne_u32_e32 vcc, s12, v4
	s_mov_b64 s[12:13], 0
	s_nop 0
	v_cndmask_b32_e32 v2, v5, v2, vcc
	v_cndmask_b32_e32 v3, v7, v3, vcc
	v_cmp_ne_u32_e32 vcc, 0, v4
	s_nop 1
	v_cndmask_b32_e32 v3, v8, v3, vcc
	v_cndmask_b32_e32 v2, 0, v2, vcc
	s_branch .LBB497_452
.LBB497_339:
	s_mov_b64 s[16:17], -1
	s_mov_b64 s[2:3], 0
	s_mov_b64 s[14:15], s[60:61]
.LBB497_340:
	s_and_b64 vcc, exec, s[16:17]
	s_cbranch_vccz .LBB497_345
; %bb.341:
	s_cmp_eq_u32 s21, 44
	s_mov_b64 s[14:15], -1
	s_cbranch_scc0 .LBB497_345
; %bb.342:
	v_cvt_f32_f64_e32 v6, v[0:1]
	v_bfe_u32 v7, v6, 23, 8
	s_movk_i32 s2, 0xff
	v_cmp_ne_u32_e32 vcc, s2, v7
	v_mov_b32_e32 v8, 0xff
	s_and_saveexec_b64 s[14:15], vcc
; %bb.343:
	s_mov_b32 s2, 0x3fffff
	v_lshrrev_b32_e32 v8, 23, v6
	v_and_b32_e32 v9, 0x400000, v6
	v_and_or_b32 v6, v6, s2, v7
	v_cmp_ne_u32_e32 vcc, 0, v9
	v_cmp_ne_u32_e64 s[2:3], 0, v6
	s_and_b64 s[2:3], vcc, s[2:3]
	s_nop 0
	v_cndmask_b32_e64 v6, 0, 1, s[2:3]
	v_add_u32_e32 v8, v8, v6
; %bb.344:
	s_or_b64 exec, exec, s[14:15]
	s_mov_b64 s[2:3], -1
	s_mov_b64 s[14:15], 0
	global_store_byte v[4:5], v8, off
.LBB497_345:
	s_mov_b64 s[16:17], 0
.LBB497_346:
	s_and_b64 vcc, exec, s[16:17]
	s_cbranch_vccz .LBB497_349
; %bb.347:
	s_cmp_eq_u32 s21, 29
	s_mov_b64 s[14:15], -1
	s_cbranch_scc0 .LBB497_349
; %bb.348:
	v_trunc_f64_e32 v[6:7], v[0:1]
	s_movk_i32 s2, 0xffe0
	v_ldexp_f64 v[8:9], v[6:7], s2
	v_floor_f64_e32 v[8:9], v[8:9]
	v_fmac_f64_e32 v[6:7], 0xc1f00000, v[8:9]
	v_cvt_u32_f64_e32 v13, v[8:9]
	v_cvt_u32_f64_e32 v12, v[6:7]
	global_store_dwordx2 v[4:5], v[12:13], off
	s_mov_b64 s[2:3], -1
	s_mov_b64 s[14:15], 0
.LBB497_349:
	s_mov_b64 s[16:17], 0
.LBB497_350:
	s_and_b64 vcc, exec, s[16:17]
	s_cbranch_vccz .LBB497_366
; %bb.351:
	s_cmp_lt_i32 s21, 27
	s_mov_b64 s[2:3], -1
	s_cbranch_scc1 .LBB497_357
; %bb.352:
	s_cmp_gt_i32 s21, 27
	v_cvt_u32_f64_e32 v6, v[0:1]
	s_cbranch_scc0 .LBB497_354
; %bb.353:
	s_mov_b64 s[2:3], 0
	global_store_dword v[4:5], v6, off
.LBB497_354:
	s_andn2_b64 vcc, exec, s[2:3]
	s_cbranch_vccnz .LBB497_356
; %bb.355:
	global_store_short v[4:5], v6, off
.LBB497_356:
	s_mov_b64 s[2:3], 0
.LBB497_357:
	s_andn2_b64 vcc, exec, s[2:3]
	s_cbranch_vccnz .LBB497_365
; %bb.358:
	v_cvt_f32_f64_e32 v6, v[0:1]
	v_and_b32_e32 v7, 0x7fffffff, v6
	s_mov_b32 s2, 0x43800000
	v_cmp_gt_u32_e32 vcc, s2, v7
	v_mov_b32_e32 v8, 0x80
	s_and_saveexec_b64 s[2:3], vcc
	s_cbranch_execz .LBB497_364
; %bb.359:
	s_mov_b32 s16, 0x3bffffff
	v_cmp_lt_u32_e32 vcc, s16, v7
	s_mov_b64 s[16:17], 0
                                        ; implicit-def: $vgpr7
	s_and_saveexec_b64 s[18:19], vcc
	s_xor_b64 s[18:19], exec, s[18:19]
	s_cbranch_execz .LBB497_598
; %bb.360:
	v_bfe_u32 v7, v6, 20, 1
	s_mov_b32 s22, 0x487ffff
	v_add3_u32 v7, v6, v7, s22
	s_mov_b64 s[16:17], exec
	v_lshrrev_b32_e32 v7, 20, v7
	s_andn2_saveexec_b64 s[18:19], s[18:19]
	s_cbranch_execnz .LBB497_599
.LBB497_361:
	s_or_b64 exec, exec, s[18:19]
	v_mov_b32_e32 v8, 0
	s_and_saveexec_b64 s[18:19], s[16:17]
.LBB497_362:
	v_lshrrev_b32_e32 v6, 24, v6
	s_movk_i32 s16, 0x80
	v_and_or_b32 v8, v6, s16, v7
.LBB497_363:
	s_or_b64 exec, exec, s[18:19]
.LBB497_364:
	s_or_b64 exec, exec, s[2:3]
	global_store_byte v[4:5], v8, off
.LBB497_365:
	s_mov_b64 s[2:3], -1
.LBB497_366:
	s_mov_b64 s[16:17], 0
.LBB497_367:
	s_and_b64 vcc, exec, s[16:17]
	s_cbranch_vccz .LBB497_408
; %bb.368:
	s_cmp_gt_i32 s21, 22
	s_mov_b64 s[16:17], -1
	s_cbranch_scc0 .LBB497_400
; %bb.369:
	s_cmp_lt_i32 s21, 24
	s_mov_b64 s[2:3], -1
	s_cbranch_scc1 .LBB497_389
; %bb.370:
	s_cmp_gt_i32 s21, 24
	s_cbranch_scc0 .LBB497_378
; %bb.371:
	v_cvt_f32_f64_e32 v6, v[0:1]
	v_and_b32_e32 v7, 0x7fffffff, v6
	s_mov_b32 s2, 0x47800000
	v_cmp_gt_u32_e32 vcc, s2, v7
	v_mov_b32_e32 v8, 0x80
	s_and_saveexec_b64 s[2:3], vcc
	s_cbranch_execz .LBB497_377
; %bb.372:
	s_mov_b32 s16, 0x37ffffff
	v_cmp_lt_u32_e32 vcc, s16, v7
	s_mov_b64 s[16:17], 0
                                        ; implicit-def: $vgpr7
	s_and_saveexec_b64 s[18:19], vcc
	s_xor_b64 s[18:19], exec, s[18:19]
	s_cbranch_execz .LBB497_601
; %bb.373:
	v_bfe_u32 v7, v6, 21, 1
	s_mov_b32 s22, 0x88fffff
	v_add3_u32 v7, v6, v7, s22
	s_mov_b64 s[16:17], exec
	v_lshrrev_b32_e32 v7, 21, v7
	s_andn2_saveexec_b64 s[18:19], s[18:19]
	s_cbranch_execnz .LBB497_602
.LBB497_374:
	s_or_b64 exec, exec, s[18:19]
	v_mov_b32_e32 v8, 0
	s_and_saveexec_b64 s[18:19], s[16:17]
.LBB497_375:
	v_lshrrev_b32_e32 v6, 24, v6
	s_movk_i32 s16, 0x80
	v_and_or_b32 v8, v6, s16, v7
.LBB497_376:
	s_or_b64 exec, exec, s[18:19]
.LBB497_377:
	s_or_b64 exec, exec, s[2:3]
	s_mov_b64 s[2:3], 0
	global_store_byte v[4:5], v8, off
.LBB497_378:
	s_and_b64 vcc, exec, s[2:3]
	s_cbranch_vccz .LBB497_388
; %bb.379:
	v_cvt_f32_f64_e32 v6, v[0:1]
	v_and_b32_e32 v8, 0x7fffffff, v6
	s_mov_b32 s2, 0x43f00000
	v_cmp_gt_u32_e32 vcc, s2, v8
                                        ; implicit-def: $vgpr7
	s_and_saveexec_b64 s[2:3], vcc
	s_xor_b64 s[2:3], exec, s[2:3]
	s_cbranch_execz .LBB497_385
; %bb.380:
	s_mov_b32 s16, 0x3c7fffff
	v_cmp_lt_u32_e32 vcc, s16, v8
                                        ; implicit-def: $vgpr7
	s_and_saveexec_b64 s[16:17], vcc
	s_xor_b64 s[16:17], exec, s[16:17]
; %bb.381:
	v_bfe_u32 v7, v6, 20, 1
	s_mov_b32 s18, 0x407ffff
	v_add3_u32 v7, v6, v7, s18
	v_lshrrev_b32_e32 v8, 20, v7
	v_and_b32_e32 v7, 0xff00000, v7
	s_mov_b32 s18, 0x7f00000
	v_mov_b32_e32 v9, 0x7e
	v_cmp_ne_u32_e32 vcc, s18, v7
	s_nop 1
	v_cndmask_b32_e32 v7, v9, v8, vcc
; %bb.382:
	s_andn2_saveexec_b64 s[16:17], s[16:17]
; %bb.383:
	s_mov_b32 s18, 0x46800000
	v_add_f32_e64 v7, |v6|, s18
; %bb.384:
	s_or_b64 exec, exec, s[16:17]
                                        ; implicit-def: $vgpr8
.LBB497_385:
	s_andn2_saveexec_b64 s[2:3], s[2:3]
; %bb.386:
	s_mov_b32 s16, 0x7f800000
	v_mov_b32_e32 v7, 0x7e
	v_mov_b32_e32 v9, 0x7f
	v_cmp_lt_u32_e32 vcc, s16, v8
	s_nop 1
	v_cndmask_b32_e32 v7, v7, v9, vcc
; %bb.387:
	s_or_b64 exec, exec, s[2:3]
	v_lshrrev_b32_e32 v6, 24, v6
	s_movk_i32 s2, 0x80
	v_and_or_b32 v6, v6, s2, v7
	global_store_byte v[4:5], v6, off
.LBB497_388:
	s_mov_b64 s[2:3], 0
.LBB497_389:
	s_andn2_b64 vcc, exec, s[2:3]
	s_cbranch_vccnz .LBB497_399
; %bb.390:
	v_cvt_f32_f64_e32 v6, v[0:1]
	v_and_b32_e32 v8, 0x7fffffff, v6
	s_mov_b32 s2, 0x47800000
	v_cmp_gt_u32_e32 vcc, s2, v8
                                        ; implicit-def: $vgpr7
	s_and_saveexec_b64 s[2:3], vcc
	s_xor_b64 s[2:3], exec, s[2:3]
	s_cbranch_execz .LBB497_396
; %bb.391:
	s_mov_b32 s16, 0x387fffff
	v_cmp_lt_u32_e32 vcc, s16, v8
                                        ; implicit-def: $vgpr7
	s_and_saveexec_b64 s[16:17], vcc
	s_xor_b64 s[16:17], exec, s[16:17]
; %bb.392:
	v_bfe_u32 v7, v6, 21, 1
	s_mov_b32 s18, 0x80fffff
	v_add3_u32 v7, v6, v7, s18
	v_lshrrev_b32_e32 v7, 21, v7
; %bb.393:
	s_andn2_saveexec_b64 s[16:17], s[16:17]
; %bb.394:
	s_mov_b32 s18, 0x43000000
	v_add_f32_e64 v7, |v6|, s18
; %bb.395:
	s_or_b64 exec, exec, s[16:17]
                                        ; implicit-def: $vgpr8
.LBB497_396:
	s_andn2_saveexec_b64 s[2:3], s[2:3]
; %bb.397:
	s_mov_b32 s16, 0x7f800000
	v_mov_b32_e32 v7, 0x7c
	v_mov_b32_e32 v9, 0x7f
	v_cmp_lt_u32_e32 vcc, s16, v8
	s_nop 1
	v_cndmask_b32_e32 v7, v7, v9, vcc
; %bb.398:
	s_or_b64 exec, exec, s[2:3]
	v_lshrrev_b32_e32 v6, 24, v6
	s_movk_i32 s2, 0x80
	v_and_or_b32 v6, v6, s2, v7
	global_store_byte v[4:5], v6, off
.LBB497_399:
	s_mov_b64 s[16:17], 0
	s_mov_b64 s[2:3], -1
.LBB497_400:
	s_andn2_b64 vcc, exec, s[16:17]
	s_cbranch_vccnz .LBB497_408
; %bb.401:
	s_cmp_gt_i32 s21, 14
	s_mov_b64 s[16:17], -1
	s_cbranch_scc0 .LBB497_405
; %bb.402:
	s_cmp_eq_u32 s21, 15
	s_mov_b64 s[14:15], -1
	s_cbranch_scc0 .LBB497_404
; %bb.403:
	v_cvt_f32_f64_e32 v6, v[0:1]
	v_bfe_u32 v7, v6, 16, 1
	s_movk_i32 s2, 0x7fff
	v_add3_u32 v7, v6, v7, s2
	v_cmp_o_f32_e32 vcc, v6, v6
	v_mov_b32_e32 v6, 0x7fc0
	s_mov_b64 s[2:3], -1
	v_cndmask_b32_sdwa v6, v6, v7, vcc dst_sel:DWORD dst_unused:UNUSED_PAD src0_sel:DWORD src1_sel:WORD_1
	global_store_short v[4:5], v6, off
	s_mov_b64 s[14:15], 0
.LBB497_404:
	s_mov_b64 s[16:17], 0
.LBB497_405:
	s_and_b64 vcc, exec, s[16:17]
	s_cbranch_vccz .LBB497_408
; %bb.406:
	s_cmp_eq_u32 s21, 11
	s_mov_b64 s[14:15], -1
	s_cbranch_scc0 .LBB497_408
; %bb.407:
	v_cmp_neq_f64_e32 vcc, 0, v[0:1]
	v_cmp_neq_f64_e64 s[2:3], 0, v[2:3]
	s_or_b64 s[2:3], vcc, s[2:3]
	s_mov_b64 s[14:15], 0
	v_cndmask_b32_e64 v6, 0, 1, s[2:3]
	s_mov_b64 s[2:3], -1
	global_store_byte v[4:5], v6, off
.LBB497_408:
	s_mov_b64 s[16:17], 0
.LBB497_409:
	s_and_b64 vcc, exec, s[16:17]
	s_cbranch_vccz .LBB497_448
; %bb.410:
	s_and_b32 s16, 0xffff, s20
	s_cmp_lt_i32 s16, 5
	s_mov_b64 s[2:3], -1
	s_cbranch_scc1 .LBB497_431
; %bb.411:
	s_cmp_lt_i32 s16, 8
	s_cbranch_scc1 .LBB497_421
; %bb.412:
	s_cmp_lt_i32 s16, 9
	s_cbranch_scc1 .LBB497_418
; %bb.413:
	s_cmp_gt_i32 s16, 9
	s_cbranch_scc0 .LBB497_415
; %bb.414:
	s_mov_b64 s[2:3], 0
	global_store_dwordx4 v[4:5], v[0:3], off
.LBB497_415:
	s_andn2_b64 vcc, exec, s[2:3]
	s_cbranch_vccnz .LBB497_417
; %bb.416:
	v_cvt_f32_f64_e32 v7, v[2:3]
	v_cvt_f32_f64_e32 v6, v[0:1]
	global_store_dwordx2 v[4:5], v[6:7], off
.LBB497_417:
	s_mov_b64 s[2:3], 0
.LBB497_418:
	s_andn2_b64 vcc, exec, s[2:3]
	s_cbranch_vccnz .LBB497_420
; %bb.419:
	s_movk_i32 s2, 0x1ff
	v_and_or_b32 v6, v1, s2, v0
	v_cmp_ne_u32_e32 vcc, 0, v6
	v_lshrrev_b32_e32 v7, 8, v1
	s_movk_i32 s3, 0xffe
	v_cndmask_b32_e64 v6, 0, 1, vcc
	v_bfe_u32 v8, v1, 20, 11
	v_and_or_b32 v6, v7, s3, v6
	v_sub_u32_e32 v9, 0x3f1, v8
	v_or_b32_e32 v7, 0x1000, v6
	v_med3_i32 v9, v9, 0, 13
	v_lshrrev_b32_e32 v11, v9, v7
	v_lshlrev_b32_e32 v9, v9, v11
	v_cmp_ne_u32_e32 vcc, v9, v7
	v_add_u32_e32 v8, 0xfffffc10, v8
	v_lshl_or_b32 v9, v8, 12, v6
	v_cndmask_b32_e64 v7, 0, 1, vcc
	v_or_b32_e32 v7, v11, v7
	v_cmp_gt_i32_e32 vcc, 1, v8
	s_movk_i32 s17, 0x40f
	v_and_or_b32 v2, v3, s2, v2
	v_cndmask_b32_e32 v7, v9, v7, vcc
	v_and_b32_e32 v9, 7, v7
	v_cmp_lt_i32_e32 vcc, 5, v9
	v_lshrrev_b32_e32 v7, 2, v7
	v_bfe_u32 v12, v3, 20, 11
	v_cndmask_b32_e64 v11, 0, 1, vcc
	v_cmp_eq_u32_e32 vcc, 3, v9
	v_sub_u32_e32 v13, 0x3f1, v12
	v_med3_i32 v13, v13, 0, 13
	v_cndmask_b32_e64 v9, 0, 1, vcc
	v_or_b32_e32 v9, v9, v11
	v_add_u32_e32 v7, v7, v9
	v_mov_b32_e32 v9, 0x7c00
	v_cmp_gt_i32_e32 vcc, 31, v8
	v_mov_b32_e32 v11, 0x7e00
	v_add_u32_e32 v12, 0xfffffc10, v12
	v_cndmask_b32_e32 v7, v9, v7, vcc
	v_cmp_ne_u32_e32 vcc, 0, v6
	s_mov_b32 s18, 0x8000
	s_mov_b32 s2, 0xffff
	v_cndmask_b32_e32 v6, v9, v11, vcc
	v_cmp_eq_u32_e32 vcc, s17, v8
	v_lshrrev_b32_e32 v8, 8, v3
	v_lshrrev_b32_e32 v3, 16, v3
	v_cndmask_b32_e32 v6, v7, v6, vcc
	v_cmp_ne_u32_e32 vcc, 0, v2
	v_and_b32_sdwa v7, v1, s18 dst_sel:DWORD dst_unused:UNUSED_PAD src0_sel:WORD_1 src1_sel:DWORD
	s_nop 0
	v_cndmask_b32_e64 v2, 0, 1, vcc
	v_and_or_b32 v2, v8, s3, v2
	v_or_b32_e32 v8, 0x1000, v2
	v_lshrrev_b32_e32 v14, v13, v8
	v_lshlrev_b32_e32 v13, v13, v14
	v_cmp_ne_u32_e32 vcc, v13, v8
	v_lshl_or_b32 v13, v12, 12, v2
	s_nop 0
	v_cndmask_b32_e64 v8, 0, 1, vcc
	v_or_b32_e32 v8, v14, v8
	v_cmp_gt_i32_e32 vcc, 1, v12
	s_nop 1
	v_cndmask_b32_e32 v8, v13, v8, vcc
	v_and_b32_e32 v13, 7, v8
	v_cmp_lt_i32_e32 vcc, 5, v13
	v_lshrrev_b32_e32 v8, 2, v8
	s_nop 0
	v_cndmask_b32_e64 v14, 0, 1, vcc
	v_cmp_eq_u32_e32 vcc, 3, v13
	s_nop 1
	v_cndmask_b32_e64 v13, 0, 1, vcc
	v_or_b32_e32 v13, v13, v14
	v_add_u32_e32 v8, v8, v13
	v_cmp_gt_i32_e32 vcc, 31, v12
	s_nop 1
	v_cndmask_b32_e32 v8, v9, v8, vcc
	v_cmp_ne_u32_e32 vcc, 0, v2
	s_nop 1
	v_cndmask_b32_e32 v2, v9, v11, vcc
	v_cmp_eq_u32_e32 vcc, s17, v12
	s_nop 1
	v_cndmask_b32_e32 v2, v8, v2, vcc
	v_and_or_b32 v2, v3, s18, v2
	v_bitop3_b32 v3, v7, s2, v6 bitop3:0xc8
	v_lshl_or_b32 v2, v2, 16, v3
	global_store_dword v[4:5], v2, off
.LBB497_420:
	s_mov_b64 s[2:3], 0
.LBB497_421:
	s_andn2_b64 vcc, exec, s[2:3]
	s_cbranch_vccnz .LBB497_430
; %bb.422:
	s_cmp_lt_i32 s16, 6
	s_mov_b64 s[2:3], -1
	s_cbranch_scc1 .LBB497_428
; %bb.423:
	s_cmp_gt_i32 s16, 6
	s_cbranch_scc0 .LBB497_425
; %bb.424:
	s_mov_b64 s[2:3], 0
	global_store_dwordx2 v[4:5], v[0:1], off
.LBB497_425:
	s_andn2_b64 vcc, exec, s[2:3]
	s_cbranch_vccnz .LBB497_427
; %bb.426:
	v_cvt_f32_f64_e32 v2, v[0:1]
	global_store_dword v[4:5], v2, off
.LBB497_427:
	s_mov_b64 s[2:3], 0
.LBB497_428:
	s_andn2_b64 vcc, exec, s[2:3]
	s_cbranch_vccnz .LBB497_430
; %bb.429:
	s_movk_i32 s2, 0x1ff
	v_and_or_b32 v2, v1, s2, v0
	v_cmp_ne_u32_e32 vcc, 0, v2
	v_lshrrev_b32_e32 v3, 8, v1
	s_movk_i32 s2, 0xffe
	v_cndmask_b32_e64 v2, 0, 1, vcc
	v_bfe_u32 v6, v1, 20, 11
	v_and_or_b32 v2, v3, s2, v2
	v_sub_u32_e32 v7, 0x3f1, v6
	v_or_b32_e32 v3, 0x1000, v2
	v_med3_i32 v7, v7, 0, 13
	v_lshrrev_b32_e32 v8, v7, v3
	v_lshlrev_b32_e32 v7, v7, v8
	v_cmp_ne_u32_e32 vcc, v7, v3
	v_add_u32_e32 v6, 0xfffffc10, v6
	v_lshl_or_b32 v7, v6, 12, v2
	v_cndmask_b32_e64 v3, 0, 1, vcc
	v_or_b32_e32 v3, v8, v3
	v_cmp_gt_i32_e32 vcc, 1, v6
	s_movk_i32 s2, 0x40f
	s_nop 0
	v_cndmask_b32_e32 v3, v7, v3, vcc
	v_and_b32_e32 v7, 7, v3
	v_cmp_lt_i32_e32 vcc, 5, v7
	v_lshrrev_b32_e32 v3, 2, v3
	s_nop 0
	v_cndmask_b32_e64 v8, 0, 1, vcc
	v_cmp_eq_u32_e32 vcc, 3, v7
	s_nop 1
	v_cndmask_b32_e64 v7, 0, 1, vcc
	v_or_b32_e32 v7, v7, v8
	v_add_u32_e32 v3, v3, v7
	v_mov_b32_e32 v7, 0x7c00
	v_cmp_gt_i32_e32 vcc, 31, v6
	v_mov_b32_e32 v8, 0x7e00
	s_nop 0
	v_cndmask_b32_e32 v3, v7, v3, vcc
	v_cmp_ne_u32_e32 vcc, 0, v2
	s_nop 1
	v_cndmask_b32_e32 v2, v7, v8, vcc
	v_cmp_eq_u32_e32 vcc, s2, v6
	s_mov_b32 s2, 0x8000
	s_nop 0
	v_cndmask_b32_e32 v2, v3, v2, vcc
	v_lshrrev_b32_e32 v3, 16, v1
	v_and_or_b32 v2, v3, s2, v2
	global_store_short v[4:5], v2, off
.LBB497_430:
	s_mov_b64 s[2:3], 0
.LBB497_431:
	s_andn2_b64 vcc, exec, s[2:3]
	s_cbranch_vccnz .LBB497_447
; %bb.432:
	s_cmp_lt_i32 s16, 2
	s_mov_b64 s[2:3], -1
	s_cbranch_scc1 .LBB497_442
; %bb.433:
	s_cmp_lt_i32 s16, 3
	s_cbranch_scc1 .LBB497_439
; %bb.434:
	s_cmp_gt_i32 s16, 3
	s_cbranch_scc0 .LBB497_436
; %bb.435:
	v_trunc_f64_e32 v[2:3], v[0:1]
	s_movk_i32 s2, 0xffe0
	v_ldexp_f64 v[6:7], v[2:3], s2
	v_floor_f64_e32 v[6:7], v[6:7]
	v_fmac_f64_e32 v[2:3], 0xc1f00000, v[6:7]
	v_cvt_i32_f64_e32 v9, v[6:7]
	v_cvt_u32_f64_e32 v8, v[2:3]
	s_mov_b64 s[2:3], 0
	global_store_dwordx2 v[4:5], v[8:9], off
.LBB497_436:
	s_andn2_b64 vcc, exec, s[2:3]
	s_cbranch_vccnz .LBB497_438
; %bb.437:
	v_cvt_i32_f64_e32 v2, v[0:1]
	global_store_dword v[4:5], v2, off
.LBB497_438:
	s_mov_b64 s[2:3], 0
.LBB497_439:
	s_andn2_b64 vcc, exec, s[2:3]
	s_cbranch_vccnz .LBB497_441
; %bb.440:
	v_cvt_i32_f64_e32 v2, v[0:1]
	global_store_short v[4:5], v2, off
.LBB497_441:
	s_mov_b64 s[2:3], 0
.LBB497_442:
	s_andn2_b64 vcc, exec, s[2:3]
	s_cbranch_vccnz .LBB497_447
; %bb.443:
	s_cmp_gt_i32 s16, 0
	s_mov_b64 s[2:3], -1
	s_cbranch_scc0 .LBB497_445
; %bb.444:
	v_cvt_i32_f64_e32 v2, v[0:1]
	s_mov_b64 s[2:3], 0
	global_store_byte v[4:5], v2, off
.LBB497_445:
	s_andn2_b64 vcc, exec, s[2:3]
	s_cbranch_vccnz .LBB497_447
; %bb.446:
	v_trunc_f64_e32 v[0:1], v[0:1]
	s_movk_i32 s2, 0xffe0
	v_ldexp_f64 v[2:3], v[0:1], s2
	v_floor_f64_e32 v[2:3], v[2:3]
	v_fmac_f64_e32 v[0:1], 0xc1f00000, v[2:3]
	v_cvt_u32_f64_e32 v0, v[0:1]
	global_store_byte v[4:5], v0, off
.LBB497_447:
	s_mov_b64 s[2:3], -1
.LBB497_448:
	s_andn2_b64 vcc, exec, s[2:3]
	s_cbranch_vccnz .LBB497_450
; %bb.449:
	v_add_u32_e32 v10, 0x80, v10
	s_mov_b64 s[2:3], -1
	s_branch .LBB497_568
.LBB497_450:
	s_mov_b64 s[2:3], 0
	s_branch .LBB497_567
.LBB497_451:
	s_mov_b64 s[12:13], -1
                                        ; implicit-def: $vgpr2_vgpr3
.LBB497_452:
	s_waitcnt vmcnt(0)
	v_mov_b64_e32 v[4:5], 0
.LBB497_453:
	s_mov_b64 s[14:15], 0
.LBB497_454:
	s_and_b64 vcc, exec, s[14:15]
	s_cbranch_vccz .LBB497_459
; %bb.455:
	s_cmp_eq_u32 s18, 29
	s_cbranch_scc0 .LBB497_457
; %bb.456:
	global_load_dwordx2 v[2:3], v[0:1], off
	s_mov_b64 s[2:3], -1
	s_mov_b64 s[12:13], 0
	s_waitcnt vmcnt(0)
	v_cvt_f64_u32_e32 v[4:5], v3
	v_cvt_f64_u32_e32 v[2:3], v2
	v_ldexp_f64 v[4:5], v[4:5], 32
	v_add_f64 v[2:3], v[4:5], v[2:3]
	s_branch .LBB497_458
.LBB497_457:
	s_mov_b64 s[12:13], -1
                                        ; implicit-def: $vgpr2_vgpr3
.LBB497_458:
	s_waitcnt vmcnt(0)
	v_mov_b64_e32 v[4:5], 0
.LBB497_459:
	s_mov_b64 s[14:15], 0
.LBB497_460:
	s_and_b64 vcc, exec, s[14:15]
	s_cbranch_vccz .LBB497_480
; %bb.461:
	s_cmp_lt_i32 s18, 27
	s_cbranch_scc1 .LBB497_464
; %bb.462:
	s_cmp_gt_i32 s18, 27
	s_cbranch_scc0 .LBB497_465
; %bb.463:
	global_load_dword v2, v[0:1], off
	s_mov_b64 s[2:3], 0
	s_waitcnt vmcnt(0)
	v_cvt_f64_u32_e32 v[2:3], v2
	s_branch .LBB497_466
.LBB497_464:
	s_mov_b64 s[2:3], -1
                                        ; implicit-def: $vgpr2_vgpr3
	s_branch .LBB497_469
.LBB497_465:
	s_mov_b64 s[2:3], -1
                                        ; implicit-def: $vgpr2_vgpr3
.LBB497_466:
	s_andn2_b64 vcc, exec, s[2:3]
	s_cbranch_vccnz .LBB497_468
; %bb.467:
	global_load_ushort v2, v[0:1], off
	s_waitcnt vmcnt(0)
	v_cvt_f64_u32_e32 v[2:3], v2
.LBB497_468:
	s_mov_b64 s[2:3], 0
.LBB497_469:
	s_andn2_b64 vcc, exec, s[2:3]
	s_cbranch_vccnz .LBB497_479
; %bb.470:
	global_load_ubyte v4, v[0:1], off
	s_movk_i32 s2, 0x7f
	s_waitcnt vmcnt(0)
	v_cmp_lt_i16_e32 vcc, s2, v4
	s_mov_b64 s[2:3], 0
	s_and_saveexec_b64 s[14:15], vcc
	s_xor_b64 s[14:15], exec, s[14:15]
	s_cbranch_execz .LBB497_474
; %bb.471:
	s_movk_i32 s2, 0x80
	v_cmp_eq_u16_e32 vcc, s2, v4
	s_mov_b64 s[2:3], -1
	s_and_saveexec_b64 s[16:17], vcc
; %bb.472:
	s_xor_b64 s[2:3], exec, -1
; %bb.473:
	s_or_b64 exec, exec, s[16:17]
	s_and_b64 s[2:3], s[2:3], exec
.LBB497_474:
	s_or_saveexec_b64 s[14:15], s[14:15]
	v_bfrev_b32_e32 v2, 4
	v_mov_b32_e32 v3, 0x7ff80000
	s_xor_b64 exec, exec, s[14:15]
; %bb.475:
	v_cmp_ne_u16_e32 vcc, 0, v4
	s_andn2_b64 s[2:3], s[2:3], exec
	s_and_b64 s[16:17], vcc, exec
	v_mov_b64_e32 v[2:3], 0
	s_or_b64 s[2:3], s[2:3], s[16:17]
; %bb.476:
	s_or_b64 exec, exec, s[14:15]
	s_and_saveexec_b64 s[14:15], s[2:3]
	s_cbranch_execz .LBB497_478
; %bb.477:
	v_and_b32_e32 v3, 0xffff, v4
	v_lshlrev_b32_e32 v2, 24, v4
	v_and_b32_e32 v4, 7, v3
	v_ffbh_u32_e32 v7, v4
	v_min_u32_e32 v7, 32, v7
	v_subrev_u32_e32 v8, 28, v7
	v_bfe_u32 v5, v3, 3, 4
	v_lshlrev_b32_e32 v3, v8, v3
	v_sub_u32_e32 v7, 29, v7
	v_and_b32_e32 v3, 7, v3
	v_cmp_eq_u32_e32 vcc, 0, v5
	v_and_b32_e32 v2, 0x80000000, v2
	s_nop 0
	v_cndmask_b32_e32 v5, v5, v7, vcc
	v_cndmask_b32_e32 v3, v4, v3, vcc
	v_mov_b32_e32 v4, 0x3b800000
	v_lshlrev_b32_e32 v3, 20, v3
	v_lshl_add_u32 v4, v5, 23, v4
	v_or3_b32 v2, v2, v4, v3
	v_cvt_f64_f32_e32 v[2:3], v2
.LBB497_478:
	s_or_b64 exec, exec, s[14:15]
.LBB497_479:
	s_mov_b64 s[2:3], -1
	s_waitcnt vmcnt(0)
	v_mov_b64_e32 v[4:5], 0
.LBB497_480:
	s_mov_b64 s[14:15], 0
.LBB497_481:
	s_and_b64 vcc, exec, s[14:15]
	s_cbranch_vccz .LBB497_515
; %bb.482:
	s_cmp_gt_i32 s18, 22
	s_cbranch_scc0 .LBB497_494
; %bb.483:
	s_cmp_lt_i32 s18, 24
	s_cbranch_scc1 .LBB497_495
; %bb.484:
	s_cmp_gt_i32 s18, 24
	s_cbranch_scc0 .LBB497_496
; %bb.485:
	global_load_ubyte v4, v[0:1], off
	s_movk_i32 s2, 0x7f
	s_waitcnt vmcnt(0)
	v_cmp_lt_i16_e32 vcc, s2, v4
	s_mov_b64 s[2:3], 0
	s_and_saveexec_b64 s[14:15], vcc
	s_xor_b64 s[14:15], exec, s[14:15]
	s_cbranch_execz .LBB497_489
; %bb.486:
	s_movk_i32 s2, 0x80
	v_cmp_eq_u16_e32 vcc, s2, v4
	s_mov_b64 s[2:3], -1
	s_and_saveexec_b64 s[16:17], vcc
; %bb.487:
	s_xor_b64 s[2:3], exec, -1
; %bb.488:
	s_or_b64 exec, exec, s[16:17]
	s_and_b64 s[2:3], s[2:3], exec
.LBB497_489:
	s_or_saveexec_b64 s[14:15], s[14:15]
	v_bfrev_b32_e32 v2, 4
	v_mov_b32_e32 v3, 0x7ff80000
	s_xor_b64 exec, exec, s[14:15]
; %bb.490:
	v_cmp_ne_u16_e32 vcc, 0, v4
	s_andn2_b64 s[2:3], s[2:3], exec
	s_and_b64 s[16:17], vcc, exec
	v_mov_b64_e32 v[2:3], 0
	s_or_b64 s[2:3], s[2:3], s[16:17]
; %bb.491:
	s_or_b64 exec, exec, s[14:15]
	s_and_saveexec_b64 s[14:15], s[2:3]
	s_cbranch_execz .LBB497_493
; %bb.492:
	v_and_b32_e32 v3, 0xffff, v4
	v_lshlrev_b32_e32 v2, 24, v4
	v_and_b32_e32 v4, 3, v3
	v_ffbh_u32_e32 v7, v4
	v_min_u32_e32 v7, 32, v7
	v_subrev_u32_e32 v8, 29, v7
	v_bfe_u32 v5, v3, 2, 5
	v_lshlrev_b32_e32 v3, v8, v3
	v_sub_u32_e32 v7, 30, v7
	v_and_b32_e32 v3, 3, v3
	v_cmp_eq_u32_e32 vcc, 0, v5
	v_and_b32_e32 v2, 0x80000000, v2
	s_nop 0
	v_cndmask_b32_e32 v5, v5, v7, vcc
	v_cndmask_b32_e32 v3, v4, v3, vcc
	v_mov_b32_e32 v4, 0x37800000
	v_lshlrev_b32_e32 v3, 21, v3
	v_lshl_add_u32 v4, v5, 23, v4
	v_or3_b32 v2, v2, v4, v3
	v_cvt_f64_f32_e32 v[2:3], v2
.LBB497_493:
	s_or_b64 exec, exec, s[14:15]
	s_mov_b64 s[2:3], 0
	s_branch .LBB497_497
.LBB497_494:
	s_mov_b64 s[14:15], -1
                                        ; implicit-def: $vgpr2_vgpr3
	s_branch .LBB497_503
.LBB497_495:
	s_mov_b64 s[2:3], -1
                                        ; implicit-def: $vgpr2_vgpr3
	s_branch .LBB497_500
.LBB497_496:
	s_mov_b64 s[2:3], -1
                                        ; implicit-def: $vgpr2_vgpr3
.LBB497_497:
	s_and_b64 vcc, exec, s[2:3]
	s_cbranch_vccz .LBB497_499
; %bb.498:
	global_load_ubyte v2, v[0:1], off
	s_mov_b32 s2, 0x7f800000
	s_waitcnt vmcnt(0)
	v_lshlrev_b32_e32 v2, 24, v2
	v_and_b32_e32 v3, 0x7f000000, v2
	v_ffbh_u32_e32 v4, v3
	v_min_u32_e32 v4, 32, v4
	v_sub_u32_e64 v4, v4, 4 clamp
	v_lshlrev_b32_e32 v7, v4, v3
	v_lshlrev_b32_e32 v4, 23, v4
	v_lshrrev_b32_e32 v7, 4, v7
	v_add_u32_e32 v5, 0x1000000, v3
	v_sub_u32_e32 v4, v7, v4
	v_ashrrev_i32_e32 v5, 8, v5
	v_add_u32_e32 v4, 0x3c000000, v4
	v_and_or_b32 v4, v5, s2, v4
	v_cmp_ne_u32_e32 vcc, 0, v3
	s_brev_b32 s2, 1
	s_nop 0
	v_cndmask_b32_e32 v3, 0, v4, vcc
	v_and_or_b32 v2, v2, s2, v3
	v_cvt_f64_f32_e32 v[2:3], v2
.LBB497_499:
	s_mov_b64 s[2:3], 0
.LBB497_500:
	s_andn2_b64 vcc, exec, s[2:3]
	s_cbranch_vccnz .LBB497_502
; %bb.501:
	global_load_ubyte v2, v[0:1], off
	s_movk_i32 s2, 0x7f00
	s_brev_b32 s3, 16
	s_waitcnt vmcnt(0)
	v_lshlrev_b16_e32 v3, 8, v2
	v_lshlrev_b32_e32 v2, 25, v2
	v_lshrrev_b32_e32 v4, 4, v2
	v_and_or_b32 v5, v3, s2, 0.5
	v_or_b32_e32 v4, 0x70000000, v4
	v_add_f32_e32 v5, -0.5, v5
	v_mul_f32_e32 v4, 0x7800000, v4
	v_cmp_gt_u32_e32 vcc, s3, v2
	v_bfe_i32 v3, v3, 0, 16
	s_brev_b32 s2, 1
	v_cndmask_b32_e32 v2, v4, v5, vcc
	v_and_or_b32 v2, v3, s2, v2
	v_cvt_f64_f32_e32 v[2:3], v2
.LBB497_502:
	s_mov_b64 s[14:15], 0
	s_mov_b64 s[2:3], -1
.LBB497_503:
	s_andn2_b64 vcc, exec, s[14:15]
	s_cbranch_vccnz .LBB497_514
; %bb.504:
	s_cmp_gt_i32 s18, 14
	s_cbranch_scc0 .LBB497_507
; %bb.505:
	s_cmp_eq_u32 s18, 15
	s_cbranch_scc0 .LBB497_508
; %bb.506:
	global_load_ushort v2, v[0:1], off
	s_mov_b64 s[2:3], -1
	s_mov_b64 s[12:13], 0
	s_waitcnt vmcnt(0)
	v_lshlrev_b32_e32 v2, 16, v2
	v_cvt_f64_f32_e32 v[2:3], v2
	s_branch .LBB497_509
.LBB497_507:
	s_mov_b64 s[14:15], -1
                                        ; implicit-def: $vgpr2_vgpr3
	s_branch .LBB497_510
.LBB497_508:
	s_mov_b64 s[12:13], -1
                                        ; implicit-def: $vgpr2_vgpr3
.LBB497_509:
	s_mov_b64 s[14:15], 0
.LBB497_510:
	s_and_b64 vcc, exec, s[14:15]
	s_cbranch_vccz .LBB497_514
; %bb.511:
	s_cmp_eq_u32 s18, 11
	s_cbranch_scc0 .LBB497_513
; %bb.512:
	global_load_ubyte v3, v[0:1], off
	s_waitcnt vmcnt(1)
	v_mov_b32_e32 v4, 0x3ff00000
	v_mov_b32_e32 v2, 0
	s_mov_b64 s[2:3], -1
	s_mov_b64 s[12:13], 0
	s_waitcnt vmcnt(0)
	v_cmp_ne_u16_e32 vcc, 0, v3
	s_nop 1
	v_cndmask_b32_e32 v3, 0, v4, vcc
	s_branch .LBB497_514
.LBB497_513:
	s_mov_b64 s[12:13], -1
                                        ; implicit-def: $vgpr2_vgpr3
.LBB497_514:
	s_waitcnt vmcnt(0)
	v_mov_b64_e32 v[4:5], 0
.LBB497_515:
	s_branch .LBB497_307
.LBB497_516:
	s_cmp_lt_i32 s18, 5
	s_cbranch_scc1 .LBB497_521
; %bb.517:
	s_cmp_lt_i32 s18, 8
	s_cbranch_scc1 .LBB497_522
; %bb.518:
	;; [unrolled: 3-line block ×3, first 2 shown]
	s_cmp_gt_i32 s18, 9
	s_cbranch_scc0 .LBB497_524
; %bb.520:
	global_load_dwordx4 v[2:5], v[0:1], off
	s_mov_b64 s[2:3], 0
	s_branch .LBB497_525
.LBB497_521:
	s_mov_b64 s[2:3], -1
                                        ; implicit-def: $vgpr4_vgpr5
	s_branch .LBB497_544
.LBB497_522:
	s_mov_b64 s[2:3], -1
                                        ; implicit-def: $vgpr4_vgpr5
	s_branch .LBB497_531
.LBB497_523:
	s_mov_b64 s[2:3], -1
                                        ; implicit-def: $vgpr4_vgpr5
	s_branch .LBB497_528
.LBB497_524:
	s_mov_b64 s[2:3], -1
                                        ; implicit-def: $vgpr4_vgpr5
.LBB497_525:
	s_andn2_b64 vcc, exec, s[2:3]
	s_cbranch_vccnz .LBB497_527
; %bb.526:
	global_load_dwordx2 v[4:5], v[0:1], off
	s_waitcnt vmcnt(0)
	v_cvt_f64_f32_e32 v[2:3], v4
	v_cvt_f64_f32_e32 v[4:5], v5
.LBB497_527:
	s_mov_b64 s[2:3], 0
.LBB497_528:
	s_andn2_b64 vcc, exec, s[2:3]
	s_cbranch_vccnz .LBB497_530
; %bb.529:
	global_load_dword v2, v[0:1], off
	s_waitcnt vmcnt(0)
	v_cvt_f32_f16_e32 v3, v2
	v_cvt_f32_f16_sdwa v4, v2 dst_sel:DWORD dst_unused:UNUSED_PAD src0_sel:WORD_1
	v_cvt_f64_f32_e32 v[2:3], v3
	v_cvt_f64_f32_e32 v[4:5], v4
.LBB497_530:
	s_mov_b64 s[2:3], 0
.LBB497_531:
	s_andn2_b64 vcc, exec, s[2:3]
	s_cbranch_vccnz .LBB497_543
; %bb.532:
	s_cmp_lt_i32 s18, 6
	s_cbranch_scc1 .LBB497_535
; %bb.533:
	s_cmp_gt_i32 s18, 6
	s_cbranch_scc0 .LBB497_536
; %bb.534:
	global_load_dwordx2 v[2:3], v[0:1], off
	s_mov_b64 s[2:3], 0
	s_branch .LBB497_537
.LBB497_535:
	s_mov_b64 s[2:3], -1
                                        ; implicit-def: $vgpr2_vgpr3
	s_branch .LBB497_540
.LBB497_536:
	s_mov_b64 s[2:3], -1
                                        ; implicit-def: $vgpr2_vgpr3
.LBB497_537:
	s_andn2_b64 vcc, exec, s[2:3]
	s_cbranch_vccnz .LBB497_539
; %bb.538:
	global_load_dword v2, v[0:1], off
	s_waitcnt vmcnt(0)
	v_cvt_f64_f32_e32 v[2:3], v2
.LBB497_539:
	s_mov_b64 s[2:3], 0
.LBB497_540:
	s_andn2_b64 vcc, exec, s[2:3]
	s_cbranch_vccnz .LBB497_542
; %bb.541:
	global_load_ushort v2, v[0:1], off
	s_waitcnt vmcnt(0)
	v_cvt_f32_f16_e32 v2, v2
	v_cvt_f64_f32_e32 v[2:3], v2
.LBB497_542:
	s_waitcnt vmcnt(0)
	v_mov_b64_e32 v[4:5], 0
.LBB497_543:
	s_mov_b64 s[2:3], 0
.LBB497_544:
	s_andn2_b64 vcc, exec, s[2:3]
	s_cbranch_vccnz .LBB497_565
; %bb.545:
	s_cmp_lt_i32 s18, 2
	s_cbranch_scc1 .LBB497_549
; %bb.546:
	s_cmp_lt_i32 s18, 3
	s_cbranch_scc1 .LBB497_550
; %bb.547:
	s_cmp_gt_i32 s18, 3
	s_cbranch_scc0 .LBB497_551
; %bb.548:
	global_load_dwordx2 v[2:3], v[0:1], off
	s_mov_b64 s[2:3], 0
	s_waitcnt vmcnt(0)
	v_cvt_f64_i32_e32 v[4:5], v3
	v_cvt_f64_u32_e32 v[2:3], v2
	v_ldexp_f64 v[4:5], v[4:5], 32
	v_add_f64 v[2:3], v[4:5], v[2:3]
	s_branch .LBB497_552
.LBB497_549:
	s_mov_b64 s[2:3], -1
                                        ; implicit-def: $vgpr2_vgpr3
	s_branch .LBB497_558
.LBB497_550:
	s_mov_b64 s[2:3], -1
                                        ; implicit-def: $vgpr2_vgpr3
	s_branch .LBB497_555
.LBB497_551:
	s_mov_b64 s[2:3], -1
                                        ; implicit-def: $vgpr2_vgpr3
.LBB497_552:
	s_andn2_b64 vcc, exec, s[2:3]
	s_cbranch_vccnz .LBB497_554
; %bb.553:
	global_load_dword v2, v[0:1], off
	s_waitcnt vmcnt(0)
	v_cvt_f64_i32_e32 v[2:3], v2
.LBB497_554:
	s_mov_b64 s[2:3], 0
.LBB497_555:
	s_andn2_b64 vcc, exec, s[2:3]
	s_cbranch_vccnz .LBB497_557
; %bb.556:
	global_load_sshort v2, v[0:1], off
	s_waitcnt vmcnt(0)
	v_cvt_f64_i32_e32 v[2:3], v2
.LBB497_557:
	s_mov_b64 s[2:3], 0
.LBB497_558:
	s_andn2_b64 vcc, exec, s[2:3]
	s_cbranch_vccnz .LBB497_564
; %bb.559:
	s_cmp_gt_i32 s18, 0
	s_cbranch_scc0 .LBB497_561
; %bb.560:
	global_load_sbyte v2, v[0:1], off
	s_mov_b64 s[2:3], 0
	s_waitcnt vmcnt(0)
	v_cvt_f64_i32_e32 v[2:3], v2
	s_branch .LBB497_562
.LBB497_561:
	s_mov_b64 s[2:3], -1
                                        ; implicit-def: $vgpr2_vgpr3
.LBB497_562:
	s_andn2_b64 vcc, exec, s[2:3]
	s_cbranch_vccnz .LBB497_564
; %bb.563:
	global_load_ubyte v0, v[0:1], off
	s_waitcnt vmcnt(0)
	v_cvt_f64_u32_e32 v[2:3], v0
.LBB497_564:
	s_waitcnt vmcnt(0)
	v_mov_b64_e32 v[4:5], 0
.LBB497_565:
	s_branch .LBB497_308
.LBB497_566:
	s_mov_b64 s[2:3], 0
	s_mov_b64 s[14:15], s[60:61]
.LBB497_567:
                                        ; implicit-def: $vgpr10
.LBB497_568:
	s_andn2_b64 s[16:17], s[60:61], exec
	s_and_b64 s[14:15], s[14:15], exec
	s_or_b64 s[68:69], s[16:17], s[14:15]
	s_andn2_b64 s[14:15], s[62:63], exec
	s_and_b64 s[12:13], s[12:13], exec
	s_or_b64 s[66:67], s[14:15], s[12:13]
	s_orn2_b64 s[2:3], s[2:3], exec
.LBB497_569:
	s_or_b64 exec, exec, s[70:71]
	s_mov_b64 s[12:13], 0
	s_mov_b64 s[14:15], 0
	;; [unrolled: 1-line block ×3, first 2 shown]
                                        ; implicit-def: $vgpr0_vgpr1
                                        ; implicit-def: $vgpr8
                                        ; implicit-def: $vgpr6_vgpr7
	s_and_saveexec_b64 s[70:71], s[2:3]
	s_cbranch_execz .LBB497_962
; %bb.570:
	v_cmp_gt_i32_e32 vcc, s76, v10
	s_mov_b64 s[18:19], -1
	s_mov_b64 s[2:3], s[66:67]
	s_mov_b64 s[74:75], s[68:69]
	s_and_saveexec_b64 s[72:73], vcc
	s_cbranch_execz .LBB497_858
; %bb.571:
	s_andn2_b64 vcc, exec, s[46:47]
	s_cbranch_vccnz .LBB497_577
; %bb.572:
	s_andn2_b64 vcc, exec, s[58:59]
	s_cbranch_vccnz .LBB497_578
; %bb.573:
	s_add_i32 s82, s81, 1
	s_cmp_eq_u32 s78, 2
	s_cbranch_scc1 .LBB497_579
; %bb.574:
	s_and_b32 s77, s82, 28
	s_mov_b32 s83, 0
	v_mov_b32_e32 v6, 0
	v_mov_b32_e32 v0, 0
	s_mov_b64 s[2:3], s[34:35]
	s_mov_b64 s[74:75], s[56:57]
	s_waitcnt vmcnt(0)
	v_mov_b32_e32 v2, v10
.LBB497_575:                            ; =>This Inner Loop Header: Depth=1
	s_load_dwordx8 s[20:27], s[2:3], 0x4
	s_load_dwordx4 s[40:43], s[2:3], 0x24
	s_load_dwordx8 s[12:19], s[74:75], 0x0
	s_add_u32 s2, s2, 48
	s_addc_u32 s3, s3, 0
	s_waitcnt lgkmcnt(0)
	v_mul_hi_u32 v1, s21, v2
	v_add_u32_e32 v1, v2, v1
	v_lshrrev_b32_e32 v1, s22, v1
	v_mul_lo_u32 v3, v1, s20
	v_mul_hi_u32 v4, s24, v1
	v_sub_u32_e32 v2, v2, v3
	v_add_u32_e32 v3, v1, v4
	v_lshrrev_b32_e32 v3, s25, v3
	v_mul_lo_u32 v5, v3, s23
	v_mul_hi_u32 v7, s27, v3
	v_sub_u32_e32 v1, v1, v5
	v_add_u32_e32 v5, v3, v7
	v_mul_lo_u32 v4, v2, s13
	v_mul_lo_u32 v2, v2, s12
	;; [unrolled: 1-line block ×4, first 2 shown]
	v_lshrrev_b32_e32 v5, s40, v5
	v_add3_u32 v1, v2, v6, v1
	v_add3_u32 v0, v4, v0, v7
	v_mul_lo_u32 v2, v5, s26
	v_mul_hi_u32 v4, s42, v5
	v_sub_u32_e32 v2, v3, v2
	v_add_u32_e32 v3, v5, v4
	v_mul_lo_u32 v4, v2, s16
	v_mul_lo_u32 v6, v2, s17
	v_lshrrev_b32_e32 v2, s43, v3
	s_add_i32 s83, s83, 4
	v_mul_lo_u32 v3, v2, s41
	s_add_u32 s74, s74, 32
	v_sub_u32_e32 v3, v5, v3
	s_addc_u32 s75, s75, 0
	v_mul_lo_u32 v5, v3, s18
	v_mul_lo_u32 v3, v3, s19
	s_cmp_eq_u32 s77, s83
	v_add3_u32 v0, v6, v0, v3
	v_add3_u32 v6, v4, v1, v5
	s_cbranch_scc0 .LBB497_575
; %bb.576:
	v_mov_b32_e32 v1, v0
	s_branch .LBB497_580
.LBB497_577:
	s_mov_b64 s[2:3], -1
                                        ; implicit-def: $vgpr0
                                        ; implicit-def: $vgpr6
	s_branch .LBB497_584
.LBB497_578:
	v_mov_b32_e32 v0, 0
	v_mov_b32_e32 v6, 0
	s_branch .LBB497_583
.LBB497_579:
	v_mov_b32_e32 v6, 0
	s_mov_b32 s77, 0
	v_mov_b32_e32 v1, v6
                                        ; implicit-def: $vgpr0
	s_waitcnt vmcnt(0)
	v_mov_b32_e32 v2, v10
.LBB497_580:
	s_and_b32 s14, s82, 3
	s_cmp_eq_u32 s14, 0
	s_cbranch_scc1 .LBB497_583
; %bb.581:
	s_lshl_b32 s2, s77, 3
	s_add_u32 s2, s34, s2
	s_addc_u32 s3, s35, 0
	s_add_u32 s2, s2, 0xc4
	s_addc_u32 s3, s3, 0
	s_mul_i32 s12, s77, 12
	s_add_u32 s12, s34, s12
	s_addc_u32 s13, s35, 0
.LBB497_582:                            ; =>This Inner Loop Header: Depth=1
	s_load_dwordx2 s[16:17], s[12:13], 0x4
	s_load_dword s15, s[12:13], 0xc
	s_load_dwordx2 s[18:19], s[2:3], 0x0
	v_mov_b32_e32 v0, v1
	s_add_u32 s12, s12, 12
	s_waitcnt lgkmcnt(0)
	v_mul_hi_u32 v1, s17, v2
	v_add_u32_e32 v1, v2, v1
	v_lshrrev_b32_e32 v1, s15, v1
	s_addc_u32 s13, s13, 0
	v_mul_lo_u32 v3, v1, s16
	s_add_u32 s2, s2, 8
	v_sub_u32_e32 v3, v2, v3
	s_addc_u32 s3, s3, 0
	s_add_i32 s14, s14, -1
	v_mov_b32_e32 v2, v1
	v_mad_u64_u32 v[0:1], s[16:17], v3, s19, v[0:1]
	s_cmp_lg_u32 s14, 0
	v_mad_u64_u32 v[6:7], s[16:17], v3, s18, v[6:7]
	v_mov_b32_e32 v1, v0
	s_cbranch_scc1 .LBB497_582
.LBB497_583:
	s_mov_b64 s[2:3], 0
.LBB497_584:
	s_andn2_b64 vcc, exec, s[2:3]
	s_cbranch_vccnz .LBB497_587
; %bb.585:
	v_mul_hi_u32 v0, s29, v10
	v_add_u32_e32 v0, v10, v0
	v_lshrrev_b32_e32 v1, s30, v0
	v_mul_lo_u32 v0, v1, s28
	s_waitcnt vmcnt(0)
	v_sub_u32_e32 v2, v10, v0
	v_mul_lo_u32 v0, v2, s37
	s_andn2_b64 vcc, exec, s[54:55]
	v_mul_lo_u32 v6, v2, s36
	s_cbranch_vccnz .LBB497_587
; %bb.586:
	v_mul_hi_u32 v2, s52, v1
	v_add_u32_e32 v2, v1, v2
	v_lshrrev_b32_e32 v2, s53, v2
	v_mul_lo_u32 v2, v2, s31
	v_sub_u32_e32 v1, v1, v2
	v_mad_u64_u32 v[6:7], s[2:3], v1, s38, v[6:7]
	v_mad_u64_u32 v[0:1], s[2:3], v1, s39, v[0:1]
.LBB497_587:
	v_mov_b32_e32 v1, 0
	s_and_b32 s18, 0xffff, s80
	s_cmp_lt_i32 s18, 11
	v_lshl_add_u64 v[0:1], s[6:7], 0, v[0:1]
	s_cbranch_scc1 .LBB497_594
; %bb.588:
	s_cmp_gt_i32 s18, 25
	s_cbranch_scc0 .LBB497_595
; %bb.589:
	s_cmp_gt_i32 s18, 28
	s_cbranch_scc0 .LBB497_596
	;; [unrolled: 3-line block ×4, first 2 shown]
; %bb.592:
	s_cmp_eq_u32 s18, 46
	s_mov_b64 s[14:15], 0
	s_cbranch_scc0 .LBB497_603
; %bb.593:
	global_load_dword v2, v[0:1], off
	s_mov_b64 s[2:3], -1
	s_mov_b64 s[12:13], 0
	s_waitcnt vmcnt(0)
	v_and_b32_e32 v4, 0xffff0000, v2
	v_lshlrev_b32_e32 v2, 16, v2
	v_cvt_f64_f32_e32 v[2:3], v2
	v_cvt_f64_f32_e32 v[4:5], v4
	s_branch .LBB497_604
.LBB497_594:
	s_mov_b64 s[14:15], -1
	s_mov_b64 s[2:3], 0
                                        ; implicit-def: $vgpr4_vgpr5
	s_mov_b64 s[12:13], s[66:67]
	s_branch .LBB497_672
.LBB497_595:
	s_mov_b64 s[14:15], -1
	s_mov_b64 s[2:3], 0
	s_mov_b64 s[12:13], s[66:67]
                                        ; implicit-def: $vgpr4_vgpr5
	s_branch .LBB497_637
.LBB497_596:
	s_mov_b64 s[14:15], -1
	s_mov_b64 s[2:3], 0
	s_mov_b64 s[12:13], s[66:67]
                                        ; implicit-def: $vgpr4_vgpr5
	s_branch .LBB497_616
.LBB497_597:
	s_mov_b64 s[14:15], -1
	s_mov_b64 s[2:3], 0
	s_mov_b64 s[12:13], s[66:67]
                                        ; implicit-def: $vgpr4_vgpr5
	s_branch .LBB497_610
.LBB497_598:
	s_andn2_saveexec_b64 s[18:19], s[18:19]
	s_cbranch_execz .LBB497_361
.LBB497_599:
	s_mov_b32 s22, 0x46000000
	v_add_f32_e64 v7, |v6|, s22
	v_and_b32_e32 v7, 0xff, v7
	v_cmp_ne_u32_e32 vcc, 0, v7
	s_andn2_b64 s[16:17], s[16:17], exec
	s_and_b64 s[22:23], vcc, exec
	s_or_b64 s[16:17], s[16:17], s[22:23]
	s_or_b64 exec, exec, s[18:19]
	v_mov_b32_e32 v8, 0
	s_and_saveexec_b64 s[18:19], s[16:17]
	s_cbranch_execnz .LBB497_362
	s_branch .LBB497_363
.LBB497_600:
	s_mov_b64 s[14:15], -1
	s_mov_b64 s[2:3], 0
	s_mov_b64 s[12:13], s[66:67]
                                        ; implicit-def: $vgpr4_vgpr5
	s_branch .LBB497_604
.LBB497_601:
	s_andn2_saveexec_b64 s[18:19], s[18:19]
	s_cbranch_execz .LBB497_374
.LBB497_602:
	s_mov_b32 s22, 0x42800000
	v_add_f32_e64 v7, |v6|, s22
	v_and_b32_e32 v7, 0xff, v7
	v_cmp_ne_u32_e32 vcc, 0, v7
	s_andn2_b64 s[16:17], s[16:17], exec
	s_and_b64 s[22:23], vcc, exec
	s_or_b64 s[16:17], s[16:17], s[22:23]
	s_or_b64 exec, exec, s[18:19]
	v_mov_b32_e32 v8, 0
	s_and_saveexec_b64 s[18:19], s[16:17]
	s_cbranch_execnz .LBB497_375
	s_branch .LBB497_376
.LBB497_603:
	s_mov_b64 s[12:13], -1
                                        ; implicit-def: $vgpr4_vgpr5
	s_mov_b64 s[2:3], 0
.LBB497_604:
	s_and_b64 vcc, exec, s[14:15]
	s_cbranch_vccz .LBB497_609
; %bb.605:
	s_cmp_eq_u32 s18, 44
	s_cbranch_scc0 .LBB497_607
; %bb.606:
	global_load_ubyte v4, v[0:1], off
	s_movk_i32 s12, 0xff
	s_waitcnt vmcnt(1)
	v_bfrev_b32_e32 v5, 4
	v_mov_b32_e32 v7, 0x7ff80000
	v_bfrev_b32_e32 v8, 28
	s_mov_b64 s[2:3], -1
	s_waitcnt vmcnt(0)
	v_lshlrev_b32_e32 v2, 23, v4
	v_cvt_f64_f32_e32 v[2:3], v2
	v_cmp_ne_u32_e32 vcc, s12, v4
	s_mov_b64 s[12:13], 0
	s_nop 0
	v_cndmask_b32_e32 v2, v5, v2, vcc
	v_cndmask_b32_e32 v3, v7, v3, vcc
	v_cmp_ne_u32_e32 vcc, 0, v4
	s_nop 1
	v_cndmask_b32_e32 v3, v8, v3, vcc
	v_cndmask_b32_e32 v2, 0, v2, vcc
	s_branch .LBB497_608
.LBB497_607:
	s_mov_b64 s[12:13], -1
                                        ; implicit-def: $vgpr2_vgpr3
.LBB497_608:
	s_waitcnt vmcnt(0)
	v_mov_b64_e32 v[4:5], 0
.LBB497_609:
	s_mov_b64 s[14:15], 0
.LBB497_610:
	s_and_b64 vcc, exec, s[14:15]
	s_cbranch_vccz .LBB497_615
; %bb.611:
	s_cmp_eq_u32 s18, 29
	s_cbranch_scc0 .LBB497_613
; %bb.612:
	global_load_dwordx2 v[2:3], v[0:1], off
	s_mov_b64 s[2:3], -1
	s_mov_b64 s[12:13], 0
	s_waitcnt vmcnt(0)
	v_cvt_f64_u32_e32 v[4:5], v3
	v_cvt_f64_u32_e32 v[2:3], v2
	v_ldexp_f64 v[4:5], v[4:5], 32
	v_add_f64 v[2:3], v[4:5], v[2:3]
	s_branch .LBB497_614
.LBB497_613:
	s_mov_b64 s[12:13], -1
                                        ; implicit-def: $vgpr2_vgpr3
.LBB497_614:
	s_waitcnt vmcnt(0)
	v_mov_b64_e32 v[4:5], 0
.LBB497_615:
	s_mov_b64 s[14:15], 0
.LBB497_616:
	s_and_b64 vcc, exec, s[14:15]
	s_cbranch_vccz .LBB497_636
; %bb.617:
	s_cmp_lt_i32 s18, 27
	s_cbranch_scc1 .LBB497_620
; %bb.618:
	s_cmp_gt_i32 s18, 27
	s_cbranch_scc0 .LBB497_621
; %bb.619:
	global_load_dword v2, v[0:1], off
	s_mov_b64 s[2:3], 0
	s_waitcnt vmcnt(0)
	v_cvt_f64_u32_e32 v[2:3], v2
	s_branch .LBB497_622
.LBB497_620:
	s_mov_b64 s[2:3], -1
                                        ; implicit-def: $vgpr2_vgpr3
	s_branch .LBB497_625
.LBB497_621:
	s_mov_b64 s[2:3], -1
                                        ; implicit-def: $vgpr2_vgpr3
.LBB497_622:
	s_andn2_b64 vcc, exec, s[2:3]
	s_cbranch_vccnz .LBB497_624
; %bb.623:
	global_load_ushort v2, v[0:1], off
	s_waitcnt vmcnt(0)
	v_cvt_f64_u32_e32 v[2:3], v2
.LBB497_624:
	s_mov_b64 s[2:3], 0
.LBB497_625:
	s_andn2_b64 vcc, exec, s[2:3]
	s_cbranch_vccnz .LBB497_635
; %bb.626:
	global_load_ubyte v4, v[0:1], off
	s_movk_i32 s2, 0x7f
	s_waitcnt vmcnt(0)
	v_cmp_lt_i16_e32 vcc, s2, v4
	s_mov_b64 s[2:3], 0
	s_and_saveexec_b64 s[14:15], vcc
	s_xor_b64 s[14:15], exec, s[14:15]
	s_cbranch_execz .LBB497_630
; %bb.627:
	s_movk_i32 s2, 0x80
	v_cmp_eq_u16_e32 vcc, s2, v4
	s_mov_b64 s[2:3], -1
	s_and_saveexec_b64 s[16:17], vcc
; %bb.628:
	s_xor_b64 s[2:3], exec, -1
; %bb.629:
	s_or_b64 exec, exec, s[16:17]
	s_and_b64 s[2:3], s[2:3], exec
.LBB497_630:
	s_or_saveexec_b64 s[14:15], s[14:15]
	v_bfrev_b32_e32 v2, 4
	v_mov_b32_e32 v3, 0x7ff80000
	s_xor_b64 exec, exec, s[14:15]
; %bb.631:
	v_cmp_ne_u16_e32 vcc, 0, v4
	s_andn2_b64 s[2:3], s[2:3], exec
	s_and_b64 s[16:17], vcc, exec
	v_mov_b64_e32 v[2:3], 0
	s_or_b64 s[2:3], s[2:3], s[16:17]
; %bb.632:
	s_or_b64 exec, exec, s[14:15]
	s_and_saveexec_b64 s[14:15], s[2:3]
	s_cbranch_execz .LBB497_634
; %bb.633:
	v_and_b32_e32 v3, 0xffff, v4
	v_lshlrev_b32_e32 v2, 24, v4
	v_and_b32_e32 v4, 7, v3
	v_ffbh_u32_e32 v7, v4
	v_min_u32_e32 v7, 32, v7
	v_subrev_u32_e32 v8, 28, v7
	v_bfe_u32 v5, v3, 3, 4
	v_lshlrev_b32_e32 v3, v8, v3
	v_sub_u32_e32 v7, 29, v7
	v_and_b32_e32 v3, 7, v3
	v_cmp_eq_u32_e32 vcc, 0, v5
	v_and_b32_e32 v2, 0x80000000, v2
	s_nop 0
	v_cndmask_b32_e32 v5, v5, v7, vcc
	v_cndmask_b32_e32 v3, v4, v3, vcc
	v_mov_b32_e32 v4, 0x3b800000
	v_lshlrev_b32_e32 v3, 20, v3
	v_lshl_add_u32 v4, v5, 23, v4
	v_or3_b32 v2, v2, v4, v3
	v_cvt_f64_f32_e32 v[2:3], v2
.LBB497_634:
	s_or_b64 exec, exec, s[14:15]
.LBB497_635:
	s_mov_b64 s[2:3], -1
	s_waitcnt vmcnt(0)
	v_mov_b64_e32 v[4:5], 0
.LBB497_636:
	s_mov_b64 s[14:15], 0
.LBB497_637:
	s_and_b64 vcc, exec, s[14:15]
	s_cbranch_vccz .LBB497_671
; %bb.638:
	s_cmp_gt_i32 s18, 22
	s_cbranch_scc0 .LBB497_650
; %bb.639:
	s_cmp_lt_i32 s18, 24
	s_cbranch_scc1 .LBB497_651
; %bb.640:
	s_cmp_gt_i32 s18, 24
	s_cbranch_scc0 .LBB497_652
; %bb.641:
	global_load_ubyte v4, v[0:1], off
	s_movk_i32 s2, 0x7f
	s_waitcnt vmcnt(0)
	v_cmp_lt_i16_e32 vcc, s2, v4
	s_mov_b64 s[2:3], 0
	s_and_saveexec_b64 s[14:15], vcc
	s_xor_b64 s[14:15], exec, s[14:15]
	s_cbranch_execz .LBB497_645
; %bb.642:
	s_movk_i32 s2, 0x80
	v_cmp_eq_u16_e32 vcc, s2, v4
	s_mov_b64 s[2:3], -1
	s_and_saveexec_b64 s[16:17], vcc
; %bb.643:
	s_xor_b64 s[2:3], exec, -1
; %bb.644:
	s_or_b64 exec, exec, s[16:17]
	s_and_b64 s[2:3], s[2:3], exec
.LBB497_645:
	s_or_saveexec_b64 s[14:15], s[14:15]
	v_bfrev_b32_e32 v2, 4
	v_mov_b32_e32 v3, 0x7ff80000
	s_xor_b64 exec, exec, s[14:15]
; %bb.646:
	v_cmp_ne_u16_e32 vcc, 0, v4
	s_andn2_b64 s[2:3], s[2:3], exec
	s_and_b64 s[16:17], vcc, exec
	v_mov_b64_e32 v[2:3], 0
	s_or_b64 s[2:3], s[2:3], s[16:17]
; %bb.647:
	s_or_b64 exec, exec, s[14:15]
	s_and_saveexec_b64 s[14:15], s[2:3]
	s_cbranch_execz .LBB497_649
; %bb.648:
	v_and_b32_e32 v3, 0xffff, v4
	v_lshlrev_b32_e32 v2, 24, v4
	v_and_b32_e32 v4, 3, v3
	v_ffbh_u32_e32 v7, v4
	v_min_u32_e32 v7, 32, v7
	v_subrev_u32_e32 v8, 29, v7
	v_bfe_u32 v5, v3, 2, 5
	v_lshlrev_b32_e32 v3, v8, v3
	v_sub_u32_e32 v7, 30, v7
	v_and_b32_e32 v3, 3, v3
	v_cmp_eq_u32_e32 vcc, 0, v5
	v_and_b32_e32 v2, 0x80000000, v2
	s_nop 0
	v_cndmask_b32_e32 v5, v5, v7, vcc
	v_cndmask_b32_e32 v3, v4, v3, vcc
	v_mov_b32_e32 v4, 0x37800000
	v_lshlrev_b32_e32 v3, 21, v3
	v_lshl_add_u32 v4, v5, 23, v4
	v_or3_b32 v2, v2, v4, v3
	v_cvt_f64_f32_e32 v[2:3], v2
.LBB497_649:
	s_or_b64 exec, exec, s[14:15]
	s_mov_b64 s[2:3], 0
	s_branch .LBB497_653
.LBB497_650:
	s_mov_b64 s[14:15], -1
                                        ; implicit-def: $vgpr2_vgpr3
	s_branch .LBB497_659
.LBB497_651:
	s_mov_b64 s[2:3], -1
                                        ; implicit-def: $vgpr2_vgpr3
	s_branch .LBB497_656
.LBB497_652:
	s_mov_b64 s[2:3], -1
                                        ; implicit-def: $vgpr2_vgpr3
.LBB497_653:
	s_and_b64 vcc, exec, s[2:3]
	s_cbranch_vccz .LBB497_655
; %bb.654:
	global_load_ubyte v2, v[0:1], off
	s_mov_b32 s2, 0x7f800000
	s_waitcnt vmcnt(0)
	v_lshlrev_b32_e32 v2, 24, v2
	v_and_b32_e32 v3, 0x7f000000, v2
	v_ffbh_u32_e32 v4, v3
	v_min_u32_e32 v4, 32, v4
	v_sub_u32_e64 v4, v4, 4 clamp
	v_lshlrev_b32_e32 v7, v4, v3
	v_lshlrev_b32_e32 v4, 23, v4
	v_lshrrev_b32_e32 v7, 4, v7
	v_add_u32_e32 v5, 0x1000000, v3
	v_sub_u32_e32 v4, v7, v4
	v_ashrrev_i32_e32 v5, 8, v5
	v_add_u32_e32 v4, 0x3c000000, v4
	v_and_or_b32 v4, v5, s2, v4
	v_cmp_ne_u32_e32 vcc, 0, v3
	s_brev_b32 s2, 1
	s_nop 0
	v_cndmask_b32_e32 v3, 0, v4, vcc
	v_and_or_b32 v2, v2, s2, v3
	v_cvt_f64_f32_e32 v[2:3], v2
.LBB497_655:
	s_mov_b64 s[2:3], 0
.LBB497_656:
	s_andn2_b64 vcc, exec, s[2:3]
	s_cbranch_vccnz .LBB497_658
; %bb.657:
	global_load_ubyte v2, v[0:1], off
	s_movk_i32 s2, 0x7f00
	s_brev_b32 s3, 16
	s_waitcnt vmcnt(0)
	v_lshlrev_b16_e32 v3, 8, v2
	v_lshlrev_b32_e32 v2, 25, v2
	v_lshrrev_b32_e32 v4, 4, v2
	v_and_or_b32 v5, v3, s2, 0.5
	v_or_b32_e32 v4, 0x70000000, v4
	v_add_f32_e32 v5, -0.5, v5
	v_mul_f32_e32 v4, 0x7800000, v4
	v_cmp_gt_u32_e32 vcc, s3, v2
	v_bfe_i32 v3, v3, 0, 16
	s_brev_b32 s2, 1
	v_cndmask_b32_e32 v2, v4, v5, vcc
	v_and_or_b32 v2, v3, s2, v2
	v_cvt_f64_f32_e32 v[2:3], v2
.LBB497_658:
	s_mov_b64 s[14:15], 0
	s_mov_b64 s[2:3], -1
.LBB497_659:
	s_andn2_b64 vcc, exec, s[14:15]
	s_cbranch_vccnz .LBB497_670
; %bb.660:
	s_cmp_gt_i32 s18, 14
	s_cbranch_scc0 .LBB497_663
; %bb.661:
	s_cmp_eq_u32 s18, 15
	s_cbranch_scc0 .LBB497_664
; %bb.662:
	global_load_ushort v2, v[0:1], off
	s_mov_b64 s[2:3], -1
	s_mov_b64 s[12:13], 0
	s_waitcnt vmcnt(0)
	v_lshlrev_b32_e32 v2, 16, v2
	v_cvt_f64_f32_e32 v[2:3], v2
	s_branch .LBB497_665
.LBB497_663:
	s_mov_b64 s[14:15], -1
                                        ; implicit-def: $vgpr2_vgpr3
	s_branch .LBB497_666
.LBB497_664:
	s_mov_b64 s[12:13], -1
                                        ; implicit-def: $vgpr2_vgpr3
.LBB497_665:
	s_mov_b64 s[14:15], 0
.LBB497_666:
	s_and_b64 vcc, exec, s[14:15]
	s_cbranch_vccz .LBB497_670
; %bb.667:
	s_cmp_eq_u32 s18, 11
	s_cbranch_scc0 .LBB497_669
; %bb.668:
	global_load_ubyte v3, v[0:1], off
	s_waitcnt vmcnt(1)
	v_mov_b32_e32 v4, 0x3ff00000
	v_mov_b32_e32 v2, 0
	s_mov_b64 s[2:3], -1
	s_mov_b64 s[12:13], 0
	s_waitcnt vmcnt(0)
	v_cmp_ne_u16_e32 vcc, 0, v3
	s_nop 1
	v_cndmask_b32_e32 v3, 0, v4, vcc
	s_branch .LBB497_670
.LBB497_669:
	s_mov_b64 s[12:13], -1
                                        ; implicit-def: $vgpr2_vgpr3
.LBB497_670:
	s_waitcnt vmcnt(0)
	v_mov_b64_e32 v[4:5], 0
.LBB497_671:
	s_mov_b64 s[14:15], 0
.LBB497_672:
	s_and_b64 vcc, exec, s[14:15]
	s_cbranch_vccz .LBB497_723
; %bb.673:
	s_cmp_lt_i32 s18, 5
	s_cbranch_scc1 .LBB497_678
; %bb.674:
	s_cmp_lt_i32 s18, 8
	s_cbranch_scc1 .LBB497_679
	;; [unrolled: 3-line block ×3, first 2 shown]
; %bb.676:
	s_cmp_gt_i32 s18, 9
	s_cbranch_scc0 .LBB497_681
; %bb.677:
	global_load_dwordx4 v[2:5], v[0:1], off
	s_mov_b64 s[2:3], 0
	s_branch .LBB497_682
.LBB497_678:
	s_mov_b64 s[2:3], -1
                                        ; implicit-def: $vgpr4_vgpr5
	s_branch .LBB497_701
.LBB497_679:
	s_mov_b64 s[2:3], -1
                                        ; implicit-def: $vgpr4_vgpr5
	s_branch .LBB497_688
.LBB497_680:
	s_mov_b64 s[2:3], -1
                                        ; implicit-def: $vgpr4_vgpr5
	s_branch .LBB497_685
.LBB497_681:
	s_mov_b64 s[2:3], -1
                                        ; implicit-def: $vgpr4_vgpr5
.LBB497_682:
	s_andn2_b64 vcc, exec, s[2:3]
	s_cbranch_vccnz .LBB497_684
; %bb.683:
	global_load_dwordx2 v[4:5], v[0:1], off
	s_waitcnt vmcnt(0)
	v_cvt_f64_f32_e32 v[2:3], v4
	v_cvt_f64_f32_e32 v[4:5], v5
.LBB497_684:
	s_mov_b64 s[2:3], 0
.LBB497_685:
	s_andn2_b64 vcc, exec, s[2:3]
	s_cbranch_vccnz .LBB497_687
; %bb.686:
	global_load_dword v2, v[0:1], off
	s_waitcnt vmcnt(0)
	v_cvt_f32_f16_e32 v3, v2
	v_cvt_f32_f16_sdwa v4, v2 dst_sel:DWORD dst_unused:UNUSED_PAD src0_sel:WORD_1
	v_cvt_f64_f32_e32 v[2:3], v3
	v_cvt_f64_f32_e32 v[4:5], v4
.LBB497_687:
	s_mov_b64 s[2:3], 0
.LBB497_688:
	s_andn2_b64 vcc, exec, s[2:3]
	s_cbranch_vccnz .LBB497_700
; %bb.689:
	s_cmp_lt_i32 s18, 6
	s_cbranch_scc1 .LBB497_692
; %bb.690:
	s_cmp_gt_i32 s18, 6
	s_cbranch_scc0 .LBB497_693
; %bb.691:
	global_load_dwordx2 v[2:3], v[0:1], off
	s_mov_b64 s[2:3], 0
	s_branch .LBB497_694
.LBB497_692:
	s_mov_b64 s[2:3], -1
                                        ; implicit-def: $vgpr2_vgpr3
	s_branch .LBB497_697
.LBB497_693:
	s_mov_b64 s[2:3], -1
                                        ; implicit-def: $vgpr2_vgpr3
.LBB497_694:
	s_andn2_b64 vcc, exec, s[2:3]
	s_cbranch_vccnz .LBB497_696
; %bb.695:
	global_load_dword v2, v[0:1], off
	s_waitcnt vmcnt(0)
	v_cvt_f64_f32_e32 v[2:3], v2
.LBB497_696:
	s_mov_b64 s[2:3], 0
.LBB497_697:
	s_andn2_b64 vcc, exec, s[2:3]
	s_cbranch_vccnz .LBB497_699
; %bb.698:
	global_load_ushort v2, v[0:1], off
	s_waitcnt vmcnt(0)
	v_cvt_f32_f16_e32 v2, v2
	v_cvt_f64_f32_e32 v[2:3], v2
.LBB497_699:
	s_waitcnt vmcnt(0)
	v_mov_b64_e32 v[4:5], 0
.LBB497_700:
	s_mov_b64 s[2:3], 0
.LBB497_701:
	s_andn2_b64 vcc, exec, s[2:3]
	s_cbranch_vccnz .LBB497_722
; %bb.702:
	s_cmp_lt_i32 s18, 2
	s_cbranch_scc1 .LBB497_706
; %bb.703:
	s_cmp_lt_i32 s18, 3
	s_cbranch_scc1 .LBB497_707
; %bb.704:
	s_cmp_gt_i32 s18, 3
	s_cbranch_scc0 .LBB497_708
; %bb.705:
	global_load_dwordx2 v[2:3], v[0:1], off
	s_mov_b64 s[2:3], 0
	s_waitcnt vmcnt(0)
	v_cvt_f64_i32_e32 v[4:5], v3
	v_cvt_f64_u32_e32 v[2:3], v2
	v_ldexp_f64 v[4:5], v[4:5], 32
	v_add_f64 v[2:3], v[4:5], v[2:3]
	s_branch .LBB497_709
.LBB497_706:
	s_mov_b64 s[2:3], -1
                                        ; implicit-def: $vgpr2_vgpr3
	s_branch .LBB497_715
.LBB497_707:
	s_mov_b64 s[2:3], -1
                                        ; implicit-def: $vgpr2_vgpr3
	s_branch .LBB497_712
.LBB497_708:
	s_mov_b64 s[2:3], -1
                                        ; implicit-def: $vgpr2_vgpr3
.LBB497_709:
	s_andn2_b64 vcc, exec, s[2:3]
	s_cbranch_vccnz .LBB497_711
; %bb.710:
	global_load_dword v2, v[0:1], off
	s_waitcnt vmcnt(0)
	v_cvt_f64_i32_e32 v[2:3], v2
.LBB497_711:
	s_mov_b64 s[2:3], 0
.LBB497_712:
	s_andn2_b64 vcc, exec, s[2:3]
	s_cbranch_vccnz .LBB497_714
; %bb.713:
	global_load_sshort v2, v[0:1], off
	s_waitcnt vmcnt(0)
	v_cvt_f64_i32_e32 v[2:3], v2
.LBB497_714:
	s_mov_b64 s[2:3], 0
.LBB497_715:
	s_andn2_b64 vcc, exec, s[2:3]
	s_cbranch_vccnz .LBB497_721
; %bb.716:
	s_cmp_gt_i32 s18, 0
	s_cbranch_scc0 .LBB497_718
; %bb.717:
	global_load_sbyte v2, v[0:1], off
	s_mov_b64 s[2:3], 0
	s_waitcnt vmcnt(0)
	v_cvt_f64_i32_e32 v[2:3], v2
	s_branch .LBB497_719
.LBB497_718:
	s_mov_b64 s[2:3], -1
                                        ; implicit-def: $vgpr2_vgpr3
.LBB497_719:
	s_andn2_b64 vcc, exec, s[2:3]
	s_cbranch_vccnz .LBB497_721
; %bb.720:
	global_load_ubyte v0, v[0:1], off
	s_waitcnt vmcnt(0)
	v_cvt_f64_u32_e32 v[2:3], v0
.LBB497_721:
	s_waitcnt vmcnt(0)
	v_mov_b64_e32 v[4:5], 0
.LBB497_722:
	s_mov_b64 s[2:3], -1
.LBB497_723:
	s_andn2_b64 vcc, exec, s[2:3]
	s_cbranch_vccnz .LBB497_739
; %bb.724:
	s_waitcnt vmcnt(0)
	v_cmp_o_f64_e32 vcc, v[2:3], v[2:3]
	v_mov_b64_e32 v[0:1], s[8:9]
	s_and_saveexec_b64 s[2:3], vcc
	s_cbranch_execz .LBB497_728
; %bb.725:
	s_mov_b32 s14, 0
	s_mov_b32 s15, 0x7ff00000
	v_cmp_neq_f64_e32 vcc, s[14:15], v[2:3]
	v_mov_b64_e32 v[0:1], s[10:11]
	s_and_saveexec_b64 s[14:15], vcc
; %bb.726:
	s_mov_b32 s16, 0
	s_mov_b32 s17, 0xfff00000
	v_mov_b32_e32 v0, s51
	v_cmp_eq_f64_e32 vcc, s[16:17], v[2:3]
	s_nop 1
	v_cndmask_b32_e32 v1, v3, v0, vcc
	v_mov_b32_e32 v0, s50
	v_cndmask_b32_e32 v0, v2, v0, vcc
; %bb.727:
	s_or_b64 exec, exec, s[14:15]
.LBB497_728:
	s_or_b64 exec, exec, s[2:3]
	v_cmp_o_f64_e32 vcc, v[4:5], v[4:5]
	v_mov_b64_e32 v[2:3], s[8:9]
	s_and_saveexec_b64 s[2:3], vcc
	s_cbranch_execz .LBB497_732
; %bb.729:
	s_mov_b32 s14, 0
	s_mov_b32 s15, 0x7ff00000
	v_cmp_neq_f64_e32 vcc, s[14:15], v[4:5]
	v_mov_b64_e32 v[2:3], s[10:11]
	s_and_saveexec_b64 s[14:15], vcc
; %bb.730:
	s_mov_b32 s16, 0
	s_mov_b32 s17, 0xfff00000
	v_mov_b32_e32 v2, s51
	v_cmp_eq_f64_e32 vcc, s[16:17], v[4:5]
	s_nop 1
	v_cndmask_b32_e32 v3, v5, v2, vcc
	v_mov_b32_e32 v2, s50
	v_cndmask_b32_e32 v2, v4, v2, vcc
; %bb.731:
	s_or_b64 exec, exec, s[14:15]
.LBB497_732:
	s_or_b64 exec, exec, s[2:3]
	v_mov_b32_e32 v7, 0
	s_and_b32 s20, s79, 0xff
	s_cmp_lt_i32 s20, 11
	v_lshl_add_u64 v[4:5], s[4:5], 0, v[6:7]
	s_cbranch_scc1 .LBB497_740
; %bb.733:
	s_and_b32 s21, 0xffff, s20
	s_cmp_gt_i32 s21, 25
	s_cbranch_scc0 .LBB497_741
; %bb.734:
	s_cmp_gt_i32 s21, 28
	s_cbranch_scc0 .LBB497_742
; %bb.735:
	;; [unrolled: 3-line block ×4, first 2 shown]
	s_mov_b64 s[16:17], 0
	s_mov_b64 s[14:15], -1
	s_cmp_eq_u32 s21, 46
	s_mov_b64 s[2:3], 0
	s_cbranch_scc0 .LBB497_745
; %bb.738:
	v_cvt_f32_f64_e32 v7, v[2:3]
	s_movk_i32 s2, 0x7fff
	v_bfe_u32 v9, v7, 16, 1
	v_cvt_f32_f64_e32 v6, v[0:1]
	v_add3_u32 v9, v7, v9, s2
	v_bfe_u32 v8, v6, 16, 1
	v_and_b32_e32 v9, 0xffff0000, v9
	v_mov_b32_e32 v11, 0x7fc00000
	v_cmp_o_f32_e32 vcc, v7, v7
	v_add3_u32 v8, v6, v8, s2
	s_mov_b64 s[2:3], -1
	v_cndmask_b32_e32 v7, v11, v9, vcc
	v_cmp_o_f32_e32 vcc, v6, v6
	v_mov_b32_e32 v6, 0x7fc0
	s_mov_b64 s[14:15], 0
	v_cndmask_b32_sdwa v6, v6, v8, vcc dst_sel:DWORD dst_unused:UNUSED_PAD src0_sel:DWORD src1_sel:WORD_1
	v_or_b32_e32 v6, v7, v6
	global_store_dword v[4:5], v6, off
	s_branch .LBB497_745
.LBB497_739:
	s_mov_b64 s[16:17], 0
	s_mov_b64 s[14:15], s[68:69]
	s_branch .LBB497_856
.LBB497_740:
	s_mov_b64 s[16:17], -1
	s_mov_b64 s[2:3], 0
	s_mov_b64 s[14:15], s[68:69]
	s_branch .LBB497_814
.LBB497_741:
	s_mov_b64 s[16:17], -1
	s_mov_b64 s[2:3], 0
	s_mov_b64 s[14:15], s[68:69]
	s_branch .LBB497_772
.LBB497_742:
	s_mov_b64 s[16:17], -1
	s_mov_b64 s[2:3], 0
	s_mov_b64 s[14:15], s[68:69]
	s_branch .LBB497_755
.LBB497_743:
	s_mov_b64 s[16:17], -1
	s_mov_b64 s[2:3], 0
	s_mov_b64 s[14:15], s[68:69]
	s_branch .LBB497_751
.LBB497_744:
	s_mov_b64 s[16:17], -1
	s_mov_b64 s[2:3], 0
	s_mov_b64 s[14:15], s[68:69]
.LBB497_745:
	s_and_b64 vcc, exec, s[16:17]
	s_cbranch_vccz .LBB497_750
; %bb.746:
	s_cmp_eq_u32 s21, 44
	s_mov_b64 s[14:15], -1
	s_cbranch_scc0 .LBB497_750
; %bb.747:
	v_cvt_f32_f64_e32 v6, v[0:1]
	v_bfe_u32 v7, v6, 23, 8
	s_movk_i32 s2, 0xff
	v_cmp_ne_u32_e32 vcc, s2, v7
	v_mov_b32_e32 v8, 0xff
	s_and_saveexec_b64 s[14:15], vcc
; %bb.748:
	s_mov_b32 s2, 0x3fffff
	v_lshrrev_b32_e32 v8, 23, v6
	v_and_b32_e32 v9, 0x400000, v6
	v_and_or_b32 v6, v6, s2, v7
	v_cmp_ne_u32_e32 vcc, 0, v9
	v_cmp_ne_u32_e64 s[2:3], 0, v6
	s_and_b64 s[2:3], vcc, s[2:3]
	s_nop 0
	v_cndmask_b32_e64 v6, 0, 1, s[2:3]
	v_add_u32_e32 v8, v8, v6
; %bb.749:
	s_or_b64 exec, exec, s[14:15]
	s_mov_b64 s[2:3], -1
	s_mov_b64 s[14:15], 0
	global_store_byte v[4:5], v8, off
.LBB497_750:
	s_mov_b64 s[16:17], 0
.LBB497_751:
	s_and_b64 vcc, exec, s[16:17]
	s_cbranch_vccz .LBB497_754
; %bb.752:
	s_cmp_eq_u32 s21, 29
	s_mov_b64 s[14:15], -1
	s_cbranch_scc0 .LBB497_754
; %bb.753:
	v_trunc_f64_e32 v[6:7], v[0:1]
	s_movk_i32 s2, 0xffe0
	v_ldexp_f64 v[8:9], v[6:7], s2
	v_floor_f64_e32 v[8:9], v[8:9]
	v_fmac_f64_e32 v[6:7], 0xc1f00000, v[8:9]
	v_cvt_u32_f64_e32 v13, v[8:9]
	v_cvt_u32_f64_e32 v12, v[6:7]
	global_store_dwordx2 v[4:5], v[12:13], off
	s_mov_b64 s[2:3], -1
	s_mov_b64 s[14:15], 0
.LBB497_754:
	s_mov_b64 s[16:17], 0
.LBB497_755:
	s_and_b64 vcc, exec, s[16:17]
	s_cbranch_vccz .LBB497_771
; %bb.756:
	s_cmp_lt_i32 s21, 27
	s_mov_b64 s[2:3], -1
	s_cbranch_scc1 .LBB497_762
; %bb.757:
	s_cmp_gt_i32 s21, 27
	v_cvt_u32_f64_e32 v6, v[0:1]
	s_cbranch_scc0 .LBB497_759
; %bb.758:
	s_mov_b64 s[2:3], 0
	global_store_dword v[4:5], v6, off
.LBB497_759:
	s_andn2_b64 vcc, exec, s[2:3]
	s_cbranch_vccnz .LBB497_761
; %bb.760:
	global_store_short v[4:5], v6, off
.LBB497_761:
	s_mov_b64 s[2:3], 0
.LBB497_762:
	s_andn2_b64 vcc, exec, s[2:3]
	s_cbranch_vccnz .LBB497_770
; %bb.763:
	v_cvt_f32_f64_e32 v6, v[0:1]
	v_and_b32_e32 v7, 0x7fffffff, v6
	s_mov_b32 s2, 0x43800000
	v_cmp_gt_u32_e32 vcc, s2, v7
	v_mov_b32_e32 v8, 0x80
	s_and_saveexec_b64 s[2:3], vcc
	s_cbranch_execz .LBB497_769
; %bb.764:
	s_mov_b32 s16, 0x3bffffff
	v_cmp_lt_u32_e32 vcc, s16, v7
	s_mov_b64 s[16:17], 0
                                        ; implicit-def: $vgpr7
	s_and_saveexec_b64 s[18:19], vcc
	s_xor_b64 s[18:19], exec, s[18:19]
	s_cbranch_execz .LBB497_887
; %bb.765:
	v_bfe_u32 v7, v6, 20, 1
	s_mov_b32 s22, 0x487ffff
	v_add3_u32 v7, v6, v7, s22
	s_mov_b64 s[16:17], exec
	v_lshrrev_b32_e32 v7, 20, v7
	s_andn2_saveexec_b64 s[18:19], s[18:19]
	s_cbranch_execnz .LBB497_888
.LBB497_766:
	s_or_b64 exec, exec, s[18:19]
	v_mov_b32_e32 v8, 0
	s_and_saveexec_b64 s[18:19], s[16:17]
.LBB497_767:
	v_lshrrev_b32_e32 v6, 24, v6
	s_movk_i32 s16, 0x80
	v_and_or_b32 v8, v6, s16, v7
.LBB497_768:
	s_or_b64 exec, exec, s[18:19]
.LBB497_769:
	s_or_b64 exec, exec, s[2:3]
	global_store_byte v[4:5], v8, off
.LBB497_770:
	s_mov_b64 s[2:3], -1
.LBB497_771:
	s_mov_b64 s[16:17], 0
.LBB497_772:
	s_and_b64 vcc, exec, s[16:17]
	s_cbranch_vccz .LBB497_813
; %bb.773:
	s_cmp_gt_i32 s21, 22
	s_mov_b64 s[16:17], -1
	s_cbranch_scc0 .LBB497_805
; %bb.774:
	s_cmp_lt_i32 s21, 24
	s_mov_b64 s[2:3], -1
	s_cbranch_scc1 .LBB497_794
; %bb.775:
	s_cmp_gt_i32 s21, 24
	s_cbranch_scc0 .LBB497_783
; %bb.776:
	v_cvt_f32_f64_e32 v6, v[0:1]
	v_and_b32_e32 v7, 0x7fffffff, v6
	s_mov_b32 s2, 0x47800000
	v_cmp_gt_u32_e32 vcc, s2, v7
	v_mov_b32_e32 v8, 0x80
	s_and_saveexec_b64 s[2:3], vcc
	s_cbranch_execz .LBB497_782
; %bb.777:
	s_mov_b32 s16, 0x37ffffff
	v_cmp_lt_u32_e32 vcc, s16, v7
	s_mov_b64 s[16:17], 0
                                        ; implicit-def: $vgpr7
	s_and_saveexec_b64 s[18:19], vcc
	s_xor_b64 s[18:19], exec, s[18:19]
	s_cbranch_execz .LBB497_890
; %bb.778:
	v_bfe_u32 v7, v6, 21, 1
	s_mov_b32 s22, 0x88fffff
	v_add3_u32 v7, v6, v7, s22
	s_mov_b64 s[16:17], exec
	v_lshrrev_b32_e32 v7, 21, v7
	s_andn2_saveexec_b64 s[18:19], s[18:19]
	s_cbranch_execnz .LBB497_891
.LBB497_779:
	s_or_b64 exec, exec, s[18:19]
	v_mov_b32_e32 v8, 0
	s_and_saveexec_b64 s[18:19], s[16:17]
.LBB497_780:
	v_lshrrev_b32_e32 v6, 24, v6
	s_movk_i32 s16, 0x80
	v_and_or_b32 v8, v6, s16, v7
.LBB497_781:
	s_or_b64 exec, exec, s[18:19]
.LBB497_782:
	s_or_b64 exec, exec, s[2:3]
	s_mov_b64 s[2:3], 0
	global_store_byte v[4:5], v8, off
.LBB497_783:
	s_and_b64 vcc, exec, s[2:3]
	s_cbranch_vccz .LBB497_793
; %bb.784:
	v_cvt_f32_f64_e32 v6, v[0:1]
	v_and_b32_e32 v8, 0x7fffffff, v6
	s_mov_b32 s2, 0x43f00000
	v_cmp_gt_u32_e32 vcc, s2, v8
                                        ; implicit-def: $vgpr7
	s_and_saveexec_b64 s[2:3], vcc
	s_xor_b64 s[2:3], exec, s[2:3]
	s_cbranch_execz .LBB497_790
; %bb.785:
	s_mov_b32 s16, 0x3c7fffff
	v_cmp_lt_u32_e32 vcc, s16, v8
                                        ; implicit-def: $vgpr7
	s_and_saveexec_b64 s[16:17], vcc
	s_xor_b64 s[16:17], exec, s[16:17]
; %bb.786:
	v_bfe_u32 v7, v6, 20, 1
	s_mov_b32 s18, 0x407ffff
	v_add3_u32 v7, v6, v7, s18
	v_lshrrev_b32_e32 v8, 20, v7
	v_and_b32_e32 v7, 0xff00000, v7
	s_mov_b32 s18, 0x7f00000
	v_mov_b32_e32 v9, 0x7e
	v_cmp_ne_u32_e32 vcc, s18, v7
	s_nop 1
	v_cndmask_b32_e32 v7, v9, v8, vcc
; %bb.787:
	s_andn2_saveexec_b64 s[16:17], s[16:17]
; %bb.788:
	s_mov_b32 s18, 0x46800000
	v_add_f32_e64 v7, |v6|, s18
; %bb.789:
	s_or_b64 exec, exec, s[16:17]
                                        ; implicit-def: $vgpr8
.LBB497_790:
	s_andn2_saveexec_b64 s[2:3], s[2:3]
; %bb.791:
	s_mov_b32 s16, 0x7f800000
	v_mov_b32_e32 v7, 0x7e
	v_mov_b32_e32 v9, 0x7f
	v_cmp_lt_u32_e32 vcc, s16, v8
	s_nop 1
	v_cndmask_b32_e32 v7, v7, v9, vcc
; %bb.792:
	s_or_b64 exec, exec, s[2:3]
	v_lshrrev_b32_e32 v6, 24, v6
	s_movk_i32 s2, 0x80
	v_and_or_b32 v6, v6, s2, v7
	global_store_byte v[4:5], v6, off
.LBB497_793:
	s_mov_b64 s[2:3], 0
.LBB497_794:
	s_andn2_b64 vcc, exec, s[2:3]
	s_cbranch_vccnz .LBB497_804
; %bb.795:
	v_cvt_f32_f64_e32 v6, v[0:1]
	v_and_b32_e32 v8, 0x7fffffff, v6
	s_mov_b32 s2, 0x47800000
	v_cmp_gt_u32_e32 vcc, s2, v8
                                        ; implicit-def: $vgpr7
	s_and_saveexec_b64 s[2:3], vcc
	s_xor_b64 s[2:3], exec, s[2:3]
	s_cbranch_execz .LBB497_801
; %bb.796:
	s_mov_b32 s16, 0x387fffff
	v_cmp_lt_u32_e32 vcc, s16, v8
                                        ; implicit-def: $vgpr7
	s_and_saveexec_b64 s[16:17], vcc
	s_xor_b64 s[16:17], exec, s[16:17]
; %bb.797:
	v_bfe_u32 v7, v6, 21, 1
	s_mov_b32 s18, 0x80fffff
	v_add3_u32 v7, v6, v7, s18
	v_lshrrev_b32_e32 v7, 21, v7
; %bb.798:
	s_andn2_saveexec_b64 s[16:17], s[16:17]
; %bb.799:
	s_mov_b32 s18, 0x43000000
	v_add_f32_e64 v7, |v6|, s18
; %bb.800:
	s_or_b64 exec, exec, s[16:17]
                                        ; implicit-def: $vgpr8
.LBB497_801:
	s_andn2_saveexec_b64 s[2:3], s[2:3]
; %bb.802:
	s_mov_b32 s16, 0x7f800000
	v_mov_b32_e32 v7, 0x7c
	v_mov_b32_e32 v9, 0x7f
	v_cmp_lt_u32_e32 vcc, s16, v8
	s_nop 1
	v_cndmask_b32_e32 v7, v7, v9, vcc
; %bb.803:
	s_or_b64 exec, exec, s[2:3]
	v_lshrrev_b32_e32 v6, 24, v6
	s_movk_i32 s2, 0x80
	v_and_or_b32 v6, v6, s2, v7
	global_store_byte v[4:5], v6, off
.LBB497_804:
	s_mov_b64 s[16:17], 0
	s_mov_b64 s[2:3], -1
.LBB497_805:
	s_andn2_b64 vcc, exec, s[16:17]
	s_cbranch_vccnz .LBB497_813
; %bb.806:
	s_cmp_gt_i32 s21, 14
	s_mov_b64 s[16:17], -1
	s_cbranch_scc0 .LBB497_810
; %bb.807:
	s_cmp_eq_u32 s21, 15
	s_mov_b64 s[14:15], -1
	s_cbranch_scc0 .LBB497_809
; %bb.808:
	v_cvt_f32_f64_e32 v6, v[0:1]
	v_bfe_u32 v7, v6, 16, 1
	s_movk_i32 s2, 0x7fff
	v_add3_u32 v7, v6, v7, s2
	v_cmp_o_f32_e32 vcc, v6, v6
	v_mov_b32_e32 v6, 0x7fc0
	s_mov_b64 s[2:3], -1
	v_cndmask_b32_sdwa v6, v6, v7, vcc dst_sel:DWORD dst_unused:UNUSED_PAD src0_sel:DWORD src1_sel:WORD_1
	global_store_short v[4:5], v6, off
	s_mov_b64 s[14:15], 0
.LBB497_809:
	s_mov_b64 s[16:17], 0
.LBB497_810:
	s_and_b64 vcc, exec, s[16:17]
	s_cbranch_vccz .LBB497_813
; %bb.811:
	s_cmp_eq_u32 s21, 11
	s_mov_b64 s[14:15], -1
	s_cbranch_scc0 .LBB497_813
; %bb.812:
	v_cmp_neq_f64_e32 vcc, 0, v[0:1]
	v_cmp_neq_f64_e64 s[2:3], 0, v[2:3]
	s_or_b64 s[2:3], vcc, s[2:3]
	s_mov_b64 s[14:15], 0
	v_cndmask_b32_e64 v6, 0, 1, s[2:3]
	s_mov_b64 s[2:3], -1
	global_store_byte v[4:5], v6, off
.LBB497_813:
	s_mov_b64 s[16:17], 0
.LBB497_814:
	s_and_b64 vcc, exec, s[16:17]
	s_cbranch_vccz .LBB497_853
; %bb.815:
	s_and_b32 s16, 0xffff, s20
	s_cmp_lt_i32 s16, 5
	s_mov_b64 s[2:3], -1
	s_cbranch_scc1 .LBB497_836
; %bb.816:
	s_cmp_lt_i32 s16, 8
	s_cbranch_scc1 .LBB497_826
; %bb.817:
	s_cmp_lt_i32 s16, 9
	s_cbranch_scc1 .LBB497_823
; %bb.818:
	s_cmp_gt_i32 s16, 9
	s_cbranch_scc0 .LBB497_820
; %bb.819:
	s_mov_b64 s[2:3], 0
	global_store_dwordx4 v[4:5], v[0:3], off
.LBB497_820:
	s_andn2_b64 vcc, exec, s[2:3]
	s_cbranch_vccnz .LBB497_822
; %bb.821:
	v_cvt_f32_f64_e32 v7, v[2:3]
	v_cvt_f32_f64_e32 v6, v[0:1]
	global_store_dwordx2 v[4:5], v[6:7], off
.LBB497_822:
	s_mov_b64 s[2:3], 0
.LBB497_823:
	s_andn2_b64 vcc, exec, s[2:3]
	s_cbranch_vccnz .LBB497_825
; %bb.824:
	s_movk_i32 s2, 0x1ff
	v_and_or_b32 v6, v1, s2, v0
	v_cmp_ne_u32_e32 vcc, 0, v6
	v_lshrrev_b32_e32 v7, 8, v1
	s_movk_i32 s3, 0xffe
	v_cndmask_b32_e64 v6, 0, 1, vcc
	v_bfe_u32 v8, v1, 20, 11
	v_and_or_b32 v6, v7, s3, v6
	v_sub_u32_e32 v9, 0x3f1, v8
	v_or_b32_e32 v7, 0x1000, v6
	v_med3_i32 v9, v9, 0, 13
	v_lshrrev_b32_e32 v11, v9, v7
	v_lshlrev_b32_e32 v9, v9, v11
	v_cmp_ne_u32_e32 vcc, v9, v7
	v_add_u32_e32 v8, 0xfffffc10, v8
	v_lshl_or_b32 v9, v8, 12, v6
	v_cndmask_b32_e64 v7, 0, 1, vcc
	v_or_b32_e32 v7, v11, v7
	v_cmp_gt_i32_e32 vcc, 1, v8
	s_movk_i32 s17, 0x40f
	v_and_or_b32 v2, v3, s2, v2
	v_cndmask_b32_e32 v7, v9, v7, vcc
	v_and_b32_e32 v9, 7, v7
	v_cmp_lt_i32_e32 vcc, 5, v9
	v_lshrrev_b32_e32 v7, 2, v7
	v_bfe_u32 v12, v3, 20, 11
	v_cndmask_b32_e64 v11, 0, 1, vcc
	v_cmp_eq_u32_e32 vcc, 3, v9
	v_sub_u32_e32 v13, 0x3f1, v12
	v_med3_i32 v13, v13, 0, 13
	v_cndmask_b32_e64 v9, 0, 1, vcc
	v_or_b32_e32 v9, v9, v11
	v_add_u32_e32 v7, v7, v9
	v_mov_b32_e32 v9, 0x7c00
	v_cmp_gt_i32_e32 vcc, 31, v8
	v_mov_b32_e32 v11, 0x7e00
	v_add_u32_e32 v12, 0xfffffc10, v12
	v_cndmask_b32_e32 v7, v9, v7, vcc
	v_cmp_ne_u32_e32 vcc, 0, v6
	s_mov_b32 s18, 0x8000
	s_mov_b32 s2, 0xffff
	v_cndmask_b32_e32 v6, v9, v11, vcc
	v_cmp_eq_u32_e32 vcc, s17, v8
	v_lshrrev_b32_e32 v8, 8, v3
	v_lshrrev_b32_e32 v3, 16, v3
	v_cndmask_b32_e32 v6, v7, v6, vcc
	v_cmp_ne_u32_e32 vcc, 0, v2
	v_and_b32_sdwa v7, v1, s18 dst_sel:DWORD dst_unused:UNUSED_PAD src0_sel:WORD_1 src1_sel:DWORD
	s_nop 0
	v_cndmask_b32_e64 v2, 0, 1, vcc
	v_and_or_b32 v2, v8, s3, v2
	v_or_b32_e32 v8, 0x1000, v2
	v_lshrrev_b32_e32 v14, v13, v8
	v_lshlrev_b32_e32 v13, v13, v14
	v_cmp_ne_u32_e32 vcc, v13, v8
	v_lshl_or_b32 v13, v12, 12, v2
	s_nop 0
	v_cndmask_b32_e64 v8, 0, 1, vcc
	v_or_b32_e32 v8, v14, v8
	v_cmp_gt_i32_e32 vcc, 1, v12
	s_nop 1
	v_cndmask_b32_e32 v8, v13, v8, vcc
	v_and_b32_e32 v13, 7, v8
	v_cmp_lt_i32_e32 vcc, 5, v13
	v_lshrrev_b32_e32 v8, 2, v8
	s_nop 0
	v_cndmask_b32_e64 v14, 0, 1, vcc
	v_cmp_eq_u32_e32 vcc, 3, v13
	s_nop 1
	v_cndmask_b32_e64 v13, 0, 1, vcc
	v_or_b32_e32 v13, v13, v14
	v_add_u32_e32 v8, v8, v13
	v_cmp_gt_i32_e32 vcc, 31, v12
	s_nop 1
	v_cndmask_b32_e32 v8, v9, v8, vcc
	v_cmp_ne_u32_e32 vcc, 0, v2
	s_nop 1
	v_cndmask_b32_e32 v2, v9, v11, vcc
	v_cmp_eq_u32_e32 vcc, s17, v12
	s_nop 1
	v_cndmask_b32_e32 v2, v8, v2, vcc
	v_and_or_b32 v2, v3, s18, v2
	v_bitop3_b32 v3, v7, s2, v6 bitop3:0xc8
	v_lshl_or_b32 v2, v2, 16, v3
	global_store_dword v[4:5], v2, off
.LBB497_825:
	s_mov_b64 s[2:3], 0
.LBB497_826:
	s_andn2_b64 vcc, exec, s[2:3]
	s_cbranch_vccnz .LBB497_835
; %bb.827:
	s_cmp_lt_i32 s16, 6
	s_mov_b64 s[2:3], -1
	s_cbranch_scc1 .LBB497_833
; %bb.828:
	s_cmp_gt_i32 s16, 6
	s_cbranch_scc0 .LBB497_830
; %bb.829:
	s_mov_b64 s[2:3], 0
	global_store_dwordx2 v[4:5], v[0:1], off
.LBB497_830:
	s_andn2_b64 vcc, exec, s[2:3]
	s_cbranch_vccnz .LBB497_832
; %bb.831:
	v_cvt_f32_f64_e32 v2, v[0:1]
	global_store_dword v[4:5], v2, off
.LBB497_832:
	s_mov_b64 s[2:3], 0
.LBB497_833:
	s_andn2_b64 vcc, exec, s[2:3]
	s_cbranch_vccnz .LBB497_835
; %bb.834:
	s_movk_i32 s2, 0x1ff
	v_and_or_b32 v2, v1, s2, v0
	v_cmp_ne_u32_e32 vcc, 0, v2
	v_lshrrev_b32_e32 v3, 8, v1
	s_movk_i32 s2, 0xffe
	v_cndmask_b32_e64 v2, 0, 1, vcc
	v_bfe_u32 v6, v1, 20, 11
	v_and_or_b32 v2, v3, s2, v2
	v_sub_u32_e32 v7, 0x3f1, v6
	v_or_b32_e32 v3, 0x1000, v2
	v_med3_i32 v7, v7, 0, 13
	v_lshrrev_b32_e32 v8, v7, v3
	v_lshlrev_b32_e32 v7, v7, v8
	v_cmp_ne_u32_e32 vcc, v7, v3
	v_add_u32_e32 v6, 0xfffffc10, v6
	v_lshl_or_b32 v7, v6, 12, v2
	v_cndmask_b32_e64 v3, 0, 1, vcc
	v_or_b32_e32 v3, v8, v3
	v_cmp_gt_i32_e32 vcc, 1, v6
	s_movk_i32 s2, 0x40f
	s_nop 0
	v_cndmask_b32_e32 v3, v7, v3, vcc
	v_and_b32_e32 v7, 7, v3
	v_cmp_lt_i32_e32 vcc, 5, v7
	v_lshrrev_b32_e32 v3, 2, v3
	s_nop 0
	v_cndmask_b32_e64 v8, 0, 1, vcc
	v_cmp_eq_u32_e32 vcc, 3, v7
	s_nop 1
	v_cndmask_b32_e64 v7, 0, 1, vcc
	v_or_b32_e32 v7, v7, v8
	v_add_u32_e32 v3, v3, v7
	v_mov_b32_e32 v7, 0x7c00
	v_cmp_gt_i32_e32 vcc, 31, v6
	v_mov_b32_e32 v8, 0x7e00
	s_nop 0
	v_cndmask_b32_e32 v3, v7, v3, vcc
	v_cmp_ne_u32_e32 vcc, 0, v2
	s_nop 1
	v_cndmask_b32_e32 v2, v7, v8, vcc
	v_cmp_eq_u32_e32 vcc, s2, v6
	s_mov_b32 s2, 0x8000
	s_nop 0
	v_cndmask_b32_e32 v2, v3, v2, vcc
	v_lshrrev_b32_e32 v3, 16, v1
	v_and_or_b32 v2, v3, s2, v2
	global_store_short v[4:5], v2, off
.LBB497_835:
	s_mov_b64 s[2:3], 0
.LBB497_836:
	s_andn2_b64 vcc, exec, s[2:3]
	s_cbranch_vccnz .LBB497_852
; %bb.837:
	s_cmp_lt_i32 s16, 2
	s_mov_b64 s[2:3], -1
	s_cbranch_scc1 .LBB497_847
; %bb.838:
	s_cmp_lt_i32 s16, 3
	s_cbranch_scc1 .LBB497_844
; %bb.839:
	s_cmp_gt_i32 s16, 3
	s_cbranch_scc0 .LBB497_841
; %bb.840:
	v_trunc_f64_e32 v[2:3], v[0:1]
	s_movk_i32 s2, 0xffe0
	v_ldexp_f64 v[6:7], v[2:3], s2
	v_floor_f64_e32 v[6:7], v[6:7]
	v_fmac_f64_e32 v[2:3], 0xc1f00000, v[6:7]
	v_cvt_i32_f64_e32 v9, v[6:7]
	v_cvt_u32_f64_e32 v8, v[2:3]
	s_mov_b64 s[2:3], 0
	global_store_dwordx2 v[4:5], v[8:9], off
.LBB497_841:
	s_andn2_b64 vcc, exec, s[2:3]
	s_cbranch_vccnz .LBB497_843
; %bb.842:
	v_cvt_i32_f64_e32 v2, v[0:1]
	global_store_dword v[4:5], v2, off
.LBB497_843:
	s_mov_b64 s[2:3], 0
.LBB497_844:
	s_andn2_b64 vcc, exec, s[2:3]
	s_cbranch_vccnz .LBB497_846
; %bb.845:
	v_cvt_i32_f64_e32 v2, v[0:1]
	global_store_short v[4:5], v2, off
.LBB497_846:
	s_mov_b64 s[2:3], 0
.LBB497_847:
	s_andn2_b64 vcc, exec, s[2:3]
	s_cbranch_vccnz .LBB497_852
; %bb.848:
	s_cmp_gt_i32 s16, 0
	s_mov_b64 s[2:3], -1
	s_cbranch_scc0 .LBB497_850
; %bb.849:
	v_cvt_i32_f64_e32 v2, v[0:1]
	s_mov_b64 s[2:3], 0
	global_store_byte v[4:5], v2, off
.LBB497_850:
	s_andn2_b64 vcc, exec, s[2:3]
	s_cbranch_vccnz .LBB497_852
; %bb.851:
	v_trunc_f64_e32 v[0:1], v[0:1]
	s_movk_i32 s2, 0xffe0
	v_ldexp_f64 v[2:3], v[0:1], s2
	v_floor_f64_e32 v[2:3], v[2:3]
	v_fmac_f64_e32 v[0:1], 0xc1f00000, v[2:3]
	v_cvt_u32_f64_e32 v0, v[0:1]
	global_store_byte v[4:5], v0, off
.LBB497_852:
	s_mov_b64 s[2:3], -1
.LBB497_853:
	s_andn2_b64 vcc, exec, s[2:3]
	s_cbranch_vccnz .LBB497_855
; %bb.854:
	v_add_u32_e32 v10, 0x80, v10
	s_mov_b64 s[16:17], -1
	s_branch .LBB497_857
.LBB497_855:
	s_mov_b64 s[16:17], 0
.LBB497_856:
                                        ; implicit-def: $vgpr10
.LBB497_857:
	s_andn2_b64 s[2:3], s[68:69], exec
	s_and_b64 s[14:15], s[14:15], exec
	s_or_b64 s[74:75], s[2:3], s[14:15]
	s_andn2_b64 s[2:3], s[66:67], exec
	s_and_b64 s[12:13], s[12:13], exec
	s_or_b64 s[2:3], s[2:3], s[12:13]
	s_orn2_b64 s[18:19], s[16:17], exec
.LBB497_858:
	s_or_b64 exec, exec, s[72:73]
	s_mov_b64 s[12:13], 0
	s_mov_b64 s[14:15], 0
	;; [unrolled: 1-line block ×3, first 2 shown]
                                        ; implicit-def: $vgpr0_vgpr1
                                        ; implicit-def: $vgpr8
                                        ; implicit-def: $vgpr6_vgpr7
	s_and_saveexec_b64 s[72:73], s[18:19]
	s_cbranch_execz .LBB497_961
; %bb.859:
	v_cmp_gt_i32_e32 vcc, s76, v10
	s_mov_b64 s[18:19], s[2:3]
                                        ; implicit-def: $vgpr0_vgpr1
                                        ; implicit-def: $vgpr8
                                        ; implicit-def: $vgpr6_vgpr7
	s_and_saveexec_b64 s[76:77], vcc
	s_cbranch_execz .LBB497_960
; %bb.860:
	s_andn2_b64 vcc, exec, s[46:47]
	s_cbranch_vccnz .LBB497_866
; %bb.861:
	s_andn2_b64 vcc, exec, s[58:59]
	s_cbranch_vccnz .LBB497_867
; %bb.862:
	s_add_i32 s82, s81, 1
	s_cmp_eq_u32 s78, 2
	s_cbranch_scc1 .LBB497_868
; %bb.863:
	s_and_b32 s81, s82, 28
	s_mov_b32 s83, 0
	v_mov_b32_e32 v8, 0
	v_mov_b32_e32 v0, 0
	s_mov_b64 s[58:59], s[34:35]
	s_waitcnt vmcnt(0)
	v_mov_b32_e32 v2, v10
.LBB497_864:                            ; =>This Inner Loop Header: Depth=1
	s_load_dwordx8 s[20:27], s[58:59], 0x4
	s_load_dwordx4 s[40:43], s[58:59], 0x24
	s_load_dwordx8 s[12:19], s[56:57], 0x0
	s_add_u32 s58, s58, 48
	s_addc_u32 s59, s59, 0
	s_waitcnt lgkmcnt(0)
	v_mul_hi_u32 v1, s21, v2
	v_add_u32_e32 v1, v2, v1
	v_lshrrev_b32_e32 v1, s22, v1
	v_mul_lo_u32 v3, v1, s20
	v_mul_hi_u32 v4, s24, v1
	v_sub_u32_e32 v2, v2, v3
	v_add_u32_e32 v3, v1, v4
	v_lshrrev_b32_e32 v3, s25, v3
	v_mul_lo_u32 v5, v3, s23
	v_mul_hi_u32 v6, s27, v3
	v_sub_u32_e32 v1, v1, v5
	v_add_u32_e32 v5, v3, v6
	v_mul_lo_u32 v4, v2, s13
	v_mul_lo_u32 v2, v2, s12
	;; [unrolled: 1-line block ×4, first 2 shown]
	v_lshrrev_b32_e32 v5, s40, v5
	v_add3_u32 v1, v2, v8, v1
	v_add3_u32 v0, v4, v0, v6
	v_mul_lo_u32 v2, v5, s26
	v_mul_hi_u32 v4, s42, v5
	v_sub_u32_e32 v2, v3, v2
	v_add_u32_e32 v3, v5, v4
	v_mul_lo_u32 v4, v2, s16
	v_mul_lo_u32 v6, v2, s17
	v_lshrrev_b32_e32 v2, s43, v3
	s_add_i32 s83, s83, 4
	v_mul_lo_u32 v3, v2, s41
	s_add_u32 s56, s56, 32
	v_sub_u32_e32 v3, v5, v3
	s_addc_u32 s57, s57, 0
	v_mul_lo_u32 v5, v3, s18
	v_mul_lo_u32 v3, v3, s19
	s_cmp_eq_u32 s81, s83
	v_add3_u32 v0, v6, v0, v3
	v_add3_u32 v8, v4, v1, v5
	s_cbranch_scc0 .LBB497_864
; %bb.865:
	v_mov_b32_e32 v1, v0
	s_branch .LBB497_869
.LBB497_866:
	s_mov_b64 s[12:13], -1
                                        ; implicit-def: $vgpr0
                                        ; implicit-def: $vgpr8
	s_branch .LBB497_873
.LBB497_867:
	v_mov_b32_e32 v0, 0
	v_mov_b32_e32 v8, 0
	s_branch .LBB497_872
.LBB497_868:
	v_mov_b32_e32 v8, 0
	s_mov_b32 s81, 0
	v_mov_b32_e32 v1, v8
                                        ; implicit-def: $vgpr0
	s_waitcnt vmcnt(0)
	v_mov_b32_e32 v2, v10
.LBB497_869:
	s_and_b32 s16, s82, 3
	s_cmp_eq_u32 s16, 0
	s_cbranch_scc1 .LBB497_872
; %bb.870:
	s_lshl_b32 s12, s81, 3
	s_add_u32 s12, s34, s12
	s_addc_u32 s13, s35, 0
	s_add_u32 s12, s12, 0xc4
	s_addc_u32 s13, s13, 0
	s_mul_i32 s14, s81, 12
	s_add_u32 s14, s34, s14
	s_addc_u32 s15, s35, 0
.LBB497_871:                            ; =>This Inner Loop Header: Depth=1
	s_load_dwordx2 s[18:19], s[14:15], 0x4
	s_load_dword s17, s[14:15], 0xc
	s_load_dwordx2 s[20:21], s[12:13], 0x0
	v_mov_b32_e32 v0, v1
	s_add_u32 s14, s14, 12
	s_waitcnt lgkmcnt(0)
	v_mul_hi_u32 v1, s19, v2
	v_add_u32_e32 v1, v2, v1
	v_lshrrev_b32_e32 v1, s17, v1
	s_addc_u32 s15, s15, 0
	v_mul_lo_u32 v3, v1, s18
	s_add_u32 s12, s12, 8
	v_sub_u32_e32 v3, v2, v3
	s_addc_u32 s13, s13, 0
	s_add_i32 s16, s16, -1
	v_mov_b32_e32 v2, v1
	v_mad_u64_u32 v[0:1], s[18:19], v3, s21, v[0:1]
	s_cmp_lg_u32 s16, 0
	v_mad_u64_u32 v[8:9], s[18:19], v3, s20, v[8:9]
	v_mov_b32_e32 v1, v0
	s_cbranch_scc1 .LBB497_871
.LBB497_872:
	s_mov_b64 s[12:13], 0
.LBB497_873:
	s_andn2_b64 vcc, exec, s[12:13]
	s_cbranch_vccnz .LBB497_876
; %bb.874:
	v_mul_hi_u32 v0, s29, v10
	v_add_u32_e32 v0, v10, v0
	v_lshrrev_b32_e32 v1, s30, v0
	v_mul_lo_u32 v0, v1, s28
	s_waitcnt vmcnt(0)
	v_sub_u32_e32 v2, v10, v0
	v_mul_lo_u32 v0, v2, s37
	s_andn2_b64 vcc, exec, s[54:55]
	v_mul_lo_u32 v8, v2, s36
	s_cbranch_vccnz .LBB497_876
; %bb.875:
	v_mul_hi_u32 v2, s52, v1
	v_add_u32_e32 v2, v1, v2
	v_lshrrev_b32_e32 v2, s53, v2
	v_mul_lo_u32 v2, v2, s31
	v_sub_u32_e32 v1, v1, v2
	v_mad_u64_u32 v[8:9], s[12:13], v1, s38, v[8:9]
	v_mad_u64_u32 v[0:1], s[12:13], v1, s39, v[0:1]
.LBB497_876:
	v_mov_b32_e32 v1, 0
	s_and_b32 s20, 0xffff, s80
	s_cmp_lt_i32 s20, 11
	v_lshl_add_u64 v[0:1], s[6:7], 0, v[0:1]
	s_cbranch_scc1 .LBB497_883
; %bb.877:
	s_cmp_gt_i32 s20, 25
	s_mov_b64 s[12:13], 0
	s_cbranch_scc0 .LBB497_884
; %bb.878:
	s_cmp_gt_i32 s20, 28
	s_cbranch_scc0 .LBB497_885
; %bb.879:
	s_cmp_gt_i32 s20, 43
	;; [unrolled: 3-line block ×3, first 2 shown]
	s_cbranch_scc0 .LBB497_889
; %bb.881:
	s_cmp_eq_u32 s20, 46
	s_mov_b64 s[16:17], 0
	s_cbranch_scc0 .LBB497_892
; %bb.882:
	global_load_dword v2, v[0:1], off
	s_mov_b64 s[6:7], 0
	s_mov_b64 s[14:15], -1
	s_waitcnt vmcnt(0)
	v_and_b32_e32 v3, 0xffff0000, v2
	v_lshlrev_b32_e32 v2, 16, v2
	v_cvt_f64_f32_e32 v[4:5], v2
	v_cvt_f64_f32_e32 v[6:7], v3
	s_branch .LBB497_893
.LBB497_883:
	s_mov_b64 s[18:19], -1
	s_mov_b64 s[14:15], 0
	s_mov_b64 s[12:13], 0
	s_mov_b64 s[6:7], s[2:3]
                                        ; implicit-def: $vgpr6_vgpr7
	s_branch .LBB497_959
.LBB497_884:
	s_mov_b64 s[16:17], -1
	s_mov_b64 s[14:15], 0
	s_mov_b64 s[6:7], s[2:3]
                                        ; implicit-def: $vgpr6_vgpr7
	s_branch .LBB497_926
.LBB497_885:
	s_mov_b64 s[16:17], -1
	s_mov_b64 s[14:15], 0
	s_mov_b64 s[6:7], s[2:3]
                                        ; implicit-def: $vgpr6_vgpr7
	s_branch .LBB497_905
.LBB497_886:
	s_mov_b64 s[16:17], -1
	s_mov_b64 s[14:15], 0
	s_mov_b64 s[6:7], s[2:3]
                                        ; implicit-def: $vgpr6_vgpr7
	s_branch .LBB497_899
.LBB497_887:
	s_andn2_saveexec_b64 s[18:19], s[18:19]
	s_cbranch_execz .LBB497_766
.LBB497_888:
	s_mov_b32 s22, 0x46000000
	v_add_f32_e64 v7, |v6|, s22
	v_and_b32_e32 v7, 0xff, v7
	v_cmp_ne_u32_e32 vcc, 0, v7
	s_andn2_b64 s[16:17], s[16:17], exec
	s_and_b64 s[22:23], vcc, exec
	s_or_b64 s[16:17], s[16:17], s[22:23]
	s_or_b64 exec, exec, s[18:19]
	v_mov_b32_e32 v8, 0
	s_and_saveexec_b64 s[18:19], s[16:17]
	s_cbranch_execnz .LBB497_767
	s_branch .LBB497_768
.LBB497_889:
	s_mov_b64 s[16:17], -1
	s_mov_b64 s[14:15], 0
	s_mov_b64 s[6:7], s[2:3]
                                        ; implicit-def: $vgpr6_vgpr7
	s_branch .LBB497_893
.LBB497_890:
	s_andn2_saveexec_b64 s[18:19], s[18:19]
	s_cbranch_execz .LBB497_779
.LBB497_891:
	s_mov_b32 s22, 0x42800000
	v_add_f32_e64 v7, |v6|, s22
	v_and_b32_e32 v7, 0xff, v7
	v_cmp_ne_u32_e32 vcc, 0, v7
	s_andn2_b64 s[16:17], s[16:17], exec
	s_and_b64 s[22:23], vcc, exec
	s_or_b64 s[16:17], s[16:17], s[22:23]
	s_or_b64 exec, exec, s[18:19]
	v_mov_b32_e32 v8, 0
	s_and_saveexec_b64 s[18:19], s[16:17]
	s_cbranch_execnz .LBB497_780
	s_branch .LBB497_781
.LBB497_892:
	s_mov_b64 s[6:7], -1
                                        ; implicit-def: $vgpr6_vgpr7
	s_mov_b64 s[14:15], 0
.LBB497_893:
	s_and_b64 vcc, exec, s[16:17]
	s_cbranch_vccz .LBB497_898
; %bb.894:
	s_cmp_eq_u32 s20, 44
	s_cbranch_scc0 .LBB497_896
; %bb.895:
	global_load_ubyte v4, v[0:1], off
	s_movk_i32 s14, 0xff
	s_waitcnt vmcnt(1)
	v_bfrev_b32_e32 v5, 4
	v_mov_b32_e32 v6, 0x7ff80000
	v_bfrev_b32_e32 v7, 28
	s_mov_b64 s[6:7], 0
	s_waitcnt vmcnt(0)
	v_lshlrev_b32_e32 v2, 23, v4
	v_cvt_f64_f32_e32 v[2:3], v2
	v_cmp_ne_u32_e32 vcc, s14, v4
	s_mov_b64 s[14:15], -1
	s_nop 0
	v_cndmask_b32_e32 v2, v5, v2, vcc
	v_cndmask_b32_e32 v3, v6, v3, vcc
	v_cmp_ne_u32_e32 vcc, 0, v4
	s_nop 1
	v_cndmask_b32_e32 v5, v7, v3, vcc
	v_cndmask_b32_e32 v4, 0, v2, vcc
	s_branch .LBB497_897
.LBB497_896:
	s_mov_b64 s[6:7], -1
                                        ; implicit-def: $vgpr4_vgpr5
.LBB497_897:
	v_mov_b64_e32 v[6:7], 0
.LBB497_898:
	s_mov_b64 s[16:17], 0
.LBB497_899:
	s_and_b64 vcc, exec, s[16:17]
	s_cbranch_vccz .LBB497_904
; %bb.900:
	s_cmp_eq_u32 s20, 29
	s_cbranch_scc0 .LBB497_902
; %bb.901:
	global_load_dwordx2 v[2:3], v[0:1], off
	s_mov_b64 s[6:7], 0
	s_mov_b64 s[14:15], -1
	s_waitcnt vmcnt(0)
	v_cvt_f64_u32_e32 v[4:5], v3
	v_cvt_f64_u32_e32 v[2:3], v2
	v_ldexp_f64 v[4:5], v[4:5], 32
	v_add_f64 v[4:5], v[4:5], v[2:3]
	s_branch .LBB497_903
.LBB497_902:
	s_mov_b64 s[6:7], -1
                                        ; implicit-def: $vgpr4_vgpr5
.LBB497_903:
	v_mov_b64_e32 v[6:7], 0
.LBB497_904:
	s_mov_b64 s[16:17], 0
.LBB497_905:
	s_and_b64 vcc, exec, s[16:17]
	s_cbranch_vccz .LBB497_925
; %bb.906:
	s_cmp_lt_i32 s20, 27
	s_cbranch_scc1 .LBB497_909
; %bb.907:
	s_cmp_gt_i32 s20, 27
	s_cbranch_scc0 .LBB497_910
; %bb.908:
	global_load_dword v2, v[0:1], off
	s_mov_b64 s[14:15], 0
	s_waitcnt vmcnt(0)
	v_cvt_f64_u32_e32 v[4:5], v2
	s_branch .LBB497_911
.LBB497_909:
	s_mov_b64 s[14:15], -1
                                        ; implicit-def: $vgpr4_vgpr5
	s_branch .LBB497_914
.LBB497_910:
	s_mov_b64 s[14:15], -1
                                        ; implicit-def: $vgpr4_vgpr5
.LBB497_911:
	s_andn2_b64 vcc, exec, s[14:15]
	s_cbranch_vccnz .LBB497_913
; %bb.912:
	global_load_ushort v2, v[0:1], off
	s_waitcnt vmcnt(0)
	v_cvt_f64_u32_e32 v[4:5], v2
.LBB497_913:
	s_mov_b64 s[14:15], 0
.LBB497_914:
	s_andn2_b64 vcc, exec, s[14:15]
	s_cbranch_vccnz .LBB497_924
; %bb.915:
	global_load_ubyte v2, v[0:1], off
	s_movk_i32 s14, 0x7f
	s_waitcnt vmcnt(0)
	v_cmp_lt_i16_e32 vcc, s14, v2
	s_mov_b64 s[14:15], 0
	s_and_saveexec_b64 s[16:17], vcc
	s_xor_b64 s[16:17], exec, s[16:17]
	s_cbranch_execz .LBB497_919
; %bb.916:
	s_movk_i32 s14, 0x80
	v_cmp_eq_u16_e32 vcc, s14, v2
	s_mov_b64 s[14:15], -1
	s_and_saveexec_b64 s[18:19], vcc
; %bb.917:
	s_xor_b64 s[14:15], exec, -1
; %bb.918:
	s_or_b64 exec, exec, s[18:19]
	s_and_b64 s[14:15], s[14:15], exec
.LBB497_919:
	s_or_saveexec_b64 s[16:17], s[16:17]
	v_bfrev_b32_e32 v4, 4
	v_mov_b32_e32 v5, 0x7ff80000
	s_xor_b64 exec, exec, s[16:17]
; %bb.920:
	v_cmp_ne_u16_e32 vcc, 0, v2
	s_andn2_b64 s[14:15], s[14:15], exec
	s_and_b64 s[18:19], vcc, exec
	v_mov_b64_e32 v[4:5], 0
	s_or_b64 s[14:15], s[14:15], s[18:19]
; %bb.921:
	s_or_b64 exec, exec, s[16:17]
	s_and_saveexec_b64 s[16:17], s[14:15]
	s_cbranch_execz .LBB497_923
; %bb.922:
	v_lshlrev_b32_e32 v3, 24, v2
	v_and_b32_e32 v2, 0xffff, v2
	v_and_b32_e32 v4, 7, v2
	v_ffbh_u32_e32 v6, v4
	v_min_u32_e32 v6, 32, v6
	v_subrev_u32_e32 v7, 28, v6
	v_bfe_u32 v5, v2, 3, 4
	v_lshlrev_b32_e32 v2, v7, v2
	v_sub_u32_e32 v6, 29, v6
	v_and_b32_e32 v2, 7, v2
	v_cmp_eq_u32_e32 vcc, 0, v5
	v_and_b32_e32 v3, 0x80000000, v3
	s_nop 0
	v_cndmask_b32_e32 v5, v5, v6, vcc
	v_cndmask_b32_e32 v2, v4, v2, vcc
	v_mov_b32_e32 v4, 0x3b800000
	v_lshlrev_b32_e32 v2, 20, v2
	v_lshl_add_u32 v4, v5, 23, v4
	v_or3_b32 v2, v3, v4, v2
	v_cvt_f64_f32_e32 v[4:5], v2
.LBB497_923:
	s_or_b64 exec, exec, s[16:17]
.LBB497_924:
	s_mov_b64 s[14:15], -1
	v_mov_b64_e32 v[6:7], 0
.LBB497_925:
	s_mov_b64 s[16:17], 0
.LBB497_926:
	s_and_b64 vcc, exec, s[16:17]
	s_cbranch_vccz .LBB497_958
; %bb.927:
	s_cmp_gt_i32 s20, 22
	s_cbranch_scc0 .LBB497_939
; %bb.928:
	s_cmp_lt_i32 s20, 24
	s_cbranch_scc1 .LBB497_940
; %bb.929:
	s_cmp_gt_i32 s20, 24
	s_cbranch_scc0 .LBB497_941
; %bb.930:
	global_load_ubyte v2, v[0:1], off
	s_movk_i32 s12, 0x7f
	s_waitcnt vmcnt(0)
	v_cmp_lt_i16_e32 vcc, s12, v2
	s_mov_b64 s[12:13], 0
	s_and_saveexec_b64 s[14:15], vcc
	s_xor_b64 s[14:15], exec, s[14:15]
	s_cbranch_execz .LBB497_934
; %bb.931:
	s_movk_i32 s12, 0x80
	v_cmp_eq_u16_e32 vcc, s12, v2
	s_mov_b64 s[12:13], -1
	s_and_saveexec_b64 s[16:17], vcc
; %bb.932:
	s_xor_b64 s[12:13], exec, -1
; %bb.933:
	s_or_b64 exec, exec, s[16:17]
	s_and_b64 s[12:13], s[12:13], exec
.LBB497_934:
	s_or_saveexec_b64 s[14:15], s[14:15]
	v_bfrev_b32_e32 v4, 4
	v_mov_b32_e32 v5, 0x7ff80000
	s_xor_b64 exec, exec, s[14:15]
; %bb.935:
	v_cmp_ne_u16_e32 vcc, 0, v2
	s_andn2_b64 s[12:13], s[12:13], exec
	s_and_b64 s[16:17], vcc, exec
	v_mov_b64_e32 v[4:5], 0
	s_or_b64 s[12:13], s[12:13], s[16:17]
; %bb.936:
	s_or_b64 exec, exec, s[14:15]
	s_and_saveexec_b64 s[14:15], s[12:13]
	s_cbranch_execz .LBB497_938
; %bb.937:
	v_lshlrev_b32_e32 v3, 24, v2
	v_and_b32_e32 v2, 0xffff, v2
	v_and_b32_e32 v4, 3, v2
	v_ffbh_u32_e32 v6, v4
	v_min_u32_e32 v6, 32, v6
	v_subrev_u32_e32 v7, 29, v6
	v_bfe_u32 v5, v2, 2, 5
	v_lshlrev_b32_e32 v2, v7, v2
	v_sub_u32_e32 v6, 30, v6
	v_and_b32_e32 v2, 3, v2
	v_cmp_eq_u32_e32 vcc, 0, v5
	v_and_b32_e32 v3, 0x80000000, v3
	s_nop 0
	v_cndmask_b32_e32 v5, v5, v6, vcc
	v_cndmask_b32_e32 v2, v4, v2, vcc
	v_mov_b32_e32 v4, 0x37800000
	v_lshlrev_b32_e32 v2, 21, v2
	v_lshl_add_u32 v4, v5, 23, v4
	v_or3_b32 v2, v3, v4, v2
	v_cvt_f64_f32_e32 v[4:5], v2
.LBB497_938:
	s_or_b64 exec, exec, s[14:15]
	s_mov_b64 s[12:13], 0
	s_branch .LBB497_942
.LBB497_939:
	s_mov_b64 s[12:13], -1
                                        ; implicit-def: $vgpr4_vgpr5
	s_branch .LBB497_948
.LBB497_940:
	s_mov_b64 s[12:13], -1
                                        ; implicit-def: $vgpr4_vgpr5
	s_branch .LBB497_945
.LBB497_941:
	s_mov_b64 s[12:13], -1
                                        ; implicit-def: $vgpr4_vgpr5
.LBB497_942:
	s_and_b64 vcc, exec, s[12:13]
	s_cbranch_vccz .LBB497_944
; %bb.943:
	global_load_ubyte v2, v[0:1], off
	s_mov_b32 s12, 0x7f800000
	s_waitcnt vmcnt(0)
	v_lshlrev_b32_e32 v2, 24, v2
	v_and_b32_e32 v3, 0x7f000000, v2
	v_ffbh_u32_e32 v4, v3
	v_min_u32_e32 v4, 32, v4
	v_sub_u32_e64 v4, v4, 4 clamp
	v_lshlrev_b32_e32 v6, v4, v3
	v_lshlrev_b32_e32 v4, 23, v4
	v_lshrrev_b32_e32 v6, 4, v6
	v_add_u32_e32 v5, 0x1000000, v3
	v_sub_u32_e32 v4, v6, v4
	v_ashrrev_i32_e32 v5, 8, v5
	v_add_u32_e32 v4, 0x3c000000, v4
	v_and_or_b32 v4, v5, s12, v4
	v_cmp_ne_u32_e32 vcc, 0, v3
	s_brev_b32 s12, 1
	s_nop 0
	v_cndmask_b32_e32 v3, 0, v4, vcc
	v_and_or_b32 v2, v2, s12, v3
	v_cvt_f64_f32_e32 v[4:5], v2
.LBB497_944:
	s_mov_b64 s[12:13], 0
.LBB497_945:
	s_andn2_b64 vcc, exec, s[12:13]
	s_cbranch_vccnz .LBB497_947
; %bb.946:
	global_load_ubyte v2, v[0:1], off
	s_movk_i32 s12, 0x7f00
	s_brev_b32 s13, 16
	s_waitcnt vmcnt(0)
	v_lshlrev_b16_e32 v3, 8, v2
	v_lshlrev_b32_e32 v2, 25, v2
	v_lshrrev_b32_e32 v4, 4, v2
	v_and_or_b32 v5, v3, s12, 0.5
	v_or_b32_e32 v4, 0x70000000, v4
	v_add_f32_e32 v5, -0.5, v5
	v_mul_f32_e32 v4, 0x7800000, v4
	v_cmp_gt_u32_e32 vcc, s13, v2
	v_bfe_i32 v3, v3, 0, 16
	s_brev_b32 s12, 1
	v_cndmask_b32_e32 v2, v4, v5, vcc
	v_and_or_b32 v2, v3, s12, v2
	v_cvt_f64_f32_e32 v[4:5], v2
.LBB497_947:
	s_mov_b64 s[12:13], 0
	s_mov_b64 s[14:15], -1
.LBB497_948:
	s_andn2_b64 vcc, exec, s[12:13]
	s_mov_b64 s[12:13], 0
	s_cbranch_vccnz .LBB497_957
; %bb.949:
	s_cmp_gt_i32 s20, 14
	s_cbranch_scc0 .LBB497_952
; %bb.950:
	s_cmp_eq_u32 s20, 15
	s_cbranch_scc0 .LBB497_953
; %bb.951:
	global_load_ushort v2, v[0:1], off
	s_mov_b64 s[6:7], 0
	s_mov_b64 s[14:15], -1
	s_waitcnt vmcnt(0)
	v_lshlrev_b32_e32 v2, 16, v2
	v_cvt_f64_f32_e32 v[4:5], v2
	s_branch .LBB497_954
.LBB497_952:
	s_mov_b64 s[16:17], -1
                                        ; implicit-def: $vgpr4_vgpr5
	s_branch .LBB497_955
.LBB497_953:
	s_mov_b64 s[6:7], -1
                                        ; implicit-def: $vgpr4_vgpr5
.LBB497_954:
	s_mov_b64 s[16:17], 0
.LBB497_955:
	s_and_b64 vcc, exec, s[16:17]
	s_cbranch_vccz .LBB497_957
; %bb.956:
	s_cmp_lg_u32 s20, 11
	s_cselect_b64 s[16:17], -1, 0
	s_andn2_b64 s[6:7], s[6:7], exec
	s_and_b64 s[16:17], s[16:17], exec
	s_mov_b64 s[12:13], -1
	s_or_b64 s[6:7], s[6:7], s[16:17]
.LBB497_957:
	v_mov_b64_e32 v[6:7], 0
.LBB497_958:
	s_mov_b64 s[18:19], 0
.LBB497_959:
	s_and_b64 s[16:17], s[14:15], exec
	s_and_b64 s[14:15], s[18:19], exec
	s_andn2_b64 s[18:19], s[2:3], exec
	s_and_b64 s[6:7], s[6:7], exec
	s_and_b64 s[12:13], s[12:13], exec
	s_or_b64 s[18:19], s[18:19], s[6:7]
.LBB497_960:
	s_or_b64 exec, exec, s[76:77]
	s_andn2_b64 s[2:3], s[2:3], exec
	s_and_b64 s[6:7], s[18:19], exec
	s_and_b64 s[16:17], s[16:17], exec
	;; [unrolled: 1-line block ×4, first 2 shown]
	s_or_b64 s[2:3], s[2:3], s[6:7]
.LBB497_961:
	s_or_b64 exec, exec, s[72:73]
	s_andn2_b64 s[6:7], s[68:69], exec
	s_and_b64 s[18:19], s[74:75], exec
	s_or_b64 s[68:69], s[6:7], s[18:19]
	s_andn2_b64 s[6:7], s[66:67], exec
	s_and_b64 s[2:3], s[2:3], exec
	s_and_b64 s[16:17], s[16:17], exec
	;; [unrolled: 1-line block ×4, first 2 shown]
	s_or_b64 s[66:67], s[6:7], s[2:3]
.LBB497_962:
	s_or_b64 exec, exec, s[70:71]
	s_andn2_b64 s[2:3], s[60:61], exec
	s_and_b64 s[6:7], s[68:69], exec
	s_or_b64 s[60:61], s[2:3], s[6:7]
	s_and_b64 s[68:69], s[12:13], exec
	s_andn2_b64 s[6:7], s[62:63], exec
	s_and_b64 s[12:13], s[66:67], exec
	s_and_b64 s[2:3], s[16:17], exec
	;; [unrolled: 1-line block ×3, first 2 shown]
	s_or_b64 s[62:63], s[6:7], s[12:13]
	s_or_b64 exec, exec, s[64:65]
	s_mov_b64 s[6:7], 0
	s_and_saveexec_b64 s[12:13], s[62:63]
	s_cbranch_execz .LBB497_288
.LBB497_963:
	s_mov_b64 s[6:7], exec
	s_andn2_b64 s[68:69], s[68:69], exec
	s_trap 2
	s_or_b64 exec, exec, s[12:13]
	s_and_saveexec_b64 s[12:13], s[68:69]
	s_xor_b64 s[12:13], exec, s[12:13]
	s_cbranch_execnz .LBB497_289
.LBB497_964:
	s_or_b64 exec, exec, s[12:13]
	s_and_saveexec_b64 s[12:13], s[14:15]
	s_cbranch_execz .LBB497_1012
.LBB497_965:
	s_sext_i32_i16 s14, s80
	s_cmp_lt_i32 s14, 5
	s_cbranch_scc1 .LBB497_970
; %bb.966:
	s_cmp_lt_i32 s14, 8
	s_cbranch_scc1 .LBB497_971
; %bb.967:
	;; [unrolled: 3-line block ×3, first 2 shown]
	s_cmp_gt_i32 s14, 9
	s_cbranch_scc0 .LBB497_973
; %bb.969:
	global_load_dwordx4 v[4:7], v[0:1], off
	s_mov_b64 s[14:15], 0
	s_branch .LBB497_974
.LBB497_970:
                                        ; implicit-def: $vgpr6_vgpr7
	s_branch .LBB497_992
.LBB497_971:
                                        ; implicit-def: $vgpr6_vgpr7
	s_branch .LBB497_980
.LBB497_972:
	s_mov_b64 s[14:15], -1
                                        ; implicit-def: $vgpr6_vgpr7
	s_branch .LBB497_977
.LBB497_973:
	s_mov_b64 s[14:15], -1
                                        ; implicit-def: $vgpr6_vgpr7
.LBB497_974:
	s_andn2_b64 vcc, exec, s[14:15]
	s_cbranch_vccnz .LBB497_976
; %bb.975:
	global_load_dwordx2 v[2:3], v[0:1], off
	s_waitcnt vmcnt(0)
	v_cvt_f64_f32_e32 v[4:5], v2
	v_cvt_f64_f32_e32 v[6:7], v3
.LBB497_976:
	s_mov_b64 s[14:15], 0
.LBB497_977:
	s_andn2_b64 vcc, exec, s[14:15]
	s_cbranch_vccnz .LBB497_979
; %bb.978:
	global_load_dword v2, v[0:1], off
	s_waitcnt vmcnt(0)
	v_cvt_f32_f16_e32 v3, v2
	v_cvt_f32_f16_sdwa v2, v2 dst_sel:DWORD dst_unused:UNUSED_PAD src0_sel:WORD_1
	v_cvt_f64_f32_e32 v[4:5], v3
	v_cvt_f64_f32_e32 v[6:7], v2
.LBB497_979:
	s_cbranch_execnz .LBB497_991
.LBB497_980:
	s_sext_i32_i16 s14, s80
	s_cmp_lt_i32 s14, 6
	s_cbranch_scc1 .LBB497_983
; %bb.981:
	s_cmp_gt_i32 s14, 6
	s_cbranch_scc0 .LBB497_984
; %bb.982:
	global_load_dwordx2 v[4:5], v[0:1], off
	s_mov_b64 s[14:15], 0
	s_branch .LBB497_985
.LBB497_983:
	s_mov_b64 s[14:15], -1
                                        ; implicit-def: $vgpr4_vgpr5
	s_branch .LBB497_988
.LBB497_984:
	s_mov_b64 s[14:15], -1
                                        ; implicit-def: $vgpr4_vgpr5
.LBB497_985:
	s_andn2_b64 vcc, exec, s[14:15]
	s_cbranch_vccnz .LBB497_987
; %bb.986:
	global_load_dword v2, v[0:1], off
	s_waitcnt vmcnt(0)
	v_cvt_f64_f32_e32 v[4:5], v2
.LBB497_987:
	s_mov_b64 s[14:15], 0
.LBB497_988:
	s_andn2_b64 vcc, exec, s[14:15]
	s_cbranch_vccnz .LBB497_990
; %bb.989:
	global_load_ushort v2, v[0:1], off
	s_waitcnt vmcnt(0)
	v_cvt_f32_f16_e32 v2, v2
	v_cvt_f64_f32_e32 v[4:5], v2
.LBB497_990:
	s_waitcnt vmcnt(0)
	v_mov_b64_e32 v[6:7], 0
.LBB497_991:
	s_cbranch_execnz .LBB497_1011
.LBB497_992:
	s_sext_i32_i16 s14, s80
	s_cmp_lt_i32 s14, 2
	s_cbranch_scc1 .LBB497_996
; %bb.993:
	s_cmp_lt_i32 s14, 3
	s_cbranch_scc1 .LBB497_997
; %bb.994:
	s_cmp_gt_i32 s14, 3
	s_cbranch_scc0 .LBB497_998
; %bb.995:
	global_load_dwordx2 v[2:3], v[0:1], off
	s_mov_b64 s[14:15], 0
	s_waitcnt vmcnt(0)
	v_cvt_f64_i32_e32 v[4:5], v3
	v_cvt_f64_u32_e32 v[2:3], v2
	v_ldexp_f64 v[4:5], v[4:5], 32
	v_add_f64 v[4:5], v[4:5], v[2:3]
	s_branch .LBB497_999
.LBB497_996:
                                        ; implicit-def: $vgpr4_vgpr5
	s_branch .LBB497_1005
.LBB497_997:
	s_mov_b64 s[14:15], -1
                                        ; implicit-def: $vgpr4_vgpr5
	s_branch .LBB497_1002
.LBB497_998:
	s_mov_b64 s[14:15], -1
                                        ; implicit-def: $vgpr4_vgpr5
.LBB497_999:
	s_andn2_b64 vcc, exec, s[14:15]
	s_cbranch_vccnz .LBB497_1001
; %bb.1000:
	global_load_dword v2, v[0:1], off
	s_waitcnt vmcnt(0)
	v_cvt_f64_i32_e32 v[4:5], v2
.LBB497_1001:
	s_mov_b64 s[14:15], 0
.LBB497_1002:
	s_andn2_b64 vcc, exec, s[14:15]
	s_cbranch_vccnz .LBB497_1004
; %bb.1003:
	global_load_sshort v2, v[0:1], off
	s_waitcnt vmcnt(0)
	v_cvt_f64_i32_e32 v[4:5], v2
.LBB497_1004:
	s_cbranch_execnz .LBB497_1010
.LBB497_1005:
	s_sext_i32_i16 s14, s80
	s_cmp_gt_i32 s14, 0
	s_cbranch_scc0 .LBB497_1007
; %bb.1006:
	global_load_sbyte v2, v[0:1], off
	s_mov_b64 s[14:15], 0
	s_waitcnt vmcnt(0)
	v_cvt_f64_i32_e32 v[4:5], v2
	s_branch .LBB497_1008
.LBB497_1007:
	s_mov_b64 s[14:15], -1
                                        ; implicit-def: $vgpr4_vgpr5
.LBB497_1008:
	s_andn2_b64 vcc, exec, s[14:15]
	s_cbranch_vccnz .LBB497_1010
; %bb.1009:
	global_load_ubyte v0, v[0:1], off
	s_waitcnt vmcnt(0)
	v_cvt_f64_u32_e32 v[4:5], v0
.LBB497_1010:
	s_waitcnt vmcnt(0)
	v_mov_b64_e32 v[6:7], 0
.LBB497_1011:
	s_or_b64 s[2:3], s[2:3], exec
.LBB497_1012:
	s_or_b64 exec, exec, s[12:13]
	s_mov_b64 s[16:17], 0
	s_mov_b64 s[14:15], 0
                                        ; implicit-def: $sgpr18
                                        ; implicit-def: $vgpr10_vgpr11
                                        ; implicit-def: $vgpr2_vgpr3
	s_and_saveexec_b64 s[12:13], s[2:3]
	s_cbranch_execz .LBB497_1028
; %bb.1013:
	s_waitcnt vmcnt(0)
	v_cmp_o_f64_e32 vcc, v[4:5], v[4:5]
	v_mov_b64_e32 v[0:1], s[8:9]
	s_and_saveexec_b64 s[2:3], vcc
	s_cbranch_execz .LBB497_1017
; %bb.1014:
	s_mov_b32 s14, 0
	s_mov_b32 s15, 0x7ff00000
	v_cmp_neq_f64_e32 vcc, s[14:15], v[4:5]
	v_mov_b64_e32 v[0:1], s[10:11]
	s_and_saveexec_b64 s[14:15], vcc
; %bb.1015:
	s_mov_b32 s16, 0
	s_mov_b32 s17, 0xfff00000
	v_mov_b32_e32 v0, s51
	v_cmp_eq_f64_e32 vcc, s[16:17], v[4:5]
	s_nop 1
	v_cndmask_b32_e32 v1, v5, v0, vcc
	v_mov_b32_e32 v0, s50
	v_cndmask_b32_e32 v0, v4, v0, vcc
; %bb.1016:
	s_or_b64 exec, exec, s[14:15]
.LBB497_1017:
	s_or_b64 exec, exec, s[2:3]
	v_cmp_o_f64_e32 vcc, v[6:7], v[6:7]
	v_mov_b64_e32 v[2:3], s[8:9]
	s_and_saveexec_b64 s[2:3], vcc
	s_cbranch_execz .LBB497_1021
; %bb.1018:
	s_mov_b32 s8, 0
	s_mov_b32 s9, 0x7ff00000
	v_cmp_neq_f64_e32 vcc, s[8:9], v[6:7]
	v_mov_b64_e32 v[2:3], s[10:11]
	s_and_saveexec_b64 s[8:9], vcc
; %bb.1019:
	s_mov_b32 s10, 0
	s_mov_b32 s11, 0xfff00000
	v_mov_b32_e32 v2, s51
	v_cmp_eq_f64_e32 vcc, s[10:11], v[6:7]
	s_nop 1
	v_cndmask_b32_e32 v3, v7, v2, vcc
	v_mov_b32_e32 v2, s50
	v_cndmask_b32_e32 v2, v6, v2, vcc
; %bb.1020:
	s_or_b64 exec, exec, s[8:9]
.LBB497_1021:
	s_or_b64 exec, exec, s[2:3]
	v_mov_b32_e32 v9, 0
	s_and_b32 s18, s79, 0xff
	s_cmp_lt_i32 s18, 11
	v_lshl_add_u64 v[10:11], s[4:5], 0, v[8:9]
	s_cbranch_scc1 .LBB497_1031
; %bb.1022:
	s_and_b32 s16, 0xffff, s18
	s_mov_b64 s[8:9], -1
	s_cmp_gt_i32 s16, 25
	s_mov_b64 s[2:3], s[60:61]
	s_cbranch_scc0 .LBB497_1059
; %bb.1023:
	s_mov_b64 s[4:5], -1
	s_cmp_gt_i32 s16, 28
	s_mov_b64 s[2:3], s[60:61]
	s_cbranch_scc0 .LBB497_1043
; %bb.1024:
	s_cmp_gt_i32 s16, 43
	s_mov_b64 s[2:3], s[60:61]
	s_cbranch_scc0 .LBB497_1039
; %bb.1025:
	s_cmp_gt_i32 s16, 45
	s_mov_b64 s[2:3], s[60:61]
	s_cbranch_scc0 .LBB497_1033
; %bb.1026:
	s_cmp_eq_u32 s16, 46
	s_mov_b64 s[2:3], -1
	s_cbranch_scc0 .LBB497_1032
; %bb.1027:
	v_cvt_f32_f64_e32 v5, v[2:3]
	s_movk_i32 s2, 0x7fff
	v_bfe_u32 v7, v5, 16, 1
	v_cvt_f32_f64_e32 v4, v[0:1]
	v_add3_u32 v7, v5, v7, s2
	v_bfe_u32 v6, v4, 16, 1
	v_and_b32_e32 v7, 0xffff0000, v7
	v_mov_b32_e32 v8, 0x7fc00000
	v_cmp_o_f32_e32 vcc, v5, v5
	v_add3_u32 v6, v4, v6, s2
	s_mov_b64 s[2:3], 0
	v_cndmask_b32_e32 v5, v8, v7, vcc
	v_cmp_o_f32_e32 vcc, v4, v4
	v_mov_b32_e32 v4, 0x7fc0
	s_mov_b64 s[4:5], 0
	v_cndmask_b32_sdwa v4, v4, v6, vcc dst_sel:DWORD dst_unused:UNUSED_PAD src0_sel:DWORD src1_sel:WORD_1
	v_or_b32_e32 v4, v5, v4
	global_store_dword v[10:11], v4, off
	s_branch .LBB497_1033
.LBB497_1028:
	s_or_b64 exec, exec, s[12:13]
	s_and_saveexec_b64 s[2:3], s[60:61]
	s_cbranch_execnz .LBB497_1101
.LBB497_1029:
	s_or_b64 exec, exec, s[2:3]
	s_and_saveexec_b64 s[2:3], s[16:17]
	s_xor_b64 s[4:5], exec, s[2:3]
	s_cbranch_execz .LBB497_1102
.LBB497_1030:
	v_cmp_neq_f64_e32 vcc, 0, v[0:1]
	s_waitcnt vmcnt(0)
	v_cmp_neq_f64_e64 s[2:3], 0, v[2:3]
	s_or_b64 s[2:3], vcc, s[2:3]
	s_nop 0
	v_cndmask_b32_e64 v4, 0, 1, s[2:3]
	global_store_byte v[10:11], v4, off
	s_or_b64 exec, exec, s[4:5]
	s_and_saveexec_b64 s[2:3], s[14:15]
	s_xor_b64 s[2:3], exec, s[2:3]
	s_cbranch_execz .LBB497_1140
	s_branch .LBB497_1103
.LBB497_1031:
	s_mov_b64 s[8:9], 0
	s_mov_b64 s[4:5], -1
	s_mov_b64 s[2:3], s[60:61]
	s_branch .LBB497_1100
.LBB497_1032:
	s_mov_b64 s[4:5], 0
.LBB497_1033:
	s_and_b64 vcc, exec, s[4:5]
	s_cbranch_vccz .LBB497_1038
; %bb.1034:
	s_cmp_eq_u32 s16, 44
	s_mov_b64 s[2:3], -1
	s_cbranch_scc0 .LBB497_1038
; %bb.1035:
	v_cvt_f32_f64_e32 v4, v[0:1]
	v_bfe_u32 v5, v4, 23, 8
	s_movk_i32 s2, 0xff
	v_cmp_ne_u32_e32 vcc, s2, v5
	v_mov_b32_e32 v6, 0xff
	s_and_saveexec_b64 s[4:5], vcc
; %bb.1036:
	s_mov_b32 s2, 0x3fffff
	v_lshrrev_b32_e32 v6, 23, v4
	v_and_b32_e32 v7, 0x400000, v4
	v_and_or_b32 v4, v4, s2, v5
	v_cmp_ne_u32_e32 vcc, 0, v7
	v_cmp_ne_u32_e64 s[2:3], 0, v4
	s_and_b64 s[2:3], vcc, s[2:3]
	s_nop 0
	v_cndmask_b32_e64 v4, 0, 1, s[2:3]
	v_add_u32_e32 v6, v6, v4
; %bb.1037:
	s_or_b64 exec, exec, s[4:5]
	s_mov_b64 s[2:3], 0
	global_store_byte v[10:11], v6, off
.LBB497_1038:
	s_mov_b64 s[4:5], 0
.LBB497_1039:
	s_and_b64 vcc, exec, s[4:5]
	s_cbranch_vccz .LBB497_1042
; %bb.1040:
	s_cmp_eq_u32 s16, 29
	s_mov_b64 s[2:3], -1
	s_cbranch_scc0 .LBB497_1042
; %bb.1041:
	v_trunc_f64_e32 v[4:5], v[0:1]
	s_movk_i32 s2, 0xffe0
	v_ldexp_f64 v[6:7], v[4:5], s2
	v_floor_f64_e32 v[6:7], v[6:7]
	v_fmac_f64_e32 v[4:5], 0xc1f00000, v[6:7]
	v_cvt_u32_f64_e32 v9, v[6:7]
	v_cvt_u32_f64_e32 v8, v[4:5]
	global_store_dwordx2 v[10:11], v[8:9], off
	s_mov_b64 s[2:3], 0
.LBB497_1042:
	s_mov_b64 s[4:5], 0
.LBB497_1043:
	s_and_b64 vcc, exec, s[4:5]
	s_cbranch_vccz .LBB497_1058
; %bb.1044:
	s_cmp_lt_i32 s16, 27
	s_mov_b64 s[4:5], -1
	s_cbranch_scc1 .LBB497_1050
; %bb.1045:
	s_cmp_gt_i32 s16, 27
	s_cbranch_scc0 .LBB497_1047
; %bb.1046:
	v_cvt_u32_f64_e32 v4, v[0:1]
	s_mov_b64 s[4:5], 0
	global_store_dword v[10:11], v4, off
.LBB497_1047:
	s_andn2_b64 vcc, exec, s[4:5]
	s_cbranch_vccnz .LBB497_1049
; %bb.1048:
	v_cvt_u32_f64_e32 v4, v[0:1]
	global_store_short v[10:11], v4, off
.LBB497_1049:
	s_mov_b64 s[4:5], 0
.LBB497_1050:
	s_andn2_b64 vcc, exec, s[4:5]
	s_cbranch_vccnz .LBB497_1058
; %bb.1051:
	v_cvt_f32_f64_e32 v4, v[0:1]
	v_and_b32_e32 v5, 0x7fffffff, v4
	s_mov_b32 s4, 0x43800000
	v_cmp_gt_u32_e32 vcc, s4, v5
	v_mov_b32_e32 v6, 0x80
	s_and_saveexec_b64 s[4:5], vcc
	s_cbranch_execz .LBB497_1057
; %bb.1052:
	s_mov_b32 s8, 0x3bffffff
	v_cmp_lt_u32_e32 vcc, s8, v5
	s_mov_b64 s[8:9], 0
                                        ; implicit-def: $vgpr5
	s_and_saveexec_b64 s[10:11], vcc
	s_xor_b64 s[10:11], exec, s[10:11]
	s_cbranch_execz .LBB497_1211
; %bb.1053:
	v_bfe_u32 v5, v4, 20, 1
	s_mov_b32 s14, 0x487ffff
	v_add3_u32 v5, v4, v5, s14
	s_mov_b64 s[8:9], exec
	v_lshrrev_b32_e32 v5, 20, v5
	s_andn2_saveexec_b64 s[10:11], s[10:11]
	s_cbranch_execnz .LBB497_1212
.LBB497_1054:
	s_or_b64 exec, exec, s[10:11]
	v_mov_b32_e32 v6, 0
	s_and_saveexec_b64 s[10:11], s[8:9]
.LBB497_1055:
	v_lshrrev_b32_e32 v4, 24, v4
	s_movk_i32 s8, 0x80
	v_and_or_b32 v6, v4, s8, v5
.LBB497_1056:
	s_or_b64 exec, exec, s[10:11]
.LBB497_1057:
	s_or_b64 exec, exec, s[4:5]
	global_store_byte v[10:11], v6, off
.LBB497_1058:
	s_mov_b64 s[8:9], 0
.LBB497_1059:
	s_mov_b64 s[4:5], 0
	s_and_b64 vcc, exec, s[8:9]
	s_cbranch_vccz .LBB497_1099
; %bb.1060:
	s_cmp_gt_i32 s16, 22
	s_mov_b64 s[8:9], -1
	s_cbranch_scc0 .LBB497_1092
; %bb.1061:
	s_cmp_lt_i32 s16, 24
	s_cbranch_scc1 .LBB497_1081
; %bb.1062:
	s_cmp_gt_i32 s16, 24
	s_cbranch_scc0 .LBB497_1070
; %bb.1063:
	v_cvt_f32_f64_e32 v4, v[0:1]
	v_and_b32_e32 v5, 0x7fffffff, v4
	s_mov_b32 s8, 0x47800000
	v_cmp_gt_u32_e32 vcc, s8, v5
	v_mov_b32_e32 v6, 0x80
	s_and_saveexec_b64 s[8:9], vcc
	s_cbranch_execz .LBB497_1069
; %bb.1064:
	s_mov_b32 s10, 0x37ffffff
	v_cmp_lt_u32_e32 vcc, s10, v5
	s_mov_b64 s[10:11], 0
                                        ; implicit-def: $vgpr5
	s_and_saveexec_b64 s[14:15], vcc
	s_xor_b64 s[14:15], exec, s[14:15]
	s_cbranch_execz .LBB497_1349
; %bb.1065:
	v_bfe_u32 v5, v4, 21, 1
	s_mov_b32 s17, 0x88fffff
	v_add3_u32 v5, v4, v5, s17
	s_mov_b64 s[10:11], exec
	v_lshrrev_b32_e32 v5, 21, v5
	s_andn2_saveexec_b64 s[14:15], s[14:15]
	s_cbranch_execnz .LBB497_1350
.LBB497_1066:
	s_or_b64 exec, exec, s[14:15]
	v_mov_b32_e32 v6, 0
	s_and_saveexec_b64 s[14:15], s[10:11]
.LBB497_1067:
	v_lshrrev_b32_e32 v4, 24, v4
	s_movk_i32 s10, 0x80
	v_and_or_b32 v6, v4, s10, v5
.LBB497_1068:
	s_or_b64 exec, exec, s[14:15]
.LBB497_1069:
	s_or_b64 exec, exec, s[8:9]
	s_mov_b64 s[8:9], 0
	global_store_byte v[10:11], v6, off
.LBB497_1070:
	s_and_b64 vcc, exec, s[8:9]
	s_cbranch_vccz .LBB497_1080
; %bb.1071:
	v_cvt_f32_f64_e32 v4, v[0:1]
	v_and_b32_e32 v6, 0x7fffffff, v4
	s_mov_b32 s8, 0x43f00000
	v_cmp_gt_u32_e32 vcc, s8, v6
                                        ; implicit-def: $vgpr5
	s_and_saveexec_b64 s[8:9], vcc
	s_xor_b64 s[8:9], exec, s[8:9]
	s_cbranch_execz .LBB497_1077
; %bb.1072:
	s_mov_b32 s10, 0x3c7fffff
	v_cmp_lt_u32_e32 vcc, s10, v6
                                        ; implicit-def: $vgpr5
	s_and_saveexec_b64 s[10:11], vcc
	s_xor_b64 s[10:11], exec, s[10:11]
; %bb.1073:
	v_bfe_u32 v5, v4, 20, 1
	s_mov_b32 s14, 0x407ffff
	v_add3_u32 v5, v4, v5, s14
	v_lshrrev_b32_e32 v6, 20, v5
	v_and_b32_e32 v5, 0xff00000, v5
	s_mov_b32 s14, 0x7f00000
	v_mov_b32_e32 v7, 0x7e
	v_cmp_ne_u32_e32 vcc, s14, v5
	s_nop 1
	v_cndmask_b32_e32 v5, v7, v6, vcc
; %bb.1074:
	s_andn2_saveexec_b64 s[10:11], s[10:11]
; %bb.1075:
	s_mov_b32 s14, 0x46800000
	v_add_f32_e64 v5, |v4|, s14
; %bb.1076:
	s_or_b64 exec, exec, s[10:11]
                                        ; implicit-def: $vgpr6
.LBB497_1077:
	s_andn2_saveexec_b64 s[8:9], s[8:9]
; %bb.1078:
	s_mov_b32 s10, 0x7f800000
	v_mov_b32_e32 v5, 0x7e
	v_mov_b32_e32 v7, 0x7f
	v_cmp_lt_u32_e32 vcc, s10, v6
	s_nop 1
	v_cndmask_b32_e32 v5, v5, v7, vcc
; %bb.1079:
	s_or_b64 exec, exec, s[8:9]
	v_lshrrev_b32_e32 v4, 24, v4
	s_movk_i32 s8, 0x80
	v_and_or_b32 v4, v4, s8, v5
	global_store_byte v[10:11], v4, off
.LBB497_1080:
	s_mov_b64 s[8:9], 0
.LBB497_1081:
	s_andn2_b64 vcc, exec, s[8:9]
	s_cbranch_vccnz .LBB497_1091
; %bb.1082:
	v_cvt_f32_f64_e32 v4, v[0:1]
	v_and_b32_e32 v6, 0x7fffffff, v4
	s_mov_b32 s8, 0x47800000
	v_cmp_gt_u32_e32 vcc, s8, v6
                                        ; implicit-def: $vgpr5
	s_and_saveexec_b64 s[8:9], vcc
	s_xor_b64 s[8:9], exec, s[8:9]
	s_cbranch_execz .LBB497_1088
; %bb.1083:
	s_mov_b32 s10, 0x387fffff
	v_cmp_lt_u32_e32 vcc, s10, v6
                                        ; implicit-def: $vgpr5
	s_and_saveexec_b64 s[10:11], vcc
	s_xor_b64 s[10:11], exec, s[10:11]
; %bb.1084:
	v_bfe_u32 v5, v4, 21, 1
	s_mov_b32 s14, 0x80fffff
	v_add3_u32 v5, v4, v5, s14
	v_lshrrev_b32_e32 v5, 21, v5
; %bb.1085:
	s_andn2_saveexec_b64 s[10:11], s[10:11]
; %bb.1086:
	s_mov_b32 s14, 0x43000000
	v_add_f32_e64 v5, |v4|, s14
; %bb.1087:
	s_or_b64 exec, exec, s[10:11]
                                        ; implicit-def: $vgpr6
.LBB497_1088:
	s_andn2_saveexec_b64 s[8:9], s[8:9]
; %bb.1089:
	s_mov_b32 s10, 0x7f800000
	v_mov_b32_e32 v5, 0x7c
	v_mov_b32_e32 v7, 0x7f
	v_cmp_lt_u32_e32 vcc, s10, v6
	s_nop 1
	v_cndmask_b32_e32 v5, v5, v7, vcc
; %bb.1090:
	s_or_b64 exec, exec, s[8:9]
	v_lshrrev_b32_e32 v4, 24, v4
	s_movk_i32 s8, 0x80
	v_and_or_b32 v4, v4, s8, v5
	global_store_byte v[10:11], v4, off
.LBB497_1091:
	s_mov_b64 s[8:9], 0
.LBB497_1092:
	s_andn2_b64 vcc, exec, s[8:9]
	s_mov_b64 s[8:9], 0
	s_cbranch_vccnz .LBB497_1100
; %bb.1093:
	s_cmp_gt_i32 s16, 14
	s_mov_b64 s[10:11], -1
	s_cbranch_scc0 .LBB497_1097
; %bb.1094:
	s_cmp_eq_u32 s16, 15
	s_mov_b64 s[2:3], -1
	s_cbranch_scc0 .LBB497_1096
; %bb.1095:
	v_cvt_f32_f64_e32 v4, v[0:1]
	v_bfe_u32 v5, v4, 16, 1
	s_movk_i32 s2, 0x7fff
	v_add3_u32 v5, v4, v5, s2
	v_cmp_o_f32_e32 vcc, v4, v4
	v_mov_b32_e32 v4, 0x7fc0
	s_mov_b64 s[2:3], 0
	v_cndmask_b32_sdwa v4, v4, v5, vcc dst_sel:DWORD dst_unused:UNUSED_PAD src0_sel:DWORD src1_sel:WORD_1
	global_store_short v[10:11], v4, off
.LBB497_1096:
	s_mov_b64 s[10:11], 0
.LBB497_1097:
	s_and_b64 vcc, exec, s[10:11]
	s_cbranch_vccz .LBB497_1100
; %bb.1098:
	s_cmp_lg_u32 s16, 11
	s_cselect_b64 s[10:11], -1, 0
	s_andn2_b64 s[2:3], s[2:3], exec
	s_and_b64 s[10:11], s[10:11], exec
	s_mov_b64 s[8:9], -1
	s_or_b64 s[2:3], s[2:3], s[10:11]
	s_branch .LBB497_1100
.LBB497_1099:
	s_mov_b64 s[8:9], 0
.LBB497_1100:
	s_and_b64 s[14:15], s[4:5], exec
	s_andn2_b64 s[4:5], s[60:61], exec
	s_and_b64 s[2:3], s[2:3], exec
	s_and_b64 s[16:17], s[8:9], exec
	s_or_b64 s[60:61], s[4:5], s[2:3]
	s_or_b64 exec, exec, s[12:13]
	s_and_saveexec_b64 s[2:3], s[60:61]
	s_cbranch_execz .LBB497_1029
.LBB497_1101:
	s_or_b64 s[6:7], s[6:7], exec
	s_andn2_b64 s[16:17], s[16:17], exec
	s_trap 2
	s_or_b64 exec, exec, s[2:3]
	s_and_saveexec_b64 s[2:3], s[16:17]
	s_xor_b64 s[4:5], exec, s[2:3]
	s_cbranch_execnz .LBB497_1030
.LBB497_1102:
	s_or_b64 exec, exec, s[4:5]
	s_and_saveexec_b64 s[2:3], s[14:15]
	s_xor_b64 s[2:3], exec, s[2:3]
	s_cbranch_execz .LBB497_1140
.LBB497_1103:
	s_sext_i32_i16 s8, s18
	s_cmp_lt_i32 s8, 5
	s_mov_b64 s[4:5], -1
	s_cbranch_scc1 .LBB497_1124
; %bb.1104:
	s_cmp_lt_i32 s8, 8
	s_cbranch_scc1 .LBB497_1114
; %bb.1105:
	s_cmp_lt_i32 s8, 9
	s_cbranch_scc1 .LBB497_1111
; %bb.1106:
	s_cmp_gt_i32 s8, 9
	s_cbranch_scc0 .LBB497_1108
; %bb.1107:
	s_mov_b64 s[4:5], 0
	s_waitcnt vmcnt(0)
	global_store_dwordx4 v[10:11], v[0:3], off
.LBB497_1108:
	s_andn2_b64 vcc, exec, s[4:5]
	s_cbranch_vccnz .LBB497_1110
; %bb.1109:
	s_waitcnt vmcnt(0)
	v_cvt_f32_f64_e32 v5, v[2:3]
	v_cvt_f32_f64_e32 v4, v[0:1]
	global_store_dwordx2 v[10:11], v[4:5], off
.LBB497_1110:
	s_mov_b64 s[4:5], 0
.LBB497_1111:
	s_andn2_b64 vcc, exec, s[4:5]
	s_cbranch_vccnz .LBB497_1113
; %bb.1112:
	s_movk_i32 s4, 0x1ff
	s_waitcnt vmcnt(0)
	v_and_or_b32 v4, v1, s4, v0
	v_cmp_ne_u32_e32 vcc, 0, v4
	v_lshrrev_b32_e32 v5, 8, v1
	s_movk_i32 s5, 0xffe
	v_cndmask_b32_e64 v4, 0, 1, vcc
	v_bfe_u32 v6, v1, 20, 11
	v_and_or_b32 v4, v5, s5, v4
	v_sub_u32_e32 v7, 0x3f1, v6
	v_or_b32_e32 v5, 0x1000, v4
	v_med3_i32 v7, v7, 0, 13
	v_lshrrev_b32_e32 v8, v7, v5
	v_lshlrev_b32_e32 v7, v7, v8
	v_cmp_ne_u32_e32 vcc, v7, v5
	v_add_u32_e32 v6, 0xfffffc10, v6
	v_lshl_or_b32 v7, v6, 12, v4
	v_cndmask_b32_e64 v5, 0, 1, vcc
	v_or_b32_e32 v5, v8, v5
	v_cmp_gt_i32_e32 vcc, 1, v6
	s_movk_i32 s8, 0x40f
	v_and_or_b32 v2, v3, s4, v2
	v_cndmask_b32_e32 v5, v7, v5, vcc
	v_and_b32_e32 v7, 7, v5
	v_cmp_lt_i32_e32 vcc, 5, v7
	v_lshrrev_b32_e32 v5, 2, v5
	v_bfe_u32 v9, v3, 20, 11
	v_cndmask_b32_e64 v8, 0, 1, vcc
	v_cmp_eq_u32_e32 vcc, 3, v7
	v_sub_u32_e32 v12, 0x3f1, v9
	v_med3_i32 v12, v12, 0, 13
	v_cndmask_b32_e64 v7, 0, 1, vcc
	v_or_b32_e32 v7, v7, v8
	v_add_u32_e32 v5, v5, v7
	v_mov_b32_e32 v7, 0x7c00
	v_cmp_gt_i32_e32 vcc, 31, v6
	v_mov_b32_e32 v8, 0x7e00
	v_add_u32_e32 v9, 0xfffffc10, v9
	v_cndmask_b32_e32 v5, v7, v5, vcc
	v_cmp_ne_u32_e32 vcc, 0, v4
	s_mov_b32 s9, 0x8000
	s_mov_b32 s4, 0xffff
	v_cndmask_b32_e32 v4, v7, v8, vcc
	v_cmp_eq_u32_e32 vcc, s8, v6
	v_lshrrev_b32_e32 v6, 8, v3
	v_lshrrev_b32_e32 v3, 16, v3
	v_cndmask_b32_e32 v4, v5, v4, vcc
	v_cmp_ne_u32_e32 vcc, 0, v2
	v_and_b32_sdwa v5, v1, s9 dst_sel:DWORD dst_unused:UNUSED_PAD src0_sel:WORD_1 src1_sel:DWORD
	s_nop 0
	v_cndmask_b32_e64 v2, 0, 1, vcc
	v_and_or_b32 v2, v6, s5, v2
	v_or_b32_e32 v6, 0x1000, v2
	v_lshrrev_b32_e32 v13, v12, v6
	v_lshlrev_b32_e32 v12, v12, v13
	v_cmp_ne_u32_e32 vcc, v12, v6
	v_lshl_or_b32 v12, v9, 12, v2
	s_nop 0
	v_cndmask_b32_e64 v6, 0, 1, vcc
	v_or_b32_e32 v6, v13, v6
	v_cmp_gt_i32_e32 vcc, 1, v9
	s_nop 1
	v_cndmask_b32_e32 v6, v12, v6, vcc
	v_and_b32_e32 v12, 7, v6
	v_cmp_lt_i32_e32 vcc, 5, v12
	v_lshrrev_b32_e32 v6, 2, v6
	s_nop 0
	v_cndmask_b32_e64 v13, 0, 1, vcc
	v_cmp_eq_u32_e32 vcc, 3, v12
	s_nop 1
	v_cndmask_b32_e64 v12, 0, 1, vcc
	v_or_b32_e32 v12, v12, v13
	v_add_u32_e32 v6, v6, v12
	v_cmp_gt_i32_e32 vcc, 31, v9
	s_nop 1
	v_cndmask_b32_e32 v6, v7, v6, vcc
	v_cmp_ne_u32_e32 vcc, 0, v2
	s_nop 1
	v_cndmask_b32_e32 v2, v7, v8, vcc
	v_cmp_eq_u32_e32 vcc, s8, v9
	s_nop 1
	v_cndmask_b32_e32 v2, v6, v2, vcc
	v_and_or_b32 v2, v3, s9, v2
	v_bitop3_b32 v3, v5, s4, v4 bitop3:0xc8
	v_lshl_or_b32 v2, v2, 16, v3
	global_store_dword v[10:11], v2, off
.LBB497_1113:
	s_mov_b64 s[4:5], 0
.LBB497_1114:
	s_andn2_b64 vcc, exec, s[4:5]
	s_cbranch_vccnz .LBB497_1123
; %bb.1115:
	s_sext_i32_i16 s8, s18
	s_cmp_lt_i32 s8, 6
	s_mov_b64 s[4:5], -1
	s_cbranch_scc1 .LBB497_1121
; %bb.1116:
	s_cmp_gt_i32 s8, 6
	s_cbranch_scc0 .LBB497_1118
; %bb.1117:
	s_mov_b64 s[4:5], 0
	global_store_dwordx2 v[10:11], v[0:1], off
.LBB497_1118:
	s_andn2_b64 vcc, exec, s[4:5]
	s_cbranch_vccnz .LBB497_1120
; %bb.1119:
	s_waitcnt vmcnt(0)
	v_cvt_f32_f64_e32 v2, v[0:1]
	global_store_dword v[10:11], v2, off
.LBB497_1120:
	s_mov_b64 s[4:5], 0
.LBB497_1121:
	s_andn2_b64 vcc, exec, s[4:5]
	s_cbranch_vccnz .LBB497_1123
; %bb.1122:
	s_movk_i32 s4, 0x1ff
	s_waitcnt vmcnt(0)
	v_and_or_b32 v2, v1, s4, v0
	v_cmp_ne_u32_e32 vcc, 0, v2
	v_lshrrev_b32_e32 v3, 8, v1
	s_movk_i32 s4, 0xffe
	v_cndmask_b32_e64 v2, 0, 1, vcc
	v_bfe_u32 v4, v1, 20, 11
	v_and_or_b32 v2, v3, s4, v2
	v_sub_u32_e32 v5, 0x3f1, v4
	v_or_b32_e32 v3, 0x1000, v2
	v_med3_i32 v5, v5, 0, 13
	v_lshrrev_b32_e32 v6, v5, v3
	v_lshlrev_b32_e32 v5, v5, v6
	v_cmp_ne_u32_e32 vcc, v5, v3
	v_add_u32_e32 v4, 0xfffffc10, v4
	v_lshl_or_b32 v5, v4, 12, v2
	v_cndmask_b32_e64 v3, 0, 1, vcc
	v_or_b32_e32 v3, v6, v3
	v_cmp_gt_i32_e32 vcc, 1, v4
	s_movk_i32 s4, 0x40f
	s_nop 0
	v_cndmask_b32_e32 v3, v5, v3, vcc
	v_and_b32_e32 v5, 7, v3
	v_cmp_lt_i32_e32 vcc, 5, v5
	v_lshrrev_b32_e32 v3, 2, v3
	s_nop 0
	v_cndmask_b32_e64 v6, 0, 1, vcc
	v_cmp_eq_u32_e32 vcc, 3, v5
	s_nop 1
	v_cndmask_b32_e64 v5, 0, 1, vcc
	v_or_b32_e32 v5, v5, v6
	v_add_u32_e32 v3, v3, v5
	v_mov_b32_e32 v5, 0x7c00
	v_cmp_gt_i32_e32 vcc, 31, v4
	v_mov_b32_e32 v6, 0x7e00
	s_nop 0
	v_cndmask_b32_e32 v3, v5, v3, vcc
	v_cmp_ne_u32_e32 vcc, 0, v2
	s_nop 1
	v_cndmask_b32_e32 v2, v5, v6, vcc
	v_cmp_eq_u32_e32 vcc, s4, v4
	s_mov_b32 s4, 0x8000
	s_nop 0
	v_cndmask_b32_e32 v2, v3, v2, vcc
	v_lshrrev_b32_e32 v3, 16, v1
	v_and_or_b32 v2, v3, s4, v2
	global_store_short v[10:11], v2, off
.LBB497_1123:
	s_mov_b64 s[4:5], 0
.LBB497_1124:
	s_andn2_b64 vcc, exec, s[4:5]
	s_cbranch_vccnz .LBB497_1140
; %bb.1125:
	s_sext_i32_i16 s8, s18
	s_cmp_lt_i32 s8, 2
	s_mov_b64 s[4:5], -1
	s_cbranch_scc1 .LBB497_1135
; %bb.1126:
	s_cmp_lt_i32 s8, 3
	s_cbranch_scc1 .LBB497_1132
; %bb.1127:
	s_cmp_gt_i32 s8, 3
	s_cbranch_scc0 .LBB497_1129
; %bb.1128:
	s_waitcnt vmcnt(0)
	v_trunc_f64_e32 v[2:3], v[0:1]
	s_movk_i32 s4, 0xffe0
	v_ldexp_f64 v[4:5], v[2:3], s4
	v_floor_f64_e32 v[4:5], v[4:5]
	v_fmac_f64_e32 v[2:3], 0xc1f00000, v[4:5]
	v_cvt_i32_f64_e32 v7, v[4:5]
	v_cvt_u32_f64_e32 v6, v[2:3]
	s_mov_b64 s[4:5], 0
	global_store_dwordx2 v[10:11], v[6:7], off
.LBB497_1129:
	s_andn2_b64 vcc, exec, s[4:5]
	s_cbranch_vccnz .LBB497_1131
; %bb.1130:
	s_waitcnt vmcnt(0)
	v_cvt_i32_f64_e32 v2, v[0:1]
	global_store_dword v[10:11], v2, off
.LBB497_1131:
	s_mov_b64 s[4:5], 0
.LBB497_1132:
	s_andn2_b64 vcc, exec, s[4:5]
	s_cbranch_vccnz .LBB497_1134
; %bb.1133:
	s_waitcnt vmcnt(0)
	v_cvt_i32_f64_e32 v2, v[0:1]
	global_store_short v[10:11], v2, off
.LBB497_1134:
	s_mov_b64 s[4:5], 0
.LBB497_1135:
	s_andn2_b64 vcc, exec, s[4:5]
	s_cbranch_vccnz .LBB497_1140
; %bb.1136:
	s_sext_i32_i16 s4, s18
	s_cmp_gt_i32 s4, 0
	s_mov_b64 s[4:5], -1
	s_cbranch_scc0 .LBB497_1138
; %bb.1137:
	s_waitcnt vmcnt(0)
	v_cvt_i32_f64_e32 v2, v[0:1]
	s_mov_b64 s[4:5], 0
	global_store_byte v[10:11], v2, off
.LBB497_1138:
	s_andn2_b64 vcc, exec, s[4:5]
	s_cbranch_vccnz .LBB497_1140
; %bb.1139:
	v_trunc_f64_e32 v[0:1], v[0:1]
	s_movk_i32 s4, 0xffe0
	s_waitcnt vmcnt(0)
	v_ldexp_f64 v[2:3], v[0:1], s4
	v_floor_f64_e32 v[2:3], v[2:3]
	v_fmac_f64_e32 v[0:1], 0xc1f00000, v[2:3]
	v_cvt_u32_f64_e32 v0, v[0:1]
	global_store_byte v[10:11], v0, off
.LBB497_1140:
	s_or_b64 exec, exec, s[2:3]
	s_and_b64 s[24:25], s[6:7], exec
                                        ; implicit-def: $vgpr2
                                        ; implicit-def: $vgpr10
.LBB497_1141:
	s_or_saveexec_b64 s[26:27], s[48:49]
	s_mov_b64 s[4:5], 0
                                        ; implicit-def: $vgpr0_vgpr1
                                        ; implicit-def: $sgpr14
                                        ; implicit-def: $vgpr6_vgpr7
	s_xor_b64 exec, exec, s[26:27]
	s_cbranch_execz .LBB497_1843
; %bb.1142:
	v_cndmask_b32_e64 v0, 0, 1, s[46:47]
	v_cmp_ne_u32_e64 s[2:3], 1, v0
	s_andn2_b64 vcc, exec, s[46:47]
	s_cbranch_vccnz .LBB497_1148
; %bb.1143:
	s_cmp_lg_u32 s33, 0
	s_mov_b32 s36, 0
	s_cbranch_scc0 .LBB497_1149
; %bb.1144:
	s_min_u32 s37, s78, 15
	s_add_i32 s37, s37, 1
	s_cmp_eq_u32 s78, 2
	s_cbranch_scc1 .LBB497_1150
; %bb.1145:
	s_and_b32 s36, s37, 28
	s_add_u32 s28, s34, 0xc4
	s_addc_u32 s29, s35, 0
	s_mov_b32 s38, 0
	v_mov_b32_e32 v26, 0
	v_mov_b32_e32 v0, 0
	s_mov_b64 s[30:31], s[34:35]
	s_waitcnt vmcnt(0)
	v_mov_b32_e32 v3, v10
.LBB497_1146:                           ; =>This Inner Loop Header: Depth=1
	s_load_dwordx8 s[12:19], s[30:31], 0x4
	s_load_dwordx4 s[20:23], s[30:31], 0x24
	s_load_dwordx8 s[4:11], s[28:29], 0x0
	s_add_u32 s30, s30, 48
	s_addc_u32 s31, s31, 0
	s_waitcnt lgkmcnt(0)
	v_mul_hi_u32 v1, s13, v3
	v_add_u32_e32 v1, v3, v1
	v_lshrrev_b32_e32 v1, s14, v1
	v_mul_lo_u32 v4, v1, s12
	v_mul_hi_u32 v5, s16, v1
	v_sub_u32_e32 v3, v3, v4
	v_add_u32_e32 v4, v1, v5
	v_lshrrev_b32_e32 v4, s17, v4
	v_mul_lo_u32 v6, v4, s15
	v_mul_hi_u32 v7, s19, v4
	v_sub_u32_e32 v1, v1, v6
	v_add_u32_e32 v6, v4, v7
	v_mul_lo_u32 v5, v3, s5
	v_mul_lo_u32 v3, v3, s4
	;; [unrolled: 1-line block ×4, first 2 shown]
	v_lshrrev_b32_e32 v6, s20, v6
	v_add3_u32 v1, v3, v26, v1
	v_add3_u32 v0, v5, v0, v7
	v_mul_lo_u32 v3, v6, s18
	v_mul_hi_u32 v5, s22, v6
	v_sub_u32_e32 v3, v4, v3
	v_add_u32_e32 v4, v6, v5
	v_mul_lo_u32 v5, v3, s8
	v_mul_lo_u32 v7, v3, s9
	v_lshrrev_b32_e32 v3, s23, v4
	s_add_i32 s38, s38, 4
	v_mul_lo_u32 v4, v3, s21
	s_add_u32 s28, s28, 32
	v_sub_u32_e32 v4, v6, v4
	s_addc_u32 s29, s29, 0
	v_mul_lo_u32 v6, v4, s10
	v_mul_lo_u32 v4, v4, s11
	s_cmp_lg_u32 s36, s38
	v_add3_u32 v0, v7, v0, v4
	v_add3_u32 v26, v5, v1, v6
	s_cbranch_scc1 .LBB497_1146
; %bb.1147:
	v_mov_b32_e32 v1, v0
	s_and_b32 s8, s37, 3
	s_cmp_eq_u32 s8, 0
	s_cbranch_scc0 .LBB497_1151
	s_branch .LBB497_1153
.LBB497_1148:
                                        ; implicit-def: $vgpr0
                                        ; implicit-def: $vgpr26
	s_branch .LBB497_1154
.LBB497_1149:
	v_mov_b32_e32 v0, 0
	v_mov_b32_e32 v26, 0
	s_branch .LBB497_1153
.LBB497_1150:
	v_mov_b32_e32 v26, 0
                                        ; implicit-def: $vgpr0
	v_mov_b32_e32 v1, v26
	s_waitcnt vmcnt(0)
	v_mov_b32_e32 v3, v10
	s_and_b32 s8, s37, 3
	s_cmp_eq_u32 s8, 0
	s_cbranch_scc1 .LBB497_1153
.LBB497_1151:
	s_lshl_b32 s4, s36, 3
	s_add_u32 s4, s34, s4
	s_addc_u32 s5, s35, 0
	s_add_u32 s4, s4, 0xc4
	s_addc_u32 s5, s5, 0
	s_mul_i32 s6, s36, 12
	s_add_u32 s6, s34, s6
	s_addc_u32 s7, s35, 0
.LBB497_1152:                           ; =>This Inner Loop Header: Depth=1
	s_load_dwordx2 s[10:11], s[6:7], 0x4
	s_load_dword s9, s[6:7], 0xc
	s_load_dwordx2 s[12:13], s[4:5], 0x0
	v_mov_b32_e32 v0, v1
	s_add_u32 s6, s6, 12
	s_waitcnt lgkmcnt(0)
	v_mul_hi_u32 v1, s11, v3
	v_add_u32_e32 v1, v3, v1
	v_lshrrev_b32_e32 v1, s9, v1
	s_addc_u32 s7, s7, 0
	v_mul_lo_u32 v4, v1, s10
	s_add_u32 s4, s4, 8
	v_sub_u32_e32 v4, v3, v4
	s_addc_u32 s5, s5, 0
	s_add_i32 s8, s8, -1
	v_mov_b32_e32 v3, v1
	v_mad_u64_u32 v[0:1], s[10:11], v4, s13, v[0:1]
	s_cmp_lg_u32 s8, 0
	v_mad_u64_u32 v[26:27], s[10:11], v4, s12, v[26:27]
	v_mov_b32_e32 v1, v0
	s_cbranch_scc1 .LBB497_1152
.LBB497_1153:
	s_cbranch_execnz .LBB497_1156
.LBB497_1154:
	s_load_dwordx4 s[4:7], s[34:35], 0x4
	s_load_dwordx2 s[8:9], s[34:35], 0xc4
	s_cmp_lt_u32 s33, 2
	s_waitcnt lgkmcnt(0)
	v_mul_hi_u32 v0, s5, v10
	v_add_u32_e32 v0, v10, v0
	v_lshrrev_b32_e32 v1, s6, v0
	v_mul_lo_u32 v0, v1, s4
	s_waitcnt vmcnt(0)
	v_sub_u32_e32 v3, v10, v0
	v_mul_lo_u32 v0, v3, s9
	v_mul_lo_u32 v26, v3, s8
	s_cbranch_scc1 .LBB497_1156
; %bb.1155:
	s_load_dwordx4 s[4:7], s[34:35], 0x10
	s_load_dwordx2 s[8:9], s[34:35], 0xcc
	s_waitcnt lgkmcnt(0)
	v_mul_hi_u32 v3, s5, v1
	v_add_u32_e32 v3, v1, v3
	v_lshrrev_b32_e32 v3, s6, v3
	v_mul_lo_u32 v3, v3, s4
	v_sub_u32_e32 v1, v1, v3
	v_mad_u64_u32 v[26:27], s[4:5], v1, s8, v[26:27]
	v_mad_u64_u32 v[0:1], s[4:5], v1, s9, v[0:1]
.LBB497_1156:
	s_and_b64 vcc, exec, s[2:3]
	s_waitcnt vmcnt(0)
	v_add_u32_e32 v3, 0x80, v10
	s_cbranch_vccnz .LBB497_1162
; %bb.1157:
	s_cmp_lg_u32 s33, 0
	s_mov_b32 s36, 0
	s_cbranch_scc0 .LBB497_1163
; %bb.1158:
	s_min_u32 s37, s78, 15
	s_add_i32 s37, s37, 1
	s_cmp_eq_u32 s78, 2
	s_cbranch_scc1 .LBB497_1164
; %bb.1159:
	s_and_b32 s36, s37, 28
	s_add_u32 s28, s34, 0xc4
	s_addc_u32 s29, s35, 0
	s_mov_b32 s38, 0
	v_mov_b32_e32 v24, 0
	v_mov_b32_e32 v6, 0
	s_mov_b64 s[30:31], s[34:35]
	v_mov_b32_e32 v4, v3
.LBB497_1160:                           ; =>This Inner Loop Header: Depth=1
	s_load_dwordx8 s[12:19], s[30:31], 0x4
	s_load_dwordx4 s[20:23], s[30:31], 0x24
	s_load_dwordx8 s[4:11], s[28:29], 0x0
	s_add_u32 s30, s30, 48
	s_addc_u32 s31, s31, 0
	s_waitcnt lgkmcnt(0)
	v_mul_hi_u32 v1, s13, v4
	v_add_u32_e32 v1, v4, v1
	v_lshrrev_b32_e32 v1, s14, v1
	v_mul_lo_u32 v5, v1, s12
	v_mul_hi_u32 v7, s16, v1
	v_sub_u32_e32 v4, v4, v5
	v_add_u32_e32 v5, v1, v7
	v_lshrrev_b32_e32 v5, s17, v5
	v_mul_lo_u32 v8, v5, s15
	v_mul_hi_u32 v9, s19, v5
	v_sub_u32_e32 v1, v1, v8
	v_add_u32_e32 v8, v5, v9
	v_mul_lo_u32 v7, v4, s5
	v_mul_lo_u32 v4, v4, s4
	;; [unrolled: 1-line block ×4, first 2 shown]
	v_lshrrev_b32_e32 v8, s20, v8
	v_add3_u32 v1, v4, v24, v1
	v_add3_u32 v6, v7, v6, v9
	v_mul_lo_u32 v4, v8, s18
	v_mul_hi_u32 v7, s22, v8
	v_sub_u32_e32 v4, v5, v4
	v_add_u32_e32 v5, v8, v7
	v_mul_lo_u32 v7, v4, s8
	v_mul_lo_u32 v9, v4, s9
	v_lshrrev_b32_e32 v4, s23, v5
	s_add_i32 s38, s38, 4
	v_mul_lo_u32 v5, v4, s21
	s_add_u32 s28, s28, 32
	v_sub_u32_e32 v5, v8, v5
	s_addc_u32 s29, s29, 0
	v_mul_lo_u32 v8, v5, s10
	v_mul_lo_u32 v5, v5, s11
	s_cmp_lg_u32 s36, s38
	v_add3_u32 v6, v9, v6, v5
	v_add3_u32 v24, v7, v1, v8
	s_cbranch_scc1 .LBB497_1160
; %bb.1161:
	v_mov_b32_e32 v1, v6
	s_and_b32 s8, s37, 3
	s_cmp_eq_u32 s8, 0
	s_cbranch_scc0 .LBB497_1165
	s_branch .LBB497_1167
.LBB497_1162:
                                        ; implicit-def: $vgpr6
                                        ; implicit-def: $vgpr24
	s_branch .LBB497_1168
.LBB497_1163:
	v_mov_b32_e32 v6, 0
	v_mov_b32_e32 v24, 0
	s_branch .LBB497_1167
.LBB497_1164:
	v_mov_b32_e32 v24, 0
                                        ; implicit-def: $vgpr6
	v_mov_b32_e32 v1, v24
	v_mov_b32_e32 v4, v3
	s_and_b32 s8, s37, 3
	s_cmp_eq_u32 s8, 0
	s_cbranch_scc1 .LBB497_1167
.LBB497_1165:
	s_lshl_b32 s4, s36, 3
	s_add_u32 s4, s34, s4
	s_addc_u32 s5, s35, 0
	s_add_u32 s4, s4, 0xc4
	s_addc_u32 s5, s5, 0
	s_mul_i32 s6, s36, 12
	s_add_u32 s6, s34, s6
	s_addc_u32 s7, s35, 0
.LBB497_1166:                           ; =>This Inner Loop Header: Depth=1
	s_load_dwordx2 s[10:11], s[6:7], 0x4
	s_load_dword s9, s[6:7], 0xc
	s_load_dwordx2 s[12:13], s[4:5], 0x0
	v_mov_b32_e32 v6, v1
	s_add_u32 s6, s6, 12
	s_waitcnt lgkmcnt(0)
	v_mul_hi_u32 v1, s11, v4
	v_add_u32_e32 v1, v4, v1
	v_lshrrev_b32_e32 v1, s9, v1
	s_addc_u32 s7, s7, 0
	v_mul_lo_u32 v5, v1, s10
	s_add_u32 s4, s4, 8
	v_sub_u32_e32 v5, v4, v5
	s_addc_u32 s5, s5, 0
	s_add_i32 s8, s8, -1
	v_mad_u64_u32 v[6:7], s[10:11], v5, s13, v[6:7]
	s_cmp_lg_u32 s8, 0
	v_mov_b32_e32 v4, v1
	v_mad_u64_u32 v[24:25], s[10:11], v5, s12, v[24:25]
	v_mov_b32_e32 v1, v6
	s_cbranch_scc1 .LBB497_1166
.LBB497_1167:
	s_cbranch_execnz .LBB497_1170
.LBB497_1168:
	s_load_dwordx4 s[4:7], s[34:35], 0x4
	s_load_dwordx2 s[8:9], s[34:35], 0xc4
	s_cmp_lt_u32 s33, 2
	s_waitcnt lgkmcnt(0)
	v_mul_hi_u32 v1, s5, v3
	v_add_u32_e32 v1, v3, v1
	v_lshrrev_b32_e32 v1, s6, v1
	v_mul_lo_u32 v4, v1, s4
	v_sub_u32_e32 v3, v3, v4
	v_mul_lo_u32 v6, v3, s9
	v_mul_lo_u32 v24, v3, s8
	s_cbranch_scc1 .LBB497_1170
; %bb.1169:
	s_load_dwordx4 s[4:7], s[34:35], 0x10
	s_load_dwordx2 s[8:9], s[34:35], 0xcc
	s_waitcnt lgkmcnt(0)
	v_mul_hi_u32 v3, s5, v1
	v_add_u32_e32 v3, v1, v3
	v_lshrrev_b32_e32 v3, s6, v3
	v_mul_lo_u32 v3, v3, s4
	v_sub_u32_e32 v1, v1, v3
	v_mad_u64_u32 v[24:25], s[4:5], v1, s8, v[24:25]
	v_mad_u64_u32 v[6:7], s[4:5], v1, s9, v[6:7]
.LBB497_1170:
	s_and_b64 vcc, exec, s[2:3]
	v_add_u32_e32 v3, 0x100, v10
	s_cbranch_vccnz .LBB497_1176
; %bb.1171:
	s_cmp_lg_u32 s33, 0
	s_mov_b32 s36, 0
	s_cbranch_scc0 .LBB497_1177
; %bb.1172:
	s_min_u32 s37, s78, 15
	s_add_i32 s37, s37, 1
	s_cmp_eq_u32 s78, 2
	s_cbranch_scc1 .LBB497_1178
; %bb.1173:
	s_and_b32 s36, s37, 28
	s_add_u32 s28, s34, 0xc4
	s_addc_u32 s29, s35, 0
	s_mov_b32 s38, 0
	v_mov_b32_e32 v22, 0
	v_mov_b32_e32 v12, 0
	s_mov_b64 s[30:31], s[34:35]
	v_mov_b32_e32 v4, v3
.LBB497_1174:                           ; =>This Inner Loop Header: Depth=1
	s_load_dwordx8 s[12:19], s[30:31], 0x4
	s_load_dwordx4 s[20:23], s[30:31], 0x24
	s_load_dwordx8 s[4:11], s[28:29], 0x0
	s_add_u32 s30, s30, 48
	s_addc_u32 s31, s31, 0
	s_waitcnt lgkmcnt(0)
	v_mul_hi_u32 v1, s13, v4
	v_add_u32_e32 v1, v4, v1
	v_lshrrev_b32_e32 v1, s14, v1
	v_mul_lo_u32 v5, v1, s12
	v_mul_hi_u32 v7, s16, v1
	v_sub_u32_e32 v4, v4, v5
	v_add_u32_e32 v5, v1, v7
	v_lshrrev_b32_e32 v5, s17, v5
	v_mul_lo_u32 v8, v5, s15
	v_mul_hi_u32 v9, s19, v5
	v_sub_u32_e32 v1, v1, v8
	v_add_u32_e32 v8, v5, v9
	v_mul_lo_u32 v7, v4, s5
	v_mul_lo_u32 v4, v4, s4
	;; [unrolled: 1-line block ×4, first 2 shown]
	v_lshrrev_b32_e32 v8, s20, v8
	v_add3_u32 v1, v4, v22, v1
	v_add3_u32 v7, v7, v12, v9
	v_mul_lo_u32 v4, v8, s18
	v_mul_hi_u32 v9, s22, v8
	v_sub_u32_e32 v4, v5, v4
	v_add_u32_e32 v5, v8, v9
	v_mul_lo_u32 v9, v4, s8
	v_mul_lo_u32 v10, v4, s9
	v_lshrrev_b32_e32 v4, s23, v5
	s_add_i32 s38, s38, 4
	v_mul_lo_u32 v5, v4, s21
	s_add_u32 s28, s28, 32
	v_sub_u32_e32 v5, v8, v5
	s_addc_u32 s29, s29, 0
	v_mul_lo_u32 v8, v5, s10
	v_mul_lo_u32 v5, v5, s11
	s_cmp_lg_u32 s36, s38
	v_add3_u32 v12, v10, v7, v5
	v_add3_u32 v22, v9, v1, v8
	s_cbranch_scc1 .LBB497_1174
; %bb.1175:
	v_mov_b32_e32 v1, v12
	s_and_b32 s8, s37, 3
	s_cmp_eq_u32 s8, 0
	s_cbranch_scc0 .LBB497_1179
	s_branch .LBB497_1181
.LBB497_1176:
                                        ; implicit-def: $vgpr12
                                        ; implicit-def: $vgpr22
	s_branch .LBB497_1182
.LBB497_1177:
	v_mov_b32_e32 v12, 0
	v_mov_b32_e32 v22, 0
	s_branch .LBB497_1181
.LBB497_1178:
	v_mov_b32_e32 v22, 0
                                        ; implicit-def: $vgpr12
	v_mov_b32_e32 v1, v22
	v_mov_b32_e32 v4, v3
	s_and_b32 s8, s37, 3
	s_cmp_eq_u32 s8, 0
	s_cbranch_scc1 .LBB497_1181
.LBB497_1179:
	s_lshl_b32 s4, s36, 3
	s_add_u32 s4, s34, s4
	s_addc_u32 s5, s35, 0
	s_add_u32 s4, s4, 0xc4
	s_addc_u32 s5, s5, 0
	s_mul_i32 s6, s36, 12
	s_add_u32 s6, s34, s6
	s_addc_u32 s7, s35, 0
.LBB497_1180:                           ; =>This Inner Loop Header: Depth=1
	s_load_dwordx2 s[10:11], s[6:7], 0x4
	s_load_dword s9, s[6:7], 0xc
	s_load_dwordx2 s[12:13], s[4:5], 0x0
	v_mov_b32_e32 v8, v1
	s_add_u32 s6, s6, 12
	s_waitcnt lgkmcnt(0)
	v_mul_hi_u32 v1, s11, v4
	v_add_u32_e32 v1, v4, v1
	v_lshrrev_b32_e32 v1, s9, v1
	s_addc_u32 s7, s7, 0
	v_mul_lo_u32 v5, v1, s10
	s_add_u32 s4, s4, 8
	v_sub_u32_e32 v5, v4, v5
	s_addc_u32 s5, s5, 0
	s_add_i32 s8, s8, -1
	v_mad_u64_u32 v[12:13], s[10:11], v5, s13, v[8:9]
	s_cmp_lg_u32 s8, 0
	v_mov_b32_e32 v4, v1
	v_mad_u64_u32 v[22:23], s[10:11], v5, s12, v[22:23]
	v_mov_b32_e32 v1, v12
	s_cbranch_scc1 .LBB497_1180
.LBB497_1181:
	s_cbranch_execnz .LBB497_1184
.LBB497_1182:
	s_load_dwordx4 s[4:7], s[34:35], 0x4
	s_load_dwordx2 s[8:9], s[34:35], 0xc4
	s_cmp_lt_u32 s33, 2
	s_waitcnt lgkmcnt(0)
	v_mul_hi_u32 v1, s5, v3
	v_add_u32_e32 v1, v3, v1
	v_lshrrev_b32_e32 v1, s6, v1
	v_mul_lo_u32 v4, v1, s4
	v_sub_u32_e32 v3, v3, v4
	v_mul_lo_u32 v12, v3, s9
	v_mul_lo_u32 v22, v3, s8
	s_cbranch_scc1 .LBB497_1184
; %bb.1183:
	s_load_dwordx4 s[4:7], s[34:35], 0x10
	s_load_dwordx2 s[8:9], s[34:35], 0xcc
	s_waitcnt lgkmcnt(0)
	v_mul_hi_u32 v3, s5, v1
	v_add_u32_e32 v3, v1, v3
	v_lshrrev_b32_e32 v3, s6, v3
	v_mul_lo_u32 v3, v3, s4
	v_sub_u32_e32 v1, v1, v3
	v_mad_u64_u32 v[22:23], s[4:5], v1, s8, v[22:23]
	v_mad_u64_u32 v[12:13], s[4:5], v1, s9, v[12:13]
.LBB497_1184:
	s_and_b64 vcc, exec, s[2:3]
	s_cbranch_vccnz .LBB497_1190
; %bb.1185:
	s_cmp_lg_u32 s33, 0
	s_mov_b32 s30, 0
	s_cbranch_scc0 .LBB497_1191
; %bb.1186:
	s_min_u32 s31, s78, 15
	s_add_i32 s31, s31, 1
	s_cmp_eq_u32 s78, 2
	s_cbranch_scc1 .LBB497_1192
; %bb.1187:
	s_and_b32 s30, s31, 28
	s_add_u32 s2, s34, 0xc4
	s_addc_u32 s3, s35, 0
	s_mov_b32 s36, 0
	v_mov_b32_e32 v20, 0
	v_mov_b32_e32 v16, 0
	s_mov_b64 s[28:29], s[34:35]
	v_mov_b32_e32 v3, v2
.LBB497_1188:                           ; =>This Inner Loop Header: Depth=1
	s_load_dwordx8 s[12:19], s[28:29], 0x4
	s_load_dwordx4 s[20:23], s[28:29], 0x24
	s_load_dwordx8 s[4:11], s[2:3], 0x0
	s_add_u32 s28, s28, 48
	s_addc_u32 s29, s29, 0
	s_waitcnt lgkmcnt(0)
	v_mul_hi_u32 v1, s13, v3
	v_add_u32_e32 v1, v3, v1
	v_lshrrev_b32_e32 v1, s14, v1
	v_mul_lo_u32 v4, v1, s12
	v_mul_hi_u32 v5, s16, v1
	v_sub_u32_e32 v3, v3, v4
	v_add_u32_e32 v4, v1, v5
	v_lshrrev_b32_e32 v4, s17, v4
	v_mul_lo_u32 v7, v4, s15
	v_mul_hi_u32 v8, s19, v4
	v_sub_u32_e32 v1, v1, v7
	v_add_u32_e32 v7, v4, v8
	v_mul_lo_u32 v5, v3, s5
	v_mul_lo_u32 v3, v3, s4
	;; [unrolled: 1-line block ×4, first 2 shown]
	v_lshrrev_b32_e32 v7, s20, v7
	v_add3_u32 v1, v3, v20, v1
	v_add3_u32 v5, v5, v16, v8
	v_mul_lo_u32 v3, v7, s18
	v_mul_hi_u32 v8, s22, v7
	v_sub_u32_e32 v3, v4, v3
	v_add_u32_e32 v4, v7, v8
	v_mul_lo_u32 v8, v3, s8
	v_mul_lo_u32 v9, v3, s9
	v_lshrrev_b32_e32 v3, s23, v4
	s_add_i32 s36, s36, 4
	v_mul_lo_u32 v4, v3, s21
	s_add_u32 s2, s2, 32
	v_sub_u32_e32 v4, v7, v4
	s_addc_u32 s3, s3, 0
	v_mul_lo_u32 v7, v4, s10
	v_mul_lo_u32 v4, v4, s11
	s_cmp_lg_u32 s30, s36
	v_add3_u32 v16, v9, v5, v4
	v_add3_u32 v20, v8, v1, v7
	s_cbranch_scc1 .LBB497_1188
; %bb.1189:
	v_mov_b32_e32 v1, v16
	s_and_b32 s6, s31, 3
	s_cmp_eq_u32 s6, 0
	s_cbranch_scc0 .LBB497_1193
	s_branch .LBB497_1195
.LBB497_1190:
                                        ; implicit-def: $vgpr16
                                        ; implicit-def: $vgpr20
	s_branch .LBB497_1196
.LBB497_1191:
	v_mov_b32_e32 v16, 0
	v_mov_b32_e32 v20, 0
	s_branch .LBB497_1195
.LBB497_1192:
	v_mov_b32_e32 v20, 0
                                        ; implicit-def: $vgpr16
	v_mov_b32_e32 v1, v20
	v_mov_b32_e32 v3, v2
	s_and_b32 s6, s31, 3
	s_cmp_eq_u32 s6, 0
	s_cbranch_scc1 .LBB497_1195
.LBB497_1193:
	s_lshl_b32 s2, s30, 3
	s_add_u32 s2, s34, s2
	s_addc_u32 s3, s35, 0
	s_add_u32 s2, s2, 0xc4
	s_addc_u32 s3, s3, 0
	s_mul_i32 s4, s30, 12
	s_add_u32 s4, s34, s4
	s_addc_u32 s5, s35, 0
.LBB497_1194:                           ; =>This Inner Loop Header: Depth=1
	s_load_dwordx2 s[8:9], s[4:5], 0x4
	s_load_dword s7, s[4:5], 0xc
	s_load_dwordx2 s[10:11], s[2:3], 0x0
	v_mov_b32_e32 v4, v1
	s_add_u32 s4, s4, 12
	s_waitcnt lgkmcnt(0)
	v_mul_hi_u32 v1, s9, v3
	v_add_u32_e32 v1, v3, v1
	v_lshrrev_b32_e32 v1, s7, v1
	s_addc_u32 s5, s5, 0
	v_mul_lo_u32 v5, v1, s8
	s_add_u32 s2, s2, 8
	v_sub_u32_e32 v5, v3, v5
	s_addc_u32 s3, s3, 0
	s_add_i32 s6, s6, -1
	v_mad_u64_u32 v[16:17], s[8:9], v5, s11, v[4:5]
	s_cmp_lg_u32 s6, 0
	v_mov_b32_e32 v3, v1
	v_mad_u64_u32 v[20:21], s[8:9], v5, s10, v[20:21]
	v_mov_b32_e32 v1, v16
	s_cbranch_scc1 .LBB497_1194
.LBB497_1195:
	s_cbranch_execnz .LBB497_1198
.LBB497_1196:
	s_load_dwordx4 s[4:7], s[34:35], 0x4
	s_load_dwordx2 s[2:3], s[34:35], 0xc4
	s_cmp_lt_u32 s33, 2
	s_waitcnt lgkmcnt(0)
	v_mul_hi_u32 v1, s5, v2
	v_add_u32_e32 v1, v2, v1
	v_lshrrev_b32_e32 v1, s6, v1
	v_mul_lo_u32 v3, v1, s4
	v_sub_u32_e32 v2, v2, v3
	v_mul_lo_u32 v16, v2, s3
	v_mul_lo_u32 v20, v2, s2
	s_cbranch_scc1 .LBB497_1198
; %bb.1197:
	s_load_dwordx4 s[4:7], s[34:35], 0x10
	s_load_dwordx2 s[2:3], s[34:35], 0xcc
	s_waitcnt lgkmcnt(0)
	v_mul_hi_u32 v2, s5, v1
	v_add_u32_e32 v2, v1, v2
	v_lshrrev_b32_e32 v2, s6, v2
	v_mul_lo_u32 v2, v2, s4
	v_sub_u32_e32 v1, v1, v2
	v_mad_u64_u32 v[20:21], s[4:5], v1, s2, v[20:21]
	v_mad_u64_u32 v[16:17], s[2:3], v1, s3, v[16:17]
.LBB497_1198:
	s_load_dword s16, s[0:1], 0x178
	s_load_dwordx4 s[4:7], s[34:35], 0x148
	v_mov_b32_e32 v1, 0
	s_waitcnt lgkmcnt(0)
	s_bfe_u32 s14, s16, 0x80008
	s_cmp_lt_i32 s14, 11
	v_lshl_add_u64 v[0:1], s[6:7], 0, v[0:1]
	s_cbranch_scc1 .LBB497_1205
; %bb.1199:
	s_and_b32 s15, 0xffff, s14
	s_cmp_gt_i32 s15, 25
	s_mov_b64 s[2:3], 0
	s_cbranch_scc0 .LBB497_1207
; %bb.1200:
	s_cmp_gt_i32 s15, 28
	s_cbranch_scc0 .LBB497_1208
; %bb.1201:
	s_cmp_gt_i32 s15, 43
	;; [unrolled: 3-line block ×3, first 2 shown]
	s_cbranch_scc0 .LBB497_1210
; %bb.1203:
	s_cmp_eq_u32 s15, 46
	s_mov_b64 s[8:9], 0
	s_cbranch_scc0 .LBB497_1213
; %bb.1204:
	global_load_dword v2, v[0:1], off
	s_mov_b64 s[0:1], 0
	s_mov_b64 s[10:11], -1
	s_waitcnt vmcnt(0)
	v_and_b32_e32 v4, 0xffff0000, v2
	v_lshlrev_b32_e32 v2, 16, v2
	v_cvt_f64_f32_e32 v[2:3], v2
	v_cvt_f64_f32_e32 v[4:5], v4
	s_branch .LBB497_1214
.LBB497_1205:
	s_mov_b64 s[10:11], 0
                                        ; implicit-def: $vgpr4_vgpr5
	s_mov_b64 s[8:9], s[24:25]
	s_cbranch_execnz .LBB497_1280
.LBB497_1206:
	s_andn2_b64 vcc, exec, s[10:11]
	s_cbranch_vccz .LBB497_1327
	s_branch .LBB497_1840
.LBB497_1207:
	s_mov_b64 s[10:11], 0
	s_mov_b64 s[0:1], 0
                                        ; implicit-def: $vgpr4_vgpr5
	s_cbranch_execnz .LBB497_1246
	s_branch .LBB497_1276
.LBB497_1208:
	s_mov_b64 s[10:11], 0
	s_mov_b64 s[0:1], 0
                                        ; implicit-def: $vgpr4_vgpr5
	s_cbranch_execnz .LBB497_1226
	s_branch .LBB497_1245
.LBB497_1209:
	s_mov_b64 s[8:9], -1
	s_mov_b64 s[10:11], 0
	s_mov_b64 s[0:1], 0
                                        ; implicit-def: $vgpr4_vgpr5
	s_branch .LBB497_1220
.LBB497_1210:
	s_mov_b64 s[8:9], -1
	s_mov_b64 s[10:11], 0
	s_mov_b64 s[0:1], 0
                                        ; implicit-def: $vgpr4_vgpr5
	s_branch .LBB497_1214
.LBB497_1211:
	s_andn2_saveexec_b64 s[10:11], s[10:11]
	s_cbranch_execz .LBB497_1054
.LBB497_1212:
	s_mov_b32 s14, 0x46000000
	v_add_f32_e64 v5, |v4|, s14
	v_and_b32_e32 v5, 0xff, v5
	v_cmp_ne_u32_e32 vcc, 0, v5
	s_andn2_b64 s[8:9], s[8:9], exec
	s_and_b64 s[14:15], vcc, exec
	s_or_b64 s[8:9], s[8:9], s[14:15]
	s_or_b64 exec, exec, s[10:11]
	v_mov_b32_e32 v6, 0
	s_and_saveexec_b64 s[10:11], s[8:9]
	s_cbranch_execnz .LBB497_1055
	s_branch .LBB497_1056
.LBB497_1213:
	s_mov_b64 s[0:1], -1
                                        ; implicit-def: $vgpr4_vgpr5
	s_mov_b64 s[10:11], 0
.LBB497_1214:
	s_and_b64 vcc, exec, s[8:9]
	s_cbranch_vccz .LBB497_1219
; %bb.1215:
	s_cmp_eq_u32 s15, 44
	s_cbranch_scc0 .LBB497_1217
; %bb.1216:
	global_load_ubyte v4, v[0:1], off
	s_movk_i32 s8, 0xff
	v_bfrev_b32_e32 v5, 4
	v_mov_b32_e32 v7, 0x7ff80000
	v_bfrev_b32_e32 v8, 28
	s_mov_b64 s[0:1], 0
	s_mov_b64 s[10:11], -1
	s_waitcnt vmcnt(0)
	v_lshlrev_b32_e32 v2, 23, v4
	v_cvt_f64_f32_e32 v[2:3], v2
	v_cmp_ne_u32_e32 vcc, s8, v4
	s_nop 1
	v_cndmask_b32_e32 v2, v5, v2, vcc
	v_cndmask_b32_e32 v3, v7, v3, vcc
	v_cmp_ne_u32_e32 vcc, 0, v4
	s_nop 1
	v_cndmask_b32_e32 v3, v8, v3, vcc
	v_cndmask_b32_e32 v2, 0, v2, vcc
	s_branch .LBB497_1218
.LBB497_1217:
	s_mov_b64 s[0:1], -1
                                        ; implicit-def: $vgpr2_vgpr3
.LBB497_1218:
	v_mov_b64_e32 v[4:5], 0
.LBB497_1219:
	s_mov_b64 s[8:9], 0
.LBB497_1220:
	s_and_b64 vcc, exec, s[8:9]
	s_cbranch_vccz .LBB497_1225
; %bb.1221:
	s_cmp_eq_u32 s15, 29
	s_cbranch_scc0 .LBB497_1223
; %bb.1222:
	global_load_dwordx2 v[2:3], v[0:1], off
	s_mov_b64 s[0:1], 0
	s_mov_b64 s[10:11], -1
	s_waitcnt vmcnt(0)
	v_cvt_f64_u32_e32 v[4:5], v3
	v_cvt_f64_u32_e32 v[2:3], v2
	v_ldexp_f64 v[4:5], v[4:5], 32
	v_add_f64 v[2:3], v[4:5], v[2:3]
	s_branch .LBB497_1224
.LBB497_1223:
	s_mov_b64 s[0:1], -1
                                        ; implicit-def: $vgpr2_vgpr3
.LBB497_1224:
	v_mov_b64_e32 v[4:5], 0
.LBB497_1225:
	s_branch .LBB497_1245
.LBB497_1226:
	s_cmp_lt_i32 s15, 27
	s_cbranch_scc1 .LBB497_1229
; %bb.1227:
	s_cmp_gt_i32 s15, 27
	s_cbranch_scc0 .LBB497_1230
; %bb.1228:
	global_load_dword v2, v[0:1], off
	s_mov_b64 s[8:9], 0
	s_waitcnt vmcnt(0)
	v_cvt_f64_u32_e32 v[2:3], v2
	s_branch .LBB497_1231
.LBB497_1229:
	s_mov_b64 s[8:9], -1
                                        ; implicit-def: $vgpr2_vgpr3
	s_branch .LBB497_1234
.LBB497_1230:
	s_mov_b64 s[8:9], -1
                                        ; implicit-def: $vgpr2_vgpr3
.LBB497_1231:
	s_andn2_b64 vcc, exec, s[8:9]
	s_cbranch_vccnz .LBB497_1233
; %bb.1232:
	global_load_ushort v2, v[0:1], off
	s_waitcnt vmcnt(0)
	v_cvt_f64_u32_e32 v[2:3], v2
.LBB497_1233:
	s_mov_b64 s[8:9], 0
.LBB497_1234:
	s_andn2_b64 vcc, exec, s[8:9]
	s_cbranch_vccnz .LBB497_1244
; %bb.1235:
	global_load_ubyte v4, v[0:1], off
	s_movk_i32 s8, 0x7f
	s_waitcnt vmcnt(0)
	v_cmp_lt_i16_e32 vcc, s8, v4
	s_mov_b64 s[8:9], 0
	s_and_saveexec_b64 s[10:11], vcc
	s_xor_b64 s[10:11], exec, s[10:11]
	s_cbranch_execz .LBB497_1239
; %bb.1236:
	s_movk_i32 s8, 0x80
	v_cmp_eq_u16_e32 vcc, s8, v4
	s_mov_b64 s[8:9], -1
	s_and_saveexec_b64 s[12:13], vcc
; %bb.1237:
	s_xor_b64 s[8:9], exec, -1
; %bb.1238:
	s_or_b64 exec, exec, s[12:13]
	s_and_b64 s[8:9], s[8:9], exec
.LBB497_1239:
	s_or_saveexec_b64 s[10:11], s[10:11]
	v_bfrev_b32_e32 v2, 4
	v_mov_b32_e32 v3, 0x7ff80000
	s_xor_b64 exec, exec, s[10:11]
; %bb.1240:
	v_cmp_ne_u16_e32 vcc, 0, v4
	s_andn2_b64 s[8:9], s[8:9], exec
	s_and_b64 s[12:13], vcc, exec
	v_mov_b64_e32 v[2:3], 0
	s_or_b64 s[8:9], s[8:9], s[12:13]
; %bb.1241:
	s_or_b64 exec, exec, s[10:11]
	s_and_saveexec_b64 s[10:11], s[8:9]
	s_cbranch_execz .LBB497_1243
; %bb.1242:
	v_and_b32_e32 v3, 0xffff, v4
	v_lshlrev_b32_e32 v2, 24, v4
	v_and_b32_e32 v4, 7, v3
	v_ffbh_u32_e32 v7, v4
	v_min_u32_e32 v7, 32, v7
	v_subrev_u32_e32 v8, 28, v7
	v_bfe_u32 v5, v3, 3, 4
	v_lshlrev_b32_e32 v3, v8, v3
	v_sub_u32_e32 v7, 29, v7
	v_and_b32_e32 v3, 7, v3
	v_cmp_eq_u32_e32 vcc, 0, v5
	v_and_b32_e32 v2, 0x80000000, v2
	s_nop 0
	v_cndmask_b32_e32 v5, v5, v7, vcc
	v_cndmask_b32_e32 v3, v4, v3, vcc
	v_mov_b32_e32 v4, 0x3b800000
	v_lshlrev_b32_e32 v3, 20, v3
	v_lshl_add_u32 v4, v5, 23, v4
	v_or3_b32 v2, v2, v4, v3
	v_cvt_f64_f32_e32 v[2:3], v2
.LBB497_1243:
	s_or_b64 exec, exec, s[10:11]
.LBB497_1244:
	s_mov_b64 s[10:11], -1
	v_mov_b64_e32 v[4:5], 0
.LBB497_1245:
	s_branch .LBB497_1276
.LBB497_1246:
	s_cmp_gt_i32 s15, 22
	s_cbranch_scc0 .LBB497_1258
; %bb.1247:
	s_cmp_lt_i32 s15, 24
	s_cbranch_scc1 .LBB497_1259
; %bb.1248:
	s_cmp_gt_i32 s15, 24
	s_cbranch_scc0 .LBB497_1260
; %bb.1249:
	global_load_ubyte v4, v[0:1], off
	s_movk_i32 s2, 0x7f
	s_waitcnt vmcnt(0)
	v_cmp_lt_i16_e32 vcc, s2, v4
	s_mov_b64 s[2:3], 0
	s_and_saveexec_b64 s[8:9], vcc
	s_xor_b64 s[8:9], exec, s[8:9]
	s_cbranch_execz .LBB497_1253
; %bb.1250:
	s_movk_i32 s2, 0x80
	v_cmp_eq_u16_e32 vcc, s2, v4
	s_mov_b64 s[2:3], -1
	s_and_saveexec_b64 s[10:11], vcc
; %bb.1251:
	s_xor_b64 s[2:3], exec, -1
; %bb.1252:
	s_or_b64 exec, exec, s[10:11]
	s_and_b64 s[2:3], s[2:3], exec
.LBB497_1253:
	s_or_saveexec_b64 s[8:9], s[8:9]
	v_bfrev_b32_e32 v2, 4
	v_mov_b32_e32 v3, 0x7ff80000
	s_xor_b64 exec, exec, s[8:9]
; %bb.1254:
	v_cmp_ne_u16_e32 vcc, 0, v4
	s_andn2_b64 s[2:3], s[2:3], exec
	s_and_b64 s[10:11], vcc, exec
	v_mov_b64_e32 v[2:3], 0
	s_or_b64 s[2:3], s[2:3], s[10:11]
; %bb.1255:
	s_or_b64 exec, exec, s[8:9]
	s_and_saveexec_b64 s[8:9], s[2:3]
	s_cbranch_execz .LBB497_1257
; %bb.1256:
	v_and_b32_e32 v3, 0xffff, v4
	v_lshlrev_b32_e32 v2, 24, v4
	v_and_b32_e32 v4, 3, v3
	v_ffbh_u32_e32 v7, v4
	v_min_u32_e32 v7, 32, v7
	v_subrev_u32_e32 v8, 29, v7
	v_bfe_u32 v5, v3, 2, 5
	v_lshlrev_b32_e32 v3, v8, v3
	v_sub_u32_e32 v7, 30, v7
	v_and_b32_e32 v3, 3, v3
	v_cmp_eq_u32_e32 vcc, 0, v5
	v_and_b32_e32 v2, 0x80000000, v2
	s_nop 0
	v_cndmask_b32_e32 v5, v5, v7, vcc
	v_cndmask_b32_e32 v3, v4, v3, vcc
	v_mov_b32_e32 v4, 0x37800000
	v_lshlrev_b32_e32 v3, 21, v3
	v_lshl_add_u32 v4, v5, 23, v4
	v_or3_b32 v2, v2, v4, v3
	v_cvt_f64_f32_e32 v[2:3], v2
.LBB497_1257:
	s_or_b64 exec, exec, s[8:9]
	s_mov_b64 s[2:3], 0
	s_branch .LBB497_1261
.LBB497_1258:
                                        ; implicit-def: $vgpr2_vgpr3
	s_mov_b64 s[2:3], 0
	s_branch .LBB497_1267
.LBB497_1259:
	s_mov_b64 s[2:3], -1
                                        ; implicit-def: $vgpr2_vgpr3
	s_branch .LBB497_1264
.LBB497_1260:
	s_mov_b64 s[2:3], -1
                                        ; implicit-def: $vgpr2_vgpr3
.LBB497_1261:
	s_and_b64 vcc, exec, s[2:3]
	s_cbranch_vccz .LBB497_1263
; %bb.1262:
	global_load_ubyte v2, v[0:1], off
	s_mov_b32 s2, 0x7f800000
	s_waitcnt vmcnt(0)
	v_lshlrev_b32_e32 v2, 24, v2
	v_and_b32_e32 v3, 0x7f000000, v2
	v_ffbh_u32_e32 v4, v3
	v_min_u32_e32 v4, 32, v4
	v_sub_u32_e64 v4, v4, 4 clamp
	v_lshlrev_b32_e32 v7, v4, v3
	v_lshlrev_b32_e32 v4, 23, v4
	v_lshrrev_b32_e32 v7, 4, v7
	v_add_u32_e32 v5, 0x1000000, v3
	v_sub_u32_e32 v4, v7, v4
	v_ashrrev_i32_e32 v5, 8, v5
	v_add_u32_e32 v4, 0x3c000000, v4
	v_and_or_b32 v4, v5, s2, v4
	v_cmp_ne_u32_e32 vcc, 0, v3
	s_brev_b32 s2, 1
	s_nop 0
	v_cndmask_b32_e32 v3, 0, v4, vcc
	v_and_or_b32 v2, v2, s2, v3
	v_cvt_f64_f32_e32 v[2:3], v2
.LBB497_1263:
	s_mov_b64 s[2:3], 0
.LBB497_1264:
	s_andn2_b64 vcc, exec, s[2:3]
	s_cbranch_vccnz .LBB497_1266
; %bb.1265:
	global_load_ubyte v2, v[0:1], off
	s_movk_i32 s2, 0x7f00
	s_brev_b32 s3, 16
	s_waitcnt vmcnt(0)
	v_lshlrev_b16_e32 v3, 8, v2
	v_lshlrev_b32_e32 v2, 25, v2
	v_lshrrev_b32_e32 v4, 4, v2
	v_and_or_b32 v5, v3, s2, 0.5
	v_or_b32_e32 v4, 0x70000000, v4
	v_add_f32_e32 v5, -0.5, v5
	v_mul_f32_e32 v4, 0x7800000, v4
	v_cmp_gt_u32_e32 vcc, s3, v2
	v_bfe_i32 v3, v3, 0, 16
	s_brev_b32 s2, 1
	v_cndmask_b32_e32 v2, v4, v5, vcc
	v_and_or_b32 v2, v3, s2, v2
	v_cvt_f64_f32_e32 v[2:3], v2
.LBB497_1266:
	s_mov_b64 s[10:11], -1
	s_mov_b64 s[2:3], 0
	s_cbranch_execnz .LBB497_1275
.LBB497_1267:
	s_cmp_gt_i32 s15, 14
	s_cbranch_scc0 .LBB497_1270
; %bb.1268:
	s_cmp_eq_u32 s15, 15
	s_cbranch_scc0 .LBB497_1271
; %bb.1269:
	global_load_ushort v2, v[0:1], off
	s_mov_b64 s[0:1], 0
	s_mov_b64 s[10:11], -1
	s_waitcnt vmcnt(0)
	v_lshlrev_b32_e32 v2, 16, v2
	v_cvt_f64_f32_e32 v[2:3], v2
	s_branch .LBB497_1272
.LBB497_1270:
	s_mov_b64 s[8:9], -1
                                        ; implicit-def: $vgpr2_vgpr3
	s_branch .LBB497_1273
.LBB497_1271:
	s_mov_b64 s[0:1], -1
                                        ; implicit-def: $vgpr2_vgpr3
.LBB497_1272:
	s_mov_b64 s[8:9], 0
.LBB497_1273:
	s_and_b64 vcc, exec, s[8:9]
	s_cbranch_vccz .LBB497_1275
; %bb.1274:
	s_cmp_lg_u32 s15, 11
	s_mov_b64 s[2:3], -1
	s_cselect_b64 s[0:1], -1, 0
.LBB497_1275:
	v_mov_b64_e32 v[4:5], 0
.LBB497_1276:
	s_and_b64 vcc, exec, s[0:1]
	s_mov_b64 s[8:9], s[24:25]
	s_cbranch_vccnz .LBB497_1347
; %bb.1277:
	s_andn2_b64 vcc, exec, s[2:3]
	s_cbranch_vccnz .LBB497_1279
.LBB497_1278:
	global_load_ubyte v3, v[0:1], off
	v_mov_b32_e32 v4, 0x3ff00000
	v_mov_b32_e32 v2, 0
	s_mov_b64 s[10:11], -1
	s_waitcnt vmcnt(0)
	v_cmp_ne_u16_e32 vcc, 0, v3
	s_nop 1
	v_cndmask_b32_e32 v3, 0, v4, vcc
	v_mov_b64_e32 v[4:5], 0
.LBB497_1279:
	s_branch .LBB497_1206
.LBB497_1280:
	s_and_b32 s2, 0xffff, s14
	s_cmp_lt_i32 s2, 5
	s_cbranch_scc1 .LBB497_1285
; %bb.1281:
	s_cmp_lt_i32 s2, 8
	s_cbranch_scc1 .LBB497_1287
; %bb.1282:
	;; [unrolled: 3-line block ×3, first 2 shown]
	s_cmp_gt_i32 s2, 9
	s_cbranch_scc0 .LBB497_1289
; %bb.1284:
	global_load_dwordx4 v[2:5], v[0:1], off
	s_mov_b64 s[0:1], 0
	s_branch .LBB497_1290
.LBB497_1285:
                                        ; implicit-def: $vgpr4_vgpr5
	s_branch .LBB497_1308
.LBB497_1286:
	s_branch .LBB497_1327
.LBB497_1287:
                                        ; implicit-def: $vgpr4_vgpr5
	s_branch .LBB497_1296
.LBB497_1288:
	s_mov_b64 s[0:1], -1
                                        ; implicit-def: $vgpr4_vgpr5
	s_branch .LBB497_1293
.LBB497_1289:
	s_mov_b64 s[0:1], -1
                                        ; implicit-def: $vgpr4_vgpr5
.LBB497_1290:
	s_andn2_b64 vcc, exec, s[0:1]
	s_cbranch_vccnz .LBB497_1292
; %bb.1291:
	global_load_dwordx2 v[4:5], v[0:1], off
	s_waitcnt vmcnt(0)
	v_cvt_f64_f32_e32 v[2:3], v4
	v_cvt_f64_f32_e32 v[4:5], v5
.LBB497_1292:
	s_mov_b64 s[0:1], 0
.LBB497_1293:
	s_andn2_b64 vcc, exec, s[0:1]
	s_cbranch_vccnz .LBB497_1295
; %bb.1294:
	global_load_dword v2, v[0:1], off
	s_waitcnt vmcnt(0)
	v_cvt_f32_f16_e32 v3, v2
	v_cvt_f32_f16_sdwa v4, v2 dst_sel:DWORD dst_unused:UNUSED_PAD src0_sel:WORD_1
	v_cvt_f64_f32_e32 v[2:3], v3
	v_cvt_f64_f32_e32 v[4:5], v4
.LBB497_1295:
	s_cbranch_execnz .LBB497_1307
.LBB497_1296:
	s_cmp_lt_i32 s2, 6
	s_cbranch_scc1 .LBB497_1299
; %bb.1297:
	s_cmp_gt_i32 s2, 6
	s_cbranch_scc0 .LBB497_1300
; %bb.1298:
	global_load_dwordx2 v[2:3], v[0:1], off
	s_mov_b64 s[0:1], 0
	s_branch .LBB497_1301
.LBB497_1299:
	s_mov_b64 s[0:1], -1
                                        ; implicit-def: $vgpr2_vgpr3
	s_branch .LBB497_1304
.LBB497_1300:
	s_mov_b64 s[0:1], -1
                                        ; implicit-def: $vgpr2_vgpr3
.LBB497_1301:
	s_andn2_b64 vcc, exec, s[0:1]
	s_cbranch_vccnz .LBB497_1303
; %bb.1302:
	global_load_dword v2, v[0:1], off
	s_waitcnt vmcnt(0)
	v_cvt_f64_f32_e32 v[2:3], v2
.LBB497_1303:
	s_mov_b64 s[0:1], 0
.LBB497_1304:
	s_andn2_b64 vcc, exec, s[0:1]
	s_cbranch_vccnz .LBB497_1306
; %bb.1305:
	global_load_ushort v2, v[0:1], off
	s_waitcnt vmcnt(0)
	v_cvt_f32_f16_e32 v2, v2
	v_cvt_f64_f32_e32 v[2:3], v2
.LBB497_1306:
	s_waitcnt vmcnt(0)
	v_mov_b64_e32 v[4:5], 0
.LBB497_1307:
	s_cbranch_execnz .LBB497_1286
.LBB497_1308:
	s_cmp_lt_i32 s2, 2
	s_cbranch_scc1 .LBB497_1312
; %bb.1309:
	s_cmp_lt_i32 s2, 3
	s_cbranch_scc1 .LBB497_1313
; %bb.1310:
	s_cmp_gt_i32 s2, 3
	s_cbranch_scc0 .LBB497_1314
; %bb.1311:
	global_load_dwordx2 v[2:3], v[0:1], off
	s_mov_b64 s[0:1], 0
	s_waitcnt vmcnt(0)
	v_cvt_f64_i32_e32 v[4:5], v3
	v_cvt_f64_u32_e32 v[2:3], v2
	v_ldexp_f64 v[4:5], v[4:5], 32
	v_add_f64 v[2:3], v[4:5], v[2:3]
	s_branch .LBB497_1315
.LBB497_1312:
                                        ; implicit-def: $vgpr2_vgpr3
	s_branch .LBB497_1321
.LBB497_1313:
	s_mov_b64 s[0:1], -1
                                        ; implicit-def: $vgpr2_vgpr3
	s_branch .LBB497_1318
.LBB497_1314:
	s_mov_b64 s[0:1], -1
                                        ; implicit-def: $vgpr2_vgpr3
.LBB497_1315:
	s_andn2_b64 vcc, exec, s[0:1]
	s_cbranch_vccnz .LBB497_1317
; %bb.1316:
	global_load_dword v2, v[0:1], off
	s_waitcnt vmcnt(0)
	v_cvt_f64_i32_e32 v[2:3], v2
.LBB497_1317:
	s_mov_b64 s[0:1], 0
.LBB497_1318:
	s_andn2_b64 vcc, exec, s[0:1]
	s_cbranch_vccnz .LBB497_1320
; %bb.1319:
	global_load_sshort v2, v[0:1], off
	s_waitcnt vmcnt(0)
	v_cvt_f64_i32_e32 v[2:3], v2
.LBB497_1320:
	s_cbranch_execnz .LBB497_1326
.LBB497_1321:
	s_cmp_gt_i32 s2, 0
	s_cbranch_scc0 .LBB497_1323
; %bb.1322:
	global_load_sbyte v2, v[0:1], off
	s_mov_b64 s[0:1], 0
	s_waitcnt vmcnt(0)
	v_cvt_f64_i32_e32 v[2:3], v2
	s_branch .LBB497_1324
.LBB497_1323:
	s_mov_b64 s[0:1], -1
                                        ; implicit-def: $vgpr2_vgpr3
.LBB497_1324:
	s_andn2_b64 vcc, exec, s[0:1]
	s_cbranch_vccnz .LBB497_1326
; %bb.1325:
	global_load_ubyte v0, v[0:1], off
	s_waitcnt vmcnt(0)
	v_cvt_f64_u32_e32 v[2:3], v0
.LBB497_1326:
	s_waitcnt vmcnt(0)
	v_mov_b64_e32 v[4:5], 0
.LBB497_1327:
	s_load_dwordx4 s[0:3], s[34:35], 0x158
	s_load_dwordx2 s[10:11], s[34:35], 0x168
	s_waitcnt vmcnt(0)
	v_cmp_o_f64_e32 vcc, v[2:3], v[2:3]
	s_waitcnt lgkmcnt(0)
	v_mov_b64_e32 v[0:1], s[0:1]
	s_and_saveexec_b64 s[12:13], vcc
	s_cbranch_execz .LBB497_1331
; %bb.1328:
	s_mov_b32 s14, 0
	s_mov_b32 s15, 0x7ff00000
	v_cmp_neq_f64_e32 vcc, s[14:15], v[2:3]
	v_mov_b64_e32 v[0:1], s[2:3]
	s_and_saveexec_b64 s[14:15], vcc
; %bb.1329:
	s_mov_b32 s18, 0
	s_mov_b32 s19, 0xfff00000
	v_mov_b32_e32 v0, s11
	v_cmp_eq_f64_e32 vcc, s[18:19], v[2:3]
	s_nop 1
	v_cndmask_b32_e32 v1, v3, v0, vcc
	v_mov_b32_e32 v0, s10
	v_cndmask_b32_e32 v0, v2, v0, vcc
; %bb.1330:
	s_or_b64 exec, exec, s[14:15]
.LBB497_1331:
	s_or_b64 exec, exec, s[12:13]
	v_cmp_o_f64_e32 vcc, v[4:5], v[4:5]
	v_mov_b64_e32 v[2:3], s[0:1]
	s_and_saveexec_b64 s[12:13], vcc
	s_cbranch_execz .LBB497_1335
; %bb.1332:
	s_mov_b32 s14, 0
	s_mov_b32 s15, 0x7ff00000
	v_cmp_neq_f64_e32 vcc, s[14:15], v[4:5]
	v_mov_b64_e32 v[2:3], s[2:3]
	s_and_saveexec_b64 s[14:15], vcc
; %bb.1333:
	s_mov_b32 s18, 0
	s_mov_b32 s19, 0xfff00000
	v_mov_b32_e32 v2, s11
	v_cmp_eq_f64_e32 vcc, s[18:19], v[4:5]
	s_nop 1
	v_cndmask_b32_e32 v3, v5, v2, vcc
	v_mov_b32_e32 v2, s10
	v_cndmask_b32_e32 v2, v4, v2, vcc
; %bb.1334:
	s_or_b64 exec, exec, s[14:15]
.LBB497_1335:
	s_or_b64 exec, exec, s[12:13]
	s_lshr_b32 s12, s16, 8
	v_mov_b32_e32 v7, 0
	s_and_b32 s22, s12, 0xff
	s_cmp_lt_i32 s22, 11
	v_lshl_add_u64 v[8:9], s[6:7], 0, v[6:7]
	s_cbranch_scc1 .LBB497_1342
; %bb.1336:
	s_and_b32 s23, 0xffff, s22
	s_cmp_gt_i32 s23, 25
	s_mov_b64 s[14:15], 0
	s_cbranch_scc0 .LBB497_1344
; %bb.1337:
	s_cmp_gt_i32 s23, 28
	s_cbranch_scc0 .LBB497_1345
; %bb.1338:
	s_cmp_gt_i32 s23, 43
	;; [unrolled: 3-line block ×3, first 2 shown]
	s_cbranch_scc0 .LBB497_1348
; %bb.1340:
	s_cmp_eq_u32 s23, 46
	s_mov_b64 s[18:19], 0
	s_cbranch_scc0 .LBB497_1351
; %bb.1341:
	global_load_dword v4, v[8:9], off
	s_mov_b64 s[12:13], 0
	s_mov_b64 s[16:17], -1
	s_waitcnt vmcnt(0)
	v_and_b32_e32 v6, 0xffff0000, v4
	v_lshlrev_b32_e32 v4, 16, v4
	v_cvt_f64_f32_e32 v[4:5], v4
	v_cvt_f64_f32_e32 v[6:7], v6
	s_branch .LBB497_1352
.LBB497_1342:
	s_mov_b64 s[16:17], 0
                                        ; implicit-def: $vgpr6_vgpr7
	s_cbranch_execnz .LBB497_1420
.LBB497_1343:
	s_andn2_b64 vcc, exec, s[16:17]
	s_cbranch_vccnz .LBB497_1840
	s_branch .LBB497_1469
.LBB497_1344:
	s_mov_b64 s[16:17], 0
	s_mov_b64 s[12:13], 0
                                        ; implicit-def: $vgpr6_vgpr7
	s_cbranch_execnz .LBB497_1385
	s_branch .LBB497_1416
.LBB497_1345:
	s_mov_b64 s[18:19], -1
	s_mov_b64 s[16:17], 0
	s_mov_b64 s[12:13], 0
                                        ; implicit-def: $vgpr6_vgpr7
	s_branch .LBB497_1364
.LBB497_1346:
	s_mov_b64 s[18:19], -1
	s_mov_b64 s[16:17], 0
	s_mov_b64 s[12:13], 0
                                        ; implicit-def: $vgpr6_vgpr7
	s_branch .LBB497_1358
.LBB497_1347:
	s_trap 2
	s_or_b64 s[8:9], s[24:25], exec
	s_cbranch_execz .LBB497_1278
	s_branch .LBB497_1279
.LBB497_1348:
	s_mov_b64 s[18:19], -1
	s_mov_b64 s[16:17], 0
	s_mov_b64 s[12:13], 0
                                        ; implicit-def: $vgpr6_vgpr7
	s_branch .LBB497_1352
.LBB497_1349:
	s_andn2_saveexec_b64 s[14:15], s[14:15]
	s_cbranch_execz .LBB497_1066
.LBB497_1350:
	s_mov_b32 s17, 0x42800000
	v_add_f32_e64 v5, |v4|, s17
	v_and_b32_e32 v5, 0xff, v5
	v_cmp_ne_u32_e32 vcc, 0, v5
	s_andn2_b64 s[10:11], s[10:11], exec
	s_and_b64 s[20:21], vcc, exec
	s_or_b64 s[10:11], s[10:11], s[20:21]
	s_or_b64 exec, exec, s[14:15]
	v_mov_b32_e32 v6, 0
	s_and_saveexec_b64 s[14:15], s[10:11]
	s_cbranch_execnz .LBB497_1067
	s_branch .LBB497_1068
.LBB497_1351:
	s_mov_b64 s[12:13], -1
                                        ; implicit-def: $vgpr6_vgpr7
	s_mov_b64 s[16:17], 0
.LBB497_1352:
	s_and_b64 vcc, exec, s[18:19]
	s_cbranch_vccz .LBB497_1357
; %bb.1353:
	s_cmp_eq_u32 s23, 44
	s_cbranch_scc0 .LBB497_1355
; %bb.1354:
	global_load_ubyte v6, v[8:9], off
	s_movk_i32 s16, 0xff
	v_bfrev_b32_e32 v7, 4
	v_mov_b32_e32 v10, 0x7ff80000
	v_bfrev_b32_e32 v11, 28
	s_mov_b64 s[12:13], 0
	s_waitcnt vmcnt(0)
	v_lshlrev_b32_e32 v4, 23, v6
	v_cvt_f64_f32_e32 v[4:5], v4
	v_cmp_ne_u32_e32 vcc, s16, v6
	s_mov_b64 s[16:17], -1
	s_nop 0
	v_cndmask_b32_e32 v4, v7, v4, vcc
	v_cndmask_b32_e32 v5, v10, v5, vcc
	v_cmp_ne_u32_e32 vcc, 0, v6
	s_nop 1
	v_cndmask_b32_e32 v5, v11, v5, vcc
	v_cndmask_b32_e32 v4, 0, v4, vcc
	s_branch .LBB497_1356
.LBB497_1355:
	s_mov_b64 s[12:13], -1
                                        ; implicit-def: $vgpr4_vgpr5
.LBB497_1356:
	v_mov_b64_e32 v[6:7], 0
.LBB497_1357:
	s_mov_b64 s[18:19], 0
.LBB497_1358:
	s_and_b64 vcc, exec, s[18:19]
	s_cbranch_vccz .LBB497_1363
; %bb.1359:
	s_cmp_eq_u32 s23, 29
	s_cbranch_scc0 .LBB497_1361
; %bb.1360:
	global_load_dwordx2 v[4:5], v[8:9], off
	s_mov_b64 s[12:13], 0
	s_mov_b64 s[16:17], -1
	s_waitcnt vmcnt(0)
	v_cvt_f64_u32_e32 v[6:7], v5
	v_cvt_f64_u32_e32 v[4:5], v4
	v_ldexp_f64 v[6:7], v[6:7], 32
	v_add_f64 v[4:5], v[6:7], v[4:5]
	s_branch .LBB497_1362
.LBB497_1361:
	s_mov_b64 s[12:13], -1
                                        ; implicit-def: $vgpr4_vgpr5
.LBB497_1362:
	v_mov_b64_e32 v[6:7], 0
.LBB497_1363:
	s_mov_b64 s[18:19], 0
.LBB497_1364:
	s_and_b64 vcc, exec, s[18:19]
	s_cbranch_vccz .LBB497_1384
; %bb.1365:
	s_cmp_lt_i32 s23, 27
	s_cbranch_scc1 .LBB497_1368
; %bb.1366:
	s_cmp_gt_i32 s23, 27
	s_cbranch_scc0 .LBB497_1369
; %bb.1367:
	global_load_dword v4, v[8:9], off
	s_mov_b64 s[16:17], 0
	s_waitcnt vmcnt(0)
	v_cvt_f64_u32_e32 v[4:5], v4
	s_branch .LBB497_1370
.LBB497_1368:
	s_mov_b64 s[16:17], -1
                                        ; implicit-def: $vgpr4_vgpr5
	s_branch .LBB497_1373
.LBB497_1369:
	s_mov_b64 s[16:17], -1
                                        ; implicit-def: $vgpr4_vgpr5
.LBB497_1370:
	s_andn2_b64 vcc, exec, s[16:17]
	s_cbranch_vccnz .LBB497_1372
; %bb.1371:
	global_load_ushort v4, v[8:9], off
	s_waitcnt vmcnt(0)
	v_cvt_f64_u32_e32 v[4:5], v4
.LBB497_1372:
	s_mov_b64 s[16:17], 0
.LBB497_1373:
	s_andn2_b64 vcc, exec, s[16:17]
	s_cbranch_vccnz .LBB497_1383
; %bb.1374:
	global_load_ubyte v6, v[8:9], off
	s_movk_i32 s16, 0x7f
	s_waitcnt vmcnt(0)
	v_cmp_lt_i16_e32 vcc, s16, v6
	s_mov_b64 s[16:17], 0
	s_and_saveexec_b64 s[18:19], vcc
	s_xor_b64 s[18:19], exec, s[18:19]
	s_cbranch_execz .LBB497_1378
; %bb.1375:
	s_movk_i32 s16, 0x80
	v_cmp_eq_u16_e32 vcc, s16, v6
	s_mov_b64 s[16:17], -1
	s_and_saveexec_b64 s[20:21], vcc
; %bb.1376:
	s_xor_b64 s[16:17], exec, -1
; %bb.1377:
	s_or_b64 exec, exec, s[20:21]
	s_and_b64 s[16:17], s[16:17], exec
.LBB497_1378:
	s_or_saveexec_b64 s[18:19], s[18:19]
	v_bfrev_b32_e32 v4, 4
	v_mov_b32_e32 v5, 0x7ff80000
	s_xor_b64 exec, exec, s[18:19]
; %bb.1379:
	v_cmp_ne_u16_e32 vcc, 0, v6
	s_andn2_b64 s[16:17], s[16:17], exec
	s_and_b64 s[20:21], vcc, exec
	v_mov_b64_e32 v[4:5], 0
	s_or_b64 s[16:17], s[16:17], s[20:21]
; %bb.1380:
	s_or_b64 exec, exec, s[18:19]
	s_and_saveexec_b64 s[18:19], s[16:17]
	s_cbranch_execz .LBB497_1382
; %bb.1381:
	v_and_b32_e32 v5, 0xffff, v6
	v_lshlrev_b32_e32 v4, 24, v6
	v_and_b32_e32 v6, 7, v5
	v_ffbh_u32_e32 v10, v6
	v_min_u32_e32 v10, 32, v10
	v_subrev_u32_e32 v11, 28, v10
	v_bfe_u32 v7, v5, 3, 4
	v_lshlrev_b32_e32 v5, v11, v5
	v_sub_u32_e32 v10, 29, v10
	v_and_b32_e32 v5, 7, v5
	v_cmp_eq_u32_e32 vcc, 0, v7
	v_and_b32_e32 v4, 0x80000000, v4
	s_nop 0
	v_cndmask_b32_e32 v7, v7, v10, vcc
	v_cndmask_b32_e32 v5, v6, v5, vcc
	v_mov_b32_e32 v6, 0x3b800000
	v_lshlrev_b32_e32 v5, 20, v5
	v_lshl_add_u32 v6, v7, 23, v6
	v_or3_b32 v4, v4, v6, v5
	v_cvt_f64_f32_e32 v[4:5], v4
.LBB497_1382:
	s_or_b64 exec, exec, s[18:19]
.LBB497_1383:
	s_mov_b64 s[16:17], -1
	v_mov_b64_e32 v[6:7], 0
.LBB497_1384:
	s_branch .LBB497_1416
.LBB497_1385:
	s_cmp_gt_i32 s23, 22
	s_cbranch_scc0 .LBB497_1397
; %bb.1386:
	s_cmp_lt_i32 s23, 24
	s_cbranch_scc1 .LBB497_1398
; %bb.1387:
	s_cmp_gt_i32 s23, 24
	s_cbranch_scc0 .LBB497_1399
; %bb.1388:
	global_load_ubyte v6, v[8:9], off
	s_movk_i32 s14, 0x7f
	s_waitcnt vmcnt(0)
	v_cmp_lt_i16_e32 vcc, s14, v6
	s_mov_b64 s[14:15], 0
	s_and_saveexec_b64 s[16:17], vcc
	s_xor_b64 s[16:17], exec, s[16:17]
	s_cbranch_execz .LBB497_1392
; %bb.1389:
	s_movk_i32 s14, 0x80
	v_cmp_eq_u16_e32 vcc, s14, v6
	s_mov_b64 s[14:15], -1
	s_and_saveexec_b64 s[18:19], vcc
; %bb.1390:
	s_xor_b64 s[14:15], exec, -1
; %bb.1391:
	s_or_b64 exec, exec, s[18:19]
	s_and_b64 s[14:15], s[14:15], exec
.LBB497_1392:
	s_or_saveexec_b64 s[16:17], s[16:17]
	v_bfrev_b32_e32 v4, 4
	v_mov_b32_e32 v5, 0x7ff80000
	s_xor_b64 exec, exec, s[16:17]
; %bb.1393:
	v_cmp_ne_u16_e32 vcc, 0, v6
	s_andn2_b64 s[14:15], s[14:15], exec
	s_and_b64 s[18:19], vcc, exec
	v_mov_b64_e32 v[4:5], 0
	s_or_b64 s[14:15], s[14:15], s[18:19]
; %bb.1394:
	s_or_b64 exec, exec, s[16:17]
	s_and_saveexec_b64 s[16:17], s[14:15]
	s_cbranch_execz .LBB497_1396
; %bb.1395:
	v_and_b32_e32 v5, 0xffff, v6
	v_lshlrev_b32_e32 v4, 24, v6
	v_and_b32_e32 v6, 3, v5
	v_ffbh_u32_e32 v10, v6
	v_min_u32_e32 v10, 32, v10
	v_subrev_u32_e32 v11, 29, v10
	v_bfe_u32 v7, v5, 2, 5
	v_lshlrev_b32_e32 v5, v11, v5
	v_sub_u32_e32 v10, 30, v10
	v_and_b32_e32 v5, 3, v5
	v_cmp_eq_u32_e32 vcc, 0, v7
	v_and_b32_e32 v4, 0x80000000, v4
	s_nop 0
	v_cndmask_b32_e32 v7, v7, v10, vcc
	v_cndmask_b32_e32 v5, v6, v5, vcc
	v_mov_b32_e32 v6, 0x37800000
	v_lshlrev_b32_e32 v5, 21, v5
	v_lshl_add_u32 v6, v7, 23, v6
	v_or3_b32 v4, v4, v6, v5
	v_cvt_f64_f32_e32 v[4:5], v4
.LBB497_1396:
	s_or_b64 exec, exec, s[16:17]
	s_mov_b64 s[14:15], 0
	s_branch .LBB497_1400
.LBB497_1397:
	s_mov_b64 s[14:15], -1
                                        ; implicit-def: $vgpr4_vgpr5
	s_branch .LBB497_1406
.LBB497_1398:
	s_mov_b64 s[14:15], -1
                                        ; implicit-def: $vgpr4_vgpr5
	s_branch .LBB497_1403
.LBB497_1399:
	s_mov_b64 s[14:15], -1
                                        ; implicit-def: $vgpr4_vgpr5
.LBB497_1400:
	s_and_b64 vcc, exec, s[14:15]
	s_cbranch_vccz .LBB497_1402
; %bb.1401:
	global_load_ubyte v4, v[8:9], off
	s_mov_b32 s14, 0x7f800000
	s_waitcnt vmcnt(0)
	v_lshlrev_b32_e32 v4, 24, v4
	v_and_b32_e32 v5, 0x7f000000, v4
	v_ffbh_u32_e32 v6, v5
	v_min_u32_e32 v6, 32, v6
	v_sub_u32_e64 v6, v6, 4 clamp
	v_lshlrev_b32_e32 v10, v6, v5
	v_lshlrev_b32_e32 v6, 23, v6
	v_lshrrev_b32_e32 v10, 4, v10
	v_add_u32_e32 v7, 0x1000000, v5
	v_sub_u32_e32 v6, v10, v6
	v_ashrrev_i32_e32 v7, 8, v7
	v_add_u32_e32 v6, 0x3c000000, v6
	v_and_or_b32 v6, v7, s14, v6
	v_cmp_ne_u32_e32 vcc, 0, v5
	s_brev_b32 s14, 1
	s_nop 0
	v_cndmask_b32_e32 v5, 0, v6, vcc
	v_and_or_b32 v4, v4, s14, v5
	v_cvt_f64_f32_e32 v[4:5], v4
.LBB497_1402:
	s_mov_b64 s[14:15], 0
.LBB497_1403:
	s_andn2_b64 vcc, exec, s[14:15]
	s_cbranch_vccnz .LBB497_1405
; %bb.1404:
	global_load_ubyte v4, v[8:9], off
	s_movk_i32 s14, 0x7f00
	s_brev_b32 s15, 16
	s_waitcnt vmcnt(0)
	v_lshlrev_b16_e32 v5, 8, v4
	v_lshlrev_b32_e32 v4, 25, v4
	v_lshrrev_b32_e32 v6, 4, v4
	v_and_or_b32 v7, v5, s14, 0.5
	v_or_b32_e32 v6, 0x70000000, v6
	v_add_f32_e32 v7, -0.5, v7
	v_mul_f32_e32 v6, 0x7800000, v6
	v_cmp_gt_u32_e32 vcc, s15, v4
	v_bfe_i32 v5, v5, 0, 16
	s_brev_b32 s14, 1
	v_cndmask_b32_e32 v4, v6, v7, vcc
	v_and_or_b32 v4, v5, s14, v4
	v_cvt_f64_f32_e32 v[4:5], v4
.LBB497_1405:
	s_mov_b64 s[14:15], 0
	s_mov_b64 s[16:17], -1
.LBB497_1406:
	s_andn2_b64 vcc, exec, s[14:15]
	s_mov_b64 s[14:15], 0
	s_cbranch_vccnz .LBB497_1415
; %bb.1407:
	s_cmp_gt_i32 s23, 14
	s_cbranch_scc0 .LBB497_1410
; %bb.1408:
	s_cmp_eq_u32 s23, 15
	s_cbranch_scc0 .LBB497_1411
; %bb.1409:
	global_load_ushort v4, v[8:9], off
	s_mov_b64 s[12:13], 0
	s_mov_b64 s[16:17], -1
	s_waitcnt vmcnt(0)
	v_lshlrev_b32_e32 v4, 16, v4
	v_cvt_f64_f32_e32 v[4:5], v4
	s_branch .LBB497_1412
.LBB497_1410:
	s_mov_b64 s[18:19], -1
                                        ; implicit-def: $vgpr4_vgpr5
	s_branch .LBB497_1413
.LBB497_1411:
	s_mov_b64 s[12:13], -1
                                        ; implicit-def: $vgpr4_vgpr5
.LBB497_1412:
	s_mov_b64 s[18:19], 0
.LBB497_1413:
	s_and_b64 vcc, exec, s[18:19]
	s_cbranch_vccz .LBB497_1415
; %bb.1414:
	s_cmp_lg_u32 s23, 11
	s_mov_b64 s[14:15], -1
	s_cselect_b64 s[12:13], -1, 0
.LBB497_1415:
	v_mov_b64_e32 v[6:7], 0
.LBB497_1416:
	s_and_b64 vcc, exec, s[12:13]
	s_cbranch_vccnz .LBB497_1501
; %bb.1417:
	s_andn2_b64 vcc, exec, s[14:15]
	s_cbranch_vccnz .LBB497_1419
.LBB497_1418:
	global_load_ubyte v5, v[8:9], off
	v_mov_b32_e32 v6, 0x3ff00000
	v_mov_b32_e32 v4, 0
	s_mov_b64 s[16:17], -1
	s_waitcnt vmcnt(0)
	v_cmp_ne_u16_e32 vcc, 0, v5
	s_nop 1
	v_cndmask_b32_e32 v5, 0, v6, vcc
	v_mov_b64_e32 v[6:7], 0
.LBB497_1419:
	s_branch .LBB497_1343
.LBB497_1420:
	s_and_b32 s14, 0xffff, s22
	s_cmp_lt_i32 s14, 5
	s_cbranch_scc1 .LBB497_1425
; %bb.1421:
	s_cmp_lt_i32 s14, 8
	s_cbranch_scc1 .LBB497_1427
; %bb.1422:
	;; [unrolled: 3-line block ×3, first 2 shown]
	s_cmp_gt_i32 s14, 9
	s_cbranch_scc0 .LBB497_1429
; %bb.1424:
	global_load_dwordx4 v[4:7], v[8:9], off
	s_mov_b64 s[12:13], 0
	s_branch .LBB497_1430
.LBB497_1425:
                                        ; implicit-def: $vgpr6_vgpr7
	s_branch .LBB497_1449
.LBB497_1426:
	s_branch .LBB497_1469
.LBB497_1427:
	s_mov_b64 s[12:13], -1
                                        ; implicit-def: $vgpr6_vgpr7
	s_branch .LBB497_1436
.LBB497_1428:
	s_mov_b64 s[12:13], -1
                                        ; implicit-def: $vgpr6_vgpr7
	s_branch .LBB497_1433
.LBB497_1429:
	s_mov_b64 s[12:13], -1
                                        ; implicit-def: $vgpr6_vgpr7
.LBB497_1430:
	s_andn2_b64 vcc, exec, s[12:13]
	s_cbranch_vccnz .LBB497_1432
; %bb.1431:
	global_load_dwordx2 v[6:7], v[8:9], off
	s_waitcnt vmcnt(0)
	v_cvt_f64_f32_e32 v[4:5], v6
	v_cvt_f64_f32_e32 v[6:7], v7
.LBB497_1432:
	s_mov_b64 s[12:13], 0
.LBB497_1433:
	s_andn2_b64 vcc, exec, s[12:13]
	s_cbranch_vccnz .LBB497_1435
; %bb.1434:
	global_load_dword v4, v[8:9], off
	s_waitcnt vmcnt(0)
	v_cvt_f32_f16_e32 v5, v4
	v_cvt_f32_f16_sdwa v6, v4 dst_sel:DWORD dst_unused:UNUSED_PAD src0_sel:WORD_1
	v_cvt_f64_f32_e32 v[4:5], v5
	v_cvt_f64_f32_e32 v[6:7], v6
.LBB497_1435:
	s_mov_b64 s[12:13], 0
.LBB497_1436:
	s_andn2_b64 vcc, exec, s[12:13]
	s_cbranch_vccnz .LBB497_1448
; %bb.1437:
	s_cmp_lt_i32 s14, 6
	s_cbranch_scc1 .LBB497_1440
; %bb.1438:
	s_cmp_gt_i32 s14, 6
	s_cbranch_scc0 .LBB497_1441
; %bb.1439:
	global_load_dwordx2 v[4:5], v[8:9], off
	s_mov_b64 s[12:13], 0
	s_branch .LBB497_1442
.LBB497_1440:
	s_mov_b64 s[12:13], -1
                                        ; implicit-def: $vgpr4_vgpr5
	s_branch .LBB497_1445
.LBB497_1441:
	s_mov_b64 s[12:13], -1
                                        ; implicit-def: $vgpr4_vgpr5
.LBB497_1442:
	s_andn2_b64 vcc, exec, s[12:13]
	s_cbranch_vccnz .LBB497_1444
; %bb.1443:
	global_load_dword v4, v[8:9], off
	s_waitcnt vmcnt(0)
	v_cvt_f64_f32_e32 v[4:5], v4
.LBB497_1444:
	s_mov_b64 s[12:13], 0
.LBB497_1445:
	s_andn2_b64 vcc, exec, s[12:13]
	s_cbranch_vccnz .LBB497_1447
; %bb.1446:
	global_load_ushort v4, v[8:9], off
	s_waitcnt vmcnt(0)
	v_cvt_f32_f16_e32 v4, v4
	v_cvt_f64_f32_e32 v[4:5], v4
.LBB497_1447:
	s_waitcnt vmcnt(0)
	v_mov_b64_e32 v[6:7], 0
.LBB497_1448:
	s_cbranch_execnz .LBB497_1426
.LBB497_1449:
	s_cmp_lt_i32 s14, 2
	s_cbranch_scc1 .LBB497_1453
; %bb.1450:
	s_cmp_lt_i32 s14, 3
	s_cbranch_scc1 .LBB497_1454
; %bb.1451:
	s_cmp_gt_i32 s14, 3
	s_cbranch_scc0 .LBB497_1455
; %bb.1452:
	global_load_dwordx2 v[4:5], v[8:9], off
	s_mov_b64 s[12:13], 0
	s_waitcnt vmcnt(0)
	v_cvt_f64_i32_e32 v[6:7], v5
	v_cvt_f64_u32_e32 v[4:5], v4
	v_ldexp_f64 v[6:7], v[6:7], 32
	v_add_f64 v[4:5], v[6:7], v[4:5]
	s_branch .LBB497_1456
.LBB497_1453:
	s_mov_b64 s[12:13], -1
                                        ; implicit-def: $vgpr4_vgpr5
	s_branch .LBB497_1462
.LBB497_1454:
	s_mov_b64 s[12:13], -1
                                        ; implicit-def: $vgpr4_vgpr5
	s_branch .LBB497_1459
.LBB497_1455:
	s_mov_b64 s[12:13], -1
                                        ; implicit-def: $vgpr4_vgpr5
.LBB497_1456:
	s_andn2_b64 vcc, exec, s[12:13]
	s_cbranch_vccnz .LBB497_1458
; %bb.1457:
	global_load_dword v4, v[8:9], off
	s_waitcnt vmcnt(0)
	v_cvt_f64_i32_e32 v[4:5], v4
.LBB497_1458:
	s_mov_b64 s[12:13], 0
.LBB497_1459:
	s_andn2_b64 vcc, exec, s[12:13]
	s_cbranch_vccnz .LBB497_1461
; %bb.1460:
	global_load_sshort v4, v[8:9], off
	s_waitcnt vmcnt(0)
	v_cvt_f64_i32_e32 v[4:5], v4
.LBB497_1461:
	s_mov_b64 s[12:13], 0
.LBB497_1462:
	s_andn2_b64 vcc, exec, s[12:13]
	s_cbranch_vccnz .LBB497_1468
; %bb.1463:
	s_cmp_gt_i32 s14, 0
	s_cbranch_scc0 .LBB497_1465
; %bb.1464:
	global_load_sbyte v4, v[8:9], off
	s_mov_b64 s[12:13], 0
	s_waitcnt vmcnt(0)
	v_cvt_f64_i32_e32 v[4:5], v4
	s_branch .LBB497_1466
.LBB497_1465:
	s_mov_b64 s[12:13], -1
                                        ; implicit-def: $vgpr4_vgpr5
.LBB497_1466:
	s_andn2_b64 vcc, exec, s[12:13]
	s_cbranch_vccnz .LBB497_1468
; %bb.1467:
	global_load_ubyte v4, v[8:9], off
	s_waitcnt vmcnt(0)
	v_cvt_f64_u32_e32 v[4:5], v4
.LBB497_1468:
	s_waitcnt vmcnt(0)
	v_mov_b64_e32 v[6:7], 0
.LBB497_1469:
	s_waitcnt vmcnt(0)
	v_cmp_o_f64_e32 vcc, v[4:5], v[4:5]
	v_mov_b64_e32 v[8:9], s[0:1]
	s_and_saveexec_b64 s[12:13], vcc
	s_cbranch_execz .LBB497_1473
; %bb.1470:
	s_mov_b32 s14, 0
	s_mov_b32 s15, 0x7ff00000
	v_cmp_neq_f64_e32 vcc, s[14:15], v[4:5]
	v_mov_b64_e32 v[8:9], s[2:3]
	s_and_saveexec_b64 s[14:15], vcc
; %bb.1471:
	s_mov_b32 s16, 0
	s_mov_b32 s17, 0xfff00000
	v_mov_b32_e32 v8, s11
	v_cmp_eq_f64_e32 vcc, s[16:17], v[4:5]
	s_nop 1
	v_cndmask_b32_e32 v9, v5, v8, vcc
	v_mov_b32_e32 v5, s10
	v_cndmask_b32_e32 v8, v4, v5, vcc
; %bb.1472:
	s_or_b64 exec, exec, s[14:15]
.LBB497_1473:
	s_or_b64 exec, exec, s[12:13]
	v_cmp_o_f64_e32 vcc, v[6:7], v[6:7]
	v_mov_b64_e32 v[10:11], s[0:1]
	s_and_saveexec_b64 s[12:13], vcc
	s_cbranch_execz .LBB497_1477
; %bb.1474:
	s_mov_b32 s14, 0
	s_mov_b32 s15, 0x7ff00000
	v_cmp_neq_f64_e32 vcc, s[14:15], v[6:7]
	v_mov_b64_e32 v[10:11], s[2:3]
	s_and_saveexec_b64 s[14:15], vcc
; %bb.1475:
	s_mov_b32 s16, 0
	s_mov_b32 s17, 0xfff00000
	v_mov_b32_e32 v4, s11
	v_cmp_eq_f64_e32 vcc, s[16:17], v[6:7]
	s_nop 1
	v_cndmask_b32_e32 v11, v7, v4, vcc
	v_mov_b32_e32 v4, s10
	v_cndmask_b32_e32 v10, v6, v4, vcc
; %bb.1476:
	s_or_b64 exec, exec, s[14:15]
.LBB497_1477:
	s_or_b64 exec, exec, s[12:13]
	v_mov_b32_e32 v13, 0
	s_cmp_lt_i32 s22, 11
	v_lshl_add_u64 v[12:13], s[6:7], 0, v[12:13]
	s_cbranch_scc1 .LBB497_1484
; %bb.1478:
	s_and_b32 s23, 0xffff, s22
	s_cmp_gt_i32 s23, 25
	s_mov_b64 s[14:15], 0
	s_cbranch_scc0 .LBB497_1486
; %bb.1479:
	s_cmp_gt_i32 s23, 28
	s_cbranch_scc0 .LBB497_1497
; %bb.1480:
	s_cmp_gt_i32 s23, 43
	;; [unrolled: 3-line block ×3, first 2 shown]
	s_cbranch_scc0 .LBB497_1502
; %bb.1482:
	s_cmp_eq_u32 s23, 46
	s_mov_b64 s[18:19], 0
	s_cbranch_scc0 .LBB497_1564
; %bb.1483:
	global_load_dword v4, v[12:13], off
	s_mov_b64 s[12:13], 0
	s_mov_b64 s[16:17], -1
	s_waitcnt vmcnt(0)
	v_and_b32_e32 v6, 0xffff0000, v4
	v_lshlrev_b32_e32 v4, 16, v4
	v_cvt_f64_f32_e32 v[4:5], v4
	v_cvt_f64_f32_e32 v[6:7], v6
	s_branch .LBB497_1565
.LBB497_1484:
	s_mov_b64 s[16:17], 0
                                        ; implicit-def: $vgpr6_vgpr7
	s_cbranch_execnz .LBB497_1491
.LBB497_1485:
	s_andn2_b64 vcc, exec, s[16:17]
	s_cbranch_vccnz .LBB497_1840
	s_branch .LBB497_1545
.LBB497_1486:
	s_mov_b64 s[16:17], 0
	s_mov_b64 s[12:13], 0
                                        ; implicit-def: $vgpr6_vgpr7
	s_cbranch_execnz .LBB497_1599
.LBB497_1487:
	s_and_b64 vcc, exec, s[12:13]
	s_cbranch_vccnz .LBB497_1630
.LBB497_1488:
	s_andn2_b64 vcc, exec, s[14:15]
	s_cbranch_vccnz .LBB497_1490
.LBB497_1489:
	global_load_ubyte v5, v[12:13], off
	v_mov_b32_e32 v6, 0x3ff00000
	v_mov_b32_e32 v4, 0
	s_mov_b64 s[16:17], -1
	s_waitcnt vmcnt(0)
	v_cmp_ne_u16_e32 vcc, 0, v5
	s_nop 1
	v_cndmask_b32_e32 v5, 0, v6, vcc
	v_mov_b64_e32 v[6:7], 0
.LBB497_1490:
	s_branch .LBB497_1485
.LBB497_1491:
	s_and_b32 s14, 0xffff, s22
	s_cmp_lt_i32 s14, 5
	s_cbranch_scc1 .LBB497_1496
; %bb.1492:
	s_cmp_lt_i32 s14, 8
	s_cbranch_scc1 .LBB497_1498
; %bb.1493:
	;; [unrolled: 3-line block ×3, first 2 shown]
	s_cmp_gt_i32 s14, 9
	s_cbranch_scc0 .LBB497_1503
; %bb.1495:
	global_load_dwordx4 v[4:7], v[12:13], off
	s_mov_b64 s[12:13], 0
	s_branch .LBB497_1504
.LBB497_1496:
	s_mov_b64 s[12:13], -1
                                        ; implicit-def: $vgpr6_vgpr7
	s_branch .LBB497_1523
.LBB497_1497:
	s_mov_b64 s[18:19], -1
	s_mov_b64 s[16:17], 0
	s_mov_b64 s[12:13], 0
                                        ; implicit-def: $vgpr6_vgpr7
	s_branch .LBB497_1578
.LBB497_1498:
	s_mov_b64 s[12:13], -1
                                        ; implicit-def: $vgpr6_vgpr7
	s_branch .LBB497_1510
.LBB497_1499:
	s_mov_b64 s[18:19], -1
	s_mov_b64 s[16:17], 0
	s_mov_b64 s[12:13], 0
                                        ; implicit-def: $vgpr6_vgpr7
	s_branch .LBB497_1572
.LBB497_1500:
	s_mov_b64 s[12:13], -1
                                        ; implicit-def: $vgpr6_vgpr7
	s_branch .LBB497_1507
.LBB497_1501:
	s_trap 2
	s_or_b64 s[8:9], s[8:9], exec
	s_cbranch_execz .LBB497_1418
	s_branch .LBB497_1419
.LBB497_1502:
	s_mov_b64 s[18:19], -1
	s_mov_b64 s[16:17], 0
	s_mov_b64 s[12:13], 0
                                        ; implicit-def: $vgpr6_vgpr7
	s_branch .LBB497_1565
.LBB497_1503:
	s_mov_b64 s[12:13], -1
                                        ; implicit-def: $vgpr6_vgpr7
.LBB497_1504:
	s_andn2_b64 vcc, exec, s[12:13]
	s_cbranch_vccnz .LBB497_1506
; %bb.1505:
	global_load_dwordx2 v[6:7], v[12:13], off
	s_waitcnt vmcnt(0)
	v_cvt_f64_f32_e32 v[4:5], v6
	v_cvt_f64_f32_e32 v[6:7], v7
.LBB497_1506:
	s_mov_b64 s[12:13], 0
.LBB497_1507:
	s_andn2_b64 vcc, exec, s[12:13]
	s_cbranch_vccnz .LBB497_1509
; %bb.1508:
	global_load_dword v4, v[12:13], off
	s_waitcnt vmcnt(0)
	v_cvt_f32_f16_e32 v5, v4
	v_cvt_f32_f16_sdwa v6, v4 dst_sel:DWORD dst_unused:UNUSED_PAD src0_sel:WORD_1
	v_cvt_f64_f32_e32 v[4:5], v5
	v_cvt_f64_f32_e32 v[6:7], v6
.LBB497_1509:
	s_mov_b64 s[12:13], 0
.LBB497_1510:
	s_andn2_b64 vcc, exec, s[12:13]
	s_cbranch_vccnz .LBB497_1522
; %bb.1511:
	s_cmp_lt_i32 s14, 6
	s_cbranch_scc1 .LBB497_1514
; %bb.1512:
	s_cmp_gt_i32 s14, 6
	s_cbranch_scc0 .LBB497_1515
; %bb.1513:
	global_load_dwordx2 v[4:5], v[12:13], off
	s_mov_b64 s[12:13], 0
	s_branch .LBB497_1516
.LBB497_1514:
	s_mov_b64 s[12:13], -1
                                        ; implicit-def: $vgpr4_vgpr5
	s_branch .LBB497_1519
.LBB497_1515:
	s_mov_b64 s[12:13], -1
                                        ; implicit-def: $vgpr4_vgpr5
.LBB497_1516:
	s_andn2_b64 vcc, exec, s[12:13]
	s_cbranch_vccnz .LBB497_1518
; %bb.1517:
	global_load_dword v4, v[12:13], off
	s_waitcnt vmcnt(0)
	v_cvt_f64_f32_e32 v[4:5], v4
.LBB497_1518:
	s_mov_b64 s[12:13], 0
.LBB497_1519:
	s_andn2_b64 vcc, exec, s[12:13]
	s_cbranch_vccnz .LBB497_1521
; %bb.1520:
	global_load_ushort v4, v[12:13], off
	s_waitcnt vmcnt(0)
	v_cvt_f32_f16_e32 v4, v4
	v_cvt_f64_f32_e32 v[4:5], v4
.LBB497_1521:
	s_waitcnt vmcnt(0)
	v_mov_b64_e32 v[6:7], 0
.LBB497_1522:
	s_mov_b64 s[12:13], 0
.LBB497_1523:
	s_andn2_b64 vcc, exec, s[12:13]
	s_cbranch_vccnz .LBB497_1544
; %bb.1524:
	s_cmp_lt_i32 s14, 2
	s_cbranch_scc1 .LBB497_1528
; %bb.1525:
	s_cmp_lt_i32 s14, 3
	s_cbranch_scc1 .LBB497_1529
; %bb.1526:
	s_cmp_gt_i32 s14, 3
	s_cbranch_scc0 .LBB497_1530
; %bb.1527:
	global_load_dwordx2 v[4:5], v[12:13], off
	s_mov_b64 s[12:13], 0
	s_waitcnt vmcnt(0)
	v_cvt_f64_i32_e32 v[6:7], v5
	v_cvt_f64_u32_e32 v[4:5], v4
	v_ldexp_f64 v[6:7], v[6:7], 32
	v_add_f64 v[4:5], v[6:7], v[4:5]
	s_branch .LBB497_1531
.LBB497_1528:
	s_mov_b64 s[12:13], -1
                                        ; implicit-def: $vgpr4_vgpr5
	s_branch .LBB497_1537
.LBB497_1529:
	s_mov_b64 s[12:13], -1
                                        ; implicit-def: $vgpr4_vgpr5
	s_branch .LBB497_1534
.LBB497_1530:
	s_mov_b64 s[12:13], -1
                                        ; implicit-def: $vgpr4_vgpr5
.LBB497_1531:
	s_andn2_b64 vcc, exec, s[12:13]
	s_cbranch_vccnz .LBB497_1533
; %bb.1532:
	global_load_dword v4, v[12:13], off
	s_waitcnt vmcnt(0)
	v_cvt_f64_i32_e32 v[4:5], v4
.LBB497_1533:
	s_mov_b64 s[12:13], 0
.LBB497_1534:
	s_andn2_b64 vcc, exec, s[12:13]
	s_cbranch_vccnz .LBB497_1536
; %bb.1535:
	global_load_sshort v4, v[12:13], off
	s_waitcnt vmcnt(0)
	v_cvt_f64_i32_e32 v[4:5], v4
.LBB497_1536:
	s_mov_b64 s[12:13], 0
.LBB497_1537:
	s_andn2_b64 vcc, exec, s[12:13]
	s_cbranch_vccnz .LBB497_1543
; %bb.1538:
	s_cmp_gt_i32 s14, 0
	s_cbranch_scc0 .LBB497_1540
; %bb.1539:
	global_load_sbyte v4, v[12:13], off
	s_mov_b64 s[12:13], 0
	s_waitcnt vmcnt(0)
	v_cvt_f64_i32_e32 v[4:5], v4
	s_branch .LBB497_1541
.LBB497_1540:
	s_mov_b64 s[12:13], -1
                                        ; implicit-def: $vgpr4_vgpr5
.LBB497_1541:
	s_andn2_b64 vcc, exec, s[12:13]
	s_cbranch_vccnz .LBB497_1543
; %bb.1542:
	global_load_ubyte v4, v[12:13], off
	s_waitcnt vmcnt(0)
	v_cvt_f64_u32_e32 v[4:5], v4
.LBB497_1543:
	s_waitcnt vmcnt(0)
	v_mov_b64_e32 v[6:7], 0
.LBB497_1544:
.LBB497_1545:
	s_waitcnt vmcnt(0)
	v_cmp_o_f64_e32 vcc, v[4:5], v[4:5]
	v_mov_b64_e32 v[12:13], s[0:1]
	s_and_saveexec_b64 s[12:13], vcc
	s_cbranch_execz .LBB497_1549
; %bb.1546:
	s_mov_b32 s14, 0
	s_mov_b32 s15, 0x7ff00000
	v_cmp_neq_f64_e32 vcc, s[14:15], v[4:5]
	v_mov_b64_e32 v[12:13], s[2:3]
	s_and_saveexec_b64 s[14:15], vcc
; %bb.1547:
	s_mov_b32 s16, 0
	s_mov_b32 s17, 0xfff00000
	v_mov_b32_e32 v12, s11
	v_cmp_eq_f64_e32 vcc, s[16:17], v[4:5]
	s_nop 1
	v_cndmask_b32_e32 v13, v5, v12, vcc
	v_mov_b32_e32 v5, s10
	v_cndmask_b32_e32 v12, v4, v5, vcc
; %bb.1548:
	s_or_b64 exec, exec, s[14:15]
.LBB497_1549:
	s_or_b64 exec, exec, s[12:13]
	v_cmp_o_f64_e32 vcc, v[6:7], v[6:7]
	v_mov_b64_e32 v[14:15], s[0:1]
	s_and_saveexec_b64 s[12:13], vcc
	s_cbranch_execz .LBB497_1553
; %bb.1550:
	s_mov_b32 s14, 0
	s_mov_b32 s15, 0x7ff00000
	v_cmp_neq_f64_e32 vcc, s[14:15], v[6:7]
	v_mov_b64_e32 v[14:15], s[2:3]
	s_and_saveexec_b64 s[14:15], vcc
; %bb.1551:
	s_mov_b32 s16, 0
	s_mov_b32 s17, 0xfff00000
	v_mov_b32_e32 v4, s11
	v_cmp_eq_f64_e32 vcc, s[16:17], v[6:7]
	s_nop 1
	v_cndmask_b32_e32 v15, v7, v4, vcc
	v_mov_b32_e32 v4, s10
	v_cndmask_b32_e32 v14, v6, v4, vcc
; %bb.1552:
	s_or_b64 exec, exec, s[14:15]
.LBB497_1553:
	s_or_b64 exec, exec, s[12:13]
	v_mov_b32_e32 v17, 0
	s_cmp_lt_i32 s22, 11
	v_lshl_add_u64 v[4:5], s[6:7], 0, v[16:17]
	s_cbranch_scc1 .LBB497_1560
; %bb.1554:
	s_and_b32 s20, 0xffff, s22
	s_cmp_gt_i32 s20, 25
	s_mov_b64 s[12:13], 0
	s_cbranch_scc0 .LBB497_1561
; %bb.1555:
	s_cmp_gt_i32 s20, 28
	s_cbranch_scc0 .LBB497_1562
; %bb.1556:
	s_cmp_gt_i32 s20, 43
	;; [unrolled: 3-line block ×3, first 2 shown]
	s_cbranch_scc0 .LBB497_1568
; %bb.1558:
	s_cmp_eq_u32 s20, 46
	s_mov_b64 s[16:17], 0
	s_cbranch_scc0 .LBB497_1631
; %bb.1559:
	global_load_dword v6, v[4:5], off
	s_mov_b64 s[6:7], 0
	s_mov_b64 s[14:15], -1
	s_waitcnt vmcnt(0)
	v_and_b32_e32 v7, 0xffff0000, v6
	v_lshlrev_b32_e32 v6, 16, v6
	v_cvt_f64_f32_e32 v[16:17], v6
	v_cvt_f64_f32_e32 v[18:19], v7
	s_branch .LBB497_1632
.LBB497_1560:
	s_mov_b64 s[6:7], -1
	s_mov_b64 s[14:15], 0
                                        ; implicit-def: $vgpr18_vgpr19
	s_branch .LBB497_1682
.LBB497_1561:
	s_mov_b64 s[16:17], -1
	s_mov_b64 s[14:15], 0
	s_mov_b64 s[6:7], 0
                                        ; implicit-def: $vgpr18_vgpr19
	s_branch .LBB497_1665
.LBB497_1562:
	s_mov_b64 s[16:17], -1
	s_mov_b64 s[14:15], 0
	s_mov_b64 s[6:7], 0
                                        ; implicit-def: $vgpr18_vgpr19
	s_branch .LBB497_1644
.LBB497_1563:
	s_mov_b64 s[16:17], -1
	s_mov_b64 s[14:15], 0
	s_mov_b64 s[6:7], 0
                                        ; implicit-def: $vgpr18_vgpr19
	s_branch .LBB497_1638
.LBB497_1564:
	s_mov_b64 s[12:13], -1
                                        ; implicit-def: $vgpr6_vgpr7
	s_mov_b64 s[16:17], 0
.LBB497_1565:
	s_and_b64 vcc, exec, s[18:19]
	s_cbranch_vccz .LBB497_1571
; %bb.1566:
	s_cmp_eq_u32 s23, 44
	s_cbranch_scc0 .LBB497_1569
; %bb.1567:
	global_load_ubyte v6, v[12:13], off
	s_movk_i32 s16, 0xff
	v_bfrev_b32_e32 v7, 4
	v_mov_b32_e32 v14, 0x7ff80000
	v_bfrev_b32_e32 v15, 28
	s_mov_b64 s[12:13], 0
	s_waitcnt vmcnt(0)
	v_lshlrev_b32_e32 v4, 23, v6
	v_cvt_f64_f32_e32 v[4:5], v4
	v_cmp_ne_u32_e32 vcc, s16, v6
	s_mov_b64 s[16:17], -1
	s_nop 0
	v_cndmask_b32_e32 v4, v7, v4, vcc
	v_cndmask_b32_e32 v5, v14, v5, vcc
	v_cmp_ne_u32_e32 vcc, 0, v6
	s_nop 1
	v_cndmask_b32_e32 v5, v15, v5, vcc
	v_cndmask_b32_e32 v4, 0, v4, vcc
	s_branch .LBB497_1570
.LBB497_1568:
	s_mov_b64 s[16:17], -1
	s_mov_b64 s[14:15], 0
	s_mov_b64 s[6:7], 0
                                        ; implicit-def: $vgpr18_vgpr19
	s_branch .LBB497_1632
.LBB497_1569:
	s_mov_b64 s[12:13], -1
                                        ; implicit-def: $vgpr4_vgpr5
.LBB497_1570:
	v_mov_b64_e32 v[6:7], 0
.LBB497_1571:
	s_mov_b64 s[18:19], 0
.LBB497_1572:
	s_and_b64 vcc, exec, s[18:19]
	s_cbranch_vccz .LBB497_1577
; %bb.1573:
	s_cmp_eq_u32 s23, 29
	s_cbranch_scc0 .LBB497_1575
; %bb.1574:
	global_load_dwordx2 v[4:5], v[12:13], off
	s_mov_b64 s[12:13], 0
	s_mov_b64 s[16:17], -1
	s_waitcnt vmcnt(0)
	v_cvt_f64_u32_e32 v[6:7], v5
	v_cvt_f64_u32_e32 v[4:5], v4
	v_ldexp_f64 v[6:7], v[6:7], 32
	v_add_f64 v[4:5], v[6:7], v[4:5]
	s_branch .LBB497_1576
.LBB497_1575:
	s_mov_b64 s[12:13], -1
                                        ; implicit-def: $vgpr4_vgpr5
.LBB497_1576:
	v_mov_b64_e32 v[6:7], 0
.LBB497_1577:
	s_mov_b64 s[18:19], 0
.LBB497_1578:
	s_and_b64 vcc, exec, s[18:19]
	s_cbranch_vccz .LBB497_1598
; %bb.1579:
	s_cmp_lt_i32 s23, 27
	s_cbranch_scc1 .LBB497_1582
; %bb.1580:
	s_cmp_gt_i32 s23, 27
	s_cbranch_scc0 .LBB497_1583
; %bb.1581:
	global_load_dword v4, v[12:13], off
	s_mov_b64 s[16:17], 0
	s_waitcnt vmcnt(0)
	v_cvt_f64_u32_e32 v[4:5], v4
	s_branch .LBB497_1584
.LBB497_1582:
	s_mov_b64 s[16:17], -1
                                        ; implicit-def: $vgpr4_vgpr5
	s_branch .LBB497_1587
.LBB497_1583:
	s_mov_b64 s[16:17], -1
                                        ; implicit-def: $vgpr4_vgpr5
.LBB497_1584:
	s_andn2_b64 vcc, exec, s[16:17]
	s_cbranch_vccnz .LBB497_1586
; %bb.1585:
	global_load_ushort v4, v[12:13], off
	s_waitcnt vmcnt(0)
	v_cvt_f64_u32_e32 v[4:5], v4
.LBB497_1586:
	s_mov_b64 s[16:17], 0
.LBB497_1587:
	s_andn2_b64 vcc, exec, s[16:17]
	s_cbranch_vccnz .LBB497_1597
; %bb.1588:
	global_load_ubyte v6, v[12:13], off
	s_movk_i32 s16, 0x7f
	s_waitcnt vmcnt(0)
	v_cmp_lt_i16_e32 vcc, s16, v6
	s_mov_b64 s[16:17], 0
	s_and_saveexec_b64 s[18:19], vcc
	s_xor_b64 s[18:19], exec, s[18:19]
	s_cbranch_execz .LBB497_1592
; %bb.1589:
	s_movk_i32 s16, 0x80
	v_cmp_eq_u16_e32 vcc, s16, v6
	s_mov_b64 s[16:17], -1
	s_and_saveexec_b64 s[20:21], vcc
; %bb.1590:
	s_xor_b64 s[16:17], exec, -1
; %bb.1591:
	s_or_b64 exec, exec, s[20:21]
	s_and_b64 s[16:17], s[16:17], exec
.LBB497_1592:
	s_or_saveexec_b64 s[18:19], s[18:19]
	v_bfrev_b32_e32 v4, 4
	v_mov_b32_e32 v5, 0x7ff80000
	s_xor_b64 exec, exec, s[18:19]
; %bb.1593:
	v_cmp_ne_u16_e32 vcc, 0, v6
	s_andn2_b64 s[16:17], s[16:17], exec
	s_and_b64 s[20:21], vcc, exec
	v_mov_b64_e32 v[4:5], 0
	s_or_b64 s[16:17], s[16:17], s[20:21]
; %bb.1594:
	s_or_b64 exec, exec, s[18:19]
	s_and_saveexec_b64 s[18:19], s[16:17]
	s_cbranch_execz .LBB497_1596
; %bb.1595:
	v_and_b32_e32 v5, 0xffff, v6
	v_lshlrev_b32_e32 v4, 24, v6
	v_and_b32_e32 v6, 7, v5
	v_ffbh_u32_e32 v14, v6
	v_min_u32_e32 v14, 32, v14
	v_subrev_u32_e32 v15, 28, v14
	v_bfe_u32 v7, v5, 3, 4
	v_lshlrev_b32_e32 v5, v15, v5
	v_sub_u32_e32 v14, 29, v14
	v_and_b32_e32 v5, 7, v5
	v_cmp_eq_u32_e32 vcc, 0, v7
	v_and_b32_e32 v4, 0x80000000, v4
	s_nop 0
	v_cndmask_b32_e32 v7, v7, v14, vcc
	v_cndmask_b32_e32 v5, v6, v5, vcc
	v_mov_b32_e32 v6, 0x3b800000
	v_lshlrev_b32_e32 v5, 20, v5
	v_lshl_add_u32 v6, v7, 23, v6
	v_or3_b32 v4, v4, v6, v5
	v_cvt_f64_f32_e32 v[4:5], v4
.LBB497_1596:
	s_or_b64 exec, exec, s[18:19]
.LBB497_1597:
	s_mov_b64 s[16:17], -1
	v_mov_b64_e32 v[6:7], 0
.LBB497_1598:
	s_branch .LBB497_1487
.LBB497_1599:
	s_cmp_gt_i32 s23, 22
	s_cbranch_scc0 .LBB497_1611
; %bb.1600:
	s_cmp_lt_i32 s23, 24
	s_cbranch_scc1 .LBB497_1612
; %bb.1601:
	s_cmp_gt_i32 s23, 24
	s_cbranch_scc0 .LBB497_1613
; %bb.1602:
	global_load_ubyte v6, v[12:13], off
	s_movk_i32 s14, 0x7f
	s_waitcnt vmcnt(0)
	v_cmp_lt_i16_e32 vcc, s14, v6
	s_mov_b64 s[14:15], 0
	s_and_saveexec_b64 s[16:17], vcc
	s_xor_b64 s[16:17], exec, s[16:17]
	s_cbranch_execz .LBB497_1606
; %bb.1603:
	s_movk_i32 s14, 0x80
	v_cmp_eq_u16_e32 vcc, s14, v6
	s_mov_b64 s[14:15], -1
	s_and_saveexec_b64 s[18:19], vcc
; %bb.1604:
	s_xor_b64 s[14:15], exec, -1
; %bb.1605:
	s_or_b64 exec, exec, s[18:19]
	s_and_b64 s[14:15], s[14:15], exec
.LBB497_1606:
	s_or_saveexec_b64 s[16:17], s[16:17]
	v_bfrev_b32_e32 v4, 4
	v_mov_b32_e32 v5, 0x7ff80000
	s_xor_b64 exec, exec, s[16:17]
; %bb.1607:
	v_cmp_ne_u16_e32 vcc, 0, v6
	s_andn2_b64 s[14:15], s[14:15], exec
	s_and_b64 s[18:19], vcc, exec
	v_mov_b64_e32 v[4:5], 0
	s_or_b64 s[14:15], s[14:15], s[18:19]
; %bb.1608:
	s_or_b64 exec, exec, s[16:17]
	s_and_saveexec_b64 s[16:17], s[14:15]
	s_cbranch_execz .LBB497_1610
; %bb.1609:
	v_and_b32_e32 v5, 0xffff, v6
	v_lshlrev_b32_e32 v4, 24, v6
	v_and_b32_e32 v6, 3, v5
	v_ffbh_u32_e32 v14, v6
	v_min_u32_e32 v14, 32, v14
	v_subrev_u32_e32 v15, 29, v14
	v_bfe_u32 v7, v5, 2, 5
	v_lshlrev_b32_e32 v5, v15, v5
	v_sub_u32_e32 v14, 30, v14
	v_and_b32_e32 v5, 3, v5
	v_cmp_eq_u32_e32 vcc, 0, v7
	v_and_b32_e32 v4, 0x80000000, v4
	s_nop 0
	v_cndmask_b32_e32 v7, v7, v14, vcc
	v_cndmask_b32_e32 v5, v6, v5, vcc
	v_mov_b32_e32 v6, 0x37800000
	v_lshlrev_b32_e32 v5, 21, v5
	v_lshl_add_u32 v6, v7, 23, v6
	v_or3_b32 v4, v4, v6, v5
	v_cvt_f64_f32_e32 v[4:5], v4
.LBB497_1610:
	s_or_b64 exec, exec, s[16:17]
	s_mov_b64 s[14:15], 0
	s_branch .LBB497_1614
.LBB497_1611:
	s_mov_b64 s[14:15], -1
                                        ; implicit-def: $vgpr4_vgpr5
	s_branch .LBB497_1620
.LBB497_1612:
	s_mov_b64 s[14:15], -1
                                        ; implicit-def: $vgpr4_vgpr5
	s_branch .LBB497_1617
.LBB497_1613:
	s_mov_b64 s[14:15], -1
                                        ; implicit-def: $vgpr4_vgpr5
.LBB497_1614:
	s_and_b64 vcc, exec, s[14:15]
	s_cbranch_vccz .LBB497_1616
; %bb.1615:
	global_load_ubyte v4, v[12:13], off
	s_mov_b32 s14, 0x7f800000
	s_waitcnt vmcnt(0)
	v_lshlrev_b32_e32 v4, 24, v4
	v_and_b32_e32 v5, 0x7f000000, v4
	v_ffbh_u32_e32 v6, v5
	v_min_u32_e32 v6, 32, v6
	v_sub_u32_e64 v6, v6, 4 clamp
	v_lshlrev_b32_e32 v14, v6, v5
	v_lshlrev_b32_e32 v6, 23, v6
	v_lshrrev_b32_e32 v14, 4, v14
	v_add_u32_e32 v7, 0x1000000, v5
	v_sub_u32_e32 v6, v14, v6
	v_ashrrev_i32_e32 v7, 8, v7
	v_add_u32_e32 v6, 0x3c000000, v6
	v_and_or_b32 v6, v7, s14, v6
	v_cmp_ne_u32_e32 vcc, 0, v5
	s_brev_b32 s14, 1
	s_nop 0
	v_cndmask_b32_e32 v5, 0, v6, vcc
	v_and_or_b32 v4, v4, s14, v5
	v_cvt_f64_f32_e32 v[4:5], v4
.LBB497_1616:
	s_mov_b64 s[14:15], 0
.LBB497_1617:
	s_andn2_b64 vcc, exec, s[14:15]
	s_cbranch_vccnz .LBB497_1619
; %bb.1618:
	global_load_ubyte v4, v[12:13], off
	s_movk_i32 s14, 0x7f00
	s_brev_b32 s15, 16
	s_waitcnt vmcnt(0)
	v_lshlrev_b16_e32 v5, 8, v4
	v_lshlrev_b32_e32 v4, 25, v4
	v_lshrrev_b32_e32 v6, 4, v4
	v_and_or_b32 v7, v5, s14, 0.5
	v_or_b32_e32 v6, 0x70000000, v6
	v_add_f32_e32 v7, -0.5, v7
	v_mul_f32_e32 v6, 0x7800000, v6
	v_cmp_gt_u32_e32 vcc, s15, v4
	v_bfe_i32 v5, v5, 0, 16
	s_brev_b32 s14, 1
	v_cndmask_b32_e32 v4, v6, v7, vcc
	v_and_or_b32 v4, v5, s14, v4
	v_cvt_f64_f32_e32 v[4:5], v4
.LBB497_1619:
	s_mov_b64 s[14:15], 0
	s_mov_b64 s[16:17], -1
.LBB497_1620:
	s_andn2_b64 vcc, exec, s[14:15]
	s_mov_b64 s[14:15], 0
	s_cbranch_vccnz .LBB497_1629
; %bb.1621:
	s_cmp_gt_i32 s23, 14
	s_cbranch_scc0 .LBB497_1624
; %bb.1622:
	s_cmp_eq_u32 s23, 15
	s_cbranch_scc0 .LBB497_1625
; %bb.1623:
	global_load_ushort v4, v[12:13], off
	s_mov_b64 s[12:13], 0
	s_mov_b64 s[16:17], -1
	s_waitcnt vmcnt(0)
	v_lshlrev_b32_e32 v4, 16, v4
	v_cvt_f64_f32_e32 v[4:5], v4
	s_branch .LBB497_1626
.LBB497_1624:
	s_mov_b64 s[18:19], -1
                                        ; implicit-def: $vgpr4_vgpr5
	s_branch .LBB497_1627
.LBB497_1625:
	s_mov_b64 s[12:13], -1
                                        ; implicit-def: $vgpr4_vgpr5
.LBB497_1626:
	s_mov_b64 s[18:19], 0
.LBB497_1627:
	s_and_b64 vcc, exec, s[18:19]
	s_cbranch_vccz .LBB497_1629
; %bb.1628:
	s_cmp_lg_u32 s23, 11
	s_mov_b64 s[14:15], -1
	s_cselect_b64 s[12:13], -1, 0
.LBB497_1629:
	v_mov_b64_e32 v[6:7], 0
	s_and_b64 vcc, exec, s[12:13]
	s_cbranch_vccz .LBB497_1488
.LBB497_1630:
	s_trap 2
	s_or_b64 s[8:9], s[8:9], exec
	s_cbranch_execz .LBB497_1489
	s_branch .LBB497_1490
.LBB497_1631:
	s_mov_b64 s[6:7], -1
                                        ; implicit-def: $vgpr18_vgpr19
	s_mov_b64 s[14:15], 0
.LBB497_1632:
	s_and_b64 vcc, exec, s[16:17]
	s_cbranch_vccz .LBB497_1637
; %bb.1633:
	s_cmp_eq_u32 s20, 44
	s_cbranch_scc0 .LBB497_1635
; %bb.1634:
	global_load_ubyte v16, v[4:5], off
	s_movk_i32 s14, 0xff
	v_bfrev_b32_e32 v17, 4
	v_mov_b32_e32 v18, 0x7ff80000
	v_bfrev_b32_e32 v19, 28
	s_mov_b64 s[6:7], 0
	s_waitcnt vmcnt(0)
	v_lshlrev_b32_e32 v6, 23, v16
	v_cvt_f64_f32_e32 v[6:7], v6
	v_cmp_ne_u32_e32 vcc, s14, v16
	s_mov_b64 s[14:15], -1
	s_nop 0
	v_cndmask_b32_e32 v6, v17, v6, vcc
	v_cndmask_b32_e32 v7, v18, v7, vcc
	v_cmp_ne_u32_e32 vcc, 0, v16
	s_nop 1
	v_cndmask_b32_e32 v17, v19, v7, vcc
	v_cndmask_b32_e32 v16, 0, v6, vcc
	s_branch .LBB497_1636
.LBB497_1635:
	s_mov_b64 s[6:7], -1
                                        ; implicit-def: $vgpr16_vgpr17
.LBB497_1636:
	v_mov_b64_e32 v[18:19], 0
.LBB497_1637:
	s_mov_b64 s[16:17], 0
.LBB497_1638:
	s_and_b64 vcc, exec, s[16:17]
	s_cbranch_vccz .LBB497_1643
; %bb.1639:
	s_cmp_eq_u32 s20, 29
	s_cbranch_scc0 .LBB497_1641
; %bb.1640:
	global_load_dwordx2 v[6:7], v[4:5], off
	s_mov_b64 s[6:7], 0
	s_mov_b64 s[14:15], -1
	s_waitcnt vmcnt(0)
	v_cvt_f64_u32_e32 v[16:17], v7
	v_cvt_f64_u32_e32 v[6:7], v6
	v_ldexp_f64 v[16:17], v[16:17], 32
	v_add_f64 v[16:17], v[16:17], v[6:7]
	s_branch .LBB497_1642
.LBB497_1641:
	s_mov_b64 s[6:7], -1
                                        ; implicit-def: $vgpr16_vgpr17
.LBB497_1642:
	v_mov_b64_e32 v[18:19], 0
.LBB497_1643:
	s_mov_b64 s[16:17], 0
.LBB497_1644:
	s_and_b64 vcc, exec, s[16:17]
	s_cbranch_vccz .LBB497_1664
; %bb.1645:
	s_cmp_lt_i32 s20, 27
	s_cbranch_scc1 .LBB497_1648
; %bb.1646:
	s_cmp_gt_i32 s20, 27
	s_cbranch_scc0 .LBB497_1649
; %bb.1647:
	global_load_dword v6, v[4:5], off
	s_mov_b64 s[14:15], 0
	s_waitcnt vmcnt(0)
	v_cvt_f64_u32_e32 v[16:17], v6
	s_branch .LBB497_1650
.LBB497_1648:
	s_mov_b64 s[14:15], -1
                                        ; implicit-def: $vgpr16_vgpr17
	s_branch .LBB497_1653
.LBB497_1649:
	s_mov_b64 s[14:15], -1
                                        ; implicit-def: $vgpr16_vgpr17
.LBB497_1650:
	s_andn2_b64 vcc, exec, s[14:15]
	s_cbranch_vccnz .LBB497_1652
; %bb.1651:
	global_load_ushort v6, v[4:5], off
	s_waitcnt vmcnt(0)
	v_cvt_f64_u32_e32 v[16:17], v6
.LBB497_1652:
	s_mov_b64 s[14:15], 0
.LBB497_1653:
	s_andn2_b64 vcc, exec, s[14:15]
	s_cbranch_vccnz .LBB497_1663
; %bb.1654:
	global_load_ubyte v6, v[4:5], off
	s_movk_i32 s14, 0x7f
	s_waitcnt vmcnt(0)
	v_cmp_lt_i16_e32 vcc, s14, v6
	s_mov_b64 s[14:15], 0
	s_and_saveexec_b64 s[16:17], vcc
	s_xor_b64 s[16:17], exec, s[16:17]
	s_cbranch_execz .LBB497_1658
; %bb.1655:
	s_movk_i32 s14, 0x80
	v_cmp_eq_u16_e32 vcc, s14, v6
	s_mov_b64 s[14:15], -1
	s_and_saveexec_b64 s[18:19], vcc
; %bb.1656:
	s_xor_b64 s[14:15], exec, -1
; %bb.1657:
	s_or_b64 exec, exec, s[18:19]
	s_and_b64 s[14:15], s[14:15], exec
.LBB497_1658:
	s_or_saveexec_b64 s[16:17], s[16:17]
	v_bfrev_b32_e32 v16, 4
	v_mov_b32_e32 v17, 0x7ff80000
	s_xor_b64 exec, exec, s[16:17]
; %bb.1659:
	v_cmp_ne_u16_e32 vcc, 0, v6
	s_andn2_b64 s[14:15], s[14:15], exec
	s_and_b64 s[18:19], vcc, exec
	v_mov_b64_e32 v[16:17], 0
	s_or_b64 s[14:15], s[14:15], s[18:19]
; %bb.1660:
	s_or_b64 exec, exec, s[16:17]
	s_and_saveexec_b64 s[16:17], s[14:15]
	s_cbranch_execz .LBB497_1662
; %bb.1661:
	v_lshlrev_b32_e32 v7, 24, v6
	v_and_b32_e32 v6, 0xffff, v6
	v_and_b32_e32 v16, 7, v6
	v_ffbh_u32_e32 v18, v16
	v_min_u32_e32 v18, 32, v18
	v_subrev_u32_e32 v19, 28, v18
	v_bfe_u32 v17, v6, 3, 4
	v_lshlrev_b32_e32 v6, v19, v6
	v_sub_u32_e32 v18, 29, v18
	v_and_b32_e32 v6, 7, v6
	v_cmp_eq_u32_e32 vcc, 0, v17
	v_and_b32_e32 v7, 0x80000000, v7
	s_nop 0
	v_cndmask_b32_e32 v17, v17, v18, vcc
	v_cndmask_b32_e32 v6, v16, v6, vcc
	v_mov_b32_e32 v16, 0x3b800000
	v_lshlrev_b32_e32 v6, 20, v6
	v_lshl_add_u32 v16, v17, 23, v16
	v_or3_b32 v6, v7, v16, v6
	v_cvt_f64_f32_e32 v[16:17], v6
.LBB497_1662:
	s_or_b64 exec, exec, s[16:17]
.LBB497_1663:
	s_mov_b64 s[14:15], -1
	v_mov_b64_e32 v[18:19], 0
.LBB497_1664:
	s_mov_b64 s[16:17], 0
.LBB497_1665:
	s_and_b64 vcc, exec, s[16:17]
	s_cbranch_vccz .LBB497_1678
; %bb.1666:
	s_cmp_gt_i32 s20, 22
	s_cbranch_scc0 .LBB497_1689
; %bb.1667:
	s_cmp_lt_i32 s20, 24
	s_cbranch_scc1 .LBB497_1691
; %bb.1668:
	s_cmp_gt_i32 s20, 24
	s_cbranch_scc0 .LBB497_1693
; %bb.1669:
	global_load_ubyte v6, v[4:5], off
	s_movk_i32 s12, 0x7f
	s_waitcnt vmcnt(0)
	v_cmp_lt_i16_e32 vcc, s12, v6
	s_mov_b64 s[12:13], 0
	s_and_saveexec_b64 s[14:15], vcc
	s_xor_b64 s[14:15], exec, s[14:15]
	s_cbranch_execz .LBB497_1673
; %bb.1670:
	s_movk_i32 s12, 0x80
	v_cmp_eq_u16_e32 vcc, s12, v6
	s_mov_b64 s[12:13], -1
	s_and_saveexec_b64 s[16:17], vcc
; %bb.1671:
	s_xor_b64 s[12:13], exec, -1
; %bb.1672:
	s_or_b64 exec, exec, s[16:17]
	s_and_b64 s[12:13], s[12:13], exec
.LBB497_1673:
	s_or_saveexec_b64 s[14:15], s[14:15]
	v_bfrev_b32_e32 v16, 4
	v_mov_b32_e32 v17, 0x7ff80000
	s_xor_b64 exec, exec, s[14:15]
; %bb.1674:
	v_cmp_ne_u16_e32 vcc, 0, v6
	s_andn2_b64 s[12:13], s[12:13], exec
	s_and_b64 s[16:17], vcc, exec
	v_mov_b64_e32 v[16:17], 0
	s_or_b64 s[12:13], s[12:13], s[16:17]
; %bb.1675:
	s_or_b64 exec, exec, s[14:15]
	s_and_saveexec_b64 s[14:15], s[12:13]
	s_cbranch_execz .LBB497_1677
; %bb.1676:
	v_lshlrev_b32_e32 v7, 24, v6
	v_and_b32_e32 v6, 0xffff, v6
	v_and_b32_e32 v16, 3, v6
	v_ffbh_u32_e32 v18, v16
	v_min_u32_e32 v18, 32, v18
	v_subrev_u32_e32 v19, 29, v18
	v_bfe_u32 v17, v6, 2, 5
	v_lshlrev_b32_e32 v6, v19, v6
	v_sub_u32_e32 v18, 30, v18
	v_and_b32_e32 v6, 3, v6
	v_cmp_eq_u32_e32 vcc, 0, v17
	v_and_b32_e32 v7, 0x80000000, v7
	s_nop 0
	v_cndmask_b32_e32 v17, v17, v18, vcc
	v_cndmask_b32_e32 v6, v16, v6, vcc
	v_mov_b32_e32 v16, 0x37800000
	v_lshlrev_b32_e32 v6, 21, v6
	v_lshl_add_u32 v16, v17, 23, v16
	v_or3_b32 v6, v7, v16, v6
	v_cvt_f64_f32_e32 v[16:17], v6
.LBB497_1677:
	s_or_b64 exec, exec, s[14:15]
	s_mov_b64 s[12:13], 0
	s_branch .LBB497_1694
.LBB497_1678:
	s_and_b64 vcc, exec, s[6:7]
	s_cbranch_vccnz .LBB497_1722
.LBB497_1679:
	s_andn2_b64 vcc, exec, s[12:13]
	s_cbranch_vccnz .LBB497_1681
.LBB497_1680:
	global_load_ubyte v6, v[4:5], off
	v_mov_b32_e32 v7, 0x3ff00000
	v_mov_b32_e32 v16, 0
	s_mov_b64 s[14:15], -1
	v_mov_b64_e32 v[18:19], 0
	s_waitcnt vmcnt(0)
	v_cmp_ne_u16_e32 vcc, 0, v6
	s_nop 1
	v_cndmask_b32_e32 v17, 0, v7, vcc
.LBB497_1681:
	s_mov_b64 s[6:7], 0
.LBB497_1682:
	s_and_b64 vcc, exec, s[6:7]
	s_cbranch_vccz .LBB497_1753
; %bb.1683:
	s_and_b32 s12, 0xffff, s22
	s_cmp_lt_i32 s12, 5
	s_cbranch_scc1 .LBB497_1688
; %bb.1684:
	s_cmp_lt_i32 s12, 8
	s_cbranch_scc1 .LBB497_1690
; %bb.1685:
	;; [unrolled: 3-line block ×3, first 2 shown]
	s_cmp_gt_i32 s12, 9
	s_cbranch_scc0 .LBB497_1705
; %bb.1687:
	global_load_dwordx4 v[16:19], v[4:5], off
	s_mov_b64 s[6:7], 0
	s_branch .LBB497_1706
.LBB497_1688:
	s_mov_b64 s[6:7], -1
                                        ; implicit-def: $vgpr18_vgpr19
	s_branch .LBB497_1731
.LBB497_1689:
	s_mov_b64 s[12:13], -1
                                        ; implicit-def: $vgpr16_vgpr17
	s_branch .LBB497_1700
.LBB497_1690:
	s_mov_b64 s[6:7], -1
                                        ; implicit-def: $vgpr18_vgpr19
	s_branch .LBB497_1712
.LBB497_1691:
	s_mov_b64 s[12:13], -1
                                        ; implicit-def: $vgpr16_vgpr17
	s_branch .LBB497_1697
.LBB497_1692:
	s_mov_b64 s[6:7], -1
                                        ; implicit-def: $vgpr18_vgpr19
	s_branch .LBB497_1709
.LBB497_1693:
	s_mov_b64 s[12:13], -1
                                        ; implicit-def: $vgpr16_vgpr17
.LBB497_1694:
	s_and_b64 vcc, exec, s[12:13]
	s_cbranch_vccz .LBB497_1696
; %bb.1695:
	global_load_ubyte v6, v[4:5], off
	s_mov_b32 s12, 0x7f800000
	s_waitcnt vmcnt(0)
	v_lshlrev_b32_e32 v6, 24, v6
	v_and_b32_e32 v7, 0x7f000000, v6
	v_ffbh_u32_e32 v16, v7
	v_min_u32_e32 v16, 32, v16
	v_sub_u32_e64 v16, v16, 4 clamp
	v_lshlrev_b32_e32 v18, v16, v7
	v_lshlrev_b32_e32 v16, 23, v16
	v_lshrrev_b32_e32 v18, 4, v18
	v_add_u32_e32 v17, 0x1000000, v7
	v_sub_u32_e32 v16, v18, v16
	v_ashrrev_i32_e32 v17, 8, v17
	v_add_u32_e32 v16, 0x3c000000, v16
	v_and_or_b32 v16, v17, s12, v16
	v_cmp_ne_u32_e32 vcc, 0, v7
	s_brev_b32 s12, 1
	s_nop 0
	v_cndmask_b32_e32 v7, 0, v16, vcc
	v_and_or_b32 v6, v6, s12, v7
	v_cvt_f64_f32_e32 v[16:17], v6
.LBB497_1696:
	s_mov_b64 s[12:13], 0
.LBB497_1697:
	s_andn2_b64 vcc, exec, s[12:13]
	s_cbranch_vccnz .LBB497_1699
; %bb.1698:
	global_load_ubyte v6, v[4:5], off
	s_movk_i32 s12, 0x7f00
	s_brev_b32 s13, 16
	s_waitcnt vmcnt(0)
	v_lshlrev_b16_e32 v7, 8, v6
	v_lshlrev_b32_e32 v6, 25, v6
	v_lshrrev_b32_e32 v16, 4, v6
	v_and_or_b32 v17, v7, s12, 0.5
	v_or_b32_e32 v16, 0x70000000, v16
	v_add_f32_e32 v17, -0.5, v17
	v_mul_f32_e32 v16, 0x7800000, v16
	v_cmp_gt_u32_e32 vcc, s13, v6
	v_bfe_i32 v7, v7, 0, 16
	s_brev_b32 s12, 1
	v_cndmask_b32_e32 v6, v16, v17, vcc
	v_and_or_b32 v6, v7, s12, v6
	v_cvt_f64_f32_e32 v[16:17], v6
.LBB497_1699:
	s_mov_b64 s[12:13], 0
	s_mov_b64 s[14:15], -1
.LBB497_1700:
	s_andn2_b64 vcc, exec, s[12:13]
	s_mov_b64 s[12:13], 0
	s_cbranch_vccnz .LBB497_1721
; %bb.1701:
	s_cmp_gt_i32 s20, 14
	s_cbranch_scc0 .LBB497_1704
; %bb.1702:
	s_cmp_eq_u32 s20, 15
	s_cbranch_scc0 .LBB497_1717
; %bb.1703:
	global_load_ushort v6, v[4:5], off
	s_mov_b64 s[6:7], 0
	s_mov_b64 s[14:15], -1
	s_waitcnt vmcnt(0)
	v_lshlrev_b32_e32 v6, 16, v6
	v_cvt_f64_f32_e32 v[16:17], v6
	s_branch .LBB497_1718
.LBB497_1704:
	s_mov_b64 s[16:17], -1
                                        ; implicit-def: $vgpr16_vgpr17
	s_branch .LBB497_1719
.LBB497_1705:
	s_mov_b64 s[6:7], -1
                                        ; implicit-def: $vgpr18_vgpr19
.LBB497_1706:
	s_andn2_b64 vcc, exec, s[6:7]
	s_cbranch_vccnz .LBB497_1708
; %bb.1707:
	global_load_dwordx2 v[6:7], v[4:5], off
	s_waitcnt vmcnt(0)
	v_cvt_f64_f32_e32 v[16:17], v6
	v_cvt_f64_f32_e32 v[18:19], v7
.LBB497_1708:
	s_mov_b64 s[6:7], 0
.LBB497_1709:
	s_andn2_b64 vcc, exec, s[6:7]
	s_cbranch_vccnz .LBB497_1711
; %bb.1710:
	global_load_dword v6, v[4:5], off
	s_waitcnt vmcnt(0)
	v_cvt_f32_f16_e32 v7, v6
	v_cvt_f32_f16_sdwa v6, v6 dst_sel:DWORD dst_unused:UNUSED_PAD src0_sel:WORD_1
	v_cvt_f64_f32_e32 v[16:17], v7
	v_cvt_f64_f32_e32 v[18:19], v6
.LBB497_1711:
	s_mov_b64 s[6:7], 0
.LBB497_1712:
	s_andn2_b64 vcc, exec, s[6:7]
	s_cbranch_vccnz .LBB497_1730
; %bb.1713:
	s_cmp_lt_i32 s12, 6
	s_cbranch_scc1 .LBB497_1716
; %bb.1714:
	s_cmp_gt_i32 s12, 6
	s_cbranch_scc0 .LBB497_1723
; %bb.1715:
	global_load_dwordx2 v[16:17], v[4:5], off
	s_mov_b64 s[6:7], 0
	s_branch .LBB497_1724
.LBB497_1716:
	s_mov_b64 s[6:7], -1
                                        ; implicit-def: $vgpr16_vgpr17
	s_branch .LBB497_1727
.LBB497_1717:
	s_mov_b64 s[6:7], -1
                                        ; implicit-def: $vgpr16_vgpr17
.LBB497_1718:
	s_mov_b64 s[16:17], 0
.LBB497_1719:
	s_and_b64 vcc, exec, s[16:17]
	s_cbranch_vccz .LBB497_1721
; %bb.1720:
	s_cmp_lg_u32 s20, 11
	s_mov_b64 s[12:13], -1
	s_cselect_b64 s[6:7], -1, 0
.LBB497_1721:
	v_mov_b64_e32 v[18:19], 0
	s_and_b64 vcc, exec, s[6:7]
	s_cbranch_vccz .LBB497_1679
.LBB497_1722:
	s_trap 2
	s_or_b64 s[8:9], s[8:9], exec
	s_cbranch_execz .LBB497_1680
	s_branch .LBB497_1681
.LBB497_1723:
	s_mov_b64 s[6:7], -1
                                        ; implicit-def: $vgpr16_vgpr17
.LBB497_1724:
	s_andn2_b64 vcc, exec, s[6:7]
	s_cbranch_vccnz .LBB497_1726
; %bb.1725:
	global_load_dword v6, v[4:5], off
	s_waitcnt vmcnt(0)
	v_cvt_f64_f32_e32 v[16:17], v6
.LBB497_1726:
	s_mov_b64 s[6:7], 0
.LBB497_1727:
	s_andn2_b64 vcc, exec, s[6:7]
	s_cbranch_vccnz .LBB497_1729
; %bb.1728:
	global_load_ushort v6, v[4:5], off
	s_waitcnt vmcnt(0)
	v_cvt_f32_f16_e32 v6, v6
	v_cvt_f64_f32_e32 v[16:17], v6
.LBB497_1729:
	s_waitcnt vmcnt(0)
	v_mov_b64_e32 v[18:19], 0
.LBB497_1730:
	s_mov_b64 s[6:7], 0
.LBB497_1731:
	s_andn2_b64 vcc, exec, s[6:7]
	s_cbranch_vccnz .LBB497_1752
; %bb.1732:
	s_cmp_lt_i32 s12, 2
	s_cbranch_scc1 .LBB497_1736
; %bb.1733:
	s_cmp_lt_i32 s12, 3
	s_cbranch_scc1 .LBB497_1737
; %bb.1734:
	s_cmp_gt_i32 s12, 3
	s_cbranch_scc0 .LBB497_1738
; %bb.1735:
	global_load_dwordx2 v[6:7], v[4:5], off
	s_mov_b64 s[6:7], 0
	s_waitcnt vmcnt(0)
	v_cvt_f64_i32_e32 v[16:17], v7
	v_cvt_f64_u32_e32 v[6:7], v6
	v_ldexp_f64 v[16:17], v[16:17], 32
	v_add_f64 v[16:17], v[16:17], v[6:7]
	s_branch .LBB497_1739
.LBB497_1736:
	s_mov_b64 s[6:7], -1
                                        ; implicit-def: $vgpr16_vgpr17
	s_branch .LBB497_1745
.LBB497_1737:
	s_mov_b64 s[6:7], -1
                                        ; implicit-def: $vgpr16_vgpr17
	s_branch .LBB497_1742
.LBB497_1738:
	s_mov_b64 s[6:7], -1
                                        ; implicit-def: $vgpr16_vgpr17
.LBB497_1739:
	s_andn2_b64 vcc, exec, s[6:7]
	s_cbranch_vccnz .LBB497_1741
; %bb.1740:
	global_load_dword v6, v[4:5], off
	s_waitcnt vmcnt(0)
	v_cvt_f64_i32_e32 v[16:17], v6
.LBB497_1741:
	s_mov_b64 s[6:7], 0
.LBB497_1742:
	s_andn2_b64 vcc, exec, s[6:7]
	s_cbranch_vccnz .LBB497_1744
; %bb.1743:
	global_load_sshort v6, v[4:5], off
	s_waitcnt vmcnt(0)
	v_cvt_f64_i32_e32 v[16:17], v6
.LBB497_1744:
	s_mov_b64 s[6:7], 0
.LBB497_1745:
	s_andn2_b64 vcc, exec, s[6:7]
	s_cbranch_vccnz .LBB497_1751
; %bb.1746:
	s_cmp_gt_i32 s12, 0
	s_cbranch_scc0 .LBB497_1748
; %bb.1747:
	global_load_sbyte v6, v[4:5], off
	s_mov_b64 s[6:7], 0
	s_waitcnt vmcnt(0)
	v_cvt_f64_i32_e32 v[16:17], v6
	s_branch .LBB497_1749
.LBB497_1748:
	s_mov_b64 s[6:7], -1
                                        ; implicit-def: $vgpr16_vgpr17
.LBB497_1749:
	s_andn2_b64 vcc, exec, s[6:7]
	s_cbranch_vccnz .LBB497_1751
; %bb.1750:
	global_load_ubyte v4, v[4:5], off
	s_waitcnt vmcnt(0)
	v_cvt_f64_u32_e32 v[16:17], v4
.LBB497_1751:
	s_waitcnt vmcnt(0)
	v_mov_b64_e32 v[18:19], 0
.LBB497_1752:
	s_mov_b64 s[14:15], -1
.LBB497_1753:
	s_andn2_b64 vcc, exec, s[14:15]
	s_cbranch_vccnz .LBB497_1840
; %bb.1754:
	s_waitcnt vmcnt(0)
	v_cmp_o_f64_e32 vcc, v[16:17], v[16:17]
	v_mov_b64_e32 v[4:5], s[0:1]
	s_and_saveexec_b64 s[6:7], vcc
	s_cbranch_execz .LBB497_1758
; %bb.1755:
	s_mov_b32 s12, 0
	s_mov_b32 s13, 0x7ff00000
	v_cmp_neq_f64_e32 vcc, s[12:13], v[16:17]
	v_mov_b64_e32 v[4:5], s[2:3]
	s_and_saveexec_b64 s[12:13], vcc
; %bb.1756:
	s_mov_b32 s14, 0
	s_mov_b32 s15, 0xfff00000
	v_mov_b32_e32 v4, s11
	v_cmp_eq_f64_e32 vcc, s[14:15], v[16:17]
	s_nop 1
	v_cndmask_b32_e32 v5, v17, v4, vcc
	v_mov_b32_e32 v4, s10
	v_cndmask_b32_e32 v4, v16, v4, vcc
; %bb.1757:
	s_or_b64 exec, exec, s[12:13]
.LBB497_1758:
	s_or_b64 exec, exec, s[6:7]
	v_cmp_o_f64_e32 vcc, v[18:19], v[18:19]
	v_mov_b64_e32 v[6:7], s[0:1]
	s_and_saveexec_b64 s[0:1], vcc
	s_cbranch_execz .LBB497_1762
; %bb.1759:
	s_mov_b32 s6, 0
	s_mov_b32 s7, 0x7ff00000
	v_cmp_neq_f64_e32 vcc, s[6:7], v[18:19]
	v_mov_b64_e32 v[6:7], s[2:3]
	s_and_saveexec_b64 s[2:3], vcc
; %bb.1760:
	s_mov_b32 s6, 0
	s_mov_b32 s7, 0xfff00000
	v_mov_b32_e32 v6, s11
	v_cmp_eq_f64_e32 vcc, s[6:7], v[18:19]
	s_nop 1
	v_cndmask_b32_e32 v7, v19, v6, vcc
	v_mov_b32_e32 v6, s10
	v_cndmask_b32_e32 v6, v18, v6, vcc
; %bb.1761:
	s_or_b64 exec, exec, s[2:3]
.LBB497_1762:
	s_or_b64 exec, exec, s[0:1]
	s_load_dword s0, s[34:35], 0x170
	v_mov_b32_e32 v27, 0
	v_lshl_add_u64 v[16:17], s[4:5], 0, v[26:27]
	s_waitcnt lgkmcnt(0)
	s_and_b32 s14, s0, 0xff
	s_cmp_lt_i32 s14, 11
	s_cbranch_scc1 .LBB497_1886
; %bb.1763:
	s_and_b32 s15, 0xffff, s14
	s_mov_b64 s[10:11], -1
	s_mov_b64 s[2:3], 0
	s_cmp_gt_i32 s15, 25
	s_mov_b64 s[6:7], 0
	s_mov_b64 s[0:1], 0
	s_cbranch_scc0 .LBB497_1796
; %bb.1764:
	s_cmp_gt_i32 s15, 28
	s_cbranch_scc0 .LBB497_1779
; %bb.1765:
	s_cmp_gt_i32 s15, 43
	;; [unrolled: 3-line block ×3, first 2 shown]
	s_cbranch_scc0 .LBB497_1769
; %bb.1767:
	s_mov_b64 s[0:1], -1
	s_mov_b64 s[10:11], 0
	s_cmp_eq_u32 s15, 46
	s_cbranch_scc0 .LBB497_1769
; %bb.1768:
	v_cvt_f32_f64_e32 v19, v[2:3]
	s_movk_i32 s0, 0x7fff
	v_bfe_u32 v23, v19, 16, 1
	v_cvt_f32_f64_e32 v18, v[0:1]
	v_add3_u32 v23, v19, v23, s0
	v_bfe_u32 v21, v18, 16, 1
	v_and_b32_e32 v23, 0xffff0000, v23
	v_mov_b32_e32 v25, 0x7fc00000
	v_cmp_o_f32_e32 vcc, v19, v19
	v_add3_u32 v21, v18, v21, s0
	s_mov_b64 s[0:1], 0
	v_cndmask_b32_e32 v19, v25, v23, vcc
	v_cmp_o_f32_e32 vcc, v18, v18
	v_mov_b32_e32 v18, 0x7fc0
	s_mov_b64 s[6:7], -1
	v_cndmask_b32_sdwa v18, v18, v21, vcc dst_sel:DWORD dst_unused:UNUSED_PAD src0_sel:DWORD src1_sel:WORD_1
	v_or_b32_e32 v18, v19, v18
	global_store_dword v[16:17], v18, off
.LBB497_1769:
	s_and_b64 vcc, exec, s[10:11]
	s_cbranch_vccz .LBB497_1774
; %bb.1770:
	s_cmp_eq_u32 s15, 44
	s_mov_b64 s[0:1], -1
	s_cbranch_scc0 .LBB497_1774
; %bb.1771:
	v_cvt_f32_f64_e32 v18, v[0:1]
	v_bfe_u32 v19, v18, 23, 8
	s_movk_i32 s0, 0xff
	v_cmp_ne_u32_e32 vcc, s0, v19
	v_mov_b32_e32 v21, 0xff
	s_and_saveexec_b64 s[6:7], vcc
; %bb.1772:
	s_mov_b32 s0, 0x3fffff
	v_lshrrev_b32_e32 v21, 23, v18
	v_and_b32_e32 v23, 0x400000, v18
	v_and_or_b32 v18, v18, s0, v19
	v_cmp_ne_u32_e32 vcc, 0, v23
	v_cmp_ne_u32_e64 s[0:1], 0, v18
	s_and_b64 s[0:1], vcc, s[0:1]
	s_nop 0
	v_cndmask_b32_e64 v18, 0, 1, s[0:1]
	v_add_u32_e32 v21, v21, v18
; %bb.1773:
	s_or_b64 exec, exec, s[6:7]
	s_mov_b64 s[0:1], 0
	s_mov_b64 s[6:7], -1
	global_store_byte v[16:17], v21, off
.LBB497_1774:
	s_mov_b64 s[10:11], 0
.LBB497_1775:
	s_and_b64 vcc, exec, s[10:11]
	s_cbranch_vccz .LBB497_1778
; %bb.1776:
	s_cmp_eq_u32 s15, 29
	s_mov_b64 s[0:1], -1
	s_cbranch_scc0 .LBB497_1778
; %bb.1777:
	v_trunc_f64_e32 v[18:19], v[0:1]
	s_movk_i32 s0, 0xffe0
	v_ldexp_f64 v[26:27], v[18:19], s0
	v_floor_f64_e32 v[26:27], v[26:27]
	v_fmac_f64_e32 v[18:19], 0xc1f00000, v[26:27]
	v_cvt_u32_f64_e32 v29, v[26:27]
	v_cvt_u32_f64_e32 v28, v[18:19]
	global_store_dwordx2 v[16:17], v[28:29], off
	s_mov_b64 s[0:1], 0
	s_mov_b64 s[6:7], -1
.LBB497_1778:
	s_mov_b64 s[10:11], 0
.LBB497_1779:
	s_and_b64 vcc, exec, s[10:11]
	s_cbranch_vccz .LBB497_1795
; %bb.1780:
	s_cmp_lt_i32 s15, 27
	s_mov_b64 s[6:7], -1
	s_cbranch_scc1 .LBB497_1786
; %bb.1781:
	s_cmp_gt_i32 s15, 27
	v_cvt_u32_f64_e32 v18, v[0:1]
	s_cbranch_scc0 .LBB497_1783
; %bb.1782:
	s_mov_b64 s[6:7], 0
	global_store_dword v[16:17], v18, off
.LBB497_1783:
	s_andn2_b64 vcc, exec, s[6:7]
	s_cbranch_vccnz .LBB497_1785
; %bb.1784:
	global_store_short v[16:17], v18, off
.LBB497_1785:
	s_mov_b64 s[6:7], 0
.LBB497_1786:
	s_andn2_b64 vcc, exec, s[6:7]
	s_cbranch_vccnz .LBB497_1794
; %bb.1787:
	v_cvt_f32_f64_e32 v18, v[0:1]
	v_and_b32_e32 v19, 0x7fffffff, v18
	s_mov_b32 s6, 0x43800000
	v_cmp_gt_u32_e32 vcc, s6, v19
	v_mov_b32_e32 v21, 0x80
	s_and_saveexec_b64 s[6:7], vcc
	s_cbranch_execz .LBB497_1793
; %bb.1788:
	s_mov_b32 s10, 0x3bffffff
	v_cmp_lt_u32_e32 vcc, s10, v19
	s_mov_b64 s[10:11], 0
                                        ; implicit-def: $vgpr19
	s_and_saveexec_b64 s[12:13], vcc
	s_xor_b64 s[12:13], exec, s[12:13]
	s_cbranch_execz .LBB497_2243
; %bb.1789:
	v_bfe_u32 v19, v18, 20, 1
	s_mov_b32 s16, 0x487ffff
	v_add3_u32 v19, v18, v19, s16
	s_mov_b64 s[10:11], exec
	v_lshrrev_b32_e32 v19, 20, v19
	s_andn2_saveexec_b64 s[12:13], s[12:13]
	s_cbranch_execnz .LBB497_2244
.LBB497_1790:
	s_or_b64 exec, exec, s[12:13]
	v_mov_b32_e32 v21, 0
	s_and_saveexec_b64 s[12:13], s[10:11]
.LBB497_1791:
	v_lshrrev_b32_e32 v18, 24, v18
	s_movk_i32 s10, 0x80
	v_and_or_b32 v21, v18, s10, v19
.LBB497_1792:
	s_or_b64 exec, exec, s[12:13]
.LBB497_1793:
	s_or_b64 exec, exec, s[6:7]
	global_store_byte v[16:17], v21, off
.LBB497_1794:
	s_mov_b64 s[6:7], -1
.LBB497_1795:
	s_mov_b64 s[10:11], 0
.LBB497_1796:
	s_and_b64 vcc, exec, s[10:11]
	s_cbranch_vccz .LBB497_1836
; %bb.1797:
	s_cmp_gt_i32 s15, 22
	s_mov_b64 s[2:3], -1
	s_cbranch_scc0 .LBB497_1829
; %bb.1798:
	s_cmp_lt_i32 s15, 24
	s_cbranch_scc1 .LBB497_1818
; %bb.1799:
	s_cmp_gt_i32 s15, 24
	s_cbranch_scc0 .LBB497_1807
; %bb.1800:
	v_cvt_f32_f64_e32 v18, v[0:1]
	v_and_b32_e32 v19, 0x7fffffff, v18
	s_mov_b32 s2, 0x47800000
	v_cmp_gt_u32_e32 vcc, s2, v19
	v_mov_b32_e32 v21, 0x80
	s_and_saveexec_b64 s[2:3], vcc
	s_cbranch_execz .LBB497_1806
; %bb.1801:
	s_mov_b32 s6, 0x37ffffff
	v_cmp_lt_u32_e32 vcc, s6, v19
	s_mov_b64 s[6:7], 0
                                        ; implicit-def: $vgpr19
	s_and_saveexec_b64 s[10:11], vcc
	s_xor_b64 s[10:11], exec, s[10:11]
	s_cbranch_execz .LBB497_2246
; %bb.1802:
	v_bfe_u32 v19, v18, 21, 1
	s_mov_b32 s12, 0x88fffff
	v_add3_u32 v19, v18, v19, s12
	s_mov_b64 s[6:7], exec
	v_lshrrev_b32_e32 v19, 21, v19
	s_andn2_saveexec_b64 s[10:11], s[10:11]
	s_cbranch_execnz .LBB497_2247
.LBB497_1803:
	s_or_b64 exec, exec, s[10:11]
	v_mov_b32_e32 v21, 0
	s_and_saveexec_b64 s[10:11], s[6:7]
.LBB497_1804:
	v_lshrrev_b32_e32 v18, 24, v18
	s_movk_i32 s6, 0x80
	v_and_or_b32 v21, v18, s6, v19
.LBB497_1805:
	s_or_b64 exec, exec, s[10:11]
.LBB497_1806:
	s_or_b64 exec, exec, s[2:3]
	s_mov_b64 s[2:3], 0
	global_store_byte v[16:17], v21, off
.LBB497_1807:
	s_and_b64 vcc, exec, s[2:3]
	s_cbranch_vccz .LBB497_1817
; %bb.1808:
	v_cvt_f32_f64_e32 v18, v[0:1]
	v_and_b32_e32 v21, 0x7fffffff, v18
	s_mov_b32 s2, 0x43f00000
	v_cmp_gt_u32_e32 vcc, s2, v21
                                        ; implicit-def: $vgpr19
	s_and_saveexec_b64 s[2:3], vcc
	s_xor_b64 s[2:3], exec, s[2:3]
	s_cbranch_execz .LBB497_1814
; %bb.1809:
	s_mov_b32 s6, 0x3c7fffff
	v_cmp_lt_u32_e32 vcc, s6, v21
                                        ; implicit-def: $vgpr19
	s_and_saveexec_b64 s[6:7], vcc
	s_xor_b64 s[6:7], exec, s[6:7]
; %bb.1810:
	v_bfe_u32 v19, v18, 20, 1
	s_mov_b32 s10, 0x407ffff
	v_add3_u32 v19, v18, v19, s10
	v_lshrrev_b32_e32 v21, 20, v19
	v_and_b32_e32 v19, 0xff00000, v19
	s_mov_b32 s10, 0x7f00000
	v_mov_b32_e32 v23, 0x7e
	v_cmp_ne_u32_e32 vcc, s10, v19
	s_nop 1
	v_cndmask_b32_e32 v19, v23, v21, vcc
; %bb.1811:
	s_andn2_saveexec_b64 s[6:7], s[6:7]
; %bb.1812:
	s_mov_b32 s10, 0x46800000
	v_add_f32_e64 v19, |v18|, s10
; %bb.1813:
	s_or_b64 exec, exec, s[6:7]
                                        ; implicit-def: $vgpr21
.LBB497_1814:
	s_andn2_saveexec_b64 s[2:3], s[2:3]
; %bb.1815:
	s_mov_b32 s6, 0x7f800000
	v_mov_b32_e32 v19, 0x7e
	v_mov_b32_e32 v23, 0x7f
	v_cmp_lt_u32_e32 vcc, s6, v21
	s_nop 1
	v_cndmask_b32_e32 v19, v19, v23, vcc
; %bb.1816:
	s_or_b64 exec, exec, s[2:3]
	v_lshrrev_b32_e32 v18, 24, v18
	s_movk_i32 s2, 0x80
	v_and_or_b32 v18, v18, s2, v19
	global_store_byte v[16:17], v18, off
.LBB497_1817:
	s_mov_b64 s[2:3], 0
.LBB497_1818:
	s_andn2_b64 vcc, exec, s[2:3]
	s_cbranch_vccnz .LBB497_1828
; %bb.1819:
	v_cvt_f32_f64_e32 v18, v[0:1]
	v_and_b32_e32 v21, 0x7fffffff, v18
	s_mov_b32 s2, 0x47800000
	v_cmp_gt_u32_e32 vcc, s2, v21
                                        ; implicit-def: $vgpr19
	s_and_saveexec_b64 s[2:3], vcc
	s_xor_b64 s[2:3], exec, s[2:3]
	s_cbranch_execz .LBB497_1825
; %bb.1820:
	s_mov_b32 s6, 0x387fffff
	v_cmp_lt_u32_e32 vcc, s6, v21
                                        ; implicit-def: $vgpr19
	s_and_saveexec_b64 s[6:7], vcc
	s_xor_b64 s[6:7], exec, s[6:7]
; %bb.1821:
	v_bfe_u32 v19, v18, 21, 1
	s_mov_b32 s10, 0x80fffff
	v_add3_u32 v19, v18, v19, s10
	v_lshrrev_b32_e32 v19, 21, v19
; %bb.1822:
	s_andn2_saveexec_b64 s[6:7], s[6:7]
; %bb.1823:
	s_mov_b32 s10, 0x43000000
	v_add_f32_e64 v19, |v18|, s10
; %bb.1824:
	s_or_b64 exec, exec, s[6:7]
                                        ; implicit-def: $vgpr21
.LBB497_1825:
	s_andn2_saveexec_b64 s[2:3], s[2:3]
; %bb.1826:
	s_mov_b32 s6, 0x7f800000
	v_mov_b32_e32 v19, 0x7c
	v_mov_b32_e32 v23, 0x7f
	v_cmp_lt_u32_e32 vcc, s6, v21
	s_nop 1
	v_cndmask_b32_e32 v19, v19, v23, vcc
; %bb.1827:
	s_or_b64 exec, exec, s[2:3]
	v_lshrrev_b32_e32 v18, 24, v18
	s_movk_i32 s2, 0x80
	v_and_or_b32 v18, v18, s2, v19
	global_store_byte v[16:17], v18, off
.LBB497_1828:
	s_mov_b64 s[2:3], 0
	s_mov_b64 s[6:7], -1
.LBB497_1829:
	s_andn2_b64 vcc, exec, s[2:3]
	s_mov_b64 s[2:3], 0
	s_cbranch_vccnz .LBB497_1836
; %bb.1830:
	s_cmp_gt_i32 s15, 14
	s_mov_b64 s[10:11], -1
	s_cbranch_scc0 .LBB497_1834
; %bb.1831:
	s_cmp_eq_u32 s15, 15
	s_mov_b64 s[0:1], -1
	s_cbranch_scc0 .LBB497_1833
; %bb.1832:
	v_cvt_f32_f64_e32 v18, v[0:1]
	v_bfe_u32 v19, v18, 16, 1
	s_movk_i32 s0, 0x7fff
	v_add3_u32 v19, v18, v19, s0
	v_cmp_o_f32_e32 vcc, v18, v18
	v_mov_b32_e32 v18, 0x7fc0
	s_mov_b64 s[0:1], 0
	v_cndmask_b32_sdwa v18, v18, v19, vcc dst_sel:DWORD dst_unused:UNUSED_PAD src0_sel:DWORD src1_sel:WORD_1
	global_store_short v[16:17], v18, off
	s_mov_b64 s[6:7], -1
.LBB497_1833:
	s_mov_b64 s[10:11], 0
.LBB497_1834:
	s_and_b64 vcc, exec, s[10:11]
	s_cbranch_vccz .LBB497_1836
; %bb.1835:
	s_cmp_lg_u32 s15, 11
	s_mov_b64 s[2:3], -1
	s_cselect_b64 s[0:1], -1, 0
.LBB497_1836:
	s_and_b64 vcc, exec, s[0:1]
	s_cbranch_vccnz .LBB497_2245
; %bb.1837:
	s_andn2_b64 vcc, exec, s[2:3]
	s_cbranch_vccnz .LBB497_1839
.LBB497_1838:
	v_cmp_neq_f64_e32 vcc, 0, v[0:1]
	v_cmp_neq_f64_e64 s[0:1], 0, v[2:3]
	s_or_b64 s[0:1], vcc, s[0:1]
	s_mov_b64 s[6:7], -1
	v_cndmask_b32_e64 v18, 0, 1, s[0:1]
	global_store_byte v[16:17], v18, off
.LBB497_1839:
	s_mov_b64 s[0:1], 0
	s_branch .LBB497_1887
.LBB497_1840:
	s_mov_b64 s[0:1], 0
                                        ; implicit-def: $vgpr0_vgpr1
                                        ; implicit-def: $sgpr14
                                        ; implicit-def: $vgpr6_vgpr7
.LBB497_1841:
	s_mov_b64 s[2:3], 0
.LBB497_1842:
	s_and_b64 s[4:5], s[0:1], exec
	s_and_b64 s[44:45], s[2:3], exec
	s_andn2_b64 s[0:1], s[24:25], exec
	s_and_b64 s[2:3], s[8:9], exec
	s_or_b64 s[24:25], s[0:1], s[2:3]
.LBB497_1843:
	s_or_b64 exec, exec, s[26:27]
	s_and_saveexec_b64 s[0:1], s[24:25]
	s_cbranch_execz .LBB497_1846
; %bb.1844:
	; divergent unreachable
	s_or_b64 exec, exec, s[0:1]
	s_and_saveexec_b64 s[0:1], s[44:45]
	s_xor_b64 s[2:3], exec, s[0:1]
	s_cbranch_execnz .LBB497_1847
.LBB497_1845:
	s_or_b64 exec, exec, s[2:3]
	s_and_saveexec_b64 s[0:1], s[4:5]
	s_cbranch_execnz .LBB497_1848
	s_branch .LBB497_1885
.LBB497_1846:
	s_or_b64 exec, exec, s[0:1]
	s_and_saveexec_b64 s[0:1], s[44:45]
	s_xor_b64 s[2:3], exec, s[0:1]
	s_cbranch_execz .LBB497_1845
.LBB497_1847:
	s_waitcnt vmcnt(0)
	v_cmp_neq_f64_e32 vcc, 0, v[4:5]
	v_cmp_neq_f64_e64 s[0:1], 0, v[6:7]
	s_or_b64 s[0:1], vcc, s[0:1]
	s_nop 0
	v_cndmask_b32_e64 v2, 0, 1, s[0:1]
	global_store_byte v[0:1], v2, off
	s_or_b64 exec, exec, s[2:3]
	s_and_saveexec_b64 s[0:1], s[4:5]
	s_cbranch_execz .LBB497_1885
.LBB497_1848:
	s_sext_i32_i16 s2, s14
	s_cmp_lt_i32 s2, 5
	s_mov_b64 s[0:1], -1
	s_cbranch_scc1 .LBB497_1869
; %bb.1849:
	s_cmp_lt_i32 s2, 8
	s_cbranch_scc1 .LBB497_1859
; %bb.1850:
	s_cmp_lt_i32 s2, 9
	s_cbranch_scc1 .LBB497_1856
; %bb.1851:
	s_cmp_gt_i32 s2, 9
	s_cbranch_scc0 .LBB497_1853
; %bb.1852:
	s_waitcnt vmcnt(0)
	global_store_dwordx4 v[0:1], v[4:7], off
	s_mov_b64 s[0:1], 0
.LBB497_1853:
	s_andn2_b64 vcc, exec, s[0:1]
	s_cbranch_vccnz .LBB497_1855
; %bb.1854:
	s_waitcnt vmcnt(0)
	v_cvt_f32_f64_e32 v3, v[6:7]
	v_cvt_f32_f64_e32 v2, v[4:5]
	global_store_dwordx2 v[0:1], v[2:3], off
.LBB497_1855:
	s_mov_b64 s[0:1], 0
.LBB497_1856:
	s_andn2_b64 vcc, exec, s[0:1]
	s_cbranch_vccnz .LBB497_1858
; %bb.1857:
	s_movk_i32 s0, 0x1ff
	s_waitcnt vmcnt(0)
	v_and_or_b32 v2, v5, s0, v4
	v_cmp_ne_u32_e32 vcc, 0, v2
	v_lshrrev_b32_e32 v3, 8, v5
	s_movk_i32 s1, 0xffe
	v_cndmask_b32_e64 v2, 0, 1, vcc
	v_bfe_u32 v8, v5, 20, 11
	v_and_or_b32 v2, v3, s1, v2
	v_sub_u32_e32 v9, 0x3f1, v8
	v_or_b32_e32 v3, 0x1000, v2
	v_med3_i32 v9, v9, 0, 13
	v_lshrrev_b32_e32 v10, v9, v3
	v_lshlrev_b32_e32 v9, v9, v10
	v_cmp_ne_u32_e32 vcc, v9, v3
	v_add_u32_e32 v8, 0xfffffc10, v8
	v_lshl_or_b32 v9, v8, 12, v2
	v_cndmask_b32_e64 v3, 0, 1, vcc
	v_or_b32_e32 v3, v10, v3
	v_cmp_gt_i32_e32 vcc, 1, v8
	s_movk_i32 s2, 0x40f
	v_and_or_b32 v6, v7, s0, v6
	v_cndmask_b32_e32 v3, v9, v3, vcc
	v_and_b32_e32 v9, 7, v3
	v_cmp_lt_i32_e32 vcc, 5, v9
	v_lshrrev_b32_e32 v3, 2, v3
	v_bfe_u32 v11, v7, 20, 11
	v_cndmask_b32_e64 v10, 0, 1, vcc
	v_cmp_eq_u32_e32 vcc, 3, v9
	v_sub_u32_e32 v12, 0x3f1, v11
	v_med3_i32 v12, v12, 0, 13
	v_cndmask_b32_e64 v9, 0, 1, vcc
	v_or_b32_e32 v9, v9, v10
	v_add_u32_e32 v3, v3, v9
	v_mov_b32_e32 v9, 0x7c00
	v_cmp_gt_i32_e32 vcc, 31, v8
	v_mov_b32_e32 v10, 0x7e00
	v_add_u32_e32 v11, 0xfffffc10, v11
	v_cndmask_b32_e32 v3, v9, v3, vcc
	v_cmp_ne_u32_e32 vcc, 0, v2
	s_mov_b32 s3, 0x8000
	s_mov_b32 s0, 0xffff
	v_cndmask_b32_e32 v2, v9, v10, vcc
	v_cmp_eq_u32_e32 vcc, s2, v8
	v_lshrrev_b32_e32 v8, 8, v7
	v_lshrrev_b32_e32 v7, 16, v7
	v_cndmask_b32_e32 v2, v3, v2, vcc
	v_cmp_ne_u32_e32 vcc, 0, v6
	v_and_b32_sdwa v3, v5, s3 dst_sel:DWORD dst_unused:UNUSED_PAD src0_sel:WORD_1 src1_sel:DWORD
	v_bitop3_b32 v2, v3, s0, v2 bitop3:0xc8
	v_cndmask_b32_e64 v6, 0, 1, vcc
	v_and_or_b32 v6, v8, s1, v6
	v_or_b32_e32 v8, 0x1000, v6
	v_lshrrev_b32_e32 v13, v12, v8
	v_lshlrev_b32_e32 v12, v12, v13
	v_cmp_ne_u32_e32 vcc, v12, v8
	v_lshl_or_b32 v12, v11, 12, v6
	s_nop 0
	v_cndmask_b32_e64 v8, 0, 1, vcc
	v_or_b32_e32 v8, v13, v8
	v_cmp_gt_i32_e32 vcc, 1, v11
	s_nop 1
	v_cndmask_b32_e32 v8, v12, v8, vcc
	v_and_b32_e32 v12, 7, v8
	v_cmp_lt_i32_e32 vcc, 5, v12
	v_lshrrev_b32_e32 v8, 2, v8
	s_nop 0
	v_cndmask_b32_e64 v13, 0, 1, vcc
	v_cmp_eq_u32_e32 vcc, 3, v12
	s_nop 1
	v_cndmask_b32_e64 v12, 0, 1, vcc
	v_or_b32_e32 v12, v12, v13
	v_add_u32_e32 v8, v8, v12
	v_cmp_gt_i32_e32 vcc, 31, v11
	s_nop 1
	v_cndmask_b32_e32 v8, v9, v8, vcc
	v_cmp_ne_u32_e32 vcc, 0, v6
	s_nop 1
	v_cndmask_b32_e32 v6, v9, v10, vcc
	v_cmp_eq_u32_e32 vcc, s2, v11
	s_nop 1
	v_cndmask_b32_e32 v6, v8, v6, vcc
	v_and_or_b32 v6, v7, s3, v6
	v_lshl_or_b32 v2, v6, 16, v2
	global_store_dword v[0:1], v2, off
.LBB497_1858:
	s_mov_b64 s[0:1], 0
.LBB497_1859:
	s_andn2_b64 vcc, exec, s[0:1]
	s_cbranch_vccnz .LBB497_1868
; %bb.1860:
	s_sext_i32_i16 s2, s14
	s_cmp_lt_i32 s2, 6
	s_mov_b64 s[0:1], -1
	s_cbranch_scc1 .LBB497_1866
; %bb.1861:
	s_cmp_gt_i32 s2, 6
	s_cbranch_scc0 .LBB497_1863
; %bb.1862:
	s_waitcnt vmcnt(0)
	global_store_dwordx2 v[0:1], v[4:5], off
	s_mov_b64 s[0:1], 0
.LBB497_1863:
	s_andn2_b64 vcc, exec, s[0:1]
	s_cbranch_vccnz .LBB497_1865
; %bb.1864:
	s_waitcnt vmcnt(0)
	v_cvt_f32_f64_e32 v2, v[4:5]
	global_store_dword v[0:1], v2, off
.LBB497_1865:
	s_mov_b64 s[0:1], 0
.LBB497_1866:
	s_andn2_b64 vcc, exec, s[0:1]
	s_cbranch_vccnz .LBB497_1868
; %bb.1867:
	s_movk_i32 s0, 0x1ff
	s_waitcnt vmcnt(0)
	v_and_or_b32 v2, v5, s0, v4
	v_cmp_ne_u32_e32 vcc, 0, v2
	v_lshrrev_b32_e32 v3, 8, v5
	s_movk_i32 s0, 0xffe
	v_cndmask_b32_e64 v2, 0, 1, vcc
	v_bfe_u32 v6, v5, 20, 11
	v_and_or_b32 v2, v3, s0, v2
	v_sub_u32_e32 v7, 0x3f1, v6
	v_or_b32_e32 v3, 0x1000, v2
	v_med3_i32 v7, v7, 0, 13
	v_lshrrev_b32_e32 v8, v7, v3
	v_lshlrev_b32_e32 v7, v7, v8
	v_cmp_ne_u32_e32 vcc, v7, v3
	v_add_u32_e32 v6, 0xfffffc10, v6
	v_lshl_or_b32 v7, v6, 12, v2
	v_cndmask_b32_e64 v3, 0, 1, vcc
	v_or_b32_e32 v3, v8, v3
	v_cmp_gt_i32_e32 vcc, 1, v6
	s_movk_i32 s0, 0x40f
	s_nop 0
	v_cndmask_b32_e32 v3, v7, v3, vcc
	v_and_b32_e32 v7, 7, v3
	v_cmp_lt_i32_e32 vcc, 5, v7
	v_lshrrev_b32_e32 v3, 2, v3
	s_nop 0
	v_cndmask_b32_e64 v8, 0, 1, vcc
	v_cmp_eq_u32_e32 vcc, 3, v7
	s_nop 1
	v_cndmask_b32_e64 v7, 0, 1, vcc
	v_or_b32_e32 v7, v7, v8
	v_add_u32_e32 v3, v3, v7
	v_mov_b32_e32 v7, 0x7c00
	v_cmp_gt_i32_e32 vcc, 31, v6
	v_mov_b32_e32 v8, 0x7e00
	s_nop 0
	v_cndmask_b32_e32 v3, v7, v3, vcc
	v_cmp_ne_u32_e32 vcc, 0, v2
	s_nop 1
	v_cndmask_b32_e32 v2, v7, v8, vcc
	v_cmp_eq_u32_e32 vcc, s0, v6
	s_mov_b32 s0, 0x8000
	s_nop 0
	v_cndmask_b32_e32 v2, v3, v2, vcc
	v_lshrrev_b32_e32 v3, 16, v5
	v_and_or_b32 v2, v3, s0, v2
	global_store_short v[0:1], v2, off
.LBB497_1868:
	s_mov_b64 s[0:1], 0
.LBB497_1869:
	s_andn2_b64 vcc, exec, s[0:1]
	s_cbranch_vccnz .LBB497_1885
; %bb.1870:
	s_sext_i32_i16 s2, s14
	s_cmp_lt_i32 s2, 2
	s_mov_b64 s[0:1], -1
	s_cbranch_scc1 .LBB497_1880
; %bb.1871:
	s_cmp_lt_i32 s2, 3
	s_cbranch_scc1 .LBB497_1877
; %bb.1872:
	s_cmp_gt_i32 s2, 3
	s_cbranch_scc0 .LBB497_1874
; %bb.1873:
	s_waitcnt vmcnt(0)
	v_trunc_f64_e32 v[2:3], v[4:5]
	s_movk_i32 s0, 0xffe0
	v_ldexp_f64 v[6:7], v[2:3], s0
	v_floor_f64_e32 v[6:7], v[6:7]
	v_fmac_f64_e32 v[2:3], 0xc1f00000, v[6:7]
	v_cvt_i32_f64_e32 v9, v[6:7]
	v_cvt_u32_f64_e32 v8, v[2:3]
	global_store_dwordx2 v[0:1], v[8:9], off
	s_mov_b64 s[0:1], 0
.LBB497_1874:
	s_andn2_b64 vcc, exec, s[0:1]
	s_cbranch_vccnz .LBB497_1876
; %bb.1875:
	s_waitcnt vmcnt(0)
	v_cvt_i32_f64_e32 v2, v[4:5]
	global_store_dword v[0:1], v2, off
.LBB497_1876:
	s_mov_b64 s[0:1], 0
.LBB497_1877:
	s_andn2_b64 vcc, exec, s[0:1]
	s_cbranch_vccnz .LBB497_1879
; %bb.1878:
	s_waitcnt vmcnt(0)
	v_cvt_i32_f64_e32 v2, v[4:5]
	global_store_short v[0:1], v2, off
.LBB497_1879:
	s_mov_b64 s[0:1], 0
.LBB497_1880:
	s_andn2_b64 vcc, exec, s[0:1]
	s_cbranch_vccnz .LBB497_1885
; %bb.1881:
	s_sext_i32_i16 s0, s14
	s_cmp_gt_i32 s0, 0
	s_mov_b64 s[0:1], -1
	s_cbranch_scc0 .LBB497_1883
; %bb.1882:
	s_waitcnt vmcnt(0)
	v_cvt_i32_f64_e32 v2, v[4:5]
	global_store_byte v[0:1], v2, off
	s_mov_b64 s[0:1], 0
.LBB497_1883:
	s_andn2_b64 vcc, exec, s[0:1]
	s_cbranch_vccnz .LBB497_1885
; %bb.1884:
	s_waitcnt vmcnt(0)
	v_trunc_f64_e32 v[2:3], v[4:5]
	s_movk_i32 s0, 0xffe0
	v_ldexp_f64 v[4:5], v[2:3], s0
	v_floor_f64_e32 v[4:5], v[4:5]
	v_fmac_f64_e32 v[2:3], 0xc1f00000, v[4:5]
	v_cvt_u32_f64_e32 v2, v[2:3]
	global_store_byte v[0:1], v2, off
	s_endpgm
.LBB497_1885:
	s_endpgm
.LBB497_1886:
	s_mov_b64 s[0:1], -1
	s_mov_b64 s[6:7], 0
.LBB497_1887:
	s_and_b64 vcc, exec, s[0:1]
	s_cbranch_vccz .LBB497_1926
; %bb.1888:
	s_and_b32 s2, 0xffff, s14
	s_cmp_lt_i32 s2, 5
	s_mov_b64 s[0:1], -1
	s_cbranch_scc1 .LBB497_1909
; %bb.1889:
	s_cmp_lt_i32 s2, 8
	s_cbranch_scc1 .LBB497_1899
; %bb.1890:
	s_cmp_lt_i32 s2, 9
	s_cbranch_scc1 .LBB497_1896
; %bb.1891:
	s_cmp_gt_i32 s2, 9
	s_cbranch_scc0 .LBB497_1893
; %bb.1892:
	global_store_dwordx4 v[16:17], v[0:3], off
	s_mov_b64 s[0:1], 0
.LBB497_1893:
	s_andn2_b64 vcc, exec, s[0:1]
	s_cbranch_vccnz .LBB497_1895
; %bb.1894:
	v_cvt_f32_f64_e32 v19, v[2:3]
	v_cvt_f32_f64_e32 v18, v[0:1]
	global_store_dwordx2 v[16:17], v[18:19], off
.LBB497_1895:
	s_mov_b64 s[0:1], 0
.LBB497_1896:
	s_andn2_b64 vcc, exec, s[0:1]
	s_cbranch_vccnz .LBB497_1898
; %bb.1897:
	s_movk_i32 s0, 0x1ff
	v_and_or_b32 v18, v1, s0, v0
	v_cmp_ne_u32_e32 vcc, 0, v18
	v_lshrrev_b32_e32 v19, 8, v1
	s_movk_i32 s1, 0xffe
	v_cndmask_b32_e64 v18, 0, 1, vcc
	v_bfe_u32 v21, v1, 20, 11
	v_and_or_b32 v18, v19, s1, v18
	v_sub_u32_e32 v23, 0x3f1, v21
	v_or_b32_e32 v19, 0x1000, v18
	v_med3_i32 v23, v23, 0, 13
	v_lshrrev_b32_e32 v25, v23, v19
	v_lshlrev_b32_e32 v23, v23, v25
	v_cmp_ne_u32_e32 vcc, v23, v19
	v_add_u32_e32 v21, 0xfffffc10, v21
	v_lshl_or_b32 v23, v21, 12, v18
	v_cndmask_b32_e64 v19, 0, 1, vcc
	v_or_b32_e32 v19, v25, v19
	v_cmp_gt_i32_e32 vcc, 1, v21
	s_movk_i32 s3, 0x40f
	v_and_or_b32 v2, v3, s0, v2
	v_cndmask_b32_e32 v19, v23, v19, vcc
	v_and_b32_e32 v23, 7, v19
	v_cmp_lt_i32_e32 vcc, 5, v23
	v_lshrrev_b32_e32 v19, 2, v19
	v_bfe_u32 v26, v3, 20, 11
	v_cndmask_b32_e64 v25, 0, 1, vcc
	v_cmp_eq_u32_e32 vcc, 3, v23
	v_sub_u32_e32 v27, 0x3f1, v26
	v_med3_i32 v27, v27, 0, 13
	v_cndmask_b32_e64 v23, 0, 1, vcc
	v_or_b32_e32 v23, v23, v25
	v_add_u32_e32 v19, v19, v23
	v_mov_b32_e32 v23, 0x7c00
	v_cmp_gt_i32_e32 vcc, 31, v21
	v_mov_b32_e32 v25, 0x7e00
	v_add_u32_e32 v26, 0xfffffc10, v26
	v_cndmask_b32_e32 v19, v23, v19, vcc
	v_cmp_ne_u32_e32 vcc, 0, v18
	s_mov_b32 s6, 0x8000
	s_mov_b32 s0, 0xffff
	v_cndmask_b32_e32 v18, v23, v25, vcc
	v_cmp_eq_u32_e32 vcc, s3, v21
	v_lshrrev_b32_e32 v21, 8, v3
	v_lshrrev_b32_e32 v3, 16, v3
	v_cndmask_b32_e32 v18, v19, v18, vcc
	v_cmp_ne_u32_e32 vcc, 0, v2
	v_and_b32_sdwa v19, v1, s6 dst_sel:DWORD dst_unused:UNUSED_PAD src0_sel:WORD_1 src1_sel:DWORD
	s_nop 0
	v_cndmask_b32_e64 v2, 0, 1, vcc
	v_and_or_b32 v2, v21, s1, v2
	v_or_b32_e32 v21, 0x1000, v2
	v_lshrrev_b32_e32 v28, v27, v21
	v_lshlrev_b32_e32 v27, v27, v28
	v_cmp_ne_u32_e32 vcc, v27, v21
	v_lshl_or_b32 v27, v26, 12, v2
	s_nop 0
	v_cndmask_b32_e64 v21, 0, 1, vcc
	v_or_b32_e32 v21, v28, v21
	v_cmp_gt_i32_e32 vcc, 1, v26
	s_nop 1
	v_cndmask_b32_e32 v21, v27, v21, vcc
	v_and_b32_e32 v27, 7, v21
	v_cmp_lt_i32_e32 vcc, 5, v27
	v_lshrrev_b32_e32 v21, 2, v21
	s_nop 0
	v_cndmask_b32_e64 v28, 0, 1, vcc
	v_cmp_eq_u32_e32 vcc, 3, v27
	s_nop 1
	v_cndmask_b32_e64 v27, 0, 1, vcc
	v_or_b32_e32 v27, v27, v28
	v_add_u32_e32 v21, v21, v27
	v_cmp_gt_i32_e32 vcc, 31, v26
	s_nop 1
	v_cndmask_b32_e32 v21, v23, v21, vcc
	v_cmp_ne_u32_e32 vcc, 0, v2
	s_nop 1
	v_cndmask_b32_e32 v2, v23, v25, vcc
	v_cmp_eq_u32_e32 vcc, s3, v26
	s_nop 1
	v_cndmask_b32_e32 v2, v21, v2, vcc
	v_and_or_b32 v2, v3, s6, v2
	v_bitop3_b32 v3, v19, s0, v18 bitop3:0xc8
	v_lshl_or_b32 v2, v2, 16, v3
	global_store_dword v[16:17], v2, off
.LBB497_1898:
	s_mov_b64 s[0:1], 0
.LBB497_1899:
	s_andn2_b64 vcc, exec, s[0:1]
	s_cbranch_vccnz .LBB497_1908
; %bb.1900:
	s_cmp_lt_i32 s2, 6
	s_mov_b64 s[0:1], -1
	s_cbranch_scc1 .LBB497_1906
; %bb.1901:
	s_cmp_gt_i32 s2, 6
	s_cbranch_scc0 .LBB497_1903
; %bb.1902:
	global_store_dwordx2 v[16:17], v[0:1], off
	s_mov_b64 s[0:1], 0
.LBB497_1903:
	s_andn2_b64 vcc, exec, s[0:1]
	s_cbranch_vccnz .LBB497_1905
; %bb.1904:
	v_cvt_f32_f64_e32 v2, v[0:1]
	global_store_dword v[16:17], v2, off
.LBB497_1905:
	s_mov_b64 s[0:1], 0
.LBB497_1906:
	s_andn2_b64 vcc, exec, s[0:1]
	s_cbranch_vccnz .LBB497_1908
; %bb.1907:
	s_movk_i32 s0, 0x1ff
	v_and_or_b32 v2, v1, s0, v0
	v_cmp_ne_u32_e32 vcc, 0, v2
	v_lshrrev_b32_e32 v3, 8, v1
	s_movk_i32 s0, 0xffe
	v_cndmask_b32_e64 v2, 0, 1, vcc
	v_bfe_u32 v18, v1, 20, 11
	v_and_or_b32 v2, v3, s0, v2
	v_sub_u32_e32 v19, 0x3f1, v18
	v_or_b32_e32 v3, 0x1000, v2
	v_med3_i32 v19, v19, 0, 13
	v_lshrrev_b32_e32 v21, v19, v3
	v_lshlrev_b32_e32 v19, v19, v21
	v_cmp_ne_u32_e32 vcc, v19, v3
	v_add_u32_e32 v18, 0xfffffc10, v18
	v_lshl_or_b32 v19, v18, 12, v2
	v_cndmask_b32_e64 v3, 0, 1, vcc
	v_or_b32_e32 v3, v21, v3
	v_cmp_gt_i32_e32 vcc, 1, v18
	s_movk_i32 s0, 0x40f
	s_nop 0
	v_cndmask_b32_e32 v3, v19, v3, vcc
	v_and_b32_e32 v19, 7, v3
	v_cmp_lt_i32_e32 vcc, 5, v19
	v_lshrrev_b32_e32 v3, 2, v3
	s_nop 0
	v_cndmask_b32_e64 v21, 0, 1, vcc
	v_cmp_eq_u32_e32 vcc, 3, v19
	s_nop 1
	v_cndmask_b32_e64 v19, 0, 1, vcc
	v_or_b32_e32 v19, v19, v21
	v_add_u32_e32 v3, v3, v19
	v_mov_b32_e32 v19, 0x7c00
	v_cmp_gt_i32_e32 vcc, 31, v18
	v_mov_b32_e32 v21, 0x7e00
	s_nop 0
	v_cndmask_b32_e32 v3, v19, v3, vcc
	v_cmp_ne_u32_e32 vcc, 0, v2
	s_nop 1
	v_cndmask_b32_e32 v2, v19, v21, vcc
	v_cmp_eq_u32_e32 vcc, s0, v18
	s_mov_b32 s0, 0x8000
	s_nop 0
	v_cndmask_b32_e32 v2, v3, v2, vcc
	v_lshrrev_b32_e32 v3, 16, v1
	v_and_or_b32 v2, v3, s0, v2
	global_store_short v[16:17], v2, off
.LBB497_1908:
	s_mov_b64 s[0:1], 0
.LBB497_1909:
	s_andn2_b64 vcc, exec, s[0:1]
	s_cbranch_vccnz .LBB497_1925
; %bb.1910:
	s_cmp_lt_i32 s2, 2
	s_mov_b64 s[0:1], -1
	s_cbranch_scc1 .LBB497_1920
; %bb.1911:
	s_cmp_lt_i32 s2, 3
	s_cbranch_scc1 .LBB497_1917
; %bb.1912:
	s_cmp_gt_i32 s2, 3
	s_cbranch_scc0 .LBB497_1914
; %bb.1913:
	v_trunc_f64_e32 v[2:3], v[0:1]
	s_movk_i32 s0, 0xffe0
	v_ldexp_f64 v[18:19], v[2:3], s0
	v_floor_f64_e32 v[18:19], v[18:19]
	v_fmac_f64_e32 v[2:3], 0xc1f00000, v[18:19]
	v_cvt_i32_f64_e32 v27, v[18:19]
	v_cvt_u32_f64_e32 v26, v[2:3]
	global_store_dwordx2 v[16:17], v[26:27], off
	s_mov_b64 s[0:1], 0
.LBB497_1914:
	s_andn2_b64 vcc, exec, s[0:1]
	s_cbranch_vccnz .LBB497_1916
; %bb.1915:
	v_cvt_i32_f64_e32 v2, v[0:1]
	global_store_dword v[16:17], v2, off
.LBB497_1916:
	s_mov_b64 s[0:1], 0
.LBB497_1917:
	s_andn2_b64 vcc, exec, s[0:1]
	s_cbranch_vccnz .LBB497_1919
; %bb.1918:
	v_cvt_i32_f64_e32 v2, v[0:1]
	global_store_short v[16:17], v2, off
.LBB497_1919:
	s_mov_b64 s[0:1], 0
.LBB497_1920:
	s_andn2_b64 vcc, exec, s[0:1]
	s_cbranch_vccnz .LBB497_1925
; %bb.1921:
	s_cmp_gt_i32 s2, 0
	s_mov_b64 s[0:1], -1
	s_cbranch_scc0 .LBB497_1923
; %bb.1922:
	v_cvt_i32_f64_e32 v2, v[0:1]
	global_store_byte v[16:17], v2, off
	s_mov_b64 s[0:1], 0
.LBB497_1923:
	s_andn2_b64 vcc, exec, s[0:1]
	s_cbranch_vccnz .LBB497_1925
; %bb.1924:
	v_trunc_f64_e32 v[0:1], v[0:1]
	s_movk_i32 s0, 0xffe0
	v_ldexp_f64 v[2:3], v[0:1], s0
	v_floor_f64_e32 v[2:3], v[2:3]
	v_fmac_f64_e32 v[0:1], 0xc1f00000, v[2:3]
	v_cvt_u32_f64_e32 v0, v[0:1]
	global_store_byte v[16:17], v0, off
.LBB497_1925:
	s_mov_b64 s[6:7], -1
.LBB497_1926:
	s_andn2_b64 vcc, exec, s[6:7]
	s_cbranch_vccnz .LBB497_2241
; %bb.1927:
	v_mov_b32_e32 v25, 0
	s_and_b32 s15, 0xffff, s14
	s_cmp_lt_i32 s15, 11
	v_lshl_add_u64 v[0:1], s[4:5], 0, v[24:25]
	s_cbranch_scc1 .LBB497_2005
; %bb.1928:
	s_mov_b64 s[10:11], -1
	s_mov_b64 s[2:3], 0
	s_cmp_gt_i32 s15, 25
	s_mov_b64 s[6:7], 0
	s_mov_b64 s[0:1], 0
	s_cbranch_scc0 .LBB497_1961
; %bb.1929:
	s_cmp_gt_i32 s15, 28
	s_cbranch_scc0 .LBB497_1944
; %bb.1930:
	s_cmp_gt_i32 s15, 43
	;; [unrolled: 3-line block ×3, first 2 shown]
	s_cbranch_scc0 .LBB497_1934
; %bb.1932:
	s_mov_b64 s[0:1], -1
	s_mov_b64 s[10:11], 0
	s_cmp_eq_u32 s15, 46
	s_cbranch_scc0 .LBB497_1934
; %bb.1933:
	v_cvt_f32_f64_e32 v3, v[10:11]
	s_movk_i32 s0, 0x7fff
	v_bfe_u32 v17, v3, 16, 1
	v_cvt_f32_f64_e32 v2, v[8:9]
	v_add3_u32 v17, v3, v17, s0
	v_bfe_u32 v16, v2, 16, 1
	v_and_b32_e32 v17, 0xffff0000, v17
	v_mov_b32_e32 v18, 0x7fc00000
	v_cmp_o_f32_e32 vcc, v3, v3
	v_add3_u32 v16, v2, v16, s0
	s_mov_b64 s[0:1], 0
	v_cndmask_b32_e32 v3, v18, v17, vcc
	v_cmp_o_f32_e32 vcc, v2, v2
	v_mov_b32_e32 v2, 0x7fc0
	s_mov_b64 s[6:7], -1
	v_cndmask_b32_sdwa v2, v2, v16, vcc dst_sel:DWORD dst_unused:UNUSED_PAD src0_sel:DWORD src1_sel:WORD_1
	v_or_b32_e32 v2, v3, v2
	global_store_dword v[0:1], v2, off
.LBB497_1934:
	s_and_b64 vcc, exec, s[10:11]
	s_cbranch_vccz .LBB497_1939
; %bb.1935:
	s_cmp_eq_u32 s15, 44
	s_mov_b64 s[0:1], -1
	s_cbranch_scc0 .LBB497_1939
; %bb.1936:
	v_cvt_f32_f64_e32 v2, v[8:9]
	v_bfe_u32 v3, v2, 23, 8
	s_movk_i32 s0, 0xff
	v_cmp_ne_u32_e32 vcc, s0, v3
	v_mov_b32_e32 v16, 0xff
	s_and_saveexec_b64 s[6:7], vcc
; %bb.1937:
	s_mov_b32 s0, 0x3fffff
	v_lshrrev_b32_e32 v16, 23, v2
	v_and_b32_e32 v17, 0x400000, v2
	v_and_or_b32 v2, v2, s0, v3
	v_cmp_ne_u32_e32 vcc, 0, v17
	v_cmp_ne_u32_e64 s[0:1], 0, v2
	s_and_b64 s[0:1], vcc, s[0:1]
	s_nop 0
	v_cndmask_b32_e64 v2, 0, 1, s[0:1]
	v_add_u32_e32 v16, v16, v2
; %bb.1938:
	s_or_b64 exec, exec, s[6:7]
	s_mov_b64 s[0:1], 0
	s_mov_b64 s[6:7], -1
	global_store_byte v[0:1], v16, off
.LBB497_1939:
	s_mov_b64 s[10:11], 0
.LBB497_1940:
	s_and_b64 vcc, exec, s[10:11]
	s_cbranch_vccz .LBB497_1943
; %bb.1941:
	s_cmp_eq_u32 s15, 29
	s_mov_b64 s[0:1], -1
	s_cbranch_scc0 .LBB497_1943
; %bb.1942:
	v_trunc_f64_e32 v[2:3], v[8:9]
	s_movk_i32 s0, 0xffe0
	v_ldexp_f64 v[16:17], v[2:3], s0
	v_floor_f64_e32 v[16:17], v[16:17]
	v_fmac_f64_e32 v[2:3], 0xc1f00000, v[16:17]
	v_cvt_u32_f64_e32 v19, v[16:17]
	v_cvt_u32_f64_e32 v18, v[2:3]
	global_store_dwordx2 v[0:1], v[18:19], off
	s_mov_b64 s[0:1], 0
	s_mov_b64 s[6:7], -1
.LBB497_1943:
	s_mov_b64 s[10:11], 0
.LBB497_1944:
	s_and_b64 vcc, exec, s[10:11]
	s_cbranch_vccz .LBB497_1960
; %bb.1945:
	s_cmp_lt_i32 s15, 27
	s_mov_b64 s[6:7], -1
	s_cbranch_scc1 .LBB497_1951
; %bb.1946:
	s_cmp_gt_i32 s15, 27
	s_cbranch_scc0 .LBB497_1948
; %bb.1947:
	v_cvt_u32_f64_e32 v2, v[8:9]
	s_mov_b64 s[6:7], 0
	global_store_dword v[0:1], v2, off
.LBB497_1948:
	s_andn2_b64 vcc, exec, s[6:7]
	s_cbranch_vccnz .LBB497_1950
; %bb.1949:
	v_cvt_u32_f64_e32 v2, v[8:9]
	global_store_short v[0:1], v2, off
.LBB497_1950:
	s_mov_b64 s[6:7], 0
.LBB497_1951:
	s_andn2_b64 vcc, exec, s[6:7]
	s_cbranch_vccnz .LBB497_1959
; %bb.1952:
	v_cvt_f32_f64_e32 v2, v[8:9]
	v_and_b32_e32 v3, 0x7fffffff, v2
	s_mov_b32 s6, 0x43800000
	v_cmp_gt_u32_e32 vcc, s6, v3
	v_mov_b32_e32 v16, 0x80
	s_and_saveexec_b64 s[6:7], vcc
	s_cbranch_execz .LBB497_1958
; %bb.1953:
	s_mov_b32 s10, 0x3bffffff
	v_cmp_lt_u32_e32 vcc, s10, v3
	s_mov_b64 s[10:11], 0
                                        ; implicit-def: $vgpr3
	s_and_saveexec_b64 s[12:13], vcc
	s_xor_b64 s[12:13], exec, s[12:13]
	s_cbranch_execz .LBB497_2248
; %bb.1954:
	v_bfe_u32 v3, v2, 20, 1
	s_mov_b32 s16, 0x487ffff
	v_add3_u32 v3, v2, v3, s16
	s_mov_b64 s[10:11], exec
	v_lshrrev_b32_e32 v3, 20, v3
	s_andn2_saveexec_b64 s[12:13], s[12:13]
	s_cbranch_execnz .LBB497_2249
.LBB497_1955:
	s_or_b64 exec, exec, s[12:13]
	v_mov_b32_e32 v16, 0
	s_and_saveexec_b64 s[12:13], s[10:11]
.LBB497_1956:
	v_lshrrev_b32_e32 v2, 24, v2
	s_movk_i32 s10, 0x80
	v_and_or_b32 v16, v2, s10, v3
.LBB497_1957:
	s_or_b64 exec, exec, s[12:13]
.LBB497_1958:
	s_or_b64 exec, exec, s[6:7]
	global_store_byte v[0:1], v16, off
.LBB497_1959:
	s_mov_b64 s[6:7], -1
.LBB497_1960:
	s_mov_b64 s[10:11], 0
.LBB497_1961:
	s_and_b64 vcc, exec, s[10:11]
	s_cbranch_vccz .LBB497_2001
; %bb.1962:
	s_cmp_gt_i32 s15, 22
	s_mov_b64 s[2:3], -1
	s_cbranch_scc0 .LBB497_1994
; %bb.1963:
	s_cmp_lt_i32 s15, 24
	s_cbranch_scc1 .LBB497_1983
; %bb.1964:
	s_cmp_gt_i32 s15, 24
	s_cbranch_scc0 .LBB497_1972
; %bb.1965:
	v_cvt_f32_f64_e32 v2, v[8:9]
	v_and_b32_e32 v3, 0x7fffffff, v2
	s_mov_b32 s2, 0x47800000
	v_cmp_gt_u32_e32 vcc, s2, v3
	v_mov_b32_e32 v16, 0x80
	s_and_saveexec_b64 s[2:3], vcc
	s_cbranch_execz .LBB497_1971
; %bb.1966:
	s_mov_b32 s6, 0x37ffffff
	v_cmp_lt_u32_e32 vcc, s6, v3
	s_mov_b64 s[6:7], 0
                                        ; implicit-def: $vgpr3
	s_and_saveexec_b64 s[10:11], vcc
	s_xor_b64 s[10:11], exec, s[10:11]
	s_cbranch_execz .LBB497_2251
; %bb.1967:
	v_bfe_u32 v3, v2, 21, 1
	s_mov_b32 s12, 0x88fffff
	v_add3_u32 v3, v2, v3, s12
	s_mov_b64 s[6:7], exec
	v_lshrrev_b32_e32 v3, 21, v3
	s_andn2_saveexec_b64 s[10:11], s[10:11]
	s_cbranch_execnz .LBB497_2252
.LBB497_1968:
	s_or_b64 exec, exec, s[10:11]
	v_mov_b32_e32 v16, 0
	s_and_saveexec_b64 s[10:11], s[6:7]
.LBB497_1969:
	v_lshrrev_b32_e32 v2, 24, v2
	s_movk_i32 s6, 0x80
	v_and_or_b32 v16, v2, s6, v3
.LBB497_1970:
	s_or_b64 exec, exec, s[10:11]
.LBB497_1971:
	s_or_b64 exec, exec, s[2:3]
	s_mov_b64 s[2:3], 0
	global_store_byte v[0:1], v16, off
.LBB497_1972:
	s_and_b64 vcc, exec, s[2:3]
	s_cbranch_vccz .LBB497_1982
; %bb.1973:
	v_cvt_f32_f64_e32 v2, v[8:9]
	v_and_b32_e32 v16, 0x7fffffff, v2
	s_mov_b32 s2, 0x43f00000
	v_cmp_gt_u32_e32 vcc, s2, v16
                                        ; implicit-def: $vgpr3
	s_and_saveexec_b64 s[2:3], vcc
	s_xor_b64 s[2:3], exec, s[2:3]
	s_cbranch_execz .LBB497_1979
; %bb.1974:
	s_mov_b32 s6, 0x3c7fffff
	v_cmp_lt_u32_e32 vcc, s6, v16
                                        ; implicit-def: $vgpr3
	s_and_saveexec_b64 s[6:7], vcc
	s_xor_b64 s[6:7], exec, s[6:7]
; %bb.1975:
	v_bfe_u32 v3, v2, 20, 1
	s_mov_b32 s10, 0x407ffff
	v_add3_u32 v3, v2, v3, s10
	v_lshrrev_b32_e32 v16, 20, v3
	v_and_b32_e32 v3, 0xff00000, v3
	s_mov_b32 s10, 0x7f00000
	v_mov_b32_e32 v17, 0x7e
	v_cmp_ne_u32_e32 vcc, s10, v3
	s_nop 1
	v_cndmask_b32_e32 v3, v17, v16, vcc
; %bb.1976:
	s_andn2_saveexec_b64 s[6:7], s[6:7]
; %bb.1977:
	s_mov_b32 s10, 0x46800000
	v_add_f32_e64 v3, |v2|, s10
; %bb.1978:
	s_or_b64 exec, exec, s[6:7]
                                        ; implicit-def: $vgpr16
.LBB497_1979:
	s_andn2_saveexec_b64 s[2:3], s[2:3]
; %bb.1980:
	s_mov_b32 s6, 0x7f800000
	v_mov_b32_e32 v3, 0x7e
	v_mov_b32_e32 v17, 0x7f
	v_cmp_lt_u32_e32 vcc, s6, v16
	s_nop 1
	v_cndmask_b32_e32 v3, v3, v17, vcc
; %bb.1981:
	s_or_b64 exec, exec, s[2:3]
	v_lshrrev_b32_e32 v2, 24, v2
	s_movk_i32 s2, 0x80
	v_and_or_b32 v2, v2, s2, v3
	global_store_byte v[0:1], v2, off
.LBB497_1982:
	s_mov_b64 s[2:3], 0
.LBB497_1983:
	s_andn2_b64 vcc, exec, s[2:3]
	s_cbranch_vccnz .LBB497_1993
; %bb.1984:
	v_cvt_f32_f64_e32 v2, v[8:9]
	v_and_b32_e32 v16, 0x7fffffff, v2
	s_mov_b32 s2, 0x47800000
	v_cmp_gt_u32_e32 vcc, s2, v16
                                        ; implicit-def: $vgpr3
	s_and_saveexec_b64 s[2:3], vcc
	s_xor_b64 s[2:3], exec, s[2:3]
	s_cbranch_execz .LBB497_1990
; %bb.1985:
	s_mov_b32 s6, 0x387fffff
	v_cmp_lt_u32_e32 vcc, s6, v16
                                        ; implicit-def: $vgpr3
	s_and_saveexec_b64 s[6:7], vcc
	s_xor_b64 s[6:7], exec, s[6:7]
; %bb.1986:
	v_bfe_u32 v3, v2, 21, 1
	s_mov_b32 s10, 0x80fffff
	v_add3_u32 v3, v2, v3, s10
	v_lshrrev_b32_e32 v3, 21, v3
; %bb.1987:
	s_andn2_saveexec_b64 s[6:7], s[6:7]
; %bb.1988:
	s_mov_b32 s10, 0x43000000
	v_add_f32_e64 v3, |v2|, s10
; %bb.1989:
	s_or_b64 exec, exec, s[6:7]
                                        ; implicit-def: $vgpr16
.LBB497_1990:
	s_andn2_saveexec_b64 s[2:3], s[2:3]
; %bb.1991:
	s_mov_b32 s6, 0x7f800000
	v_mov_b32_e32 v3, 0x7c
	v_mov_b32_e32 v17, 0x7f
	v_cmp_lt_u32_e32 vcc, s6, v16
	s_nop 1
	v_cndmask_b32_e32 v3, v3, v17, vcc
; %bb.1992:
	s_or_b64 exec, exec, s[2:3]
	v_lshrrev_b32_e32 v2, 24, v2
	s_movk_i32 s2, 0x80
	v_and_or_b32 v2, v2, s2, v3
	global_store_byte v[0:1], v2, off
.LBB497_1993:
	s_mov_b64 s[2:3], 0
	s_mov_b64 s[6:7], -1
.LBB497_1994:
	s_andn2_b64 vcc, exec, s[2:3]
	s_mov_b64 s[2:3], 0
	s_cbranch_vccnz .LBB497_2001
; %bb.1995:
	s_cmp_gt_i32 s15, 14
	s_mov_b64 s[10:11], -1
	s_cbranch_scc0 .LBB497_1999
; %bb.1996:
	s_cmp_eq_u32 s15, 15
	s_mov_b64 s[0:1], -1
	s_cbranch_scc0 .LBB497_1998
; %bb.1997:
	v_cvt_f32_f64_e32 v2, v[8:9]
	v_bfe_u32 v3, v2, 16, 1
	s_movk_i32 s0, 0x7fff
	v_add3_u32 v3, v2, v3, s0
	v_cmp_o_f32_e32 vcc, v2, v2
	v_mov_b32_e32 v2, 0x7fc0
	s_mov_b64 s[0:1], 0
	v_cndmask_b32_sdwa v2, v2, v3, vcc dst_sel:DWORD dst_unused:UNUSED_PAD src0_sel:DWORD src1_sel:WORD_1
	global_store_short v[0:1], v2, off
	s_mov_b64 s[6:7], -1
.LBB497_1998:
	s_mov_b64 s[10:11], 0
.LBB497_1999:
	s_and_b64 vcc, exec, s[10:11]
	s_cbranch_vccz .LBB497_2001
; %bb.2000:
	s_cmp_lg_u32 s15, 11
	s_mov_b64 s[2:3], -1
	s_cselect_b64 s[0:1], -1, 0
.LBB497_2001:
	s_and_b64 vcc, exec, s[0:1]
	s_cbranch_vccnz .LBB497_2250
; %bb.2002:
	s_andn2_b64 vcc, exec, s[2:3]
	s_cbranch_vccnz .LBB497_2004
.LBB497_2003:
	v_cmp_neq_f64_e32 vcc, 0, v[8:9]
	v_cmp_neq_f64_e64 s[0:1], 0, v[10:11]
	s_or_b64 s[0:1], vcc, s[0:1]
	s_mov_b64 s[6:7], -1
	v_cndmask_b32_e64 v2, 0, 1, s[0:1]
	global_store_byte v[0:1], v2, off
.LBB497_2004:
	s_mov_b64 s[0:1], 0
	s_branch .LBB497_2006
.LBB497_2005:
	s_mov_b64 s[0:1], -1
	s_mov_b64 s[6:7], 0
.LBB497_2006:
	s_and_b64 vcc, exec, s[0:1]
	s_cbranch_vccz .LBB497_2045
; %bb.2007:
	s_cmp_lt_i32 s15, 5
	s_mov_b64 s[0:1], -1
	s_cbranch_scc1 .LBB497_2028
; %bb.2008:
	s_cmp_lt_i32 s15, 8
	s_cbranch_scc1 .LBB497_2018
; %bb.2009:
	s_cmp_lt_i32 s15, 9
	s_cbranch_scc1 .LBB497_2015
; %bb.2010:
	s_cmp_gt_i32 s15, 9
	s_cbranch_scc0 .LBB497_2012
; %bb.2011:
	global_store_dwordx4 v[0:1], v[8:11], off
	s_mov_b64 s[0:1], 0
.LBB497_2012:
	s_andn2_b64 vcc, exec, s[0:1]
	s_cbranch_vccnz .LBB497_2014
; %bb.2013:
	v_cvt_f32_f64_e32 v3, v[10:11]
	v_cvt_f32_f64_e32 v2, v[8:9]
	global_store_dwordx2 v[0:1], v[2:3], off
.LBB497_2014:
	s_mov_b64 s[0:1], 0
.LBB497_2015:
	s_andn2_b64 vcc, exec, s[0:1]
	s_cbranch_vccnz .LBB497_2017
; %bb.2016:
	s_movk_i32 s0, 0x1ff
	v_and_or_b32 v2, v9, s0, v8
	v_cmp_ne_u32_e32 vcc, 0, v2
	v_lshrrev_b32_e32 v3, 8, v9
	s_movk_i32 s1, 0xffe
	v_cndmask_b32_e64 v2, 0, 1, vcc
	v_bfe_u32 v16, v9, 20, 11
	v_and_or_b32 v2, v3, s1, v2
	v_sub_u32_e32 v17, 0x3f1, v16
	v_or_b32_e32 v3, 0x1000, v2
	v_med3_i32 v17, v17, 0, 13
	v_lshrrev_b32_e32 v18, v17, v3
	v_lshlrev_b32_e32 v17, v17, v18
	v_cmp_ne_u32_e32 vcc, v17, v3
	v_add_u32_e32 v16, 0xfffffc10, v16
	v_lshl_or_b32 v17, v16, 12, v2
	v_cndmask_b32_e64 v3, 0, 1, vcc
	v_or_b32_e32 v3, v18, v3
	v_cmp_gt_i32_e32 vcc, 1, v16
	s_movk_i32 s2, 0x40f
	v_and_or_b32 v10, v11, s0, v10
	v_cndmask_b32_e32 v3, v17, v3, vcc
	v_and_b32_e32 v17, 7, v3
	v_cmp_lt_i32_e32 vcc, 5, v17
	v_lshrrev_b32_e32 v3, 2, v3
	v_bfe_u32 v19, v11, 20, 11
	v_cndmask_b32_e64 v18, 0, 1, vcc
	v_cmp_eq_u32_e32 vcc, 3, v17
	v_sub_u32_e32 v21, 0x3f1, v19
	v_med3_i32 v21, v21, 0, 13
	v_cndmask_b32_e64 v17, 0, 1, vcc
	v_or_b32_e32 v17, v17, v18
	v_add_u32_e32 v3, v3, v17
	v_mov_b32_e32 v17, 0x7c00
	v_cmp_gt_i32_e32 vcc, 31, v16
	v_mov_b32_e32 v18, 0x7e00
	v_add_u32_e32 v19, 0xfffffc10, v19
	v_cndmask_b32_e32 v3, v17, v3, vcc
	v_cmp_ne_u32_e32 vcc, 0, v2
	s_mov_b32 s3, 0x8000
	s_mov_b32 s0, 0xffff
	v_cndmask_b32_e32 v2, v17, v18, vcc
	v_cmp_eq_u32_e32 vcc, s2, v16
	v_lshrrev_b32_e32 v16, 8, v11
	v_lshrrev_b32_e32 v11, 16, v11
	v_cndmask_b32_e32 v2, v3, v2, vcc
	v_cmp_ne_u32_e32 vcc, 0, v10
	v_and_b32_sdwa v3, v9, s3 dst_sel:DWORD dst_unused:UNUSED_PAD src0_sel:WORD_1 src1_sel:DWORD
	v_bitop3_b32 v2, v3, s0, v2 bitop3:0xc8
	v_cndmask_b32_e64 v10, 0, 1, vcc
	v_and_or_b32 v10, v16, s1, v10
	v_or_b32_e32 v16, 0x1000, v10
	v_lshrrev_b32_e32 v23, v21, v16
	v_lshlrev_b32_e32 v21, v21, v23
	v_cmp_ne_u32_e32 vcc, v21, v16
	v_lshl_or_b32 v21, v19, 12, v10
	s_nop 0
	v_cndmask_b32_e64 v16, 0, 1, vcc
	v_or_b32_e32 v16, v23, v16
	v_cmp_gt_i32_e32 vcc, 1, v19
	s_nop 1
	v_cndmask_b32_e32 v16, v21, v16, vcc
	v_and_b32_e32 v21, 7, v16
	v_cmp_lt_i32_e32 vcc, 5, v21
	v_lshrrev_b32_e32 v16, 2, v16
	s_nop 0
	v_cndmask_b32_e64 v23, 0, 1, vcc
	v_cmp_eq_u32_e32 vcc, 3, v21
	s_nop 1
	v_cndmask_b32_e64 v21, 0, 1, vcc
	v_or_b32_e32 v21, v21, v23
	v_add_u32_e32 v16, v16, v21
	v_cmp_gt_i32_e32 vcc, 31, v19
	s_nop 1
	v_cndmask_b32_e32 v16, v17, v16, vcc
	v_cmp_ne_u32_e32 vcc, 0, v10
	s_nop 1
	v_cndmask_b32_e32 v10, v17, v18, vcc
	v_cmp_eq_u32_e32 vcc, s2, v19
	s_nop 1
	v_cndmask_b32_e32 v10, v16, v10, vcc
	v_and_or_b32 v10, v11, s3, v10
	v_lshl_or_b32 v2, v10, 16, v2
	global_store_dword v[0:1], v2, off
.LBB497_2017:
	s_mov_b64 s[0:1], 0
.LBB497_2018:
	s_andn2_b64 vcc, exec, s[0:1]
	s_cbranch_vccnz .LBB497_2027
; %bb.2019:
	s_cmp_lt_i32 s15, 6
	s_mov_b64 s[0:1], -1
	s_cbranch_scc1 .LBB497_2025
; %bb.2020:
	s_cmp_gt_i32 s15, 6
	s_cbranch_scc0 .LBB497_2022
; %bb.2021:
	global_store_dwordx2 v[0:1], v[8:9], off
	s_mov_b64 s[0:1], 0
.LBB497_2022:
	s_andn2_b64 vcc, exec, s[0:1]
	s_cbranch_vccnz .LBB497_2024
; %bb.2023:
	v_cvt_f32_f64_e32 v2, v[8:9]
	global_store_dword v[0:1], v2, off
.LBB497_2024:
	s_mov_b64 s[0:1], 0
.LBB497_2025:
	s_andn2_b64 vcc, exec, s[0:1]
	s_cbranch_vccnz .LBB497_2027
; %bb.2026:
	s_movk_i32 s0, 0x1ff
	v_and_or_b32 v2, v9, s0, v8
	v_cmp_ne_u32_e32 vcc, 0, v2
	v_lshrrev_b32_e32 v3, 8, v9
	s_movk_i32 s0, 0xffe
	v_cndmask_b32_e64 v2, 0, 1, vcc
	v_bfe_u32 v10, v9, 20, 11
	v_and_or_b32 v2, v3, s0, v2
	v_sub_u32_e32 v11, 0x3f1, v10
	v_or_b32_e32 v3, 0x1000, v2
	v_med3_i32 v11, v11, 0, 13
	v_lshrrev_b32_e32 v16, v11, v3
	v_lshlrev_b32_e32 v11, v11, v16
	v_cmp_ne_u32_e32 vcc, v11, v3
	v_add_u32_e32 v10, 0xfffffc10, v10
	v_lshl_or_b32 v11, v10, 12, v2
	v_cndmask_b32_e64 v3, 0, 1, vcc
	v_or_b32_e32 v3, v16, v3
	v_cmp_gt_i32_e32 vcc, 1, v10
	s_movk_i32 s0, 0x40f
	s_nop 0
	v_cndmask_b32_e32 v3, v11, v3, vcc
	v_and_b32_e32 v11, 7, v3
	v_cmp_lt_i32_e32 vcc, 5, v11
	v_lshrrev_b32_e32 v3, 2, v3
	s_nop 0
	v_cndmask_b32_e64 v16, 0, 1, vcc
	v_cmp_eq_u32_e32 vcc, 3, v11
	s_nop 1
	v_cndmask_b32_e64 v11, 0, 1, vcc
	v_or_b32_e32 v11, v11, v16
	v_add_u32_e32 v3, v3, v11
	v_mov_b32_e32 v11, 0x7c00
	v_cmp_gt_i32_e32 vcc, 31, v10
	v_mov_b32_e32 v16, 0x7e00
	s_nop 0
	v_cndmask_b32_e32 v3, v11, v3, vcc
	v_cmp_ne_u32_e32 vcc, 0, v2
	s_nop 1
	v_cndmask_b32_e32 v2, v11, v16, vcc
	v_cmp_eq_u32_e32 vcc, s0, v10
	s_mov_b32 s0, 0x8000
	s_nop 0
	v_cndmask_b32_e32 v2, v3, v2, vcc
	v_lshrrev_b32_e32 v3, 16, v9
	v_and_or_b32 v2, v3, s0, v2
	global_store_short v[0:1], v2, off
.LBB497_2027:
	s_mov_b64 s[0:1], 0
.LBB497_2028:
	s_andn2_b64 vcc, exec, s[0:1]
	s_cbranch_vccnz .LBB497_2044
; %bb.2029:
	s_cmp_lt_i32 s15, 2
	s_mov_b64 s[0:1], -1
	s_cbranch_scc1 .LBB497_2039
; %bb.2030:
	s_cmp_lt_i32 s15, 3
	s_cbranch_scc1 .LBB497_2036
; %bb.2031:
	s_cmp_gt_i32 s15, 3
	s_cbranch_scc0 .LBB497_2033
; %bb.2032:
	v_trunc_f64_e32 v[2:3], v[8:9]
	s_movk_i32 s0, 0xffe0
	v_ldexp_f64 v[10:11], v[2:3], s0
	v_floor_f64_e32 v[10:11], v[10:11]
	v_fmac_f64_e32 v[2:3], 0xc1f00000, v[10:11]
	v_cvt_i32_f64_e32 v17, v[10:11]
	v_cvt_u32_f64_e32 v16, v[2:3]
	global_store_dwordx2 v[0:1], v[16:17], off
	s_mov_b64 s[0:1], 0
.LBB497_2033:
	s_andn2_b64 vcc, exec, s[0:1]
	s_cbranch_vccnz .LBB497_2035
; %bb.2034:
	v_cvt_i32_f64_e32 v2, v[8:9]
	global_store_dword v[0:1], v2, off
.LBB497_2035:
	s_mov_b64 s[0:1], 0
.LBB497_2036:
	s_andn2_b64 vcc, exec, s[0:1]
	s_cbranch_vccnz .LBB497_2038
; %bb.2037:
	v_cvt_i32_f64_e32 v2, v[8:9]
	global_store_short v[0:1], v2, off
.LBB497_2038:
	s_mov_b64 s[0:1], 0
.LBB497_2039:
	s_andn2_b64 vcc, exec, s[0:1]
	s_cbranch_vccnz .LBB497_2044
; %bb.2040:
	s_cmp_gt_i32 s15, 0
	s_mov_b64 s[0:1], -1
	s_cbranch_scc0 .LBB497_2042
; %bb.2041:
	v_cvt_i32_f64_e32 v2, v[8:9]
	global_store_byte v[0:1], v2, off
	s_mov_b64 s[0:1], 0
.LBB497_2042:
	s_andn2_b64 vcc, exec, s[0:1]
	s_cbranch_vccnz .LBB497_2044
; %bb.2043:
	v_trunc_f64_e32 v[2:3], v[8:9]
	s_movk_i32 s0, 0xffe0
	v_ldexp_f64 v[8:9], v[2:3], s0
	v_floor_f64_e32 v[8:9], v[8:9]
	v_fmac_f64_e32 v[2:3], 0xc1f00000, v[8:9]
	v_cvt_u32_f64_e32 v2, v[2:3]
	global_store_byte v[0:1], v2, off
.LBB497_2044:
	s_mov_b64 s[6:7], -1
.LBB497_2045:
	s_andn2_b64 vcc, exec, s[6:7]
	s_cbranch_vccnz .LBB497_2241
; %bb.2046:
	v_mov_b32_e32 v23, 0
	s_cmp_lt_i32 s15, 11
	v_lshl_add_u64 v[0:1], s[4:5], 0, v[22:23]
	s_cbranch_scc1 .LBB497_2124
; %bb.2047:
	s_mov_b64 s[10:11], -1
	s_mov_b64 s[2:3], 0
	s_cmp_gt_i32 s15, 25
	s_mov_b64 s[6:7], 0
	s_mov_b64 s[0:1], 0
	s_cbranch_scc0 .LBB497_2080
; %bb.2048:
	s_cmp_gt_i32 s15, 28
	s_cbranch_scc0 .LBB497_2063
; %bb.2049:
	s_cmp_gt_i32 s15, 43
	;; [unrolled: 3-line block ×3, first 2 shown]
	s_cbranch_scc0 .LBB497_2053
; %bb.2051:
	s_mov_b64 s[0:1], -1
	s_mov_b64 s[10:11], 0
	s_cmp_eq_u32 s15, 46
	s_cbranch_scc0 .LBB497_2053
; %bb.2052:
	v_cvt_f32_f64_e32 v3, v[14:15]
	s_movk_i32 s0, 0x7fff
	v_bfe_u32 v9, v3, 16, 1
	v_cvt_f32_f64_e32 v2, v[12:13]
	v_add3_u32 v9, v3, v9, s0
	v_bfe_u32 v8, v2, 16, 1
	v_and_b32_e32 v9, 0xffff0000, v9
	v_mov_b32_e32 v10, 0x7fc00000
	v_cmp_o_f32_e32 vcc, v3, v3
	v_add3_u32 v8, v2, v8, s0
	s_mov_b64 s[0:1], 0
	v_cndmask_b32_e32 v3, v10, v9, vcc
	v_cmp_o_f32_e32 vcc, v2, v2
	v_mov_b32_e32 v2, 0x7fc0
	s_mov_b64 s[6:7], -1
	v_cndmask_b32_sdwa v2, v2, v8, vcc dst_sel:DWORD dst_unused:UNUSED_PAD src0_sel:DWORD src1_sel:WORD_1
	v_or_b32_e32 v2, v3, v2
	global_store_dword v[0:1], v2, off
.LBB497_2053:
	s_and_b64 vcc, exec, s[10:11]
	s_cbranch_vccz .LBB497_2058
; %bb.2054:
	s_cmp_eq_u32 s15, 44
	s_mov_b64 s[0:1], -1
	s_cbranch_scc0 .LBB497_2058
; %bb.2055:
	v_cvt_f32_f64_e32 v2, v[12:13]
	v_bfe_u32 v3, v2, 23, 8
	s_movk_i32 s0, 0xff
	v_cmp_ne_u32_e32 vcc, s0, v3
	v_mov_b32_e32 v8, 0xff
	s_and_saveexec_b64 s[6:7], vcc
; %bb.2056:
	s_mov_b32 s0, 0x3fffff
	v_lshrrev_b32_e32 v8, 23, v2
	v_and_b32_e32 v9, 0x400000, v2
	v_and_or_b32 v2, v2, s0, v3
	v_cmp_ne_u32_e32 vcc, 0, v9
	v_cmp_ne_u32_e64 s[0:1], 0, v2
	s_and_b64 s[0:1], vcc, s[0:1]
	s_nop 0
	v_cndmask_b32_e64 v2, 0, 1, s[0:1]
	v_add_u32_e32 v8, v8, v2
; %bb.2057:
	s_or_b64 exec, exec, s[6:7]
	s_mov_b64 s[0:1], 0
	s_mov_b64 s[6:7], -1
	global_store_byte v[0:1], v8, off
.LBB497_2058:
	s_mov_b64 s[10:11], 0
.LBB497_2059:
	s_and_b64 vcc, exec, s[10:11]
	s_cbranch_vccz .LBB497_2062
; %bb.2060:
	s_cmp_eq_u32 s15, 29
	s_mov_b64 s[0:1], -1
	s_cbranch_scc0 .LBB497_2062
; %bb.2061:
	v_trunc_f64_e32 v[2:3], v[12:13]
	s_movk_i32 s0, 0xffe0
	v_ldexp_f64 v[8:9], v[2:3], s0
	v_floor_f64_e32 v[8:9], v[8:9]
	v_fmac_f64_e32 v[2:3], 0xc1f00000, v[8:9]
	v_cvt_u32_f64_e32 v11, v[8:9]
	v_cvt_u32_f64_e32 v10, v[2:3]
	global_store_dwordx2 v[0:1], v[10:11], off
	s_mov_b64 s[0:1], 0
	s_mov_b64 s[6:7], -1
.LBB497_2062:
	s_mov_b64 s[10:11], 0
.LBB497_2063:
	s_and_b64 vcc, exec, s[10:11]
	s_cbranch_vccz .LBB497_2079
; %bb.2064:
	s_cmp_lt_i32 s15, 27
	s_mov_b64 s[6:7], -1
	s_cbranch_scc1 .LBB497_2070
; %bb.2065:
	s_cmp_gt_i32 s15, 27
	v_cvt_u32_f64_e32 v2, v[12:13]
	s_cbranch_scc0 .LBB497_2067
; %bb.2066:
	s_mov_b64 s[6:7], 0
	global_store_dword v[0:1], v2, off
.LBB497_2067:
	s_andn2_b64 vcc, exec, s[6:7]
	s_cbranch_vccnz .LBB497_2069
; %bb.2068:
	global_store_short v[0:1], v2, off
.LBB497_2069:
	s_mov_b64 s[6:7], 0
.LBB497_2070:
	s_andn2_b64 vcc, exec, s[6:7]
	s_cbranch_vccnz .LBB497_2078
; %bb.2071:
	v_cvt_f32_f64_e32 v2, v[12:13]
	v_and_b32_e32 v3, 0x7fffffff, v2
	s_mov_b32 s6, 0x43800000
	v_cmp_gt_u32_e32 vcc, s6, v3
	v_mov_b32_e32 v8, 0x80
	s_and_saveexec_b64 s[6:7], vcc
	s_cbranch_execz .LBB497_2077
; %bb.2072:
	s_mov_b32 s10, 0x3bffffff
	v_cmp_lt_u32_e32 vcc, s10, v3
	s_mov_b64 s[10:11], 0
                                        ; implicit-def: $vgpr3
	s_and_saveexec_b64 s[12:13], vcc
	s_xor_b64 s[12:13], exec, s[12:13]
	s_cbranch_execz .LBB497_2253
; %bb.2073:
	v_bfe_u32 v3, v2, 20, 1
	s_mov_b32 s16, 0x487ffff
	v_add3_u32 v3, v2, v3, s16
	s_mov_b64 s[10:11], exec
	v_lshrrev_b32_e32 v3, 20, v3
	s_andn2_saveexec_b64 s[12:13], s[12:13]
	s_cbranch_execnz .LBB497_2254
.LBB497_2074:
	s_or_b64 exec, exec, s[12:13]
	v_mov_b32_e32 v8, 0
	s_and_saveexec_b64 s[12:13], s[10:11]
.LBB497_2075:
	v_lshrrev_b32_e32 v2, 24, v2
	s_movk_i32 s10, 0x80
	v_and_or_b32 v8, v2, s10, v3
.LBB497_2076:
	s_or_b64 exec, exec, s[12:13]
.LBB497_2077:
	s_or_b64 exec, exec, s[6:7]
	global_store_byte v[0:1], v8, off
.LBB497_2078:
	s_mov_b64 s[6:7], -1
.LBB497_2079:
	s_mov_b64 s[10:11], 0
.LBB497_2080:
	s_and_b64 vcc, exec, s[10:11]
	s_cbranch_vccz .LBB497_2120
; %bb.2081:
	s_cmp_gt_i32 s15, 22
	s_mov_b64 s[2:3], -1
	s_cbranch_scc0 .LBB497_2113
; %bb.2082:
	s_cmp_lt_i32 s15, 24
	s_cbranch_scc1 .LBB497_2102
; %bb.2083:
	s_cmp_gt_i32 s15, 24
	s_cbranch_scc0 .LBB497_2091
; %bb.2084:
	v_cvt_f32_f64_e32 v2, v[12:13]
	v_and_b32_e32 v3, 0x7fffffff, v2
	s_mov_b32 s2, 0x47800000
	v_cmp_gt_u32_e32 vcc, s2, v3
	v_mov_b32_e32 v8, 0x80
	s_and_saveexec_b64 s[2:3], vcc
	s_cbranch_execz .LBB497_2090
; %bb.2085:
	s_mov_b32 s6, 0x37ffffff
	v_cmp_lt_u32_e32 vcc, s6, v3
	s_mov_b64 s[6:7], 0
                                        ; implicit-def: $vgpr3
	s_and_saveexec_b64 s[10:11], vcc
	s_xor_b64 s[10:11], exec, s[10:11]
	s_cbranch_execz .LBB497_2256
; %bb.2086:
	v_bfe_u32 v3, v2, 21, 1
	s_mov_b32 s12, 0x88fffff
	v_add3_u32 v3, v2, v3, s12
	s_mov_b64 s[6:7], exec
	v_lshrrev_b32_e32 v3, 21, v3
	s_andn2_saveexec_b64 s[10:11], s[10:11]
	s_cbranch_execnz .LBB497_2257
.LBB497_2087:
	s_or_b64 exec, exec, s[10:11]
	v_mov_b32_e32 v8, 0
	s_and_saveexec_b64 s[10:11], s[6:7]
.LBB497_2088:
	v_lshrrev_b32_e32 v2, 24, v2
	s_movk_i32 s6, 0x80
	v_and_or_b32 v8, v2, s6, v3
.LBB497_2089:
	s_or_b64 exec, exec, s[10:11]
.LBB497_2090:
	s_or_b64 exec, exec, s[2:3]
	s_mov_b64 s[2:3], 0
	global_store_byte v[0:1], v8, off
.LBB497_2091:
	s_and_b64 vcc, exec, s[2:3]
	s_cbranch_vccz .LBB497_2101
; %bb.2092:
	v_cvt_f32_f64_e32 v2, v[12:13]
	v_and_b32_e32 v8, 0x7fffffff, v2
	s_mov_b32 s2, 0x43f00000
	v_cmp_gt_u32_e32 vcc, s2, v8
                                        ; implicit-def: $vgpr3
	s_and_saveexec_b64 s[2:3], vcc
	s_xor_b64 s[2:3], exec, s[2:3]
	s_cbranch_execz .LBB497_2098
; %bb.2093:
	s_mov_b32 s6, 0x3c7fffff
	v_cmp_lt_u32_e32 vcc, s6, v8
                                        ; implicit-def: $vgpr3
	s_and_saveexec_b64 s[6:7], vcc
	s_xor_b64 s[6:7], exec, s[6:7]
; %bb.2094:
	v_bfe_u32 v3, v2, 20, 1
	s_mov_b32 s10, 0x407ffff
	v_add3_u32 v3, v2, v3, s10
	v_lshrrev_b32_e32 v8, 20, v3
	v_and_b32_e32 v3, 0xff00000, v3
	s_mov_b32 s10, 0x7f00000
	v_mov_b32_e32 v9, 0x7e
	v_cmp_ne_u32_e32 vcc, s10, v3
	s_nop 1
	v_cndmask_b32_e32 v3, v9, v8, vcc
; %bb.2095:
	s_andn2_saveexec_b64 s[6:7], s[6:7]
; %bb.2096:
	s_mov_b32 s10, 0x46800000
	v_add_f32_e64 v3, |v2|, s10
; %bb.2097:
	s_or_b64 exec, exec, s[6:7]
                                        ; implicit-def: $vgpr8
.LBB497_2098:
	s_andn2_saveexec_b64 s[2:3], s[2:3]
; %bb.2099:
	s_mov_b32 s6, 0x7f800000
	v_mov_b32_e32 v3, 0x7e
	v_mov_b32_e32 v9, 0x7f
	v_cmp_lt_u32_e32 vcc, s6, v8
	s_nop 1
	v_cndmask_b32_e32 v3, v3, v9, vcc
; %bb.2100:
	s_or_b64 exec, exec, s[2:3]
	v_lshrrev_b32_e32 v2, 24, v2
	s_movk_i32 s2, 0x80
	v_and_or_b32 v2, v2, s2, v3
	global_store_byte v[0:1], v2, off
.LBB497_2101:
	s_mov_b64 s[2:3], 0
.LBB497_2102:
	s_andn2_b64 vcc, exec, s[2:3]
	s_cbranch_vccnz .LBB497_2112
; %bb.2103:
	v_cvt_f32_f64_e32 v2, v[12:13]
	v_and_b32_e32 v8, 0x7fffffff, v2
	s_mov_b32 s2, 0x47800000
	v_cmp_gt_u32_e32 vcc, s2, v8
                                        ; implicit-def: $vgpr3
	s_and_saveexec_b64 s[2:3], vcc
	s_xor_b64 s[2:3], exec, s[2:3]
	s_cbranch_execz .LBB497_2109
; %bb.2104:
	s_mov_b32 s6, 0x387fffff
	v_cmp_lt_u32_e32 vcc, s6, v8
                                        ; implicit-def: $vgpr3
	s_and_saveexec_b64 s[6:7], vcc
	s_xor_b64 s[6:7], exec, s[6:7]
; %bb.2105:
	v_bfe_u32 v3, v2, 21, 1
	s_mov_b32 s10, 0x80fffff
	v_add3_u32 v3, v2, v3, s10
	v_lshrrev_b32_e32 v3, 21, v3
; %bb.2106:
	s_andn2_saveexec_b64 s[6:7], s[6:7]
; %bb.2107:
	s_mov_b32 s10, 0x43000000
	v_add_f32_e64 v3, |v2|, s10
; %bb.2108:
	s_or_b64 exec, exec, s[6:7]
                                        ; implicit-def: $vgpr8
.LBB497_2109:
	s_andn2_saveexec_b64 s[2:3], s[2:3]
; %bb.2110:
	s_mov_b32 s6, 0x7f800000
	v_mov_b32_e32 v3, 0x7c
	v_mov_b32_e32 v9, 0x7f
	v_cmp_lt_u32_e32 vcc, s6, v8
	s_nop 1
	v_cndmask_b32_e32 v3, v3, v9, vcc
; %bb.2111:
	s_or_b64 exec, exec, s[2:3]
	v_lshrrev_b32_e32 v2, 24, v2
	s_movk_i32 s2, 0x80
	v_and_or_b32 v2, v2, s2, v3
	global_store_byte v[0:1], v2, off
.LBB497_2112:
	s_mov_b64 s[2:3], 0
	s_mov_b64 s[6:7], -1
.LBB497_2113:
	s_andn2_b64 vcc, exec, s[2:3]
	s_mov_b64 s[2:3], 0
	s_cbranch_vccnz .LBB497_2120
; %bb.2114:
	s_cmp_gt_i32 s15, 14
	s_mov_b64 s[10:11], -1
	s_cbranch_scc0 .LBB497_2118
; %bb.2115:
	s_cmp_eq_u32 s15, 15
	s_mov_b64 s[0:1], -1
	s_cbranch_scc0 .LBB497_2117
; %bb.2116:
	v_cvt_f32_f64_e32 v2, v[12:13]
	v_bfe_u32 v3, v2, 16, 1
	s_movk_i32 s0, 0x7fff
	v_add3_u32 v3, v2, v3, s0
	v_cmp_o_f32_e32 vcc, v2, v2
	v_mov_b32_e32 v2, 0x7fc0
	s_mov_b64 s[0:1], 0
	v_cndmask_b32_sdwa v2, v2, v3, vcc dst_sel:DWORD dst_unused:UNUSED_PAD src0_sel:DWORD src1_sel:WORD_1
	global_store_short v[0:1], v2, off
	s_mov_b64 s[6:7], -1
.LBB497_2117:
	s_mov_b64 s[10:11], 0
.LBB497_2118:
	s_and_b64 vcc, exec, s[10:11]
	s_cbranch_vccz .LBB497_2120
; %bb.2119:
	s_cmp_lg_u32 s15, 11
	s_mov_b64 s[2:3], -1
	s_cselect_b64 s[0:1], -1, 0
.LBB497_2120:
	s_and_b64 vcc, exec, s[0:1]
	s_cbranch_vccnz .LBB497_2255
; %bb.2121:
	s_andn2_b64 vcc, exec, s[2:3]
	s_cbranch_vccnz .LBB497_2123
.LBB497_2122:
	v_cmp_neq_f64_e32 vcc, 0, v[12:13]
	v_cmp_neq_f64_e64 s[0:1], 0, v[14:15]
	s_or_b64 s[0:1], vcc, s[0:1]
	s_mov_b64 s[6:7], -1
	v_cndmask_b32_e64 v2, 0, 1, s[0:1]
	global_store_byte v[0:1], v2, off
.LBB497_2123:
	s_mov_b64 s[0:1], 0
	s_branch .LBB497_2125
.LBB497_2124:
	s_mov_b64 s[0:1], -1
	s_mov_b64 s[6:7], 0
.LBB497_2125:
	s_and_b64 vcc, exec, s[0:1]
	s_cbranch_vccz .LBB497_2164
; %bb.2126:
	s_cmp_lt_i32 s15, 5
	s_mov_b64 s[0:1], -1
	s_cbranch_scc1 .LBB497_2147
; %bb.2127:
	s_cmp_lt_i32 s15, 8
	s_cbranch_scc1 .LBB497_2137
; %bb.2128:
	s_cmp_lt_i32 s15, 9
	s_cbranch_scc1 .LBB497_2134
; %bb.2129:
	s_cmp_gt_i32 s15, 9
	s_cbranch_scc0 .LBB497_2131
; %bb.2130:
	global_store_dwordx4 v[0:1], v[12:15], off
	s_mov_b64 s[0:1], 0
.LBB497_2131:
	s_andn2_b64 vcc, exec, s[0:1]
	s_cbranch_vccnz .LBB497_2133
; %bb.2132:
	v_cvt_f32_f64_e32 v3, v[14:15]
	v_cvt_f32_f64_e32 v2, v[12:13]
	global_store_dwordx2 v[0:1], v[2:3], off
.LBB497_2133:
	s_mov_b64 s[0:1], 0
.LBB497_2134:
	s_andn2_b64 vcc, exec, s[0:1]
	s_cbranch_vccnz .LBB497_2136
; %bb.2135:
	s_movk_i32 s0, 0x1ff
	v_and_or_b32 v2, v13, s0, v12
	v_cmp_ne_u32_e32 vcc, 0, v2
	v_lshrrev_b32_e32 v3, 8, v13
	s_movk_i32 s1, 0xffe
	v_cndmask_b32_e64 v2, 0, 1, vcc
	v_bfe_u32 v8, v13, 20, 11
	v_and_or_b32 v2, v3, s1, v2
	v_sub_u32_e32 v9, 0x3f1, v8
	v_or_b32_e32 v3, 0x1000, v2
	v_med3_i32 v9, v9, 0, 13
	v_lshrrev_b32_e32 v10, v9, v3
	v_lshlrev_b32_e32 v9, v9, v10
	v_cmp_ne_u32_e32 vcc, v9, v3
	v_add_u32_e32 v8, 0xfffffc10, v8
	v_lshl_or_b32 v9, v8, 12, v2
	v_cndmask_b32_e64 v3, 0, 1, vcc
	v_or_b32_e32 v3, v10, v3
	v_cmp_gt_i32_e32 vcc, 1, v8
	s_movk_i32 s2, 0x40f
	v_lshrrev_b32_e32 v11, 8, v15
	v_cndmask_b32_e32 v3, v9, v3, vcc
	v_and_b32_e32 v9, 7, v3
	v_cmp_lt_i32_e32 vcc, 5, v9
	v_lshrrev_b32_e32 v3, 2, v3
	s_mov_b32 s3, 0x8000
	v_cndmask_b32_e64 v10, 0, 1, vcc
	v_cmp_eq_u32_e32 vcc, 3, v9
	s_nop 1
	v_cndmask_b32_e64 v9, 0, 1, vcc
	v_or_b32_e32 v9, v9, v10
	v_add_u32_e32 v3, v3, v9
	v_mov_b32_e32 v9, 0x7c00
	v_cmp_gt_i32_e32 vcc, 31, v8
	v_mov_b32_e32 v10, 0x7e00
	s_nop 0
	v_cndmask_b32_e32 v3, v9, v3, vcc
	v_cmp_ne_u32_e32 vcc, 0, v2
	s_nop 1
	v_cndmask_b32_e32 v2, v9, v10, vcc
	v_cmp_eq_u32_e32 vcc, s2, v8
	v_and_or_b32 v8, v15, s0, v14
	v_bfe_u32 v14, v15, 20, 11
	v_cndmask_b32_e32 v2, v3, v2, vcc
	v_cmp_ne_u32_e32 vcc, 0, v8
	v_sub_u32_e32 v16, 0x3f1, v14
	v_med3_i32 v16, v16, 0, 13
	v_cndmask_b32_e64 v8, 0, 1, vcc
	v_and_or_b32 v8, v11, s1, v8
	v_or_b32_e32 v11, 0x1000, v8
	v_lshrrev_b32_e32 v17, v16, v11
	v_lshlrev_b32_e32 v16, v16, v17
	v_cmp_ne_u32_e32 vcc, v16, v11
	v_add_u32_e32 v14, 0xfffffc10, v14
	v_lshl_or_b32 v16, v14, 12, v8
	v_cndmask_b32_e64 v11, 0, 1, vcc
	v_or_b32_e32 v11, v17, v11
	v_cmp_gt_i32_e32 vcc, 1, v14
	v_and_b32_sdwa v3, v13, s3 dst_sel:DWORD dst_unused:UNUSED_PAD src0_sel:WORD_1 src1_sel:DWORD
	s_mov_b32 s0, 0xffff
	v_cndmask_b32_e32 v11, v16, v11, vcc
	v_and_b32_e32 v16, 7, v11
	v_cmp_lt_i32_e32 vcc, 5, v16
	v_lshrrev_b32_e32 v11, 2, v11
	v_bitop3_b32 v2, v3, s0, v2 bitop3:0xc8
	v_cndmask_b32_e64 v17, 0, 1, vcc
	v_cmp_eq_u32_e32 vcc, 3, v16
	s_nop 1
	v_cndmask_b32_e64 v16, 0, 1, vcc
	v_or_b32_e32 v16, v16, v17
	v_add_u32_e32 v11, v11, v16
	v_cmp_gt_i32_e32 vcc, 31, v14
	s_nop 1
	v_cndmask_b32_e32 v11, v9, v11, vcc
	v_cmp_ne_u32_e32 vcc, 0, v8
	s_nop 1
	v_cndmask_b32_e32 v8, v9, v10, vcc
	v_cmp_eq_u32_e32 vcc, s2, v14
	v_lshrrev_b32_e32 v9, 16, v15
	s_nop 0
	v_cndmask_b32_e32 v8, v11, v8, vcc
	v_and_or_b32 v8, v9, s3, v8
	v_lshl_or_b32 v2, v8, 16, v2
	global_store_dword v[0:1], v2, off
.LBB497_2136:
	s_mov_b64 s[0:1], 0
.LBB497_2137:
	s_andn2_b64 vcc, exec, s[0:1]
	s_cbranch_vccnz .LBB497_2146
; %bb.2138:
	s_cmp_lt_i32 s15, 6
	s_mov_b64 s[0:1], -1
	s_cbranch_scc1 .LBB497_2144
; %bb.2139:
	s_cmp_gt_i32 s15, 6
	s_cbranch_scc0 .LBB497_2141
; %bb.2140:
	global_store_dwordx2 v[0:1], v[12:13], off
	s_mov_b64 s[0:1], 0
.LBB497_2141:
	s_andn2_b64 vcc, exec, s[0:1]
	s_cbranch_vccnz .LBB497_2143
; %bb.2142:
	v_cvt_f32_f64_e32 v2, v[12:13]
	global_store_dword v[0:1], v2, off
.LBB497_2143:
	s_mov_b64 s[0:1], 0
.LBB497_2144:
	s_andn2_b64 vcc, exec, s[0:1]
	s_cbranch_vccnz .LBB497_2146
; %bb.2145:
	s_movk_i32 s0, 0x1ff
	v_and_or_b32 v2, v13, s0, v12
	v_cmp_ne_u32_e32 vcc, 0, v2
	v_lshrrev_b32_e32 v3, 8, v13
	s_movk_i32 s0, 0xffe
	v_cndmask_b32_e64 v2, 0, 1, vcc
	v_bfe_u32 v8, v13, 20, 11
	v_and_or_b32 v2, v3, s0, v2
	v_sub_u32_e32 v9, 0x3f1, v8
	v_or_b32_e32 v3, 0x1000, v2
	v_med3_i32 v9, v9, 0, 13
	v_lshrrev_b32_e32 v10, v9, v3
	v_lshlrev_b32_e32 v9, v9, v10
	v_cmp_ne_u32_e32 vcc, v9, v3
	v_add_u32_e32 v8, 0xfffffc10, v8
	v_lshl_or_b32 v9, v8, 12, v2
	v_cndmask_b32_e64 v3, 0, 1, vcc
	v_or_b32_e32 v3, v10, v3
	v_cmp_gt_i32_e32 vcc, 1, v8
	s_movk_i32 s0, 0x40f
	s_nop 0
	v_cndmask_b32_e32 v3, v9, v3, vcc
	v_and_b32_e32 v9, 7, v3
	v_cmp_lt_i32_e32 vcc, 5, v9
	v_lshrrev_b32_e32 v3, 2, v3
	s_nop 0
	v_cndmask_b32_e64 v10, 0, 1, vcc
	v_cmp_eq_u32_e32 vcc, 3, v9
	s_nop 1
	v_cndmask_b32_e64 v9, 0, 1, vcc
	v_or_b32_e32 v9, v9, v10
	v_add_u32_e32 v3, v3, v9
	v_mov_b32_e32 v9, 0x7c00
	v_cmp_gt_i32_e32 vcc, 31, v8
	v_mov_b32_e32 v10, 0x7e00
	s_nop 0
	v_cndmask_b32_e32 v3, v9, v3, vcc
	v_cmp_ne_u32_e32 vcc, 0, v2
	s_nop 1
	v_cndmask_b32_e32 v2, v9, v10, vcc
	v_cmp_eq_u32_e32 vcc, s0, v8
	s_mov_b32 s0, 0x8000
	s_nop 0
	v_cndmask_b32_e32 v2, v3, v2, vcc
	v_lshrrev_b32_e32 v3, 16, v13
	v_and_or_b32 v2, v3, s0, v2
	global_store_short v[0:1], v2, off
.LBB497_2146:
	s_mov_b64 s[0:1], 0
.LBB497_2147:
	s_andn2_b64 vcc, exec, s[0:1]
	s_cbranch_vccnz .LBB497_2163
; %bb.2148:
	s_cmp_lt_i32 s15, 2
	s_mov_b64 s[0:1], -1
	s_cbranch_scc1 .LBB497_2158
; %bb.2149:
	s_cmp_lt_i32 s15, 3
	s_cbranch_scc1 .LBB497_2155
; %bb.2150:
	s_cmp_gt_i32 s15, 3
	s_cbranch_scc0 .LBB497_2152
; %bb.2151:
	v_trunc_f64_e32 v[2:3], v[12:13]
	s_movk_i32 s0, 0xffe0
	v_ldexp_f64 v[8:9], v[2:3], s0
	v_floor_f64_e32 v[8:9], v[8:9]
	v_fmac_f64_e32 v[2:3], 0xc1f00000, v[8:9]
	v_cvt_i32_f64_e32 v11, v[8:9]
	v_cvt_u32_f64_e32 v10, v[2:3]
	global_store_dwordx2 v[0:1], v[10:11], off
	s_mov_b64 s[0:1], 0
.LBB497_2152:
	s_andn2_b64 vcc, exec, s[0:1]
	s_cbranch_vccnz .LBB497_2154
; %bb.2153:
	v_cvt_i32_f64_e32 v2, v[12:13]
	global_store_dword v[0:1], v2, off
.LBB497_2154:
	s_mov_b64 s[0:1], 0
.LBB497_2155:
	s_andn2_b64 vcc, exec, s[0:1]
	s_cbranch_vccnz .LBB497_2157
; %bb.2156:
	v_cvt_i32_f64_e32 v2, v[12:13]
	global_store_short v[0:1], v2, off
.LBB497_2157:
	s_mov_b64 s[0:1], 0
.LBB497_2158:
	s_andn2_b64 vcc, exec, s[0:1]
	s_cbranch_vccnz .LBB497_2163
; %bb.2159:
	s_cmp_gt_i32 s15, 0
	s_mov_b64 s[0:1], -1
	s_cbranch_scc0 .LBB497_2161
; %bb.2160:
	v_cvt_i32_f64_e32 v2, v[12:13]
	global_store_byte v[0:1], v2, off
	s_mov_b64 s[0:1], 0
.LBB497_2161:
	s_andn2_b64 vcc, exec, s[0:1]
	s_cbranch_vccnz .LBB497_2163
; %bb.2162:
	v_trunc_f64_e32 v[2:3], v[12:13]
	s_movk_i32 s0, 0xffe0
	v_ldexp_f64 v[8:9], v[2:3], s0
	v_floor_f64_e32 v[8:9], v[8:9]
	v_fmac_f64_e32 v[2:3], 0xc1f00000, v[8:9]
	v_cvt_u32_f64_e32 v2, v[2:3]
	global_store_byte v[0:1], v2, off
.LBB497_2163:
	s_mov_b64 s[6:7], -1
.LBB497_2164:
	s_andn2_b64 vcc, exec, s[6:7]
	s_cbranch_vccnz .LBB497_2241
; %bb.2165:
	v_mov_b32_e32 v21, 0
	s_cmp_lt_i32 s15, 11
	v_lshl_add_u64 v[0:1], s[4:5], 0, v[20:21]
	s_cbranch_scc1 .LBB497_2242
; %bb.2166:
	s_mov_b64 s[4:5], -1
	s_mov_b64 s[2:3], 0
	s_cmp_gt_i32 s15, 25
	s_mov_b64 s[0:1], 0
	s_cbranch_scc0 .LBB497_2199
; %bb.2167:
	s_cmp_gt_i32 s15, 28
	s_cbranch_scc0 .LBB497_2183
; %bb.2168:
	s_cmp_gt_i32 s15, 43
	;; [unrolled: 3-line block ×3, first 2 shown]
	s_cbranch_scc0 .LBB497_2173
; %bb.2170:
	s_cmp_eq_u32 s15, 46
	s_mov_b64 s[0:1], -1
	s_cbranch_scc0 .LBB497_2172
; %bb.2171:
	v_cvt_f32_f64_e32 v3, v[6:7]
	s_movk_i32 s0, 0x7fff
	v_bfe_u32 v9, v3, 16, 1
	v_cvt_f32_f64_e32 v2, v[4:5]
	v_add3_u32 v9, v3, v9, s0
	v_bfe_u32 v8, v2, 16, 1
	v_and_b32_e32 v9, 0xffff0000, v9
	v_mov_b32_e32 v10, 0x7fc00000
	v_cmp_o_f32_e32 vcc, v3, v3
	v_add3_u32 v8, v2, v8, s0
	s_mov_b64 s[0:1], 0
	v_cndmask_b32_e32 v3, v10, v9, vcc
	v_cmp_o_f32_e32 vcc, v2, v2
	v_mov_b32_e32 v2, 0x7fc0
	s_nop 0
	v_cndmask_b32_sdwa v2, v2, v8, vcc dst_sel:DWORD dst_unused:UNUSED_PAD src0_sel:DWORD src1_sel:WORD_1
	v_or_b32_e32 v2, v3, v2
	global_store_dword v[0:1], v2, off
.LBB497_2172:
	s_mov_b64 s[4:5], 0
.LBB497_2173:
	s_and_b64 vcc, exec, s[4:5]
	s_cbranch_vccz .LBB497_2178
; %bb.2174:
	s_cmp_eq_u32 s15, 44
	s_mov_b64 s[0:1], -1
	s_cbranch_scc0 .LBB497_2178
; %bb.2175:
	v_cvt_f32_f64_e32 v2, v[4:5]
	v_bfe_u32 v3, v2, 23, 8
	s_movk_i32 s0, 0xff
	v_cmp_ne_u32_e32 vcc, s0, v3
	v_mov_b32_e32 v8, 0xff
	s_and_saveexec_b64 s[4:5], vcc
; %bb.2176:
	s_mov_b32 s0, 0x3fffff
	v_lshrrev_b32_e32 v8, 23, v2
	v_and_b32_e32 v9, 0x400000, v2
	v_and_or_b32 v2, v2, s0, v3
	v_cmp_ne_u32_e32 vcc, 0, v9
	v_cmp_ne_u32_e64 s[0:1], 0, v2
	s_and_b64 s[0:1], vcc, s[0:1]
	s_nop 0
	v_cndmask_b32_e64 v2, 0, 1, s[0:1]
	v_add_u32_e32 v8, v8, v2
; %bb.2177:
	s_or_b64 exec, exec, s[4:5]
	s_mov_b64 s[0:1], 0
	global_store_byte v[0:1], v8, off
.LBB497_2178:
	s_mov_b64 s[4:5], 0
.LBB497_2179:
	s_and_b64 vcc, exec, s[4:5]
	s_cbranch_vccz .LBB497_2182
; %bb.2180:
	s_cmp_eq_u32 s15, 29
	s_mov_b64 s[0:1], -1
	s_cbranch_scc0 .LBB497_2182
; %bb.2181:
	v_trunc_f64_e32 v[2:3], v[4:5]
	s_movk_i32 s0, 0xffe0
	v_ldexp_f64 v[8:9], v[2:3], s0
	v_floor_f64_e32 v[8:9], v[8:9]
	v_fmac_f64_e32 v[2:3], 0xc1f00000, v[8:9]
	v_cvt_u32_f64_e32 v11, v[8:9]
	v_cvt_u32_f64_e32 v10, v[2:3]
	global_store_dwordx2 v[0:1], v[10:11], off
	s_mov_b64 s[0:1], 0
.LBB497_2182:
	s_mov_b64 s[4:5], 0
.LBB497_2183:
	s_and_b64 vcc, exec, s[4:5]
	s_cbranch_vccz .LBB497_2198
; %bb.2184:
	s_cmp_lt_i32 s15, 27
	s_mov_b64 s[4:5], -1
	s_cbranch_scc1 .LBB497_2190
; %bb.2185:
	s_cmp_gt_i32 s15, 27
	s_cbranch_scc0 .LBB497_2187
; %bb.2186:
	v_cvt_u32_f64_e32 v2, v[4:5]
	global_store_dword v[0:1], v2, off
	s_mov_b64 s[4:5], 0
.LBB497_2187:
	s_andn2_b64 vcc, exec, s[4:5]
	s_cbranch_vccnz .LBB497_2189
; %bb.2188:
	v_cvt_u32_f64_e32 v2, v[4:5]
	global_store_short v[0:1], v2, off
.LBB497_2189:
	s_mov_b64 s[4:5], 0
.LBB497_2190:
	s_andn2_b64 vcc, exec, s[4:5]
	s_cbranch_vccnz .LBB497_2198
; %bb.2191:
	v_cvt_f32_f64_e32 v2, v[4:5]
	v_and_b32_e32 v3, 0x7fffffff, v2
	s_mov_b32 s4, 0x43800000
	v_cmp_gt_u32_e32 vcc, s4, v3
	v_mov_b32_e32 v8, 0x80
	s_and_saveexec_b64 s[4:5], vcc
	s_cbranch_execz .LBB497_2197
; %bb.2192:
	s_mov_b32 s6, 0x3bffffff
	v_cmp_lt_u32_e32 vcc, s6, v3
	s_mov_b64 s[6:7], 0
                                        ; implicit-def: $vgpr3
	s_and_saveexec_b64 s[10:11], vcc
	s_xor_b64 s[10:11], exec, s[10:11]
	s_cbranch_execz .LBB497_2258
; %bb.2193:
	v_bfe_u32 v3, v2, 20, 1
	s_mov_b32 s12, 0x487ffff
	v_add3_u32 v3, v2, v3, s12
	s_mov_b64 s[6:7], exec
	v_lshrrev_b32_e32 v3, 20, v3
	s_andn2_saveexec_b64 s[10:11], s[10:11]
	s_cbranch_execnz .LBB497_2259
.LBB497_2194:
	s_or_b64 exec, exec, s[10:11]
	v_mov_b32_e32 v8, 0
	s_and_saveexec_b64 s[10:11], s[6:7]
.LBB497_2195:
	v_lshrrev_b32_e32 v2, 24, v2
	s_movk_i32 s6, 0x80
	v_and_or_b32 v8, v2, s6, v3
.LBB497_2196:
	s_or_b64 exec, exec, s[10:11]
.LBB497_2197:
	s_or_b64 exec, exec, s[4:5]
	global_store_byte v[0:1], v8, off
.LBB497_2198:
	s_mov_b64 s[4:5], 0
.LBB497_2199:
	s_and_b64 vcc, exec, s[4:5]
	s_cbranch_vccz .LBB497_2239
; %bb.2200:
	s_cmp_gt_i32 s15, 22
	s_mov_b64 s[2:3], -1
	s_cbranch_scc0 .LBB497_2232
; %bb.2201:
	s_cmp_lt_i32 s15, 24
	s_cbranch_scc1 .LBB497_2221
; %bb.2202:
	s_cmp_gt_i32 s15, 24
	s_cbranch_scc0 .LBB497_2210
; %bb.2203:
	v_cvt_f32_f64_e32 v2, v[4:5]
	v_and_b32_e32 v3, 0x7fffffff, v2
	s_mov_b32 s2, 0x47800000
	v_cmp_gt_u32_e32 vcc, s2, v3
	v_mov_b32_e32 v8, 0x80
	s_and_saveexec_b64 s[2:3], vcc
	s_cbranch_execz .LBB497_2209
; %bb.2204:
	s_mov_b32 s4, 0x37ffffff
	v_cmp_lt_u32_e32 vcc, s4, v3
	s_mov_b64 s[4:5], 0
                                        ; implicit-def: $vgpr3
	s_and_saveexec_b64 s[6:7], vcc
	s_xor_b64 s[6:7], exec, s[6:7]
	s_cbranch_execz .LBB497_2261
; %bb.2205:
	v_bfe_u32 v3, v2, 21, 1
	s_mov_b32 s10, 0x88fffff
	v_add3_u32 v3, v2, v3, s10
	s_mov_b64 s[4:5], exec
	v_lshrrev_b32_e32 v3, 21, v3
	s_andn2_saveexec_b64 s[6:7], s[6:7]
	s_cbranch_execnz .LBB497_2262
.LBB497_2206:
	s_or_b64 exec, exec, s[6:7]
	v_mov_b32_e32 v8, 0
	s_and_saveexec_b64 s[6:7], s[4:5]
.LBB497_2207:
	v_lshrrev_b32_e32 v2, 24, v2
	s_movk_i32 s4, 0x80
	v_and_or_b32 v8, v2, s4, v3
.LBB497_2208:
	s_or_b64 exec, exec, s[6:7]
.LBB497_2209:
	s_or_b64 exec, exec, s[2:3]
	s_mov_b64 s[2:3], 0
	global_store_byte v[0:1], v8, off
.LBB497_2210:
	s_and_b64 vcc, exec, s[2:3]
	s_cbranch_vccz .LBB497_2220
; %bb.2211:
	v_cvt_f32_f64_e32 v2, v[4:5]
	v_and_b32_e32 v8, 0x7fffffff, v2
	s_mov_b32 s2, 0x43f00000
	v_cmp_gt_u32_e32 vcc, s2, v8
                                        ; implicit-def: $vgpr3
	s_and_saveexec_b64 s[2:3], vcc
	s_xor_b64 s[2:3], exec, s[2:3]
	s_cbranch_execz .LBB497_2217
; %bb.2212:
	s_mov_b32 s4, 0x3c7fffff
	v_cmp_lt_u32_e32 vcc, s4, v8
                                        ; implicit-def: $vgpr3
	s_and_saveexec_b64 s[4:5], vcc
	s_xor_b64 s[4:5], exec, s[4:5]
; %bb.2213:
	v_bfe_u32 v3, v2, 20, 1
	s_mov_b32 s6, 0x407ffff
	v_add3_u32 v3, v2, v3, s6
	v_lshrrev_b32_e32 v8, 20, v3
	v_and_b32_e32 v3, 0xff00000, v3
	s_mov_b32 s6, 0x7f00000
	v_mov_b32_e32 v9, 0x7e
	v_cmp_ne_u32_e32 vcc, s6, v3
	s_nop 1
	v_cndmask_b32_e32 v3, v9, v8, vcc
; %bb.2214:
	s_andn2_saveexec_b64 s[4:5], s[4:5]
; %bb.2215:
	s_mov_b32 s6, 0x46800000
	v_add_f32_e64 v3, |v2|, s6
; %bb.2216:
	s_or_b64 exec, exec, s[4:5]
                                        ; implicit-def: $vgpr8
.LBB497_2217:
	s_andn2_saveexec_b64 s[2:3], s[2:3]
; %bb.2218:
	s_mov_b32 s4, 0x7f800000
	v_mov_b32_e32 v3, 0x7e
	v_mov_b32_e32 v9, 0x7f
	v_cmp_lt_u32_e32 vcc, s4, v8
	s_nop 1
	v_cndmask_b32_e32 v3, v3, v9, vcc
; %bb.2219:
	s_or_b64 exec, exec, s[2:3]
	v_lshrrev_b32_e32 v2, 24, v2
	s_movk_i32 s2, 0x80
	v_and_or_b32 v2, v2, s2, v3
	global_store_byte v[0:1], v2, off
.LBB497_2220:
	s_mov_b64 s[2:3], 0
.LBB497_2221:
	s_andn2_b64 vcc, exec, s[2:3]
	s_cbranch_vccnz .LBB497_2231
; %bb.2222:
	v_cvt_f32_f64_e32 v2, v[4:5]
	v_and_b32_e32 v8, 0x7fffffff, v2
	s_mov_b32 s2, 0x47800000
	v_cmp_gt_u32_e32 vcc, s2, v8
                                        ; implicit-def: $vgpr3
	s_and_saveexec_b64 s[2:3], vcc
	s_xor_b64 s[2:3], exec, s[2:3]
	s_cbranch_execz .LBB497_2228
; %bb.2223:
	s_mov_b32 s4, 0x387fffff
	v_cmp_lt_u32_e32 vcc, s4, v8
                                        ; implicit-def: $vgpr3
	s_and_saveexec_b64 s[4:5], vcc
	s_xor_b64 s[4:5], exec, s[4:5]
; %bb.2224:
	v_bfe_u32 v3, v2, 21, 1
	s_mov_b32 s6, 0x80fffff
	v_add3_u32 v3, v2, v3, s6
	v_lshrrev_b32_e32 v3, 21, v3
; %bb.2225:
	s_andn2_saveexec_b64 s[4:5], s[4:5]
; %bb.2226:
	s_mov_b32 s6, 0x43000000
	v_add_f32_e64 v3, |v2|, s6
; %bb.2227:
	s_or_b64 exec, exec, s[4:5]
                                        ; implicit-def: $vgpr8
.LBB497_2228:
	s_andn2_saveexec_b64 s[2:3], s[2:3]
; %bb.2229:
	s_mov_b32 s4, 0x7f800000
	v_mov_b32_e32 v3, 0x7c
	v_mov_b32_e32 v9, 0x7f
	v_cmp_lt_u32_e32 vcc, s4, v8
	s_nop 1
	v_cndmask_b32_e32 v3, v3, v9, vcc
; %bb.2230:
	s_or_b64 exec, exec, s[2:3]
	v_lshrrev_b32_e32 v2, 24, v2
	s_movk_i32 s2, 0x80
	v_and_or_b32 v2, v2, s2, v3
	global_store_byte v[0:1], v2, off
.LBB497_2231:
	s_mov_b64 s[2:3], 0
.LBB497_2232:
	s_andn2_b64 vcc, exec, s[2:3]
	s_mov_b64 s[2:3], 0
	s_cbranch_vccnz .LBB497_2239
; %bb.2233:
	s_cmp_gt_i32 s15, 14
	s_mov_b64 s[4:5], -1
	s_cbranch_scc0 .LBB497_2237
; %bb.2234:
	s_cmp_eq_u32 s15, 15
	s_mov_b64 s[0:1], -1
	s_cbranch_scc0 .LBB497_2236
; %bb.2235:
	v_cvt_f32_f64_e32 v2, v[4:5]
	v_bfe_u32 v3, v2, 16, 1
	s_movk_i32 s0, 0x7fff
	v_add3_u32 v3, v2, v3, s0
	v_cmp_o_f32_e32 vcc, v2, v2
	v_mov_b32_e32 v2, 0x7fc0
	s_mov_b64 s[0:1], 0
	v_cndmask_b32_sdwa v2, v2, v3, vcc dst_sel:DWORD dst_unused:UNUSED_PAD src0_sel:DWORD src1_sel:WORD_1
	global_store_short v[0:1], v2, off
.LBB497_2236:
	s_mov_b64 s[4:5], 0
.LBB497_2237:
	s_and_b64 vcc, exec, s[4:5]
	s_cbranch_vccz .LBB497_2239
; %bb.2238:
	s_cmp_lg_u32 s15, 11
	s_mov_b64 s[2:3], -1
	s_cselect_b64 s[0:1], -1, 0
.LBB497_2239:
	s_and_b64 vcc, exec, s[0:1]
	s_cbranch_vccnz .LBB497_2260
.LBB497_2240:
	s_mov_b64 s[0:1], 0
	s_branch .LBB497_1842
.LBB497_2241:
	s_mov_b64 s[0:1], 0
                                        ; implicit-def: $vgpr0_vgpr1
                                        ; implicit-def: $sgpr14
	s_branch .LBB497_1841
.LBB497_2242:
	s_mov_b64 s[2:3], 0
	s_mov_b64 s[0:1], -1
	s_branch .LBB497_1842
.LBB497_2243:
	s_andn2_saveexec_b64 s[12:13], s[12:13]
	s_cbranch_execz .LBB497_1790
.LBB497_2244:
	s_mov_b32 s16, 0x46000000
	v_add_f32_e64 v19, |v18|, s16
	v_and_b32_e32 v19, 0xff, v19
	v_cmp_ne_u32_e32 vcc, 0, v19
	s_andn2_b64 s[10:11], s[10:11], exec
	s_and_b64 s[16:17], vcc, exec
	s_or_b64 s[10:11], s[10:11], s[16:17]
	s_or_b64 exec, exec, s[12:13]
	v_mov_b32_e32 v21, 0
	s_and_saveexec_b64 s[12:13], s[10:11]
	s_cbranch_execnz .LBB497_1791
	s_branch .LBB497_1792
.LBB497_2245:
	s_trap 2
	s_or_b64 s[8:9], s[8:9], exec
	s_cbranch_execz .LBB497_1838
	s_branch .LBB497_1839
.LBB497_2246:
	s_andn2_saveexec_b64 s[10:11], s[10:11]
	s_cbranch_execz .LBB497_1803
.LBB497_2247:
	s_mov_b32 s12, 0x42800000
	v_add_f32_e64 v19, |v18|, s12
	v_and_b32_e32 v19, 0xff, v19
	v_cmp_ne_u32_e32 vcc, 0, v19
	s_andn2_b64 s[6:7], s[6:7], exec
	s_and_b64 s[12:13], vcc, exec
	s_or_b64 s[6:7], s[6:7], s[12:13]
	s_or_b64 exec, exec, s[10:11]
	v_mov_b32_e32 v21, 0
	s_and_saveexec_b64 s[10:11], s[6:7]
	s_cbranch_execnz .LBB497_1804
	s_branch .LBB497_1805
.LBB497_2248:
	s_andn2_saveexec_b64 s[12:13], s[12:13]
	s_cbranch_execz .LBB497_1955
.LBB497_2249:
	s_mov_b32 s16, 0x46000000
	v_add_f32_e64 v3, |v2|, s16
	v_and_b32_e32 v3, 0xff, v3
	v_cmp_ne_u32_e32 vcc, 0, v3
	s_andn2_b64 s[10:11], s[10:11], exec
	s_and_b64 s[16:17], vcc, exec
	s_or_b64 s[10:11], s[10:11], s[16:17]
	s_or_b64 exec, exec, s[12:13]
	v_mov_b32_e32 v16, 0
	s_and_saveexec_b64 s[12:13], s[10:11]
	s_cbranch_execnz .LBB497_1956
	s_branch .LBB497_1957
.LBB497_2250:
	s_trap 2
	s_or_b64 s[8:9], s[8:9], exec
	s_cbranch_execz .LBB497_2003
	s_branch .LBB497_2004
.LBB497_2251:
	s_andn2_saveexec_b64 s[10:11], s[10:11]
	s_cbranch_execz .LBB497_1968
.LBB497_2252:
	s_mov_b32 s12, 0x42800000
	v_add_f32_e64 v3, |v2|, s12
	v_and_b32_e32 v3, 0xff, v3
	v_cmp_ne_u32_e32 vcc, 0, v3
	s_andn2_b64 s[6:7], s[6:7], exec
	s_and_b64 s[12:13], vcc, exec
	s_or_b64 s[6:7], s[6:7], s[12:13]
	s_or_b64 exec, exec, s[10:11]
	v_mov_b32_e32 v16, 0
	s_and_saveexec_b64 s[10:11], s[6:7]
	s_cbranch_execnz .LBB497_1969
	s_branch .LBB497_1970
.LBB497_2253:
	s_andn2_saveexec_b64 s[12:13], s[12:13]
	s_cbranch_execz .LBB497_2074
.LBB497_2254:
	s_mov_b32 s16, 0x46000000
	v_add_f32_e64 v3, |v2|, s16
	v_and_b32_e32 v3, 0xff, v3
	v_cmp_ne_u32_e32 vcc, 0, v3
	s_andn2_b64 s[10:11], s[10:11], exec
	s_and_b64 s[16:17], vcc, exec
	s_or_b64 s[10:11], s[10:11], s[16:17]
	s_or_b64 exec, exec, s[12:13]
	v_mov_b32_e32 v8, 0
	s_and_saveexec_b64 s[12:13], s[10:11]
	s_cbranch_execnz .LBB497_2075
	s_branch .LBB497_2076
.LBB497_2255:
	s_trap 2
	s_or_b64 s[8:9], s[8:9], exec
	s_cbranch_execz .LBB497_2122
	s_branch .LBB497_2123
.LBB497_2256:
	s_andn2_saveexec_b64 s[10:11], s[10:11]
	s_cbranch_execz .LBB497_2087
.LBB497_2257:
	s_mov_b32 s12, 0x42800000
	v_add_f32_e64 v3, |v2|, s12
	v_and_b32_e32 v3, 0xff, v3
	v_cmp_ne_u32_e32 vcc, 0, v3
	s_andn2_b64 s[6:7], s[6:7], exec
	s_and_b64 s[12:13], vcc, exec
	s_or_b64 s[6:7], s[6:7], s[12:13]
	s_or_b64 exec, exec, s[10:11]
	v_mov_b32_e32 v8, 0
	s_and_saveexec_b64 s[10:11], s[6:7]
	s_cbranch_execnz .LBB497_2088
	s_branch .LBB497_2089
.LBB497_2258:
	s_andn2_saveexec_b64 s[10:11], s[10:11]
	s_cbranch_execz .LBB497_2194
.LBB497_2259:
	s_mov_b32 s12, 0x46000000
	v_add_f32_e64 v3, |v2|, s12
	v_and_b32_e32 v3, 0xff, v3
	v_cmp_ne_u32_e32 vcc, 0, v3
	s_andn2_b64 s[6:7], s[6:7], exec
	s_and_b64 s[12:13], vcc, exec
	s_or_b64 s[6:7], s[6:7], s[12:13]
	s_or_b64 exec, exec, s[10:11]
	v_mov_b32_e32 v8, 0
	s_and_saveexec_b64 s[10:11], s[6:7]
	s_cbranch_execnz .LBB497_2195
	s_branch .LBB497_2196
.LBB497_2260:
	s_mov_b64 s[2:3], 0
	s_or_b64 s[8:9], s[8:9], exec
	s_trap 2
	s_branch .LBB497_2240
.LBB497_2261:
	s_andn2_saveexec_b64 s[6:7], s[6:7]
	s_cbranch_execz .LBB497_2206
.LBB497_2262:
	s_mov_b32 s10, 0x42800000
	v_add_f32_e64 v3, |v2|, s10
	v_and_b32_e32 v3, 0xff, v3
	v_cmp_ne_u32_e32 vcc, 0, v3
	s_andn2_b64 s[4:5], s[4:5], exec
	s_and_b64 s[10:11], vcc, exec
	s_or_b64 s[4:5], s[4:5], s[10:11]
	s_or_b64 exec, exec, s[6:7]
	v_mov_b32_e32 v8, 0
	s_and_saveexec_b64 s[6:7], s[4:5]
	s_cbranch_execnz .LBB497_2207
	s_branch .LBB497_2208
	.section	.rodata,"a",@progbits
	.p2align	6, 0x0
	.amdhsa_kernel _ZN2at6native32elementwise_kernel_manual_unrollILi128ELi4EZNS0_15gpu_kernel_implIZZZNS0_22nan_to_num_kernel_cudaERNS_18TensorIteratorBaseESt8optionalIdES6_S6_ENKUlvE_clEvENKUlvE_clEvEUlN3c107complexIdEEE_EEvS4_RKT_EUlibE0_EEviT1_
		.amdhsa_group_segment_fixed_size 0
		.amdhsa_private_segment_fixed_size 0
		.amdhsa_kernarg_size 384
		.amdhsa_user_sgpr_count 2
		.amdhsa_user_sgpr_dispatch_ptr 0
		.amdhsa_user_sgpr_queue_ptr 0
		.amdhsa_user_sgpr_kernarg_segment_ptr 1
		.amdhsa_user_sgpr_dispatch_id 0
		.amdhsa_user_sgpr_kernarg_preload_length 0
		.amdhsa_user_sgpr_kernarg_preload_offset 0
		.amdhsa_user_sgpr_private_segment_size 0
		.amdhsa_uses_dynamic_stack 0
		.amdhsa_enable_private_segment 0
		.amdhsa_system_sgpr_workgroup_id_x 1
		.amdhsa_system_sgpr_workgroup_id_y 0
		.amdhsa_system_sgpr_workgroup_id_z 0
		.amdhsa_system_sgpr_workgroup_info 0
		.amdhsa_system_vgpr_workitem_id 0
		.amdhsa_next_free_vgpr 30
		.amdhsa_next_free_sgpr 84
		.amdhsa_accum_offset 32
		.amdhsa_reserve_vcc 1
		.amdhsa_float_round_mode_32 0
		.amdhsa_float_round_mode_16_64 0
		.amdhsa_float_denorm_mode_32 3
		.amdhsa_float_denorm_mode_16_64 3
		.amdhsa_dx10_clamp 1
		.amdhsa_ieee_mode 1
		.amdhsa_fp16_overflow 0
		.amdhsa_tg_split 0
		.amdhsa_exception_fp_ieee_invalid_op 0
		.amdhsa_exception_fp_denorm_src 0
		.amdhsa_exception_fp_ieee_div_zero 0
		.amdhsa_exception_fp_ieee_overflow 0
		.amdhsa_exception_fp_ieee_underflow 0
		.amdhsa_exception_fp_ieee_inexact 0
		.amdhsa_exception_int_div_zero 0
	.end_amdhsa_kernel
	.section	.text._ZN2at6native32elementwise_kernel_manual_unrollILi128ELi4EZNS0_15gpu_kernel_implIZZZNS0_22nan_to_num_kernel_cudaERNS_18TensorIteratorBaseESt8optionalIdES6_S6_ENKUlvE_clEvENKUlvE_clEvEUlN3c107complexIdEEE_EEvS4_RKT_EUlibE0_EEviT1_,"axG",@progbits,_ZN2at6native32elementwise_kernel_manual_unrollILi128ELi4EZNS0_15gpu_kernel_implIZZZNS0_22nan_to_num_kernel_cudaERNS_18TensorIteratorBaseESt8optionalIdES6_S6_ENKUlvE_clEvENKUlvE_clEvEUlN3c107complexIdEEE_EEvS4_RKT_EUlibE0_EEviT1_,comdat
.Lfunc_end497:
	.size	_ZN2at6native32elementwise_kernel_manual_unrollILi128ELi4EZNS0_15gpu_kernel_implIZZZNS0_22nan_to_num_kernel_cudaERNS_18TensorIteratorBaseESt8optionalIdES6_S6_ENKUlvE_clEvENKUlvE_clEvEUlN3c107complexIdEEE_EEvS4_RKT_EUlibE0_EEviT1_, .Lfunc_end497-_ZN2at6native32elementwise_kernel_manual_unrollILi128ELi4EZNS0_15gpu_kernel_implIZZZNS0_22nan_to_num_kernel_cudaERNS_18TensorIteratorBaseESt8optionalIdES6_S6_ENKUlvE_clEvENKUlvE_clEvEUlN3c107complexIdEEE_EEvS4_RKT_EUlibE0_EEviT1_
                                        ; -- End function
	.set _ZN2at6native32elementwise_kernel_manual_unrollILi128ELi4EZNS0_15gpu_kernel_implIZZZNS0_22nan_to_num_kernel_cudaERNS_18TensorIteratorBaseESt8optionalIdES6_S6_ENKUlvE_clEvENKUlvE_clEvEUlN3c107complexIdEEE_EEvS4_RKT_EUlibE0_EEviT1_.num_vgpr, 30
	.set _ZN2at6native32elementwise_kernel_manual_unrollILi128ELi4EZNS0_15gpu_kernel_implIZZZNS0_22nan_to_num_kernel_cudaERNS_18TensorIteratorBaseESt8optionalIdES6_S6_ENKUlvE_clEvENKUlvE_clEvEUlN3c107complexIdEEE_EEvS4_RKT_EUlibE0_EEviT1_.num_agpr, 0
	.set _ZN2at6native32elementwise_kernel_manual_unrollILi128ELi4EZNS0_15gpu_kernel_implIZZZNS0_22nan_to_num_kernel_cudaERNS_18TensorIteratorBaseESt8optionalIdES6_S6_ENKUlvE_clEvENKUlvE_clEvEUlN3c107complexIdEEE_EEvS4_RKT_EUlibE0_EEviT1_.numbered_sgpr, 84
	.set _ZN2at6native32elementwise_kernel_manual_unrollILi128ELi4EZNS0_15gpu_kernel_implIZZZNS0_22nan_to_num_kernel_cudaERNS_18TensorIteratorBaseESt8optionalIdES6_S6_ENKUlvE_clEvENKUlvE_clEvEUlN3c107complexIdEEE_EEvS4_RKT_EUlibE0_EEviT1_.num_named_barrier, 0
	.set _ZN2at6native32elementwise_kernel_manual_unrollILi128ELi4EZNS0_15gpu_kernel_implIZZZNS0_22nan_to_num_kernel_cudaERNS_18TensorIteratorBaseESt8optionalIdES6_S6_ENKUlvE_clEvENKUlvE_clEvEUlN3c107complexIdEEE_EEvS4_RKT_EUlibE0_EEviT1_.private_seg_size, 0
	.set _ZN2at6native32elementwise_kernel_manual_unrollILi128ELi4EZNS0_15gpu_kernel_implIZZZNS0_22nan_to_num_kernel_cudaERNS_18TensorIteratorBaseESt8optionalIdES6_S6_ENKUlvE_clEvENKUlvE_clEvEUlN3c107complexIdEEE_EEvS4_RKT_EUlibE0_EEviT1_.uses_vcc, 1
	.set _ZN2at6native32elementwise_kernel_manual_unrollILi128ELi4EZNS0_15gpu_kernel_implIZZZNS0_22nan_to_num_kernel_cudaERNS_18TensorIteratorBaseESt8optionalIdES6_S6_ENKUlvE_clEvENKUlvE_clEvEUlN3c107complexIdEEE_EEvS4_RKT_EUlibE0_EEviT1_.uses_flat_scratch, 0
	.set _ZN2at6native32elementwise_kernel_manual_unrollILi128ELi4EZNS0_15gpu_kernel_implIZZZNS0_22nan_to_num_kernel_cudaERNS_18TensorIteratorBaseESt8optionalIdES6_S6_ENKUlvE_clEvENKUlvE_clEvEUlN3c107complexIdEEE_EEvS4_RKT_EUlibE0_EEviT1_.has_dyn_sized_stack, 0
	.set _ZN2at6native32elementwise_kernel_manual_unrollILi128ELi4EZNS0_15gpu_kernel_implIZZZNS0_22nan_to_num_kernel_cudaERNS_18TensorIteratorBaseESt8optionalIdES6_S6_ENKUlvE_clEvENKUlvE_clEvEUlN3c107complexIdEEE_EEvS4_RKT_EUlibE0_EEviT1_.has_recursion, 0
	.set _ZN2at6native32elementwise_kernel_manual_unrollILi128ELi4EZNS0_15gpu_kernel_implIZZZNS0_22nan_to_num_kernel_cudaERNS_18TensorIteratorBaseESt8optionalIdES6_S6_ENKUlvE_clEvENKUlvE_clEvEUlN3c107complexIdEEE_EEvS4_RKT_EUlibE0_EEviT1_.has_indirect_call, 0
	.section	.AMDGPU.csdata,"",@progbits
; Kernel info:
; codeLenInByte = 45084
; TotalNumSgprs: 90
; NumVgprs: 30
; NumAgprs: 0
; TotalNumVgprs: 30
; ScratchSize: 0
; MemoryBound: 1
; FloatMode: 240
; IeeeMode: 1
; LDSByteSize: 0 bytes/workgroup (compile time only)
; SGPRBlocks: 11
; VGPRBlocks: 3
; NumSGPRsForWavesPerEU: 90
; NumVGPRsForWavesPerEU: 30
; AccumOffset: 32
; Occupancy: 8
; WaveLimiterHint : 1
; COMPUTE_PGM_RSRC2:SCRATCH_EN: 0
; COMPUTE_PGM_RSRC2:USER_SGPR: 2
; COMPUTE_PGM_RSRC2:TRAP_HANDLER: 0
; COMPUTE_PGM_RSRC2:TGID_X_EN: 1
; COMPUTE_PGM_RSRC2:TGID_Y_EN: 0
; COMPUTE_PGM_RSRC2:TGID_Z_EN: 0
; COMPUTE_PGM_RSRC2:TIDIG_COMP_CNT: 0
; COMPUTE_PGM_RSRC3_GFX90A:ACCUM_OFFSET: 7
; COMPUTE_PGM_RSRC3_GFX90A:TG_SPLIT: 0
	.section	.text._ZN2at6native29vectorized_elementwise_kernelILi16EZZZNS0_22nan_to_num_kernel_cudaERNS_18TensorIteratorBaseESt8optionalIdES5_S5_ENKUlvE_clEvENKUlvE0_clEvEUlN3c107complexIfEEE_St5arrayIPcLm2EEEEviT0_T1_,"axG",@progbits,_ZN2at6native29vectorized_elementwise_kernelILi16EZZZNS0_22nan_to_num_kernel_cudaERNS_18TensorIteratorBaseESt8optionalIdES5_S5_ENKUlvE_clEvENKUlvE0_clEvEUlN3c107complexIfEEE_St5arrayIPcLm2EEEEviT0_T1_,comdat
	.globl	_ZN2at6native29vectorized_elementwise_kernelILi16EZZZNS0_22nan_to_num_kernel_cudaERNS_18TensorIteratorBaseESt8optionalIdES5_S5_ENKUlvE_clEvENKUlvE0_clEvEUlN3c107complexIfEEE_St5arrayIPcLm2EEEEviT0_T1_ ; -- Begin function _ZN2at6native29vectorized_elementwise_kernelILi16EZZZNS0_22nan_to_num_kernel_cudaERNS_18TensorIteratorBaseESt8optionalIdES5_S5_ENKUlvE_clEvENKUlvE0_clEvEUlN3c107complexIfEEE_St5arrayIPcLm2EEEEviT0_T1_
	.p2align	8
	.type	_ZN2at6native29vectorized_elementwise_kernelILi16EZZZNS0_22nan_to_num_kernel_cudaERNS_18TensorIteratorBaseESt8optionalIdES5_S5_ENKUlvE_clEvENKUlvE0_clEvEUlN3c107complexIfEEE_St5arrayIPcLm2EEEEviT0_T1_,@function
_ZN2at6native29vectorized_elementwise_kernelILi16EZZZNS0_22nan_to_num_kernel_cudaERNS_18TensorIteratorBaseESt8optionalIdES5_S5_ENKUlvE_clEvENKUlvE0_clEvEUlN3c107complexIfEEE_St5arrayIPcLm2EEEEviT0_T1_: ; @_ZN2at6native29vectorized_elementwise_kernelILi16EZZZNS0_22nan_to_num_kernel_cudaERNS_18TensorIteratorBaseESt8optionalIdES5_S5_ENKUlvE_clEvENKUlvE0_clEvEUlN3c107complexIfEEE_St5arrayIPcLm2EEEEviT0_T1_
; %bb.0:
	s_load_dwordx8 s[4:11], s[0:1], 0x0
	s_lshl_b32 s2, s2, 10
	s_mov_b64 s[0:1], -1
	s_waitcnt lgkmcnt(0)
	s_sub_i32 s16, s4, s2
	s_cmpk_gt_i32 s16, 0x3ff
	s_cbranch_scc0 .LBB498_34
; %bb.1:
	s_ashr_i32 s3, s2, 31
	s_lshl_b64 s[0:1], s[2:3], 3
	s_add_u32 s12, s10, s0
	s_addc_u32 s13, s11, s1
	v_lshlrev_b32_e32 v1, 5, v0
	global_load_dwordx4 v[10:13], v1, s[12:13]
	global_load_dwordx4 v[6:9], v1, s[12:13] offset:16
	v_mov_b32_e32 v2, s5
	s_waitcnt vmcnt(1)
	v_cmp_o_f32_e32 vcc, v10, v10
	s_and_saveexec_b64 s[12:13], vcc
	s_cbranch_execz .LBB498_5
; %bb.2:
	s_mov_b32 s3, 0x7f800000
	v_cmp_neq_f32_e32 vcc, s3, v10
	v_mov_b32_e32 v2, s6
	s_and_saveexec_b64 s[14:15], vcc
; %bb.3:
	s_mov_b32 s3, 0xff800000
	v_mov_b32_e32 v2, s7
	v_cmp_eq_f32_e32 vcc, s3, v10
	s_nop 1
	v_cndmask_b32_e32 v2, v10, v2, vcc
; %bb.4:
	s_or_b64 exec, exec, s[14:15]
.LBB498_5:
	s_or_b64 exec, exec, s[12:13]
	v_cmp_o_f32_e32 vcc, v11, v11
	v_mov_b32_e32 v3, s5
	s_and_saveexec_b64 s[12:13], vcc
	s_cbranch_execz .LBB498_9
; %bb.6:
	s_mov_b32 s3, 0x7f800000
	v_cmp_neq_f32_e32 vcc, s3, v11
	v_mov_b32_e32 v3, s6
	s_and_saveexec_b64 s[14:15], vcc
; %bb.7:
	s_mov_b32 s3, 0xff800000
	v_mov_b32_e32 v3, s7
	v_cmp_eq_f32_e32 vcc, s3, v11
	s_nop 1
	v_cndmask_b32_e32 v3, v11, v3, vcc
; %bb.8:
	s_or_b64 exec, exec, s[14:15]
.LBB498_9:
	s_or_b64 exec, exec, s[12:13]
	v_cmp_o_f32_e32 vcc, v12, v12
	v_mov_b32_e32 v4, s5
	;; [unrolled: 19-line block ×3, first 2 shown]
	s_and_saveexec_b64 s[12:13], vcc
	s_cbranch_execz .LBB498_17
; %bb.14:
	s_mov_b32 s3, 0x7f800000
	v_cmp_neq_f32_e32 vcc, s3, v13
	v_mov_b32_e32 v5, s6
	s_and_saveexec_b64 s[14:15], vcc
; %bb.15:
	s_mov_b32 s3, 0xff800000
	v_mov_b32_e32 v5, s7
	v_cmp_eq_f32_e32 vcc, s3, v13
	s_nop 1
	v_cndmask_b32_e32 v5, v13, v5, vcc
; %bb.16:
	s_or_b64 exec, exec, s[14:15]
.LBB498_17:
	s_or_b64 exec, exec, s[12:13]
	s_waitcnt vmcnt(0)
	v_cmp_o_f32_e32 vcc, v6, v6
	v_mov_b32_e32 v10, s5
	s_and_saveexec_b64 s[12:13], vcc
	s_cbranch_execz .LBB498_21
; %bb.18:
	s_mov_b32 s3, 0x7f800000
	v_cmp_neq_f32_e32 vcc, s3, v6
	v_mov_b32_e32 v10, s6
	s_and_saveexec_b64 s[14:15], vcc
; %bb.19:
	s_mov_b32 s3, 0xff800000
	v_mov_b32_e32 v10, s7
	v_cmp_eq_f32_e32 vcc, s3, v6
	s_nop 1
	v_cndmask_b32_e32 v10, v6, v10, vcc
; %bb.20:
	s_or_b64 exec, exec, s[14:15]
.LBB498_21:
	s_or_b64 exec, exec, s[12:13]
	v_cmp_o_f32_e32 vcc, v7, v7
	v_mov_b32_e32 v11, s5
	s_and_saveexec_b64 s[12:13], vcc
	s_cbranch_execz .LBB498_25
; %bb.22:
	s_mov_b32 s3, 0x7f800000
	v_cmp_neq_f32_e32 vcc, s3, v7
	v_mov_b32_e32 v11, s6
	s_and_saveexec_b64 s[14:15], vcc
; %bb.23:
	s_mov_b32 s3, 0xff800000
	v_mov_b32_e32 v6, s7
	v_cmp_eq_f32_e32 vcc, s3, v7
	s_nop 1
	v_cndmask_b32_e32 v11, v7, v6, vcc
; %bb.24:
	s_or_b64 exec, exec, s[14:15]
.LBB498_25:
	s_or_b64 exec, exec, s[12:13]
	;; [unrolled: 19-line block ×4, first 2 shown]
	s_add_u32 s0, s8, s0
	s_addc_u32 s1, s9, s1
	global_store_dwordx4 v1, v[2:5], s[0:1]
	global_store_dwordx4 v1, v[10:13], s[0:1] offset:16
	s_mov_b64 s[0:1], 0
.LBB498_34:
	s_and_b64 vcc, exec, s[0:1]
	s_cbranch_vccz .LBB498_79
; %bb.35:
	v_cmp_gt_i32_e32 vcc, s16, v0
	v_mov_b32_e32 v12, 0
	v_or_b32_e32 v2, s2, v0
	v_mov_b32_e32 v1, v0
	v_mov_b32_e32 v8, 0
	;; [unrolled: 1-line block ×3, first 2 shown]
	s_and_saveexec_b64 s[0:1], vcc
	s_cbranch_execz .LBB498_37
; %bb.36:
	v_mov_b32_e32 v3, 0
	v_lshl_add_u64 v[4:5], v[2:3], 3, s[10:11]
	global_load_dwordx2 v[8:9], v[4:5], off
	v_or_b32_e32 v1, 0x100, v0
.LBB498_37:
	s_or_b64 exec, exec, s[0:1]
	v_cmp_gt_i32_e64 s[0:1], s16, v1
	v_mov_b32_e32 v13, 0
	s_and_saveexec_b64 s[12:13], s[0:1]
	s_cbranch_execz .LBB498_39
; %bb.38:
	v_add_u32_e32 v4, s2, v1
	v_mov_b32_e32 v5, 0
	v_lshl_add_u64 v[4:5], v[4:5], 3, s[10:11]
	global_load_dwordx2 v[12:13], v[4:5], off
	v_add_u32_e32 v1, 0x100, v1
.LBB498_39:
	s_or_b64 exec, exec, s[12:13]
	v_cmp_gt_i32_e64 s[0:1], s16, v1
	v_mov_b32_e32 v4, 0
	v_mov_b32_e32 v10, 0
	;; [unrolled: 1-line block ×3, first 2 shown]
	s_and_saveexec_b64 s[12:13], s[0:1]
	s_cbranch_execz .LBB498_41
; %bb.40:
	v_add_u32_e32 v6, s2, v1
	v_mov_b32_e32 v7, 0
	v_lshl_add_u64 v[6:7], v[6:7], 3, s[10:11]
	global_load_dwordx2 v[10:11], v[6:7], off
	v_add_u32_e32 v1, 0x100, v1
.LBB498_41:
	s_or_b64 exec, exec, s[12:13]
	v_cmp_gt_i32_e64 s[0:1], s16, v1
	v_mov_b32_e32 v5, 0
	s_and_saveexec_b64 s[12:13], s[0:1]
	s_cbranch_execz .LBB498_43
; %bb.42:
	v_add_u32_e32 v4, s2, v1
	v_mov_b32_e32 v5, 0
	v_lshl_add_u64 v[4:5], v[4:5], 3, s[10:11]
	global_load_dwordx2 v[4:5], v[4:5], off
.LBB498_43:
	s_or_b64 exec, exec, s[12:13]
	v_mov_b32_e32 v7, 0
	v_mov_b32_e32 v6, 0
	s_and_saveexec_b64 s[10:11], vcc
	s_cbranch_execz .LBB498_53
; %bb.44:
	s_waitcnt vmcnt(0)
	v_cmp_o_f32_e64 s[0:1], v8, v8
	v_mov_b32_e32 v6, s5
	s_and_saveexec_b64 s[12:13], s[0:1]
	s_cbranch_execz .LBB498_48
; %bb.45:
	s_mov_b32 s0, 0x7f800000
	v_cmp_neq_f32_e64 s[0:1], s0, v8
	v_mov_b32_e32 v6, s6
	s_and_saveexec_b64 s[14:15], s[0:1]
; %bb.46:
	s_mov_b32 s0, 0xff800000
	v_mov_b32_e32 v1, s7
	v_cmp_eq_f32_e64 s[0:1], s0, v8
	s_nop 1
	v_cndmask_b32_e64 v6, v8, v1, s[0:1]
; %bb.47:
	s_or_b64 exec, exec, s[14:15]
.LBB498_48:
	s_or_b64 exec, exec, s[12:13]
	v_cmp_o_f32_e64 s[0:1], v9, v9
	v_mov_b32_e32 v7, s5
	s_and_saveexec_b64 s[12:13], s[0:1]
	s_cbranch_execz .LBB498_52
; %bb.49:
	s_mov_b32 s0, 0x7f800000
	v_cmp_neq_f32_e64 s[0:1], s0, v9
	v_mov_b32_e32 v7, s6
	s_and_saveexec_b64 s[14:15], s[0:1]
; %bb.50:
	s_mov_b32 s0, 0xff800000
	v_mov_b32_e32 v1, s7
	v_cmp_eq_f32_e64 s[0:1], s0, v9
	s_nop 1
	v_cndmask_b32_e64 v7, v9, v1, s[0:1]
; %bb.51:
	s_or_b64 exec, exec, s[14:15]
.LBB498_52:
	s_or_b64 exec, exec, s[12:13]
.LBB498_53:
	s_or_b64 exec, exec, s[10:11]
	v_or_b32_e32 v1, 0x100, v0
	v_cmp_gt_i32_e64 s[0:1], s16, v1
	s_waitcnt vmcnt(0)
	v_mov_b32_e32 v9, 0
	v_mov_b32_e32 v8, 0
	s_and_saveexec_b64 s[10:11], s[0:1]
	s_cbranch_execz .LBB498_63
; %bb.54:
	v_cmp_o_f32_e64 s[0:1], v12, v12
	v_mov_b32_e32 v8, s5
	s_and_saveexec_b64 s[12:13], s[0:1]
	s_cbranch_execz .LBB498_58
; %bb.55:
	s_mov_b32 s0, 0x7f800000
	v_cmp_neq_f32_e64 s[0:1], s0, v12
	v_mov_b32_e32 v8, s6
	s_and_saveexec_b64 s[14:15], s[0:1]
; %bb.56:
	s_mov_b32 s0, 0xff800000
	v_mov_b32_e32 v3, s7
	v_cmp_eq_f32_e64 s[0:1], s0, v12
	s_nop 1
	v_cndmask_b32_e64 v8, v12, v3, s[0:1]
; %bb.57:
	s_or_b64 exec, exec, s[14:15]
.LBB498_58:
	s_or_b64 exec, exec, s[12:13]
	v_cmp_o_f32_e64 s[0:1], v13, v13
	v_mov_b32_e32 v9, s5
	s_and_saveexec_b64 s[12:13], s[0:1]
	s_cbranch_execz .LBB498_62
; %bb.59:
	s_mov_b32 s0, 0x7f800000
	v_cmp_neq_f32_e64 s[0:1], s0, v13
	v_mov_b32_e32 v9, s6
	s_and_saveexec_b64 s[14:15], s[0:1]
; %bb.60:
	s_mov_b32 s0, 0xff800000
	v_mov_b32_e32 v3, s7
	v_cmp_eq_f32_e64 s[0:1], s0, v13
	s_nop 1
	v_cndmask_b32_e64 v9, v13, v3, s[0:1]
; %bb.61:
	s_or_b64 exec, exec, s[14:15]
.LBB498_62:
	s_or_b64 exec, exec, s[12:13]
.LBB498_63:
	s_or_b64 exec, exec, s[10:11]
	v_or_b32_e32 v3, 0x200, v0
	v_cmp_gt_i32_e64 s[0:1], s16, v3
	v_mov_b32_e32 v13, 0
	v_mov_b32_e32 v12, 0
	s_and_saveexec_b64 s[10:11], s[0:1]
	s_cbranch_execz .LBB498_73
; %bb.64:
	v_cmp_o_f32_e64 s[0:1], v10, v10
	v_mov_b32_e32 v12, s5
	s_and_saveexec_b64 s[12:13], s[0:1]
	s_cbranch_execz .LBB498_68
; %bb.65:
	s_mov_b32 s0, 0x7f800000
	v_cmp_neq_f32_e64 s[0:1], s0, v10
	v_mov_b32_e32 v12, s6
	s_and_saveexec_b64 s[14:15], s[0:1]
; %bb.66:
	s_mov_b32 s0, 0xff800000
	v_mov_b32_e32 v3, s7
	v_cmp_eq_f32_e64 s[0:1], s0, v10
	s_nop 1
	v_cndmask_b32_e64 v12, v10, v3, s[0:1]
; %bb.67:
	s_or_b64 exec, exec, s[14:15]
.LBB498_68:
	s_or_b64 exec, exec, s[12:13]
	v_cmp_o_f32_e64 s[0:1], v11, v11
	v_mov_b32_e32 v13, s5
	s_and_saveexec_b64 s[12:13], s[0:1]
	s_cbranch_execz .LBB498_72
; %bb.69:
	s_mov_b32 s0, 0x7f800000
	v_cmp_neq_f32_e64 s[0:1], s0, v11
	v_mov_b32_e32 v13, s6
	s_and_saveexec_b64 s[14:15], s[0:1]
; %bb.70:
	s_mov_b32 s0, 0xff800000
	v_mov_b32_e32 v3, s7
	v_cmp_eq_f32_e64 s[0:1], s0, v11
	s_nop 1
	v_cndmask_b32_e64 v13, v11, v3, s[0:1]
; %bb.71:
	s_or_b64 exec, exec, s[14:15]
.LBB498_72:
	s_or_b64 exec, exec, s[12:13]
.LBB498_73:
	s_or_b64 exec, exec, s[10:11]
	v_or_b32_e32 v3, 0x300, v0
	v_cmp_gt_i32_e64 s[0:1], s16, v3
	v_mov_b32_e32 v11, 0
	v_mov_b32_e32 v10, 0
	s_and_saveexec_b64 s[10:11], s[0:1]
	s_cbranch_execnz .LBB498_80
; %bb.74:
	s_or_b64 exec, exec, s[10:11]
	s_and_saveexec_b64 s[0:1], vcc
	s_xor_b64 s[0:1], exec, s[0:1]
	s_cbranch_execnz .LBB498_89
.LBB498_75:
	s_or_b64 exec, exec, s[0:1]
	v_cmp_gt_i32_e32 vcc, s16, v0
	s_and_saveexec_b64 s[0:1], vcc
	s_cbranch_execnz .LBB498_90
.LBB498_76:
	s_or_b64 exec, exec, s[0:1]
	v_cmp_gt_i32_e32 vcc, s16, v0
	s_and_saveexec_b64 s[0:1], vcc
	s_cbranch_execnz .LBB498_91
.LBB498_77:
	s_or_b64 exec, exec, s[0:1]
	v_cmp_gt_i32_e32 vcc, s16, v0
	s_and_saveexec_b64 s[0:1], vcc
	s_cbranch_execz .LBB498_79
.LBB498_78:
	v_add_u32_e32 v0, s2, v0
	v_mov_b32_e32 v1, 0
	v_lshl_add_u64 v[0:1], v[0:1], 3, s[8:9]
	global_store_dwordx2 v[0:1], v[10:11], off
.LBB498_79:
	s_endpgm
.LBB498_80:
	v_cmp_o_f32_e64 s[0:1], v4, v4
	v_mov_b32_e32 v10, s5
	s_and_saveexec_b64 s[12:13], s[0:1]
	s_cbranch_execz .LBB498_84
; %bb.81:
	s_mov_b32 s0, 0x7f800000
	v_cmp_neq_f32_e64 s[0:1], s0, v4
	v_mov_b32_e32 v10, s6
	s_and_saveexec_b64 s[14:15], s[0:1]
; %bb.82:
	s_mov_b32 s0, 0xff800000
	v_mov_b32_e32 v3, s7
	v_cmp_eq_f32_e64 s[0:1], s0, v4
	s_nop 1
	v_cndmask_b32_e64 v10, v4, v3, s[0:1]
; %bb.83:
	s_or_b64 exec, exec, s[14:15]
.LBB498_84:
	s_or_b64 exec, exec, s[12:13]
	v_cmp_o_f32_e64 s[0:1], v5, v5
	v_mov_b32_e32 v11, s5
	s_and_saveexec_b64 s[4:5], s[0:1]
	s_cbranch_execz .LBB498_88
; %bb.85:
	s_mov_b32 s0, 0x7f800000
	v_cmp_neq_f32_e64 s[0:1], s0, v5
	v_mov_b32_e32 v11, s6
	s_and_saveexec_b64 s[12:13], s[0:1]
; %bb.86:
	s_mov_b32 s0, 0xff800000
	v_mov_b32_e32 v3, s7
	v_cmp_eq_f32_e64 s[0:1], s0, v5
	s_nop 1
	v_cndmask_b32_e64 v11, v5, v3, s[0:1]
; %bb.87:
	s_or_b64 exec, exec, s[12:13]
.LBB498_88:
	s_or_b64 exec, exec, s[4:5]
	s_or_b64 exec, exec, s[10:11]
	s_and_saveexec_b64 s[0:1], vcc
	s_xor_b64 s[0:1], exec, s[0:1]
	s_cbranch_execz .LBB498_75
.LBB498_89:
	v_mov_b32_e32 v3, 0
	v_lshl_add_u64 v[2:3], v[2:3], 3, s[8:9]
	v_mov_b32_e32 v0, v1
	global_store_dwordx2 v[2:3], v[6:7], off
	s_or_b64 exec, exec, s[0:1]
	v_cmp_gt_i32_e32 vcc, s16, v0
	s_and_saveexec_b64 s[0:1], vcc
	s_cbranch_execz .LBB498_76
.LBB498_90:
	v_add_u32_e32 v2, 0x100, v0
	v_add_u32_e32 v0, s2, v0
	v_mov_b32_e32 v1, 0
	v_lshl_add_u64 v[0:1], v[0:1], 3, s[8:9]
	global_store_dwordx2 v[0:1], v[8:9], off
	v_mov_b32_e32 v0, v2
	s_or_b64 exec, exec, s[0:1]
	v_cmp_gt_i32_e32 vcc, s16, v0
	s_and_saveexec_b64 s[0:1], vcc
	s_cbranch_execz .LBB498_77
.LBB498_91:
	v_add_u32_e32 v2, 0x100, v0
	v_add_u32_e32 v0, s2, v0
	v_mov_b32_e32 v1, 0
	v_lshl_add_u64 v[0:1], v[0:1], 3, s[8:9]
	global_store_dwordx2 v[0:1], v[12:13], off
	v_mov_b32_e32 v0, v2
	s_or_b64 exec, exec, s[0:1]
	v_cmp_gt_i32_e32 vcc, s16, v0
	s_and_saveexec_b64 s[0:1], vcc
	s_cbranch_execnz .LBB498_78
	s_branch .LBB498_79
	.section	.rodata,"a",@progbits
	.p2align	6, 0x0
	.amdhsa_kernel _ZN2at6native29vectorized_elementwise_kernelILi16EZZZNS0_22nan_to_num_kernel_cudaERNS_18TensorIteratorBaseESt8optionalIdES5_S5_ENKUlvE_clEvENKUlvE0_clEvEUlN3c107complexIfEEE_St5arrayIPcLm2EEEEviT0_T1_
		.amdhsa_group_segment_fixed_size 0
		.amdhsa_private_segment_fixed_size 0
		.amdhsa_kernarg_size 32
		.amdhsa_user_sgpr_count 2
		.amdhsa_user_sgpr_dispatch_ptr 0
		.amdhsa_user_sgpr_queue_ptr 0
		.amdhsa_user_sgpr_kernarg_segment_ptr 1
		.amdhsa_user_sgpr_dispatch_id 0
		.amdhsa_user_sgpr_kernarg_preload_length 0
		.amdhsa_user_sgpr_kernarg_preload_offset 0
		.amdhsa_user_sgpr_private_segment_size 0
		.amdhsa_uses_dynamic_stack 0
		.amdhsa_enable_private_segment 0
		.amdhsa_system_sgpr_workgroup_id_x 1
		.amdhsa_system_sgpr_workgroup_id_y 0
		.amdhsa_system_sgpr_workgroup_id_z 0
		.amdhsa_system_sgpr_workgroup_info 0
		.amdhsa_system_vgpr_workitem_id 0
		.amdhsa_next_free_vgpr 14
		.amdhsa_next_free_sgpr 17
		.amdhsa_accum_offset 16
		.amdhsa_reserve_vcc 1
		.amdhsa_float_round_mode_32 0
		.amdhsa_float_round_mode_16_64 0
		.amdhsa_float_denorm_mode_32 3
		.amdhsa_float_denorm_mode_16_64 3
		.amdhsa_dx10_clamp 1
		.amdhsa_ieee_mode 1
		.amdhsa_fp16_overflow 0
		.amdhsa_tg_split 0
		.amdhsa_exception_fp_ieee_invalid_op 0
		.amdhsa_exception_fp_denorm_src 0
		.amdhsa_exception_fp_ieee_div_zero 0
		.amdhsa_exception_fp_ieee_overflow 0
		.amdhsa_exception_fp_ieee_underflow 0
		.amdhsa_exception_fp_ieee_inexact 0
		.amdhsa_exception_int_div_zero 0
	.end_amdhsa_kernel
	.section	.text._ZN2at6native29vectorized_elementwise_kernelILi16EZZZNS0_22nan_to_num_kernel_cudaERNS_18TensorIteratorBaseESt8optionalIdES5_S5_ENKUlvE_clEvENKUlvE0_clEvEUlN3c107complexIfEEE_St5arrayIPcLm2EEEEviT0_T1_,"axG",@progbits,_ZN2at6native29vectorized_elementwise_kernelILi16EZZZNS0_22nan_to_num_kernel_cudaERNS_18TensorIteratorBaseESt8optionalIdES5_S5_ENKUlvE_clEvENKUlvE0_clEvEUlN3c107complexIfEEE_St5arrayIPcLm2EEEEviT0_T1_,comdat
.Lfunc_end498:
	.size	_ZN2at6native29vectorized_elementwise_kernelILi16EZZZNS0_22nan_to_num_kernel_cudaERNS_18TensorIteratorBaseESt8optionalIdES5_S5_ENKUlvE_clEvENKUlvE0_clEvEUlN3c107complexIfEEE_St5arrayIPcLm2EEEEviT0_T1_, .Lfunc_end498-_ZN2at6native29vectorized_elementwise_kernelILi16EZZZNS0_22nan_to_num_kernel_cudaERNS_18TensorIteratorBaseESt8optionalIdES5_S5_ENKUlvE_clEvENKUlvE0_clEvEUlN3c107complexIfEEE_St5arrayIPcLm2EEEEviT0_T1_
                                        ; -- End function
	.set _ZN2at6native29vectorized_elementwise_kernelILi16EZZZNS0_22nan_to_num_kernel_cudaERNS_18TensorIteratorBaseESt8optionalIdES5_S5_ENKUlvE_clEvENKUlvE0_clEvEUlN3c107complexIfEEE_St5arrayIPcLm2EEEEviT0_T1_.num_vgpr, 14
	.set _ZN2at6native29vectorized_elementwise_kernelILi16EZZZNS0_22nan_to_num_kernel_cudaERNS_18TensorIteratorBaseESt8optionalIdES5_S5_ENKUlvE_clEvENKUlvE0_clEvEUlN3c107complexIfEEE_St5arrayIPcLm2EEEEviT0_T1_.num_agpr, 0
	.set _ZN2at6native29vectorized_elementwise_kernelILi16EZZZNS0_22nan_to_num_kernel_cudaERNS_18TensorIteratorBaseESt8optionalIdES5_S5_ENKUlvE_clEvENKUlvE0_clEvEUlN3c107complexIfEEE_St5arrayIPcLm2EEEEviT0_T1_.numbered_sgpr, 17
	.set _ZN2at6native29vectorized_elementwise_kernelILi16EZZZNS0_22nan_to_num_kernel_cudaERNS_18TensorIteratorBaseESt8optionalIdES5_S5_ENKUlvE_clEvENKUlvE0_clEvEUlN3c107complexIfEEE_St5arrayIPcLm2EEEEviT0_T1_.num_named_barrier, 0
	.set _ZN2at6native29vectorized_elementwise_kernelILi16EZZZNS0_22nan_to_num_kernel_cudaERNS_18TensorIteratorBaseESt8optionalIdES5_S5_ENKUlvE_clEvENKUlvE0_clEvEUlN3c107complexIfEEE_St5arrayIPcLm2EEEEviT0_T1_.private_seg_size, 0
	.set _ZN2at6native29vectorized_elementwise_kernelILi16EZZZNS0_22nan_to_num_kernel_cudaERNS_18TensorIteratorBaseESt8optionalIdES5_S5_ENKUlvE_clEvENKUlvE0_clEvEUlN3c107complexIfEEE_St5arrayIPcLm2EEEEviT0_T1_.uses_vcc, 1
	.set _ZN2at6native29vectorized_elementwise_kernelILi16EZZZNS0_22nan_to_num_kernel_cudaERNS_18TensorIteratorBaseESt8optionalIdES5_S5_ENKUlvE_clEvENKUlvE0_clEvEUlN3c107complexIfEEE_St5arrayIPcLm2EEEEviT0_T1_.uses_flat_scratch, 0
	.set _ZN2at6native29vectorized_elementwise_kernelILi16EZZZNS0_22nan_to_num_kernel_cudaERNS_18TensorIteratorBaseESt8optionalIdES5_S5_ENKUlvE_clEvENKUlvE0_clEvEUlN3c107complexIfEEE_St5arrayIPcLm2EEEEviT0_T1_.has_dyn_sized_stack, 0
	.set _ZN2at6native29vectorized_elementwise_kernelILi16EZZZNS0_22nan_to_num_kernel_cudaERNS_18TensorIteratorBaseESt8optionalIdES5_S5_ENKUlvE_clEvENKUlvE0_clEvEUlN3c107complexIfEEE_St5arrayIPcLm2EEEEviT0_T1_.has_recursion, 0
	.set _ZN2at6native29vectorized_elementwise_kernelILi16EZZZNS0_22nan_to_num_kernel_cudaERNS_18TensorIteratorBaseESt8optionalIdES5_S5_ENKUlvE_clEvENKUlvE0_clEvEUlN3c107complexIfEEE_St5arrayIPcLm2EEEEviT0_T1_.has_indirect_call, 0
	.section	.AMDGPU.csdata,"",@progbits
; Kernel info:
; codeLenInByte = 1948
; TotalNumSgprs: 23
; NumVgprs: 14
; NumAgprs: 0
; TotalNumVgprs: 14
; ScratchSize: 0
; MemoryBound: 1
; FloatMode: 240
; IeeeMode: 1
; LDSByteSize: 0 bytes/workgroup (compile time only)
; SGPRBlocks: 2
; VGPRBlocks: 1
; NumSGPRsForWavesPerEU: 23
; NumVGPRsForWavesPerEU: 14
; AccumOffset: 16
; Occupancy: 8
; WaveLimiterHint : 0
; COMPUTE_PGM_RSRC2:SCRATCH_EN: 0
; COMPUTE_PGM_RSRC2:USER_SGPR: 2
; COMPUTE_PGM_RSRC2:TRAP_HANDLER: 0
; COMPUTE_PGM_RSRC2:TGID_X_EN: 1
; COMPUTE_PGM_RSRC2:TGID_Y_EN: 0
; COMPUTE_PGM_RSRC2:TGID_Z_EN: 0
; COMPUTE_PGM_RSRC2:TIDIG_COMP_CNT: 0
; COMPUTE_PGM_RSRC3_GFX90A:ACCUM_OFFSET: 3
; COMPUTE_PGM_RSRC3_GFX90A:TG_SPLIT: 0
	.section	.text._ZN2at6native29vectorized_elementwise_kernelILi8EZZZNS0_22nan_to_num_kernel_cudaERNS_18TensorIteratorBaseESt8optionalIdES5_S5_ENKUlvE_clEvENKUlvE0_clEvEUlN3c107complexIfEEE_St5arrayIPcLm2EEEEviT0_T1_,"axG",@progbits,_ZN2at6native29vectorized_elementwise_kernelILi8EZZZNS0_22nan_to_num_kernel_cudaERNS_18TensorIteratorBaseESt8optionalIdES5_S5_ENKUlvE_clEvENKUlvE0_clEvEUlN3c107complexIfEEE_St5arrayIPcLm2EEEEviT0_T1_,comdat
	.globl	_ZN2at6native29vectorized_elementwise_kernelILi8EZZZNS0_22nan_to_num_kernel_cudaERNS_18TensorIteratorBaseESt8optionalIdES5_S5_ENKUlvE_clEvENKUlvE0_clEvEUlN3c107complexIfEEE_St5arrayIPcLm2EEEEviT0_T1_ ; -- Begin function _ZN2at6native29vectorized_elementwise_kernelILi8EZZZNS0_22nan_to_num_kernel_cudaERNS_18TensorIteratorBaseESt8optionalIdES5_S5_ENKUlvE_clEvENKUlvE0_clEvEUlN3c107complexIfEEE_St5arrayIPcLm2EEEEviT0_T1_
	.p2align	8
	.type	_ZN2at6native29vectorized_elementwise_kernelILi8EZZZNS0_22nan_to_num_kernel_cudaERNS_18TensorIteratorBaseESt8optionalIdES5_S5_ENKUlvE_clEvENKUlvE0_clEvEUlN3c107complexIfEEE_St5arrayIPcLm2EEEEviT0_T1_,@function
_ZN2at6native29vectorized_elementwise_kernelILi8EZZZNS0_22nan_to_num_kernel_cudaERNS_18TensorIteratorBaseESt8optionalIdES5_S5_ENKUlvE_clEvENKUlvE0_clEvEUlN3c107complexIfEEE_St5arrayIPcLm2EEEEviT0_T1_: ; @_ZN2at6native29vectorized_elementwise_kernelILi8EZZZNS0_22nan_to_num_kernel_cudaERNS_18TensorIteratorBaseESt8optionalIdES5_S5_ENKUlvE_clEvENKUlvE0_clEvEUlN3c107complexIfEEE_St5arrayIPcLm2EEEEviT0_T1_
; %bb.0:
	s_load_dwordx8 s[4:11], s[0:1], 0x0
	s_lshl_b32 s2, s2, 10
	s_mov_b64 s[0:1], -1
	s_waitcnt lgkmcnt(0)
	s_sub_i32 s16, s4, s2
	s_cmpk_gt_i32 s16, 0x3ff
	s_cbranch_scc0 .LBB499_34
; %bb.1:
	s_ashr_i32 s3, s2, 31
	s_lshl_b64 s[0:1], s[2:3], 3
	s_add_u32 s12, s10, s0
	s_addc_u32 s13, s11, s1
	v_lshlrev_b32_e32 v1, 5, v0
	global_load_dwordx4 v[10:13], v1, s[12:13]
	global_load_dwordx4 v[6:9], v1, s[12:13] offset:16
	v_mov_b32_e32 v2, s5
	s_waitcnt vmcnt(1)
	v_cmp_o_f32_e32 vcc, v10, v10
	s_and_saveexec_b64 s[12:13], vcc
	s_cbranch_execz .LBB499_5
; %bb.2:
	s_mov_b32 s3, 0x7f800000
	v_cmp_neq_f32_e32 vcc, s3, v10
	v_mov_b32_e32 v2, s6
	s_and_saveexec_b64 s[14:15], vcc
; %bb.3:
	s_mov_b32 s3, 0xff800000
	v_mov_b32_e32 v2, s7
	v_cmp_eq_f32_e32 vcc, s3, v10
	s_nop 1
	v_cndmask_b32_e32 v2, v10, v2, vcc
; %bb.4:
	s_or_b64 exec, exec, s[14:15]
.LBB499_5:
	s_or_b64 exec, exec, s[12:13]
	v_cmp_o_f32_e32 vcc, v11, v11
	v_mov_b32_e32 v3, s5
	s_and_saveexec_b64 s[12:13], vcc
	s_cbranch_execz .LBB499_9
; %bb.6:
	s_mov_b32 s3, 0x7f800000
	v_cmp_neq_f32_e32 vcc, s3, v11
	v_mov_b32_e32 v3, s6
	s_and_saveexec_b64 s[14:15], vcc
; %bb.7:
	s_mov_b32 s3, 0xff800000
	v_mov_b32_e32 v3, s7
	v_cmp_eq_f32_e32 vcc, s3, v11
	s_nop 1
	v_cndmask_b32_e32 v3, v11, v3, vcc
; %bb.8:
	s_or_b64 exec, exec, s[14:15]
.LBB499_9:
	s_or_b64 exec, exec, s[12:13]
	v_cmp_o_f32_e32 vcc, v12, v12
	v_mov_b32_e32 v4, s5
	;; [unrolled: 19-line block ×3, first 2 shown]
	s_and_saveexec_b64 s[12:13], vcc
	s_cbranch_execz .LBB499_17
; %bb.14:
	s_mov_b32 s3, 0x7f800000
	v_cmp_neq_f32_e32 vcc, s3, v13
	v_mov_b32_e32 v5, s6
	s_and_saveexec_b64 s[14:15], vcc
; %bb.15:
	s_mov_b32 s3, 0xff800000
	v_mov_b32_e32 v5, s7
	v_cmp_eq_f32_e32 vcc, s3, v13
	s_nop 1
	v_cndmask_b32_e32 v5, v13, v5, vcc
; %bb.16:
	s_or_b64 exec, exec, s[14:15]
.LBB499_17:
	s_or_b64 exec, exec, s[12:13]
	s_waitcnt vmcnt(0)
	v_cmp_o_f32_e32 vcc, v6, v6
	v_mov_b32_e32 v10, s5
	s_and_saveexec_b64 s[12:13], vcc
	s_cbranch_execz .LBB499_21
; %bb.18:
	s_mov_b32 s3, 0x7f800000
	v_cmp_neq_f32_e32 vcc, s3, v6
	v_mov_b32_e32 v10, s6
	s_and_saveexec_b64 s[14:15], vcc
; %bb.19:
	s_mov_b32 s3, 0xff800000
	v_mov_b32_e32 v10, s7
	v_cmp_eq_f32_e32 vcc, s3, v6
	s_nop 1
	v_cndmask_b32_e32 v10, v6, v10, vcc
; %bb.20:
	s_or_b64 exec, exec, s[14:15]
.LBB499_21:
	s_or_b64 exec, exec, s[12:13]
	v_cmp_o_f32_e32 vcc, v7, v7
	v_mov_b32_e32 v11, s5
	s_and_saveexec_b64 s[12:13], vcc
	s_cbranch_execz .LBB499_25
; %bb.22:
	s_mov_b32 s3, 0x7f800000
	v_cmp_neq_f32_e32 vcc, s3, v7
	v_mov_b32_e32 v11, s6
	s_and_saveexec_b64 s[14:15], vcc
; %bb.23:
	s_mov_b32 s3, 0xff800000
	v_mov_b32_e32 v6, s7
	v_cmp_eq_f32_e32 vcc, s3, v7
	s_nop 1
	v_cndmask_b32_e32 v11, v7, v6, vcc
; %bb.24:
	s_or_b64 exec, exec, s[14:15]
.LBB499_25:
	s_or_b64 exec, exec, s[12:13]
	;; [unrolled: 19-line block ×4, first 2 shown]
	s_add_u32 s0, s8, s0
	s_addc_u32 s1, s9, s1
	global_store_dwordx4 v1, v[2:5], s[0:1]
	global_store_dwordx4 v1, v[10:13], s[0:1] offset:16
	s_mov_b64 s[0:1], 0
.LBB499_34:
	s_and_b64 vcc, exec, s[0:1]
	s_cbranch_vccz .LBB499_79
; %bb.35:
	v_cmp_gt_i32_e32 vcc, s16, v0
	v_mov_b32_e32 v12, 0
	v_or_b32_e32 v2, s2, v0
	v_mov_b32_e32 v1, v0
	v_mov_b32_e32 v8, 0
	;; [unrolled: 1-line block ×3, first 2 shown]
	s_and_saveexec_b64 s[0:1], vcc
	s_cbranch_execz .LBB499_37
; %bb.36:
	v_mov_b32_e32 v3, 0
	v_lshl_add_u64 v[4:5], v[2:3], 3, s[10:11]
	global_load_dwordx2 v[8:9], v[4:5], off
	v_or_b32_e32 v1, 0x100, v0
.LBB499_37:
	s_or_b64 exec, exec, s[0:1]
	v_cmp_gt_i32_e64 s[0:1], s16, v1
	v_mov_b32_e32 v13, 0
	s_and_saveexec_b64 s[12:13], s[0:1]
	s_cbranch_execz .LBB499_39
; %bb.38:
	v_add_u32_e32 v4, s2, v1
	v_mov_b32_e32 v5, 0
	v_lshl_add_u64 v[4:5], v[4:5], 3, s[10:11]
	global_load_dwordx2 v[12:13], v[4:5], off
	v_add_u32_e32 v1, 0x100, v1
.LBB499_39:
	s_or_b64 exec, exec, s[12:13]
	v_cmp_gt_i32_e64 s[0:1], s16, v1
	v_mov_b32_e32 v4, 0
	v_mov_b32_e32 v10, 0
	;; [unrolled: 1-line block ×3, first 2 shown]
	s_and_saveexec_b64 s[12:13], s[0:1]
	s_cbranch_execz .LBB499_41
; %bb.40:
	v_add_u32_e32 v6, s2, v1
	v_mov_b32_e32 v7, 0
	v_lshl_add_u64 v[6:7], v[6:7], 3, s[10:11]
	global_load_dwordx2 v[10:11], v[6:7], off
	v_add_u32_e32 v1, 0x100, v1
.LBB499_41:
	s_or_b64 exec, exec, s[12:13]
	v_cmp_gt_i32_e64 s[0:1], s16, v1
	v_mov_b32_e32 v5, 0
	s_and_saveexec_b64 s[12:13], s[0:1]
	s_cbranch_execz .LBB499_43
; %bb.42:
	v_add_u32_e32 v4, s2, v1
	v_mov_b32_e32 v5, 0
	v_lshl_add_u64 v[4:5], v[4:5], 3, s[10:11]
	global_load_dwordx2 v[4:5], v[4:5], off
.LBB499_43:
	s_or_b64 exec, exec, s[12:13]
	v_mov_b32_e32 v7, 0
	v_mov_b32_e32 v6, 0
	s_and_saveexec_b64 s[10:11], vcc
	s_cbranch_execz .LBB499_53
; %bb.44:
	s_waitcnt vmcnt(0)
	v_cmp_o_f32_e64 s[0:1], v8, v8
	v_mov_b32_e32 v6, s5
	s_and_saveexec_b64 s[12:13], s[0:1]
	s_cbranch_execz .LBB499_48
; %bb.45:
	s_mov_b32 s0, 0x7f800000
	v_cmp_neq_f32_e64 s[0:1], s0, v8
	v_mov_b32_e32 v6, s6
	s_and_saveexec_b64 s[14:15], s[0:1]
; %bb.46:
	s_mov_b32 s0, 0xff800000
	v_mov_b32_e32 v1, s7
	v_cmp_eq_f32_e64 s[0:1], s0, v8
	s_nop 1
	v_cndmask_b32_e64 v6, v8, v1, s[0:1]
; %bb.47:
	s_or_b64 exec, exec, s[14:15]
.LBB499_48:
	s_or_b64 exec, exec, s[12:13]
	v_cmp_o_f32_e64 s[0:1], v9, v9
	v_mov_b32_e32 v7, s5
	s_and_saveexec_b64 s[12:13], s[0:1]
	s_cbranch_execz .LBB499_52
; %bb.49:
	s_mov_b32 s0, 0x7f800000
	v_cmp_neq_f32_e64 s[0:1], s0, v9
	v_mov_b32_e32 v7, s6
	s_and_saveexec_b64 s[14:15], s[0:1]
; %bb.50:
	s_mov_b32 s0, 0xff800000
	v_mov_b32_e32 v1, s7
	v_cmp_eq_f32_e64 s[0:1], s0, v9
	s_nop 1
	v_cndmask_b32_e64 v7, v9, v1, s[0:1]
; %bb.51:
	s_or_b64 exec, exec, s[14:15]
.LBB499_52:
	s_or_b64 exec, exec, s[12:13]
.LBB499_53:
	s_or_b64 exec, exec, s[10:11]
	v_or_b32_e32 v1, 0x100, v0
	v_cmp_gt_i32_e64 s[0:1], s16, v1
	s_waitcnt vmcnt(0)
	v_mov_b32_e32 v9, 0
	v_mov_b32_e32 v8, 0
	s_and_saveexec_b64 s[10:11], s[0:1]
	s_cbranch_execz .LBB499_63
; %bb.54:
	v_cmp_o_f32_e64 s[0:1], v12, v12
	v_mov_b32_e32 v8, s5
	s_and_saveexec_b64 s[12:13], s[0:1]
	s_cbranch_execz .LBB499_58
; %bb.55:
	s_mov_b32 s0, 0x7f800000
	v_cmp_neq_f32_e64 s[0:1], s0, v12
	v_mov_b32_e32 v8, s6
	s_and_saveexec_b64 s[14:15], s[0:1]
; %bb.56:
	s_mov_b32 s0, 0xff800000
	v_mov_b32_e32 v3, s7
	v_cmp_eq_f32_e64 s[0:1], s0, v12
	s_nop 1
	v_cndmask_b32_e64 v8, v12, v3, s[0:1]
; %bb.57:
	s_or_b64 exec, exec, s[14:15]
.LBB499_58:
	s_or_b64 exec, exec, s[12:13]
	v_cmp_o_f32_e64 s[0:1], v13, v13
	v_mov_b32_e32 v9, s5
	s_and_saveexec_b64 s[12:13], s[0:1]
	s_cbranch_execz .LBB499_62
; %bb.59:
	s_mov_b32 s0, 0x7f800000
	v_cmp_neq_f32_e64 s[0:1], s0, v13
	v_mov_b32_e32 v9, s6
	s_and_saveexec_b64 s[14:15], s[0:1]
; %bb.60:
	s_mov_b32 s0, 0xff800000
	v_mov_b32_e32 v3, s7
	v_cmp_eq_f32_e64 s[0:1], s0, v13
	s_nop 1
	v_cndmask_b32_e64 v9, v13, v3, s[0:1]
; %bb.61:
	s_or_b64 exec, exec, s[14:15]
.LBB499_62:
	s_or_b64 exec, exec, s[12:13]
.LBB499_63:
	s_or_b64 exec, exec, s[10:11]
	v_or_b32_e32 v3, 0x200, v0
	v_cmp_gt_i32_e64 s[0:1], s16, v3
	v_mov_b32_e32 v13, 0
	v_mov_b32_e32 v12, 0
	s_and_saveexec_b64 s[10:11], s[0:1]
	s_cbranch_execz .LBB499_73
; %bb.64:
	v_cmp_o_f32_e64 s[0:1], v10, v10
	v_mov_b32_e32 v12, s5
	s_and_saveexec_b64 s[12:13], s[0:1]
	s_cbranch_execz .LBB499_68
; %bb.65:
	s_mov_b32 s0, 0x7f800000
	v_cmp_neq_f32_e64 s[0:1], s0, v10
	v_mov_b32_e32 v12, s6
	s_and_saveexec_b64 s[14:15], s[0:1]
; %bb.66:
	s_mov_b32 s0, 0xff800000
	v_mov_b32_e32 v3, s7
	v_cmp_eq_f32_e64 s[0:1], s0, v10
	s_nop 1
	v_cndmask_b32_e64 v12, v10, v3, s[0:1]
; %bb.67:
	s_or_b64 exec, exec, s[14:15]
.LBB499_68:
	s_or_b64 exec, exec, s[12:13]
	v_cmp_o_f32_e64 s[0:1], v11, v11
	v_mov_b32_e32 v13, s5
	s_and_saveexec_b64 s[12:13], s[0:1]
	s_cbranch_execz .LBB499_72
; %bb.69:
	s_mov_b32 s0, 0x7f800000
	v_cmp_neq_f32_e64 s[0:1], s0, v11
	v_mov_b32_e32 v13, s6
	s_and_saveexec_b64 s[14:15], s[0:1]
; %bb.70:
	s_mov_b32 s0, 0xff800000
	v_mov_b32_e32 v3, s7
	v_cmp_eq_f32_e64 s[0:1], s0, v11
	s_nop 1
	v_cndmask_b32_e64 v13, v11, v3, s[0:1]
; %bb.71:
	s_or_b64 exec, exec, s[14:15]
.LBB499_72:
	s_or_b64 exec, exec, s[12:13]
.LBB499_73:
	s_or_b64 exec, exec, s[10:11]
	v_or_b32_e32 v3, 0x300, v0
	v_cmp_gt_i32_e64 s[0:1], s16, v3
	v_mov_b32_e32 v11, 0
	v_mov_b32_e32 v10, 0
	s_and_saveexec_b64 s[10:11], s[0:1]
	s_cbranch_execnz .LBB499_80
; %bb.74:
	s_or_b64 exec, exec, s[10:11]
	s_and_saveexec_b64 s[0:1], vcc
	s_xor_b64 s[0:1], exec, s[0:1]
	s_cbranch_execnz .LBB499_89
.LBB499_75:
	s_or_b64 exec, exec, s[0:1]
	v_cmp_gt_i32_e32 vcc, s16, v0
	s_and_saveexec_b64 s[0:1], vcc
	s_cbranch_execnz .LBB499_90
.LBB499_76:
	s_or_b64 exec, exec, s[0:1]
	v_cmp_gt_i32_e32 vcc, s16, v0
	s_and_saveexec_b64 s[0:1], vcc
	s_cbranch_execnz .LBB499_91
.LBB499_77:
	s_or_b64 exec, exec, s[0:1]
	v_cmp_gt_i32_e32 vcc, s16, v0
	s_and_saveexec_b64 s[0:1], vcc
	s_cbranch_execz .LBB499_79
.LBB499_78:
	v_add_u32_e32 v0, s2, v0
	v_mov_b32_e32 v1, 0
	v_lshl_add_u64 v[0:1], v[0:1], 3, s[8:9]
	global_store_dwordx2 v[0:1], v[10:11], off
.LBB499_79:
	s_endpgm
.LBB499_80:
	v_cmp_o_f32_e64 s[0:1], v4, v4
	v_mov_b32_e32 v10, s5
	s_and_saveexec_b64 s[12:13], s[0:1]
	s_cbranch_execz .LBB499_84
; %bb.81:
	s_mov_b32 s0, 0x7f800000
	v_cmp_neq_f32_e64 s[0:1], s0, v4
	v_mov_b32_e32 v10, s6
	s_and_saveexec_b64 s[14:15], s[0:1]
; %bb.82:
	s_mov_b32 s0, 0xff800000
	v_mov_b32_e32 v3, s7
	v_cmp_eq_f32_e64 s[0:1], s0, v4
	s_nop 1
	v_cndmask_b32_e64 v10, v4, v3, s[0:1]
; %bb.83:
	s_or_b64 exec, exec, s[14:15]
.LBB499_84:
	s_or_b64 exec, exec, s[12:13]
	v_cmp_o_f32_e64 s[0:1], v5, v5
	v_mov_b32_e32 v11, s5
	s_and_saveexec_b64 s[4:5], s[0:1]
	s_cbranch_execz .LBB499_88
; %bb.85:
	s_mov_b32 s0, 0x7f800000
	v_cmp_neq_f32_e64 s[0:1], s0, v5
	v_mov_b32_e32 v11, s6
	s_and_saveexec_b64 s[12:13], s[0:1]
; %bb.86:
	s_mov_b32 s0, 0xff800000
	v_mov_b32_e32 v3, s7
	v_cmp_eq_f32_e64 s[0:1], s0, v5
	s_nop 1
	v_cndmask_b32_e64 v11, v5, v3, s[0:1]
; %bb.87:
	s_or_b64 exec, exec, s[12:13]
.LBB499_88:
	s_or_b64 exec, exec, s[4:5]
	s_or_b64 exec, exec, s[10:11]
	s_and_saveexec_b64 s[0:1], vcc
	s_xor_b64 s[0:1], exec, s[0:1]
	s_cbranch_execz .LBB499_75
.LBB499_89:
	v_mov_b32_e32 v3, 0
	v_lshl_add_u64 v[2:3], v[2:3], 3, s[8:9]
	v_mov_b32_e32 v0, v1
	global_store_dwordx2 v[2:3], v[6:7], off
	s_or_b64 exec, exec, s[0:1]
	v_cmp_gt_i32_e32 vcc, s16, v0
	s_and_saveexec_b64 s[0:1], vcc
	s_cbranch_execz .LBB499_76
.LBB499_90:
	v_add_u32_e32 v2, 0x100, v0
	v_add_u32_e32 v0, s2, v0
	v_mov_b32_e32 v1, 0
	v_lshl_add_u64 v[0:1], v[0:1], 3, s[8:9]
	global_store_dwordx2 v[0:1], v[8:9], off
	v_mov_b32_e32 v0, v2
	s_or_b64 exec, exec, s[0:1]
	v_cmp_gt_i32_e32 vcc, s16, v0
	s_and_saveexec_b64 s[0:1], vcc
	s_cbranch_execz .LBB499_77
.LBB499_91:
	v_add_u32_e32 v2, 0x100, v0
	v_add_u32_e32 v0, s2, v0
	v_mov_b32_e32 v1, 0
	v_lshl_add_u64 v[0:1], v[0:1], 3, s[8:9]
	global_store_dwordx2 v[0:1], v[12:13], off
	v_mov_b32_e32 v0, v2
	s_or_b64 exec, exec, s[0:1]
	v_cmp_gt_i32_e32 vcc, s16, v0
	s_and_saveexec_b64 s[0:1], vcc
	s_cbranch_execnz .LBB499_78
	s_branch .LBB499_79
	.section	.rodata,"a",@progbits
	.p2align	6, 0x0
	.amdhsa_kernel _ZN2at6native29vectorized_elementwise_kernelILi8EZZZNS0_22nan_to_num_kernel_cudaERNS_18TensorIteratorBaseESt8optionalIdES5_S5_ENKUlvE_clEvENKUlvE0_clEvEUlN3c107complexIfEEE_St5arrayIPcLm2EEEEviT0_T1_
		.amdhsa_group_segment_fixed_size 0
		.amdhsa_private_segment_fixed_size 0
		.amdhsa_kernarg_size 32
		.amdhsa_user_sgpr_count 2
		.amdhsa_user_sgpr_dispatch_ptr 0
		.amdhsa_user_sgpr_queue_ptr 0
		.amdhsa_user_sgpr_kernarg_segment_ptr 1
		.amdhsa_user_sgpr_dispatch_id 0
		.amdhsa_user_sgpr_kernarg_preload_length 0
		.amdhsa_user_sgpr_kernarg_preload_offset 0
		.amdhsa_user_sgpr_private_segment_size 0
		.amdhsa_uses_dynamic_stack 0
		.amdhsa_enable_private_segment 0
		.amdhsa_system_sgpr_workgroup_id_x 1
		.amdhsa_system_sgpr_workgroup_id_y 0
		.amdhsa_system_sgpr_workgroup_id_z 0
		.amdhsa_system_sgpr_workgroup_info 0
		.amdhsa_system_vgpr_workitem_id 0
		.amdhsa_next_free_vgpr 14
		.amdhsa_next_free_sgpr 17
		.amdhsa_accum_offset 16
		.amdhsa_reserve_vcc 1
		.amdhsa_float_round_mode_32 0
		.amdhsa_float_round_mode_16_64 0
		.amdhsa_float_denorm_mode_32 3
		.amdhsa_float_denorm_mode_16_64 3
		.amdhsa_dx10_clamp 1
		.amdhsa_ieee_mode 1
		.amdhsa_fp16_overflow 0
		.amdhsa_tg_split 0
		.amdhsa_exception_fp_ieee_invalid_op 0
		.amdhsa_exception_fp_denorm_src 0
		.amdhsa_exception_fp_ieee_div_zero 0
		.amdhsa_exception_fp_ieee_overflow 0
		.amdhsa_exception_fp_ieee_underflow 0
		.amdhsa_exception_fp_ieee_inexact 0
		.amdhsa_exception_int_div_zero 0
	.end_amdhsa_kernel
	.section	.text._ZN2at6native29vectorized_elementwise_kernelILi8EZZZNS0_22nan_to_num_kernel_cudaERNS_18TensorIteratorBaseESt8optionalIdES5_S5_ENKUlvE_clEvENKUlvE0_clEvEUlN3c107complexIfEEE_St5arrayIPcLm2EEEEviT0_T1_,"axG",@progbits,_ZN2at6native29vectorized_elementwise_kernelILi8EZZZNS0_22nan_to_num_kernel_cudaERNS_18TensorIteratorBaseESt8optionalIdES5_S5_ENKUlvE_clEvENKUlvE0_clEvEUlN3c107complexIfEEE_St5arrayIPcLm2EEEEviT0_T1_,comdat
.Lfunc_end499:
	.size	_ZN2at6native29vectorized_elementwise_kernelILi8EZZZNS0_22nan_to_num_kernel_cudaERNS_18TensorIteratorBaseESt8optionalIdES5_S5_ENKUlvE_clEvENKUlvE0_clEvEUlN3c107complexIfEEE_St5arrayIPcLm2EEEEviT0_T1_, .Lfunc_end499-_ZN2at6native29vectorized_elementwise_kernelILi8EZZZNS0_22nan_to_num_kernel_cudaERNS_18TensorIteratorBaseESt8optionalIdES5_S5_ENKUlvE_clEvENKUlvE0_clEvEUlN3c107complexIfEEE_St5arrayIPcLm2EEEEviT0_T1_
                                        ; -- End function
	.set _ZN2at6native29vectorized_elementwise_kernelILi8EZZZNS0_22nan_to_num_kernel_cudaERNS_18TensorIteratorBaseESt8optionalIdES5_S5_ENKUlvE_clEvENKUlvE0_clEvEUlN3c107complexIfEEE_St5arrayIPcLm2EEEEviT0_T1_.num_vgpr, 14
	.set _ZN2at6native29vectorized_elementwise_kernelILi8EZZZNS0_22nan_to_num_kernel_cudaERNS_18TensorIteratorBaseESt8optionalIdES5_S5_ENKUlvE_clEvENKUlvE0_clEvEUlN3c107complexIfEEE_St5arrayIPcLm2EEEEviT0_T1_.num_agpr, 0
	.set _ZN2at6native29vectorized_elementwise_kernelILi8EZZZNS0_22nan_to_num_kernel_cudaERNS_18TensorIteratorBaseESt8optionalIdES5_S5_ENKUlvE_clEvENKUlvE0_clEvEUlN3c107complexIfEEE_St5arrayIPcLm2EEEEviT0_T1_.numbered_sgpr, 17
	.set _ZN2at6native29vectorized_elementwise_kernelILi8EZZZNS0_22nan_to_num_kernel_cudaERNS_18TensorIteratorBaseESt8optionalIdES5_S5_ENKUlvE_clEvENKUlvE0_clEvEUlN3c107complexIfEEE_St5arrayIPcLm2EEEEviT0_T1_.num_named_barrier, 0
	.set _ZN2at6native29vectorized_elementwise_kernelILi8EZZZNS0_22nan_to_num_kernel_cudaERNS_18TensorIteratorBaseESt8optionalIdES5_S5_ENKUlvE_clEvENKUlvE0_clEvEUlN3c107complexIfEEE_St5arrayIPcLm2EEEEviT0_T1_.private_seg_size, 0
	.set _ZN2at6native29vectorized_elementwise_kernelILi8EZZZNS0_22nan_to_num_kernel_cudaERNS_18TensorIteratorBaseESt8optionalIdES5_S5_ENKUlvE_clEvENKUlvE0_clEvEUlN3c107complexIfEEE_St5arrayIPcLm2EEEEviT0_T1_.uses_vcc, 1
	.set _ZN2at6native29vectorized_elementwise_kernelILi8EZZZNS0_22nan_to_num_kernel_cudaERNS_18TensorIteratorBaseESt8optionalIdES5_S5_ENKUlvE_clEvENKUlvE0_clEvEUlN3c107complexIfEEE_St5arrayIPcLm2EEEEviT0_T1_.uses_flat_scratch, 0
	.set _ZN2at6native29vectorized_elementwise_kernelILi8EZZZNS0_22nan_to_num_kernel_cudaERNS_18TensorIteratorBaseESt8optionalIdES5_S5_ENKUlvE_clEvENKUlvE0_clEvEUlN3c107complexIfEEE_St5arrayIPcLm2EEEEviT0_T1_.has_dyn_sized_stack, 0
	.set _ZN2at6native29vectorized_elementwise_kernelILi8EZZZNS0_22nan_to_num_kernel_cudaERNS_18TensorIteratorBaseESt8optionalIdES5_S5_ENKUlvE_clEvENKUlvE0_clEvEUlN3c107complexIfEEE_St5arrayIPcLm2EEEEviT0_T1_.has_recursion, 0
	.set _ZN2at6native29vectorized_elementwise_kernelILi8EZZZNS0_22nan_to_num_kernel_cudaERNS_18TensorIteratorBaseESt8optionalIdES5_S5_ENKUlvE_clEvENKUlvE0_clEvEUlN3c107complexIfEEE_St5arrayIPcLm2EEEEviT0_T1_.has_indirect_call, 0
	.section	.AMDGPU.csdata,"",@progbits
; Kernel info:
; codeLenInByte = 1948
; TotalNumSgprs: 23
; NumVgprs: 14
; NumAgprs: 0
; TotalNumVgprs: 14
; ScratchSize: 0
; MemoryBound: 1
; FloatMode: 240
; IeeeMode: 1
; LDSByteSize: 0 bytes/workgroup (compile time only)
; SGPRBlocks: 2
; VGPRBlocks: 1
; NumSGPRsForWavesPerEU: 23
; NumVGPRsForWavesPerEU: 14
; AccumOffset: 16
; Occupancy: 8
; WaveLimiterHint : 0
; COMPUTE_PGM_RSRC2:SCRATCH_EN: 0
; COMPUTE_PGM_RSRC2:USER_SGPR: 2
; COMPUTE_PGM_RSRC2:TRAP_HANDLER: 0
; COMPUTE_PGM_RSRC2:TGID_X_EN: 1
; COMPUTE_PGM_RSRC2:TGID_Y_EN: 0
; COMPUTE_PGM_RSRC2:TGID_Z_EN: 0
; COMPUTE_PGM_RSRC2:TIDIG_COMP_CNT: 0
; COMPUTE_PGM_RSRC3_GFX90A:ACCUM_OFFSET: 3
; COMPUTE_PGM_RSRC3_GFX90A:TG_SPLIT: 0
	.section	.text._ZN2at6native29vectorized_elementwise_kernelILi4EZZZNS0_22nan_to_num_kernel_cudaERNS_18TensorIteratorBaseESt8optionalIdES5_S5_ENKUlvE_clEvENKUlvE0_clEvEUlN3c107complexIfEEE_St5arrayIPcLm2EEEEviT0_T1_,"axG",@progbits,_ZN2at6native29vectorized_elementwise_kernelILi4EZZZNS0_22nan_to_num_kernel_cudaERNS_18TensorIteratorBaseESt8optionalIdES5_S5_ENKUlvE_clEvENKUlvE0_clEvEUlN3c107complexIfEEE_St5arrayIPcLm2EEEEviT0_T1_,comdat
	.globl	_ZN2at6native29vectorized_elementwise_kernelILi4EZZZNS0_22nan_to_num_kernel_cudaERNS_18TensorIteratorBaseESt8optionalIdES5_S5_ENKUlvE_clEvENKUlvE0_clEvEUlN3c107complexIfEEE_St5arrayIPcLm2EEEEviT0_T1_ ; -- Begin function _ZN2at6native29vectorized_elementwise_kernelILi4EZZZNS0_22nan_to_num_kernel_cudaERNS_18TensorIteratorBaseESt8optionalIdES5_S5_ENKUlvE_clEvENKUlvE0_clEvEUlN3c107complexIfEEE_St5arrayIPcLm2EEEEviT0_T1_
	.p2align	8
	.type	_ZN2at6native29vectorized_elementwise_kernelILi4EZZZNS0_22nan_to_num_kernel_cudaERNS_18TensorIteratorBaseESt8optionalIdES5_S5_ENKUlvE_clEvENKUlvE0_clEvEUlN3c107complexIfEEE_St5arrayIPcLm2EEEEviT0_T1_,@function
_ZN2at6native29vectorized_elementwise_kernelILi4EZZZNS0_22nan_to_num_kernel_cudaERNS_18TensorIteratorBaseESt8optionalIdES5_S5_ENKUlvE_clEvENKUlvE0_clEvEUlN3c107complexIfEEE_St5arrayIPcLm2EEEEviT0_T1_: ; @_ZN2at6native29vectorized_elementwise_kernelILi4EZZZNS0_22nan_to_num_kernel_cudaERNS_18TensorIteratorBaseESt8optionalIdES5_S5_ENKUlvE_clEvENKUlvE0_clEvEUlN3c107complexIfEEE_St5arrayIPcLm2EEEEviT0_T1_
; %bb.0:
	s_load_dwordx8 s[4:11], s[0:1], 0x0
	s_lshl_b32 s2, s2, 10
	s_mov_b64 s[0:1], -1
	s_waitcnt lgkmcnt(0)
	s_sub_i32 s16, s4, s2
	s_cmpk_gt_i32 s16, 0x3ff
	s_cbranch_scc0 .LBB500_34
; %bb.1:
	s_ashr_i32 s3, s2, 31
	s_lshl_b64 s[0:1], s[2:3], 3
	s_add_u32 s12, s10, s0
	s_addc_u32 s13, s11, s1
	v_lshlrev_b32_e32 v1, 5, v0
	global_load_dwordx4 v[10:13], v1, s[12:13]
	global_load_dwordx4 v[6:9], v1, s[12:13] offset:16
	v_mov_b32_e32 v2, s5
	s_waitcnt vmcnt(1)
	v_cmp_o_f32_e32 vcc, v10, v10
	s_and_saveexec_b64 s[12:13], vcc
	s_cbranch_execz .LBB500_5
; %bb.2:
	s_mov_b32 s3, 0x7f800000
	v_cmp_neq_f32_e32 vcc, s3, v10
	v_mov_b32_e32 v2, s6
	s_and_saveexec_b64 s[14:15], vcc
; %bb.3:
	s_mov_b32 s3, 0xff800000
	v_mov_b32_e32 v2, s7
	v_cmp_eq_f32_e32 vcc, s3, v10
	s_nop 1
	v_cndmask_b32_e32 v2, v10, v2, vcc
; %bb.4:
	s_or_b64 exec, exec, s[14:15]
.LBB500_5:
	s_or_b64 exec, exec, s[12:13]
	v_cmp_o_f32_e32 vcc, v11, v11
	v_mov_b32_e32 v3, s5
	s_and_saveexec_b64 s[12:13], vcc
	s_cbranch_execz .LBB500_9
; %bb.6:
	s_mov_b32 s3, 0x7f800000
	v_cmp_neq_f32_e32 vcc, s3, v11
	v_mov_b32_e32 v3, s6
	s_and_saveexec_b64 s[14:15], vcc
; %bb.7:
	s_mov_b32 s3, 0xff800000
	v_mov_b32_e32 v3, s7
	v_cmp_eq_f32_e32 vcc, s3, v11
	s_nop 1
	v_cndmask_b32_e32 v3, v11, v3, vcc
; %bb.8:
	s_or_b64 exec, exec, s[14:15]
.LBB500_9:
	s_or_b64 exec, exec, s[12:13]
	v_cmp_o_f32_e32 vcc, v12, v12
	v_mov_b32_e32 v4, s5
	;; [unrolled: 19-line block ×3, first 2 shown]
	s_and_saveexec_b64 s[12:13], vcc
	s_cbranch_execz .LBB500_17
; %bb.14:
	s_mov_b32 s3, 0x7f800000
	v_cmp_neq_f32_e32 vcc, s3, v13
	v_mov_b32_e32 v5, s6
	s_and_saveexec_b64 s[14:15], vcc
; %bb.15:
	s_mov_b32 s3, 0xff800000
	v_mov_b32_e32 v5, s7
	v_cmp_eq_f32_e32 vcc, s3, v13
	s_nop 1
	v_cndmask_b32_e32 v5, v13, v5, vcc
; %bb.16:
	s_or_b64 exec, exec, s[14:15]
.LBB500_17:
	s_or_b64 exec, exec, s[12:13]
	s_waitcnt vmcnt(0)
	v_cmp_o_f32_e32 vcc, v6, v6
	v_mov_b32_e32 v10, s5
	s_and_saveexec_b64 s[12:13], vcc
	s_cbranch_execz .LBB500_21
; %bb.18:
	s_mov_b32 s3, 0x7f800000
	v_cmp_neq_f32_e32 vcc, s3, v6
	v_mov_b32_e32 v10, s6
	s_and_saveexec_b64 s[14:15], vcc
; %bb.19:
	s_mov_b32 s3, 0xff800000
	v_mov_b32_e32 v10, s7
	v_cmp_eq_f32_e32 vcc, s3, v6
	s_nop 1
	v_cndmask_b32_e32 v10, v6, v10, vcc
; %bb.20:
	s_or_b64 exec, exec, s[14:15]
.LBB500_21:
	s_or_b64 exec, exec, s[12:13]
	v_cmp_o_f32_e32 vcc, v7, v7
	v_mov_b32_e32 v11, s5
	s_and_saveexec_b64 s[12:13], vcc
	s_cbranch_execz .LBB500_25
; %bb.22:
	s_mov_b32 s3, 0x7f800000
	v_cmp_neq_f32_e32 vcc, s3, v7
	v_mov_b32_e32 v11, s6
	s_and_saveexec_b64 s[14:15], vcc
; %bb.23:
	s_mov_b32 s3, 0xff800000
	v_mov_b32_e32 v6, s7
	v_cmp_eq_f32_e32 vcc, s3, v7
	s_nop 1
	v_cndmask_b32_e32 v11, v7, v6, vcc
; %bb.24:
	s_or_b64 exec, exec, s[14:15]
.LBB500_25:
	s_or_b64 exec, exec, s[12:13]
	v_cmp_o_f32_e32 vcc, v8, v8
	v_mov_b32_e32 v12, s5
	s_and_saveexec_b64 s[12:13], vcc
	s_cbranch_execz .LBB500_29
; %bb.26:
	s_mov_b32 s3, 0x7f800000
	v_cmp_neq_f32_e32 vcc, s3, v8
	v_mov_b32_e32 v12, s6
	s_and_saveexec_b64 s[14:15], vcc
; %bb.27:
	s_mov_b32 s3, 0xff800000
	v_mov_b32_e32 v6, s7
	v_cmp_eq_f32_e32 vcc, s3, v8
	s_nop 1
	v_cndmask_b32_e32 v12, v8, v6, vcc
; %bb.28:
	s_or_b64 exec, exec, s[14:15]
.LBB500_29:
	s_or_b64 exec, exec, s[12:13]
	v_cmp_o_f32_e32 vcc, v9, v9
	v_mov_b32_e32 v13, s5
	s_and_saveexec_b64 s[12:13], vcc
	s_cbranch_execz .LBB500_33
; %bb.30:
	s_mov_b32 s3, 0x7f800000
	v_cmp_neq_f32_e32 vcc, s3, v9
	v_mov_b32_e32 v13, s6
	s_and_saveexec_b64 s[14:15], vcc
; %bb.31:
	s_mov_b32 s3, 0xff800000
	v_mov_b32_e32 v6, s7
	v_cmp_eq_f32_e32 vcc, s3, v9
	s_nop 1
	v_cndmask_b32_e32 v13, v9, v6, vcc
; %bb.32:
	s_or_b64 exec, exec, s[14:15]
.LBB500_33:
	s_or_b64 exec, exec, s[12:13]
	s_add_u32 s0, s8, s0
	s_addc_u32 s1, s9, s1
	global_store_dwordx4 v1, v[2:5], s[0:1]
	global_store_dwordx4 v1, v[10:13], s[0:1] offset:16
	s_mov_b64 s[0:1], 0
.LBB500_34:
	s_and_b64 vcc, exec, s[0:1]
	s_cbranch_vccz .LBB500_79
; %bb.35:
	v_cmp_gt_i32_e32 vcc, s16, v0
	v_mov_b32_e32 v12, 0
	v_or_b32_e32 v2, s2, v0
	v_mov_b32_e32 v1, v0
	v_mov_b32_e32 v8, 0
	;; [unrolled: 1-line block ×3, first 2 shown]
	s_and_saveexec_b64 s[0:1], vcc
	s_cbranch_execz .LBB500_37
; %bb.36:
	v_mov_b32_e32 v3, 0
	v_lshl_add_u64 v[4:5], v[2:3], 3, s[10:11]
	global_load_dwordx2 v[8:9], v[4:5], off
	v_or_b32_e32 v1, 0x100, v0
.LBB500_37:
	s_or_b64 exec, exec, s[0:1]
	v_cmp_gt_i32_e64 s[0:1], s16, v1
	v_mov_b32_e32 v13, 0
	s_and_saveexec_b64 s[12:13], s[0:1]
	s_cbranch_execz .LBB500_39
; %bb.38:
	v_add_u32_e32 v4, s2, v1
	v_mov_b32_e32 v5, 0
	v_lshl_add_u64 v[4:5], v[4:5], 3, s[10:11]
	global_load_dwordx2 v[12:13], v[4:5], off
	v_add_u32_e32 v1, 0x100, v1
.LBB500_39:
	s_or_b64 exec, exec, s[12:13]
	v_cmp_gt_i32_e64 s[0:1], s16, v1
	v_mov_b32_e32 v4, 0
	v_mov_b32_e32 v10, 0
	;; [unrolled: 1-line block ×3, first 2 shown]
	s_and_saveexec_b64 s[12:13], s[0:1]
	s_cbranch_execz .LBB500_41
; %bb.40:
	v_add_u32_e32 v6, s2, v1
	v_mov_b32_e32 v7, 0
	v_lshl_add_u64 v[6:7], v[6:7], 3, s[10:11]
	global_load_dwordx2 v[10:11], v[6:7], off
	v_add_u32_e32 v1, 0x100, v1
.LBB500_41:
	s_or_b64 exec, exec, s[12:13]
	v_cmp_gt_i32_e64 s[0:1], s16, v1
	v_mov_b32_e32 v5, 0
	s_and_saveexec_b64 s[12:13], s[0:1]
	s_cbranch_execz .LBB500_43
; %bb.42:
	v_add_u32_e32 v4, s2, v1
	v_mov_b32_e32 v5, 0
	v_lshl_add_u64 v[4:5], v[4:5], 3, s[10:11]
	global_load_dwordx2 v[4:5], v[4:5], off
.LBB500_43:
	s_or_b64 exec, exec, s[12:13]
	v_mov_b32_e32 v7, 0
	v_mov_b32_e32 v6, 0
	s_and_saveexec_b64 s[10:11], vcc
	s_cbranch_execz .LBB500_53
; %bb.44:
	s_waitcnt vmcnt(0)
	v_cmp_o_f32_e64 s[0:1], v8, v8
	v_mov_b32_e32 v6, s5
	s_and_saveexec_b64 s[12:13], s[0:1]
	s_cbranch_execz .LBB500_48
; %bb.45:
	s_mov_b32 s0, 0x7f800000
	v_cmp_neq_f32_e64 s[0:1], s0, v8
	v_mov_b32_e32 v6, s6
	s_and_saveexec_b64 s[14:15], s[0:1]
; %bb.46:
	s_mov_b32 s0, 0xff800000
	v_mov_b32_e32 v1, s7
	v_cmp_eq_f32_e64 s[0:1], s0, v8
	s_nop 1
	v_cndmask_b32_e64 v6, v8, v1, s[0:1]
; %bb.47:
	s_or_b64 exec, exec, s[14:15]
.LBB500_48:
	s_or_b64 exec, exec, s[12:13]
	v_cmp_o_f32_e64 s[0:1], v9, v9
	v_mov_b32_e32 v7, s5
	s_and_saveexec_b64 s[12:13], s[0:1]
	s_cbranch_execz .LBB500_52
; %bb.49:
	s_mov_b32 s0, 0x7f800000
	v_cmp_neq_f32_e64 s[0:1], s0, v9
	v_mov_b32_e32 v7, s6
	s_and_saveexec_b64 s[14:15], s[0:1]
; %bb.50:
	s_mov_b32 s0, 0xff800000
	v_mov_b32_e32 v1, s7
	v_cmp_eq_f32_e64 s[0:1], s0, v9
	s_nop 1
	v_cndmask_b32_e64 v7, v9, v1, s[0:1]
; %bb.51:
	s_or_b64 exec, exec, s[14:15]
.LBB500_52:
	s_or_b64 exec, exec, s[12:13]
.LBB500_53:
	s_or_b64 exec, exec, s[10:11]
	v_or_b32_e32 v1, 0x100, v0
	v_cmp_gt_i32_e64 s[0:1], s16, v1
	s_waitcnt vmcnt(0)
	v_mov_b32_e32 v9, 0
	v_mov_b32_e32 v8, 0
	s_and_saveexec_b64 s[10:11], s[0:1]
	s_cbranch_execz .LBB500_63
; %bb.54:
	v_cmp_o_f32_e64 s[0:1], v12, v12
	v_mov_b32_e32 v8, s5
	s_and_saveexec_b64 s[12:13], s[0:1]
	s_cbranch_execz .LBB500_58
; %bb.55:
	s_mov_b32 s0, 0x7f800000
	v_cmp_neq_f32_e64 s[0:1], s0, v12
	v_mov_b32_e32 v8, s6
	s_and_saveexec_b64 s[14:15], s[0:1]
; %bb.56:
	s_mov_b32 s0, 0xff800000
	v_mov_b32_e32 v3, s7
	v_cmp_eq_f32_e64 s[0:1], s0, v12
	s_nop 1
	v_cndmask_b32_e64 v8, v12, v3, s[0:1]
; %bb.57:
	s_or_b64 exec, exec, s[14:15]
.LBB500_58:
	s_or_b64 exec, exec, s[12:13]
	v_cmp_o_f32_e64 s[0:1], v13, v13
	v_mov_b32_e32 v9, s5
	s_and_saveexec_b64 s[12:13], s[0:1]
	s_cbranch_execz .LBB500_62
; %bb.59:
	s_mov_b32 s0, 0x7f800000
	v_cmp_neq_f32_e64 s[0:1], s0, v13
	v_mov_b32_e32 v9, s6
	s_and_saveexec_b64 s[14:15], s[0:1]
; %bb.60:
	s_mov_b32 s0, 0xff800000
	v_mov_b32_e32 v3, s7
	v_cmp_eq_f32_e64 s[0:1], s0, v13
	s_nop 1
	v_cndmask_b32_e64 v9, v13, v3, s[0:1]
; %bb.61:
	s_or_b64 exec, exec, s[14:15]
.LBB500_62:
	s_or_b64 exec, exec, s[12:13]
.LBB500_63:
	s_or_b64 exec, exec, s[10:11]
	v_or_b32_e32 v3, 0x200, v0
	v_cmp_gt_i32_e64 s[0:1], s16, v3
	v_mov_b32_e32 v13, 0
	v_mov_b32_e32 v12, 0
	s_and_saveexec_b64 s[10:11], s[0:1]
	s_cbranch_execz .LBB500_73
; %bb.64:
	v_cmp_o_f32_e64 s[0:1], v10, v10
	v_mov_b32_e32 v12, s5
	s_and_saveexec_b64 s[12:13], s[0:1]
	s_cbranch_execz .LBB500_68
; %bb.65:
	s_mov_b32 s0, 0x7f800000
	v_cmp_neq_f32_e64 s[0:1], s0, v10
	v_mov_b32_e32 v12, s6
	s_and_saveexec_b64 s[14:15], s[0:1]
; %bb.66:
	s_mov_b32 s0, 0xff800000
	v_mov_b32_e32 v3, s7
	v_cmp_eq_f32_e64 s[0:1], s0, v10
	s_nop 1
	v_cndmask_b32_e64 v12, v10, v3, s[0:1]
; %bb.67:
	s_or_b64 exec, exec, s[14:15]
.LBB500_68:
	s_or_b64 exec, exec, s[12:13]
	v_cmp_o_f32_e64 s[0:1], v11, v11
	v_mov_b32_e32 v13, s5
	s_and_saveexec_b64 s[12:13], s[0:1]
	s_cbranch_execz .LBB500_72
; %bb.69:
	s_mov_b32 s0, 0x7f800000
	v_cmp_neq_f32_e64 s[0:1], s0, v11
	v_mov_b32_e32 v13, s6
	s_and_saveexec_b64 s[14:15], s[0:1]
; %bb.70:
	s_mov_b32 s0, 0xff800000
	v_mov_b32_e32 v3, s7
	v_cmp_eq_f32_e64 s[0:1], s0, v11
	s_nop 1
	v_cndmask_b32_e64 v13, v11, v3, s[0:1]
; %bb.71:
	s_or_b64 exec, exec, s[14:15]
.LBB500_72:
	s_or_b64 exec, exec, s[12:13]
.LBB500_73:
	s_or_b64 exec, exec, s[10:11]
	v_or_b32_e32 v3, 0x300, v0
	v_cmp_gt_i32_e64 s[0:1], s16, v3
	v_mov_b32_e32 v11, 0
	v_mov_b32_e32 v10, 0
	s_and_saveexec_b64 s[10:11], s[0:1]
	s_cbranch_execnz .LBB500_80
; %bb.74:
	s_or_b64 exec, exec, s[10:11]
	s_and_saveexec_b64 s[0:1], vcc
	s_xor_b64 s[0:1], exec, s[0:1]
	s_cbranch_execnz .LBB500_89
.LBB500_75:
	s_or_b64 exec, exec, s[0:1]
	v_cmp_gt_i32_e32 vcc, s16, v0
	s_and_saveexec_b64 s[0:1], vcc
	s_cbranch_execnz .LBB500_90
.LBB500_76:
	s_or_b64 exec, exec, s[0:1]
	v_cmp_gt_i32_e32 vcc, s16, v0
	s_and_saveexec_b64 s[0:1], vcc
	s_cbranch_execnz .LBB500_91
.LBB500_77:
	s_or_b64 exec, exec, s[0:1]
	v_cmp_gt_i32_e32 vcc, s16, v0
	s_and_saveexec_b64 s[0:1], vcc
	s_cbranch_execz .LBB500_79
.LBB500_78:
	v_add_u32_e32 v0, s2, v0
	v_mov_b32_e32 v1, 0
	v_lshl_add_u64 v[0:1], v[0:1], 3, s[8:9]
	global_store_dwordx2 v[0:1], v[10:11], off
.LBB500_79:
	s_endpgm
.LBB500_80:
	v_cmp_o_f32_e64 s[0:1], v4, v4
	v_mov_b32_e32 v10, s5
	s_and_saveexec_b64 s[12:13], s[0:1]
	s_cbranch_execz .LBB500_84
; %bb.81:
	s_mov_b32 s0, 0x7f800000
	v_cmp_neq_f32_e64 s[0:1], s0, v4
	v_mov_b32_e32 v10, s6
	s_and_saveexec_b64 s[14:15], s[0:1]
; %bb.82:
	s_mov_b32 s0, 0xff800000
	v_mov_b32_e32 v3, s7
	v_cmp_eq_f32_e64 s[0:1], s0, v4
	s_nop 1
	v_cndmask_b32_e64 v10, v4, v3, s[0:1]
; %bb.83:
	s_or_b64 exec, exec, s[14:15]
.LBB500_84:
	s_or_b64 exec, exec, s[12:13]
	v_cmp_o_f32_e64 s[0:1], v5, v5
	v_mov_b32_e32 v11, s5
	s_and_saveexec_b64 s[4:5], s[0:1]
	s_cbranch_execz .LBB500_88
; %bb.85:
	s_mov_b32 s0, 0x7f800000
	v_cmp_neq_f32_e64 s[0:1], s0, v5
	v_mov_b32_e32 v11, s6
	s_and_saveexec_b64 s[12:13], s[0:1]
; %bb.86:
	s_mov_b32 s0, 0xff800000
	v_mov_b32_e32 v3, s7
	v_cmp_eq_f32_e64 s[0:1], s0, v5
	s_nop 1
	v_cndmask_b32_e64 v11, v5, v3, s[0:1]
; %bb.87:
	s_or_b64 exec, exec, s[12:13]
.LBB500_88:
	s_or_b64 exec, exec, s[4:5]
	s_or_b64 exec, exec, s[10:11]
	s_and_saveexec_b64 s[0:1], vcc
	s_xor_b64 s[0:1], exec, s[0:1]
	s_cbranch_execz .LBB500_75
.LBB500_89:
	v_mov_b32_e32 v3, 0
	v_lshl_add_u64 v[2:3], v[2:3], 3, s[8:9]
	v_mov_b32_e32 v0, v1
	global_store_dwordx2 v[2:3], v[6:7], off
	s_or_b64 exec, exec, s[0:1]
	v_cmp_gt_i32_e32 vcc, s16, v0
	s_and_saveexec_b64 s[0:1], vcc
	s_cbranch_execz .LBB500_76
.LBB500_90:
	v_add_u32_e32 v2, 0x100, v0
	v_add_u32_e32 v0, s2, v0
	v_mov_b32_e32 v1, 0
	v_lshl_add_u64 v[0:1], v[0:1], 3, s[8:9]
	global_store_dwordx2 v[0:1], v[8:9], off
	v_mov_b32_e32 v0, v2
	s_or_b64 exec, exec, s[0:1]
	v_cmp_gt_i32_e32 vcc, s16, v0
	s_and_saveexec_b64 s[0:1], vcc
	s_cbranch_execz .LBB500_77
.LBB500_91:
	v_add_u32_e32 v2, 0x100, v0
	v_add_u32_e32 v0, s2, v0
	v_mov_b32_e32 v1, 0
	v_lshl_add_u64 v[0:1], v[0:1], 3, s[8:9]
	global_store_dwordx2 v[0:1], v[12:13], off
	v_mov_b32_e32 v0, v2
	s_or_b64 exec, exec, s[0:1]
	v_cmp_gt_i32_e32 vcc, s16, v0
	s_and_saveexec_b64 s[0:1], vcc
	s_cbranch_execnz .LBB500_78
	s_branch .LBB500_79
	.section	.rodata,"a",@progbits
	.p2align	6, 0x0
	.amdhsa_kernel _ZN2at6native29vectorized_elementwise_kernelILi4EZZZNS0_22nan_to_num_kernel_cudaERNS_18TensorIteratorBaseESt8optionalIdES5_S5_ENKUlvE_clEvENKUlvE0_clEvEUlN3c107complexIfEEE_St5arrayIPcLm2EEEEviT0_T1_
		.amdhsa_group_segment_fixed_size 0
		.amdhsa_private_segment_fixed_size 0
		.amdhsa_kernarg_size 32
		.amdhsa_user_sgpr_count 2
		.amdhsa_user_sgpr_dispatch_ptr 0
		.amdhsa_user_sgpr_queue_ptr 0
		.amdhsa_user_sgpr_kernarg_segment_ptr 1
		.amdhsa_user_sgpr_dispatch_id 0
		.amdhsa_user_sgpr_kernarg_preload_length 0
		.amdhsa_user_sgpr_kernarg_preload_offset 0
		.amdhsa_user_sgpr_private_segment_size 0
		.amdhsa_uses_dynamic_stack 0
		.amdhsa_enable_private_segment 0
		.amdhsa_system_sgpr_workgroup_id_x 1
		.amdhsa_system_sgpr_workgroup_id_y 0
		.amdhsa_system_sgpr_workgroup_id_z 0
		.amdhsa_system_sgpr_workgroup_info 0
		.amdhsa_system_vgpr_workitem_id 0
		.amdhsa_next_free_vgpr 14
		.amdhsa_next_free_sgpr 17
		.amdhsa_accum_offset 16
		.amdhsa_reserve_vcc 1
		.amdhsa_float_round_mode_32 0
		.amdhsa_float_round_mode_16_64 0
		.amdhsa_float_denorm_mode_32 3
		.amdhsa_float_denorm_mode_16_64 3
		.amdhsa_dx10_clamp 1
		.amdhsa_ieee_mode 1
		.amdhsa_fp16_overflow 0
		.amdhsa_tg_split 0
		.amdhsa_exception_fp_ieee_invalid_op 0
		.amdhsa_exception_fp_denorm_src 0
		.amdhsa_exception_fp_ieee_div_zero 0
		.amdhsa_exception_fp_ieee_overflow 0
		.amdhsa_exception_fp_ieee_underflow 0
		.amdhsa_exception_fp_ieee_inexact 0
		.amdhsa_exception_int_div_zero 0
	.end_amdhsa_kernel
	.section	.text._ZN2at6native29vectorized_elementwise_kernelILi4EZZZNS0_22nan_to_num_kernel_cudaERNS_18TensorIteratorBaseESt8optionalIdES5_S5_ENKUlvE_clEvENKUlvE0_clEvEUlN3c107complexIfEEE_St5arrayIPcLm2EEEEviT0_T1_,"axG",@progbits,_ZN2at6native29vectorized_elementwise_kernelILi4EZZZNS0_22nan_to_num_kernel_cudaERNS_18TensorIteratorBaseESt8optionalIdES5_S5_ENKUlvE_clEvENKUlvE0_clEvEUlN3c107complexIfEEE_St5arrayIPcLm2EEEEviT0_T1_,comdat
.Lfunc_end500:
	.size	_ZN2at6native29vectorized_elementwise_kernelILi4EZZZNS0_22nan_to_num_kernel_cudaERNS_18TensorIteratorBaseESt8optionalIdES5_S5_ENKUlvE_clEvENKUlvE0_clEvEUlN3c107complexIfEEE_St5arrayIPcLm2EEEEviT0_T1_, .Lfunc_end500-_ZN2at6native29vectorized_elementwise_kernelILi4EZZZNS0_22nan_to_num_kernel_cudaERNS_18TensorIteratorBaseESt8optionalIdES5_S5_ENKUlvE_clEvENKUlvE0_clEvEUlN3c107complexIfEEE_St5arrayIPcLm2EEEEviT0_T1_
                                        ; -- End function
	.set _ZN2at6native29vectorized_elementwise_kernelILi4EZZZNS0_22nan_to_num_kernel_cudaERNS_18TensorIteratorBaseESt8optionalIdES5_S5_ENKUlvE_clEvENKUlvE0_clEvEUlN3c107complexIfEEE_St5arrayIPcLm2EEEEviT0_T1_.num_vgpr, 14
	.set _ZN2at6native29vectorized_elementwise_kernelILi4EZZZNS0_22nan_to_num_kernel_cudaERNS_18TensorIteratorBaseESt8optionalIdES5_S5_ENKUlvE_clEvENKUlvE0_clEvEUlN3c107complexIfEEE_St5arrayIPcLm2EEEEviT0_T1_.num_agpr, 0
	.set _ZN2at6native29vectorized_elementwise_kernelILi4EZZZNS0_22nan_to_num_kernel_cudaERNS_18TensorIteratorBaseESt8optionalIdES5_S5_ENKUlvE_clEvENKUlvE0_clEvEUlN3c107complexIfEEE_St5arrayIPcLm2EEEEviT0_T1_.numbered_sgpr, 17
	.set _ZN2at6native29vectorized_elementwise_kernelILi4EZZZNS0_22nan_to_num_kernel_cudaERNS_18TensorIteratorBaseESt8optionalIdES5_S5_ENKUlvE_clEvENKUlvE0_clEvEUlN3c107complexIfEEE_St5arrayIPcLm2EEEEviT0_T1_.num_named_barrier, 0
	.set _ZN2at6native29vectorized_elementwise_kernelILi4EZZZNS0_22nan_to_num_kernel_cudaERNS_18TensorIteratorBaseESt8optionalIdES5_S5_ENKUlvE_clEvENKUlvE0_clEvEUlN3c107complexIfEEE_St5arrayIPcLm2EEEEviT0_T1_.private_seg_size, 0
	.set _ZN2at6native29vectorized_elementwise_kernelILi4EZZZNS0_22nan_to_num_kernel_cudaERNS_18TensorIteratorBaseESt8optionalIdES5_S5_ENKUlvE_clEvENKUlvE0_clEvEUlN3c107complexIfEEE_St5arrayIPcLm2EEEEviT0_T1_.uses_vcc, 1
	.set _ZN2at6native29vectorized_elementwise_kernelILi4EZZZNS0_22nan_to_num_kernel_cudaERNS_18TensorIteratorBaseESt8optionalIdES5_S5_ENKUlvE_clEvENKUlvE0_clEvEUlN3c107complexIfEEE_St5arrayIPcLm2EEEEviT0_T1_.uses_flat_scratch, 0
	.set _ZN2at6native29vectorized_elementwise_kernelILi4EZZZNS0_22nan_to_num_kernel_cudaERNS_18TensorIteratorBaseESt8optionalIdES5_S5_ENKUlvE_clEvENKUlvE0_clEvEUlN3c107complexIfEEE_St5arrayIPcLm2EEEEviT0_T1_.has_dyn_sized_stack, 0
	.set _ZN2at6native29vectorized_elementwise_kernelILi4EZZZNS0_22nan_to_num_kernel_cudaERNS_18TensorIteratorBaseESt8optionalIdES5_S5_ENKUlvE_clEvENKUlvE0_clEvEUlN3c107complexIfEEE_St5arrayIPcLm2EEEEviT0_T1_.has_recursion, 0
	.set _ZN2at6native29vectorized_elementwise_kernelILi4EZZZNS0_22nan_to_num_kernel_cudaERNS_18TensorIteratorBaseESt8optionalIdES5_S5_ENKUlvE_clEvENKUlvE0_clEvEUlN3c107complexIfEEE_St5arrayIPcLm2EEEEviT0_T1_.has_indirect_call, 0
	.section	.AMDGPU.csdata,"",@progbits
; Kernel info:
; codeLenInByte = 1948
; TotalNumSgprs: 23
; NumVgprs: 14
; NumAgprs: 0
; TotalNumVgprs: 14
; ScratchSize: 0
; MemoryBound: 1
; FloatMode: 240
; IeeeMode: 1
; LDSByteSize: 0 bytes/workgroup (compile time only)
; SGPRBlocks: 2
; VGPRBlocks: 1
; NumSGPRsForWavesPerEU: 23
; NumVGPRsForWavesPerEU: 14
; AccumOffset: 16
; Occupancy: 8
; WaveLimiterHint : 0
; COMPUTE_PGM_RSRC2:SCRATCH_EN: 0
; COMPUTE_PGM_RSRC2:USER_SGPR: 2
; COMPUTE_PGM_RSRC2:TRAP_HANDLER: 0
; COMPUTE_PGM_RSRC2:TGID_X_EN: 1
; COMPUTE_PGM_RSRC2:TGID_Y_EN: 0
; COMPUTE_PGM_RSRC2:TGID_Z_EN: 0
; COMPUTE_PGM_RSRC2:TIDIG_COMP_CNT: 0
; COMPUTE_PGM_RSRC3_GFX90A:ACCUM_OFFSET: 3
; COMPUTE_PGM_RSRC3_GFX90A:TG_SPLIT: 0
	.section	.text._ZN2at6native29vectorized_elementwise_kernelILi2EZZZNS0_22nan_to_num_kernel_cudaERNS_18TensorIteratorBaseESt8optionalIdES5_S5_ENKUlvE_clEvENKUlvE0_clEvEUlN3c107complexIfEEE_St5arrayIPcLm2EEEEviT0_T1_,"axG",@progbits,_ZN2at6native29vectorized_elementwise_kernelILi2EZZZNS0_22nan_to_num_kernel_cudaERNS_18TensorIteratorBaseESt8optionalIdES5_S5_ENKUlvE_clEvENKUlvE0_clEvEUlN3c107complexIfEEE_St5arrayIPcLm2EEEEviT0_T1_,comdat
	.globl	_ZN2at6native29vectorized_elementwise_kernelILi2EZZZNS0_22nan_to_num_kernel_cudaERNS_18TensorIteratorBaseESt8optionalIdES5_S5_ENKUlvE_clEvENKUlvE0_clEvEUlN3c107complexIfEEE_St5arrayIPcLm2EEEEviT0_T1_ ; -- Begin function _ZN2at6native29vectorized_elementwise_kernelILi2EZZZNS0_22nan_to_num_kernel_cudaERNS_18TensorIteratorBaseESt8optionalIdES5_S5_ENKUlvE_clEvENKUlvE0_clEvEUlN3c107complexIfEEE_St5arrayIPcLm2EEEEviT0_T1_
	.p2align	8
	.type	_ZN2at6native29vectorized_elementwise_kernelILi2EZZZNS0_22nan_to_num_kernel_cudaERNS_18TensorIteratorBaseESt8optionalIdES5_S5_ENKUlvE_clEvENKUlvE0_clEvEUlN3c107complexIfEEE_St5arrayIPcLm2EEEEviT0_T1_,@function
_ZN2at6native29vectorized_elementwise_kernelILi2EZZZNS0_22nan_to_num_kernel_cudaERNS_18TensorIteratorBaseESt8optionalIdES5_S5_ENKUlvE_clEvENKUlvE0_clEvEUlN3c107complexIfEEE_St5arrayIPcLm2EEEEviT0_T1_: ; @_ZN2at6native29vectorized_elementwise_kernelILi2EZZZNS0_22nan_to_num_kernel_cudaERNS_18TensorIteratorBaseESt8optionalIdES5_S5_ENKUlvE_clEvENKUlvE0_clEvEUlN3c107complexIfEEE_St5arrayIPcLm2EEEEviT0_T1_
; %bb.0:
	s_load_dwordx8 s[4:11], s[0:1], 0x0
	s_lshl_b32 s2, s2, 10
	s_mov_b64 s[0:1], -1
	s_waitcnt lgkmcnt(0)
	s_sub_i32 s16, s4, s2
	s_cmpk_gt_i32 s16, 0x3ff
	s_cbranch_scc0 .LBB501_34
; %bb.1:
	s_ashr_i32 s3, s2, 31
	s_lshl_b64 s[0:1], s[2:3], 3
	s_add_u32 s12, s10, s0
	s_addc_u32 s13, s11, s1
	v_mov_b32_e32 v15, 0
	v_lshlrev_b32_e32 v14, 4, v0
	v_lshl_add_u64 v[2:3], s[12:13], 0, v[14:15]
	v_add_co_u32_e32 v2, vcc, 0x1000, v2
	global_load_dwordx4 v[10:13], v14, s[12:13]
	s_nop 0
	v_addc_co_u32_e32 v3, vcc, 0, v3, vcc
	global_load_dwordx4 v[6:9], v[2:3], off
	v_mov_b32_e32 v2, s5
	s_waitcnt vmcnt(1)
	v_cmp_o_f32_e32 vcc, v10, v10
	s_and_saveexec_b64 s[12:13], vcc
	s_cbranch_execz .LBB501_5
; %bb.2:
	s_mov_b32 s3, 0x7f800000
	v_cmp_neq_f32_e32 vcc, s3, v10
	v_mov_b32_e32 v2, s6
	s_and_saveexec_b64 s[14:15], vcc
; %bb.3:
	s_mov_b32 s3, 0xff800000
	v_mov_b32_e32 v1, s7
	v_cmp_eq_f32_e32 vcc, s3, v10
	s_nop 1
	v_cndmask_b32_e32 v2, v10, v1, vcc
; %bb.4:
	s_or_b64 exec, exec, s[14:15]
.LBB501_5:
	s_or_b64 exec, exec, s[12:13]
	v_cmp_o_f32_e32 vcc, v11, v11
	v_mov_b32_e32 v3, s5
	s_and_saveexec_b64 s[12:13], vcc
	s_cbranch_execz .LBB501_9
; %bb.6:
	s_mov_b32 s3, 0x7f800000
	v_cmp_neq_f32_e32 vcc, s3, v11
	v_mov_b32_e32 v3, s6
	s_and_saveexec_b64 s[14:15], vcc
; %bb.7:
	s_mov_b32 s3, 0xff800000
	v_mov_b32_e32 v1, s7
	v_cmp_eq_f32_e32 vcc, s3, v11
	s_nop 1
	v_cndmask_b32_e32 v3, v11, v1, vcc
; %bb.8:
	s_or_b64 exec, exec, s[14:15]
.LBB501_9:
	s_or_b64 exec, exec, s[12:13]
	v_cmp_o_f32_e32 vcc, v12, v12
	v_mov_b32_e32 v4, s5
	;; [unrolled: 19-line block ×3, first 2 shown]
	s_and_saveexec_b64 s[12:13], vcc
	s_cbranch_execz .LBB501_17
; %bb.14:
	s_mov_b32 s3, 0x7f800000
	v_cmp_neq_f32_e32 vcc, s3, v13
	v_mov_b32_e32 v5, s6
	s_and_saveexec_b64 s[14:15], vcc
; %bb.15:
	s_mov_b32 s3, 0xff800000
	v_mov_b32_e32 v1, s7
	v_cmp_eq_f32_e32 vcc, s3, v13
	s_nop 1
	v_cndmask_b32_e32 v5, v13, v1, vcc
; %bb.16:
	s_or_b64 exec, exec, s[14:15]
.LBB501_17:
	s_or_b64 exec, exec, s[12:13]
	s_waitcnt vmcnt(0)
	v_cmp_o_f32_e32 vcc, v6, v6
	v_mov_b32_e32 v10, s5
	s_and_saveexec_b64 s[12:13], vcc
	s_cbranch_execz .LBB501_21
; %bb.18:
	s_mov_b32 s3, 0x7f800000
	v_cmp_neq_f32_e32 vcc, s3, v6
	v_mov_b32_e32 v10, s6
	s_and_saveexec_b64 s[14:15], vcc
; %bb.19:
	s_mov_b32 s3, 0xff800000
	v_mov_b32_e32 v1, s7
	v_cmp_eq_f32_e32 vcc, s3, v6
	s_nop 1
	v_cndmask_b32_e32 v10, v6, v1, vcc
; %bb.20:
	s_or_b64 exec, exec, s[14:15]
.LBB501_21:
	s_or_b64 exec, exec, s[12:13]
	v_cmp_o_f32_e32 vcc, v7, v7
	v_mov_b32_e32 v11, s5
	s_and_saveexec_b64 s[12:13], vcc
	s_cbranch_execz .LBB501_25
; %bb.22:
	s_mov_b32 s3, 0x7f800000
	v_cmp_neq_f32_e32 vcc, s3, v7
	v_mov_b32_e32 v11, s6
	s_and_saveexec_b64 s[14:15], vcc
; %bb.23:
	s_mov_b32 s3, 0xff800000
	v_mov_b32_e32 v1, s7
	v_cmp_eq_f32_e32 vcc, s3, v7
	s_nop 1
	v_cndmask_b32_e32 v11, v7, v1, vcc
; %bb.24:
	s_or_b64 exec, exec, s[14:15]
.LBB501_25:
	s_or_b64 exec, exec, s[12:13]
	;; [unrolled: 19-line block ×4, first 2 shown]
	s_add_u32 s0, s8, s0
	s_addc_u32 s1, s9, s1
	v_mov_b32_e32 v15, 0
	v_lshl_add_u64 v[6:7], s[0:1], 0, v[14:15]
	global_store_dwordx4 v14, v[2:5], s[0:1]
	s_mov_b64 s[0:1], 0
	s_nop 0
	v_add_co_u32_e32 v2, vcc, 0x1000, v6
	s_nop 1
	v_addc_co_u32_e32 v3, vcc, 0, v7, vcc
	global_store_dwordx4 v[2:3], v[10:13], off
.LBB501_34:
	s_and_b64 vcc, exec, s[0:1]
	s_cbranch_vccz .LBB501_79
; %bb.35:
	v_cmp_gt_i32_e32 vcc, s16, v0
	v_mov_b32_e32 v12, 0
	v_or_b32_e32 v2, s2, v0
	v_mov_b32_e32 v1, v0
	v_mov_b32_e32 v8, 0
	;; [unrolled: 1-line block ×3, first 2 shown]
	s_and_saveexec_b64 s[0:1], vcc
	s_cbranch_execz .LBB501_37
; %bb.36:
	v_mov_b32_e32 v3, 0
	v_lshl_add_u64 v[4:5], v[2:3], 3, s[10:11]
	global_load_dwordx2 v[8:9], v[4:5], off
	v_or_b32_e32 v1, 0x100, v0
.LBB501_37:
	s_or_b64 exec, exec, s[0:1]
	v_cmp_gt_i32_e64 s[0:1], s16, v1
	v_mov_b32_e32 v13, 0
	s_and_saveexec_b64 s[12:13], s[0:1]
	s_cbranch_execz .LBB501_39
; %bb.38:
	v_add_u32_e32 v4, s2, v1
	v_mov_b32_e32 v5, 0
	v_lshl_add_u64 v[4:5], v[4:5], 3, s[10:11]
	global_load_dwordx2 v[12:13], v[4:5], off
	v_add_u32_e32 v1, 0x100, v1
.LBB501_39:
	s_or_b64 exec, exec, s[12:13]
	v_cmp_gt_i32_e64 s[0:1], s16, v1
	v_mov_b32_e32 v4, 0
	v_mov_b32_e32 v10, 0
	v_mov_b32_e32 v11, 0
	s_and_saveexec_b64 s[12:13], s[0:1]
	s_cbranch_execz .LBB501_41
; %bb.40:
	v_add_u32_e32 v6, s2, v1
	v_mov_b32_e32 v7, 0
	v_lshl_add_u64 v[6:7], v[6:7], 3, s[10:11]
	global_load_dwordx2 v[10:11], v[6:7], off
	v_add_u32_e32 v1, 0x100, v1
.LBB501_41:
	s_or_b64 exec, exec, s[12:13]
	v_cmp_gt_i32_e64 s[0:1], s16, v1
	v_mov_b32_e32 v5, 0
	s_and_saveexec_b64 s[12:13], s[0:1]
	s_cbranch_execz .LBB501_43
; %bb.42:
	v_add_u32_e32 v4, s2, v1
	v_mov_b32_e32 v5, 0
	v_lshl_add_u64 v[4:5], v[4:5], 3, s[10:11]
	global_load_dwordx2 v[4:5], v[4:5], off
.LBB501_43:
	s_or_b64 exec, exec, s[12:13]
	v_mov_b32_e32 v7, 0
	v_mov_b32_e32 v6, 0
	s_and_saveexec_b64 s[10:11], vcc
	s_cbranch_execz .LBB501_53
; %bb.44:
	s_waitcnt vmcnt(0)
	v_cmp_o_f32_e64 s[0:1], v8, v8
	v_mov_b32_e32 v6, s5
	s_and_saveexec_b64 s[12:13], s[0:1]
	s_cbranch_execz .LBB501_48
; %bb.45:
	s_mov_b32 s0, 0x7f800000
	v_cmp_neq_f32_e64 s[0:1], s0, v8
	v_mov_b32_e32 v6, s6
	s_and_saveexec_b64 s[14:15], s[0:1]
; %bb.46:
	s_mov_b32 s0, 0xff800000
	v_mov_b32_e32 v1, s7
	v_cmp_eq_f32_e64 s[0:1], s0, v8
	s_nop 1
	v_cndmask_b32_e64 v6, v8, v1, s[0:1]
; %bb.47:
	s_or_b64 exec, exec, s[14:15]
.LBB501_48:
	s_or_b64 exec, exec, s[12:13]
	v_cmp_o_f32_e64 s[0:1], v9, v9
	v_mov_b32_e32 v7, s5
	s_and_saveexec_b64 s[12:13], s[0:1]
	s_cbranch_execz .LBB501_52
; %bb.49:
	s_mov_b32 s0, 0x7f800000
	v_cmp_neq_f32_e64 s[0:1], s0, v9
	v_mov_b32_e32 v7, s6
	s_and_saveexec_b64 s[14:15], s[0:1]
; %bb.50:
	s_mov_b32 s0, 0xff800000
	v_mov_b32_e32 v1, s7
	v_cmp_eq_f32_e64 s[0:1], s0, v9
	s_nop 1
	v_cndmask_b32_e64 v7, v9, v1, s[0:1]
; %bb.51:
	s_or_b64 exec, exec, s[14:15]
.LBB501_52:
	s_or_b64 exec, exec, s[12:13]
.LBB501_53:
	s_or_b64 exec, exec, s[10:11]
	v_or_b32_e32 v1, 0x100, v0
	v_cmp_gt_i32_e64 s[0:1], s16, v1
	s_waitcnt vmcnt(0)
	v_mov_b32_e32 v9, 0
	v_mov_b32_e32 v8, 0
	s_and_saveexec_b64 s[10:11], s[0:1]
	s_cbranch_execz .LBB501_63
; %bb.54:
	v_cmp_o_f32_e64 s[0:1], v12, v12
	v_mov_b32_e32 v8, s5
	s_and_saveexec_b64 s[12:13], s[0:1]
	s_cbranch_execz .LBB501_58
; %bb.55:
	s_mov_b32 s0, 0x7f800000
	v_cmp_neq_f32_e64 s[0:1], s0, v12
	v_mov_b32_e32 v8, s6
	s_and_saveexec_b64 s[14:15], s[0:1]
; %bb.56:
	s_mov_b32 s0, 0xff800000
	v_mov_b32_e32 v3, s7
	v_cmp_eq_f32_e64 s[0:1], s0, v12
	s_nop 1
	v_cndmask_b32_e64 v8, v12, v3, s[0:1]
; %bb.57:
	s_or_b64 exec, exec, s[14:15]
.LBB501_58:
	s_or_b64 exec, exec, s[12:13]
	v_cmp_o_f32_e64 s[0:1], v13, v13
	v_mov_b32_e32 v9, s5
	s_and_saveexec_b64 s[12:13], s[0:1]
	s_cbranch_execz .LBB501_62
; %bb.59:
	s_mov_b32 s0, 0x7f800000
	v_cmp_neq_f32_e64 s[0:1], s0, v13
	v_mov_b32_e32 v9, s6
	s_and_saveexec_b64 s[14:15], s[0:1]
; %bb.60:
	s_mov_b32 s0, 0xff800000
	v_mov_b32_e32 v3, s7
	v_cmp_eq_f32_e64 s[0:1], s0, v13
	s_nop 1
	v_cndmask_b32_e64 v9, v13, v3, s[0:1]
; %bb.61:
	s_or_b64 exec, exec, s[14:15]
.LBB501_62:
	s_or_b64 exec, exec, s[12:13]
.LBB501_63:
	s_or_b64 exec, exec, s[10:11]
	v_or_b32_e32 v3, 0x200, v0
	v_cmp_gt_i32_e64 s[0:1], s16, v3
	v_mov_b32_e32 v13, 0
	v_mov_b32_e32 v12, 0
	s_and_saveexec_b64 s[10:11], s[0:1]
	s_cbranch_execz .LBB501_73
; %bb.64:
	v_cmp_o_f32_e64 s[0:1], v10, v10
	v_mov_b32_e32 v12, s5
	s_and_saveexec_b64 s[12:13], s[0:1]
	s_cbranch_execz .LBB501_68
; %bb.65:
	s_mov_b32 s0, 0x7f800000
	v_cmp_neq_f32_e64 s[0:1], s0, v10
	v_mov_b32_e32 v12, s6
	s_and_saveexec_b64 s[14:15], s[0:1]
; %bb.66:
	s_mov_b32 s0, 0xff800000
	v_mov_b32_e32 v3, s7
	v_cmp_eq_f32_e64 s[0:1], s0, v10
	s_nop 1
	v_cndmask_b32_e64 v12, v10, v3, s[0:1]
; %bb.67:
	s_or_b64 exec, exec, s[14:15]
.LBB501_68:
	s_or_b64 exec, exec, s[12:13]
	v_cmp_o_f32_e64 s[0:1], v11, v11
	v_mov_b32_e32 v13, s5
	s_and_saveexec_b64 s[12:13], s[0:1]
	s_cbranch_execz .LBB501_72
; %bb.69:
	s_mov_b32 s0, 0x7f800000
	v_cmp_neq_f32_e64 s[0:1], s0, v11
	v_mov_b32_e32 v13, s6
	s_and_saveexec_b64 s[14:15], s[0:1]
; %bb.70:
	s_mov_b32 s0, 0xff800000
	v_mov_b32_e32 v3, s7
	v_cmp_eq_f32_e64 s[0:1], s0, v11
	s_nop 1
	v_cndmask_b32_e64 v13, v11, v3, s[0:1]
; %bb.71:
	s_or_b64 exec, exec, s[14:15]
.LBB501_72:
	s_or_b64 exec, exec, s[12:13]
.LBB501_73:
	s_or_b64 exec, exec, s[10:11]
	v_or_b32_e32 v3, 0x300, v0
	v_cmp_gt_i32_e64 s[0:1], s16, v3
	v_mov_b32_e32 v11, 0
	v_mov_b32_e32 v10, 0
	s_and_saveexec_b64 s[10:11], s[0:1]
	s_cbranch_execnz .LBB501_80
; %bb.74:
	s_or_b64 exec, exec, s[10:11]
	s_and_saveexec_b64 s[0:1], vcc
	s_xor_b64 s[0:1], exec, s[0:1]
	s_cbranch_execnz .LBB501_89
.LBB501_75:
	s_or_b64 exec, exec, s[0:1]
	v_cmp_gt_i32_e32 vcc, s16, v0
	s_and_saveexec_b64 s[0:1], vcc
	s_cbranch_execnz .LBB501_90
.LBB501_76:
	s_or_b64 exec, exec, s[0:1]
	v_cmp_gt_i32_e32 vcc, s16, v0
	s_and_saveexec_b64 s[0:1], vcc
	s_cbranch_execnz .LBB501_91
.LBB501_77:
	s_or_b64 exec, exec, s[0:1]
	v_cmp_gt_i32_e32 vcc, s16, v0
	s_and_saveexec_b64 s[0:1], vcc
	s_cbranch_execz .LBB501_79
.LBB501_78:
	v_add_u32_e32 v0, s2, v0
	v_mov_b32_e32 v1, 0
	v_lshl_add_u64 v[0:1], v[0:1], 3, s[8:9]
	global_store_dwordx2 v[0:1], v[10:11], off
.LBB501_79:
	s_endpgm
.LBB501_80:
	v_cmp_o_f32_e64 s[0:1], v4, v4
	v_mov_b32_e32 v10, s5
	s_and_saveexec_b64 s[12:13], s[0:1]
	s_cbranch_execz .LBB501_84
; %bb.81:
	s_mov_b32 s0, 0x7f800000
	v_cmp_neq_f32_e64 s[0:1], s0, v4
	v_mov_b32_e32 v10, s6
	s_and_saveexec_b64 s[14:15], s[0:1]
; %bb.82:
	s_mov_b32 s0, 0xff800000
	v_mov_b32_e32 v3, s7
	v_cmp_eq_f32_e64 s[0:1], s0, v4
	s_nop 1
	v_cndmask_b32_e64 v10, v4, v3, s[0:1]
; %bb.83:
	s_or_b64 exec, exec, s[14:15]
.LBB501_84:
	s_or_b64 exec, exec, s[12:13]
	v_cmp_o_f32_e64 s[0:1], v5, v5
	v_mov_b32_e32 v11, s5
	s_and_saveexec_b64 s[4:5], s[0:1]
	s_cbranch_execz .LBB501_88
; %bb.85:
	s_mov_b32 s0, 0x7f800000
	v_cmp_neq_f32_e64 s[0:1], s0, v5
	v_mov_b32_e32 v11, s6
	s_and_saveexec_b64 s[12:13], s[0:1]
; %bb.86:
	s_mov_b32 s0, 0xff800000
	v_mov_b32_e32 v3, s7
	v_cmp_eq_f32_e64 s[0:1], s0, v5
	s_nop 1
	v_cndmask_b32_e64 v11, v5, v3, s[0:1]
; %bb.87:
	s_or_b64 exec, exec, s[12:13]
.LBB501_88:
	s_or_b64 exec, exec, s[4:5]
	s_or_b64 exec, exec, s[10:11]
	s_and_saveexec_b64 s[0:1], vcc
	s_xor_b64 s[0:1], exec, s[0:1]
	s_cbranch_execz .LBB501_75
.LBB501_89:
	v_mov_b32_e32 v3, 0
	v_lshl_add_u64 v[2:3], v[2:3], 3, s[8:9]
	v_mov_b32_e32 v0, v1
	global_store_dwordx2 v[2:3], v[6:7], off
	s_or_b64 exec, exec, s[0:1]
	v_cmp_gt_i32_e32 vcc, s16, v0
	s_and_saveexec_b64 s[0:1], vcc
	s_cbranch_execz .LBB501_76
.LBB501_90:
	v_add_u32_e32 v2, 0x100, v0
	v_add_u32_e32 v0, s2, v0
	v_mov_b32_e32 v1, 0
	v_lshl_add_u64 v[0:1], v[0:1], 3, s[8:9]
	global_store_dwordx2 v[0:1], v[8:9], off
	v_mov_b32_e32 v0, v2
	s_or_b64 exec, exec, s[0:1]
	v_cmp_gt_i32_e32 vcc, s16, v0
	s_and_saveexec_b64 s[0:1], vcc
	s_cbranch_execz .LBB501_77
.LBB501_91:
	v_add_u32_e32 v2, 0x100, v0
	v_add_u32_e32 v0, s2, v0
	v_mov_b32_e32 v1, 0
	v_lshl_add_u64 v[0:1], v[0:1], 3, s[8:9]
	global_store_dwordx2 v[0:1], v[12:13], off
	v_mov_b32_e32 v0, v2
	s_or_b64 exec, exec, s[0:1]
	v_cmp_gt_i32_e32 vcc, s16, v0
	s_and_saveexec_b64 s[0:1], vcc
	s_cbranch_execnz .LBB501_78
	s_branch .LBB501_79
	.section	.rodata,"a",@progbits
	.p2align	6, 0x0
	.amdhsa_kernel _ZN2at6native29vectorized_elementwise_kernelILi2EZZZNS0_22nan_to_num_kernel_cudaERNS_18TensorIteratorBaseESt8optionalIdES5_S5_ENKUlvE_clEvENKUlvE0_clEvEUlN3c107complexIfEEE_St5arrayIPcLm2EEEEviT0_T1_
		.amdhsa_group_segment_fixed_size 0
		.amdhsa_private_segment_fixed_size 0
		.amdhsa_kernarg_size 32
		.amdhsa_user_sgpr_count 2
		.amdhsa_user_sgpr_dispatch_ptr 0
		.amdhsa_user_sgpr_queue_ptr 0
		.amdhsa_user_sgpr_kernarg_segment_ptr 1
		.amdhsa_user_sgpr_dispatch_id 0
		.amdhsa_user_sgpr_kernarg_preload_length 0
		.amdhsa_user_sgpr_kernarg_preload_offset 0
		.amdhsa_user_sgpr_private_segment_size 0
		.amdhsa_uses_dynamic_stack 0
		.amdhsa_enable_private_segment 0
		.amdhsa_system_sgpr_workgroup_id_x 1
		.amdhsa_system_sgpr_workgroup_id_y 0
		.amdhsa_system_sgpr_workgroup_id_z 0
		.amdhsa_system_sgpr_workgroup_info 0
		.amdhsa_system_vgpr_workitem_id 0
		.amdhsa_next_free_vgpr 16
		.amdhsa_next_free_sgpr 17
		.amdhsa_accum_offset 16
		.amdhsa_reserve_vcc 1
		.amdhsa_float_round_mode_32 0
		.amdhsa_float_round_mode_16_64 0
		.amdhsa_float_denorm_mode_32 3
		.amdhsa_float_denorm_mode_16_64 3
		.amdhsa_dx10_clamp 1
		.amdhsa_ieee_mode 1
		.amdhsa_fp16_overflow 0
		.amdhsa_tg_split 0
		.amdhsa_exception_fp_ieee_invalid_op 0
		.amdhsa_exception_fp_denorm_src 0
		.amdhsa_exception_fp_ieee_div_zero 0
		.amdhsa_exception_fp_ieee_overflow 0
		.amdhsa_exception_fp_ieee_underflow 0
		.amdhsa_exception_fp_ieee_inexact 0
		.amdhsa_exception_int_div_zero 0
	.end_amdhsa_kernel
	.section	.text._ZN2at6native29vectorized_elementwise_kernelILi2EZZZNS0_22nan_to_num_kernel_cudaERNS_18TensorIteratorBaseESt8optionalIdES5_S5_ENKUlvE_clEvENKUlvE0_clEvEUlN3c107complexIfEEE_St5arrayIPcLm2EEEEviT0_T1_,"axG",@progbits,_ZN2at6native29vectorized_elementwise_kernelILi2EZZZNS0_22nan_to_num_kernel_cudaERNS_18TensorIteratorBaseESt8optionalIdES5_S5_ENKUlvE_clEvENKUlvE0_clEvEUlN3c107complexIfEEE_St5arrayIPcLm2EEEEviT0_T1_,comdat
.Lfunc_end501:
	.size	_ZN2at6native29vectorized_elementwise_kernelILi2EZZZNS0_22nan_to_num_kernel_cudaERNS_18TensorIteratorBaseESt8optionalIdES5_S5_ENKUlvE_clEvENKUlvE0_clEvEUlN3c107complexIfEEE_St5arrayIPcLm2EEEEviT0_T1_, .Lfunc_end501-_ZN2at6native29vectorized_elementwise_kernelILi2EZZZNS0_22nan_to_num_kernel_cudaERNS_18TensorIteratorBaseESt8optionalIdES5_S5_ENKUlvE_clEvENKUlvE0_clEvEUlN3c107complexIfEEE_St5arrayIPcLm2EEEEviT0_T1_
                                        ; -- End function
	.set _ZN2at6native29vectorized_elementwise_kernelILi2EZZZNS0_22nan_to_num_kernel_cudaERNS_18TensorIteratorBaseESt8optionalIdES5_S5_ENKUlvE_clEvENKUlvE0_clEvEUlN3c107complexIfEEE_St5arrayIPcLm2EEEEviT0_T1_.num_vgpr, 16
	.set _ZN2at6native29vectorized_elementwise_kernelILi2EZZZNS0_22nan_to_num_kernel_cudaERNS_18TensorIteratorBaseESt8optionalIdES5_S5_ENKUlvE_clEvENKUlvE0_clEvEUlN3c107complexIfEEE_St5arrayIPcLm2EEEEviT0_T1_.num_agpr, 0
	.set _ZN2at6native29vectorized_elementwise_kernelILi2EZZZNS0_22nan_to_num_kernel_cudaERNS_18TensorIteratorBaseESt8optionalIdES5_S5_ENKUlvE_clEvENKUlvE0_clEvEUlN3c107complexIfEEE_St5arrayIPcLm2EEEEviT0_T1_.numbered_sgpr, 17
	.set _ZN2at6native29vectorized_elementwise_kernelILi2EZZZNS0_22nan_to_num_kernel_cudaERNS_18TensorIteratorBaseESt8optionalIdES5_S5_ENKUlvE_clEvENKUlvE0_clEvEUlN3c107complexIfEEE_St5arrayIPcLm2EEEEviT0_T1_.num_named_barrier, 0
	.set _ZN2at6native29vectorized_elementwise_kernelILi2EZZZNS0_22nan_to_num_kernel_cudaERNS_18TensorIteratorBaseESt8optionalIdES5_S5_ENKUlvE_clEvENKUlvE0_clEvEUlN3c107complexIfEEE_St5arrayIPcLm2EEEEviT0_T1_.private_seg_size, 0
	.set _ZN2at6native29vectorized_elementwise_kernelILi2EZZZNS0_22nan_to_num_kernel_cudaERNS_18TensorIteratorBaseESt8optionalIdES5_S5_ENKUlvE_clEvENKUlvE0_clEvEUlN3c107complexIfEEE_St5arrayIPcLm2EEEEviT0_T1_.uses_vcc, 1
	.set _ZN2at6native29vectorized_elementwise_kernelILi2EZZZNS0_22nan_to_num_kernel_cudaERNS_18TensorIteratorBaseESt8optionalIdES5_S5_ENKUlvE_clEvENKUlvE0_clEvEUlN3c107complexIfEEE_St5arrayIPcLm2EEEEviT0_T1_.uses_flat_scratch, 0
	.set _ZN2at6native29vectorized_elementwise_kernelILi2EZZZNS0_22nan_to_num_kernel_cudaERNS_18TensorIteratorBaseESt8optionalIdES5_S5_ENKUlvE_clEvENKUlvE0_clEvEUlN3c107complexIfEEE_St5arrayIPcLm2EEEEviT0_T1_.has_dyn_sized_stack, 0
	.set _ZN2at6native29vectorized_elementwise_kernelILi2EZZZNS0_22nan_to_num_kernel_cudaERNS_18TensorIteratorBaseESt8optionalIdES5_S5_ENKUlvE_clEvENKUlvE0_clEvEUlN3c107complexIfEEE_St5arrayIPcLm2EEEEviT0_T1_.has_recursion, 0
	.set _ZN2at6native29vectorized_elementwise_kernelILi2EZZZNS0_22nan_to_num_kernel_cudaERNS_18TensorIteratorBaseESt8optionalIdES5_S5_ENKUlvE_clEvENKUlvE0_clEvEUlN3c107complexIfEEE_St5arrayIPcLm2EEEEviT0_T1_.has_indirect_call, 0
	.section	.AMDGPU.csdata,"",@progbits
; Kernel info:
; codeLenInByte = 2008
; TotalNumSgprs: 23
; NumVgprs: 16
; NumAgprs: 0
; TotalNumVgprs: 16
; ScratchSize: 0
; MemoryBound: 0
; FloatMode: 240
; IeeeMode: 1
; LDSByteSize: 0 bytes/workgroup (compile time only)
; SGPRBlocks: 2
; VGPRBlocks: 1
; NumSGPRsForWavesPerEU: 23
; NumVGPRsForWavesPerEU: 16
; AccumOffset: 16
; Occupancy: 8
; WaveLimiterHint : 1
; COMPUTE_PGM_RSRC2:SCRATCH_EN: 0
; COMPUTE_PGM_RSRC2:USER_SGPR: 2
; COMPUTE_PGM_RSRC2:TRAP_HANDLER: 0
; COMPUTE_PGM_RSRC2:TGID_X_EN: 1
; COMPUTE_PGM_RSRC2:TGID_Y_EN: 0
; COMPUTE_PGM_RSRC2:TGID_Z_EN: 0
; COMPUTE_PGM_RSRC2:TIDIG_COMP_CNT: 0
; COMPUTE_PGM_RSRC3_GFX90A:ACCUM_OFFSET: 3
; COMPUTE_PGM_RSRC3_GFX90A:TG_SPLIT: 0
	.section	.text._ZN2at6native27unrolled_elementwise_kernelIZZZNS0_22nan_to_num_kernel_cudaERNS_18TensorIteratorBaseESt8optionalIdES5_S5_ENKUlvE_clEvENKUlvE0_clEvEUlN3c107complexIfEEE_St5arrayIPcLm2EELi4E23TrivialOffsetCalculatorILi1EjESG_NS0_6memory15LoadWithoutCastENSH_16StoreWithoutCastEEEviT_T0_T2_T3_T4_T5_,"axG",@progbits,_ZN2at6native27unrolled_elementwise_kernelIZZZNS0_22nan_to_num_kernel_cudaERNS_18TensorIteratorBaseESt8optionalIdES5_S5_ENKUlvE_clEvENKUlvE0_clEvEUlN3c107complexIfEEE_St5arrayIPcLm2EELi4E23TrivialOffsetCalculatorILi1EjESG_NS0_6memory15LoadWithoutCastENSH_16StoreWithoutCastEEEviT_T0_T2_T3_T4_T5_,comdat
	.globl	_ZN2at6native27unrolled_elementwise_kernelIZZZNS0_22nan_to_num_kernel_cudaERNS_18TensorIteratorBaseESt8optionalIdES5_S5_ENKUlvE_clEvENKUlvE0_clEvEUlN3c107complexIfEEE_St5arrayIPcLm2EELi4E23TrivialOffsetCalculatorILi1EjESG_NS0_6memory15LoadWithoutCastENSH_16StoreWithoutCastEEEviT_T0_T2_T3_T4_T5_ ; -- Begin function _ZN2at6native27unrolled_elementwise_kernelIZZZNS0_22nan_to_num_kernel_cudaERNS_18TensorIteratorBaseESt8optionalIdES5_S5_ENKUlvE_clEvENKUlvE0_clEvEUlN3c107complexIfEEE_St5arrayIPcLm2EELi4E23TrivialOffsetCalculatorILi1EjESG_NS0_6memory15LoadWithoutCastENSH_16StoreWithoutCastEEEviT_T0_T2_T3_T4_T5_
	.p2align	8
	.type	_ZN2at6native27unrolled_elementwise_kernelIZZZNS0_22nan_to_num_kernel_cudaERNS_18TensorIteratorBaseESt8optionalIdES5_S5_ENKUlvE_clEvENKUlvE0_clEvEUlN3c107complexIfEEE_St5arrayIPcLm2EELi4E23TrivialOffsetCalculatorILi1EjESG_NS0_6memory15LoadWithoutCastENSH_16StoreWithoutCastEEEviT_T0_T2_T3_T4_T5_,@function
_ZN2at6native27unrolled_elementwise_kernelIZZZNS0_22nan_to_num_kernel_cudaERNS_18TensorIteratorBaseESt8optionalIdES5_S5_ENKUlvE_clEvENKUlvE0_clEvEUlN3c107complexIfEEE_St5arrayIPcLm2EELi4E23TrivialOffsetCalculatorILi1EjESG_NS0_6memory15LoadWithoutCastENSH_16StoreWithoutCastEEEviT_T0_T2_T3_T4_T5_: ; @_ZN2at6native27unrolled_elementwise_kernelIZZZNS0_22nan_to_num_kernel_cudaERNS_18TensorIteratorBaseESt8optionalIdES5_S5_ENKUlvE_clEvENKUlvE0_clEvEUlN3c107complexIfEEE_St5arrayIPcLm2EELi4E23TrivialOffsetCalculatorILi1EjESG_NS0_6memory15LoadWithoutCastENSH_16StoreWithoutCastEEEviT_T0_T2_T3_T4_T5_
; %bb.0:
	s_load_dwordx8 s[4:11], s[0:1], 0x0
	s_lshl_b32 s14, s2, 10
	v_mov_b32_e32 v12, 0
	v_or_b32_e32 v2, s14, v0
	v_mov_b32_e32 v1, v0
	s_waitcnt lgkmcnt(0)
	s_sub_i32 s15, s4, s14
	v_cmp_gt_i32_e32 vcc, s15, v0
	v_mov_b32_e32 v8, 0
	v_mov_b32_e32 v9, 0
	s_and_saveexec_b64 s[0:1], vcc
	s_cbranch_execz .LBB502_2
; %bb.1:
	v_mov_b32_e32 v3, 0
	v_lshl_add_u64 v[4:5], v[2:3], 3, s[10:11]
	global_load_dwordx2 v[8:9], v[4:5], off
	v_or_b32_e32 v1, 0x100, v0
.LBB502_2:
	s_or_b64 exec, exec, s[0:1]
	v_cmp_gt_i32_e64 s[0:1], s15, v1
	v_mov_b32_e32 v13, 0
	s_and_saveexec_b64 s[2:3], s[0:1]
	s_cbranch_execz .LBB502_4
; %bb.3:
	v_add_u32_e32 v4, s14, v1
	v_mov_b32_e32 v5, 0
	v_lshl_add_u64 v[4:5], v[4:5], 3, s[10:11]
	global_load_dwordx2 v[12:13], v[4:5], off
	v_add_u32_e32 v1, 0x100, v1
.LBB502_4:
	s_or_b64 exec, exec, s[2:3]
	v_cmp_gt_i32_e64 s[0:1], s15, v1
	v_mov_b32_e32 v4, 0
	v_mov_b32_e32 v10, 0
	;; [unrolled: 1-line block ×3, first 2 shown]
	s_and_saveexec_b64 s[2:3], s[0:1]
	s_cbranch_execz .LBB502_6
; %bb.5:
	v_add_u32_e32 v6, s14, v1
	v_mov_b32_e32 v7, 0
	v_lshl_add_u64 v[6:7], v[6:7], 3, s[10:11]
	global_load_dwordx2 v[10:11], v[6:7], off
	v_add_u32_e32 v1, 0x100, v1
.LBB502_6:
	s_or_b64 exec, exec, s[2:3]
	v_cmp_gt_i32_e64 s[0:1], s15, v1
	v_mov_b32_e32 v5, 0
	s_and_saveexec_b64 s[2:3], s[0:1]
	s_cbranch_execz .LBB502_8
; %bb.7:
	v_add_u32_e32 v4, s14, v1
	v_mov_b32_e32 v5, 0
	v_lshl_add_u64 v[4:5], v[4:5], 3, s[10:11]
	global_load_dwordx2 v[4:5], v[4:5], off
.LBB502_8:
	s_or_b64 exec, exec, s[2:3]
	v_mov_b32_e32 v7, 0
	v_mov_b32_e32 v6, 0
	s_and_saveexec_b64 s[2:3], vcc
	s_cbranch_execz .LBB502_18
; %bb.9:
	s_waitcnt vmcnt(0)
	v_cmp_o_f32_e64 s[0:1], v8, v8
	v_mov_b32_e32 v6, s5
	s_and_saveexec_b64 s[10:11], s[0:1]
	s_cbranch_execz .LBB502_13
; %bb.10:
	s_mov_b32 s0, 0x7f800000
	v_cmp_neq_f32_e64 s[0:1], s0, v8
	v_mov_b32_e32 v6, s6
	s_and_saveexec_b64 s[12:13], s[0:1]
; %bb.11:
	s_mov_b32 s0, 0xff800000
	v_mov_b32_e32 v1, s7
	v_cmp_eq_f32_e64 s[0:1], s0, v8
	s_nop 1
	v_cndmask_b32_e64 v6, v8, v1, s[0:1]
; %bb.12:
	s_or_b64 exec, exec, s[12:13]
.LBB502_13:
	s_or_b64 exec, exec, s[10:11]
	v_cmp_o_f32_e64 s[0:1], v9, v9
	v_mov_b32_e32 v7, s5
	s_and_saveexec_b64 s[10:11], s[0:1]
	s_cbranch_execz .LBB502_17
; %bb.14:
	s_mov_b32 s0, 0x7f800000
	v_cmp_neq_f32_e64 s[0:1], s0, v9
	v_mov_b32_e32 v7, s6
	s_and_saveexec_b64 s[12:13], s[0:1]
; %bb.15:
	s_mov_b32 s0, 0xff800000
	v_mov_b32_e32 v1, s7
	v_cmp_eq_f32_e64 s[0:1], s0, v9
	s_nop 1
	v_cndmask_b32_e64 v7, v9, v1, s[0:1]
; %bb.16:
	s_or_b64 exec, exec, s[12:13]
.LBB502_17:
	s_or_b64 exec, exec, s[10:11]
.LBB502_18:
	s_or_b64 exec, exec, s[2:3]
	v_or_b32_e32 v1, 0x100, v0
	v_cmp_gt_i32_e64 s[0:1], s15, v1
	s_waitcnt vmcnt(0)
	v_mov_b32_e32 v9, 0
	v_mov_b32_e32 v8, 0
	s_and_saveexec_b64 s[2:3], s[0:1]
	s_cbranch_execz .LBB502_28
; %bb.19:
	v_cmp_o_f32_e64 s[0:1], v12, v12
	v_mov_b32_e32 v8, s5
	s_and_saveexec_b64 s[10:11], s[0:1]
	s_cbranch_execz .LBB502_23
; %bb.20:
	s_mov_b32 s0, 0x7f800000
	v_cmp_neq_f32_e64 s[0:1], s0, v12
	v_mov_b32_e32 v8, s6
	s_and_saveexec_b64 s[12:13], s[0:1]
; %bb.21:
	s_mov_b32 s0, 0xff800000
	v_mov_b32_e32 v3, s7
	v_cmp_eq_f32_e64 s[0:1], s0, v12
	s_nop 1
	v_cndmask_b32_e64 v8, v12, v3, s[0:1]
; %bb.22:
	s_or_b64 exec, exec, s[12:13]
.LBB502_23:
	s_or_b64 exec, exec, s[10:11]
	v_cmp_o_f32_e64 s[0:1], v13, v13
	v_mov_b32_e32 v9, s5
	s_and_saveexec_b64 s[10:11], s[0:1]
	s_cbranch_execz .LBB502_27
; %bb.24:
	s_mov_b32 s0, 0x7f800000
	v_cmp_neq_f32_e64 s[0:1], s0, v13
	v_mov_b32_e32 v9, s6
	s_and_saveexec_b64 s[12:13], s[0:1]
; %bb.25:
	s_mov_b32 s0, 0xff800000
	v_mov_b32_e32 v3, s7
	v_cmp_eq_f32_e64 s[0:1], s0, v13
	s_nop 1
	v_cndmask_b32_e64 v9, v13, v3, s[0:1]
; %bb.26:
	s_or_b64 exec, exec, s[12:13]
.LBB502_27:
	s_or_b64 exec, exec, s[10:11]
.LBB502_28:
	s_or_b64 exec, exec, s[2:3]
	v_or_b32_e32 v3, 0x200, v0
	v_cmp_gt_i32_e64 s[0:1], s15, v3
	v_mov_b32_e32 v13, 0
	v_mov_b32_e32 v12, 0
	s_and_saveexec_b64 s[2:3], s[0:1]
	s_cbranch_execz .LBB502_38
; %bb.29:
	v_cmp_o_f32_e64 s[0:1], v10, v10
	v_mov_b32_e32 v12, s5
	s_and_saveexec_b64 s[10:11], s[0:1]
	s_cbranch_execz .LBB502_33
; %bb.30:
	s_mov_b32 s0, 0x7f800000
	v_cmp_neq_f32_e64 s[0:1], s0, v10
	v_mov_b32_e32 v12, s6
	s_and_saveexec_b64 s[12:13], s[0:1]
; %bb.31:
	s_mov_b32 s0, 0xff800000
	v_mov_b32_e32 v3, s7
	v_cmp_eq_f32_e64 s[0:1], s0, v10
	s_nop 1
	v_cndmask_b32_e64 v12, v10, v3, s[0:1]
; %bb.32:
	s_or_b64 exec, exec, s[12:13]
.LBB502_33:
	s_or_b64 exec, exec, s[10:11]
	v_cmp_o_f32_e64 s[0:1], v11, v11
	v_mov_b32_e32 v13, s5
	s_and_saveexec_b64 s[10:11], s[0:1]
	s_cbranch_execz .LBB502_37
; %bb.34:
	s_mov_b32 s0, 0x7f800000
	v_cmp_neq_f32_e64 s[0:1], s0, v11
	v_mov_b32_e32 v13, s6
	s_and_saveexec_b64 s[12:13], s[0:1]
; %bb.35:
	s_mov_b32 s0, 0xff800000
	v_mov_b32_e32 v3, s7
	v_cmp_eq_f32_e64 s[0:1], s0, v11
	s_nop 1
	v_cndmask_b32_e64 v13, v11, v3, s[0:1]
; %bb.36:
	s_or_b64 exec, exec, s[12:13]
.LBB502_37:
	s_or_b64 exec, exec, s[10:11]
.LBB502_38:
	s_or_b64 exec, exec, s[2:3]
	v_or_b32_e32 v3, 0x300, v0
	v_cmp_gt_i32_e64 s[0:1], s15, v3
	v_mov_b32_e32 v11, 0
	v_mov_b32_e32 v10, 0
	s_and_saveexec_b64 s[2:3], s[0:1]
	s_cbranch_execnz .LBB502_44
; %bb.39:
	s_or_b64 exec, exec, s[2:3]
	s_and_saveexec_b64 s[0:1], vcc
	s_xor_b64 s[0:1], exec, s[0:1]
	s_cbranch_execnz .LBB502_53
.LBB502_40:
	s_or_b64 exec, exec, s[0:1]
	v_cmp_gt_i32_e32 vcc, s15, v0
	s_and_saveexec_b64 s[0:1], vcc
	s_cbranch_execnz .LBB502_54
.LBB502_41:
	s_or_b64 exec, exec, s[0:1]
	v_cmp_gt_i32_e32 vcc, s15, v0
	s_and_saveexec_b64 s[0:1], vcc
	s_cbranch_execnz .LBB502_55
.LBB502_42:
	s_or_b64 exec, exec, s[0:1]
	v_cmp_gt_i32_e32 vcc, s15, v0
	s_and_saveexec_b64 s[0:1], vcc
	s_cbranch_execnz .LBB502_56
.LBB502_43:
	s_endpgm
.LBB502_44:
	v_cmp_o_f32_e64 s[0:1], v4, v4
	v_mov_b32_e32 v10, s5
	s_and_saveexec_b64 s[10:11], s[0:1]
	s_cbranch_execz .LBB502_48
; %bb.45:
	s_mov_b32 s0, 0x7f800000
	v_cmp_neq_f32_e64 s[0:1], s0, v4
	v_mov_b32_e32 v10, s6
	s_and_saveexec_b64 s[12:13], s[0:1]
; %bb.46:
	s_mov_b32 s0, 0xff800000
	v_mov_b32_e32 v3, s7
	v_cmp_eq_f32_e64 s[0:1], s0, v4
	s_nop 1
	v_cndmask_b32_e64 v10, v4, v3, s[0:1]
; %bb.47:
	s_or_b64 exec, exec, s[12:13]
.LBB502_48:
	s_or_b64 exec, exec, s[10:11]
	v_cmp_o_f32_e64 s[0:1], v5, v5
	v_mov_b32_e32 v11, s5
	s_and_saveexec_b64 s[4:5], s[0:1]
	s_cbranch_execz .LBB502_52
; %bb.49:
	s_mov_b32 s0, 0x7f800000
	v_cmp_neq_f32_e64 s[0:1], s0, v5
	v_mov_b32_e32 v11, s6
	s_and_saveexec_b64 s[10:11], s[0:1]
; %bb.50:
	s_mov_b32 s0, 0xff800000
	v_mov_b32_e32 v3, s7
	v_cmp_eq_f32_e64 s[0:1], s0, v5
	s_nop 1
	v_cndmask_b32_e64 v11, v5, v3, s[0:1]
; %bb.51:
	s_or_b64 exec, exec, s[10:11]
.LBB502_52:
	s_or_b64 exec, exec, s[4:5]
	s_or_b64 exec, exec, s[2:3]
	s_and_saveexec_b64 s[0:1], vcc
	s_xor_b64 s[0:1], exec, s[0:1]
	s_cbranch_execz .LBB502_40
.LBB502_53:
	v_mov_b32_e32 v3, 0
	v_lshl_add_u64 v[2:3], v[2:3], 3, s[8:9]
	v_mov_b32_e32 v0, v1
	global_store_dwordx2 v[2:3], v[6:7], off
	s_or_b64 exec, exec, s[0:1]
	v_cmp_gt_i32_e32 vcc, s15, v0
	s_and_saveexec_b64 s[0:1], vcc
	s_cbranch_execz .LBB502_41
.LBB502_54:
	v_add_u32_e32 v2, s14, v0
	v_mov_b32_e32 v3, 0
	v_lshl_add_u64 v[2:3], v[2:3], 3, s[8:9]
	v_add_u32_e32 v0, 0x100, v0
	global_store_dwordx2 v[2:3], v[8:9], off
	s_or_b64 exec, exec, s[0:1]
	v_cmp_gt_i32_e32 vcc, s15, v0
	s_and_saveexec_b64 s[0:1], vcc
	s_cbranch_execz .LBB502_42
.LBB502_55:
	v_add_u32_e32 v2, s14, v0
	v_mov_b32_e32 v3, 0
	v_lshl_add_u64 v[2:3], v[2:3], 3, s[8:9]
	v_add_u32_e32 v0, 0x100, v0
	global_store_dwordx2 v[2:3], v[12:13], off
	s_or_b64 exec, exec, s[0:1]
	v_cmp_gt_i32_e32 vcc, s15, v0
	s_and_saveexec_b64 s[0:1], vcc
	s_cbranch_execz .LBB502_43
.LBB502_56:
	v_add_u32_e32 v0, s14, v0
	v_mov_b32_e32 v1, 0
	v_lshl_add_u64 v[0:1], v[0:1], 3, s[8:9]
	global_store_dwordx2 v[0:1], v[10:11], off
	s_endpgm
	.section	.rodata,"a",@progbits
	.p2align	6, 0x0
	.amdhsa_kernel _ZN2at6native27unrolled_elementwise_kernelIZZZNS0_22nan_to_num_kernel_cudaERNS_18TensorIteratorBaseESt8optionalIdES5_S5_ENKUlvE_clEvENKUlvE0_clEvEUlN3c107complexIfEEE_St5arrayIPcLm2EELi4E23TrivialOffsetCalculatorILi1EjESG_NS0_6memory15LoadWithoutCastENSH_16StoreWithoutCastEEEviT_T0_T2_T3_T4_T5_
		.amdhsa_group_segment_fixed_size 0
		.amdhsa_private_segment_fixed_size 0
		.amdhsa_kernarg_size 36
		.amdhsa_user_sgpr_count 2
		.amdhsa_user_sgpr_dispatch_ptr 0
		.amdhsa_user_sgpr_queue_ptr 0
		.amdhsa_user_sgpr_kernarg_segment_ptr 1
		.amdhsa_user_sgpr_dispatch_id 0
		.amdhsa_user_sgpr_kernarg_preload_length 0
		.amdhsa_user_sgpr_kernarg_preload_offset 0
		.amdhsa_user_sgpr_private_segment_size 0
		.amdhsa_uses_dynamic_stack 0
		.amdhsa_enable_private_segment 0
		.amdhsa_system_sgpr_workgroup_id_x 1
		.amdhsa_system_sgpr_workgroup_id_y 0
		.amdhsa_system_sgpr_workgroup_id_z 0
		.amdhsa_system_sgpr_workgroup_info 0
		.amdhsa_system_vgpr_workitem_id 0
		.amdhsa_next_free_vgpr 14
		.amdhsa_next_free_sgpr 16
		.amdhsa_accum_offset 16
		.amdhsa_reserve_vcc 1
		.amdhsa_float_round_mode_32 0
		.amdhsa_float_round_mode_16_64 0
		.amdhsa_float_denorm_mode_32 3
		.amdhsa_float_denorm_mode_16_64 3
		.amdhsa_dx10_clamp 1
		.amdhsa_ieee_mode 1
		.amdhsa_fp16_overflow 0
		.amdhsa_tg_split 0
		.amdhsa_exception_fp_ieee_invalid_op 0
		.amdhsa_exception_fp_denorm_src 0
		.amdhsa_exception_fp_ieee_div_zero 0
		.amdhsa_exception_fp_ieee_overflow 0
		.amdhsa_exception_fp_ieee_underflow 0
		.amdhsa_exception_fp_ieee_inexact 0
		.amdhsa_exception_int_div_zero 0
	.end_amdhsa_kernel
	.section	.text._ZN2at6native27unrolled_elementwise_kernelIZZZNS0_22nan_to_num_kernel_cudaERNS_18TensorIteratorBaseESt8optionalIdES5_S5_ENKUlvE_clEvENKUlvE0_clEvEUlN3c107complexIfEEE_St5arrayIPcLm2EELi4E23TrivialOffsetCalculatorILi1EjESG_NS0_6memory15LoadWithoutCastENSH_16StoreWithoutCastEEEviT_T0_T2_T3_T4_T5_,"axG",@progbits,_ZN2at6native27unrolled_elementwise_kernelIZZZNS0_22nan_to_num_kernel_cudaERNS_18TensorIteratorBaseESt8optionalIdES5_S5_ENKUlvE_clEvENKUlvE0_clEvEUlN3c107complexIfEEE_St5arrayIPcLm2EELi4E23TrivialOffsetCalculatorILi1EjESG_NS0_6memory15LoadWithoutCastENSH_16StoreWithoutCastEEEviT_T0_T2_T3_T4_T5_,comdat
.Lfunc_end502:
	.size	_ZN2at6native27unrolled_elementwise_kernelIZZZNS0_22nan_to_num_kernel_cudaERNS_18TensorIteratorBaseESt8optionalIdES5_S5_ENKUlvE_clEvENKUlvE0_clEvEUlN3c107complexIfEEE_St5arrayIPcLm2EELi4E23TrivialOffsetCalculatorILi1EjESG_NS0_6memory15LoadWithoutCastENSH_16StoreWithoutCastEEEviT_T0_T2_T3_T4_T5_, .Lfunc_end502-_ZN2at6native27unrolled_elementwise_kernelIZZZNS0_22nan_to_num_kernel_cudaERNS_18TensorIteratorBaseESt8optionalIdES5_S5_ENKUlvE_clEvENKUlvE0_clEvEUlN3c107complexIfEEE_St5arrayIPcLm2EELi4E23TrivialOffsetCalculatorILi1EjESG_NS0_6memory15LoadWithoutCastENSH_16StoreWithoutCastEEEviT_T0_T2_T3_T4_T5_
                                        ; -- End function
	.set _ZN2at6native27unrolled_elementwise_kernelIZZZNS0_22nan_to_num_kernel_cudaERNS_18TensorIteratorBaseESt8optionalIdES5_S5_ENKUlvE_clEvENKUlvE0_clEvEUlN3c107complexIfEEE_St5arrayIPcLm2EELi4E23TrivialOffsetCalculatorILi1EjESG_NS0_6memory15LoadWithoutCastENSH_16StoreWithoutCastEEEviT_T0_T2_T3_T4_T5_.num_vgpr, 14
	.set _ZN2at6native27unrolled_elementwise_kernelIZZZNS0_22nan_to_num_kernel_cudaERNS_18TensorIteratorBaseESt8optionalIdES5_S5_ENKUlvE_clEvENKUlvE0_clEvEUlN3c107complexIfEEE_St5arrayIPcLm2EELi4E23TrivialOffsetCalculatorILi1EjESG_NS0_6memory15LoadWithoutCastENSH_16StoreWithoutCastEEEviT_T0_T2_T3_T4_T5_.num_agpr, 0
	.set _ZN2at6native27unrolled_elementwise_kernelIZZZNS0_22nan_to_num_kernel_cudaERNS_18TensorIteratorBaseESt8optionalIdES5_S5_ENKUlvE_clEvENKUlvE0_clEvEUlN3c107complexIfEEE_St5arrayIPcLm2EELi4E23TrivialOffsetCalculatorILi1EjESG_NS0_6memory15LoadWithoutCastENSH_16StoreWithoutCastEEEviT_T0_T2_T3_T4_T5_.numbered_sgpr, 16
	.set _ZN2at6native27unrolled_elementwise_kernelIZZZNS0_22nan_to_num_kernel_cudaERNS_18TensorIteratorBaseESt8optionalIdES5_S5_ENKUlvE_clEvENKUlvE0_clEvEUlN3c107complexIfEEE_St5arrayIPcLm2EELi4E23TrivialOffsetCalculatorILi1EjESG_NS0_6memory15LoadWithoutCastENSH_16StoreWithoutCastEEEviT_T0_T2_T3_T4_T5_.num_named_barrier, 0
	.set _ZN2at6native27unrolled_elementwise_kernelIZZZNS0_22nan_to_num_kernel_cudaERNS_18TensorIteratorBaseESt8optionalIdES5_S5_ENKUlvE_clEvENKUlvE0_clEvEUlN3c107complexIfEEE_St5arrayIPcLm2EELi4E23TrivialOffsetCalculatorILi1EjESG_NS0_6memory15LoadWithoutCastENSH_16StoreWithoutCastEEEviT_T0_T2_T3_T4_T5_.private_seg_size, 0
	.set _ZN2at6native27unrolled_elementwise_kernelIZZZNS0_22nan_to_num_kernel_cudaERNS_18TensorIteratorBaseESt8optionalIdES5_S5_ENKUlvE_clEvENKUlvE0_clEvEUlN3c107complexIfEEE_St5arrayIPcLm2EELi4E23TrivialOffsetCalculatorILi1EjESG_NS0_6memory15LoadWithoutCastENSH_16StoreWithoutCastEEEviT_T0_T2_T3_T4_T5_.uses_vcc, 1
	.set _ZN2at6native27unrolled_elementwise_kernelIZZZNS0_22nan_to_num_kernel_cudaERNS_18TensorIteratorBaseESt8optionalIdES5_S5_ENKUlvE_clEvENKUlvE0_clEvEUlN3c107complexIfEEE_St5arrayIPcLm2EELi4E23TrivialOffsetCalculatorILi1EjESG_NS0_6memory15LoadWithoutCastENSH_16StoreWithoutCastEEEviT_T0_T2_T3_T4_T5_.uses_flat_scratch, 0
	.set _ZN2at6native27unrolled_elementwise_kernelIZZZNS0_22nan_to_num_kernel_cudaERNS_18TensorIteratorBaseESt8optionalIdES5_S5_ENKUlvE_clEvENKUlvE0_clEvEUlN3c107complexIfEEE_St5arrayIPcLm2EELi4E23TrivialOffsetCalculatorILi1EjESG_NS0_6memory15LoadWithoutCastENSH_16StoreWithoutCastEEEviT_T0_T2_T3_T4_T5_.has_dyn_sized_stack, 0
	.set _ZN2at6native27unrolled_elementwise_kernelIZZZNS0_22nan_to_num_kernel_cudaERNS_18TensorIteratorBaseESt8optionalIdES5_S5_ENKUlvE_clEvENKUlvE0_clEvEUlN3c107complexIfEEE_St5arrayIPcLm2EELi4E23TrivialOffsetCalculatorILi1EjESG_NS0_6memory15LoadWithoutCastENSH_16StoreWithoutCastEEEviT_T0_T2_T3_T4_T5_.has_recursion, 0
	.set _ZN2at6native27unrolled_elementwise_kernelIZZZNS0_22nan_to_num_kernel_cudaERNS_18TensorIteratorBaseESt8optionalIdES5_S5_ENKUlvE_clEvENKUlvE0_clEvEUlN3c107complexIfEEE_St5arrayIPcLm2EELi4E23TrivialOffsetCalculatorILi1EjESG_NS0_6memory15LoadWithoutCastENSH_16StoreWithoutCastEEEviT_T0_T2_T3_T4_T5_.has_indirect_call, 0
	.section	.AMDGPU.csdata,"",@progbits
; Kernel info:
; codeLenInByte = 1304
; TotalNumSgprs: 22
; NumVgprs: 14
; NumAgprs: 0
; TotalNumVgprs: 14
; ScratchSize: 0
; MemoryBound: 0
; FloatMode: 240
; IeeeMode: 1
; LDSByteSize: 0 bytes/workgroup (compile time only)
; SGPRBlocks: 2
; VGPRBlocks: 1
; NumSGPRsForWavesPerEU: 22
; NumVGPRsForWavesPerEU: 14
; AccumOffset: 16
; Occupancy: 8
; WaveLimiterHint : 0
; COMPUTE_PGM_RSRC2:SCRATCH_EN: 0
; COMPUTE_PGM_RSRC2:USER_SGPR: 2
; COMPUTE_PGM_RSRC2:TRAP_HANDLER: 0
; COMPUTE_PGM_RSRC2:TGID_X_EN: 1
; COMPUTE_PGM_RSRC2:TGID_Y_EN: 0
; COMPUTE_PGM_RSRC2:TGID_Z_EN: 0
; COMPUTE_PGM_RSRC2:TIDIG_COMP_CNT: 0
; COMPUTE_PGM_RSRC3_GFX90A:ACCUM_OFFSET: 3
; COMPUTE_PGM_RSRC3_GFX90A:TG_SPLIT: 0
	.section	.text._ZN2at6native32elementwise_kernel_manual_unrollILi128ELi4EZNS0_22gpu_kernel_impl_nocastIZZZNS0_22nan_to_num_kernel_cudaERNS_18TensorIteratorBaseESt8optionalIdES6_S6_ENKUlvE_clEvENKUlvE0_clEvEUlN3c107complexIfEEE_EEvS4_RKT_EUlibE_EEviT1_,"axG",@progbits,_ZN2at6native32elementwise_kernel_manual_unrollILi128ELi4EZNS0_22gpu_kernel_impl_nocastIZZZNS0_22nan_to_num_kernel_cudaERNS_18TensorIteratorBaseESt8optionalIdES6_S6_ENKUlvE_clEvENKUlvE0_clEvEUlN3c107complexIfEEE_EEvS4_RKT_EUlibE_EEviT1_,comdat
	.globl	_ZN2at6native32elementwise_kernel_manual_unrollILi128ELi4EZNS0_22gpu_kernel_impl_nocastIZZZNS0_22nan_to_num_kernel_cudaERNS_18TensorIteratorBaseESt8optionalIdES6_S6_ENKUlvE_clEvENKUlvE0_clEvEUlN3c107complexIfEEE_EEvS4_RKT_EUlibE_EEviT1_ ; -- Begin function _ZN2at6native32elementwise_kernel_manual_unrollILi128ELi4EZNS0_22gpu_kernel_impl_nocastIZZZNS0_22nan_to_num_kernel_cudaERNS_18TensorIteratorBaseESt8optionalIdES6_S6_ENKUlvE_clEvENKUlvE0_clEvEUlN3c107complexIfEEE_EEvS4_RKT_EUlibE_EEviT1_
	.p2align	8
	.type	_ZN2at6native32elementwise_kernel_manual_unrollILi128ELi4EZNS0_22gpu_kernel_impl_nocastIZZZNS0_22nan_to_num_kernel_cudaERNS_18TensorIteratorBaseESt8optionalIdES6_S6_ENKUlvE_clEvENKUlvE0_clEvEUlN3c107complexIfEEE_EEvS4_RKT_EUlibE_EEviT1_,@function
_ZN2at6native32elementwise_kernel_manual_unrollILi128ELi4EZNS0_22gpu_kernel_impl_nocastIZZZNS0_22nan_to_num_kernel_cudaERNS_18TensorIteratorBaseESt8optionalIdES6_S6_ENKUlvE_clEvENKUlvE0_clEvEUlN3c107complexIfEEE_EEvS4_RKT_EUlibE_EEviT1_: ; @_ZN2at6native32elementwise_kernel_manual_unrollILi128ELi4EZNS0_22gpu_kernel_impl_nocastIZZZNS0_22nan_to_num_kernel_cudaERNS_18TensorIteratorBaseESt8optionalIdES6_S6_ENKUlvE_clEvENKUlvE0_clEvEUlN3c107complexIfEEE_EEvS4_RKT_EUlibE_EEviT1_
; %bb.0:
	s_load_dword s59, s[0:1], 0x0
	s_load_dword s33, s[0:1], 0x8
	s_add_u32 s34, s0, 8
	s_addc_u32 s35, s1, 0
	v_lshl_or_b32 v8, s2, 9, v0
	v_or_b32_e32 v16, 0x180, v8
	s_waitcnt lgkmcnt(0)
	s_add_i32 s58, s33, -1
	s_cmp_gt_u32 s58, 1
	v_cmp_le_i32_e32 vcc, s59, v16
	s_cselect_b64 s[40:41], -1, 0
	s_mov_b64 s[24:25], 0
                                        ; implicit-def: $vgpr9
                                        ; implicit-def: $vgpr14_vgpr15
	s_and_saveexec_b64 s[0:1], vcc
	s_xor_b64 s[42:43], exec, s[0:1]
	s_cbranch_execnz .LBB503_4
; %bb.1:
	s_andn2_saveexec_b64 s[26:27], s[42:43]
	s_cbranch_execnz .LBB503_105
.LBB503_2:
	s_or_b64 exec, exec, s[26:27]
	s_and_saveexec_b64 s[0:1], s[24:25]
	s_cbranch_execnz .LBB503_194
.LBB503_3:
	s_endpgm
.LBB503_4:
	s_load_dwordx4 s[28:31], s[34:35], 0x4
	s_load_dwordx2 s[44:45], s[34:35], 0x14
	s_load_dwordx4 s[24:27], s[34:35], 0xc4
	s_load_dwordx8 s[0:7], s[34:35], 0x148
	s_cmp_lg_u32 s33, 0
	s_cselect_b64 s[50:51], -1, 0
	s_add_u32 s48, s34, 0xc4
	s_addc_u32 s49, s35, 0
	s_waitcnt lgkmcnt(0)
	s_min_u32 s7, s58, 15
	s_cmp_gt_u32 s33, 1
	s_cselect_b64 s[46:47], -1, 0
	v_cmp_gt_i32_e32 vcc, s59, v8
	s_and_saveexec_b64 s[52:53], vcc
	s_cbranch_execnz .LBB503_7
; %bb.5:
	s_or_b64 exec, exec, s[52:53]
	v_cmp_gt_i32_e32 vcc, s59, v8
	s_and_saveexec_b64 s[52:53], vcc
	s_cbranch_execnz .LBB503_31
.LBB503_6:
	s_or_b64 exec, exec, s[52:53]
	v_cmp_gt_i32_e32 vcc, s59, v8
	s_and_saveexec_b64 s[52:53], vcc
	s_cbranch_execnz .LBB503_55
	s_branch .LBB503_79
.LBB503_7:
	s_andn2_b64 vcc, exec, s[40:41]
	s_cbranch_vccnz .LBB503_13
; %bb.8:
	s_andn2_b64 vcc, exec, s[50:51]
	s_cbranch_vccnz .LBB503_14
; %bb.9:
	s_add_i32 s61, s7, 1
	s_cmp_eq_u32 s58, 2
	s_cbranch_scc1 .LBB503_15
; %bb.10:
	s_and_b32 s60, s61, 28
	s_mov_b32 s62, 0
	v_mov_b32_e32 v0, 0
	v_mov_b32_e32 v2, 0
	s_mov_b64 s[54:55], s[34:35]
	s_mov_b64 s[56:57], s[48:49]
	v_mov_b32_e32 v4, v8
.LBB503_11:                             ; =>This Inner Loop Header: Depth=1
	s_load_dwordx8 s[16:23], s[54:55], 0x4
	s_load_dwordx4 s[36:39], s[54:55], 0x24
	s_load_dwordx8 s[8:15], s[56:57], 0x0
	s_add_u32 s54, s54, 48
	s_addc_u32 s55, s55, 0
	s_waitcnt lgkmcnt(0)
	v_mul_hi_u32 v1, s17, v4
	v_add_u32_e32 v1, v4, v1
	v_lshrrev_b32_e32 v1, s18, v1
	v_mul_lo_u32 v3, v1, s16
	v_mul_hi_u32 v5, s20, v1
	v_sub_u32_e32 v3, v4, v3
	v_add_u32_e32 v4, v1, v5
	v_lshrrev_b32_e32 v4, s21, v4
	v_mul_lo_u32 v6, v4, s19
	v_mul_hi_u32 v7, s23, v4
	v_sub_u32_e32 v1, v1, v6
	v_add_u32_e32 v6, v4, v7
	v_mul_lo_u32 v5, v3, s9
	v_mul_lo_u32 v3, v3, s8
	;; [unrolled: 1-line block ×4, first 2 shown]
	v_lshrrev_b32_e32 v6, s36, v6
	v_add3_u32 v0, v3, v0, v1
	v_mul_hi_u32 v3, s38, v6
	v_add3_u32 v1, v5, v2, v7
	v_mul_lo_u32 v2, v6, s22
	v_add_u32_e32 v3, v6, v3
	v_sub_u32_e32 v2, v4, v2
	v_lshrrev_b32_e32 v4, s39, v3
	s_add_i32 s62, s62, 4
	v_mul_lo_u32 v3, v4, s37
	s_add_u32 s56, s56, 32
	v_sub_u32_e32 v3, v6, v3
	s_addc_u32 s57, s57, 0
	v_mul_lo_u32 v5, v2, s12
	v_mul_lo_u32 v2, v2, s13
	v_mul_lo_u32 v6, v3, s14
	v_mul_lo_u32 v3, v3, s15
	s_cmp_lg_u32 s60, s62
	v_add3_u32 v2, v2, v1, v3
	v_add3_u32 v0, v5, v0, v6
	s_cbranch_scc1 .LBB503_11
; %bb.12:
	v_mov_b32_e32 v1, v2
	s_branch .LBB503_16
.LBB503_13:
                                        ; implicit-def: $vgpr2
                                        ; implicit-def: $vgpr0
	s_branch .LBB503_20
.LBB503_14:
	v_mov_b32_e32 v2, 0
	v_mov_b32_e32 v0, 0
	s_branch .LBB503_19
.LBB503_15:
	v_mov_b32_e32 v0, 0
	s_mov_b32 s60, 0
	v_mov_b32_e32 v1, v0
                                        ; implicit-def: $vgpr2
	v_mov_b32_e32 v4, v8
.LBB503_16:
	s_and_b32 s12, s61, 3
	s_cmp_eq_u32 s12, 0
	s_cbranch_scc1 .LBB503_19
; %bb.17:
	s_lshl_b32 s8, s60, 3
	s_add_u32 s8, s34, s8
	s_addc_u32 s9, s35, 0
	s_add_u32 s8, s8, 0xc4
	s_addc_u32 s9, s9, 0
	s_mul_i32 s10, s60, 12
	s_add_u32 s10, s34, s10
	s_addc_u32 s11, s35, 0
.LBB503_18:                             ; =>This Inner Loop Header: Depth=1
	s_load_dwordx2 s[14:15], s[10:11], 0x4
	s_load_dword s13, s[10:11], 0xc
	s_load_dwordx2 s[16:17], s[8:9], 0x0
	v_mov_b32_e32 v2, v1
	s_add_u32 s10, s10, 12
	s_waitcnt lgkmcnt(0)
	v_mul_hi_u32 v1, s15, v4
	v_add_u32_e32 v1, v4, v1
	v_lshrrev_b32_e32 v1, s13, v1
	s_addc_u32 s11, s11, 0
	v_mul_lo_u32 v3, v1, s14
	s_add_u32 s8, s8, 8
	v_sub_u32_e32 v5, v4, v3
	s_addc_u32 s9, s9, 0
	s_add_i32 s12, s12, -1
	v_mov_b32_e32 v4, v1
	v_mad_u64_u32 v[2:3], s[14:15], v5, s17, v[2:3]
	v_mad_u64_u32 v[0:1], s[14:15], v5, s16, v[0:1]
	s_cmp_lg_u32 s12, 0
	v_mov_b32_e32 v1, v2
	s_cbranch_scc1 .LBB503_18
.LBB503_19:
	s_cbranch_execnz .LBB503_22
.LBB503_20:
	v_mul_hi_u32 v0, s29, v8
	v_add_u32_e32 v0, v8, v0
	v_lshrrev_b32_e32 v1, s30, v0
	v_mul_lo_u32 v0, v1, s28
	v_sub_u32_e32 v0, v8, v0
	v_mul_lo_u32 v2, v0, s25
	s_andn2_b64 vcc, exec, s[46:47]
	v_mul_lo_u32 v0, v0, s24
	s_cbranch_vccnz .LBB503_22
; %bb.21:
	v_mul_hi_u32 v3, s44, v1
	v_add_u32_e32 v3, v1, v3
	v_lshrrev_b32_e32 v3, s45, v3
	v_mul_lo_u32 v3, v3, s31
	v_sub_u32_e32 v3, v1, v3
	v_mad_u64_u32 v[0:1], s[8:9], v3, s26, v[0:1]
	v_mad_u64_u32 v[2:3], s[8:9], v3, s27, v[2:3]
.LBB503_22:
	global_load_dwordx2 v[4:5], v2, s[2:3]
	v_mov_b32_e32 v2, s4
	s_waitcnt vmcnt(0)
	v_cmp_o_f32_e32 vcc, v4, v4
	s_and_saveexec_b64 s[8:9], vcc
	s_cbranch_execz .LBB503_26
; %bb.23:
	s_mov_b32 s10, 0x7f800000
	v_cmp_neq_f32_e32 vcc, s10, v4
	v_mov_b32_e32 v2, s5
	s_and_saveexec_b64 s[10:11], vcc
; %bb.24:
	s_mov_b32 s12, 0xff800000
	v_mov_b32_e32 v1, s6
	v_cmp_eq_f32_e32 vcc, s12, v4
	s_nop 1
	v_cndmask_b32_e32 v2, v4, v1, vcc
; %bb.25:
	s_or_b64 exec, exec, s[10:11]
.LBB503_26:
	s_or_b64 exec, exec, s[8:9]
	v_cmp_o_f32_e32 vcc, v5, v5
	v_mov_b32_e32 v3, s4
	s_and_saveexec_b64 s[8:9], vcc
	s_cbranch_execz .LBB503_30
; %bb.27:
	s_mov_b32 s10, 0x7f800000
	v_cmp_neq_f32_e32 vcc, s10, v5
	v_mov_b32_e32 v3, s5
	s_and_saveexec_b64 s[10:11], vcc
; %bb.28:
	s_mov_b32 s12, 0xff800000
	v_mov_b32_e32 v1, s6
	v_cmp_eq_f32_e32 vcc, s12, v5
	s_nop 1
	v_cndmask_b32_e32 v3, v5, v1, vcc
; %bb.29:
	s_or_b64 exec, exec, s[10:11]
.LBB503_30:
	s_or_b64 exec, exec, s[8:9]
	v_add_u32_e32 v8, 0x80, v8
	global_store_dwordx2 v0, v[2:3], s[0:1]
	s_or_b64 exec, exec, s[52:53]
	v_cmp_gt_i32_e32 vcc, s59, v8
	s_and_saveexec_b64 s[52:53], vcc
	s_cbranch_execz .LBB503_6
.LBB503_31:
	s_andn2_b64 vcc, exec, s[40:41]
	s_cbranch_vccnz .LBB503_37
; %bb.32:
	s_andn2_b64 vcc, exec, s[50:51]
	s_cbranch_vccnz .LBB503_38
; %bb.33:
	s_add_i32 s61, s7, 1
	s_cmp_eq_u32 s58, 2
	s_cbranch_scc1 .LBB503_39
; %bb.34:
	s_and_b32 s60, s61, 28
	s_mov_b32 s62, 0
	v_mov_b32_e32 v0, 0
	v_mov_b32_e32 v2, 0
	s_mov_b64 s[54:55], s[34:35]
	s_mov_b64 s[56:57], s[48:49]
	v_mov_b32_e32 v4, v8
.LBB503_35:                             ; =>This Inner Loop Header: Depth=1
	s_load_dwordx8 s[16:23], s[54:55], 0x4
	s_load_dwordx4 s[36:39], s[54:55], 0x24
	s_load_dwordx8 s[8:15], s[56:57], 0x0
	s_add_u32 s54, s54, 48
	s_addc_u32 s55, s55, 0
	s_waitcnt lgkmcnt(0)
	v_mul_hi_u32 v1, s17, v4
	v_add_u32_e32 v1, v4, v1
	v_lshrrev_b32_e32 v1, s18, v1
	v_mul_lo_u32 v3, v1, s16
	v_mul_hi_u32 v5, s20, v1
	v_sub_u32_e32 v3, v4, v3
	v_add_u32_e32 v4, v1, v5
	v_lshrrev_b32_e32 v4, s21, v4
	v_mul_lo_u32 v6, v4, s19
	v_mul_hi_u32 v7, s23, v4
	v_sub_u32_e32 v1, v1, v6
	v_add_u32_e32 v6, v4, v7
	v_mul_lo_u32 v5, v3, s9
	v_mul_lo_u32 v3, v3, s8
	;; [unrolled: 1-line block ×4, first 2 shown]
	v_lshrrev_b32_e32 v6, s36, v6
	v_add3_u32 v0, v3, v0, v1
	v_mul_hi_u32 v3, s38, v6
	v_add3_u32 v1, v5, v2, v7
	v_mul_lo_u32 v2, v6, s22
	v_add_u32_e32 v3, v6, v3
	v_sub_u32_e32 v2, v4, v2
	v_lshrrev_b32_e32 v4, s39, v3
	s_add_i32 s62, s62, 4
	v_mul_lo_u32 v3, v4, s37
	s_add_u32 s56, s56, 32
	v_sub_u32_e32 v3, v6, v3
	s_addc_u32 s57, s57, 0
	v_mul_lo_u32 v5, v2, s12
	v_mul_lo_u32 v2, v2, s13
	;; [unrolled: 1-line block ×4, first 2 shown]
	s_cmp_eq_u32 s60, s62
	v_add3_u32 v2, v2, v1, v3
	v_add3_u32 v0, v5, v0, v6
	s_cbranch_scc0 .LBB503_35
; %bb.36:
	v_mov_b32_e32 v1, v2
	s_branch .LBB503_40
.LBB503_37:
                                        ; implicit-def: $vgpr2
                                        ; implicit-def: $vgpr0
	s_branch .LBB503_44
.LBB503_38:
	v_mov_b32_e32 v2, 0
	v_mov_b32_e32 v0, 0
	s_branch .LBB503_43
.LBB503_39:
	v_mov_b32_e32 v0, 0
	s_mov_b32 s60, 0
	v_mov_b32_e32 v1, v0
                                        ; implicit-def: $vgpr2
	v_mov_b32_e32 v4, v8
.LBB503_40:
	s_and_b32 s12, s61, 3
	s_cmp_eq_u32 s12, 0
	s_cbranch_scc1 .LBB503_43
; %bb.41:
	s_lshl_b32 s8, s60, 3
	s_add_u32 s8, s34, s8
	s_addc_u32 s9, s35, 0
	s_add_u32 s8, s8, 0xc4
	s_addc_u32 s9, s9, 0
	s_mul_i32 s10, s60, 12
	s_add_u32 s10, s34, s10
	s_addc_u32 s11, s35, 0
.LBB503_42:                             ; =>This Inner Loop Header: Depth=1
	s_load_dwordx2 s[14:15], s[10:11], 0x4
	s_load_dword s13, s[10:11], 0xc
	s_load_dwordx2 s[16:17], s[8:9], 0x0
	v_mov_b32_e32 v2, v1
	s_add_u32 s10, s10, 12
	s_waitcnt lgkmcnt(0)
	v_mul_hi_u32 v1, s15, v4
	v_add_u32_e32 v1, v4, v1
	v_lshrrev_b32_e32 v1, s13, v1
	s_addc_u32 s11, s11, 0
	v_mul_lo_u32 v3, v1, s14
	s_add_u32 s8, s8, 8
	v_sub_u32_e32 v5, v4, v3
	s_addc_u32 s9, s9, 0
	s_add_i32 s12, s12, -1
	v_mov_b32_e32 v4, v1
	v_mad_u64_u32 v[2:3], s[14:15], v5, s17, v[2:3]
	v_mad_u64_u32 v[0:1], s[14:15], v5, s16, v[0:1]
	s_cmp_lg_u32 s12, 0
	v_mov_b32_e32 v1, v2
	s_cbranch_scc1 .LBB503_42
.LBB503_43:
	s_cbranch_execnz .LBB503_46
.LBB503_44:
	v_mul_hi_u32 v0, s29, v8
	v_add_u32_e32 v0, v8, v0
	v_lshrrev_b32_e32 v1, s30, v0
	v_mul_lo_u32 v0, v1, s28
	v_sub_u32_e32 v0, v8, v0
	v_mul_lo_u32 v2, v0, s25
	s_andn2_b64 vcc, exec, s[46:47]
	v_mul_lo_u32 v0, v0, s24
	s_cbranch_vccnz .LBB503_46
; %bb.45:
	v_mul_hi_u32 v3, s44, v1
	v_add_u32_e32 v3, v1, v3
	v_lshrrev_b32_e32 v3, s45, v3
	v_mul_lo_u32 v3, v3, s31
	v_sub_u32_e32 v3, v1, v3
	v_mad_u64_u32 v[0:1], s[8:9], v3, s26, v[0:1]
	v_mad_u64_u32 v[2:3], s[8:9], v3, s27, v[2:3]
.LBB503_46:
	global_load_dwordx2 v[4:5], v2, s[2:3]
	v_mov_b32_e32 v2, s4
	s_waitcnt vmcnt(0)
	v_cmp_o_f32_e32 vcc, v4, v4
	s_and_saveexec_b64 s[8:9], vcc
	s_cbranch_execz .LBB503_50
; %bb.47:
	s_mov_b32 s10, 0x7f800000
	v_cmp_neq_f32_e32 vcc, s10, v4
	v_mov_b32_e32 v2, s5
	s_and_saveexec_b64 s[10:11], vcc
; %bb.48:
	s_mov_b32 s12, 0xff800000
	v_mov_b32_e32 v1, s6
	v_cmp_eq_f32_e32 vcc, s12, v4
	s_nop 1
	v_cndmask_b32_e32 v2, v4, v1, vcc
; %bb.49:
	s_or_b64 exec, exec, s[10:11]
.LBB503_50:
	s_or_b64 exec, exec, s[8:9]
	v_cmp_o_f32_e32 vcc, v5, v5
	v_mov_b32_e32 v3, s4
	s_and_saveexec_b64 s[8:9], vcc
	s_cbranch_execz .LBB503_54
; %bb.51:
	s_mov_b32 s10, 0x7f800000
	v_cmp_neq_f32_e32 vcc, s10, v5
	v_mov_b32_e32 v3, s5
	s_and_saveexec_b64 s[10:11], vcc
; %bb.52:
	s_mov_b32 s12, 0xff800000
	v_mov_b32_e32 v1, s6
	v_cmp_eq_f32_e32 vcc, s12, v5
	s_nop 1
	v_cndmask_b32_e32 v3, v5, v1, vcc
; %bb.53:
	s_or_b64 exec, exec, s[10:11]
.LBB503_54:
	s_or_b64 exec, exec, s[8:9]
	v_add_u32_e32 v8, 0x80, v8
	global_store_dwordx2 v0, v[2:3], s[0:1]
	s_or_b64 exec, exec, s[52:53]
	v_cmp_gt_i32_e32 vcc, s59, v8
	s_and_saveexec_b64 s[52:53], vcc
	s_cbranch_execz .LBB503_79
.LBB503_55:
	s_andn2_b64 vcc, exec, s[40:41]
	s_cbranch_vccnz .LBB503_61
; %bb.56:
	s_andn2_b64 vcc, exec, s[50:51]
	s_cbranch_vccnz .LBB503_62
; %bb.57:
	s_add_i32 s61, s7, 1
	s_cmp_eq_u32 s58, 2
	s_cbranch_scc1 .LBB503_63
; %bb.58:
	s_and_b32 s60, s61, 28
	s_mov_b32 s62, 0
	v_mov_b32_e32 v0, 0
	v_mov_b32_e32 v2, 0
	s_mov_b64 s[54:55], s[34:35]
	s_mov_b64 s[56:57], s[48:49]
	v_mov_b32_e32 v4, v8
.LBB503_59:                             ; =>This Inner Loop Header: Depth=1
	s_load_dwordx8 s[16:23], s[54:55], 0x4
	s_load_dwordx4 s[36:39], s[54:55], 0x24
	s_load_dwordx8 s[8:15], s[56:57], 0x0
	s_add_u32 s54, s54, 48
	s_addc_u32 s55, s55, 0
	s_waitcnt lgkmcnt(0)
	v_mul_hi_u32 v1, s17, v4
	v_add_u32_e32 v1, v4, v1
	v_lshrrev_b32_e32 v1, s18, v1
	v_mul_lo_u32 v3, v1, s16
	v_mul_hi_u32 v5, s20, v1
	v_sub_u32_e32 v3, v4, v3
	v_add_u32_e32 v4, v1, v5
	v_lshrrev_b32_e32 v4, s21, v4
	v_mul_lo_u32 v6, v4, s19
	v_mul_hi_u32 v7, s23, v4
	v_sub_u32_e32 v1, v1, v6
	v_add_u32_e32 v6, v4, v7
	v_mul_lo_u32 v5, v3, s9
	v_mul_lo_u32 v3, v3, s8
	;; [unrolled: 1-line block ×4, first 2 shown]
	v_lshrrev_b32_e32 v6, s36, v6
	v_add3_u32 v0, v3, v0, v1
	v_mul_hi_u32 v3, s38, v6
	v_add3_u32 v1, v5, v2, v7
	v_mul_lo_u32 v2, v6, s22
	v_add_u32_e32 v3, v6, v3
	v_sub_u32_e32 v2, v4, v2
	v_lshrrev_b32_e32 v4, s39, v3
	s_add_i32 s62, s62, 4
	v_mul_lo_u32 v3, v4, s37
	s_add_u32 s56, s56, 32
	v_sub_u32_e32 v3, v6, v3
	s_addc_u32 s57, s57, 0
	v_mul_lo_u32 v5, v2, s12
	v_mul_lo_u32 v2, v2, s13
	;; [unrolled: 1-line block ×4, first 2 shown]
	s_cmp_eq_u32 s60, s62
	v_add3_u32 v2, v2, v1, v3
	v_add3_u32 v0, v5, v0, v6
	s_cbranch_scc0 .LBB503_59
; %bb.60:
	v_mov_b32_e32 v1, v2
	s_branch .LBB503_64
.LBB503_61:
                                        ; implicit-def: $vgpr2
                                        ; implicit-def: $vgpr0
	s_branch .LBB503_68
.LBB503_62:
	v_mov_b32_e32 v2, 0
	v_mov_b32_e32 v0, 0
	s_branch .LBB503_67
.LBB503_63:
	v_mov_b32_e32 v0, 0
	s_mov_b32 s60, 0
	v_mov_b32_e32 v1, v0
                                        ; implicit-def: $vgpr2
	v_mov_b32_e32 v4, v8
.LBB503_64:
	s_and_b32 s12, s61, 3
	s_cmp_eq_u32 s12, 0
	s_cbranch_scc1 .LBB503_67
; %bb.65:
	s_lshl_b32 s8, s60, 3
	s_add_u32 s8, s34, s8
	s_addc_u32 s9, s35, 0
	s_add_u32 s8, s8, 0xc4
	s_addc_u32 s9, s9, 0
	s_mul_i32 s10, s60, 12
	s_add_u32 s10, s34, s10
	s_addc_u32 s11, s35, 0
.LBB503_66:                             ; =>This Inner Loop Header: Depth=1
	s_load_dwordx2 s[14:15], s[10:11], 0x4
	s_load_dword s13, s[10:11], 0xc
	s_load_dwordx2 s[16:17], s[8:9], 0x0
	v_mov_b32_e32 v2, v1
	s_add_u32 s10, s10, 12
	s_waitcnt lgkmcnt(0)
	v_mul_hi_u32 v1, s15, v4
	v_add_u32_e32 v1, v4, v1
	v_lshrrev_b32_e32 v1, s13, v1
	s_addc_u32 s11, s11, 0
	v_mul_lo_u32 v3, v1, s14
	s_add_u32 s8, s8, 8
	v_sub_u32_e32 v5, v4, v3
	s_addc_u32 s9, s9, 0
	s_add_i32 s12, s12, -1
	v_mov_b32_e32 v4, v1
	v_mad_u64_u32 v[2:3], s[14:15], v5, s17, v[2:3]
	v_mad_u64_u32 v[0:1], s[14:15], v5, s16, v[0:1]
	s_cmp_lg_u32 s12, 0
	v_mov_b32_e32 v1, v2
	s_cbranch_scc1 .LBB503_66
.LBB503_67:
	s_cbranch_execnz .LBB503_70
.LBB503_68:
	v_mul_hi_u32 v0, s29, v8
	v_add_u32_e32 v0, v8, v0
	v_lshrrev_b32_e32 v1, s30, v0
	v_mul_lo_u32 v0, v1, s28
	v_sub_u32_e32 v0, v8, v0
	v_mul_lo_u32 v2, v0, s25
	s_andn2_b64 vcc, exec, s[46:47]
	v_mul_lo_u32 v0, v0, s24
	s_cbranch_vccnz .LBB503_70
; %bb.69:
	v_mul_hi_u32 v3, s44, v1
	v_add_u32_e32 v3, v1, v3
	v_lshrrev_b32_e32 v3, s45, v3
	v_mul_lo_u32 v3, v3, s31
	v_sub_u32_e32 v3, v1, v3
	v_mad_u64_u32 v[0:1], s[8:9], v3, s26, v[0:1]
	v_mad_u64_u32 v[2:3], s[8:9], v3, s27, v[2:3]
.LBB503_70:
	global_load_dwordx2 v[4:5], v2, s[2:3]
	v_mov_b32_e32 v2, s4
	s_waitcnt vmcnt(0)
	v_cmp_o_f32_e32 vcc, v4, v4
	s_and_saveexec_b64 s[8:9], vcc
	s_cbranch_execz .LBB503_74
; %bb.71:
	s_mov_b32 s10, 0x7f800000
	v_cmp_neq_f32_e32 vcc, s10, v4
	v_mov_b32_e32 v2, s5
	s_and_saveexec_b64 s[10:11], vcc
; %bb.72:
	s_mov_b32 s12, 0xff800000
	v_mov_b32_e32 v1, s6
	v_cmp_eq_f32_e32 vcc, s12, v4
	s_nop 1
	v_cndmask_b32_e32 v2, v4, v1, vcc
; %bb.73:
	s_or_b64 exec, exec, s[10:11]
.LBB503_74:
	s_or_b64 exec, exec, s[8:9]
	v_cmp_o_f32_e32 vcc, v5, v5
	v_mov_b32_e32 v3, s4
	s_and_saveexec_b64 s[8:9], vcc
	s_cbranch_execz .LBB503_78
; %bb.75:
	s_mov_b32 s10, 0x7f800000
	v_cmp_neq_f32_e32 vcc, s10, v5
	v_mov_b32_e32 v3, s5
	s_and_saveexec_b64 s[10:11], vcc
; %bb.76:
	s_mov_b32 s12, 0xff800000
	v_mov_b32_e32 v1, s6
	v_cmp_eq_f32_e32 vcc, s12, v5
	s_nop 1
	v_cndmask_b32_e32 v3, v5, v1, vcc
; %bb.77:
	s_or_b64 exec, exec, s[10:11]
.LBB503_78:
	s_or_b64 exec, exec, s[8:9]
	v_add_u32_e32 v8, 0x80, v8
	global_store_dwordx2 v0, v[2:3], s[0:1]
.LBB503_79:
	s_or_b64 exec, exec, s[52:53]
	v_cmp_gt_i32_e32 vcc, s59, v8
	s_mov_b64 s[8:9], 0
                                        ; implicit-def: $vgpr9
                                        ; implicit-def: $vgpr14_vgpr15
	s_and_saveexec_b64 s[52:53], vcc
	s_cbranch_execz .LBB503_104
; %bb.80:
	s_andn2_b64 vcc, exec, s[40:41]
	s_cbranch_vccnz .LBB503_86
; %bb.81:
	s_andn2_b64 vcc, exec, s[50:51]
	s_cbranch_vccnz .LBB503_87
; %bb.82:
	s_add_i32 s54, s7, 1
	s_cmp_eq_u32 s58, 2
	s_cbranch_scc1 .LBB503_88
; %bb.83:
	s_and_b32 s7, s54, 28
	s_mov_b32 s55, 0
	v_mov_b32_e32 v0, 0
	v_mov_b32_e32 v2, 0
	s_mov_b64 s[50:51], s[34:35]
	v_mov_b32_e32 v4, v8
.LBB503_84:                             ; =>This Inner Loop Header: Depth=1
	s_load_dwordx8 s[16:23], s[50:51], 0x4
	s_load_dwordx4 s[36:39], s[50:51], 0x24
	s_load_dwordx8 s[8:15], s[48:49], 0x0
	s_add_u32 s50, s50, 48
	s_addc_u32 s51, s51, 0
	s_waitcnt lgkmcnt(0)
	v_mul_hi_u32 v1, s17, v4
	v_add_u32_e32 v1, v4, v1
	v_lshrrev_b32_e32 v1, s18, v1
	v_mul_lo_u32 v3, v1, s16
	v_mul_hi_u32 v5, s20, v1
	v_sub_u32_e32 v3, v4, v3
	v_add_u32_e32 v4, v1, v5
	v_lshrrev_b32_e32 v4, s21, v4
	v_mul_lo_u32 v6, v4, s19
	v_mul_hi_u32 v7, s23, v4
	v_sub_u32_e32 v1, v1, v6
	v_add_u32_e32 v6, v4, v7
	v_mul_lo_u32 v5, v3, s9
	v_mul_lo_u32 v3, v3, s8
	;; [unrolled: 1-line block ×4, first 2 shown]
	v_lshrrev_b32_e32 v6, s36, v6
	v_add3_u32 v0, v3, v0, v1
	v_mul_hi_u32 v3, s38, v6
	v_add3_u32 v1, v5, v2, v7
	v_mul_lo_u32 v2, v6, s22
	v_add_u32_e32 v3, v6, v3
	v_sub_u32_e32 v2, v4, v2
	v_lshrrev_b32_e32 v4, s39, v3
	s_add_i32 s55, s55, 4
	v_mul_lo_u32 v3, v4, s37
	s_add_u32 s48, s48, 32
	v_sub_u32_e32 v3, v6, v3
	s_addc_u32 s49, s49, 0
	v_mul_lo_u32 v5, v2, s12
	v_mul_lo_u32 v2, v2, s13
	;; [unrolled: 1-line block ×4, first 2 shown]
	s_cmp_eq_u32 s7, s55
	v_add3_u32 v2, v2, v1, v3
	v_add3_u32 v0, v5, v0, v6
	s_cbranch_scc0 .LBB503_84
; %bb.85:
	v_mov_b32_e32 v1, v2
	s_branch .LBB503_89
.LBB503_86:
                                        ; implicit-def: $vgpr2
                                        ; implicit-def: $vgpr0
	s_branch .LBB503_93
.LBB503_87:
	v_mov_b32_e32 v2, 0
	v_mov_b32_e32 v0, 0
	s_branch .LBB503_92
.LBB503_88:
	v_mov_b32_e32 v0, 0
	s_mov_b32 s7, 0
	v_mov_b32_e32 v1, v0
                                        ; implicit-def: $vgpr2
	v_mov_b32_e32 v4, v8
.LBB503_89:
	s_and_b32 s12, s54, 3
	s_cmp_eq_u32 s12, 0
	s_cbranch_scc1 .LBB503_92
; %bb.90:
	s_lshl_b32 s8, s7, 3
	s_add_u32 s8, s34, s8
	s_addc_u32 s9, s35, 0
	s_add_u32 s8, s8, 0xc4
	s_addc_u32 s9, s9, 0
	s_mul_i32 s7, s7, 12
	s_add_u32 s10, s34, s7
	s_addc_u32 s11, s35, 0
.LBB503_91:                             ; =>This Inner Loop Header: Depth=1
	s_load_dwordx2 s[14:15], s[10:11], 0x4
	s_load_dword s7, s[10:11], 0xc
	s_load_dwordx2 s[16:17], s[8:9], 0x0
	v_mov_b32_e32 v2, v1
	s_add_u32 s10, s10, 12
	s_waitcnt lgkmcnt(0)
	v_mul_hi_u32 v1, s15, v4
	v_add_u32_e32 v1, v4, v1
	v_lshrrev_b32_e32 v1, s7, v1
	s_addc_u32 s11, s11, 0
	v_mul_lo_u32 v3, v1, s14
	s_add_u32 s8, s8, 8
	v_sub_u32_e32 v5, v4, v3
	s_addc_u32 s9, s9, 0
	s_add_i32 s12, s12, -1
	v_mov_b32_e32 v4, v1
	v_mad_u64_u32 v[2:3], s[14:15], v5, s17, v[2:3]
	v_mad_u64_u32 v[0:1], s[14:15], v5, s16, v[0:1]
	s_cmp_lg_u32 s12, 0
	v_mov_b32_e32 v1, v2
	s_cbranch_scc1 .LBB503_91
.LBB503_92:
	s_cbranch_execnz .LBB503_95
.LBB503_93:
	v_mul_hi_u32 v0, s29, v8
	v_add_u32_e32 v0, v8, v0
	v_lshrrev_b32_e32 v1, s30, v0
	v_mul_lo_u32 v0, v1, s28
	v_sub_u32_e32 v0, v8, v0
	v_mul_lo_u32 v2, v0, s25
	s_andn2_b64 vcc, exec, s[46:47]
	v_mul_lo_u32 v0, v0, s24
	s_cbranch_vccnz .LBB503_95
; %bb.94:
	v_mul_hi_u32 v3, s44, v1
	v_add_u32_e32 v3, v1, v3
	v_lshrrev_b32_e32 v3, s45, v3
	v_mul_lo_u32 v3, v3, s31
	v_sub_u32_e32 v3, v1, v3
	v_mad_u64_u32 v[0:1], s[8:9], v3, s26, v[0:1]
	v_mad_u64_u32 v[2:3], s[8:9], v3, s27, v[2:3]
.LBB503_95:
	global_load_dwordx2 v[2:3], v2, s[2:3]
	v_mov_b32_e32 v4, s4
	s_waitcnt vmcnt(0)
	v_cmp_o_f32_e32 vcc, v2, v2
	s_and_saveexec_b64 s[2:3], vcc
	s_cbranch_execz .LBB503_99
; %bb.96:
	s_mov_b32 s7, 0x7f800000
	v_cmp_neq_f32_e32 vcc, s7, v2
	v_mov_b32_e32 v4, s5
	s_and_saveexec_b64 s[8:9], vcc
; %bb.97:
	s_mov_b32 s7, 0xff800000
	v_mov_b32_e32 v1, s6
	v_cmp_eq_f32_e32 vcc, s7, v2
	s_nop 1
	v_cndmask_b32_e32 v4, v2, v1, vcc
; %bb.98:
	s_or_b64 exec, exec, s[8:9]
.LBB503_99:
	s_or_b64 exec, exec, s[2:3]
	v_cmp_o_f32_e32 vcc, v3, v3
	v_mov_b32_e32 v9, s4
	s_and_saveexec_b64 s[2:3], vcc
	s_cbranch_execz .LBB503_103
; %bb.100:
	s_mov_b32 s4, 0x7f800000
	v_cmp_neq_f32_e32 vcc, s4, v3
	v_mov_b32_e32 v9, s5
	s_and_saveexec_b64 s[4:5], vcc
; %bb.101:
	s_mov_b32 s7, 0xff800000
	v_mov_b32_e32 v1, s6
	v_cmp_eq_f32_e32 vcc, s7, v3
	s_nop 1
	v_cndmask_b32_e32 v9, v3, v1, vcc
; %bb.102:
	s_or_b64 exec, exec, s[4:5]
.LBB503_103:
	s_or_b64 exec, exec, s[2:3]
	v_mov_b32_e32 v1, 0
	s_mov_b64 s[8:9], exec
	v_lshl_add_u64 v[14:15], s[0:1], 0, v[0:1]
	global_store_dword v0, v4, s[0:1]
.LBB503_104:
	s_or_b64 exec, exec, s[52:53]
	s_and_b64 s[24:25], s[8:9], exec
                                        ; implicit-def: $vgpr16
                                        ; implicit-def: $vgpr8
	s_andn2_saveexec_b64 s[26:27], s[42:43]
	s_cbranch_execz .LBB503_2
.LBB503_105:
	v_cndmask_b32_e64 v0, 0, 1, s[40:41]
	v_cmp_ne_u32_e64 s[0:1], 1, v0
	s_andn2_b64 vcc, exec, s[40:41]
	s_cbranch_vccnz .LBB503_111
; %bb.106:
	s_cmp_lg_u32 s33, 0
	s_mov_b32 s30, 0
	s_cbranch_scc0 .LBB503_112
; %bb.107:
	s_min_u32 s31, s58, 15
	s_add_i32 s31, s31, 1
	s_cmp_eq_u32 s58, 2
	s_cbranch_scc1 .LBB503_113
; %bb.108:
	s_and_b32 s30, s31, 28
	s_add_u32 s2, s34, 0xc4
	s_addc_u32 s3, s35, 0
	s_mov_b32 s36, 0
	v_mov_b32_e32 v0, 0
	v_mov_b32_e32 v4, 0
	s_mov_b64 s[28:29], s[34:35]
	v_mov_b32_e32 v2, v8
.LBB503_109:                            ; =>This Inner Loop Header: Depth=1
	s_load_dwordx8 s[12:19], s[28:29], 0x4
	s_load_dwordx4 s[20:23], s[28:29], 0x24
	s_load_dwordx8 s[4:11], s[2:3], 0x0
	s_add_u32 s28, s28, 48
	s_addc_u32 s29, s29, 0
	s_waitcnt lgkmcnt(0)
	v_mul_hi_u32 v1, s13, v2
	v_add_u32_e32 v1, v2, v1
	v_lshrrev_b32_e32 v1, s14, v1
	v_mul_lo_u32 v3, v1, s12
	v_mul_hi_u32 v5, s16, v1
	v_sub_u32_e32 v2, v2, v3
	v_add_u32_e32 v3, v1, v5
	v_lshrrev_b32_e32 v3, s17, v3
	v_mul_lo_u32 v6, v3, s15
	v_mul_hi_u32 v7, s19, v3
	v_sub_u32_e32 v1, v1, v6
	v_add_u32_e32 v6, v3, v7
	v_mul_lo_u32 v5, v2, s5
	v_mul_lo_u32 v2, v2, s4
	;; [unrolled: 1-line block ×4, first 2 shown]
	v_lshrrev_b32_e32 v6, s20, v6
	v_add3_u32 v0, v2, v0, v1
	v_add3_u32 v1, v5, v4, v7
	v_mul_lo_u32 v2, v6, s18
	v_mul_hi_u32 v4, s22, v6
	v_sub_u32_e32 v2, v3, v2
	v_add_u32_e32 v3, v6, v4
	v_mul_lo_u32 v5, v2, s8
	v_mul_lo_u32 v4, v2, s9
	v_lshrrev_b32_e32 v2, s23, v3
	s_add_i32 s36, s36, 4
	v_mul_lo_u32 v3, v2, s21
	s_add_u32 s2, s2, 32
	v_sub_u32_e32 v3, v6, v3
	s_addc_u32 s3, s3, 0
	v_mul_lo_u32 v6, v3, s10
	v_mul_lo_u32 v3, v3, s11
	s_cmp_lg_u32 s30, s36
	v_add3_u32 v4, v4, v1, v3
	v_add3_u32 v0, v5, v0, v6
	s_cbranch_scc1 .LBB503_109
; %bb.110:
	v_mov_b32_e32 v1, v4
	s_and_b32 s6, s31, 3
	s_cmp_eq_u32 s6, 0
	s_cbranch_scc0 .LBB503_114
	s_branch .LBB503_116
.LBB503_111:
                                        ; implicit-def: $vgpr4
                                        ; implicit-def: $vgpr0
	s_branch .LBB503_117
.LBB503_112:
	v_mov_b32_e32 v4, 0
	v_mov_b32_e32 v0, 0
	s_branch .LBB503_116
.LBB503_113:
	v_mov_b32_e32 v0, 0
                                        ; implicit-def: $vgpr4
	v_mov_b32_e32 v1, v0
	v_mov_b32_e32 v2, v8
	s_and_b32 s6, s31, 3
	s_cmp_eq_u32 s6, 0
	s_cbranch_scc1 .LBB503_116
.LBB503_114:
	s_lshl_b32 s2, s30, 3
	s_add_u32 s2, s34, s2
	s_addc_u32 s3, s35, 0
	s_add_u32 s2, s2, 0xc4
	s_addc_u32 s3, s3, 0
	s_mul_i32 s4, s30, 12
	s_add_u32 s4, s34, s4
	s_addc_u32 s5, s35, 0
.LBB503_115:                            ; =>This Inner Loop Header: Depth=1
	s_load_dwordx2 s[8:9], s[4:5], 0x4
	s_load_dword s7, s[4:5], 0xc
	s_load_dwordx2 s[10:11], s[2:3], 0x0
	v_mov_b32_e32 v4, v1
	s_add_u32 s4, s4, 12
	s_waitcnt lgkmcnt(0)
	v_mul_hi_u32 v1, s9, v2
	v_add_u32_e32 v1, v2, v1
	v_lshrrev_b32_e32 v1, s7, v1
	s_addc_u32 s5, s5, 0
	v_mul_lo_u32 v3, v1, s8
	s_add_u32 s2, s2, 8
	v_sub_u32_e32 v3, v2, v3
	s_addc_u32 s3, s3, 0
	s_add_i32 s6, s6, -1
	v_mov_b32_e32 v2, v1
	v_mad_u64_u32 v[4:5], s[8:9], v3, s11, v[4:5]
	v_mad_u64_u32 v[0:1], s[8:9], v3, s10, v[0:1]
	s_cmp_lg_u32 s6, 0
	v_mov_b32_e32 v1, v4
	s_cbranch_scc1 .LBB503_115
.LBB503_116:
	s_cbranch_execnz .LBB503_119
.LBB503_117:
	s_load_dwordx4 s[4:7], s[34:35], 0x4
	s_load_dwordx2 s[2:3], s[34:35], 0xc4
	s_cmp_lt_u32 s33, 2
	s_waitcnt lgkmcnt(0)
	v_mul_hi_u32 v0, s5, v8
	v_add_u32_e32 v0, v8, v0
	v_lshrrev_b32_e32 v1, s6, v0
	v_mul_lo_u32 v0, v1, s4
	v_sub_u32_e32 v0, v8, v0
	v_mul_lo_u32 v4, v0, s3
	v_mul_lo_u32 v0, v0, s2
	s_cbranch_scc1 .LBB503_119
; %bb.118:
	s_load_dwordx4 s[4:7], s[34:35], 0x10
	s_load_dwordx2 s[2:3], s[34:35], 0xcc
	s_waitcnt lgkmcnt(0)
	v_mul_hi_u32 v2, s5, v1
	v_add_u32_e32 v2, v1, v2
	v_lshrrev_b32_e32 v2, s6, v2
	v_mul_lo_u32 v2, v2, s4
	v_sub_u32_e32 v2, v1, v2
	v_mad_u64_u32 v[0:1], s[4:5], v2, s2, v[0:1]
	v_mad_u64_u32 v[4:5], s[2:3], v2, s3, v[4:5]
.LBB503_119:
	s_and_b64 vcc, exec, s[0:1]
	v_add_u32_e32 v5, 0x80, v8
	s_cbranch_vccnz .LBB503_125
; %bb.120:
	s_cmp_lg_u32 s33, 0
	s_mov_b32 s30, 0
	s_cbranch_scc0 .LBB503_126
; %bb.121:
	s_min_u32 s31, s58, 15
	s_add_i32 s31, s31, 1
	s_cmp_eq_u32 s58, 2
	s_cbranch_scc1 .LBB503_127
; %bb.122:
	s_and_b32 s30, s31, 28
	s_add_u32 s2, s34, 0xc4
	s_addc_u32 s3, s35, 0
	s_mov_b32 s36, 0
	v_mov_b32_e32 v2, 0
	v_mov_b32_e32 v6, 0
	s_mov_b64 s[28:29], s[34:35]
	v_mov_b32_e32 v9, v5
.LBB503_123:                            ; =>This Inner Loop Header: Depth=1
	s_load_dwordx8 s[12:19], s[28:29], 0x4
	s_load_dwordx4 s[20:23], s[28:29], 0x24
	s_load_dwordx8 s[4:11], s[2:3], 0x0
	s_add_u32 s28, s28, 48
	s_addc_u32 s29, s29, 0
	s_waitcnt lgkmcnt(0)
	v_mul_hi_u32 v1, s13, v9
	v_add_u32_e32 v1, v9, v1
	v_lshrrev_b32_e32 v1, s14, v1
	v_mul_hi_u32 v7, s16, v1
	v_add_u32_e32 v7, v1, v7
	v_lshrrev_b32_e32 v7, s17, v7
	v_mul_lo_u32 v3, v1, s12
	v_mul_lo_u32 v10, v7, s15
	v_mul_hi_u32 v11, s19, v7
	v_sub_u32_e32 v3, v9, v3
	v_sub_u32_e32 v1, v1, v10
	v_add_u32_e32 v10, v7, v11
	v_mul_lo_u32 v9, v3, s5
	v_mul_lo_u32 v3, v3, s4
	;; [unrolled: 1-line block ×4, first 2 shown]
	v_lshrrev_b32_e32 v10, s20, v10
	v_add3_u32 v1, v3, v2, v1
	v_add3_u32 v2, v9, v6, v11
	v_mul_hi_u32 v6, s22, v10
	v_add_u32_e32 v6, v10, v6
	v_lshrrev_b32_e32 v9, s23, v6
	s_add_i32 s36, s36, 4
	v_mul_lo_u32 v3, v10, s18
	v_mul_lo_u32 v6, v9, s21
	s_add_u32 s2, s2, 32
	v_sub_u32_e32 v3, v7, v3
	v_sub_u32_e32 v6, v10, v6
	s_addc_u32 s3, s3, 0
	v_mul_lo_u32 v7, v3, s8
	v_mul_lo_u32 v3, v3, s9
	;; [unrolled: 1-line block ×4, first 2 shown]
	s_cmp_lg_u32 s30, s36
	v_add3_u32 v6, v3, v2, v6
	v_add3_u32 v2, v7, v1, v10
	s_cbranch_scc1 .LBB503_123
; %bb.124:
	v_mov_b32_e32 v1, v6
	s_and_b32 s6, s31, 3
	s_cmp_eq_u32 s6, 0
	s_cbranch_scc0 .LBB503_128
	s_branch .LBB503_130
.LBB503_125:
                                        ; implicit-def: $vgpr6
                                        ; implicit-def: $vgpr2
	s_branch .LBB503_131
.LBB503_126:
	v_mov_b32_e32 v6, 0
	v_mov_b32_e32 v2, 0
	s_branch .LBB503_130
.LBB503_127:
	v_mov_b32_e32 v2, 0
                                        ; implicit-def: $vgpr6
	v_mov_b32_e32 v1, v2
	v_mov_b32_e32 v9, v5
	s_and_b32 s6, s31, 3
	s_cmp_eq_u32 s6, 0
	s_cbranch_scc1 .LBB503_130
.LBB503_128:
	s_lshl_b32 s2, s30, 3
	s_add_u32 s2, s34, s2
	s_addc_u32 s3, s35, 0
	s_add_u32 s2, s2, 0xc4
	s_addc_u32 s3, s3, 0
	s_mul_i32 s4, s30, 12
	s_add_u32 s4, s34, s4
	s_addc_u32 s5, s35, 0
.LBB503_129:                            ; =>This Inner Loop Header: Depth=1
	s_load_dwordx2 s[8:9], s[4:5], 0x4
	s_load_dword s7, s[4:5], 0xc
	s_load_dwordx2 s[10:11], s[2:3], 0x0
	v_mov_b32_e32 v6, v1
	s_add_u32 s4, s4, 12
	s_waitcnt lgkmcnt(0)
	v_mul_hi_u32 v1, s9, v9
	v_add_u32_e32 v1, v9, v1
	v_lshrrev_b32_e32 v1, s7, v1
	s_addc_u32 s5, s5, 0
	v_mul_lo_u32 v3, v1, s8
	s_add_u32 s2, s2, 8
	v_sub_u32_e32 v3, v9, v3
	s_addc_u32 s3, s3, 0
	s_add_i32 s6, s6, -1
	v_mad_u64_u32 v[6:7], s[8:9], v3, s11, v[6:7]
	s_cmp_lg_u32 s6, 0
	v_mov_b32_e32 v9, v1
	v_mad_u64_u32 v[2:3], s[8:9], v3, s10, v[2:3]
	v_mov_b32_e32 v1, v6
	s_cbranch_scc1 .LBB503_129
.LBB503_130:
	s_cbranch_execnz .LBB503_133
.LBB503_131:
	s_load_dwordx4 s[4:7], s[34:35], 0x4
	s_load_dwordx2 s[2:3], s[34:35], 0xc4
	s_cmp_lt_u32 s33, 2
	s_waitcnt lgkmcnt(0)
	v_mul_hi_u32 v1, s5, v5
	v_add_u32_e32 v1, v5, v1
	v_lshrrev_b32_e32 v1, s6, v1
	v_mul_lo_u32 v2, v1, s4
	v_sub_u32_e32 v2, v5, v2
	v_mul_lo_u32 v6, v2, s3
	v_mul_lo_u32 v2, v2, s2
	s_cbranch_scc1 .LBB503_133
; %bb.132:
	s_load_dwordx4 s[4:7], s[34:35], 0x10
	s_load_dwordx2 s[2:3], s[34:35], 0xcc
	s_waitcnt lgkmcnt(0)
	v_mul_hi_u32 v3, s5, v1
	v_add_u32_e32 v3, v1, v3
	v_lshrrev_b32_e32 v3, s6, v3
	v_mul_lo_u32 v3, v3, s4
	v_sub_u32_e32 v1, v1, v3
	v_mad_u64_u32 v[2:3], s[4:5], v1, s2, v[2:3]
	v_mad_u64_u32 v[6:7], s[2:3], v1, s3, v[6:7]
.LBB503_133:
	s_and_b64 vcc, exec, s[0:1]
	v_add_u32_e32 v3, 0x100, v8
	s_cbranch_vccnz .LBB503_139
; %bb.134:
	s_cmp_lg_u32 s33, 0
	s_mov_b32 s30, 0
	s_cbranch_scc0 .LBB503_140
; %bb.135:
	s_min_u32 s31, s58, 15
	s_add_i32 s31, s31, 1
	s_cmp_eq_u32 s58, 2
	s_cbranch_scc1 .LBB503_141
; %bb.136:
	s_and_b32 s30, s31, 28
	s_add_u32 s2, s34, 0xc4
	s_addc_u32 s3, s35, 0
	s_mov_b32 s36, 0
	v_mov_b32_e32 v8, 0
	v_mov_b32_e32 v10, 0
	s_mov_b64 s[28:29], s[34:35]
	v_mov_b32_e32 v5, v3
.LBB503_137:                            ; =>This Inner Loop Header: Depth=1
	s_load_dwordx8 s[12:19], s[28:29], 0x4
	s_load_dwordx4 s[20:23], s[28:29], 0x24
	s_load_dwordx8 s[4:11], s[2:3], 0x0
	s_add_u32 s28, s28, 48
	s_addc_u32 s29, s29, 0
	s_waitcnt lgkmcnt(0)
	v_mul_hi_u32 v1, s13, v5
	v_add_u32_e32 v1, v5, v1
	v_lshrrev_b32_e32 v1, s14, v1
	v_mul_lo_u32 v7, v1, s12
	v_mul_hi_u32 v9, s16, v1
	v_sub_u32_e32 v5, v5, v7
	v_add_u32_e32 v7, v1, v9
	v_lshrrev_b32_e32 v7, s17, v7
	v_mul_lo_u32 v11, v7, s15
	v_mul_hi_u32 v12, s19, v7
	v_sub_u32_e32 v1, v1, v11
	v_add_u32_e32 v11, v7, v12
	v_mul_lo_u32 v9, v5, s5
	v_mul_lo_u32 v5, v5, s4
	;; [unrolled: 1-line block ×4, first 2 shown]
	v_lshrrev_b32_e32 v11, s20, v11
	v_add3_u32 v1, v5, v8, v1
	v_add3_u32 v8, v9, v10, v12
	v_mul_lo_u32 v5, v11, s18
	v_mul_hi_u32 v9, s22, v11
	v_sub_u32_e32 v5, v7, v5
	v_add_u32_e32 v7, v11, v9
	v_mul_lo_u32 v9, v5, s8
	v_mul_lo_u32 v10, v5, s9
	v_lshrrev_b32_e32 v5, s23, v7
	s_add_i32 s36, s36, 4
	v_mul_lo_u32 v7, v5, s21
	s_add_u32 s2, s2, 32
	v_sub_u32_e32 v7, v11, v7
	s_addc_u32 s3, s3, 0
	v_mul_lo_u32 v11, v7, s10
	v_mul_lo_u32 v7, v7, s11
	s_cmp_lg_u32 s30, s36
	v_add3_u32 v10, v10, v8, v7
	v_add3_u32 v8, v9, v1, v11
	s_cbranch_scc1 .LBB503_137
; %bb.138:
	v_mov_b32_e32 v1, v10
	s_and_b32 s6, s31, 3
	s_cmp_eq_u32 s6, 0
	s_cbranch_scc0 .LBB503_142
	s_branch .LBB503_144
.LBB503_139:
                                        ; implicit-def: $vgpr10
                                        ; implicit-def: $vgpr8
	s_branch .LBB503_145
.LBB503_140:
	v_mov_b32_e32 v10, 0
	v_mov_b32_e32 v8, 0
	s_branch .LBB503_144
.LBB503_141:
	v_mov_b32_e32 v8, 0
                                        ; implicit-def: $vgpr10
	v_mov_b32_e32 v1, v8
	v_mov_b32_e32 v5, v3
	s_and_b32 s6, s31, 3
	s_cmp_eq_u32 s6, 0
	s_cbranch_scc1 .LBB503_144
.LBB503_142:
	s_lshl_b32 s2, s30, 3
	s_add_u32 s2, s34, s2
	s_addc_u32 s3, s35, 0
	s_add_u32 s2, s2, 0xc4
	s_addc_u32 s3, s3, 0
	s_mul_i32 s4, s30, 12
	s_add_u32 s4, s34, s4
	s_addc_u32 s5, s35, 0
.LBB503_143:                            ; =>This Inner Loop Header: Depth=1
	s_load_dwordx2 s[8:9], s[4:5], 0x4
	s_load_dword s7, s[4:5], 0xc
	s_load_dwordx2 s[10:11], s[2:3], 0x0
	v_mov_b32_e32 v10, v1
	s_add_u32 s4, s4, 12
	s_waitcnt lgkmcnt(0)
	v_mul_hi_u32 v1, s9, v5
	v_add_u32_e32 v1, v5, v1
	v_lshrrev_b32_e32 v1, s7, v1
	s_addc_u32 s5, s5, 0
	v_mul_lo_u32 v7, v1, s8
	s_add_u32 s2, s2, 8
	v_sub_u32_e32 v7, v5, v7
	s_addc_u32 s3, s3, 0
	s_add_i32 s6, s6, -1
	v_mad_u64_u32 v[10:11], s[8:9], v7, s11, v[10:11]
	s_cmp_lg_u32 s6, 0
	v_mov_b32_e32 v5, v1
	v_mad_u64_u32 v[8:9], s[8:9], v7, s10, v[8:9]
	v_mov_b32_e32 v1, v10
	s_cbranch_scc1 .LBB503_143
.LBB503_144:
	s_cbranch_execnz .LBB503_147
.LBB503_145:
	s_load_dwordx4 s[4:7], s[34:35], 0x4
	s_load_dwordx2 s[2:3], s[34:35], 0xc4
	s_cmp_lt_u32 s33, 2
	s_waitcnt lgkmcnt(0)
	v_mul_hi_u32 v1, s5, v3
	v_add_u32_e32 v1, v3, v1
	v_lshrrev_b32_e32 v1, s6, v1
	v_mul_lo_u32 v5, v1, s4
	v_sub_u32_e32 v3, v3, v5
	v_mul_lo_u32 v10, v3, s3
	v_mul_lo_u32 v8, v3, s2
	s_cbranch_scc1 .LBB503_147
; %bb.146:
	s_load_dwordx4 s[4:7], s[34:35], 0x10
	s_load_dwordx2 s[2:3], s[34:35], 0xcc
	s_waitcnt lgkmcnt(0)
	v_mul_hi_u32 v3, s5, v1
	v_add_u32_e32 v3, v1, v3
	v_lshrrev_b32_e32 v3, s6, v3
	v_mul_lo_u32 v3, v3, s4
	v_sub_u32_e32 v1, v1, v3
	v_mad_u64_u32 v[8:9], s[4:5], v1, s2, v[8:9]
	v_mad_u64_u32 v[10:11], s[2:3], v1, s3, v[10:11]
.LBB503_147:
	s_and_b64 vcc, exec, s[0:1]
	s_cbranch_vccnz .LBB503_153
; %bb.148:
	s_cmp_lg_u32 s33, 0
	s_mov_b32 s28, 0
	s_cbranch_scc0 .LBB503_154
; %bb.149:
	s_min_u32 s29, s58, 15
	s_add_i32 s29, s29, 1
	s_cmp_eq_u32 s58, 2
	s_cbranch_scc1 .LBB503_155
; %bb.150:
	s_and_b32 s28, s29, 28
	s_add_u32 s20, s34, 0xc4
	s_addc_u32 s21, s35, 0
	s_mov_b32 s30, 0
	v_mov_b32_e32 v12, 0
	v_mov_b32_e32 v14, 0
	s_mov_b64 s[22:23], s[34:35]
	v_mov_b32_e32 v3, v16
.LBB503_151:                            ; =>This Inner Loop Header: Depth=1
	s_load_dwordx8 s[8:15], s[22:23], 0x4
	s_load_dwordx4 s[16:19], s[22:23], 0x24
	s_load_dwordx8 s[0:7], s[20:21], 0x0
	s_add_u32 s22, s22, 48
	s_addc_u32 s23, s23, 0
	s_waitcnt lgkmcnt(0)
	v_mul_hi_u32 v1, s9, v3
	v_add_u32_e32 v1, v3, v1
	v_lshrrev_b32_e32 v1, s10, v1
	v_mul_lo_u32 v5, v1, s8
	v_mul_hi_u32 v7, s12, v1
	v_sub_u32_e32 v3, v3, v5
	v_add_u32_e32 v5, v1, v7
	v_lshrrev_b32_e32 v5, s13, v5
	v_mul_lo_u32 v9, v5, s11
	v_mul_hi_u32 v11, s15, v5
	v_sub_u32_e32 v1, v1, v9
	v_add_u32_e32 v9, v5, v11
	v_mul_lo_u32 v7, v3, s1
	v_mul_lo_u32 v3, v3, s0
	;; [unrolled: 1-line block ×4, first 2 shown]
	v_lshrrev_b32_e32 v9, s16, v9
	v_add3_u32 v1, v3, v12, v1
	v_add3_u32 v7, v7, v14, v11
	v_mul_lo_u32 v3, v9, s14
	v_mul_hi_u32 v11, s18, v9
	v_sub_u32_e32 v3, v5, v3
	v_add_u32_e32 v5, v9, v11
	v_mul_lo_u32 v11, v3, s4
	v_mul_lo_u32 v12, v3, s5
	v_lshrrev_b32_e32 v3, s19, v5
	s_add_i32 s30, s30, 4
	v_mul_lo_u32 v5, v3, s17
	s_add_u32 s20, s20, 32
	v_sub_u32_e32 v5, v9, v5
	s_addc_u32 s21, s21, 0
	v_mul_lo_u32 v9, v5, s6
	v_mul_lo_u32 v5, v5, s7
	s_cmp_lg_u32 s28, s30
	v_add3_u32 v14, v12, v7, v5
	v_add3_u32 v12, v11, v1, v9
	s_cbranch_scc1 .LBB503_151
; %bb.152:
	v_mov_b32_e32 v1, v14
	s_and_b32 s4, s29, 3
	s_cmp_eq_u32 s4, 0
	s_cbranch_scc0 .LBB503_156
	s_branch .LBB503_158
.LBB503_153:
                                        ; implicit-def: $vgpr14
                                        ; implicit-def: $vgpr12
	s_branch .LBB503_159
.LBB503_154:
	v_mov_b32_e32 v14, 0
	v_mov_b32_e32 v12, 0
	s_branch .LBB503_158
.LBB503_155:
	v_mov_b32_e32 v12, 0
                                        ; implicit-def: $vgpr14
	v_mov_b32_e32 v1, v12
	v_mov_b32_e32 v3, v16
	s_and_b32 s4, s29, 3
	s_cmp_eq_u32 s4, 0
	s_cbranch_scc1 .LBB503_158
.LBB503_156:
	s_lshl_b32 s0, s28, 3
	s_add_u32 s0, s34, s0
	s_addc_u32 s1, s35, 0
	s_add_u32 s0, s0, 0xc4
	s_addc_u32 s1, s1, 0
	s_mul_i32 s2, s28, 12
	s_add_u32 s2, s34, s2
	s_addc_u32 s3, s35, 0
.LBB503_157:                            ; =>This Inner Loop Header: Depth=1
	s_load_dwordx2 s[6:7], s[2:3], 0x4
	s_load_dword s5, s[2:3], 0xc
	s_load_dwordx2 s[8:9], s[0:1], 0x0
	v_mov_b32_e32 v14, v1
	s_add_u32 s2, s2, 12
	s_waitcnt lgkmcnt(0)
	v_mul_hi_u32 v1, s7, v3
	v_add_u32_e32 v1, v3, v1
	v_lshrrev_b32_e32 v1, s5, v1
	s_addc_u32 s3, s3, 0
	v_mul_lo_u32 v5, v1, s6
	s_add_u32 s0, s0, 8
	v_sub_u32_e32 v5, v3, v5
	s_addc_u32 s1, s1, 0
	s_add_i32 s4, s4, -1
	v_mad_u64_u32 v[14:15], s[6:7], v5, s9, v[14:15]
	s_cmp_lg_u32 s4, 0
	v_mov_b32_e32 v3, v1
	v_mad_u64_u32 v[12:13], s[6:7], v5, s8, v[12:13]
	v_mov_b32_e32 v1, v14
	s_cbranch_scc1 .LBB503_157
.LBB503_158:
	s_cbranch_execnz .LBB503_161
.LBB503_159:
	s_load_dwordx4 s[0:3], s[34:35], 0x4
	s_load_dwordx2 s[4:5], s[34:35], 0xc4
	s_cmp_lt_u32 s33, 2
	s_waitcnt lgkmcnt(0)
	v_mul_hi_u32 v1, s1, v16
	v_add_u32_e32 v1, v16, v1
	v_lshrrev_b32_e32 v1, s2, v1
	v_mul_lo_u32 v3, v1, s0
	v_sub_u32_e32 v3, v16, v3
	v_mul_lo_u32 v14, v3, s5
	v_mul_lo_u32 v12, v3, s4
	s_cbranch_scc1 .LBB503_161
; %bb.160:
	s_load_dwordx4 s[0:3], s[34:35], 0x10
	s_load_dwordx2 s[4:5], s[34:35], 0xcc
	s_waitcnt lgkmcnt(0)
	v_mul_hi_u32 v3, s1, v1
	v_add_u32_e32 v3, v1, v3
	v_lshrrev_b32_e32 v3, s2, v3
	v_mul_lo_u32 v3, v3, s0
	v_sub_u32_e32 v1, v1, v3
	v_mad_u64_u32 v[12:13], s[0:1], v1, s4, v[12:13]
	v_mad_u64_u32 v[14:15], s[0:1], v1, s5, v[14:15]
.LBB503_161:
	s_load_dwordx8 s[0:7], s[34:35], 0x148
	s_waitcnt lgkmcnt(0)
	global_load_dwordx2 v[16:17], v4, s[2:3]
	v_mov_b32_e32 v4, s4
	s_waitcnt vmcnt(0)
	v_cmp_o_f32_e32 vcc, v16, v16
	s_and_saveexec_b64 s[8:9], vcc
	s_cbranch_execz .LBB503_165
; %bb.162:
	s_mov_b32 s7, 0x7f800000
	v_cmp_neq_f32_e32 vcc, s7, v16
	v_mov_b32_e32 v4, s5
	s_and_saveexec_b64 s[10:11], vcc
; %bb.163:
	s_mov_b32 s7, 0xff800000
	v_mov_b32_e32 v1, s6
	v_cmp_eq_f32_e32 vcc, s7, v16
	s_nop 1
	v_cndmask_b32_e32 v4, v16, v1, vcc
; %bb.164:
	s_or_b64 exec, exec, s[10:11]
.LBB503_165:
	s_or_b64 exec, exec, s[8:9]
	v_cmp_o_f32_e32 vcc, v17, v17
	v_mov_b32_e32 v5, s4
	s_and_saveexec_b64 s[8:9], vcc
	s_cbranch_execz .LBB503_169
; %bb.166:
	s_mov_b32 s7, 0x7f800000
	v_cmp_neq_f32_e32 vcc, s7, v17
	v_mov_b32_e32 v5, s5
	s_and_saveexec_b64 s[10:11], vcc
; %bb.167:
	s_mov_b32 s7, 0xff800000
	v_mov_b32_e32 v1, s6
	v_cmp_eq_f32_e32 vcc, s7, v17
	s_nop 1
	v_cndmask_b32_e32 v5, v17, v1, vcc
; %bb.168:
	s_or_b64 exec, exec, s[10:11]
.LBB503_169:
	s_or_b64 exec, exec, s[8:9]
	global_load_dwordx2 v[16:17], v6, s[2:3]
	v_mov_b32_e32 v6, s4
	s_waitcnt vmcnt(0)
	v_cmp_o_f32_e32 vcc, v16, v16
	s_and_saveexec_b64 s[8:9], vcc
	s_cbranch_execz .LBB503_173
; %bb.170:
	s_mov_b32 s7, 0x7f800000
	v_cmp_neq_f32_e32 vcc, s7, v16
	v_mov_b32_e32 v6, s5
	s_and_saveexec_b64 s[10:11], vcc
; %bb.171:
	s_mov_b32 s7, 0xff800000
	v_mov_b32_e32 v1, s6
	v_cmp_eq_f32_e32 vcc, s7, v16
	s_nop 1
	v_cndmask_b32_e32 v6, v16, v1, vcc
; %bb.172:
	s_or_b64 exec, exec, s[10:11]
.LBB503_173:
	s_or_b64 exec, exec, s[8:9]
	v_cmp_o_f32_e32 vcc, v17, v17
	v_mov_b32_e32 v7, s4
	s_and_saveexec_b64 s[8:9], vcc
	s_cbranch_execz .LBB503_177
; %bb.174:
	s_mov_b32 s7, 0x7f800000
	v_cmp_neq_f32_e32 vcc, s7, v17
	v_mov_b32_e32 v7, s5
	s_and_saveexec_b64 s[10:11], vcc
; %bb.175:
	s_mov_b32 s7, 0xff800000
	v_mov_b32_e32 v1, s6
	v_cmp_eq_f32_e32 vcc, s7, v17
	s_nop 1
	v_cndmask_b32_e32 v7, v17, v1, vcc
; %bb.176:
	s_or_b64 exec, exec, s[10:11]
.LBB503_177:
	s_or_b64 exec, exec, s[8:9]
	;; [unrolled: 40-line block ×4, first 2 shown]
	v_mov_b32_e32 v13, 0
	v_lshl_add_u64 v[14:15], s[0:1], 0, v[12:13]
	s_or_b64 s[24:25], s[24:25], exec
	global_store_dwordx2 v0, v[4:5], s[0:1]
	global_store_dwordx2 v2, v[6:7], s[0:1]
	;; [unrolled: 1-line block ×3, first 2 shown]
	global_store_dword v12, v1, s[0:1]
	s_or_b64 exec, exec, s[26:27]
	s_and_saveexec_b64 s[0:1], s[24:25]
	s_cbranch_execz .LBB503_3
.LBB503_194:
	global_store_dword v[14:15], v9, off offset:4
	s_endpgm
	.section	.rodata,"a",@progbits
	.p2align	6, 0x0
	.amdhsa_kernel _ZN2at6native32elementwise_kernel_manual_unrollILi128ELi4EZNS0_22gpu_kernel_impl_nocastIZZZNS0_22nan_to_num_kernel_cudaERNS_18TensorIteratorBaseESt8optionalIdES6_S6_ENKUlvE_clEvENKUlvE0_clEvEUlN3c107complexIfEEE_EEvS4_RKT_EUlibE_EEviT1_
		.amdhsa_group_segment_fixed_size 0
		.amdhsa_private_segment_fixed_size 0
		.amdhsa_kernarg_size 368
		.amdhsa_user_sgpr_count 2
		.amdhsa_user_sgpr_dispatch_ptr 0
		.amdhsa_user_sgpr_queue_ptr 0
		.amdhsa_user_sgpr_kernarg_segment_ptr 1
		.amdhsa_user_sgpr_dispatch_id 0
		.amdhsa_user_sgpr_kernarg_preload_length 0
		.amdhsa_user_sgpr_kernarg_preload_offset 0
		.amdhsa_user_sgpr_private_segment_size 0
		.amdhsa_uses_dynamic_stack 0
		.amdhsa_enable_private_segment 0
		.amdhsa_system_sgpr_workgroup_id_x 1
		.amdhsa_system_sgpr_workgroup_id_y 0
		.amdhsa_system_sgpr_workgroup_id_z 0
		.amdhsa_system_sgpr_workgroup_info 0
		.amdhsa_system_vgpr_workitem_id 0
		.amdhsa_next_free_vgpr 18
		.amdhsa_next_free_sgpr 63
		.amdhsa_accum_offset 20
		.amdhsa_reserve_vcc 1
		.amdhsa_float_round_mode_32 0
		.amdhsa_float_round_mode_16_64 0
		.amdhsa_float_denorm_mode_32 3
		.amdhsa_float_denorm_mode_16_64 3
		.amdhsa_dx10_clamp 1
		.amdhsa_ieee_mode 1
		.amdhsa_fp16_overflow 0
		.amdhsa_tg_split 0
		.amdhsa_exception_fp_ieee_invalid_op 0
		.amdhsa_exception_fp_denorm_src 0
		.amdhsa_exception_fp_ieee_div_zero 0
		.amdhsa_exception_fp_ieee_overflow 0
		.amdhsa_exception_fp_ieee_underflow 0
		.amdhsa_exception_fp_ieee_inexact 0
		.amdhsa_exception_int_div_zero 0
	.end_amdhsa_kernel
	.section	.text._ZN2at6native32elementwise_kernel_manual_unrollILi128ELi4EZNS0_22gpu_kernel_impl_nocastIZZZNS0_22nan_to_num_kernel_cudaERNS_18TensorIteratorBaseESt8optionalIdES6_S6_ENKUlvE_clEvENKUlvE0_clEvEUlN3c107complexIfEEE_EEvS4_RKT_EUlibE_EEviT1_,"axG",@progbits,_ZN2at6native32elementwise_kernel_manual_unrollILi128ELi4EZNS0_22gpu_kernel_impl_nocastIZZZNS0_22nan_to_num_kernel_cudaERNS_18TensorIteratorBaseESt8optionalIdES6_S6_ENKUlvE_clEvENKUlvE0_clEvEUlN3c107complexIfEEE_EEvS4_RKT_EUlibE_EEviT1_,comdat
.Lfunc_end503:
	.size	_ZN2at6native32elementwise_kernel_manual_unrollILi128ELi4EZNS0_22gpu_kernel_impl_nocastIZZZNS0_22nan_to_num_kernel_cudaERNS_18TensorIteratorBaseESt8optionalIdES6_S6_ENKUlvE_clEvENKUlvE0_clEvEUlN3c107complexIfEEE_EEvS4_RKT_EUlibE_EEviT1_, .Lfunc_end503-_ZN2at6native32elementwise_kernel_manual_unrollILi128ELi4EZNS0_22gpu_kernel_impl_nocastIZZZNS0_22nan_to_num_kernel_cudaERNS_18TensorIteratorBaseESt8optionalIdES6_S6_ENKUlvE_clEvENKUlvE0_clEvEUlN3c107complexIfEEE_EEvS4_RKT_EUlibE_EEviT1_
                                        ; -- End function
	.set _ZN2at6native32elementwise_kernel_manual_unrollILi128ELi4EZNS0_22gpu_kernel_impl_nocastIZZZNS0_22nan_to_num_kernel_cudaERNS_18TensorIteratorBaseESt8optionalIdES6_S6_ENKUlvE_clEvENKUlvE0_clEvEUlN3c107complexIfEEE_EEvS4_RKT_EUlibE_EEviT1_.num_vgpr, 18
	.set _ZN2at6native32elementwise_kernel_manual_unrollILi128ELi4EZNS0_22gpu_kernel_impl_nocastIZZZNS0_22nan_to_num_kernel_cudaERNS_18TensorIteratorBaseESt8optionalIdES6_S6_ENKUlvE_clEvENKUlvE0_clEvEUlN3c107complexIfEEE_EEvS4_RKT_EUlibE_EEviT1_.num_agpr, 0
	.set _ZN2at6native32elementwise_kernel_manual_unrollILi128ELi4EZNS0_22gpu_kernel_impl_nocastIZZZNS0_22nan_to_num_kernel_cudaERNS_18TensorIteratorBaseESt8optionalIdES6_S6_ENKUlvE_clEvENKUlvE0_clEvEUlN3c107complexIfEEE_EEvS4_RKT_EUlibE_EEviT1_.numbered_sgpr, 63
	.set _ZN2at6native32elementwise_kernel_manual_unrollILi128ELi4EZNS0_22gpu_kernel_impl_nocastIZZZNS0_22nan_to_num_kernel_cudaERNS_18TensorIteratorBaseESt8optionalIdES6_S6_ENKUlvE_clEvENKUlvE0_clEvEUlN3c107complexIfEEE_EEvS4_RKT_EUlibE_EEviT1_.num_named_barrier, 0
	.set _ZN2at6native32elementwise_kernel_manual_unrollILi128ELi4EZNS0_22gpu_kernel_impl_nocastIZZZNS0_22nan_to_num_kernel_cudaERNS_18TensorIteratorBaseESt8optionalIdES6_S6_ENKUlvE_clEvENKUlvE0_clEvEUlN3c107complexIfEEE_EEvS4_RKT_EUlibE_EEviT1_.private_seg_size, 0
	.set _ZN2at6native32elementwise_kernel_manual_unrollILi128ELi4EZNS0_22gpu_kernel_impl_nocastIZZZNS0_22nan_to_num_kernel_cudaERNS_18TensorIteratorBaseESt8optionalIdES6_S6_ENKUlvE_clEvENKUlvE0_clEvEUlN3c107complexIfEEE_EEvS4_RKT_EUlibE_EEviT1_.uses_vcc, 1
	.set _ZN2at6native32elementwise_kernel_manual_unrollILi128ELi4EZNS0_22gpu_kernel_impl_nocastIZZZNS0_22nan_to_num_kernel_cudaERNS_18TensorIteratorBaseESt8optionalIdES6_S6_ENKUlvE_clEvENKUlvE0_clEvEUlN3c107complexIfEEE_EEvS4_RKT_EUlibE_EEviT1_.uses_flat_scratch, 0
	.set _ZN2at6native32elementwise_kernel_manual_unrollILi128ELi4EZNS0_22gpu_kernel_impl_nocastIZZZNS0_22nan_to_num_kernel_cudaERNS_18TensorIteratorBaseESt8optionalIdES6_S6_ENKUlvE_clEvENKUlvE0_clEvEUlN3c107complexIfEEE_EEvS4_RKT_EUlibE_EEviT1_.has_dyn_sized_stack, 0
	.set _ZN2at6native32elementwise_kernel_manual_unrollILi128ELi4EZNS0_22gpu_kernel_impl_nocastIZZZNS0_22nan_to_num_kernel_cudaERNS_18TensorIteratorBaseESt8optionalIdES6_S6_ENKUlvE_clEvENKUlvE0_clEvEUlN3c107complexIfEEE_EEvS4_RKT_EUlibE_EEviT1_.has_recursion, 0
	.set _ZN2at6native32elementwise_kernel_manual_unrollILi128ELi4EZNS0_22gpu_kernel_impl_nocastIZZZNS0_22nan_to_num_kernel_cudaERNS_18TensorIteratorBaseESt8optionalIdES6_S6_ENKUlvE_clEvENKUlvE0_clEvEUlN3c107complexIfEEE_EEvS4_RKT_EUlibE_EEviT1_.has_indirect_call, 0
	.section	.AMDGPU.csdata,"",@progbits
; Kernel info:
; codeLenInByte = 6868
; TotalNumSgprs: 69
; NumVgprs: 18
; NumAgprs: 0
; TotalNumVgprs: 18
; ScratchSize: 0
; MemoryBound: 0
; FloatMode: 240
; IeeeMode: 1
; LDSByteSize: 0 bytes/workgroup (compile time only)
; SGPRBlocks: 8
; VGPRBlocks: 2
; NumSGPRsForWavesPerEU: 69
; NumVGPRsForWavesPerEU: 18
; AccumOffset: 20
; Occupancy: 8
; WaveLimiterHint : 1
; COMPUTE_PGM_RSRC2:SCRATCH_EN: 0
; COMPUTE_PGM_RSRC2:USER_SGPR: 2
; COMPUTE_PGM_RSRC2:TRAP_HANDLER: 0
; COMPUTE_PGM_RSRC2:TGID_X_EN: 1
; COMPUTE_PGM_RSRC2:TGID_Y_EN: 0
; COMPUTE_PGM_RSRC2:TGID_Z_EN: 0
; COMPUTE_PGM_RSRC2:TIDIG_COMP_CNT: 0
; COMPUTE_PGM_RSRC3_GFX90A:ACCUM_OFFSET: 4
; COMPUTE_PGM_RSRC3_GFX90A:TG_SPLIT: 0
	.section	.text._ZN2at6native32elementwise_kernel_manual_unrollILi128ELi4EZNS0_15gpu_kernel_implIZZZNS0_22nan_to_num_kernel_cudaERNS_18TensorIteratorBaseESt8optionalIdES6_S6_ENKUlvE_clEvENKUlvE0_clEvEUlN3c107complexIfEEE_EEvS4_RKT_EUlibE_EEviT1_,"axG",@progbits,_ZN2at6native32elementwise_kernel_manual_unrollILi128ELi4EZNS0_15gpu_kernel_implIZZZNS0_22nan_to_num_kernel_cudaERNS_18TensorIteratorBaseESt8optionalIdES6_S6_ENKUlvE_clEvENKUlvE0_clEvEUlN3c107complexIfEEE_EEvS4_RKT_EUlibE_EEviT1_,comdat
	.globl	_ZN2at6native32elementwise_kernel_manual_unrollILi128ELi4EZNS0_15gpu_kernel_implIZZZNS0_22nan_to_num_kernel_cudaERNS_18TensorIteratorBaseESt8optionalIdES6_S6_ENKUlvE_clEvENKUlvE0_clEvEUlN3c107complexIfEEE_EEvS4_RKT_EUlibE_EEviT1_ ; -- Begin function _ZN2at6native32elementwise_kernel_manual_unrollILi128ELi4EZNS0_15gpu_kernel_implIZZZNS0_22nan_to_num_kernel_cudaERNS_18TensorIteratorBaseESt8optionalIdES6_S6_ENKUlvE_clEvENKUlvE0_clEvEUlN3c107complexIfEEE_EEvS4_RKT_EUlibE_EEviT1_
	.p2align	8
	.type	_ZN2at6native32elementwise_kernel_manual_unrollILi128ELi4EZNS0_15gpu_kernel_implIZZZNS0_22nan_to_num_kernel_cudaERNS_18TensorIteratorBaseESt8optionalIdES6_S6_ENKUlvE_clEvENKUlvE0_clEvEUlN3c107complexIfEEE_EEvS4_RKT_EUlibE_EEviT1_,@function
_ZN2at6native32elementwise_kernel_manual_unrollILi128ELi4EZNS0_15gpu_kernel_implIZZZNS0_22nan_to_num_kernel_cudaERNS_18TensorIteratorBaseESt8optionalIdES6_S6_ENKUlvE_clEvENKUlvE0_clEvEUlN3c107complexIfEEE_EEvS4_RKT_EUlibE_EEviT1_: ; @_ZN2at6native32elementwise_kernel_manual_unrollILi128ELi4EZNS0_15gpu_kernel_implIZZZNS0_22nan_to_num_kernel_cudaERNS_18TensorIteratorBaseESt8optionalIdES6_S6_ENKUlvE_clEvENKUlvE0_clEvEUlN3c107complexIfEEE_EEvS4_RKT_EUlibE_EEviT1_
; %bb.0:
	s_load_dwordx2 s[12:13], s[0:1], 0x28
	s_load_dword s42, s[0:1], 0x0
	s_load_dwordx8 s[4:11], s[0:1], 0x8
	v_lshl_or_b32 v10, s2, 9, v0
	v_or_b32_e32 v0, 0x180, v10
	s_waitcnt lgkmcnt(0)
	s_bfe_u32 s33, s13, 0x80008
	v_cmp_le_i32_e32 vcc, s42, v0
	s_mov_b64 s[2:3], 0
	s_mov_b64 s[16:17], 0
	s_and_saveexec_b64 s[0:1], vcc
	s_xor_b64 s[14:15], exec, s[0:1]
	s_cbranch_execz .LBB504_1078
; %bb.1:
	v_cmp_gt_i32_e32 vcc, s42, v10
	s_mov_b64 s[22:23], -1
	s_mov_b64 s[24:25], 0
	s_mov_b64 s[18:19], 0
	s_and_saveexec_b64 s[20:21], vcc
	s_cbranch_execz .LBB504_264
; %bb.2:
	v_mul_lo_u32 v0, v10, s9
	v_ashrrev_i32_e32 v1, 31, v0
	s_and_b32 s26, 0xffff, s33
	s_cmp_lt_i32 s26, 11
	v_lshl_add_u64 v[0:1], s[6:7], 0, v[0:1]
	s_cbranch_scc1 .LBB504_9
; %bb.3:
	s_cmp_gt_i32 s26, 25
	s_cbranch_scc0 .LBB504_26
; %bb.4:
	s_cmp_gt_i32 s26, 28
	s_cbranch_scc0 .LBB504_30
; %bb.5:
	s_cmp_gt_i32 s26, 43
	s_cbranch_scc0 .LBB504_32
; %bb.6:
	s_cmp_gt_i32 s26, 45
	s_cbranch_scc0 .LBB504_34
; %bb.7:
	s_cmp_eq_u32 s26, 46
	s_cbranch_scc0 .LBB504_36
; %bb.8:
	global_load_dword v2, v[0:1], off
	s_mov_b64 s[0:1], -1
	s_waitcnt vmcnt(0)
	v_and_b32_e32 v3, 0xffff0000, v2
	v_lshlrev_b32_e32 v2, 16, v2
	s_branch .LBB504_38
.LBB504_9:
                                        ; implicit-def: $vgpr3
	s_mov_b64 s[0:1], 0
	s_cbranch_execnz .LBB504_213
.LBB504_10:
	s_andn2_b64 vcc, exec, s[0:1]
	s_cbranch_vccnz .LBB504_262
.LBB504_11:
	s_waitcnt vmcnt(0)
	v_cmp_o_f32_e32 vcc, v2, v2
	v_mov_b32_e32 v0, s10
	s_and_saveexec_b64 s[0:1], vcc
	s_cbranch_execz .LBB504_15
; %bb.12:
	s_mov_b32 s16, 0x7f800000
	v_cmp_neq_f32_e32 vcc, s16, v2
	v_mov_b32_e32 v0, s11
	s_and_saveexec_b64 s[16:17], vcc
; %bb.13:
	s_mov_b32 s22, 0xff800000
	v_mov_b32_e32 v0, s12
	v_cmp_eq_f32_e32 vcc, s22, v2
	s_nop 1
	v_cndmask_b32_e32 v0, v2, v0, vcc
; %bb.14:
	s_or_b64 exec, exec, s[16:17]
.LBB504_15:
	s_or_b64 exec, exec, s[0:1]
	v_cmp_o_f32_e32 vcc, v3, v3
	v_mov_b32_e32 v1, s10
	s_and_saveexec_b64 s[0:1], vcc
	s_cbranch_execz .LBB504_19
; %bb.16:
	s_mov_b32 s16, 0x7f800000
	v_cmp_neq_f32_e32 vcc, s16, v3
	v_mov_b32_e32 v1, s11
	s_and_saveexec_b64 s[16:17], vcc
; %bb.17:
	s_mov_b32 s22, 0xff800000
	v_mov_b32_e32 v1, s12
	v_cmp_eq_f32_e32 vcc, s22, v3
	s_nop 1
	v_cndmask_b32_e32 v1, v3, v1, vcc
; %bb.18:
	s_or_b64 exec, exec, s[16:17]
.LBB504_19:
	s_or_b64 exec, exec, s[0:1]
	v_mul_lo_u32 v2, v10, s8
	v_ashrrev_i32_e32 v3, 31, v2
	s_and_b32 s28, s13, 0xff
	s_cmp_lt_i32 s28, 11
	v_lshl_add_u64 v[2:3], s[4:5], 0, v[2:3]
	s_cbranch_scc1 .LBB504_27
; %bb.20:
	s_and_b32 s29, 0xffff, s28
	s_cmp_gt_i32 s29, 25
	s_cbranch_scc0 .LBB504_31
; %bb.21:
	s_cmp_gt_i32 s29, 28
	s_cbranch_scc0 .LBB504_33
; %bb.22:
	;; [unrolled: 3-line block ×4, first 2 shown]
	s_mov_b64 s[22:23], 0
	s_mov_b64 s[0:1], -1
	s_cmp_eq_u32 s29, 46
	s_mov_b64 s[16:17], 0
	s_cbranch_scc0 .LBB504_42
; %bb.25:
	s_movk_i32 s0, 0x7fff
	v_bfe_u32 v5, v1, 16, 1
	v_add3_u32 v5, v1, v5, s0
	v_bfe_u32 v4, v0, 16, 1
	v_and_b32_e32 v5, 0xffff0000, v5
	v_mov_b32_e32 v6, 0x7fc00000
	v_cmp_o_f32_e32 vcc, v1, v1
	v_add3_u32 v4, v0, v4, s0
	s_mov_b64 s[16:17], -1
	v_cndmask_b32_e32 v5, v6, v5, vcc
	v_cmp_o_f32_e32 vcc, v0, v0
	v_mov_b32_e32 v6, 0x7fc0
	s_mov_b64 s[0:1], 0
	v_cndmask_b32_sdwa v4, v6, v4, vcc dst_sel:DWORD dst_unused:UNUSED_PAD src0_sel:DWORD src1_sel:WORD_1
	v_or_b32_e32 v4, v5, v4
	global_store_dword v[2:3], v4, off
	s_branch .LBB504_42
.LBB504_26:
	s_mov_b64 s[0:1], 0
                                        ; implicit-def: $vgpr3
	s_cbranch_execnz .LBB504_178
	s_branch .LBB504_212
.LBB504_27:
	s_mov_b64 s[0:1], 0
	s_mov_b64 s[16:17], 0
	s_cbranch_execnz .LBB504_111
.LBB504_28:
	s_andn2_b64 vcc, exec, s[16:17]
	s_cbranch_vccnz .LBB504_149
.LBB504_29:
	v_add_u32_e32 v10, 0x80, v10
	s_mov_b64 s[22:23], -1
	s_branch .LBB504_263
.LBB504_30:
	s_mov_b64 s[16:17], -1
	s_mov_b64 s[0:1], 0
                                        ; implicit-def: $vgpr3
	s_branch .LBB504_159
.LBB504_31:
	s_mov_b64 s[22:23], -1
	s_mov_b64 s[0:1], 0
	s_mov_b64 s[16:17], 0
	s_branch .LBB504_69
.LBB504_32:
	s_mov_b64 s[16:17], -1
	s_mov_b64 s[0:1], 0
                                        ; implicit-def: $vgpr3
	s_branch .LBB504_153
.LBB504_33:
	s_mov_b64 s[22:23], -1
	s_mov_b64 s[0:1], 0
	s_mov_b64 s[16:17], 0
	s_branch .LBB504_52
.LBB504_34:
	s_mov_b64 s[16:17], -1
	s_branch .LBB504_37
.LBB504_35:
	s_mov_b64 s[22:23], -1
	s_mov_b64 s[0:1], 0
	s_mov_b64 s[16:17], 0
	s_branch .LBB504_48
.LBB504_36:
	s_mov_b64 s[18:19], -1
.LBB504_37:
	s_mov_b64 s[0:1], 0
                                        ; implicit-def: $vgpr3
.LBB504_38:
	s_and_b64 vcc, exec, s[16:17]
	s_cbranch_vccz .LBB504_152
; %bb.39:
	s_cmp_eq_u32 s26, 44
	s_cbranch_scc0 .LBB504_150
; %bb.40:
	global_load_ubyte v2, v[0:1], off
	s_movk_i32 s16, 0xff
	v_mov_b32_e32 v3, 0x7f800001
	v_mov_b32_e32 v4, 0x400000
	s_mov_b64 s[0:1], -1
	s_mov_b64 s[18:19], 0
	s_waitcnt vmcnt(0)
	v_lshlrev_b32_e32 v5, 23, v2
	v_cmp_ne_u32_e32 vcc, s16, v2
	s_nop 1
	v_cndmask_b32_e32 v3, v3, v5, vcc
	v_cmp_ne_u32_e32 vcc, 0, v2
	s_nop 1
	v_cndmask_b32_e32 v2, v4, v3, vcc
	s_branch .LBB504_151
.LBB504_41:
	s_mov_b64 s[22:23], -1
	s_mov_b64 s[0:1], 0
	s_mov_b64 s[16:17], 0
.LBB504_42:
	s_and_b64 vcc, exec, s[22:23]
	s_cbranch_vccz .LBB504_47
; %bb.43:
	s_cmp_eq_u32 s29, 44
	s_mov_b64 s[0:1], -1
	s_cbranch_scc0 .LBB504_47
; %bb.44:
	v_bfe_u32 v4, v0, 23, 8
	s_movk_i32 s0, 0xff
	v_cmp_ne_u32_e32 vcc, s0, v4
	v_mov_b32_e32 v5, 0xff
	s_and_saveexec_b64 s[16:17], vcc
; %bb.45:
	s_mov_b32 s0, 0x3fffff
	v_and_b32_e32 v6, 0x400000, v0
	v_and_or_b32 v4, v0, s0, v4
	v_cmp_ne_u32_e32 vcc, 0, v6
	v_cmp_ne_u32_e64 s[0:1], 0, v4
	s_and_b64 s[0:1], vcc, s[0:1]
	v_lshrrev_b32_e32 v5, 23, v0
	v_cndmask_b32_e64 v4, 0, 1, s[0:1]
	v_add_u32_e32 v5, v5, v4
; %bb.46:
	s_or_b64 exec, exec, s[16:17]
	s_mov_b64 s[16:17], -1
	s_mov_b64 s[0:1], 0
	global_store_byte v[2:3], v5, off
.LBB504_47:
	s_mov_b64 s[22:23], 0
.LBB504_48:
	s_and_b64 vcc, exec, s[22:23]
	s_cbranch_vccz .LBB504_51
; %bb.49:
	s_cmp_eq_u32 s29, 29
	s_mov_b64 s[0:1], -1
	s_cbranch_scc0 .LBB504_51
; %bb.50:
	v_trunc_f32_e32 v4, v0
	v_mul_f32_e32 v5, 0x2f800000, v4
	v_floor_f32_e32 v6, v5
	v_fmamk_f32 v4, v6, 0xcf800000, v4
	v_cvt_u32_f32_e32 v5, v6
	v_cvt_u32_f32_e32 v4, v4
	s_mov_b64 s[16:17], -1
	s_mov_b64 s[0:1], 0
	s_mov_b64 s[22:23], 0
	global_store_dwordx2 v[2:3], v[4:5], off
	s_branch .LBB504_52
.LBB504_51:
	s_mov_b64 s[22:23], 0
.LBB504_52:
	s_and_b64 vcc, exec, s[22:23]
	s_cbranch_vccz .LBB504_68
; %bb.53:
	s_cmp_lt_i32 s29, 27
	s_mov_b64 s[16:17], -1
	s_cbranch_scc1 .LBB504_59
; %bb.54:
	v_cvt_u32_f32_e32 v4, v0
	s_cmp_gt_i32 s29, 27
	s_cbranch_scc0 .LBB504_56
; %bb.55:
	s_mov_b64 s[16:17], 0
	global_store_dword v[2:3], v4, off
.LBB504_56:
	s_andn2_b64 vcc, exec, s[16:17]
	s_cbranch_vccnz .LBB504_58
; %bb.57:
	global_store_short v[2:3], v4, off
.LBB504_58:
	s_mov_b64 s[16:17], 0
.LBB504_59:
	s_andn2_b64 vcc, exec, s[16:17]
	s_cbranch_vccnz .LBB504_67
; %bb.60:
	v_and_b32_e32 v4, 0x7fffffff, v0
	s_mov_b32 s16, 0x43800000
	v_cmp_gt_u32_e32 vcc, s16, v4
	v_mov_b32_e32 v5, 0x80
	s_and_saveexec_b64 s[16:17], vcc
	s_cbranch_execz .LBB504_66
; %bb.61:
	s_mov_b32 s22, 0x3bffffff
	v_cmp_lt_u32_e32 vcc, s22, v4
	s_mov_b64 s[22:23], 0
                                        ; implicit-def: $vgpr4
	s_and_saveexec_b64 s[26:27], vcc
	s_xor_b64 s[26:27], exec, s[26:27]
	s_cbranch_execz .LBB504_299
; %bb.62:
	v_bfe_u32 v4, v0, 20, 1
	s_mov_b32 s30, 0x487ffff
	v_add3_u32 v4, v0, v4, s30
	s_mov_b64 s[22:23], exec
	v_lshrrev_b32_e32 v4, 20, v4
	s_andn2_saveexec_b64 s[26:27], s[26:27]
	s_cbranch_execnz .LBB504_300
.LBB504_63:
	s_or_b64 exec, exec, s[26:27]
	v_mov_b32_e32 v5, 0
	s_and_saveexec_b64 s[26:27], s[22:23]
.LBB504_64:
	v_lshrrev_b32_e32 v5, 24, v0
	s_movk_i32 s22, 0x80
	v_and_or_b32 v5, v5, s22, v4
.LBB504_65:
	s_or_b64 exec, exec, s[26:27]
.LBB504_66:
	s_or_b64 exec, exec, s[16:17]
	global_store_byte v[2:3], v5, off
.LBB504_67:
	s_mov_b64 s[16:17], -1
.LBB504_68:
	s_mov_b64 s[22:23], 0
.LBB504_69:
	s_and_b64 vcc, exec, s[22:23]
	s_cbranch_vccz .LBB504_110
; %bb.70:
	s_cmp_gt_i32 s29, 22
	s_mov_b64 s[22:23], -1
	s_cbranch_scc0 .LBB504_102
; %bb.71:
	s_cmp_lt_i32 s29, 24
	s_mov_b64 s[16:17], -1
	s_cbranch_scc1 .LBB504_91
; %bb.72:
	s_cmp_gt_i32 s29, 24
	s_cbranch_scc0 .LBB504_80
; %bb.73:
	v_and_b32_e32 v4, 0x7fffffff, v0
	s_mov_b32 s16, 0x47800000
	v_cmp_gt_u32_e32 vcc, s16, v4
	v_mov_b32_e32 v5, 0x80
	s_and_saveexec_b64 s[16:17], vcc
	s_cbranch_execz .LBB504_79
; %bb.74:
	s_mov_b32 s22, 0x37ffffff
	v_cmp_lt_u32_e32 vcc, s22, v4
	s_mov_b64 s[22:23], 0
                                        ; implicit-def: $vgpr4
	s_and_saveexec_b64 s[26:27], vcc
	s_xor_b64 s[26:27], exec, s[26:27]
	s_cbranch_execz .LBB504_303
; %bb.75:
	v_bfe_u32 v4, v0, 21, 1
	s_mov_b32 s30, 0x88fffff
	v_add3_u32 v4, v0, v4, s30
	s_mov_b64 s[22:23], exec
	v_lshrrev_b32_e32 v4, 21, v4
	s_andn2_saveexec_b64 s[26:27], s[26:27]
	s_cbranch_execnz .LBB504_304
.LBB504_76:
	s_or_b64 exec, exec, s[26:27]
	v_mov_b32_e32 v5, 0
	s_and_saveexec_b64 s[26:27], s[22:23]
.LBB504_77:
	v_lshrrev_b32_e32 v5, 24, v0
	s_movk_i32 s22, 0x80
	v_and_or_b32 v5, v5, s22, v4
.LBB504_78:
	s_or_b64 exec, exec, s[26:27]
.LBB504_79:
	s_or_b64 exec, exec, s[16:17]
	s_mov_b64 s[16:17], 0
	global_store_byte v[2:3], v5, off
.LBB504_80:
	s_and_b64 vcc, exec, s[16:17]
	s_cbranch_vccz .LBB504_90
; %bb.81:
	v_and_b32_e32 v5, 0x7fffffff, v0
	s_mov_b32 s16, 0x43f00000
	v_cmp_gt_u32_e32 vcc, s16, v5
                                        ; implicit-def: $vgpr4
	s_and_saveexec_b64 s[16:17], vcc
	s_xor_b64 s[16:17], exec, s[16:17]
	s_cbranch_execz .LBB504_87
; %bb.82:
	s_mov_b32 s22, 0x3c7fffff
	v_cmp_lt_u32_e32 vcc, s22, v5
                                        ; implicit-def: $vgpr4
	s_and_saveexec_b64 s[22:23], vcc
	s_xor_b64 s[22:23], exec, s[22:23]
; %bb.83:
	v_bfe_u32 v4, v0, 20, 1
	s_mov_b32 s26, 0x407ffff
	v_add3_u32 v4, v0, v4, s26
	v_lshrrev_b32_e32 v5, 20, v4
	v_and_b32_e32 v4, 0xff00000, v4
	s_mov_b32 s26, 0x7f00000
	v_mov_b32_e32 v6, 0x7e
	v_cmp_ne_u32_e32 vcc, s26, v4
	s_nop 1
	v_cndmask_b32_e32 v4, v6, v5, vcc
; %bb.84:
	s_andn2_saveexec_b64 s[22:23], s[22:23]
; %bb.85:
	s_mov_b32 s26, 0x46800000
	v_add_f32_e64 v4, |v0|, s26
; %bb.86:
	s_or_b64 exec, exec, s[22:23]
                                        ; implicit-def: $vgpr5
.LBB504_87:
	s_andn2_saveexec_b64 s[16:17], s[16:17]
; %bb.88:
	s_mov_b32 s22, 0x7f800000
	v_mov_b32_e32 v4, 0x7e
	v_mov_b32_e32 v6, 0x7f
	v_cmp_lt_u32_e32 vcc, s22, v5
	s_nop 1
	v_cndmask_b32_e32 v4, v4, v6, vcc
; %bb.89:
	s_or_b64 exec, exec, s[16:17]
	v_lshrrev_b32_e32 v5, 24, v0
	s_movk_i32 s16, 0x80
	v_and_or_b32 v4, v5, s16, v4
	global_store_byte v[2:3], v4, off
.LBB504_90:
	s_mov_b64 s[16:17], 0
.LBB504_91:
	s_andn2_b64 vcc, exec, s[16:17]
	s_cbranch_vccnz .LBB504_101
; %bb.92:
	v_and_b32_e32 v5, 0x7fffffff, v0
	s_mov_b32 s16, 0x47800000
	v_cmp_gt_u32_e32 vcc, s16, v5
                                        ; implicit-def: $vgpr4
	s_and_saveexec_b64 s[16:17], vcc
	s_xor_b64 s[16:17], exec, s[16:17]
	s_cbranch_execz .LBB504_98
; %bb.93:
	s_mov_b32 s22, 0x387fffff
	v_cmp_lt_u32_e32 vcc, s22, v5
                                        ; implicit-def: $vgpr4
	s_and_saveexec_b64 s[22:23], vcc
	s_xor_b64 s[22:23], exec, s[22:23]
; %bb.94:
	v_bfe_u32 v4, v0, 21, 1
	s_mov_b32 s26, 0x80fffff
	v_add3_u32 v4, v0, v4, s26
	v_lshrrev_b32_e32 v4, 21, v4
; %bb.95:
	s_andn2_saveexec_b64 s[22:23], s[22:23]
; %bb.96:
	s_mov_b32 s26, 0x43000000
	v_add_f32_e64 v4, |v0|, s26
; %bb.97:
	s_or_b64 exec, exec, s[22:23]
                                        ; implicit-def: $vgpr5
.LBB504_98:
	s_andn2_saveexec_b64 s[16:17], s[16:17]
; %bb.99:
	s_mov_b32 s22, 0x7f800000
	v_mov_b32_e32 v4, 0x7c
	v_mov_b32_e32 v6, 0x7f
	v_cmp_lt_u32_e32 vcc, s22, v5
	s_nop 1
	v_cndmask_b32_e32 v4, v4, v6, vcc
; %bb.100:
	s_or_b64 exec, exec, s[16:17]
	v_lshrrev_b32_e32 v5, 24, v0
	s_movk_i32 s16, 0x80
	v_and_or_b32 v4, v5, s16, v4
	global_store_byte v[2:3], v4, off
.LBB504_101:
	s_mov_b64 s[22:23], 0
	s_mov_b64 s[16:17], -1
.LBB504_102:
	s_andn2_b64 vcc, exec, s[22:23]
	s_cbranch_vccnz .LBB504_110
; %bb.103:
	s_cmp_gt_i32 s29, 14
	s_mov_b64 s[22:23], -1
	s_cbranch_scc0 .LBB504_107
; %bb.104:
	s_cmp_eq_u32 s29, 15
	s_mov_b64 s[0:1], -1
	s_cbranch_scc0 .LBB504_106
; %bb.105:
	v_bfe_u32 v4, v0, 16, 1
	s_movk_i32 s0, 0x7fff
	v_add3_u32 v4, v0, v4, s0
	v_cmp_o_f32_e32 vcc, v0, v0
	v_mov_b32_e32 v5, 0x7fc0
	s_mov_b64 s[16:17], -1
	v_cndmask_b32_sdwa v4, v5, v4, vcc dst_sel:DWORD dst_unused:UNUSED_PAD src0_sel:DWORD src1_sel:WORD_1
	global_store_short v[2:3], v4, off
	s_mov_b64 s[0:1], 0
.LBB504_106:
	s_mov_b64 s[22:23], 0
.LBB504_107:
	s_and_b64 vcc, exec, s[22:23]
	s_cbranch_vccz .LBB504_110
; %bb.108:
	s_cmp_eq_u32 s29, 11
	s_mov_b64 s[0:1], -1
	s_cbranch_scc0 .LBB504_110
; %bb.109:
	v_cmp_neq_f32_e32 vcc, 0, v0
	v_cmp_neq_f32_e64 s[0:1], 0, v1
	s_or_b64 s[0:1], vcc, s[0:1]
	s_mov_b64 s[16:17], -1
	v_cndmask_b32_e64 v4, 0, 1, s[0:1]
	s_mov_b64 s[0:1], 0
	global_store_byte v[2:3], v4, off
.LBB504_110:
	s_branch .LBB504_28
.LBB504_111:
	s_and_b32 s22, 0xffff, s28
	s_cmp_lt_i32 s22, 5
	s_mov_b64 s[16:17], -1
	s_cbranch_scc1 .LBB504_132
; %bb.112:
	s_cmp_lt_i32 s22, 8
	s_cbranch_scc1 .LBB504_122
; %bb.113:
	s_cmp_lt_i32 s22, 9
	s_cbranch_scc1 .LBB504_119
; %bb.114:
	s_cmp_gt_i32 s22, 9
	s_cbranch_scc0 .LBB504_116
; %bb.115:
	v_cvt_f64_f32_e32 v[4:5], v0
	v_cvt_f64_f32_e32 v[6:7], v1
	global_store_dwordx4 v[2:3], v[4:7], off
	s_mov_b64 s[16:17], 0
.LBB504_116:
	s_andn2_b64 vcc, exec, s[16:17]
	s_cbranch_vccnz .LBB504_118
; %bb.117:
	global_store_dwordx2 v[2:3], v[0:1], off
.LBB504_118:
	s_mov_b64 s[16:17], 0
.LBB504_119:
	s_andn2_b64 vcc, exec, s[16:17]
	s_cbranch_vccnz .LBB504_121
; %bb.120:
	v_cvt_f16_f32_e32 v4, v0
	v_cvt_f16_f32_sdwa v1, v1 dst_sel:WORD_1 dst_unused:UNUSED_PAD src0_sel:DWORD
	s_nop 0
	v_or_b32_e32 v1, v1, v4
	global_store_dword v[2:3], v1, off
.LBB504_121:
	s_mov_b64 s[16:17], 0
.LBB504_122:
	s_andn2_b64 vcc, exec, s[16:17]
	s_cbranch_vccnz .LBB504_131
; %bb.123:
	s_cmp_lt_i32 s22, 6
	s_mov_b64 s[16:17], -1
	s_cbranch_scc1 .LBB504_129
; %bb.124:
	s_cmp_gt_i32 s22, 6
	s_cbranch_scc0 .LBB504_126
; %bb.125:
	v_cvt_f64_f32_e32 v[4:5], v0
	global_store_dwordx2 v[2:3], v[4:5], off
	s_mov_b64 s[16:17], 0
.LBB504_126:
	s_andn2_b64 vcc, exec, s[16:17]
	s_cbranch_vccnz .LBB504_128
; %bb.127:
	global_store_dword v[2:3], v0, off
.LBB504_128:
	s_mov_b64 s[16:17], 0
.LBB504_129:
	s_andn2_b64 vcc, exec, s[16:17]
	s_cbranch_vccnz .LBB504_131
; %bb.130:
	v_cvt_f16_f32_e32 v1, v0
	global_store_short v[2:3], v1, off
.LBB504_131:
	s_mov_b64 s[16:17], 0
.LBB504_132:
	s_andn2_b64 vcc, exec, s[16:17]
	s_cbranch_vccnz .LBB504_148
; %bb.133:
	s_cmp_lt_i32 s22, 2
	s_mov_b64 s[16:17], -1
	s_cbranch_scc1 .LBB504_143
; %bb.134:
	s_cmp_lt_i32 s22, 3
	s_cbranch_scc1 .LBB504_140
; %bb.135:
	s_cmp_gt_i32 s22, 3
	s_cbranch_scc0 .LBB504_137
; %bb.136:
	v_trunc_f32_e32 v1, v0
	s_mov_b32 s16, 0x2f800000
	v_mul_f32_e64 v4, |v1|, s16
	v_floor_f32_e32 v4, v4
	s_mov_b32 s16, 0xcf800000
	v_cvt_u32_f32_e32 v5, v4
	v_fma_f32 v4, v4, s16, |v1|
	v_cvt_u32_f32_e32 v4, v4
	v_ashrrev_i32_e32 v1, 31, v1
	v_xor_b32_e32 v5, v5, v1
	s_mov_b64 s[16:17], 0
	v_xor_b32_e32 v4, v4, v1
	v_sub_co_u32_e32 v4, vcc, v4, v1
	s_nop 1
	v_subb_co_u32_e32 v5, vcc, v5, v1, vcc
	global_store_dwordx2 v[2:3], v[4:5], off
.LBB504_137:
	s_andn2_b64 vcc, exec, s[16:17]
	s_cbranch_vccnz .LBB504_139
; %bb.138:
	v_cvt_i32_f32_e32 v1, v0
	global_store_dword v[2:3], v1, off
.LBB504_139:
	s_mov_b64 s[16:17], 0
.LBB504_140:
	s_andn2_b64 vcc, exec, s[16:17]
	s_cbranch_vccnz .LBB504_142
; %bb.141:
	v_cvt_i32_f32_e32 v1, v0
	global_store_short v[2:3], v1, off
.LBB504_142:
	s_mov_b64 s[16:17], 0
.LBB504_143:
	s_andn2_b64 vcc, exec, s[16:17]
	s_cbranch_vccnz .LBB504_148
; %bb.144:
	s_cmp_gt_i32 s22, 0
	s_mov_b64 s[16:17], -1
	s_cbranch_scc0 .LBB504_146
; %bb.145:
	v_cvt_i32_f32_e32 v1, v0
	s_mov_b64 s[16:17], 0
	global_store_byte v[2:3], v1, off
.LBB504_146:
	s_andn2_b64 vcc, exec, s[16:17]
	s_cbranch_vccnz .LBB504_148
; %bb.147:
	v_trunc_f32_e32 v0, v0
	s_mov_b32 s16, 0x2f800000
	v_mul_f32_e64 v1, |v0|, s16
	v_floor_f32_e32 v1, v1
	s_mov_b32 s16, 0xcf800000
	v_fma_f32 v1, v1, s16, |v0|
	v_cvt_u32_f32_e32 v1, v1
	v_ashrrev_i32_e32 v0, 31, v0
	v_xor_b32_e32 v1, v1, v0
	v_sub_u32_e32 v0, v1, v0
	global_store_byte v[2:3], v0, off
.LBB504_148:
	s_branch .LBB504_29
.LBB504_149:
	s_mov_b64 s[22:23], 0
                                        ; implicit-def: $vgpr10
	s_branch .LBB504_263
.LBB504_150:
	s_mov_b64 s[18:19], -1
                                        ; implicit-def: $vgpr2
.LBB504_151:
	v_mov_b32_e32 v3, 0
.LBB504_152:
	s_mov_b64 s[16:17], 0
.LBB504_153:
	s_and_b64 vcc, exec, s[16:17]
	s_cbranch_vccz .LBB504_158
; %bb.154:
	s_cmp_eq_u32 s26, 29
	s_cbranch_scc0 .LBB504_156
; %bb.155:
	global_load_dwordx2 v[2:3], v[0:1], off
	s_mov_b64 s[0:1], -1
	s_mov_b64 s[18:19], 0
	s_waitcnt vmcnt(0)
	v_ffbh_u32_e32 v4, v3
	v_min_u32_e32 v4, 32, v4
	v_lshlrev_b64 v[2:3], v4, v[2:3]
	v_min_u32_e32 v2, 1, v2
	v_or_b32_e32 v2, v3, v2
	v_cvt_f32_u32_e32 v2, v2
	v_sub_u32_e32 v3, 32, v4
	v_ldexp_f32 v2, v2, v3
	s_branch .LBB504_157
.LBB504_156:
	s_mov_b64 s[18:19], -1
                                        ; implicit-def: $vgpr2
.LBB504_157:
	v_mov_b32_e32 v3, 0
.LBB504_158:
	s_mov_b64 s[16:17], 0
.LBB504_159:
	s_and_b64 vcc, exec, s[16:17]
	s_cbranch_vccz .LBB504_177
; %bb.160:
	s_cmp_lt_i32 s26, 27
	s_cbranch_scc1 .LBB504_163
; %bb.161:
	s_cmp_gt_i32 s26, 27
	s_cbranch_scc0 .LBB504_164
; %bb.162:
	global_load_dword v2, v[0:1], off
	s_mov_b64 s[0:1], 0
	s_waitcnt vmcnt(0)
	v_cvt_f32_u32_e32 v2, v2
	s_branch .LBB504_165
.LBB504_163:
	s_mov_b64 s[0:1], -1
                                        ; implicit-def: $vgpr2
	s_branch .LBB504_168
.LBB504_164:
	s_mov_b64 s[0:1], -1
                                        ; implicit-def: $vgpr2
.LBB504_165:
	s_andn2_b64 vcc, exec, s[0:1]
	s_cbranch_vccnz .LBB504_167
; %bb.166:
	global_load_ushort v2, v[0:1], off
	s_waitcnt vmcnt(0)
	v_cvt_f32_u32_e32 v2, v2
.LBB504_167:
	s_mov_b64 s[0:1], 0
.LBB504_168:
	s_andn2_b64 vcc, exec, s[0:1]
	s_cbranch_vccnz .LBB504_176
; %bb.169:
	global_load_ubyte v3, v[0:1], off
	s_movk_i32 s0, 0x7f
	s_waitcnt vmcnt(0)
	v_cmp_lt_i16_e32 vcc, s0, v3
	s_mov_b64 s[0:1], 0
	s_and_saveexec_b64 s[16:17], vcc
	s_xor_b64 s[16:17], exec, s[16:17]
	s_cbranch_execz .LBB504_189
; %bb.170:
	s_movk_i32 s0, 0x80
	v_cmp_eq_u16_e32 vcc, s0, v3
	s_mov_b64 s[0:1], -1
	s_and_saveexec_b64 s[22:23], vcc
; %bb.171:
	s_xor_b64 s[0:1], exec, -1
; %bb.172:
	s_or_b64 exec, exec, s[22:23]
	s_and_b64 s[0:1], s[0:1], exec
	s_or_saveexec_b64 s[16:17], s[16:17]
	v_mov_b32_e32 v2, 0x7f800001
	s_xor_b64 exec, exec, s[16:17]
	s_cbranch_execnz .LBB504_190
.LBB504_173:
	s_or_b64 exec, exec, s[16:17]
	s_and_saveexec_b64 s[16:17], s[0:1]
	s_cbranch_execz .LBB504_175
.LBB504_174:
	v_lshlrev_b32_e32 v2, 24, v3
	v_and_b32_e32 v3, 0xffff, v3
	v_and_b32_e32 v4, 7, v3
	v_ffbh_u32_e32 v6, v4
	v_min_u32_e32 v6, 32, v6
	v_subrev_u32_e32 v7, 28, v6
	v_bfe_u32 v5, v3, 3, 4
	v_lshlrev_b32_e32 v3, v7, v3
	v_sub_u32_e32 v6, 29, v6
	v_and_b32_e32 v3, 7, v3
	v_cmp_eq_u32_e32 vcc, 0, v5
	v_and_b32_e32 v2, 0x80000000, v2
	s_nop 0
	v_cndmask_b32_e32 v5, v5, v6, vcc
	v_cndmask_b32_e32 v3, v4, v3, vcc
	v_mov_b32_e32 v4, 0x3b800000
	v_lshlrev_b32_e32 v3, 20, v3
	v_lshl_add_u32 v4, v5, 23, v4
	v_or3_b32 v2, v2, v4, v3
.LBB504_175:
	s_or_b64 exec, exec, s[16:17]
.LBB504_176:
	s_mov_b64 s[0:1], -1
	v_mov_b32_e32 v3, 0
.LBB504_177:
	s_branch .LBB504_212
.LBB504_178:
	s_cmp_gt_i32 s26, 22
	s_cbranch_scc0 .LBB504_188
; %bb.179:
	s_cmp_lt_i32 s26, 24
	s_cbranch_scc1 .LBB504_191
; %bb.180:
	s_cmp_gt_i32 s26, 24
	s_cbranch_scc0 .LBB504_192
; %bb.181:
	global_load_ubyte v3, v[0:1], off
	s_movk_i32 s0, 0x7f
	s_waitcnt vmcnt(0)
	v_cmp_lt_i16_e32 vcc, s0, v3
	s_mov_b64 s[0:1], 0
	s_and_saveexec_b64 s[16:17], vcc
	s_xor_b64 s[16:17], exec, s[16:17]
	s_cbranch_execz .LBB504_203
; %bb.182:
	s_movk_i32 s0, 0x80
	v_cmp_eq_u16_e32 vcc, s0, v3
	s_mov_b64 s[0:1], -1
	s_and_saveexec_b64 s[22:23], vcc
; %bb.183:
	s_xor_b64 s[0:1], exec, -1
; %bb.184:
	s_or_b64 exec, exec, s[22:23]
	s_and_b64 s[0:1], s[0:1], exec
	s_or_saveexec_b64 s[16:17], s[16:17]
	v_mov_b32_e32 v2, 0x7f800001
	s_xor_b64 exec, exec, s[16:17]
	s_cbranch_execnz .LBB504_204
.LBB504_185:
	s_or_b64 exec, exec, s[16:17]
	s_and_saveexec_b64 s[16:17], s[0:1]
	s_cbranch_execz .LBB504_187
.LBB504_186:
	v_lshlrev_b32_e32 v2, 24, v3
	v_and_b32_e32 v3, 0xffff, v3
	v_and_b32_e32 v4, 3, v3
	v_ffbh_u32_e32 v6, v4
	v_min_u32_e32 v6, 32, v6
	v_subrev_u32_e32 v7, 29, v6
	v_bfe_u32 v5, v3, 2, 5
	v_lshlrev_b32_e32 v3, v7, v3
	v_sub_u32_e32 v6, 30, v6
	v_and_b32_e32 v3, 3, v3
	v_cmp_eq_u32_e32 vcc, 0, v5
	v_and_b32_e32 v2, 0x80000000, v2
	s_nop 0
	v_cndmask_b32_e32 v5, v5, v6, vcc
	v_cndmask_b32_e32 v3, v4, v3, vcc
	v_mov_b32_e32 v4, 0x37800000
	v_lshlrev_b32_e32 v3, 21, v3
	v_lshl_add_u32 v4, v5, 23, v4
	v_or3_b32 v2, v2, v4, v3
.LBB504_187:
	s_or_b64 exec, exec, s[16:17]
	s_mov_b64 s[0:1], 0
	s_branch .LBB504_193
.LBB504_188:
                                        ; implicit-def: $vgpr2
	s_branch .LBB504_199
.LBB504_189:
	s_or_saveexec_b64 s[16:17], s[16:17]
	v_mov_b32_e32 v2, 0x7f800001
	s_xor_b64 exec, exec, s[16:17]
	s_cbranch_execz .LBB504_173
.LBB504_190:
	v_cmp_ne_u16_e32 vcc, 0, v3
	s_andn2_b64 s[0:1], s[0:1], exec
	s_and_b64 s[22:23], vcc, exec
	v_mov_b32_e32 v2, 0
	s_or_b64 s[0:1], s[0:1], s[22:23]
	s_or_b64 exec, exec, s[16:17]
	s_and_saveexec_b64 s[16:17], s[0:1]
	s_cbranch_execnz .LBB504_174
	s_branch .LBB504_175
.LBB504_191:
	s_mov_b64 s[0:1], -1
                                        ; implicit-def: $vgpr2
	s_branch .LBB504_196
.LBB504_192:
	s_mov_b64 s[0:1], -1
                                        ; implicit-def: $vgpr2
.LBB504_193:
	s_and_b64 vcc, exec, s[0:1]
	s_cbranch_vccz .LBB504_195
; %bb.194:
	global_load_ubyte v2, v[0:1], off
	s_mov_b32 s0, 0x7f800000
	s_waitcnt vmcnt(0)
	v_lshlrev_b32_e32 v2, 24, v2
	v_and_b32_e32 v3, 0x7f000000, v2
	v_ffbh_u32_e32 v4, v3
	v_min_u32_e32 v4, 32, v4
	v_sub_u32_e64 v4, v4, 4 clamp
	v_lshlrev_b32_e32 v6, v4, v3
	v_lshlrev_b32_e32 v4, 23, v4
	v_lshrrev_b32_e32 v6, 4, v6
	v_add_u32_e32 v5, 0x1000000, v3
	v_sub_u32_e32 v4, v6, v4
	v_ashrrev_i32_e32 v5, 8, v5
	v_add_u32_e32 v4, 0x3c000000, v4
	v_and_or_b32 v4, v5, s0, v4
	v_cmp_ne_u32_e32 vcc, 0, v3
	s_brev_b32 s0, 1
	s_nop 0
	v_cndmask_b32_e32 v3, 0, v4, vcc
	v_and_or_b32 v2, v2, s0, v3
.LBB504_195:
	s_mov_b64 s[0:1], 0
.LBB504_196:
	s_andn2_b64 vcc, exec, s[0:1]
	s_cbranch_vccnz .LBB504_198
; %bb.197:
	global_load_ubyte v2, v[0:1], off
	s_movk_i32 s0, 0x7f00
	s_brev_b32 s1, 16
	s_waitcnt vmcnt(0)
	v_lshlrev_b16_e32 v3, 8, v2
	v_lshlrev_b32_e32 v2, 25, v2
	v_lshrrev_b32_e32 v4, 4, v2
	v_and_or_b32 v5, v3, s0, 0.5
	v_or_b32_e32 v4, 0x70000000, v4
	v_add_f32_e32 v5, -0.5, v5
	v_mul_f32_e32 v4, 0x7800000, v4
	v_cmp_gt_u32_e32 vcc, s1, v2
	v_bfe_i32 v3, v3, 0, 16
	s_brev_b32 s0, 1
	v_cndmask_b32_e32 v2, v4, v5, vcc
	v_and_or_b32 v2, v3, s0, v2
.LBB504_198:
	s_mov_b64 s[0:1], -1
	s_cbranch_execnz .LBB504_211
.LBB504_199:
	s_cmp_gt_i32 s26, 14
	s_cbranch_scc0 .LBB504_202
; %bb.200:
	s_cmp_eq_u32 s26, 15
	s_cbranch_scc0 .LBB504_205
; %bb.201:
	global_load_ushort v2, v[0:1], off
	s_mov_b64 s[0:1], -1
	s_mov_b64 s[18:19], 0
	s_waitcnt vmcnt(0)
	v_lshlrev_b32_e32 v2, 16, v2
	s_branch .LBB504_206
.LBB504_202:
	s_mov_b64 s[16:17], -1
                                        ; implicit-def: $vgpr2
	s_branch .LBB504_207
.LBB504_203:
	s_or_saveexec_b64 s[16:17], s[16:17]
	v_mov_b32_e32 v2, 0x7f800001
	s_xor_b64 exec, exec, s[16:17]
	s_cbranch_execz .LBB504_185
.LBB504_204:
	v_cmp_ne_u16_e32 vcc, 0, v3
	s_andn2_b64 s[0:1], s[0:1], exec
	s_and_b64 s[22:23], vcc, exec
	v_mov_b32_e32 v2, 0
	s_or_b64 s[0:1], s[0:1], s[22:23]
	s_or_b64 exec, exec, s[16:17]
	s_and_saveexec_b64 s[16:17], s[0:1]
	s_cbranch_execnz .LBB504_186
	s_branch .LBB504_187
.LBB504_205:
	s_mov_b64 s[18:19], -1
                                        ; implicit-def: $vgpr2
.LBB504_206:
	s_mov_b64 s[16:17], 0
.LBB504_207:
	s_and_b64 vcc, exec, s[16:17]
	s_cbranch_vccz .LBB504_211
; %bb.208:
	s_cmp_eq_u32 s26, 11
	s_cbranch_scc0 .LBB504_210
; %bb.209:
	global_load_ubyte v2, v[0:1], off
	s_mov_b64 s[0:1], -1
	s_mov_b64 s[18:19], 0
	v_mov_b32_e32 v3, 0
	s_waitcnt vmcnt(0)
	v_cmp_ne_u16_e32 vcc, 0, v2
	s_nop 1
	v_cndmask_b32_e64 v2, 0, 1.0, vcc
	s_branch .LBB504_212
.LBB504_210:
	s_mov_b64 s[18:19], -1
                                        ; implicit-def: $vgpr2
.LBB504_211:
	v_mov_b32_e32 v3, 0
.LBB504_212:
	s_branch .LBB504_10
.LBB504_213:
	s_cmp_lt_i32 s26, 5
	s_cbranch_scc1 .LBB504_218
; %bb.214:
	s_cmp_lt_i32 s26, 8
	s_cbranch_scc1 .LBB504_219
; %bb.215:
	;; [unrolled: 3-line block ×3, first 2 shown]
	s_cmp_gt_i32 s26, 9
	s_cbranch_scc0 .LBB504_221
; %bb.217:
	global_load_dwordx4 v[2:5], v[0:1], off
	s_mov_b64 s[0:1], 0
	s_waitcnt vmcnt(0)
	v_cvt_f32_f64_e32 v2, v[2:3]
	v_cvt_f32_f64_e32 v3, v[4:5]
	s_branch .LBB504_222
.LBB504_218:
                                        ; implicit-def: $vgpr3
	s_branch .LBB504_241
.LBB504_219:
	s_mov_b64 s[0:1], -1
                                        ; implicit-def: $vgpr3
	s_branch .LBB504_228
.LBB504_220:
	s_mov_b64 s[0:1], -1
                                        ; implicit-def: $vgpr3
	s_branch .LBB504_225
.LBB504_221:
	s_mov_b64 s[0:1], -1
                                        ; implicit-def: $vgpr3
.LBB504_222:
	s_andn2_b64 vcc, exec, s[0:1]
	s_cbranch_vccnz .LBB504_224
; %bb.223:
	global_load_dwordx2 v[2:3], v[0:1], off
.LBB504_224:
	s_mov_b64 s[0:1], 0
.LBB504_225:
	s_andn2_b64 vcc, exec, s[0:1]
	s_cbranch_vccnz .LBB504_227
; %bb.226:
	global_load_dword v2, v[0:1], off
	s_waitcnt vmcnt(0)
	v_cvt_f32_f16_sdwa v3, v2 dst_sel:DWORD dst_unused:UNUSED_PAD src0_sel:WORD_1
	v_cvt_f32_f16_e32 v2, v2
.LBB504_227:
	s_mov_b64 s[0:1], 0
.LBB504_228:
	s_andn2_b64 vcc, exec, s[0:1]
	s_cbranch_vccnz .LBB504_240
; %bb.229:
	s_cmp_lt_i32 s26, 6
	s_cbranch_scc1 .LBB504_232
; %bb.230:
	s_cmp_gt_i32 s26, 6
	s_cbranch_scc0 .LBB504_233
; %bb.231:
	global_load_dwordx2 v[2:3], v[0:1], off
	s_mov_b64 s[0:1], 0
	s_waitcnt vmcnt(0)
	v_cvt_f32_f64_e32 v2, v[2:3]
	s_branch .LBB504_234
.LBB504_232:
	s_mov_b64 s[0:1], -1
                                        ; implicit-def: $vgpr2
	s_branch .LBB504_237
.LBB504_233:
	s_mov_b64 s[0:1], -1
                                        ; implicit-def: $vgpr2
.LBB504_234:
	s_andn2_b64 vcc, exec, s[0:1]
	s_cbranch_vccnz .LBB504_236
; %bb.235:
	global_load_dword v2, v[0:1], off
.LBB504_236:
	s_mov_b64 s[0:1], 0
.LBB504_237:
	s_andn2_b64 vcc, exec, s[0:1]
	s_cbranch_vccnz .LBB504_239
; %bb.238:
	global_load_ushort v2, v[0:1], off
	s_waitcnt vmcnt(0)
	v_cvt_f32_f16_e32 v2, v2
.LBB504_239:
	s_waitcnt vmcnt(0)
	v_mov_b32_e32 v3, 0
.LBB504_240:
	s_cbranch_execnz .LBB504_261
.LBB504_241:
	s_cmp_lt_i32 s26, 2
	s_cbranch_scc1 .LBB504_245
; %bb.242:
	s_cmp_lt_i32 s26, 3
	s_cbranch_scc1 .LBB504_246
; %bb.243:
	s_cmp_gt_i32 s26, 3
	s_cbranch_scc0 .LBB504_247
; %bb.244:
	global_load_dwordx2 v[2:3], v[0:1], off
	s_mov_b64 s[0:1], 0
	s_waitcnt vmcnt(0)
	v_xor_b32_e32 v5, v2, v3
	v_ffbh_i32_e32 v4, v3
	v_ashrrev_i32_e32 v5, 31, v5
	v_add_u32_e32 v4, -1, v4
	v_add_u32_e32 v5, 32, v5
	v_min_u32_e32 v4, v4, v5
	v_lshlrev_b64 v[2:3], v4, v[2:3]
	v_min_u32_e32 v2, 1, v2
	v_or_b32_e32 v2, v3, v2
	v_cvt_f32_i32_e32 v2, v2
	v_sub_u32_e32 v3, 32, v4
	v_ldexp_f32 v2, v2, v3
	s_branch .LBB504_248
.LBB504_245:
	s_mov_b64 s[0:1], -1
                                        ; implicit-def: $vgpr2
	s_branch .LBB504_254
.LBB504_246:
	s_mov_b64 s[0:1], -1
                                        ; implicit-def: $vgpr2
	s_branch .LBB504_251
.LBB504_247:
	s_mov_b64 s[0:1], -1
                                        ; implicit-def: $vgpr2
.LBB504_248:
	s_andn2_b64 vcc, exec, s[0:1]
	s_cbranch_vccnz .LBB504_250
; %bb.249:
	global_load_dword v2, v[0:1], off
	s_waitcnt vmcnt(0)
	v_cvt_f32_i32_e32 v2, v2
.LBB504_250:
	s_mov_b64 s[0:1], 0
.LBB504_251:
	s_andn2_b64 vcc, exec, s[0:1]
	s_cbranch_vccnz .LBB504_253
; %bb.252:
	global_load_sshort v2, v[0:1], off
	s_waitcnt vmcnt(0)
	v_cvt_f32_i32_e32 v2, v2
.LBB504_253:
	s_mov_b64 s[0:1], 0
.LBB504_254:
	s_andn2_b64 vcc, exec, s[0:1]
	s_cbranch_vccnz .LBB504_260
; %bb.255:
	s_cmp_gt_i32 s26, 0
	s_cbranch_scc0 .LBB504_257
; %bb.256:
	global_load_sbyte v2, v[0:1], off
	s_mov_b64 s[0:1], 0
	s_waitcnt vmcnt(0)
	v_cvt_f32_i32_e32 v2, v2
	s_branch .LBB504_258
.LBB504_257:
	s_mov_b64 s[0:1], -1
                                        ; implicit-def: $vgpr2
.LBB504_258:
	s_andn2_b64 vcc, exec, s[0:1]
	s_cbranch_vccnz .LBB504_260
; %bb.259:
	global_load_ubyte v0, v[0:1], off
	s_waitcnt vmcnt(0)
	v_cvt_f32_ubyte0_e32 v2, v0
.LBB504_260:
	s_waitcnt vmcnt(0)
	v_mov_b32_e32 v3, 0
.LBB504_261:
	s_branch .LBB504_11
.LBB504_262:
	s_mov_b64 s[0:1], 0
                                        ; implicit-def: $vgpr10
	s_mov_b64 s[22:23], 0
.LBB504_263:
	s_and_b64 s[16:17], s[0:1], exec
	s_and_b64 s[18:19], s[18:19], exec
	s_orn2_b64 s[22:23], s[22:23], exec
.LBB504_264:
	s_or_b64 exec, exec, s[20:21]
	s_mov_b64 s[26:27], 0
	s_mov_b64 s[0:1], 0
                                        ; implicit-def: $vgpr0_vgpr1
                                        ; implicit-def: $vgpr5
	s_and_saveexec_b64 s[20:21], s[22:23]
	s_cbranch_execz .LBB504_273
; %bb.265:
	v_cmp_gt_i32_e32 vcc, s42, v10
	s_mov_b64 s[0:1], -1
	s_mov_b64 s[22:23], s[18:19]
	s_mov_b64 s[24:25], s[16:17]
	s_and_saveexec_b64 s[26:27], vcc
	s_cbranch_execz .LBB504_538
; %bb.266:
	v_mul_lo_u32 v0, v10, s9
	v_ashrrev_i32_e32 v1, 31, v0
	s_and_b32 s30, 0xffff, s33
	s_cmp_lt_i32 s30, 11
	v_lshl_add_u64 v[0:1], s[6:7], 0, v[0:1]
	s_cbranch_scc1 .LBB504_276
; %bb.267:
	s_cmp_gt_i32 s30, 25
	s_cbranch_scc0 .LBB504_293
; %bb.268:
	s_cmp_gt_i32 s30, 28
	s_cbranch_scc0 .LBB504_295
	;; [unrolled: 3-line block ×4, first 2 shown]
; %bb.271:
	s_cmp_eq_u32 s30, 46
	s_mov_b64 s[24:25], 0
	s_cbranch_scc0 .LBB504_305
; %bb.272:
	global_load_dword v2, v[0:1], off
	s_mov_b64 s[22:23], 0
	s_waitcnt vmcnt(0)
	v_and_b32_e32 v3, 0xffff0000, v2
	v_lshlrev_b32_e32 v2, 16, v2
	s_branch .LBB504_306
.LBB504_273:
	s_or_b64 exec, exec, s[20:21]
	s_mov_b64 s[20:21], 0
	s_and_saveexec_b64 s[22:23], s[18:19]
	s_cbranch_execnz .LBB504_900
.LBB504_274:
	s_or_b64 exec, exec, s[22:23]
	s_and_saveexec_b64 s[18:19], s[24:25]
	s_xor_b64 s[18:19], exec, s[18:19]
	s_cbranch_execz .LBB504_901
.LBB504_275:
	global_load_ubyte v2, v[0:1], off
	v_mov_b32_e32 v5, 0
	s_or_b64 s[0:1], s[0:1], exec
	s_waitcnt vmcnt(0)
	v_cmp_ne_u16_e32 vcc, 0, v2
	s_nop 1
	v_cndmask_b32_e64 v4, 0, 1.0, vcc
	s_or_b64 exec, exec, s[18:19]
	s_and_saveexec_b64 s[18:19], s[26:27]
	s_cbranch_execz .LBB504_949
	s_branch .LBB504_902
.LBB504_276:
	s_mov_b64 s[0:1], 0
                                        ; implicit-def: $vgpr3
	s_mov_b64 s[22:23], s[18:19]
	s_cbranch_execnz .LBB504_486
.LBB504_277:
	s_andn2_b64 vcc, exec, s[0:1]
	s_cbranch_vccnz .LBB504_536
.LBB504_278:
	s_waitcnt vmcnt(0)
	v_cmp_o_f32_e32 vcc, v2, v2
	v_mov_b32_e32 v0, s10
	s_and_saveexec_b64 s[0:1], vcc
	s_cbranch_execz .LBB504_282
; %bb.279:
	s_mov_b32 s24, 0x7f800000
	v_cmp_neq_f32_e32 vcc, s24, v2
	v_mov_b32_e32 v0, s11
	s_and_saveexec_b64 s[24:25], vcc
; %bb.280:
	s_mov_b32 s28, 0xff800000
	v_mov_b32_e32 v0, s12
	v_cmp_eq_f32_e32 vcc, s28, v2
	s_nop 1
	v_cndmask_b32_e32 v0, v2, v0, vcc
; %bb.281:
	s_or_b64 exec, exec, s[24:25]
.LBB504_282:
	s_or_b64 exec, exec, s[0:1]
	v_cmp_o_f32_e32 vcc, v3, v3
	v_mov_b32_e32 v1, s10
	s_and_saveexec_b64 s[0:1], vcc
	s_cbranch_execz .LBB504_286
; %bb.283:
	s_mov_b32 s24, 0x7f800000
	v_cmp_neq_f32_e32 vcc, s24, v3
	v_mov_b32_e32 v1, s11
	s_and_saveexec_b64 s[24:25], vcc
; %bb.284:
	s_mov_b32 s28, 0xff800000
	v_mov_b32_e32 v1, s12
	v_cmp_eq_f32_e32 vcc, s28, v3
	s_nop 1
	v_cndmask_b32_e32 v1, v3, v1, vcc
; %bb.285:
	s_or_b64 exec, exec, s[24:25]
.LBB504_286:
	s_or_b64 exec, exec, s[0:1]
	v_mul_lo_u32 v2, v10, s8
	v_ashrrev_i32_e32 v3, 31, v2
	s_and_b32 s34, s13, 0xff
	s_cmp_lt_i32 s34, 11
	v_lshl_add_u64 v[2:3], s[4:5], 0, v[2:3]
	s_cbranch_scc1 .LBB504_294
; %bb.287:
	s_and_b32 s35, 0xffff, s34
	s_cmp_gt_i32 s35, 25
	s_cbranch_scc0 .LBB504_296
; %bb.288:
	s_cmp_gt_i32 s35, 28
	s_cbranch_scc0 .LBB504_298
; %bb.289:
	;; [unrolled: 3-line block ×4, first 2 shown]
	s_mov_b64 s[28:29], 0
	s_mov_b64 s[0:1], -1
	s_cmp_eq_u32 s35, 46
	s_mov_b64 s[24:25], 0
	s_cbranch_scc0 .LBB504_310
; %bb.292:
	s_movk_i32 s0, 0x7fff
	v_bfe_u32 v5, v1, 16, 1
	v_add3_u32 v5, v1, v5, s0
	v_bfe_u32 v4, v0, 16, 1
	v_and_b32_e32 v5, 0xffff0000, v5
	v_mov_b32_e32 v6, 0x7fc00000
	v_cmp_o_f32_e32 vcc, v1, v1
	v_add3_u32 v4, v0, v4, s0
	s_mov_b64 s[24:25], -1
	v_cndmask_b32_e32 v5, v6, v5, vcc
	v_cmp_o_f32_e32 vcc, v0, v0
	v_mov_b32_e32 v6, 0x7fc0
	s_mov_b64 s[0:1], 0
	v_cndmask_b32_sdwa v4, v6, v4, vcc dst_sel:DWORD dst_unused:UNUSED_PAD src0_sel:DWORD src1_sel:WORD_1
	v_or_b32_e32 v4, v5, v4
	global_store_dword v[2:3], v4, off
	s_branch .LBB504_310
.LBB504_293:
	s_mov_b64 s[24:25], -1
	s_mov_b64 s[0:1], 0
	s_mov_b64 s[22:23], s[18:19]
                                        ; implicit-def: $vgpr3
	s_branch .LBB504_449
.LBB504_294:
	s_mov_b64 s[28:29], -1
	s_mov_b64 s[24:25], 0
	s_mov_b64 s[0:1], s[16:17]
	s_branch .LBB504_379
.LBB504_295:
	s_mov_b64 s[24:25], -1
	s_mov_b64 s[0:1], 0
	s_mov_b64 s[22:23], s[18:19]
                                        ; implicit-def: $vgpr3
	s_branch .LBB504_430
.LBB504_296:
	s_mov_b64 s[28:29], -1
	s_mov_b64 s[24:25], 0
	s_mov_b64 s[0:1], s[16:17]
	s_branch .LBB504_337
.LBB504_297:
	s_mov_b64 s[24:25], -1
	s_mov_b64 s[0:1], 0
	s_mov_b64 s[22:23], s[18:19]
                                        ; implicit-def: $vgpr3
	s_branch .LBB504_424
.LBB504_298:
	s_mov_b64 s[28:29], -1
	s_mov_b64 s[24:25], 0
	s_mov_b64 s[0:1], s[16:17]
	s_branch .LBB504_320
.LBB504_299:
	s_andn2_saveexec_b64 s[26:27], s[26:27]
	s_cbranch_execz .LBB504_63
.LBB504_300:
	s_mov_b32 s30, 0x46000000
	v_add_f32_e64 v4, |v0|, s30
	v_and_b32_e32 v4, 0xff, v4
	v_cmp_ne_u32_e32 vcc, 0, v4
	s_andn2_b64 s[22:23], s[22:23], exec
	s_and_b64 s[30:31], vcc, exec
	s_or_b64 s[22:23], s[22:23], s[30:31]
	s_or_b64 exec, exec, s[26:27]
	v_mov_b32_e32 v5, 0
	s_and_saveexec_b64 s[26:27], s[22:23]
	s_cbranch_execnz .LBB504_64
	s_branch .LBB504_65
.LBB504_301:
	s_mov_b64 s[24:25], -1
	s_mov_b64 s[0:1], 0
	s_mov_b64 s[22:23], s[18:19]
                                        ; implicit-def: $vgpr3
	s_branch .LBB504_306
.LBB504_302:
	s_mov_b64 s[28:29], -1
	s_mov_b64 s[24:25], 0
	s_mov_b64 s[0:1], s[16:17]
	s_branch .LBB504_316
.LBB504_303:
	s_andn2_saveexec_b64 s[26:27], s[26:27]
	s_cbranch_execz .LBB504_76
.LBB504_304:
	s_mov_b32 s30, 0x42800000
	v_add_f32_e64 v4, |v0|, s30
	v_and_b32_e32 v4, 0xff, v4
	v_cmp_ne_u32_e32 vcc, 0, v4
	s_andn2_b64 s[22:23], s[22:23], exec
	s_and_b64 s[30:31], vcc, exec
	s_or_b64 s[22:23], s[22:23], s[30:31]
	s_or_b64 exec, exec, s[26:27]
	v_mov_b32_e32 v5, 0
	s_and_saveexec_b64 s[26:27], s[22:23]
	s_cbranch_execnz .LBB504_77
	s_branch .LBB504_78
.LBB504_305:
	s_mov_b64 s[22:23], -1
                                        ; implicit-def: $vgpr3
	s_mov_b64 s[0:1], 0
.LBB504_306:
	s_and_b64 vcc, exec, s[24:25]
	s_cbranch_vccz .LBB504_423
; %bb.307:
	s_cmp_eq_u32 s30, 44
	s_cbranch_scc0 .LBB504_421
; %bb.308:
	global_load_ubyte v2, v[0:1], off
	s_movk_i32 s22, 0xff
	s_waitcnt vmcnt(1)
	v_mov_b32_e32 v3, 0x7f800001
	v_mov_b32_e32 v4, 0x400000
	s_mov_b64 s[0:1], -1
	s_waitcnt vmcnt(0)
	v_lshlrev_b32_e32 v5, 23, v2
	v_cmp_ne_u32_e32 vcc, s22, v2
	s_mov_b64 s[22:23], 0
	s_nop 0
	v_cndmask_b32_e32 v3, v3, v5, vcc
	v_cmp_ne_u32_e32 vcc, 0, v2
	s_nop 1
	v_cndmask_b32_e32 v2, v4, v3, vcc
	s_branch .LBB504_422
.LBB504_309:
	s_mov_b64 s[28:29], -1
	s_mov_b64 s[24:25], 0
	s_mov_b64 s[0:1], s[16:17]
.LBB504_310:
	s_and_b64 vcc, exec, s[28:29]
	s_cbranch_vccz .LBB504_315
; %bb.311:
	s_cmp_eq_u32 s35, 44
	s_mov_b64 s[0:1], -1
	s_cbranch_scc0 .LBB504_315
; %bb.312:
	v_bfe_u32 v4, v0, 23, 8
	s_movk_i32 s0, 0xff
	v_cmp_ne_u32_e32 vcc, s0, v4
	v_mov_b32_e32 v5, 0xff
	s_and_saveexec_b64 s[24:25], vcc
; %bb.313:
	s_mov_b32 s0, 0x3fffff
	v_and_b32_e32 v6, 0x400000, v0
	v_and_or_b32 v4, v0, s0, v4
	v_cmp_ne_u32_e32 vcc, 0, v6
	v_cmp_ne_u32_e64 s[0:1], 0, v4
	s_and_b64 s[0:1], vcc, s[0:1]
	v_lshrrev_b32_e32 v5, 23, v0
	v_cndmask_b32_e64 v4, 0, 1, s[0:1]
	v_add_u32_e32 v5, v5, v4
; %bb.314:
	s_or_b64 exec, exec, s[24:25]
	s_mov_b64 s[24:25], -1
	s_mov_b64 s[0:1], 0
	global_store_byte v[2:3], v5, off
.LBB504_315:
	s_mov_b64 s[28:29], 0
.LBB504_316:
	s_and_b64 vcc, exec, s[28:29]
	s_cbranch_vccz .LBB504_319
; %bb.317:
	s_cmp_eq_u32 s35, 29
	s_mov_b64 s[0:1], -1
	s_cbranch_scc0 .LBB504_319
; %bb.318:
	v_trunc_f32_e32 v4, v0
	v_mul_f32_e32 v5, 0x2f800000, v4
	v_floor_f32_e32 v6, v5
	v_fmamk_f32 v4, v6, 0xcf800000, v4
	v_cvt_u32_f32_e32 v5, v6
	v_cvt_u32_f32_e32 v4, v4
	s_mov_b64 s[24:25], -1
	s_mov_b64 s[0:1], 0
	s_mov_b64 s[28:29], 0
	global_store_dwordx2 v[2:3], v[4:5], off
	s_branch .LBB504_320
.LBB504_319:
	s_mov_b64 s[28:29], 0
.LBB504_320:
	s_and_b64 vcc, exec, s[28:29]
	s_cbranch_vccz .LBB504_336
; %bb.321:
	s_cmp_lt_i32 s35, 27
	s_mov_b64 s[24:25], -1
	s_cbranch_scc1 .LBB504_327
; %bb.322:
	v_cvt_u32_f32_e32 v4, v0
	s_cmp_gt_i32 s35, 27
	s_cbranch_scc0 .LBB504_324
; %bb.323:
	s_mov_b64 s[24:25], 0
	global_store_dword v[2:3], v4, off
.LBB504_324:
	s_andn2_b64 vcc, exec, s[24:25]
	s_cbranch_vccnz .LBB504_326
; %bb.325:
	global_store_short v[2:3], v4, off
.LBB504_326:
	s_mov_b64 s[24:25], 0
.LBB504_327:
	s_andn2_b64 vcc, exec, s[24:25]
	s_cbranch_vccnz .LBB504_335
; %bb.328:
	v_and_b32_e32 v4, 0x7fffffff, v0
	s_mov_b32 s24, 0x43800000
	v_cmp_gt_u32_e32 vcc, s24, v4
	v_mov_b32_e32 v5, 0x80
	s_and_saveexec_b64 s[24:25], vcc
	s_cbranch_execz .LBB504_334
; %bb.329:
	s_mov_b32 s28, 0x3bffffff
	v_cmp_lt_u32_e32 vcc, s28, v4
	s_mov_b64 s[28:29], 0
                                        ; implicit-def: $vgpr4
	s_and_saveexec_b64 s[30:31], vcc
	s_xor_b64 s[30:31], exec, s[30:31]
	s_cbranch_execz .LBB504_551
; %bb.330:
	v_bfe_u32 v4, v0, 20, 1
	s_mov_b32 s36, 0x487ffff
	v_add3_u32 v4, v0, v4, s36
	s_mov_b64 s[28:29], exec
	v_lshrrev_b32_e32 v4, 20, v4
	s_andn2_saveexec_b64 s[30:31], s[30:31]
	s_cbranch_execnz .LBB504_552
.LBB504_331:
	s_or_b64 exec, exec, s[30:31]
	v_mov_b32_e32 v5, 0
	s_and_saveexec_b64 s[30:31], s[28:29]
.LBB504_332:
	v_lshrrev_b32_e32 v5, 24, v0
	s_movk_i32 s28, 0x80
	v_and_or_b32 v5, v5, s28, v4
.LBB504_333:
	s_or_b64 exec, exec, s[30:31]
.LBB504_334:
	s_or_b64 exec, exec, s[24:25]
	global_store_byte v[2:3], v5, off
.LBB504_335:
	s_mov_b64 s[24:25], -1
.LBB504_336:
	s_mov_b64 s[28:29], 0
.LBB504_337:
	s_and_b64 vcc, exec, s[28:29]
	s_cbranch_vccz .LBB504_378
; %bb.338:
	s_cmp_gt_i32 s35, 22
	s_mov_b64 s[28:29], -1
	s_cbranch_scc0 .LBB504_370
; %bb.339:
	s_cmp_lt_i32 s35, 24
	s_mov_b64 s[24:25], -1
	s_cbranch_scc1 .LBB504_359
; %bb.340:
	s_cmp_gt_i32 s35, 24
	s_cbranch_scc0 .LBB504_348
; %bb.341:
	v_and_b32_e32 v4, 0x7fffffff, v0
	s_mov_b32 s24, 0x47800000
	v_cmp_gt_u32_e32 vcc, s24, v4
	v_mov_b32_e32 v5, 0x80
	s_and_saveexec_b64 s[24:25], vcc
	s_cbranch_execz .LBB504_347
; %bb.342:
	s_mov_b32 s28, 0x37ffffff
	v_cmp_lt_u32_e32 vcc, s28, v4
	s_mov_b64 s[28:29], 0
                                        ; implicit-def: $vgpr4
	s_and_saveexec_b64 s[30:31], vcc
	s_xor_b64 s[30:31], exec, s[30:31]
	s_cbranch_execz .LBB504_554
; %bb.343:
	v_bfe_u32 v4, v0, 21, 1
	s_mov_b32 s36, 0x88fffff
	v_add3_u32 v4, v0, v4, s36
	s_mov_b64 s[28:29], exec
	v_lshrrev_b32_e32 v4, 21, v4
	s_andn2_saveexec_b64 s[30:31], s[30:31]
	s_cbranch_execnz .LBB504_555
.LBB504_344:
	s_or_b64 exec, exec, s[30:31]
	v_mov_b32_e32 v5, 0
	s_and_saveexec_b64 s[30:31], s[28:29]
.LBB504_345:
	v_lshrrev_b32_e32 v5, 24, v0
	s_movk_i32 s28, 0x80
	v_and_or_b32 v5, v5, s28, v4
.LBB504_346:
	s_or_b64 exec, exec, s[30:31]
.LBB504_347:
	s_or_b64 exec, exec, s[24:25]
	s_mov_b64 s[24:25], 0
	global_store_byte v[2:3], v5, off
.LBB504_348:
	s_and_b64 vcc, exec, s[24:25]
	s_cbranch_vccz .LBB504_358
; %bb.349:
	v_and_b32_e32 v5, 0x7fffffff, v0
	s_mov_b32 s24, 0x43f00000
	v_cmp_gt_u32_e32 vcc, s24, v5
                                        ; implicit-def: $vgpr4
	s_and_saveexec_b64 s[24:25], vcc
	s_xor_b64 s[24:25], exec, s[24:25]
	s_cbranch_execz .LBB504_355
; %bb.350:
	s_mov_b32 s28, 0x3c7fffff
	v_cmp_lt_u32_e32 vcc, s28, v5
                                        ; implicit-def: $vgpr4
	s_and_saveexec_b64 s[28:29], vcc
	s_xor_b64 s[28:29], exec, s[28:29]
; %bb.351:
	v_bfe_u32 v4, v0, 20, 1
	s_mov_b32 s30, 0x407ffff
	v_add3_u32 v4, v0, v4, s30
	v_lshrrev_b32_e32 v5, 20, v4
	v_and_b32_e32 v4, 0xff00000, v4
	s_mov_b32 s30, 0x7f00000
	v_mov_b32_e32 v6, 0x7e
	v_cmp_ne_u32_e32 vcc, s30, v4
	s_nop 1
	v_cndmask_b32_e32 v4, v6, v5, vcc
; %bb.352:
	s_andn2_saveexec_b64 s[28:29], s[28:29]
; %bb.353:
	s_mov_b32 s30, 0x46800000
	v_add_f32_e64 v4, |v0|, s30
; %bb.354:
	s_or_b64 exec, exec, s[28:29]
                                        ; implicit-def: $vgpr5
.LBB504_355:
	s_andn2_saveexec_b64 s[24:25], s[24:25]
; %bb.356:
	s_mov_b32 s28, 0x7f800000
	v_mov_b32_e32 v4, 0x7e
	v_mov_b32_e32 v6, 0x7f
	v_cmp_lt_u32_e32 vcc, s28, v5
	s_nop 1
	v_cndmask_b32_e32 v4, v4, v6, vcc
; %bb.357:
	s_or_b64 exec, exec, s[24:25]
	v_lshrrev_b32_e32 v5, 24, v0
	s_movk_i32 s24, 0x80
	v_and_or_b32 v4, v5, s24, v4
	global_store_byte v[2:3], v4, off
.LBB504_358:
	s_mov_b64 s[24:25], 0
.LBB504_359:
	s_andn2_b64 vcc, exec, s[24:25]
	s_cbranch_vccnz .LBB504_369
; %bb.360:
	v_and_b32_e32 v5, 0x7fffffff, v0
	s_mov_b32 s24, 0x47800000
	v_cmp_gt_u32_e32 vcc, s24, v5
                                        ; implicit-def: $vgpr4
	s_and_saveexec_b64 s[24:25], vcc
	s_xor_b64 s[24:25], exec, s[24:25]
	s_cbranch_execz .LBB504_366
; %bb.361:
	s_mov_b32 s28, 0x387fffff
	v_cmp_lt_u32_e32 vcc, s28, v5
                                        ; implicit-def: $vgpr4
	s_and_saveexec_b64 s[28:29], vcc
	s_xor_b64 s[28:29], exec, s[28:29]
; %bb.362:
	v_bfe_u32 v4, v0, 21, 1
	s_mov_b32 s30, 0x80fffff
	v_add3_u32 v4, v0, v4, s30
	v_lshrrev_b32_e32 v4, 21, v4
; %bb.363:
	s_andn2_saveexec_b64 s[28:29], s[28:29]
; %bb.364:
	s_mov_b32 s30, 0x43000000
	v_add_f32_e64 v4, |v0|, s30
; %bb.365:
	s_or_b64 exec, exec, s[28:29]
                                        ; implicit-def: $vgpr5
.LBB504_366:
	s_andn2_saveexec_b64 s[24:25], s[24:25]
; %bb.367:
	s_mov_b32 s28, 0x7f800000
	v_mov_b32_e32 v4, 0x7c
	v_mov_b32_e32 v6, 0x7f
	v_cmp_lt_u32_e32 vcc, s28, v5
	s_nop 1
	v_cndmask_b32_e32 v4, v4, v6, vcc
; %bb.368:
	s_or_b64 exec, exec, s[24:25]
	v_lshrrev_b32_e32 v5, 24, v0
	s_movk_i32 s24, 0x80
	v_and_or_b32 v4, v5, s24, v4
	global_store_byte v[2:3], v4, off
.LBB504_369:
	s_mov_b64 s[28:29], 0
	s_mov_b64 s[24:25], -1
.LBB504_370:
	s_andn2_b64 vcc, exec, s[28:29]
	s_cbranch_vccnz .LBB504_378
; %bb.371:
	s_cmp_gt_i32 s35, 14
	s_mov_b64 s[28:29], -1
	s_cbranch_scc0 .LBB504_375
; %bb.372:
	s_cmp_eq_u32 s35, 15
	s_mov_b64 s[0:1], -1
	s_cbranch_scc0 .LBB504_374
; %bb.373:
	v_bfe_u32 v4, v0, 16, 1
	s_movk_i32 s0, 0x7fff
	v_add3_u32 v4, v0, v4, s0
	v_cmp_o_f32_e32 vcc, v0, v0
	v_mov_b32_e32 v5, 0x7fc0
	s_mov_b64 s[24:25], -1
	v_cndmask_b32_sdwa v4, v5, v4, vcc dst_sel:DWORD dst_unused:UNUSED_PAD src0_sel:DWORD src1_sel:WORD_1
	global_store_short v[2:3], v4, off
	s_mov_b64 s[0:1], 0
.LBB504_374:
	s_mov_b64 s[28:29], 0
.LBB504_375:
	s_and_b64 vcc, exec, s[28:29]
	s_cbranch_vccz .LBB504_378
; %bb.376:
	s_cmp_eq_u32 s35, 11
	s_mov_b64 s[0:1], -1
	s_cbranch_scc0 .LBB504_378
; %bb.377:
	v_cmp_neq_f32_e32 vcc, 0, v0
	v_cmp_neq_f32_e64 s[0:1], 0, v1
	s_or_b64 s[0:1], vcc, s[0:1]
	s_mov_b64 s[24:25], -1
	v_cndmask_b32_e64 v4, 0, 1, s[0:1]
	s_mov_b64 s[0:1], 0
	global_store_byte v[2:3], v4, off
.LBB504_378:
	s_mov_b64 s[28:29], 0
.LBB504_379:
	s_and_b64 vcc, exec, s[28:29]
	s_cbranch_vccz .LBB504_418
; %bb.380:
	s_and_b32 s28, 0xffff, s34
	s_cmp_lt_i32 s28, 5
	s_mov_b64 s[24:25], -1
	s_cbranch_scc1 .LBB504_401
; %bb.381:
	s_cmp_lt_i32 s28, 8
	s_cbranch_scc1 .LBB504_391
; %bb.382:
	s_cmp_lt_i32 s28, 9
	s_cbranch_scc1 .LBB504_388
; %bb.383:
	s_cmp_gt_i32 s28, 9
	s_cbranch_scc0 .LBB504_385
; %bb.384:
	v_cvt_f64_f32_e32 v[4:5], v0
	v_cvt_f64_f32_e32 v[6:7], v1
	s_mov_b64 s[24:25], 0
	global_store_dwordx4 v[2:3], v[4:7], off
.LBB504_385:
	s_andn2_b64 vcc, exec, s[24:25]
	s_cbranch_vccnz .LBB504_387
; %bb.386:
	global_store_dwordx2 v[2:3], v[0:1], off
.LBB504_387:
	s_mov_b64 s[24:25], 0
.LBB504_388:
	s_andn2_b64 vcc, exec, s[24:25]
	s_cbranch_vccnz .LBB504_390
; %bb.389:
	v_cvt_f16_f32_e32 v4, v0
	v_cvt_f16_f32_sdwa v1, v1 dst_sel:WORD_1 dst_unused:UNUSED_PAD src0_sel:DWORD
	s_nop 0
	v_or_b32_e32 v1, v1, v4
	global_store_dword v[2:3], v1, off
.LBB504_390:
	s_mov_b64 s[24:25], 0
.LBB504_391:
	s_andn2_b64 vcc, exec, s[24:25]
	s_cbranch_vccnz .LBB504_400
; %bb.392:
	s_cmp_lt_i32 s28, 6
	s_mov_b64 s[24:25], -1
	s_cbranch_scc1 .LBB504_398
; %bb.393:
	s_cmp_gt_i32 s28, 6
	s_cbranch_scc0 .LBB504_395
; %bb.394:
	v_cvt_f64_f32_e32 v[4:5], v0
	s_mov_b64 s[24:25], 0
	global_store_dwordx2 v[2:3], v[4:5], off
.LBB504_395:
	s_andn2_b64 vcc, exec, s[24:25]
	s_cbranch_vccnz .LBB504_397
; %bb.396:
	global_store_dword v[2:3], v0, off
.LBB504_397:
	s_mov_b64 s[24:25], 0
.LBB504_398:
	s_andn2_b64 vcc, exec, s[24:25]
	s_cbranch_vccnz .LBB504_400
; %bb.399:
	v_cvt_f16_f32_e32 v1, v0
	global_store_short v[2:3], v1, off
.LBB504_400:
	s_mov_b64 s[24:25], 0
.LBB504_401:
	s_andn2_b64 vcc, exec, s[24:25]
	s_cbranch_vccnz .LBB504_417
; %bb.402:
	s_cmp_lt_i32 s28, 2
	s_mov_b64 s[24:25], -1
	s_cbranch_scc1 .LBB504_412
; %bb.403:
	s_cmp_lt_i32 s28, 3
	s_cbranch_scc1 .LBB504_409
; %bb.404:
	s_cmp_gt_i32 s28, 3
	s_cbranch_scc0 .LBB504_406
; %bb.405:
	v_trunc_f32_e32 v1, v0
	s_mov_b32 s24, 0x2f800000
	v_mul_f32_e64 v4, |v1|, s24
	v_floor_f32_e32 v4, v4
	s_mov_b32 s24, 0xcf800000
	v_cvt_u32_f32_e32 v5, v4
	v_fma_f32 v4, v4, s24, |v1|
	v_cvt_u32_f32_e32 v4, v4
	v_ashrrev_i32_e32 v1, 31, v1
	v_xor_b32_e32 v5, v5, v1
	s_mov_b64 s[24:25], 0
	v_xor_b32_e32 v4, v4, v1
	v_sub_co_u32_e32 v4, vcc, v4, v1
	s_nop 1
	v_subb_co_u32_e32 v5, vcc, v5, v1, vcc
	global_store_dwordx2 v[2:3], v[4:5], off
.LBB504_406:
	s_andn2_b64 vcc, exec, s[24:25]
	s_cbranch_vccnz .LBB504_408
; %bb.407:
	v_cvt_i32_f32_e32 v1, v0
	global_store_dword v[2:3], v1, off
.LBB504_408:
	s_mov_b64 s[24:25], 0
.LBB504_409:
	s_andn2_b64 vcc, exec, s[24:25]
	s_cbranch_vccnz .LBB504_411
; %bb.410:
	v_cvt_i32_f32_e32 v1, v0
	global_store_short v[2:3], v1, off
.LBB504_411:
	s_mov_b64 s[24:25], 0
.LBB504_412:
	s_andn2_b64 vcc, exec, s[24:25]
	s_cbranch_vccnz .LBB504_417
; %bb.413:
	s_cmp_gt_i32 s28, 0
	s_mov_b64 s[24:25], -1
	s_cbranch_scc0 .LBB504_415
; %bb.414:
	v_cvt_i32_f32_e32 v1, v0
	s_mov_b64 s[24:25], 0
	global_store_byte v[2:3], v1, off
.LBB504_415:
	s_andn2_b64 vcc, exec, s[24:25]
	s_cbranch_vccnz .LBB504_417
; %bb.416:
	v_trunc_f32_e32 v0, v0
	s_mov_b32 s24, 0x2f800000
	v_mul_f32_e64 v1, |v0|, s24
	v_floor_f32_e32 v1, v1
	s_mov_b32 s24, 0xcf800000
	v_fma_f32 v1, v1, s24, |v0|
	v_cvt_u32_f32_e32 v1, v1
	v_ashrrev_i32_e32 v0, 31, v0
	v_xor_b32_e32 v1, v1, v0
	v_sub_u32_e32 v0, v1, v0
	global_store_byte v[2:3], v0, off
.LBB504_417:
	s_mov_b64 s[24:25], -1
.LBB504_418:
	s_andn2_b64 vcc, exec, s[24:25]
	s_cbranch_vccnz .LBB504_420
; %bb.419:
	v_add_u32_e32 v10, 0x80, v10
	s_mov_b64 s[28:29], -1
	s_branch .LBB504_537
.LBB504_420:
	s_mov_b64 s[28:29], 0
                                        ; implicit-def: $vgpr10
	s_branch .LBB504_537
.LBB504_421:
	s_mov_b64 s[22:23], -1
                                        ; implicit-def: $vgpr2
.LBB504_422:
	s_waitcnt vmcnt(0)
	v_mov_b32_e32 v3, 0
.LBB504_423:
	s_mov_b64 s[24:25], 0
.LBB504_424:
	s_and_b64 vcc, exec, s[24:25]
	s_cbranch_vccz .LBB504_429
; %bb.425:
	s_cmp_eq_u32 s30, 29
	s_cbranch_scc0 .LBB504_427
; %bb.426:
	global_load_dwordx2 v[2:3], v[0:1], off
	s_mov_b64 s[0:1], -1
	s_mov_b64 s[22:23], 0
	s_waitcnt vmcnt(0)
	v_ffbh_u32_e32 v4, v3
	v_min_u32_e32 v4, 32, v4
	v_lshlrev_b64 v[2:3], v4, v[2:3]
	v_min_u32_e32 v2, 1, v2
	v_or_b32_e32 v2, v3, v2
	v_cvt_f32_u32_e32 v2, v2
	v_sub_u32_e32 v3, 32, v4
	v_ldexp_f32 v2, v2, v3
	s_branch .LBB504_428
.LBB504_427:
	s_mov_b64 s[22:23], -1
                                        ; implicit-def: $vgpr2
.LBB504_428:
	s_waitcnt vmcnt(0)
	v_mov_b32_e32 v3, 0
.LBB504_429:
	s_mov_b64 s[24:25], 0
.LBB504_430:
	s_and_b64 vcc, exec, s[24:25]
	s_cbranch_vccz .LBB504_448
; %bb.431:
	s_cmp_lt_i32 s30, 27
	s_cbranch_scc1 .LBB504_434
; %bb.432:
	s_cmp_gt_i32 s30, 27
	s_cbranch_scc0 .LBB504_435
; %bb.433:
	global_load_dword v2, v[0:1], off
	s_mov_b64 s[0:1], 0
	s_waitcnt vmcnt(0)
	v_cvt_f32_u32_e32 v2, v2
	s_branch .LBB504_436
.LBB504_434:
	s_mov_b64 s[0:1], -1
                                        ; implicit-def: $vgpr2
	s_branch .LBB504_439
.LBB504_435:
	s_mov_b64 s[0:1], -1
                                        ; implicit-def: $vgpr2
.LBB504_436:
	s_andn2_b64 vcc, exec, s[0:1]
	s_cbranch_vccnz .LBB504_438
; %bb.437:
	global_load_ushort v2, v[0:1], off
	s_waitcnt vmcnt(0)
	v_cvt_f32_u32_e32 v2, v2
.LBB504_438:
	s_mov_b64 s[0:1], 0
.LBB504_439:
	s_andn2_b64 vcc, exec, s[0:1]
	s_cbranch_vccnz .LBB504_447
; %bb.440:
	global_load_ubyte v3, v[0:1], off
	s_movk_i32 s0, 0x7f
	s_waitcnt vmcnt(0)
	v_cmp_lt_i16_e32 vcc, s0, v3
	s_mov_b64 s[0:1], 0
	s_and_saveexec_b64 s[24:25], vcc
	s_xor_b64 s[24:25], exec, s[24:25]
	s_cbranch_execz .LBB504_461
; %bb.441:
	s_movk_i32 s0, 0x80
	v_cmp_eq_u16_e32 vcc, s0, v3
	s_mov_b64 s[0:1], -1
	s_and_saveexec_b64 s[28:29], vcc
; %bb.442:
	s_xor_b64 s[0:1], exec, -1
; %bb.443:
	s_or_b64 exec, exec, s[28:29]
	s_and_b64 s[0:1], s[0:1], exec
	s_or_saveexec_b64 s[24:25], s[24:25]
	v_mov_b32_e32 v2, 0x7f800001
	s_xor_b64 exec, exec, s[24:25]
	s_cbranch_execnz .LBB504_462
.LBB504_444:
	s_or_b64 exec, exec, s[24:25]
	s_and_saveexec_b64 s[24:25], s[0:1]
	s_cbranch_execz .LBB504_446
.LBB504_445:
	v_lshlrev_b32_e32 v2, 24, v3
	v_and_b32_e32 v3, 0xffff, v3
	v_and_b32_e32 v4, 7, v3
	v_ffbh_u32_e32 v6, v4
	v_min_u32_e32 v6, 32, v6
	v_subrev_u32_e32 v7, 28, v6
	v_bfe_u32 v5, v3, 3, 4
	v_lshlrev_b32_e32 v3, v7, v3
	v_sub_u32_e32 v6, 29, v6
	v_and_b32_e32 v3, 7, v3
	v_cmp_eq_u32_e32 vcc, 0, v5
	v_and_b32_e32 v2, 0x80000000, v2
	s_nop 0
	v_cndmask_b32_e32 v5, v5, v6, vcc
	v_cndmask_b32_e32 v3, v4, v3, vcc
	v_mov_b32_e32 v4, 0x3b800000
	v_lshlrev_b32_e32 v3, 20, v3
	v_lshl_add_u32 v4, v5, 23, v4
	v_or3_b32 v2, v2, v4, v3
.LBB504_446:
	s_or_b64 exec, exec, s[24:25]
.LBB504_447:
	s_mov_b64 s[0:1], -1
	s_waitcnt vmcnt(0)
	v_mov_b32_e32 v3, 0
.LBB504_448:
	s_mov_b64 s[24:25], 0
.LBB504_449:
	s_and_b64 vcc, exec, s[24:25]
	s_cbranch_vccz .LBB504_485
; %bb.450:
	s_cmp_gt_i32 s30, 22
	s_cbranch_scc0 .LBB504_460
; %bb.451:
	s_cmp_lt_i32 s30, 24
	s_cbranch_scc1 .LBB504_463
; %bb.452:
	s_cmp_gt_i32 s30, 24
	s_cbranch_scc0 .LBB504_464
; %bb.453:
	global_load_ubyte v3, v[0:1], off
	s_movk_i32 s0, 0x7f
	s_waitcnt vmcnt(0)
	v_cmp_lt_i16_e32 vcc, s0, v3
	s_mov_b64 s[0:1], 0
	s_and_saveexec_b64 s[24:25], vcc
	s_xor_b64 s[24:25], exec, s[24:25]
	s_cbranch_execz .LBB504_476
; %bb.454:
	s_movk_i32 s0, 0x80
	v_cmp_eq_u16_e32 vcc, s0, v3
	s_mov_b64 s[0:1], -1
	s_and_saveexec_b64 s[28:29], vcc
; %bb.455:
	s_xor_b64 s[0:1], exec, -1
; %bb.456:
	s_or_b64 exec, exec, s[28:29]
	s_and_b64 s[0:1], s[0:1], exec
	s_or_saveexec_b64 s[24:25], s[24:25]
	v_mov_b32_e32 v2, 0x7f800001
	s_xor_b64 exec, exec, s[24:25]
	s_cbranch_execnz .LBB504_477
.LBB504_457:
	s_or_b64 exec, exec, s[24:25]
	s_and_saveexec_b64 s[24:25], s[0:1]
	s_cbranch_execz .LBB504_459
.LBB504_458:
	v_lshlrev_b32_e32 v2, 24, v3
	v_and_b32_e32 v3, 0xffff, v3
	v_and_b32_e32 v4, 3, v3
	v_ffbh_u32_e32 v6, v4
	v_min_u32_e32 v6, 32, v6
	v_subrev_u32_e32 v7, 29, v6
	v_bfe_u32 v5, v3, 2, 5
	v_lshlrev_b32_e32 v3, v7, v3
	v_sub_u32_e32 v6, 30, v6
	v_and_b32_e32 v3, 3, v3
	v_cmp_eq_u32_e32 vcc, 0, v5
	v_and_b32_e32 v2, 0x80000000, v2
	s_nop 0
	v_cndmask_b32_e32 v5, v5, v6, vcc
	v_cndmask_b32_e32 v3, v4, v3, vcc
	v_mov_b32_e32 v4, 0x37800000
	v_lshlrev_b32_e32 v3, 21, v3
	v_lshl_add_u32 v4, v5, 23, v4
	v_or3_b32 v2, v2, v4, v3
.LBB504_459:
	s_or_b64 exec, exec, s[24:25]
	s_mov_b64 s[0:1], 0
	s_branch .LBB504_465
.LBB504_460:
	s_mov_b64 s[24:25], -1
                                        ; implicit-def: $vgpr2
	s_branch .LBB504_471
.LBB504_461:
	s_or_saveexec_b64 s[24:25], s[24:25]
	v_mov_b32_e32 v2, 0x7f800001
	s_xor_b64 exec, exec, s[24:25]
	s_cbranch_execz .LBB504_444
.LBB504_462:
	v_cmp_ne_u16_e32 vcc, 0, v3
	s_andn2_b64 s[0:1], s[0:1], exec
	s_and_b64 s[28:29], vcc, exec
	v_mov_b32_e32 v2, 0
	s_or_b64 s[0:1], s[0:1], s[28:29]
	s_or_b64 exec, exec, s[24:25]
	s_and_saveexec_b64 s[24:25], s[0:1]
	s_cbranch_execnz .LBB504_445
	s_branch .LBB504_446
.LBB504_463:
	s_mov_b64 s[0:1], -1
                                        ; implicit-def: $vgpr2
	s_branch .LBB504_468
.LBB504_464:
	s_mov_b64 s[0:1], -1
                                        ; implicit-def: $vgpr2
.LBB504_465:
	s_and_b64 vcc, exec, s[0:1]
	s_cbranch_vccz .LBB504_467
; %bb.466:
	global_load_ubyte v2, v[0:1], off
	s_mov_b32 s0, 0x7f800000
	s_waitcnt vmcnt(0)
	v_lshlrev_b32_e32 v2, 24, v2
	v_and_b32_e32 v3, 0x7f000000, v2
	v_ffbh_u32_e32 v4, v3
	v_min_u32_e32 v4, 32, v4
	v_sub_u32_e64 v4, v4, 4 clamp
	v_lshlrev_b32_e32 v6, v4, v3
	v_lshlrev_b32_e32 v4, 23, v4
	v_lshrrev_b32_e32 v6, 4, v6
	v_add_u32_e32 v5, 0x1000000, v3
	v_sub_u32_e32 v4, v6, v4
	v_ashrrev_i32_e32 v5, 8, v5
	v_add_u32_e32 v4, 0x3c000000, v4
	v_and_or_b32 v4, v5, s0, v4
	v_cmp_ne_u32_e32 vcc, 0, v3
	s_brev_b32 s0, 1
	s_nop 0
	v_cndmask_b32_e32 v3, 0, v4, vcc
	v_and_or_b32 v2, v2, s0, v3
.LBB504_467:
	s_mov_b64 s[0:1], 0
.LBB504_468:
	s_andn2_b64 vcc, exec, s[0:1]
	s_cbranch_vccnz .LBB504_470
; %bb.469:
	global_load_ubyte v2, v[0:1], off
	s_movk_i32 s0, 0x7f00
	s_brev_b32 s1, 16
	s_waitcnt vmcnt(0)
	v_lshlrev_b16_e32 v3, 8, v2
	v_lshlrev_b32_e32 v2, 25, v2
	v_lshrrev_b32_e32 v4, 4, v2
	v_and_or_b32 v5, v3, s0, 0.5
	v_or_b32_e32 v4, 0x70000000, v4
	v_add_f32_e32 v5, -0.5, v5
	v_mul_f32_e32 v4, 0x7800000, v4
	v_cmp_gt_u32_e32 vcc, s1, v2
	v_bfe_i32 v3, v3, 0, 16
	s_brev_b32 s0, 1
	v_cndmask_b32_e32 v2, v4, v5, vcc
	v_and_or_b32 v2, v3, s0, v2
.LBB504_470:
	s_mov_b64 s[24:25], 0
	s_mov_b64 s[0:1], -1
.LBB504_471:
	s_andn2_b64 vcc, exec, s[24:25]
	s_cbranch_vccnz .LBB504_484
; %bb.472:
	s_cmp_gt_i32 s30, 14
	s_cbranch_scc0 .LBB504_475
; %bb.473:
	s_cmp_eq_u32 s30, 15
	s_cbranch_scc0 .LBB504_478
; %bb.474:
	global_load_ushort v2, v[0:1], off
	s_mov_b64 s[0:1], -1
	s_mov_b64 s[22:23], 0
	s_waitcnt vmcnt(0)
	v_lshlrev_b32_e32 v2, 16, v2
	s_branch .LBB504_479
.LBB504_475:
	s_mov_b64 s[24:25], -1
                                        ; implicit-def: $vgpr2
	s_branch .LBB504_480
.LBB504_476:
	s_or_saveexec_b64 s[24:25], s[24:25]
	v_mov_b32_e32 v2, 0x7f800001
	s_xor_b64 exec, exec, s[24:25]
	s_cbranch_execz .LBB504_457
.LBB504_477:
	v_cmp_ne_u16_e32 vcc, 0, v3
	s_andn2_b64 s[0:1], s[0:1], exec
	s_and_b64 s[28:29], vcc, exec
	v_mov_b32_e32 v2, 0
	s_or_b64 s[0:1], s[0:1], s[28:29]
	s_or_b64 exec, exec, s[24:25]
	s_and_saveexec_b64 s[24:25], s[0:1]
	s_cbranch_execnz .LBB504_458
	s_branch .LBB504_459
.LBB504_478:
	s_mov_b64 s[22:23], -1
                                        ; implicit-def: $vgpr2
.LBB504_479:
	s_mov_b64 s[24:25], 0
.LBB504_480:
	s_and_b64 vcc, exec, s[24:25]
	s_cbranch_vccz .LBB504_484
; %bb.481:
	s_cmp_eq_u32 s30, 11
	s_cbranch_scc0 .LBB504_483
; %bb.482:
	global_load_ubyte v2, v[0:1], off
	s_mov_b64 s[0:1], -1
	s_mov_b64 s[22:23], 0
	s_waitcnt vmcnt(1)
	v_mov_b32_e32 v3, 0
	s_waitcnt vmcnt(0)
	v_cmp_ne_u16_e32 vcc, 0, v2
	s_nop 1
	v_cndmask_b32_e64 v2, 0, 1.0, vcc
	s_branch .LBB504_485
.LBB504_483:
	s_mov_b64 s[22:23], -1
                                        ; implicit-def: $vgpr2
.LBB504_484:
	s_waitcnt vmcnt(0)
	v_mov_b32_e32 v3, 0
.LBB504_485:
	s_branch .LBB504_277
.LBB504_486:
	s_cmp_lt_i32 s30, 5
	s_cbranch_scc1 .LBB504_491
; %bb.487:
	s_cmp_lt_i32 s30, 8
	s_cbranch_scc1 .LBB504_492
; %bb.488:
	;; [unrolled: 3-line block ×3, first 2 shown]
	s_cmp_gt_i32 s30, 9
	s_cbranch_scc0 .LBB504_494
; %bb.490:
	global_load_dwordx4 v[2:5], v[0:1], off
	s_mov_b64 s[0:1], 0
	s_waitcnt vmcnt(0)
	v_cvt_f32_f64_e32 v2, v[2:3]
	v_cvt_f32_f64_e32 v3, v[4:5]
	s_branch .LBB504_495
.LBB504_491:
	s_mov_b64 s[0:1], -1
                                        ; implicit-def: $vgpr3
	s_branch .LBB504_514
.LBB504_492:
	s_mov_b64 s[0:1], -1
                                        ; implicit-def: $vgpr3
	s_branch .LBB504_501
.LBB504_493:
	s_mov_b64 s[0:1], -1
                                        ; implicit-def: $vgpr3
	s_branch .LBB504_498
.LBB504_494:
	s_mov_b64 s[0:1], -1
                                        ; implicit-def: $vgpr3
.LBB504_495:
	s_andn2_b64 vcc, exec, s[0:1]
	s_cbranch_vccnz .LBB504_497
; %bb.496:
	global_load_dwordx2 v[2:3], v[0:1], off
.LBB504_497:
	s_mov_b64 s[0:1], 0
.LBB504_498:
	s_andn2_b64 vcc, exec, s[0:1]
	s_cbranch_vccnz .LBB504_500
; %bb.499:
	global_load_dword v2, v[0:1], off
	s_waitcnt vmcnt(0)
	v_cvt_f32_f16_sdwa v3, v2 dst_sel:DWORD dst_unused:UNUSED_PAD src0_sel:WORD_1
	v_cvt_f32_f16_e32 v2, v2
.LBB504_500:
	s_mov_b64 s[0:1], 0
.LBB504_501:
	s_andn2_b64 vcc, exec, s[0:1]
	s_cbranch_vccnz .LBB504_513
; %bb.502:
	s_cmp_lt_i32 s30, 6
	s_cbranch_scc1 .LBB504_505
; %bb.503:
	s_cmp_gt_i32 s30, 6
	s_cbranch_scc0 .LBB504_506
; %bb.504:
	global_load_dwordx2 v[2:3], v[0:1], off
	s_mov_b64 s[0:1], 0
	s_waitcnt vmcnt(0)
	v_cvt_f32_f64_e32 v2, v[2:3]
	s_branch .LBB504_507
.LBB504_505:
	s_mov_b64 s[0:1], -1
                                        ; implicit-def: $vgpr2
	s_branch .LBB504_510
.LBB504_506:
	s_mov_b64 s[0:1], -1
                                        ; implicit-def: $vgpr2
.LBB504_507:
	s_andn2_b64 vcc, exec, s[0:1]
	s_cbranch_vccnz .LBB504_509
; %bb.508:
	global_load_dword v2, v[0:1], off
.LBB504_509:
	s_mov_b64 s[0:1], 0
.LBB504_510:
	s_andn2_b64 vcc, exec, s[0:1]
	s_cbranch_vccnz .LBB504_512
; %bb.511:
	global_load_ushort v2, v[0:1], off
	s_waitcnt vmcnt(0)
	v_cvt_f32_f16_e32 v2, v2
.LBB504_512:
	s_waitcnt vmcnt(0)
	v_mov_b32_e32 v3, 0
.LBB504_513:
	s_mov_b64 s[0:1], 0
.LBB504_514:
	s_andn2_b64 vcc, exec, s[0:1]
	s_cbranch_vccnz .LBB504_535
; %bb.515:
	s_cmp_lt_i32 s30, 2
	s_cbranch_scc1 .LBB504_519
; %bb.516:
	s_cmp_lt_i32 s30, 3
	s_cbranch_scc1 .LBB504_520
; %bb.517:
	s_cmp_gt_i32 s30, 3
	s_cbranch_scc0 .LBB504_521
; %bb.518:
	global_load_dwordx2 v[2:3], v[0:1], off
	s_mov_b64 s[0:1], 0
	s_waitcnt vmcnt(0)
	v_xor_b32_e32 v5, v2, v3
	v_ffbh_i32_e32 v4, v3
	v_ashrrev_i32_e32 v5, 31, v5
	v_add_u32_e32 v4, -1, v4
	v_add_u32_e32 v5, 32, v5
	v_min_u32_e32 v4, v4, v5
	v_lshlrev_b64 v[2:3], v4, v[2:3]
	v_min_u32_e32 v2, 1, v2
	v_or_b32_e32 v2, v3, v2
	v_cvt_f32_i32_e32 v2, v2
	v_sub_u32_e32 v3, 32, v4
	v_ldexp_f32 v2, v2, v3
	s_branch .LBB504_522
.LBB504_519:
	s_mov_b64 s[0:1], -1
                                        ; implicit-def: $vgpr2
	s_branch .LBB504_528
.LBB504_520:
	s_mov_b64 s[0:1], -1
                                        ; implicit-def: $vgpr2
	s_branch .LBB504_525
.LBB504_521:
	s_mov_b64 s[0:1], -1
                                        ; implicit-def: $vgpr2
.LBB504_522:
	s_andn2_b64 vcc, exec, s[0:1]
	s_cbranch_vccnz .LBB504_524
; %bb.523:
	global_load_dword v2, v[0:1], off
	s_waitcnt vmcnt(0)
	v_cvt_f32_i32_e32 v2, v2
.LBB504_524:
	s_mov_b64 s[0:1], 0
.LBB504_525:
	s_andn2_b64 vcc, exec, s[0:1]
	s_cbranch_vccnz .LBB504_527
; %bb.526:
	global_load_sshort v2, v[0:1], off
	s_waitcnt vmcnt(0)
	v_cvt_f32_i32_e32 v2, v2
.LBB504_527:
	s_mov_b64 s[0:1], 0
.LBB504_528:
	s_andn2_b64 vcc, exec, s[0:1]
	s_cbranch_vccnz .LBB504_534
; %bb.529:
	s_cmp_gt_i32 s30, 0
	s_cbranch_scc0 .LBB504_531
; %bb.530:
	global_load_sbyte v2, v[0:1], off
	s_mov_b64 s[0:1], 0
	s_waitcnt vmcnt(0)
	v_cvt_f32_i32_e32 v2, v2
	s_branch .LBB504_532
.LBB504_531:
	s_mov_b64 s[0:1], -1
                                        ; implicit-def: $vgpr2
.LBB504_532:
	s_andn2_b64 vcc, exec, s[0:1]
	s_cbranch_vccnz .LBB504_534
; %bb.533:
	global_load_ubyte v0, v[0:1], off
	s_waitcnt vmcnt(0)
	v_cvt_f32_ubyte0_e32 v2, v0
.LBB504_534:
	s_waitcnt vmcnt(0)
	v_mov_b32_e32 v3, 0
.LBB504_535:
	s_branch .LBB504_278
.LBB504_536:
	s_mov_b64 s[28:29], 0
                                        ; implicit-def: $vgpr10
	s_mov_b64 s[0:1], s[16:17]
.LBB504_537:
	s_andn2_b64 s[24:25], s[16:17], exec
	s_and_b64 s[0:1], s[0:1], exec
	s_or_b64 s[24:25], s[24:25], s[0:1]
	s_andn2_b64 s[0:1], s[18:19], exec
	s_and_b64 s[22:23], s[22:23], exec
	s_or_b64 s[22:23], s[0:1], s[22:23]
	s_orn2_b64 s[0:1], s[28:29], exec
.LBB504_538:
	s_or_b64 exec, exec, s[26:27]
	s_mov_b64 s[28:29], 0
	s_mov_b64 s[30:31], 0
	;; [unrolled: 1-line block ×3, first 2 shown]
                                        ; implicit-def: $vgpr0_vgpr1
                                        ; implicit-def: $vgpr5
	s_and_saveexec_b64 s[26:27], s[0:1]
	s_cbranch_execz .LBB504_899
; %bb.539:
	v_cmp_gt_i32_e32 vcc, s42, v10
	s_mov_b64 s[38:39], -1
	s_mov_b64 s[0:1], s[22:23]
	s_mov_b64 s[34:35], s[24:25]
	s_and_saveexec_b64 s[28:29], vcc
	s_cbranch_execz .LBB504_810
; %bb.540:
	v_mul_lo_u32 v0, v10, s9
	v_ashrrev_i32_e32 v1, 31, v0
	s_and_b32 s38, 0xffff, s33
	s_cmp_lt_i32 s38, 11
	v_lshl_add_u64 v[0:1], s[6:7], 0, v[0:1]
	s_cbranch_scc1 .LBB504_547
; %bb.541:
	s_cmp_gt_i32 s38, 25
	s_cbranch_scc0 .LBB504_548
; %bb.542:
	s_cmp_gt_i32 s38, 28
	s_cbranch_scc0 .LBB504_549
	;; [unrolled: 3-line block ×4, first 2 shown]
; %bb.545:
	s_cmp_eq_u32 s38, 46
	s_mov_b64 s[34:35], 0
	s_cbranch_scc0 .LBB504_556
; %bb.546:
	global_load_dword v2, v[0:1], off
	s_mov_b64 s[0:1], -1
	s_waitcnt vmcnt(0)
	v_and_b32_e32 v3, 0xffff0000, v2
	v_lshlrev_b32_e32 v2, 16, v2
	s_branch .LBB504_557
.LBB504_547:
	s_mov_b64 s[34:35], -1
	s_mov_b64 s[0:1], 0
                                        ; implicit-def: $vgpr3
	s_mov_b64 s[30:31], s[22:23]
	s_branch .LBB504_625
.LBB504_548:
	s_mov_b64 s[34:35], -1
	s_mov_b64 s[0:1], 0
	s_mov_b64 s[30:31], s[22:23]
                                        ; implicit-def: $vgpr3
	s_branch .LBB504_588
.LBB504_549:
	s_mov_b64 s[34:35], -1
	s_mov_b64 s[0:1], 0
	s_mov_b64 s[30:31], s[22:23]
                                        ; implicit-def: $vgpr3
	s_branch .LBB504_569
.LBB504_550:
	s_mov_b64 s[34:35], -1
	s_mov_b64 s[0:1], 0
	s_mov_b64 s[30:31], s[22:23]
                                        ; implicit-def: $vgpr3
	s_branch .LBB504_563
.LBB504_551:
	s_andn2_saveexec_b64 s[30:31], s[30:31]
	s_cbranch_execz .LBB504_331
.LBB504_552:
	s_mov_b32 s36, 0x46000000
	v_add_f32_e64 v4, |v0|, s36
	v_and_b32_e32 v4, 0xff, v4
	v_cmp_ne_u32_e32 vcc, 0, v4
	s_andn2_b64 s[28:29], s[28:29], exec
	s_and_b64 s[36:37], vcc, exec
	s_or_b64 s[28:29], s[28:29], s[36:37]
	s_or_b64 exec, exec, s[30:31]
	v_mov_b32_e32 v5, 0
	s_and_saveexec_b64 s[30:31], s[28:29]
	s_cbranch_execnz .LBB504_332
	s_branch .LBB504_333
.LBB504_553:
	s_mov_b64 s[34:35], -1
	s_mov_b64 s[0:1], 0
	s_mov_b64 s[30:31], s[22:23]
                                        ; implicit-def: $vgpr3
	s_branch .LBB504_557
.LBB504_554:
	s_andn2_saveexec_b64 s[30:31], s[30:31]
	s_cbranch_execz .LBB504_344
.LBB504_555:
	s_mov_b32 s36, 0x42800000
	v_add_f32_e64 v4, |v0|, s36
	v_and_b32_e32 v4, 0xff, v4
	v_cmp_ne_u32_e32 vcc, 0, v4
	s_andn2_b64 s[28:29], s[28:29], exec
	s_and_b64 s[36:37], vcc, exec
	s_or_b64 s[28:29], s[28:29], s[36:37]
	s_or_b64 exec, exec, s[30:31]
	v_mov_b32_e32 v5, 0
	s_and_saveexec_b64 s[30:31], s[28:29]
	s_cbranch_execnz .LBB504_345
	s_branch .LBB504_346
.LBB504_556:
	s_mov_b64 s[30:31], -1
                                        ; implicit-def: $vgpr3
	s_mov_b64 s[0:1], 0
.LBB504_557:
	s_and_b64 vcc, exec, s[34:35]
	s_cbranch_vccz .LBB504_562
; %bb.558:
	s_cmp_eq_u32 s38, 44
	s_cbranch_scc0 .LBB504_560
; %bb.559:
	global_load_ubyte v2, v[0:1], off
	s_movk_i32 s30, 0xff
	s_waitcnt vmcnt(1)
	v_mov_b32_e32 v3, 0x7f800001
	v_mov_b32_e32 v4, 0x400000
	s_mov_b64 s[0:1], -1
	s_waitcnt vmcnt(0)
	v_lshlrev_b32_e32 v5, 23, v2
	v_cmp_ne_u32_e32 vcc, s30, v2
	s_mov_b64 s[30:31], 0
	s_nop 0
	v_cndmask_b32_e32 v3, v3, v5, vcc
	v_cmp_ne_u32_e32 vcc, 0, v2
	s_nop 1
	v_cndmask_b32_e32 v2, v4, v3, vcc
	s_branch .LBB504_561
.LBB504_560:
	s_mov_b64 s[30:31], -1
                                        ; implicit-def: $vgpr2
.LBB504_561:
	s_waitcnt vmcnt(0)
	v_mov_b32_e32 v3, 0
.LBB504_562:
	s_mov_b64 s[34:35], 0
.LBB504_563:
	s_and_b64 vcc, exec, s[34:35]
	s_cbranch_vccz .LBB504_568
; %bb.564:
	s_cmp_eq_u32 s38, 29
	s_cbranch_scc0 .LBB504_566
; %bb.565:
	global_load_dwordx2 v[2:3], v[0:1], off
	s_mov_b64 s[0:1], -1
	s_mov_b64 s[30:31], 0
	s_waitcnt vmcnt(0)
	v_ffbh_u32_e32 v4, v3
	v_min_u32_e32 v4, 32, v4
	v_lshlrev_b64 v[2:3], v4, v[2:3]
	v_min_u32_e32 v2, 1, v2
	v_or_b32_e32 v2, v3, v2
	v_cvt_f32_u32_e32 v2, v2
	v_sub_u32_e32 v3, 32, v4
	v_ldexp_f32 v2, v2, v3
	s_branch .LBB504_567
.LBB504_566:
	s_mov_b64 s[30:31], -1
                                        ; implicit-def: $vgpr2
.LBB504_567:
	s_waitcnt vmcnt(0)
	v_mov_b32_e32 v3, 0
.LBB504_568:
	s_mov_b64 s[34:35], 0
.LBB504_569:
	s_and_b64 vcc, exec, s[34:35]
	s_cbranch_vccz .LBB504_587
; %bb.570:
	s_cmp_lt_i32 s38, 27
	s_cbranch_scc1 .LBB504_573
; %bb.571:
	s_cmp_gt_i32 s38, 27
	s_cbranch_scc0 .LBB504_574
; %bb.572:
	global_load_dword v2, v[0:1], off
	s_mov_b64 s[0:1], 0
	s_waitcnt vmcnt(0)
	v_cvt_f32_u32_e32 v2, v2
	s_branch .LBB504_575
.LBB504_573:
	s_mov_b64 s[0:1], -1
                                        ; implicit-def: $vgpr2
	s_branch .LBB504_578
.LBB504_574:
	s_mov_b64 s[0:1], -1
                                        ; implicit-def: $vgpr2
.LBB504_575:
	s_andn2_b64 vcc, exec, s[0:1]
	s_cbranch_vccnz .LBB504_577
; %bb.576:
	global_load_ushort v2, v[0:1], off
	s_waitcnt vmcnt(0)
	v_cvt_f32_u32_e32 v2, v2
.LBB504_577:
	s_mov_b64 s[0:1], 0
.LBB504_578:
	s_andn2_b64 vcc, exec, s[0:1]
	s_cbranch_vccnz .LBB504_586
; %bb.579:
	global_load_ubyte v3, v[0:1], off
	s_movk_i32 s0, 0x7f
	s_waitcnt vmcnt(0)
	v_cmp_lt_i16_e32 vcc, s0, v3
	s_mov_b64 s[0:1], 0
	s_and_saveexec_b64 s[34:35], vcc
	s_xor_b64 s[34:35], exec, s[34:35]
	s_cbranch_execz .LBB504_600
; %bb.580:
	s_movk_i32 s0, 0x80
	v_cmp_eq_u16_e32 vcc, s0, v3
	s_mov_b64 s[0:1], -1
	s_and_saveexec_b64 s[36:37], vcc
; %bb.581:
	s_xor_b64 s[0:1], exec, -1
; %bb.582:
	s_or_b64 exec, exec, s[36:37]
	s_and_b64 s[0:1], s[0:1], exec
	s_or_saveexec_b64 s[34:35], s[34:35]
	v_mov_b32_e32 v2, 0x7f800001
	s_xor_b64 exec, exec, s[34:35]
	s_cbranch_execnz .LBB504_601
.LBB504_583:
	s_or_b64 exec, exec, s[34:35]
	s_and_saveexec_b64 s[34:35], s[0:1]
	s_cbranch_execz .LBB504_585
.LBB504_584:
	v_lshlrev_b32_e32 v2, 24, v3
	v_and_b32_e32 v3, 0xffff, v3
	v_and_b32_e32 v4, 7, v3
	v_ffbh_u32_e32 v6, v4
	v_min_u32_e32 v6, 32, v6
	v_subrev_u32_e32 v7, 28, v6
	v_bfe_u32 v5, v3, 3, 4
	v_lshlrev_b32_e32 v3, v7, v3
	v_sub_u32_e32 v6, 29, v6
	v_and_b32_e32 v3, 7, v3
	v_cmp_eq_u32_e32 vcc, 0, v5
	v_and_b32_e32 v2, 0x80000000, v2
	s_nop 0
	v_cndmask_b32_e32 v5, v5, v6, vcc
	v_cndmask_b32_e32 v3, v4, v3, vcc
	v_mov_b32_e32 v4, 0x3b800000
	v_lshlrev_b32_e32 v3, 20, v3
	v_lshl_add_u32 v4, v5, 23, v4
	v_or3_b32 v2, v2, v4, v3
.LBB504_585:
	s_or_b64 exec, exec, s[34:35]
.LBB504_586:
	s_mov_b64 s[0:1], -1
	s_waitcnt vmcnt(0)
	v_mov_b32_e32 v3, 0
.LBB504_587:
	s_mov_b64 s[34:35], 0
.LBB504_588:
	s_and_b64 vcc, exec, s[34:35]
	s_cbranch_vccz .LBB504_624
; %bb.589:
	s_cmp_gt_i32 s38, 22
	s_cbranch_scc0 .LBB504_599
; %bb.590:
	s_cmp_lt_i32 s38, 24
	s_cbranch_scc1 .LBB504_602
; %bb.591:
	s_cmp_gt_i32 s38, 24
	s_cbranch_scc0 .LBB504_603
; %bb.592:
	global_load_ubyte v3, v[0:1], off
	s_movk_i32 s0, 0x7f
	s_waitcnt vmcnt(0)
	v_cmp_lt_i16_e32 vcc, s0, v3
	s_mov_b64 s[0:1], 0
	s_and_saveexec_b64 s[34:35], vcc
	s_xor_b64 s[34:35], exec, s[34:35]
	s_cbranch_execz .LBB504_615
; %bb.593:
	s_movk_i32 s0, 0x80
	v_cmp_eq_u16_e32 vcc, s0, v3
	s_mov_b64 s[0:1], -1
	s_and_saveexec_b64 s[36:37], vcc
; %bb.594:
	s_xor_b64 s[0:1], exec, -1
; %bb.595:
	s_or_b64 exec, exec, s[36:37]
	s_and_b64 s[0:1], s[0:1], exec
	s_or_saveexec_b64 s[34:35], s[34:35]
	v_mov_b32_e32 v2, 0x7f800001
	s_xor_b64 exec, exec, s[34:35]
	s_cbranch_execnz .LBB504_616
.LBB504_596:
	s_or_b64 exec, exec, s[34:35]
	s_and_saveexec_b64 s[34:35], s[0:1]
	s_cbranch_execz .LBB504_598
.LBB504_597:
	v_lshlrev_b32_e32 v2, 24, v3
	v_and_b32_e32 v3, 0xffff, v3
	v_and_b32_e32 v4, 3, v3
	v_ffbh_u32_e32 v6, v4
	v_min_u32_e32 v6, 32, v6
	v_subrev_u32_e32 v7, 29, v6
	v_bfe_u32 v5, v3, 2, 5
	v_lshlrev_b32_e32 v3, v7, v3
	v_sub_u32_e32 v6, 30, v6
	v_and_b32_e32 v3, 3, v3
	v_cmp_eq_u32_e32 vcc, 0, v5
	v_and_b32_e32 v2, 0x80000000, v2
	s_nop 0
	v_cndmask_b32_e32 v5, v5, v6, vcc
	v_cndmask_b32_e32 v3, v4, v3, vcc
	v_mov_b32_e32 v4, 0x37800000
	v_lshlrev_b32_e32 v3, 21, v3
	v_lshl_add_u32 v4, v5, 23, v4
	v_or3_b32 v2, v2, v4, v3
.LBB504_598:
	s_or_b64 exec, exec, s[34:35]
	s_mov_b64 s[0:1], 0
	s_branch .LBB504_604
.LBB504_599:
	s_mov_b64 s[34:35], -1
                                        ; implicit-def: $vgpr2
	s_branch .LBB504_610
.LBB504_600:
	s_or_saveexec_b64 s[34:35], s[34:35]
	v_mov_b32_e32 v2, 0x7f800001
	s_xor_b64 exec, exec, s[34:35]
	s_cbranch_execz .LBB504_583
.LBB504_601:
	v_cmp_ne_u16_e32 vcc, 0, v3
	s_andn2_b64 s[0:1], s[0:1], exec
	s_and_b64 s[36:37], vcc, exec
	v_mov_b32_e32 v2, 0
	s_or_b64 s[0:1], s[0:1], s[36:37]
	s_or_b64 exec, exec, s[34:35]
	s_and_saveexec_b64 s[34:35], s[0:1]
	s_cbranch_execnz .LBB504_584
	s_branch .LBB504_585
.LBB504_602:
	s_mov_b64 s[0:1], -1
                                        ; implicit-def: $vgpr2
	s_branch .LBB504_607
.LBB504_603:
	s_mov_b64 s[0:1], -1
                                        ; implicit-def: $vgpr2
.LBB504_604:
	s_and_b64 vcc, exec, s[0:1]
	s_cbranch_vccz .LBB504_606
; %bb.605:
	global_load_ubyte v2, v[0:1], off
	s_mov_b32 s0, 0x7f800000
	s_waitcnt vmcnt(0)
	v_lshlrev_b32_e32 v2, 24, v2
	v_and_b32_e32 v3, 0x7f000000, v2
	v_ffbh_u32_e32 v4, v3
	v_min_u32_e32 v4, 32, v4
	v_sub_u32_e64 v4, v4, 4 clamp
	v_lshlrev_b32_e32 v6, v4, v3
	v_lshlrev_b32_e32 v4, 23, v4
	v_lshrrev_b32_e32 v6, 4, v6
	v_add_u32_e32 v5, 0x1000000, v3
	v_sub_u32_e32 v4, v6, v4
	v_ashrrev_i32_e32 v5, 8, v5
	v_add_u32_e32 v4, 0x3c000000, v4
	v_and_or_b32 v4, v5, s0, v4
	v_cmp_ne_u32_e32 vcc, 0, v3
	s_brev_b32 s0, 1
	s_nop 0
	v_cndmask_b32_e32 v3, 0, v4, vcc
	v_and_or_b32 v2, v2, s0, v3
.LBB504_606:
	s_mov_b64 s[0:1], 0
.LBB504_607:
	s_andn2_b64 vcc, exec, s[0:1]
	s_cbranch_vccnz .LBB504_609
; %bb.608:
	global_load_ubyte v2, v[0:1], off
	s_movk_i32 s0, 0x7f00
	s_brev_b32 s1, 16
	s_waitcnt vmcnt(0)
	v_lshlrev_b16_e32 v3, 8, v2
	v_lshlrev_b32_e32 v2, 25, v2
	v_lshrrev_b32_e32 v4, 4, v2
	v_and_or_b32 v5, v3, s0, 0.5
	v_or_b32_e32 v4, 0x70000000, v4
	v_add_f32_e32 v5, -0.5, v5
	v_mul_f32_e32 v4, 0x7800000, v4
	v_cmp_gt_u32_e32 vcc, s1, v2
	v_bfe_i32 v3, v3, 0, 16
	s_brev_b32 s0, 1
	v_cndmask_b32_e32 v2, v4, v5, vcc
	v_and_or_b32 v2, v3, s0, v2
.LBB504_609:
	s_mov_b64 s[34:35], 0
	s_mov_b64 s[0:1], -1
.LBB504_610:
	s_andn2_b64 vcc, exec, s[34:35]
	s_cbranch_vccnz .LBB504_623
; %bb.611:
	s_cmp_gt_i32 s38, 14
	s_cbranch_scc0 .LBB504_614
; %bb.612:
	s_cmp_eq_u32 s38, 15
	s_cbranch_scc0 .LBB504_617
; %bb.613:
	global_load_ushort v2, v[0:1], off
	s_mov_b64 s[0:1], -1
	s_mov_b64 s[30:31], 0
	s_waitcnt vmcnt(0)
	v_lshlrev_b32_e32 v2, 16, v2
	s_branch .LBB504_618
.LBB504_614:
	s_mov_b64 s[34:35], -1
                                        ; implicit-def: $vgpr2
	s_branch .LBB504_619
.LBB504_615:
	s_or_saveexec_b64 s[34:35], s[34:35]
	v_mov_b32_e32 v2, 0x7f800001
	s_xor_b64 exec, exec, s[34:35]
	s_cbranch_execz .LBB504_596
.LBB504_616:
	v_cmp_ne_u16_e32 vcc, 0, v3
	s_andn2_b64 s[0:1], s[0:1], exec
	s_and_b64 s[36:37], vcc, exec
	v_mov_b32_e32 v2, 0
	s_or_b64 s[0:1], s[0:1], s[36:37]
	s_or_b64 exec, exec, s[34:35]
	s_and_saveexec_b64 s[34:35], s[0:1]
	s_cbranch_execnz .LBB504_597
	s_branch .LBB504_598
.LBB504_617:
	s_mov_b64 s[30:31], -1
                                        ; implicit-def: $vgpr2
.LBB504_618:
	s_mov_b64 s[34:35], 0
.LBB504_619:
	s_and_b64 vcc, exec, s[34:35]
	s_cbranch_vccz .LBB504_623
; %bb.620:
	s_cmp_eq_u32 s38, 11
	s_cbranch_scc0 .LBB504_622
; %bb.621:
	global_load_ubyte v2, v[0:1], off
	s_mov_b64 s[0:1], -1
	s_mov_b64 s[30:31], 0
	s_waitcnt vmcnt(1)
	v_mov_b32_e32 v3, 0
	s_waitcnt vmcnt(0)
	v_cmp_ne_u16_e32 vcc, 0, v2
	s_nop 1
	v_cndmask_b32_e64 v2, 0, 1.0, vcc
	s_branch .LBB504_624
.LBB504_622:
	s_mov_b64 s[30:31], -1
                                        ; implicit-def: $vgpr2
.LBB504_623:
	s_waitcnt vmcnt(0)
	v_mov_b32_e32 v3, 0
.LBB504_624:
	s_mov_b64 s[34:35], 0
.LBB504_625:
	s_and_b64 vcc, exec, s[34:35]
	s_cbranch_vccz .LBB504_676
; %bb.626:
	s_cmp_lt_i32 s38, 5
	s_cbranch_scc1 .LBB504_631
; %bb.627:
	s_cmp_lt_i32 s38, 8
	s_cbranch_scc1 .LBB504_632
	;; [unrolled: 3-line block ×3, first 2 shown]
; %bb.629:
	s_cmp_gt_i32 s38, 9
	s_cbranch_scc0 .LBB504_634
; %bb.630:
	global_load_dwordx4 v[2:5], v[0:1], off
	s_mov_b64 s[0:1], 0
	s_waitcnt vmcnt(0)
	v_cvt_f32_f64_e32 v2, v[2:3]
	v_cvt_f32_f64_e32 v3, v[4:5]
	s_branch .LBB504_635
.LBB504_631:
	s_mov_b64 s[0:1], -1
                                        ; implicit-def: $vgpr3
	s_branch .LBB504_654
.LBB504_632:
	s_mov_b64 s[0:1], -1
                                        ; implicit-def: $vgpr3
	s_branch .LBB504_641
.LBB504_633:
	s_mov_b64 s[0:1], -1
                                        ; implicit-def: $vgpr3
	s_branch .LBB504_638
.LBB504_634:
	s_mov_b64 s[0:1], -1
                                        ; implicit-def: $vgpr3
.LBB504_635:
	s_andn2_b64 vcc, exec, s[0:1]
	s_cbranch_vccnz .LBB504_637
; %bb.636:
	global_load_dwordx2 v[2:3], v[0:1], off
.LBB504_637:
	s_mov_b64 s[0:1], 0
.LBB504_638:
	s_andn2_b64 vcc, exec, s[0:1]
	s_cbranch_vccnz .LBB504_640
; %bb.639:
	global_load_dword v2, v[0:1], off
	s_waitcnt vmcnt(0)
	v_cvt_f32_f16_sdwa v3, v2 dst_sel:DWORD dst_unused:UNUSED_PAD src0_sel:WORD_1
	v_cvt_f32_f16_e32 v2, v2
.LBB504_640:
	s_mov_b64 s[0:1], 0
.LBB504_641:
	s_andn2_b64 vcc, exec, s[0:1]
	s_cbranch_vccnz .LBB504_653
; %bb.642:
	s_cmp_lt_i32 s38, 6
	s_cbranch_scc1 .LBB504_645
; %bb.643:
	s_cmp_gt_i32 s38, 6
	s_cbranch_scc0 .LBB504_646
; %bb.644:
	global_load_dwordx2 v[2:3], v[0:1], off
	s_mov_b64 s[0:1], 0
	s_waitcnt vmcnt(0)
	v_cvt_f32_f64_e32 v2, v[2:3]
	s_branch .LBB504_647
.LBB504_645:
	s_mov_b64 s[0:1], -1
                                        ; implicit-def: $vgpr2
	s_branch .LBB504_650
.LBB504_646:
	s_mov_b64 s[0:1], -1
                                        ; implicit-def: $vgpr2
.LBB504_647:
	s_andn2_b64 vcc, exec, s[0:1]
	s_cbranch_vccnz .LBB504_649
; %bb.648:
	global_load_dword v2, v[0:1], off
.LBB504_649:
	s_mov_b64 s[0:1], 0
.LBB504_650:
	s_andn2_b64 vcc, exec, s[0:1]
	s_cbranch_vccnz .LBB504_652
; %bb.651:
	global_load_ushort v2, v[0:1], off
	s_waitcnt vmcnt(0)
	v_cvt_f32_f16_e32 v2, v2
.LBB504_652:
	s_waitcnt vmcnt(0)
	v_mov_b32_e32 v3, 0
.LBB504_653:
	s_mov_b64 s[0:1], 0
.LBB504_654:
	s_andn2_b64 vcc, exec, s[0:1]
	s_cbranch_vccnz .LBB504_675
; %bb.655:
	s_cmp_lt_i32 s38, 2
	s_cbranch_scc1 .LBB504_659
; %bb.656:
	s_cmp_lt_i32 s38, 3
	s_cbranch_scc1 .LBB504_660
; %bb.657:
	s_cmp_gt_i32 s38, 3
	s_cbranch_scc0 .LBB504_661
; %bb.658:
	global_load_dwordx2 v[2:3], v[0:1], off
	s_mov_b64 s[0:1], 0
	s_waitcnt vmcnt(0)
	v_xor_b32_e32 v5, v2, v3
	v_ffbh_i32_e32 v4, v3
	v_ashrrev_i32_e32 v5, 31, v5
	v_add_u32_e32 v4, -1, v4
	v_add_u32_e32 v5, 32, v5
	v_min_u32_e32 v4, v4, v5
	v_lshlrev_b64 v[2:3], v4, v[2:3]
	v_min_u32_e32 v2, 1, v2
	v_or_b32_e32 v2, v3, v2
	v_cvt_f32_i32_e32 v2, v2
	v_sub_u32_e32 v3, 32, v4
	v_ldexp_f32 v2, v2, v3
	s_branch .LBB504_662
.LBB504_659:
	s_mov_b64 s[0:1], -1
                                        ; implicit-def: $vgpr2
	s_branch .LBB504_668
.LBB504_660:
	s_mov_b64 s[0:1], -1
                                        ; implicit-def: $vgpr2
	s_branch .LBB504_665
.LBB504_661:
	s_mov_b64 s[0:1], -1
                                        ; implicit-def: $vgpr2
.LBB504_662:
	s_andn2_b64 vcc, exec, s[0:1]
	s_cbranch_vccnz .LBB504_664
; %bb.663:
	global_load_dword v2, v[0:1], off
	s_waitcnt vmcnt(0)
	v_cvt_f32_i32_e32 v2, v2
.LBB504_664:
	s_mov_b64 s[0:1], 0
.LBB504_665:
	s_andn2_b64 vcc, exec, s[0:1]
	s_cbranch_vccnz .LBB504_667
; %bb.666:
	global_load_sshort v2, v[0:1], off
	s_waitcnt vmcnt(0)
	v_cvt_f32_i32_e32 v2, v2
.LBB504_667:
	s_mov_b64 s[0:1], 0
.LBB504_668:
	s_andn2_b64 vcc, exec, s[0:1]
	s_cbranch_vccnz .LBB504_674
; %bb.669:
	s_cmp_gt_i32 s38, 0
	s_cbranch_scc0 .LBB504_671
; %bb.670:
	global_load_sbyte v2, v[0:1], off
	s_mov_b64 s[0:1], 0
	s_waitcnt vmcnt(0)
	v_cvt_f32_i32_e32 v2, v2
	s_branch .LBB504_672
.LBB504_671:
	s_mov_b64 s[0:1], -1
                                        ; implicit-def: $vgpr2
.LBB504_672:
	s_andn2_b64 vcc, exec, s[0:1]
	s_cbranch_vccnz .LBB504_674
; %bb.673:
	global_load_ubyte v0, v[0:1], off
	s_waitcnt vmcnt(0)
	v_cvt_f32_ubyte0_e32 v2, v0
.LBB504_674:
	s_waitcnt vmcnt(0)
	v_mov_b32_e32 v3, 0
.LBB504_675:
	s_mov_b64 s[0:1], -1
.LBB504_676:
	s_andn2_b64 vcc, exec, s[0:1]
	s_cbranch_vccnz .LBB504_692
; %bb.677:
	s_waitcnt vmcnt(0)
	v_cmp_o_f32_e32 vcc, v2, v2
	v_mov_b32_e32 v0, s10
	s_and_saveexec_b64 s[0:1], vcc
	s_cbranch_execz .LBB504_681
; %bb.678:
	s_mov_b32 s34, 0x7f800000
	v_cmp_neq_f32_e32 vcc, s34, v2
	v_mov_b32_e32 v0, s11
	s_and_saveexec_b64 s[34:35], vcc
; %bb.679:
	s_mov_b32 s36, 0xff800000
	v_mov_b32_e32 v0, s12
	v_cmp_eq_f32_e32 vcc, s36, v2
	s_nop 1
	v_cndmask_b32_e32 v0, v2, v0, vcc
; %bb.680:
	s_or_b64 exec, exec, s[34:35]
.LBB504_681:
	s_or_b64 exec, exec, s[0:1]
	v_cmp_o_f32_e32 vcc, v3, v3
	v_mov_b32_e32 v1, s10
	s_and_saveexec_b64 s[0:1], vcc
	s_cbranch_execz .LBB504_685
; %bb.682:
	s_mov_b32 s34, 0x7f800000
	v_cmp_neq_f32_e32 vcc, s34, v3
	v_mov_b32_e32 v1, s11
	s_and_saveexec_b64 s[34:35], vcc
; %bb.683:
	s_mov_b32 s36, 0xff800000
	v_mov_b32_e32 v1, s12
	v_cmp_eq_f32_e32 vcc, s36, v3
	s_nop 1
	v_cndmask_b32_e32 v1, v3, v1, vcc
; %bb.684:
	s_or_b64 exec, exec, s[34:35]
.LBB504_685:
	s_or_b64 exec, exec, s[0:1]
	v_mul_lo_u32 v2, v10, s8
	v_ashrrev_i32_e32 v3, 31, v2
	s_and_b32 s40, s13, 0xff
	s_cmp_lt_i32 s40, 11
	v_lshl_add_u64 v[2:3], s[4:5], 0, v[2:3]
	s_cbranch_scc1 .LBB504_693
; %bb.686:
	s_and_b32 s41, 0xffff, s40
	s_cmp_gt_i32 s41, 25
	s_cbranch_scc0 .LBB504_694
; %bb.687:
	s_cmp_gt_i32 s41, 28
	s_cbranch_scc0 .LBB504_695
; %bb.688:
	;; [unrolled: 3-line block ×4, first 2 shown]
	s_mov_b64 s[36:37], 0
	s_mov_b64 s[0:1], -1
	s_cmp_eq_u32 s41, 46
	s_mov_b64 s[34:35], 0
	s_cbranch_scc0 .LBB504_698
; %bb.691:
	s_movk_i32 s0, 0x7fff
	v_bfe_u32 v5, v1, 16, 1
	v_add3_u32 v5, v1, v5, s0
	v_bfe_u32 v4, v0, 16, 1
	v_and_b32_e32 v5, 0xffff0000, v5
	v_mov_b32_e32 v6, 0x7fc00000
	v_cmp_o_f32_e32 vcc, v1, v1
	v_add3_u32 v4, v0, v4, s0
	s_mov_b64 s[34:35], -1
	v_cndmask_b32_e32 v5, v6, v5, vcc
	v_cmp_o_f32_e32 vcc, v0, v0
	v_mov_b32_e32 v6, 0x7fc0
	s_mov_b64 s[0:1], 0
	v_cndmask_b32_sdwa v4, v6, v4, vcc dst_sel:DWORD dst_unused:UNUSED_PAD src0_sel:DWORD src1_sel:WORD_1
	v_or_b32_e32 v4, v5, v4
	global_store_dword v[2:3], v4, off
	s_branch .LBB504_698
.LBB504_692:
	s_mov_b64 s[36:37], 0
                                        ; implicit-def: $vgpr10
	s_mov_b64 s[0:1], s[24:25]
	s_branch .LBB504_809
.LBB504_693:
	s_mov_b64 s[36:37], -1
	s_mov_b64 s[34:35], 0
	s_mov_b64 s[0:1], s[24:25]
	s_branch .LBB504_767
.LBB504_694:
	s_mov_b64 s[36:37], -1
	s_mov_b64 s[34:35], 0
	s_mov_b64 s[0:1], s[24:25]
	s_branch .LBB504_725
.LBB504_695:
	s_mov_b64 s[36:37], -1
	s_mov_b64 s[34:35], 0
	s_mov_b64 s[0:1], s[24:25]
	s_branch .LBB504_708
.LBB504_696:
	s_mov_b64 s[36:37], -1
	s_mov_b64 s[34:35], 0
	s_mov_b64 s[0:1], s[24:25]
	s_branch .LBB504_704
.LBB504_697:
	s_mov_b64 s[36:37], -1
	s_mov_b64 s[34:35], 0
	s_mov_b64 s[0:1], s[24:25]
.LBB504_698:
	s_and_b64 vcc, exec, s[36:37]
	s_cbranch_vccz .LBB504_703
; %bb.699:
	s_cmp_eq_u32 s41, 44
	s_mov_b64 s[0:1], -1
	s_cbranch_scc0 .LBB504_703
; %bb.700:
	v_bfe_u32 v4, v0, 23, 8
	s_movk_i32 s0, 0xff
	v_cmp_ne_u32_e32 vcc, s0, v4
	v_mov_b32_e32 v5, 0xff
	s_and_saveexec_b64 s[34:35], vcc
; %bb.701:
	s_mov_b32 s0, 0x3fffff
	v_and_b32_e32 v6, 0x400000, v0
	v_and_or_b32 v4, v0, s0, v4
	v_cmp_ne_u32_e32 vcc, 0, v6
	v_cmp_ne_u32_e64 s[0:1], 0, v4
	s_and_b64 s[0:1], vcc, s[0:1]
	v_lshrrev_b32_e32 v5, 23, v0
	v_cndmask_b32_e64 v4, 0, 1, s[0:1]
	v_add_u32_e32 v5, v5, v4
; %bb.702:
	s_or_b64 exec, exec, s[34:35]
	s_mov_b64 s[34:35], -1
	s_mov_b64 s[0:1], 0
	global_store_byte v[2:3], v5, off
.LBB504_703:
	s_mov_b64 s[36:37], 0
.LBB504_704:
	s_and_b64 vcc, exec, s[36:37]
	s_cbranch_vccz .LBB504_707
; %bb.705:
	s_cmp_eq_u32 s41, 29
	s_mov_b64 s[0:1], -1
	s_cbranch_scc0 .LBB504_707
; %bb.706:
	v_trunc_f32_e32 v4, v0
	v_mul_f32_e32 v5, 0x2f800000, v4
	v_floor_f32_e32 v6, v5
	v_fmamk_f32 v4, v6, 0xcf800000, v4
	v_cvt_u32_f32_e32 v5, v6
	v_cvt_u32_f32_e32 v4, v4
	s_mov_b64 s[34:35], -1
	s_mov_b64 s[0:1], 0
	s_mov_b64 s[36:37], 0
	global_store_dwordx2 v[2:3], v[4:5], off
	s_branch .LBB504_708
.LBB504_707:
	s_mov_b64 s[36:37], 0
.LBB504_708:
	s_and_b64 vcc, exec, s[36:37]
	s_cbranch_vccz .LBB504_724
; %bb.709:
	s_cmp_lt_i32 s41, 27
	s_mov_b64 s[34:35], -1
	s_cbranch_scc1 .LBB504_715
; %bb.710:
	v_cvt_u32_f32_e32 v4, v0
	s_cmp_gt_i32 s41, 27
	s_cbranch_scc0 .LBB504_712
; %bb.711:
	s_mov_b64 s[34:35], 0
	global_store_dword v[2:3], v4, off
.LBB504_712:
	s_andn2_b64 vcc, exec, s[34:35]
	s_cbranch_vccnz .LBB504_714
; %bb.713:
	global_store_short v[2:3], v4, off
.LBB504_714:
	s_mov_b64 s[34:35], 0
.LBB504_715:
	s_andn2_b64 vcc, exec, s[34:35]
	s_cbranch_vccnz .LBB504_723
; %bb.716:
	v_and_b32_e32 v4, 0x7fffffff, v0
	s_mov_b32 s34, 0x43800000
	v_cmp_gt_u32_e32 vcc, s34, v4
	v_mov_b32_e32 v5, 0x80
	s_and_saveexec_b64 s[34:35], vcc
	s_cbranch_execz .LBB504_722
; %bb.717:
	s_mov_b32 s36, 0x3bffffff
	v_cmp_lt_u32_e32 vcc, s36, v4
	s_mov_b64 s[36:37], 0
                                        ; implicit-def: $vgpr4
	s_and_saveexec_b64 s[38:39], vcc
	s_xor_b64 s[38:39], exec, s[38:39]
	s_cbranch_execz .LBB504_823
; %bb.718:
	v_bfe_u32 v4, v0, 20, 1
	s_mov_b32 s43, 0x487ffff
	v_add3_u32 v4, v0, v4, s43
	s_mov_b64 s[36:37], exec
	v_lshrrev_b32_e32 v4, 20, v4
	s_andn2_saveexec_b64 s[38:39], s[38:39]
	s_cbranch_execnz .LBB504_824
.LBB504_719:
	s_or_b64 exec, exec, s[38:39]
	v_mov_b32_e32 v5, 0
	s_and_saveexec_b64 s[38:39], s[36:37]
.LBB504_720:
	v_lshrrev_b32_e32 v5, 24, v0
	s_movk_i32 s36, 0x80
	v_and_or_b32 v5, v5, s36, v4
.LBB504_721:
	s_or_b64 exec, exec, s[38:39]
.LBB504_722:
	s_or_b64 exec, exec, s[34:35]
	global_store_byte v[2:3], v5, off
.LBB504_723:
	s_mov_b64 s[34:35], -1
.LBB504_724:
	s_mov_b64 s[36:37], 0
.LBB504_725:
	s_and_b64 vcc, exec, s[36:37]
	s_cbranch_vccz .LBB504_766
; %bb.726:
	s_cmp_gt_i32 s41, 22
	s_mov_b64 s[36:37], -1
	s_cbranch_scc0 .LBB504_758
; %bb.727:
	s_cmp_lt_i32 s41, 24
	s_mov_b64 s[34:35], -1
	s_cbranch_scc1 .LBB504_747
; %bb.728:
	s_cmp_gt_i32 s41, 24
	s_cbranch_scc0 .LBB504_736
; %bb.729:
	v_and_b32_e32 v4, 0x7fffffff, v0
	s_mov_b32 s34, 0x47800000
	v_cmp_gt_u32_e32 vcc, s34, v4
	v_mov_b32_e32 v5, 0x80
	s_and_saveexec_b64 s[34:35], vcc
	s_cbranch_execz .LBB504_735
; %bb.730:
	s_mov_b32 s36, 0x37ffffff
	v_cmp_lt_u32_e32 vcc, s36, v4
	s_mov_b64 s[36:37], 0
                                        ; implicit-def: $vgpr4
	s_and_saveexec_b64 s[38:39], vcc
	s_xor_b64 s[38:39], exec, s[38:39]
	s_cbranch_execz .LBB504_826
; %bb.731:
	v_bfe_u32 v4, v0, 21, 1
	s_mov_b32 s43, 0x88fffff
	v_add3_u32 v4, v0, v4, s43
	s_mov_b64 s[36:37], exec
	v_lshrrev_b32_e32 v4, 21, v4
	s_andn2_saveexec_b64 s[38:39], s[38:39]
	s_cbranch_execnz .LBB504_827
.LBB504_732:
	s_or_b64 exec, exec, s[38:39]
	v_mov_b32_e32 v5, 0
	s_and_saveexec_b64 s[38:39], s[36:37]
.LBB504_733:
	v_lshrrev_b32_e32 v5, 24, v0
	s_movk_i32 s36, 0x80
	v_and_or_b32 v5, v5, s36, v4
.LBB504_734:
	s_or_b64 exec, exec, s[38:39]
.LBB504_735:
	s_or_b64 exec, exec, s[34:35]
	s_mov_b64 s[34:35], 0
	global_store_byte v[2:3], v5, off
.LBB504_736:
	s_and_b64 vcc, exec, s[34:35]
	s_cbranch_vccz .LBB504_746
; %bb.737:
	v_and_b32_e32 v5, 0x7fffffff, v0
	s_mov_b32 s34, 0x43f00000
	v_cmp_gt_u32_e32 vcc, s34, v5
                                        ; implicit-def: $vgpr4
	s_and_saveexec_b64 s[34:35], vcc
	s_xor_b64 s[34:35], exec, s[34:35]
	s_cbranch_execz .LBB504_743
; %bb.738:
	s_mov_b32 s36, 0x3c7fffff
	v_cmp_lt_u32_e32 vcc, s36, v5
                                        ; implicit-def: $vgpr4
	s_and_saveexec_b64 s[36:37], vcc
	s_xor_b64 s[36:37], exec, s[36:37]
; %bb.739:
	v_bfe_u32 v4, v0, 20, 1
	s_mov_b32 s38, 0x407ffff
	v_add3_u32 v4, v0, v4, s38
	v_lshrrev_b32_e32 v5, 20, v4
	v_and_b32_e32 v4, 0xff00000, v4
	s_mov_b32 s38, 0x7f00000
	v_mov_b32_e32 v6, 0x7e
	v_cmp_ne_u32_e32 vcc, s38, v4
	s_nop 1
	v_cndmask_b32_e32 v4, v6, v5, vcc
; %bb.740:
	s_andn2_saveexec_b64 s[36:37], s[36:37]
; %bb.741:
	s_mov_b32 s38, 0x46800000
	v_add_f32_e64 v4, |v0|, s38
; %bb.742:
	s_or_b64 exec, exec, s[36:37]
                                        ; implicit-def: $vgpr5
.LBB504_743:
	s_andn2_saveexec_b64 s[34:35], s[34:35]
; %bb.744:
	s_mov_b32 s36, 0x7f800000
	v_mov_b32_e32 v4, 0x7e
	v_mov_b32_e32 v6, 0x7f
	v_cmp_lt_u32_e32 vcc, s36, v5
	s_nop 1
	v_cndmask_b32_e32 v4, v4, v6, vcc
; %bb.745:
	s_or_b64 exec, exec, s[34:35]
	v_lshrrev_b32_e32 v5, 24, v0
	s_movk_i32 s34, 0x80
	v_and_or_b32 v4, v5, s34, v4
	global_store_byte v[2:3], v4, off
.LBB504_746:
	s_mov_b64 s[34:35], 0
.LBB504_747:
	s_andn2_b64 vcc, exec, s[34:35]
	s_cbranch_vccnz .LBB504_757
; %bb.748:
	v_and_b32_e32 v5, 0x7fffffff, v0
	s_mov_b32 s34, 0x47800000
	v_cmp_gt_u32_e32 vcc, s34, v5
                                        ; implicit-def: $vgpr4
	s_and_saveexec_b64 s[34:35], vcc
	s_xor_b64 s[34:35], exec, s[34:35]
	s_cbranch_execz .LBB504_754
; %bb.749:
	s_mov_b32 s36, 0x387fffff
	v_cmp_lt_u32_e32 vcc, s36, v5
                                        ; implicit-def: $vgpr4
	s_and_saveexec_b64 s[36:37], vcc
	s_xor_b64 s[36:37], exec, s[36:37]
; %bb.750:
	v_bfe_u32 v4, v0, 21, 1
	s_mov_b32 s38, 0x80fffff
	v_add3_u32 v4, v0, v4, s38
	v_lshrrev_b32_e32 v4, 21, v4
; %bb.751:
	s_andn2_saveexec_b64 s[36:37], s[36:37]
; %bb.752:
	s_mov_b32 s38, 0x43000000
	v_add_f32_e64 v4, |v0|, s38
; %bb.753:
	s_or_b64 exec, exec, s[36:37]
                                        ; implicit-def: $vgpr5
.LBB504_754:
	s_andn2_saveexec_b64 s[34:35], s[34:35]
; %bb.755:
	s_mov_b32 s36, 0x7f800000
	v_mov_b32_e32 v4, 0x7c
	v_mov_b32_e32 v6, 0x7f
	v_cmp_lt_u32_e32 vcc, s36, v5
	s_nop 1
	v_cndmask_b32_e32 v4, v4, v6, vcc
; %bb.756:
	s_or_b64 exec, exec, s[34:35]
	v_lshrrev_b32_e32 v5, 24, v0
	s_movk_i32 s34, 0x80
	v_and_or_b32 v4, v5, s34, v4
	global_store_byte v[2:3], v4, off
.LBB504_757:
	s_mov_b64 s[36:37], 0
	s_mov_b64 s[34:35], -1
.LBB504_758:
	s_andn2_b64 vcc, exec, s[36:37]
	s_cbranch_vccnz .LBB504_766
; %bb.759:
	s_cmp_gt_i32 s41, 14
	s_mov_b64 s[36:37], -1
	s_cbranch_scc0 .LBB504_763
; %bb.760:
	s_cmp_eq_u32 s41, 15
	s_mov_b64 s[0:1], -1
	s_cbranch_scc0 .LBB504_762
; %bb.761:
	v_bfe_u32 v4, v0, 16, 1
	s_movk_i32 s0, 0x7fff
	v_add3_u32 v4, v0, v4, s0
	v_cmp_o_f32_e32 vcc, v0, v0
	v_mov_b32_e32 v5, 0x7fc0
	s_mov_b64 s[34:35], -1
	v_cndmask_b32_sdwa v4, v5, v4, vcc dst_sel:DWORD dst_unused:UNUSED_PAD src0_sel:DWORD src1_sel:WORD_1
	global_store_short v[2:3], v4, off
	s_mov_b64 s[0:1], 0
.LBB504_762:
	s_mov_b64 s[36:37], 0
.LBB504_763:
	s_and_b64 vcc, exec, s[36:37]
	s_cbranch_vccz .LBB504_766
; %bb.764:
	s_cmp_eq_u32 s41, 11
	s_mov_b64 s[0:1], -1
	s_cbranch_scc0 .LBB504_766
; %bb.765:
	v_cmp_neq_f32_e32 vcc, 0, v0
	v_cmp_neq_f32_e64 s[0:1], 0, v1
	s_or_b64 s[0:1], vcc, s[0:1]
	s_mov_b64 s[34:35], -1
	v_cndmask_b32_e64 v4, 0, 1, s[0:1]
	s_mov_b64 s[0:1], 0
	global_store_byte v[2:3], v4, off
.LBB504_766:
	s_mov_b64 s[36:37], 0
.LBB504_767:
	s_and_b64 vcc, exec, s[36:37]
	s_cbranch_vccz .LBB504_806
; %bb.768:
	s_and_b32 s36, 0xffff, s40
	s_cmp_lt_i32 s36, 5
	s_mov_b64 s[34:35], -1
	s_cbranch_scc1 .LBB504_789
; %bb.769:
	s_cmp_lt_i32 s36, 8
	s_cbranch_scc1 .LBB504_779
; %bb.770:
	s_cmp_lt_i32 s36, 9
	s_cbranch_scc1 .LBB504_776
; %bb.771:
	s_cmp_gt_i32 s36, 9
	s_cbranch_scc0 .LBB504_773
; %bb.772:
	v_cvt_f64_f32_e32 v[4:5], v0
	v_cvt_f64_f32_e32 v[6:7], v1
	s_mov_b64 s[34:35], 0
	global_store_dwordx4 v[2:3], v[4:7], off
.LBB504_773:
	s_andn2_b64 vcc, exec, s[34:35]
	s_cbranch_vccnz .LBB504_775
; %bb.774:
	global_store_dwordx2 v[2:3], v[0:1], off
.LBB504_775:
	s_mov_b64 s[34:35], 0
.LBB504_776:
	s_andn2_b64 vcc, exec, s[34:35]
	s_cbranch_vccnz .LBB504_778
; %bb.777:
	v_cvt_f16_f32_e32 v4, v0
	v_cvt_f16_f32_sdwa v1, v1 dst_sel:WORD_1 dst_unused:UNUSED_PAD src0_sel:DWORD
	s_nop 0
	v_or_b32_e32 v1, v1, v4
	global_store_dword v[2:3], v1, off
.LBB504_778:
	s_mov_b64 s[34:35], 0
.LBB504_779:
	s_andn2_b64 vcc, exec, s[34:35]
	s_cbranch_vccnz .LBB504_788
; %bb.780:
	s_cmp_lt_i32 s36, 6
	s_mov_b64 s[34:35], -1
	s_cbranch_scc1 .LBB504_786
; %bb.781:
	s_cmp_gt_i32 s36, 6
	s_cbranch_scc0 .LBB504_783
; %bb.782:
	v_cvt_f64_f32_e32 v[4:5], v0
	s_mov_b64 s[34:35], 0
	global_store_dwordx2 v[2:3], v[4:5], off
.LBB504_783:
	s_andn2_b64 vcc, exec, s[34:35]
	s_cbranch_vccnz .LBB504_785
; %bb.784:
	global_store_dword v[2:3], v0, off
.LBB504_785:
	s_mov_b64 s[34:35], 0
.LBB504_786:
	s_andn2_b64 vcc, exec, s[34:35]
	s_cbranch_vccnz .LBB504_788
; %bb.787:
	v_cvt_f16_f32_e32 v1, v0
	global_store_short v[2:3], v1, off
.LBB504_788:
	s_mov_b64 s[34:35], 0
.LBB504_789:
	s_andn2_b64 vcc, exec, s[34:35]
	s_cbranch_vccnz .LBB504_805
; %bb.790:
	s_cmp_lt_i32 s36, 2
	s_mov_b64 s[34:35], -1
	s_cbranch_scc1 .LBB504_800
; %bb.791:
	s_cmp_lt_i32 s36, 3
	s_cbranch_scc1 .LBB504_797
; %bb.792:
	s_cmp_gt_i32 s36, 3
	s_cbranch_scc0 .LBB504_794
; %bb.793:
	v_trunc_f32_e32 v1, v0
	s_mov_b32 s34, 0x2f800000
	v_mul_f32_e64 v4, |v1|, s34
	v_floor_f32_e32 v4, v4
	s_mov_b32 s34, 0xcf800000
	v_cvt_u32_f32_e32 v5, v4
	v_fma_f32 v4, v4, s34, |v1|
	v_cvt_u32_f32_e32 v4, v4
	v_ashrrev_i32_e32 v1, 31, v1
	v_xor_b32_e32 v5, v5, v1
	s_mov_b64 s[34:35], 0
	v_xor_b32_e32 v4, v4, v1
	v_sub_co_u32_e32 v4, vcc, v4, v1
	s_nop 1
	v_subb_co_u32_e32 v5, vcc, v5, v1, vcc
	global_store_dwordx2 v[2:3], v[4:5], off
.LBB504_794:
	s_andn2_b64 vcc, exec, s[34:35]
	s_cbranch_vccnz .LBB504_796
; %bb.795:
	v_cvt_i32_f32_e32 v1, v0
	global_store_dword v[2:3], v1, off
.LBB504_796:
	s_mov_b64 s[34:35], 0
.LBB504_797:
	s_andn2_b64 vcc, exec, s[34:35]
	s_cbranch_vccnz .LBB504_799
; %bb.798:
	v_cvt_i32_f32_e32 v1, v0
	global_store_short v[2:3], v1, off
.LBB504_799:
	s_mov_b64 s[34:35], 0
.LBB504_800:
	s_andn2_b64 vcc, exec, s[34:35]
	s_cbranch_vccnz .LBB504_805
; %bb.801:
	s_cmp_gt_i32 s36, 0
	s_mov_b64 s[34:35], -1
	s_cbranch_scc0 .LBB504_803
; %bb.802:
	v_cvt_i32_f32_e32 v1, v0
	s_mov_b64 s[34:35], 0
	global_store_byte v[2:3], v1, off
.LBB504_803:
	s_andn2_b64 vcc, exec, s[34:35]
	s_cbranch_vccnz .LBB504_805
; %bb.804:
	v_trunc_f32_e32 v0, v0
	s_mov_b32 s34, 0x2f800000
	v_mul_f32_e64 v1, |v0|, s34
	v_floor_f32_e32 v1, v1
	s_mov_b32 s34, 0xcf800000
	v_fma_f32 v1, v1, s34, |v0|
	v_cvt_u32_f32_e32 v1, v1
	v_ashrrev_i32_e32 v0, 31, v0
	v_xor_b32_e32 v1, v1, v0
	v_sub_u32_e32 v0, v1, v0
	global_store_byte v[2:3], v0, off
.LBB504_805:
	s_mov_b64 s[34:35], -1
.LBB504_806:
	s_andn2_b64 vcc, exec, s[34:35]
	s_cbranch_vccnz .LBB504_808
; %bb.807:
	v_add_u32_e32 v10, 0x80, v10
	s_mov_b64 s[36:37], -1
	s_branch .LBB504_809
.LBB504_808:
	s_mov_b64 s[36:37], 0
                                        ; implicit-def: $vgpr10
.LBB504_809:
	s_andn2_b64 s[34:35], s[24:25], exec
	s_and_b64 s[0:1], s[0:1], exec
	s_or_b64 s[34:35], s[34:35], s[0:1]
	s_andn2_b64 s[0:1], s[22:23], exec
	s_and_b64 s[30:31], s[30:31], exec
	s_or_b64 s[0:1], s[0:1], s[30:31]
	s_orn2_b64 s[38:39], s[36:37], exec
.LBB504_810:
	s_or_b64 exec, exec, s[28:29]
	s_mov_b64 s[36:37], 0
	s_mov_b64 s[30:31], 0
	;; [unrolled: 1-line block ×3, first 2 shown]
                                        ; implicit-def: $vgpr0_vgpr1
                                        ; implicit-def: $vgpr5
	s_and_saveexec_b64 s[28:29], s[38:39]
	s_cbranch_execz .LBB504_898
; %bb.811:
	v_cmp_gt_i32_e32 vcc, s42, v10
	s_mov_b64 s[38:39], 0
	s_mov_b64 s[42:43], s[0:1]
	;; [unrolled: 1-line block ×3, first 2 shown]
                                        ; implicit-def: $vgpr0_vgpr1
                                        ; implicit-def: $vgpr5
	s_and_saveexec_b64 s[30:31], vcc
	s_cbranch_execz .LBB504_897
; %bb.812:
	v_mul_lo_u32 v0, v10, s9
	v_ashrrev_i32_e32 v1, 31, v0
	s_and_b32 s46, 0xffff, s33
	s_cmp_lt_i32 s46, 11
	v_lshl_add_u64 v[0:1], s[6:7], 0, v[0:1]
	s_cbranch_scc1 .LBB504_819
; %bb.813:
	s_cmp_gt_i32 s46, 25
	s_cbranch_scc0 .LBB504_820
; %bb.814:
	s_cmp_gt_i32 s46, 28
	s_cbranch_scc0 .LBB504_821
	;; [unrolled: 3-line block ×4, first 2 shown]
; %bb.817:
	s_cmp_eq_u32 s46, 46
	s_mov_b64 s[42:43], 0
	s_cbranch_scc0 .LBB504_828
; %bb.818:
	global_load_dword v2, v[0:1], off
	s_mov_b64 s[40:41], -1
	s_waitcnt vmcnt(0)
	v_and_b32_e32 v5, 0xffff0000, v2
	v_lshlrev_b32_e32 v4, 16, v2
	s_branch .LBB504_830
.LBB504_819:
	s_mov_b64 s[42:43], -1
                                        ; implicit-def: $vgpr5
	s_mov_b64 s[36:37], s[0:1]
	s_branch .LBB504_896
.LBB504_820:
	s_mov_b64 s[42:43], -1
	s_mov_b64 s[36:37], s[0:1]
                                        ; implicit-def: $vgpr5
	s_branch .LBB504_861
.LBB504_821:
	s_mov_b64 s[42:43], -1
	s_mov_b64 s[36:37], s[0:1]
                                        ; implicit-def: $vgpr5
	s_branch .LBB504_842
.LBB504_822:
	s_mov_b64 s[42:43], -1
	s_mov_b64 s[36:37], s[0:1]
                                        ; implicit-def: $vgpr5
	s_branch .LBB504_836
.LBB504_823:
	s_andn2_saveexec_b64 s[38:39], s[38:39]
	s_cbranch_execz .LBB504_719
.LBB504_824:
	s_mov_b32 s43, 0x46000000
	v_add_f32_e64 v4, |v0|, s43
	v_and_b32_e32 v4, 0xff, v4
	v_cmp_ne_u32_e32 vcc, 0, v4
	s_andn2_b64 s[36:37], s[36:37], exec
	s_and_b64 s[44:45], vcc, exec
	s_or_b64 s[36:37], s[36:37], s[44:45]
	s_or_b64 exec, exec, s[38:39]
	v_mov_b32_e32 v5, 0
	s_and_saveexec_b64 s[38:39], s[36:37]
	s_cbranch_execnz .LBB504_720
	s_branch .LBB504_721
.LBB504_825:
	s_mov_b64 s[42:43], -1
	s_mov_b64 s[36:37], s[0:1]
	s_branch .LBB504_829
.LBB504_826:
	s_andn2_saveexec_b64 s[38:39], s[38:39]
	s_cbranch_execz .LBB504_732
.LBB504_827:
	s_mov_b32 s43, 0x42800000
	v_add_f32_e64 v4, |v0|, s43
	v_and_b32_e32 v4, 0xff, v4
	v_cmp_ne_u32_e32 vcc, 0, v4
	s_andn2_b64 s[36:37], s[36:37], exec
	s_and_b64 s[44:45], vcc, exec
	s_or_b64 s[36:37], s[36:37], s[44:45]
	s_or_b64 exec, exec, s[38:39]
	v_mov_b32_e32 v5, 0
	s_and_saveexec_b64 s[38:39], s[36:37]
	s_cbranch_execnz .LBB504_733
	s_branch .LBB504_734
.LBB504_828:
	s_mov_b64 s[36:37], -1
.LBB504_829:
                                        ; implicit-def: $vgpr5
.LBB504_830:
	s_and_b64 vcc, exec, s[42:43]
	s_cbranch_vccz .LBB504_835
; %bb.831:
	s_cmp_eq_u32 s46, 44
	s_cbranch_scc0 .LBB504_833
; %bb.832:
	global_load_ubyte v2, v[0:1], off
	s_movk_i32 s40, 0xff
	s_waitcnt vmcnt(1)
	v_mov_b32_e32 v3, 0x7f800001
	v_mov_b32_e32 v4, 0x400000
	s_mov_b64 s[36:37], 0
	s_waitcnt vmcnt(0)
	v_lshlrev_b32_e32 v5, 23, v2
	v_cmp_ne_u32_e32 vcc, s40, v2
	s_mov_b64 s[40:41], -1
	s_nop 0
	v_cndmask_b32_e32 v3, v3, v5, vcc
	v_cmp_ne_u32_e32 vcc, 0, v2
	s_nop 1
	v_cndmask_b32_e32 v4, v4, v3, vcc
	s_branch .LBB504_834
.LBB504_833:
	s_mov_b64 s[36:37], -1
                                        ; implicit-def: $vgpr4
.LBB504_834:
	v_mov_b32_e32 v5, 0
.LBB504_835:
	s_mov_b64 s[42:43], 0
.LBB504_836:
	s_and_b64 vcc, exec, s[42:43]
	s_cbranch_vccz .LBB504_841
; %bb.837:
	s_cmp_eq_u32 s46, 29
	s_cbranch_scc0 .LBB504_839
; %bb.838:
	global_load_dwordx2 v[2:3], v[0:1], off
	s_mov_b64 s[36:37], 0
	s_mov_b64 s[40:41], -1
	s_waitcnt vmcnt(0)
	v_ffbh_u32_e32 v4, v3
	v_min_u32_e32 v4, 32, v4
	v_lshlrev_b64 v[2:3], v4, v[2:3]
	v_min_u32_e32 v2, 1, v2
	v_or_b32_e32 v2, v3, v2
	v_cvt_f32_u32_e32 v2, v2
	v_sub_u32_e32 v3, 32, v4
	v_ldexp_f32 v4, v2, v3
	s_branch .LBB504_840
.LBB504_839:
	s_mov_b64 s[36:37], -1
                                        ; implicit-def: $vgpr4
.LBB504_840:
	v_mov_b32_e32 v5, 0
.LBB504_841:
	s_mov_b64 s[42:43], 0
.LBB504_842:
	s_and_b64 vcc, exec, s[42:43]
	s_cbranch_vccz .LBB504_860
; %bb.843:
	s_cmp_lt_i32 s46, 27
	s_cbranch_scc1 .LBB504_846
; %bb.844:
	s_cmp_gt_i32 s46, 27
	s_cbranch_scc0 .LBB504_847
; %bb.845:
	global_load_dword v2, v[0:1], off
	s_mov_b64 s[40:41], 0
	s_waitcnt vmcnt(0)
	v_cvt_f32_u32_e32 v4, v2
	s_branch .LBB504_848
.LBB504_846:
	s_mov_b64 s[40:41], -1
                                        ; implicit-def: $vgpr4
	s_branch .LBB504_851
.LBB504_847:
	s_mov_b64 s[40:41], -1
                                        ; implicit-def: $vgpr4
.LBB504_848:
	s_andn2_b64 vcc, exec, s[40:41]
	s_cbranch_vccnz .LBB504_850
; %bb.849:
	global_load_ushort v2, v[0:1], off
	s_waitcnt vmcnt(0)
	v_cvt_f32_u32_e32 v4, v2
.LBB504_850:
	s_mov_b64 s[40:41], 0
.LBB504_851:
	s_andn2_b64 vcc, exec, s[40:41]
	s_cbranch_vccnz .LBB504_859
; %bb.852:
	global_load_ubyte v2, v[0:1], off
	s_movk_i32 s40, 0x7f
	s_waitcnt vmcnt(0)
	v_cmp_lt_i16_e32 vcc, s40, v2
	s_mov_b64 s[40:41], 0
	s_and_saveexec_b64 s[42:43], vcc
	s_xor_b64 s[42:43], exec, s[42:43]
	s_cbranch_execz .LBB504_873
; %bb.853:
	s_movk_i32 s40, 0x80
	v_cmp_eq_u16_e32 vcc, s40, v2
	s_mov_b64 s[40:41], -1
	s_and_saveexec_b64 s[44:45], vcc
; %bb.854:
	s_xor_b64 s[40:41], exec, -1
; %bb.855:
	s_or_b64 exec, exec, s[44:45]
	s_and_b64 s[40:41], s[40:41], exec
	s_or_saveexec_b64 s[42:43], s[42:43]
	v_mov_b32_e32 v4, 0x7f800001
	s_xor_b64 exec, exec, s[42:43]
	s_cbranch_execnz .LBB504_874
.LBB504_856:
	s_or_b64 exec, exec, s[42:43]
	s_and_saveexec_b64 s[42:43], s[40:41]
	s_cbranch_execz .LBB504_858
.LBB504_857:
	v_lshlrev_b32_e32 v3, 24, v2
	v_and_b32_e32 v2, 0xffff, v2
	v_and_b32_e32 v4, 7, v2
	v_ffbh_u32_e32 v6, v4
	v_min_u32_e32 v6, 32, v6
	v_subrev_u32_e32 v7, 28, v6
	v_bfe_u32 v5, v2, 3, 4
	v_lshlrev_b32_e32 v2, v7, v2
	v_sub_u32_e32 v6, 29, v6
	v_and_b32_e32 v2, 7, v2
	v_cmp_eq_u32_e32 vcc, 0, v5
	v_and_b32_e32 v3, 0x80000000, v3
	s_nop 0
	v_cndmask_b32_e32 v5, v5, v6, vcc
	v_cndmask_b32_e32 v2, v4, v2, vcc
	v_mov_b32_e32 v4, 0x3b800000
	v_lshlrev_b32_e32 v2, 20, v2
	v_lshl_add_u32 v4, v5, 23, v4
	v_or3_b32 v4, v3, v4, v2
.LBB504_858:
	s_or_b64 exec, exec, s[42:43]
.LBB504_859:
	s_mov_b64 s[40:41], -1
	v_mov_b32_e32 v5, 0
.LBB504_860:
	s_mov_b64 s[42:43], 0
.LBB504_861:
	s_and_b64 vcc, exec, s[42:43]
	s_cbranch_vccz .LBB504_895
; %bb.862:
	s_cmp_gt_i32 s46, 22
	s_cbranch_scc0 .LBB504_872
; %bb.863:
	s_cmp_lt_i32 s46, 24
	s_cbranch_scc1 .LBB504_875
; %bb.864:
	s_cmp_gt_i32 s46, 24
	s_cbranch_scc0 .LBB504_876
; %bb.865:
	global_load_ubyte v2, v[0:1], off
	s_movk_i32 s38, 0x7f
	s_waitcnt vmcnt(0)
	v_cmp_lt_i16_e32 vcc, s38, v2
	s_mov_b64 s[38:39], 0
	s_and_saveexec_b64 s[40:41], vcc
	s_xor_b64 s[40:41], exec, s[40:41]
	s_cbranch_execz .LBB504_888
; %bb.866:
	s_movk_i32 s38, 0x80
	v_cmp_eq_u16_e32 vcc, s38, v2
	s_mov_b64 s[38:39], -1
	s_and_saveexec_b64 s[42:43], vcc
; %bb.867:
	s_xor_b64 s[38:39], exec, -1
; %bb.868:
	s_or_b64 exec, exec, s[42:43]
	s_and_b64 s[38:39], s[38:39], exec
	s_or_saveexec_b64 s[40:41], s[40:41]
	v_mov_b32_e32 v4, 0x7f800001
	s_xor_b64 exec, exec, s[40:41]
	s_cbranch_execnz .LBB504_889
.LBB504_869:
	s_or_b64 exec, exec, s[40:41]
	s_and_saveexec_b64 s[40:41], s[38:39]
	s_cbranch_execz .LBB504_871
.LBB504_870:
	v_lshlrev_b32_e32 v3, 24, v2
	v_and_b32_e32 v2, 0xffff, v2
	v_and_b32_e32 v4, 3, v2
	v_ffbh_u32_e32 v6, v4
	v_min_u32_e32 v6, 32, v6
	v_subrev_u32_e32 v7, 29, v6
	v_bfe_u32 v5, v2, 2, 5
	v_lshlrev_b32_e32 v2, v7, v2
	v_sub_u32_e32 v6, 30, v6
	v_and_b32_e32 v2, 3, v2
	v_cmp_eq_u32_e32 vcc, 0, v5
	v_and_b32_e32 v3, 0x80000000, v3
	s_nop 0
	v_cndmask_b32_e32 v5, v5, v6, vcc
	v_cndmask_b32_e32 v2, v4, v2, vcc
	v_mov_b32_e32 v4, 0x37800000
	v_lshlrev_b32_e32 v2, 21, v2
	v_lshl_add_u32 v4, v5, 23, v4
	v_or3_b32 v4, v3, v4, v2
.LBB504_871:
	s_or_b64 exec, exec, s[40:41]
	s_mov_b64 s[38:39], 0
	s_branch .LBB504_877
.LBB504_872:
	s_mov_b64 s[38:39], -1
                                        ; implicit-def: $vgpr4
	s_branch .LBB504_883
.LBB504_873:
	s_or_saveexec_b64 s[42:43], s[42:43]
	v_mov_b32_e32 v4, 0x7f800001
	s_xor_b64 exec, exec, s[42:43]
	s_cbranch_execz .LBB504_856
.LBB504_874:
	v_cmp_ne_u16_e32 vcc, 0, v2
	s_andn2_b64 s[40:41], s[40:41], exec
	s_and_b64 s[44:45], vcc, exec
	v_mov_b32_e32 v4, 0
	s_or_b64 s[40:41], s[40:41], s[44:45]
	s_or_b64 exec, exec, s[42:43]
	s_and_saveexec_b64 s[42:43], s[40:41]
	s_cbranch_execnz .LBB504_857
	s_branch .LBB504_858
.LBB504_875:
	s_mov_b64 s[38:39], -1
                                        ; implicit-def: $vgpr4
	s_branch .LBB504_880
.LBB504_876:
	s_mov_b64 s[38:39], -1
                                        ; implicit-def: $vgpr4
.LBB504_877:
	s_and_b64 vcc, exec, s[38:39]
	s_cbranch_vccz .LBB504_879
; %bb.878:
	global_load_ubyte v2, v[0:1], off
	s_mov_b32 s38, 0x7f800000
	s_waitcnt vmcnt(0)
	v_lshlrev_b32_e32 v2, 24, v2
	v_and_b32_e32 v3, 0x7f000000, v2
	v_ffbh_u32_e32 v4, v3
	v_min_u32_e32 v4, 32, v4
	v_sub_u32_e64 v4, v4, 4 clamp
	v_lshlrev_b32_e32 v6, v4, v3
	v_lshlrev_b32_e32 v4, 23, v4
	v_lshrrev_b32_e32 v6, 4, v6
	v_add_u32_e32 v5, 0x1000000, v3
	v_sub_u32_e32 v4, v6, v4
	v_ashrrev_i32_e32 v5, 8, v5
	v_add_u32_e32 v4, 0x3c000000, v4
	v_and_or_b32 v4, v5, s38, v4
	v_cmp_ne_u32_e32 vcc, 0, v3
	s_brev_b32 s38, 1
	s_nop 0
	v_cndmask_b32_e32 v3, 0, v4, vcc
	v_and_or_b32 v4, v2, s38, v3
.LBB504_879:
	s_mov_b64 s[38:39], 0
.LBB504_880:
	s_andn2_b64 vcc, exec, s[38:39]
	s_cbranch_vccnz .LBB504_882
; %bb.881:
	global_load_ubyte v2, v[0:1], off
	s_movk_i32 s38, 0x7f00
	s_brev_b32 s39, 16
	s_waitcnt vmcnt(0)
	v_lshlrev_b16_e32 v3, 8, v2
	v_lshlrev_b32_e32 v2, 25, v2
	v_lshrrev_b32_e32 v4, 4, v2
	v_and_or_b32 v5, v3, s38, 0.5
	v_or_b32_e32 v4, 0x70000000, v4
	v_add_f32_e32 v5, -0.5, v5
	v_mul_f32_e32 v4, 0x7800000, v4
	v_cmp_gt_u32_e32 vcc, s39, v2
	v_bfe_i32 v3, v3, 0, 16
	s_brev_b32 s38, 1
	v_cndmask_b32_e32 v2, v4, v5, vcc
	v_and_or_b32 v4, v3, s38, v2
.LBB504_882:
	s_mov_b64 s[38:39], 0
	s_mov_b64 s[40:41], -1
.LBB504_883:
	s_andn2_b64 vcc, exec, s[38:39]
	s_mov_b64 s[38:39], 0
	s_cbranch_vccnz .LBB504_894
; %bb.884:
	s_cmp_gt_i32 s46, 14
	s_cbranch_scc0 .LBB504_887
; %bb.885:
	s_cmp_eq_u32 s46, 15
	s_cbranch_scc0 .LBB504_890
; %bb.886:
	global_load_ushort v2, v[0:1], off
	s_mov_b64 s[36:37], 0
	s_mov_b64 s[40:41], -1
	s_waitcnt vmcnt(0)
	v_lshlrev_b32_e32 v4, 16, v2
	s_branch .LBB504_891
.LBB504_887:
	s_mov_b64 s[42:43], -1
                                        ; implicit-def: $vgpr4
	s_branch .LBB504_892
.LBB504_888:
	s_or_saveexec_b64 s[40:41], s[40:41]
	v_mov_b32_e32 v4, 0x7f800001
	s_xor_b64 exec, exec, s[40:41]
	s_cbranch_execz .LBB504_869
.LBB504_889:
	v_cmp_ne_u16_e32 vcc, 0, v2
	s_andn2_b64 s[38:39], s[38:39], exec
	s_and_b64 s[42:43], vcc, exec
	v_mov_b32_e32 v4, 0
	s_or_b64 s[38:39], s[38:39], s[42:43]
	s_or_b64 exec, exec, s[40:41]
	s_and_saveexec_b64 s[40:41], s[38:39]
	s_cbranch_execnz .LBB504_870
	s_branch .LBB504_871
.LBB504_890:
	s_mov_b64 s[36:37], -1
                                        ; implicit-def: $vgpr4
.LBB504_891:
	s_mov_b64 s[42:43], 0
.LBB504_892:
	s_and_b64 vcc, exec, s[42:43]
	s_cbranch_vccz .LBB504_894
; %bb.893:
	s_cmp_lg_u32 s46, 11
	s_cselect_b64 s[42:43], -1, 0
	s_andn2_b64 s[36:37], s[36:37], exec
	s_and_b64 s[42:43], s[42:43], exec
	s_mov_b64 s[38:39], -1
	s_or_b64 s[36:37], s[36:37], s[42:43]
.LBB504_894:
	v_mov_b32_e32 v5, 0
.LBB504_895:
	s_mov_b64 s[42:43], 0
.LBB504_896:
	s_and_b64 s[44:45], s[42:43], exec
	s_andn2_b64 s[42:43], s[0:1], exec
	s_and_b64 s[36:37], s[36:37], exec
	s_and_b64 s[40:41], s[40:41], exec
	;; [unrolled: 1-line block ×3, first 2 shown]
	s_or_b64 s[42:43], s[42:43], s[36:37]
.LBB504_897:
	s_or_b64 exec, exec, s[30:31]
	s_and_b64 s[36:37], s[38:39], exec
	s_andn2_b64 s[0:1], s[0:1], exec
	s_and_b64 s[38:39], s[42:43], exec
	s_and_b64 s[40:41], s[40:41], exec
	;; [unrolled: 1-line block ×3, first 2 shown]
	s_or_b64 s[0:1], s[0:1], s[38:39]
.LBB504_898:
	s_or_b64 exec, exec, s[28:29]
	s_andn2_b64 s[24:25], s[24:25], exec
	s_and_b64 s[28:29], s[34:35], exec
	s_andn2_b64 s[22:23], s[22:23], exec
	s_and_b64 s[0:1], s[0:1], exec
	s_or_b64 s[24:25], s[24:25], s[28:29]
	s_and_b64 s[34:35], s[40:41], exec
	s_and_b64 s[30:31], s[30:31], exec
	;; [unrolled: 1-line block ×3, first 2 shown]
	s_or_b64 s[22:23], s[22:23], s[0:1]
.LBB504_899:
	s_or_b64 exec, exec, s[26:27]
	s_andn2_b64 s[0:1], s[16:17], exec
	s_and_b64 s[16:17], s[24:25], exec
	s_andn2_b64 s[18:19], s[18:19], exec
	s_and_b64 s[22:23], s[22:23], exec
	s_or_b64 s[16:17], s[0:1], s[16:17]
	s_and_b64 s[0:1], s[34:35], exec
	s_and_b64 s[26:27], s[30:31], exec
	;; [unrolled: 1-line block ×3, first 2 shown]
	s_or_b64 s[18:19], s[18:19], s[22:23]
	s_or_b64 exec, exec, s[20:21]
	s_mov_b64 s[20:21], 0
	s_and_saveexec_b64 s[22:23], s[18:19]
	s_cbranch_execz .LBB504_274
.LBB504_900:
	s_mov_b64 s[20:21], exec
	s_andn2_b64 s[24:25], s[24:25], exec
	s_trap 2
	s_or_b64 exec, exec, s[22:23]
	s_and_saveexec_b64 s[18:19], s[24:25]
	s_xor_b64 s[18:19], exec, s[18:19]
	s_cbranch_execnz .LBB504_275
.LBB504_901:
	s_or_b64 exec, exec, s[18:19]
	s_and_saveexec_b64 s[18:19], s[26:27]
	s_cbranch_execz .LBB504_949
.LBB504_902:
	s_sext_i32_i16 s22, s33
	s_cmp_lt_i32 s22, 5
	s_cbranch_scc1 .LBB504_907
; %bb.903:
	s_cmp_lt_i32 s22, 8
	s_cbranch_scc1 .LBB504_908
; %bb.904:
	;; [unrolled: 3-line block ×3, first 2 shown]
	s_cmp_gt_i32 s22, 9
	s_cbranch_scc0 .LBB504_910
; %bb.906:
	global_load_dwordx4 v[4:7], v[0:1], off
	s_mov_b64 s[22:23], 0
	s_waitcnt vmcnt(0)
	v_cvt_f32_f64_e32 v4, v[4:5]
	v_cvt_f32_f64_e32 v5, v[6:7]
	s_branch .LBB504_911
.LBB504_907:
                                        ; implicit-def: $vgpr5
	s_branch .LBB504_929
.LBB504_908:
                                        ; implicit-def: $vgpr5
	s_branch .LBB504_917
.LBB504_909:
	s_mov_b64 s[22:23], -1
                                        ; implicit-def: $vgpr5
	s_branch .LBB504_914
.LBB504_910:
	s_mov_b64 s[22:23], -1
                                        ; implicit-def: $vgpr5
.LBB504_911:
	s_andn2_b64 vcc, exec, s[22:23]
	s_cbranch_vccnz .LBB504_913
; %bb.912:
	global_load_dwordx2 v[4:5], v[0:1], off
.LBB504_913:
	s_mov_b64 s[22:23], 0
.LBB504_914:
	s_andn2_b64 vcc, exec, s[22:23]
	s_cbranch_vccnz .LBB504_916
; %bb.915:
	global_load_dword v2, v[0:1], off
	s_waitcnt vmcnt(0)
	v_cvt_f32_f16_sdwa v5, v2 dst_sel:DWORD dst_unused:UNUSED_PAD src0_sel:WORD_1
	v_cvt_f32_f16_e32 v4, v2
.LBB504_916:
	s_cbranch_execnz .LBB504_928
.LBB504_917:
	s_sext_i32_i16 s22, s33
	s_cmp_lt_i32 s22, 6
	s_cbranch_scc1 .LBB504_920
; %bb.918:
	s_cmp_gt_i32 s22, 6
	s_cbranch_scc0 .LBB504_921
; %bb.919:
	global_load_dwordx2 v[2:3], v[0:1], off
	s_mov_b64 s[22:23], 0
	s_waitcnt vmcnt(0)
	v_cvt_f32_f64_e32 v4, v[2:3]
	s_branch .LBB504_922
.LBB504_920:
	s_mov_b64 s[22:23], -1
                                        ; implicit-def: $vgpr4
	s_branch .LBB504_925
.LBB504_921:
	s_mov_b64 s[22:23], -1
                                        ; implicit-def: $vgpr4
.LBB504_922:
	s_andn2_b64 vcc, exec, s[22:23]
	s_cbranch_vccnz .LBB504_924
; %bb.923:
	global_load_dword v4, v[0:1], off
.LBB504_924:
	s_mov_b64 s[22:23], 0
.LBB504_925:
	s_andn2_b64 vcc, exec, s[22:23]
	s_cbranch_vccnz .LBB504_927
; %bb.926:
	global_load_ushort v2, v[0:1], off
	s_waitcnt vmcnt(0)
	v_cvt_f32_f16_e32 v4, v2
.LBB504_927:
	s_waitcnt vmcnt(0)
	v_mov_b32_e32 v5, 0
.LBB504_928:
	s_cbranch_execnz .LBB504_948
.LBB504_929:
	s_sext_i32_i16 s22, s33
	s_cmp_lt_i32 s22, 2
	s_cbranch_scc1 .LBB504_933
; %bb.930:
	s_cmp_lt_i32 s22, 3
	s_cbranch_scc1 .LBB504_934
; %bb.931:
	s_cmp_gt_i32 s22, 3
	s_cbranch_scc0 .LBB504_935
; %bb.932:
	global_load_dwordx2 v[2:3], v[0:1], off
	s_mov_b64 s[22:23], 0
	s_waitcnt vmcnt(0)
	v_xor_b32_e32 v5, v2, v3
	v_ffbh_i32_e32 v4, v3
	v_ashrrev_i32_e32 v5, 31, v5
	v_add_u32_e32 v4, -1, v4
	v_add_u32_e32 v5, 32, v5
	v_min_u32_e32 v4, v4, v5
	v_lshlrev_b64 v[2:3], v4, v[2:3]
	v_min_u32_e32 v2, 1, v2
	v_or_b32_e32 v2, v3, v2
	v_cvt_f32_i32_e32 v2, v2
	v_sub_u32_e32 v3, 32, v4
	v_ldexp_f32 v4, v2, v3
	s_branch .LBB504_936
.LBB504_933:
                                        ; implicit-def: $vgpr4
	s_branch .LBB504_942
.LBB504_934:
	s_mov_b64 s[22:23], -1
                                        ; implicit-def: $vgpr4
	s_branch .LBB504_939
.LBB504_935:
	s_mov_b64 s[22:23], -1
                                        ; implicit-def: $vgpr4
.LBB504_936:
	s_andn2_b64 vcc, exec, s[22:23]
	s_cbranch_vccnz .LBB504_938
; %bb.937:
	global_load_dword v2, v[0:1], off
	s_waitcnt vmcnt(0)
	v_cvt_f32_i32_e32 v4, v2
.LBB504_938:
	s_mov_b64 s[22:23], 0
.LBB504_939:
	s_andn2_b64 vcc, exec, s[22:23]
	s_cbranch_vccnz .LBB504_941
; %bb.940:
	global_load_sshort v2, v[0:1], off
	s_waitcnt vmcnt(0)
	v_cvt_f32_i32_e32 v4, v2
.LBB504_941:
	s_cbranch_execnz .LBB504_947
.LBB504_942:
	s_sext_i32_i16 s22, s33
	s_cmp_gt_i32 s22, 0
	s_cbranch_scc0 .LBB504_944
; %bb.943:
	global_load_sbyte v2, v[0:1], off
	s_mov_b64 s[22:23], 0
	s_waitcnt vmcnt(0)
	v_cvt_f32_i32_e32 v4, v2
	s_branch .LBB504_945
.LBB504_944:
	s_mov_b64 s[22:23], -1
                                        ; implicit-def: $vgpr4
.LBB504_945:
	s_andn2_b64 vcc, exec, s[22:23]
	s_cbranch_vccnz .LBB504_947
; %bb.946:
	global_load_ubyte v0, v[0:1], off
	s_waitcnt vmcnt(0)
	v_cvt_f32_ubyte0_e32 v4, v0
.LBB504_947:
	s_waitcnt vmcnt(0)
	v_mov_b32_e32 v5, 0
.LBB504_948:
	s_or_b64 s[0:1], s[0:1], exec
.LBB504_949:
	s_or_b64 exec, exec, s[18:19]
	s_mov_b64 s[24:25], 0
	s_mov_b64 s[22:23], 0
                                        ; implicit-def: $sgpr30
                                        ; implicit-def: $vgpr2_vgpr3
                                        ; implicit-def: $vgpr1
	s_and_saveexec_b64 s[18:19], s[0:1]
	s_cbranch_execz .LBB504_965
; %bb.950:
	s_waitcnt vmcnt(0)
	v_cmp_o_f32_e32 vcc, v4, v4
	v_mov_b32_e32 v0, s10
	s_and_saveexec_b64 s[0:1], vcc
	s_cbranch_execz .LBB504_954
; %bb.951:
	s_mov_b32 s22, 0x7f800000
	v_cmp_neq_f32_e32 vcc, s22, v4
	v_mov_b32_e32 v0, s11
	s_and_saveexec_b64 s[22:23], vcc
; %bb.952:
	s_mov_b32 s24, 0xff800000
	v_mov_b32_e32 v0, s12
	v_cmp_eq_f32_e32 vcc, s24, v4
	s_nop 1
	v_cndmask_b32_e32 v0, v4, v0, vcc
; %bb.953:
	s_or_b64 exec, exec, s[22:23]
.LBB504_954:
	s_or_b64 exec, exec, s[0:1]
	v_cmp_o_f32_e32 vcc, v5, v5
	v_mov_b32_e32 v1, s10
	s_and_saveexec_b64 s[0:1], vcc
	s_cbranch_execz .LBB504_958
; %bb.955:
	s_mov_b32 s22, 0x7f800000
	v_cmp_neq_f32_e32 vcc, s22, v5
	v_mov_b32_e32 v1, s11
	s_and_saveexec_b64 s[22:23], vcc
; %bb.956:
	s_mov_b32 s24, 0xff800000
	v_mov_b32_e32 v1, s12
	v_cmp_eq_f32_e32 vcc, s24, v5
	s_nop 1
	v_cndmask_b32_e32 v1, v5, v1, vcc
; %bb.957:
	s_or_b64 exec, exec, s[22:23]
.LBB504_958:
	s_or_b64 exec, exec, s[0:1]
	v_mul_lo_u32 v2, v10, s8
	v_ashrrev_i32_e32 v3, 31, v2
	s_and_b32 s30, s13, 0xff
	s_cmp_lt_i32 s30, 11
	v_lshl_add_u64 v[2:3], s[4:5], 0, v[2:3]
	s_cbranch_scc1 .LBB504_968
; %bb.959:
	s_and_b32 s31, 0xffff, s30
	s_mov_b64 s[24:25], -1
	s_cmp_gt_i32 s31, 25
	s_mov_b64 s[0:1], s[16:17]
	s_cbranch_scc0 .LBB504_996
; %bb.960:
	s_mov_b64 s[22:23], -1
	s_cmp_gt_i32 s31, 28
	s_mov_b64 s[0:1], s[16:17]
	s_cbranch_scc0 .LBB504_980
; %bb.961:
	s_cmp_gt_i32 s31, 43
	s_mov_b64 s[0:1], s[16:17]
	s_cbranch_scc0 .LBB504_976
; %bb.962:
	;; [unrolled: 4-line block ×3, first 2 shown]
	s_cmp_eq_u32 s31, 46
	s_mov_b64 s[0:1], -1
	s_cbranch_scc0 .LBB504_969
; %bb.964:
	s_movk_i32 s0, 0x7fff
	v_bfe_u32 v5, v1, 16, 1
	v_add3_u32 v5, v1, v5, s0
	v_bfe_u32 v4, v0, 16, 1
	v_and_b32_e32 v5, 0xffff0000, v5
	v_mov_b32_e32 v6, 0x7fc00000
	v_cmp_o_f32_e32 vcc, v1, v1
	v_add3_u32 v4, v0, v4, s0
	s_mov_b64 s[0:1], 0
	v_cndmask_b32_e32 v5, v6, v5, vcc
	v_cmp_o_f32_e32 vcc, v0, v0
	v_mov_b32_e32 v6, 0x7fc0
	s_mov_b64 s[22:23], 0
	v_cndmask_b32_sdwa v4, v6, v4, vcc dst_sel:DWORD dst_unused:UNUSED_PAD src0_sel:DWORD src1_sel:WORD_1
	v_or_b32_e32 v4, v5, v4
	global_store_dword v[2:3], v4, off
	s_branch .LBB504_970
.LBB504_965:
	s_or_b64 exec, exec, s[18:19]
	s_and_saveexec_b64 s[0:1], s[16:17]
	s_cbranch_execnz .LBB504_1038
.LBB504_966:
	s_or_b64 exec, exec, s[0:1]
	s_and_saveexec_b64 s[0:1], s[24:25]
	s_xor_b64 s[16:17], exec, s[0:1]
	s_cbranch_execz .LBB504_1039
.LBB504_967:
	v_cmp_neq_f32_e32 vcc, 0, v0
	v_cmp_neq_f32_e64 s[0:1], 0, v1
	s_or_b64 s[0:1], vcc, s[0:1]
	s_waitcnt vmcnt(0)
	v_cndmask_b32_e64 v4, 0, 1, s[0:1]
	global_store_byte v[2:3], v4, off
	s_or_b64 exec, exec, s[16:17]
	s_and_saveexec_b64 s[0:1], s[22:23]
	s_xor_b64 s[0:1], exec, s[0:1]
	s_cbranch_execz .LBB504_1077
	s_branch .LBB504_1040
.LBB504_968:
	s_mov_b64 s[24:25], 0
	s_mov_b64 s[22:23], -1
	s_mov_b64 s[0:1], s[16:17]
	s_branch .LBB504_1037
.LBB504_969:
	s_mov_b64 s[22:23], 0
.LBB504_970:
	s_and_b64 vcc, exec, s[22:23]
	s_cbranch_vccz .LBB504_975
; %bb.971:
	s_cmp_eq_u32 s31, 44
	s_mov_b64 s[0:1], -1
	s_cbranch_scc0 .LBB504_975
; %bb.972:
	v_bfe_u32 v4, v0, 23, 8
	s_movk_i32 s0, 0xff
	v_cmp_ne_u32_e32 vcc, s0, v4
	v_mov_b32_e32 v5, 0xff
	s_and_saveexec_b64 s[22:23], vcc
; %bb.973:
	s_mov_b32 s0, 0x3fffff
	v_and_b32_e32 v6, 0x400000, v0
	v_and_or_b32 v4, v0, s0, v4
	v_cmp_ne_u32_e32 vcc, 0, v6
	v_cmp_ne_u32_e64 s[0:1], 0, v4
	s_and_b64 s[0:1], vcc, s[0:1]
	v_lshrrev_b32_e32 v5, 23, v0
	v_cndmask_b32_e64 v4, 0, 1, s[0:1]
	v_add_u32_e32 v5, v5, v4
; %bb.974:
	s_or_b64 exec, exec, s[22:23]
	s_mov_b64 s[0:1], 0
	global_store_byte v[2:3], v5, off
.LBB504_975:
	s_mov_b64 s[22:23], 0
.LBB504_976:
	s_and_b64 vcc, exec, s[22:23]
	s_cbranch_vccz .LBB504_979
; %bb.977:
	s_cmp_eq_u32 s31, 29
	s_mov_b64 s[0:1], -1
	s_cbranch_scc0 .LBB504_979
; %bb.978:
	v_trunc_f32_e32 v4, v0
	v_mul_f32_e32 v5, 0x2f800000, v4
	v_floor_f32_e32 v6, v5
	v_fmamk_f32 v4, v6, 0xcf800000, v4
	v_cvt_u32_f32_e32 v5, v6
	v_cvt_u32_f32_e32 v4, v4
	s_mov_b64 s[0:1], 0
	s_mov_b64 s[22:23], 0
	global_store_dwordx2 v[2:3], v[4:5], off
	s_branch .LBB504_980
.LBB504_979:
	s_mov_b64 s[22:23], 0
.LBB504_980:
	s_and_b64 vcc, exec, s[22:23]
	s_cbranch_vccz .LBB504_995
; %bb.981:
	s_cmp_lt_i32 s31, 27
	s_mov_b64 s[22:23], -1
	s_cbranch_scc1 .LBB504_987
; %bb.982:
	v_cvt_u32_f32_e32 v4, v0
	s_cmp_gt_i32 s31, 27
	s_cbranch_scc0 .LBB504_984
; %bb.983:
	s_mov_b64 s[22:23], 0
	global_store_dword v[2:3], v4, off
.LBB504_984:
	s_andn2_b64 vcc, exec, s[22:23]
	s_cbranch_vccnz .LBB504_986
; %bb.985:
	global_store_short v[2:3], v4, off
.LBB504_986:
	s_mov_b64 s[22:23], 0
.LBB504_987:
	s_andn2_b64 vcc, exec, s[22:23]
	s_cbranch_vccnz .LBB504_995
; %bb.988:
	v_and_b32_e32 v4, 0x7fffffff, v0
	s_mov_b32 s22, 0x43800000
	v_cmp_gt_u32_e32 vcc, s22, v4
	v_mov_b32_e32 v5, 0x80
	s_and_saveexec_b64 s[22:23], vcc
	s_cbranch_execz .LBB504_994
; %bb.989:
	s_mov_b32 s24, 0x3bffffff
	v_cmp_lt_u32_e32 vcc, s24, v4
	s_mov_b64 s[24:25], 0
                                        ; implicit-def: $vgpr4
	s_and_saveexec_b64 s[26:27], vcc
	s_xor_b64 s[26:27], exec, s[26:27]
	s_cbranch_execz .LBB504_1092
; %bb.990:
	v_bfe_u32 v4, v0, 20, 1
	s_mov_b32 s28, 0x487ffff
	v_add3_u32 v4, v0, v4, s28
	s_mov_b64 s[24:25], exec
	v_lshrrev_b32_e32 v4, 20, v4
	s_andn2_saveexec_b64 s[26:27], s[26:27]
	s_cbranch_execnz .LBB504_1093
.LBB504_991:
	s_or_b64 exec, exec, s[26:27]
	v_mov_b32_e32 v5, 0
	s_and_saveexec_b64 s[26:27], s[24:25]
.LBB504_992:
	v_lshrrev_b32_e32 v5, 24, v0
	s_movk_i32 s24, 0x80
	v_and_or_b32 v5, v5, s24, v4
.LBB504_993:
	s_or_b64 exec, exec, s[26:27]
.LBB504_994:
	s_or_b64 exec, exec, s[22:23]
	global_store_byte v[2:3], v5, off
.LBB504_995:
	s_mov_b64 s[24:25], 0
.LBB504_996:
	s_mov_b64 s[22:23], 0
	s_and_b64 vcc, exec, s[24:25]
	s_cbranch_vccz .LBB504_1036
; %bb.997:
	s_cmp_gt_i32 s31, 22
	s_mov_b64 s[24:25], -1
	s_cbranch_scc0 .LBB504_1029
; %bb.998:
	s_cmp_lt_i32 s31, 24
	s_cbranch_scc1 .LBB504_1018
; %bb.999:
	s_cmp_gt_i32 s31, 24
	s_cbranch_scc0 .LBB504_1007
; %bb.1000:
	v_and_b32_e32 v4, 0x7fffffff, v0
	s_mov_b32 s24, 0x47800000
	v_cmp_gt_u32_e32 vcc, s24, v4
	v_mov_b32_e32 v5, 0x80
	s_and_saveexec_b64 s[24:25], vcc
	s_cbranch_execz .LBB504_1006
; %bb.1001:
	s_mov_b32 s26, 0x37ffffff
	v_cmp_lt_u32_e32 vcc, s26, v4
	s_mov_b64 s[26:27], 0
                                        ; implicit-def: $vgpr4
	s_and_saveexec_b64 s[28:29], vcc
	s_xor_b64 s[28:29], exec, s[28:29]
	s_cbranch_execz .LBB504_1231
; %bb.1002:
	v_bfe_u32 v4, v0, 21, 1
	s_mov_b32 s34, 0x88fffff
	v_add3_u32 v4, v0, v4, s34
	s_mov_b64 s[26:27], exec
	v_lshrrev_b32_e32 v4, 21, v4
	s_andn2_saveexec_b64 s[28:29], s[28:29]
	s_cbranch_execnz .LBB504_1232
.LBB504_1003:
	s_or_b64 exec, exec, s[28:29]
	v_mov_b32_e32 v5, 0
	s_and_saveexec_b64 s[28:29], s[26:27]
.LBB504_1004:
	v_lshrrev_b32_e32 v5, 24, v0
	s_movk_i32 s26, 0x80
	v_and_or_b32 v5, v5, s26, v4
.LBB504_1005:
	s_or_b64 exec, exec, s[28:29]
.LBB504_1006:
	s_or_b64 exec, exec, s[24:25]
	s_mov_b64 s[24:25], 0
	global_store_byte v[2:3], v5, off
.LBB504_1007:
	s_and_b64 vcc, exec, s[24:25]
	s_cbranch_vccz .LBB504_1017
; %bb.1008:
	v_and_b32_e32 v5, 0x7fffffff, v0
	s_mov_b32 s24, 0x43f00000
	v_cmp_gt_u32_e32 vcc, s24, v5
                                        ; implicit-def: $vgpr4
	s_and_saveexec_b64 s[24:25], vcc
	s_xor_b64 s[24:25], exec, s[24:25]
	s_cbranch_execz .LBB504_1014
; %bb.1009:
	s_mov_b32 s26, 0x3c7fffff
	v_cmp_lt_u32_e32 vcc, s26, v5
                                        ; implicit-def: $vgpr4
	s_and_saveexec_b64 s[26:27], vcc
	s_xor_b64 s[26:27], exec, s[26:27]
; %bb.1010:
	v_bfe_u32 v4, v0, 20, 1
	s_mov_b32 s28, 0x407ffff
	v_add3_u32 v4, v0, v4, s28
	v_lshrrev_b32_e32 v5, 20, v4
	v_and_b32_e32 v4, 0xff00000, v4
	s_mov_b32 s28, 0x7f00000
	v_mov_b32_e32 v6, 0x7e
	v_cmp_ne_u32_e32 vcc, s28, v4
	s_nop 1
	v_cndmask_b32_e32 v4, v6, v5, vcc
; %bb.1011:
	s_andn2_saveexec_b64 s[26:27], s[26:27]
; %bb.1012:
	s_mov_b32 s28, 0x46800000
	v_add_f32_e64 v4, |v0|, s28
; %bb.1013:
	s_or_b64 exec, exec, s[26:27]
                                        ; implicit-def: $vgpr5
.LBB504_1014:
	s_andn2_saveexec_b64 s[24:25], s[24:25]
; %bb.1015:
	s_mov_b32 s26, 0x7f800000
	v_mov_b32_e32 v4, 0x7e
	v_mov_b32_e32 v6, 0x7f
	v_cmp_lt_u32_e32 vcc, s26, v5
	s_nop 1
	v_cndmask_b32_e32 v4, v4, v6, vcc
; %bb.1016:
	s_or_b64 exec, exec, s[24:25]
	v_lshrrev_b32_e32 v5, 24, v0
	s_movk_i32 s24, 0x80
	v_and_or_b32 v4, v5, s24, v4
	global_store_byte v[2:3], v4, off
.LBB504_1017:
	s_mov_b64 s[24:25], 0
.LBB504_1018:
	s_andn2_b64 vcc, exec, s[24:25]
	s_cbranch_vccnz .LBB504_1028
; %bb.1019:
	v_and_b32_e32 v5, 0x7fffffff, v0
	s_mov_b32 s24, 0x47800000
	v_cmp_gt_u32_e32 vcc, s24, v5
                                        ; implicit-def: $vgpr4
	s_and_saveexec_b64 s[24:25], vcc
	s_xor_b64 s[24:25], exec, s[24:25]
	s_cbranch_execz .LBB504_1025
; %bb.1020:
	s_mov_b32 s26, 0x387fffff
	v_cmp_lt_u32_e32 vcc, s26, v5
                                        ; implicit-def: $vgpr4
	s_and_saveexec_b64 s[26:27], vcc
	s_xor_b64 s[26:27], exec, s[26:27]
; %bb.1021:
	v_bfe_u32 v4, v0, 21, 1
	s_mov_b32 s28, 0x80fffff
	v_add3_u32 v4, v0, v4, s28
	v_lshrrev_b32_e32 v4, 21, v4
; %bb.1022:
	s_andn2_saveexec_b64 s[26:27], s[26:27]
; %bb.1023:
	s_mov_b32 s28, 0x43000000
	v_add_f32_e64 v4, |v0|, s28
; %bb.1024:
	s_or_b64 exec, exec, s[26:27]
                                        ; implicit-def: $vgpr5
.LBB504_1025:
	s_andn2_saveexec_b64 s[24:25], s[24:25]
; %bb.1026:
	s_mov_b32 s26, 0x7f800000
	v_mov_b32_e32 v4, 0x7c
	v_mov_b32_e32 v6, 0x7f
	v_cmp_lt_u32_e32 vcc, s26, v5
	s_nop 1
	v_cndmask_b32_e32 v4, v4, v6, vcc
; %bb.1027:
	s_or_b64 exec, exec, s[24:25]
	v_lshrrev_b32_e32 v5, 24, v0
	s_movk_i32 s24, 0x80
	v_and_or_b32 v4, v5, s24, v4
	global_store_byte v[2:3], v4, off
.LBB504_1028:
	s_mov_b64 s[24:25], 0
.LBB504_1029:
	s_andn2_b64 vcc, exec, s[24:25]
	s_mov_b64 s[24:25], 0
	s_cbranch_vccnz .LBB504_1037
; %bb.1030:
	s_cmp_gt_i32 s31, 14
	s_mov_b64 s[26:27], -1
	s_cbranch_scc0 .LBB504_1034
; %bb.1031:
	s_cmp_eq_u32 s31, 15
	s_mov_b64 s[0:1], -1
	s_cbranch_scc0 .LBB504_1033
; %bb.1032:
	v_bfe_u32 v4, v0, 16, 1
	s_movk_i32 s0, 0x7fff
	v_add3_u32 v4, v0, v4, s0
	v_cmp_o_f32_e32 vcc, v0, v0
	v_mov_b32_e32 v5, 0x7fc0
	s_mov_b64 s[0:1], 0
	v_cndmask_b32_sdwa v4, v5, v4, vcc dst_sel:DWORD dst_unused:UNUSED_PAD src0_sel:DWORD src1_sel:WORD_1
	global_store_short v[2:3], v4, off
.LBB504_1033:
	s_mov_b64 s[26:27], 0
.LBB504_1034:
	s_and_b64 vcc, exec, s[26:27]
	s_cbranch_vccz .LBB504_1037
; %bb.1035:
	s_cmp_lg_u32 s31, 11
	s_cselect_b64 s[26:27], -1, 0
	s_andn2_b64 s[0:1], s[0:1], exec
	s_and_b64 s[26:27], s[26:27], exec
	s_mov_b64 s[24:25], -1
	s_or_b64 s[0:1], s[0:1], s[26:27]
	s_branch .LBB504_1037
.LBB504_1036:
	s_mov_b64 s[24:25], 0
.LBB504_1037:
	s_andn2_b64 s[16:17], s[16:17], exec
	s_and_b64 s[0:1], s[0:1], exec
	s_and_b64 s[22:23], s[22:23], exec
	;; [unrolled: 1-line block ×3, first 2 shown]
	s_or_b64 s[16:17], s[16:17], s[0:1]
	s_or_b64 exec, exec, s[18:19]
	s_and_saveexec_b64 s[0:1], s[16:17]
	s_cbranch_execz .LBB504_966
.LBB504_1038:
	s_or_b64 s[20:21], s[20:21], exec
	s_andn2_b64 s[24:25], s[24:25], exec
	s_trap 2
	s_or_b64 exec, exec, s[0:1]
	s_and_saveexec_b64 s[0:1], s[24:25]
	s_xor_b64 s[16:17], exec, s[0:1]
	s_cbranch_execnz .LBB504_967
.LBB504_1039:
	s_or_b64 exec, exec, s[16:17]
	s_and_saveexec_b64 s[0:1], s[22:23]
	s_xor_b64 s[0:1], exec, s[0:1]
	s_cbranch_execz .LBB504_1077
.LBB504_1040:
	s_sext_i32_i16 s18, s30
	s_cmp_lt_i32 s18, 5
	s_mov_b64 s[16:17], -1
	s_cbranch_scc1 .LBB504_1061
; %bb.1041:
	s_cmp_lt_i32 s18, 8
	s_cbranch_scc1 .LBB504_1051
; %bb.1042:
	s_cmp_lt_i32 s18, 9
	s_cbranch_scc1 .LBB504_1048
; %bb.1043:
	s_cmp_gt_i32 s18, 9
	s_cbranch_scc0 .LBB504_1045
; %bb.1044:
	s_waitcnt vmcnt(0)
	v_cvt_f64_f32_e32 v[4:5], v0
	v_cvt_f64_f32_e32 v[6:7], v1
	s_mov_b64 s[16:17], 0
	global_store_dwordx4 v[2:3], v[4:7], off
.LBB504_1045:
	s_andn2_b64 vcc, exec, s[16:17]
	s_cbranch_vccnz .LBB504_1047
; %bb.1046:
	s_waitcnt vmcnt(0)
	global_store_dwordx2 v[2:3], v[0:1], off
.LBB504_1047:
	s_mov_b64 s[16:17], 0
.LBB504_1048:
	s_andn2_b64 vcc, exec, s[16:17]
	s_cbranch_vccnz .LBB504_1050
; %bb.1049:
	s_waitcnt vmcnt(0)
	v_cvt_f16_f32_e32 v4, v0
	v_cvt_f16_f32_sdwa v1, v1 dst_sel:WORD_1 dst_unused:UNUSED_PAD src0_sel:DWORD
	s_nop 0
	v_or_b32_e32 v1, v1, v4
	global_store_dword v[2:3], v1, off
.LBB504_1050:
	s_mov_b64 s[16:17], 0
.LBB504_1051:
	s_andn2_b64 vcc, exec, s[16:17]
	s_cbranch_vccnz .LBB504_1060
; %bb.1052:
	s_sext_i32_i16 s18, s30
	s_cmp_lt_i32 s18, 6
	s_mov_b64 s[16:17], -1
	s_cbranch_scc1 .LBB504_1058
; %bb.1053:
	s_cmp_gt_i32 s18, 6
	s_cbranch_scc0 .LBB504_1055
; %bb.1054:
	s_waitcnt vmcnt(0)
	v_cvt_f64_f32_e32 v[4:5], v0
	s_mov_b64 s[16:17], 0
	global_store_dwordx2 v[2:3], v[4:5], off
.LBB504_1055:
	s_andn2_b64 vcc, exec, s[16:17]
	s_cbranch_vccnz .LBB504_1057
; %bb.1056:
	s_waitcnt vmcnt(0)
	global_store_dword v[2:3], v0, off
.LBB504_1057:
	s_mov_b64 s[16:17], 0
.LBB504_1058:
	s_andn2_b64 vcc, exec, s[16:17]
	s_cbranch_vccnz .LBB504_1060
; %bb.1059:
	v_cvt_f16_f32_e32 v1, v0
	s_waitcnt vmcnt(0)
	global_store_short v[2:3], v1, off
.LBB504_1060:
	s_mov_b64 s[16:17], 0
.LBB504_1061:
	s_andn2_b64 vcc, exec, s[16:17]
	s_cbranch_vccnz .LBB504_1077
; %bb.1062:
	s_sext_i32_i16 s18, s30
	s_cmp_lt_i32 s18, 2
	s_mov_b64 s[16:17], -1
	s_cbranch_scc1 .LBB504_1072
; %bb.1063:
	s_cmp_lt_i32 s18, 3
	s_cbranch_scc1 .LBB504_1069
; %bb.1064:
	s_cmp_gt_i32 s18, 3
	s_cbranch_scc0 .LBB504_1066
; %bb.1065:
	v_trunc_f32_e32 v1, v0
	s_mov_b32 s16, 0x2f800000
	s_waitcnt vmcnt(0)
	v_mul_f32_e64 v4, |v1|, s16
	v_floor_f32_e32 v4, v4
	s_mov_b32 s16, 0xcf800000
	v_cvt_u32_f32_e32 v5, v4
	v_fma_f32 v4, v4, s16, |v1|
	v_cvt_u32_f32_e32 v4, v4
	v_ashrrev_i32_e32 v1, 31, v1
	v_xor_b32_e32 v5, v5, v1
	s_mov_b64 s[16:17], 0
	v_xor_b32_e32 v4, v4, v1
	v_sub_co_u32_e32 v4, vcc, v4, v1
	s_nop 1
	v_subb_co_u32_e32 v5, vcc, v5, v1, vcc
	global_store_dwordx2 v[2:3], v[4:5], off
.LBB504_1066:
	s_andn2_b64 vcc, exec, s[16:17]
	s_cbranch_vccnz .LBB504_1068
; %bb.1067:
	v_cvt_i32_f32_e32 v1, v0
	s_waitcnt vmcnt(0)
	global_store_dword v[2:3], v1, off
.LBB504_1068:
	s_mov_b64 s[16:17], 0
.LBB504_1069:
	s_andn2_b64 vcc, exec, s[16:17]
	s_cbranch_vccnz .LBB504_1071
; %bb.1070:
	v_cvt_i32_f32_e32 v1, v0
	s_waitcnt vmcnt(0)
	global_store_short v[2:3], v1, off
.LBB504_1071:
	s_mov_b64 s[16:17], 0
.LBB504_1072:
	s_andn2_b64 vcc, exec, s[16:17]
	s_cbranch_vccnz .LBB504_1077
; %bb.1073:
	s_sext_i32_i16 s16, s30
	s_cmp_gt_i32 s16, 0
	s_mov_b64 s[16:17], -1
	s_cbranch_scc0 .LBB504_1075
; %bb.1074:
	v_cvt_i32_f32_e32 v1, v0
	s_mov_b64 s[16:17], 0
	s_waitcnt vmcnt(0)
	global_store_byte v[2:3], v1, off
.LBB504_1075:
	s_andn2_b64 vcc, exec, s[16:17]
	s_cbranch_vccnz .LBB504_1077
; %bb.1076:
	v_trunc_f32_e32 v0, v0
	s_mov_b32 s16, 0x2f800000
	v_mul_f32_e64 v1, |v0|, s16
	v_floor_f32_e32 v1, v1
	s_mov_b32 s16, 0xcf800000
	v_fma_f32 v1, v1, s16, |v0|
	v_cvt_u32_f32_e32 v1, v1
	v_ashrrev_i32_e32 v0, 31, v0
	v_xor_b32_e32 v1, v1, v0
	v_sub_u32_e32 v0, v1, v0
	s_waitcnt vmcnt(0)
	global_store_byte v[2:3], v0, off
.LBB504_1077:
	s_or_b64 exec, exec, s[0:1]
	s_and_b64 s[16:17], s[20:21], exec
                                        ; implicit-def: $vgpr10
.LBB504_1078:
	s_or_saveexec_b64 s[14:15], s[14:15]
	s_mov_b64 s[20:21], 0
                                        ; implicit-def: $sgpr22
                                        ; implicit-def: $vgpr0_vgpr1
                                        ; implicit-def: $vgpr5
	s_xor_b64 exec, exec, s[14:15]
	s_cbranch_execz .LBB504_1725
; %bb.1079:
	s_waitcnt vmcnt(0)
	v_mul_lo_u32 v2, s9, v10
	v_ashrrev_i32_e32 v3, 31, v2
	s_and_b32 s26, 0xffff, s33
	s_cmp_lt_i32 s26, 11
	v_lshl_add_u64 v[0:1], s[6:7], 0, v[2:3]
	s_cbranch_scc1 .LBB504_1086
; %bb.1080:
	s_cmp_gt_i32 s26, 25
	s_cbranch_scc0 .LBB504_1088
; %bb.1081:
	s_cmp_gt_i32 s26, 28
	s_cbranch_scc0 .LBB504_1089
	;; [unrolled: 3-line block ×4, first 2 shown]
; %bb.1084:
	s_cmp_eq_u32 s26, 46
	s_mov_b64 s[18:19], 0
	s_cbranch_scc0 .LBB504_1094
; %bb.1085:
	global_load_dword v3, v[0:1], off
	s_mov_b64 s[0:1], 0
	s_mov_b64 s[20:21], -1
	s_waitcnt vmcnt(0)
	v_and_b32_e32 v5, 0xffff0000, v3
	v_lshlrev_b32_e32 v4, 16, v3
	s_branch .LBB504_1096
.LBB504_1086:
                                        ; implicit-def: $vgpr5
	s_mov_b64 s[18:19], s[16:17]
	s_cbranch_execnz .LBB504_1162
.LBB504_1087:
	s_andn2_b64 vcc, exec, s[20:21]
	s_cbranch_vccz .LBB504_1209
	s_branch .LBB504_1722
.LBB504_1088:
	s_mov_b64 s[0:1], 0
                                        ; implicit-def: $vgpr5
	s_cbranch_execnz .LBB504_1126
	s_branch .LBB504_1158
.LBB504_1089:
	s_mov_b64 s[0:1], 0
                                        ; implicit-def: $vgpr5
	s_cbranch_execnz .LBB504_1108
	s_branch .LBB504_1125
.LBB504_1090:
	s_mov_b64 s[18:19], -1
	s_mov_b64 s[0:1], 0
                                        ; implicit-def: $vgpr5
	s_branch .LBB504_1102
.LBB504_1091:
	s_mov_b64 s[18:19], -1
	s_mov_b64 s[0:1], 0
	s_branch .LBB504_1095
.LBB504_1092:
	s_andn2_saveexec_b64 s[26:27], s[26:27]
	s_cbranch_execz .LBB504_991
.LBB504_1093:
	s_mov_b32 s28, 0x46000000
	v_add_f32_e64 v4, |v0|, s28
	v_and_b32_e32 v4, 0xff, v4
	v_cmp_ne_u32_e32 vcc, 0, v4
	s_andn2_b64 s[24:25], s[24:25], exec
	s_and_b64 s[28:29], vcc, exec
	s_or_b64 s[24:25], s[24:25], s[28:29]
	s_or_b64 exec, exec, s[26:27]
	v_mov_b32_e32 v5, 0
	s_and_saveexec_b64 s[26:27], s[24:25]
	s_cbranch_execnz .LBB504_992
	s_branch .LBB504_993
.LBB504_1094:
	s_mov_b64 s[0:1], -1
.LBB504_1095:
                                        ; implicit-def: $vgpr5
.LBB504_1096:
	s_and_b64 vcc, exec, s[18:19]
	s_cbranch_vccz .LBB504_1101
; %bb.1097:
	s_cmp_eq_u32 s26, 44
	s_cbranch_scc0 .LBB504_1099
; %bb.1098:
	global_load_ubyte v3, v[0:1], off
	s_movk_i32 s18, 0xff
	v_mov_b32_e32 v4, 0x7f800001
	v_mov_b32_e32 v5, 0x400000
	s_mov_b64 s[0:1], 0
	s_mov_b64 s[20:21], -1
	s_waitcnt vmcnt(0)
	v_lshlrev_b32_e32 v6, 23, v3
	v_cmp_ne_u32_e32 vcc, s18, v3
	s_nop 1
	v_cndmask_b32_e32 v4, v4, v6, vcc
	v_cmp_ne_u32_e32 vcc, 0, v3
	s_nop 1
	v_cndmask_b32_e32 v4, v5, v4, vcc
	s_branch .LBB504_1100
.LBB504_1099:
	s_mov_b64 s[0:1], -1
                                        ; implicit-def: $vgpr4
.LBB504_1100:
	v_mov_b32_e32 v5, 0
.LBB504_1101:
	s_mov_b64 s[18:19], 0
.LBB504_1102:
	s_and_b64 vcc, exec, s[18:19]
	s_cbranch_vccz .LBB504_1107
; %bb.1103:
	s_cmp_eq_u32 s26, 29
	s_cbranch_scc0 .LBB504_1105
; %bb.1104:
	global_load_dwordx2 v[4:5], v[0:1], off
	s_mov_b64 s[0:1], 0
	s_mov_b64 s[20:21], -1
	s_waitcnt vmcnt(0)
	v_ffbh_u32_e32 v3, v5
	v_min_u32_e32 v3, 32, v3
	v_lshlrev_b64 v[4:5], v3, v[4:5]
	v_min_u32_e32 v4, 1, v4
	v_or_b32_e32 v4, v5, v4
	v_cvt_f32_u32_e32 v4, v4
	v_sub_u32_e32 v3, 32, v3
	v_ldexp_f32 v4, v4, v3
	s_branch .LBB504_1106
.LBB504_1105:
	s_mov_b64 s[0:1], -1
                                        ; implicit-def: $vgpr4
.LBB504_1106:
	v_mov_b32_e32 v5, 0
.LBB504_1107:
	s_branch .LBB504_1125
.LBB504_1108:
	s_cmp_lt_i32 s26, 27
	s_cbranch_scc1 .LBB504_1111
; %bb.1109:
	s_cmp_gt_i32 s26, 27
	s_cbranch_scc0 .LBB504_1112
; %bb.1110:
	global_load_dword v3, v[0:1], off
	s_mov_b64 s[18:19], 0
	s_waitcnt vmcnt(0)
	v_cvt_f32_u32_e32 v4, v3
	s_branch .LBB504_1113
.LBB504_1111:
	s_mov_b64 s[18:19], -1
                                        ; implicit-def: $vgpr4
	s_branch .LBB504_1116
.LBB504_1112:
	s_mov_b64 s[18:19], -1
                                        ; implicit-def: $vgpr4
.LBB504_1113:
	s_andn2_b64 vcc, exec, s[18:19]
	s_cbranch_vccnz .LBB504_1115
; %bb.1114:
	global_load_ushort v3, v[0:1], off
	s_waitcnt vmcnt(0)
	v_cvt_f32_u32_e32 v4, v3
.LBB504_1115:
	s_mov_b64 s[18:19], 0
.LBB504_1116:
	s_andn2_b64 vcc, exec, s[18:19]
	s_cbranch_vccnz .LBB504_1124
; %bb.1117:
	global_load_ubyte v3, v[0:1], off
	s_movk_i32 s18, 0x7f
	s_waitcnt vmcnt(0)
	v_cmp_lt_i16_e32 vcc, s18, v3
	s_mov_b64 s[18:19], 0
	s_and_saveexec_b64 s[20:21], vcc
	s_xor_b64 s[20:21], exec, s[20:21]
	s_cbranch_execz .LBB504_1137
; %bb.1118:
	s_movk_i32 s18, 0x80
	v_cmp_eq_u16_e32 vcc, s18, v3
	s_mov_b64 s[18:19], -1
	s_and_saveexec_b64 s[22:23], vcc
; %bb.1119:
	s_xor_b64 s[18:19], exec, -1
; %bb.1120:
	s_or_b64 exec, exec, s[22:23]
	s_and_b64 s[18:19], s[18:19], exec
	s_or_saveexec_b64 s[20:21], s[20:21]
	v_mov_b32_e32 v4, 0x7f800001
	s_xor_b64 exec, exec, s[20:21]
	s_cbranch_execnz .LBB504_1138
.LBB504_1121:
	s_or_b64 exec, exec, s[20:21]
	s_and_saveexec_b64 s[20:21], s[18:19]
	s_cbranch_execz .LBB504_1123
.LBB504_1122:
	v_lshlrev_b32_e32 v4, 24, v3
	v_and_b32_e32 v3, 0xffff, v3
	v_and_b32_e32 v5, 7, v3
	v_ffbh_u32_e32 v7, v5
	v_min_u32_e32 v7, 32, v7
	v_subrev_u32_e32 v8, 28, v7
	v_bfe_u32 v6, v3, 3, 4
	v_lshlrev_b32_e32 v3, v8, v3
	v_sub_u32_e32 v7, 29, v7
	v_and_b32_e32 v3, 7, v3
	v_cmp_eq_u32_e32 vcc, 0, v6
	v_and_b32_e32 v4, 0x80000000, v4
	s_nop 0
	v_cndmask_b32_e32 v6, v6, v7, vcc
	v_cndmask_b32_e32 v3, v5, v3, vcc
	v_mov_b32_e32 v5, 0x3b800000
	v_lshlrev_b32_e32 v3, 20, v3
	v_lshl_add_u32 v5, v6, 23, v5
	v_or3_b32 v4, v4, v5, v3
.LBB504_1123:
	s_or_b64 exec, exec, s[20:21]
.LBB504_1124:
	s_mov_b64 s[20:21], -1
	v_mov_b32_e32 v5, 0
.LBB504_1125:
	s_branch .LBB504_1158
.LBB504_1126:
	s_cmp_gt_i32 s26, 22
	s_cbranch_scc0 .LBB504_1136
; %bb.1127:
	s_cmp_lt_i32 s26, 24
	s_cbranch_scc1 .LBB504_1139
; %bb.1128:
	s_cmp_gt_i32 s26, 24
	s_cbranch_scc0 .LBB504_1140
; %bb.1129:
	global_load_ubyte v3, v[0:1], off
	s_movk_i32 s2, 0x7f
	s_waitcnt vmcnt(0)
	v_cmp_lt_i16_e32 vcc, s2, v3
	s_mov_b64 s[2:3], 0
	s_and_saveexec_b64 s[18:19], vcc
	s_xor_b64 s[18:19], exec, s[18:19]
	s_cbranch_execz .LBB504_1151
; %bb.1130:
	s_movk_i32 s2, 0x80
	v_cmp_eq_u16_e32 vcc, s2, v3
	s_mov_b64 s[2:3], -1
	s_and_saveexec_b64 s[20:21], vcc
; %bb.1131:
	s_xor_b64 s[2:3], exec, -1
; %bb.1132:
	s_or_b64 exec, exec, s[20:21]
	s_and_b64 s[2:3], s[2:3], exec
	s_or_saveexec_b64 s[18:19], s[18:19]
	v_mov_b32_e32 v4, 0x7f800001
	s_xor_b64 exec, exec, s[18:19]
	s_cbranch_execnz .LBB504_1152
.LBB504_1133:
	s_or_b64 exec, exec, s[18:19]
	s_and_saveexec_b64 s[18:19], s[2:3]
	s_cbranch_execz .LBB504_1135
.LBB504_1134:
	v_lshlrev_b32_e32 v4, 24, v3
	v_and_b32_e32 v3, 0xffff, v3
	v_and_b32_e32 v5, 3, v3
	v_ffbh_u32_e32 v7, v5
	v_min_u32_e32 v7, 32, v7
	v_subrev_u32_e32 v8, 29, v7
	v_bfe_u32 v6, v3, 2, 5
	v_lshlrev_b32_e32 v3, v8, v3
	v_sub_u32_e32 v7, 30, v7
	v_and_b32_e32 v3, 3, v3
	v_cmp_eq_u32_e32 vcc, 0, v6
	v_and_b32_e32 v4, 0x80000000, v4
	s_nop 0
	v_cndmask_b32_e32 v6, v6, v7, vcc
	v_cndmask_b32_e32 v3, v5, v3, vcc
	v_mov_b32_e32 v5, 0x37800000
	v_lshlrev_b32_e32 v3, 21, v3
	v_lshl_add_u32 v5, v6, 23, v5
	v_or3_b32 v4, v4, v5, v3
.LBB504_1135:
	s_or_b64 exec, exec, s[18:19]
	s_mov_b64 s[2:3], 0
	s_branch .LBB504_1141
.LBB504_1136:
                                        ; implicit-def: $vgpr4
	s_mov_b64 s[2:3], 0
	s_branch .LBB504_1147
.LBB504_1137:
	s_or_saveexec_b64 s[20:21], s[20:21]
	v_mov_b32_e32 v4, 0x7f800001
	s_xor_b64 exec, exec, s[20:21]
	s_cbranch_execz .LBB504_1121
.LBB504_1138:
	v_cmp_ne_u16_e32 vcc, 0, v3
	s_andn2_b64 s[18:19], s[18:19], exec
	s_and_b64 s[22:23], vcc, exec
	v_mov_b32_e32 v4, 0
	s_or_b64 s[18:19], s[18:19], s[22:23]
	s_or_b64 exec, exec, s[20:21]
	s_and_saveexec_b64 s[20:21], s[18:19]
	s_cbranch_execnz .LBB504_1122
	s_branch .LBB504_1123
.LBB504_1139:
	s_mov_b64 s[2:3], -1
                                        ; implicit-def: $vgpr4
	s_branch .LBB504_1144
.LBB504_1140:
	s_mov_b64 s[2:3], -1
                                        ; implicit-def: $vgpr4
.LBB504_1141:
	s_and_b64 vcc, exec, s[2:3]
	s_cbranch_vccz .LBB504_1143
; %bb.1142:
	global_load_ubyte v3, v[0:1], off
	s_mov_b32 s2, 0x7f800000
	s_waitcnt vmcnt(0)
	v_lshlrev_b32_e32 v3, 24, v3
	v_and_b32_e32 v4, 0x7f000000, v3
	v_ffbh_u32_e32 v5, v4
	v_min_u32_e32 v5, 32, v5
	v_sub_u32_e64 v5, v5, 4 clamp
	v_lshlrev_b32_e32 v7, v5, v4
	v_lshlrev_b32_e32 v5, 23, v5
	v_lshrrev_b32_e32 v7, 4, v7
	v_add_u32_e32 v6, 0x1000000, v4
	v_sub_u32_e32 v5, v7, v5
	v_ashrrev_i32_e32 v6, 8, v6
	v_add_u32_e32 v5, 0x3c000000, v5
	v_and_or_b32 v5, v6, s2, v5
	v_cmp_ne_u32_e32 vcc, 0, v4
	s_brev_b32 s2, 1
	s_nop 0
	v_cndmask_b32_e32 v4, 0, v5, vcc
	v_and_or_b32 v4, v3, s2, v4
.LBB504_1143:
	s_mov_b64 s[2:3], 0
.LBB504_1144:
	s_andn2_b64 vcc, exec, s[2:3]
	s_cbranch_vccnz .LBB504_1146
; %bb.1145:
	global_load_ubyte v3, v[0:1], off
	s_movk_i32 s2, 0x7f00
	s_brev_b32 s3, 16
	s_waitcnt vmcnt(0)
	v_lshlrev_b16_e32 v4, 8, v3
	v_lshlrev_b32_e32 v3, 25, v3
	v_lshrrev_b32_e32 v5, 4, v3
	v_and_or_b32 v6, v4, s2, 0.5
	v_or_b32_e32 v5, 0x70000000, v5
	v_add_f32_e32 v6, -0.5, v6
	v_mul_f32_e32 v5, 0x7800000, v5
	v_cmp_gt_u32_e32 vcc, s3, v3
	v_bfe_i32 v4, v4, 0, 16
	s_brev_b32 s2, 1
	v_cndmask_b32_e32 v3, v5, v6, vcc
	v_and_or_b32 v4, v4, s2, v3
.LBB504_1146:
	s_mov_b64 s[20:21], -1
	s_mov_b64 s[2:3], 0
	s_cbranch_execnz .LBB504_1157
.LBB504_1147:
	s_cmp_gt_i32 s26, 14
	s_cbranch_scc0 .LBB504_1150
; %bb.1148:
	s_cmp_eq_u32 s26, 15
	s_cbranch_scc0 .LBB504_1153
; %bb.1149:
	global_load_ushort v3, v[0:1], off
	s_mov_b64 s[0:1], 0
	s_mov_b64 s[20:21], -1
	s_waitcnt vmcnt(0)
	v_lshlrev_b32_e32 v4, 16, v3
	s_branch .LBB504_1154
.LBB504_1150:
	s_mov_b64 s[18:19], -1
                                        ; implicit-def: $vgpr4
	s_branch .LBB504_1155
.LBB504_1151:
	s_or_saveexec_b64 s[18:19], s[18:19]
	v_mov_b32_e32 v4, 0x7f800001
	s_xor_b64 exec, exec, s[18:19]
	s_cbranch_execz .LBB504_1133
.LBB504_1152:
	v_cmp_ne_u16_e32 vcc, 0, v3
	s_andn2_b64 s[2:3], s[2:3], exec
	s_and_b64 s[20:21], vcc, exec
	v_mov_b32_e32 v4, 0
	s_or_b64 s[2:3], s[2:3], s[20:21]
	s_or_b64 exec, exec, s[18:19]
	s_and_saveexec_b64 s[18:19], s[2:3]
	s_cbranch_execnz .LBB504_1134
	s_branch .LBB504_1135
.LBB504_1153:
	s_mov_b64 s[0:1], -1
                                        ; implicit-def: $vgpr4
.LBB504_1154:
	s_mov_b64 s[18:19], 0
.LBB504_1155:
	s_and_b64 vcc, exec, s[18:19]
	s_cbranch_vccz .LBB504_1157
; %bb.1156:
	s_cmp_lg_u32 s26, 11
	s_mov_b64 s[2:3], -1
	s_cselect_b64 s[0:1], -1, 0
.LBB504_1157:
	v_mov_b32_e32 v5, 0
.LBB504_1158:
	s_and_b64 vcc, exec, s[0:1]
	s_mov_b64 s[18:19], s[16:17]
	s_cbranch_vccnz .LBB504_1229
; %bb.1159:
	s_andn2_b64 vcc, exec, s[2:3]
	s_cbranch_vccnz .LBB504_1161
.LBB504_1160:
	global_load_ubyte v3, v[0:1], off
	v_mov_b32_e32 v5, 0
	s_mov_b64 s[20:21], -1
	s_waitcnt vmcnt(0)
	v_cmp_ne_u16_e32 vcc, 0, v3
	s_nop 1
	v_cndmask_b32_e64 v4, 0, 1.0, vcc
.LBB504_1161:
	s_branch .LBB504_1087
.LBB504_1162:
	s_cmp_lt_i32 s26, 5
	s_cbranch_scc1 .LBB504_1167
; %bb.1163:
	s_cmp_lt_i32 s26, 8
	s_cbranch_scc1 .LBB504_1169
; %bb.1164:
	;; [unrolled: 3-line block ×3, first 2 shown]
	s_cmp_gt_i32 s26, 9
	s_cbranch_scc0 .LBB504_1171
; %bb.1166:
	global_load_dwordx4 v[4:7], v[0:1], off
	s_mov_b64 s[0:1], 0
	s_waitcnt vmcnt(0)
	v_cvt_f32_f64_e32 v4, v[4:5]
	v_cvt_f32_f64_e32 v5, v[6:7]
	s_branch .LBB504_1172
.LBB504_1167:
                                        ; implicit-def: $vgpr5
	s_branch .LBB504_1190
.LBB504_1168:
	s_branch .LBB504_1209
.LBB504_1169:
                                        ; implicit-def: $vgpr5
	s_branch .LBB504_1178
.LBB504_1170:
	s_mov_b64 s[0:1], -1
                                        ; implicit-def: $vgpr5
	s_branch .LBB504_1175
.LBB504_1171:
	s_mov_b64 s[0:1], -1
                                        ; implicit-def: $vgpr5
.LBB504_1172:
	s_andn2_b64 vcc, exec, s[0:1]
	s_cbranch_vccnz .LBB504_1174
; %bb.1173:
	global_load_dwordx2 v[4:5], v[0:1], off
.LBB504_1174:
	s_mov_b64 s[0:1], 0
.LBB504_1175:
	s_andn2_b64 vcc, exec, s[0:1]
	s_cbranch_vccnz .LBB504_1177
; %bb.1176:
	global_load_dword v3, v[0:1], off
	s_waitcnt vmcnt(0)
	v_cvt_f32_f16_sdwa v5, v3 dst_sel:DWORD dst_unused:UNUSED_PAD src0_sel:WORD_1
	v_cvt_f32_f16_e32 v4, v3
.LBB504_1177:
	s_cbranch_execnz .LBB504_1189
.LBB504_1178:
	s_cmp_lt_i32 s26, 6
	s_cbranch_scc1 .LBB504_1181
; %bb.1179:
	s_cmp_gt_i32 s26, 6
	s_cbranch_scc0 .LBB504_1182
; %bb.1180:
	global_load_dwordx2 v[4:5], v[0:1], off
	s_mov_b64 s[0:1], 0
	s_waitcnt vmcnt(0)
	v_cvt_f32_f64_e32 v4, v[4:5]
	s_branch .LBB504_1183
.LBB504_1181:
	s_mov_b64 s[0:1], -1
                                        ; implicit-def: $vgpr4
	s_branch .LBB504_1186
.LBB504_1182:
	s_mov_b64 s[0:1], -1
                                        ; implicit-def: $vgpr4
.LBB504_1183:
	s_andn2_b64 vcc, exec, s[0:1]
	s_cbranch_vccnz .LBB504_1185
; %bb.1184:
	global_load_dword v4, v[0:1], off
.LBB504_1185:
	s_mov_b64 s[0:1], 0
.LBB504_1186:
	s_andn2_b64 vcc, exec, s[0:1]
	s_cbranch_vccnz .LBB504_1188
; %bb.1187:
	global_load_ushort v3, v[0:1], off
	s_waitcnt vmcnt(0)
	v_cvt_f32_f16_e32 v4, v3
.LBB504_1188:
	s_waitcnt vmcnt(0)
	v_mov_b32_e32 v5, 0
.LBB504_1189:
	s_cbranch_execnz .LBB504_1168
.LBB504_1190:
	s_cmp_lt_i32 s26, 2
	s_cbranch_scc1 .LBB504_1194
; %bb.1191:
	s_cmp_lt_i32 s26, 3
	s_cbranch_scc1 .LBB504_1195
; %bb.1192:
	s_cmp_gt_i32 s26, 3
	s_cbranch_scc0 .LBB504_1196
; %bb.1193:
	global_load_dwordx2 v[4:5], v[0:1], off
	s_mov_b64 s[0:1], 0
	s_waitcnt vmcnt(0)
	v_xor_b32_e32 v6, v4, v5
	v_ffbh_i32_e32 v3, v5
	v_ashrrev_i32_e32 v6, 31, v6
	v_add_u32_e32 v3, -1, v3
	v_add_u32_e32 v6, 32, v6
	v_min_u32_e32 v3, v3, v6
	v_lshlrev_b64 v[4:5], v3, v[4:5]
	v_min_u32_e32 v4, 1, v4
	v_or_b32_e32 v4, v5, v4
	v_cvt_f32_i32_e32 v4, v4
	v_sub_u32_e32 v3, 32, v3
	v_ldexp_f32 v4, v4, v3
	s_branch .LBB504_1197
.LBB504_1194:
                                        ; implicit-def: $vgpr4
	s_branch .LBB504_1203
.LBB504_1195:
	s_mov_b64 s[0:1], -1
                                        ; implicit-def: $vgpr4
	s_branch .LBB504_1200
.LBB504_1196:
	s_mov_b64 s[0:1], -1
                                        ; implicit-def: $vgpr4
.LBB504_1197:
	s_andn2_b64 vcc, exec, s[0:1]
	s_cbranch_vccnz .LBB504_1199
; %bb.1198:
	global_load_dword v3, v[0:1], off
	s_waitcnt vmcnt(0)
	v_cvt_f32_i32_e32 v4, v3
.LBB504_1199:
	s_mov_b64 s[0:1], 0
.LBB504_1200:
	s_andn2_b64 vcc, exec, s[0:1]
	s_cbranch_vccnz .LBB504_1202
; %bb.1201:
	global_load_sshort v3, v[0:1], off
	s_waitcnt vmcnt(0)
	v_cvt_f32_i32_e32 v4, v3
.LBB504_1202:
	s_cbranch_execnz .LBB504_1208
.LBB504_1203:
	s_cmp_gt_i32 s26, 0
	s_cbranch_scc0 .LBB504_1205
; %bb.1204:
	global_load_sbyte v3, v[0:1], off
	s_mov_b64 s[0:1], 0
	s_waitcnt vmcnt(0)
	v_cvt_f32_i32_e32 v4, v3
	s_branch .LBB504_1206
.LBB504_1205:
	s_mov_b64 s[0:1], -1
                                        ; implicit-def: $vgpr4
.LBB504_1206:
	s_andn2_b64 vcc, exec, s[0:1]
	s_cbranch_vccnz .LBB504_1208
; %bb.1207:
	global_load_ubyte v0, v[0:1], off
	s_waitcnt vmcnt(0)
	v_cvt_f32_ubyte0_e32 v4, v0
.LBB504_1208:
	s_waitcnt vmcnt(0)
	v_mov_b32_e32 v5, 0
.LBB504_1209:
	s_waitcnt vmcnt(0)
	v_cmp_o_f32_e32 vcc, v4, v4
	v_mov_b32_e32 v0, s10
	s_and_saveexec_b64 s[0:1], vcc
	s_cbranch_execz .LBB504_1213
; %bb.1210:
	s_mov_b32 s2, 0x7f800000
	v_cmp_neq_f32_e32 vcc, s2, v4
	v_mov_b32_e32 v0, s11
	s_and_saveexec_b64 s[2:3], vcc
; %bb.1211:
	s_mov_b32 s20, 0xff800000
	v_mov_b32_e32 v0, s12
	v_cmp_eq_f32_e32 vcc, s20, v4
	s_nop 1
	v_cndmask_b32_e32 v0, v4, v0, vcc
; %bb.1212:
	s_or_b64 exec, exec, s[2:3]
.LBB504_1213:
	s_or_b64 exec, exec, s[0:1]
	v_cmp_o_f32_e32 vcc, v5, v5
	v_mov_b32_e32 v1, s10
	s_and_saveexec_b64 s[0:1], vcc
	s_cbranch_execz .LBB504_1217
; %bb.1214:
	s_mov_b32 s2, 0x7f800000
	v_cmp_neq_f32_e32 vcc, s2, v5
	v_mov_b32_e32 v1, s11
	s_and_saveexec_b64 s[2:3], vcc
; %bb.1215:
	s_mov_b32 s20, 0xff800000
	v_mov_b32_e32 v1, s12
	v_cmp_eq_f32_e32 vcc, s20, v5
	s_nop 1
	v_cndmask_b32_e32 v1, v5, v1, vcc
; %bb.1216:
	s_or_b64 exec, exec, s[2:3]
.LBB504_1217:
	s_or_b64 exec, exec, s[0:1]
	s_lshl_b32 s9, s9, 7
	v_add_u32_e32 v4, s9, v2
	v_ashrrev_i32_e32 v5, 31, v4
	s_cmp_lt_i32 s26, 11
	v_lshl_add_u64 v[2:3], s[6:7], 0, v[4:5]
	s_cbranch_scc1 .LBB504_1224
; %bb.1218:
	s_cmp_gt_i32 s26, 25
	s_mov_b64 s[2:3], 0
	s_cbranch_scc0 .LBB504_1226
; %bb.1219:
	s_cmp_gt_i32 s26, 28
	s_cbranch_scc0 .LBB504_1227
; %bb.1220:
	s_cmp_gt_i32 s26, 43
	;; [unrolled: 3-line block ×3, first 2 shown]
	s_cbranch_scc0 .LBB504_1230
; %bb.1222:
	s_cmp_eq_u32 s26, 46
	s_mov_b64 s[22:23], 0
	s_cbranch_scc0 .LBB504_1233
; %bb.1223:
	global_load_dword v5, v[2:3], off
	s_mov_b64 s[0:1], 0
	s_mov_b64 s[20:21], -1
	s_waitcnt vmcnt(0)
	v_and_b32_e32 v7, 0xffff0000, v5
	v_lshlrev_b32_e32 v6, 16, v5
	s_branch .LBB504_1234
.LBB504_1224:
	s_mov_b64 s[20:21], 0
                                        ; implicit-def: $vgpr7
	s_cbranch_execnz .LBB504_1302
.LBB504_1225:
	s_andn2_b64 vcc, exec, s[20:21]
	s_cbranch_vccnz .LBB504_1722
	s_branch .LBB504_1351
.LBB504_1226:
	s_mov_b64 s[20:21], 0
	s_mov_b64 s[0:1], 0
                                        ; implicit-def: $vgpr7
	s_cbranch_execnz .LBB504_1265
	s_branch .LBB504_1298
.LBB504_1227:
	s_mov_b64 s[22:23], -1
	s_mov_b64 s[20:21], 0
	s_mov_b64 s[0:1], 0
                                        ; implicit-def: $vgpr7
	s_branch .LBB504_1246
.LBB504_1228:
	s_mov_b64 s[22:23], -1
	s_mov_b64 s[20:21], 0
	s_mov_b64 s[0:1], 0
                                        ; implicit-def: $vgpr7
	s_branch .LBB504_1240
.LBB504_1229:
	s_trap 2
	s_or_b64 s[18:19], s[16:17], exec
	s_cbranch_execz .LBB504_1160
	s_branch .LBB504_1161
.LBB504_1230:
	s_mov_b64 s[22:23], -1
	s_mov_b64 s[20:21], 0
	s_mov_b64 s[0:1], 0
                                        ; implicit-def: $vgpr7
	s_branch .LBB504_1234
.LBB504_1231:
	s_andn2_saveexec_b64 s[28:29], s[28:29]
	s_cbranch_execz .LBB504_1003
.LBB504_1232:
	s_mov_b32 s34, 0x42800000
	v_add_f32_e64 v4, |v0|, s34
	v_and_b32_e32 v4, 0xff, v4
	v_cmp_ne_u32_e32 vcc, 0, v4
	s_andn2_b64 s[26:27], s[26:27], exec
	s_and_b64 s[34:35], vcc, exec
	s_or_b64 s[26:27], s[26:27], s[34:35]
	s_or_b64 exec, exec, s[28:29]
	v_mov_b32_e32 v5, 0
	s_and_saveexec_b64 s[28:29], s[26:27]
	s_cbranch_execnz .LBB504_1004
	s_branch .LBB504_1005
.LBB504_1233:
	s_mov_b64 s[0:1], -1
                                        ; implicit-def: $vgpr7
	s_mov_b64 s[20:21], 0
.LBB504_1234:
	s_and_b64 vcc, exec, s[22:23]
	s_cbranch_vccz .LBB504_1239
; %bb.1235:
	s_cmp_eq_u32 s26, 44
	s_cbranch_scc0 .LBB504_1237
; %bb.1236:
	global_load_ubyte v5, v[2:3], off
	s_movk_i32 s20, 0xff
	v_mov_b32_e32 v6, 0x7f800001
	v_mov_b32_e32 v7, 0x400000
	s_mov_b64 s[0:1], 0
	s_waitcnt vmcnt(0)
	v_lshlrev_b32_e32 v8, 23, v5
	v_cmp_ne_u32_e32 vcc, s20, v5
	s_mov_b64 s[20:21], -1
	s_nop 0
	v_cndmask_b32_e32 v6, v6, v8, vcc
	v_cmp_ne_u32_e32 vcc, 0, v5
	s_nop 1
	v_cndmask_b32_e32 v6, v7, v6, vcc
	s_branch .LBB504_1238
.LBB504_1237:
	s_mov_b64 s[0:1], -1
                                        ; implicit-def: $vgpr6
.LBB504_1238:
	v_mov_b32_e32 v7, 0
.LBB504_1239:
	s_mov_b64 s[22:23], 0
.LBB504_1240:
	s_and_b64 vcc, exec, s[22:23]
	s_cbranch_vccz .LBB504_1245
; %bb.1241:
	s_cmp_eq_u32 s26, 29
	s_cbranch_scc0 .LBB504_1243
; %bb.1242:
	global_load_dwordx2 v[6:7], v[2:3], off
	s_mov_b64 s[0:1], 0
	s_mov_b64 s[20:21], -1
	s_waitcnt vmcnt(0)
	v_ffbh_u32_e32 v5, v7
	v_min_u32_e32 v5, 32, v5
	v_lshlrev_b64 v[6:7], v5, v[6:7]
	v_min_u32_e32 v6, 1, v6
	v_or_b32_e32 v6, v7, v6
	v_cvt_f32_u32_e32 v6, v6
	v_sub_u32_e32 v5, 32, v5
	v_ldexp_f32 v6, v6, v5
	s_branch .LBB504_1244
.LBB504_1243:
	s_mov_b64 s[0:1], -1
                                        ; implicit-def: $vgpr6
.LBB504_1244:
	v_mov_b32_e32 v7, 0
.LBB504_1245:
	s_mov_b64 s[22:23], 0
.LBB504_1246:
	s_and_b64 vcc, exec, s[22:23]
	s_cbranch_vccz .LBB504_1264
; %bb.1247:
	s_cmp_lt_i32 s26, 27
	s_cbranch_scc1 .LBB504_1250
; %bb.1248:
	s_cmp_gt_i32 s26, 27
	s_cbranch_scc0 .LBB504_1251
; %bb.1249:
	global_load_dword v5, v[2:3], off
	s_mov_b64 s[20:21], 0
	s_waitcnt vmcnt(0)
	v_cvt_f32_u32_e32 v6, v5
	s_branch .LBB504_1252
.LBB504_1250:
	s_mov_b64 s[20:21], -1
                                        ; implicit-def: $vgpr6
	s_branch .LBB504_1255
.LBB504_1251:
	s_mov_b64 s[20:21], -1
                                        ; implicit-def: $vgpr6
.LBB504_1252:
	s_andn2_b64 vcc, exec, s[20:21]
	s_cbranch_vccnz .LBB504_1254
; %bb.1253:
	global_load_ushort v5, v[2:3], off
	s_waitcnt vmcnt(0)
	v_cvt_f32_u32_e32 v6, v5
.LBB504_1254:
	s_mov_b64 s[20:21], 0
.LBB504_1255:
	s_andn2_b64 vcc, exec, s[20:21]
	s_cbranch_vccnz .LBB504_1263
; %bb.1256:
	global_load_ubyte v5, v[2:3], off
	s_movk_i32 s20, 0x7f
	s_waitcnt vmcnt(0)
	v_cmp_lt_i16_e32 vcc, s20, v5
	s_mov_b64 s[20:21], 0
	s_and_saveexec_b64 s[22:23], vcc
	s_xor_b64 s[22:23], exec, s[22:23]
	s_cbranch_execz .LBB504_1276
; %bb.1257:
	s_movk_i32 s20, 0x80
	v_cmp_eq_u16_e32 vcc, s20, v5
	s_mov_b64 s[20:21], -1
	s_and_saveexec_b64 s[24:25], vcc
; %bb.1258:
	s_xor_b64 s[20:21], exec, -1
; %bb.1259:
	s_or_b64 exec, exec, s[24:25]
	s_and_b64 s[20:21], s[20:21], exec
	s_or_saveexec_b64 s[22:23], s[22:23]
	v_mov_b32_e32 v6, 0x7f800001
	s_xor_b64 exec, exec, s[22:23]
	s_cbranch_execnz .LBB504_1277
.LBB504_1260:
	s_or_b64 exec, exec, s[22:23]
	s_and_saveexec_b64 s[22:23], s[20:21]
	s_cbranch_execz .LBB504_1262
.LBB504_1261:
	v_lshlrev_b32_e32 v6, 24, v5
	v_and_b32_e32 v5, 0xffff, v5
	v_and_b32_e32 v7, 7, v5
	v_ffbh_u32_e32 v9, v7
	v_min_u32_e32 v9, 32, v9
	v_subrev_u32_e32 v11, 28, v9
	v_bfe_u32 v8, v5, 3, 4
	v_lshlrev_b32_e32 v5, v11, v5
	v_sub_u32_e32 v9, 29, v9
	v_and_b32_e32 v5, 7, v5
	v_cmp_eq_u32_e32 vcc, 0, v8
	v_and_b32_e32 v6, 0x80000000, v6
	s_nop 0
	v_cndmask_b32_e32 v8, v8, v9, vcc
	v_cndmask_b32_e32 v5, v7, v5, vcc
	v_mov_b32_e32 v7, 0x3b800000
	v_lshlrev_b32_e32 v5, 20, v5
	v_lshl_add_u32 v7, v8, 23, v7
	v_or3_b32 v6, v6, v7, v5
.LBB504_1262:
	s_or_b64 exec, exec, s[22:23]
.LBB504_1263:
	s_mov_b64 s[20:21], -1
	v_mov_b32_e32 v7, 0
.LBB504_1264:
	s_branch .LBB504_1298
.LBB504_1265:
	s_cmp_gt_i32 s26, 22
	s_cbranch_scc0 .LBB504_1275
; %bb.1266:
	s_cmp_lt_i32 s26, 24
	s_cbranch_scc1 .LBB504_1278
; %bb.1267:
	s_cmp_gt_i32 s26, 24
	s_cbranch_scc0 .LBB504_1279
; %bb.1268:
	global_load_ubyte v5, v[2:3], off
	s_movk_i32 s2, 0x7f
	s_waitcnt vmcnt(0)
	v_cmp_lt_i16_e32 vcc, s2, v5
	s_mov_b64 s[2:3], 0
	s_and_saveexec_b64 s[20:21], vcc
	s_xor_b64 s[20:21], exec, s[20:21]
	s_cbranch_execz .LBB504_1291
; %bb.1269:
	s_movk_i32 s2, 0x80
	v_cmp_eq_u16_e32 vcc, s2, v5
	s_mov_b64 s[2:3], -1
	s_and_saveexec_b64 s[22:23], vcc
; %bb.1270:
	s_xor_b64 s[2:3], exec, -1
; %bb.1271:
	s_or_b64 exec, exec, s[22:23]
	s_and_b64 s[2:3], s[2:3], exec
	s_or_saveexec_b64 s[20:21], s[20:21]
	v_mov_b32_e32 v6, 0x7f800001
	s_xor_b64 exec, exec, s[20:21]
	s_cbranch_execnz .LBB504_1292
.LBB504_1272:
	s_or_b64 exec, exec, s[20:21]
	s_and_saveexec_b64 s[20:21], s[2:3]
	s_cbranch_execz .LBB504_1274
.LBB504_1273:
	v_lshlrev_b32_e32 v6, 24, v5
	v_and_b32_e32 v5, 0xffff, v5
	v_and_b32_e32 v7, 3, v5
	v_ffbh_u32_e32 v9, v7
	v_min_u32_e32 v9, 32, v9
	v_subrev_u32_e32 v11, 29, v9
	v_bfe_u32 v8, v5, 2, 5
	v_lshlrev_b32_e32 v5, v11, v5
	v_sub_u32_e32 v9, 30, v9
	v_and_b32_e32 v5, 3, v5
	v_cmp_eq_u32_e32 vcc, 0, v8
	v_and_b32_e32 v6, 0x80000000, v6
	s_nop 0
	v_cndmask_b32_e32 v8, v8, v9, vcc
	v_cndmask_b32_e32 v5, v7, v5, vcc
	v_mov_b32_e32 v7, 0x37800000
	v_lshlrev_b32_e32 v5, 21, v5
	v_lshl_add_u32 v7, v8, 23, v7
	v_or3_b32 v6, v6, v7, v5
.LBB504_1274:
	s_or_b64 exec, exec, s[20:21]
	s_mov_b64 s[2:3], 0
	s_branch .LBB504_1280
.LBB504_1275:
	s_mov_b64 s[2:3], -1
                                        ; implicit-def: $vgpr6
	s_branch .LBB504_1286
.LBB504_1276:
	s_or_saveexec_b64 s[22:23], s[22:23]
	v_mov_b32_e32 v6, 0x7f800001
	s_xor_b64 exec, exec, s[22:23]
	s_cbranch_execz .LBB504_1260
.LBB504_1277:
	v_cmp_ne_u16_e32 vcc, 0, v5
	s_andn2_b64 s[20:21], s[20:21], exec
	s_and_b64 s[24:25], vcc, exec
	v_mov_b32_e32 v6, 0
	s_or_b64 s[20:21], s[20:21], s[24:25]
	s_or_b64 exec, exec, s[22:23]
	s_and_saveexec_b64 s[22:23], s[20:21]
	s_cbranch_execnz .LBB504_1261
	s_branch .LBB504_1262
.LBB504_1278:
	s_mov_b64 s[2:3], -1
                                        ; implicit-def: $vgpr6
	s_branch .LBB504_1283
.LBB504_1279:
	s_mov_b64 s[2:3], -1
                                        ; implicit-def: $vgpr6
.LBB504_1280:
	s_and_b64 vcc, exec, s[2:3]
	s_cbranch_vccz .LBB504_1282
; %bb.1281:
	global_load_ubyte v5, v[2:3], off
	s_mov_b32 s2, 0x7f800000
	s_waitcnt vmcnt(0)
	v_lshlrev_b32_e32 v5, 24, v5
	v_and_b32_e32 v6, 0x7f000000, v5
	v_ffbh_u32_e32 v7, v6
	v_min_u32_e32 v7, 32, v7
	v_sub_u32_e64 v7, v7, 4 clamp
	v_lshlrev_b32_e32 v9, v7, v6
	v_lshlrev_b32_e32 v7, 23, v7
	v_lshrrev_b32_e32 v9, 4, v9
	v_add_u32_e32 v8, 0x1000000, v6
	v_sub_u32_e32 v7, v9, v7
	v_ashrrev_i32_e32 v8, 8, v8
	v_add_u32_e32 v7, 0x3c000000, v7
	v_and_or_b32 v7, v8, s2, v7
	v_cmp_ne_u32_e32 vcc, 0, v6
	s_brev_b32 s2, 1
	s_nop 0
	v_cndmask_b32_e32 v6, 0, v7, vcc
	v_and_or_b32 v6, v5, s2, v6
.LBB504_1282:
	s_mov_b64 s[2:3], 0
.LBB504_1283:
	s_andn2_b64 vcc, exec, s[2:3]
	s_cbranch_vccnz .LBB504_1285
; %bb.1284:
	global_load_ubyte v5, v[2:3], off
	s_movk_i32 s2, 0x7f00
	s_brev_b32 s3, 16
	s_waitcnt vmcnt(0)
	v_lshlrev_b16_e32 v6, 8, v5
	v_lshlrev_b32_e32 v5, 25, v5
	v_lshrrev_b32_e32 v7, 4, v5
	v_and_or_b32 v8, v6, s2, 0.5
	v_or_b32_e32 v7, 0x70000000, v7
	v_add_f32_e32 v8, -0.5, v8
	v_mul_f32_e32 v7, 0x7800000, v7
	v_cmp_gt_u32_e32 vcc, s3, v5
	v_bfe_i32 v6, v6, 0, 16
	s_brev_b32 s2, 1
	v_cndmask_b32_e32 v5, v7, v8, vcc
	v_and_or_b32 v6, v6, s2, v5
.LBB504_1285:
	s_mov_b64 s[2:3], 0
	s_mov_b64 s[20:21], -1
.LBB504_1286:
	s_andn2_b64 vcc, exec, s[2:3]
	s_mov_b64 s[2:3], 0
	s_cbranch_vccnz .LBB504_1297
; %bb.1287:
	s_cmp_gt_i32 s26, 14
	s_cbranch_scc0 .LBB504_1290
; %bb.1288:
	s_cmp_eq_u32 s26, 15
	s_cbranch_scc0 .LBB504_1293
; %bb.1289:
	global_load_ushort v5, v[2:3], off
	s_mov_b64 s[0:1], 0
	s_mov_b64 s[20:21], -1
	s_waitcnt vmcnt(0)
	v_lshlrev_b32_e32 v6, 16, v5
	s_branch .LBB504_1294
.LBB504_1290:
	s_mov_b64 s[22:23], -1
                                        ; implicit-def: $vgpr6
	s_branch .LBB504_1295
.LBB504_1291:
	s_or_saveexec_b64 s[20:21], s[20:21]
	v_mov_b32_e32 v6, 0x7f800001
	s_xor_b64 exec, exec, s[20:21]
	s_cbranch_execz .LBB504_1272
.LBB504_1292:
	v_cmp_ne_u16_e32 vcc, 0, v5
	s_andn2_b64 s[2:3], s[2:3], exec
	s_and_b64 s[22:23], vcc, exec
	v_mov_b32_e32 v6, 0
	s_or_b64 s[2:3], s[2:3], s[22:23]
	s_or_b64 exec, exec, s[20:21]
	s_and_saveexec_b64 s[20:21], s[2:3]
	s_cbranch_execnz .LBB504_1273
	s_branch .LBB504_1274
.LBB504_1293:
	s_mov_b64 s[0:1], -1
                                        ; implicit-def: $vgpr6
.LBB504_1294:
	s_mov_b64 s[22:23], 0
.LBB504_1295:
	s_and_b64 vcc, exec, s[22:23]
	s_cbranch_vccz .LBB504_1297
; %bb.1296:
	s_cmp_lg_u32 s26, 11
	s_mov_b64 s[2:3], -1
	s_cselect_b64 s[0:1], -1, 0
.LBB504_1297:
	v_mov_b32_e32 v7, 0
.LBB504_1298:
	s_and_b64 vcc, exec, s[0:1]
	s_cbranch_vccnz .LBB504_1383
; %bb.1299:
	s_andn2_b64 vcc, exec, s[2:3]
	s_cbranch_vccnz .LBB504_1301
.LBB504_1300:
	global_load_ubyte v5, v[2:3], off
	v_mov_b32_e32 v7, 0
	s_mov_b64 s[20:21], -1
	s_waitcnt vmcnt(0)
	v_cmp_ne_u16_e32 vcc, 0, v5
	s_nop 1
	v_cndmask_b32_e64 v6, 0, 1.0, vcc
.LBB504_1301:
	s_branch .LBB504_1225
.LBB504_1302:
	s_cmp_lt_i32 s26, 5
	s_cbranch_scc1 .LBB504_1307
; %bb.1303:
	s_cmp_lt_i32 s26, 8
	s_cbranch_scc1 .LBB504_1309
; %bb.1304:
	;; [unrolled: 3-line block ×3, first 2 shown]
	s_cmp_gt_i32 s26, 9
	s_cbranch_scc0 .LBB504_1311
; %bb.1306:
	global_load_dwordx4 v[6:9], v[2:3], off
	s_mov_b64 s[0:1], 0
	s_waitcnt vmcnt(0)
	v_cvt_f32_f64_e32 v6, v[6:7]
	v_cvt_f32_f64_e32 v7, v[8:9]
	s_branch .LBB504_1312
.LBB504_1307:
                                        ; implicit-def: $vgpr7
	s_branch .LBB504_1331
.LBB504_1308:
	s_branch .LBB504_1351
.LBB504_1309:
	s_mov_b64 s[0:1], -1
                                        ; implicit-def: $vgpr7
	s_branch .LBB504_1318
.LBB504_1310:
	s_mov_b64 s[0:1], -1
                                        ; implicit-def: $vgpr7
	s_branch .LBB504_1315
.LBB504_1311:
	s_mov_b64 s[0:1], -1
                                        ; implicit-def: $vgpr7
.LBB504_1312:
	s_andn2_b64 vcc, exec, s[0:1]
	s_cbranch_vccnz .LBB504_1314
; %bb.1313:
	global_load_dwordx2 v[6:7], v[2:3], off
.LBB504_1314:
	s_mov_b64 s[0:1], 0
.LBB504_1315:
	s_andn2_b64 vcc, exec, s[0:1]
	s_cbranch_vccnz .LBB504_1317
; %bb.1316:
	global_load_dword v5, v[2:3], off
	s_waitcnt vmcnt(0)
	v_cvt_f32_f16_sdwa v7, v5 dst_sel:DWORD dst_unused:UNUSED_PAD src0_sel:WORD_1
	v_cvt_f32_f16_e32 v6, v5
.LBB504_1317:
	s_mov_b64 s[0:1], 0
.LBB504_1318:
	s_andn2_b64 vcc, exec, s[0:1]
	s_cbranch_vccnz .LBB504_1330
; %bb.1319:
	s_cmp_lt_i32 s26, 6
	s_cbranch_scc1 .LBB504_1322
; %bb.1320:
	s_cmp_gt_i32 s26, 6
	s_cbranch_scc0 .LBB504_1323
; %bb.1321:
	global_load_dwordx2 v[6:7], v[2:3], off
	s_mov_b64 s[0:1], 0
	s_waitcnt vmcnt(0)
	v_cvt_f32_f64_e32 v6, v[6:7]
	s_branch .LBB504_1324
.LBB504_1322:
	s_mov_b64 s[0:1], -1
                                        ; implicit-def: $vgpr6
	s_branch .LBB504_1327
.LBB504_1323:
	s_mov_b64 s[0:1], -1
                                        ; implicit-def: $vgpr6
.LBB504_1324:
	s_andn2_b64 vcc, exec, s[0:1]
	s_cbranch_vccnz .LBB504_1326
; %bb.1325:
	global_load_dword v6, v[2:3], off
.LBB504_1326:
	s_mov_b64 s[0:1], 0
.LBB504_1327:
	s_andn2_b64 vcc, exec, s[0:1]
	s_cbranch_vccnz .LBB504_1329
; %bb.1328:
	global_load_ushort v5, v[2:3], off
	s_waitcnt vmcnt(0)
	v_cvt_f32_f16_e32 v6, v5
.LBB504_1329:
	s_waitcnt vmcnt(0)
	v_mov_b32_e32 v7, 0
.LBB504_1330:
	s_cbranch_execnz .LBB504_1308
.LBB504_1331:
	s_cmp_lt_i32 s26, 2
	s_cbranch_scc1 .LBB504_1335
; %bb.1332:
	s_cmp_lt_i32 s26, 3
	s_cbranch_scc1 .LBB504_1336
; %bb.1333:
	s_cmp_gt_i32 s26, 3
	s_cbranch_scc0 .LBB504_1337
; %bb.1334:
	global_load_dwordx2 v[6:7], v[2:3], off
	s_mov_b64 s[0:1], 0
	s_waitcnt vmcnt(0)
	v_xor_b32_e32 v8, v6, v7
	v_ffbh_i32_e32 v5, v7
	v_ashrrev_i32_e32 v8, 31, v8
	v_add_u32_e32 v5, -1, v5
	v_add_u32_e32 v8, 32, v8
	v_min_u32_e32 v5, v5, v8
	v_lshlrev_b64 v[6:7], v5, v[6:7]
	v_min_u32_e32 v6, 1, v6
	v_or_b32_e32 v6, v7, v6
	v_cvt_f32_i32_e32 v6, v6
	v_sub_u32_e32 v5, 32, v5
	v_ldexp_f32 v6, v6, v5
	s_branch .LBB504_1338
.LBB504_1335:
	s_mov_b64 s[0:1], -1
                                        ; implicit-def: $vgpr6
	s_branch .LBB504_1344
.LBB504_1336:
	s_mov_b64 s[0:1], -1
                                        ; implicit-def: $vgpr6
	s_branch .LBB504_1341
.LBB504_1337:
	s_mov_b64 s[0:1], -1
                                        ; implicit-def: $vgpr6
.LBB504_1338:
	s_andn2_b64 vcc, exec, s[0:1]
	s_cbranch_vccnz .LBB504_1340
; %bb.1339:
	global_load_dword v5, v[2:3], off
	s_waitcnt vmcnt(0)
	v_cvt_f32_i32_e32 v6, v5
.LBB504_1340:
	s_mov_b64 s[0:1], 0
.LBB504_1341:
	s_andn2_b64 vcc, exec, s[0:1]
	s_cbranch_vccnz .LBB504_1343
; %bb.1342:
	global_load_sshort v5, v[2:3], off
	s_waitcnt vmcnt(0)
	v_cvt_f32_i32_e32 v6, v5
.LBB504_1343:
	s_mov_b64 s[0:1], 0
.LBB504_1344:
	s_andn2_b64 vcc, exec, s[0:1]
	s_cbranch_vccnz .LBB504_1350
; %bb.1345:
	s_cmp_gt_i32 s26, 0
	s_cbranch_scc0 .LBB504_1347
; %bb.1346:
	global_load_sbyte v5, v[2:3], off
	s_mov_b64 s[0:1], 0
	s_waitcnt vmcnt(0)
	v_cvt_f32_i32_e32 v6, v5
	s_branch .LBB504_1348
.LBB504_1347:
	s_mov_b64 s[0:1], -1
                                        ; implicit-def: $vgpr6
.LBB504_1348:
	s_andn2_b64 vcc, exec, s[0:1]
	s_cbranch_vccnz .LBB504_1350
; %bb.1349:
	global_load_ubyte v2, v[2:3], off
	s_waitcnt vmcnt(0)
	v_cvt_f32_ubyte0_e32 v6, v2
.LBB504_1350:
	s_waitcnt vmcnt(0)
	v_mov_b32_e32 v7, 0
.LBB504_1351:
	s_waitcnt vmcnt(0)
	v_cmp_o_f32_e32 vcc, v6, v6
	v_mov_b32_e32 v2, s10
	s_and_saveexec_b64 s[0:1], vcc
	s_cbranch_execz .LBB504_1355
; %bb.1352:
	s_mov_b32 s2, 0x7f800000
	v_cmp_neq_f32_e32 vcc, s2, v6
	v_mov_b32_e32 v2, s11
	s_and_saveexec_b64 s[2:3], vcc
; %bb.1353:
	s_mov_b32 s20, 0xff800000
	v_mov_b32_e32 v2, s12
	v_cmp_eq_f32_e32 vcc, s20, v6
	s_nop 1
	v_cndmask_b32_e32 v2, v6, v2, vcc
; %bb.1354:
	s_or_b64 exec, exec, s[2:3]
.LBB504_1355:
	s_or_b64 exec, exec, s[0:1]
	v_cmp_o_f32_e32 vcc, v7, v7
	v_mov_b32_e32 v3, s10
	s_and_saveexec_b64 s[0:1], vcc
	s_cbranch_execz .LBB504_1359
; %bb.1356:
	s_mov_b32 s2, 0x7f800000
	v_cmp_neq_f32_e32 vcc, s2, v7
	v_mov_b32_e32 v3, s11
	s_and_saveexec_b64 s[2:3], vcc
; %bb.1357:
	s_mov_b32 s20, 0xff800000
	v_mov_b32_e32 v3, s12
	v_cmp_eq_f32_e32 vcc, s20, v7
	s_nop 1
	v_cndmask_b32_e32 v3, v7, v3, vcc
; %bb.1358:
	s_or_b64 exec, exec, s[2:3]
.LBB504_1359:
	s_or_b64 exec, exec, s[0:1]
	v_add_u32_e32 v4, s9, v4
	v_ashrrev_i32_e32 v5, 31, v4
	s_cmp_lt_i32 s26, 11
	v_lshl_add_u64 v[6:7], s[6:7], 0, v[4:5]
	s_cbranch_scc1 .LBB504_1366
; %bb.1360:
	s_cmp_gt_i32 s26, 25
	s_mov_b64 s[2:3], 0
	s_cbranch_scc0 .LBB504_1368
; %bb.1361:
	s_cmp_gt_i32 s26, 28
	s_cbranch_scc0 .LBB504_1379
; %bb.1362:
	s_cmp_gt_i32 s26, 43
	;; [unrolled: 3-line block ×3, first 2 shown]
	s_cbranch_scc0 .LBB504_1384
; %bb.1364:
	s_cmp_eq_u32 s26, 46
	s_mov_b64 s[22:23], 0
	s_cbranch_scc0 .LBB504_1446
; %bb.1365:
	global_load_dword v5, v[6:7], off
	s_mov_b64 s[0:1], 0
	s_mov_b64 s[20:21], -1
	s_waitcnt vmcnt(0)
	v_and_b32_e32 v9, 0xffff0000, v5
	v_lshlrev_b32_e32 v8, 16, v5
	s_branch .LBB504_1447
.LBB504_1366:
	s_mov_b64 s[20:21], 0
                                        ; implicit-def: $vgpr9
	s_cbranch_execnz .LBB504_1373
.LBB504_1367:
	s_andn2_b64 vcc, exec, s[20:21]
	s_cbranch_vccnz .LBB504_1722
	s_branch .LBB504_1427
.LBB504_1368:
	s_mov_b64 s[20:21], 0
	s_mov_b64 s[0:1], 0
                                        ; implicit-def: $vgpr9
	s_cbranch_execnz .LBB504_1479
.LBB504_1369:
	s_and_b64 vcc, exec, s[0:1]
	s_cbranch_vccnz .LBB504_1512
.LBB504_1370:
	s_andn2_b64 vcc, exec, s[2:3]
	s_cbranch_vccnz .LBB504_1372
.LBB504_1371:
	global_load_ubyte v5, v[6:7], off
	v_mov_b32_e32 v9, 0
	s_mov_b64 s[20:21], -1
	s_waitcnt vmcnt(0)
	v_cmp_ne_u16_e32 vcc, 0, v5
	s_nop 1
	v_cndmask_b32_e64 v8, 0, 1.0, vcc
.LBB504_1372:
	s_branch .LBB504_1367
.LBB504_1373:
	s_cmp_lt_i32 s26, 5
	s_cbranch_scc1 .LBB504_1378
; %bb.1374:
	s_cmp_lt_i32 s26, 8
	s_cbranch_scc1 .LBB504_1380
; %bb.1375:
	;; [unrolled: 3-line block ×3, first 2 shown]
	s_cmp_gt_i32 s26, 9
	s_cbranch_scc0 .LBB504_1385
; %bb.1377:
	global_load_dwordx4 v[12:15], v[6:7], off
	s_mov_b64 s[0:1], 0
	s_waitcnt vmcnt(0)
	v_cvt_f32_f64_e32 v8, v[12:13]
	v_cvt_f32_f64_e32 v9, v[14:15]
	s_branch .LBB504_1386
.LBB504_1378:
	s_mov_b64 s[0:1], -1
                                        ; implicit-def: $vgpr9
	s_branch .LBB504_1405
.LBB504_1379:
	s_mov_b64 s[22:23], -1
	s_mov_b64 s[20:21], 0
	s_mov_b64 s[0:1], 0
                                        ; implicit-def: $vgpr9
	s_branch .LBB504_1460
.LBB504_1380:
	s_mov_b64 s[0:1], -1
                                        ; implicit-def: $vgpr9
	s_branch .LBB504_1392
.LBB504_1381:
	s_mov_b64 s[22:23], -1
	s_mov_b64 s[20:21], 0
	s_mov_b64 s[0:1], 0
                                        ; implicit-def: $vgpr9
	s_branch .LBB504_1454
.LBB504_1382:
	s_mov_b64 s[0:1], -1
                                        ; implicit-def: $vgpr9
	s_branch .LBB504_1389
.LBB504_1383:
	s_trap 2
	s_or_b64 s[18:19], s[18:19], exec
	s_cbranch_execz .LBB504_1300
	s_branch .LBB504_1301
.LBB504_1384:
	s_mov_b64 s[22:23], -1
	s_mov_b64 s[20:21], 0
	s_mov_b64 s[0:1], 0
                                        ; implicit-def: $vgpr9
	s_branch .LBB504_1447
.LBB504_1385:
	s_mov_b64 s[0:1], -1
                                        ; implicit-def: $vgpr9
.LBB504_1386:
	s_andn2_b64 vcc, exec, s[0:1]
	s_cbranch_vccnz .LBB504_1388
; %bb.1387:
	global_load_dwordx2 v[8:9], v[6:7], off
.LBB504_1388:
	s_mov_b64 s[0:1], 0
.LBB504_1389:
	s_andn2_b64 vcc, exec, s[0:1]
	s_cbranch_vccnz .LBB504_1391
; %bb.1390:
	global_load_dword v5, v[6:7], off
	s_waitcnt vmcnt(0)
	v_cvt_f32_f16_sdwa v9, v5 dst_sel:DWORD dst_unused:UNUSED_PAD src0_sel:WORD_1
	v_cvt_f32_f16_e32 v8, v5
.LBB504_1391:
	s_mov_b64 s[0:1], 0
.LBB504_1392:
	s_andn2_b64 vcc, exec, s[0:1]
	s_cbranch_vccnz .LBB504_1404
; %bb.1393:
	s_cmp_lt_i32 s26, 6
	s_cbranch_scc1 .LBB504_1396
; %bb.1394:
	s_cmp_gt_i32 s26, 6
	s_cbranch_scc0 .LBB504_1397
; %bb.1395:
	global_load_dwordx2 v[8:9], v[6:7], off
	s_mov_b64 s[0:1], 0
	s_waitcnt vmcnt(0)
	v_cvt_f32_f64_e32 v8, v[8:9]
	s_branch .LBB504_1398
.LBB504_1396:
	s_mov_b64 s[0:1], -1
                                        ; implicit-def: $vgpr8
	s_branch .LBB504_1401
.LBB504_1397:
	s_mov_b64 s[0:1], -1
                                        ; implicit-def: $vgpr8
.LBB504_1398:
	s_andn2_b64 vcc, exec, s[0:1]
	s_cbranch_vccnz .LBB504_1400
; %bb.1399:
	global_load_dword v8, v[6:7], off
.LBB504_1400:
	s_mov_b64 s[0:1], 0
.LBB504_1401:
	s_andn2_b64 vcc, exec, s[0:1]
	s_cbranch_vccnz .LBB504_1403
; %bb.1402:
	global_load_ushort v5, v[6:7], off
	s_waitcnt vmcnt(0)
	v_cvt_f32_f16_e32 v8, v5
.LBB504_1403:
	s_waitcnt vmcnt(0)
	v_mov_b32_e32 v9, 0
.LBB504_1404:
	s_mov_b64 s[0:1], 0
.LBB504_1405:
	s_andn2_b64 vcc, exec, s[0:1]
	s_cbranch_vccnz .LBB504_1426
; %bb.1406:
	s_cmp_lt_i32 s26, 2
	s_cbranch_scc1 .LBB504_1410
; %bb.1407:
	s_cmp_lt_i32 s26, 3
	s_cbranch_scc1 .LBB504_1411
; %bb.1408:
	s_cmp_gt_i32 s26, 3
	s_cbranch_scc0 .LBB504_1412
; %bb.1409:
	global_load_dwordx2 v[8:9], v[6:7], off
	s_mov_b64 s[0:1], 0
	s_waitcnt vmcnt(0)
	v_xor_b32_e32 v11, v8, v9
	v_ffbh_i32_e32 v5, v9
	v_ashrrev_i32_e32 v11, 31, v11
	v_add_u32_e32 v5, -1, v5
	v_add_u32_e32 v11, 32, v11
	v_min_u32_e32 v5, v5, v11
	v_lshlrev_b64 v[8:9], v5, v[8:9]
	v_min_u32_e32 v8, 1, v8
	v_or_b32_e32 v8, v9, v8
	v_cvt_f32_i32_e32 v8, v8
	v_sub_u32_e32 v5, 32, v5
	v_ldexp_f32 v8, v8, v5
	s_branch .LBB504_1413
.LBB504_1410:
	s_mov_b64 s[0:1], -1
                                        ; implicit-def: $vgpr8
	s_branch .LBB504_1419
.LBB504_1411:
	s_mov_b64 s[0:1], -1
                                        ; implicit-def: $vgpr8
	s_branch .LBB504_1416
.LBB504_1412:
	s_mov_b64 s[0:1], -1
                                        ; implicit-def: $vgpr8
.LBB504_1413:
	s_andn2_b64 vcc, exec, s[0:1]
	s_cbranch_vccnz .LBB504_1415
; %bb.1414:
	global_load_dword v5, v[6:7], off
	s_waitcnt vmcnt(0)
	v_cvt_f32_i32_e32 v8, v5
.LBB504_1415:
	s_mov_b64 s[0:1], 0
.LBB504_1416:
	s_andn2_b64 vcc, exec, s[0:1]
	s_cbranch_vccnz .LBB504_1418
; %bb.1417:
	global_load_sshort v5, v[6:7], off
	s_waitcnt vmcnt(0)
	v_cvt_f32_i32_e32 v8, v5
.LBB504_1418:
	s_mov_b64 s[0:1], 0
.LBB504_1419:
	s_andn2_b64 vcc, exec, s[0:1]
	s_cbranch_vccnz .LBB504_1425
; %bb.1420:
	s_cmp_gt_i32 s26, 0
	s_cbranch_scc0 .LBB504_1422
; %bb.1421:
	global_load_sbyte v5, v[6:7], off
	s_mov_b64 s[0:1], 0
	s_waitcnt vmcnt(0)
	v_cvt_f32_i32_e32 v8, v5
	s_branch .LBB504_1423
.LBB504_1422:
	s_mov_b64 s[0:1], -1
                                        ; implicit-def: $vgpr8
.LBB504_1423:
	s_andn2_b64 vcc, exec, s[0:1]
	s_cbranch_vccnz .LBB504_1425
; %bb.1424:
	global_load_ubyte v5, v[6:7], off
	s_waitcnt vmcnt(0)
	v_cvt_f32_ubyte0_e32 v8, v5
.LBB504_1425:
	s_waitcnt vmcnt(0)
	v_mov_b32_e32 v9, 0
.LBB504_1426:
.LBB504_1427:
	s_waitcnt vmcnt(0)
	v_cmp_o_f32_e32 vcc, v8, v8
	v_mov_b32_e32 v6, s10
	s_and_saveexec_b64 s[0:1], vcc
	s_cbranch_execz .LBB504_1431
; %bb.1428:
	s_mov_b32 s2, 0x7f800000
	v_cmp_neq_f32_e32 vcc, s2, v8
	v_mov_b32_e32 v6, s11
	s_and_saveexec_b64 s[2:3], vcc
; %bb.1429:
	s_mov_b32 s20, 0xff800000
	v_mov_b32_e32 v5, s12
	v_cmp_eq_f32_e32 vcc, s20, v8
	s_nop 1
	v_cndmask_b32_e32 v6, v8, v5, vcc
; %bb.1430:
	s_or_b64 exec, exec, s[2:3]
.LBB504_1431:
	s_or_b64 exec, exec, s[0:1]
	v_cmp_o_f32_e32 vcc, v9, v9
	v_mov_b32_e32 v7, s10
	s_and_saveexec_b64 s[0:1], vcc
	s_cbranch_execz .LBB504_1435
; %bb.1432:
	s_mov_b32 s2, 0x7f800000
	v_cmp_neq_f32_e32 vcc, s2, v9
	v_mov_b32_e32 v7, s11
	s_and_saveexec_b64 s[2:3], vcc
; %bb.1433:
	s_mov_b32 s20, 0xff800000
	v_mov_b32_e32 v5, s12
	v_cmp_eq_f32_e32 vcc, s20, v9
	s_nop 1
	v_cndmask_b32_e32 v7, v9, v5, vcc
; %bb.1434:
	s_or_b64 exec, exec, s[2:3]
.LBB504_1435:
	s_or_b64 exec, exec, s[0:1]
	v_add_u32_e32 v4, s9, v4
	v_ashrrev_i32_e32 v5, 31, v4
	s_cmp_lt_i32 s26, 11
	v_lshl_add_u64 v[4:5], s[6:7], 0, v[4:5]
	s_cbranch_scc1 .LBB504_1442
; %bb.1436:
	s_cmp_gt_i32 s26, 25
	s_mov_b64 s[2:3], 0
	s_cbranch_scc0 .LBB504_1443
; %bb.1437:
	s_cmp_gt_i32 s26, 28
	s_cbranch_scc0 .LBB504_1444
; %bb.1438:
	s_cmp_gt_i32 s26, 43
	;; [unrolled: 3-line block ×3, first 2 shown]
	s_cbranch_scc0 .LBB504_1450
; %bb.1440:
	s_cmp_eq_u32 s26, 46
	s_mov_b64 s[20:21], 0
	s_cbranch_scc0 .LBB504_1513
; %bb.1441:
	global_load_dword v8, v[4:5], off
	s_mov_b64 s[0:1], 0
	s_mov_b64 s[6:7], -1
	s_waitcnt vmcnt(0)
	v_and_b32_e32 v9, 0xffff0000, v8
	v_lshlrev_b32_e32 v8, 16, v8
	s_branch .LBB504_1514
.LBB504_1442:
	s_mov_b64 s[0:1], -1
	s_mov_b64 s[6:7], 0
                                        ; implicit-def: $vgpr9
	s_branch .LBB504_1560
.LBB504_1443:
	s_mov_b64 s[20:21], -1
	s_mov_b64 s[6:7], 0
	s_mov_b64 s[0:1], 0
                                        ; implicit-def: $vgpr9
	s_branch .LBB504_1545
.LBB504_1444:
	s_mov_b64 s[20:21], -1
	s_mov_b64 s[6:7], 0
	s_mov_b64 s[0:1], 0
                                        ; implicit-def: $vgpr9
	s_branch .LBB504_1526
.LBB504_1445:
	s_mov_b64 s[20:21], -1
	s_mov_b64 s[6:7], 0
	s_mov_b64 s[0:1], 0
                                        ; implicit-def: $vgpr9
	s_branch .LBB504_1520
.LBB504_1446:
	s_mov_b64 s[0:1], -1
                                        ; implicit-def: $vgpr9
	s_mov_b64 s[20:21], 0
.LBB504_1447:
	s_and_b64 vcc, exec, s[22:23]
	s_cbranch_vccz .LBB504_1453
; %bb.1448:
	s_cmp_eq_u32 s26, 44
	s_cbranch_scc0 .LBB504_1451
; %bb.1449:
	global_load_ubyte v5, v[6:7], off
	s_movk_i32 s20, 0xff
	v_mov_b32_e32 v8, 0x7f800001
	v_mov_b32_e32 v9, 0x400000
	s_mov_b64 s[0:1], 0
	s_waitcnt vmcnt(0)
	v_lshlrev_b32_e32 v11, 23, v5
	v_cmp_ne_u32_e32 vcc, s20, v5
	s_mov_b64 s[20:21], -1
	s_nop 0
	v_cndmask_b32_e32 v8, v8, v11, vcc
	v_cmp_ne_u32_e32 vcc, 0, v5
	s_nop 1
	v_cndmask_b32_e32 v8, v9, v8, vcc
	s_branch .LBB504_1452
.LBB504_1450:
	s_mov_b64 s[20:21], -1
	s_mov_b64 s[6:7], 0
	s_mov_b64 s[0:1], 0
                                        ; implicit-def: $vgpr9
	s_branch .LBB504_1514
.LBB504_1451:
	s_mov_b64 s[0:1], -1
                                        ; implicit-def: $vgpr8
.LBB504_1452:
	v_mov_b32_e32 v9, 0
.LBB504_1453:
	s_mov_b64 s[22:23], 0
.LBB504_1454:
	s_and_b64 vcc, exec, s[22:23]
	s_cbranch_vccz .LBB504_1459
; %bb.1455:
	s_cmp_eq_u32 s26, 29
	s_cbranch_scc0 .LBB504_1457
; %bb.1456:
	global_load_dwordx2 v[8:9], v[6:7], off
	s_mov_b64 s[0:1], 0
	s_mov_b64 s[20:21], -1
	s_waitcnt vmcnt(0)
	v_ffbh_u32_e32 v5, v9
	v_min_u32_e32 v5, 32, v5
	v_lshlrev_b64 v[8:9], v5, v[8:9]
	v_min_u32_e32 v8, 1, v8
	v_or_b32_e32 v8, v9, v8
	v_cvt_f32_u32_e32 v8, v8
	v_sub_u32_e32 v5, 32, v5
	v_ldexp_f32 v8, v8, v5
	s_branch .LBB504_1458
.LBB504_1457:
	s_mov_b64 s[0:1], -1
                                        ; implicit-def: $vgpr8
.LBB504_1458:
	v_mov_b32_e32 v9, 0
.LBB504_1459:
	s_mov_b64 s[22:23], 0
.LBB504_1460:
	s_and_b64 vcc, exec, s[22:23]
	s_cbranch_vccz .LBB504_1478
; %bb.1461:
	s_cmp_lt_i32 s26, 27
	s_cbranch_scc1 .LBB504_1464
; %bb.1462:
	s_cmp_gt_i32 s26, 27
	s_cbranch_scc0 .LBB504_1465
; %bb.1463:
	global_load_dword v5, v[6:7], off
	s_mov_b64 s[20:21], 0
	s_waitcnt vmcnt(0)
	v_cvt_f32_u32_e32 v8, v5
	s_branch .LBB504_1466
.LBB504_1464:
	s_mov_b64 s[20:21], -1
                                        ; implicit-def: $vgpr8
	s_branch .LBB504_1469
.LBB504_1465:
	s_mov_b64 s[20:21], -1
                                        ; implicit-def: $vgpr8
.LBB504_1466:
	s_andn2_b64 vcc, exec, s[20:21]
	s_cbranch_vccnz .LBB504_1468
; %bb.1467:
	global_load_ushort v5, v[6:7], off
	s_waitcnt vmcnt(0)
	v_cvt_f32_u32_e32 v8, v5
.LBB504_1468:
	s_mov_b64 s[20:21], 0
.LBB504_1469:
	s_andn2_b64 vcc, exec, s[20:21]
	s_cbranch_vccnz .LBB504_1477
; %bb.1470:
	global_load_ubyte v5, v[6:7], off
	s_movk_i32 s20, 0x7f
	s_waitcnt vmcnt(0)
	v_cmp_lt_i16_e32 vcc, s20, v5
	s_mov_b64 s[20:21], 0
	s_and_saveexec_b64 s[22:23], vcc
	s_xor_b64 s[22:23], exec, s[22:23]
	s_cbranch_execz .LBB504_1490
; %bb.1471:
	s_movk_i32 s20, 0x80
	v_cmp_eq_u16_e32 vcc, s20, v5
	s_mov_b64 s[20:21], -1
	s_and_saveexec_b64 s[24:25], vcc
; %bb.1472:
	s_xor_b64 s[20:21], exec, -1
; %bb.1473:
	s_or_b64 exec, exec, s[24:25]
	s_and_b64 s[20:21], s[20:21], exec
	s_or_saveexec_b64 s[22:23], s[22:23]
	v_mov_b32_e32 v8, 0x7f800001
	s_xor_b64 exec, exec, s[22:23]
	s_cbranch_execnz .LBB504_1491
.LBB504_1474:
	s_or_b64 exec, exec, s[22:23]
	s_and_saveexec_b64 s[22:23], s[20:21]
	s_cbranch_execz .LBB504_1476
.LBB504_1475:
	v_lshlrev_b32_e32 v8, 24, v5
	v_and_b32_e32 v5, 0xffff, v5
	v_and_b32_e32 v9, 7, v5
	v_ffbh_u32_e32 v12, v9
	v_min_u32_e32 v12, 32, v12
	v_subrev_u32_e32 v13, 28, v12
	v_bfe_u32 v11, v5, 3, 4
	v_lshlrev_b32_e32 v5, v13, v5
	v_sub_u32_e32 v12, 29, v12
	v_and_b32_e32 v5, 7, v5
	v_cmp_eq_u32_e32 vcc, 0, v11
	v_and_b32_e32 v8, 0x80000000, v8
	s_nop 0
	v_cndmask_b32_e32 v11, v11, v12, vcc
	v_cndmask_b32_e32 v5, v9, v5, vcc
	v_mov_b32_e32 v9, 0x3b800000
	v_lshlrev_b32_e32 v5, 20, v5
	v_lshl_add_u32 v9, v11, 23, v9
	v_or3_b32 v8, v8, v9, v5
.LBB504_1476:
	s_or_b64 exec, exec, s[22:23]
.LBB504_1477:
	s_mov_b64 s[20:21], -1
	v_mov_b32_e32 v9, 0
.LBB504_1478:
	s_branch .LBB504_1369
.LBB504_1479:
	s_cmp_gt_i32 s26, 22
	s_cbranch_scc0 .LBB504_1489
; %bb.1480:
	s_cmp_lt_i32 s26, 24
	s_cbranch_scc1 .LBB504_1492
; %bb.1481:
	s_cmp_gt_i32 s26, 24
	s_cbranch_scc0 .LBB504_1493
; %bb.1482:
	global_load_ubyte v5, v[6:7], off
	s_movk_i32 s2, 0x7f
	s_waitcnt vmcnt(0)
	v_cmp_lt_i16_e32 vcc, s2, v5
	s_mov_b64 s[2:3], 0
	s_and_saveexec_b64 s[20:21], vcc
	s_xor_b64 s[20:21], exec, s[20:21]
	s_cbranch_execz .LBB504_1505
; %bb.1483:
	s_movk_i32 s2, 0x80
	v_cmp_eq_u16_e32 vcc, s2, v5
	s_mov_b64 s[2:3], -1
	s_and_saveexec_b64 s[22:23], vcc
; %bb.1484:
	s_xor_b64 s[2:3], exec, -1
; %bb.1485:
	s_or_b64 exec, exec, s[22:23]
	s_and_b64 s[2:3], s[2:3], exec
	s_or_saveexec_b64 s[20:21], s[20:21]
	v_mov_b32_e32 v8, 0x7f800001
	s_xor_b64 exec, exec, s[20:21]
	s_cbranch_execnz .LBB504_1506
.LBB504_1486:
	s_or_b64 exec, exec, s[20:21]
	s_and_saveexec_b64 s[20:21], s[2:3]
	s_cbranch_execz .LBB504_1488
.LBB504_1487:
	v_lshlrev_b32_e32 v8, 24, v5
	v_and_b32_e32 v5, 0xffff, v5
	v_and_b32_e32 v9, 3, v5
	v_ffbh_u32_e32 v12, v9
	v_min_u32_e32 v12, 32, v12
	v_subrev_u32_e32 v13, 29, v12
	v_bfe_u32 v11, v5, 2, 5
	v_lshlrev_b32_e32 v5, v13, v5
	v_sub_u32_e32 v12, 30, v12
	v_and_b32_e32 v5, 3, v5
	v_cmp_eq_u32_e32 vcc, 0, v11
	v_and_b32_e32 v8, 0x80000000, v8
	s_nop 0
	v_cndmask_b32_e32 v11, v11, v12, vcc
	v_cndmask_b32_e32 v5, v9, v5, vcc
	v_mov_b32_e32 v9, 0x37800000
	v_lshlrev_b32_e32 v5, 21, v5
	v_lshl_add_u32 v9, v11, 23, v9
	v_or3_b32 v8, v8, v9, v5
.LBB504_1488:
	s_or_b64 exec, exec, s[20:21]
	s_mov_b64 s[2:3], 0
	s_branch .LBB504_1494
.LBB504_1489:
	s_mov_b64 s[2:3], -1
                                        ; implicit-def: $vgpr8
	s_branch .LBB504_1500
.LBB504_1490:
	s_or_saveexec_b64 s[22:23], s[22:23]
	v_mov_b32_e32 v8, 0x7f800001
	s_xor_b64 exec, exec, s[22:23]
	s_cbranch_execz .LBB504_1474
.LBB504_1491:
	v_cmp_ne_u16_e32 vcc, 0, v5
	s_andn2_b64 s[20:21], s[20:21], exec
	s_and_b64 s[24:25], vcc, exec
	v_mov_b32_e32 v8, 0
	s_or_b64 s[20:21], s[20:21], s[24:25]
	s_or_b64 exec, exec, s[22:23]
	s_and_saveexec_b64 s[22:23], s[20:21]
	s_cbranch_execnz .LBB504_1475
	s_branch .LBB504_1476
.LBB504_1492:
	s_mov_b64 s[2:3], -1
                                        ; implicit-def: $vgpr8
	s_branch .LBB504_1497
.LBB504_1493:
	s_mov_b64 s[2:3], -1
                                        ; implicit-def: $vgpr8
.LBB504_1494:
	s_and_b64 vcc, exec, s[2:3]
	s_cbranch_vccz .LBB504_1496
; %bb.1495:
	global_load_ubyte v5, v[6:7], off
	s_mov_b32 s2, 0x7f800000
	s_waitcnt vmcnt(0)
	v_lshlrev_b32_e32 v5, 24, v5
	v_and_b32_e32 v8, 0x7f000000, v5
	v_ffbh_u32_e32 v9, v8
	v_min_u32_e32 v9, 32, v9
	v_sub_u32_e64 v9, v9, 4 clamp
	v_lshlrev_b32_e32 v12, v9, v8
	v_lshlrev_b32_e32 v9, 23, v9
	v_lshrrev_b32_e32 v12, 4, v12
	v_add_u32_e32 v11, 0x1000000, v8
	v_sub_u32_e32 v9, v12, v9
	v_ashrrev_i32_e32 v11, 8, v11
	v_add_u32_e32 v9, 0x3c000000, v9
	v_and_or_b32 v9, v11, s2, v9
	v_cmp_ne_u32_e32 vcc, 0, v8
	s_brev_b32 s2, 1
	s_nop 0
	v_cndmask_b32_e32 v8, 0, v9, vcc
	v_and_or_b32 v8, v5, s2, v8
.LBB504_1496:
	s_mov_b64 s[2:3], 0
.LBB504_1497:
	s_andn2_b64 vcc, exec, s[2:3]
	s_cbranch_vccnz .LBB504_1499
; %bb.1498:
	global_load_ubyte v5, v[6:7], off
	s_movk_i32 s2, 0x7f00
	s_brev_b32 s3, 16
	s_waitcnt vmcnt(0)
	v_lshlrev_b16_e32 v8, 8, v5
	v_lshlrev_b32_e32 v5, 25, v5
	v_lshrrev_b32_e32 v9, 4, v5
	v_and_or_b32 v11, v8, s2, 0.5
	v_or_b32_e32 v9, 0x70000000, v9
	v_add_f32_e32 v11, -0.5, v11
	v_mul_f32_e32 v9, 0x7800000, v9
	v_cmp_gt_u32_e32 vcc, s3, v5
	v_bfe_i32 v8, v8, 0, 16
	s_brev_b32 s2, 1
	v_cndmask_b32_e32 v5, v9, v11, vcc
	v_and_or_b32 v8, v8, s2, v5
.LBB504_1499:
	s_mov_b64 s[2:3], 0
	s_mov_b64 s[20:21], -1
.LBB504_1500:
	s_andn2_b64 vcc, exec, s[2:3]
	s_mov_b64 s[2:3], 0
	s_cbranch_vccnz .LBB504_1511
; %bb.1501:
	s_cmp_gt_i32 s26, 14
	s_cbranch_scc0 .LBB504_1504
; %bb.1502:
	s_cmp_eq_u32 s26, 15
	s_cbranch_scc0 .LBB504_1507
; %bb.1503:
	global_load_ushort v5, v[6:7], off
	s_mov_b64 s[0:1], 0
	s_mov_b64 s[20:21], -1
	s_waitcnt vmcnt(0)
	v_lshlrev_b32_e32 v8, 16, v5
	s_branch .LBB504_1508
.LBB504_1504:
	s_mov_b64 s[22:23], -1
                                        ; implicit-def: $vgpr8
	s_branch .LBB504_1509
.LBB504_1505:
	s_or_saveexec_b64 s[20:21], s[20:21]
	v_mov_b32_e32 v8, 0x7f800001
	s_xor_b64 exec, exec, s[20:21]
	s_cbranch_execz .LBB504_1486
.LBB504_1506:
	v_cmp_ne_u16_e32 vcc, 0, v5
	s_andn2_b64 s[2:3], s[2:3], exec
	s_and_b64 s[22:23], vcc, exec
	v_mov_b32_e32 v8, 0
	s_or_b64 s[2:3], s[2:3], s[22:23]
	s_or_b64 exec, exec, s[20:21]
	s_and_saveexec_b64 s[20:21], s[2:3]
	s_cbranch_execnz .LBB504_1487
	s_branch .LBB504_1488
.LBB504_1507:
	s_mov_b64 s[0:1], -1
                                        ; implicit-def: $vgpr8
.LBB504_1508:
	s_mov_b64 s[22:23], 0
.LBB504_1509:
	s_and_b64 vcc, exec, s[22:23]
	s_cbranch_vccz .LBB504_1511
; %bb.1510:
	s_cmp_lg_u32 s26, 11
	s_mov_b64 s[2:3], -1
	s_cselect_b64 s[0:1], -1, 0
.LBB504_1511:
	v_mov_b32_e32 v9, 0
	s_and_b64 vcc, exec, s[0:1]
	s_cbranch_vccz .LBB504_1370
.LBB504_1512:
	s_trap 2
	s_or_b64 s[18:19], s[18:19], exec
	s_cbranch_execz .LBB504_1371
	s_branch .LBB504_1372
.LBB504_1513:
	s_mov_b64 s[0:1], -1
                                        ; implicit-def: $vgpr9
	s_mov_b64 s[6:7], 0
.LBB504_1514:
	s_and_b64 vcc, exec, s[20:21]
	s_cbranch_vccz .LBB504_1519
; %bb.1515:
	s_cmp_eq_u32 s26, 44
	s_cbranch_scc0 .LBB504_1517
; %bb.1516:
	global_load_ubyte v8, v[4:5], off
	s_movk_i32 s6, 0xff
	v_mov_b32_e32 v9, 0x7f800001
	v_mov_b32_e32 v11, 0x400000
	s_mov_b64 s[0:1], 0
	s_waitcnt vmcnt(0)
	v_lshlrev_b32_e32 v12, 23, v8
	v_cmp_ne_u32_e32 vcc, s6, v8
	s_mov_b64 s[6:7], -1
	s_nop 0
	v_cndmask_b32_e32 v9, v9, v12, vcc
	v_cmp_ne_u32_e32 vcc, 0, v8
	s_nop 1
	v_cndmask_b32_e32 v8, v11, v9, vcc
	s_branch .LBB504_1518
.LBB504_1517:
	s_mov_b64 s[0:1], -1
                                        ; implicit-def: $vgpr8
.LBB504_1518:
	v_mov_b32_e32 v9, 0
.LBB504_1519:
	s_mov_b64 s[20:21], 0
.LBB504_1520:
	s_and_b64 vcc, exec, s[20:21]
	s_cbranch_vccz .LBB504_1525
; %bb.1521:
	s_cmp_eq_u32 s26, 29
	s_cbranch_scc0 .LBB504_1523
; %bb.1522:
	global_load_dwordx2 v[8:9], v[4:5], off
	s_mov_b64 s[0:1], 0
	s_mov_b64 s[6:7], -1
	s_waitcnt vmcnt(0)
	v_ffbh_u32_e32 v11, v9
	v_min_u32_e32 v11, 32, v11
	v_lshlrev_b64 v[8:9], v11, v[8:9]
	v_min_u32_e32 v8, 1, v8
	v_or_b32_e32 v8, v9, v8
	v_cvt_f32_u32_e32 v8, v8
	v_sub_u32_e32 v9, 32, v11
	v_ldexp_f32 v8, v8, v9
	s_branch .LBB504_1524
.LBB504_1523:
	s_mov_b64 s[0:1], -1
                                        ; implicit-def: $vgpr8
.LBB504_1524:
	v_mov_b32_e32 v9, 0
.LBB504_1525:
	s_mov_b64 s[20:21], 0
.LBB504_1526:
	s_and_b64 vcc, exec, s[20:21]
	s_cbranch_vccz .LBB504_1544
; %bb.1527:
	s_cmp_lt_i32 s26, 27
	s_cbranch_scc1 .LBB504_1530
; %bb.1528:
	s_cmp_gt_i32 s26, 27
	s_cbranch_scc0 .LBB504_1531
; %bb.1529:
	global_load_dword v8, v[4:5], off
	s_mov_b64 s[6:7], 0
	s_waitcnt vmcnt(0)
	v_cvt_f32_u32_e32 v8, v8
	s_branch .LBB504_1532
.LBB504_1530:
	s_mov_b64 s[6:7], -1
                                        ; implicit-def: $vgpr8
	s_branch .LBB504_1535
.LBB504_1531:
	s_mov_b64 s[6:7], -1
                                        ; implicit-def: $vgpr8
.LBB504_1532:
	s_andn2_b64 vcc, exec, s[6:7]
	s_cbranch_vccnz .LBB504_1534
; %bb.1533:
	global_load_ushort v8, v[4:5], off
	s_waitcnt vmcnt(0)
	v_cvt_f32_u32_e32 v8, v8
.LBB504_1534:
	s_mov_b64 s[6:7], 0
.LBB504_1535:
	s_andn2_b64 vcc, exec, s[6:7]
	s_cbranch_vccnz .LBB504_1543
; %bb.1536:
	global_load_ubyte v9, v[4:5], off
	s_movk_i32 s6, 0x7f
	s_waitcnt vmcnt(0)
	v_cmp_lt_i16_e32 vcc, s6, v9
	s_mov_b64 s[6:7], 0
	s_and_saveexec_b64 s[20:21], vcc
	s_xor_b64 s[20:21], exec, s[20:21]
	s_cbranch_execz .LBB504_1569
; %bb.1537:
	s_movk_i32 s6, 0x80
	v_cmp_eq_u16_e32 vcc, s6, v9
	s_mov_b64 s[6:7], -1
	s_and_saveexec_b64 s[22:23], vcc
; %bb.1538:
	s_xor_b64 s[6:7], exec, -1
; %bb.1539:
	s_or_b64 exec, exec, s[22:23]
	s_and_b64 s[6:7], s[6:7], exec
	s_or_saveexec_b64 s[20:21], s[20:21]
	v_mov_b32_e32 v8, 0x7f800001
	s_xor_b64 exec, exec, s[20:21]
	s_cbranch_execnz .LBB504_1570
.LBB504_1540:
	s_or_b64 exec, exec, s[20:21]
	s_and_saveexec_b64 s[20:21], s[6:7]
	s_cbranch_execz .LBB504_1542
.LBB504_1541:
	v_lshlrev_b32_e32 v8, 24, v9
	v_and_b32_e32 v9, 0xffff, v9
	v_and_b32_e32 v11, 7, v9
	v_ffbh_u32_e32 v13, v11
	v_min_u32_e32 v13, 32, v13
	v_subrev_u32_e32 v14, 28, v13
	v_bfe_u32 v12, v9, 3, 4
	v_lshlrev_b32_e32 v9, v14, v9
	v_sub_u32_e32 v13, 29, v13
	v_and_b32_e32 v9, 7, v9
	v_cmp_eq_u32_e32 vcc, 0, v12
	v_and_b32_e32 v8, 0x80000000, v8
	s_nop 0
	v_cndmask_b32_e32 v12, v12, v13, vcc
	v_cndmask_b32_e32 v9, v11, v9, vcc
	v_mov_b32_e32 v11, 0x3b800000
	v_lshlrev_b32_e32 v9, 20, v9
	v_lshl_add_u32 v11, v12, 23, v11
	v_or3_b32 v8, v8, v11, v9
.LBB504_1542:
	s_or_b64 exec, exec, s[20:21]
.LBB504_1543:
	s_mov_b64 s[6:7], -1
	v_mov_b32_e32 v9, 0
.LBB504_1544:
	s_mov_b64 s[20:21], 0
.LBB504_1545:
	s_and_b64 vcc, exec, s[20:21]
	s_cbranch_vccz .LBB504_1556
; %bb.1546:
	s_cmp_gt_i32 s26, 22
	s_cbranch_scc0 .LBB504_1567
; %bb.1547:
	s_cmp_lt_i32 s26, 24
	s_cbranch_scc1 .LBB504_1571
; %bb.1548:
	s_cmp_gt_i32 s26, 24
	s_cbranch_scc0 .LBB504_1573
; %bb.1549:
	global_load_ubyte v9, v[4:5], off
	s_movk_i32 s2, 0x7f
	s_waitcnt vmcnt(0)
	v_cmp_lt_i16_e32 vcc, s2, v9
	s_mov_b64 s[2:3], 0
	s_and_saveexec_b64 s[6:7], vcc
	s_xor_b64 s[6:7], exec, s[6:7]
	s_cbranch_execz .LBB504_1585
; %bb.1550:
	s_movk_i32 s2, 0x80
	v_cmp_eq_u16_e32 vcc, s2, v9
	s_mov_b64 s[2:3], -1
	s_and_saveexec_b64 s[20:21], vcc
; %bb.1551:
	s_xor_b64 s[2:3], exec, -1
; %bb.1552:
	s_or_b64 exec, exec, s[20:21]
	s_and_b64 s[2:3], s[2:3], exec
	s_or_saveexec_b64 s[6:7], s[6:7]
	v_mov_b32_e32 v8, 0x7f800001
	s_xor_b64 exec, exec, s[6:7]
	s_cbranch_execnz .LBB504_1586
.LBB504_1553:
	s_or_b64 exec, exec, s[6:7]
	s_and_saveexec_b64 s[6:7], s[2:3]
	s_cbranch_execz .LBB504_1555
.LBB504_1554:
	v_lshlrev_b32_e32 v8, 24, v9
	v_and_b32_e32 v9, 0xffff, v9
	v_and_b32_e32 v11, 3, v9
	v_ffbh_u32_e32 v13, v11
	v_min_u32_e32 v13, 32, v13
	v_subrev_u32_e32 v14, 29, v13
	v_bfe_u32 v12, v9, 2, 5
	v_lshlrev_b32_e32 v9, v14, v9
	v_sub_u32_e32 v13, 30, v13
	v_and_b32_e32 v9, 3, v9
	v_cmp_eq_u32_e32 vcc, 0, v12
	v_and_b32_e32 v8, 0x80000000, v8
	s_nop 0
	v_cndmask_b32_e32 v12, v12, v13, vcc
	v_cndmask_b32_e32 v9, v11, v9, vcc
	v_mov_b32_e32 v11, 0x37800000
	v_lshlrev_b32_e32 v9, 21, v9
	v_lshl_add_u32 v11, v12, 23, v11
	v_or3_b32 v8, v8, v11, v9
.LBB504_1555:
	s_or_b64 exec, exec, s[6:7]
	s_mov_b64 s[2:3], 0
	s_branch .LBB504_1574
.LBB504_1556:
	s_and_b64 vcc, exec, s[0:1]
	s_cbranch_vccnz .LBB504_1604
.LBB504_1557:
	s_andn2_b64 vcc, exec, s[2:3]
	s_cbranch_vccnz .LBB504_1559
.LBB504_1558:
	global_load_ubyte v8, v[4:5], off
	v_mov_b32_e32 v9, 0
	s_mov_b64 s[6:7], -1
	s_waitcnt vmcnt(0)
	v_cmp_ne_u16_e32 vcc, 0, v8
	s_nop 1
	v_cndmask_b32_e64 v8, 0, 1.0, vcc
.LBB504_1559:
	s_mov_b64 s[0:1], 0
.LBB504_1560:
	s_and_b64 vcc, exec, s[0:1]
	s_cbranch_vccz .LBB504_1635
; %bb.1561:
	s_cmp_lt_i32 s26, 5
	s_cbranch_scc1 .LBB504_1566
; %bb.1562:
	s_cmp_lt_i32 s26, 8
	s_cbranch_scc1 .LBB504_1568
	;; [unrolled: 3-line block ×3, first 2 shown]
; %bb.1564:
	s_cmp_gt_i32 s26, 9
	s_cbranch_scc0 .LBB504_1587
; %bb.1565:
	global_load_dwordx4 v[12:15], v[4:5], off
	s_mov_b64 s[0:1], 0
	s_waitcnt vmcnt(0)
	v_cvt_f32_f64_e32 v8, v[12:13]
	v_cvt_f32_f64_e32 v9, v[14:15]
	s_branch .LBB504_1588
.LBB504_1566:
	s_mov_b64 s[0:1], -1
                                        ; implicit-def: $vgpr9
	s_branch .LBB504_1613
.LBB504_1567:
	s_mov_b64 s[2:3], -1
                                        ; implicit-def: $vgpr8
	s_branch .LBB504_1580
.LBB504_1568:
	s_mov_b64 s[0:1], -1
                                        ; implicit-def: $vgpr9
	s_branch .LBB504_1594
.LBB504_1569:
	s_or_saveexec_b64 s[20:21], s[20:21]
	v_mov_b32_e32 v8, 0x7f800001
	s_xor_b64 exec, exec, s[20:21]
	s_cbranch_execz .LBB504_1540
.LBB504_1570:
	v_cmp_ne_u16_e32 vcc, 0, v9
	s_andn2_b64 s[6:7], s[6:7], exec
	s_and_b64 s[22:23], vcc, exec
	v_mov_b32_e32 v8, 0
	s_or_b64 s[6:7], s[6:7], s[22:23]
	s_or_b64 exec, exec, s[20:21]
	s_and_saveexec_b64 s[20:21], s[6:7]
	s_cbranch_execnz .LBB504_1541
	s_branch .LBB504_1542
.LBB504_1571:
	s_mov_b64 s[2:3], -1
                                        ; implicit-def: $vgpr8
	s_branch .LBB504_1577
.LBB504_1572:
	s_mov_b64 s[0:1], -1
                                        ; implicit-def: $vgpr9
	s_branch .LBB504_1591
.LBB504_1573:
	s_mov_b64 s[2:3], -1
                                        ; implicit-def: $vgpr8
.LBB504_1574:
	s_and_b64 vcc, exec, s[2:3]
	s_cbranch_vccz .LBB504_1576
; %bb.1575:
	global_load_ubyte v8, v[4:5], off
	s_mov_b32 s2, 0x7f800000
	s_waitcnt vmcnt(0)
	v_lshlrev_b32_e32 v8, 24, v8
	v_and_b32_e32 v9, 0x7f000000, v8
	v_ffbh_u32_e32 v11, v9
	v_min_u32_e32 v11, 32, v11
	v_sub_u32_e64 v11, v11, 4 clamp
	v_lshlrev_b32_e32 v13, v11, v9
	v_lshlrev_b32_e32 v11, 23, v11
	v_lshrrev_b32_e32 v13, 4, v13
	v_add_u32_e32 v12, 0x1000000, v9
	v_sub_u32_e32 v11, v13, v11
	v_ashrrev_i32_e32 v12, 8, v12
	v_add_u32_e32 v11, 0x3c000000, v11
	v_and_or_b32 v11, v12, s2, v11
	v_cmp_ne_u32_e32 vcc, 0, v9
	s_brev_b32 s2, 1
	s_nop 0
	v_cndmask_b32_e32 v9, 0, v11, vcc
	v_and_or_b32 v8, v8, s2, v9
.LBB504_1576:
	s_mov_b64 s[2:3], 0
.LBB504_1577:
	s_andn2_b64 vcc, exec, s[2:3]
	s_cbranch_vccnz .LBB504_1579
; %bb.1578:
	global_load_ubyte v8, v[4:5], off
	s_movk_i32 s2, 0x7f00
	s_brev_b32 s3, 16
	s_waitcnt vmcnt(0)
	v_lshlrev_b16_e32 v9, 8, v8
	v_lshlrev_b32_e32 v8, 25, v8
	v_lshrrev_b32_e32 v11, 4, v8
	v_and_or_b32 v12, v9, s2, 0.5
	v_or_b32_e32 v11, 0x70000000, v11
	v_add_f32_e32 v12, -0.5, v12
	v_mul_f32_e32 v11, 0x7800000, v11
	v_cmp_gt_u32_e32 vcc, s3, v8
	v_bfe_i32 v9, v9, 0, 16
	s_brev_b32 s2, 1
	v_cndmask_b32_e32 v8, v11, v12, vcc
	v_and_or_b32 v8, v9, s2, v8
.LBB504_1579:
	s_mov_b64 s[2:3], 0
	s_mov_b64 s[6:7], -1
.LBB504_1580:
	s_andn2_b64 vcc, exec, s[2:3]
	s_mov_b64 s[2:3], 0
	s_cbranch_vccnz .LBB504_1603
; %bb.1581:
	s_cmp_gt_i32 s26, 14
	s_cbranch_scc0 .LBB504_1584
; %bb.1582:
	s_cmp_eq_u32 s26, 15
	s_cbranch_scc0 .LBB504_1599
; %bb.1583:
	global_load_ushort v8, v[4:5], off
	s_mov_b64 s[0:1], 0
	s_mov_b64 s[6:7], -1
	s_waitcnt vmcnt(0)
	v_lshlrev_b32_e32 v8, 16, v8
	s_branch .LBB504_1600
.LBB504_1584:
	s_mov_b64 s[20:21], -1
                                        ; implicit-def: $vgpr8
	s_branch .LBB504_1601
.LBB504_1585:
	s_or_saveexec_b64 s[6:7], s[6:7]
	v_mov_b32_e32 v8, 0x7f800001
	s_xor_b64 exec, exec, s[6:7]
	s_cbranch_execz .LBB504_1553
.LBB504_1586:
	v_cmp_ne_u16_e32 vcc, 0, v9
	s_andn2_b64 s[2:3], s[2:3], exec
	s_and_b64 s[20:21], vcc, exec
	v_mov_b32_e32 v8, 0
	s_or_b64 s[2:3], s[2:3], s[20:21]
	s_or_b64 exec, exec, s[6:7]
	s_and_saveexec_b64 s[6:7], s[2:3]
	s_cbranch_execnz .LBB504_1554
	s_branch .LBB504_1555
.LBB504_1587:
	s_mov_b64 s[0:1], -1
                                        ; implicit-def: $vgpr9
.LBB504_1588:
	s_andn2_b64 vcc, exec, s[0:1]
	s_cbranch_vccnz .LBB504_1590
; %bb.1589:
	global_load_dwordx2 v[8:9], v[4:5], off
.LBB504_1590:
	s_mov_b64 s[0:1], 0
.LBB504_1591:
	s_andn2_b64 vcc, exec, s[0:1]
	s_cbranch_vccnz .LBB504_1593
; %bb.1592:
	global_load_dword v8, v[4:5], off
	s_waitcnt vmcnt(0)
	v_cvt_f32_f16_sdwa v9, v8 dst_sel:DWORD dst_unused:UNUSED_PAD src0_sel:WORD_1
	v_cvt_f32_f16_e32 v8, v8
.LBB504_1593:
	s_mov_b64 s[0:1], 0
.LBB504_1594:
	s_andn2_b64 vcc, exec, s[0:1]
	s_cbranch_vccnz .LBB504_1612
; %bb.1595:
	s_cmp_lt_i32 s26, 6
	s_cbranch_scc1 .LBB504_1598
; %bb.1596:
	s_cmp_gt_i32 s26, 6
	s_cbranch_scc0 .LBB504_1605
; %bb.1597:
	global_load_dwordx2 v[8:9], v[4:5], off
	s_mov_b64 s[0:1], 0
	s_waitcnt vmcnt(0)
	v_cvt_f32_f64_e32 v8, v[8:9]
	s_branch .LBB504_1606
.LBB504_1598:
	s_mov_b64 s[0:1], -1
                                        ; implicit-def: $vgpr8
	s_branch .LBB504_1609
.LBB504_1599:
	s_mov_b64 s[0:1], -1
                                        ; implicit-def: $vgpr8
.LBB504_1600:
	s_mov_b64 s[20:21], 0
.LBB504_1601:
	s_and_b64 vcc, exec, s[20:21]
	s_cbranch_vccz .LBB504_1603
; %bb.1602:
	s_cmp_lg_u32 s26, 11
	s_mov_b64 s[2:3], -1
	s_cselect_b64 s[0:1], -1, 0
.LBB504_1603:
	v_mov_b32_e32 v9, 0
	s_and_b64 vcc, exec, s[0:1]
	s_cbranch_vccz .LBB504_1557
.LBB504_1604:
	s_trap 2
	s_or_b64 s[18:19], s[18:19], exec
	s_cbranch_execz .LBB504_1558
	s_branch .LBB504_1559
.LBB504_1605:
	s_mov_b64 s[0:1], -1
                                        ; implicit-def: $vgpr8
.LBB504_1606:
	s_andn2_b64 vcc, exec, s[0:1]
	s_cbranch_vccnz .LBB504_1608
; %bb.1607:
	global_load_dword v8, v[4:5], off
.LBB504_1608:
	s_mov_b64 s[0:1], 0
.LBB504_1609:
	s_andn2_b64 vcc, exec, s[0:1]
	s_cbranch_vccnz .LBB504_1611
; %bb.1610:
	global_load_ushort v8, v[4:5], off
	s_waitcnt vmcnt(0)
	v_cvt_f32_f16_e32 v8, v8
.LBB504_1611:
	s_waitcnt vmcnt(0)
	v_mov_b32_e32 v9, 0
.LBB504_1612:
	s_mov_b64 s[0:1], 0
.LBB504_1613:
	s_andn2_b64 vcc, exec, s[0:1]
	s_cbranch_vccnz .LBB504_1634
; %bb.1614:
	s_cmp_lt_i32 s26, 2
	s_cbranch_scc1 .LBB504_1618
; %bb.1615:
	s_cmp_lt_i32 s26, 3
	s_cbranch_scc1 .LBB504_1619
; %bb.1616:
	s_cmp_gt_i32 s26, 3
	s_cbranch_scc0 .LBB504_1620
; %bb.1617:
	global_load_dwordx2 v[8:9], v[4:5], off
	s_mov_b64 s[0:1], 0
	s_waitcnt vmcnt(0)
	v_xor_b32_e32 v12, v8, v9
	v_ffbh_i32_e32 v11, v9
	v_ashrrev_i32_e32 v12, 31, v12
	v_add_u32_e32 v11, -1, v11
	v_add_u32_e32 v12, 32, v12
	v_min_u32_e32 v11, v11, v12
	v_lshlrev_b64 v[8:9], v11, v[8:9]
	v_min_u32_e32 v8, 1, v8
	v_or_b32_e32 v8, v9, v8
	v_cvt_f32_i32_e32 v8, v8
	v_sub_u32_e32 v9, 32, v11
	v_ldexp_f32 v8, v8, v9
	s_branch .LBB504_1621
.LBB504_1618:
	s_mov_b64 s[0:1], -1
                                        ; implicit-def: $vgpr8
	s_branch .LBB504_1627
.LBB504_1619:
	s_mov_b64 s[0:1], -1
                                        ; implicit-def: $vgpr8
	s_branch .LBB504_1624
.LBB504_1620:
	s_mov_b64 s[0:1], -1
                                        ; implicit-def: $vgpr8
.LBB504_1621:
	s_andn2_b64 vcc, exec, s[0:1]
	s_cbranch_vccnz .LBB504_1623
; %bb.1622:
	global_load_dword v8, v[4:5], off
	s_waitcnt vmcnt(0)
	v_cvt_f32_i32_e32 v8, v8
.LBB504_1623:
	s_mov_b64 s[0:1], 0
.LBB504_1624:
	s_andn2_b64 vcc, exec, s[0:1]
	s_cbranch_vccnz .LBB504_1626
; %bb.1625:
	global_load_sshort v8, v[4:5], off
	s_waitcnt vmcnt(0)
	v_cvt_f32_i32_e32 v8, v8
.LBB504_1626:
	s_mov_b64 s[0:1], 0
.LBB504_1627:
	s_andn2_b64 vcc, exec, s[0:1]
	s_cbranch_vccnz .LBB504_1633
; %bb.1628:
	s_cmp_gt_i32 s26, 0
	s_cbranch_scc0 .LBB504_1630
; %bb.1629:
	global_load_sbyte v8, v[4:5], off
	s_mov_b64 s[0:1], 0
	s_waitcnt vmcnt(0)
	v_cvt_f32_i32_e32 v8, v8
	s_branch .LBB504_1631
.LBB504_1630:
	s_mov_b64 s[0:1], -1
                                        ; implicit-def: $vgpr8
.LBB504_1631:
	s_andn2_b64 vcc, exec, s[0:1]
	s_cbranch_vccnz .LBB504_1633
; %bb.1632:
	global_load_ubyte v4, v[4:5], off
	s_waitcnt vmcnt(0)
	v_cvt_f32_ubyte0_e32 v8, v4
.LBB504_1633:
	s_waitcnt vmcnt(0)
	v_mov_b32_e32 v9, 0
.LBB504_1634:
	s_mov_b64 s[6:7], -1
.LBB504_1635:
	s_andn2_b64 vcc, exec, s[6:7]
	s_cbranch_vccnz .LBB504_1722
; %bb.1636:
	s_waitcnt vmcnt(0)
	v_cmp_o_f32_e32 vcc, v8, v8
	v_mov_b32_e32 v4, s10
	s_and_saveexec_b64 s[0:1], vcc
	s_cbranch_execz .LBB504_1640
; %bb.1637:
	s_mov_b32 s2, 0x7f800000
	v_cmp_neq_f32_e32 vcc, s2, v8
	v_mov_b32_e32 v4, s11
	s_and_saveexec_b64 s[2:3], vcc
; %bb.1638:
	s_mov_b32 s6, 0xff800000
	v_mov_b32_e32 v4, s12
	v_cmp_eq_f32_e32 vcc, s6, v8
	s_nop 1
	v_cndmask_b32_e32 v4, v8, v4, vcc
; %bb.1639:
	s_or_b64 exec, exec, s[2:3]
.LBB504_1640:
	s_or_b64 exec, exec, s[0:1]
	v_cmp_o_f32_e32 vcc, v9, v9
	v_mov_b32_e32 v5, s10
	s_and_saveexec_b64 s[0:1], vcc
	s_cbranch_execz .LBB504_1644
; %bb.1641:
	s_mov_b32 s2, 0x7f800000
	v_cmp_neq_f32_e32 vcc, s2, v9
	v_mov_b32_e32 v5, s11
	s_and_saveexec_b64 s[2:3], vcc
; %bb.1642:
	s_mov_b32 s6, 0xff800000
	v_mov_b32_e32 v5, s12
	v_cmp_eq_f32_e32 vcc, s6, v9
	s_nop 1
	v_cndmask_b32_e32 v5, v9, v5, vcc
; %bb.1643:
	s_or_b64 exec, exec, s[2:3]
.LBB504_1644:
	s_or_b64 exec, exec, s[0:1]
	v_mul_lo_u32 v8, s8, v10
	v_ashrrev_i32_e32 v9, 31, v8
	s_and_b32 s22, s13, 0xff
	s_cmp_lt_i32 s22, 11
	v_lshl_add_u64 v[10:11], s[4:5], 0, v[8:9]
	s_cbranch_scc1 .LBB504_1768
; %bb.1645:
	s_and_b32 s9, 0xffff, s22
	s_mov_b64 s[10:11], -1
	s_mov_b64 s[2:3], 0
	s_cmp_gt_i32 s9, 25
	s_mov_b64 s[6:7], 0
	s_mov_b64 s[0:1], 0
	s_cbranch_scc0 .LBB504_1678
; %bb.1646:
	s_cmp_gt_i32 s9, 28
	s_cbranch_scc0 .LBB504_1661
; %bb.1647:
	s_cmp_gt_i32 s9, 43
	;; [unrolled: 3-line block ×3, first 2 shown]
	s_cbranch_scc0 .LBB504_1651
; %bb.1649:
	s_mov_b64 s[0:1], -1
	s_mov_b64 s[10:11], 0
	s_cmp_eq_u32 s9, 46
	s_cbranch_scc0 .LBB504_1651
; %bb.1650:
	s_movk_i32 s0, 0x7fff
	v_bfe_u32 v12, v1, 16, 1
	v_add3_u32 v12, v1, v12, s0
	v_bfe_u32 v9, v0, 16, 1
	v_and_b32_e32 v12, 0xffff0000, v12
	v_mov_b32_e32 v13, 0x7fc00000
	v_cmp_o_f32_e32 vcc, v1, v1
	v_add3_u32 v9, v0, v9, s0
	s_mov_b64 s[0:1], 0
	v_cndmask_b32_e32 v12, v13, v12, vcc
	v_cmp_o_f32_e32 vcc, v0, v0
	v_mov_b32_e32 v13, 0x7fc0
	s_mov_b64 s[6:7], -1
	v_cndmask_b32_sdwa v9, v13, v9, vcc dst_sel:DWORD dst_unused:UNUSED_PAD src0_sel:DWORD src1_sel:WORD_1
	v_or_b32_e32 v9, v12, v9
	global_store_dword v[10:11], v9, off
.LBB504_1651:
	s_and_b64 vcc, exec, s[10:11]
	s_cbranch_vccz .LBB504_1656
; %bb.1652:
	s_cmp_eq_u32 s9, 44
	s_mov_b64 s[0:1], -1
	s_cbranch_scc0 .LBB504_1656
; %bb.1653:
	v_bfe_u32 v9, v0, 23, 8
	s_movk_i32 s0, 0xff
	v_cmp_ne_u32_e32 vcc, s0, v9
	v_mov_b32_e32 v12, 0xff
	s_and_saveexec_b64 s[6:7], vcc
; %bb.1654:
	s_mov_b32 s0, 0x3fffff
	v_and_b32_e32 v13, 0x400000, v0
	v_and_or_b32 v9, v0, s0, v9
	v_cmp_ne_u32_e32 vcc, 0, v13
	v_cmp_ne_u32_e64 s[0:1], 0, v9
	s_and_b64 s[0:1], vcc, s[0:1]
	v_lshrrev_b32_e32 v12, 23, v0
	v_cndmask_b32_e64 v9, 0, 1, s[0:1]
	v_add_u32_e32 v12, v12, v9
; %bb.1655:
	s_or_b64 exec, exec, s[6:7]
	s_mov_b64 s[0:1], 0
	s_mov_b64 s[6:7], -1
	global_store_byte v[10:11], v12, off
.LBB504_1656:
	s_mov_b64 s[10:11], 0
.LBB504_1657:
	s_and_b64 vcc, exec, s[10:11]
	s_cbranch_vccz .LBB504_1660
; %bb.1658:
	s_cmp_eq_u32 s9, 29
	s_mov_b64 s[0:1], -1
	s_cbranch_scc0 .LBB504_1660
; %bb.1659:
	v_trunc_f32_e32 v9, v0
	v_mul_f32_e32 v12, 0x2f800000, v9
	v_floor_f32_e32 v12, v12
	v_fmamk_f32 v9, v12, 0xcf800000, v9
	v_cvt_u32_f32_e32 v13, v12
	v_cvt_u32_f32_e32 v12, v9
	s_mov_b64 s[0:1], 0
	s_mov_b64 s[6:7], -1
	global_store_dwordx2 v[10:11], v[12:13], off
.LBB504_1660:
	s_mov_b64 s[10:11], 0
.LBB504_1661:
	s_and_b64 vcc, exec, s[10:11]
	s_cbranch_vccz .LBB504_1677
; %bb.1662:
	s_cmp_lt_i32 s9, 27
	s_mov_b64 s[6:7], -1
	s_cbranch_scc1 .LBB504_1668
; %bb.1663:
	v_cvt_u32_f32_e32 v9, v0
	s_cmp_gt_i32 s9, 27
	s_cbranch_scc0 .LBB504_1665
; %bb.1664:
	s_mov_b64 s[6:7], 0
	global_store_dword v[10:11], v9, off
.LBB504_1665:
	s_andn2_b64 vcc, exec, s[6:7]
	s_cbranch_vccnz .LBB504_1667
; %bb.1666:
	global_store_short v[10:11], v9, off
.LBB504_1667:
	s_mov_b64 s[6:7], 0
.LBB504_1668:
	s_andn2_b64 vcc, exec, s[6:7]
	s_cbranch_vccnz .LBB504_1676
; %bb.1669:
	v_and_b32_e32 v9, 0x7fffffff, v0
	s_mov_b32 s6, 0x43800000
	v_cmp_gt_u32_e32 vcc, s6, v9
	v_mov_b32_e32 v12, 0x80
	s_and_saveexec_b64 s[6:7], vcc
	s_cbranch_execz .LBB504_1675
; %bb.1670:
	s_mov_b32 s10, 0x3bffffff
	v_cmp_lt_u32_e32 vcc, s10, v9
	s_mov_b64 s[10:11], 0
                                        ; implicit-def: $vgpr9
	s_and_saveexec_b64 s[12:13], vcc
	s_xor_b64 s[12:13], exec, s[12:13]
	s_cbranch_execz .LBB504_2125
; %bb.1671:
	v_bfe_u32 v9, v0, 20, 1
	s_mov_b32 s20, 0x487ffff
	v_add3_u32 v9, v0, v9, s20
	s_mov_b64 s[10:11], exec
	v_lshrrev_b32_e32 v9, 20, v9
	s_andn2_saveexec_b64 s[12:13], s[12:13]
	s_cbranch_execnz .LBB504_2126
.LBB504_1672:
	s_or_b64 exec, exec, s[12:13]
	v_mov_b32_e32 v12, 0
	s_and_saveexec_b64 s[12:13], s[10:11]
.LBB504_1673:
	v_lshrrev_b32_e32 v12, 24, v0
	s_movk_i32 s10, 0x80
	v_and_or_b32 v12, v12, s10, v9
.LBB504_1674:
	s_or_b64 exec, exec, s[12:13]
.LBB504_1675:
	s_or_b64 exec, exec, s[6:7]
	global_store_byte v[10:11], v12, off
.LBB504_1676:
	s_mov_b64 s[6:7], -1
.LBB504_1677:
	s_mov_b64 s[10:11], 0
.LBB504_1678:
	s_and_b64 vcc, exec, s[10:11]
	s_cbranch_vccz .LBB504_1718
; %bb.1679:
	s_cmp_gt_i32 s9, 22
	s_mov_b64 s[2:3], -1
	s_cbranch_scc0 .LBB504_1711
; %bb.1680:
	s_cmp_lt_i32 s9, 24
	s_cbranch_scc1 .LBB504_1700
; %bb.1681:
	s_cmp_gt_i32 s9, 24
	s_cbranch_scc0 .LBB504_1689
; %bb.1682:
	v_and_b32_e32 v9, 0x7fffffff, v0
	s_mov_b32 s2, 0x47800000
	v_cmp_gt_u32_e32 vcc, s2, v9
	v_mov_b32_e32 v12, 0x80
	s_and_saveexec_b64 s[2:3], vcc
	s_cbranch_execz .LBB504_1688
; %bb.1683:
	s_mov_b32 s6, 0x37ffffff
	v_cmp_lt_u32_e32 vcc, s6, v9
	s_mov_b64 s[6:7], 0
                                        ; implicit-def: $vgpr9
	s_and_saveexec_b64 s[10:11], vcc
	s_xor_b64 s[10:11], exec, s[10:11]
	s_cbranch_execz .LBB504_2128
; %bb.1684:
	v_bfe_u32 v9, v0, 21, 1
	s_mov_b32 s12, 0x88fffff
	v_add3_u32 v9, v0, v9, s12
	s_mov_b64 s[6:7], exec
	v_lshrrev_b32_e32 v9, 21, v9
	s_andn2_saveexec_b64 s[10:11], s[10:11]
	s_cbranch_execnz .LBB504_2129
.LBB504_1685:
	s_or_b64 exec, exec, s[10:11]
	v_mov_b32_e32 v12, 0
	s_and_saveexec_b64 s[10:11], s[6:7]
.LBB504_1686:
	v_lshrrev_b32_e32 v12, 24, v0
	s_movk_i32 s6, 0x80
	v_and_or_b32 v12, v12, s6, v9
.LBB504_1687:
	s_or_b64 exec, exec, s[10:11]
.LBB504_1688:
	s_or_b64 exec, exec, s[2:3]
	s_mov_b64 s[2:3], 0
	global_store_byte v[10:11], v12, off
.LBB504_1689:
	s_and_b64 vcc, exec, s[2:3]
	s_cbranch_vccz .LBB504_1699
; %bb.1690:
	v_and_b32_e32 v12, 0x7fffffff, v0
	s_mov_b32 s2, 0x43f00000
	v_cmp_gt_u32_e32 vcc, s2, v12
                                        ; implicit-def: $vgpr9
	s_and_saveexec_b64 s[2:3], vcc
	s_xor_b64 s[2:3], exec, s[2:3]
	s_cbranch_execz .LBB504_1696
; %bb.1691:
	s_mov_b32 s6, 0x3c7fffff
	v_cmp_lt_u32_e32 vcc, s6, v12
                                        ; implicit-def: $vgpr9
	s_and_saveexec_b64 s[6:7], vcc
	s_xor_b64 s[6:7], exec, s[6:7]
; %bb.1692:
	v_bfe_u32 v9, v0, 20, 1
	s_mov_b32 s10, 0x407ffff
	v_add3_u32 v9, v0, v9, s10
	v_lshrrev_b32_e32 v12, 20, v9
	v_and_b32_e32 v9, 0xff00000, v9
	s_mov_b32 s10, 0x7f00000
	v_mov_b32_e32 v13, 0x7e
	v_cmp_ne_u32_e32 vcc, s10, v9
	s_nop 1
	v_cndmask_b32_e32 v9, v13, v12, vcc
; %bb.1693:
	s_andn2_saveexec_b64 s[6:7], s[6:7]
; %bb.1694:
	s_mov_b32 s10, 0x46800000
	v_add_f32_e64 v9, |v0|, s10
; %bb.1695:
	s_or_b64 exec, exec, s[6:7]
                                        ; implicit-def: $vgpr12
.LBB504_1696:
	s_andn2_saveexec_b64 s[2:3], s[2:3]
; %bb.1697:
	s_mov_b32 s6, 0x7f800000
	v_mov_b32_e32 v9, 0x7e
	v_mov_b32_e32 v13, 0x7f
	v_cmp_lt_u32_e32 vcc, s6, v12
	s_nop 1
	v_cndmask_b32_e32 v9, v9, v13, vcc
; %bb.1698:
	s_or_b64 exec, exec, s[2:3]
	v_lshrrev_b32_e32 v12, 24, v0
	s_movk_i32 s2, 0x80
	v_and_or_b32 v9, v12, s2, v9
	global_store_byte v[10:11], v9, off
.LBB504_1699:
	s_mov_b64 s[2:3], 0
.LBB504_1700:
	s_andn2_b64 vcc, exec, s[2:3]
	s_cbranch_vccnz .LBB504_1710
; %bb.1701:
	v_and_b32_e32 v12, 0x7fffffff, v0
	s_mov_b32 s2, 0x47800000
	v_cmp_gt_u32_e32 vcc, s2, v12
                                        ; implicit-def: $vgpr9
	s_and_saveexec_b64 s[2:3], vcc
	s_xor_b64 s[2:3], exec, s[2:3]
	s_cbranch_execz .LBB504_1707
; %bb.1702:
	s_mov_b32 s6, 0x387fffff
	v_cmp_lt_u32_e32 vcc, s6, v12
                                        ; implicit-def: $vgpr9
	s_and_saveexec_b64 s[6:7], vcc
	s_xor_b64 s[6:7], exec, s[6:7]
; %bb.1703:
	v_bfe_u32 v9, v0, 21, 1
	s_mov_b32 s10, 0x80fffff
	v_add3_u32 v9, v0, v9, s10
	v_lshrrev_b32_e32 v9, 21, v9
; %bb.1704:
	s_andn2_saveexec_b64 s[6:7], s[6:7]
; %bb.1705:
	s_mov_b32 s10, 0x43000000
	v_add_f32_e64 v9, |v0|, s10
; %bb.1706:
	s_or_b64 exec, exec, s[6:7]
                                        ; implicit-def: $vgpr12
.LBB504_1707:
	s_andn2_saveexec_b64 s[2:3], s[2:3]
; %bb.1708:
	s_mov_b32 s6, 0x7f800000
	v_mov_b32_e32 v9, 0x7c
	v_mov_b32_e32 v13, 0x7f
	v_cmp_lt_u32_e32 vcc, s6, v12
	s_nop 1
	v_cndmask_b32_e32 v9, v9, v13, vcc
; %bb.1709:
	s_or_b64 exec, exec, s[2:3]
	v_lshrrev_b32_e32 v12, 24, v0
	s_movk_i32 s2, 0x80
	v_and_or_b32 v9, v12, s2, v9
	global_store_byte v[10:11], v9, off
.LBB504_1710:
	s_mov_b64 s[2:3], 0
	s_mov_b64 s[6:7], -1
.LBB504_1711:
	s_andn2_b64 vcc, exec, s[2:3]
	s_mov_b64 s[2:3], 0
	s_cbranch_vccnz .LBB504_1718
; %bb.1712:
	s_cmp_gt_i32 s9, 14
	s_mov_b64 s[10:11], -1
	s_cbranch_scc0 .LBB504_1716
; %bb.1713:
	s_cmp_eq_u32 s9, 15
	s_mov_b64 s[0:1], -1
	s_cbranch_scc0 .LBB504_1715
; %bb.1714:
	v_bfe_u32 v9, v0, 16, 1
	s_movk_i32 s0, 0x7fff
	v_add3_u32 v9, v0, v9, s0
	v_cmp_o_f32_e32 vcc, v0, v0
	v_mov_b32_e32 v12, 0x7fc0
	s_mov_b64 s[0:1], 0
	v_cndmask_b32_sdwa v9, v12, v9, vcc dst_sel:DWORD dst_unused:UNUSED_PAD src0_sel:DWORD src1_sel:WORD_1
	global_store_short v[10:11], v9, off
	s_mov_b64 s[6:7], -1
.LBB504_1715:
	s_mov_b64 s[10:11], 0
.LBB504_1716:
	s_and_b64 vcc, exec, s[10:11]
	s_cbranch_vccz .LBB504_1718
; %bb.1717:
	s_cmp_lg_u32 s9, 11
	s_mov_b64 s[2:3], -1
	s_cselect_b64 s[0:1], -1, 0
.LBB504_1718:
	s_and_b64 vcc, exec, s[0:1]
	s_cbranch_vccnz .LBB504_2127
; %bb.1719:
	s_andn2_b64 vcc, exec, s[2:3]
	s_cbranch_vccnz .LBB504_1721
.LBB504_1720:
	v_cmp_neq_f32_e32 vcc, 0, v0
	v_cmp_neq_f32_e64 s[0:1], 0, v1
	s_or_b64 s[0:1], vcc, s[0:1]
	s_mov_b64 s[6:7], -1
	v_cndmask_b32_e64 v9, 0, 1, s[0:1]
	global_store_byte v[10:11], v9, off
.LBB504_1721:
	s_mov_b64 s[0:1], 0
	s_branch .LBB504_1769
.LBB504_1722:
	s_mov_b64 s[0:1], 0
                                        ; implicit-def: $sgpr22
                                        ; implicit-def: $vgpr0_vgpr1
                                        ; implicit-def: $vgpr5
.LBB504_1723:
	s_mov_b64 s[2:3], 0
.LBB504_1724:
	s_and_b64 s[20:21], s[0:1], exec
	s_andn2_b64 s[0:1], s[16:17], exec
	s_and_b64 s[4:5], s[18:19], exec
	s_and_b64 s[2:3], s[2:3], exec
	s_or_b64 s[16:17], s[0:1], s[4:5]
.LBB504_1725:
	s_or_b64 exec, exec, s[14:15]
	s_and_saveexec_b64 s[0:1], s[16:17]
	s_cbranch_execz .LBB504_1728
; %bb.1726:
	; divergent unreachable
	s_or_b64 exec, exec, s[0:1]
	s_and_saveexec_b64 s[0:1], s[2:3]
	s_xor_b64 s[2:3], exec, s[0:1]
	s_cbranch_execnz .LBB504_1729
.LBB504_1727:
	s_or_b64 exec, exec, s[2:3]
	s_and_saveexec_b64 s[0:1], s[20:21]
	s_cbranch_execnz .LBB504_1730
	s_branch .LBB504_1767
.LBB504_1728:
	s_or_b64 exec, exec, s[0:1]
	s_and_saveexec_b64 s[0:1], s[2:3]
	s_xor_b64 s[2:3], exec, s[0:1]
	s_cbranch_execz .LBB504_1727
.LBB504_1729:
	s_waitcnt vmcnt(0)
	v_cmp_neq_f32_e32 vcc, 0, v4
	v_cmp_neq_f32_e64 s[0:1], 0, v5
	s_or_b64 s[0:1], vcc, s[0:1]
	s_nop 0
	v_cndmask_b32_e64 v2, 0, 1, s[0:1]
	global_store_byte v[0:1], v2, off
	s_or_b64 exec, exec, s[2:3]
	s_and_saveexec_b64 s[0:1], s[20:21]
	s_cbranch_execz .LBB504_1767
.LBB504_1730:
	s_sext_i32_i16 s2, s22
	s_cmp_lt_i32 s2, 5
	s_mov_b64 s[0:1], -1
	s_cbranch_scc1 .LBB504_1751
; %bb.1731:
	s_cmp_lt_i32 s2, 8
	s_cbranch_scc1 .LBB504_1741
; %bb.1732:
	s_cmp_lt_i32 s2, 9
	s_cbranch_scc1 .LBB504_1738
; %bb.1733:
	s_cmp_gt_i32 s2, 9
	s_cbranch_scc0 .LBB504_1735
; %bb.1734:
	s_waitcnt vmcnt(0)
	v_cvt_f64_f32_e32 v[6:7], v4
	v_cvt_f64_f32_e32 v[8:9], v5
	global_store_dwordx4 v[0:1], v[6:9], off
	s_mov_b64 s[0:1], 0
.LBB504_1735:
	s_andn2_b64 vcc, exec, s[0:1]
	s_cbranch_vccnz .LBB504_1737
; %bb.1736:
	s_waitcnt vmcnt(0)
	global_store_dwordx2 v[0:1], v[4:5], off
.LBB504_1737:
	s_mov_b64 s[0:1], 0
.LBB504_1738:
	s_andn2_b64 vcc, exec, s[0:1]
	s_cbranch_vccnz .LBB504_1740
; %bb.1739:
	s_waitcnt vmcnt(0)
	v_cvt_f16_f32_e32 v2, v4
	v_cvt_f16_f32_sdwa v3, v5 dst_sel:WORD_1 dst_unused:UNUSED_PAD src0_sel:DWORD
	s_nop 0
	v_or_b32_e32 v2, v3, v2
	global_store_dword v[0:1], v2, off
.LBB504_1740:
	s_mov_b64 s[0:1], 0
.LBB504_1741:
	s_andn2_b64 vcc, exec, s[0:1]
	s_cbranch_vccnz .LBB504_1750
; %bb.1742:
	s_sext_i32_i16 s2, s22
	s_cmp_lt_i32 s2, 6
	s_mov_b64 s[0:1], -1
	s_cbranch_scc1 .LBB504_1748
; %bb.1743:
	s_cmp_gt_i32 s2, 6
	s_cbranch_scc0 .LBB504_1745
; %bb.1744:
	s_waitcnt vmcnt(0)
	v_cvt_f64_f32_e32 v[2:3], v4
	global_store_dwordx2 v[0:1], v[2:3], off
	s_mov_b64 s[0:1], 0
.LBB504_1745:
	s_andn2_b64 vcc, exec, s[0:1]
	s_cbranch_vccnz .LBB504_1747
; %bb.1746:
	s_waitcnt vmcnt(0)
	global_store_dword v[0:1], v4, off
.LBB504_1747:
	s_mov_b64 s[0:1], 0
.LBB504_1748:
	s_andn2_b64 vcc, exec, s[0:1]
	s_cbranch_vccnz .LBB504_1750
; %bb.1749:
	s_waitcnt vmcnt(0)
	v_cvt_f16_f32_e32 v2, v4
	global_store_short v[0:1], v2, off
.LBB504_1750:
	s_mov_b64 s[0:1], 0
.LBB504_1751:
	s_andn2_b64 vcc, exec, s[0:1]
	s_cbranch_vccnz .LBB504_1767
; %bb.1752:
	s_sext_i32_i16 s2, s22
	s_cmp_lt_i32 s2, 2
	s_mov_b64 s[0:1], -1
	s_cbranch_scc1 .LBB504_1762
; %bb.1753:
	s_cmp_lt_i32 s2, 3
	s_cbranch_scc1 .LBB504_1759
; %bb.1754:
	s_cmp_gt_i32 s2, 3
	s_cbranch_scc0 .LBB504_1756
; %bb.1755:
	s_waitcnt vmcnt(0)
	v_trunc_f32_e32 v2, v4
	s_mov_b32 s0, 0x2f800000
	v_mul_f32_e64 v3, |v2|, s0
	v_floor_f32_e32 v3, v3
	s_mov_b32 s0, 0xcf800000
	v_cvt_u32_f32_e32 v5, v3
	v_fma_f32 v3, v3, s0, |v2|
	v_cvt_u32_f32_e32 v3, v3
	v_ashrrev_i32_e32 v6, 31, v2
	v_xor_b32_e32 v5, v5, v6
	s_mov_b64 s[0:1], 0
	v_xor_b32_e32 v2, v3, v6
	v_sub_co_u32_e32 v2, vcc, v2, v6
	s_nop 1
	v_subb_co_u32_e32 v3, vcc, v5, v6, vcc
	global_store_dwordx2 v[0:1], v[2:3], off
.LBB504_1756:
	s_andn2_b64 vcc, exec, s[0:1]
	s_cbranch_vccnz .LBB504_1758
; %bb.1757:
	s_waitcnt vmcnt(0)
	v_cvt_i32_f32_e32 v2, v4
	global_store_dword v[0:1], v2, off
.LBB504_1758:
	s_mov_b64 s[0:1], 0
.LBB504_1759:
	s_andn2_b64 vcc, exec, s[0:1]
	s_cbranch_vccnz .LBB504_1761
; %bb.1760:
	s_waitcnt vmcnt(0)
	v_cvt_i32_f32_e32 v2, v4
	global_store_short v[0:1], v2, off
.LBB504_1761:
	s_mov_b64 s[0:1], 0
.LBB504_1762:
	s_andn2_b64 vcc, exec, s[0:1]
	s_cbranch_vccnz .LBB504_1767
; %bb.1763:
	s_sext_i32_i16 s0, s22
	s_cmp_gt_i32 s0, 0
	s_mov_b64 s[0:1], -1
	s_cbranch_scc0 .LBB504_1765
; %bb.1764:
	s_waitcnt vmcnt(0)
	v_cvt_i32_f32_e32 v2, v4
	s_mov_b64 s[0:1], 0
	global_store_byte v[0:1], v2, off
.LBB504_1765:
	s_andn2_b64 vcc, exec, s[0:1]
	s_cbranch_vccnz .LBB504_1767
; %bb.1766:
	s_waitcnt vmcnt(0)
	v_trunc_f32_e32 v2, v4
	s_mov_b32 s0, 0x2f800000
	v_mul_f32_e64 v3, |v2|, s0
	v_floor_f32_e32 v3, v3
	s_mov_b32 s0, 0xcf800000
	v_fma_f32 v3, v3, s0, |v2|
	v_cvt_u32_f32_e32 v3, v3
	v_ashrrev_i32_e32 v2, 31, v2
	v_xor_b32_e32 v3, v3, v2
	v_sub_u32_e32 v2, v3, v2
	global_store_byte v[0:1], v2, off
	s_endpgm
.LBB504_1767:
	s_endpgm
.LBB504_1768:
	s_mov_b64 s[0:1], -1
	s_mov_b64 s[6:7], 0
.LBB504_1769:
	s_and_b64 vcc, exec, s[0:1]
	s_cbranch_vccz .LBB504_1808
; %bb.1770:
	s_and_b32 s2, 0xffff, s22
	s_cmp_lt_i32 s2, 5
	s_mov_b64 s[0:1], -1
	s_cbranch_scc1 .LBB504_1791
; %bb.1771:
	s_cmp_lt_i32 s2, 8
	s_cbranch_scc1 .LBB504_1781
; %bb.1772:
	s_cmp_lt_i32 s2, 9
	s_cbranch_scc1 .LBB504_1778
; %bb.1773:
	s_cmp_gt_i32 s2, 9
	s_cbranch_scc0 .LBB504_1775
; %bb.1774:
	v_cvt_f64_f32_e32 v[12:13], v0
	v_cvt_f64_f32_e32 v[14:15], v1
	global_store_dwordx4 v[10:11], v[12:15], off
	s_mov_b64 s[0:1], 0
.LBB504_1775:
	s_andn2_b64 vcc, exec, s[0:1]
	s_cbranch_vccnz .LBB504_1777
; %bb.1776:
	global_store_dwordx2 v[10:11], v[0:1], off
.LBB504_1777:
	s_mov_b64 s[0:1], 0
.LBB504_1778:
	s_andn2_b64 vcc, exec, s[0:1]
	s_cbranch_vccnz .LBB504_1780
; %bb.1779:
	v_cvt_f16_f32_e32 v9, v0
	v_cvt_f16_f32_sdwa v1, v1 dst_sel:WORD_1 dst_unused:UNUSED_PAD src0_sel:DWORD
	s_nop 0
	v_or_b32_e32 v1, v1, v9
	global_store_dword v[10:11], v1, off
.LBB504_1780:
	s_mov_b64 s[0:1], 0
.LBB504_1781:
	s_andn2_b64 vcc, exec, s[0:1]
	s_cbranch_vccnz .LBB504_1790
; %bb.1782:
	s_cmp_lt_i32 s2, 6
	s_mov_b64 s[0:1], -1
	s_cbranch_scc1 .LBB504_1788
; %bb.1783:
	s_cmp_gt_i32 s2, 6
	s_cbranch_scc0 .LBB504_1785
; %bb.1784:
	v_cvt_f64_f32_e32 v[12:13], v0
	global_store_dwordx2 v[10:11], v[12:13], off
	s_mov_b64 s[0:1], 0
.LBB504_1785:
	s_andn2_b64 vcc, exec, s[0:1]
	s_cbranch_vccnz .LBB504_1787
; %bb.1786:
	global_store_dword v[10:11], v0, off
.LBB504_1787:
	s_mov_b64 s[0:1], 0
.LBB504_1788:
	s_andn2_b64 vcc, exec, s[0:1]
	s_cbranch_vccnz .LBB504_1790
; %bb.1789:
	v_cvt_f16_f32_e32 v1, v0
	global_store_short v[10:11], v1, off
.LBB504_1790:
	s_mov_b64 s[0:1], 0
.LBB504_1791:
	s_andn2_b64 vcc, exec, s[0:1]
	s_cbranch_vccnz .LBB504_1807
; %bb.1792:
	s_cmp_lt_i32 s2, 2
	s_mov_b64 s[0:1], -1
	s_cbranch_scc1 .LBB504_1802
; %bb.1793:
	s_cmp_lt_i32 s2, 3
	s_cbranch_scc1 .LBB504_1799
; %bb.1794:
	s_cmp_gt_i32 s2, 3
	s_cbranch_scc0 .LBB504_1796
; %bb.1795:
	v_trunc_f32_e32 v1, v0
	s_mov_b32 s0, 0x2f800000
	v_mul_f32_e64 v9, |v1|, s0
	v_floor_f32_e32 v9, v9
	s_mov_b32 s0, 0xcf800000
	v_cvt_u32_f32_e32 v12, v9
	v_fma_f32 v9, v9, s0, |v1|
	v_cvt_u32_f32_e32 v9, v9
	v_ashrrev_i32_e32 v1, 31, v1
	v_xor_b32_e32 v13, v12, v1
	s_mov_b64 s[0:1], 0
	v_xor_b32_e32 v9, v9, v1
	v_sub_co_u32_e32 v12, vcc, v9, v1
	s_nop 1
	v_subb_co_u32_e32 v13, vcc, v13, v1, vcc
	global_store_dwordx2 v[10:11], v[12:13], off
.LBB504_1796:
	s_andn2_b64 vcc, exec, s[0:1]
	s_cbranch_vccnz .LBB504_1798
; %bb.1797:
	v_cvt_i32_f32_e32 v1, v0
	global_store_dword v[10:11], v1, off
.LBB504_1798:
	s_mov_b64 s[0:1], 0
.LBB504_1799:
	s_andn2_b64 vcc, exec, s[0:1]
	s_cbranch_vccnz .LBB504_1801
; %bb.1800:
	v_cvt_i32_f32_e32 v1, v0
	global_store_short v[10:11], v1, off
.LBB504_1801:
	s_mov_b64 s[0:1], 0
.LBB504_1802:
	s_andn2_b64 vcc, exec, s[0:1]
	s_cbranch_vccnz .LBB504_1807
; %bb.1803:
	s_cmp_gt_i32 s2, 0
	s_mov_b64 s[0:1], -1
	s_cbranch_scc0 .LBB504_1805
; %bb.1804:
	v_cvt_i32_f32_e32 v1, v0
	s_mov_b64 s[0:1], 0
	global_store_byte v[10:11], v1, off
.LBB504_1805:
	s_andn2_b64 vcc, exec, s[0:1]
	s_cbranch_vccnz .LBB504_1807
; %bb.1806:
	v_trunc_f32_e32 v0, v0
	s_mov_b32 s0, 0x2f800000
	v_mul_f32_e64 v1, |v0|, s0
	v_floor_f32_e32 v1, v1
	s_mov_b32 s0, 0xcf800000
	v_fma_f32 v1, v1, s0, |v0|
	v_cvt_u32_f32_e32 v1, v1
	v_ashrrev_i32_e32 v0, 31, v0
	v_xor_b32_e32 v1, v1, v0
	v_sub_u32_e32 v0, v1, v0
	global_store_byte v[10:11], v0, off
.LBB504_1807:
	s_mov_b64 s[6:7], -1
.LBB504_1808:
	s_andn2_b64 vcc, exec, s[6:7]
	s_cbranch_vccnz .LBB504_2123
; %bb.1809:
	s_lshl_b32 s12, s8, 7
	v_add_u32_e32 v0, s12, v8
	v_ashrrev_i32_e32 v1, 31, v0
	s_cmp_lt_i32 s22, 11
	v_lshl_add_u64 v[8:9], s[4:5], 0, v[0:1]
	s_cbranch_scc1 .LBB504_1887
; %bb.1810:
	s_and_b32 s13, 0xffff, s22
	s_mov_b64 s[8:9], -1
	s_mov_b64 s[2:3], 0
	s_cmp_gt_i32 s13, 25
	s_mov_b64 s[6:7], 0
	s_mov_b64 s[0:1], 0
	s_cbranch_scc0 .LBB504_1843
; %bb.1811:
	s_cmp_gt_i32 s13, 28
	s_cbranch_scc0 .LBB504_1826
; %bb.1812:
	s_cmp_gt_i32 s13, 43
	;; [unrolled: 3-line block ×3, first 2 shown]
	s_cbranch_scc0 .LBB504_1816
; %bb.1814:
	s_mov_b64 s[0:1], -1
	s_mov_b64 s[8:9], 0
	s_cmp_eq_u32 s13, 46
	s_cbranch_scc0 .LBB504_1816
; %bb.1815:
	s_movk_i32 s0, 0x7fff
	v_bfe_u32 v10, v3, 16, 1
	v_add3_u32 v10, v3, v10, s0
	v_bfe_u32 v1, v2, 16, 1
	v_and_b32_e32 v10, 0xffff0000, v10
	v_mov_b32_e32 v11, 0x7fc00000
	v_cmp_o_f32_e32 vcc, v3, v3
	v_add3_u32 v1, v2, v1, s0
	s_mov_b64 s[0:1], 0
	v_cndmask_b32_e32 v10, v11, v10, vcc
	v_cmp_o_f32_e32 vcc, v2, v2
	v_mov_b32_e32 v11, 0x7fc0
	s_mov_b64 s[6:7], -1
	v_cndmask_b32_sdwa v1, v11, v1, vcc dst_sel:DWORD dst_unused:UNUSED_PAD src0_sel:DWORD src1_sel:WORD_1
	v_or_b32_e32 v1, v10, v1
	global_store_dword v[8:9], v1, off
.LBB504_1816:
	s_and_b64 vcc, exec, s[8:9]
	s_cbranch_vccz .LBB504_1821
; %bb.1817:
	s_cmp_eq_u32 s13, 44
	s_mov_b64 s[0:1], -1
	s_cbranch_scc0 .LBB504_1821
; %bb.1818:
	v_bfe_u32 v1, v2, 23, 8
	s_movk_i32 s0, 0xff
	v_cmp_ne_u32_e32 vcc, s0, v1
	v_mov_b32_e32 v10, 0xff
	s_and_saveexec_b64 s[6:7], vcc
; %bb.1819:
	s_mov_b32 s0, 0x3fffff
	v_and_b32_e32 v11, 0x400000, v2
	v_and_or_b32 v1, v2, s0, v1
	v_cmp_ne_u32_e32 vcc, 0, v11
	v_cmp_ne_u32_e64 s[0:1], 0, v1
	s_and_b64 s[0:1], vcc, s[0:1]
	v_lshrrev_b32_e32 v10, 23, v2
	v_cndmask_b32_e64 v1, 0, 1, s[0:1]
	v_add_u32_e32 v10, v10, v1
; %bb.1820:
	s_or_b64 exec, exec, s[6:7]
	s_mov_b64 s[0:1], 0
	s_mov_b64 s[6:7], -1
	global_store_byte v[8:9], v10, off
.LBB504_1821:
	s_mov_b64 s[8:9], 0
.LBB504_1822:
	s_and_b64 vcc, exec, s[8:9]
	s_cbranch_vccz .LBB504_1825
; %bb.1823:
	s_cmp_eq_u32 s13, 29
	s_mov_b64 s[0:1], -1
	s_cbranch_scc0 .LBB504_1825
; %bb.1824:
	v_trunc_f32_e32 v1, v2
	v_mul_f32_e32 v10, 0x2f800000, v1
	v_floor_f32_e32 v10, v10
	v_fmamk_f32 v1, v10, 0xcf800000, v1
	v_cvt_u32_f32_e32 v11, v10
	v_cvt_u32_f32_e32 v10, v1
	s_mov_b64 s[0:1], 0
	s_mov_b64 s[6:7], -1
	global_store_dwordx2 v[8:9], v[10:11], off
.LBB504_1825:
	s_mov_b64 s[8:9], 0
.LBB504_1826:
	s_and_b64 vcc, exec, s[8:9]
	s_cbranch_vccz .LBB504_1842
; %bb.1827:
	s_cmp_lt_i32 s13, 27
	s_mov_b64 s[6:7], -1
	s_cbranch_scc1 .LBB504_1833
; %bb.1828:
	v_cvt_u32_f32_e32 v1, v2
	s_cmp_gt_i32 s13, 27
	s_cbranch_scc0 .LBB504_1830
; %bb.1829:
	s_mov_b64 s[6:7], 0
	global_store_dword v[8:9], v1, off
.LBB504_1830:
	s_andn2_b64 vcc, exec, s[6:7]
	s_cbranch_vccnz .LBB504_1832
; %bb.1831:
	global_store_short v[8:9], v1, off
.LBB504_1832:
	s_mov_b64 s[6:7], 0
.LBB504_1833:
	s_andn2_b64 vcc, exec, s[6:7]
	s_cbranch_vccnz .LBB504_1841
; %bb.1834:
	v_and_b32_e32 v1, 0x7fffffff, v2
	s_mov_b32 s6, 0x43800000
	v_cmp_gt_u32_e32 vcc, s6, v1
	v_mov_b32_e32 v10, 0x80
	s_and_saveexec_b64 s[6:7], vcc
	s_cbranch_execz .LBB504_1840
; %bb.1835:
	s_mov_b32 s8, 0x3bffffff
	v_cmp_lt_u32_e32 vcc, s8, v1
	s_mov_b64 s[8:9], 0
                                        ; implicit-def: $vgpr1
	s_and_saveexec_b64 s[10:11], vcc
	s_xor_b64 s[10:11], exec, s[10:11]
	s_cbranch_execz .LBB504_2130
; %bb.1836:
	v_bfe_u32 v1, v2, 20, 1
	s_mov_b32 s20, 0x487ffff
	v_add3_u32 v1, v2, v1, s20
	s_mov_b64 s[8:9], exec
	v_lshrrev_b32_e32 v1, 20, v1
	s_andn2_saveexec_b64 s[10:11], s[10:11]
	s_cbranch_execnz .LBB504_2131
.LBB504_1837:
	s_or_b64 exec, exec, s[10:11]
	v_mov_b32_e32 v10, 0
	s_and_saveexec_b64 s[10:11], s[8:9]
.LBB504_1838:
	v_lshrrev_b32_e32 v10, 24, v2
	s_movk_i32 s8, 0x80
	v_and_or_b32 v10, v10, s8, v1
.LBB504_1839:
	s_or_b64 exec, exec, s[10:11]
.LBB504_1840:
	s_or_b64 exec, exec, s[6:7]
	global_store_byte v[8:9], v10, off
.LBB504_1841:
	s_mov_b64 s[6:7], -1
.LBB504_1842:
	s_mov_b64 s[8:9], 0
.LBB504_1843:
	s_and_b64 vcc, exec, s[8:9]
	s_cbranch_vccz .LBB504_1883
; %bb.1844:
	s_cmp_gt_i32 s13, 22
	s_mov_b64 s[2:3], -1
	s_cbranch_scc0 .LBB504_1876
; %bb.1845:
	s_cmp_lt_i32 s13, 24
	s_cbranch_scc1 .LBB504_1865
; %bb.1846:
	s_cmp_gt_i32 s13, 24
	s_cbranch_scc0 .LBB504_1854
; %bb.1847:
	v_and_b32_e32 v1, 0x7fffffff, v2
	s_mov_b32 s2, 0x47800000
	v_cmp_gt_u32_e32 vcc, s2, v1
	v_mov_b32_e32 v10, 0x80
	s_and_saveexec_b64 s[2:3], vcc
	s_cbranch_execz .LBB504_1853
; %bb.1848:
	s_mov_b32 s6, 0x37ffffff
	v_cmp_lt_u32_e32 vcc, s6, v1
	s_mov_b64 s[6:7], 0
                                        ; implicit-def: $vgpr1
	s_and_saveexec_b64 s[8:9], vcc
	s_xor_b64 s[8:9], exec, s[8:9]
	s_cbranch_execz .LBB504_2133
; %bb.1849:
	v_bfe_u32 v1, v2, 21, 1
	s_mov_b32 s10, 0x88fffff
	v_add3_u32 v1, v2, v1, s10
	s_mov_b64 s[6:7], exec
	v_lshrrev_b32_e32 v1, 21, v1
	s_andn2_saveexec_b64 s[8:9], s[8:9]
	s_cbranch_execnz .LBB504_2134
.LBB504_1850:
	s_or_b64 exec, exec, s[8:9]
	v_mov_b32_e32 v10, 0
	s_and_saveexec_b64 s[8:9], s[6:7]
.LBB504_1851:
	v_lshrrev_b32_e32 v10, 24, v2
	s_movk_i32 s6, 0x80
	v_and_or_b32 v10, v10, s6, v1
.LBB504_1852:
	s_or_b64 exec, exec, s[8:9]
.LBB504_1853:
	s_or_b64 exec, exec, s[2:3]
	s_mov_b64 s[2:3], 0
	global_store_byte v[8:9], v10, off
.LBB504_1854:
	s_and_b64 vcc, exec, s[2:3]
	s_cbranch_vccz .LBB504_1864
; %bb.1855:
	v_and_b32_e32 v10, 0x7fffffff, v2
	s_mov_b32 s2, 0x43f00000
	v_cmp_gt_u32_e32 vcc, s2, v10
                                        ; implicit-def: $vgpr1
	s_and_saveexec_b64 s[2:3], vcc
	s_xor_b64 s[2:3], exec, s[2:3]
	s_cbranch_execz .LBB504_1861
; %bb.1856:
	s_mov_b32 s6, 0x3c7fffff
	v_cmp_lt_u32_e32 vcc, s6, v10
                                        ; implicit-def: $vgpr1
	s_and_saveexec_b64 s[6:7], vcc
	s_xor_b64 s[6:7], exec, s[6:7]
; %bb.1857:
	v_bfe_u32 v1, v2, 20, 1
	s_mov_b32 s8, 0x407ffff
	v_add3_u32 v1, v2, v1, s8
	v_lshrrev_b32_e32 v10, 20, v1
	v_and_b32_e32 v1, 0xff00000, v1
	s_mov_b32 s8, 0x7f00000
	v_mov_b32_e32 v11, 0x7e
	v_cmp_ne_u32_e32 vcc, s8, v1
	s_nop 1
	v_cndmask_b32_e32 v1, v11, v10, vcc
; %bb.1858:
	s_andn2_saveexec_b64 s[6:7], s[6:7]
; %bb.1859:
	s_mov_b32 s8, 0x46800000
	v_add_f32_e64 v1, |v2|, s8
; %bb.1860:
	s_or_b64 exec, exec, s[6:7]
                                        ; implicit-def: $vgpr10
.LBB504_1861:
	s_andn2_saveexec_b64 s[2:3], s[2:3]
; %bb.1862:
	s_mov_b32 s6, 0x7f800000
	v_mov_b32_e32 v1, 0x7e
	v_mov_b32_e32 v11, 0x7f
	v_cmp_lt_u32_e32 vcc, s6, v10
	s_nop 1
	v_cndmask_b32_e32 v1, v1, v11, vcc
; %bb.1863:
	s_or_b64 exec, exec, s[2:3]
	v_lshrrev_b32_e32 v10, 24, v2
	s_movk_i32 s2, 0x80
	v_and_or_b32 v1, v10, s2, v1
	global_store_byte v[8:9], v1, off
.LBB504_1864:
	s_mov_b64 s[2:3], 0
.LBB504_1865:
	s_andn2_b64 vcc, exec, s[2:3]
	s_cbranch_vccnz .LBB504_1875
; %bb.1866:
	v_and_b32_e32 v10, 0x7fffffff, v2
	s_mov_b32 s2, 0x47800000
	v_cmp_gt_u32_e32 vcc, s2, v10
                                        ; implicit-def: $vgpr1
	s_and_saveexec_b64 s[2:3], vcc
	s_xor_b64 s[2:3], exec, s[2:3]
	s_cbranch_execz .LBB504_1872
; %bb.1867:
	s_mov_b32 s6, 0x387fffff
	v_cmp_lt_u32_e32 vcc, s6, v10
                                        ; implicit-def: $vgpr1
	s_and_saveexec_b64 s[6:7], vcc
	s_xor_b64 s[6:7], exec, s[6:7]
; %bb.1868:
	v_bfe_u32 v1, v2, 21, 1
	s_mov_b32 s8, 0x80fffff
	v_add3_u32 v1, v2, v1, s8
	v_lshrrev_b32_e32 v1, 21, v1
; %bb.1869:
	s_andn2_saveexec_b64 s[6:7], s[6:7]
; %bb.1870:
	s_mov_b32 s8, 0x43000000
	v_add_f32_e64 v1, |v2|, s8
; %bb.1871:
	s_or_b64 exec, exec, s[6:7]
                                        ; implicit-def: $vgpr10
.LBB504_1872:
	s_andn2_saveexec_b64 s[2:3], s[2:3]
; %bb.1873:
	s_mov_b32 s6, 0x7f800000
	v_mov_b32_e32 v1, 0x7c
	v_mov_b32_e32 v11, 0x7f
	v_cmp_lt_u32_e32 vcc, s6, v10
	s_nop 1
	v_cndmask_b32_e32 v1, v1, v11, vcc
; %bb.1874:
	s_or_b64 exec, exec, s[2:3]
	v_lshrrev_b32_e32 v10, 24, v2
	s_movk_i32 s2, 0x80
	v_and_or_b32 v1, v10, s2, v1
	global_store_byte v[8:9], v1, off
.LBB504_1875:
	s_mov_b64 s[2:3], 0
	s_mov_b64 s[6:7], -1
.LBB504_1876:
	s_andn2_b64 vcc, exec, s[2:3]
	s_mov_b64 s[2:3], 0
	s_cbranch_vccnz .LBB504_1883
; %bb.1877:
	s_cmp_gt_i32 s13, 14
	s_mov_b64 s[8:9], -1
	s_cbranch_scc0 .LBB504_1881
; %bb.1878:
	s_cmp_eq_u32 s13, 15
	s_mov_b64 s[0:1], -1
	s_cbranch_scc0 .LBB504_1880
; %bb.1879:
	v_bfe_u32 v1, v2, 16, 1
	s_movk_i32 s0, 0x7fff
	v_add3_u32 v1, v2, v1, s0
	v_cmp_o_f32_e32 vcc, v2, v2
	v_mov_b32_e32 v10, 0x7fc0
	s_mov_b64 s[0:1], 0
	v_cndmask_b32_sdwa v1, v10, v1, vcc dst_sel:DWORD dst_unused:UNUSED_PAD src0_sel:DWORD src1_sel:WORD_1
	global_store_short v[8:9], v1, off
	s_mov_b64 s[6:7], -1
.LBB504_1880:
	s_mov_b64 s[8:9], 0
.LBB504_1881:
	s_and_b64 vcc, exec, s[8:9]
	s_cbranch_vccz .LBB504_1883
; %bb.1882:
	s_cmp_lg_u32 s13, 11
	s_mov_b64 s[2:3], -1
	s_cselect_b64 s[0:1], -1, 0
.LBB504_1883:
	s_and_b64 vcc, exec, s[0:1]
	s_cbranch_vccnz .LBB504_2132
; %bb.1884:
	s_andn2_b64 vcc, exec, s[2:3]
	s_cbranch_vccnz .LBB504_1886
.LBB504_1885:
	v_cmp_neq_f32_e32 vcc, 0, v2
	v_cmp_neq_f32_e64 s[0:1], 0, v3
	s_or_b64 s[0:1], vcc, s[0:1]
	s_mov_b64 s[6:7], -1
	v_cndmask_b32_e64 v1, 0, 1, s[0:1]
	global_store_byte v[8:9], v1, off
.LBB504_1886:
	s_mov_b64 s[0:1], 0
	s_branch .LBB504_1888
.LBB504_1887:
	s_mov_b64 s[0:1], -1
	s_mov_b64 s[6:7], 0
.LBB504_1888:
	s_and_b64 vcc, exec, s[0:1]
	s_cbranch_vccz .LBB504_1927
; %bb.1889:
	s_and_b32 s2, 0xffff, s22
	s_cmp_lt_i32 s2, 5
	s_mov_b64 s[0:1], -1
	s_cbranch_scc1 .LBB504_1910
; %bb.1890:
	s_cmp_lt_i32 s2, 8
	s_cbranch_scc1 .LBB504_1900
; %bb.1891:
	s_cmp_lt_i32 s2, 9
	s_cbranch_scc1 .LBB504_1897
; %bb.1892:
	s_cmp_gt_i32 s2, 9
	s_cbranch_scc0 .LBB504_1894
; %bb.1893:
	v_cvt_f64_f32_e32 v[10:11], v2
	v_cvt_f64_f32_e32 v[12:13], v3
	global_store_dwordx4 v[8:9], v[10:13], off
	s_mov_b64 s[0:1], 0
.LBB504_1894:
	s_andn2_b64 vcc, exec, s[0:1]
	s_cbranch_vccnz .LBB504_1896
; %bb.1895:
	global_store_dwordx2 v[8:9], v[2:3], off
.LBB504_1896:
	s_mov_b64 s[0:1], 0
.LBB504_1897:
	s_andn2_b64 vcc, exec, s[0:1]
	s_cbranch_vccnz .LBB504_1899
; %bb.1898:
	v_cvt_f16_f32_e32 v1, v2
	v_cvt_f16_f32_sdwa v3, v3 dst_sel:WORD_1 dst_unused:UNUSED_PAD src0_sel:DWORD
	s_nop 0
	v_or_b32_e32 v1, v3, v1
	global_store_dword v[8:9], v1, off
.LBB504_1899:
	s_mov_b64 s[0:1], 0
.LBB504_1900:
	s_andn2_b64 vcc, exec, s[0:1]
	s_cbranch_vccnz .LBB504_1909
; %bb.1901:
	s_cmp_lt_i32 s2, 6
	s_mov_b64 s[0:1], -1
	s_cbranch_scc1 .LBB504_1907
; %bb.1902:
	s_cmp_gt_i32 s2, 6
	s_cbranch_scc0 .LBB504_1904
; %bb.1903:
	v_cvt_f64_f32_e32 v[10:11], v2
	global_store_dwordx2 v[8:9], v[10:11], off
	s_mov_b64 s[0:1], 0
.LBB504_1904:
	s_andn2_b64 vcc, exec, s[0:1]
	s_cbranch_vccnz .LBB504_1906
; %bb.1905:
	global_store_dword v[8:9], v2, off
.LBB504_1906:
	s_mov_b64 s[0:1], 0
.LBB504_1907:
	s_andn2_b64 vcc, exec, s[0:1]
	s_cbranch_vccnz .LBB504_1909
; %bb.1908:
	v_cvt_f16_f32_e32 v1, v2
	global_store_short v[8:9], v1, off
.LBB504_1909:
	s_mov_b64 s[0:1], 0
.LBB504_1910:
	s_andn2_b64 vcc, exec, s[0:1]
	s_cbranch_vccnz .LBB504_1926
; %bb.1911:
	s_cmp_lt_i32 s2, 2
	s_mov_b64 s[0:1], -1
	s_cbranch_scc1 .LBB504_1921
; %bb.1912:
	s_cmp_lt_i32 s2, 3
	s_cbranch_scc1 .LBB504_1918
; %bb.1913:
	s_cmp_gt_i32 s2, 3
	s_cbranch_scc0 .LBB504_1915
; %bb.1914:
	v_trunc_f32_e32 v1, v2
	s_mov_b32 s0, 0x2f800000
	v_mul_f32_e64 v3, |v1|, s0
	v_floor_f32_e32 v3, v3
	s_mov_b32 s0, 0xcf800000
	v_cvt_u32_f32_e32 v10, v3
	v_fma_f32 v3, v3, s0, |v1|
	v_cvt_u32_f32_e32 v3, v3
	v_ashrrev_i32_e32 v1, 31, v1
	v_xor_b32_e32 v11, v10, v1
	s_mov_b64 s[0:1], 0
	v_xor_b32_e32 v3, v3, v1
	v_sub_co_u32_e32 v10, vcc, v3, v1
	s_nop 1
	v_subb_co_u32_e32 v11, vcc, v11, v1, vcc
	global_store_dwordx2 v[8:9], v[10:11], off
.LBB504_1915:
	s_andn2_b64 vcc, exec, s[0:1]
	s_cbranch_vccnz .LBB504_1917
; %bb.1916:
	v_cvt_i32_f32_e32 v1, v2
	global_store_dword v[8:9], v1, off
.LBB504_1917:
	s_mov_b64 s[0:1], 0
.LBB504_1918:
	s_andn2_b64 vcc, exec, s[0:1]
	s_cbranch_vccnz .LBB504_1920
; %bb.1919:
	v_cvt_i32_f32_e32 v1, v2
	global_store_short v[8:9], v1, off
.LBB504_1920:
	s_mov_b64 s[0:1], 0
.LBB504_1921:
	s_andn2_b64 vcc, exec, s[0:1]
	s_cbranch_vccnz .LBB504_1926
; %bb.1922:
	s_cmp_gt_i32 s2, 0
	s_mov_b64 s[0:1], -1
	s_cbranch_scc0 .LBB504_1924
; %bb.1923:
	v_cvt_i32_f32_e32 v1, v2
	s_mov_b64 s[0:1], 0
	global_store_byte v[8:9], v1, off
.LBB504_1924:
	s_andn2_b64 vcc, exec, s[0:1]
	s_cbranch_vccnz .LBB504_1926
; %bb.1925:
	v_trunc_f32_e32 v1, v2
	s_mov_b32 s0, 0x2f800000
	v_mul_f32_e64 v2, |v1|, s0
	v_floor_f32_e32 v2, v2
	s_mov_b32 s0, 0xcf800000
	v_fma_f32 v2, v2, s0, |v1|
	v_cvt_u32_f32_e32 v2, v2
	v_ashrrev_i32_e32 v1, 31, v1
	v_xor_b32_e32 v2, v2, v1
	v_sub_u32_e32 v1, v2, v1
	global_store_byte v[8:9], v1, off
.LBB504_1926:
	s_mov_b64 s[6:7], -1
.LBB504_1927:
	s_andn2_b64 vcc, exec, s[6:7]
	s_cbranch_vccnz .LBB504_2123
; %bb.1928:
	v_add_u32_e32 v0, s12, v0
	v_ashrrev_i32_e32 v1, 31, v0
	s_cmp_lt_i32 s22, 11
	v_lshl_add_u64 v[2:3], s[4:5], 0, v[0:1]
	s_cbranch_scc1 .LBB504_2006
; %bb.1929:
	s_and_b32 s13, 0xffff, s22
	s_mov_b64 s[8:9], -1
	s_mov_b64 s[2:3], 0
	s_cmp_gt_i32 s13, 25
	s_mov_b64 s[6:7], 0
	s_mov_b64 s[0:1], 0
	s_cbranch_scc0 .LBB504_1962
; %bb.1930:
	s_cmp_gt_i32 s13, 28
	s_cbranch_scc0 .LBB504_1945
; %bb.1931:
	s_cmp_gt_i32 s13, 43
	;; [unrolled: 3-line block ×3, first 2 shown]
	s_cbranch_scc0 .LBB504_1935
; %bb.1933:
	s_mov_b64 s[0:1], -1
	s_mov_b64 s[8:9], 0
	s_cmp_eq_u32 s13, 46
	s_cbranch_scc0 .LBB504_1935
; %bb.1934:
	s_movk_i32 s0, 0x7fff
	v_bfe_u32 v8, v7, 16, 1
	v_add3_u32 v8, v7, v8, s0
	v_bfe_u32 v1, v6, 16, 1
	v_and_b32_e32 v8, 0xffff0000, v8
	v_mov_b32_e32 v9, 0x7fc00000
	v_cmp_o_f32_e32 vcc, v7, v7
	v_add3_u32 v1, v6, v1, s0
	s_mov_b64 s[0:1], 0
	v_cndmask_b32_e32 v8, v9, v8, vcc
	v_cmp_o_f32_e32 vcc, v6, v6
	v_mov_b32_e32 v9, 0x7fc0
	s_mov_b64 s[6:7], -1
	v_cndmask_b32_sdwa v1, v9, v1, vcc dst_sel:DWORD dst_unused:UNUSED_PAD src0_sel:DWORD src1_sel:WORD_1
	v_or_b32_e32 v1, v8, v1
	global_store_dword v[2:3], v1, off
.LBB504_1935:
	s_and_b64 vcc, exec, s[8:9]
	s_cbranch_vccz .LBB504_1940
; %bb.1936:
	s_cmp_eq_u32 s13, 44
	s_mov_b64 s[0:1], -1
	s_cbranch_scc0 .LBB504_1940
; %bb.1937:
	v_bfe_u32 v1, v6, 23, 8
	s_movk_i32 s0, 0xff
	v_cmp_ne_u32_e32 vcc, s0, v1
	v_mov_b32_e32 v8, 0xff
	s_and_saveexec_b64 s[6:7], vcc
; %bb.1938:
	s_mov_b32 s0, 0x3fffff
	v_and_b32_e32 v9, 0x400000, v6
	v_and_or_b32 v1, v6, s0, v1
	v_cmp_ne_u32_e32 vcc, 0, v9
	v_cmp_ne_u32_e64 s[0:1], 0, v1
	s_and_b64 s[0:1], vcc, s[0:1]
	v_lshrrev_b32_e32 v8, 23, v6
	v_cndmask_b32_e64 v1, 0, 1, s[0:1]
	v_add_u32_e32 v8, v8, v1
; %bb.1939:
	s_or_b64 exec, exec, s[6:7]
	s_mov_b64 s[0:1], 0
	s_mov_b64 s[6:7], -1
	global_store_byte v[2:3], v8, off
.LBB504_1940:
	s_mov_b64 s[8:9], 0
.LBB504_1941:
	s_and_b64 vcc, exec, s[8:9]
	s_cbranch_vccz .LBB504_1944
; %bb.1942:
	s_cmp_eq_u32 s13, 29
	s_mov_b64 s[0:1], -1
	s_cbranch_scc0 .LBB504_1944
; %bb.1943:
	v_trunc_f32_e32 v1, v6
	v_mul_f32_e32 v8, 0x2f800000, v1
	v_floor_f32_e32 v8, v8
	v_fmamk_f32 v1, v8, 0xcf800000, v1
	v_cvt_u32_f32_e32 v9, v8
	v_cvt_u32_f32_e32 v8, v1
	s_mov_b64 s[0:1], 0
	s_mov_b64 s[6:7], -1
	global_store_dwordx2 v[2:3], v[8:9], off
.LBB504_1944:
	s_mov_b64 s[8:9], 0
.LBB504_1945:
	s_and_b64 vcc, exec, s[8:9]
	s_cbranch_vccz .LBB504_1961
; %bb.1946:
	s_cmp_lt_i32 s13, 27
	s_mov_b64 s[6:7], -1
	s_cbranch_scc1 .LBB504_1952
; %bb.1947:
	v_cvt_u32_f32_e32 v1, v6
	s_cmp_gt_i32 s13, 27
	s_cbranch_scc0 .LBB504_1949
; %bb.1948:
	s_mov_b64 s[6:7], 0
	global_store_dword v[2:3], v1, off
.LBB504_1949:
	s_andn2_b64 vcc, exec, s[6:7]
	s_cbranch_vccnz .LBB504_1951
; %bb.1950:
	global_store_short v[2:3], v1, off
.LBB504_1951:
	s_mov_b64 s[6:7], 0
.LBB504_1952:
	s_andn2_b64 vcc, exec, s[6:7]
	s_cbranch_vccnz .LBB504_1960
; %bb.1953:
	v_and_b32_e32 v1, 0x7fffffff, v6
	s_mov_b32 s6, 0x43800000
	v_cmp_gt_u32_e32 vcc, s6, v1
	v_mov_b32_e32 v8, 0x80
	s_and_saveexec_b64 s[6:7], vcc
	s_cbranch_execz .LBB504_1959
; %bb.1954:
	s_mov_b32 s8, 0x3bffffff
	v_cmp_lt_u32_e32 vcc, s8, v1
	s_mov_b64 s[8:9], 0
                                        ; implicit-def: $vgpr1
	s_and_saveexec_b64 s[10:11], vcc
	s_xor_b64 s[10:11], exec, s[10:11]
	s_cbranch_execz .LBB504_2135
; %bb.1955:
	v_bfe_u32 v1, v6, 20, 1
	s_mov_b32 s20, 0x487ffff
	v_add3_u32 v1, v6, v1, s20
	s_mov_b64 s[8:9], exec
	v_lshrrev_b32_e32 v1, 20, v1
	s_andn2_saveexec_b64 s[10:11], s[10:11]
	s_cbranch_execnz .LBB504_2136
.LBB504_1956:
	s_or_b64 exec, exec, s[10:11]
	v_mov_b32_e32 v8, 0
	s_and_saveexec_b64 s[10:11], s[8:9]
.LBB504_1957:
	v_lshrrev_b32_e32 v8, 24, v6
	s_movk_i32 s8, 0x80
	v_and_or_b32 v8, v8, s8, v1
.LBB504_1958:
	s_or_b64 exec, exec, s[10:11]
.LBB504_1959:
	s_or_b64 exec, exec, s[6:7]
	global_store_byte v[2:3], v8, off
.LBB504_1960:
	s_mov_b64 s[6:7], -1
.LBB504_1961:
	s_mov_b64 s[8:9], 0
.LBB504_1962:
	s_and_b64 vcc, exec, s[8:9]
	s_cbranch_vccz .LBB504_2002
; %bb.1963:
	s_cmp_gt_i32 s13, 22
	s_mov_b64 s[2:3], -1
	s_cbranch_scc0 .LBB504_1995
; %bb.1964:
	s_cmp_lt_i32 s13, 24
	s_cbranch_scc1 .LBB504_1984
; %bb.1965:
	s_cmp_gt_i32 s13, 24
	s_cbranch_scc0 .LBB504_1973
; %bb.1966:
	v_and_b32_e32 v1, 0x7fffffff, v6
	s_mov_b32 s2, 0x47800000
	v_cmp_gt_u32_e32 vcc, s2, v1
	v_mov_b32_e32 v8, 0x80
	s_and_saveexec_b64 s[2:3], vcc
	s_cbranch_execz .LBB504_1972
; %bb.1967:
	s_mov_b32 s6, 0x37ffffff
	v_cmp_lt_u32_e32 vcc, s6, v1
	s_mov_b64 s[6:7], 0
                                        ; implicit-def: $vgpr1
	s_and_saveexec_b64 s[8:9], vcc
	s_xor_b64 s[8:9], exec, s[8:9]
	s_cbranch_execz .LBB504_2138
; %bb.1968:
	v_bfe_u32 v1, v6, 21, 1
	s_mov_b32 s10, 0x88fffff
	v_add3_u32 v1, v6, v1, s10
	s_mov_b64 s[6:7], exec
	v_lshrrev_b32_e32 v1, 21, v1
	s_andn2_saveexec_b64 s[8:9], s[8:9]
	s_cbranch_execnz .LBB504_2139
.LBB504_1969:
	s_or_b64 exec, exec, s[8:9]
	v_mov_b32_e32 v8, 0
	s_and_saveexec_b64 s[8:9], s[6:7]
.LBB504_1970:
	v_lshrrev_b32_e32 v8, 24, v6
	s_movk_i32 s6, 0x80
	v_and_or_b32 v8, v8, s6, v1
.LBB504_1971:
	s_or_b64 exec, exec, s[8:9]
.LBB504_1972:
	s_or_b64 exec, exec, s[2:3]
	s_mov_b64 s[2:3], 0
	global_store_byte v[2:3], v8, off
.LBB504_1973:
	s_and_b64 vcc, exec, s[2:3]
	s_cbranch_vccz .LBB504_1983
; %bb.1974:
	v_and_b32_e32 v8, 0x7fffffff, v6
	s_mov_b32 s2, 0x43f00000
	v_cmp_gt_u32_e32 vcc, s2, v8
                                        ; implicit-def: $vgpr1
	s_and_saveexec_b64 s[2:3], vcc
	s_xor_b64 s[2:3], exec, s[2:3]
	s_cbranch_execz .LBB504_1980
; %bb.1975:
	s_mov_b32 s6, 0x3c7fffff
	v_cmp_lt_u32_e32 vcc, s6, v8
                                        ; implicit-def: $vgpr1
	s_and_saveexec_b64 s[6:7], vcc
	s_xor_b64 s[6:7], exec, s[6:7]
; %bb.1976:
	v_bfe_u32 v1, v6, 20, 1
	s_mov_b32 s8, 0x407ffff
	v_add3_u32 v1, v6, v1, s8
	v_lshrrev_b32_e32 v8, 20, v1
	v_and_b32_e32 v1, 0xff00000, v1
	s_mov_b32 s8, 0x7f00000
	v_mov_b32_e32 v9, 0x7e
	v_cmp_ne_u32_e32 vcc, s8, v1
	s_nop 1
	v_cndmask_b32_e32 v1, v9, v8, vcc
; %bb.1977:
	s_andn2_saveexec_b64 s[6:7], s[6:7]
; %bb.1978:
	s_mov_b32 s8, 0x46800000
	v_add_f32_e64 v1, |v6|, s8
; %bb.1979:
	s_or_b64 exec, exec, s[6:7]
                                        ; implicit-def: $vgpr8
.LBB504_1980:
	s_andn2_saveexec_b64 s[2:3], s[2:3]
; %bb.1981:
	s_mov_b32 s6, 0x7f800000
	v_mov_b32_e32 v1, 0x7e
	v_mov_b32_e32 v9, 0x7f
	v_cmp_lt_u32_e32 vcc, s6, v8
	s_nop 1
	v_cndmask_b32_e32 v1, v1, v9, vcc
; %bb.1982:
	s_or_b64 exec, exec, s[2:3]
	v_lshrrev_b32_e32 v8, 24, v6
	s_movk_i32 s2, 0x80
	v_and_or_b32 v1, v8, s2, v1
	global_store_byte v[2:3], v1, off
.LBB504_1983:
	s_mov_b64 s[2:3], 0
.LBB504_1984:
	s_andn2_b64 vcc, exec, s[2:3]
	s_cbranch_vccnz .LBB504_1994
; %bb.1985:
	v_and_b32_e32 v8, 0x7fffffff, v6
	s_mov_b32 s2, 0x47800000
	v_cmp_gt_u32_e32 vcc, s2, v8
                                        ; implicit-def: $vgpr1
	s_and_saveexec_b64 s[2:3], vcc
	s_xor_b64 s[2:3], exec, s[2:3]
	s_cbranch_execz .LBB504_1991
; %bb.1986:
	s_mov_b32 s6, 0x387fffff
	v_cmp_lt_u32_e32 vcc, s6, v8
                                        ; implicit-def: $vgpr1
	s_and_saveexec_b64 s[6:7], vcc
	s_xor_b64 s[6:7], exec, s[6:7]
; %bb.1987:
	v_bfe_u32 v1, v6, 21, 1
	s_mov_b32 s8, 0x80fffff
	v_add3_u32 v1, v6, v1, s8
	v_lshrrev_b32_e32 v1, 21, v1
; %bb.1988:
	s_andn2_saveexec_b64 s[6:7], s[6:7]
; %bb.1989:
	s_mov_b32 s8, 0x43000000
	v_add_f32_e64 v1, |v6|, s8
; %bb.1990:
	s_or_b64 exec, exec, s[6:7]
                                        ; implicit-def: $vgpr8
.LBB504_1991:
	s_andn2_saveexec_b64 s[2:3], s[2:3]
; %bb.1992:
	s_mov_b32 s6, 0x7f800000
	v_mov_b32_e32 v1, 0x7c
	v_mov_b32_e32 v9, 0x7f
	v_cmp_lt_u32_e32 vcc, s6, v8
	s_nop 1
	v_cndmask_b32_e32 v1, v1, v9, vcc
; %bb.1993:
	s_or_b64 exec, exec, s[2:3]
	v_lshrrev_b32_e32 v8, 24, v6
	s_movk_i32 s2, 0x80
	v_and_or_b32 v1, v8, s2, v1
	global_store_byte v[2:3], v1, off
.LBB504_1994:
	s_mov_b64 s[2:3], 0
	s_mov_b64 s[6:7], -1
.LBB504_1995:
	s_andn2_b64 vcc, exec, s[2:3]
	s_mov_b64 s[2:3], 0
	s_cbranch_vccnz .LBB504_2002
; %bb.1996:
	s_cmp_gt_i32 s13, 14
	s_mov_b64 s[8:9], -1
	s_cbranch_scc0 .LBB504_2000
; %bb.1997:
	s_cmp_eq_u32 s13, 15
	s_mov_b64 s[0:1], -1
	s_cbranch_scc0 .LBB504_1999
; %bb.1998:
	v_bfe_u32 v1, v6, 16, 1
	s_movk_i32 s0, 0x7fff
	v_add3_u32 v1, v6, v1, s0
	v_cmp_o_f32_e32 vcc, v6, v6
	v_mov_b32_e32 v8, 0x7fc0
	s_mov_b64 s[0:1], 0
	v_cndmask_b32_sdwa v1, v8, v1, vcc dst_sel:DWORD dst_unused:UNUSED_PAD src0_sel:DWORD src1_sel:WORD_1
	global_store_short v[2:3], v1, off
	s_mov_b64 s[6:7], -1
.LBB504_1999:
	s_mov_b64 s[8:9], 0
.LBB504_2000:
	s_and_b64 vcc, exec, s[8:9]
	s_cbranch_vccz .LBB504_2002
; %bb.2001:
	s_cmp_lg_u32 s13, 11
	s_mov_b64 s[2:3], -1
	s_cselect_b64 s[0:1], -1, 0
.LBB504_2002:
	s_and_b64 vcc, exec, s[0:1]
	s_cbranch_vccnz .LBB504_2137
; %bb.2003:
	s_andn2_b64 vcc, exec, s[2:3]
	s_cbranch_vccnz .LBB504_2005
.LBB504_2004:
	v_cmp_neq_f32_e32 vcc, 0, v6
	v_cmp_neq_f32_e64 s[0:1], 0, v7
	s_or_b64 s[0:1], vcc, s[0:1]
	s_mov_b64 s[6:7], -1
	v_cndmask_b32_e64 v1, 0, 1, s[0:1]
	global_store_byte v[2:3], v1, off
.LBB504_2005:
	s_mov_b64 s[0:1], 0
	s_branch .LBB504_2007
.LBB504_2006:
	s_mov_b64 s[0:1], -1
	s_mov_b64 s[6:7], 0
.LBB504_2007:
	s_and_b64 vcc, exec, s[0:1]
	s_cbranch_vccz .LBB504_2046
; %bb.2008:
	s_and_b32 s2, 0xffff, s22
	s_cmp_lt_i32 s2, 5
	s_mov_b64 s[0:1], -1
	s_cbranch_scc1 .LBB504_2029
; %bb.2009:
	s_cmp_lt_i32 s2, 8
	s_cbranch_scc1 .LBB504_2019
; %bb.2010:
	s_cmp_lt_i32 s2, 9
	s_cbranch_scc1 .LBB504_2016
; %bb.2011:
	s_cmp_gt_i32 s2, 9
	s_cbranch_scc0 .LBB504_2013
; %bb.2012:
	v_cvt_f64_f32_e32 v[8:9], v6
	v_cvt_f64_f32_e32 v[10:11], v7
	global_store_dwordx4 v[2:3], v[8:11], off
	s_mov_b64 s[0:1], 0
.LBB504_2013:
	s_andn2_b64 vcc, exec, s[0:1]
	s_cbranch_vccnz .LBB504_2015
; %bb.2014:
	global_store_dwordx2 v[2:3], v[6:7], off
.LBB504_2015:
	s_mov_b64 s[0:1], 0
.LBB504_2016:
	s_andn2_b64 vcc, exec, s[0:1]
	s_cbranch_vccnz .LBB504_2018
; %bb.2017:
	v_cvt_f16_f32_e32 v1, v6
	v_cvt_f16_f32_sdwa v7, v7 dst_sel:WORD_1 dst_unused:UNUSED_PAD src0_sel:DWORD
	s_nop 0
	v_or_b32_e32 v1, v7, v1
	global_store_dword v[2:3], v1, off
.LBB504_2018:
	s_mov_b64 s[0:1], 0
.LBB504_2019:
	s_andn2_b64 vcc, exec, s[0:1]
	s_cbranch_vccnz .LBB504_2028
; %bb.2020:
	s_cmp_lt_i32 s2, 6
	s_mov_b64 s[0:1], -1
	s_cbranch_scc1 .LBB504_2026
; %bb.2021:
	s_cmp_gt_i32 s2, 6
	s_cbranch_scc0 .LBB504_2023
; %bb.2022:
	v_cvt_f64_f32_e32 v[8:9], v6
	global_store_dwordx2 v[2:3], v[8:9], off
	s_mov_b64 s[0:1], 0
.LBB504_2023:
	s_andn2_b64 vcc, exec, s[0:1]
	s_cbranch_vccnz .LBB504_2025
; %bb.2024:
	global_store_dword v[2:3], v6, off
.LBB504_2025:
	s_mov_b64 s[0:1], 0
.LBB504_2026:
	s_andn2_b64 vcc, exec, s[0:1]
	s_cbranch_vccnz .LBB504_2028
; %bb.2027:
	v_cvt_f16_f32_e32 v1, v6
	global_store_short v[2:3], v1, off
.LBB504_2028:
	s_mov_b64 s[0:1], 0
.LBB504_2029:
	s_andn2_b64 vcc, exec, s[0:1]
	s_cbranch_vccnz .LBB504_2045
; %bb.2030:
	s_cmp_lt_i32 s2, 2
	s_mov_b64 s[0:1], -1
	s_cbranch_scc1 .LBB504_2040
; %bb.2031:
	s_cmp_lt_i32 s2, 3
	s_cbranch_scc1 .LBB504_2037
; %bb.2032:
	s_cmp_gt_i32 s2, 3
	s_cbranch_scc0 .LBB504_2034
; %bb.2033:
	v_trunc_f32_e32 v1, v6
	s_mov_b32 s0, 0x2f800000
	v_mul_f32_e64 v7, |v1|, s0
	v_floor_f32_e32 v7, v7
	s_mov_b32 s0, 0xcf800000
	v_cvt_u32_f32_e32 v8, v7
	v_fma_f32 v7, v7, s0, |v1|
	v_cvt_u32_f32_e32 v7, v7
	v_ashrrev_i32_e32 v1, 31, v1
	v_xor_b32_e32 v9, v8, v1
	s_mov_b64 s[0:1], 0
	v_xor_b32_e32 v7, v7, v1
	v_sub_co_u32_e32 v8, vcc, v7, v1
	s_nop 1
	v_subb_co_u32_e32 v9, vcc, v9, v1, vcc
	global_store_dwordx2 v[2:3], v[8:9], off
.LBB504_2034:
	s_andn2_b64 vcc, exec, s[0:1]
	s_cbranch_vccnz .LBB504_2036
; %bb.2035:
	v_cvt_i32_f32_e32 v1, v6
	global_store_dword v[2:3], v1, off
.LBB504_2036:
	s_mov_b64 s[0:1], 0
.LBB504_2037:
	s_andn2_b64 vcc, exec, s[0:1]
	s_cbranch_vccnz .LBB504_2039
; %bb.2038:
	v_cvt_i32_f32_e32 v1, v6
	global_store_short v[2:3], v1, off
.LBB504_2039:
	s_mov_b64 s[0:1], 0
.LBB504_2040:
	s_andn2_b64 vcc, exec, s[0:1]
	s_cbranch_vccnz .LBB504_2045
; %bb.2041:
	s_cmp_gt_i32 s2, 0
	s_mov_b64 s[0:1], -1
	s_cbranch_scc0 .LBB504_2043
; %bb.2042:
	v_cvt_i32_f32_e32 v1, v6
	s_mov_b64 s[0:1], 0
	global_store_byte v[2:3], v1, off
.LBB504_2043:
	s_andn2_b64 vcc, exec, s[0:1]
	s_cbranch_vccnz .LBB504_2045
; %bb.2044:
	v_trunc_f32_e32 v1, v6
	s_mov_b32 s0, 0x2f800000
	v_mul_f32_e64 v6, |v1|, s0
	v_floor_f32_e32 v6, v6
	s_mov_b32 s0, 0xcf800000
	v_fma_f32 v6, v6, s0, |v1|
	v_cvt_u32_f32_e32 v6, v6
	v_ashrrev_i32_e32 v1, 31, v1
	v_xor_b32_e32 v6, v6, v1
	v_sub_u32_e32 v1, v6, v1
	global_store_byte v[2:3], v1, off
.LBB504_2045:
	s_mov_b64 s[6:7], -1
.LBB504_2046:
	s_andn2_b64 vcc, exec, s[6:7]
	s_cbranch_vccnz .LBB504_2123
; %bb.2047:
	v_add_u32_e32 v0, s12, v0
	v_ashrrev_i32_e32 v1, 31, v0
	s_cmp_lt_i32 s22, 11
	v_lshl_add_u64 v[0:1], s[4:5], 0, v[0:1]
	s_cbranch_scc1 .LBB504_2124
; %bb.2048:
	s_and_b32 s10, 0xffff, s22
	s_mov_b64 s[4:5], -1
	s_mov_b64 s[2:3], 0
	s_cmp_gt_i32 s10, 25
	s_mov_b64 s[0:1], 0
	s_cbranch_scc0 .LBB504_2081
; %bb.2049:
	s_cmp_gt_i32 s10, 28
	s_cbranch_scc0 .LBB504_2065
; %bb.2050:
	s_cmp_gt_i32 s10, 43
	;; [unrolled: 3-line block ×3, first 2 shown]
	s_cbranch_scc0 .LBB504_2055
; %bb.2052:
	s_cmp_eq_u32 s10, 46
	s_mov_b64 s[0:1], -1
	s_cbranch_scc0 .LBB504_2054
; %bb.2053:
	s_movk_i32 s0, 0x7fff
	v_bfe_u32 v3, v5, 16, 1
	v_add3_u32 v3, v5, v3, s0
	v_bfe_u32 v2, v4, 16, 1
	v_and_b32_e32 v3, 0xffff0000, v3
	v_mov_b32_e32 v6, 0x7fc00000
	v_cmp_o_f32_e32 vcc, v5, v5
	v_add3_u32 v2, v4, v2, s0
	s_mov_b64 s[0:1], 0
	v_cndmask_b32_e32 v3, v6, v3, vcc
	v_cmp_o_f32_e32 vcc, v4, v4
	v_mov_b32_e32 v6, 0x7fc0
	s_nop 0
	v_cndmask_b32_sdwa v2, v6, v2, vcc dst_sel:DWORD dst_unused:UNUSED_PAD src0_sel:DWORD src1_sel:WORD_1
	v_or_b32_e32 v2, v3, v2
	global_store_dword v[0:1], v2, off
.LBB504_2054:
	s_mov_b64 s[4:5], 0
.LBB504_2055:
	s_and_b64 vcc, exec, s[4:5]
	s_cbranch_vccz .LBB504_2060
; %bb.2056:
	s_cmp_eq_u32 s10, 44
	s_mov_b64 s[0:1], -1
	s_cbranch_scc0 .LBB504_2060
; %bb.2057:
	v_bfe_u32 v2, v4, 23, 8
	s_movk_i32 s0, 0xff
	v_cmp_ne_u32_e32 vcc, s0, v2
	v_mov_b32_e32 v3, 0xff
	s_and_saveexec_b64 s[4:5], vcc
; %bb.2058:
	s_mov_b32 s0, 0x3fffff
	v_and_b32_e32 v6, 0x400000, v4
	v_and_or_b32 v2, v4, s0, v2
	v_cmp_ne_u32_e32 vcc, 0, v6
	v_cmp_ne_u32_e64 s[0:1], 0, v2
	s_and_b64 s[0:1], vcc, s[0:1]
	v_lshrrev_b32_e32 v3, 23, v4
	v_cndmask_b32_e64 v2, 0, 1, s[0:1]
	v_add_u32_e32 v3, v3, v2
; %bb.2059:
	s_or_b64 exec, exec, s[4:5]
	s_mov_b64 s[0:1], 0
	global_store_byte v[0:1], v3, off
.LBB504_2060:
	s_mov_b64 s[4:5], 0
.LBB504_2061:
	s_and_b64 vcc, exec, s[4:5]
	s_cbranch_vccz .LBB504_2064
; %bb.2062:
	s_cmp_eq_u32 s10, 29
	s_mov_b64 s[0:1], -1
	s_cbranch_scc0 .LBB504_2064
; %bb.2063:
	v_trunc_f32_e32 v2, v4
	v_mul_f32_e32 v3, 0x2f800000, v2
	v_floor_f32_e32 v6, v3
	v_fmamk_f32 v2, v6, 0xcf800000, v2
	v_cvt_u32_f32_e32 v3, v6
	v_cvt_u32_f32_e32 v2, v2
	s_mov_b64 s[0:1], 0
	global_store_dwordx2 v[0:1], v[2:3], off
.LBB504_2064:
	s_mov_b64 s[4:5], 0
.LBB504_2065:
	s_and_b64 vcc, exec, s[4:5]
	s_cbranch_vccz .LBB504_2080
; %bb.2066:
	s_cmp_lt_i32 s10, 27
	s_mov_b64 s[4:5], -1
	s_cbranch_scc1 .LBB504_2072
; %bb.2067:
	v_cvt_u32_f32_e32 v2, v4
	s_cmp_gt_i32 s10, 27
	s_cbranch_scc0 .LBB504_2069
; %bb.2068:
	global_store_dword v[0:1], v2, off
	s_mov_b64 s[4:5], 0
.LBB504_2069:
	s_andn2_b64 vcc, exec, s[4:5]
	s_cbranch_vccnz .LBB504_2071
; %bb.2070:
	global_store_short v[0:1], v2, off
.LBB504_2071:
	s_mov_b64 s[4:5], 0
.LBB504_2072:
	s_andn2_b64 vcc, exec, s[4:5]
	s_cbranch_vccnz .LBB504_2080
; %bb.2073:
	v_and_b32_e32 v2, 0x7fffffff, v4
	s_mov_b32 s4, 0x43800000
	v_cmp_gt_u32_e32 vcc, s4, v2
	v_mov_b32_e32 v3, 0x80
	s_and_saveexec_b64 s[4:5], vcc
	s_cbranch_execz .LBB504_2079
; %bb.2074:
	s_mov_b32 s6, 0x3bffffff
	v_cmp_lt_u32_e32 vcc, s6, v2
	s_mov_b64 s[6:7], 0
                                        ; implicit-def: $vgpr2
	s_and_saveexec_b64 s[8:9], vcc
	s_xor_b64 s[8:9], exec, s[8:9]
	s_cbranch_execz .LBB504_2140
; %bb.2075:
	v_bfe_u32 v2, v4, 20, 1
	s_mov_b32 s11, 0x487ffff
	v_add3_u32 v2, v4, v2, s11
	s_mov_b64 s[6:7], exec
	v_lshrrev_b32_e32 v2, 20, v2
	s_andn2_saveexec_b64 s[8:9], s[8:9]
	s_cbranch_execnz .LBB504_2141
.LBB504_2076:
	s_or_b64 exec, exec, s[8:9]
	v_mov_b32_e32 v3, 0
	s_and_saveexec_b64 s[8:9], s[6:7]
.LBB504_2077:
	v_lshrrev_b32_e32 v3, 24, v4
	s_movk_i32 s6, 0x80
	v_and_or_b32 v3, v3, s6, v2
.LBB504_2078:
	s_or_b64 exec, exec, s[8:9]
.LBB504_2079:
	s_or_b64 exec, exec, s[4:5]
	global_store_byte v[0:1], v3, off
.LBB504_2080:
	s_mov_b64 s[4:5], 0
.LBB504_2081:
	s_and_b64 vcc, exec, s[4:5]
	s_cbranch_vccz .LBB504_2121
; %bb.2082:
	s_cmp_gt_i32 s10, 22
	s_mov_b64 s[2:3], -1
	s_cbranch_scc0 .LBB504_2114
; %bb.2083:
	s_cmp_lt_i32 s10, 24
	s_cbranch_scc1 .LBB504_2103
; %bb.2084:
	s_cmp_gt_i32 s10, 24
	s_cbranch_scc0 .LBB504_2092
; %bb.2085:
	v_and_b32_e32 v2, 0x7fffffff, v4
	s_mov_b32 s2, 0x47800000
	v_cmp_gt_u32_e32 vcc, s2, v2
	v_mov_b32_e32 v3, 0x80
	s_and_saveexec_b64 s[2:3], vcc
	s_cbranch_execz .LBB504_2091
; %bb.2086:
	s_mov_b32 s4, 0x37ffffff
	v_cmp_lt_u32_e32 vcc, s4, v2
	s_mov_b64 s[4:5], 0
                                        ; implicit-def: $vgpr2
	s_and_saveexec_b64 s[6:7], vcc
	s_xor_b64 s[6:7], exec, s[6:7]
	s_cbranch_execz .LBB504_2143
; %bb.2087:
	v_bfe_u32 v2, v4, 21, 1
	s_mov_b32 s8, 0x88fffff
	v_add3_u32 v2, v4, v2, s8
	s_mov_b64 s[4:5], exec
	v_lshrrev_b32_e32 v2, 21, v2
	s_andn2_saveexec_b64 s[6:7], s[6:7]
	s_cbranch_execnz .LBB504_2144
.LBB504_2088:
	s_or_b64 exec, exec, s[6:7]
	v_mov_b32_e32 v3, 0
	s_and_saveexec_b64 s[6:7], s[4:5]
.LBB504_2089:
	v_lshrrev_b32_e32 v3, 24, v4
	s_movk_i32 s4, 0x80
	v_and_or_b32 v3, v3, s4, v2
.LBB504_2090:
	s_or_b64 exec, exec, s[6:7]
.LBB504_2091:
	s_or_b64 exec, exec, s[2:3]
	s_mov_b64 s[2:3], 0
	global_store_byte v[0:1], v3, off
.LBB504_2092:
	s_and_b64 vcc, exec, s[2:3]
	s_cbranch_vccz .LBB504_2102
; %bb.2093:
	v_and_b32_e32 v3, 0x7fffffff, v4
	s_mov_b32 s2, 0x43f00000
	v_cmp_gt_u32_e32 vcc, s2, v3
                                        ; implicit-def: $vgpr2
	s_and_saveexec_b64 s[2:3], vcc
	s_xor_b64 s[2:3], exec, s[2:3]
	s_cbranch_execz .LBB504_2099
; %bb.2094:
	s_mov_b32 s4, 0x3c7fffff
	v_cmp_lt_u32_e32 vcc, s4, v3
                                        ; implicit-def: $vgpr2
	s_and_saveexec_b64 s[4:5], vcc
	s_xor_b64 s[4:5], exec, s[4:5]
; %bb.2095:
	v_bfe_u32 v2, v4, 20, 1
	s_mov_b32 s6, 0x407ffff
	v_add3_u32 v2, v4, v2, s6
	v_lshrrev_b32_e32 v3, 20, v2
	v_and_b32_e32 v2, 0xff00000, v2
	s_mov_b32 s6, 0x7f00000
	v_mov_b32_e32 v6, 0x7e
	v_cmp_ne_u32_e32 vcc, s6, v2
	s_nop 1
	v_cndmask_b32_e32 v2, v6, v3, vcc
; %bb.2096:
	s_andn2_saveexec_b64 s[4:5], s[4:5]
; %bb.2097:
	s_mov_b32 s6, 0x46800000
	v_add_f32_e64 v2, |v4|, s6
; %bb.2098:
	s_or_b64 exec, exec, s[4:5]
                                        ; implicit-def: $vgpr3
.LBB504_2099:
	s_andn2_saveexec_b64 s[2:3], s[2:3]
; %bb.2100:
	s_mov_b32 s4, 0x7f800000
	v_mov_b32_e32 v2, 0x7e
	v_mov_b32_e32 v6, 0x7f
	v_cmp_lt_u32_e32 vcc, s4, v3
	s_nop 1
	v_cndmask_b32_e32 v2, v2, v6, vcc
; %bb.2101:
	s_or_b64 exec, exec, s[2:3]
	v_lshrrev_b32_e32 v3, 24, v4
	s_movk_i32 s2, 0x80
	v_and_or_b32 v2, v3, s2, v2
	global_store_byte v[0:1], v2, off
.LBB504_2102:
	s_mov_b64 s[2:3], 0
.LBB504_2103:
	s_andn2_b64 vcc, exec, s[2:3]
	s_cbranch_vccnz .LBB504_2113
; %bb.2104:
	v_and_b32_e32 v3, 0x7fffffff, v4
	s_mov_b32 s2, 0x47800000
	v_cmp_gt_u32_e32 vcc, s2, v3
                                        ; implicit-def: $vgpr2
	s_and_saveexec_b64 s[2:3], vcc
	s_xor_b64 s[2:3], exec, s[2:3]
	s_cbranch_execz .LBB504_2110
; %bb.2105:
	s_mov_b32 s4, 0x387fffff
	v_cmp_lt_u32_e32 vcc, s4, v3
                                        ; implicit-def: $vgpr2
	s_and_saveexec_b64 s[4:5], vcc
	s_xor_b64 s[4:5], exec, s[4:5]
; %bb.2106:
	v_bfe_u32 v2, v4, 21, 1
	s_mov_b32 s6, 0x80fffff
	v_add3_u32 v2, v4, v2, s6
	v_lshrrev_b32_e32 v2, 21, v2
; %bb.2107:
	s_andn2_saveexec_b64 s[4:5], s[4:5]
; %bb.2108:
	s_mov_b32 s6, 0x43000000
	v_add_f32_e64 v2, |v4|, s6
; %bb.2109:
	s_or_b64 exec, exec, s[4:5]
                                        ; implicit-def: $vgpr3
.LBB504_2110:
	s_andn2_saveexec_b64 s[2:3], s[2:3]
; %bb.2111:
	s_mov_b32 s4, 0x7f800000
	v_mov_b32_e32 v2, 0x7c
	v_mov_b32_e32 v6, 0x7f
	v_cmp_lt_u32_e32 vcc, s4, v3
	s_nop 1
	v_cndmask_b32_e32 v2, v2, v6, vcc
; %bb.2112:
	s_or_b64 exec, exec, s[2:3]
	v_lshrrev_b32_e32 v3, 24, v4
	s_movk_i32 s2, 0x80
	v_and_or_b32 v2, v3, s2, v2
	global_store_byte v[0:1], v2, off
.LBB504_2113:
	s_mov_b64 s[2:3], 0
.LBB504_2114:
	s_andn2_b64 vcc, exec, s[2:3]
	s_mov_b64 s[2:3], 0
	s_cbranch_vccnz .LBB504_2121
; %bb.2115:
	s_cmp_gt_i32 s10, 14
	s_mov_b64 s[4:5], -1
	s_cbranch_scc0 .LBB504_2119
; %bb.2116:
	s_cmp_eq_u32 s10, 15
	s_mov_b64 s[0:1], -1
	s_cbranch_scc0 .LBB504_2118
; %bb.2117:
	v_bfe_u32 v2, v4, 16, 1
	s_movk_i32 s0, 0x7fff
	v_add3_u32 v2, v4, v2, s0
	v_cmp_o_f32_e32 vcc, v4, v4
	v_mov_b32_e32 v3, 0x7fc0
	s_mov_b64 s[0:1], 0
	v_cndmask_b32_sdwa v2, v3, v2, vcc dst_sel:DWORD dst_unused:UNUSED_PAD src0_sel:DWORD src1_sel:WORD_1
	global_store_short v[0:1], v2, off
.LBB504_2118:
	s_mov_b64 s[4:5], 0
.LBB504_2119:
	s_and_b64 vcc, exec, s[4:5]
	s_cbranch_vccz .LBB504_2121
; %bb.2120:
	s_cmp_lg_u32 s10, 11
	s_mov_b64 s[2:3], -1
	s_cselect_b64 s[0:1], -1, 0
.LBB504_2121:
	s_and_b64 vcc, exec, s[0:1]
	s_cbranch_vccnz .LBB504_2142
.LBB504_2122:
	s_mov_b64 s[0:1], 0
	s_branch .LBB504_1724
.LBB504_2123:
	s_mov_b64 s[0:1], 0
                                        ; implicit-def: $sgpr22
                                        ; implicit-def: $vgpr0_vgpr1
	s_branch .LBB504_1723
.LBB504_2124:
	s_mov_b64 s[2:3], 0
	s_mov_b64 s[0:1], -1
	s_branch .LBB504_1724
.LBB504_2125:
	s_andn2_saveexec_b64 s[12:13], s[12:13]
	s_cbranch_execz .LBB504_1672
.LBB504_2126:
	s_mov_b32 s20, 0x46000000
	v_add_f32_e64 v9, |v0|, s20
	v_and_b32_e32 v9, 0xff, v9
	v_cmp_ne_u32_e32 vcc, 0, v9
	s_andn2_b64 s[10:11], s[10:11], exec
	s_and_b64 s[20:21], vcc, exec
	s_or_b64 s[10:11], s[10:11], s[20:21]
	s_or_b64 exec, exec, s[12:13]
	v_mov_b32_e32 v12, 0
	s_and_saveexec_b64 s[12:13], s[10:11]
	s_cbranch_execnz .LBB504_1673
	s_branch .LBB504_1674
.LBB504_2127:
	s_trap 2
	s_or_b64 s[18:19], s[18:19], exec
	s_cbranch_execz .LBB504_1720
	s_branch .LBB504_1721
.LBB504_2128:
	s_andn2_saveexec_b64 s[10:11], s[10:11]
	s_cbranch_execz .LBB504_1685
.LBB504_2129:
	s_mov_b32 s12, 0x42800000
	v_add_f32_e64 v9, |v0|, s12
	v_and_b32_e32 v9, 0xff, v9
	v_cmp_ne_u32_e32 vcc, 0, v9
	s_andn2_b64 s[6:7], s[6:7], exec
	s_and_b64 s[12:13], vcc, exec
	s_or_b64 s[6:7], s[6:7], s[12:13]
	s_or_b64 exec, exec, s[10:11]
	v_mov_b32_e32 v12, 0
	s_and_saveexec_b64 s[10:11], s[6:7]
	s_cbranch_execnz .LBB504_1686
	s_branch .LBB504_1687
.LBB504_2130:
	s_andn2_saveexec_b64 s[10:11], s[10:11]
	s_cbranch_execz .LBB504_1837
.LBB504_2131:
	s_mov_b32 s20, 0x46000000
	v_add_f32_e64 v1, |v2|, s20
	v_and_b32_e32 v1, 0xff, v1
	v_cmp_ne_u32_e32 vcc, 0, v1
	s_andn2_b64 s[8:9], s[8:9], exec
	s_and_b64 s[20:21], vcc, exec
	s_or_b64 s[8:9], s[8:9], s[20:21]
	s_or_b64 exec, exec, s[10:11]
	v_mov_b32_e32 v10, 0
	s_and_saveexec_b64 s[10:11], s[8:9]
	s_cbranch_execnz .LBB504_1838
	s_branch .LBB504_1839
.LBB504_2132:
	s_trap 2
	s_or_b64 s[18:19], s[18:19], exec
	s_cbranch_execz .LBB504_1885
	s_branch .LBB504_1886
.LBB504_2133:
	s_andn2_saveexec_b64 s[8:9], s[8:9]
	s_cbranch_execz .LBB504_1850
.LBB504_2134:
	s_mov_b32 s10, 0x42800000
	v_add_f32_e64 v1, |v2|, s10
	v_and_b32_e32 v1, 0xff, v1
	v_cmp_ne_u32_e32 vcc, 0, v1
	s_andn2_b64 s[6:7], s[6:7], exec
	s_and_b64 s[10:11], vcc, exec
	s_or_b64 s[6:7], s[6:7], s[10:11]
	s_or_b64 exec, exec, s[8:9]
	v_mov_b32_e32 v10, 0
	s_and_saveexec_b64 s[8:9], s[6:7]
	s_cbranch_execnz .LBB504_1851
	s_branch .LBB504_1852
.LBB504_2135:
	s_andn2_saveexec_b64 s[10:11], s[10:11]
	s_cbranch_execz .LBB504_1956
.LBB504_2136:
	s_mov_b32 s20, 0x46000000
	v_add_f32_e64 v1, |v6|, s20
	v_and_b32_e32 v1, 0xff, v1
	v_cmp_ne_u32_e32 vcc, 0, v1
	s_andn2_b64 s[8:9], s[8:9], exec
	s_and_b64 s[20:21], vcc, exec
	s_or_b64 s[8:9], s[8:9], s[20:21]
	s_or_b64 exec, exec, s[10:11]
	v_mov_b32_e32 v8, 0
	s_and_saveexec_b64 s[10:11], s[8:9]
	s_cbranch_execnz .LBB504_1957
	s_branch .LBB504_1958
.LBB504_2137:
	s_trap 2
	s_or_b64 s[18:19], s[18:19], exec
	s_cbranch_execz .LBB504_2004
	s_branch .LBB504_2005
.LBB504_2138:
	s_andn2_saveexec_b64 s[8:9], s[8:9]
	s_cbranch_execz .LBB504_1969
.LBB504_2139:
	s_mov_b32 s10, 0x42800000
	v_add_f32_e64 v1, |v6|, s10
	v_and_b32_e32 v1, 0xff, v1
	v_cmp_ne_u32_e32 vcc, 0, v1
	s_andn2_b64 s[6:7], s[6:7], exec
	s_and_b64 s[10:11], vcc, exec
	s_or_b64 s[6:7], s[6:7], s[10:11]
	s_or_b64 exec, exec, s[8:9]
	v_mov_b32_e32 v8, 0
	s_and_saveexec_b64 s[8:9], s[6:7]
	s_cbranch_execnz .LBB504_1970
	s_branch .LBB504_1971
.LBB504_2140:
	s_andn2_saveexec_b64 s[8:9], s[8:9]
	s_cbranch_execz .LBB504_2076
.LBB504_2141:
	s_mov_b32 s11, 0x46000000
	v_add_f32_e64 v2, |v4|, s11
	v_and_b32_e32 v2, 0xff, v2
	v_cmp_ne_u32_e32 vcc, 0, v2
	s_andn2_b64 s[6:7], s[6:7], exec
	s_and_b64 s[12:13], vcc, exec
	s_or_b64 s[6:7], s[6:7], s[12:13]
	s_or_b64 exec, exec, s[8:9]
	v_mov_b32_e32 v3, 0
	s_and_saveexec_b64 s[8:9], s[6:7]
	s_cbranch_execnz .LBB504_2077
	s_branch .LBB504_2078
.LBB504_2142:
	s_mov_b64 s[2:3], 0
	s_or_b64 s[18:19], s[18:19], exec
	s_trap 2
	s_branch .LBB504_2122
.LBB504_2143:
	s_andn2_saveexec_b64 s[6:7], s[6:7]
	s_cbranch_execz .LBB504_2088
.LBB504_2144:
	s_mov_b32 s8, 0x42800000
	v_add_f32_e64 v2, |v4|, s8
	v_and_b32_e32 v2, 0xff, v2
	v_cmp_ne_u32_e32 vcc, 0, v2
	s_andn2_b64 s[4:5], s[4:5], exec
	s_and_b64 s[8:9], vcc, exec
	s_or_b64 s[4:5], s[4:5], s[8:9]
	s_or_b64 exec, exec, s[6:7]
	v_mov_b32_e32 v3, 0
	s_and_saveexec_b64 s[6:7], s[4:5]
	s_cbranch_execnz .LBB504_2089
	s_branch .LBB504_2090
	.section	.rodata,"a",@progbits
	.p2align	6, 0x0
	.amdhsa_kernel _ZN2at6native32elementwise_kernel_manual_unrollILi128ELi4EZNS0_15gpu_kernel_implIZZZNS0_22nan_to_num_kernel_cudaERNS_18TensorIteratorBaseESt8optionalIdES6_S6_ENKUlvE_clEvENKUlvE0_clEvEUlN3c107complexIfEEE_EEvS4_RKT_EUlibE_EEviT1_
		.amdhsa_group_segment_fixed_size 0
		.amdhsa_private_segment_fixed_size 0
		.amdhsa_kernarg_size 48
		.amdhsa_user_sgpr_count 2
		.amdhsa_user_sgpr_dispatch_ptr 0
		.amdhsa_user_sgpr_queue_ptr 0
		.amdhsa_user_sgpr_kernarg_segment_ptr 1
		.amdhsa_user_sgpr_dispatch_id 0
		.amdhsa_user_sgpr_kernarg_preload_length 0
		.amdhsa_user_sgpr_kernarg_preload_offset 0
		.amdhsa_user_sgpr_private_segment_size 0
		.amdhsa_uses_dynamic_stack 0
		.amdhsa_enable_private_segment 0
		.amdhsa_system_sgpr_workgroup_id_x 1
		.amdhsa_system_sgpr_workgroup_id_y 0
		.amdhsa_system_sgpr_workgroup_id_z 0
		.amdhsa_system_sgpr_workgroup_info 0
		.amdhsa_system_vgpr_workitem_id 0
		.amdhsa_next_free_vgpr 16
		.amdhsa_next_free_sgpr 47
		.amdhsa_accum_offset 16
		.amdhsa_reserve_vcc 1
		.amdhsa_float_round_mode_32 0
		.amdhsa_float_round_mode_16_64 0
		.amdhsa_float_denorm_mode_32 3
		.amdhsa_float_denorm_mode_16_64 3
		.amdhsa_dx10_clamp 1
		.amdhsa_ieee_mode 1
		.amdhsa_fp16_overflow 0
		.amdhsa_tg_split 0
		.amdhsa_exception_fp_ieee_invalid_op 0
		.amdhsa_exception_fp_denorm_src 0
		.amdhsa_exception_fp_ieee_div_zero 0
		.amdhsa_exception_fp_ieee_overflow 0
		.amdhsa_exception_fp_ieee_underflow 0
		.amdhsa_exception_fp_ieee_inexact 0
		.amdhsa_exception_int_div_zero 0
	.end_amdhsa_kernel
	.section	.text._ZN2at6native32elementwise_kernel_manual_unrollILi128ELi4EZNS0_15gpu_kernel_implIZZZNS0_22nan_to_num_kernel_cudaERNS_18TensorIteratorBaseESt8optionalIdES6_S6_ENKUlvE_clEvENKUlvE0_clEvEUlN3c107complexIfEEE_EEvS4_RKT_EUlibE_EEviT1_,"axG",@progbits,_ZN2at6native32elementwise_kernel_manual_unrollILi128ELi4EZNS0_15gpu_kernel_implIZZZNS0_22nan_to_num_kernel_cudaERNS_18TensorIteratorBaseESt8optionalIdES6_S6_ENKUlvE_clEvENKUlvE0_clEvEUlN3c107complexIfEEE_EEvS4_RKT_EUlibE_EEviT1_,comdat
.Lfunc_end504:
	.size	_ZN2at6native32elementwise_kernel_manual_unrollILi128ELi4EZNS0_15gpu_kernel_implIZZZNS0_22nan_to_num_kernel_cudaERNS_18TensorIteratorBaseESt8optionalIdES6_S6_ENKUlvE_clEvENKUlvE0_clEvEUlN3c107complexIfEEE_EEvS4_RKT_EUlibE_EEviT1_, .Lfunc_end504-_ZN2at6native32elementwise_kernel_manual_unrollILi128ELi4EZNS0_15gpu_kernel_implIZZZNS0_22nan_to_num_kernel_cudaERNS_18TensorIteratorBaseESt8optionalIdES6_S6_ENKUlvE_clEvENKUlvE0_clEvEUlN3c107complexIfEEE_EEvS4_RKT_EUlibE_EEviT1_
                                        ; -- End function
	.set _ZN2at6native32elementwise_kernel_manual_unrollILi128ELi4EZNS0_15gpu_kernel_implIZZZNS0_22nan_to_num_kernel_cudaERNS_18TensorIteratorBaseESt8optionalIdES6_S6_ENKUlvE_clEvENKUlvE0_clEvEUlN3c107complexIfEEE_EEvS4_RKT_EUlibE_EEviT1_.num_vgpr, 16
	.set _ZN2at6native32elementwise_kernel_manual_unrollILi128ELi4EZNS0_15gpu_kernel_implIZZZNS0_22nan_to_num_kernel_cudaERNS_18TensorIteratorBaseESt8optionalIdES6_S6_ENKUlvE_clEvENKUlvE0_clEvEUlN3c107complexIfEEE_EEvS4_RKT_EUlibE_EEviT1_.num_agpr, 0
	.set _ZN2at6native32elementwise_kernel_manual_unrollILi128ELi4EZNS0_15gpu_kernel_implIZZZNS0_22nan_to_num_kernel_cudaERNS_18TensorIteratorBaseESt8optionalIdES6_S6_ENKUlvE_clEvENKUlvE0_clEvEUlN3c107complexIfEEE_EEvS4_RKT_EUlibE_EEviT1_.numbered_sgpr, 47
	.set _ZN2at6native32elementwise_kernel_manual_unrollILi128ELi4EZNS0_15gpu_kernel_implIZZZNS0_22nan_to_num_kernel_cudaERNS_18TensorIteratorBaseESt8optionalIdES6_S6_ENKUlvE_clEvENKUlvE0_clEvEUlN3c107complexIfEEE_EEvS4_RKT_EUlibE_EEviT1_.num_named_barrier, 0
	.set _ZN2at6native32elementwise_kernel_manual_unrollILi128ELi4EZNS0_15gpu_kernel_implIZZZNS0_22nan_to_num_kernel_cudaERNS_18TensorIteratorBaseESt8optionalIdES6_S6_ENKUlvE_clEvENKUlvE0_clEvEUlN3c107complexIfEEE_EEvS4_RKT_EUlibE_EEviT1_.private_seg_size, 0
	.set _ZN2at6native32elementwise_kernel_manual_unrollILi128ELi4EZNS0_15gpu_kernel_implIZZZNS0_22nan_to_num_kernel_cudaERNS_18TensorIteratorBaseESt8optionalIdES6_S6_ENKUlvE_clEvENKUlvE0_clEvEUlN3c107complexIfEEE_EEvS4_RKT_EUlibE_EEviT1_.uses_vcc, 1
	.set _ZN2at6native32elementwise_kernel_manual_unrollILi128ELi4EZNS0_15gpu_kernel_implIZZZNS0_22nan_to_num_kernel_cudaERNS_18TensorIteratorBaseESt8optionalIdES6_S6_ENKUlvE_clEvENKUlvE0_clEvEUlN3c107complexIfEEE_EEvS4_RKT_EUlibE_EEviT1_.uses_flat_scratch, 0
	.set _ZN2at6native32elementwise_kernel_manual_unrollILi128ELi4EZNS0_15gpu_kernel_implIZZZNS0_22nan_to_num_kernel_cudaERNS_18TensorIteratorBaseESt8optionalIdES6_S6_ENKUlvE_clEvENKUlvE0_clEvEUlN3c107complexIfEEE_EEvS4_RKT_EUlibE_EEviT1_.has_dyn_sized_stack, 0
	.set _ZN2at6native32elementwise_kernel_manual_unrollILi128ELi4EZNS0_15gpu_kernel_implIZZZNS0_22nan_to_num_kernel_cudaERNS_18TensorIteratorBaseESt8optionalIdES6_S6_ENKUlvE_clEvENKUlvE0_clEvEUlN3c107complexIfEEE_EEvS4_RKT_EUlibE_EEviT1_.has_recursion, 0
	.set _ZN2at6native32elementwise_kernel_manual_unrollILi128ELi4EZNS0_15gpu_kernel_implIZZZNS0_22nan_to_num_kernel_cudaERNS_18TensorIteratorBaseESt8optionalIdES6_S6_ENKUlvE_clEvENKUlvE0_clEvEUlN3c107complexIfEEE_EEvS4_RKT_EUlibE_EEviT1_.has_indirect_call, 0
	.section	.AMDGPU.csdata,"",@progbits
; Kernel info:
; codeLenInByte = 34512
; TotalNumSgprs: 53
; NumVgprs: 16
; NumAgprs: 0
; TotalNumVgprs: 16
; ScratchSize: 0
; MemoryBound: 1
; FloatMode: 240
; IeeeMode: 1
; LDSByteSize: 0 bytes/workgroup (compile time only)
; SGPRBlocks: 6
; VGPRBlocks: 1
; NumSGPRsForWavesPerEU: 53
; NumVGPRsForWavesPerEU: 16
; AccumOffset: 16
; Occupancy: 8
; WaveLimiterHint : 0
; COMPUTE_PGM_RSRC2:SCRATCH_EN: 0
; COMPUTE_PGM_RSRC2:USER_SGPR: 2
; COMPUTE_PGM_RSRC2:TRAP_HANDLER: 0
; COMPUTE_PGM_RSRC2:TGID_X_EN: 1
; COMPUTE_PGM_RSRC2:TGID_Y_EN: 0
; COMPUTE_PGM_RSRC2:TGID_Z_EN: 0
; COMPUTE_PGM_RSRC2:TIDIG_COMP_CNT: 0
; COMPUTE_PGM_RSRC3_GFX90A:ACCUM_OFFSET: 3
; COMPUTE_PGM_RSRC3_GFX90A:TG_SPLIT: 0
	.section	.text._ZN2at6native32elementwise_kernel_manual_unrollILi128ELi4EZNS0_15gpu_kernel_implIZZZNS0_22nan_to_num_kernel_cudaERNS_18TensorIteratorBaseESt8optionalIdES6_S6_ENKUlvE_clEvENKUlvE0_clEvEUlN3c107complexIfEEE_EEvS4_RKT_EUlibE0_EEviT1_,"axG",@progbits,_ZN2at6native32elementwise_kernel_manual_unrollILi128ELi4EZNS0_15gpu_kernel_implIZZZNS0_22nan_to_num_kernel_cudaERNS_18TensorIteratorBaseESt8optionalIdES6_S6_ENKUlvE_clEvENKUlvE0_clEvEUlN3c107complexIfEEE_EEvS4_RKT_EUlibE0_EEviT1_,comdat
	.globl	_ZN2at6native32elementwise_kernel_manual_unrollILi128ELi4EZNS0_15gpu_kernel_implIZZZNS0_22nan_to_num_kernel_cudaERNS_18TensorIteratorBaseESt8optionalIdES6_S6_ENKUlvE_clEvENKUlvE0_clEvEUlN3c107complexIfEEE_EEvS4_RKT_EUlibE0_EEviT1_ ; -- Begin function _ZN2at6native32elementwise_kernel_manual_unrollILi128ELi4EZNS0_15gpu_kernel_implIZZZNS0_22nan_to_num_kernel_cudaERNS_18TensorIteratorBaseESt8optionalIdES6_S6_ENKUlvE_clEvENKUlvE0_clEvEUlN3c107complexIfEEE_EEvS4_RKT_EUlibE0_EEviT1_
	.p2align	8
	.type	_ZN2at6native32elementwise_kernel_manual_unrollILi128ELi4EZNS0_15gpu_kernel_implIZZZNS0_22nan_to_num_kernel_cudaERNS_18TensorIteratorBaseESt8optionalIdES6_S6_ENKUlvE_clEvENKUlvE0_clEvEUlN3c107complexIfEEE_EEvS4_RKT_EUlibE0_EEviT1_,@function
_ZN2at6native32elementwise_kernel_manual_unrollILi128ELi4EZNS0_15gpu_kernel_implIZZZNS0_22nan_to_num_kernel_cudaERNS_18TensorIteratorBaseESt8optionalIdES6_S6_ENKUlvE_clEvENKUlvE0_clEvEUlN3c107complexIfEEE_EEvS4_RKT_EUlibE0_EEviT1_: ; @_ZN2at6native32elementwise_kernel_manual_unrollILi128ELi4EZNS0_15gpu_kernel_implIZZZNS0_22nan_to_num_kernel_cudaERNS_18TensorIteratorBaseESt8optionalIdES6_S6_ENKUlvE_clEvENKUlvE0_clEvEUlN3c107complexIfEEE_EEvS4_RKT_EUlibE0_EEviT1_
; %bb.0:
	s_load_dword s74, s[0:1], 0x0
	s_load_dword s33, s[0:1], 0x8
	s_add_u32 s34, s0, 8
	s_addc_u32 s35, s1, 0
	v_lshl_or_b32 v12, s2, 9, v0
	v_or_b32_e32 v16, 0x180, v12
	s_waitcnt lgkmcnt(0)
	s_add_i32 s76, s33, -1
	s_cmp_gt_u32 s76, 1
	v_cmp_le_i32_e32 vcc, s74, v16
	s_cselect_b64 s[46:47], -1, 0
	s_mov_b64 s[44:45], 0
	s_mov_b64 s[24:25], 0
	s_and_saveexec_b64 s[2:3], vcc
	s_xor_b64 s[48:49], exec, s[2:3]
	s_cbranch_execz .LBB505_1141
; %bb.1:
	s_load_dwordx4 s[28:31], s[34:35], 0x4
	s_load_dwordx2 s[50:51], s[34:35], 0x14
	s_load_dword s77, s[34:35], 0x164
	s_cmp_lg_u32 s33, 0
	s_load_dwordx4 s[36:39], s[34:35], 0xc4
	s_load_dwordx8 s[4:11], s[34:35], 0x148
	s_cselect_b64 s[56:57], -1, 0
	s_add_u32 s54, s34, 0xc4
	s_addc_u32 s55, s35, 0
	s_min_u32 s78, s76, 15
	s_cmp_gt_u32 s33, 1
	s_cselect_b64 s[52:53], -1, 0
	s_waitcnt lgkmcnt(0)
	s_bfe_u32 s11, s77, 0x80008
	v_cmp_gt_i32_e32 vcc, s74, v12
	s_mov_b64 s[12:13], -1
	s_mov_b64 s[66:67], 0
	s_mov_b64 s[60:61], 0
	;; [unrolled: 1-line block ×3, first 2 shown]
	s_and_saveexec_b64 s[62:63], vcc
	s_cbranch_execz .LBB505_279
; %bb.2:
	s_andn2_b64 vcc, exec, s[46:47]
	s_cbranch_vccnz .LBB505_8
; %bb.3:
	s_andn2_b64 vcc, exec, s[56:57]
	s_cbranch_vccnz .LBB505_9
; %bb.4:
	s_add_i32 s61, s78, 1
	s_cmp_eq_u32 s76, 2
	s_cbranch_scc1 .LBB505_10
; %bb.5:
	s_and_b32 s60, s61, 28
	s_mov_b32 s64, 0
	v_mov_b32_e32 v0, 0
	v_mov_b32_e32 v2, 0
	s_mov_b64 s[2:3], s[34:35]
	s_mov_b64 s[58:59], s[54:55]
	v_mov_b32_e32 v4, v12
.LBB505_6:                              ; =>This Inner Loop Header: Depth=1
	s_load_dwordx8 s[20:27], s[2:3], 0x4
	s_load_dwordx4 s[40:43], s[2:3], 0x24
	s_load_dwordx8 s[12:19], s[58:59], 0x0
	s_add_u32 s2, s2, 48
	s_addc_u32 s3, s3, 0
	s_waitcnt lgkmcnt(0)
	v_mul_hi_u32 v1, s21, v4
	v_add_u32_e32 v1, v4, v1
	v_lshrrev_b32_e32 v1, s22, v1
	v_mul_lo_u32 v3, v1, s20
	v_mul_hi_u32 v5, s24, v1
	v_sub_u32_e32 v3, v4, v3
	v_add_u32_e32 v4, v1, v5
	v_lshrrev_b32_e32 v4, s25, v4
	v_mul_lo_u32 v6, v4, s23
	v_mul_hi_u32 v7, s27, v4
	v_sub_u32_e32 v1, v1, v6
	v_add_u32_e32 v6, v4, v7
	v_mul_lo_u32 v5, v3, s13
	v_mul_lo_u32 v3, v3, s12
	;; [unrolled: 1-line block ×4, first 2 shown]
	v_lshrrev_b32_e32 v6, s40, v6
	v_add3_u32 v0, v3, v0, v1
	v_mul_hi_u32 v3, s42, v6
	v_add3_u32 v1, v5, v2, v7
	v_mul_lo_u32 v2, v6, s26
	v_add_u32_e32 v3, v6, v3
	v_sub_u32_e32 v2, v4, v2
	v_lshrrev_b32_e32 v4, s43, v3
	s_add_i32 s64, s64, 4
	v_mul_lo_u32 v3, v4, s41
	s_add_u32 s58, s58, 32
	v_sub_u32_e32 v3, v6, v3
	s_addc_u32 s59, s59, 0
	v_mul_lo_u32 v5, v2, s16
	v_mul_lo_u32 v2, v2, s17
	;; [unrolled: 1-line block ×4, first 2 shown]
	s_cmp_lg_u32 s60, s64
	v_add3_u32 v2, v2, v1, v3
	v_add3_u32 v0, v5, v0, v6
	s_cbranch_scc1 .LBB505_6
; %bb.7:
	v_mov_b32_e32 v1, v2
	s_branch .LBB505_11
.LBB505_8:
                                        ; implicit-def: $vgpr2
                                        ; implicit-def: $vgpr0
	s_branch .LBB505_15
.LBB505_9:
	v_mov_b32_e32 v2, 0
	v_mov_b32_e32 v0, 0
	s_branch .LBB505_14
.LBB505_10:
	v_mov_b32_e32 v0, 0
	s_mov_b32 s60, 0
	v_mov_b32_e32 v1, v0
                                        ; implicit-def: $vgpr2
	v_mov_b32_e32 v4, v12
.LBB505_11:
	s_and_b32 s14, s61, 3
	s_cmp_eq_u32 s14, 0
	s_cbranch_scc1 .LBB505_14
; %bb.12:
	s_lshl_b32 s2, s60, 3
	s_add_u32 s2, s34, s2
	s_addc_u32 s3, s35, 0
	s_add_u32 s2, s2, 0xc4
	s_addc_u32 s3, s3, 0
	s_mul_i32 s12, s60, 12
	s_add_u32 s12, s34, s12
	s_addc_u32 s13, s35, 0
.LBB505_13:                             ; =>This Inner Loop Header: Depth=1
	s_load_dwordx2 s[16:17], s[12:13], 0x4
	s_load_dword s15, s[12:13], 0xc
	s_load_dwordx2 s[18:19], s[2:3], 0x0
	v_mov_b32_e32 v2, v1
	s_add_u32 s12, s12, 12
	s_waitcnt lgkmcnt(0)
	v_mul_hi_u32 v1, s17, v4
	v_add_u32_e32 v1, v4, v1
	v_lshrrev_b32_e32 v1, s15, v1
	s_addc_u32 s13, s13, 0
	v_mul_lo_u32 v3, v1, s16
	s_add_u32 s2, s2, 8
	v_sub_u32_e32 v5, v4, v3
	s_addc_u32 s3, s3, 0
	s_add_i32 s14, s14, -1
	v_mov_b32_e32 v4, v1
	v_mad_u64_u32 v[2:3], s[16:17], v5, s19, v[2:3]
	v_mad_u64_u32 v[0:1], s[16:17], v5, s18, v[0:1]
	s_cmp_lg_u32 s14, 0
	v_mov_b32_e32 v1, v2
	s_cbranch_scc1 .LBB505_13
.LBB505_14:
	s_cbranch_execnz .LBB505_17
.LBB505_15:
	v_mul_hi_u32 v0, s29, v12
	v_add_u32_e32 v0, v12, v0
	v_lshrrev_b32_e32 v1, s30, v0
	v_mul_lo_u32 v0, v1, s28
	v_sub_u32_e32 v0, v12, v0
	v_mul_lo_u32 v2, v0, s37
	s_andn2_b64 vcc, exec, s[52:53]
	v_mul_lo_u32 v0, v0, s36
	s_cbranch_vccnz .LBB505_17
; %bb.16:
	v_mul_hi_u32 v3, s50, v1
	v_add_u32_e32 v3, v1, v3
	v_lshrrev_b32_e32 v3, s51, v3
	v_mul_lo_u32 v3, v3, s31
	v_sub_u32_e32 v3, v1, v3
	v_mad_u64_u32 v[0:1], s[2:3], v3, s38, v[0:1]
	v_mad_u64_u32 v[2:3], s[2:3], v3, s39, v[2:3]
.LBB505_17:
	v_mov_b32_e32 v3, 0
	s_and_b32 s18, 0xffff, s11
	s_cmp_lt_i32 s18, 11
	v_lshl_add_u64 v[2:3], s[6:7], 0, v[2:3]
	s_cbranch_scc1 .LBB505_24
; %bb.18:
	s_cmp_gt_i32 s18, 25
	s_cbranch_scc0 .LBB505_41
; %bb.19:
	s_cmp_gt_i32 s18, 28
	s_cbranch_scc0 .LBB505_44
	;; [unrolled: 3-line block ×4, first 2 shown]
; %bb.22:
	s_cmp_eq_u32 s18, 46
	s_mov_b64 s[14:15], 0
	s_cbranch_scc0 .LBB505_50
; %bb.23:
	global_load_dword v1, v[2:3], off
	s_mov_b64 s[2:3], -1
	s_mov_b64 s[12:13], 0
	s_waitcnt vmcnt(0)
	v_and_b32_e32 v5, 0xffff0000, v1
	v_lshlrev_b32_e32 v4, 16, v1
	s_branch .LBB505_52
.LBB505_24:
	s_mov_b64 s[12:13], 0
                                        ; implicit-def: $vgpr5
	s_mov_b64 s[2:3], 0
	s_cbranch_execnz .LBB505_227
.LBB505_25:
	s_andn2_b64 vcc, exec, s[2:3]
	s_cbranch_vccnz .LBB505_276
.LBB505_26:
	s_waitcnt vmcnt(0)
	v_cmp_o_f32_e32 vcc, v4, v4
	v_mov_b32_e32 v2, s8
	s_and_saveexec_b64 s[2:3], vcc
	s_cbranch_execz .LBB505_30
; %bb.27:
	s_mov_b32 s14, 0x7f800000
	v_cmp_neq_f32_e32 vcc, s14, v4
	v_mov_b32_e32 v2, s9
	s_and_saveexec_b64 s[14:15], vcc
; %bb.28:
	s_mov_b32 s16, 0xff800000
	v_mov_b32_e32 v1, s10
	v_cmp_eq_f32_e32 vcc, s16, v4
	s_nop 1
	v_cndmask_b32_e32 v2, v4, v1, vcc
; %bb.29:
	s_or_b64 exec, exec, s[14:15]
.LBB505_30:
	s_or_b64 exec, exec, s[2:3]
	v_cmp_o_f32_e32 vcc, v5, v5
	v_mov_b32_e32 v3, s8
	s_and_saveexec_b64 s[2:3], vcc
	s_cbranch_execz .LBB505_34
; %bb.31:
	s_mov_b32 s14, 0x7f800000
	v_cmp_neq_f32_e32 vcc, s14, v5
	v_mov_b32_e32 v3, s9
	s_and_saveexec_b64 s[14:15], vcc
; %bb.32:
	s_mov_b32 s16, 0xff800000
	v_mov_b32_e32 v1, s10
	v_cmp_eq_f32_e32 vcc, s16, v5
	s_nop 1
	v_cndmask_b32_e32 v3, v5, v1, vcc
; %bb.33:
	s_or_b64 exec, exec, s[14:15]
.LBB505_34:
	s_or_b64 exec, exec, s[2:3]
	v_mov_b32_e32 v1, 0
	s_and_b32 s20, s77, 0xff
	s_cmp_lt_i32 s20, 11
	v_lshl_add_u64 v[0:1], s[4:5], 0, v[0:1]
	s_cbranch_scc1 .LBB505_42
; %bb.35:
	s_and_b32 s21, 0xffff, s20
	s_cmp_gt_i32 s21, 25
	s_cbranch_scc0 .LBB505_45
; %bb.36:
	s_cmp_gt_i32 s21, 28
	s_cbranch_scc0 .LBB505_47
; %bb.37:
	;; [unrolled: 3-line block ×4, first 2 shown]
	s_mov_b64 s[16:17], 0
	s_mov_b64 s[2:3], -1
	s_cmp_eq_u32 s21, 46
	s_mov_b64 s[14:15], 0
	s_cbranch_scc0 .LBB505_56
; %bb.40:
	s_movk_i32 s2, 0x7fff
	v_bfe_u32 v5, v3, 16, 1
	v_add3_u32 v5, v3, v5, s2
	v_bfe_u32 v4, v2, 16, 1
	v_and_b32_e32 v5, 0xffff0000, v5
	v_mov_b32_e32 v6, 0x7fc00000
	v_cmp_o_f32_e32 vcc, v3, v3
	v_add3_u32 v4, v2, v4, s2
	s_mov_b64 s[14:15], -1
	v_cndmask_b32_e32 v5, v6, v5, vcc
	v_cmp_o_f32_e32 vcc, v2, v2
	v_mov_b32_e32 v6, 0x7fc0
	s_mov_b64 s[2:3], 0
	v_cndmask_b32_sdwa v4, v6, v4, vcc dst_sel:DWORD dst_unused:UNUSED_PAD src0_sel:DWORD src1_sel:WORD_1
	v_or_b32_e32 v4, v5, v4
	global_store_dword v[0:1], v4, off
	s_branch .LBB505_56
.LBB505_41:
	s_mov_b64 s[12:13], 0
	s_mov_b64 s[2:3], 0
                                        ; implicit-def: $vgpr5
	s_cbranch_execnz .LBB505_192
	s_branch .LBB505_226
.LBB505_42:
	s_mov_b64 s[2:3], 0
	s_mov_b64 s[14:15], 0
	s_cbranch_execnz .LBB505_125
.LBB505_43:
	s_andn2_b64 vcc, exec, s[14:15]
	s_cbranch_vccnz .LBB505_277
	s_branch .LBB505_163
.LBB505_44:
	s_mov_b64 s[14:15], -1
	s_mov_b64 s[12:13], 0
	s_mov_b64 s[2:3], 0
                                        ; implicit-def: $vgpr5
	s_branch .LBB505_173
.LBB505_45:
	s_mov_b64 s[16:17], -1
	s_mov_b64 s[2:3], 0
	s_mov_b64 s[14:15], 0
	s_branch .LBB505_83
.LBB505_46:
	s_mov_b64 s[14:15], -1
	s_mov_b64 s[12:13], 0
	s_mov_b64 s[2:3], 0
                                        ; implicit-def: $vgpr5
	s_branch .LBB505_167
.LBB505_47:
	s_mov_b64 s[16:17], -1
	s_mov_b64 s[2:3], 0
	s_mov_b64 s[14:15], 0
	s_branch .LBB505_66
.LBB505_48:
	s_mov_b64 s[14:15], -1
	s_mov_b64 s[12:13], 0
	s_branch .LBB505_51
.LBB505_49:
	s_mov_b64 s[16:17], -1
	s_mov_b64 s[2:3], 0
	s_mov_b64 s[14:15], 0
	s_branch .LBB505_62
.LBB505_50:
	s_mov_b64 s[12:13], -1
.LBB505_51:
	s_mov_b64 s[2:3], 0
                                        ; implicit-def: $vgpr5
.LBB505_52:
	s_and_b64 vcc, exec, s[14:15]
	s_cbranch_vccz .LBB505_166
; %bb.53:
	s_cmp_eq_u32 s18, 44
	s_cbranch_scc0 .LBB505_164
; %bb.54:
	global_load_ubyte v1, v[2:3], off
	s_movk_i32 s12, 0xff
	v_mov_b32_e32 v4, 0x7f800001
	v_mov_b32_e32 v5, 0x400000
	s_mov_b64 s[2:3], -1
	s_waitcnt vmcnt(0)
	v_lshlrev_b32_e32 v6, 23, v1
	v_cmp_ne_u32_e32 vcc, s12, v1
	s_mov_b64 s[12:13], 0
	s_nop 0
	v_cndmask_b32_e32 v4, v4, v6, vcc
	v_cmp_ne_u32_e32 vcc, 0, v1
	s_nop 1
	v_cndmask_b32_e32 v4, v5, v4, vcc
	s_branch .LBB505_165
.LBB505_55:
	s_mov_b64 s[16:17], -1
	s_mov_b64 s[2:3], 0
	s_mov_b64 s[14:15], 0
.LBB505_56:
	s_and_b64 vcc, exec, s[16:17]
	s_cbranch_vccz .LBB505_61
; %bb.57:
	s_cmp_eq_u32 s21, 44
	s_mov_b64 s[2:3], -1
	s_cbranch_scc0 .LBB505_61
; %bb.58:
	v_bfe_u32 v4, v2, 23, 8
	s_movk_i32 s2, 0xff
	v_cmp_ne_u32_e32 vcc, s2, v4
	v_mov_b32_e32 v5, 0xff
	s_and_saveexec_b64 s[14:15], vcc
; %bb.59:
	s_mov_b32 s2, 0x3fffff
	v_and_b32_e32 v6, 0x400000, v2
	v_and_or_b32 v4, v2, s2, v4
	v_cmp_ne_u32_e32 vcc, 0, v6
	v_cmp_ne_u32_e64 s[2:3], 0, v4
	s_and_b64 s[2:3], vcc, s[2:3]
	v_lshrrev_b32_e32 v5, 23, v2
	v_cndmask_b32_e64 v4, 0, 1, s[2:3]
	v_add_u32_e32 v5, v5, v4
; %bb.60:
	s_or_b64 exec, exec, s[14:15]
	s_mov_b64 s[14:15], -1
	s_mov_b64 s[2:3], 0
	global_store_byte v[0:1], v5, off
.LBB505_61:
	s_mov_b64 s[16:17], 0
.LBB505_62:
	s_and_b64 vcc, exec, s[16:17]
	s_cbranch_vccz .LBB505_65
; %bb.63:
	s_cmp_eq_u32 s21, 29
	s_mov_b64 s[2:3], -1
	s_cbranch_scc0 .LBB505_65
; %bb.64:
	v_trunc_f32_e32 v4, v2
	v_mul_f32_e32 v5, 0x2f800000, v4
	v_floor_f32_e32 v6, v5
	v_fmamk_f32 v4, v6, 0xcf800000, v4
	v_cvt_u32_f32_e32 v5, v6
	v_cvt_u32_f32_e32 v4, v4
	s_mov_b64 s[14:15], -1
	s_mov_b64 s[2:3], 0
	s_mov_b64 s[16:17], 0
	global_store_dwordx2 v[0:1], v[4:5], off
	s_branch .LBB505_66
.LBB505_65:
	s_mov_b64 s[16:17], 0
.LBB505_66:
	s_and_b64 vcc, exec, s[16:17]
	s_cbranch_vccz .LBB505_82
; %bb.67:
	s_cmp_lt_i32 s21, 27
	s_mov_b64 s[14:15], -1
	s_cbranch_scc1 .LBB505_73
; %bb.68:
	v_cvt_u32_f32_e32 v4, v2
	s_cmp_gt_i32 s21, 27
	s_cbranch_scc0 .LBB505_70
; %bb.69:
	s_mov_b64 s[14:15], 0
	global_store_dword v[0:1], v4, off
.LBB505_70:
	s_andn2_b64 vcc, exec, s[14:15]
	s_cbranch_vccnz .LBB505_72
; %bb.71:
	global_store_short v[0:1], v4, off
.LBB505_72:
	s_mov_b64 s[14:15], 0
.LBB505_73:
	s_andn2_b64 vcc, exec, s[14:15]
	s_cbranch_vccnz .LBB505_81
; %bb.74:
	v_and_b32_e32 v4, 0x7fffffff, v2
	s_mov_b32 s14, 0x43800000
	v_cmp_gt_u32_e32 vcc, s14, v4
	v_mov_b32_e32 v5, 0x80
	s_and_saveexec_b64 s[14:15], vcc
	s_cbranch_execz .LBB505_80
; %bb.75:
	s_mov_b32 s16, 0x3bffffff
	v_cmp_lt_u32_e32 vcc, s16, v4
	s_mov_b64 s[16:17], 0
                                        ; implicit-def: $vgpr4
	s_and_saveexec_b64 s[18:19], vcc
	s_xor_b64 s[18:19], exec, s[18:19]
	s_cbranch_execz .LBB505_329
; %bb.76:
	v_bfe_u32 v4, v2, 20, 1
	s_mov_b32 s22, 0x487ffff
	v_add3_u32 v4, v2, v4, s22
	s_mov_b64 s[16:17], exec
	v_lshrrev_b32_e32 v4, 20, v4
	s_andn2_saveexec_b64 s[18:19], s[18:19]
	s_cbranch_execnz .LBB505_330
.LBB505_77:
	s_or_b64 exec, exec, s[18:19]
	v_mov_b32_e32 v5, 0
	s_and_saveexec_b64 s[18:19], s[16:17]
.LBB505_78:
	v_lshrrev_b32_e32 v5, 24, v2
	s_movk_i32 s16, 0x80
	v_and_or_b32 v5, v5, s16, v4
.LBB505_79:
	s_or_b64 exec, exec, s[18:19]
.LBB505_80:
	s_or_b64 exec, exec, s[14:15]
	global_store_byte v[0:1], v5, off
.LBB505_81:
	s_mov_b64 s[14:15], -1
.LBB505_82:
	s_mov_b64 s[16:17], 0
.LBB505_83:
	s_and_b64 vcc, exec, s[16:17]
	s_cbranch_vccz .LBB505_124
; %bb.84:
	s_cmp_gt_i32 s21, 22
	s_mov_b64 s[16:17], -1
	s_cbranch_scc0 .LBB505_116
; %bb.85:
	s_cmp_lt_i32 s21, 24
	s_mov_b64 s[14:15], -1
	s_cbranch_scc1 .LBB505_105
; %bb.86:
	s_cmp_gt_i32 s21, 24
	s_cbranch_scc0 .LBB505_94
; %bb.87:
	v_and_b32_e32 v4, 0x7fffffff, v2
	s_mov_b32 s14, 0x47800000
	v_cmp_gt_u32_e32 vcc, s14, v4
	v_mov_b32_e32 v5, 0x80
	s_and_saveexec_b64 s[14:15], vcc
	s_cbranch_execz .LBB505_93
; %bb.88:
	s_mov_b32 s16, 0x37ffffff
	v_cmp_lt_u32_e32 vcc, s16, v4
	s_mov_b64 s[16:17], 0
                                        ; implicit-def: $vgpr4
	s_and_saveexec_b64 s[18:19], vcc
	s_xor_b64 s[18:19], exec, s[18:19]
	s_cbranch_execz .LBB505_333
; %bb.89:
	v_bfe_u32 v4, v2, 21, 1
	s_mov_b32 s22, 0x88fffff
	v_add3_u32 v4, v2, v4, s22
	s_mov_b64 s[16:17], exec
	v_lshrrev_b32_e32 v4, 21, v4
	s_andn2_saveexec_b64 s[18:19], s[18:19]
	s_cbranch_execnz .LBB505_334
.LBB505_90:
	s_or_b64 exec, exec, s[18:19]
	v_mov_b32_e32 v5, 0
	s_and_saveexec_b64 s[18:19], s[16:17]
.LBB505_91:
	v_lshrrev_b32_e32 v5, 24, v2
	s_movk_i32 s16, 0x80
	v_and_or_b32 v5, v5, s16, v4
.LBB505_92:
	s_or_b64 exec, exec, s[18:19]
.LBB505_93:
	s_or_b64 exec, exec, s[14:15]
	s_mov_b64 s[14:15], 0
	global_store_byte v[0:1], v5, off
.LBB505_94:
	s_and_b64 vcc, exec, s[14:15]
	s_cbranch_vccz .LBB505_104
; %bb.95:
	v_and_b32_e32 v5, 0x7fffffff, v2
	s_mov_b32 s14, 0x43f00000
	v_cmp_gt_u32_e32 vcc, s14, v5
                                        ; implicit-def: $vgpr4
	s_and_saveexec_b64 s[14:15], vcc
	s_xor_b64 s[14:15], exec, s[14:15]
	s_cbranch_execz .LBB505_101
; %bb.96:
	s_mov_b32 s16, 0x3c7fffff
	v_cmp_lt_u32_e32 vcc, s16, v5
                                        ; implicit-def: $vgpr4
	s_and_saveexec_b64 s[16:17], vcc
	s_xor_b64 s[16:17], exec, s[16:17]
; %bb.97:
	v_bfe_u32 v4, v2, 20, 1
	s_mov_b32 s18, 0x407ffff
	v_add3_u32 v4, v2, v4, s18
	v_lshrrev_b32_e32 v5, 20, v4
	v_and_b32_e32 v4, 0xff00000, v4
	s_mov_b32 s18, 0x7f00000
	v_mov_b32_e32 v6, 0x7e
	v_cmp_ne_u32_e32 vcc, s18, v4
	s_nop 1
	v_cndmask_b32_e32 v4, v6, v5, vcc
; %bb.98:
	s_andn2_saveexec_b64 s[16:17], s[16:17]
; %bb.99:
	s_mov_b32 s18, 0x46800000
	v_add_f32_e64 v4, |v2|, s18
; %bb.100:
	s_or_b64 exec, exec, s[16:17]
                                        ; implicit-def: $vgpr5
.LBB505_101:
	s_andn2_saveexec_b64 s[14:15], s[14:15]
; %bb.102:
	s_mov_b32 s16, 0x7f800000
	v_mov_b32_e32 v4, 0x7e
	v_mov_b32_e32 v6, 0x7f
	v_cmp_lt_u32_e32 vcc, s16, v5
	s_nop 1
	v_cndmask_b32_e32 v4, v4, v6, vcc
; %bb.103:
	s_or_b64 exec, exec, s[14:15]
	v_lshrrev_b32_e32 v5, 24, v2
	s_movk_i32 s14, 0x80
	v_and_or_b32 v4, v5, s14, v4
	global_store_byte v[0:1], v4, off
.LBB505_104:
	s_mov_b64 s[14:15], 0
.LBB505_105:
	s_andn2_b64 vcc, exec, s[14:15]
	s_cbranch_vccnz .LBB505_115
; %bb.106:
	v_and_b32_e32 v5, 0x7fffffff, v2
	s_mov_b32 s14, 0x47800000
	v_cmp_gt_u32_e32 vcc, s14, v5
                                        ; implicit-def: $vgpr4
	s_and_saveexec_b64 s[14:15], vcc
	s_xor_b64 s[14:15], exec, s[14:15]
	s_cbranch_execz .LBB505_112
; %bb.107:
	s_mov_b32 s16, 0x387fffff
	v_cmp_lt_u32_e32 vcc, s16, v5
                                        ; implicit-def: $vgpr4
	s_and_saveexec_b64 s[16:17], vcc
	s_xor_b64 s[16:17], exec, s[16:17]
; %bb.108:
	v_bfe_u32 v4, v2, 21, 1
	s_mov_b32 s18, 0x80fffff
	v_add3_u32 v4, v2, v4, s18
	v_lshrrev_b32_e32 v4, 21, v4
; %bb.109:
	s_andn2_saveexec_b64 s[16:17], s[16:17]
; %bb.110:
	s_mov_b32 s18, 0x43000000
	v_add_f32_e64 v4, |v2|, s18
; %bb.111:
	s_or_b64 exec, exec, s[16:17]
                                        ; implicit-def: $vgpr5
.LBB505_112:
	s_andn2_saveexec_b64 s[14:15], s[14:15]
; %bb.113:
	s_mov_b32 s16, 0x7f800000
	v_mov_b32_e32 v4, 0x7c
	v_mov_b32_e32 v6, 0x7f
	v_cmp_lt_u32_e32 vcc, s16, v5
	s_nop 1
	v_cndmask_b32_e32 v4, v4, v6, vcc
; %bb.114:
	s_or_b64 exec, exec, s[14:15]
	v_lshrrev_b32_e32 v5, 24, v2
	s_movk_i32 s14, 0x80
	v_and_or_b32 v4, v5, s14, v4
	global_store_byte v[0:1], v4, off
.LBB505_115:
	s_mov_b64 s[16:17], 0
	s_mov_b64 s[14:15], -1
.LBB505_116:
	s_andn2_b64 vcc, exec, s[16:17]
	s_cbranch_vccnz .LBB505_124
; %bb.117:
	s_cmp_gt_i32 s21, 14
	s_mov_b64 s[16:17], -1
	s_cbranch_scc0 .LBB505_121
; %bb.118:
	s_cmp_eq_u32 s21, 15
	s_mov_b64 s[2:3], -1
	s_cbranch_scc0 .LBB505_120
; %bb.119:
	v_bfe_u32 v4, v2, 16, 1
	s_movk_i32 s2, 0x7fff
	v_add3_u32 v4, v2, v4, s2
	v_cmp_o_f32_e32 vcc, v2, v2
	v_mov_b32_e32 v5, 0x7fc0
	s_mov_b64 s[14:15], -1
	v_cndmask_b32_sdwa v4, v5, v4, vcc dst_sel:DWORD dst_unused:UNUSED_PAD src0_sel:DWORD src1_sel:WORD_1
	global_store_short v[0:1], v4, off
	s_mov_b64 s[2:3], 0
.LBB505_120:
	s_mov_b64 s[16:17], 0
.LBB505_121:
	s_and_b64 vcc, exec, s[16:17]
	s_cbranch_vccz .LBB505_124
; %bb.122:
	s_cmp_eq_u32 s21, 11
	s_mov_b64 s[2:3], -1
	s_cbranch_scc0 .LBB505_124
; %bb.123:
	v_cmp_neq_f32_e32 vcc, 0, v2
	v_cmp_neq_f32_e64 s[2:3], 0, v3
	s_or_b64 s[2:3], vcc, s[2:3]
	s_mov_b64 s[14:15], -1
	v_cndmask_b32_e64 v4, 0, 1, s[2:3]
	s_mov_b64 s[2:3], 0
	global_store_byte v[0:1], v4, off
.LBB505_124:
	s_branch .LBB505_43
.LBB505_125:
	s_and_b32 s16, 0xffff, s20
	s_cmp_lt_i32 s16, 5
	s_mov_b64 s[14:15], -1
	s_cbranch_scc1 .LBB505_146
; %bb.126:
	s_cmp_lt_i32 s16, 8
	s_cbranch_scc1 .LBB505_136
; %bb.127:
	s_cmp_lt_i32 s16, 9
	s_cbranch_scc1 .LBB505_133
; %bb.128:
	s_cmp_gt_i32 s16, 9
	s_cbranch_scc0 .LBB505_130
; %bb.129:
	v_cvt_f64_f32_e32 v[4:5], v2
	v_cvt_f64_f32_e32 v[6:7], v3
	global_store_dwordx4 v[0:1], v[4:7], off
	s_mov_b64 s[14:15], 0
.LBB505_130:
	s_andn2_b64 vcc, exec, s[14:15]
	s_cbranch_vccnz .LBB505_132
; %bb.131:
	global_store_dwordx2 v[0:1], v[2:3], off
.LBB505_132:
	s_mov_b64 s[14:15], 0
.LBB505_133:
	s_andn2_b64 vcc, exec, s[14:15]
	s_cbranch_vccnz .LBB505_135
; %bb.134:
	v_cvt_f16_f32_e32 v4, v2
	v_cvt_f16_f32_sdwa v3, v3 dst_sel:WORD_1 dst_unused:UNUSED_PAD src0_sel:DWORD
	s_nop 0
	v_or_b32_e32 v3, v3, v4
	global_store_dword v[0:1], v3, off
.LBB505_135:
	s_mov_b64 s[14:15], 0
.LBB505_136:
	s_andn2_b64 vcc, exec, s[14:15]
	s_cbranch_vccnz .LBB505_145
; %bb.137:
	s_cmp_lt_i32 s16, 6
	s_mov_b64 s[14:15], -1
	s_cbranch_scc1 .LBB505_143
; %bb.138:
	s_cmp_gt_i32 s16, 6
	s_cbranch_scc0 .LBB505_140
; %bb.139:
	v_cvt_f64_f32_e32 v[4:5], v2
	global_store_dwordx2 v[0:1], v[4:5], off
	s_mov_b64 s[14:15], 0
.LBB505_140:
	s_andn2_b64 vcc, exec, s[14:15]
	s_cbranch_vccnz .LBB505_142
; %bb.141:
	global_store_dword v[0:1], v2, off
.LBB505_142:
	s_mov_b64 s[14:15], 0
.LBB505_143:
	s_andn2_b64 vcc, exec, s[14:15]
	s_cbranch_vccnz .LBB505_145
; %bb.144:
	v_cvt_f16_f32_e32 v3, v2
	global_store_short v[0:1], v3, off
.LBB505_145:
	s_mov_b64 s[14:15], 0
.LBB505_146:
	s_andn2_b64 vcc, exec, s[14:15]
	s_cbranch_vccnz .LBB505_162
; %bb.147:
	s_cmp_lt_i32 s16, 2
	s_mov_b64 s[14:15], -1
	s_cbranch_scc1 .LBB505_157
; %bb.148:
	s_cmp_lt_i32 s16, 3
	s_cbranch_scc1 .LBB505_154
; %bb.149:
	s_cmp_gt_i32 s16, 3
	s_cbranch_scc0 .LBB505_151
; %bb.150:
	v_trunc_f32_e32 v3, v2
	s_mov_b32 s14, 0x2f800000
	v_mul_f32_e64 v4, |v3|, s14
	v_floor_f32_e32 v4, v4
	s_mov_b32 s14, 0xcf800000
	v_cvt_u32_f32_e32 v5, v4
	v_fma_f32 v4, v4, s14, |v3|
	v_cvt_u32_f32_e32 v4, v4
	v_ashrrev_i32_e32 v3, 31, v3
	v_xor_b32_e32 v5, v5, v3
	s_mov_b64 s[14:15], 0
	v_xor_b32_e32 v4, v4, v3
	v_sub_co_u32_e32 v4, vcc, v4, v3
	s_nop 1
	v_subb_co_u32_e32 v5, vcc, v5, v3, vcc
	global_store_dwordx2 v[0:1], v[4:5], off
.LBB505_151:
	s_andn2_b64 vcc, exec, s[14:15]
	s_cbranch_vccnz .LBB505_153
; %bb.152:
	v_cvt_i32_f32_e32 v3, v2
	global_store_dword v[0:1], v3, off
.LBB505_153:
	s_mov_b64 s[14:15], 0
.LBB505_154:
	s_andn2_b64 vcc, exec, s[14:15]
	s_cbranch_vccnz .LBB505_156
; %bb.155:
	v_cvt_i32_f32_e32 v3, v2
	global_store_short v[0:1], v3, off
.LBB505_156:
	s_mov_b64 s[14:15], 0
.LBB505_157:
	s_andn2_b64 vcc, exec, s[14:15]
	s_cbranch_vccnz .LBB505_162
; %bb.158:
	s_cmp_gt_i32 s16, 0
	s_mov_b64 s[14:15], -1
	s_cbranch_scc0 .LBB505_160
; %bb.159:
	v_cvt_i32_f32_e32 v3, v2
	s_mov_b64 s[14:15], 0
	global_store_byte v[0:1], v3, off
.LBB505_160:
	s_andn2_b64 vcc, exec, s[14:15]
	s_cbranch_vccnz .LBB505_162
; %bb.161:
	v_trunc_f32_e32 v2, v2
	s_mov_b32 s14, 0x2f800000
	v_mul_f32_e64 v3, |v2|, s14
	v_floor_f32_e32 v3, v3
	s_mov_b32 s14, 0xcf800000
	v_fma_f32 v3, v3, s14, |v2|
	v_cvt_u32_f32_e32 v3, v3
	v_ashrrev_i32_e32 v2, 31, v2
	v_xor_b32_e32 v3, v3, v2
	v_sub_u32_e32 v2, v3, v2
	global_store_byte v[0:1], v2, off
.LBB505_162:
.LBB505_163:
	v_add_u32_e32 v12, 0x80, v12
	s_mov_b64 s[14:15], -1
	s_branch .LBB505_278
.LBB505_164:
	s_mov_b64 s[12:13], -1
                                        ; implicit-def: $vgpr4
.LBB505_165:
	v_mov_b32_e32 v5, 0
.LBB505_166:
	s_mov_b64 s[14:15], 0
.LBB505_167:
	s_and_b64 vcc, exec, s[14:15]
	s_cbranch_vccz .LBB505_172
; %bb.168:
	s_cmp_eq_u32 s18, 29
	s_cbranch_scc0 .LBB505_170
; %bb.169:
	global_load_dwordx2 v[4:5], v[2:3], off
	s_mov_b64 s[2:3], -1
	s_mov_b64 s[12:13], 0
	s_waitcnt vmcnt(0)
	v_ffbh_u32_e32 v1, v5
	v_min_u32_e32 v1, 32, v1
	v_lshlrev_b64 v[4:5], v1, v[4:5]
	v_min_u32_e32 v4, 1, v4
	v_or_b32_e32 v4, v5, v4
	v_cvt_f32_u32_e32 v4, v4
	v_sub_u32_e32 v1, 32, v1
	v_ldexp_f32 v4, v4, v1
	s_branch .LBB505_171
.LBB505_170:
	s_mov_b64 s[12:13], -1
                                        ; implicit-def: $vgpr4
.LBB505_171:
	v_mov_b32_e32 v5, 0
.LBB505_172:
	s_mov_b64 s[14:15], 0
.LBB505_173:
	s_and_b64 vcc, exec, s[14:15]
	s_cbranch_vccz .LBB505_191
; %bb.174:
	s_cmp_lt_i32 s18, 27
	s_cbranch_scc1 .LBB505_177
; %bb.175:
	s_cmp_gt_i32 s18, 27
	s_cbranch_scc0 .LBB505_178
; %bb.176:
	global_load_dword v1, v[2:3], off
	s_mov_b64 s[2:3], 0
	s_waitcnt vmcnt(0)
	v_cvt_f32_u32_e32 v4, v1
	s_branch .LBB505_179
.LBB505_177:
	s_mov_b64 s[2:3], -1
                                        ; implicit-def: $vgpr4
	s_branch .LBB505_182
.LBB505_178:
	s_mov_b64 s[2:3], -1
                                        ; implicit-def: $vgpr4
.LBB505_179:
	s_andn2_b64 vcc, exec, s[2:3]
	s_cbranch_vccnz .LBB505_181
; %bb.180:
	global_load_ushort v1, v[2:3], off
	s_waitcnt vmcnt(0)
	v_cvt_f32_u32_e32 v4, v1
.LBB505_181:
	s_mov_b64 s[2:3], 0
.LBB505_182:
	s_andn2_b64 vcc, exec, s[2:3]
	s_cbranch_vccnz .LBB505_190
; %bb.183:
	global_load_ubyte v1, v[2:3], off
	s_movk_i32 s2, 0x7f
	s_waitcnt vmcnt(0)
	v_cmp_lt_i16_e32 vcc, s2, v1
	s_mov_b64 s[2:3], 0
	s_and_saveexec_b64 s[14:15], vcc
	s_xor_b64 s[14:15], exec, s[14:15]
	s_cbranch_execz .LBB505_203
; %bb.184:
	s_movk_i32 s2, 0x80
	v_cmp_eq_u16_e32 vcc, s2, v1
	s_mov_b64 s[2:3], -1
	s_and_saveexec_b64 s[16:17], vcc
; %bb.185:
	s_xor_b64 s[2:3], exec, -1
; %bb.186:
	s_or_b64 exec, exec, s[16:17]
	s_and_b64 s[2:3], s[2:3], exec
	s_or_saveexec_b64 s[14:15], s[14:15]
	v_mov_b32_e32 v4, 0x7f800001
	s_xor_b64 exec, exec, s[14:15]
	s_cbranch_execnz .LBB505_204
.LBB505_187:
	s_or_b64 exec, exec, s[14:15]
	s_and_saveexec_b64 s[14:15], s[2:3]
	s_cbranch_execz .LBB505_189
.LBB505_188:
	v_lshlrev_b32_e32 v4, 24, v1
	v_and_b32_e32 v1, 0xffff, v1
	v_and_b32_e32 v5, 7, v1
	v_ffbh_u32_e32 v7, v5
	v_min_u32_e32 v7, 32, v7
	v_subrev_u32_e32 v8, 28, v7
	v_bfe_u32 v6, v1, 3, 4
	v_lshlrev_b32_e32 v1, v8, v1
	v_sub_u32_e32 v7, 29, v7
	v_and_b32_e32 v1, 7, v1
	v_cmp_eq_u32_e32 vcc, 0, v6
	v_and_b32_e32 v4, 0x80000000, v4
	s_nop 0
	v_cndmask_b32_e32 v6, v6, v7, vcc
	v_cndmask_b32_e32 v1, v5, v1, vcc
	v_mov_b32_e32 v5, 0x3b800000
	v_lshlrev_b32_e32 v1, 20, v1
	v_lshl_add_u32 v5, v6, 23, v5
	v_or3_b32 v4, v4, v5, v1
.LBB505_189:
	s_or_b64 exec, exec, s[14:15]
.LBB505_190:
	s_mov_b64 s[2:3], -1
	v_mov_b32_e32 v5, 0
.LBB505_191:
	s_branch .LBB505_226
.LBB505_192:
	s_cmp_gt_i32 s18, 22
	s_cbranch_scc0 .LBB505_202
; %bb.193:
	s_cmp_lt_i32 s18, 24
	s_cbranch_scc1 .LBB505_205
; %bb.194:
	s_cmp_gt_i32 s18, 24
	s_cbranch_scc0 .LBB505_206
; %bb.195:
	global_load_ubyte v1, v[2:3], off
	s_movk_i32 s2, 0x7f
	s_waitcnt vmcnt(0)
	v_cmp_lt_i16_e32 vcc, s2, v1
	s_mov_b64 s[2:3], 0
	s_and_saveexec_b64 s[14:15], vcc
	s_xor_b64 s[14:15], exec, s[14:15]
	s_cbranch_execz .LBB505_217
; %bb.196:
	s_movk_i32 s2, 0x80
	v_cmp_eq_u16_e32 vcc, s2, v1
	s_mov_b64 s[2:3], -1
	s_and_saveexec_b64 s[16:17], vcc
; %bb.197:
	s_xor_b64 s[2:3], exec, -1
; %bb.198:
	s_or_b64 exec, exec, s[16:17]
	s_and_b64 s[2:3], s[2:3], exec
	s_or_saveexec_b64 s[14:15], s[14:15]
	v_mov_b32_e32 v4, 0x7f800001
	s_xor_b64 exec, exec, s[14:15]
	s_cbranch_execnz .LBB505_218
.LBB505_199:
	s_or_b64 exec, exec, s[14:15]
	s_and_saveexec_b64 s[14:15], s[2:3]
	s_cbranch_execz .LBB505_201
.LBB505_200:
	v_lshlrev_b32_e32 v4, 24, v1
	v_and_b32_e32 v1, 0xffff, v1
	v_and_b32_e32 v5, 3, v1
	v_ffbh_u32_e32 v7, v5
	v_min_u32_e32 v7, 32, v7
	v_subrev_u32_e32 v8, 29, v7
	v_bfe_u32 v6, v1, 2, 5
	v_lshlrev_b32_e32 v1, v8, v1
	v_sub_u32_e32 v7, 30, v7
	v_and_b32_e32 v1, 3, v1
	v_cmp_eq_u32_e32 vcc, 0, v6
	v_and_b32_e32 v4, 0x80000000, v4
	s_nop 0
	v_cndmask_b32_e32 v6, v6, v7, vcc
	v_cndmask_b32_e32 v1, v5, v1, vcc
	v_mov_b32_e32 v5, 0x37800000
	v_lshlrev_b32_e32 v1, 21, v1
	v_lshl_add_u32 v5, v6, 23, v5
	v_or3_b32 v4, v4, v5, v1
.LBB505_201:
	s_or_b64 exec, exec, s[14:15]
	s_mov_b64 s[2:3], 0
	s_branch .LBB505_207
.LBB505_202:
                                        ; implicit-def: $vgpr4
	s_branch .LBB505_213
.LBB505_203:
	s_or_saveexec_b64 s[14:15], s[14:15]
	v_mov_b32_e32 v4, 0x7f800001
	s_xor_b64 exec, exec, s[14:15]
	s_cbranch_execz .LBB505_187
.LBB505_204:
	v_cmp_ne_u16_e32 vcc, 0, v1
	s_andn2_b64 s[2:3], s[2:3], exec
	s_and_b64 s[16:17], vcc, exec
	v_mov_b32_e32 v4, 0
	s_or_b64 s[2:3], s[2:3], s[16:17]
	s_or_b64 exec, exec, s[14:15]
	s_and_saveexec_b64 s[14:15], s[2:3]
	s_cbranch_execnz .LBB505_188
	s_branch .LBB505_189
.LBB505_205:
	s_mov_b64 s[2:3], -1
                                        ; implicit-def: $vgpr4
	s_branch .LBB505_210
.LBB505_206:
	s_mov_b64 s[2:3], -1
                                        ; implicit-def: $vgpr4
.LBB505_207:
	s_and_b64 vcc, exec, s[2:3]
	s_cbranch_vccz .LBB505_209
; %bb.208:
	global_load_ubyte v1, v[2:3], off
	s_mov_b32 s2, 0x7f800000
	s_waitcnt vmcnt(0)
	v_lshlrev_b32_e32 v1, 24, v1
	v_and_b32_e32 v4, 0x7f000000, v1
	v_ffbh_u32_e32 v5, v4
	v_min_u32_e32 v5, 32, v5
	v_sub_u32_e64 v5, v5, 4 clamp
	v_lshlrev_b32_e32 v7, v5, v4
	v_lshlrev_b32_e32 v5, 23, v5
	v_lshrrev_b32_e32 v7, 4, v7
	v_add_u32_e32 v6, 0x1000000, v4
	v_sub_u32_e32 v5, v7, v5
	v_ashrrev_i32_e32 v6, 8, v6
	v_add_u32_e32 v5, 0x3c000000, v5
	v_and_or_b32 v5, v6, s2, v5
	v_cmp_ne_u32_e32 vcc, 0, v4
	s_brev_b32 s2, 1
	s_nop 0
	v_cndmask_b32_e32 v4, 0, v5, vcc
	v_and_or_b32 v4, v1, s2, v4
.LBB505_209:
	s_mov_b64 s[2:3], 0
.LBB505_210:
	s_andn2_b64 vcc, exec, s[2:3]
	s_cbranch_vccnz .LBB505_212
; %bb.211:
	global_load_ubyte v1, v[2:3], off
	s_movk_i32 s2, 0x7f00
	s_brev_b32 s3, 16
	s_waitcnt vmcnt(0)
	v_lshlrev_b16_e32 v4, 8, v1
	v_lshlrev_b32_e32 v1, 25, v1
	v_lshrrev_b32_e32 v5, 4, v1
	v_and_or_b32 v6, v4, s2, 0.5
	v_or_b32_e32 v5, 0x70000000, v5
	v_add_f32_e32 v6, -0.5, v6
	v_mul_f32_e32 v5, 0x7800000, v5
	v_cmp_gt_u32_e32 vcc, s3, v1
	v_bfe_i32 v4, v4, 0, 16
	s_brev_b32 s2, 1
	v_cndmask_b32_e32 v1, v5, v6, vcc
	v_and_or_b32 v4, v4, s2, v1
.LBB505_212:
	s_mov_b64 s[2:3], -1
	s_cbranch_execnz .LBB505_225
.LBB505_213:
	s_cmp_gt_i32 s18, 14
	s_cbranch_scc0 .LBB505_216
; %bb.214:
	s_cmp_eq_u32 s18, 15
	s_cbranch_scc0 .LBB505_219
; %bb.215:
	global_load_ushort v1, v[2:3], off
	s_mov_b64 s[2:3], -1
	s_mov_b64 s[12:13], 0
	s_waitcnt vmcnt(0)
	v_lshlrev_b32_e32 v4, 16, v1
	s_branch .LBB505_220
.LBB505_216:
	s_mov_b64 s[14:15], -1
                                        ; implicit-def: $vgpr4
	s_branch .LBB505_221
.LBB505_217:
	s_or_saveexec_b64 s[14:15], s[14:15]
	v_mov_b32_e32 v4, 0x7f800001
	s_xor_b64 exec, exec, s[14:15]
	s_cbranch_execz .LBB505_199
.LBB505_218:
	v_cmp_ne_u16_e32 vcc, 0, v1
	s_andn2_b64 s[2:3], s[2:3], exec
	s_and_b64 s[16:17], vcc, exec
	v_mov_b32_e32 v4, 0
	s_or_b64 s[2:3], s[2:3], s[16:17]
	s_or_b64 exec, exec, s[14:15]
	s_and_saveexec_b64 s[14:15], s[2:3]
	s_cbranch_execnz .LBB505_200
	s_branch .LBB505_201
.LBB505_219:
	s_mov_b64 s[12:13], -1
                                        ; implicit-def: $vgpr4
.LBB505_220:
	s_mov_b64 s[14:15], 0
.LBB505_221:
	s_and_b64 vcc, exec, s[14:15]
	s_cbranch_vccz .LBB505_225
; %bb.222:
	s_cmp_eq_u32 s18, 11
	s_cbranch_scc0 .LBB505_224
; %bb.223:
	global_load_ubyte v1, v[2:3], off
	s_mov_b64 s[2:3], -1
	s_mov_b64 s[12:13], 0
	v_mov_b32_e32 v5, 0
	s_waitcnt vmcnt(0)
	v_cmp_ne_u16_e32 vcc, 0, v1
	s_nop 1
	v_cndmask_b32_e64 v4, 0, 1.0, vcc
	s_branch .LBB505_226
.LBB505_224:
	s_mov_b64 s[12:13], -1
                                        ; implicit-def: $vgpr4
.LBB505_225:
	v_mov_b32_e32 v5, 0
.LBB505_226:
	s_branch .LBB505_25
.LBB505_227:
	s_cmp_lt_i32 s18, 5
	s_cbranch_scc1 .LBB505_232
; %bb.228:
	s_cmp_lt_i32 s18, 8
	s_cbranch_scc1 .LBB505_233
; %bb.229:
	;; [unrolled: 3-line block ×3, first 2 shown]
	s_cmp_gt_i32 s18, 9
	s_cbranch_scc0 .LBB505_235
; %bb.231:
	global_load_dwordx4 v[4:7], v[2:3], off
	s_mov_b64 s[2:3], 0
	s_waitcnt vmcnt(0)
	v_cvt_f32_f64_e32 v4, v[4:5]
	v_cvt_f32_f64_e32 v5, v[6:7]
	s_branch .LBB505_236
.LBB505_232:
                                        ; implicit-def: $vgpr5
	s_branch .LBB505_255
.LBB505_233:
	s_mov_b64 s[2:3], -1
                                        ; implicit-def: $vgpr5
	s_branch .LBB505_242
.LBB505_234:
	s_mov_b64 s[2:3], -1
                                        ; implicit-def: $vgpr5
	s_branch .LBB505_239
.LBB505_235:
	s_mov_b64 s[2:3], -1
                                        ; implicit-def: $vgpr5
.LBB505_236:
	s_andn2_b64 vcc, exec, s[2:3]
	s_cbranch_vccnz .LBB505_238
; %bb.237:
	global_load_dwordx2 v[4:5], v[2:3], off
.LBB505_238:
	s_mov_b64 s[2:3], 0
.LBB505_239:
	s_andn2_b64 vcc, exec, s[2:3]
	s_cbranch_vccnz .LBB505_241
; %bb.240:
	global_load_dword v1, v[2:3], off
	s_waitcnt vmcnt(0)
	v_cvt_f32_f16_sdwa v5, v1 dst_sel:DWORD dst_unused:UNUSED_PAD src0_sel:WORD_1
	v_cvt_f32_f16_e32 v4, v1
.LBB505_241:
	s_mov_b64 s[2:3], 0
.LBB505_242:
	s_andn2_b64 vcc, exec, s[2:3]
	s_cbranch_vccnz .LBB505_254
; %bb.243:
	s_cmp_lt_i32 s18, 6
	s_cbranch_scc1 .LBB505_246
; %bb.244:
	s_cmp_gt_i32 s18, 6
	s_cbranch_scc0 .LBB505_247
; %bb.245:
	global_load_dwordx2 v[4:5], v[2:3], off
	s_mov_b64 s[2:3], 0
	s_waitcnt vmcnt(0)
	v_cvt_f32_f64_e32 v4, v[4:5]
	s_branch .LBB505_248
.LBB505_246:
	s_mov_b64 s[2:3], -1
                                        ; implicit-def: $vgpr4
	s_branch .LBB505_251
.LBB505_247:
	s_mov_b64 s[2:3], -1
                                        ; implicit-def: $vgpr4
.LBB505_248:
	s_andn2_b64 vcc, exec, s[2:3]
	s_cbranch_vccnz .LBB505_250
; %bb.249:
	global_load_dword v4, v[2:3], off
.LBB505_250:
	s_mov_b64 s[2:3], 0
.LBB505_251:
	s_andn2_b64 vcc, exec, s[2:3]
	s_cbranch_vccnz .LBB505_253
; %bb.252:
	global_load_ushort v1, v[2:3], off
	s_waitcnt vmcnt(0)
	v_cvt_f32_f16_e32 v4, v1
.LBB505_253:
	s_waitcnt vmcnt(0)
	v_mov_b32_e32 v5, 0
.LBB505_254:
	s_cbranch_execnz .LBB505_275
.LBB505_255:
	s_cmp_lt_i32 s18, 2
	s_cbranch_scc1 .LBB505_259
; %bb.256:
	s_cmp_lt_i32 s18, 3
	s_cbranch_scc1 .LBB505_260
; %bb.257:
	s_cmp_gt_i32 s18, 3
	s_cbranch_scc0 .LBB505_261
; %bb.258:
	global_load_dwordx2 v[4:5], v[2:3], off
	s_mov_b64 s[2:3], 0
	s_waitcnt vmcnt(0)
	v_xor_b32_e32 v6, v4, v5
	v_ffbh_i32_e32 v1, v5
	v_ashrrev_i32_e32 v6, 31, v6
	v_add_u32_e32 v1, -1, v1
	v_add_u32_e32 v6, 32, v6
	v_min_u32_e32 v1, v1, v6
	v_lshlrev_b64 v[4:5], v1, v[4:5]
	v_min_u32_e32 v4, 1, v4
	v_or_b32_e32 v4, v5, v4
	v_cvt_f32_i32_e32 v4, v4
	v_sub_u32_e32 v1, 32, v1
	v_ldexp_f32 v4, v4, v1
	s_branch .LBB505_262
.LBB505_259:
	s_mov_b64 s[2:3], -1
                                        ; implicit-def: $vgpr4
	s_branch .LBB505_268
.LBB505_260:
	s_mov_b64 s[2:3], -1
                                        ; implicit-def: $vgpr4
	s_branch .LBB505_265
.LBB505_261:
	s_mov_b64 s[2:3], -1
                                        ; implicit-def: $vgpr4
.LBB505_262:
	s_andn2_b64 vcc, exec, s[2:3]
	s_cbranch_vccnz .LBB505_264
; %bb.263:
	global_load_dword v1, v[2:3], off
	s_waitcnt vmcnt(0)
	v_cvt_f32_i32_e32 v4, v1
.LBB505_264:
	s_mov_b64 s[2:3], 0
.LBB505_265:
	s_andn2_b64 vcc, exec, s[2:3]
	s_cbranch_vccnz .LBB505_267
; %bb.266:
	global_load_sshort v1, v[2:3], off
	s_waitcnt vmcnt(0)
	v_cvt_f32_i32_e32 v4, v1
.LBB505_267:
	s_mov_b64 s[2:3], 0
.LBB505_268:
	s_andn2_b64 vcc, exec, s[2:3]
	s_cbranch_vccnz .LBB505_274
; %bb.269:
	s_cmp_gt_i32 s18, 0
	s_cbranch_scc0 .LBB505_271
; %bb.270:
	global_load_sbyte v1, v[2:3], off
	s_mov_b64 s[2:3], 0
	s_waitcnt vmcnt(0)
	v_cvt_f32_i32_e32 v4, v1
	s_branch .LBB505_272
.LBB505_271:
	s_mov_b64 s[2:3], -1
                                        ; implicit-def: $vgpr4
.LBB505_272:
	s_andn2_b64 vcc, exec, s[2:3]
	s_cbranch_vccnz .LBB505_274
; %bb.273:
	global_load_ubyte v1, v[2:3], off
	s_waitcnt vmcnt(0)
	v_cvt_f32_ubyte0_e32 v4, v1
.LBB505_274:
	s_waitcnt vmcnt(0)
	v_mov_b32_e32 v5, 0
.LBB505_275:
	s_branch .LBB505_26
.LBB505_276:
	s_mov_b64 s[2:3], 0
.LBB505_277:
	s_mov_b64 s[14:15], 0
                                        ; implicit-def: $vgpr12
.LBB505_278:
	s_and_b64 s[58:59], s[2:3], exec
	s_and_b64 s[60:61], s[12:13], exec
	s_orn2_b64 s[12:13], s[14:15], exec
.LBB505_279:
	s_or_b64 exec, exec, s[62:63]
	s_mov_b64 s[14:15], 0
	s_mov_b64 s[2:3], 0
                                        ; implicit-def: $vgpr2_vgpr3
                                        ; implicit-def: $vgpr0
                                        ; implicit-def: $vgpr7
	s_and_saveexec_b64 s[62:63], s[12:13]
	s_cbranch_execz .LBB505_287
; %bb.280:
	v_cmp_gt_i32_e32 vcc, s74, v12
	s_mov_b64 s[2:3], -1
	s_mov_b64 s[64:65], s[60:61]
	s_mov_b64 s[66:67], s[58:59]
	s_and_saveexec_b64 s[68:69], vcc
	s_cbranch_execz .LBB505_569
; %bb.281:
	s_andn2_b64 vcc, exec, s[46:47]
	s_cbranch_vccnz .LBB505_290
; %bb.282:
	s_andn2_b64 vcc, exec, s[56:57]
	s_cbranch_vccnz .LBB505_291
; %bb.283:
	s_add_i32 s67, s78, 1
	s_cmp_eq_u32 s76, 2
	s_cbranch_scc1 .LBB505_292
; %bb.284:
	s_and_b32 s66, s67, 28
	s_mov_b32 s70, 0
	v_mov_b32_e32 v0, 0
	v_mov_b32_e32 v2, 0
	s_mov_b64 s[2:3], s[34:35]
	s_mov_b64 s[64:65], s[54:55]
	s_waitcnt vmcnt(0)
	v_mov_b32_e32 v4, v12
.LBB505_285:                            ; =>This Inner Loop Header: Depth=1
	s_load_dwordx8 s[20:27], s[2:3], 0x4
	s_load_dwordx4 s[40:43], s[2:3], 0x24
	s_load_dwordx8 s[12:19], s[64:65], 0x0
	s_add_u32 s2, s2, 48
	s_addc_u32 s3, s3, 0
	s_waitcnt lgkmcnt(0)
	v_mul_hi_u32 v1, s21, v4
	v_add_u32_e32 v1, v4, v1
	v_lshrrev_b32_e32 v1, s22, v1
	v_mul_lo_u32 v3, v1, s20
	v_mul_hi_u32 v5, s24, v1
	v_sub_u32_e32 v3, v4, v3
	v_add_u32_e32 v4, v1, v5
	v_lshrrev_b32_e32 v4, s25, v4
	v_mul_lo_u32 v6, v4, s23
	v_mul_hi_u32 v7, s27, v4
	v_sub_u32_e32 v1, v1, v6
	v_add_u32_e32 v6, v4, v7
	v_mul_lo_u32 v5, v3, s13
	v_mul_lo_u32 v3, v3, s12
	;; [unrolled: 1-line block ×4, first 2 shown]
	v_lshrrev_b32_e32 v6, s40, v6
	v_add3_u32 v0, v3, v0, v1
	v_mul_hi_u32 v3, s42, v6
	v_add3_u32 v1, v5, v2, v7
	v_mul_lo_u32 v2, v6, s26
	v_add_u32_e32 v3, v6, v3
	v_sub_u32_e32 v2, v4, v2
	v_lshrrev_b32_e32 v4, s43, v3
	s_add_i32 s70, s70, 4
	v_mul_lo_u32 v3, v4, s41
	s_add_u32 s64, s64, 32
	v_sub_u32_e32 v3, v6, v3
	s_addc_u32 s65, s65, 0
	v_mul_lo_u32 v5, v2, s16
	v_mul_lo_u32 v2, v2, s17
	;; [unrolled: 1-line block ×4, first 2 shown]
	s_cmp_eq_u32 s66, s70
	v_add3_u32 v2, v2, v1, v3
	v_add3_u32 v0, v5, v0, v6
	s_cbranch_scc0 .LBB505_285
; %bb.286:
	v_mov_b32_e32 v1, v2
	s_branch .LBB505_293
.LBB505_287:
	s_or_b64 exec, exec, s[62:63]
	s_mov_b64 s[6:7], 0
	s_and_saveexec_b64 s[12:13], s[60:61]
	s_cbranch_execnz .LBB505_963
.LBB505_288:
	s_or_b64 exec, exec, s[12:13]
	s_and_saveexec_b64 s[12:13], s[66:67]
	s_xor_b64 s[12:13], exec, s[12:13]
	s_cbranch_execz .LBB505_964
.LBB505_289:
	global_load_ubyte v1, v[2:3], off
	v_mov_b32_e32 v7, 0
	s_or_b64 s[2:3], s[2:3], exec
	s_waitcnt vmcnt(0)
	v_cmp_ne_u16_e32 vcc, 0, v1
	s_nop 1
	v_cndmask_b32_e64 v6, 0, 1.0, vcc
	s_or_b64 exec, exec, s[12:13]
	s_and_saveexec_b64 s[12:13], s[14:15]
	s_cbranch_execz .LBB505_1012
	s_branch .LBB505_965
.LBB505_290:
                                        ; implicit-def: $vgpr2
                                        ; implicit-def: $vgpr0
	s_andn2_b64 vcc, exec, s[2:3]
	s_cbranch_vccz .LBB505_297
	s_branch .LBB505_299
.LBB505_291:
	v_mov_b32_e32 v2, 0
	v_mov_b32_e32 v0, 0
	s_branch .LBB505_296
.LBB505_292:
	v_mov_b32_e32 v0, 0
	s_mov_b32 s66, 0
	v_mov_b32_e32 v1, v0
                                        ; implicit-def: $vgpr2
	s_waitcnt vmcnt(0)
	v_mov_b32_e32 v4, v12
.LBB505_293:
	s_and_b32 s14, s67, 3
	s_cmp_eq_u32 s14, 0
	s_cbranch_scc1 .LBB505_296
; %bb.294:
	s_lshl_b32 s2, s66, 3
	s_add_u32 s2, s34, s2
	s_addc_u32 s3, s35, 0
	s_add_u32 s2, s2, 0xc4
	s_addc_u32 s3, s3, 0
	s_mul_i32 s12, s66, 12
	s_add_u32 s12, s34, s12
	s_addc_u32 s13, s35, 0
.LBB505_295:                            ; =>This Inner Loop Header: Depth=1
	s_load_dwordx2 s[16:17], s[12:13], 0x4
	s_load_dword s15, s[12:13], 0xc
	s_load_dwordx2 s[18:19], s[2:3], 0x0
	v_mov_b32_e32 v2, v1
	s_add_u32 s12, s12, 12
	s_waitcnt lgkmcnt(0)
	v_mul_hi_u32 v1, s17, v4
	v_add_u32_e32 v1, v4, v1
	v_lshrrev_b32_e32 v1, s15, v1
	s_addc_u32 s13, s13, 0
	v_mul_lo_u32 v3, v1, s16
	s_add_u32 s2, s2, 8
	v_sub_u32_e32 v5, v4, v3
	s_addc_u32 s3, s3, 0
	s_add_i32 s14, s14, -1
	v_mov_b32_e32 v4, v1
	v_mad_u64_u32 v[2:3], s[16:17], v5, s19, v[2:3]
	v_mad_u64_u32 v[0:1], s[16:17], v5, s18, v[0:1]
	s_cmp_lg_u32 s14, 0
	v_mov_b32_e32 v1, v2
	s_cbranch_scc1 .LBB505_295
.LBB505_296:
	s_cbranch_execnz .LBB505_299
.LBB505_297:
	v_mul_hi_u32 v0, s29, v12
	v_add_u32_e32 v0, v12, v0
	v_lshrrev_b32_e32 v1, s30, v0
	v_mul_lo_u32 v0, v1, s28
	v_sub_u32_e32 v0, v12, v0
	v_mul_lo_u32 v2, v0, s37
	s_andn2_b64 vcc, exec, s[52:53]
	v_mul_lo_u32 v0, v0, s36
	s_cbranch_vccnz .LBB505_299
; %bb.298:
	v_mul_hi_u32 v3, s50, v1
	v_add_u32_e32 v3, v1, v3
	v_lshrrev_b32_e32 v3, s51, v3
	v_mul_lo_u32 v3, v3, s31
	v_sub_u32_e32 v3, v1, v3
	v_mad_u64_u32 v[0:1], s[2:3], v3, s38, v[0:1]
	v_mad_u64_u32 v[2:3], s[2:3], v3, s39, v[2:3]
.LBB505_299:
	v_mov_b32_e32 v3, 0
	s_and_b32 s18, 0xffff, s11
	s_cmp_lt_i32 s18, 11
	v_lshl_add_u64 v[2:3], s[6:7], 0, v[2:3]
	s_cbranch_scc1 .LBB505_306
; %bb.300:
	s_cmp_gt_i32 s18, 25
	s_cbranch_scc0 .LBB505_323
; %bb.301:
	s_cmp_gt_i32 s18, 28
	s_cbranch_scc0 .LBB505_325
	;; [unrolled: 3-line block ×4, first 2 shown]
; %bb.304:
	s_cmp_eq_u32 s18, 46
	s_mov_b64 s[14:15], 0
	s_cbranch_scc0 .LBB505_335
; %bb.305:
	global_load_dword v1, v[2:3], off
	s_mov_b64 s[2:3], -1
	s_mov_b64 s[12:13], 0
	s_waitcnt vmcnt(0)
	v_and_b32_e32 v5, 0xffff0000, v1
	v_lshlrev_b32_e32 v4, 16, v1
	s_branch .LBB505_336
.LBB505_306:
	s_mov_b64 s[2:3], 0
                                        ; implicit-def: $vgpr5
	s_mov_b64 s[12:13], s[60:61]
	s_cbranch_execnz .LBB505_516
.LBB505_307:
	s_andn2_b64 vcc, exec, s[2:3]
	s_cbranch_vccnz .LBB505_566
.LBB505_308:
	s_waitcnt vmcnt(0)
	v_cmp_o_f32_e32 vcc, v4, v4
	v_mov_b32_e32 v2, s8
	s_and_saveexec_b64 s[2:3], vcc
	s_cbranch_execz .LBB505_312
; %bb.309:
	s_mov_b32 s14, 0x7f800000
	v_cmp_neq_f32_e32 vcc, s14, v4
	v_mov_b32_e32 v2, s9
	s_and_saveexec_b64 s[14:15], vcc
; %bb.310:
	s_mov_b32 s16, 0xff800000
	v_mov_b32_e32 v1, s10
	v_cmp_eq_f32_e32 vcc, s16, v4
	s_nop 1
	v_cndmask_b32_e32 v2, v4, v1, vcc
; %bb.311:
	s_or_b64 exec, exec, s[14:15]
.LBB505_312:
	s_or_b64 exec, exec, s[2:3]
	v_cmp_o_f32_e32 vcc, v5, v5
	v_mov_b32_e32 v3, s8
	s_and_saveexec_b64 s[2:3], vcc
	s_cbranch_execz .LBB505_316
; %bb.313:
	s_mov_b32 s14, 0x7f800000
	v_cmp_neq_f32_e32 vcc, s14, v5
	v_mov_b32_e32 v3, s9
	s_and_saveexec_b64 s[14:15], vcc
; %bb.314:
	s_mov_b32 s16, 0xff800000
	v_mov_b32_e32 v1, s10
	v_cmp_eq_f32_e32 vcc, s16, v5
	s_nop 1
	v_cndmask_b32_e32 v3, v5, v1, vcc
; %bb.315:
	s_or_b64 exec, exec, s[14:15]
.LBB505_316:
	s_or_b64 exec, exec, s[2:3]
	v_mov_b32_e32 v1, 0
	s_and_b32 s20, s77, 0xff
	s_cmp_lt_i32 s20, 11
	v_lshl_add_u64 v[0:1], s[4:5], 0, v[0:1]
	s_cbranch_scc1 .LBB505_324
; %bb.317:
	s_and_b32 s21, 0xffff, s20
	s_cmp_gt_i32 s21, 25
	s_cbranch_scc0 .LBB505_326
; %bb.318:
	s_cmp_gt_i32 s21, 28
	s_cbranch_scc0 .LBB505_328
; %bb.319:
	;; [unrolled: 3-line block ×4, first 2 shown]
	s_mov_b64 s[16:17], 0
	s_mov_b64 s[2:3], -1
	s_cmp_eq_u32 s21, 46
	s_mov_b64 s[14:15], 0
	s_cbranch_scc0 .LBB505_340
; %bb.322:
	s_movk_i32 s2, 0x7fff
	v_bfe_u32 v5, v3, 16, 1
	v_add3_u32 v5, v3, v5, s2
	v_bfe_u32 v4, v2, 16, 1
	v_and_b32_e32 v5, 0xffff0000, v5
	v_mov_b32_e32 v6, 0x7fc00000
	v_cmp_o_f32_e32 vcc, v3, v3
	v_add3_u32 v4, v2, v4, s2
	s_mov_b64 s[14:15], -1
	v_cndmask_b32_e32 v5, v6, v5, vcc
	v_cmp_o_f32_e32 vcc, v2, v2
	v_mov_b32_e32 v6, 0x7fc0
	s_mov_b64 s[2:3], 0
	v_cndmask_b32_sdwa v4, v6, v4, vcc dst_sel:DWORD dst_unused:UNUSED_PAD src0_sel:DWORD src1_sel:WORD_1
	v_or_b32_e32 v4, v5, v4
	global_store_dword v[0:1], v4, off
	s_branch .LBB505_340
.LBB505_323:
	s_mov_b64 s[14:15], -1
	s_mov_b64 s[2:3], 0
	s_mov_b64 s[12:13], s[60:61]
                                        ; implicit-def: $vgpr5
	s_branch .LBB505_479
.LBB505_324:
	s_mov_b64 s[16:17], -1
	s_mov_b64 s[14:15], 0
	s_mov_b64 s[2:3], s[58:59]
	s_branch .LBB505_409
.LBB505_325:
	s_mov_b64 s[14:15], -1
	s_mov_b64 s[2:3], 0
	s_mov_b64 s[12:13], s[60:61]
                                        ; implicit-def: $vgpr5
	s_branch .LBB505_460
.LBB505_326:
	s_mov_b64 s[16:17], -1
	s_mov_b64 s[14:15], 0
	s_mov_b64 s[2:3], s[58:59]
	s_branch .LBB505_367
.LBB505_327:
	s_mov_b64 s[14:15], -1
	s_mov_b64 s[2:3], 0
	s_mov_b64 s[12:13], s[60:61]
                                        ; implicit-def: $vgpr5
	s_branch .LBB505_454
.LBB505_328:
	s_mov_b64 s[16:17], -1
	s_mov_b64 s[14:15], 0
	s_mov_b64 s[2:3], s[58:59]
	s_branch .LBB505_350
.LBB505_329:
	s_andn2_saveexec_b64 s[18:19], s[18:19]
	s_cbranch_execz .LBB505_77
.LBB505_330:
	s_mov_b32 s22, 0x46000000
	v_add_f32_e64 v4, |v2|, s22
	v_and_b32_e32 v4, 0xff, v4
	v_cmp_ne_u32_e32 vcc, 0, v4
	s_andn2_b64 s[16:17], s[16:17], exec
	s_and_b64 s[22:23], vcc, exec
	s_or_b64 s[16:17], s[16:17], s[22:23]
	s_or_b64 exec, exec, s[18:19]
	v_mov_b32_e32 v5, 0
	s_and_saveexec_b64 s[18:19], s[16:17]
	s_cbranch_execnz .LBB505_78
	s_branch .LBB505_79
.LBB505_331:
	s_mov_b64 s[14:15], -1
	s_mov_b64 s[2:3], 0
	s_mov_b64 s[12:13], s[60:61]
                                        ; implicit-def: $vgpr5
	s_branch .LBB505_336
.LBB505_332:
	s_mov_b64 s[16:17], -1
	s_mov_b64 s[14:15], 0
	s_mov_b64 s[2:3], s[58:59]
	s_branch .LBB505_346
.LBB505_333:
	s_andn2_saveexec_b64 s[18:19], s[18:19]
	s_cbranch_execz .LBB505_90
.LBB505_334:
	s_mov_b32 s22, 0x42800000
	v_add_f32_e64 v4, |v2|, s22
	v_and_b32_e32 v4, 0xff, v4
	v_cmp_ne_u32_e32 vcc, 0, v4
	s_andn2_b64 s[16:17], s[16:17], exec
	s_and_b64 s[22:23], vcc, exec
	s_or_b64 s[16:17], s[16:17], s[22:23]
	s_or_b64 exec, exec, s[18:19]
	v_mov_b32_e32 v5, 0
	s_and_saveexec_b64 s[18:19], s[16:17]
	s_cbranch_execnz .LBB505_91
	s_branch .LBB505_92
.LBB505_335:
	s_mov_b64 s[12:13], -1
                                        ; implicit-def: $vgpr5
	s_mov_b64 s[2:3], 0
.LBB505_336:
	s_and_b64 vcc, exec, s[14:15]
	s_cbranch_vccz .LBB505_453
; %bb.337:
	s_cmp_eq_u32 s18, 44
	s_cbranch_scc0 .LBB505_451
; %bb.338:
	global_load_ubyte v1, v[2:3], off
	s_movk_i32 s12, 0xff
	s_waitcnt vmcnt(1)
	v_mov_b32_e32 v4, 0x7f800001
	v_mov_b32_e32 v5, 0x400000
	s_mov_b64 s[2:3], -1
	s_waitcnt vmcnt(0)
	v_lshlrev_b32_e32 v6, 23, v1
	v_cmp_ne_u32_e32 vcc, s12, v1
	s_mov_b64 s[12:13], 0
	s_nop 0
	v_cndmask_b32_e32 v4, v4, v6, vcc
	v_cmp_ne_u32_e32 vcc, 0, v1
	s_nop 1
	v_cndmask_b32_e32 v4, v5, v4, vcc
	s_branch .LBB505_452
.LBB505_339:
	s_mov_b64 s[16:17], -1
	s_mov_b64 s[14:15], 0
	s_mov_b64 s[2:3], s[58:59]
.LBB505_340:
	s_and_b64 vcc, exec, s[16:17]
	s_cbranch_vccz .LBB505_345
; %bb.341:
	s_cmp_eq_u32 s21, 44
	s_mov_b64 s[2:3], -1
	s_cbranch_scc0 .LBB505_345
; %bb.342:
	v_bfe_u32 v4, v2, 23, 8
	s_movk_i32 s2, 0xff
	v_cmp_ne_u32_e32 vcc, s2, v4
	v_mov_b32_e32 v5, 0xff
	s_and_saveexec_b64 s[14:15], vcc
; %bb.343:
	s_mov_b32 s2, 0x3fffff
	v_and_b32_e32 v6, 0x400000, v2
	v_and_or_b32 v4, v2, s2, v4
	v_cmp_ne_u32_e32 vcc, 0, v6
	v_cmp_ne_u32_e64 s[2:3], 0, v4
	s_and_b64 s[2:3], vcc, s[2:3]
	v_lshrrev_b32_e32 v5, 23, v2
	v_cndmask_b32_e64 v4, 0, 1, s[2:3]
	v_add_u32_e32 v5, v5, v4
; %bb.344:
	s_or_b64 exec, exec, s[14:15]
	s_mov_b64 s[14:15], -1
	s_mov_b64 s[2:3], 0
	global_store_byte v[0:1], v5, off
.LBB505_345:
	s_mov_b64 s[16:17], 0
.LBB505_346:
	s_and_b64 vcc, exec, s[16:17]
	s_cbranch_vccz .LBB505_349
; %bb.347:
	s_cmp_eq_u32 s21, 29
	s_mov_b64 s[2:3], -1
	s_cbranch_scc0 .LBB505_349
; %bb.348:
	v_trunc_f32_e32 v4, v2
	v_mul_f32_e32 v5, 0x2f800000, v4
	v_floor_f32_e32 v6, v5
	v_fmamk_f32 v4, v6, 0xcf800000, v4
	v_cvt_u32_f32_e32 v5, v6
	v_cvt_u32_f32_e32 v4, v4
	s_mov_b64 s[14:15], -1
	s_mov_b64 s[2:3], 0
	s_mov_b64 s[16:17], 0
	global_store_dwordx2 v[0:1], v[4:5], off
	s_branch .LBB505_350
.LBB505_349:
	s_mov_b64 s[16:17], 0
.LBB505_350:
	s_and_b64 vcc, exec, s[16:17]
	s_cbranch_vccz .LBB505_366
; %bb.351:
	s_cmp_lt_i32 s21, 27
	s_mov_b64 s[14:15], -1
	s_cbranch_scc1 .LBB505_357
; %bb.352:
	v_cvt_u32_f32_e32 v4, v2
	s_cmp_gt_i32 s21, 27
	s_cbranch_scc0 .LBB505_354
; %bb.353:
	s_mov_b64 s[14:15], 0
	global_store_dword v[0:1], v4, off
.LBB505_354:
	s_andn2_b64 vcc, exec, s[14:15]
	s_cbranch_vccnz .LBB505_356
; %bb.355:
	global_store_short v[0:1], v4, off
.LBB505_356:
	s_mov_b64 s[14:15], 0
.LBB505_357:
	s_andn2_b64 vcc, exec, s[14:15]
	s_cbranch_vccnz .LBB505_365
; %bb.358:
	v_and_b32_e32 v4, 0x7fffffff, v2
	s_mov_b32 s14, 0x43800000
	v_cmp_gt_u32_e32 vcc, s14, v4
	v_mov_b32_e32 v5, 0x80
	s_and_saveexec_b64 s[14:15], vcc
	s_cbranch_execz .LBB505_364
; %bb.359:
	s_mov_b32 s16, 0x3bffffff
	v_cmp_lt_u32_e32 vcc, s16, v4
	s_mov_b64 s[16:17], 0
                                        ; implicit-def: $vgpr4
	s_and_saveexec_b64 s[18:19], vcc
	s_xor_b64 s[18:19], exec, s[18:19]
	s_cbranch_execz .LBB505_598
; %bb.360:
	v_bfe_u32 v4, v2, 20, 1
	s_mov_b32 s22, 0x487ffff
	v_add3_u32 v4, v2, v4, s22
	s_mov_b64 s[16:17], exec
	v_lshrrev_b32_e32 v4, 20, v4
	s_andn2_saveexec_b64 s[18:19], s[18:19]
	s_cbranch_execnz .LBB505_599
.LBB505_361:
	s_or_b64 exec, exec, s[18:19]
	v_mov_b32_e32 v5, 0
	s_and_saveexec_b64 s[18:19], s[16:17]
.LBB505_362:
	v_lshrrev_b32_e32 v5, 24, v2
	s_movk_i32 s16, 0x80
	v_and_or_b32 v5, v5, s16, v4
.LBB505_363:
	s_or_b64 exec, exec, s[18:19]
.LBB505_364:
	s_or_b64 exec, exec, s[14:15]
	global_store_byte v[0:1], v5, off
.LBB505_365:
	s_mov_b64 s[14:15], -1
.LBB505_366:
	s_mov_b64 s[16:17], 0
.LBB505_367:
	s_and_b64 vcc, exec, s[16:17]
	s_cbranch_vccz .LBB505_408
; %bb.368:
	s_cmp_gt_i32 s21, 22
	s_mov_b64 s[16:17], -1
	s_cbranch_scc0 .LBB505_400
; %bb.369:
	s_cmp_lt_i32 s21, 24
	s_mov_b64 s[14:15], -1
	s_cbranch_scc1 .LBB505_389
; %bb.370:
	s_cmp_gt_i32 s21, 24
	s_cbranch_scc0 .LBB505_378
; %bb.371:
	v_and_b32_e32 v4, 0x7fffffff, v2
	s_mov_b32 s14, 0x47800000
	v_cmp_gt_u32_e32 vcc, s14, v4
	v_mov_b32_e32 v5, 0x80
	s_and_saveexec_b64 s[14:15], vcc
	s_cbranch_execz .LBB505_377
; %bb.372:
	s_mov_b32 s16, 0x37ffffff
	v_cmp_lt_u32_e32 vcc, s16, v4
	s_mov_b64 s[16:17], 0
                                        ; implicit-def: $vgpr4
	s_and_saveexec_b64 s[18:19], vcc
	s_xor_b64 s[18:19], exec, s[18:19]
	s_cbranch_execz .LBB505_601
; %bb.373:
	v_bfe_u32 v4, v2, 21, 1
	s_mov_b32 s22, 0x88fffff
	v_add3_u32 v4, v2, v4, s22
	s_mov_b64 s[16:17], exec
	v_lshrrev_b32_e32 v4, 21, v4
	s_andn2_saveexec_b64 s[18:19], s[18:19]
	s_cbranch_execnz .LBB505_602
.LBB505_374:
	s_or_b64 exec, exec, s[18:19]
	v_mov_b32_e32 v5, 0
	s_and_saveexec_b64 s[18:19], s[16:17]
.LBB505_375:
	v_lshrrev_b32_e32 v5, 24, v2
	s_movk_i32 s16, 0x80
	v_and_or_b32 v5, v5, s16, v4
.LBB505_376:
	s_or_b64 exec, exec, s[18:19]
.LBB505_377:
	s_or_b64 exec, exec, s[14:15]
	s_mov_b64 s[14:15], 0
	global_store_byte v[0:1], v5, off
.LBB505_378:
	s_and_b64 vcc, exec, s[14:15]
	s_cbranch_vccz .LBB505_388
; %bb.379:
	v_and_b32_e32 v5, 0x7fffffff, v2
	s_mov_b32 s14, 0x43f00000
	v_cmp_gt_u32_e32 vcc, s14, v5
                                        ; implicit-def: $vgpr4
	s_and_saveexec_b64 s[14:15], vcc
	s_xor_b64 s[14:15], exec, s[14:15]
	s_cbranch_execz .LBB505_385
; %bb.380:
	s_mov_b32 s16, 0x3c7fffff
	v_cmp_lt_u32_e32 vcc, s16, v5
                                        ; implicit-def: $vgpr4
	s_and_saveexec_b64 s[16:17], vcc
	s_xor_b64 s[16:17], exec, s[16:17]
; %bb.381:
	v_bfe_u32 v4, v2, 20, 1
	s_mov_b32 s18, 0x407ffff
	v_add3_u32 v4, v2, v4, s18
	v_lshrrev_b32_e32 v5, 20, v4
	v_and_b32_e32 v4, 0xff00000, v4
	s_mov_b32 s18, 0x7f00000
	v_mov_b32_e32 v6, 0x7e
	v_cmp_ne_u32_e32 vcc, s18, v4
	s_nop 1
	v_cndmask_b32_e32 v4, v6, v5, vcc
; %bb.382:
	s_andn2_saveexec_b64 s[16:17], s[16:17]
; %bb.383:
	s_mov_b32 s18, 0x46800000
	v_add_f32_e64 v4, |v2|, s18
; %bb.384:
	s_or_b64 exec, exec, s[16:17]
                                        ; implicit-def: $vgpr5
.LBB505_385:
	s_andn2_saveexec_b64 s[14:15], s[14:15]
; %bb.386:
	s_mov_b32 s16, 0x7f800000
	v_mov_b32_e32 v4, 0x7e
	v_mov_b32_e32 v6, 0x7f
	v_cmp_lt_u32_e32 vcc, s16, v5
	s_nop 1
	v_cndmask_b32_e32 v4, v4, v6, vcc
; %bb.387:
	s_or_b64 exec, exec, s[14:15]
	v_lshrrev_b32_e32 v5, 24, v2
	s_movk_i32 s14, 0x80
	v_and_or_b32 v4, v5, s14, v4
	global_store_byte v[0:1], v4, off
.LBB505_388:
	s_mov_b64 s[14:15], 0
.LBB505_389:
	s_andn2_b64 vcc, exec, s[14:15]
	s_cbranch_vccnz .LBB505_399
; %bb.390:
	v_and_b32_e32 v5, 0x7fffffff, v2
	s_mov_b32 s14, 0x47800000
	v_cmp_gt_u32_e32 vcc, s14, v5
                                        ; implicit-def: $vgpr4
	s_and_saveexec_b64 s[14:15], vcc
	s_xor_b64 s[14:15], exec, s[14:15]
	s_cbranch_execz .LBB505_396
; %bb.391:
	s_mov_b32 s16, 0x387fffff
	v_cmp_lt_u32_e32 vcc, s16, v5
                                        ; implicit-def: $vgpr4
	s_and_saveexec_b64 s[16:17], vcc
	s_xor_b64 s[16:17], exec, s[16:17]
; %bb.392:
	v_bfe_u32 v4, v2, 21, 1
	s_mov_b32 s18, 0x80fffff
	v_add3_u32 v4, v2, v4, s18
	v_lshrrev_b32_e32 v4, 21, v4
; %bb.393:
	s_andn2_saveexec_b64 s[16:17], s[16:17]
; %bb.394:
	s_mov_b32 s18, 0x43000000
	v_add_f32_e64 v4, |v2|, s18
; %bb.395:
	s_or_b64 exec, exec, s[16:17]
                                        ; implicit-def: $vgpr5
.LBB505_396:
	s_andn2_saveexec_b64 s[14:15], s[14:15]
; %bb.397:
	s_mov_b32 s16, 0x7f800000
	v_mov_b32_e32 v4, 0x7c
	v_mov_b32_e32 v6, 0x7f
	v_cmp_lt_u32_e32 vcc, s16, v5
	s_nop 1
	v_cndmask_b32_e32 v4, v4, v6, vcc
; %bb.398:
	s_or_b64 exec, exec, s[14:15]
	v_lshrrev_b32_e32 v5, 24, v2
	s_movk_i32 s14, 0x80
	v_and_or_b32 v4, v5, s14, v4
	global_store_byte v[0:1], v4, off
.LBB505_399:
	s_mov_b64 s[16:17], 0
	s_mov_b64 s[14:15], -1
.LBB505_400:
	s_andn2_b64 vcc, exec, s[16:17]
	s_cbranch_vccnz .LBB505_408
; %bb.401:
	s_cmp_gt_i32 s21, 14
	s_mov_b64 s[16:17], -1
	s_cbranch_scc0 .LBB505_405
; %bb.402:
	s_cmp_eq_u32 s21, 15
	s_mov_b64 s[2:3], -1
	s_cbranch_scc0 .LBB505_404
; %bb.403:
	v_bfe_u32 v4, v2, 16, 1
	s_movk_i32 s2, 0x7fff
	v_add3_u32 v4, v2, v4, s2
	v_cmp_o_f32_e32 vcc, v2, v2
	v_mov_b32_e32 v5, 0x7fc0
	s_mov_b64 s[14:15], -1
	v_cndmask_b32_sdwa v4, v5, v4, vcc dst_sel:DWORD dst_unused:UNUSED_PAD src0_sel:DWORD src1_sel:WORD_1
	global_store_short v[0:1], v4, off
	s_mov_b64 s[2:3], 0
.LBB505_404:
	s_mov_b64 s[16:17], 0
.LBB505_405:
	s_and_b64 vcc, exec, s[16:17]
	s_cbranch_vccz .LBB505_408
; %bb.406:
	s_cmp_eq_u32 s21, 11
	s_mov_b64 s[2:3], -1
	s_cbranch_scc0 .LBB505_408
; %bb.407:
	v_cmp_neq_f32_e32 vcc, 0, v2
	v_cmp_neq_f32_e64 s[2:3], 0, v3
	s_or_b64 s[2:3], vcc, s[2:3]
	s_mov_b64 s[14:15], -1
	v_cndmask_b32_e64 v4, 0, 1, s[2:3]
	s_mov_b64 s[2:3], 0
	global_store_byte v[0:1], v4, off
.LBB505_408:
	s_mov_b64 s[16:17], 0
.LBB505_409:
	s_and_b64 vcc, exec, s[16:17]
	s_cbranch_vccz .LBB505_448
; %bb.410:
	s_and_b32 s16, 0xffff, s20
	s_cmp_lt_i32 s16, 5
	s_mov_b64 s[14:15], -1
	s_cbranch_scc1 .LBB505_431
; %bb.411:
	s_cmp_lt_i32 s16, 8
	s_cbranch_scc1 .LBB505_421
; %bb.412:
	s_cmp_lt_i32 s16, 9
	s_cbranch_scc1 .LBB505_418
; %bb.413:
	s_cmp_gt_i32 s16, 9
	s_cbranch_scc0 .LBB505_415
; %bb.414:
	v_cvt_f64_f32_e32 v[4:5], v2
	v_cvt_f64_f32_e32 v[6:7], v3
	s_mov_b64 s[14:15], 0
	global_store_dwordx4 v[0:1], v[4:7], off
.LBB505_415:
	s_andn2_b64 vcc, exec, s[14:15]
	s_cbranch_vccnz .LBB505_417
; %bb.416:
	global_store_dwordx2 v[0:1], v[2:3], off
.LBB505_417:
	s_mov_b64 s[14:15], 0
.LBB505_418:
	s_andn2_b64 vcc, exec, s[14:15]
	s_cbranch_vccnz .LBB505_420
; %bb.419:
	v_cvt_f16_f32_e32 v4, v2
	v_cvt_f16_f32_sdwa v3, v3 dst_sel:WORD_1 dst_unused:UNUSED_PAD src0_sel:DWORD
	s_nop 0
	v_or_b32_e32 v3, v3, v4
	global_store_dword v[0:1], v3, off
.LBB505_420:
	s_mov_b64 s[14:15], 0
.LBB505_421:
	s_andn2_b64 vcc, exec, s[14:15]
	s_cbranch_vccnz .LBB505_430
; %bb.422:
	s_cmp_lt_i32 s16, 6
	s_mov_b64 s[14:15], -1
	s_cbranch_scc1 .LBB505_428
; %bb.423:
	s_cmp_gt_i32 s16, 6
	s_cbranch_scc0 .LBB505_425
; %bb.424:
	v_cvt_f64_f32_e32 v[4:5], v2
	s_mov_b64 s[14:15], 0
	global_store_dwordx2 v[0:1], v[4:5], off
.LBB505_425:
	s_andn2_b64 vcc, exec, s[14:15]
	s_cbranch_vccnz .LBB505_427
; %bb.426:
	global_store_dword v[0:1], v2, off
.LBB505_427:
	s_mov_b64 s[14:15], 0
.LBB505_428:
	s_andn2_b64 vcc, exec, s[14:15]
	s_cbranch_vccnz .LBB505_430
; %bb.429:
	v_cvt_f16_f32_e32 v3, v2
	global_store_short v[0:1], v3, off
.LBB505_430:
	s_mov_b64 s[14:15], 0
.LBB505_431:
	s_andn2_b64 vcc, exec, s[14:15]
	s_cbranch_vccnz .LBB505_447
; %bb.432:
	s_cmp_lt_i32 s16, 2
	s_mov_b64 s[14:15], -1
	s_cbranch_scc1 .LBB505_442
; %bb.433:
	s_cmp_lt_i32 s16, 3
	s_cbranch_scc1 .LBB505_439
; %bb.434:
	s_cmp_gt_i32 s16, 3
	s_cbranch_scc0 .LBB505_436
; %bb.435:
	v_trunc_f32_e32 v3, v2
	s_mov_b32 s14, 0x2f800000
	v_mul_f32_e64 v4, |v3|, s14
	v_floor_f32_e32 v4, v4
	s_mov_b32 s14, 0xcf800000
	v_cvt_u32_f32_e32 v5, v4
	v_fma_f32 v4, v4, s14, |v3|
	v_cvt_u32_f32_e32 v4, v4
	v_ashrrev_i32_e32 v3, 31, v3
	v_xor_b32_e32 v5, v5, v3
	s_mov_b64 s[14:15], 0
	v_xor_b32_e32 v4, v4, v3
	v_sub_co_u32_e32 v4, vcc, v4, v3
	s_nop 1
	v_subb_co_u32_e32 v5, vcc, v5, v3, vcc
	global_store_dwordx2 v[0:1], v[4:5], off
.LBB505_436:
	s_andn2_b64 vcc, exec, s[14:15]
	s_cbranch_vccnz .LBB505_438
; %bb.437:
	v_cvt_i32_f32_e32 v3, v2
	global_store_dword v[0:1], v3, off
.LBB505_438:
	s_mov_b64 s[14:15], 0
.LBB505_439:
	s_andn2_b64 vcc, exec, s[14:15]
	s_cbranch_vccnz .LBB505_441
; %bb.440:
	v_cvt_i32_f32_e32 v3, v2
	global_store_short v[0:1], v3, off
.LBB505_441:
	s_mov_b64 s[14:15], 0
.LBB505_442:
	s_andn2_b64 vcc, exec, s[14:15]
	s_cbranch_vccnz .LBB505_447
; %bb.443:
	s_cmp_gt_i32 s16, 0
	s_mov_b64 s[14:15], -1
	s_cbranch_scc0 .LBB505_445
; %bb.444:
	v_cvt_i32_f32_e32 v3, v2
	s_mov_b64 s[14:15], 0
	global_store_byte v[0:1], v3, off
.LBB505_445:
	s_andn2_b64 vcc, exec, s[14:15]
	s_cbranch_vccnz .LBB505_447
; %bb.446:
	v_trunc_f32_e32 v2, v2
	s_mov_b32 s14, 0x2f800000
	v_mul_f32_e64 v3, |v2|, s14
	v_floor_f32_e32 v3, v3
	s_mov_b32 s14, 0xcf800000
	v_fma_f32 v3, v3, s14, |v2|
	v_cvt_u32_f32_e32 v3, v3
	v_ashrrev_i32_e32 v2, 31, v2
	v_xor_b32_e32 v3, v3, v2
	v_sub_u32_e32 v2, v3, v2
	global_store_byte v[0:1], v2, off
.LBB505_447:
	s_mov_b64 s[14:15], -1
.LBB505_448:
	s_andn2_b64 vcc, exec, s[14:15]
	s_cbranch_vccnz .LBB505_450
; %bb.449:
	v_add_u32_e32 v12, 0x80, v12
	s_mov_b64 s[14:15], -1
	s_branch .LBB505_568
.LBB505_450:
	s_mov_b64 s[14:15], 0
	s_branch .LBB505_567
.LBB505_451:
	s_mov_b64 s[12:13], -1
                                        ; implicit-def: $vgpr4
.LBB505_452:
	s_waitcnt vmcnt(0)
	v_mov_b32_e32 v5, 0
.LBB505_453:
	s_mov_b64 s[14:15], 0
.LBB505_454:
	s_and_b64 vcc, exec, s[14:15]
	s_cbranch_vccz .LBB505_459
; %bb.455:
	s_cmp_eq_u32 s18, 29
	s_cbranch_scc0 .LBB505_457
; %bb.456:
	global_load_dwordx2 v[4:5], v[2:3], off
	s_mov_b64 s[2:3], -1
	s_mov_b64 s[12:13], 0
	s_waitcnt vmcnt(0)
	v_ffbh_u32_e32 v1, v5
	v_min_u32_e32 v1, 32, v1
	v_lshlrev_b64 v[4:5], v1, v[4:5]
	v_min_u32_e32 v4, 1, v4
	v_or_b32_e32 v4, v5, v4
	v_cvt_f32_u32_e32 v4, v4
	v_sub_u32_e32 v1, 32, v1
	v_ldexp_f32 v4, v4, v1
	s_branch .LBB505_458
.LBB505_457:
	s_mov_b64 s[12:13], -1
                                        ; implicit-def: $vgpr4
.LBB505_458:
	s_waitcnt vmcnt(0)
	v_mov_b32_e32 v5, 0
.LBB505_459:
	s_mov_b64 s[14:15], 0
.LBB505_460:
	s_and_b64 vcc, exec, s[14:15]
	s_cbranch_vccz .LBB505_478
; %bb.461:
	s_cmp_lt_i32 s18, 27
	s_cbranch_scc1 .LBB505_464
; %bb.462:
	s_cmp_gt_i32 s18, 27
	s_cbranch_scc0 .LBB505_465
; %bb.463:
	global_load_dword v1, v[2:3], off
	s_mov_b64 s[2:3], 0
	s_waitcnt vmcnt(0)
	v_cvt_f32_u32_e32 v4, v1
	s_branch .LBB505_466
.LBB505_464:
	s_mov_b64 s[2:3], -1
                                        ; implicit-def: $vgpr4
	s_branch .LBB505_469
.LBB505_465:
	s_mov_b64 s[2:3], -1
                                        ; implicit-def: $vgpr4
.LBB505_466:
	s_andn2_b64 vcc, exec, s[2:3]
	s_cbranch_vccnz .LBB505_468
; %bb.467:
	global_load_ushort v1, v[2:3], off
	s_waitcnt vmcnt(0)
	v_cvt_f32_u32_e32 v4, v1
.LBB505_468:
	s_mov_b64 s[2:3], 0
.LBB505_469:
	s_andn2_b64 vcc, exec, s[2:3]
	s_cbranch_vccnz .LBB505_477
; %bb.470:
	global_load_ubyte v1, v[2:3], off
	s_movk_i32 s2, 0x7f
	s_waitcnt vmcnt(0)
	v_cmp_lt_i16_e32 vcc, s2, v1
	s_mov_b64 s[2:3], 0
	s_and_saveexec_b64 s[14:15], vcc
	s_xor_b64 s[14:15], exec, s[14:15]
	s_cbranch_execz .LBB505_491
; %bb.471:
	s_movk_i32 s2, 0x80
	v_cmp_eq_u16_e32 vcc, s2, v1
	s_mov_b64 s[2:3], -1
	s_and_saveexec_b64 s[16:17], vcc
; %bb.472:
	s_xor_b64 s[2:3], exec, -1
; %bb.473:
	s_or_b64 exec, exec, s[16:17]
	s_and_b64 s[2:3], s[2:3], exec
	s_or_saveexec_b64 s[14:15], s[14:15]
	v_mov_b32_e32 v4, 0x7f800001
	s_xor_b64 exec, exec, s[14:15]
	s_cbranch_execnz .LBB505_492
.LBB505_474:
	s_or_b64 exec, exec, s[14:15]
	s_and_saveexec_b64 s[14:15], s[2:3]
	s_cbranch_execz .LBB505_476
.LBB505_475:
	v_lshlrev_b32_e32 v4, 24, v1
	v_and_b32_e32 v1, 0xffff, v1
	v_and_b32_e32 v5, 7, v1
	v_ffbh_u32_e32 v7, v5
	v_min_u32_e32 v7, 32, v7
	v_subrev_u32_e32 v8, 28, v7
	v_bfe_u32 v6, v1, 3, 4
	v_lshlrev_b32_e32 v1, v8, v1
	v_sub_u32_e32 v7, 29, v7
	v_and_b32_e32 v1, 7, v1
	v_cmp_eq_u32_e32 vcc, 0, v6
	v_and_b32_e32 v4, 0x80000000, v4
	s_nop 0
	v_cndmask_b32_e32 v6, v6, v7, vcc
	v_cndmask_b32_e32 v1, v5, v1, vcc
	v_mov_b32_e32 v5, 0x3b800000
	v_lshlrev_b32_e32 v1, 20, v1
	v_lshl_add_u32 v5, v6, 23, v5
	v_or3_b32 v4, v4, v5, v1
.LBB505_476:
	s_or_b64 exec, exec, s[14:15]
.LBB505_477:
	s_mov_b64 s[2:3], -1
	s_waitcnt vmcnt(0)
	v_mov_b32_e32 v5, 0
.LBB505_478:
	s_mov_b64 s[14:15], 0
.LBB505_479:
	s_and_b64 vcc, exec, s[14:15]
	s_cbranch_vccz .LBB505_515
; %bb.480:
	s_cmp_gt_i32 s18, 22
	s_cbranch_scc0 .LBB505_490
; %bb.481:
	s_cmp_lt_i32 s18, 24
	s_cbranch_scc1 .LBB505_493
; %bb.482:
	s_cmp_gt_i32 s18, 24
	s_cbranch_scc0 .LBB505_494
; %bb.483:
	global_load_ubyte v1, v[2:3], off
	s_movk_i32 s2, 0x7f
	s_waitcnt vmcnt(0)
	v_cmp_lt_i16_e32 vcc, s2, v1
	s_mov_b64 s[2:3], 0
	s_and_saveexec_b64 s[14:15], vcc
	s_xor_b64 s[14:15], exec, s[14:15]
	s_cbranch_execz .LBB505_506
; %bb.484:
	s_movk_i32 s2, 0x80
	v_cmp_eq_u16_e32 vcc, s2, v1
	s_mov_b64 s[2:3], -1
	s_and_saveexec_b64 s[16:17], vcc
; %bb.485:
	s_xor_b64 s[2:3], exec, -1
; %bb.486:
	s_or_b64 exec, exec, s[16:17]
	s_and_b64 s[2:3], s[2:3], exec
	s_or_saveexec_b64 s[14:15], s[14:15]
	v_mov_b32_e32 v4, 0x7f800001
	s_xor_b64 exec, exec, s[14:15]
	s_cbranch_execnz .LBB505_507
.LBB505_487:
	s_or_b64 exec, exec, s[14:15]
	s_and_saveexec_b64 s[14:15], s[2:3]
	s_cbranch_execz .LBB505_489
.LBB505_488:
	v_lshlrev_b32_e32 v4, 24, v1
	v_and_b32_e32 v1, 0xffff, v1
	v_and_b32_e32 v5, 3, v1
	v_ffbh_u32_e32 v7, v5
	v_min_u32_e32 v7, 32, v7
	v_subrev_u32_e32 v8, 29, v7
	v_bfe_u32 v6, v1, 2, 5
	v_lshlrev_b32_e32 v1, v8, v1
	v_sub_u32_e32 v7, 30, v7
	v_and_b32_e32 v1, 3, v1
	v_cmp_eq_u32_e32 vcc, 0, v6
	v_and_b32_e32 v4, 0x80000000, v4
	s_nop 0
	v_cndmask_b32_e32 v6, v6, v7, vcc
	v_cndmask_b32_e32 v1, v5, v1, vcc
	v_mov_b32_e32 v5, 0x37800000
	v_lshlrev_b32_e32 v1, 21, v1
	v_lshl_add_u32 v5, v6, 23, v5
	v_or3_b32 v4, v4, v5, v1
.LBB505_489:
	s_or_b64 exec, exec, s[14:15]
	s_mov_b64 s[2:3], 0
	s_branch .LBB505_495
.LBB505_490:
	s_mov_b64 s[14:15], -1
                                        ; implicit-def: $vgpr4
	s_branch .LBB505_501
.LBB505_491:
	s_or_saveexec_b64 s[14:15], s[14:15]
	v_mov_b32_e32 v4, 0x7f800001
	s_xor_b64 exec, exec, s[14:15]
	s_cbranch_execz .LBB505_474
.LBB505_492:
	v_cmp_ne_u16_e32 vcc, 0, v1
	s_andn2_b64 s[2:3], s[2:3], exec
	s_and_b64 s[16:17], vcc, exec
	v_mov_b32_e32 v4, 0
	s_or_b64 s[2:3], s[2:3], s[16:17]
	s_or_b64 exec, exec, s[14:15]
	s_and_saveexec_b64 s[14:15], s[2:3]
	s_cbranch_execnz .LBB505_475
	s_branch .LBB505_476
.LBB505_493:
	s_mov_b64 s[2:3], -1
                                        ; implicit-def: $vgpr4
	s_branch .LBB505_498
.LBB505_494:
	s_mov_b64 s[2:3], -1
                                        ; implicit-def: $vgpr4
.LBB505_495:
	s_and_b64 vcc, exec, s[2:3]
	s_cbranch_vccz .LBB505_497
; %bb.496:
	global_load_ubyte v1, v[2:3], off
	s_mov_b32 s2, 0x7f800000
	s_waitcnt vmcnt(0)
	v_lshlrev_b32_e32 v1, 24, v1
	v_and_b32_e32 v4, 0x7f000000, v1
	v_ffbh_u32_e32 v5, v4
	v_min_u32_e32 v5, 32, v5
	v_sub_u32_e64 v5, v5, 4 clamp
	v_lshlrev_b32_e32 v7, v5, v4
	v_lshlrev_b32_e32 v5, 23, v5
	v_lshrrev_b32_e32 v7, 4, v7
	v_add_u32_e32 v6, 0x1000000, v4
	v_sub_u32_e32 v5, v7, v5
	v_ashrrev_i32_e32 v6, 8, v6
	v_add_u32_e32 v5, 0x3c000000, v5
	v_and_or_b32 v5, v6, s2, v5
	v_cmp_ne_u32_e32 vcc, 0, v4
	s_brev_b32 s2, 1
	s_nop 0
	v_cndmask_b32_e32 v4, 0, v5, vcc
	v_and_or_b32 v4, v1, s2, v4
.LBB505_497:
	s_mov_b64 s[2:3], 0
.LBB505_498:
	s_andn2_b64 vcc, exec, s[2:3]
	s_cbranch_vccnz .LBB505_500
; %bb.499:
	global_load_ubyte v1, v[2:3], off
	s_movk_i32 s2, 0x7f00
	s_brev_b32 s3, 16
	s_waitcnt vmcnt(0)
	v_lshlrev_b16_e32 v4, 8, v1
	v_lshlrev_b32_e32 v1, 25, v1
	v_lshrrev_b32_e32 v5, 4, v1
	v_and_or_b32 v6, v4, s2, 0.5
	v_or_b32_e32 v5, 0x70000000, v5
	v_add_f32_e32 v6, -0.5, v6
	v_mul_f32_e32 v5, 0x7800000, v5
	v_cmp_gt_u32_e32 vcc, s3, v1
	v_bfe_i32 v4, v4, 0, 16
	s_brev_b32 s2, 1
	v_cndmask_b32_e32 v1, v5, v6, vcc
	v_and_or_b32 v4, v4, s2, v1
.LBB505_500:
	s_mov_b64 s[14:15], 0
	s_mov_b64 s[2:3], -1
.LBB505_501:
	s_andn2_b64 vcc, exec, s[14:15]
	s_cbranch_vccnz .LBB505_514
; %bb.502:
	s_cmp_gt_i32 s18, 14
	s_cbranch_scc0 .LBB505_505
; %bb.503:
	s_cmp_eq_u32 s18, 15
	s_cbranch_scc0 .LBB505_508
; %bb.504:
	global_load_ushort v1, v[2:3], off
	s_mov_b64 s[2:3], -1
	s_mov_b64 s[12:13], 0
	s_waitcnt vmcnt(0)
	v_lshlrev_b32_e32 v4, 16, v1
	s_branch .LBB505_509
.LBB505_505:
	s_mov_b64 s[14:15], -1
                                        ; implicit-def: $vgpr4
	s_branch .LBB505_510
.LBB505_506:
	s_or_saveexec_b64 s[14:15], s[14:15]
	v_mov_b32_e32 v4, 0x7f800001
	s_xor_b64 exec, exec, s[14:15]
	s_cbranch_execz .LBB505_487
.LBB505_507:
	v_cmp_ne_u16_e32 vcc, 0, v1
	s_andn2_b64 s[2:3], s[2:3], exec
	s_and_b64 s[16:17], vcc, exec
	v_mov_b32_e32 v4, 0
	s_or_b64 s[2:3], s[2:3], s[16:17]
	s_or_b64 exec, exec, s[14:15]
	s_and_saveexec_b64 s[14:15], s[2:3]
	s_cbranch_execnz .LBB505_488
	s_branch .LBB505_489
.LBB505_508:
	s_mov_b64 s[12:13], -1
                                        ; implicit-def: $vgpr4
.LBB505_509:
	s_mov_b64 s[14:15], 0
.LBB505_510:
	s_and_b64 vcc, exec, s[14:15]
	s_cbranch_vccz .LBB505_514
; %bb.511:
	s_cmp_eq_u32 s18, 11
	s_cbranch_scc0 .LBB505_513
; %bb.512:
	global_load_ubyte v1, v[2:3], off
	s_mov_b64 s[2:3], -1
	s_mov_b64 s[12:13], 0
	s_waitcnt vmcnt(1)
	v_mov_b32_e32 v5, 0
	s_waitcnt vmcnt(0)
	v_cmp_ne_u16_e32 vcc, 0, v1
	s_nop 1
	v_cndmask_b32_e64 v4, 0, 1.0, vcc
	s_branch .LBB505_515
.LBB505_513:
	s_mov_b64 s[12:13], -1
                                        ; implicit-def: $vgpr4
.LBB505_514:
	s_waitcnt vmcnt(0)
	v_mov_b32_e32 v5, 0
.LBB505_515:
	s_branch .LBB505_307
.LBB505_516:
	s_cmp_lt_i32 s18, 5
	s_cbranch_scc1 .LBB505_521
; %bb.517:
	s_cmp_lt_i32 s18, 8
	s_cbranch_scc1 .LBB505_522
; %bb.518:
	;; [unrolled: 3-line block ×3, first 2 shown]
	s_cmp_gt_i32 s18, 9
	s_cbranch_scc0 .LBB505_524
; %bb.520:
	global_load_dwordx4 v[4:7], v[2:3], off
	s_mov_b64 s[2:3], 0
	s_waitcnt vmcnt(0)
	v_cvt_f32_f64_e32 v4, v[4:5]
	v_cvt_f32_f64_e32 v5, v[6:7]
	s_branch .LBB505_525
.LBB505_521:
	s_mov_b64 s[2:3], -1
                                        ; implicit-def: $vgpr5
	s_branch .LBB505_544
.LBB505_522:
	s_mov_b64 s[2:3], -1
                                        ; implicit-def: $vgpr5
	s_branch .LBB505_531
.LBB505_523:
	s_mov_b64 s[2:3], -1
                                        ; implicit-def: $vgpr5
	s_branch .LBB505_528
.LBB505_524:
	s_mov_b64 s[2:3], -1
                                        ; implicit-def: $vgpr5
.LBB505_525:
	s_andn2_b64 vcc, exec, s[2:3]
	s_cbranch_vccnz .LBB505_527
; %bb.526:
	global_load_dwordx2 v[4:5], v[2:3], off
.LBB505_527:
	s_mov_b64 s[2:3], 0
.LBB505_528:
	s_andn2_b64 vcc, exec, s[2:3]
	s_cbranch_vccnz .LBB505_530
; %bb.529:
	global_load_dword v1, v[2:3], off
	s_waitcnt vmcnt(0)
	v_cvt_f32_f16_sdwa v5, v1 dst_sel:DWORD dst_unused:UNUSED_PAD src0_sel:WORD_1
	v_cvt_f32_f16_e32 v4, v1
.LBB505_530:
	s_mov_b64 s[2:3], 0
.LBB505_531:
	s_andn2_b64 vcc, exec, s[2:3]
	s_cbranch_vccnz .LBB505_543
; %bb.532:
	s_cmp_lt_i32 s18, 6
	s_cbranch_scc1 .LBB505_535
; %bb.533:
	s_cmp_gt_i32 s18, 6
	s_cbranch_scc0 .LBB505_536
; %bb.534:
	global_load_dwordx2 v[4:5], v[2:3], off
	s_mov_b64 s[2:3], 0
	s_waitcnt vmcnt(0)
	v_cvt_f32_f64_e32 v4, v[4:5]
	s_branch .LBB505_537
.LBB505_535:
	s_mov_b64 s[2:3], -1
                                        ; implicit-def: $vgpr4
	s_branch .LBB505_540
.LBB505_536:
	s_mov_b64 s[2:3], -1
                                        ; implicit-def: $vgpr4
.LBB505_537:
	s_andn2_b64 vcc, exec, s[2:3]
	s_cbranch_vccnz .LBB505_539
; %bb.538:
	global_load_dword v4, v[2:3], off
.LBB505_539:
	s_mov_b64 s[2:3], 0
.LBB505_540:
	s_andn2_b64 vcc, exec, s[2:3]
	s_cbranch_vccnz .LBB505_542
; %bb.541:
	global_load_ushort v1, v[2:3], off
	s_waitcnt vmcnt(0)
	v_cvt_f32_f16_e32 v4, v1
.LBB505_542:
	s_waitcnt vmcnt(0)
	v_mov_b32_e32 v5, 0
.LBB505_543:
	s_mov_b64 s[2:3], 0
.LBB505_544:
	s_andn2_b64 vcc, exec, s[2:3]
	s_cbranch_vccnz .LBB505_565
; %bb.545:
	s_cmp_lt_i32 s18, 2
	s_cbranch_scc1 .LBB505_549
; %bb.546:
	s_cmp_lt_i32 s18, 3
	s_cbranch_scc1 .LBB505_550
; %bb.547:
	s_cmp_gt_i32 s18, 3
	s_cbranch_scc0 .LBB505_551
; %bb.548:
	global_load_dwordx2 v[4:5], v[2:3], off
	s_mov_b64 s[2:3], 0
	s_waitcnt vmcnt(0)
	v_xor_b32_e32 v6, v4, v5
	v_ffbh_i32_e32 v1, v5
	v_ashrrev_i32_e32 v6, 31, v6
	v_add_u32_e32 v1, -1, v1
	v_add_u32_e32 v6, 32, v6
	v_min_u32_e32 v1, v1, v6
	v_lshlrev_b64 v[4:5], v1, v[4:5]
	v_min_u32_e32 v4, 1, v4
	v_or_b32_e32 v4, v5, v4
	v_cvt_f32_i32_e32 v4, v4
	v_sub_u32_e32 v1, 32, v1
	v_ldexp_f32 v4, v4, v1
	s_branch .LBB505_552
.LBB505_549:
	s_mov_b64 s[2:3], -1
                                        ; implicit-def: $vgpr4
	s_branch .LBB505_558
.LBB505_550:
	s_mov_b64 s[2:3], -1
                                        ; implicit-def: $vgpr4
	s_branch .LBB505_555
.LBB505_551:
	s_mov_b64 s[2:3], -1
                                        ; implicit-def: $vgpr4
.LBB505_552:
	s_andn2_b64 vcc, exec, s[2:3]
	s_cbranch_vccnz .LBB505_554
; %bb.553:
	global_load_dword v1, v[2:3], off
	s_waitcnt vmcnt(0)
	v_cvt_f32_i32_e32 v4, v1
.LBB505_554:
	s_mov_b64 s[2:3], 0
.LBB505_555:
	s_andn2_b64 vcc, exec, s[2:3]
	s_cbranch_vccnz .LBB505_557
; %bb.556:
	global_load_sshort v1, v[2:3], off
	s_waitcnt vmcnt(0)
	v_cvt_f32_i32_e32 v4, v1
.LBB505_557:
	s_mov_b64 s[2:3], 0
.LBB505_558:
	s_andn2_b64 vcc, exec, s[2:3]
	s_cbranch_vccnz .LBB505_564
; %bb.559:
	s_cmp_gt_i32 s18, 0
	s_cbranch_scc0 .LBB505_561
; %bb.560:
	global_load_sbyte v1, v[2:3], off
	s_mov_b64 s[2:3], 0
	s_waitcnt vmcnt(0)
	v_cvt_f32_i32_e32 v4, v1
	s_branch .LBB505_562
.LBB505_561:
	s_mov_b64 s[2:3], -1
                                        ; implicit-def: $vgpr4
.LBB505_562:
	s_andn2_b64 vcc, exec, s[2:3]
	s_cbranch_vccnz .LBB505_564
; %bb.563:
	global_load_ubyte v1, v[2:3], off
	s_waitcnt vmcnt(0)
	v_cvt_f32_ubyte0_e32 v4, v1
.LBB505_564:
	s_waitcnt vmcnt(0)
	v_mov_b32_e32 v5, 0
.LBB505_565:
	s_branch .LBB505_308
.LBB505_566:
	s_mov_b64 s[14:15], 0
	s_mov_b64 s[2:3], s[58:59]
.LBB505_567:
                                        ; implicit-def: $vgpr12
.LBB505_568:
	s_andn2_b64 s[16:17], s[58:59], exec
	s_and_b64 s[2:3], s[2:3], exec
	s_or_b64 s[66:67], s[16:17], s[2:3]
	s_andn2_b64 s[2:3], s[60:61], exec
	s_and_b64 s[12:13], s[12:13], exec
	s_or_b64 s[64:65], s[2:3], s[12:13]
	s_orn2_b64 s[2:3], s[14:15], exec
.LBB505_569:
	s_or_b64 exec, exec, s[68:69]
	s_mov_b64 s[12:13], 0
	s_mov_b64 s[14:15], 0
	;; [unrolled: 1-line block ×3, first 2 shown]
                                        ; implicit-def: $vgpr2_vgpr3
                                        ; implicit-def: $vgpr0
                                        ; implicit-def: $vgpr7
	s_and_saveexec_b64 s[68:69], s[2:3]
	s_cbranch_execz .LBB505_962
; %bb.570:
	v_cmp_gt_i32_e32 vcc, s74, v12
	s_mov_b64 s[18:19], -1
	s_mov_b64 s[2:3], s[64:65]
	s_mov_b64 s[72:73], s[66:67]
	s_and_saveexec_b64 s[70:71], vcc
	s_cbranch_execz .LBB505_858
; %bb.571:
	s_andn2_b64 vcc, exec, s[46:47]
	s_cbranch_vccnz .LBB505_577
; %bb.572:
	s_andn2_b64 vcc, exec, s[56:57]
	s_cbranch_vccnz .LBB505_578
; %bb.573:
	s_add_i32 s79, s78, 1
	s_cmp_eq_u32 s76, 2
	s_cbranch_scc1 .LBB505_579
; %bb.574:
	s_and_b32 s75, s79, 28
	s_mov_b32 s80, 0
	v_mov_b32_e32 v0, 0
	v_mov_b32_e32 v2, 0
	s_mov_b64 s[2:3], s[34:35]
	s_mov_b64 s[72:73], s[54:55]
	s_waitcnt vmcnt(0)
	v_mov_b32_e32 v4, v12
.LBB505_575:                            ; =>This Inner Loop Header: Depth=1
	s_load_dwordx8 s[20:27], s[2:3], 0x4
	s_load_dwordx4 s[40:43], s[2:3], 0x24
	s_load_dwordx8 s[12:19], s[72:73], 0x0
	s_add_u32 s2, s2, 48
	s_addc_u32 s3, s3, 0
	s_waitcnt lgkmcnt(0)
	v_mul_hi_u32 v1, s21, v4
	v_add_u32_e32 v1, v4, v1
	v_lshrrev_b32_e32 v1, s22, v1
	v_mul_lo_u32 v3, v1, s20
	v_mul_hi_u32 v5, s24, v1
	v_sub_u32_e32 v3, v4, v3
	v_add_u32_e32 v4, v1, v5
	v_lshrrev_b32_e32 v4, s25, v4
	v_mul_lo_u32 v6, v4, s23
	v_mul_hi_u32 v7, s27, v4
	v_sub_u32_e32 v1, v1, v6
	v_add_u32_e32 v6, v4, v7
	v_mul_lo_u32 v5, v3, s13
	v_mul_lo_u32 v3, v3, s12
	;; [unrolled: 1-line block ×4, first 2 shown]
	v_lshrrev_b32_e32 v6, s40, v6
	v_add3_u32 v0, v3, v0, v1
	v_mul_hi_u32 v3, s42, v6
	v_add3_u32 v1, v5, v2, v7
	v_mul_lo_u32 v2, v6, s26
	v_add_u32_e32 v3, v6, v3
	v_sub_u32_e32 v2, v4, v2
	v_lshrrev_b32_e32 v4, s43, v3
	s_add_i32 s80, s80, 4
	v_mul_lo_u32 v3, v4, s41
	s_add_u32 s72, s72, 32
	v_sub_u32_e32 v3, v6, v3
	s_addc_u32 s73, s73, 0
	v_mul_lo_u32 v5, v2, s16
	v_mul_lo_u32 v2, v2, s17
	;; [unrolled: 1-line block ×4, first 2 shown]
	s_cmp_eq_u32 s75, s80
	v_add3_u32 v2, v2, v1, v3
	v_add3_u32 v0, v5, v0, v6
	s_cbranch_scc0 .LBB505_575
; %bb.576:
	v_mov_b32_e32 v1, v2
	s_branch .LBB505_580
.LBB505_577:
	s_mov_b64 s[2:3], -1
                                        ; implicit-def: $vgpr2
                                        ; implicit-def: $vgpr0
	s_branch .LBB505_584
.LBB505_578:
	v_mov_b32_e32 v2, 0
	v_mov_b32_e32 v0, 0
	s_branch .LBB505_583
.LBB505_579:
	v_mov_b32_e32 v0, 0
	s_mov_b32 s75, 0
	v_mov_b32_e32 v1, v0
                                        ; implicit-def: $vgpr2
	s_waitcnt vmcnt(0)
	v_mov_b32_e32 v4, v12
.LBB505_580:
	s_and_b32 s14, s79, 3
	s_cmp_eq_u32 s14, 0
	s_cbranch_scc1 .LBB505_583
; %bb.581:
	s_lshl_b32 s2, s75, 3
	s_add_u32 s2, s34, s2
	s_addc_u32 s3, s35, 0
	s_add_u32 s2, s2, 0xc4
	s_addc_u32 s3, s3, 0
	s_mul_i32 s12, s75, 12
	s_add_u32 s12, s34, s12
	s_addc_u32 s13, s35, 0
.LBB505_582:                            ; =>This Inner Loop Header: Depth=1
	s_load_dwordx2 s[16:17], s[12:13], 0x4
	s_load_dword s15, s[12:13], 0xc
	s_load_dwordx2 s[18:19], s[2:3], 0x0
	v_mov_b32_e32 v2, v1
	s_add_u32 s12, s12, 12
	s_waitcnt lgkmcnt(0)
	v_mul_hi_u32 v1, s17, v4
	v_add_u32_e32 v1, v4, v1
	v_lshrrev_b32_e32 v1, s15, v1
	s_addc_u32 s13, s13, 0
	v_mul_lo_u32 v3, v1, s16
	s_add_u32 s2, s2, 8
	v_sub_u32_e32 v5, v4, v3
	s_addc_u32 s3, s3, 0
	s_add_i32 s14, s14, -1
	v_mov_b32_e32 v4, v1
	v_mad_u64_u32 v[2:3], s[16:17], v5, s19, v[2:3]
	v_mad_u64_u32 v[0:1], s[16:17], v5, s18, v[0:1]
	s_cmp_lg_u32 s14, 0
	v_mov_b32_e32 v1, v2
	s_cbranch_scc1 .LBB505_582
.LBB505_583:
	s_mov_b64 s[2:3], 0
.LBB505_584:
	s_andn2_b64 vcc, exec, s[2:3]
	s_cbranch_vccnz .LBB505_587
; %bb.585:
	v_mul_hi_u32 v0, s29, v12
	v_add_u32_e32 v0, v12, v0
	v_lshrrev_b32_e32 v1, s30, v0
	v_mul_lo_u32 v0, v1, s28
	v_sub_u32_e32 v0, v12, v0
	v_mul_lo_u32 v2, v0, s37
	s_andn2_b64 vcc, exec, s[52:53]
	v_mul_lo_u32 v0, v0, s36
	s_cbranch_vccnz .LBB505_587
; %bb.586:
	v_mul_hi_u32 v3, s50, v1
	v_add_u32_e32 v3, v1, v3
	v_lshrrev_b32_e32 v3, s51, v3
	v_mul_lo_u32 v3, v3, s31
	v_sub_u32_e32 v3, v1, v3
	v_mad_u64_u32 v[0:1], s[2:3], v3, s38, v[0:1]
	v_mad_u64_u32 v[2:3], s[2:3], v3, s39, v[2:3]
.LBB505_587:
	v_mov_b32_e32 v3, 0
	s_and_b32 s18, 0xffff, s11
	s_cmp_lt_i32 s18, 11
	v_lshl_add_u64 v[2:3], s[6:7], 0, v[2:3]
	s_cbranch_scc1 .LBB505_594
; %bb.588:
	s_cmp_gt_i32 s18, 25
	s_cbranch_scc0 .LBB505_595
; %bb.589:
	s_cmp_gt_i32 s18, 28
	s_cbranch_scc0 .LBB505_596
	;; [unrolled: 3-line block ×4, first 2 shown]
; %bb.592:
	s_cmp_eq_u32 s18, 46
	s_mov_b64 s[14:15], 0
	s_cbranch_scc0 .LBB505_603
; %bb.593:
	global_load_dword v1, v[2:3], off
	s_mov_b64 s[2:3], -1
	s_mov_b64 s[12:13], 0
	s_waitcnt vmcnt(0)
	v_and_b32_e32 v5, 0xffff0000, v1
	v_lshlrev_b32_e32 v4, 16, v1
	s_branch .LBB505_604
.LBB505_594:
	s_mov_b64 s[14:15], -1
	s_mov_b64 s[2:3], 0
                                        ; implicit-def: $vgpr5
	s_mov_b64 s[12:13], s[64:65]
	s_branch .LBB505_672
.LBB505_595:
	s_mov_b64 s[14:15], -1
	s_mov_b64 s[2:3], 0
	s_mov_b64 s[12:13], s[64:65]
                                        ; implicit-def: $vgpr5
	s_branch .LBB505_635
.LBB505_596:
	s_mov_b64 s[14:15], -1
	s_mov_b64 s[2:3], 0
	s_mov_b64 s[12:13], s[64:65]
                                        ; implicit-def: $vgpr5
	s_branch .LBB505_616
.LBB505_597:
	s_mov_b64 s[14:15], -1
	s_mov_b64 s[2:3], 0
	s_mov_b64 s[12:13], s[64:65]
                                        ; implicit-def: $vgpr5
	s_branch .LBB505_610
.LBB505_598:
	s_andn2_saveexec_b64 s[18:19], s[18:19]
	s_cbranch_execz .LBB505_361
.LBB505_599:
	s_mov_b32 s22, 0x46000000
	v_add_f32_e64 v4, |v2|, s22
	v_and_b32_e32 v4, 0xff, v4
	v_cmp_ne_u32_e32 vcc, 0, v4
	s_andn2_b64 s[16:17], s[16:17], exec
	s_and_b64 s[22:23], vcc, exec
	s_or_b64 s[16:17], s[16:17], s[22:23]
	s_or_b64 exec, exec, s[18:19]
	v_mov_b32_e32 v5, 0
	s_and_saveexec_b64 s[18:19], s[16:17]
	s_cbranch_execnz .LBB505_362
	s_branch .LBB505_363
.LBB505_600:
	s_mov_b64 s[14:15], -1
	s_mov_b64 s[2:3], 0
	s_mov_b64 s[12:13], s[64:65]
                                        ; implicit-def: $vgpr5
	s_branch .LBB505_604
.LBB505_601:
	s_andn2_saveexec_b64 s[18:19], s[18:19]
	s_cbranch_execz .LBB505_374
.LBB505_602:
	s_mov_b32 s22, 0x42800000
	v_add_f32_e64 v4, |v2|, s22
	v_and_b32_e32 v4, 0xff, v4
	v_cmp_ne_u32_e32 vcc, 0, v4
	s_andn2_b64 s[16:17], s[16:17], exec
	s_and_b64 s[22:23], vcc, exec
	s_or_b64 s[16:17], s[16:17], s[22:23]
	s_or_b64 exec, exec, s[18:19]
	v_mov_b32_e32 v5, 0
	s_and_saveexec_b64 s[18:19], s[16:17]
	s_cbranch_execnz .LBB505_375
	s_branch .LBB505_376
.LBB505_603:
	s_mov_b64 s[12:13], -1
                                        ; implicit-def: $vgpr5
	s_mov_b64 s[2:3], 0
.LBB505_604:
	s_and_b64 vcc, exec, s[14:15]
	s_cbranch_vccz .LBB505_609
; %bb.605:
	s_cmp_eq_u32 s18, 44
	s_cbranch_scc0 .LBB505_607
; %bb.606:
	global_load_ubyte v1, v[2:3], off
	s_movk_i32 s12, 0xff
	s_waitcnt vmcnt(1)
	v_mov_b32_e32 v4, 0x7f800001
	v_mov_b32_e32 v5, 0x400000
	s_mov_b64 s[2:3], -1
	s_waitcnt vmcnt(0)
	v_lshlrev_b32_e32 v6, 23, v1
	v_cmp_ne_u32_e32 vcc, s12, v1
	s_mov_b64 s[12:13], 0
	s_nop 0
	v_cndmask_b32_e32 v4, v4, v6, vcc
	v_cmp_ne_u32_e32 vcc, 0, v1
	s_nop 1
	v_cndmask_b32_e32 v4, v5, v4, vcc
	s_branch .LBB505_608
.LBB505_607:
	s_mov_b64 s[12:13], -1
                                        ; implicit-def: $vgpr4
.LBB505_608:
	s_waitcnt vmcnt(0)
	v_mov_b32_e32 v5, 0
.LBB505_609:
	s_mov_b64 s[14:15], 0
.LBB505_610:
	s_and_b64 vcc, exec, s[14:15]
	s_cbranch_vccz .LBB505_615
; %bb.611:
	s_cmp_eq_u32 s18, 29
	s_cbranch_scc0 .LBB505_613
; %bb.612:
	global_load_dwordx2 v[4:5], v[2:3], off
	s_mov_b64 s[2:3], -1
	s_mov_b64 s[12:13], 0
	s_waitcnt vmcnt(0)
	v_ffbh_u32_e32 v1, v5
	v_min_u32_e32 v1, 32, v1
	v_lshlrev_b64 v[4:5], v1, v[4:5]
	v_min_u32_e32 v4, 1, v4
	v_or_b32_e32 v4, v5, v4
	v_cvt_f32_u32_e32 v4, v4
	v_sub_u32_e32 v1, 32, v1
	v_ldexp_f32 v4, v4, v1
	s_branch .LBB505_614
.LBB505_613:
	s_mov_b64 s[12:13], -1
                                        ; implicit-def: $vgpr4
.LBB505_614:
	s_waitcnt vmcnt(0)
	v_mov_b32_e32 v5, 0
.LBB505_615:
	s_mov_b64 s[14:15], 0
.LBB505_616:
	s_and_b64 vcc, exec, s[14:15]
	s_cbranch_vccz .LBB505_634
; %bb.617:
	s_cmp_lt_i32 s18, 27
	s_cbranch_scc1 .LBB505_620
; %bb.618:
	s_cmp_gt_i32 s18, 27
	s_cbranch_scc0 .LBB505_621
; %bb.619:
	global_load_dword v1, v[2:3], off
	s_mov_b64 s[2:3], 0
	s_waitcnt vmcnt(0)
	v_cvt_f32_u32_e32 v4, v1
	s_branch .LBB505_622
.LBB505_620:
	s_mov_b64 s[2:3], -1
                                        ; implicit-def: $vgpr4
	s_branch .LBB505_625
.LBB505_621:
	s_mov_b64 s[2:3], -1
                                        ; implicit-def: $vgpr4
.LBB505_622:
	s_andn2_b64 vcc, exec, s[2:3]
	s_cbranch_vccnz .LBB505_624
; %bb.623:
	global_load_ushort v1, v[2:3], off
	s_waitcnt vmcnt(0)
	v_cvt_f32_u32_e32 v4, v1
.LBB505_624:
	s_mov_b64 s[2:3], 0
.LBB505_625:
	s_andn2_b64 vcc, exec, s[2:3]
	s_cbranch_vccnz .LBB505_633
; %bb.626:
	global_load_ubyte v1, v[2:3], off
	s_movk_i32 s2, 0x7f
	s_waitcnt vmcnt(0)
	v_cmp_lt_i16_e32 vcc, s2, v1
	s_mov_b64 s[2:3], 0
	s_and_saveexec_b64 s[14:15], vcc
	s_xor_b64 s[14:15], exec, s[14:15]
	s_cbranch_execz .LBB505_647
; %bb.627:
	s_movk_i32 s2, 0x80
	v_cmp_eq_u16_e32 vcc, s2, v1
	s_mov_b64 s[2:3], -1
	s_and_saveexec_b64 s[16:17], vcc
; %bb.628:
	s_xor_b64 s[2:3], exec, -1
; %bb.629:
	s_or_b64 exec, exec, s[16:17]
	s_and_b64 s[2:3], s[2:3], exec
	s_or_saveexec_b64 s[14:15], s[14:15]
	v_mov_b32_e32 v4, 0x7f800001
	s_xor_b64 exec, exec, s[14:15]
	s_cbranch_execnz .LBB505_648
.LBB505_630:
	s_or_b64 exec, exec, s[14:15]
	s_and_saveexec_b64 s[14:15], s[2:3]
	s_cbranch_execz .LBB505_632
.LBB505_631:
	v_lshlrev_b32_e32 v4, 24, v1
	v_and_b32_e32 v1, 0xffff, v1
	v_and_b32_e32 v5, 7, v1
	v_ffbh_u32_e32 v7, v5
	v_min_u32_e32 v7, 32, v7
	v_subrev_u32_e32 v8, 28, v7
	v_bfe_u32 v6, v1, 3, 4
	v_lshlrev_b32_e32 v1, v8, v1
	v_sub_u32_e32 v7, 29, v7
	v_and_b32_e32 v1, 7, v1
	v_cmp_eq_u32_e32 vcc, 0, v6
	v_and_b32_e32 v4, 0x80000000, v4
	s_nop 0
	v_cndmask_b32_e32 v6, v6, v7, vcc
	v_cndmask_b32_e32 v1, v5, v1, vcc
	v_mov_b32_e32 v5, 0x3b800000
	v_lshlrev_b32_e32 v1, 20, v1
	v_lshl_add_u32 v5, v6, 23, v5
	v_or3_b32 v4, v4, v5, v1
.LBB505_632:
	s_or_b64 exec, exec, s[14:15]
.LBB505_633:
	s_mov_b64 s[2:3], -1
	s_waitcnt vmcnt(0)
	v_mov_b32_e32 v5, 0
.LBB505_634:
	s_mov_b64 s[14:15], 0
.LBB505_635:
	s_and_b64 vcc, exec, s[14:15]
	s_cbranch_vccz .LBB505_671
; %bb.636:
	s_cmp_gt_i32 s18, 22
	s_cbranch_scc0 .LBB505_646
; %bb.637:
	s_cmp_lt_i32 s18, 24
	s_cbranch_scc1 .LBB505_649
; %bb.638:
	s_cmp_gt_i32 s18, 24
	s_cbranch_scc0 .LBB505_650
; %bb.639:
	global_load_ubyte v1, v[2:3], off
	s_movk_i32 s2, 0x7f
	s_waitcnt vmcnt(0)
	v_cmp_lt_i16_e32 vcc, s2, v1
	s_mov_b64 s[2:3], 0
	s_and_saveexec_b64 s[14:15], vcc
	s_xor_b64 s[14:15], exec, s[14:15]
	s_cbranch_execz .LBB505_662
; %bb.640:
	s_movk_i32 s2, 0x80
	v_cmp_eq_u16_e32 vcc, s2, v1
	s_mov_b64 s[2:3], -1
	s_and_saveexec_b64 s[16:17], vcc
; %bb.641:
	s_xor_b64 s[2:3], exec, -1
; %bb.642:
	s_or_b64 exec, exec, s[16:17]
	s_and_b64 s[2:3], s[2:3], exec
	s_or_saveexec_b64 s[14:15], s[14:15]
	v_mov_b32_e32 v4, 0x7f800001
	s_xor_b64 exec, exec, s[14:15]
	s_cbranch_execnz .LBB505_663
.LBB505_643:
	s_or_b64 exec, exec, s[14:15]
	s_and_saveexec_b64 s[14:15], s[2:3]
	s_cbranch_execz .LBB505_645
.LBB505_644:
	v_lshlrev_b32_e32 v4, 24, v1
	v_and_b32_e32 v1, 0xffff, v1
	v_and_b32_e32 v5, 3, v1
	v_ffbh_u32_e32 v7, v5
	v_min_u32_e32 v7, 32, v7
	v_subrev_u32_e32 v8, 29, v7
	v_bfe_u32 v6, v1, 2, 5
	v_lshlrev_b32_e32 v1, v8, v1
	v_sub_u32_e32 v7, 30, v7
	v_and_b32_e32 v1, 3, v1
	v_cmp_eq_u32_e32 vcc, 0, v6
	v_and_b32_e32 v4, 0x80000000, v4
	s_nop 0
	v_cndmask_b32_e32 v6, v6, v7, vcc
	v_cndmask_b32_e32 v1, v5, v1, vcc
	v_mov_b32_e32 v5, 0x37800000
	v_lshlrev_b32_e32 v1, 21, v1
	v_lshl_add_u32 v5, v6, 23, v5
	v_or3_b32 v4, v4, v5, v1
.LBB505_645:
	s_or_b64 exec, exec, s[14:15]
	s_mov_b64 s[2:3], 0
	s_branch .LBB505_651
.LBB505_646:
	s_mov_b64 s[14:15], -1
                                        ; implicit-def: $vgpr4
	s_branch .LBB505_657
.LBB505_647:
	s_or_saveexec_b64 s[14:15], s[14:15]
	v_mov_b32_e32 v4, 0x7f800001
	s_xor_b64 exec, exec, s[14:15]
	s_cbranch_execz .LBB505_630
.LBB505_648:
	v_cmp_ne_u16_e32 vcc, 0, v1
	s_andn2_b64 s[2:3], s[2:3], exec
	s_and_b64 s[16:17], vcc, exec
	v_mov_b32_e32 v4, 0
	s_or_b64 s[2:3], s[2:3], s[16:17]
	s_or_b64 exec, exec, s[14:15]
	s_and_saveexec_b64 s[14:15], s[2:3]
	s_cbranch_execnz .LBB505_631
	s_branch .LBB505_632
.LBB505_649:
	s_mov_b64 s[2:3], -1
                                        ; implicit-def: $vgpr4
	s_branch .LBB505_654
.LBB505_650:
	s_mov_b64 s[2:3], -1
                                        ; implicit-def: $vgpr4
.LBB505_651:
	s_and_b64 vcc, exec, s[2:3]
	s_cbranch_vccz .LBB505_653
; %bb.652:
	global_load_ubyte v1, v[2:3], off
	s_mov_b32 s2, 0x7f800000
	s_waitcnt vmcnt(0)
	v_lshlrev_b32_e32 v1, 24, v1
	v_and_b32_e32 v4, 0x7f000000, v1
	v_ffbh_u32_e32 v5, v4
	v_min_u32_e32 v5, 32, v5
	v_sub_u32_e64 v5, v5, 4 clamp
	v_lshlrev_b32_e32 v7, v5, v4
	v_lshlrev_b32_e32 v5, 23, v5
	v_lshrrev_b32_e32 v7, 4, v7
	v_add_u32_e32 v6, 0x1000000, v4
	v_sub_u32_e32 v5, v7, v5
	v_ashrrev_i32_e32 v6, 8, v6
	v_add_u32_e32 v5, 0x3c000000, v5
	v_and_or_b32 v5, v6, s2, v5
	v_cmp_ne_u32_e32 vcc, 0, v4
	s_brev_b32 s2, 1
	s_nop 0
	v_cndmask_b32_e32 v4, 0, v5, vcc
	v_and_or_b32 v4, v1, s2, v4
.LBB505_653:
	s_mov_b64 s[2:3], 0
.LBB505_654:
	s_andn2_b64 vcc, exec, s[2:3]
	s_cbranch_vccnz .LBB505_656
; %bb.655:
	global_load_ubyte v1, v[2:3], off
	s_movk_i32 s2, 0x7f00
	s_brev_b32 s3, 16
	s_waitcnt vmcnt(0)
	v_lshlrev_b16_e32 v4, 8, v1
	v_lshlrev_b32_e32 v1, 25, v1
	v_lshrrev_b32_e32 v5, 4, v1
	v_and_or_b32 v6, v4, s2, 0.5
	v_or_b32_e32 v5, 0x70000000, v5
	v_add_f32_e32 v6, -0.5, v6
	v_mul_f32_e32 v5, 0x7800000, v5
	v_cmp_gt_u32_e32 vcc, s3, v1
	v_bfe_i32 v4, v4, 0, 16
	s_brev_b32 s2, 1
	v_cndmask_b32_e32 v1, v5, v6, vcc
	v_and_or_b32 v4, v4, s2, v1
.LBB505_656:
	s_mov_b64 s[14:15], 0
	s_mov_b64 s[2:3], -1
.LBB505_657:
	s_andn2_b64 vcc, exec, s[14:15]
	s_cbranch_vccnz .LBB505_670
; %bb.658:
	s_cmp_gt_i32 s18, 14
	s_cbranch_scc0 .LBB505_661
; %bb.659:
	s_cmp_eq_u32 s18, 15
	s_cbranch_scc0 .LBB505_664
; %bb.660:
	global_load_ushort v1, v[2:3], off
	s_mov_b64 s[2:3], -1
	s_mov_b64 s[12:13], 0
	s_waitcnt vmcnt(0)
	v_lshlrev_b32_e32 v4, 16, v1
	s_branch .LBB505_665
.LBB505_661:
	s_mov_b64 s[14:15], -1
                                        ; implicit-def: $vgpr4
	s_branch .LBB505_666
.LBB505_662:
	s_or_saveexec_b64 s[14:15], s[14:15]
	v_mov_b32_e32 v4, 0x7f800001
	s_xor_b64 exec, exec, s[14:15]
	s_cbranch_execz .LBB505_643
.LBB505_663:
	v_cmp_ne_u16_e32 vcc, 0, v1
	s_andn2_b64 s[2:3], s[2:3], exec
	s_and_b64 s[16:17], vcc, exec
	v_mov_b32_e32 v4, 0
	s_or_b64 s[2:3], s[2:3], s[16:17]
	s_or_b64 exec, exec, s[14:15]
	s_and_saveexec_b64 s[14:15], s[2:3]
	s_cbranch_execnz .LBB505_644
	s_branch .LBB505_645
.LBB505_664:
	s_mov_b64 s[12:13], -1
                                        ; implicit-def: $vgpr4
.LBB505_665:
	s_mov_b64 s[14:15], 0
.LBB505_666:
	s_and_b64 vcc, exec, s[14:15]
	s_cbranch_vccz .LBB505_670
; %bb.667:
	s_cmp_eq_u32 s18, 11
	s_cbranch_scc0 .LBB505_669
; %bb.668:
	global_load_ubyte v1, v[2:3], off
	s_mov_b64 s[2:3], -1
	s_mov_b64 s[12:13], 0
	s_waitcnt vmcnt(1)
	v_mov_b32_e32 v5, 0
	s_waitcnt vmcnt(0)
	v_cmp_ne_u16_e32 vcc, 0, v1
	s_nop 1
	v_cndmask_b32_e64 v4, 0, 1.0, vcc
	s_branch .LBB505_671
.LBB505_669:
	s_mov_b64 s[12:13], -1
                                        ; implicit-def: $vgpr4
.LBB505_670:
	s_waitcnt vmcnt(0)
	v_mov_b32_e32 v5, 0
.LBB505_671:
	s_mov_b64 s[14:15], 0
.LBB505_672:
	s_and_b64 vcc, exec, s[14:15]
	s_cbranch_vccz .LBB505_723
; %bb.673:
	s_cmp_lt_i32 s18, 5
	s_cbranch_scc1 .LBB505_678
; %bb.674:
	s_cmp_lt_i32 s18, 8
	s_cbranch_scc1 .LBB505_679
	;; [unrolled: 3-line block ×3, first 2 shown]
; %bb.676:
	s_cmp_gt_i32 s18, 9
	s_cbranch_scc0 .LBB505_681
; %bb.677:
	global_load_dwordx4 v[4:7], v[2:3], off
	s_mov_b64 s[2:3], 0
	s_waitcnt vmcnt(0)
	v_cvt_f32_f64_e32 v4, v[4:5]
	v_cvt_f32_f64_e32 v5, v[6:7]
	s_branch .LBB505_682
.LBB505_678:
	s_mov_b64 s[2:3], -1
                                        ; implicit-def: $vgpr5
	s_branch .LBB505_701
.LBB505_679:
	s_mov_b64 s[2:3], -1
                                        ; implicit-def: $vgpr5
	s_branch .LBB505_688
.LBB505_680:
	s_mov_b64 s[2:3], -1
                                        ; implicit-def: $vgpr5
	s_branch .LBB505_685
.LBB505_681:
	s_mov_b64 s[2:3], -1
                                        ; implicit-def: $vgpr5
.LBB505_682:
	s_andn2_b64 vcc, exec, s[2:3]
	s_cbranch_vccnz .LBB505_684
; %bb.683:
	global_load_dwordx2 v[4:5], v[2:3], off
.LBB505_684:
	s_mov_b64 s[2:3], 0
.LBB505_685:
	s_andn2_b64 vcc, exec, s[2:3]
	s_cbranch_vccnz .LBB505_687
; %bb.686:
	global_load_dword v1, v[2:3], off
	s_waitcnt vmcnt(0)
	v_cvt_f32_f16_sdwa v5, v1 dst_sel:DWORD dst_unused:UNUSED_PAD src0_sel:WORD_1
	v_cvt_f32_f16_e32 v4, v1
.LBB505_687:
	s_mov_b64 s[2:3], 0
.LBB505_688:
	s_andn2_b64 vcc, exec, s[2:3]
	s_cbranch_vccnz .LBB505_700
; %bb.689:
	s_cmp_lt_i32 s18, 6
	s_cbranch_scc1 .LBB505_692
; %bb.690:
	s_cmp_gt_i32 s18, 6
	s_cbranch_scc0 .LBB505_693
; %bb.691:
	global_load_dwordx2 v[4:5], v[2:3], off
	s_mov_b64 s[2:3], 0
	s_waitcnt vmcnt(0)
	v_cvt_f32_f64_e32 v4, v[4:5]
	s_branch .LBB505_694
.LBB505_692:
	s_mov_b64 s[2:3], -1
                                        ; implicit-def: $vgpr4
	s_branch .LBB505_697
.LBB505_693:
	s_mov_b64 s[2:3], -1
                                        ; implicit-def: $vgpr4
.LBB505_694:
	s_andn2_b64 vcc, exec, s[2:3]
	s_cbranch_vccnz .LBB505_696
; %bb.695:
	global_load_dword v4, v[2:3], off
.LBB505_696:
	s_mov_b64 s[2:3], 0
.LBB505_697:
	s_andn2_b64 vcc, exec, s[2:3]
	s_cbranch_vccnz .LBB505_699
; %bb.698:
	global_load_ushort v1, v[2:3], off
	s_waitcnt vmcnt(0)
	v_cvt_f32_f16_e32 v4, v1
.LBB505_699:
	s_waitcnt vmcnt(0)
	v_mov_b32_e32 v5, 0
.LBB505_700:
	s_mov_b64 s[2:3], 0
.LBB505_701:
	s_andn2_b64 vcc, exec, s[2:3]
	s_cbranch_vccnz .LBB505_722
; %bb.702:
	s_cmp_lt_i32 s18, 2
	s_cbranch_scc1 .LBB505_706
; %bb.703:
	s_cmp_lt_i32 s18, 3
	s_cbranch_scc1 .LBB505_707
; %bb.704:
	s_cmp_gt_i32 s18, 3
	s_cbranch_scc0 .LBB505_708
; %bb.705:
	global_load_dwordx2 v[4:5], v[2:3], off
	s_mov_b64 s[2:3], 0
	s_waitcnt vmcnt(0)
	v_xor_b32_e32 v6, v4, v5
	v_ffbh_i32_e32 v1, v5
	v_ashrrev_i32_e32 v6, 31, v6
	v_add_u32_e32 v1, -1, v1
	v_add_u32_e32 v6, 32, v6
	v_min_u32_e32 v1, v1, v6
	v_lshlrev_b64 v[4:5], v1, v[4:5]
	v_min_u32_e32 v4, 1, v4
	v_or_b32_e32 v4, v5, v4
	v_cvt_f32_i32_e32 v4, v4
	v_sub_u32_e32 v1, 32, v1
	v_ldexp_f32 v4, v4, v1
	s_branch .LBB505_709
.LBB505_706:
	s_mov_b64 s[2:3], -1
                                        ; implicit-def: $vgpr4
	s_branch .LBB505_715
.LBB505_707:
	s_mov_b64 s[2:3], -1
                                        ; implicit-def: $vgpr4
	s_branch .LBB505_712
.LBB505_708:
	s_mov_b64 s[2:3], -1
                                        ; implicit-def: $vgpr4
.LBB505_709:
	s_andn2_b64 vcc, exec, s[2:3]
	s_cbranch_vccnz .LBB505_711
; %bb.710:
	global_load_dword v1, v[2:3], off
	s_waitcnt vmcnt(0)
	v_cvt_f32_i32_e32 v4, v1
.LBB505_711:
	s_mov_b64 s[2:3], 0
.LBB505_712:
	s_andn2_b64 vcc, exec, s[2:3]
	s_cbranch_vccnz .LBB505_714
; %bb.713:
	global_load_sshort v1, v[2:3], off
	s_waitcnt vmcnt(0)
	v_cvt_f32_i32_e32 v4, v1
.LBB505_714:
	s_mov_b64 s[2:3], 0
.LBB505_715:
	s_andn2_b64 vcc, exec, s[2:3]
	s_cbranch_vccnz .LBB505_721
; %bb.716:
	s_cmp_gt_i32 s18, 0
	s_cbranch_scc0 .LBB505_718
; %bb.717:
	global_load_sbyte v1, v[2:3], off
	s_mov_b64 s[2:3], 0
	s_waitcnt vmcnt(0)
	v_cvt_f32_i32_e32 v4, v1
	s_branch .LBB505_719
.LBB505_718:
	s_mov_b64 s[2:3], -1
                                        ; implicit-def: $vgpr4
.LBB505_719:
	s_andn2_b64 vcc, exec, s[2:3]
	s_cbranch_vccnz .LBB505_721
; %bb.720:
	global_load_ubyte v1, v[2:3], off
	s_waitcnt vmcnt(0)
	v_cvt_f32_ubyte0_e32 v4, v1
.LBB505_721:
	s_waitcnt vmcnt(0)
	v_mov_b32_e32 v5, 0
.LBB505_722:
	s_mov_b64 s[2:3], -1
.LBB505_723:
	s_andn2_b64 vcc, exec, s[2:3]
	s_cbranch_vccnz .LBB505_739
; %bb.724:
	s_waitcnt vmcnt(0)
	v_cmp_o_f32_e32 vcc, v4, v4
	v_mov_b32_e32 v2, s8
	s_and_saveexec_b64 s[2:3], vcc
	s_cbranch_execz .LBB505_728
; %bb.725:
	s_mov_b32 s14, 0x7f800000
	v_cmp_neq_f32_e32 vcc, s14, v4
	v_mov_b32_e32 v2, s9
	s_and_saveexec_b64 s[14:15], vcc
; %bb.726:
	s_mov_b32 s16, 0xff800000
	v_mov_b32_e32 v1, s10
	v_cmp_eq_f32_e32 vcc, s16, v4
	s_nop 1
	v_cndmask_b32_e32 v2, v4, v1, vcc
; %bb.727:
	s_or_b64 exec, exec, s[14:15]
.LBB505_728:
	s_or_b64 exec, exec, s[2:3]
	v_cmp_o_f32_e32 vcc, v5, v5
	v_mov_b32_e32 v3, s8
	s_and_saveexec_b64 s[2:3], vcc
	s_cbranch_execz .LBB505_732
; %bb.729:
	s_mov_b32 s14, 0x7f800000
	v_cmp_neq_f32_e32 vcc, s14, v5
	v_mov_b32_e32 v3, s9
	s_and_saveexec_b64 s[14:15], vcc
; %bb.730:
	s_mov_b32 s16, 0xff800000
	v_mov_b32_e32 v1, s10
	v_cmp_eq_f32_e32 vcc, s16, v5
	s_nop 1
	v_cndmask_b32_e32 v3, v5, v1, vcc
; %bb.731:
	s_or_b64 exec, exec, s[14:15]
.LBB505_732:
	s_or_b64 exec, exec, s[2:3]
	v_mov_b32_e32 v1, 0
	s_and_b32 s20, s77, 0xff
	s_cmp_lt_i32 s20, 11
	v_lshl_add_u64 v[0:1], s[4:5], 0, v[0:1]
	s_cbranch_scc1 .LBB505_740
; %bb.733:
	s_and_b32 s21, 0xffff, s20
	s_cmp_gt_i32 s21, 25
	s_cbranch_scc0 .LBB505_741
; %bb.734:
	s_cmp_gt_i32 s21, 28
	s_cbranch_scc0 .LBB505_742
; %bb.735:
	s_cmp_gt_i32 s21, 43
	s_cbranch_scc0 .LBB505_743
; %bb.736:
	s_cmp_gt_i32 s21, 45
	s_cbranch_scc0 .LBB505_744
; %bb.737:
	s_mov_b64 s[16:17], 0
	s_mov_b64 s[2:3], -1
	s_cmp_eq_u32 s21, 46
	s_mov_b64 s[14:15], 0
	s_cbranch_scc0 .LBB505_745
; %bb.738:
	s_movk_i32 s2, 0x7fff
	v_bfe_u32 v5, v3, 16, 1
	v_add3_u32 v5, v3, v5, s2
	v_bfe_u32 v4, v2, 16, 1
	v_and_b32_e32 v5, 0xffff0000, v5
	v_mov_b32_e32 v6, 0x7fc00000
	v_cmp_o_f32_e32 vcc, v3, v3
	v_add3_u32 v4, v2, v4, s2
	s_mov_b64 s[14:15], -1
	v_cndmask_b32_e32 v5, v6, v5, vcc
	v_cmp_o_f32_e32 vcc, v2, v2
	v_mov_b32_e32 v6, 0x7fc0
	s_mov_b64 s[2:3], 0
	v_cndmask_b32_sdwa v4, v6, v4, vcc dst_sel:DWORD dst_unused:UNUSED_PAD src0_sel:DWORD src1_sel:WORD_1
	v_or_b32_e32 v4, v5, v4
	global_store_dword v[0:1], v4, off
	s_branch .LBB505_745
.LBB505_739:
	s_mov_b64 s[14:15], 0
	s_mov_b64 s[2:3], s[66:67]
	s_branch .LBB505_856
.LBB505_740:
	s_mov_b64 s[16:17], -1
	s_mov_b64 s[14:15], 0
	s_mov_b64 s[2:3], s[66:67]
	s_branch .LBB505_814
.LBB505_741:
	s_mov_b64 s[16:17], -1
	s_mov_b64 s[14:15], 0
	s_mov_b64 s[2:3], s[66:67]
	s_branch .LBB505_772
.LBB505_742:
	s_mov_b64 s[16:17], -1
	s_mov_b64 s[14:15], 0
	s_mov_b64 s[2:3], s[66:67]
	s_branch .LBB505_755
.LBB505_743:
	s_mov_b64 s[16:17], -1
	s_mov_b64 s[14:15], 0
	s_mov_b64 s[2:3], s[66:67]
	s_branch .LBB505_751
.LBB505_744:
	s_mov_b64 s[16:17], -1
	s_mov_b64 s[14:15], 0
	s_mov_b64 s[2:3], s[66:67]
.LBB505_745:
	s_and_b64 vcc, exec, s[16:17]
	s_cbranch_vccz .LBB505_750
; %bb.746:
	s_cmp_eq_u32 s21, 44
	s_mov_b64 s[2:3], -1
	s_cbranch_scc0 .LBB505_750
; %bb.747:
	v_bfe_u32 v4, v2, 23, 8
	s_movk_i32 s2, 0xff
	v_cmp_ne_u32_e32 vcc, s2, v4
	v_mov_b32_e32 v5, 0xff
	s_and_saveexec_b64 s[14:15], vcc
; %bb.748:
	s_mov_b32 s2, 0x3fffff
	v_and_b32_e32 v6, 0x400000, v2
	v_and_or_b32 v4, v2, s2, v4
	v_cmp_ne_u32_e32 vcc, 0, v6
	v_cmp_ne_u32_e64 s[2:3], 0, v4
	s_and_b64 s[2:3], vcc, s[2:3]
	v_lshrrev_b32_e32 v5, 23, v2
	v_cndmask_b32_e64 v4, 0, 1, s[2:3]
	v_add_u32_e32 v5, v5, v4
; %bb.749:
	s_or_b64 exec, exec, s[14:15]
	s_mov_b64 s[14:15], -1
	s_mov_b64 s[2:3], 0
	global_store_byte v[0:1], v5, off
.LBB505_750:
	s_mov_b64 s[16:17], 0
.LBB505_751:
	s_and_b64 vcc, exec, s[16:17]
	s_cbranch_vccz .LBB505_754
; %bb.752:
	s_cmp_eq_u32 s21, 29
	s_mov_b64 s[2:3], -1
	s_cbranch_scc0 .LBB505_754
; %bb.753:
	v_trunc_f32_e32 v4, v2
	v_mul_f32_e32 v5, 0x2f800000, v4
	v_floor_f32_e32 v6, v5
	v_fmamk_f32 v4, v6, 0xcf800000, v4
	v_cvt_u32_f32_e32 v5, v6
	v_cvt_u32_f32_e32 v4, v4
	s_mov_b64 s[14:15], -1
	s_mov_b64 s[2:3], 0
	s_mov_b64 s[16:17], 0
	global_store_dwordx2 v[0:1], v[4:5], off
	s_branch .LBB505_755
.LBB505_754:
	s_mov_b64 s[16:17], 0
.LBB505_755:
	s_and_b64 vcc, exec, s[16:17]
	s_cbranch_vccz .LBB505_771
; %bb.756:
	s_cmp_lt_i32 s21, 27
	s_mov_b64 s[14:15], -1
	s_cbranch_scc1 .LBB505_762
; %bb.757:
	v_cvt_u32_f32_e32 v4, v2
	s_cmp_gt_i32 s21, 27
	s_cbranch_scc0 .LBB505_759
; %bb.758:
	s_mov_b64 s[14:15], 0
	global_store_dword v[0:1], v4, off
.LBB505_759:
	s_andn2_b64 vcc, exec, s[14:15]
	s_cbranch_vccnz .LBB505_761
; %bb.760:
	global_store_short v[0:1], v4, off
.LBB505_761:
	s_mov_b64 s[14:15], 0
.LBB505_762:
	s_andn2_b64 vcc, exec, s[14:15]
	s_cbranch_vccnz .LBB505_770
; %bb.763:
	v_and_b32_e32 v4, 0x7fffffff, v2
	s_mov_b32 s14, 0x43800000
	v_cmp_gt_u32_e32 vcc, s14, v4
	v_mov_b32_e32 v5, 0x80
	s_and_saveexec_b64 s[14:15], vcc
	s_cbranch_execz .LBB505_769
; %bb.764:
	s_mov_b32 s16, 0x3bffffff
	v_cmp_lt_u32_e32 vcc, s16, v4
	s_mov_b64 s[16:17], 0
                                        ; implicit-def: $vgpr4
	s_and_saveexec_b64 s[18:19], vcc
	s_xor_b64 s[18:19], exec, s[18:19]
	s_cbranch_execz .LBB505_887
; %bb.765:
	v_bfe_u32 v4, v2, 20, 1
	s_mov_b32 s22, 0x487ffff
	v_add3_u32 v4, v2, v4, s22
	s_mov_b64 s[16:17], exec
	v_lshrrev_b32_e32 v4, 20, v4
	s_andn2_saveexec_b64 s[18:19], s[18:19]
	s_cbranch_execnz .LBB505_888
.LBB505_766:
	s_or_b64 exec, exec, s[18:19]
	v_mov_b32_e32 v5, 0
	s_and_saveexec_b64 s[18:19], s[16:17]
.LBB505_767:
	v_lshrrev_b32_e32 v5, 24, v2
	s_movk_i32 s16, 0x80
	v_and_or_b32 v5, v5, s16, v4
.LBB505_768:
	s_or_b64 exec, exec, s[18:19]
.LBB505_769:
	s_or_b64 exec, exec, s[14:15]
	global_store_byte v[0:1], v5, off
.LBB505_770:
	s_mov_b64 s[14:15], -1
.LBB505_771:
	s_mov_b64 s[16:17], 0
.LBB505_772:
	s_and_b64 vcc, exec, s[16:17]
	s_cbranch_vccz .LBB505_813
; %bb.773:
	s_cmp_gt_i32 s21, 22
	s_mov_b64 s[16:17], -1
	s_cbranch_scc0 .LBB505_805
; %bb.774:
	s_cmp_lt_i32 s21, 24
	s_mov_b64 s[14:15], -1
	s_cbranch_scc1 .LBB505_794
; %bb.775:
	s_cmp_gt_i32 s21, 24
	s_cbranch_scc0 .LBB505_783
; %bb.776:
	v_and_b32_e32 v4, 0x7fffffff, v2
	s_mov_b32 s14, 0x47800000
	v_cmp_gt_u32_e32 vcc, s14, v4
	v_mov_b32_e32 v5, 0x80
	s_and_saveexec_b64 s[14:15], vcc
	s_cbranch_execz .LBB505_782
; %bb.777:
	s_mov_b32 s16, 0x37ffffff
	v_cmp_lt_u32_e32 vcc, s16, v4
	s_mov_b64 s[16:17], 0
                                        ; implicit-def: $vgpr4
	s_and_saveexec_b64 s[18:19], vcc
	s_xor_b64 s[18:19], exec, s[18:19]
	s_cbranch_execz .LBB505_890
; %bb.778:
	v_bfe_u32 v4, v2, 21, 1
	s_mov_b32 s22, 0x88fffff
	v_add3_u32 v4, v2, v4, s22
	s_mov_b64 s[16:17], exec
	v_lshrrev_b32_e32 v4, 21, v4
	s_andn2_saveexec_b64 s[18:19], s[18:19]
	s_cbranch_execnz .LBB505_891
.LBB505_779:
	s_or_b64 exec, exec, s[18:19]
	v_mov_b32_e32 v5, 0
	s_and_saveexec_b64 s[18:19], s[16:17]
.LBB505_780:
	v_lshrrev_b32_e32 v5, 24, v2
	s_movk_i32 s16, 0x80
	v_and_or_b32 v5, v5, s16, v4
.LBB505_781:
	s_or_b64 exec, exec, s[18:19]
.LBB505_782:
	s_or_b64 exec, exec, s[14:15]
	s_mov_b64 s[14:15], 0
	global_store_byte v[0:1], v5, off
.LBB505_783:
	s_and_b64 vcc, exec, s[14:15]
	s_cbranch_vccz .LBB505_793
; %bb.784:
	v_and_b32_e32 v5, 0x7fffffff, v2
	s_mov_b32 s14, 0x43f00000
	v_cmp_gt_u32_e32 vcc, s14, v5
                                        ; implicit-def: $vgpr4
	s_and_saveexec_b64 s[14:15], vcc
	s_xor_b64 s[14:15], exec, s[14:15]
	s_cbranch_execz .LBB505_790
; %bb.785:
	s_mov_b32 s16, 0x3c7fffff
	v_cmp_lt_u32_e32 vcc, s16, v5
                                        ; implicit-def: $vgpr4
	s_and_saveexec_b64 s[16:17], vcc
	s_xor_b64 s[16:17], exec, s[16:17]
; %bb.786:
	v_bfe_u32 v4, v2, 20, 1
	s_mov_b32 s18, 0x407ffff
	v_add3_u32 v4, v2, v4, s18
	v_lshrrev_b32_e32 v5, 20, v4
	v_and_b32_e32 v4, 0xff00000, v4
	s_mov_b32 s18, 0x7f00000
	v_mov_b32_e32 v6, 0x7e
	v_cmp_ne_u32_e32 vcc, s18, v4
	s_nop 1
	v_cndmask_b32_e32 v4, v6, v5, vcc
; %bb.787:
	s_andn2_saveexec_b64 s[16:17], s[16:17]
; %bb.788:
	s_mov_b32 s18, 0x46800000
	v_add_f32_e64 v4, |v2|, s18
; %bb.789:
	s_or_b64 exec, exec, s[16:17]
                                        ; implicit-def: $vgpr5
.LBB505_790:
	s_andn2_saveexec_b64 s[14:15], s[14:15]
; %bb.791:
	s_mov_b32 s16, 0x7f800000
	v_mov_b32_e32 v4, 0x7e
	v_mov_b32_e32 v6, 0x7f
	v_cmp_lt_u32_e32 vcc, s16, v5
	s_nop 1
	v_cndmask_b32_e32 v4, v4, v6, vcc
; %bb.792:
	s_or_b64 exec, exec, s[14:15]
	v_lshrrev_b32_e32 v5, 24, v2
	s_movk_i32 s14, 0x80
	v_and_or_b32 v4, v5, s14, v4
	global_store_byte v[0:1], v4, off
.LBB505_793:
	s_mov_b64 s[14:15], 0
.LBB505_794:
	s_andn2_b64 vcc, exec, s[14:15]
	s_cbranch_vccnz .LBB505_804
; %bb.795:
	v_and_b32_e32 v5, 0x7fffffff, v2
	s_mov_b32 s14, 0x47800000
	v_cmp_gt_u32_e32 vcc, s14, v5
                                        ; implicit-def: $vgpr4
	s_and_saveexec_b64 s[14:15], vcc
	s_xor_b64 s[14:15], exec, s[14:15]
	s_cbranch_execz .LBB505_801
; %bb.796:
	s_mov_b32 s16, 0x387fffff
	v_cmp_lt_u32_e32 vcc, s16, v5
                                        ; implicit-def: $vgpr4
	s_and_saveexec_b64 s[16:17], vcc
	s_xor_b64 s[16:17], exec, s[16:17]
; %bb.797:
	v_bfe_u32 v4, v2, 21, 1
	s_mov_b32 s18, 0x80fffff
	v_add3_u32 v4, v2, v4, s18
	v_lshrrev_b32_e32 v4, 21, v4
; %bb.798:
	s_andn2_saveexec_b64 s[16:17], s[16:17]
; %bb.799:
	s_mov_b32 s18, 0x43000000
	v_add_f32_e64 v4, |v2|, s18
; %bb.800:
	s_or_b64 exec, exec, s[16:17]
                                        ; implicit-def: $vgpr5
.LBB505_801:
	s_andn2_saveexec_b64 s[14:15], s[14:15]
; %bb.802:
	s_mov_b32 s16, 0x7f800000
	v_mov_b32_e32 v4, 0x7c
	v_mov_b32_e32 v6, 0x7f
	v_cmp_lt_u32_e32 vcc, s16, v5
	s_nop 1
	v_cndmask_b32_e32 v4, v4, v6, vcc
; %bb.803:
	s_or_b64 exec, exec, s[14:15]
	v_lshrrev_b32_e32 v5, 24, v2
	s_movk_i32 s14, 0x80
	v_and_or_b32 v4, v5, s14, v4
	global_store_byte v[0:1], v4, off
.LBB505_804:
	s_mov_b64 s[16:17], 0
	s_mov_b64 s[14:15], -1
.LBB505_805:
	s_andn2_b64 vcc, exec, s[16:17]
	s_cbranch_vccnz .LBB505_813
; %bb.806:
	s_cmp_gt_i32 s21, 14
	s_mov_b64 s[16:17], -1
	s_cbranch_scc0 .LBB505_810
; %bb.807:
	s_cmp_eq_u32 s21, 15
	s_mov_b64 s[2:3], -1
	s_cbranch_scc0 .LBB505_809
; %bb.808:
	v_bfe_u32 v4, v2, 16, 1
	s_movk_i32 s2, 0x7fff
	v_add3_u32 v4, v2, v4, s2
	v_cmp_o_f32_e32 vcc, v2, v2
	v_mov_b32_e32 v5, 0x7fc0
	s_mov_b64 s[14:15], -1
	v_cndmask_b32_sdwa v4, v5, v4, vcc dst_sel:DWORD dst_unused:UNUSED_PAD src0_sel:DWORD src1_sel:WORD_1
	global_store_short v[0:1], v4, off
	s_mov_b64 s[2:3], 0
.LBB505_809:
	s_mov_b64 s[16:17], 0
.LBB505_810:
	s_and_b64 vcc, exec, s[16:17]
	s_cbranch_vccz .LBB505_813
; %bb.811:
	s_cmp_eq_u32 s21, 11
	s_mov_b64 s[2:3], -1
	s_cbranch_scc0 .LBB505_813
; %bb.812:
	v_cmp_neq_f32_e32 vcc, 0, v2
	v_cmp_neq_f32_e64 s[2:3], 0, v3
	s_or_b64 s[2:3], vcc, s[2:3]
	s_mov_b64 s[14:15], -1
	v_cndmask_b32_e64 v4, 0, 1, s[2:3]
	s_mov_b64 s[2:3], 0
	global_store_byte v[0:1], v4, off
.LBB505_813:
	s_mov_b64 s[16:17], 0
.LBB505_814:
	s_and_b64 vcc, exec, s[16:17]
	s_cbranch_vccz .LBB505_853
; %bb.815:
	s_and_b32 s16, 0xffff, s20
	s_cmp_lt_i32 s16, 5
	s_mov_b64 s[14:15], -1
	s_cbranch_scc1 .LBB505_836
; %bb.816:
	s_cmp_lt_i32 s16, 8
	s_cbranch_scc1 .LBB505_826
; %bb.817:
	s_cmp_lt_i32 s16, 9
	s_cbranch_scc1 .LBB505_823
; %bb.818:
	s_cmp_gt_i32 s16, 9
	s_cbranch_scc0 .LBB505_820
; %bb.819:
	v_cvt_f64_f32_e32 v[4:5], v2
	v_cvt_f64_f32_e32 v[6:7], v3
	s_mov_b64 s[14:15], 0
	global_store_dwordx4 v[0:1], v[4:7], off
.LBB505_820:
	s_andn2_b64 vcc, exec, s[14:15]
	s_cbranch_vccnz .LBB505_822
; %bb.821:
	global_store_dwordx2 v[0:1], v[2:3], off
.LBB505_822:
	s_mov_b64 s[14:15], 0
.LBB505_823:
	s_andn2_b64 vcc, exec, s[14:15]
	s_cbranch_vccnz .LBB505_825
; %bb.824:
	v_cvt_f16_f32_e32 v4, v2
	v_cvt_f16_f32_sdwa v3, v3 dst_sel:WORD_1 dst_unused:UNUSED_PAD src0_sel:DWORD
	s_nop 0
	v_or_b32_e32 v3, v3, v4
	global_store_dword v[0:1], v3, off
.LBB505_825:
	s_mov_b64 s[14:15], 0
.LBB505_826:
	s_andn2_b64 vcc, exec, s[14:15]
	s_cbranch_vccnz .LBB505_835
; %bb.827:
	s_cmp_lt_i32 s16, 6
	s_mov_b64 s[14:15], -1
	s_cbranch_scc1 .LBB505_833
; %bb.828:
	s_cmp_gt_i32 s16, 6
	s_cbranch_scc0 .LBB505_830
; %bb.829:
	v_cvt_f64_f32_e32 v[4:5], v2
	s_mov_b64 s[14:15], 0
	global_store_dwordx2 v[0:1], v[4:5], off
.LBB505_830:
	s_andn2_b64 vcc, exec, s[14:15]
	s_cbranch_vccnz .LBB505_832
; %bb.831:
	global_store_dword v[0:1], v2, off
.LBB505_832:
	s_mov_b64 s[14:15], 0
.LBB505_833:
	s_andn2_b64 vcc, exec, s[14:15]
	s_cbranch_vccnz .LBB505_835
; %bb.834:
	v_cvt_f16_f32_e32 v3, v2
	global_store_short v[0:1], v3, off
.LBB505_835:
	s_mov_b64 s[14:15], 0
.LBB505_836:
	s_andn2_b64 vcc, exec, s[14:15]
	s_cbranch_vccnz .LBB505_852
; %bb.837:
	s_cmp_lt_i32 s16, 2
	s_mov_b64 s[14:15], -1
	s_cbranch_scc1 .LBB505_847
; %bb.838:
	s_cmp_lt_i32 s16, 3
	s_cbranch_scc1 .LBB505_844
; %bb.839:
	s_cmp_gt_i32 s16, 3
	s_cbranch_scc0 .LBB505_841
; %bb.840:
	v_trunc_f32_e32 v3, v2
	s_mov_b32 s14, 0x2f800000
	v_mul_f32_e64 v4, |v3|, s14
	v_floor_f32_e32 v4, v4
	s_mov_b32 s14, 0xcf800000
	v_cvt_u32_f32_e32 v5, v4
	v_fma_f32 v4, v4, s14, |v3|
	v_cvt_u32_f32_e32 v4, v4
	v_ashrrev_i32_e32 v3, 31, v3
	v_xor_b32_e32 v5, v5, v3
	s_mov_b64 s[14:15], 0
	v_xor_b32_e32 v4, v4, v3
	v_sub_co_u32_e32 v4, vcc, v4, v3
	s_nop 1
	v_subb_co_u32_e32 v5, vcc, v5, v3, vcc
	global_store_dwordx2 v[0:1], v[4:5], off
.LBB505_841:
	s_andn2_b64 vcc, exec, s[14:15]
	s_cbranch_vccnz .LBB505_843
; %bb.842:
	v_cvt_i32_f32_e32 v3, v2
	global_store_dword v[0:1], v3, off
.LBB505_843:
	s_mov_b64 s[14:15], 0
.LBB505_844:
	s_andn2_b64 vcc, exec, s[14:15]
	s_cbranch_vccnz .LBB505_846
; %bb.845:
	v_cvt_i32_f32_e32 v3, v2
	global_store_short v[0:1], v3, off
.LBB505_846:
	s_mov_b64 s[14:15], 0
.LBB505_847:
	s_andn2_b64 vcc, exec, s[14:15]
	s_cbranch_vccnz .LBB505_852
; %bb.848:
	s_cmp_gt_i32 s16, 0
	s_mov_b64 s[14:15], -1
	s_cbranch_scc0 .LBB505_850
; %bb.849:
	v_cvt_i32_f32_e32 v3, v2
	s_mov_b64 s[14:15], 0
	global_store_byte v[0:1], v3, off
.LBB505_850:
	s_andn2_b64 vcc, exec, s[14:15]
	s_cbranch_vccnz .LBB505_852
; %bb.851:
	v_trunc_f32_e32 v2, v2
	s_mov_b32 s14, 0x2f800000
	v_mul_f32_e64 v3, |v2|, s14
	v_floor_f32_e32 v3, v3
	s_mov_b32 s14, 0xcf800000
	v_fma_f32 v3, v3, s14, |v2|
	v_cvt_u32_f32_e32 v3, v3
	v_ashrrev_i32_e32 v2, 31, v2
	v_xor_b32_e32 v3, v3, v2
	v_sub_u32_e32 v2, v3, v2
	global_store_byte v[0:1], v2, off
.LBB505_852:
	s_mov_b64 s[14:15], -1
.LBB505_853:
	s_andn2_b64 vcc, exec, s[14:15]
	s_cbranch_vccnz .LBB505_855
; %bb.854:
	v_add_u32_e32 v12, 0x80, v12
	s_mov_b64 s[14:15], -1
	s_branch .LBB505_857
.LBB505_855:
	s_mov_b64 s[14:15], 0
.LBB505_856:
                                        ; implicit-def: $vgpr12
.LBB505_857:
	s_andn2_b64 s[16:17], s[66:67], exec
	s_and_b64 s[2:3], s[2:3], exec
	s_or_b64 s[72:73], s[16:17], s[2:3]
	s_andn2_b64 s[2:3], s[64:65], exec
	s_and_b64 s[12:13], s[12:13], exec
	s_or_b64 s[2:3], s[2:3], s[12:13]
	s_orn2_b64 s[18:19], s[14:15], exec
.LBB505_858:
	s_or_b64 exec, exec, s[70:71]
	s_mov_b64 s[12:13], 0
	s_mov_b64 s[14:15], 0
	;; [unrolled: 1-line block ×3, first 2 shown]
                                        ; implicit-def: $vgpr2_vgpr3
                                        ; implicit-def: $vgpr0
                                        ; implicit-def: $vgpr7
	s_and_saveexec_b64 s[70:71], s[18:19]
	s_cbranch_execz .LBB505_961
; %bb.859:
	v_cmp_gt_i32_e32 vcc, s74, v12
	s_mov_b64 s[18:19], s[2:3]
                                        ; implicit-def: $vgpr2_vgpr3
                                        ; implicit-def: $vgpr0
                                        ; implicit-def: $vgpr7
	s_and_saveexec_b64 s[74:75], vcc
	s_cbranch_execz .LBB505_960
; %bb.860:
	s_andn2_b64 vcc, exec, s[46:47]
	s_cbranch_vccnz .LBB505_866
; %bb.861:
	s_andn2_b64 vcc, exec, s[56:57]
	s_cbranch_vccnz .LBB505_867
; %bb.862:
	s_add_i32 s79, s78, 1
	s_cmp_eq_u32 s76, 2
	s_cbranch_scc1 .LBB505_868
; %bb.863:
	s_and_b32 s78, s79, 28
	s_mov_b32 s80, 0
	v_mov_b32_e32 v0, 0
	v_mov_b32_e32 v2, 0
	s_mov_b64 s[56:57], s[34:35]
	s_waitcnt vmcnt(0)
	v_mov_b32_e32 v4, v12
.LBB505_864:                            ; =>This Inner Loop Header: Depth=1
	s_load_dwordx8 s[20:27], s[56:57], 0x4
	s_load_dwordx4 s[40:43], s[56:57], 0x24
	s_load_dwordx8 s[12:19], s[54:55], 0x0
	s_add_u32 s56, s56, 48
	s_addc_u32 s57, s57, 0
	s_waitcnt lgkmcnt(0)
	v_mul_hi_u32 v1, s21, v4
	v_add_u32_e32 v1, v4, v1
	v_lshrrev_b32_e32 v1, s22, v1
	v_mul_lo_u32 v3, v1, s20
	v_mul_hi_u32 v5, s24, v1
	v_sub_u32_e32 v3, v4, v3
	v_add_u32_e32 v4, v1, v5
	v_lshrrev_b32_e32 v4, s25, v4
	v_mul_lo_u32 v6, v4, s23
	v_mul_hi_u32 v7, s27, v4
	v_sub_u32_e32 v1, v1, v6
	v_add_u32_e32 v6, v4, v7
	v_mul_lo_u32 v5, v3, s13
	v_mul_lo_u32 v3, v3, s12
	;; [unrolled: 1-line block ×4, first 2 shown]
	v_lshrrev_b32_e32 v6, s40, v6
	v_add3_u32 v0, v3, v0, v1
	v_mul_hi_u32 v3, s42, v6
	v_add3_u32 v1, v5, v2, v7
	v_mul_lo_u32 v2, v6, s26
	v_add_u32_e32 v3, v6, v3
	v_sub_u32_e32 v2, v4, v2
	v_lshrrev_b32_e32 v4, s43, v3
	s_add_i32 s80, s80, 4
	v_mul_lo_u32 v3, v4, s41
	s_add_u32 s54, s54, 32
	v_sub_u32_e32 v3, v6, v3
	s_addc_u32 s55, s55, 0
	v_mul_lo_u32 v5, v2, s16
	v_mul_lo_u32 v2, v2, s17
	;; [unrolled: 1-line block ×4, first 2 shown]
	s_cmp_eq_u32 s78, s80
	v_add3_u32 v2, v2, v1, v3
	v_add3_u32 v0, v5, v0, v6
	s_cbranch_scc0 .LBB505_864
; %bb.865:
	v_mov_b32_e32 v1, v2
	s_branch .LBB505_869
.LBB505_866:
	s_mov_b64 s[12:13], -1
                                        ; implicit-def: $vgpr2
                                        ; implicit-def: $vgpr0
	s_branch .LBB505_873
.LBB505_867:
	v_mov_b32_e32 v2, 0
	v_mov_b32_e32 v0, 0
	s_branch .LBB505_872
.LBB505_868:
	v_mov_b32_e32 v0, 0
	s_mov_b32 s78, 0
	v_mov_b32_e32 v1, v0
                                        ; implicit-def: $vgpr2
	s_waitcnt vmcnt(0)
	v_mov_b32_e32 v4, v12
.LBB505_869:
	s_and_b32 s16, s79, 3
	s_cmp_eq_u32 s16, 0
	s_cbranch_scc1 .LBB505_872
; %bb.870:
	s_lshl_b32 s12, s78, 3
	s_add_u32 s12, s34, s12
	s_addc_u32 s13, s35, 0
	s_add_u32 s12, s12, 0xc4
	s_addc_u32 s13, s13, 0
	s_mul_i32 s14, s78, 12
	s_add_u32 s14, s34, s14
	s_addc_u32 s15, s35, 0
.LBB505_871:                            ; =>This Inner Loop Header: Depth=1
	s_load_dwordx2 s[18:19], s[14:15], 0x4
	s_load_dword s17, s[14:15], 0xc
	s_load_dwordx2 s[20:21], s[12:13], 0x0
	v_mov_b32_e32 v2, v1
	s_add_u32 s14, s14, 12
	s_waitcnt lgkmcnt(0)
	v_mul_hi_u32 v1, s19, v4
	v_add_u32_e32 v1, v4, v1
	v_lshrrev_b32_e32 v1, s17, v1
	s_addc_u32 s15, s15, 0
	v_mul_lo_u32 v3, v1, s18
	s_add_u32 s12, s12, 8
	v_sub_u32_e32 v5, v4, v3
	s_addc_u32 s13, s13, 0
	s_add_i32 s16, s16, -1
	v_mov_b32_e32 v4, v1
	v_mad_u64_u32 v[2:3], s[18:19], v5, s21, v[2:3]
	v_mad_u64_u32 v[0:1], s[18:19], v5, s20, v[0:1]
	s_cmp_lg_u32 s16, 0
	v_mov_b32_e32 v1, v2
	s_cbranch_scc1 .LBB505_871
.LBB505_872:
	s_mov_b64 s[12:13], 0
.LBB505_873:
	s_andn2_b64 vcc, exec, s[12:13]
	s_cbranch_vccnz .LBB505_876
; %bb.874:
	v_mul_hi_u32 v0, s29, v12
	v_add_u32_e32 v0, v12, v0
	v_lshrrev_b32_e32 v1, s30, v0
	v_mul_lo_u32 v0, v1, s28
	v_sub_u32_e32 v0, v12, v0
	v_mul_lo_u32 v2, v0, s37
	s_andn2_b64 vcc, exec, s[52:53]
	v_mul_lo_u32 v0, v0, s36
	s_cbranch_vccnz .LBB505_876
; %bb.875:
	v_mul_hi_u32 v3, s50, v1
	v_add_u32_e32 v3, v1, v3
	v_lshrrev_b32_e32 v3, s51, v3
	v_mul_lo_u32 v3, v3, s31
	v_sub_u32_e32 v3, v1, v3
	v_mad_u64_u32 v[0:1], s[12:13], v3, s38, v[0:1]
	v_mad_u64_u32 v[2:3], s[12:13], v3, s39, v[2:3]
.LBB505_876:
	v_mov_b32_e32 v3, 0
	s_and_b32 s20, 0xffff, s11
	s_cmp_lt_i32 s20, 11
	v_lshl_add_u64 v[2:3], s[6:7], 0, v[2:3]
	s_cbranch_scc1 .LBB505_883
; %bb.877:
	s_cmp_gt_i32 s20, 25
	s_mov_b64 s[12:13], 0
	s_cbranch_scc0 .LBB505_884
; %bb.878:
	s_cmp_gt_i32 s20, 28
	s_cbranch_scc0 .LBB505_885
; %bb.879:
	s_cmp_gt_i32 s20, 43
	;; [unrolled: 3-line block ×3, first 2 shown]
	s_cbranch_scc0 .LBB505_889
; %bb.881:
	s_cmp_eq_u32 s20, 46
	s_mov_b64 s[16:17], 0
	s_cbranch_scc0 .LBB505_892
; %bb.882:
	global_load_dword v1, v[2:3], off
	s_mov_b64 s[6:7], 0
	s_mov_b64 s[14:15], -1
	s_waitcnt vmcnt(0)
	v_and_b32_e32 v7, 0xffff0000, v1
	v_lshlrev_b32_e32 v6, 16, v1
	s_branch .LBB505_893
.LBB505_883:
	s_mov_b64 s[18:19], -1
	s_mov_b64 s[14:15], 0
	s_mov_b64 s[12:13], 0
	;; [unrolled: 1-line block ×3, first 2 shown]
                                        ; implicit-def: $vgpr7
	s_branch .LBB505_959
.LBB505_884:
	s_mov_b64 s[16:17], -1
	s_mov_b64 s[14:15], 0
	s_mov_b64 s[6:7], s[2:3]
                                        ; implicit-def: $vgpr7
	s_branch .LBB505_924
.LBB505_885:
	s_mov_b64 s[16:17], -1
	s_mov_b64 s[14:15], 0
	s_mov_b64 s[6:7], s[2:3]
                                        ; implicit-def: $vgpr7
	s_branch .LBB505_905
.LBB505_886:
	s_mov_b64 s[16:17], -1
	s_mov_b64 s[14:15], 0
	s_mov_b64 s[6:7], s[2:3]
                                        ; implicit-def: $vgpr7
	s_branch .LBB505_899
.LBB505_887:
	s_andn2_saveexec_b64 s[18:19], s[18:19]
	s_cbranch_execz .LBB505_766
.LBB505_888:
	s_mov_b32 s22, 0x46000000
	v_add_f32_e64 v4, |v2|, s22
	v_and_b32_e32 v4, 0xff, v4
	v_cmp_ne_u32_e32 vcc, 0, v4
	s_andn2_b64 s[16:17], s[16:17], exec
	s_and_b64 s[22:23], vcc, exec
	s_or_b64 s[16:17], s[16:17], s[22:23]
	s_or_b64 exec, exec, s[18:19]
	v_mov_b32_e32 v5, 0
	s_and_saveexec_b64 s[18:19], s[16:17]
	s_cbranch_execnz .LBB505_767
	s_branch .LBB505_768
.LBB505_889:
	s_mov_b64 s[16:17], -1
	s_mov_b64 s[14:15], 0
	s_mov_b64 s[6:7], s[2:3]
                                        ; implicit-def: $vgpr7
	s_branch .LBB505_893
.LBB505_890:
	s_andn2_saveexec_b64 s[18:19], s[18:19]
	s_cbranch_execz .LBB505_779
.LBB505_891:
	s_mov_b32 s22, 0x42800000
	v_add_f32_e64 v4, |v2|, s22
	v_and_b32_e32 v4, 0xff, v4
	v_cmp_ne_u32_e32 vcc, 0, v4
	s_andn2_b64 s[16:17], s[16:17], exec
	s_and_b64 s[22:23], vcc, exec
	s_or_b64 s[16:17], s[16:17], s[22:23]
	s_or_b64 exec, exec, s[18:19]
	v_mov_b32_e32 v5, 0
	s_and_saveexec_b64 s[18:19], s[16:17]
	s_cbranch_execnz .LBB505_780
	s_branch .LBB505_781
.LBB505_892:
	s_mov_b64 s[6:7], -1
                                        ; implicit-def: $vgpr7
	s_mov_b64 s[14:15], 0
.LBB505_893:
	s_and_b64 vcc, exec, s[16:17]
	s_cbranch_vccz .LBB505_898
; %bb.894:
	s_cmp_eq_u32 s20, 44
	s_cbranch_scc0 .LBB505_896
; %bb.895:
	global_load_ubyte v1, v[2:3], off
	s_movk_i32 s14, 0xff
	s_waitcnt vmcnt(1)
	v_mov_b32_e32 v4, 0x7f800001
	v_mov_b32_e32 v5, 0x400000
	s_mov_b64 s[6:7], 0
	s_waitcnt vmcnt(0)
	v_lshlrev_b32_e32 v6, 23, v1
	v_cmp_ne_u32_e32 vcc, s14, v1
	s_mov_b64 s[14:15], -1
	s_nop 0
	v_cndmask_b32_e32 v4, v4, v6, vcc
	v_cmp_ne_u32_e32 vcc, 0, v1
	s_nop 1
	v_cndmask_b32_e32 v6, v5, v4, vcc
	s_branch .LBB505_897
.LBB505_896:
	s_mov_b64 s[6:7], -1
                                        ; implicit-def: $vgpr6
.LBB505_897:
	v_mov_b32_e32 v7, 0
.LBB505_898:
	s_mov_b64 s[16:17], 0
.LBB505_899:
	s_and_b64 vcc, exec, s[16:17]
	s_cbranch_vccz .LBB505_904
; %bb.900:
	s_cmp_eq_u32 s20, 29
	s_cbranch_scc0 .LBB505_902
; %bb.901:
	global_load_dwordx2 v[4:5], v[2:3], off
	s_mov_b64 s[6:7], 0
	s_mov_b64 s[14:15], -1
	s_waitcnt vmcnt(0)
	v_ffbh_u32_e32 v1, v5
	v_min_u32_e32 v1, 32, v1
	v_lshlrev_b64 v[4:5], v1, v[4:5]
	v_min_u32_e32 v4, 1, v4
	v_or_b32_e32 v4, v5, v4
	v_cvt_f32_u32_e32 v4, v4
	v_sub_u32_e32 v1, 32, v1
	v_ldexp_f32 v6, v4, v1
	s_branch .LBB505_903
.LBB505_902:
	s_mov_b64 s[6:7], -1
                                        ; implicit-def: $vgpr6
.LBB505_903:
	v_mov_b32_e32 v7, 0
.LBB505_904:
	s_mov_b64 s[16:17], 0
.LBB505_905:
	s_and_b64 vcc, exec, s[16:17]
	s_cbranch_vccz .LBB505_923
; %bb.906:
	s_cmp_lt_i32 s20, 27
	s_cbranch_scc1 .LBB505_909
; %bb.907:
	s_cmp_gt_i32 s20, 27
	s_cbranch_scc0 .LBB505_910
; %bb.908:
	global_load_dword v1, v[2:3], off
	s_mov_b64 s[14:15], 0
	s_waitcnt vmcnt(0)
	v_cvt_f32_u32_e32 v6, v1
	s_branch .LBB505_911
.LBB505_909:
	s_mov_b64 s[14:15], -1
                                        ; implicit-def: $vgpr6
	s_branch .LBB505_914
.LBB505_910:
	s_mov_b64 s[14:15], -1
                                        ; implicit-def: $vgpr6
.LBB505_911:
	s_andn2_b64 vcc, exec, s[14:15]
	s_cbranch_vccnz .LBB505_913
; %bb.912:
	global_load_ushort v1, v[2:3], off
	s_waitcnt vmcnt(0)
	v_cvt_f32_u32_e32 v6, v1
.LBB505_913:
	s_mov_b64 s[14:15], 0
.LBB505_914:
	s_andn2_b64 vcc, exec, s[14:15]
	s_cbranch_vccnz .LBB505_922
; %bb.915:
	global_load_ubyte v1, v[2:3], off
	s_movk_i32 s14, 0x7f
	s_waitcnt vmcnt(0)
	v_cmp_lt_i16_e32 vcc, s14, v1
	s_mov_b64 s[14:15], 0
	s_and_saveexec_b64 s[16:17], vcc
	s_xor_b64 s[16:17], exec, s[16:17]
	s_cbranch_execz .LBB505_936
; %bb.916:
	s_movk_i32 s14, 0x80
	v_cmp_eq_u16_e32 vcc, s14, v1
	s_mov_b64 s[14:15], -1
	s_and_saveexec_b64 s[18:19], vcc
; %bb.917:
	s_xor_b64 s[14:15], exec, -1
; %bb.918:
	s_or_b64 exec, exec, s[18:19]
	s_and_b64 s[14:15], s[14:15], exec
	s_or_saveexec_b64 s[16:17], s[16:17]
	v_mov_b32_e32 v6, 0x7f800001
	s_xor_b64 exec, exec, s[16:17]
	s_cbranch_execnz .LBB505_937
.LBB505_919:
	s_or_b64 exec, exec, s[16:17]
	s_and_saveexec_b64 s[16:17], s[14:15]
	s_cbranch_execz .LBB505_921
.LBB505_920:
	v_lshlrev_b32_e32 v4, 24, v1
	v_and_b32_e32 v1, 0xffff, v1
	v_and_b32_e32 v5, 7, v1
	v_ffbh_u32_e32 v7, v5
	v_min_u32_e32 v7, 32, v7
	v_subrev_u32_e32 v8, 28, v7
	v_bfe_u32 v6, v1, 3, 4
	v_lshlrev_b32_e32 v1, v8, v1
	v_sub_u32_e32 v7, 29, v7
	v_and_b32_e32 v1, 7, v1
	v_cmp_eq_u32_e32 vcc, 0, v6
	v_and_b32_e32 v4, 0x80000000, v4
	s_nop 0
	v_cndmask_b32_e32 v6, v6, v7, vcc
	v_cndmask_b32_e32 v1, v5, v1, vcc
	v_mov_b32_e32 v5, 0x3b800000
	v_lshlrev_b32_e32 v1, 20, v1
	v_lshl_add_u32 v5, v6, 23, v5
	v_or3_b32 v6, v4, v5, v1
.LBB505_921:
	s_or_b64 exec, exec, s[16:17]
.LBB505_922:
	s_mov_b64 s[14:15], -1
	v_mov_b32_e32 v7, 0
.LBB505_923:
	s_mov_b64 s[16:17], 0
.LBB505_924:
	s_and_b64 vcc, exec, s[16:17]
	s_cbranch_vccz .LBB505_958
; %bb.925:
	s_cmp_gt_i32 s20, 22
	s_cbranch_scc0 .LBB505_935
; %bb.926:
	s_cmp_lt_i32 s20, 24
	s_cbranch_scc1 .LBB505_938
; %bb.927:
	s_cmp_gt_i32 s20, 24
	s_cbranch_scc0 .LBB505_939
; %bb.928:
	global_load_ubyte v1, v[2:3], off
	s_movk_i32 s12, 0x7f
	s_waitcnt vmcnt(0)
	v_cmp_lt_i16_e32 vcc, s12, v1
	s_mov_b64 s[12:13], 0
	s_and_saveexec_b64 s[14:15], vcc
	s_xor_b64 s[14:15], exec, s[14:15]
	s_cbranch_execz .LBB505_951
; %bb.929:
	s_movk_i32 s12, 0x80
	v_cmp_eq_u16_e32 vcc, s12, v1
	s_mov_b64 s[12:13], -1
	s_and_saveexec_b64 s[16:17], vcc
; %bb.930:
	s_xor_b64 s[12:13], exec, -1
; %bb.931:
	s_or_b64 exec, exec, s[16:17]
	s_and_b64 s[12:13], s[12:13], exec
	s_or_saveexec_b64 s[14:15], s[14:15]
	v_mov_b32_e32 v6, 0x7f800001
	s_xor_b64 exec, exec, s[14:15]
	s_cbranch_execnz .LBB505_952
.LBB505_932:
	s_or_b64 exec, exec, s[14:15]
	s_and_saveexec_b64 s[14:15], s[12:13]
	s_cbranch_execz .LBB505_934
.LBB505_933:
	v_lshlrev_b32_e32 v4, 24, v1
	v_and_b32_e32 v1, 0xffff, v1
	v_and_b32_e32 v5, 3, v1
	v_ffbh_u32_e32 v7, v5
	v_min_u32_e32 v7, 32, v7
	v_subrev_u32_e32 v8, 29, v7
	v_bfe_u32 v6, v1, 2, 5
	v_lshlrev_b32_e32 v1, v8, v1
	v_sub_u32_e32 v7, 30, v7
	v_and_b32_e32 v1, 3, v1
	v_cmp_eq_u32_e32 vcc, 0, v6
	v_and_b32_e32 v4, 0x80000000, v4
	s_nop 0
	v_cndmask_b32_e32 v6, v6, v7, vcc
	v_cndmask_b32_e32 v1, v5, v1, vcc
	v_mov_b32_e32 v5, 0x37800000
	v_lshlrev_b32_e32 v1, 21, v1
	v_lshl_add_u32 v5, v6, 23, v5
	v_or3_b32 v6, v4, v5, v1
.LBB505_934:
	s_or_b64 exec, exec, s[14:15]
	s_mov_b64 s[12:13], 0
	s_branch .LBB505_940
.LBB505_935:
	s_mov_b64 s[12:13], -1
                                        ; implicit-def: $vgpr6
	s_branch .LBB505_946
.LBB505_936:
	s_or_saveexec_b64 s[16:17], s[16:17]
	v_mov_b32_e32 v6, 0x7f800001
	s_xor_b64 exec, exec, s[16:17]
	s_cbranch_execz .LBB505_919
.LBB505_937:
	v_cmp_ne_u16_e32 vcc, 0, v1
	s_andn2_b64 s[14:15], s[14:15], exec
	s_and_b64 s[18:19], vcc, exec
	v_mov_b32_e32 v6, 0
	s_or_b64 s[14:15], s[14:15], s[18:19]
	s_or_b64 exec, exec, s[16:17]
	s_and_saveexec_b64 s[16:17], s[14:15]
	s_cbranch_execnz .LBB505_920
	s_branch .LBB505_921
.LBB505_938:
	s_mov_b64 s[12:13], -1
                                        ; implicit-def: $vgpr6
	s_branch .LBB505_943
.LBB505_939:
	s_mov_b64 s[12:13], -1
                                        ; implicit-def: $vgpr6
.LBB505_940:
	s_and_b64 vcc, exec, s[12:13]
	s_cbranch_vccz .LBB505_942
; %bb.941:
	global_load_ubyte v1, v[2:3], off
	s_mov_b32 s12, 0x7f800000
	s_waitcnt vmcnt(0)
	v_lshlrev_b32_e32 v1, 24, v1
	v_and_b32_e32 v4, 0x7f000000, v1
	v_ffbh_u32_e32 v5, v4
	v_min_u32_e32 v5, 32, v5
	v_sub_u32_e64 v5, v5, 4 clamp
	v_lshlrev_b32_e32 v7, v5, v4
	v_lshlrev_b32_e32 v5, 23, v5
	v_lshrrev_b32_e32 v7, 4, v7
	v_add_u32_e32 v6, 0x1000000, v4
	v_sub_u32_e32 v5, v7, v5
	v_ashrrev_i32_e32 v6, 8, v6
	v_add_u32_e32 v5, 0x3c000000, v5
	v_and_or_b32 v5, v6, s12, v5
	v_cmp_ne_u32_e32 vcc, 0, v4
	s_brev_b32 s12, 1
	s_nop 0
	v_cndmask_b32_e32 v4, 0, v5, vcc
	v_and_or_b32 v6, v1, s12, v4
.LBB505_942:
	s_mov_b64 s[12:13], 0
.LBB505_943:
	s_andn2_b64 vcc, exec, s[12:13]
	s_cbranch_vccnz .LBB505_945
; %bb.944:
	global_load_ubyte v1, v[2:3], off
	s_movk_i32 s12, 0x7f00
	s_brev_b32 s13, 16
	s_waitcnt vmcnt(0)
	v_lshlrev_b16_e32 v4, 8, v1
	v_lshlrev_b32_e32 v1, 25, v1
	v_lshrrev_b32_e32 v5, 4, v1
	v_and_or_b32 v6, v4, s12, 0.5
	v_or_b32_e32 v5, 0x70000000, v5
	v_add_f32_e32 v6, -0.5, v6
	v_mul_f32_e32 v5, 0x7800000, v5
	v_cmp_gt_u32_e32 vcc, s13, v1
	v_bfe_i32 v4, v4, 0, 16
	s_brev_b32 s12, 1
	v_cndmask_b32_e32 v1, v5, v6, vcc
	v_and_or_b32 v6, v4, s12, v1
.LBB505_945:
	s_mov_b64 s[12:13], 0
	s_mov_b64 s[14:15], -1
.LBB505_946:
	s_andn2_b64 vcc, exec, s[12:13]
	s_mov_b64 s[12:13], 0
	s_cbranch_vccnz .LBB505_957
; %bb.947:
	s_cmp_gt_i32 s20, 14
	s_cbranch_scc0 .LBB505_950
; %bb.948:
	s_cmp_eq_u32 s20, 15
	s_cbranch_scc0 .LBB505_953
; %bb.949:
	global_load_ushort v1, v[2:3], off
	s_mov_b64 s[6:7], 0
	s_mov_b64 s[14:15], -1
	s_waitcnt vmcnt(0)
	v_lshlrev_b32_e32 v6, 16, v1
	s_branch .LBB505_954
.LBB505_950:
	s_mov_b64 s[16:17], -1
                                        ; implicit-def: $vgpr6
	s_branch .LBB505_955
.LBB505_951:
	s_or_saveexec_b64 s[14:15], s[14:15]
	v_mov_b32_e32 v6, 0x7f800001
	s_xor_b64 exec, exec, s[14:15]
	s_cbranch_execz .LBB505_932
.LBB505_952:
	v_cmp_ne_u16_e32 vcc, 0, v1
	s_andn2_b64 s[12:13], s[12:13], exec
	s_and_b64 s[16:17], vcc, exec
	v_mov_b32_e32 v6, 0
	s_or_b64 s[12:13], s[12:13], s[16:17]
	s_or_b64 exec, exec, s[14:15]
	s_and_saveexec_b64 s[14:15], s[12:13]
	s_cbranch_execnz .LBB505_933
	s_branch .LBB505_934
.LBB505_953:
	s_mov_b64 s[6:7], -1
                                        ; implicit-def: $vgpr6
.LBB505_954:
	s_mov_b64 s[16:17], 0
.LBB505_955:
	s_and_b64 vcc, exec, s[16:17]
	s_cbranch_vccz .LBB505_957
; %bb.956:
	s_cmp_lg_u32 s20, 11
	s_cselect_b64 s[16:17], -1, 0
	s_andn2_b64 s[6:7], s[6:7], exec
	s_and_b64 s[16:17], s[16:17], exec
	s_mov_b64 s[12:13], -1
	s_or_b64 s[6:7], s[6:7], s[16:17]
.LBB505_957:
	v_mov_b32_e32 v7, 0
.LBB505_958:
	s_mov_b64 s[18:19], 0
.LBB505_959:
	s_and_b64 s[16:17], s[14:15], exec
	s_and_b64 s[14:15], s[18:19], exec
	s_andn2_b64 s[18:19], s[2:3], exec
	s_and_b64 s[6:7], s[6:7], exec
	s_and_b64 s[12:13], s[12:13], exec
	s_or_b64 s[18:19], s[18:19], s[6:7]
.LBB505_960:
	s_or_b64 exec, exec, s[74:75]
	s_andn2_b64 s[2:3], s[2:3], exec
	s_and_b64 s[6:7], s[18:19], exec
	s_and_b64 s[16:17], s[16:17], exec
	;; [unrolled: 1-line block ×4, first 2 shown]
	s_or_b64 s[2:3], s[2:3], s[6:7]
.LBB505_961:
	s_or_b64 exec, exec, s[70:71]
	s_andn2_b64 s[6:7], s[66:67], exec
	s_and_b64 s[18:19], s[72:73], exec
	s_or_b64 s[66:67], s[6:7], s[18:19]
	s_andn2_b64 s[6:7], s[64:65], exec
	s_and_b64 s[2:3], s[2:3], exec
	s_and_b64 s[16:17], s[16:17], exec
	;; [unrolled: 1-line block ×4, first 2 shown]
	s_or_b64 s[64:65], s[6:7], s[2:3]
.LBB505_962:
	s_or_b64 exec, exec, s[68:69]
	s_andn2_b64 s[2:3], s[58:59], exec
	s_and_b64 s[6:7], s[66:67], exec
	s_or_b64 s[58:59], s[2:3], s[6:7]
	s_and_b64 s[66:67], s[12:13], exec
	s_andn2_b64 s[6:7], s[60:61], exec
	s_and_b64 s[12:13], s[64:65], exec
	s_and_b64 s[2:3], s[16:17], exec
	;; [unrolled: 1-line block ×3, first 2 shown]
	s_or_b64 s[60:61], s[6:7], s[12:13]
	s_or_b64 exec, exec, s[62:63]
	s_mov_b64 s[6:7], 0
	s_and_saveexec_b64 s[12:13], s[60:61]
	s_cbranch_execz .LBB505_288
.LBB505_963:
	s_mov_b64 s[6:7], exec
	s_andn2_b64 s[66:67], s[66:67], exec
	s_trap 2
	s_or_b64 exec, exec, s[12:13]
	s_and_saveexec_b64 s[12:13], s[66:67]
	s_xor_b64 s[12:13], exec, s[12:13]
	s_cbranch_execnz .LBB505_289
.LBB505_964:
	s_or_b64 exec, exec, s[12:13]
	s_and_saveexec_b64 s[12:13], s[14:15]
	s_cbranch_execz .LBB505_1012
.LBB505_965:
	s_sext_i32_i16 s14, s11
	s_cmp_lt_i32 s14, 5
	s_cbranch_scc1 .LBB505_970
; %bb.966:
	s_cmp_lt_i32 s14, 8
	s_cbranch_scc1 .LBB505_971
; %bb.967:
	;; [unrolled: 3-line block ×3, first 2 shown]
	s_cmp_gt_i32 s14, 9
	s_cbranch_scc0 .LBB505_973
; %bb.969:
	global_load_dwordx4 v[6:9], v[2:3], off
	s_mov_b64 s[14:15], 0
	s_waitcnt vmcnt(0)
	v_cvt_f32_f64_e32 v6, v[6:7]
	v_cvt_f32_f64_e32 v7, v[8:9]
	s_branch .LBB505_974
.LBB505_970:
                                        ; implicit-def: $vgpr7
	s_branch .LBB505_992
.LBB505_971:
                                        ; implicit-def: $vgpr7
	s_branch .LBB505_980
.LBB505_972:
	s_mov_b64 s[14:15], -1
                                        ; implicit-def: $vgpr7
	s_branch .LBB505_977
.LBB505_973:
	s_mov_b64 s[14:15], -1
                                        ; implicit-def: $vgpr7
.LBB505_974:
	s_andn2_b64 vcc, exec, s[14:15]
	s_cbranch_vccnz .LBB505_976
; %bb.975:
	global_load_dwordx2 v[6:7], v[2:3], off
.LBB505_976:
	s_mov_b64 s[14:15], 0
.LBB505_977:
	s_andn2_b64 vcc, exec, s[14:15]
	s_cbranch_vccnz .LBB505_979
; %bb.978:
	global_load_dword v1, v[2:3], off
	s_waitcnt vmcnt(0)
	v_cvt_f32_f16_sdwa v7, v1 dst_sel:DWORD dst_unused:UNUSED_PAD src0_sel:WORD_1
	v_cvt_f32_f16_e32 v6, v1
.LBB505_979:
	s_cbranch_execnz .LBB505_991
.LBB505_980:
	s_sext_i32_i16 s14, s11
	s_cmp_lt_i32 s14, 6
	s_cbranch_scc1 .LBB505_983
; %bb.981:
	s_cmp_gt_i32 s14, 6
	s_cbranch_scc0 .LBB505_984
; %bb.982:
	global_load_dwordx2 v[4:5], v[2:3], off
	s_mov_b64 s[14:15], 0
	s_waitcnt vmcnt(0)
	v_cvt_f32_f64_e32 v6, v[4:5]
	s_branch .LBB505_985
.LBB505_983:
	s_mov_b64 s[14:15], -1
                                        ; implicit-def: $vgpr6
	s_branch .LBB505_988
.LBB505_984:
	s_mov_b64 s[14:15], -1
                                        ; implicit-def: $vgpr6
.LBB505_985:
	s_andn2_b64 vcc, exec, s[14:15]
	s_cbranch_vccnz .LBB505_987
; %bb.986:
	global_load_dword v6, v[2:3], off
.LBB505_987:
	s_mov_b64 s[14:15], 0
.LBB505_988:
	s_andn2_b64 vcc, exec, s[14:15]
	s_cbranch_vccnz .LBB505_990
; %bb.989:
	global_load_ushort v1, v[2:3], off
	s_waitcnt vmcnt(0)
	v_cvt_f32_f16_e32 v6, v1
.LBB505_990:
	s_waitcnt vmcnt(0)
	v_mov_b32_e32 v7, 0
.LBB505_991:
	s_cbranch_execnz .LBB505_1011
.LBB505_992:
	s_sext_i32_i16 s14, s11
	s_cmp_lt_i32 s14, 2
	s_cbranch_scc1 .LBB505_996
; %bb.993:
	s_cmp_lt_i32 s14, 3
	s_cbranch_scc1 .LBB505_997
; %bb.994:
	s_cmp_gt_i32 s14, 3
	s_cbranch_scc0 .LBB505_998
; %bb.995:
	global_load_dwordx2 v[4:5], v[2:3], off
	s_mov_b64 s[14:15], 0
	s_waitcnt vmcnt(0)
	v_xor_b32_e32 v6, v4, v5
	v_ffbh_i32_e32 v1, v5
	v_ashrrev_i32_e32 v6, 31, v6
	v_add_u32_e32 v1, -1, v1
	v_add_u32_e32 v6, 32, v6
	v_min_u32_e32 v1, v1, v6
	v_lshlrev_b64 v[4:5], v1, v[4:5]
	v_min_u32_e32 v4, 1, v4
	v_or_b32_e32 v4, v5, v4
	v_cvt_f32_i32_e32 v4, v4
	v_sub_u32_e32 v1, 32, v1
	v_ldexp_f32 v6, v4, v1
	s_branch .LBB505_999
.LBB505_996:
                                        ; implicit-def: $vgpr6
	s_branch .LBB505_1005
.LBB505_997:
	s_mov_b64 s[14:15], -1
                                        ; implicit-def: $vgpr6
	s_branch .LBB505_1002
.LBB505_998:
	s_mov_b64 s[14:15], -1
                                        ; implicit-def: $vgpr6
.LBB505_999:
	s_andn2_b64 vcc, exec, s[14:15]
	s_cbranch_vccnz .LBB505_1001
; %bb.1000:
	global_load_dword v1, v[2:3], off
	s_waitcnt vmcnt(0)
	v_cvt_f32_i32_e32 v6, v1
.LBB505_1001:
	s_mov_b64 s[14:15], 0
.LBB505_1002:
	s_andn2_b64 vcc, exec, s[14:15]
	s_cbranch_vccnz .LBB505_1004
; %bb.1003:
	global_load_sshort v1, v[2:3], off
	s_waitcnt vmcnt(0)
	v_cvt_f32_i32_e32 v6, v1
.LBB505_1004:
	s_cbranch_execnz .LBB505_1010
.LBB505_1005:
	s_sext_i32_i16 s11, s11
	s_cmp_gt_i32 s11, 0
	s_cbranch_scc0 .LBB505_1007
; %bb.1006:
	global_load_sbyte v1, v[2:3], off
	s_mov_b64 s[14:15], 0
	s_waitcnt vmcnt(0)
	v_cvt_f32_i32_e32 v6, v1
	s_branch .LBB505_1008
.LBB505_1007:
	s_mov_b64 s[14:15], -1
                                        ; implicit-def: $vgpr6
.LBB505_1008:
	s_andn2_b64 vcc, exec, s[14:15]
	s_cbranch_vccnz .LBB505_1010
; %bb.1009:
	global_load_ubyte v1, v[2:3], off
	s_waitcnt vmcnt(0)
	v_cvt_f32_ubyte0_e32 v6, v1
.LBB505_1010:
	s_waitcnt vmcnt(0)
	v_mov_b32_e32 v7, 0
.LBB505_1011:
	s_or_b64 s[2:3], s[2:3], exec
.LBB505_1012:
	s_or_b64 exec, exec, s[12:13]
	s_mov_b64 s[16:17], 0
	s_mov_b64 s[14:15], 0
                                        ; implicit-def: $sgpr18
                                        ; implicit-def: $vgpr4_vgpr5
                                        ; implicit-def: $vgpr3
	s_and_saveexec_b64 s[12:13], s[2:3]
	s_cbranch_execz .LBB505_1028
; %bb.1013:
	s_waitcnt vmcnt(0)
	v_cmp_o_f32_e32 vcc, v6, v6
	v_mov_b32_e32 v2, s8
	s_and_saveexec_b64 s[2:3], vcc
	s_cbranch_execz .LBB505_1017
; %bb.1014:
	s_mov_b32 s11, 0x7f800000
	v_cmp_neq_f32_e32 vcc, s11, v6
	v_mov_b32_e32 v2, s9
	s_and_saveexec_b64 s[14:15], vcc
; %bb.1015:
	s_mov_b32 s11, 0xff800000
	v_mov_b32_e32 v1, s10
	v_cmp_eq_f32_e32 vcc, s11, v6
	s_nop 1
	v_cndmask_b32_e32 v2, v6, v1, vcc
; %bb.1016:
	s_or_b64 exec, exec, s[14:15]
.LBB505_1017:
	s_or_b64 exec, exec, s[2:3]
	v_cmp_o_f32_e32 vcc, v7, v7
	v_mov_b32_e32 v3, s8
	s_and_saveexec_b64 s[2:3], vcc
	s_cbranch_execz .LBB505_1021
; %bb.1018:
	s_mov_b32 s8, 0x7f800000
	v_cmp_neq_f32_e32 vcc, s8, v7
	v_mov_b32_e32 v3, s9
	s_and_saveexec_b64 s[8:9], vcc
; %bb.1019:
	s_mov_b32 s11, 0xff800000
	v_mov_b32_e32 v1, s10
	v_cmp_eq_f32_e32 vcc, s11, v7
	s_nop 1
	v_cndmask_b32_e32 v3, v7, v1, vcc
; %bb.1020:
	s_or_b64 exec, exec, s[8:9]
.LBB505_1021:
	s_or_b64 exec, exec, s[2:3]
	v_mov_b32_e32 v1, 0
	s_and_b32 s18, s77, 0xff
	s_cmp_lt_i32 s18, 11
	v_lshl_add_u64 v[4:5], s[4:5], 0, v[0:1]
	s_cbranch_scc1 .LBB505_1031
; %bb.1022:
	s_and_b32 s16, 0xffff, s18
	s_mov_b64 s[8:9], -1
	s_cmp_gt_i32 s16, 25
	s_mov_b64 s[2:3], s[58:59]
	s_cbranch_scc0 .LBB505_1059
; %bb.1023:
	s_mov_b64 s[4:5], -1
	s_cmp_gt_i32 s16, 28
	s_mov_b64 s[2:3], s[58:59]
	s_cbranch_scc0 .LBB505_1043
; %bb.1024:
	s_cmp_gt_i32 s16, 43
	s_mov_b64 s[2:3], s[58:59]
	s_cbranch_scc0 .LBB505_1039
; %bb.1025:
	;; [unrolled: 4-line block ×3, first 2 shown]
	s_cmp_eq_u32 s16, 46
	s_mov_b64 s[2:3], -1
	s_cbranch_scc0 .LBB505_1032
; %bb.1027:
	s_movk_i32 s2, 0x7fff
	v_bfe_u32 v1, v3, 16, 1
	v_add3_u32 v1, v3, v1, s2
	v_bfe_u32 v0, v2, 16, 1
	v_and_b32_e32 v1, 0xffff0000, v1
	v_mov_b32_e32 v6, 0x7fc00000
	v_cmp_o_f32_e32 vcc, v3, v3
	v_add3_u32 v0, v2, v0, s2
	s_mov_b64 s[2:3], 0
	v_cndmask_b32_e32 v1, v6, v1, vcc
	v_cmp_o_f32_e32 vcc, v2, v2
	v_mov_b32_e32 v6, 0x7fc0
	s_mov_b64 s[4:5], 0
	v_cndmask_b32_sdwa v0, v6, v0, vcc dst_sel:DWORD dst_unused:UNUSED_PAD src0_sel:DWORD src1_sel:WORD_1
	v_or_b32_e32 v0, v1, v0
	global_store_dword v[4:5], v0, off
	s_branch .LBB505_1033
.LBB505_1028:
	s_or_b64 exec, exec, s[12:13]
	s_and_saveexec_b64 s[2:3], s[58:59]
	s_cbranch_execnz .LBB505_1101
.LBB505_1029:
	s_or_b64 exec, exec, s[2:3]
	s_and_saveexec_b64 s[2:3], s[16:17]
	s_xor_b64 s[4:5], exec, s[2:3]
	s_cbranch_execz .LBB505_1102
.LBB505_1030:
	v_cmp_neq_f32_e32 vcc, 0, v2
	v_cmp_neq_f32_e64 s[2:3], 0, v3
	s_or_b64 s[2:3], vcc, s[2:3]
	s_nop 0
	v_cndmask_b32_e64 v0, 0, 1, s[2:3]
	s_waitcnt vmcnt(0)
	global_store_byte v[4:5], v0, off
	s_or_b64 exec, exec, s[4:5]
	s_and_saveexec_b64 s[2:3], s[14:15]
	s_xor_b64 s[2:3], exec, s[2:3]
	s_cbranch_execz .LBB505_1140
	s_branch .LBB505_1103
.LBB505_1031:
	s_mov_b64 s[8:9], 0
	s_mov_b64 s[4:5], -1
	s_mov_b64 s[2:3], s[58:59]
	s_branch .LBB505_1100
.LBB505_1032:
	s_mov_b64 s[4:5], 0
.LBB505_1033:
	s_and_b64 vcc, exec, s[4:5]
	s_cbranch_vccz .LBB505_1038
; %bb.1034:
	s_cmp_eq_u32 s16, 44
	s_mov_b64 s[2:3], -1
	s_cbranch_scc0 .LBB505_1038
; %bb.1035:
	v_bfe_u32 v0, v2, 23, 8
	s_movk_i32 s2, 0xff
	v_cmp_ne_u32_e32 vcc, s2, v0
	v_mov_b32_e32 v1, 0xff
	s_and_saveexec_b64 s[4:5], vcc
; %bb.1036:
	s_mov_b32 s2, 0x3fffff
	v_and_b32_e32 v6, 0x400000, v2
	v_and_or_b32 v0, v2, s2, v0
	v_cmp_ne_u32_e32 vcc, 0, v6
	v_cmp_ne_u32_e64 s[2:3], 0, v0
	s_and_b64 s[2:3], vcc, s[2:3]
	v_lshrrev_b32_e32 v1, 23, v2
	v_cndmask_b32_e64 v0, 0, 1, s[2:3]
	v_add_u32_e32 v1, v1, v0
; %bb.1037:
	s_or_b64 exec, exec, s[4:5]
	s_mov_b64 s[2:3], 0
	global_store_byte v[4:5], v1, off
.LBB505_1038:
	s_mov_b64 s[4:5], 0
.LBB505_1039:
	s_and_b64 vcc, exec, s[4:5]
	s_cbranch_vccz .LBB505_1042
; %bb.1040:
	s_cmp_eq_u32 s16, 29
	s_mov_b64 s[2:3], -1
	s_cbranch_scc0 .LBB505_1042
; %bb.1041:
	v_trunc_f32_e32 v0, v2
	v_mul_f32_e32 v1, 0x2f800000, v0
	v_floor_f32_e32 v6, v1
	v_fmamk_f32 v0, v6, 0xcf800000, v0
	v_cvt_u32_f32_e32 v1, v6
	v_cvt_u32_f32_e32 v0, v0
	s_mov_b64 s[2:3], 0
	s_mov_b64 s[4:5], 0
	global_store_dwordx2 v[4:5], v[0:1], off
	s_branch .LBB505_1043
.LBB505_1042:
	s_mov_b64 s[4:5], 0
.LBB505_1043:
	s_and_b64 vcc, exec, s[4:5]
	s_cbranch_vccz .LBB505_1058
; %bb.1044:
	s_cmp_lt_i32 s16, 27
	s_mov_b64 s[4:5], -1
	s_cbranch_scc1 .LBB505_1050
; %bb.1045:
	s_cmp_gt_i32 s16, 27
	s_cbranch_scc0 .LBB505_1047
; %bb.1046:
	v_cvt_u32_f32_e32 v0, v2
	s_mov_b64 s[4:5], 0
	global_store_dword v[4:5], v0, off
.LBB505_1047:
	s_andn2_b64 vcc, exec, s[4:5]
	s_cbranch_vccnz .LBB505_1049
; %bb.1048:
	v_cvt_u32_f32_e32 v0, v2
	global_store_short v[4:5], v0, off
.LBB505_1049:
	s_mov_b64 s[4:5], 0
.LBB505_1050:
	s_andn2_b64 vcc, exec, s[4:5]
	s_cbranch_vccnz .LBB505_1058
; %bb.1051:
	v_and_b32_e32 v0, 0x7fffffff, v2
	s_mov_b32 s4, 0x43800000
	v_cmp_gt_u32_e32 vcc, s4, v0
	v_mov_b32_e32 v1, 0x80
	s_and_saveexec_b64 s[4:5], vcc
	s_cbranch_execz .LBB505_1057
; %bb.1052:
	s_mov_b32 s8, 0x3bffffff
	v_cmp_lt_u32_e32 vcc, s8, v0
	s_mov_b64 s[8:9], 0
                                        ; implicit-def: $vgpr0
	s_and_saveexec_b64 s[10:11], vcc
	s_xor_b64 s[10:11], exec, s[10:11]
	s_cbranch_execz .LBB505_1211
; %bb.1053:
	v_bfe_u32 v0, v2, 20, 1
	s_mov_b32 s14, 0x487ffff
	v_add3_u32 v0, v2, v0, s14
	s_mov_b64 s[8:9], exec
	v_lshrrev_b32_e32 v0, 20, v0
	s_andn2_saveexec_b64 s[10:11], s[10:11]
	s_cbranch_execnz .LBB505_1212
.LBB505_1054:
	s_or_b64 exec, exec, s[10:11]
	v_mov_b32_e32 v1, 0
	s_and_saveexec_b64 s[10:11], s[8:9]
.LBB505_1055:
	v_lshrrev_b32_e32 v1, 24, v2
	s_movk_i32 s8, 0x80
	v_and_or_b32 v1, v1, s8, v0
.LBB505_1056:
	s_or_b64 exec, exec, s[10:11]
.LBB505_1057:
	s_or_b64 exec, exec, s[4:5]
	global_store_byte v[4:5], v1, off
.LBB505_1058:
	s_mov_b64 s[8:9], 0
.LBB505_1059:
	s_mov_b64 s[4:5], 0
	s_and_b64 vcc, exec, s[8:9]
	s_cbranch_vccz .LBB505_1099
; %bb.1060:
	s_cmp_gt_i32 s16, 22
	s_mov_b64 s[8:9], -1
	s_cbranch_scc0 .LBB505_1092
; %bb.1061:
	s_cmp_lt_i32 s16, 24
	s_cbranch_scc1 .LBB505_1081
; %bb.1062:
	s_cmp_gt_i32 s16, 24
	s_cbranch_scc0 .LBB505_1070
; %bb.1063:
	v_and_b32_e32 v0, 0x7fffffff, v2
	s_mov_b32 s8, 0x47800000
	v_cmp_gt_u32_e32 vcc, s8, v0
	v_mov_b32_e32 v1, 0x80
	s_and_saveexec_b64 s[8:9], vcc
	s_cbranch_execz .LBB505_1069
; %bb.1064:
	s_mov_b32 s10, 0x37ffffff
	v_cmp_lt_u32_e32 vcc, s10, v0
	s_mov_b64 s[10:11], 0
                                        ; implicit-def: $vgpr0
	s_and_saveexec_b64 s[14:15], vcc
	s_xor_b64 s[14:15], exec, s[14:15]
	s_cbranch_execz .LBB505_1349
; %bb.1065:
	v_bfe_u32 v0, v2, 21, 1
	s_mov_b32 s17, 0x88fffff
	v_add3_u32 v0, v2, v0, s17
	s_mov_b64 s[10:11], exec
	v_lshrrev_b32_e32 v0, 21, v0
	s_andn2_saveexec_b64 s[14:15], s[14:15]
	s_cbranch_execnz .LBB505_1350
.LBB505_1066:
	s_or_b64 exec, exec, s[14:15]
	v_mov_b32_e32 v1, 0
	s_and_saveexec_b64 s[14:15], s[10:11]
.LBB505_1067:
	v_lshrrev_b32_e32 v1, 24, v2
	s_movk_i32 s10, 0x80
	v_and_or_b32 v1, v1, s10, v0
.LBB505_1068:
	s_or_b64 exec, exec, s[14:15]
.LBB505_1069:
	s_or_b64 exec, exec, s[8:9]
	s_mov_b64 s[8:9], 0
	global_store_byte v[4:5], v1, off
.LBB505_1070:
	s_and_b64 vcc, exec, s[8:9]
	s_cbranch_vccz .LBB505_1080
; %bb.1071:
	v_and_b32_e32 v1, 0x7fffffff, v2
	s_mov_b32 s8, 0x43f00000
	v_cmp_gt_u32_e32 vcc, s8, v1
                                        ; implicit-def: $vgpr0
	s_and_saveexec_b64 s[8:9], vcc
	s_xor_b64 s[8:9], exec, s[8:9]
	s_cbranch_execz .LBB505_1077
; %bb.1072:
	s_mov_b32 s10, 0x3c7fffff
	v_cmp_lt_u32_e32 vcc, s10, v1
                                        ; implicit-def: $vgpr0
	s_and_saveexec_b64 s[10:11], vcc
	s_xor_b64 s[10:11], exec, s[10:11]
; %bb.1073:
	v_bfe_u32 v0, v2, 20, 1
	s_mov_b32 s14, 0x407ffff
	v_add3_u32 v0, v2, v0, s14
	v_lshrrev_b32_e32 v1, 20, v0
	v_and_b32_e32 v0, 0xff00000, v0
	s_mov_b32 s14, 0x7f00000
	v_mov_b32_e32 v6, 0x7e
	v_cmp_ne_u32_e32 vcc, s14, v0
	s_nop 1
	v_cndmask_b32_e32 v0, v6, v1, vcc
; %bb.1074:
	s_andn2_saveexec_b64 s[10:11], s[10:11]
; %bb.1075:
	s_mov_b32 s14, 0x46800000
	v_add_f32_e64 v0, |v2|, s14
; %bb.1076:
	s_or_b64 exec, exec, s[10:11]
                                        ; implicit-def: $vgpr1
.LBB505_1077:
	s_andn2_saveexec_b64 s[8:9], s[8:9]
; %bb.1078:
	s_mov_b32 s10, 0x7f800000
	v_mov_b32_e32 v0, 0x7e
	v_mov_b32_e32 v6, 0x7f
	v_cmp_lt_u32_e32 vcc, s10, v1
	s_nop 1
	v_cndmask_b32_e32 v0, v0, v6, vcc
; %bb.1079:
	s_or_b64 exec, exec, s[8:9]
	v_lshrrev_b32_e32 v1, 24, v2
	s_movk_i32 s8, 0x80
	v_and_or_b32 v0, v1, s8, v0
	global_store_byte v[4:5], v0, off
.LBB505_1080:
	s_mov_b64 s[8:9], 0
.LBB505_1081:
	s_andn2_b64 vcc, exec, s[8:9]
	s_cbranch_vccnz .LBB505_1091
; %bb.1082:
	v_and_b32_e32 v1, 0x7fffffff, v2
	s_mov_b32 s8, 0x47800000
	v_cmp_gt_u32_e32 vcc, s8, v1
                                        ; implicit-def: $vgpr0
	s_and_saveexec_b64 s[8:9], vcc
	s_xor_b64 s[8:9], exec, s[8:9]
	s_cbranch_execz .LBB505_1088
; %bb.1083:
	s_mov_b32 s10, 0x387fffff
	v_cmp_lt_u32_e32 vcc, s10, v1
                                        ; implicit-def: $vgpr0
	s_and_saveexec_b64 s[10:11], vcc
	s_xor_b64 s[10:11], exec, s[10:11]
; %bb.1084:
	v_bfe_u32 v0, v2, 21, 1
	s_mov_b32 s14, 0x80fffff
	v_add3_u32 v0, v2, v0, s14
	v_lshrrev_b32_e32 v0, 21, v0
; %bb.1085:
	s_andn2_saveexec_b64 s[10:11], s[10:11]
; %bb.1086:
	s_mov_b32 s14, 0x43000000
	v_add_f32_e64 v0, |v2|, s14
; %bb.1087:
	s_or_b64 exec, exec, s[10:11]
                                        ; implicit-def: $vgpr1
.LBB505_1088:
	s_andn2_saveexec_b64 s[8:9], s[8:9]
; %bb.1089:
	s_mov_b32 s10, 0x7f800000
	v_mov_b32_e32 v0, 0x7c
	v_mov_b32_e32 v6, 0x7f
	v_cmp_lt_u32_e32 vcc, s10, v1
	s_nop 1
	v_cndmask_b32_e32 v0, v0, v6, vcc
; %bb.1090:
	s_or_b64 exec, exec, s[8:9]
	v_lshrrev_b32_e32 v1, 24, v2
	s_movk_i32 s8, 0x80
	v_and_or_b32 v0, v1, s8, v0
	global_store_byte v[4:5], v0, off
.LBB505_1091:
	s_mov_b64 s[8:9], 0
.LBB505_1092:
	s_andn2_b64 vcc, exec, s[8:9]
	s_mov_b64 s[8:9], 0
	s_cbranch_vccnz .LBB505_1100
; %bb.1093:
	s_cmp_gt_i32 s16, 14
	s_mov_b64 s[10:11], -1
	s_cbranch_scc0 .LBB505_1097
; %bb.1094:
	s_cmp_eq_u32 s16, 15
	s_mov_b64 s[2:3], -1
	s_cbranch_scc0 .LBB505_1096
; %bb.1095:
	v_bfe_u32 v0, v2, 16, 1
	s_movk_i32 s2, 0x7fff
	v_add3_u32 v0, v2, v0, s2
	v_cmp_o_f32_e32 vcc, v2, v2
	v_mov_b32_e32 v1, 0x7fc0
	s_mov_b64 s[2:3], 0
	v_cndmask_b32_sdwa v0, v1, v0, vcc dst_sel:DWORD dst_unused:UNUSED_PAD src0_sel:DWORD src1_sel:WORD_1
	global_store_short v[4:5], v0, off
.LBB505_1096:
	s_mov_b64 s[10:11], 0
.LBB505_1097:
	s_and_b64 vcc, exec, s[10:11]
	s_cbranch_vccz .LBB505_1100
; %bb.1098:
	s_cmp_lg_u32 s16, 11
	s_cselect_b64 s[10:11], -1, 0
	s_andn2_b64 s[2:3], s[2:3], exec
	s_and_b64 s[10:11], s[10:11], exec
	s_mov_b64 s[8:9], -1
	s_or_b64 s[2:3], s[2:3], s[10:11]
	s_branch .LBB505_1100
.LBB505_1099:
	s_mov_b64 s[8:9], 0
.LBB505_1100:
	s_and_b64 s[14:15], s[4:5], exec
	s_andn2_b64 s[4:5], s[58:59], exec
	s_and_b64 s[2:3], s[2:3], exec
	s_and_b64 s[16:17], s[8:9], exec
	s_or_b64 s[58:59], s[4:5], s[2:3]
	s_or_b64 exec, exec, s[12:13]
	s_and_saveexec_b64 s[2:3], s[58:59]
	s_cbranch_execz .LBB505_1029
.LBB505_1101:
	s_or_b64 s[6:7], s[6:7], exec
	s_andn2_b64 s[16:17], s[16:17], exec
	s_trap 2
	s_or_b64 exec, exec, s[2:3]
	s_and_saveexec_b64 s[2:3], s[16:17]
	s_xor_b64 s[4:5], exec, s[2:3]
	s_cbranch_execnz .LBB505_1030
.LBB505_1102:
	s_or_b64 exec, exec, s[4:5]
	s_and_saveexec_b64 s[2:3], s[14:15]
	s_xor_b64 s[2:3], exec, s[2:3]
	s_cbranch_execz .LBB505_1140
.LBB505_1103:
	s_sext_i32_i16 s8, s18
	s_cmp_lt_i32 s8, 5
	s_mov_b64 s[4:5], -1
	s_cbranch_scc1 .LBB505_1124
; %bb.1104:
	s_cmp_lt_i32 s8, 8
	s_cbranch_scc1 .LBB505_1114
; %bb.1105:
	s_cmp_lt_i32 s8, 9
	s_cbranch_scc1 .LBB505_1111
; %bb.1106:
	s_cmp_gt_i32 s8, 9
	s_cbranch_scc0 .LBB505_1108
; %bb.1107:
	s_waitcnt vmcnt(0)
	v_cvt_f64_f32_e32 v[6:7], v2
	v_cvt_f64_f32_e32 v[8:9], v3
	s_mov_b64 s[4:5], 0
	global_store_dwordx4 v[4:5], v[6:9], off
.LBB505_1108:
	s_andn2_b64 vcc, exec, s[4:5]
	s_cbranch_vccnz .LBB505_1110
; %bb.1109:
	s_waitcnt vmcnt(0)
	global_store_dwordx2 v[4:5], v[2:3], off
.LBB505_1110:
	s_mov_b64 s[4:5], 0
.LBB505_1111:
	s_andn2_b64 vcc, exec, s[4:5]
	s_cbranch_vccnz .LBB505_1113
; %bb.1112:
	v_cvt_f16_f32_e32 v0, v2
	v_cvt_f16_f32_sdwa v1, v3 dst_sel:WORD_1 dst_unused:UNUSED_PAD src0_sel:DWORD
	s_nop 0
	v_or_b32_e32 v0, v1, v0
	s_waitcnt vmcnt(0)
	global_store_dword v[4:5], v0, off
.LBB505_1113:
	s_mov_b64 s[4:5], 0
.LBB505_1114:
	s_andn2_b64 vcc, exec, s[4:5]
	s_cbranch_vccnz .LBB505_1123
; %bb.1115:
	s_sext_i32_i16 s8, s18
	s_cmp_lt_i32 s8, 6
	s_mov_b64 s[4:5], -1
	s_cbranch_scc1 .LBB505_1121
; %bb.1116:
	s_cmp_gt_i32 s8, 6
	s_cbranch_scc0 .LBB505_1118
; %bb.1117:
	v_cvt_f64_f32_e32 v[0:1], v2
	s_mov_b64 s[4:5], 0
	s_waitcnt vmcnt(0)
	global_store_dwordx2 v[4:5], v[0:1], off
.LBB505_1118:
	s_andn2_b64 vcc, exec, s[4:5]
	s_cbranch_vccnz .LBB505_1120
; %bb.1119:
	s_waitcnt vmcnt(0)
	global_store_dword v[4:5], v2, off
.LBB505_1120:
	s_mov_b64 s[4:5], 0
.LBB505_1121:
	s_andn2_b64 vcc, exec, s[4:5]
	s_cbranch_vccnz .LBB505_1123
; %bb.1122:
	v_cvt_f16_f32_e32 v0, v2
	s_waitcnt vmcnt(0)
	global_store_short v[4:5], v0, off
.LBB505_1123:
	s_mov_b64 s[4:5], 0
.LBB505_1124:
	s_andn2_b64 vcc, exec, s[4:5]
	s_cbranch_vccnz .LBB505_1140
; %bb.1125:
	s_sext_i32_i16 s8, s18
	s_cmp_lt_i32 s8, 2
	s_mov_b64 s[4:5], -1
	s_cbranch_scc1 .LBB505_1135
; %bb.1126:
	s_cmp_lt_i32 s8, 3
	s_cbranch_scc1 .LBB505_1132
; %bb.1127:
	s_cmp_gt_i32 s8, 3
	s_cbranch_scc0 .LBB505_1129
; %bb.1128:
	v_trunc_f32_e32 v0, v2
	s_mov_b32 s4, 0x2f800000
	v_mul_f32_e64 v1, |v0|, s4
	v_floor_f32_e32 v1, v1
	s_mov_b32 s4, 0xcf800000
	v_cvt_u32_f32_e32 v3, v1
	v_fma_f32 v1, v1, s4, |v0|
	v_cvt_u32_f32_e32 v1, v1
	s_waitcnt vmcnt(0)
	v_ashrrev_i32_e32 v6, 31, v0
	v_xor_b32_e32 v3, v3, v6
	s_mov_b64 s[4:5], 0
	v_xor_b32_e32 v0, v1, v6
	v_sub_co_u32_e32 v0, vcc, v0, v6
	s_nop 1
	v_subb_co_u32_e32 v1, vcc, v3, v6, vcc
	global_store_dwordx2 v[4:5], v[0:1], off
.LBB505_1129:
	s_andn2_b64 vcc, exec, s[4:5]
	s_cbranch_vccnz .LBB505_1131
; %bb.1130:
	v_cvt_i32_f32_e32 v0, v2
	s_waitcnt vmcnt(0)
	global_store_dword v[4:5], v0, off
.LBB505_1131:
	s_mov_b64 s[4:5], 0
.LBB505_1132:
	s_andn2_b64 vcc, exec, s[4:5]
	s_cbranch_vccnz .LBB505_1134
; %bb.1133:
	v_cvt_i32_f32_e32 v0, v2
	s_waitcnt vmcnt(0)
	global_store_short v[4:5], v0, off
.LBB505_1134:
	s_mov_b64 s[4:5], 0
.LBB505_1135:
	s_andn2_b64 vcc, exec, s[4:5]
	s_cbranch_vccnz .LBB505_1140
; %bb.1136:
	s_sext_i32_i16 s4, s18
	s_cmp_gt_i32 s4, 0
	s_mov_b64 s[4:5], -1
	s_cbranch_scc0 .LBB505_1138
; %bb.1137:
	v_cvt_i32_f32_e32 v0, v2
	s_mov_b64 s[4:5], 0
	s_waitcnt vmcnt(0)
	global_store_byte v[4:5], v0, off
.LBB505_1138:
	s_andn2_b64 vcc, exec, s[4:5]
	s_cbranch_vccnz .LBB505_1140
; %bb.1139:
	v_trunc_f32_e32 v0, v2
	s_mov_b32 s4, 0x2f800000
	v_mul_f32_e64 v1, |v0|, s4
	v_floor_f32_e32 v1, v1
	s_mov_b32 s4, 0xcf800000
	v_fma_f32 v1, v1, s4, |v0|
	v_cvt_u32_f32_e32 v1, v1
	v_ashrrev_i32_e32 v0, 31, v0
	v_xor_b32_e32 v1, v1, v0
	v_sub_u32_e32 v0, v1, v0
	s_waitcnt vmcnt(0)
	global_store_byte v[4:5], v0, off
.LBB505_1140:
	s_or_b64 exec, exec, s[2:3]
	s_and_b64 s[24:25], s[6:7], exec
                                        ; implicit-def: $vgpr16
                                        ; implicit-def: $vgpr12
.LBB505_1141:
	s_or_saveexec_b64 s[26:27], s[48:49]
	s_mov_b64 s[4:5], 0
                                        ; implicit-def: $vgpr0_vgpr1
                                        ; implicit-def: $sgpr14
                                        ; implicit-def: $vgpr13
	s_xor_b64 exec, exec, s[26:27]
	s_cbranch_execz .LBB505_1843
; %bb.1142:
	v_cndmask_b32_e64 v0, 0, 1, s[46:47]
	v_cmp_ne_u32_e64 s[2:3], 1, v0
	s_andn2_b64 vcc, exec, s[46:47]
	s_cbranch_vccnz .LBB505_1148
; %bb.1143:
	s_cmp_lg_u32 s33, 0
	s_mov_b32 s36, 0
	s_cbranch_scc0 .LBB505_1149
; %bb.1144:
	s_min_u32 s37, s76, 15
	s_add_i32 s37, s37, 1
	s_cmp_eq_u32 s76, 2
	s_cbranch_scc1 .LBB505_1150
; %bb.1145:
	s_and_b32 s36, s37, 28
	s_add_u32 s28, s34, 0xc4
	s_addc_u32 s29, s35, 0
	s_mov_b32 s38, 0
	s_waitcnt vmcnt(0)
	v_mov_b32_e32 v6, 0
	v_mov_b32_e32 v8, 0
	s_mov_b64 s[30:31], s[34:35]
	v_mov_b32_e32 v0, v12
.LBB505_1146:                           ; =>This Inner Loop Header: Depth=1
	s_load_dwordx8 s[12:19], s[30:31], 0x4
	s_load_dwordx4 s[20:23], s[30:31], 0x24
	s_load_dwordx8 s[4:11], s[28:29], 0x0
	s_add_u32 s30, s30, 48
	s_addc_u32 s31, s31, 0
	s_waitcnt lgkmcnt(0)
	v_mul_hi_u32 v1, s13, v0
	v_add_u32_e32 v1, v0, v1
	v_lshrrev_b32_e32 v1, s14, v1
	v_mul_lo_u32 v2, v1, s12
	v_mul_hi_u32 v3, s16, v1
	v_sub_u32_e32 v0, v0, v2
	v_add_u32_e32 v2, v1, v3
	v_lshrrev_b32_e32 v2, s17, v2
	v_mul_lo_u32 v4, v2, s15
	v_mul_hi_u32 v5, s19, v2
	v_sub_u32_e32 v1, v1, v4
	v_add_u32_e32 v4, v2, v5
	v_mul_lo_u32 v3, v0, s5
	v_mul_lo_u32 v0, v0, s4
	;; [unrolled: 1-line block ×4, first 2 shown]
	v_lshrrev_b32_e32 v4, s20, v4
	v_add3_u32 v1, v0, v6, v1
	v_add3_u32 v3, v3, v8, v5
	v_mul_lo_u32 v0, v4, s18
	v_mul_hi_u32 v5, s22, v4
	v_sub_u32_e32 v0, v2, v0
	v_add_u32_e32 v2, v4, v5
	v_mul_lo_u32 v5, v0, s8
	v_mul_lo_u32 v6, v0, s9
	v_lshrrev_b32_e32 v0, s23, v2
	s_add_i32 s38, s38, 4
	v_mul_lo_u32 v2, v0, s21
	s_add_u32 s28, s28, 32
	v_sub_u32_e32 v2, v4, v2
	s_addc_u32 s29, s29, 0
	v_mul_lo_u32 v4, v2, s10
	v_mul_lo_u32 v2, v2, s11
	s_cmp_lg_u32 s36, s38
	v_add3_u32 v8, v6, v3, v2
	v_add3_u32 v6, v5, v1, v4
	s_cbranch_scc1 .LBB505_1146
; %bb.1147:
	v_mov_b32_e32 v1, v8
	s_and_b32 s8, s37, 3
	s_cmp_eq_u32 s8, 0
	s_cbranch_scc0 .LBB505_1151
	s_branch .LBB505_1153
.LBB505_1148:
                                        ; implicit-def: $vgpr8
                                        ; implicit-def: $vgpr6
	s_branch .LBB505_1154
.LBB505_1149:
	v_mov_b32_e32 v8, 0
	s_waitcnt vmcnt(0)
	v_mov_b32_e32 v6, 0
	s_branch .LBB505_1153
.LBB505_1150:
	s_waitcnt vmcnt(0)
	v_mov_b32_e32 v6, 0
                                        ; implicit-def: $vgpr8
	v_mov_b32_e32 v1, v6
	v_mov_b32_e32 v0, v12
	s_and_b32 s8, s37, 3
	s_cmp_eq_u32 s8, 0
	s_cbranch_scc1 .LBB505_1153
.LBB505_1151:
	s_lshl_b32 s4, s36, 3
	s_add_u32 s4, s34, s4
	s_addc_u32 s5, s35, 0
	s_add_u32 s4, s4, 0xc4
	s_addc_u32 s5, s5, 0
	s_mul_i32 s6, s36, 12
	s_add_u32 s6, s34, s6
	s_addc_u32 s7, s35, 0
.LBB505_1152:                           ; =>This Inner Loop Header: Depth=1
	s_load_dwordx2 s[10:11], s[6:7], 0x4
	s_load_dword s9, s[6:7], 0xc
	s_load_dwordx2 s[12:13], s[4:5], 0x0
	v_mov_b32_e32 v2, v1
	s_add_u32 s6, s6, 12
	s_waitcnt lgkmcnt(0)
	v_mul_hi_u32 v1, s11, v0
	v_add_u32_e32 v1, v0, v1
	v_lshrrev_b32_e32 v1, s9, v1
	s_addc_u32 s7, s7, 0
	v_mul_lo_u32 v3, v1, s10
	s_add_u32 s4, s4, 8
	v_sub_u32_e32 v3, v0, v3
	s_addc_u32 s5, s5, 0
	s_add_i32 s8, s8, -1
	v_mad_u64_u32 v[8:9], s[10:11], v3, s13, v[2:3]
	s_cmp_lg_u32 s8, 0
	v_mov_b32_e32 v0, v1
	v_mad_u64_u32 v[6:7], s[10:11], v3, s12, v[6:7]
	v_mov_b32_e32 v1, v8
	s_cbranch_scc1 .LBB505_1152
.LBB505_1153:
	s_cbranch_execnz .LBB505_1156
.LBB505_1154:
	s_load_dwordx4 s[4:7], s[34:35], 0x4
	s_load_dwordx2 s[8:9], s[34:35], 0xc4
	s_cmp_lt_u32 s33, 2
	s_waitcnt lgkmcnt(0)
	v_mul_hi_u32 v0, s5, v12
	v_add_u32_e32 v0, v12, v0
	v_lshrrev_b32_e32 v0, s6, v0
	v_mul_lo_u32 v1, v0, s4
	v_sub_u32_e32 v1, v12, v1
	v_mul_lo_u32 v8, v1, s9
	s_waitcnt vmcnt(0)
	v_mul_lo_u32 v6, v1, s8
	s_cbranch_scc1 .LBB505_1156
; %bb.1155:
	s_load_dwordx4 s[4:7], s[34:35], 0x10
	s_load_dwordx2 s[8:9], s[34:35], 0xcc
	s_waitcnt lgkmcnt(0)
	v_mul_hi_u32 v1, s5, v0
	v_add_u32_e32 v1, v0, v1
	v_lshrrev_b32_e32 v1, s6, v1
	v_mul_lo_u32 v1, v1, s4
	v_sub_u32_e32 v0, v0, v1
	v_mad_u64_u32 v[6:7], s[4:5], v0, s8, v[6:7]
	v_mad_u64_u32 v[8:9], s[4:5], v0, s9, v[8:9]
.LBB505_1156:
	s_and_b64 vcc, exec, s[2:3]
	v_add_u32_e32 v0, 0x80, v12
	s_cbranch_vccnz .LBB505_1162
; %bb.1157:
	s_cmp_lg_u32 s33, 0
	s_mov_b32 s36, 0
	s_cbranch_scc0 .LBB505_1163
; %bb.1158:
	s_min_u32 s37, s76, 15
	s_add_i32 s37, s37, 1
	s_cmp_eq_u32 s76, 2
	s_cbranch_scc1 .LBB505_1164
; %bb.1159:
	s_and_b32 s36, s37, 28
	s_add_u32 s28, s34, 0xc4
	s_addc_u32 s29, s35, 0
	s_mov_b32 s38, 0
	s_waitcnt vmcnt(0)
	v_mov_b32_e32 v4, 0
	v_mov_b32_e32 v10, 0
	s_mov_b64 s[30:31], s[34:35]
	v_mov_b32_e32 v2, v0
.LBB505_1160:                           ; =>This Inner Loop Header: Depth=1
	s_load_dwordx8 s[12:19], s[30:31], 0x4
	s_load_dwordx4 s[20:23], s[30:31], 0x24
	s_load_dwordx8 s[4:11], s[28:29], 0x0
	s_add_u32 s30, s30, 48
	s_addc_u32 s31, s31, 0
	s_waitcnt lgkmcnt(0)
	v_mul_hi_u32 v1, s13, v2
	v_add_u32_e32 v1, v2, v1
	v_lshrrev_b32_e32 v1, s14, v1
	v_mul_lo_u32 v3, v1, s12
	v_mul_hi_u32 v5, s16, v1
	v_sub_u32_e32 v2, v2, v3
	v_add_u32_e32 v3, v1, v5
	v_lshrrev_b32_e32 v3, s17, v3
	v_mul_lo_u32 v7, v3, s15
	v_mul_hi_u32 v9, s19, v3
	v_sub_u32_e32 v1, v1, v7
	v_add_u32_e32 v7, v3, v9
	v_mul_lo_u32 v5, v2, s5
	v_mul_lo_u32 v2, v2, s4
	;; [unrolled: 1-line block ×4, first 2 shown]
	v_lshrrev_b32_e32 v7, s20, v7
	v_add3_u32 v1, v2, v4, v1
	v_add3_u32 v4, v5, v10, v9
	v_mul_lo_u32 v2, v7, s18
	v_mul_hi_u32 v5, s22, v7
	v_sub_u32_e32 v2, v3, v2
	v_add_u32_e32 v3, v7, v5
	v_mul_lo_u32 v5, v2, s8
	v_mul_lo_u32 v9, v2, s9
	v_lshrrev_b32_e32 v2, s23, v3
	s_add_i32 s38, s38, 4
	v_mul_lo_u32 v3, v2, s21
	s_add_u32 s28, s28, 32
	v_sub_u32_e32 v3, v7, v3
	s_addc_u32 s29, s29, 0
	v_mul_lo_u32 v7, v3, s10
	v_mul_lo_u32 v3, v3, s11
	s_cmp_lg_u32 s36, s38
	v_add3_u32 v10, v9, v4, v3
	v_add3_u32 v4, v5, v1, v7
	s_cbranch_scc1 .LBB505_1160
; %bb.1161:
	v_mov_b32_e32 v1, v10
	s_and_b32 s8, s37, 3
	s_cmp_eq_u32 s8, 0
	s_cbranch_scc0 .LBB505_1165
	s_branch .LBB505_1167
.LBB505_1162:
                                        ; implicit-def: $vgpr10
                                        ; implicit-def: $vgpr4
	s_branch .LBB505_1168
.LBB505_1163:
	v_mov_b32_e32 v10, 0
	s_waitcnt vmcnt(0)
	v_mov_b32_e32 v4, 0
	s_branch .LBB505_1167
.LBB505_1164:
	s_waitcnt vmcnt(0)
	v_mov_b32_e32 v4, 0
                                        ; implicit-def: $vgpr10
	v_mov_b32_e32 v1, v4
	v_mov_b32_e32 v2, v0
	s_and_b32 s8, s37, 3
	s_cmp_eq_u32 s8, 0
	s_cbranch_scc1 .LBB505_1167
.LBB505_1165:
	s_lshl_b32 s4, s36, 3
	s_add_u32 s4, s34, s4
	s_addc_u32 s5, s35, 0
	s_add_u32 s4, s4, 0xc4
	s_addc_u32 s5, s5, 0
	s_mul_i32 s6, s36, 12
	s_add_u32 s6, s34, s6
	s_addc_u32 s7, s35, 0
.LBB505_1166:                           ; =>This Inner Loop Header: Depth=1
	s_load_dwordx2 s[10:11], s[6:7], 0x4
	s_load_dword s9, s[6:7], 0xc
	s_load_dwordx2 s[12:13], s[4:5], 0x0
	v_mov_b32_e32 v10, v1
	s_add_u32 s6, s6, 12
	s_waitcnt lgkmcnt(0)
	v_mul_hi_u32 v1, s11, v2
	v_add_u32_e32 v1, v2, v1
	v_lshrrev_b32_e32 v1, s9, v1
	s_addc_u32 s7, s7, 0
	v_mul_lo_u32 v3, v1, s10
	s_add_u32 s4, s4, 8
	v_sub_u32_e32 v3, v2, v3
	s_addc_u32 s5, s5, 0
	s_add_i32 s8, s8, -1
	v_mad_u64_u32 v[10:11], s[10:11], v3, s13, v[10:11]
	s_cmp_lg_u32 s8, 0
	v_mov_b32_e32 v2, v1
	v_mad_u64_u32 v[4:5], s[10:11], v3, s12, v[4:5]
	v_mov_b32_e32 v1, v10
	s_cbranch_scc1 .LBB505_1166
.LBB505_1167:
	s_cbranch_execnz .LBB505_1170
.LBB505_1168:
	s_load_dwordx4 s[4:7], s[34:35], 0x4
	s_load_dwordx2 s[8:9], s[34:35], 0xc4
	s_cmp_lt_u32 s33, 2
	s_waitcnt lgkmcnt(0)
	v_mul_hi_u32 v1, s5, v0
	v_add_u32_e32 v1, v0, v1
	v_lshrrev_b32_e32 v1, s6, v1
	v_mul_lo_u32 v2, v1, s4
	v_sub_u32_e32 v0, v0, v2
	v_mul_lo_u32 v10, v0, s9
	s_waitcnt vmcnt(0)
	v_mul_lo_u32 v4, v0, s8
	s_cbranch_scc1 .LBB505_1170
; %bb.1169:
	s_load_dwordx4 s[4:7], s[34:35], 0x10
	s_load_dwordx2 s[8:9], s[34:35], 0xcc
	s_waitcnt lgkmcnt(0)
	v_mul_hi_u32 v0, s5, v1
	v_add_u32_e32 v0, v1, v0
	v_lshrrev_b32_e32 v0, s6, v0
	v_mul_lo_u32 v0, v0, s4
	v_sub_u32_e32 v0, v1, v0
	v_mad_u64_u32 v[4:5], s[4:5], v0, s8, v[4:5]
	v_mad_u64_u32 v[10:11], s[4:5], v0, s9, v[10:11]
.LBB505_1170:
	s_and_b64 vcc, exec, s[2:3]
	v_add_u32_e32 v0, 0x100, v12
	s_cbranch_vccnz .LBB505_1176
; %bb.1171:
	s_cmp_lg_u32 s33, 0
	s_mov_b32 s36, 0
	s_cbranch_scc0 .LBB505_1177
; %bb.1172:
	s_min_u32 s37, s76, 15
	s_add_i32 s37, s37, 1
	s_cmp_eq_u32 s76, 2
	s_cbranch_scc1 .LBB505_1178
; %bb.1173:
	s_and_b32 s36, s37, 28
	s_add_u32 s28, s34, 0xc4
	s_addc_u32 s29, s35, 0
	s_mov_b32 s38, 0
	v_mov_b32_e32 v2, 0
	v_mov_b32_e32 v14, 0
	s_mov_b64 s[30:31], s[34:35]
	s_waitcnt vmcnt(0)
	v_mov_b32_e32 v5, v0
.LBB505_1174:                           ; =>This Inner Loop Header: Depth=1
	s_load_dwordx8 s[12:19], s[30:31], 0x4
	s_load_dwordx4 s[20:23], s[30:31], 0x24
	s_load_dwordx8 s[4:11], s[28:29], 0x0
	s_add_u32 s30, s30, 48
	s_addc_u32 s31, s31, 0
	s_waitcnt lgkmcnt(0)
	v_mul_hi_u32 v1, s13, v5
	v_add_u32_e32 v1, v5, v1
	v_lshrrev_b32_e32 v1, s14, v1
	v_mul_lo_u32 v3, v1, s12
	v_mul_hi_u32 v7, s16, v1
	v_sub_u32_e32 v3, v5, v3
	v_add_u32_e32 v5, v1, v7
	v_lshrrev_b32_e32 v5, s17, v5
	v_mul_lo_u32 v9, v5, s15
	v_mul_hi_u32 v11, s19, v5
	v_sub_u32_e32 v1, v1, v9
	v_add_u32_e32 v9, v5, v11
	v_mul_lo_u32 v7, v3, s5
	v_mul_lo_u32 v3, v3, s4
	;; [unrolled: 1-line block ×4, first 2 shown]
	v_lshrrev_b32_e32 v9, s20, v9
	v_add3_u32 v1, v3, v2, v1
	v_add3_u32 v2, v7, v14, v11
	v_mul_lo_u32 v3, v9, s18
	v_mul_hi_u32 v7, s22, v9
	v_sub_u32_e32 v3, v5, v3
	v_add_u32_e32 v5, v9, v7
	v_lshrrev_b32_e32 v5, s23, v5
	s_add_i32 s38, s38, 4
	v_mul_lo_u32 v11, v5, s21
	s_add_u32 s28, s28, 32
	v_sub_u32_e32 v9, v9, v11
	s_addc_u32 s29, s29, 0
	v_mul_lo_u32 v7, v3, s8
	v_mul_lo_u32 v3, v3, s9
	;; [unrolled: 1-line block ×4, first 2 shown]
	s_cmp_lg_u32 s36, s38
	v_add3_u32 v14, v3, v2, v9
	v_add3_u32 v2, v7, v1, v11
	s_cbranch_scc1 .LBB505_1174
; %bb.1175:
	v_mov_b32_e32 v1, v14
	s_and_b32 s8, s37, 3
	s_cmp_eq_u32 s8, 0
	s_cbranch_scc0 .LBB505_1179
	s_branch .LBB505_1181
.LBB505_1176:
                                        ; implicit-def: $vgpr14
                                        ; implicit-def: $vgpr2
	s_branch .LBB505_1182
.LBB505_1177:
	v_mov_b32_e32 v14, 0
	v_mov_b32_e32 v2, 0
	s_branch .LBB505_1181
.LBB505_1178:
	v_mov_b32_e32 v2, 0
                                        ; implicit-def: $vgpr14
	v_mov_b32_e32 v1, v2
	s_waitcnt vmcnt(0)
	v_mov_b32_e32 v5, v0
	s_and_b32 s8, s37, 3
	s_cmp_eq_u32 s8, 0
	s_cbranch_scc1 .LBB505_1181
.LBB505_1179:
	s_lshl_b32 s4, s36, 3
	s_add_u32 s4, s34, s4
	s_addc_u32 s5, s35, 0
	s_add_u32 s4, s4, 0xc4
	s_addc_u32 s5, s5, 0
	s_mul_i32 s6, s36, 12
	s_add_u32 s6, s34, s6
	s_addc_u32 s7, s35, 0
.LBB505_1180:                           ; =>This Inner Loop Header: Depth=1
	s_load_dwordx2 s[10:11], s[6:7], 0x4
	s_load_dword s9, s[6:7], 0xc
	s_load_dwordx2 s[12:13], s[4:5], 0x0
	v_mov_b32_e32 v12, v1
	s_add_u32 s6, s6, 12
	s_waitcnt lgkmcnt(0)
	v_mul_hi_u32 v1, s11, v5
	v_add_u32_e32 v1, v5, v1
	v_lshrrev_b32_e32 v1, s9, v1
	s_addc_u32 s7, s7, 0
	v_mul_lo_u32 v3, v1, s10
	s_add_u32 s4, s4, 8
	v_sub_u32_e32 v3, v5, v3
	s_addc_u32 s5, s5, 0
	s_add_i32 s8, s8, -1
	v_mad_u64_u32 v[14:15], s[10:11], v3, s13, v[12:13]
	s_cmp_lg_u32 s8, 0
	v_mov_b32_e32 v5, v1
	v_mad_u64_u32 v[2:3], s[10:11], v3, s12, v[2:3]
	v_mov_b32_e32 v1, v14
	s_cbranch_scc1 .LBB505_1180
.LBB505_1181:
	s_cbranch_execnz .LBB505_1184
.LBB505_1182:
	s_load_dwordx4 s[4:7], s[34:35], 0x4
	s_load_dwordx2 s[8:9], s[34:35], 0xc4
	s_cmp_lt_u32 s33, 2
	s_waitcnt lgkmcnt(0)
	v_mul_hi_u32 v1, s5, v0
	v_add_u32_e32 v1, v0, v1
	v_lshrrev_b32_e32 v1, s6, v1
	v_mul_lo_u32 v2, v1, s4
	v_sub_u32_e32 v0, v0, v2
	v_mul_lo_u32 v14, v0, s9
	v_mul_lo_u32 v2, v0, s8
	s_cbranch_scc1 .LBB505_1184
; %bb.1183:
	s_load_dwordx4 s[4:7], s[34:35], 0x10
	s_load_dwordx2 s[8:9], s[34:35], 0xcc
	s_waitcnt lgkmcnt(0)
	v_mul_hi_u32 v0, s5, v1
	v_add_u32_e32 v0, v1, v0
	v_lshrrev_b32_e32 v0, s6, v0
	v_mul_lo_u32 v0, v0, s4
	v_sub_u32_e32 v0, v1, v0
	v_mad_u64_u32 v[2:3], s[4:5], v0, s8, v[2:3]
	v_mad_u64_u32 v[14:15], s[4:5], v0, s9, v[14:15]
.LBB505_1184:
	s_and_b64 vcc, exec, s[2:3]
	s_cbranch_vccnz .LBB505_1190
; %bb.1185:
	s_cmp_lg_u32 s33, 0
	s_mov_b32 s30, 0
	s_cbranch_scc0 .LBB505_1191
; %bb.1186:
	s_min_u32 s31, s76, 15
	s_add_i32 s31, s31, 1
	s_cmp_eq_u32 s76, 2
	s_cbranch_scc1 .LBB505_1192
; %bb.1187:
	s_and_b32 s30, s31, 28
	s_add_u32 s2, s34, 0xc4
	s_addc_u32 s3, s35, 0
	s_mov_b32 s36, 0
	v_mov_b32_e32 v0, 0
	v_mov_b32_e32 v12, 0
	s_mov_b64 s[28:29], s[34:35]
	v_mov_b32_e32 v3, v16
.LBB505_1188:                           ; =>This Inner Loop Header: Depth=1
	s_load_dwordx8 s[12:19], s[28:29], 0x4
	s_load_dwordx4 s[20:23], s[28:29], 0x24
	s_load_dwordx8 s[4:11], s[2:3], 0x0
	s_add_u32 s28, s28, 48
	s_addc_u32 s29, s29, 0
	s_waitcnt lgkmcnt(0)
	v_mul_hi_u32 v1, s13, v3
	v_add_u32_e32 v1, v3, v1
	v_lshrrev_b32_e32 v1, s14, v1
	s_waitcnt vmcnt(0)
	v_mul_lo_u32 v5, v1, s12
	v_mul_hi_u32 v7, s16, v1
	v_sub_u32_e32 v3, v3, v5
	v_add_u32_e32 v5, v1, v7
	v_lshrrev_b32_e32 v5, s17, v5
	v_mul_lo_u32 v9, v5, s15
	v_mul_hi_u32 v11, s19, v5
	v_sub_u32_e32 v1, v1, v9
	v_add_u32_e32 v9, v5, v11
	v_mul_lo_u32 v7, v3, s5
	v_mul_lo_u32 v3, v3, s4
	;; [unrolled: 1-line block ×4, first 2 shown]
	v_lshrrev_b32_e32 v9, s20, v9
	v_add3_u32 v0, v3, v0, v1
	v_add3_u32 v1, v7, v12, v11
	v_mul_lo_u32 v3, v9, s18
	v_mul_hi_u32 v7, s22, v9
	v_sub_u32_e32 v3, v5, v3
	v_add_u32_e32 v5, v9, v7
	v_mul_lo_u32 v7, v3, s8
	v_mul_lo_u32 v11, v3, s9
	v_lshrrev_b32_e32 v3, s23, v5
	s_add_i32 s36, s36, 4
	v_mul_lo_u32 v5, v3, s21
	s_add_u32 s2, s2, 32
	v_sub_u32_e32 v5, v9, v5
	s_addc_u32 s3, s3, 0
	v_mul_lo_u32 v9, v5, s10
	v_mul_lo_u32 v5, v5, s11
	s_cmp_lg_u32 s30, s36
	v_add3_u32 v12, v11, v1, v5
	v_add3_u32 v0, v7, v0, v9
	s_cbranch_scc1 .LBB505_1188
; %bb.1189:
	v_mov_b32_e32 v1, v12
	s_and_b32 s6, s31, 3
	s_cmp_eq_u32 s6, 0
	s_cbranch_scc0 .LBB505_1193
	s_branch .LBB505_1195
.LBB505_1190:
                                        ; implicit-def: $vgpr12
                                        ; implicit-def: $vgpr0
	s_branch .LBB505_1196
.LBB505_1191:
	v_mov_b32_e32 v12, 0
	v_mov_b32_e32 v0, 0
	s_branch .LBB505_1195
.LBB505_1192:
	v_mov_b32_e32 v0, 0
                                        ; implicit-def: $vgpr12
	v_mov_b32_e32 v1, v0
	v_mov_b32_e32 v3, v16
	s_and_b32 s6, s31, 3
	s_cmp_eq_u32 s6, 0
	s_cbranch_scc1 .LBB505_1195
.LBB505_1193:
	s_lshl_b32 s2, s30, 3
	s_add_u32 s2, s34, s2
	s_addc_u32 s3, s35, 0
	s_add_u32 s2, s2, 0xc4
	s_addc_u32 s3, s3, 0
	s_mul_i32 s4, s30, 12
	s_add_u32 s4, s34, s4
	s_addc_u32 s5, s35, 0
.LBB505_1194:                           ; =>This Inner Loop Header: Depth=1
	s_load_dwordx2 s[8:9], s[4:5], 0x4
	s_load_dword s7, s[4:5], 0xc
	s_load_dwordx2 s[10:11], s[2:3], 0x0
	v_mov_b32_e32 v12, v1
	s_add_u32 s4, s4, 12
	s_waitcnt lgkmcnt(0)
	v_mul_hi_u32 v1, s9, v3
	v_add_u32_e32 v1, v3, v1
	v_lshrrev_b32_e32 v1, s7, v1
	s_addc_u32 s5, s5, 0
	s_waitcnt vmcnt(0)
	v_mul_lo_u32 v5, v1, s8
	s_add_u32 s2, s2, 8
	v_sub_u32_e32 v5, v3, v5
	s_addc_u32 s3, s3, 0
	s_add_i32 s6, s6, -1
	v_mov_b32_e32 v3, v1
	v_mad_u64_u32 v[12:13], s[8:9], v5, s11, v[12:13]
	v_mad_u64_u32 v[0:1], s[8:9], v5, s10, v[0:1]
	s_cmp_lg_u32 s6, 0
	v_mov_b32_e32 v1, v12
	s_cbranch_scc1 .LBB505_1194
.LBB505_1195:
	s_cbranch_execnz .LBB505_1198
.LBB505_1196:
	s_load_dwordx4 s[4:7], s[34:35], 0x4
	s_load_dwordx2 s[2:3], s[34:35], 0xc4
	s_cmp_lt_u32 s33, 2
	s_waitcnt lgkmcnt(0)
	v_mul_hi_u32 v0, s5, v16
	v_add_u32_e32 v0, v16, v0
	v_lshrrev_b32_e32 v1, s6, v0
	v_mul_lo_u32 v0, v1, s4
	v_sub_u32_e32 v0, v16, v0
	v_mul_lo_u32 v12, v0, s3
	v_mul_lo_u32 v0, v0, s2
	s_cbranch_scc1 .LBB505_1198
; %bb.1197:
	s_load_dwordx4 s[4:7], s[34:35], 0x10
	s_load_dwordx2 s[2:3], s[34:35], 0xcc
	s_waitcnt lgkmcnt(0)
	v_mul_hi_u32 v3, s5, v1
	v_add_u32_e32 v3, v1, v3
	v_lshrrev_b32_e32 v3, s6, v3
	v_mul_lo_u32 v3, v3, s4
	v_sub_u32_e32 v3, v1, v3
	v_mad_u64_u32 v[0:1], s[4:5], v3, s2, v[0:1]
	v_mad_u64_u32 v[12:13], s[2:3], v3, s3, v[12:13]
.LBB505_1198:
	s_load_dword s14, s[0:1], 0x16c
	s_load_dwordx4 s[4:7], s[34:35], 0x148
	v_mov_b32_e32 v9, 0
	s_waitcnt lgkmcnt(0)
	s_bfe_u32 s15, s14, 0x80008
	s_cmp_lt_i32 s15, 11
	v_lshl_add_u64 v[8:9], s[6:7], 0, v[8:9]
	s_cbranch_scc1 .LBB505_1205
; %bb.1199:
	s_and_b32 s16, 0xffff, s15
	s_cmp_gt_i32 s16, 25
	s_mov_b64 s[2:3], 0
	s_cbranch_scc0 .LBB505_1207
; %bb.1200:
	s_cmp_gt_i32 s16, 28
	s_cbranch_scc0 .LBB505_1208
; %bb.1201:
	s_cmp_gt_i32 s16, 43
	;; [unrolled: 3-line block ×3, first 2 shown]
	s_cbranch_scc0 .LBB505_1210
; %bb.1203:
	s_cmp_eq_u32 s16, 46
	s_mov_b64 s[8:9], 0
	s_cbranch_scc0 .LBB505_1213
; %bb.1204:
	global_load_dword v1, v[8:9], off
	s_mov_b64 s[0:1], 0
	s_mov_b64 s[10:11], -1
	s_waitcnt vmcnt(0)
	v_and_b32_e32 v17, 0xffff0000, v1
	v_lshlrev_b32_e32 v16, 16, v1
	s_branch .LBB505_1214
.LBB505_1205:
	s_mov_b64 s[10:11], 0
                                        ; implicit-def: $vgpr17
	s_mov_b64 s[8:9], s[24:25]
	s_cbranch_execnz .LBB505_1280
.LBB505_1206:
	s_andn2_b64 vcc, exec, s[10:11]
	s_cbranch_vccz .LBB505_1327
	s_branch .LBB505_1840
.LBB505_1207:
	s_mov_b64 s[10:11], 0
	s_mov_b64 s[0:1], 0
                                        ; implicit-def: $vgpr17
	s_cbranch_execnz .LBB505_1244
	s_branch .LBB505_1276
.LBB505_1208:
	s_mov_b64 s[10:11], 0
	s_mov_b64 s[0:1], 0
                                        ; implicit-def: $vgpr17
	s_cbranch_execnz .LBB505_1226
	s_branch .LBB505_1243
.LBB505_1209:
	s_mov_b64 s[8:9], -1
	s_mov_b64 s[10:11], 0
	s_mov_b64 s[0:1], 0
                                        ; implicit-def: $vgpr17
	s_branch .LBB505_1220
.LBB505_1210:
	s_mov_b64 s[8:9], -1
	s_mov_b64 s[10:11], 0
	s_mov_b64 s[0:1], 0
                                        ; implicit-def: $vgpr17
	s_branch .LBB505_1214
.LBB505_1211:
	s_andn2_saveexec_b64 s[10:11], s[10:11]
	s_cbranch_execz .LBB505_1054
.LBB505_1212:
	s_mov_b32 s14, 0x46000000
	v_add_f32_e64 v0, |v2|, s14
	v_and_b32_e32 v0, 0xff, v0
	v_cmp_ne_u32_e32 vcc, 0, v0
	s_andn2_b64 s[8:9], s[8:9], exec
	s_and_b64 s[14:15], vcc, exec
	s_or_b64 s[8:9], s[8:9], s[14:15]
	s_or_b64 exec, exec, s[10:11]
	v_mov_b32_e32 v1, 0
	s_and_saveexec_b64 s[10:11], s[8:9]
	s_cbranch_execnz .LBB505_1055
	s_branch .LBB505_1056
.LBB505_1213:
	s_mov_b64 s[0:1], -1
                                        ; implicit-def: $vgpr17
	s_mov_b64 s[10:11], 0
.LBB505_1214:
	s_and_b64 vcc, exec, s[8:9]
	s_cbranch_vccz .LBB505_1219
; %bb.1215:
	s_cmp_eq_u32 s16, 44
	s_cbranch_scc0 .LBB505_1217
; %bb.1216:
	global_load_ubyte v1, v[8:9], off
	s_movk_i32 s8, 0xff
	v_mov_b32_e32 v3, 0x7f800001
	s_waitcnt vmcnt(1)
	v_mov_b32_e32 v5, 0x400000
	s_mov_b64 s[0:1], 0
	s_mov_b64 s[10:11], -1
	s_waitcnt vmcnt(0)
	v_lshlrev_b32_e32 v7, 23, v1
	v_cmp_ne_u32_e32 vcc, s8, v1
	s_nop 1
	v_cndmask_b32_e32 v3, v3, v7, vcc
	v_cmp_ne_u32_e32 vcc, 0, v1
	s_nop 1
	v_cndmask_b32_e32 v16, v5, v3, vcc
	s_branch .LBB505_1218
.LBB505_1217:
	s_mov_b64 s[0:1], -1
                                        ; implicit-def: $vgpr16
.LBB505_1218:
	v_mov_b32_e32 v17, 0
.LBB505_1219:
	s_mov_b64 s[8:9], 0
.LBB505_1220:
	s_and_b64 vcc, exec, s[8:9]
	s_cbranch_vccz .LBB505_1225
; %bb.1221:
	s_cmp_eq_u32 s16, 29
	s_cbranch_scc0 .LBB505_1223
; %bb.1222:
	global_load_dwordx2 v[16:17], v[8:9], off
	s_mov_b64 s[0:1], 0
	s_mov_b64 s[10:11], -1
	s_waitcnt vmcnt(0)
	v_ffbh_u32_e32 v1, v17
	v_min_u32_e32 v1, 32, v1
	v_lshlrev_b64 v[16:17], v1, v[16:17]
	v_min_u32_e32 v3, 1, v16
	v_or_b32_e32 v3, v17, v3
	v_cvt_f32_u32_e32 v3, v3
	v_sub_u32_e32 v1, 32, v1
	v_ldexp_f32 v16, v3, v1
	s_branch .LBB505_1224
.LBB505_1223:
	s_mov_b64 s[0:1], -1
                                        ; implicit-def: $vgpr16
.LBB505_1224:
	v_mov_b32_e32 v17, 0
.LBB505_1225:
	s_branch .LBB505_1243
.LBB505_1226:
	s_cmp_lt_i32 s16, 27
	s_cbranch_scc1 .LBB505_1229
; %bb.1227:
	s_cmp_gt_i32 s16, 27
	s_cbranch_scc0 .LBB505_1230
; %bb.1228:
	global_load_dword v1, v[8:9], off
	s_mov_b64 s[8:9], 0
	s_waitcnt vmcnt(0)
	v_cvt_f32_u32_e32 v16, v1
	s_branch .LBB505_1231
.LBB505_1229:
	s_mov_b64 s[8:9], -1
                                        ; implicit-def: $vgpr16
	s_branch .LBB505_1234
.LBB505_1230:
	s_mov_b64 s[8:9], -1
                                        ; implicit-def: $vgpr16
.LBB505_1231:
	s_andn2_b64 vcc, exec, s[8:9]
	s_cbranch_vccnz .LBB505_1233
; %bb.1232:
	global_load_ushort v1, v[8:9], off
	s_waitcnt vmcnt(0)
	v_cvt_f32_u32_e32 v16, v1
.LBB505_1233:
	s_mov_b64 s[8:9], 0
.LBB505_1234:
	s_andn2_b64 vcc, exec, s[8:9]
	s_cbranch_vccnz .LBB505_1242
; %bb.1235:
	global_load_ubyte v1, v[8:9], off
	s_movk_i32 s8, 0x7f
	s_waitcnt vmcnt(0)
	v_cmp_lt_i16_e32 vcc, s8, v1
	s_mov_b64 s[8:9], 0
	s_and_saveexec_b64 s[10:11], vcc
	s_xor_b64 s[10:11], exec, s[10:11]
	s_cbranch_execz .LBB505_1255
; %bb.1236:
	s_movk_i32 s8, 0x80
	v_cmp_eq_u16_e32 vcc, s8, v1
	s_mov_b64 s[8:9], -1
	s_and_saveexec_b64 s[12:13], vcc
; %bb.1237:
	s_xor_b64 s[8:9], exec, -1
; %bb.1238:
	s_or_b64 exec, exec, s[12:13]
	s_and_b64 s[8:9], s[8:9], exec
	s_or_saveexec_b64 s[10:11], s[10:11]
	v_mov_b32_e32 v16, 0x7f800001
	s_xor_b64 exec, exec, s[10:11]
	s_cbranch_execnz .LBB505_1256
.LBB505_1239:
	s_or_b64 exec, exec, s[10:11]
	s_and_saveexec_b64 s[10:11], s[8:9]
	s_cbranch_execz .LBB505_1241
.LBB505_1240:
	v_lshlrev_b32_e32 v3, 24, v1
	v_and_b32_e32 v1, 0xffff, v1
	v_and_b32_e32 v5, 7, v1
	v_ffbh_u32_e32 v11, v5
	v_min_u32_e32 v11, 32, v11
	v_subrev_u32_e32 v13, 28, v11
	v_bfe_u32 v7, v1, 3, 4
	v_lshlrev_b32_e32 v1, v13, v1
	v_sub_u32_e32 v11, 29, v11
	v_and_b32_e32 v1, 7, v1
	v_cmp_eq_u32_e32 vcc, 0, v7
	v_and_b32_e32 v3, 0x80000000, v3
	s_nop 0
	v_cndmask_b32_e32 v7, v7, v11, vcc
	v_cndmask_b32_e32 v1, v5, v1, vcc
	v_mov_b32_e32 v5, 0x3b800000
	v_lshlrev_b32_e32 v1, 20, v1
	v_lshl_add_u32 v5, v7, 23, v5
	v_or3_b32 v16, v3, v5, v1
.LBB505_1241:
	s_or_b64 exec, exec, s[10:11]
.LBB505_1242:
	s_mov_b64 s[10:11], -1
	v_mov_b32_e32 v17, 0
.LBB505_1243:
	s_branch .LBB505_1276
.LBB505_1244:
	s_cmp_gt_i32 s16, 22
	s_cbranch_scc0 .LBB505_1254
; %bb.1245:
	s_cmp_lt_i32 s16, 24
	s_cbranch_scc1 .LBB505_1257
; %bb.1246:
	s_cmp_gt_i32 s16, 24
	s_cbranch_scc0 .LBB505_1258
; %bb.1247:
	global_load_ubyte v1, v[8:9], off
	s_movk_i32 s2, 0x7f
	s_waitcnt vmcnt(0)
	v_cmp_lt_i16_e32 vcc, s2, v1
	s_mov_b64 s[2:3], 0
	s_and_saveexec_b64 s[8:9], vcc
	s_xor_b64 s[8:9], exec, s[8:9]
	s_cbranch_execz .LBB505_1269
; %bb.1248:
	s_movk_i32 s2, 0x80
	v_cmp_eq_u16_e32 vcc, s2, v1
	s_mov_b64 s[2:3], -1
	s_and_saveexec_b64 s[10:11], vcc
; %bb.1249:
	s_xor_b64 s[2:3], exec, -1
; %bb.1250:
	s_or_b64 exec, exec, s[10:11]
	s_and_b64 s[2:3], s[2:3], exec
	s_or_saveexec_b64 s[8:9], s[8:9]
	v_mov_b32_e32 v16, 0x7f800001
	s_xor_b64 exec, exec, s[8:9]
	s_cbranch_execnz .LBB505_1270
.LBB505_1251:
	s_or_b64 exec, exec, s[8:9]
	s_and_saveexec_b64 s[8:9], s[2:3]
	s_cbranch_execz .LBB505_1253
.LBB505_1252:
	v_lshlrev_b32_e32 v3, 24, v1
	v_and_b32_e32 v1, 0xffff, v1
	v_and_b32_e32 v5, 3, v1
	v_ffbh_u32_e32 v11, v5
	v_min_u32_e32 v11, 32, v11
	v_subrev_u32_e32 v13, 29, v11
	v_bfe_u32 v7, v1, 2, 5
	v_lshlrev_b32_e32 v1, v13, v1
	v_sub_u32_e32 v11, 30, v11
	v_and_b32_e32 v1, 3, v1
	v_cmp_eq_u32_e32 vcc, 0, v7
	v_and_b32_e32 v3, 0x80000000, v3
	s_nop 0
	v_cndmask_b32_e32 v7, v7, v11, vcc
	v_cndmask_b32_e32 v1, v5, v1, vcc
	v_mov_b32_e32 v5, 0x37800000
	v_lshlrev_b32_e32 v1, 21, v1
	v_lshl_add_u32 v5, v7, 23, v5
	v_or3_b32 v16, v3, v5, v1
.LBB505_1253:
	s_or_b64 exec, exec, s[8:9]
	s_mov_b64 s[2:3], 0
	s_branch .LBB505_1259
.LBB505_1254:
                                        ; implicit-def: $vgpr16
	s_mov_b64 s[2:3], 0
	s_branch .LBB505_1265
.LBB505_1255:
	s_or_saveexec_b64 s[10:11], s[10:11]
	v_mov_b32_e32 v16, 0x7f800001
	s_xor_b64 exec, exec, s[10:11]
	s_cbranch_execz .LBB505_1239
.LBB505_1256:
	v_cmp_ne_u16_e32 vcc, 0, v1
	s_andn2_b64 s[8:9], s[8:9], exec
	s_and_b64 s[12:13], vcc, exec
	v_mov_b32_e32 v16, 0
	s_or_b64 s[8:9], s[8:9], s[12:13]
	s_or_b64 exec, exec, s[10:11]
	s_and_saveexec_b64 s[10:11], s[8:9]
	s_cbranch_execnz .LBB505_1240
	s_branch .LBB505_1241
.LBB505_1257:
	s_mov_b64 s[2:3], -1
                                        ; implicit-def: $vgpr16
	s_branch .LBB505_1262
.LBB505_1258:
	s_mov_b64 s[2:3], -1
                                        ; implicit-def: $vgpr16
.LBB505_1259:
	s_and_b64 vcc, exec, s[2:3]
	s_cbranch_vccz .LBB505_1261
; %bb.1260:
	global_load_ubyte v1, v[8:9], off
	s_mov_b32 s2, 0x7f800000
	s_waitcnt vmcnt(0)
	v_lshlrev_b32_e32 v1, 24, v1
	v_and_b32_e32 v3, 0x7f000000, v1
	v_ffbh_u32_e32 v5, v3
	v_min_u32_e32 v5, 32, v5
	v_sub_u32_e64 v5, v5, 4 clamp
	v_lshlrev_b32_e32 v11, v5, v3
	v_lshlrev_b32_e32 v5, 23, v5
	v_lshrrev_b32_e32 v11, 4, v11
	v_add_u32_e32 v7, 0x1000000, v3
	v_sub_u32_e32 v5, v11, v5
	v_ashrrev_i32_e32 v7, 8, v7
	v_add_u32_e32 v5, 0x3c000000, v5
	v_and_or_b32 v5, v7, s2, v5
	v_cmp_ne_u32_e32 vcc, 0, v3
	s_brev_b32 s2, 1
	s_nop 0
	v_cndmask_b32_e32 v3, 0, v5, vcc
	v_and_or_b32 v16, v1, s2, v3
.LBB505_1261:
	s_mov_b64 s[2:3], 0
.LBB505_1262:
	s_andn2_b64 vcc, exec, s[2:3]
	s_cbranch_vccnz .LBB505_1264
; %bb.1263:
	global_load_ubyte v1, v[8:9], off
	s_movk_i32 s2, 0x7f00
	s_brev_b32 s3, 16
	s_waitcnt vmcnt(0)
	v_lshlrev_b16_e32 v3, 8, v1
	v_lshlrev_b32_e32 v1, 25, v1
	v_lshrrev_b32_e32 v5, 4, v1
	v_and_or_b32 v7, v3, s2, 0.5
	v_or_b32_e32 v5, 0x70000000, v5
	v_add_f32_e32 v7, -0.5, v7
	v_mul_f32_e32 v5, 0x7800000, v5
	v_cmp_gt_u32_e32 vcc, s3, v1
	v_bfe_i32 v3, v3, 0, 16
	s_brev_b32 s2, 1
	v_cndmask_b32_e32 v1, v5, v7, vcc
	v_and_or_b32 v16, v3, s2, v1
.LBB505_1264:
	s_mov_b64 s[10:11], -1
	s_mov_b64 s[2:3], 0
	s_cbranch_execnz .LBB505_1275
.LBB505_1265:
	s_cmp_gt_i32 s16, 14
	s_cbranch_scc0 .LBB505_1268
; %bb.1266:
	s_cmp_eq_u32 s16, 15
	s_cbranch_scc0 .LBB505_1271
; %bb.1267:
	global_load_ushort v1, v[8:9], off
	s_mov_b64 s[0:1], 0
	s_mov_b64 s[10:11], -1
	s_waitcnt vmcnt(0)
	v_lshlrev_b32_e32 v16, 16, v1
	s_branch .LBB505_1272
.LBB505_1268:
	s_mov_b64 s[8:9], -1
                                        ; implicit-def: $vgpr16
	s_branch .LBB505_1273
.LBB505_1269:
	s_or_saveexec_b64 s[8:9], s[8:9]
	v_mov_b32_e32 v16, 0x7f800001
	s_xor_b64 exec, exec, s[8:9]
	s_cbranch_execz .LBB505_1251
.LBB505_1270:
	v_cmp_ne_u16_e32 vcc, 0, v1
	s_andn2_b64 s[2:3], s[2:3], exec
	s_and_b64 s[10:11], vcc, exec
	v_mov_b32_e32 v16, 0
	s_or_b64 s[2:3], s[2:3], s[10:11]
	s_or_b64 exec, exec, s[8:9]
	s_and_saveexec_b64 s[8:9], s[2:3]
	s_cbranch_execnz .LBB505_1252
	s_branch .LBB505_1253
.LBB505_1271:
	s_mov_b64 s[0:1], -1
                                        ; implicit-def: $vgpr16
.LBB505_1272:
	s_mov_b64 s[8:9], 0
.LBB505_1273:
	s_and_b64 vcc, exec, s[8:9]
	s_cbranch_vccz .LBB505_1275
; %bb.1274:
	s_cmp_lg_u32 s16, 11
	s_mov_b64 s[2:3], -1
	s_cselect_b64 s[0:1], -1, 0
.LBB505_1275:
	v_mov_b32_e32 v17, 0
.LBB505_1276:
	s_and_b64 vcc, exec, s[0:1]
	s_mov_b64 s[8:9], s[24:25]
	s_cbranch_vccnz .LBB505_1347
; %bb.1277:
	s_andn2_b64 vcc, exec, s[2:3]
	s_cbranch_vccnz .LBB505_1279
.LBB505_1278:
	global_load_ubyte v1, v[8:9], off
	v_mov_b32_e32 v17, 0
	s_mov_b64 s[10:11], -1
	s_waitcnt vmcnt(0)
	v_cmp_ne_u16_e32 vcc, 0, v1
	s_nop 1
	v_cndmask_b32_e64 v16, 0, 1.0, vcc
.LBB505_1279:
	s_branch .LBB505_1206
.LBB505_1280:
	s_and_b32 s2, 0xffff, s15
	s_cmp_lt_i32 s2, 5
	s_cbranch_scc1 .LBB505_1285
; %bb.1281:
	s_cmp_lt_i32 s2, 8
	s_cbranch_scc1 .LBB505_1287
; %bb.1282:
	;; [unrolled: 3-line block ×3, first 2 shown]
	s_cmp_gt_i32 s2, 9
	s_cbranch_scc0 .LBB505_1289
; %bb.1284:
	global_load_dwordx4 v[16:19], v[8:9], off
	s_mov_b64 s[0:1], 0
	s_waitcnt vmcnt(0)
	v_cvt_f32_f64_e32 v16, v[16:17]
	v_cvt_f32_f64_e32 v17, v[18:19]
	s_branch .LBB505_1290
.LBB505_1285:
                                        ; implicit-def: $vgpr17
	s_branch .LBB505_1308
.LBB505_1286:
	s_branch .LBB505_1327
.LBB505_1287:
                                        ; implicit-def: $vgpr17
	s_branch .LBB505_1296
.LBB505_1288:
	s_mov_b64 s[0:1], -1
                                        ; implicit-def: $vgpr17
	s_branch .LBB505_1293
.LBB505_1289:
	s_mov_b64 s[0:1], -1
                                        ; implicit-def: $vgpr17
.LBB505_1290:
	s_andn2_b64 vcc, exec, s[0:1]
	s_cbranch_vccnz .LBB505_1292
; %bb.1291:
	global_load_dwordx2 v[16:17], v[8:9], off
.LBB505_1292:
	s_mov_b64 s[0:1], 0
.LBB505_1293:
	s_andn2_b64 vcc, exec, s[0:1]
	s_cbranch_vccnz .LBB505_1295
; %bb.1294:
	global_load_dword v1, v[8:9], off
	s_waitcnt vmcnt(0)
	v_cvt_f32_f16_sdwa v17, v1 dst_sel:DWORD dst_unused:UNUSED_PAD src0_sel:WORD_1
	v_cvt_f32_f16_e32 v16, v1
.LBB505_1295:
	s_cbranch_execnz .LBB505_1307
.LBB505_1296:
	s_cmp_lt_i32 s2, 6
	s_cbranch_scc1 .LBB505_1299
; %bb.1297:
	s_cmp_gt_i32 s2, 6
	s_cbranch_scc0 .LBB505_1300
; %bb.1298:
	global_load_dwordx2 v[16:17], v[8:9], off
	s_mov_b64 s[0:1], 0
	s_waitcnt vmcnt(0)
	v_cvt_f32_f64_e32 v16, v[16:17]
	s_branch .LBB505_1301
.LBB505_1299:
	s_mov_b64 s[0:1], -1
                                        ; implicit-def: $vgpr16
	s_branch .LBB505_1304
.LBB505_1300:
	s_mov_b64 s[0:1], -1
                                        ; implicit-def: $vgpr16
.LBB505_1301:
	s_andn2_b64 vcc, exec, s[0:1]
	s_cbranch_vccnz .LBB505_1303
; %bb.1302:
	global_load_dword v16, v[8:9], off
.LBB505_1303:
	s_mov_b64 s[0:1], 0
.LBB505_1304:
	s_andn2_b64 vcc, exec, s[0:1]
	s_cbranch_vccnz .LBB505_1306
; %bb.1305:
	global_load_ushort v1, v[8:9], off
	s_waitcnt vmcnt(0)
	v_cvt_f32_f16_e32 v16, v1
.LBB505_1306:
	s_waitcnt vmcnt(0)
	v_mov_b32_e32 v17, 0
.LBB505_1307:
	s_cbranch_execnz .LBB505_1286
.LBB505_1308:
	s_cmp_lt_i32 s2, 2
	s_cbranch_scc1 .LBB505_1312
; %bb.1309:
	s_cmp_lt_i32 s2, 3
	s_cbranch_scc1 .LBB505_1313
; %bb.1310:
	s_cmp_gt_i32 s2, 3
	s_cbranch_scc0 .LBB505_1314
; %bb.1311:
	global_load_dwordx2 v[16:17], v[8:9], off
	s_mov_b64 s[0:1], 0
	s_waitcnt vmcnt(0)
	v_xor_b32_e32 v3, v16, v17
	v_ffbh_i32_e32 v1, v17
	v_ashrrev_i32_e32 v3, 31, v3
	v_add_u32_e32 v1, -1, v1
	v_add_u32_e32 v3, 32, v3
	v_min_u32_e32 v1, v1, v3
	v_lshlrev_b64 v[16:17], v1, v[16:17]
	v_min_u32_e32 v3, 1, v16
	v_or_b32_e32 v3, v17, v3
	v_cvt_f32_i32_e32 v3, v3
	v_sub_u32_e32 v1, 32, v1
	v_ldexp_f32 v16, v3, v1
	s_branch .LBB505_1315
.LBB505_1312:
                                        ; implicit-def: $vgpr16
	s_branch .LBB505_1321
.LBB505_1313:
	s_mov_b64 s[0:1], -1
                                        ; implicit-def: $vgpr16
	s_branch .LBB505_1318
.LBB505_1314:
	s_mov_b64 s[0:1], -1
                                        ; implicit-def: $vgpr16
.LBB505_1315:
	s_andn2_b64 vcc, exec, s[0:1]
	s_cbranch_vccnz .LBB505_1317
; %bb.1316:
	global_load_dword v1, v[8:9], off
	s_waitcnt vmcnt(0)
	v_cvt_f32_i32_e32 v16, v1
.LBB505_1317:
	s_mov_b64 s[0:1], 0
.LBB505_1318:
	s_andn2_b64 vcc, exec, s[0:1]
	s_cbranch_vccnz .LBB505_1320
; %bb.1319:
	global_load_sshort v1, v[8:9], off
	s_waitcnt vmcnt(0)
	v_cvt_f32_i32_e32 v16, v1
.LBB505_1320:
	s_cbranch_execnz .LBB505_1326
.LBB505_1321:
	s_cmp_gt_i32 s2, 0
	s_cbranch_scc0 .LBB505_1323
; %bb.1322:
	global_load_sbyte v1, v[8:9], off
	s_mov_b64 s[0:1], 0
	s_waitcnt vmcnt(0)
	v_cvt_f32_i32_e32 v16, v1
	s_branch .LBB505_1324
.LBB505_1323:
	s_mov_b64 s[0:1], -1
                                        ; implicit-def: $vgpr16
.LBB505_1324:
	s_andn2_b64 vcc, exec, s[0:1]
	s_cbranch_vccnz .LBB505_1326
; %bb.1325:
	global_load_ubyte v1, v[8:9], off
	s_waitcnt vmcnt(0)
	v_cvt_f32_ubyte0_e32 v16, v1
.LBB505_1326:
	s_waitcnt vmcnt(0)
	v_mov_b32_e32 v17, 0
.LBB505_1327:
	s_load_dwordx4 s[0:3], s[34:35], 0x158
	s_waitcnt vmcnt(0)
	v_cmp_o_f32_e32 vcc, v16, v16
	s_waitcnt lgkmcnt(0)
	v_mov_b32_e32 v8, s0
	s_and_saveexec_b64 s[10:11], vcc
	s_cbranch_execz .LBB505_1331
; %bb.1328:
	s_mov_b32 s3, 0x7f800000
	v_cmp_neq_f32_e32 vcc, s3, v16
	v_mov_b32_e32 v8, s1
	s_and_saveexec_b64 s[12:13], vcc
; %bb.1329:
	s_mov_b32 s3, 0xff800000
	v_mov_b32_e32 v1, s2
	v_cmp_eq_f32_e32 vcc, s3, v16
	s_nop 1
	v_cndmask_b32_e32 v8, v16, v1, vcc
; %bb.1330:
	s_or_b64 exec, exec, s[12:13]
.LBB505_1331:
	s_or_b64 exec, exec, s[10:11]
	v_cmp_o_f32_e32 vcc, v17, v17
	v_mov_b32_e32 v9, s0
	s_and_saveexec_b64 s[10:11], vcc
	s_cbranch_execz .LBB505_1335
; %bb.1332:
	s_mov_b32 s3, 0x7f800000
	v_cmp_neq_f32_e32 vcc, s3, v17
	v_mov_b32_e32 v9, s1
	s_and_saveexec_b64 s[12:13], vcc
; %bb.1333:
	s_mov_b32 s3, 0xff800000
	v_mov_b32_e32 v1, s2
	v_cmp_eq_f32_e32 vcc, s3, v17
	s_nop 1
	v_cndmask_b32_e32 v9, v17, v1, vcc
; %bb.1334:
	s_or_b64 exec, exec, s[12:13]
.LBB505_1335:
	s_or_b64 exec, exec, s[10:11]
	s_lshr_b32 s3, s14, 8
	v_mov_b32_e32 v11, 0
	s_and_b32 s3, s3, 0xff
	s_cmp_lt_i32 s3, 11
	v_lshl_add_u64 v[10:11], s[6:7], 0, v[10:11]
	s_cbranch_scc1 .LBB505_1342
; %bb.1336:
	s_and_b32 s20, 0xffff, s3
	s_cmp_gt_i32 s20, 25
	s_mov_b64 s[12:13], 0
	s_cbranch_scc0 .LBB505_1344
; %bb.1337:
	s_cmp_gt_i32 s20, 28
	s_cbranch_scc0 .LBB505_1345
; %bb.1338:
	s_cmp_gt_i32 s20, 43
	;; [unrolled: 3-line block ×3, first 2 shown]
	s_cbranch_scc0 .LBB505_1348
; %bb.1340:
	s_cmp_eq_u32 s20, 46
	s_mov_b64 s[16:17], 0
	s_cbranch_scc0 .LBB505_1351
; %bb.1341:
	global_load_dword v1, v[10:11], off
	s_mov_b64 s[10:11], 0
	s_mov_b64 s[14:15], -1
	s_waitcnt vmcnt(0)
	v_and_b32_e32 v17, 0xffff0000, v1
	v_lshlrev_b32_e32 v16, 16, v1
	s_branch .LBB505_1352
.LBB505_1342:
	s_mov_b64 s[14:15], 0
                                        ; implicit-def: $vgpr17
	s_cbranch_execnz .LBB505_1420
.LBB505_1343:
	s_andn2_b64 vcc, exec, s[14:15]
	s_cbranch_vccnz .LBB505_1840
	s_branch .LBB505_1469
.LBB505_1344:
	s_mov_b64 s[14:15], 0
	s_mov_b64 s[10:11], 0
                                        ; implicit-def: $vgpr17
	s_cbranch_execnz .LBB505_1383
	s_branch .LBB505_1416
.LBB505_1345:
	s_mov_b64 s[16:17], -1
	s_mov_b64 s[14:15], 0
	s_mov_b64 s[10:11], 0
                                        ; implicit-def: $vgpr17
	s_branch .LBB505_1364
.LBB505_1346:
	s_mov_b64 s[16:17], -1
	s_mov_b64 s[14:15], 0
	s_mov_b64 s[10:11], 0
                                        ; implicit-def: $vgpr17
	s_branch .LBB505_1358
.LBB505_1347:
	s_trap 2
	s_or_b64 s[8:9], s[24:25], exec
	s_cbranch_execz .LBB505_1278
	s_branch .LBB505_1279
.LBB505_1348:
	s_mov_b64 s[16:17], -1
	s_mov_b64 s[14:15], 0
	s_mov_b64 s[10:11], 0
                                        ; implicit-def: $vgpr17
	s_branch .LBB505_1352
.LBB505_1349:
	s_andn2_saveexec_b64 s[14:15], s[14:15]
	s_cbranch_execz .LBB505_1066
.LBB505_1350:
	s_mov_b32 s17, 0x42800000
	v_add_f32_e64 v0, |v2|, s17
	v_and_b32_e32 v0, 0xff, v0
	v_cmp_ne_u32_e32 vcc, 0, v0
	s_andn2_b64 s[10:11], s[10:11], exec
	s_and_b64 s[20:21], vcc, exec
	s_or_b64 s[10:11], s[10:11], s[20:21]
	s_or_b64 exec, exec, s[14:15]
	v_mov_b32_e32 v1, 0
	s_and_saveexec_b64 s[14:15], s[10:11]
	s_cbranch_execnz .LBB505_1067
	s_branch .LBB505_1068
.LBB505_1351:
	s_mov_b64 s[10:11], -1
                                        ; implicit-def: $vgpr17
	s_mov_b64 s[14:15], 0
.LBB505_1352:
	s_and_b64 vcc, exec, s[16:17]
	s_cbranch_vccz .LBB505_1357
; %bb.1353:
	s_cmp_eq_u32 s20, 44
	s_cbranch_scc0 .LBB505_1355
; %bb.1354:
	global_load_ubyte v1, v[10:11], off
	s_movk_i32 s14, 0xff
	v_mov_b32_e32 v3, 0x7f800001
	v_mov_b32_e32 v5, 0x400000
	s_mov_b64 s[10:11], 0
	s_waitcnt vmcnt(0)
	v_lshlrev_b32_e32 v7, 23, v1
	v_cmp_ne_u32_e32 vcc, s14, v1
	s_mov_b64 s[14:15], -1
	s_nop 0
	v_cndmask_b32_e32 v3, v3, v7, vcc
	v_cmp_ne_u32_e32 vcc, 0, v1
	s_nop 1
	v_cndmask_b32_e32 v16, v5, v3, vcc
	s_branch .LBB505_1356
.LBB505_1355:
	s_mov_b64 s[10:11], -1
                                        ; implicit-def: $vgpr16
.LBB505_1356:
	v_mov_b32_e32 v17, 0
.LBB505_1357:
	s_mov_b64 s[16:17], 0
.LBB505_1358:
	s_and_b64 vcc, exec, s[16:17]
	s_cbranch_vccz .LBB505_1363
; %bb.1359:
	s_cmp_eq_u32 s20, 29
	s_cbranch_scc0 .LBB505_1361
; %bb.1360:
	global_load_dwordx2 v[16:17], v[10:11], off
	s_mov_b64 s[10:11], 0
	s_mov_b64 s[14:15], -1
	s_waitcnt vmcnt(0)
	v_ffbh_u32_e32 v1, v17
	v_min_u32_e32 v1, 32, v1
	v_lshlrev_b64 v[16:17], v1, v[16:17]
	v_min_u32_e32 v3, 1, v16
	v_or_b32_e32 v3, v17, v3
	v_cvt_f32_u32_e32 v3, v3
	v_sub_u32_e32 v1, 32, v1
	v_ldexp_f32 v16, v3, v1
	s_branch .LBB505_1362
.LBB505_1361:
	s_mov_b64 s[10:11], -1
                                        ; implicit-def: $vgpr16
.LBB505_1362:
	v_mov_b32_e32 v17, 0
.LBB505_1363:
	s_mov_b64 s[16:17], 0
.LBB505_1364:
	s_and_b64 vcc, exec, s[16:17]
	s_cbranch_vccz .LBB505_1382
; %bb.1365:
	s_cmp_lt_i32 s20, 27
	s_cbranch_scc1 .LBB505_1368
; %bb.1366:
	s_cmp_gt_i32 s20, 27
	s_cbranch_scc0 .LBB505_1369
; %bb.1367:
	global_load_dword v1, v[10:11], off
	s_mov_b64 s[14:15], 0
	s_waitcnt vmcnt(0)
	v_cvt_f32_u32_e32 v16, v1
	s_branch .LBB505_1370
.LBB505_1368:
	s_mov_b64 s[14:15], -1
                                        ; implicit-def: $vgpr16
	s_branch .LBB505_1373
.LBB505_1369:
	s_mov_b64 s[14:15], -1
                                        ; implicit-def: $vgpr16
.LBB505_1370:
	s_andn2_b64 vcc, exec, s[14:15]
	s_cbranch_vccnz .LBB505_1372
; %bb.1371:
	global_load_ushort v1, v[10:11], off
	s_waitcnt vmcnt(0)
	v_cvt_f32_u32_e32 v16, v1
.LBB505_1372:
	s_mov_b64 s[14:15], 0
.LBB505_1373:
	s_andn2_b64 vcc, exec, s[14:15]
	s_cbranch_vccnz .LBB505_1381
; %bb.1374:
	global_load_ubyte v1, v[10:11], off
	s_movk_i32 s14, 0x7f
	s_waitcnt vmcnt(0)
	v_cmp_lt_i16_e32 vcc, s14, v1
	s_mov_b64 s[14:15], 0
	s_and_saveexec_b64 s[16:17], vcc
	s_xor_b64 s[16:17], exec, s[16:17]
	s_cbranch_execz .LBB505_1394
; %bb.1375:
	s_movk_i32 s14, 0x80
	v_cmp_eq_u16_e32 vcc, s14, v1
	s_mov_b64 s[14:15], -1
	s_and_saveexec_b64 s[18:19], vcc
; %bb.1376:
	s_xor_b64 s[14:15], exec, -1
; %bb.1377:
	s_or_b64 exec, exec, s[18:19]
	s_and_b64 s[14:15], s[14:15], exec
	s_or_saveexec_b64 s[16:17], s[16:17]
	v_mov_b32_e32 v16, 0x7f800001
	s_xor_b64 exec, exec, s[16:17]
	s_cbranch_execnz .LBB505_1395
.LBB505_1378:
	s_or_b64 exec, exec, s[16:17]
	s_and_saveexec_b64 s[16:17], s[14:15]
	s_cbranch_execz .LBB505_1380
.LBB505_1379:
	v_lshlrev_b32_e32 v3, 24, v1
	v_and_b32_e32 v1, 0xffff, v1
	v_and_b32_e32 v5, 7, v1
	v_ffbh_u32_e32 v13, v5
	v_min_u32_e32 v13, 32, v13
	v_subrev_u32_e32 v15, 28, v13
	v_bfe_u32 v7, v1, 3, 4
	v_lshlrev_b32_e32 v1, v15, v1
	v_sub_u32_e32 v13, 29, v13
	v_and_b32_e32 v1, 7, v1
	v_cmp_eq_u32_e32 vcc, 0, v7
	v_and_b32_e32 v3, 0x80000000, v3
	s_nop 0
	v_cndmask_b32_e32 v7, v7, v13, vcc
	v_cndmask_b32_e32 v1, v5, v1, vcc
	v_mov_b32_e32 v5, 0x3b800000
	v_lshlrev_b32_e32 v1, 20, v1
	v_lshl_add_u32 v5, v7, 23, v5
	v_or3_b32 v16, v3, v5, v1
.LBB505_1380:
	s_or_b64 exec, exec, s[16:17]
.LBB505_1381:
	s_mov_b64 s[14:15], -1
	v_mov_b32_e32 v17, 0
.LBB505_1382:
	s_branch .LBB505_1416
.LBB505_1383:
	s_cmp_gt_i32 s20, 22
	s_cbranch_scc0 .LBB505_1393
; %bb.1384:
	s_cmp_lt_i32 s20, 24
	s_cbranch_scc1 .LBB505_1396
; %bb.1385:
	s_cmp_gt_i32 s20, 24
	s_cbranch_scc0 .LBB505_1397
; %bb.1386:
	global_load_ubyte v1, v[10:11], off
	s_movk_i32 s12, 0x7f
	s_waitcnt vmcnt(0)
	v_cmp_lt_i16_e32 vcc, s12, v1
	s_mov_b64 s[12:13], 0
	s_and_saveexec_b64 s[14:15], vcc
	s_xor_b64 s[14:15], exec, s[14:15]
	s_cbranch_execz .LBB505_1409
; %bb.1387:
	s_movk_i32 s12, 0x80
	v_cmp_eq_u16_e32 vcc, s12, v1
	s_mov_b64 s[12:13], -1
	s_and_saveexec_b64 s[16:17], vcc
; %bb.1388:
	s_xor_b64 s[12:13], exec, -1
; %bb.1389:
	s_or_b64 exec, exec, s[16:17]
	s_and_b64 s[12:13], s[12:13], exec
	s_or_saveexec_b64 s[14:15], s[14:15]
	v_mov_b32_e32 v16, 0x7f800001
	s_xor_b64 exec, exec, s[14:15]
	s_cbranch_execnz .LBB505_1410
.LBB505_1390:
	s_or_b64 exec, exec, s[14:15]
	s_and_saveexec_b64 s[14:15], s[12:13]
	s_cbranch_execz .LBB505_1392
.LBB505_1391:
	v_lshlrev_b32_e32 v3, 24, v1
	v_and_b32_e32 v1, 0xffff, v1
	v_and_b32_e32 v5, 3, v1
	v_ffbh_u32_e32 v13, v5
	v_min_u32_e32 v13, 32, v13
	v_subrev_u32_e32 v15, 29, v13
	v_bfe_u32 v7, v1, 2, 5
	v_lshlrev_b32_e32 v1, v15, v1
	v_sub_u32_e32 v13, 30, v13
	v_and_b32_e32 v1, 3, v1
	v_cmp_eq_u32_e32 vcc, 0, v7
	v_and_b32_e32 v3, 0x80000000, v3
	s_nop 0
	v_cndmask_b32_e32 v7, v7, v13, vcc
	v_cndmask_b32_e32 v1, v5, v1, vcc
	v_mov_b32_e32 v5, 0x37800000
	v_lshlrev_b32_e32 v1, 21, v1
	v_lshl_add_u32 v5, v7, 23, v5
	v_or3_b32 v16, v3, v5, v1
.LBB505_1392:
	s_or_b64 exec, exec, s[14:15]
	s_mov_b64 s[12:13], 0
	s_branch .LBB505_1398
.LBB505_1393:
	s_mov_b64 s[12:13], -1
                                        ; implicit-def: $vgpr16
	s_branch .LBB505_1404
.LBB505_1394:
	s_or_saveexec_b64 s[16:17], s[16:17]
	v_mov_b32_e32 v16, 0x7f800001
	s_xor_b64 exec, exec, s[16:17]
	s_cbranch_execz .LBB505_1378
.LBB505_1395:
	v_cmp_ne_u16_e32 vcc, 0, v1
	s_andn2_b64 s[14:15], s[14:15], exec
	s_and_b64 s[18:19], vcc, exec
	v_mov_b32_e32 v16, 0
	s_or_b64 s[14:15], s[14:15], s[18:19]
	s_or_b64 exec, exec, s[16:17]
	s_and_saveexec_b64 s[16:17], s[14:15]
	s_cbranch_execnz .LBB505_1379
	s_branch .LBB505_1380
.LBB505_1396:
	s_mov_b64 s[12:13], -1
                                        ; implicit-def: $vgpr16
	s_branch .LBB505_1401
.LBB505_1397:
	s_mov_b64 s[12:13], -1
                                        ; implicit-def: $vgpr16
.LBB505_1398:
	s_and_b64 vcc, exec, s[12:13]
	s_cbranch_vccz .LBB505_1400
; %bb.1399:
	global_load_ubyte v1, v[10:11], off
	s_mov_b32 s12, 0x7f800000
	s_waitcnt vmcnt(0)
	v_lshlrev_b32_e32 v1, 24, v1
	v_and_b32_e32 v3, 0x7f000000, v1
	v_ffbh_u32_e32 v5, v3
	v_min_u32_e32 v5, 32, v5
	v_sub_u32_e64 v5, v5, 4 clamp
	v_lshlrev_b32_e32 v13, v5, v3
	v_lshlrev_b32_e32 v5, 23, v5
	v_lshrrev_b32_e32 v13, 4, v13
	v_add_u32_e32 v7, 0x1000000, v3
	v_sub_u32_e32 v5, v13, v5
	v_ashrrev_i32_e32 v7, 8, v7
	v_add_u32_e32 v5, 0x3c000000, v5
	v_and_or_b32 v5, v7, s12, v5
	v_cmp_ne_u32_e32 vcc, 0, v3
	s_brev_b32 s12, 1
	s_nop 0
	v_cndmask_b32_e32 v3, 0, v5, vcc
	v_and_or_b32 v16, v1, s12, v3
.LBB505_1400:
	s_mov_b64 s[12:13], 0
.LBB505_1401:
	s_andn2_b64 vcc, exec, s[12:13]
	s_cbranch_vccnz .LBB505_1403
; %bb.1402:
	global_load_ubyte v1, v[10:11], off
	s_movk_i32 s12, 0x7f00
	s_brev_b32 s13, 16
	s_waitcnt vmcnt(0)
	v_lshlrev_b16_e32 v3, 8, v1
	v_lshlrev_b32_e32 v1, 25, v1
	v_lshrrev_b32_e32 v5, 4, v1
	v_and_or_b32 v7, v3, s12, 0.5
	v_or_b32_e32 v5, 0x70000000, v5
	v_add_f32_e32 v7, -0.5, v7
	v_mul_f32_e32 v5, 0x7800000, v5
	v_cmp_gt_u32_e32 vcc, s13, v1
	v_bfe_i32 v3, v3, 0, 16
	s_brev_b32 s12, 1
	v_cndmask_b32_e32 v1, v5, v7, vcc
	v_and_or_b32 v16, v3, s12, v1
.LBB505_1403:
	s_mov_b64 s[12:13], 0
	s_mov_b64 s[14:15], -1
.LBB505_1404:
	s_andn2_b64 vcc, exec, s[12:13]
	s_mov_b64 s[12:13], 0
	s_cbranch_vccnz .LBB505_1415
; %bb.1405:
	s_cmp_gt_i32 s20, 14
	s_cbranch_scc0 .LBB505_1408
; %bb.1406:
	s_cmp_eq_u32 s20, 15
	s_cbranch_scc0 .LBB505_1411
; %bb.1407:
	global_load_ushort v1, v[10:11], off
	s_mov_b64 s[10:11], 0
	s_mov_b64 s[14:15], -1
	s_waitcnt vmcnt(0)
	v_lshlrev_b32_e32 v16, 16, v1
	s_branch .LBB505_1412
.LBB505_1408:
	s_mov_b64 s[16:17], -1
                                        ; implicit-def: $vgpr16
	s_branch .LBB505_1413
.LBB505_1409:
	s_or_saveexec_b64 s[14:15], s[14:15]
	v_mov_b32_e32 v16, 0x7f800001
	s_xor_b64 exec, exec, s[14:15]
	s_cbranch_execz .LBB505_1390
.LBB505_1410:
	v_cmp_ne_u16_e32 vcc, 0, v1
	s_andn2_b64 s[12:13], s[12:13], exec
	s_and_b64 s[16:17], vcc, exec
	v_mov_b32_e32 v16, 0
	s_or_b64 s[12:13], s[12:13], s[16:17]
	s_or_b64 exec, exec, s[14:15]
	s_and_saveexec_b64 s[14:15], s[12:13]
	s_cbranch_execnz .LBB505_1391
	s_branch .LBB505_1392
.LBB505_1411:
	s_mov_b64 s[10:11], -1
                                        ; implicit-def: $vgpr16
.LBB505_1412:
	s_mov_b64 s[16:17], 0
.LBB505_1413:
	s_and_b64 vcc, exec, s[16:17]
	s_cbranch_vccz .LBB505_1415
; %bb.1414:
	s_cmp_lg_u32 s20, 11
	s_mov_b64 s[12:13], -1
	s_cselect_b64 s[10:11], -1, 0
.LBB505_1415:
	v_mov_b32_e32 v17, 0
.LBB505_1416:
	s_and_b64 vcc, exec, s[10:11]
	s_cbranch_vccnz .LBB505_1501
; %bb.1417:
	s_andn2_b64 vcc, exec, s[12:13]
	s_cbranch_vccnz .LBB505_1419
.LBB505_1418:
	global_load_ubyte v1, v[10:11], off
	v_mov_b32_e32 v17, 0
	s_mov_b64 s[14:15], -1
	s_waitcnt vmcnt(0)
	v_cmp_ne_u16_e32 vcc, 0, v1
	s_nop 1
	v_cndmask_b32_e64 v16, 0, 1.0, vcc
.LBB505_1419:
	s_branch .LBB505_1343
.LBB505_1420:
	s_and_b32 s12, 0xffff, s3
	s_cmp_lt_i32 s12, 5
	s_cbranch_scc1 .LBB505_1425
; %bb.1421:
	s_cmp_lt_i32 s12, 8
	s_cbranch_scc1 .LBB505_1427
; %bb.1422:
	s_cmp_lt_i32 s12, 9
	s_cbranch_scc1 .LBB505_1428
; %bb.1423:
	s_cmp_gt_i32 s12, 9
	s_cbranch_scc0 .LBB505_1429
; %bb.1424:
	global_load_dwordx4 v[16:19], v[10:11], off
	s_mov_b64 s[10:11], 0
	s_waitcnt vmcnt(0)
	v_cvt_f32_f64_e32 v16, v[16:17]
	v_cvt_f32_f64_e32 v17, v[18:19]
	s_branch .LBB505_1430
.LBB505_1425:
                                        ; implicit-def: $vgpr17
	s_branch .LBB505_1449
.LBB505_1426:
	s_branch .LBB505_1469
.LBB505_1427:
	s_mov_b64 s[10:11], -1
                                        ; implicit-def: $vgpr17
	s_branch .LBB505_1436
.LBB505_1428:
	s_mov_b64 s[10:11], -1
                                        ; implicit-def: $vgpr17
	s_branch .LBB505_1433
.LBB505_1429:
	s_mov_b64 s[10:11], -1
                                        ; implicit-def: $vgpr17
.LBB505_1430:
	s_andn2_b64 vcc, exec, s[10:11]
	s_cbranch_vccnz .LBB505_1432
; %bb.1431:
	global_load_dwordx2 v[16:17], v[10:11], off
.LBB505_1432:
	s_mov_b64 s[10:11], 0
.LBB505_1433:
	s_andn2_b64 vcc, exec, s[10:11]
	s_cbranch_vccnz .LBB505_1435
; %bb.1434:
	global_load_dword v1, v[10:11], off
	s_waitcnt vmcnt(0)
	v_cvt_f32_f16_sdwa v17, v1 dst_sel:DWORD dst_unused:UNUSED_PAD src0_sel:WORD_1
	v_cvt_f32_f16_e32 v16, v1
.LBB505_1435:
	s_mov_b64 s[10:11], 0
.LBB505_1436:
	s_andn2_b64 vcc, exec, s[10:11]
	s_cbranch_vccnz .LBB505_1448
; %bb.1437:
	s_cmp_lt_i32 s12, 6
	s_cbranch_scc1 .LBB505_1440
; %bb.1438:
	s_cmp_gt_i32 s12, 6
	s_cbranch_scc0 .LBB505_1441
; %bb.1439:
	global_load_dwordx2 v[16:17], v[10:11], off
	s_mov_b64 s[10:11], 0
	s_waitcnt vmcnt(0)
	v_cvt_f32_f64_e32 v16, v[16:17]
	s_branch .LBB505_1442
.LBB505_1440:
	s_mov_b64 s[10:11], -1
                                        ; implicit-def: $vgpr16
	s_branch .LBB505_1445
.LBB505_1441:
	s_mov_b64 s[10:11], -1
                                        ; implicit-def: $vgpr16
.LBB505_1442:
	s_andn2_b64 vcc, exec, s[10:11]
	s_cbranch_vccnz .LBB505_1444
; %bb.1443:
	global_load_dword v16, v[10:11], off
.LBB505_1444:
	s_mov_b64 s[10:11], 0
.LBB505_1445:
	s_andn2_b64 vcc, exec, s[10:11]
	s_cbranch_vccnz .LBB505_1447
; %bb.1446:
	global_load_ushort v1, v[10:11], off
	s_waitcnt vmcnt(0)
	v_cvt_f32_f16_e32 v16, v1
.LBB505_1447:
	s_waitcnt vmcnt(0)
	v_mov_b32_e32 v17, 0
.LBB505_1448:
	s_cbranch_execnz .LBB505_1426
.LBB505_1449:
	s_cmp_lt_i32 s12, 2
	s_cbranch_scc1 .LBB505_1453
; %bb.1450:
	s_cmp_lt_i32 s12, 3
	s_cbranch_scc1 .LBB505_1454
; %bb.1451:
	s_cmp_gt_i32 s12, 3
	s_cbranch_scc0 .LBB505_1455
; %bb.1452:
	global_load_dwordx2 v[16:17], v[10:11], off
	s_mov_b64 s[10:11], 0
	s_waitcnt vmcnt(0)
	v_xor_b32_e32 v3, v16, v17
	v_ffbh_i32_e32 v1, v17
	v_ashrrev_i32_e32 v3, 31, v3
	v_add_u32_e32 v1, -1, v1
	v_add_u32_e32 v3, 32, v3
	v_min_u32_e32 v1, v1, v3
	v_lshlrev_b64 v[16:17], v1, v[16:17]
	v_min_u32_e32 v3, 1, v16
	v_or_b32_e32 v3, v17, v3
	v_cvt_f32_i32_e32 v3, v3
	v_sub_u32_e32 v1, 32, v1
	v_ldexp_f32 v16, v3, v1
	s_branch .LBB505_1456
.LBB505_1453:
	s_mov_b64 s[10:11], -1
                                        ; implicit-def: $vgpr16
	s_branch .LBB505_1462
.LBB505_1454:
	s_mov_b64 s[10:11], -1
                                        ; implicit-def: $vgpr16
	s_branch .LBB505_1459
.LBB505_1455:
	s_mov_b64 s[10:11], -1
                                        ; implicit-def: $vgpr16
.LBB505_1456:
	s_andn2_b64 vcc, exec, s[10:11]
	s_cbranch_vccnz .LBB505_1458
; %bb.1457:
	global_load_dword v1, v[10:11], off
	s_waitcnt vmcnt(0)
	v_cvt_f32_i32_e32 v16, v1
.LBB505_1458:
	s_mov_b64 s[10:11], 0
.LBB505_1459:
	s_andn2_b64 vcc, exec, s[10:11]
	s_cbranch_vccnz .LBB505_1461
; %bb.1460:
	global_load_sshort v1, v[10:11], off
	s_waitcnt vmcnt(0)
	v_cvt_f32_i32_e32 v16, v1
.LBB505_1461:
	s_mov_b64 s[10:11], 0
.LBB505_1462:
	s_andn2_b64 vcc, exec, s[10:11]
	s_cbranch_vccnz .LBB505_1468
; %bb.1463:
	s_cmp_gt_i32 s12, 0
	s_cbranch_scc0 .LBB505_1465
; %bb.1464:
	global_load_sbyte v1, v[10:11], off
	s_mov_b64 s[10:11], 0
	s_waitcnt vmcnt(0)
	v_cvt_f32_i32_e32 v16, v1
	s_branch .LBB505_1466
.LBB505_1465:
	s_mov_b64 s[10:11], -1
                                        ; implicit-def: $vgpr16
.LBB505_1466:
	s_andn2_b64 vcc, exec, s[10:11]
	s_cbranch_vccnz .LBB505_1468
; %bb.1467:
	global_load_ubyte v1, v[10:11], off
	s_waitcnt vmcnt(0)
	v_cvt_f32_ubyte0_e32 v16, v1
.LBB505_1468:
	s_waitcnt vmcnt(0)
	v_mov_b32_e32 v17, 0
.LBB505_1469:
	s_waitcnt vmcnt(0)
	v_cmp_o_f32_e32 vcc, v16, v16
	v_mov_b32_e32 v10, s0
	s_and_saveexec_b64 s[10:11], vcc
	s_cbranch_execz .LBB505_1473
; %bb.1470:
	s_mov_b32 s12, 0x7f800000
	v_cmp_neq_f32_e32 vcc, s12, v16
	v_mov_b32_e32 v10, s1
	s_and_saveexec_b64 s[12:13], vcc
; %bb.1471:
	s_mov_b32 s14, 0xff800000
	v_mov_b32_e32 v1, s2
	v_cmp_eq_f32_e32 vcc, s14, v16
	s_nop 1
	v_cndmask_b32_e32 v10, v16, v1, vcc
; %bb.1472:
	s_or_b64 exec, exec, s[12:13]
.LBB505_1473:
	s_or_b64 exec, exec, s[10:11]
	v_cmp_o_f32_e32 vcc, v17, v17
	v_mov_b32_e32 v11, s0
	s_and_saveexec_b64 s[10:11], vcc
	s_cbranch_execz .LBB505_1477
; %bb.1474:
	s_mov_b32 s12, 0x7f800000
	v_cmp_neq_f32_e32 vcc, s12, v17
	v_mov_b32_e32 v11, s1
	s_and_saveexec_b64 s[12:13], vcc
; %bb.1475:
	s_mov_b32 s14, 0xff800000
	v_mov_b32_e32 v1, s2
	v_cmp_eq_f32_e32 vcc, s14, v17
	s_nop 1
	v_cndmask_b32_e32 v11, v17, v1, vcc
; %bb.1476:
	s_or_b64 exec, exec, s[12:13]
.LBB505_1477:
	s_or_b64 exec, exec, s[10:11]
	v_mov_b32_e32 v15, 0
	s_cmp_lt_i32 s3, 11
	v_lshl_add_u64 v[14:15], s[6:7], 0, v[14:15]
	s_cbranch_scc1 .LBB505_1484
; %bb.1478:
	s_and_b32 s20, 0xffff, s3
	s_cmp_gt_i32 s20, 25
	s_mov_b64 s[12:13], 0
	s_cbranch_scc0 .LBB505_1486
; %bb.1479:
	s_cmp_gt_i32 s20, 28
	s_cbranch_scc0 .LBB505_1497
; %bb.1480:
	s_cmp_gt_i32 s20, 43
	s_cbranch_scc0 .LBB505_1499
; %bb.1481:
	s_cmp_gt_i32 s20, 45
	s_cbranch_scc0 .LBB505_1502
; %bb.1482:
	s_cmp_eq_u32 s20, 46
	s_mov_b64 s[16:17], 0
	s_cbranch_scc0 .LBB505_1564
; %bb.1483:
	global_load_dword v1, v[14:15], off
	s_mov_b64 s[10:11], 0
	s_mov_b64 s[14:15], -1
	s_waitcnt vmcnt(0)
	v_and_b32_e32 v17, 0xffff0000, v1
	v_lshlrev_b32_e32 v16, 16, v1
	s_branch .LBB505_1565
.LBB505_1484:
	s_mov_b64 s[14:15], 0
                                        ; implicit-def: $vgpr17
	s_cbranch_execnz .LBB505_1491
.LBB505_1485:
	s_andn2_b64 vcc, exec, s[14:15]
	s_cbranch_vccnz .LBB505_1840
	s_branch .LBB505_1545
.LBB505_1486:
	s_mov_b64 s[14:15], 0
	s_mov_b64 s[10:11], 0
                                        ; implicit-def: $vgpr17
	s_cbranch_execnz .LBB505_1597
.LBB505_1487:
	s_and_b64 vcc, exec, s[10:11]
	s_cbranch_vccnz .LBB505_1630
.LBB505_1488:
	s_andn2_b64 vcc, exec, s[12:13]
	s_cbranch_vccnz .LBB505_1490
.LBB505_1489:
	global_load_ubyte v1, v[14:15], off
	v_mov_b32_e32 v17, 0
	s_mov_b64 s[14:15], -1
	s_waitcnt vmcnt(0)
	v_cmp_ne_u16_e32 vcc, 0, v1
	s_nop 1
	v_cndmask_b32_e64 v16, 0, 1.0, vcc
.LBB505_1490:
	s_branch .LBB505_1485
.LBB505_1491:
	s_and_b32 s12, 0xffff, s3
	s_cmp_lt_i32 s12, 5
	s_cbranch_scc1 .LBB505_1496
; %bb.1492:
	s_cmp_lt_i32 s12, 8
	s_cbranch_scc1 .LBB505_1498
; %bb.1493:
	;; [unrolled: 3-line block ×3, first 2 shown]
	s_cmp_gt_i32 s12, 9
	s_cbranch_scc0 .LBB505_1503
; %bb.1495:
	global_load_dwordx4 v[16:19], v[14:15], off
	s_mov_b64 s[10:11], 0
	s_waitcnt vmcnt(0)
	v_cvt_f32_f64_e32 v16, v[16:17]
	v_cvt_f32_f64_e32 v17, v[18:19]
	s_branch .LBB505_1504
.LBB505_1496:
	s_mov_b64 s[10:11], -1
                                        ; implicit-def: $vgpr17
	s_branch .LBB505_1523
.LBB505_1497:
	s_mov_b64 s[16:17], -1
	s_mov_b64 s[14:15], 0
	s_mov_b64 s[10:11], 0
                                        ; implicit-def: $vgpr17
	s_branch .LBB505_1578
.LBB505_1498:
	s_mov_b64 s[10:11], -1
                                        ; implicit-def: $vgpr17
	s_branch .LBB505_1510
.LBB505_1499:
	s_mov_b64 s[16:17], -1
	s_mov_b64 s[14:15], 0
	s_mov_b64 s[10:11], 0
                                        ; implicit-def: $vgpr17
	s_branch .LBB505_1572
.LBB505_1500:
	s_mov_b64 s[10:11], -1
                                        ; implicit-def: $vgpr17
	s_branch .LBB505_1507
.LBB505_1501:
	s_trap 2
	s_or_b64 s[8:9], s[8:9], exec
	s_cbranch_execz .LBB505_1418
	s_branch .LBB505_1419
.LBB505_1502:
	s_mov_b64 s[16:17], -1
	s_mov_b64 s[14:15], 0
	s_mov_b64 s[10:11], 0
                                        ; implicit-def: $vgpr17
	s_branch .LBB505_1565
.LBB505_1503:
	s_mov_b64 s[10:11], -1
                                        ; implicit-def: $vgpr17
.LBB505_1504:
	s_andn2_b64 vcc, exec, s[10:11]
	s_cbranch_vccnz .LBB505_1506
; %bb.1505:
	global_load_dwordx2 v[16:17], v[14:15], off
.LBB505_1506:
	s_mov_b64 s[10:11], 0
.LBB505_1507:
	s_andn2_b64 vcc, exec, s[10:11]
	s_cbranch_vccnz .LBB505_1509
; %bb.1508:
	global_load_dword v1, v[14:15], off
	s_waitcnt vmcnt(0)
	v_cvt_f32_f16_sdwa v17, v1 dst_sel:DWORD dst_unused:UNUSED_PAD src0_sel:WORD_1
	v_cvt_f32_f16_e32 v16, v1
.LBB505_1509:
	s_mov_b64 s[10:11], 0
.LBB505_1510:
	s_andn2_b64 vcc, exec, s[10:11]
	s_cbranch_vccnz .LBB505_1522
; %bb.1511:
	s_cmp_lt_i32 s12, 6
	s_cbranch_scc1 .LBB505_1514
; %bb.1512:
	s_cmp_gt_i32 s12, 6
	s_cbranch_scc0 .LBB505_1515
; %bb.1513:
	global_load_dwordx2 v[16:17], v[14:15], off
	s_mov_b64 s[10:11], 0
	s_waitcnt vmcnt(0)
	v_cvt_f32_f64_e32 v16, v[16:17]
	s_branch .LBB505_1516
.LBB505_1514:
	s_mov_b64 s[10:11], -1
                                        ; implicit-def: $vgpr16
	s_branch .LBB505_1519
.LBB505_1515:
	s_mov_b64 s[10:11], -1
                                        ; implicit-def: $vgpr16
.LBB505_1516:
	s_andn2_b64 vcc, exec, s[10:11]
	s_cbranch_vccnz .LBB505_1518
; %bb.1517:
	global_load_dword v16, v[14:15], off
.LBB505_1518:
	s_mov_b64 s[10:11], 0
.LBB505_1519:
	s_andn2_b64 vcc, exec, s[10:11]
	s_cbranch_vccnz .LBB505_1521
; %bb.1520:
	global_load_ushort v1, v[14:15], off
	s_waitcnt vmcnt(0)
	v_cvt_f32_f16_e32 v16, v1
.LBB505_1521:
	s_waitcnt vmcnt(0)
	v_mov_b32_e32 v17, 0
.LBB505_1522:
	s_mov_b64 s[10:11], 0
.LBB505_1523:
	s_andn2_b64 vcc, exec, s[10:11]
	s_cbranch_vccnz .LBB505_1544
; %bb.1524:
	s_cmp_lt_i32 s12, 2
	s_cbranch_scc1 .LBB505_1528
; %bb.1525:
	s_cmp_lt_i32 s12, 3
	s_cbranch_scc1 .LBB505_1529
; %bb.1526:
	s_cmp_gt_i32 s12, 3
	s_cbranch_scc0 .LBB505_1530
; %bb.1527:
	global_load_dwordx2 v[16:17], v[14:15], off
	s_mov_b64 s[10:11], 0
	s_waitcnt vmcnt(0)
	v_xor_b32_e32 v3, v16, v17
	v_ffbh_i32_e32 v1, v17
	v_ashrrev_i32_e32 v3, 31, v3
	v_add_u32_e32 v1, -1, v1
	v_add_u32_e32 v3, 32, v3
	v_min_u32_e32 v1, v1, v3
	v_lshlrev_b64 v[16:17], v1, v[16:17]
	v_min_u32_e32 v3, 1, v16
	v_or_b32_e32 v3, v17, v3
	v_cvt_f32_i32_e32 v3, v3
	v_sub_u32_e32 v1, 32, v1
	v_ldexp_f32 v16, v3, v1
	s_branch .LBB505_1531
.LBB505_1528:
	s_mov_b64 s[10:11], -1
                                        ; implicit-def: $vgpr16
	s_branch .LBB505_1537
.LBB505_1529:
	s_mov_b64 s[10:11], -1
                                        ; implicit-def: $vgpr16
	s_branch .LBB505_1534
.LBB505_1530:
	s_mov_b64 s[10:11], -1
                                        ; implicit-def: $vgpr16
.LBB505_1531:
	s_andn2_b64 vcc, exec, s[10:11]
	s_cbranch_vccnz .LBB505_1533
; %bb.1532:
	global_load_dword v1, v[14:15], off
	s_waitcnt vmcnt(0)
	v_cvt_f32_i32_e32 v16, v1
.LBB505_1533:
	s_mov_b64 s[10:11], 0
.LBB505_1534:
	s_andn2_b64 vcc, exec, s[10:11]
	s_cbranch_vccnz .LBB505_1536
; %bb.1535:
	global_load_sshort v1, v[14:15], off
	s_waitcnt vmcnt(0)
	v_cvt_f32_i32_e32 v16, v1
.LBB505_1536:
	s_mov_b64 s[10:11], 0
.LBB505_1537:
	s_andn2_b64 vcc, exec, s[10:11]
	s_cbranch_vccnz .LBB505_1543
; %bb.1538:
	s_cmp_gt_i32 s12, 0
	s_cbranch_scc0 .LBB505_1540
; %bb.1539:
	global_load_sbyte v1, v[14:15], off
	s_mov_b64 s[10:11], 0
	s_waitcnt vmcnt(0)
	v_cvt_f32_i32_e32 v16, v1
	s_branch .LBB505_1541
.LBB505_1540:
	s_mov_b64 s[10:11], -1
                                        ; implicit-def: $vgpr16
.LBB505_1541:
	s_andn2_b64 vcc, exec, s[10:11]
	s_cbranch_vccnz .LBB505_1543
; %bb.1542:
	global_load_ubyte v1, v[14:15], off
	s_waitcnt vmcnt(0)
	v_cvt_f32_ubyte0_e32 v16, v1
.LBB505_1543:
	s_waitcnt vmcnt(0)
	v_mov_b32_e32 v17, 0
.LBB505_1544:
.LBB505_1545:
	s_waitcnt vmcnt(0)
	v_cmp_o_f32_e32 vcc, v16, v16
	v_mov_b32_e32 v14, s0
	s_and_saveexec_b64 s[10:11], vcc
	s_cbranch_execz .LBB505_1549
; %bb.1546:
	s_mov_b32 s12, 0x7f800000
	v_cmp_neq_f32_e32 vcc, s12, v16
	v_mov_b32_e32 v14, s1
	s_and_saveexec_b64 s[12:13], vcc
; %bb.1547:
	s_mov_b32 s14, 0xff800000
	v_mov_b32_e32 v1, s2
	v_cmp_eq_f32_e32 vcc, s14, v16
	s_nop 1
	v_cndmask_b32_e32 v14, v16, v1, vcc
; %bb.1548:
	s_or_b64 exec, exec, s[12:13]
.LBB505_1549:
	s_or_b64 exec, exec, s[10:11]
	v_cmp_o_f32_e32 vcc, v17, v17
	v_mov_b32_e32 v15, s0
	s_and_saveexec_b64 s[10:11], vcc
	s_cbranch_execz .LBB505_1553
; %bb.1550:
	s_mov_b32 s12, 0x7f800000
	v_cmp_neq_f32_e32 vcc, s12, v17
	v_mov_b32_e32 v15, s1
	s_and_saveexec_b64 s[12:13], vcc
; %bb.1551:
	s_mov_b32 s14, 0xff800000
	v_mov_b32_e32 v1, s2
	v_cmp_eq_f32_e32 vcc, s14, v17
	s_nop 1
	v_cndmask_b32_e32 v15, v17, v1, vcc
; %bb.1552:
	s_or_b64 exec, exec, s[12:13]
.LBB505_1553:
	s_or_b64 exec, exec, s[10:11]
	v_mov_b32_e32 v13, 0
	s_cmp_lt_i32 s3, 11
	v_lshl_add_u64 v[12:13], s[6:7], 0, v[12:13]
	s_cbranch_scc1 .LBB505_1560
; %bb.1554:
	s_and_b32 s18, 0xffff, s3
	s_cmp_gt_i32 s18, 25
	s_mov_b64 s[10:11], 0
	s_cbranch_scc0 .LBB505_1561
; %bb.1555:
	s_cmp_gt_i32 s18, 28
	s_cbranch_scc0 .LBB505_1562
; %bb.1556:
	s_cmp_gt_i32 s18, 43
	;; [unrolled: 3-line block ×3, first 2 shown]
	s_cbranch_scc0 .LBB505_1568
; %bb.1558:
	s_cmp_eq_u32 s18, 46
	s_mov_b64 s[14:15], 0
	s_cbranch_scc0 .LBB505_1631
; %bb.1559:
	global_load_dword v1, v[12:13], off
	s_mov_b64 s[6:7], 0
	s_mov_b64 s[12:13], -1
	s_waitcnt vmcnt(0)
	v_and_b32_e32 v17, 0xffff0000, v1
	v_lshlrev_b32_e32 v16, 16, v1
	s_branch .LBB505_1632
.LBB505_1560:
	s_mov_b64 s[6:7], -1
	s_mov_b64 s[12:13], 0
                                        ; implicit-def: $vgpr17
	s_branch .LBB505_1678
.LBB505_1561:
	s_mov_b64 s[14:15], -1
	s_mov_b64 s[12:13], 0
	s_mov_b64 s[6:7], 0
                                        ; implicit-def: $vgpr17
	s_branch .LBB505_1663
.LBB505_1562:
	s_mov_b64 s[14:15], -1
	s_mov_b64 s[12:13], 0
	s_mov_b64 s[6:7], 0
                                        ; implicit-def: $vgpr17
	s_branch .LBB505_1644
.LBB505_1563:
	s_mov_b64 s[14:15], -1
	s_mov_b64 s[12:13], 0
	s_mov_b64 s[6:7], 0
                                        ; implicit-def: $vgpr17
	s_branch .LBB505_1638
.LBB505_1564:
	s_mov_b64 s[10:11], -1
                                        ; implicit-def: $vgpr17
	s_mov_b64 s[14:15], 0
.LBB505_1565:
	s_and_b64 vcc, exec, s[16:17]
	s_cbranch_vccz .LBB505_1571
; %bb.1566:
	s_cmp_eq_u32 s20, 44
	s_cbranch_scc0 .LBB505_1569
; %bb.1567:
	global_load_ubyte v1, v[14:15], off
	s_movk_i32 s14, 0xff
	v_mov_b32_e32 v3, 0x7f800001
	v_mov_b32_e32 v5, 0x400000
	s_mov_b64 s[10:11], 0
	s_waitcnt vmcnt(0)
	v_lshlrev_b32_e32 v7, 23, v1
	v_cmp_ne_u32_e32 vcc, s14, v1
	s_mov_b64 s[14:15], -1
	s_nop 0
	v_cndmask_b32_e32 v3, v3, v7, vcc
	v_cmp_ne_u32_e32 vcc, 0, v1
	s_nop 1
	v_cndmask_b32_e32 v16, v5, v3, vcc
	s_branch .LBB505_1570
.LBB505_1568:
	s_mov_b64 s[14:15], -1
	s_mov_b64 s[12:13], 0
	s_mov_b64 s[6:7], 0
                                        ; implicit-def: $vgpr17
	s_branch .LBB505_1632
.LBB505_1569:
	s_mov_b64 s[10:11], -1
                                        ; implicit-def: $vgpr16
.LBB505_1570:
	v_mov_b32_e32 v17, 0
.LBB505_1571:
	s_mov_b64 s[16:17], 0
.LBB505_1572:
	s_and_b64 vcc, exec, s[16:17]
	s_cbranch_vccz .LBB505_1577
; %bb.1573:
	s_cmp_eq_u32 s20, 29
	s_cbranch_scc0 .LBB505_1575
; %bb.1574:
	global_load_dwordx2 v[16:17], v[14:15], off
	s_mov_b64 s[10:11], 0
	s_mov_b64 s[14:15], -1
	s_waitcnt vmcnt(0)
	v_ffbh_u32_e32 v1, v17
	v_min_u32_e32 v1, 32, v1
	v_lshlrev_b64 v[16:17], v1, v[16:17]
	v_min_u32_e32 v3, 1, v16
	v_or_b32_e32 v3, v17, v3
	v_cvt_f32_u32_e32 v3, v3
	v_sub_u32_e32 v1, 32, v1
	v_ldexp_f32 v16, v3, v1
	s_branch .LBB505_1576
.LBB505_1575:
	s_mov_b64 s[10:11], -1
                                        ; implicit-def: $vgpr16
.LBB505_1576:
	v_mov_b32_e32 v17, 0
.LBB505_1577:
	s_mov_b64 s[16:17], 0
.LBB505_1578:
	s_and_b64 vcc, exec, s[16:17]
	s_cbranch_vccz .LBB505_1596
; %bb.1579:
	s_cmp_lt_i32 s20, 27
	s_cbranch_scc1 .LBB505_1582
; %bb.1580:
	s_cmp_gt_i32 s20, 27
	s_cbranch_scc0 .LBB505_1583
; %bb.1581:
	global_load_dword v1, v[14:15], off
	s_mov_b64 s[14:15], 0
	s_waitcnt vmcnt(0)
	v_cvt_f32_u32_e32 v16, v1
	s_branch .LBB505_1584
.LBB505_1582:
	s_mov_b64 s[14:15], -1
                                        ; implicit-def: $vgpr16
	s_branch .LBB505_1587
.LBB505_1583:
	s_mov_b64 s[14:15], -1
                                        ; implicit-def: $vgpr16
.LBB505_1584:
	s_andn2_b64 vcc, exec, s[14:15]
	s_cbranch_vccnz .LBB505_1586
; %bb.1585:
	global_load_ushort v1, v[14:15], off
	s_waitcnt vmcnt(0)
	v_cvt_f32_u32_e32 v16, v1
.LBB505_1586:
	s_mov_b64 s[14:15], 0
.LBB505_1587:
	s_andn2_b64 vcc, exec, s[14:15]
	s_cbranch_vccnz .LBB505_1595
; %bb.1588:
	global_load_ubyte v1, v[14:15], off
	s_movk_i32 s14, 0x7f
	s_waitcnt vmcnt(0)
	v_cmp_lt_i16_e32 vcc, s14, v1
	s_mov_b64 s[14:15], 0
	s_and_saveexec_b64 s[16:17], vcc
	s_xor_b64 s[16:17], exec, s[16:17]
	s_cbranch_execz .LBB505_1608
; %bb.1589:
	s_movk_i32 s14, 0x80
	v_cmp_eq_u16_e32 vcc, s14, v1
	s_mov_b64 s[14:15], -1
	s_and_saveexec_b64 s[18:19], vcc
; %bb.1590:
	s_xor_b64 s[14:15], exec, -1
; %bb.1591:
	s_or_b64 exec, exec, s[18:19]
	s_and_b64 s[14:15], s[14:15], exec
	s_or_saveexec_b64 s[16:17], s[16:17]
	v_mov_b32_e32 v16, 0x7f800001
	s_xor_b64 exec, exec, s[16:17]
	s_cbranch_execnz .LBB505_1609
.LBB505_1592:
	s_or_b64 exec, exec, s[16:17]
	s_and_saveexec_b64 s[16:17], s[14:15]
	s_cbranch_execz .LBB505_1594
.LBB505_1593:
	v_lshlrev_b32_e32 v3, 24, v1
	v_and_b32_e32 v1, 0xffff, v1
	v_and_b32_e32 v5, 7, v1
	v_ffbh_u32_e32 v13, v5
	v_min_u32_e32 v13, 32, v13
	v_subrev_u32_e32 v16, 28, v13
	v_bfe_u32 v7, v1, 3, 4
	v_lshlrev_b32_e32 v1, v16, v1
	v_sub_u32_e32 v13, 29, v13
	v_and_b32_e32 v1, 7, v1
	v_cmp_eq_u32_e32 vcc, 0, v7
	v_and_b32_e32 v3, 0x80000000, v3
	s_nop 0
	v_cndmask_b32_e32 v7, v7, v13, vcc
	v_cndmask_b32_e32 v1, v5, v1, vcc
	v_mov_b32_e32 v5, 0x3b800000
	v_lshlrev_b32_e32 v1, 20, v1
	v_lshl_add_u32 v5, v7, 23, v5
	v_or3_b32 v16, v3, v5, v1
.LBB505_1594:
	s_or_b64 exec, exec, s[16:17]
.LBB505_1595:
	s_mov_b64 s[14:15], -1
	v_mov_b32_e32 v17, 0
.LBB505_1596:
	s_branch .LBB505_1487
.LBB505_1597:
	s_cmp_gt_i32 s20, 22
	s_cbranch_scc0 .LBB505_1607
; %bb.1598:
	s_cmp_lt_i32 s20, 24
	s_cbranch_scc1 .LBB505_1610
; %bb.1599:
	s_cmp_gt_i32 s20, 24
	s_cbranch_scc0 .LBB505_1611
; %bb.1600:
	global_load_ubyte v1, v[14:15], off
	s_movk_i32 s12, 0x7f
	s_waitcnt vmcnt(0)
	v_cmp_lt_i16_e32 vcc, s12, v1
	s_mov_b64 s[12:13], 0
	s_and_saveexec_b64 s[14:15], vcc
	s_xor_b64 s[14:15], exec, s[14:15]
	s_cbranch_execz .LBB505_1623
; %bb.1601:
	s_movk_i32 s12, 0x80
	v_cmp_eq_u16_e32 vcc, s12, v1
	s_mov_b64 s[12:13], -1
	s_and_saveexec_b64 s[16:17], vcc
; %bb.1602:
	s_xor_b64 s[12:13], exec, -1
; %bb.1603:
	s_or_b64 exec, exec, s[16:17]
	s_and_b64 s[12:13], s[12:13], exec
	s_or_saveexec_b64 s[14:15], s[14:15]
	v_mov_b32_e32 v16, 0x7f800001
	s_xor_b64 exec, exec, s[14:15]
	s_cbranch_execnz .LBB505_1624
.LBB505_1604:
	s_or_b64 exec, exec, s[14:15]
	s_and_saveexec_b64 s[14:15], s[12:13]
	s_cbranch_execz .LBB505_1606
.LBB505_1605:
	v_lshlrev_b32_e32 v3, 24, v1
	v_and_b32_e32 v1, 0xffff, v1
	v_and_b32_e32 v5, 3, v1
	v_ffbh_u32_e32 v13, v5
	v_min_u32_e32 v13, 32, v13
	v_subrev_u32_e32 v16, 29, v13
	v_bfe_u32 v7, v1, 2, 5
	v_lshlrev_b32_e32 v1, v16, v1
	v_sub_u32_e32 v13, 30, v13
	v_and_b32_e32 v1, 3, v1
	v_cmp_eq_u32_e32 vcc, 0, v7
	v_and_b32_e32 v3, 0x80000000, v3
	s_nop 0
	v_cndmask_b32_e32 v7, v7, v13, vcc
	v_cndmask_b32_e32 v1, v5, v1, vcc
	v_mov_b32_e32 v5, 0x37800000
	v_lshlrev_b32_e32 v1, 21, v1
	v_lshl_add_u32 v5, v7, 23, v5
	v_or3_b32 v16, v3, v5, v1
.LBB505_1606:
	s_or_b64 exec, exec, s[14:15]
	s_mov_b64 s[12:13], 0
	s_branch .LBB505_1612
.LBB505_1607:
	s_mov_b64 s[12:13], -1
                                        ; implicit-def: $vgpr16
	s_branch .LBB505_1618
.LBB505_1608:
	s_or_saveexec_b64 s[16:17], s[16:17]
	v_mov_b32_e32 v16, 0x7f800001
	s_xor_b64 exec, exec, s[16:17]
	s_cbranch_execz .LBB505_1592
.LBB505_1609:
	v_cmp_ne_u16_e32 vcc, 0, v1
	s_andn2_b64 s[14:15], s[14:15], exec
	s_and_b64 s[18:19], vcc, exec
	v_mov_b32_e32 v16, 0
	s_or_b64 s[14:15], s[14:15], s[18:19]
	s_or_b64 exec, exec, s[16:17]
	s_and_saveexec_b64 s[16:17], s[14:15]
	s_cbranch_execnz .LBB505_1593
	s_branch .LBB505_1594
.LBB505_1610:
	s_mov_b64 s[12:13], -1
                                        ; implicit-def: $vgpr16
	s_branch .LBB505_1615
.LBB505_1611:
	s_mov_b64 s[12:13], -1
                                        ; implicit-def: $vgpr16
.LBB505_1612:
	s_and_b64 vcc, exec, s[12:13]
	s_cbranch_vccz .LBB505_1614
; %bb.1613:
	global_load_ubyte v1, v[14:15], off
	s_mov_b32 s12, 0x7f800000
	s_waitcnt vmcnt(0)
	v_lshlrev_b32_e32 v1, 24, v1
	v_and_b32_e32 v3, 0x7f000000, v1
	v_ffbh_u32_e32 v5, v3
	v_min_u32_e32 v5, 32, v5
	v_sub_u32_e64 v5, v5, 4 clamp
	v_lshlrev_b32_e32 v13, v5, v3
	v_lshlrev_b32_e32 v5, 23, v5
	v_lshrrev_b32_e32 v13, 4, v13
	v_add_u32_e32 v7, 0x1000000, v3
	v_sub_u32_e32 v5, v13, v5
	v_ashrrev_i32_e32 v7, 8, v7
	v_add_u32_e32 v5, 0x3c000000, v5
	v_and_or_b32 v5, v7, s12, v5
	v_cmp_ne_u32_e32 vcc, 0, v3
	s_brev_b32 s12, 1
	s_nop 0
	v_cndmask_b32_e32 v3, 0, v5, vcc
	v_and_or_b32 v16, v1, s12, v3
.LBB505_1614:
	s_mov_b64 s[12:13], 0
.LBB505_1615:
	s_andn2_b64 vcc, exec, s[12:13]
	s_cbranch_vccnz .LBB505_1617
; %bb.1616:
	global_load_ubyte v1, v[14:15], off
	s_movk_i32 s12, 0x7f00
	s_brev_b32 s13, 16
	s_waitcnt vmcnt(0)
	v_lshlrev_b16_e32 v3, 8, v1
	v_lshlrev_b32_e32 v1, 25, v1
	v_lshrrev_b32_e32 v5, 4, v1
	v_and_or_b32 v7, v3, s12, 0.5
	v_or_b32_e32 v5, 0x70000000, v5
	v_add_f32_e32 v7, -0.5, v7
	v_mul_f32_e32 v5, 0x7800000, v5
	v_cmp_gt_u32_e32 vcc, s13, v1
	v_bfe_i32 v3, v3, 0, 16
	s_brev_b32 s12, 1
	v_cndmask_b32_e32 v1, v5, v7, vcc
	v_and_or_b32 v16, v3, s12, v1
.LBB505_1617:
	s_mov_b64 s[12:13], 0
	s_mov_b64 s[14:15], -1
.LBB505_1618:
	s_andn2_b64 vcc, exec, s[12:13]
	s_mov_b64 s[12:13], 0
	s_cbranch_vccnz .LBB505_1629
; %bb.1619:
	s_cmp_gt_i32 s20, 14
	s_cbranch_scc0 .LBB505_1622
; %bb.1620:
	s_cmp_eq_u32 s20, 15
	s_cbranch_scc0 .LBB505_1625
; %bb.1621:
	global_load_ushort v1, v[14:15], off
	s_mov_b64 s[10:11], 0
	s_mov_b64 s[14:15], -1
	s_waitcnt vmcnt(0)
	v_lshlrev_b32_e32 v16, 16, v1
	s_branch .LBB505_1626
.LBB505_1622:
	s_mov_b64 s[16:17], -1
                                        ; implicit-def: $vgpr16
	s_branch .LBB505_1627
.LBB505_1623:
	s_or_saveexec_b64 s[14:15], s[14:15]
	v_mov_b32_e32 v16, 0x7f800001
	s_xor_b64 exec, exec, s[14:15]
	s_cbranch_execz .LBB505_1604
.LBB505_1624:
	v_cmp_ne_u16_e32 vcc, 0, v1
	s_andn2_b64 s[12:13], s[12:13], exec
	s_and_b64 s[16:17], vcc, exec
	v_mov_b32_e32 v16, 0
	s_or_b64 s[12:13], s[12:13], s[16:17]
	s_or_b64 exec, exec, s[14:15]
	s_and_saveexec_b64 s[14:15], s[12:13]
	s_cbranch_execnz .LBB505_1605
	s_branch .LBB505_1606
.LBB505_1625:
	s_mov_b64 s[10:11], -1
                                        ; implicit-def: $vgpr16
.LBB505_1626:
	s_mov_b64 s[16:17], 0
.LBB505_1627:
	s_and_b64 vcc, exec, s[16:17]
	s_cbranch_vccz .LBB505_1629
; %bb.1628:
	s_cmp_lg_u32 s20, 11
	s_mov_b64 s[12:13], -1
	s_cselect_b64 s[10:11], -1, 0
.LBB505_1629:
	v_mov_b32_e32 v17, 0
	s_and_b64 vcc, exec, s[10:11]
	s_cbranch_vccz .LBB505_1488
.LBB505_1630:
	s_trap 2
	s_or_b64 s[8:9], s[8:9], exec
	s_cbranch_execz .LBB505_1489
	s_branch .LBB505_1490
.LBB505_1631:
	s_mov_b64 s[6:7], -1
                                        ; implicit-def: $vgpr17
	s_mov_b64 s[12:13], 0
.LBB505_1632:
	s_and_b64 vcc, exec, s[14:15]
	s_cbranch_vccz .LBB505_1637
; %bb.1633:
	s_cmp_eq_u32 s18, 44
	s_cbranch_scc0 .LBB505_1635
; %bb.1634:
	global_load_ubyte v1, v[12:13], off
	s_movk_i32 s12, 0xff
	v_mov_b32_e32 v3, 0x7f800001
	v_mov_b32_e32 v5, 0x400000
	s_mov_b64 s[6:7], 0
	s_waitcnt vmcnt(0)
	v_lshlrev_b32_e32 v7, 23, v1
	v_cmp_ne_u32_e32 vcc, s12, v1
	s_mov_b64 s[12:13], -1
	s_nop 0
	v_cndmask_b32_e32 v3, v3, v7, vcc
	v_cmp_ne_u32_e32 vcc, 0, v1
	s_nop 1
	v_cndmask_b32_e32 v16, v5, v3, vcc
	s_branch .LBB505_1636
.LBB505_1635:
	s_mov_b64 s[6:7], -1
                                        ; implicit-def: $vgpr16
.LBB505_1636:
	v_mov_b32_e32 v17, 0
.LBB505_1637:
	s_mov_b64 s[14:15], 0
.LBB505_1638:
	s_and_b64 vcc, exec, s[14:15]
	s_cbranch_vccz .LBB505_1643
; %bb.1639:
	s_cmp_eq_u32 s18, 29
	s_cbranch_scc0 .LBB505_1641
; %bb.1640:
	global_load_dwordx2 v[16:17], v[12:13], off
	s_mov_b64 s[6:7], 0
	s_mov_b64 s[12:13], -1
	s_waitcnt vmcnt(0)
	v_ffbh_u32_e32 v1, v17
	v_min_u32_e32 v1, 32, v1
	v_lshlrev_b64 v[16:17], v1, v[16:17]
	v_min_u32_e32 v3, 1, v16
	v_or_b32_e32 v3, v17, v3
	v_cvt_f32_u32_e32 v3, v3
	v_sub_u32_e32 v1, 32, v1
	v_ldexp_f32 v16, v3, v1
	s_branch .LBB505_1642
.LBB505_1641:
	s_mov_b64 s[6:7], -1
                                        ; implicit-def: $vgpr16
.LBB505_1642:
	v_mov_b32_e32 v17, 0
.LBB505_1643:
	s_mov_b64 s[14:15], 0
.LBB505_1644:
	s_and_b64 vcc, exec, s[14:15]
	s_cbranch_vccz .LBB505_1662
; %bb.1645:
	s_cmp_lt_i32 s18, 27
	s_cbranch_scc1 .LBB505_1648
; %bb.1646:
	s_cmp_gt_i32 s18, 27
	s_cbranch_scc0 .LBB505_1649
; %bb.1647:
	global_load_dword v1, v[12:13], off
	s_mov_b64 s[12:13], 0
	s_waitcnt vmcnt(0)
	v_cvt_f32_u32_e32 v16, v1
	s_branch .LBB505_1650
.LBB505_1648:
	s_mov_b64 s[12:13], -1
                                        ; implicit-def: $vgpr16
	s_branch .LBB505_1653
.LBB505_1649:
	s_mov_b64 s[12:13], -1
                                        ; implicit-def: $vgpr16
.LBB505_1650:
	s_andn2_b64 vcc, exec, s[12:13]
	s_cbranch_vccnz .LBB505_1652
; %bb.1651:
	global_load_ushort v1, v[12:13], off
	s_waitcnt vmcnt(0)
	v_cvt_f32_u32_e32 v16, v1
.LBB505_1652:
	s_mov_b64 s[12:13], 0
.LBB505_1653:
	s_andn2_b64 vcc, exec, s[12:13]
	s_cbranch_vccnz .LBB505_1661
; %bb.1654:
	global_load_ubyte v1, v[12:13], off
	s_movk_i32 s12, 0x7f
	s_waitcnt vmcnt(0)
	v_cmp_lt_i16_e32 vcc, s12, v1
	s_mov_b64 s[12:13], 0
	s_and_saveexec_b64 s[14:15], vcc
	s_xor_b64 s[14:15], exec, s[14:15]
	s_cbranch_execz .LBB505_1687
; %bb.1655:
	s_movk_i32 s12, 0x80
	v_cmp_eq_u16_e32 vcc, s12, v1
	s_mov_b64 s[12:13], -1
	s_and_saveexec_b64 s[16:17], vcc
; %bb.1656:
	s_xor_b64 s[12:13], exec, -1
; %bb.1657:
	s_or_b64 exec, exec, s[16:17]
	s_and_b64 s[12:13], s[12:13], exec
	s_or_saveexec_b64 s[14:15], s[14:15]
	v_mov_b32_e32 v16, 0x7f800001
	s_xor_b64 exec, exec, s[14:15]
	s_cbranch_execnz .LBB505_1688
.LBB505_1658:
	s_or_b64 exec, exec, s[14:15]
	s_and_saveexec_b64 s[14:15], s[12:13]
	s_cbranch_execz .LBB505_1660
.LBB505_1659:
	v_lshlrev_b32_e32 v3, 24, v1
	v_and_b32_e32 v1, 0xffff, v1
	v_and_b32_e32 v5, 7, v1
	v_ffbh_u32_e32 v16, v5
	v_min_u32_e32 v16, 32, v16
	v_subrev_u32_e32 v17, 28, v16
	v_bfe_u32 v7, v1, 3, 4
	v_lshlrev_b32_e32 v1, v17, v1
	v_sub_u32_e32 v16, 29, v16
	v_and_b32_e32 v1, 7, v1
	v_cmp_eq_u32_e32 vcc, 0, v7
	v_and_b32_e32 v3, 0x80000000, v3
	s_nop 0
	v_cndmask_b32_e32 v7, v7, v16, vcc
	v_cndmask_b32_e32 v1, v5, v1, vcc
	v_mov_b32_e32 v5, 0x3b800000
	v_lshlrev_b32_e32 v1, 20, v1
	v_lshl_add_u32 v5, v7, 23, v5
	v_or3_b32 v16, v3, v5, v1
.LBB505_1660:
	s_or_b64 exec, exec, s[14:15]
.LBB505_1661:
	s_mov_b64 s[12:13], -1
	v_mov_b32_e32 v17, 0
.LBB505_1662:
	s_mov_b64 s[14:15], 0
.LBB505_1663:
	s_and_b64 vcc, exec, s[14:15]
	s_cbranch_vccz .LBB505_1674
; %bb.1664:
	s_cmp_gt_i32 s18, 22
	s_cbranch_scc0 .LBB505_1685
; %bb.1665:
	s_cmp_lt_i32 s18, 24
	s_cbranch_scc1 .LBB505_1689
; %bb.1666:
	s_cmp_gt_i32 s18, 24
	s_cbranch_scc0 .LBB505_1691
; %bb.1667:
	global_load_ubyte v1, v[12:13], off
	s_movk_i32 s10, 0x7f
	s_waitcnt vmcnt(0)
	v_cmp_lt_i16_e32 vcc, s10, v1
	s_mov_b64 s[10:11], 0
	s_and_saveexec_b64 s[12:13], vcc
	s_xor_b64 s[12:13], exec, s[12:13]
	s_cbranch_execz .LBB505_1703
; %bb.1668:
	s_movk_i32 s10, 0x80
	v_cmp_eq_u16_e32 vcc, s10, v1
	s_mov_b64 s[10:11], -1
	s_and_saveexec_b64 s[14:15], vcc
; %bb.1669:
	s_xor_b64 s[10:11], exec, -1
; %bb.1670:
	s_or_b64 exec, exec, s[14:15]
	s_and_b64 s[10:11], s[10:11], exec
	s_or_saveexec_b64 s[12:13], s[12:13]
	v_mov_b32_e32 v16, 0x7f800001
	s_xor_b64 exec, exec, s[12:13]
	s_cbranch_execnz .LBB505_1704
.LBB505_1671:
	s_or_b64 exec, exec, s[12:13]
	s_and_saveexec_b64 s[12:13], s[10:11]
	s_cbranch_execz .LBB505_1673
.LBB505_1672:
	v_lshlrev_b32_e32 v3, 24, v1
	v_and_b32_e32 v1, 0xffff, v1
	v_and_b32_e32 v5, 3, v1
	v_ffbh_u32_e32 v16, v5
	v_min_u32_e32 v16, 32, v16
	v_subrev_u32_e32 v17, 29, v16
	v_bfe_u32 v7, v1, 2, 5
	v_lshlrev_b32_e32 v1, v17, v1
	v_sub_u32_e32 v16, 30, v16
	v_and_b32_e32 v1, 3, v1
	v_cmp_eq_u32_e32 vcc, 0, v7
	v_and_b32_e32 v3, 0x80000000, v3
	s_nop 0
	v_cndmask_b32_e32 v7, v7, v16, vcc
	v_cndmask_b32_e32 v1, v5, v1, vcc
	v_mov_b32_e32 v5, 0x37800000
	v_lshlrev_b32_e32 v1, 21, v1
	v_lshl_add_u32 v5, v7, 23, v5
	v_or3_b32 v16, v3, v5, v1
.LBB505_1673:
	s_or_b64 exec, exec, s[12:13]
	s_mov_b64 s[10:11], 0
	s_branch .LBB505_1692
.LBB505_1674:
	s_and_b64 vcc, exec, s[6:7]
	s_cbranch_vccnz .LBB505_1722
.LBB505_1675:
	s_andn2_b64 vcc, exec, s[10:11]
	s_cbranch_vccnz .LBB505_1677
.LBB505_1676:
	global_load_ubyte v1, v[12:13], off
	v_mov_b32_e32 v17, 0
	s_mov_b64 s[12:13], -1
	s_waitcnt vmcnt(0)
	v_cmp_ne_u16_e32 vcc, 0, v1
	s_nop 1
	v_cndmask_b32_e64 v16, 0, 1.0, vcc
.LBB505_1677:
	s_mov_b64 s[6:7], 0
.LBB505_1678:
	s_and_b64 vcc, exec, s[6:7]
	s_cbranch_vccz .LBB505_1753
; %bb.1679:
	s_and_b32 s3, 0xffff, s3
	s_cmp_lt_i32 s3, 5
	s_cbranch_scc1 .LBB505_1684
; %bb.1680:
	s_cmp_lt_i32 s3, 8
	s_cbranch_scc1 .LBB505_1686
; %bb.1681:
	;; [unrolled: 3-line block ×3, first 2 shown]
	s_cmp_gt_i32 s3, 9
	s_cbranch_scc0 .LBB505_1705
; %bb.1683:
	global_load_dwordx4 v[16:19], v[12:13], off
	s_mov_b64 s[6:7], 0
	s_waitcnt vmcnt(0)
	v_cvt_f32_f64_e32 v16, v[16:17]
	v_cvt_f32_f64_e32 v17, v[18:19]
	s_branch .LBB505_1706
.LBB505_1684:
	s_mov_b64 s[6:7], -1
                                        ; implicit-def: $vgpr17
	s_branch .LBB505_1731
.LBB505_1685:
	s_mov_b64 s[10:11], -1
                                        ; implicit-def: $vgpr16
	s_branch .LBB505_1698
.LBB505_1686:
	s_mov_b64 s[6:7], -1
                                        ; implicit-def: $vgpr17
	s_branch .LBB505_1712
.LBB505_1687:
	s_or_saveexec_b64 s[14:15], s[14:15]
	v_mov_b32_e32 v16, 0x7f800001
	s_xor_b64 exec, exec, s[14:15]
	s_cbranch_execz .LBB505_1658
.LBB505_1688:
	v_cmp_ne_u16_e32 vcc, 0, v1
	s_andn2_b64 s[12:13], s[12:13], exec
	s_and_b64 s[16:17], vcc, exec
	v_mov_b32_e32 v16, 0
	s_or_b64 s[12:13], s[12:13], s[16:17]
	s_or_b64 exec, exec, s[14:15]
	s_and_saveexec_b64 s[14:15], s[12:13]
	s_cbranch_execnz .LBB505_1659
	s_branch .LBB505_1660
.LBB505_1689:
	s_mov_b64 s[10:11], -1
                                        ; implicit-def: $vgpr16
	s_branch .LBB505_1695
.LBB505_1690:
	s_mov_b64 s[6:7], -1
                                        ; implicit-def: $vgpr17
	s_branch .LBB505_1709
.LBB505_1691:
	s_mov_b64 s[10:11], -1
                                        ; implicit-def: $vgpr16
.LBB505_1692:
	s_and_b64 vcc, exec, s[10:11]
	s_cbranch_vccz .LBB505_1694
; %bb.1693:
	global_load_ubyte v1, v[12:13], off
	s_mov_b32 s10, 0x7f800000
	s_waitcnt vmcnt(0)
	v_lshlrev_b32_e32 v1, 24, v1
	v_and_b32_e32 v3, 0x7f000000, v1
	v_ffbh_u32_e32 v5, v3
	v_min_u32_e32 v5, 32, v5
	v_sub_u32_e64 v5, v5, 4 clamp
	v_lshlrev_b32_e32 v16, v5, v3
	v_lshlrev_b32_e32 v5, 23, v5
	v_lshrrev_b32_e32 v16, 4, v16
	v_add_u32_e32 v7, 0x1000000, v3
	v_sub_u32_e32 v5, v16, v5
	v_ashrrev_i32_e32 v7, 8, v7
	v_add_u32_e32 v5, 0x3c000000, v5
	v_and_or_b32 v5, v7, s10, v5
	v_cmp_ne_u32_e32 vcc, 0, v3
	s_brev_b32 s10, 1
	s_nop 0
	v_cndmask_b32_e32 v3, 0, v5, vcc
	v_and_or_b32 v16, v1, s10, v3
.LBB505_1694:
	s_mov_b64 s[10:11], 0
.LBB505_1695:
	s_andn2_b64 vcc, exec, s[10:11]
	s_cbranch_vccnz .LBB505_1697
; %bb.1696:
	global_load_ubyte v1, v[12:13], off
	s_movk_i32 s10, 0x7f00
	s_brev_b32 s11, 16
	s_waitcnt vmcnt(0)
	v_lshlrev_b16_e32 v3, 8, v1
	v_lshlrev_b32_e32 v1, 25, v1
	v_lshrrev_b32_e32 v5, 4, v1
	v_and_or_b32 v7, v3, s10, 0.5
	v_or_b32_e32 v5, 0x70000000, v5
	v_add_f32_e32 v7, -0.5, v7
	v_mul_f32_e32 v5, 0x7800000, v5
	v_cmp_gt_u32_e32 vcc, s11, v1
	v_bfe_i32 v3, v3, 0, 16
	s_brev_b32 s10, 1
	v_cndmask_b32_e32 v1, v5, v7, vcc
	v_and_or_b32 v16, v3, s10, v1
.LBB505_1697:
	s_mov_b64 s[10:11], 0
	s_mov_b64 s[12:13], -1
.LBB505_1698:
	s_andn2_b64 vcc, exec, s[10:11]
	s_mov_b64 s[10:11], 0
	s_cbranch_vccnz .LBB505_1721
; %bb.1699:
	s_cmp_gt_i32 s18, 14
	s_cbranch_scc0 .LBB505_1702
; %bb.1700:
	s_cmp_eq_u32 s18, 15
	s_cbranch_scc0 .LBB505_1717
; %bb.1701:
	global_load_ushort v1, v[12:13], off
	s_mov_b64 s[6:7], 0
	s_mov_b64 s[12:13], -1
	s_waitcnt vmcnt(0)
	v_lshlrev_b32_e32 v16, 16, v1
	s_branch .LBB505_1718
.LBB505_1702:
	s_mov_b64 s[14:15], -1
                                        ; implicit-def: $vgpr16
	s_branch .LBB505_1719
.LBB505_1703:
	s_or_saveexec_b64 s[12:13], s[12:13]
	v_mov_b32_e32 v16, 0x7f800001
	s_xor_b64 exec, exec, s[12:13]
	s_cbranch_execz .LBB505_1671
.LBB505_1704:
	v_cmp_ne_u16_e32 vcc, 0, v1
	s_andn2_b64 s[10:11], s[10:11], exec
	s_and_b64 s[14:15], vcc, exec
	v_mov_b32_e32 v16, 0
	s_or_b64 s[10:11], s[10:11], s[14:15]
	s_or_b64 exec, exec, s[12:13]
	s_and_saveexec_b64 s[12:13], s[10:11]
	s_cbranch_execnz .LBB505_1672
	s_branch .LBB505_1673
.LBB505_1705:
	s_mov_b64 s[6:7], -1
                                        ; implicit-def: $vgpr17
.LBB505_1706:
	s_andn2_b64 vcc, exec, s[6:7]
	s_cbranch_vccnz .LBB505_1708
; %bb.1707:
	global_load_dwordx2 v[16:17], v[12:13], off
.LBB505_1708:
	s_mov_b64 s[6:7], 0
.LBB505_1709:
	s_andn2_b64 vcc, exec, s[6:7]
	s_cbranch_vccnz .LBB505_1711
; %bb.1710:
	global_load_dword v1, v[12:13], off
	s_waitcnt vmcnt(0)
	v_cvt_f32_f16_sdwa v17, v1 dst_sel:DWORD dst_unused:UNUSED_PAD src0_sel:WORD_1
	v_cvt_f32_f16_e32 v16, v1
.LBB505_1711:
	s_mov_b64 s[6:7], 0
.LBB505_1712:
	s_andn2_b64 vcc, exec, s[6:7]
	s_cbranch_vccnz .LBB505_1730
; %bb.1713:
	s_cmp_lt_i32 s3, 6
	s_cbranch_scc1 .LBB505_1716
; %bb.1714:
	s_cmp_gt_i32 s3, 6
	s_cbranch_scc0 .LBB505_1723
; %bb.1715:
	global_load_dwordx2 v[16:17], v[12:13], off
	s_mov_b64 s[6:7], 0
	s_waitcnt vmcnt(0)
	v_cvt_f32_f64_e32 v16, v[16:17]
	s_branch .LBB505_1724
.LBB505_1716:
	s_mov_b64 s[6:7], -1
                                        ; implicit-def: $vgpr16
	s_branch .LBB505_1727
.LBB505_1717:
	s_mov_b64 s[6:7], -1
                                        ; implicit-def: $vgpr16
.LBB505_1718:
	s_mov_b64 s[14:15], 0
.LBB505_1719:
	s_and_b64 vcc, exec, s[14:15]
	s_cbranch_vccz .LBB505_1721
; %bb.1720:
	s_cmp_lg_u32 s18, 11
	s_mov_b64 s[10:11], -1
	s_cselect_b64 s[6:7], -1, 0
.LBB505_1721:
	v_mov_b32_e32 v17, 0
	s_and_b64 vcc, exec, s[6:7]
	s_cbranch_vccz .LBB505_1675
.LBB505_1722:
	s_trap 2
	s_or_b64 s[8:9], s[8:9], exec
	s_cbranch_execz .LBB505_1676
	s_branch .LBB505_1677
.LBB505_1723:
	s_mov_b64 s[6:7], -1
                                        ; implicit-def: $vgpr16
.LBB505_1724:
	s_andn2_b64 vcc, exec, s[6:7]
	s_cbranch_vccnz .LBB505_1726
; %bb.1725:
	global_load_dword v16, v[12:13], off
.LBB505_1726:
	s_mov_b64 s[6:7], 0
.LBB505_1727:
	s_andn2_b64 vcc, exec, s[6:7]
	s_cbranch_vccnz .LBB505_1729
; %bb.1728:
	global_load_ushort v1, v[12:13], off
	s_waitcnt vmcnt(0)
	v_cvt_f32_f16_e32 v16, v1
.LBB505_1729:
	s_waitcnt vmcnt(0)
	v_mov_b32_e32 v17, 0
.LBB505_1730:
	s_mov_b64 s[6:7], 0
.LBB505_1731:
	s_andn2_b64 vcc, exec, s[6:7]
	s_cbranch_vccnz .LBB505_1752
; %bb.1732:
	s_cmp_lt_i32 s3, 2
	s_cbranch_scc1 .LBB505_1736
; %bb.1733:
	s_cmp_lt_i32 s3, 3
	s_cbranch_scc1 .LBB505_1737
; %bb.1734:
	s_cmp_gt_i32 s3, 3
	s_cbranch_scc0 .LBB505_1738
; %bb.1735:
	global_load_dwordx2 v[16:17], v[12:13], off
	s_mov_b64 s[6:7], 0
	s_waitcnt vmcnt(0)
	v_xor_b32_e32 v3, v16, v17
	v_ffbh_i32_e32 v1, v17
	v_ashrrev_i32_e32 v3, 31, v3
	v_add_u32_e32 v1, -1, v1
	v_add_u32_e32 v3, 32, v3
	v_min_u32_e32 v1, v1, v3
	v_lshlrev_b64 v[16:17], v1, v[16:17]
	v_min_u32_e32 v3, 1, v16
	v_or_b32_e32 v3, v17, v3
	v_cvt_f32_i32_e32 v3, v3
	v_sub_u32_e32 v1, 32, v1
	v_ldexp_f32 v16, v3, v1
	s_branch .LBB505_1739
.LBB505_1736:
	s_mov_b64 s[6:7], -1
                                        ; implicit-def: $vgpr16
	s_branch .LBB505_1745
.LBB505_1737:
	s_mov_b64 s[6:7], -1
                                        ; implicit-def: $vgpr16
	s_branch .LBB505_1742
.LBB505_1738:
	s_mov_b64 s[6:7], -1
                                        ; implicit-def: $vgpr16
.LBB505_1739:
	s_andn2_b64 vcc, exec, s[6:7]
	s_cbranch_vccnz .LBB505_1741
; %bb.1740:
	global_load_dword v1, v[12:13], off
	s_waitcnt vmcnt(0)
	v_cvt_f32_i32_e32 v16, v1
.LBB505_1741:
	s_mov_b64 s[6:7], 0
.LBB505_1742:
	s_andn2_b64 vcc, exec, s[6:7]
	s_cbranch_vccnz .LBB505_1744
; %bb.1743:
	global_load_sshort v1, v[12:13], off
	s_waitcnt vmcnt(0)
	v_cvt_f32_i32_e32 v16, v1
.LBB505_1744:
	s_mov_b64 s[6:7], 0
.LBB505_1745:
	s_andn2_b64 vcc, exec, s[6:7]
	s_cbranch_vccnz .LBB505_1751
; %bb.1746:
	s_cmp_gt_i32 s3, 0
	s_cbranch_scc0 .LBB505_1748
; %bb.1747:
	global_load_sbyte v1, v[12:13], off
	s_mov_b64 s[6:7], 0
	s_waitcnt vmcnt(0)
	v_cvt_f32_i32_e32 v16, v1
	s_branch .LBB505_1749
.LBB505_1748:
	s_mov_b64 s[6:7], -1
                                        ; implicit-def: $vgpr16
.LBB505_1749:
	s_andn2_b64 vcc, exec, s[6:7]
	s_cbranch_vccnz .LBB505_1751
; %bb.1750:
	global_load_ubyte v1, v[12:13], off
	s_waitcnt vmcnt(0)
	v_cvt_f32_ubyte0_e32 v16, v1
.LBB505_1751:
	s_waitcnt vmcnt(0)
	v_mov_b32_e32 v17, 0
.LBB505_1752:
	s_mov_b64 s[12:13], -1
.LBB505_1753:
	s_andn2_b64 vcc, exec, s[12:13]
	s_cbranch_vccnz .LBB505_1840
; %bb.1754:
	s_waitcnt vmcnt(0)
	v_cmp_o_f32_e32 vcc, v16, v16
	v_mov_b32_e32 v12, s0
	s_and_saveexec_b64 s[6:7], vcc
	s_cbranch_execz .LBB505_1758
; %bb.1755:
	s_mov_b32 s3, 0x7f800000
	v_cmp_neq_f32_e32 vcc, s3, v16
	v_mov_b32_e32 v12, s1
	s_and_saveexec_b64 s[10:11], vcc
; %bb.1756:
	s_mov_b32 s3, 0xff800000
	v_mov_b32_e32 v1, s2
	v_cmp_eq_f32_e32 vcc, s3, v16
	s_nop 1
	v_cndmask_b32_e32 v12, v16, v1, vcc
; %bb.1757:
	s_or_b64 exec, exec, s[10:11]
.LBB505_1758:
	s_or_b64 exec, exec, s[6:7]
	v_cmp_o_f32_e32 vcc, v17, v17
	v_mov_b32_e32 v13, s0
	s_and_saveexec_b64 s[6:7], vcc
	s_cbranch_execz .LBB505_1762
; %bb.1759:
	s_mov_b32 s0, 0x7f800000
	v_cmp_neq_f32_e32 vcc, s0, v17
	v_mov_b32_e32 v13, s1
	s_and_saveexec_b64 s[0:1], vcc
; %bb.1760:
	s_mov_b32 s3, 0xff800000
	v_mov_b32_e32 v1, s2
	v_cmp_eq_f32_e32 vcc, s3, v17
	s_nop 1
	v_cndmask_b32_e32 v13, v17, v1, vcc
; %bb.1761:
	s_or_b64 exec, exec, s[0:1]
.LBB505_1762:
	s_or_b64 exec, exec, s[6:7]
	s_load_dword s0, s[34:35], 0x164
	v_mov_b32_e32 v7, 0
	v_lshl_add_u64 v[6:7], s[4:5], 0, v[6:7]
	s_waitcnt lgkmcnt(0)
	s_and_b32 s14, s0, 0xff
	s_cmp_lt_i32 s14, 11
	s_cbranch_scc1 .LBB505_1886
; %bb.1763:
	s_and_b32 s15, 0xffff, s14
	s_mov_b64 s[10:11], -1
	s_mov_b64 s[2:3], 0
	s_cmp_gt_i32 s15, 25
	s_mov_b64 s[6:7], 0
	s_mov_b64 s[0:1], 0
	s_cbranch_scc0 .LBB505_1796
; %bb.1764:
	s_cmp_gt_i32 s15, 28
	s_cbranch_scc0 .LBB505_1779
; %bb.1765:
	s_cmp_gt_i32 s15, 43
	;; [unrolled: 3-line block ×3, first 2 shown]
	s_cbranch_scc0 .LBB505_1769
; %bb.1767:
	s_mov_b64 s[0:1], -1
	s_mov_b64 s[10:11], 0
	s_cmp_eq_u32 s15, 46
	s_cbranch_scc0 .LBB505_1769
; %bb.1768:
	s_movk_i32 s0, 0x7fff
	v_bfe_u32 v3, v9, 16, 1
	v_add3_u32 v3, v9, v3, s0
	v_bfe_u32 v1, v8, 16, 1
	v_and_b32_e32 v3, 0xffff0000, v3
	v_mov_b32_e32 v5, 0x7fc00000
	v_cmp_o_f32_e32 vcc, v9, v9
	v_add3_u32 v1, v8, v1, s0
	s_mov_b64 s[0:1], 0
	v_cndmask_b32_e32 v3, v5, v3, vcc
	v_cmp_o_f32_e32 vcc, v8, v8
	v_mov_b32_e32 v5, 0x7fc0
	s_mov_b64 s[6:7], -1
	v_cndmask_b32_sdwa v1, v5, v1, vcc dst_sel:DWORD dst_unused:UNUSED_PAD src0_sel:DWORD src1_sel:WORD_1
	v_or_b32_e32 v1, v3, v1
	global_store_dword v[6:7], v1, off
.LBB505_1769:
	s_and_b64 vcc, exec, s[10:11]
	s_cbranch_vccz .LBB505_1774
; %bb.1770:
	s_cmp_eq_u32 s15, 44
	s_mov_b64 s[0:1], -1
	s_cbranch_scc0 .LBB505_1774
; %bb.1771:
	v_bfe_u32 v1, v8, 23, 8
	s_movk_i32 s0, 0xff
	v_cmp_ne_u32_e32 vcc, s0, v1
	v_mov_b32_e32 v3, 0xff
	s_and_saveexec_b64 s[6:7], vcc
; %bb.1772:
	s_mov_b32 s0, 0x3fffff
	v_and_b32_e32 v5, 0x400000, v8
	v_and_or_b32 v1, v8, s0, v1
	v_cmp_ne_u32_e32 vcc, 0, v5
	v_cmp_ne_u32_e64 s[0:1], 0, v1
	s_and_b64 s[0:1], vcc, s[0:1]
	v_lshrrev_b32_e32 v3, 23, v8
	v_cndmask_b32_e64 v1, 0, 1, s[0:1]
	v_add_u32_e32 v3, v3, v1
; %bb.1773:
	s_or_b64 exec, exec, s[6:7]
	s_mov_b64 s[0:1], 0
	s_mov_b64 s[6:7], -1
	global_store_byte v[6:7], v3, off
.LBB505_1774:
	s_mov_b64 s[10:11], 0
.LBB505_1775:
	s_and_b64 vcc, exec, s[10:11]
	s_cbranch_vccz .LBB505_1778
; %bb.1776:
	s_cmp_eq_u32 s15, 29
	s_mov_b64 s[0:1], -1
	s_cbranch_scc0 .LBB505_1778
; %bb.1777:
	v_trunc_f32_e32 v1, v8
	v_mul_f32_e32 v3, 0x2f800000, v1
	v_floor_f32_e32 v3, v3
	v_fmamk_f32 v1, v3, 0xcf800000, v1
	v_cvt_u32_f32_e32 v17, v3
	v_cvt_u32_f32_e32 v16, v1
	s_mov_b64 s[0:1], 0
	s_mov_b64 s[6:7], -1
	global_store_dwordx2 v[6:7], v[16:17], off
.LBB505_1778:
	s_mov_b64 s[10:11], 0
.LBB505_1779:
	s_and_b64 vcc, exec, s[10:11]
	s_cbranch_vccz .LBB505_1795
; %bb.1780:
	s_cmp_lt_i32 s15, 27
	s_mov_b64 s[6:7], -1
	s_cbranch_scc1 .LBB505_1786
; %bb.1781:
	v_cvt_u32_f32_e32 v1, v8
	s_cmp_gt_i32 s15, 27
	s_cbranch_scc0 .LBB505_1783
; %bb.1782:
	s_mov_b64 s[6:7], 0
	global_store_dword v[6:7], v1, off
.LBB505_1783:
	s_andn2_b64 vcc, exec, s[6:7]
	s_cbranch_vccnz .LBB505_1785
; %bb.1784:
	global_store_short v[6:7], v1, off
.LBB505_1785:
	s_mov_b64 s[6:7], 0
.LBB505_1786:
	s_andn2_b64 vcc, exec, s[6:7]
	s_cbranch_vccnz .LBB505_1794
; %bb.1787:
	v_and_b32_e32 v1, 0x7fffffff, v8
	s_mov_b32 s6, 0x43800000
	v_cmp_gt_u32_e32 vcc, s6, v1
	v_mov_b32_e32 v3, 0x80
	s_and_saveexec_b64 s[6:7], vcc
	s_cbranch_execz .LBB505_1793
; %bb.1788:
	s_mov_b32 s10, 0x3bffffff
	v_cmp_lt_u32_e32 vcc, s10, v1
	s_mov_b64 s[10:11], 0
                                        ; implicit-def: $vgpr1
	s_and_saveexec_b64 s[12:13], vcc
	s_xor_b64 s[12:13], exec, s[12:13]
	s_cbranch_execz .LBB505_2243
; %bb.1789:
	v_bfe_u32 v1, v8, 20, 1
	s_mov_b32 s16, 0x487ffff
	v_add3_u32 v1, v8, v1, s16
	s_mov_b64 s[10:11], exec
	v_lshrrev_b32_e32 v1, 20, v1
	s_andn2_saveexec_b64 s[12:13], s[12:13]
	s_cbranch_execnz .LBB505_2244
.LBB505_1790:
	s_or_b64 exec, exec, s[12:13]
	v_mov_b32_e32 v3, 0
	s_and_saveexec_b64 s[12:13], s[10:11]
.LBB505_1791:
	v_lshrrev_b32_e32 v3, 24, v8
	s_movk_i32 s10, 0x80
	v_and_or_b32 v3, v3, s10, v1
.LBB505_1792:
	s_or_b64 exec, exec, s[12:13]
.LBB505_1793:
	s_or_b64 exec, exec, s[6:7]
	global_store_byte v[6:7], v3, off
.LBB505_1794:
	s_mov_b64 s[6:7], -1
.LBB505_1795:
	s_mov_b64 s[10:11], 0
.LBB505_1796:
	s_and_b64 vcc, exec, s[10:11]
	s_cbranch_vccz .LBB505_1836
; %bb.1797:
	s_cmp_gt_i32 s15, 22
	s_mov_b64 s[2:3], -1
	s_cbranch_scc0 .LBB505_1829
; %bb.1798:
	s_cmp_lt_i32 s15, 24
	s_cbranch_scc1 .LBB505_1818
; %bb.1799:
	s_cmp_gt_i32 s15, 24
	s_cbranch_scc0 .LBB505_1807
; %bb.1800:
	v_and_b32_e32 v1, 0x7fffffff, v8
	s_mov_b32 s2, 0x47800000
	v_cmp_gt_u32_e32 vcc, s2, v1
	v_mov_b32_e32 v3, 0x80
	s_and_saveexec_b64 s[2:3], vcc
	s_cbranch_execz .LBB505_1806
; %bb.1801:
	s_mov_b32 s6, 0x37ffffff
	v_cmp_lt_u32_e32 vcc, s6, v1
	s_mov_b64 s[6:7], 0
                                        ; implicit-def: $vgpr1
	s_and_saveexec_b64 s[10:11], vcc
	s_xor_b64 s[10:11], exec, s[10:11]
	s_cbranch_execz .LBB505_2246
; %bb.1802:
	v_bfe_u32 v1, v8, 21, 1
	s_mov_b32 s12, 0x88fffff
	v_add3_u32 v1, v8, v1, s12
	s_mov_b64 s[6:7], exec
	v_lshrrev_b32_e32 v1, 21, v1
	s_andn2_saveexec_b64 s[10:11], s[10:11]
	s_cbranch_execnz .LBB505_2247
.LBB505_1803:
	s_or_b64 exec, exec, s[10:11]
	v_mov_b32_e32 v3, 0
	s_and_saveexec_b64 s[10:11], s[6:7]
.LBB505_1804:
	v_lshrrev_b32_e32 v3, 24, v8
	s_movk_i32 s6, 0x80
	v_and_or_b32 v3, v3, s6, v1
.LBB505_1805:
	s_or_b64 exec, exec, s[10:11]
.LBB505_1806:
	s_or_b64 exec, exec, s[2:3]
	s_mov_b64 s[2:3], 0
	global_store_byte v[6:7], v3, off
.LBB505_1807:
	s_and_b64 vcc, exec, s[2:3]
	s_cbranch_vccz .LBB505_1817
; %bb.1808:
	v_and_b32_e32 v3, 0x7fffffff, v8
	s_mov_b32 s2, 0x43f00000
	v_cmp_gt_u32_e32 vcc, s2, v3
                                        ; implicit-def: $vgpr1
	s_and_saveexec_b64 s[2:3], vcc
	s_xor_b64 s[2:3], exec, s[2:3]
	s_cbranch_execz .LBB505_1814
; %bb.1809:
	s_mov_b32 s6, 0x3c7fffff
	v_cmp_lt_u32_e32 vcc, s6, v3
                                        ; implicit-def: $vgpr1
	s_and_saveexec_b64 s[6:7], vcc
	s_xor_b64 s[6:7], exec, s[6:7]
; %bb.1810:
	v_bfe_u32 v1, v8, 20, 1
	s_mov_b32 s10, 0x407ffff
	v_add3_u32 v1, v8, v1, s10
	v_lshrrev_b32_e32 v3, 20, v1
	v_and_b32_e32 v1, 0xff00000, v1
	s_mov_b32 s10, 0x7f00000
	v_mov_b32_e32 v5, 0x7e
	v_cmp_ne_u32_e32 vcc, s10, v1
	s_nop 1
	v_cndmask_b32_e32 v1, v5, v3, vcc
; %bb.1811:
	s_andn2_saveexec_b64 s[6:7], s[6:7]
; %bb.1812:
	s_mov_b32 s10, 0x46800000
	v_add_f32_e64 v1, |v8|, s10
; %bb.1813:
	s_or_b64 exec, exec, s[6:7]
                                        ; implicit-def: $vgpr3
.LBB505_1814:
	s_andn2_saveexec_b64 s[2:3], s[2:3]
; %bb.1815:
	s_mov_b32 s6, 0x7f800000
	v_mov_b32_e32 v1, 0x7e
	v_mov_b32_e32 v5, 0x7f
	v_cmp_lt_u32_e32 vcc, s6, v3
	s_nop 1
	v_cndmask_b32_e32 v1, v1, v5, vcc
; %bb.1816:
	s_or_b64 exec, exec, s[2:3]
	v_lshrrev_b32_e32 v3, 24, v8
	s_movk_i32 s2, 0x80
	v_and_or_b32 v1, v3, s2, v1
	global_store_byte v[6:7], v1, off
.LBB505_1817:
	s_mov_b64 s[2:3], 0
.LBB505_1818:
	s_andn2_b64 vcc, exec, s[2:3]
	s_cbranch_vccnz .LBB505_1828
; %bb.1819:
	v_and_b32_e32 v3, 0x7fffffff, v8
	s_mov_b32 s2, 0x47800000
	v_cmp_gt_u32_e32 vcc, s2, v3
                                        ; implicit-def: $vgpr1
	s_and_saveexec_b64 s[2:3], vcc
	s_xor_b64 s[2:3], exec, s[2:3]
	s_cbranch_execz .LBB505_1825
; %bb.1820:
	s_mov_b32 s6, 0x387fffff
	v_cmp_lt_u32_e32 vcc, s6, v3
                                        ; implicit-def: $vgpr1
	s_and_saveexec_b64 s[6:7], vcc
	s_xor_b64 s[6:7], exec, s[6:7]
; %bb.1821:
	v_bfe_u32 v1, v8, 21, 1
	s_mov_b32 s10, 0x80fffff
	v_add3_u32 v1, v8, v1, s10
	v_lshrrev_b32_e32 v1, 21, v1
; %bb.1822:
	s_andn2_saveexec_b64 s[6:7], s[6:7]
; %bb.1823:
	s_mov_b32 s10, 0x43000000
	v_add_f32_e64 v1, |v8|, s10
; %bb.1824:
	s_or_b64 exec, exec, s[6:7]
                                        ; implicit-def: $vgpr3
.LBB505_1825:
	s_andn2_saveexec_b64 s[2:3], s[2:3]
; %bb.1826:
	s_mov_b32 s6, 0x7f800000
	v_mov_b32_e32 v1, 0x7c
	v_mov_b32_e32 v5, 0x7f
	v_cmp_lt_u32_e32 vcc, s6, v3
	s_nop 1
	v_cndmask_b32_e32 v1, v1, v5, vcc
; %bb.1827:
	s_or_b64 exec, exec, s[2:3]
	v_lshrrev_b32_e32 v3, 24, v8
	s_movk_i32 s2, 0x80
	v_and_or_b32 v1, v3, s2, v1
	global_store_byte v[6:7], v1, off
.LBB505_1828:
	s_mov_b64 s[2:3], 0
	s_mov_b64 s[6:7], -1
.LBB505_1829:
	s_andn2_b64 vcc, exec, s[2:3]
	s_mov_b64 s[2:3], 0
	s_cbranch_vccnz .LBB505_1836
; %bb.1830:
	s_cmp_gt_i32 s15, 14
	s_mov_b64 s[10:11], -1
	s_cbranch_scc0 .LBB505_1834
; %bb.1831:
	s_cmp_eq_u32 s15, 15
	s_mov_b64 s[0:1], -1
	s_cbranch_scc0 .LBB505_1833
; %bb.1832:
	v_bfe_u32 v1, v8, 16, 1
	s_movk_i32 s0, 0x7fff
	v_add3_u32 v1, v8, v1, s0
	v_cmp_o_f32_e32 vcc, v8, v8
	v_mov_b32_e32 v3, 0x7fc0
	s_mov_b64 s[0:1], 0
	v_cndmask_b32_sdwa v1, v3, v1, vcc dst_sel:DWORD dst_unused:UNUSED_PAD src0_sel:DWORD src1_sel:WORD_1
	global_store_short v[6:7], v1, off
	s_mov_b64 s[6:7], -1
.LBB505_1833:
	s_mov_b64 s[10:11], 0
.LBB505_1834:
	s_and_b64 vcc, exec, s[10:11]
	s_cbranch_vccz .LBB505_1836
; %bb.1835:
	s_cmp_lg_u32 s15, 11
	s_mov_b64 s[2:3], -1
	s_cselect_b64 s[0:1], -1, 0
.LBB505_1836:
	s_and_b64 vcc, exec, s[0:1]
	s_cbranch_vccnz .LBB505_2245
; %bb.1837:
	s_andn2_b64 vcc, exec, s[2:3]
	s_cbranch_vccnz .LBB505_1839
.LBB505_1838:
	v_cmp_neq_f32_e32 vcc, 0, v8
	v_cmp_neq_f32_e64 s[0:1], 0, v9
	s_or_b64 s[0:1], vcc, s[0:1]
	s_mov_b64 s[6:7], -1
	v_cndmask_b32_e64 v1, 0, 1, s[0:1]
	global_store_byte v[6:7], v1, off
.LBB505_1839:
	s_mov_b64 s[0:1], 0
	s_branch .LBB505_1887
.LBB505_1840:
	s_mov_b64 s[0:1], 0
                                        ; implicit-def: $vgpr0_vgpr1
                                        ; implicit-def: $sgpr14
                                        ; implicit-def: $vgpr13
.LBB505_1841:
	s_mov_b64 s[2:3], 0
.LBB505_1842:
	s_and_b64 s[4:5], s[0:1], exec
	s_and_b64 s[44:45], s[2:3], exec
	s_andn2_b64 s[0:1], s[24:25], exec
	s_and_b64 s[2:3], s[8:9], exec
	s_or_b64 s[24:25], s[0:1], s[2:3]
.LBB505_1843:
	s_or_b64 exec, exec, s[26:27]
	s_and_saveexec_b64 s[0:1], s[24:25]
	s_cbranch_execz .LBB505_1846
; %bb.1844:
	; divergent unreachable
	s_or_b64 exec, exec, s[0:1]
	s_and_saveexec_b64 s[0:1], s[44:45]
	s_xor_b64 s[2:3], exec, s[0:1]
	s_cbranch_execnz .LBB505_1847
.LBB505_1845:
	s_or_b64 exec, exec, s[2:3]
	s_and_saveexec_b64 s[0:1], s[4:5]
	s_cbranch_execnz .LBB505_1848
	s_branch .LBB505_1885
.LBB505_1846:
	s_or_b64 exec, exec, s[0:1]
	s_and_saveexec_b64 s[0:1], s[44:45]
	s_xor_b64 s[2:3], exec, s[0:1]
	s_cbranch_execz .LBB505_1845
.LBB505_1847:
	v_cmp_neq_f32_e32 vcc, 0, v12
	v_cmp_neq_f32_e64 s[0:1], 0, v13
	s_or_b64 s[0:1], vcc, s[0:1]
	s_nop 0
	v_cndmask_b32_e64 v2, 0, 1, s[0:1]
	global_store_byte v[0:1], v2, off
	s_or_b64 exec, exec, s[2:3]
	s_and_saveexec_b64 s[0:1], s[4:5]
	s_cbranch_execz .LBB505_1885
.LBB505_1848:
	s_sext_i32_i16 s2, s14
	s_cmp_lt_i32 s2, 5
	s_mov_b64 s[0:1], -1
	s_cbranch_scc1 .LBB505_1869
; %bb.1849:
	s_cmp_lt_i32 s2, 8
	s_cbranch_scc1 .LBB505_1859
; %bb.1850:
	s_cmp_lt_i32 s2, 9
	s_cbranch_scc1 .LBB505_1856
; %bb.1851:
	s_cmp_gt_i32 s2, 9
	s_cbranch_scc0 .LBB505_1853
; %bb.1852:
	v_cvt_f64_f32_e32 v[2:3], v12
	s_waitcnt vmcnt(0)
	v_cvt_f64_f32_e32 v[4:5], v13
	global_store_dwordx4 v[0:1], v[2:5], off
	s_mov_b64 s[0:1], 0
.LBB505_1853:
	s_andn2_b64 vcc, exec, s[0:1]
	s_cbranch_vccnz .LBB505_1855
; %bb.1854:
	global_store_dwordx2 v[0:1], v[12:13], off
.LBB505_1855:
	s_mov_b64 s[0:1], 0
.LBB505_1856:
	s_andn2_b64 vcc, exec, s[0:1]
	s_cbranch_vccnz .LBB505_1858
; %bb.1857:
	v_cvt_f16_f32_e32 v2, v12
	v_cvt_f16_f32_sdwa v3, v13 dst_sel:WORD_1 dst_unused:UNUSED_PAD src0_sel:DWORD
	s_nop 0
	v_or_b32_e32 v2, v3, v2
	global_store_dword v[0:1], v2, off
.LBB505_1858:
	s_mov_b64 s[0:1], 0
.LBB505_1859:
	s_andn2_b64 vcc, exec, s[0:1]
	s_cbranch_vccnz .LBB505_1868
; %bb.1860:
	s_sext_i32_i16 s2, s14
	s_cmp_lt_i32 s2, 6
	s_mov_b64 s[0:1], -1
	s_cbranch_scc1 .LBB505_1866
; %bb.1861:
	s_cmp_gt_i32 s2, 6
	s_cbranch_scc0 .LBB505_1863
; %bb.1862:
	v_cvt_f64_f32_e32 v[2:3], v12
	global_store_dwordx2 v[0:1], v[2:3], off
	s_mov_b64 s[0:1], 0
.LBB505_1863:
	s_andn2_b64 vcc, exec, s[0:1]
	s_cbranch_vccnz .LBB505_1865
; %bb.1864:
	global_store_dword v[0:1], v12, off
.LBB505_1865:
	s_mov_b64 s[0:1], 0
.LBB505_1866:
	s_andn2_b64 vcc, exec, s[0:1]
	s_cbranch_vccnz .LBB505_1868
; %bb.1867:
	v_cvt_f16_f32_e32 v2, v12
	global_store_short v[0:1], v2, off
.LBB505_1868:
	s_mov_b64 s[0:1], 0
.LBB505_1869:
	s_andn2_b64 vcc, exec, s[0:1]
	s_cbranch_vccnz .LBB505_1885
; %bb.1870:
	s_sext_i32_i16 s2, s14
	s_cmp_lt_i32 s2, 2
	s_mov_b64 s[0:1], -1
	s_cbranch_scc1 .LBB505_1880
; %bb.1871:
	s_cmp_lt_i32 s2, 3
	s_cbranch_scc1 .LBB505_1877
; %bb.1872:
	s_cmp_gt_i32 s2, 3
	s_cbranch_scc0 .LBB505_1874
; %bb.1873:
	v_trunc_f32_e32 v2, v12
	s_mov_b32 s0, 0x2f800000
	v_mul_f32_e64 v3, |v2|, s0
	v_floor_f32_e32 v3, v3
	s_mov_b32 s0, 0xcf800000
	s_waitcnt vmcnt(0)
	v_cvt_u32_f32_e32 v4, v3
	v_fma_f32 v3, v3, s0, |v2|
	v_cvt_u32_f32_e32 v3, v3
	v_ashrrev_i32_e32 v5, 31, v2
	v_xor_b32_e32 v4, v4, v5
	s_mov_b64 s[0:1], 0
	v_xor_b32_e32 v2, v3, v5
	v_sub_co_u32_e32 v2, vcc, v2, v5
	s_nop 1
	v_subb_co_u32_e32 v3, vcc, v4, v5, vcc
	global_store_dwordx2 v[0:1], v[2:3], off
.LBB505_1874:
	s_andn2_b64 vcc, exec, s[0:1]
	s_cbranch_vccnz .LBB505_1876
; %bb.1875:
	v_cvt_i32_f32_e32 v2, v12
	global_store_dword v[0:1], v2, off
.LBB505_1876:
	s_mov_b64 s[0:1], 0
.LBB505_1877:
	s_andn2_b64 vcc, exec, s[0:1]
	s_cbranch_vccnz .LBB505_1879
; %bb.1878:
	v_cvt_i32_f32_e32 v2, v12
	global_store_short v[0:1], v2, off
.LBB505_1879:
	s_mov_b64 s[0:1], 0
.LBB505_1880:
	s_andn2_b64 vcc, exec, s[0:1]
	s_cbranch_vccnz .LBB505_1885
; %bb.1881:
	s_sext_i32_i16 s0, s14
	s_cmp_gt_i32 s0, 0
	s_mov_b64 s[0:1], -1
	s_cbranch_scc0 .LBB505_1883
; %bb.1882:
	v_cvt_i32_f32_e32 v2, v12
	s_mov_b64 s[0:1], 0
	global_store_byte v[0:1], v2, off
.LBB505_1883:
	s_andn2_b64 vcc, exec, s[0:1]
	s_cbranch_vccnz .LBB505_1885
; %bb.1884:
	v_trunc_f32_e32 v2, v12
	s_mov_b32 s0, 0x2f800000
	v_mul_f32_e64 v3, |v2|, s0
	v_floor_f32_e32 v3, v3
	s_mov_b32 s0, 0xcf800000
	v_fma_f32 v3, v3, s0, |v2|
	v_cvt_u32_f32_e32 v3, v3
	v_ashrrev_i32_e32 v2, 31, v2
	v_xor_b32_e32 v3, v3, v2
	v_sub_u32_e32 v2, v3, v2
	global_store_byte v[0:1], v2, off
	s_endpgm
.LBB505_1885:
	s_endpgm
.LBB505_1886:
	s_mov_b64 s[0:1], -1
	s_mov_b64 s[6:7], 0
.LBB505_1887:
	s_and_b64 vcc, exec, s[0:1]
	s_cbranch_vccz .LBB505_1926
; %bb.1888:
	s_and_b32 s2, 0xffff, s14
	s_cmp_lt_i32 s2, 5
	s_mov_b64 s[0:1], -1
	s_cbranch_scc1 .LBB505_1909
; %bb.1889:
	s_cmp_lt_i32 s2, 8
	s_cbranch_scc1 .LBB505_1899
; %bb.1890:
	s_cmp_lt_i32 s2, 9
	s_cbranch_scc1 .LBB505_1896
; %bb.1891:
	s_cmp_gt_i32 s2, 9
	s_cbranch_scc0 .LBB505_1893
; %bb.1892:
	v_cvt_f64_f32_e32 v[16:17], v8
	v_cvt_f64_f32_e32 v[18:19], v9
	global_store_dwordx4 v[6:7], v[16:19], off
	s_mov_b64 s[0:1], 0
.LBB505_1893:
	s_andn2_b64 vcc, exec, s[0:1]
	s_cbranch_vccnz .LBB505_1895
; %bb.1894:
	global_store_dwordx2 v[6:7], v[8:9], off
.LBB505_1895:
	s_mov_b64 s[0:1], 0
.LBB505_1896:
	s_andn2_b64 vcc, exec, s[0:1]
	s_cbranch_vccnz .LBB505_1898
; %bb.1897:
	v_cvt_f16_f32_e32 v1, v8
	v_cvt_f16_f32_sdwa v3, v9 dst_sel:WORD_1 dst_unused:UNUSED_PAD src0_sel:DWORD
	s_nop 0
	v_or_b32_e32 v1, v3, v1
	global_store_dword v[6:7], v1, off
.LBB505_1898:
	s_mov_b64 s[0:1], 0
.LBB505_1899:
	s_andn2_b64 vcc, exec, s[0:1]
	s_cbranch_vccnz .LBB505_1908
; %bb.1900:
	s_cmp_lt_i32 s2, 6
	s_mov_b64 s[0:1], -1
	s_cbranch_scc1 .LBB505_1906
; %bb.1901:
	s_cmp_gt_i32 s2, 6
	s_cbranch_scc0 .LBB505_1903
; %bb.1902:
	v_cvt_f64_f32_e32 v[16:17], v8
	global_store_dwordx2 v[6:7], v[16:17], off
	s_mov_b64 s[0:1], 0
.LBB505_1903:
	s_andn2_b64 vcc, exec, s[0:1]
	s_cbranch_vccnz .LBB505_1905
; %bb.1904:
	global_store_dword v[6:7], v8, off
.LBB505_1905:
	s_mov_b64 s[0:1], 0
.LBB505_1906:
	s_andn2_b64 vcc, exec, s[0:1]
	s_cbranch_vccnz .LBB505_1908
; %bb.1907:
	v_cvt_f16_f32_e32 v1, v8
	global_store_short v[6:7], v1, off
.LBB505_1908:
	s_mov_b64 s[0:1], 0
.LBB505_1909:
	s_andn2_b64 vcc, exec, s[0:1]
	s_cbranch_vccnz .LBB505_1925
; %bb.1910:
	s_cmp_lt_i32 s2, 2
	s_mov_b64 s[0:1], -1
	s_cbranch_scc1 .LBB505_1920
; %bb.1911:
	s_cmp_lt_i32 s2, 3
	s_cbranch_scc1 .LBB505_1917
; %bb.1912:
	s_cmp_gt_i32 s2, 3
	s_cbranch_scc0 .LBB505_1914
; %bb.1913:
	v_trunc_f32_e32 v1, v8
	s_mov_b32 s0, 0x2f800000
	v_mul_f32_e64 v3, |v1|, s0
	v_floor_f32_e32 v3, v3
	s_mov_b32 s0, 0xcf800000
	v_cvt_u32_f32_e32 v5, v3
	v_fma_f32 v3, v3, s0, |v1|
	v_cvt_u32_f32_e32 v3, v3
	v_ashrrev_i32_e32 v1, 31, v1
	v_xor_b32_e32 v5, v5, v1
	s_mov_b64 s[0:1], 0
	v_xor_b32_e32 v3, v3, v1
	v_sub_co_u32_e32 v16, vcc, v3, v1
	s_nop 1
	v_subb_co_u32_e32 v17, vcc, v5, v1, vcc
	global_store_dwordx2 v[6:7], v[16:17], off
.LBB505_1914:
	s_andn2_b64 vcc, exec, s[0:1]
	s_cbranch_vccnz .LBB505_1916
; %bb.1915:
	v_cvt_i32_f32_e32 v1, v8
	global_store_dword v[6:7], v1, off
.LBB505_1916:
	s_mov_b64 s[0:1], 0
.LBB505_1917:
	s_andn2_b64 vcc, exec, s[0:1]
	s_cbranch_vccnz .LBB505_1919
; %bb.1918:
	v_cvt_i32_f32_e32 v1, v8
	global_store_short v[6:7], v1, off
.LBB505_1919:
	s_mov_b64 s[0:1], 0
.LBB505_1920:
	s_andn2_b64 vcc, exec, s[0:1]
	s_cbranch_vccnz .LBB505_1925
; %bb.1921:
	s_cmp_gt_i32 s2, 0
	s_mov_b64 s[0:1], -1
	s_cbranch_scc0 .LBB505_1923
; %bb.1922:
	v_cvt_i32_f32_e32 v1, v8
	s_mov_b64 s[0:1], 0
	global_store_byte v[6:7], v1, off
.LBB505_1923:
	s_andn2_b64 vcc, exec, s[0:1]
	s_cbranch_vccnz .LBB505_1925
; %bb.1924:
	v_trunc_f32_e32 v1, v8
	s_mov_b32 s0, 0x2f800000
	v_mul_f32_e64 v3, |v1|, s0
	v_floor_f32_e32 v3, v3
	s_mov_b32 s0, 0xcf800000
	v_fma_f32 v3, v3, s0, |v1|
	v_cvt_u32_f32_e32 v3, v3
	v_ashrrev_i32_e32 v1, 31, v1
	v_xor_b32_e32 v3, v3, v1
	v_sub_u32_e32 v1, v3, v1
	global_store_byte v[6:7], v1, off
.LBB505_1925:
	s_mov_b64 s[6:7], -1
.LBB505_1926:
	s_andn2_b64 vcc, exec, s[6:7]
	s_cbranch_vccnz .LBB505_2241
; %bb.1927:
	v_mov_b32_e32 v5, 0
	s_and_b32 s15, 0xffff, s14
	s_cmp_lt_i32 s15, 11
	v_lshl_add_u64 v[4:5], s[4:5], 0, v[4:5]
	s_cbranch_scc1 .LBB505_2005
; %bb.1928:
	s_mov_b64 s[10:11], -1
	s_mov_b64 s[2:3], 0
	s_cmp_gt_i32 s15, 25
	s_mov_b64 s[6:7], 0
	s_mov_b64 s[0:1], 0
	s_cbranch_scc0 .LBB505_1961
; %bb.1929:
	s_cmp_gt_i32 s15, 28
	s_cbranch_scc0 .LBB505_1944
; %bb.1930:
	s_cmp_gt_i32 s15, 43
	s_cbranch_scc0 .LBB505_1940
; %bb.1931:
	s_cmp_gt_i32 s15, 45
	s_cbranch_scc0 .LBB505_1934
; %bb.1932:
	s_mov_b64 s[0:1], -1
	s_mov_b64 s[10:11], 0
	s_cmp_eq_u32 s15, 46
	s_cbranch_scc0 .LBB505_1934
; %bb.1933:
	s_movk_i32 s0, 0x7fff
	v_bfe_u32 v3, v11, 16, 1
	v_add3_u32 v3, v11, v3, s0
	v_bfe_u32 v1, v10, 16, 1
	v_and_b32_e32 v3, 0xffff0000, v3
	v_mov_b32_e32 v6, 0x7fc00000
	v_cmp_o_f32_e32 vcc, v11, v11
	v_add3_u32 v1, v10, v1, s0
	s_mov_b64 s[0:1], 0
	v_cndmask_b32_e32 v3, v6, v3, vcc
	v_cmp_o_f32_e32 vcc, v10, v10
	v_mov_b32_e32 v6, 0x7fc0
	s_mov_b64 s[6:7], -1
	v_cndmask_b32_sdwa v1, v6, v1, vcc dst_sel:DWORD dst_unused:UNUSED_PAD src0_sel:DWORD src1_sel:WORD_1
	v_or_b32_e32 v1, v3, v1
	global_store_dword v[4:5], v1, off
.LBB505_1934:
	s_and_b64 vcc, exec, s[10:11]
	s_cbranch_vccz .LBB505_1939
; %bb.1935:
	s_cmp_eq_u32 s15, 44
	s_mov_b64 s[0:1], -1
	s_cbranch_scc0 .LBB505_1939
; %bb.1936:
	v_bfe_u32 v1, v10, 23, 8
	s_movk_i32 s0, 0xff
	v_cmp_ne_u32_e32 vcc, s0, v1
	v_mov_b32_e32 v3, 0xff
	s_and_saveexec_b64 s[6:7], vcc
; %bb.1937:
	s_mov_b32 s0, 0x3fffff
	v_and_b32_e32 v6, 0x400000, v10
	v_and_or_b32 v1, v10, s0, v1
	v_cmp_ne_u32_e32 vcc, 0, v6
	v_cmp_ne_u32_e64 s[0:1], 0, v1
	s_and_b64 s[0:1], vcc, s[0:1]
	v_lshrrev_b32_e32 v3, 23, v10
	v_cndmask_b32_e64 v1, 0, 1, s[0:1]
	v_add_u32_e32 v3, v3, v1
; %bb.1938:
	s_or_b64 exec, exec, s[6:7]
	s_mov_b64 s[0:1], 0
	s_mov_b64 s[6:7], -1
	global_store_byte v[4:5], v3, off
.LBB505_1939:
	s_mov_b64 s[10:11], 0
.LBB505_1940:
	s_and_b64 vcc, exec, s[10:11]
	s_cbranch_vccz .LBB505_1943
; %bb.1941:
	s_cmp_eq_u32 s15, 29
	s_mov_b64 s[0:1], -1
	s_cbranch_scc0 .LBB505_1943
; %bb.1942:
	v_trunc_f32_e32 v1, v10
	v_mul_f32_e32 v3, 0x2f800000, v1
	v_floor_f32_e32 v3, v3
	v_fmamk_f32 v1, v3, 0xcf800000, v1
	v_cvt_u32_f32_e32 v7, v3
	v_cvt_u32_f32_e32 v6, v1
	s_mov_b64 s[0:1], 0
	s_mov_b64 s[6:7], -1
	global_store_dwordx2 v[4:5], v[6:7], off
.LBB505_1943:
	s_mov_b64 s[10:11], 0
.LBB505_1944:
	s_and_b64 vcc, exec, s[10:11]
	s_cbranch_vccz .LBB505_1960
; %bb.1945:
	s_cmp_lt_i32 s15, 27
	s_mov_b64 s[6:7], -1
	s_cbranch_scc1 .LBB505_1951
; %bb.1946:
	s_cmp_gt_i32 s15, 27
	s_cbranch_scc0 .LBB505_1948
; %bb.1947:
	v_cvt_u32_f32_e32 v1, v10
	s_mov_b64 s[6:7], 0
	global_store_dword v[4:5], v1, off
.LBB505_1948:
	s_andn2_b64 vcc, exec, s[6:7]
	s_cbranch_vccnz .LBB505_1950
; %bb.1949:
	v_cvt_u32_f32_e32 v1, v10
	global_store_short v[4:5], v1, off
.LBB505_1950:
	s_mov_b64 s[6:7], 0
.LBB505_1951:
	s_andn2_b64 vcc, exec, s[6:7]
	s_cbranch_vccnz .LBB505_1959
; %bb.1952:
	v_and_b32_e32 v1, 0x7fffffff, v10
	s_mov_b32 s6, 0x43800000
	v_cmp_gt_u32_e32 vcc, s6, v1
	v_mov_b32_e32 v3, 0x80
	s_and_saveexec_b64 s[6:7], vcc
	s_cbranch_execz .LBB505_1958
; %bb.1953:
	s_mov_b32 s10, 0x3bffffff
	v_cmp_lt_u32_e32 vcc, s10, v1
	s_mov_b64 s[10:11], 0
                                        ; implicit-def: $vgpr1
	s_and_saveexec_b64 s[12:13], vcc
	s_xor_b64 s[12:13], exec, s[12:13]
	s_cbranch_execz .LBB505_2248
; %bb.1954:
	v_bfe_u32 v1, v10, 20, 1
	s_mov_b32 s16, 0x487ffff
	v_add3_u32 v1, v10, v1, s16
	s_mov_b64 s[10:11], exec
	v_lshrrev_b32_e32 v1, 20, v1
	s_andn2_saveexec_b64 s[12:13], s[12:13]
	s_cbranch_execnz .LBB505_2249
.LBB505_1955:
	s_or_b64 exec, exec, s[12:13]
	v_mov_b32_e32 v3, 0
	s_and_saveexec_b64 s[12:13], s[10:11]
.LBB505_1956:
	v_lshrrev_b32_e32 v3, 24, v10
	s_movk_i32 s10, 0x80
	v_and_or_b32 v3, v3, s10, v1
.LBB505_1957:
	s_or_b64 exec, exec, s[12:13]
.LBB505_1958:
	s_or_b64 exec, exec, s[6:7]
	global_store_byte v[4:5], v3, off
.LBB505_1959:
	s_mov_b64 s[6:7], -1
.LBB505_1960:
	s_mov_b64 s[10:11], 0
.LBB505_1961:
	s_and_b64 vcc, exec, s[10:11]
	s_cbranch_vccz .LBB505_2001
; %bb.1962:
	s_cmp_gt_i32 s15, 22
	s_mov_b64 s[2:3], -1
	s_cbranch_scc0 .LBB505_1994
; %bb.1963:
	s_cmp_lt_i32 s15, 24
	s_cbranch_scc1 .LBB505_1983
; %bb.1964:
	s_cmp_gt_i32 s15, 24
	s_cbranch_scc0 .LBB505_1972
; %bb.1965:
	v_and_b32_e32 v1, 0x7fffffff, v10
	s_mov_b32 s2, 0x47800000
	v_cmp_gt_u32_e32 vcc, s2, v1
	v_mov_b32_e32 v3, 0x80
	s_and_saveexec_b64 s[2:3], vcc
	s_cbranch_execz .LBB505_1971
; %bb.1966:
	s_mov_b32 s6, 0x37ffffff
	v_cmp_lt_u32_e32 vcc, s6, v1
	s_mov_b64 s[6:7], 0
                                        ; implicit-def: $vgpr1
	s_and_saveexec_b64 s[10:11], vcc
	s_xor_b64 s[10:11], exec, s[10:11]
	s_cbranch_execz .LBB505_2251
; %bb.1967:
	v_bfe_u32 v1, v10, 21, 1
	s_mov_b32 s12, 0x88fffff
	v_add3_u32 v1, v10, v1, s12
	s_mov_b64 s[6:7], exec
	v_lshrrev_b32_e32 v1, 21, v1
	s_andn2_saveexec_b64 s[10:11], s[10:11]
	s_cbranch_execnz .LBB505_2252
.LBB505_1968:
	s_or_b64 exec, exec, s[10:11]
	v_mov_b32_e32 v3, 0
	s_and_saveexec_b64 s[10:11], s[6:7]
.LBB505_1969:
	v_lshrrev_b32_e32 v3, 24, v10
	s_movk_i32 s6, 0x80
	v_and_or_b32 v3, v3, s6, v1
.LBB505_1970:
	s_or_b64 exec, exec, s[10:11]
.LBB505_1971:
	s_or_b64 exec, exec, s[2:3]
	s_mov_b64 s[2:3], 0
	global_store_byte v[4:5], v3, off
.LBB505_1972:
	s_and_b64 vcc, exec, s[2:3]
	s_cbranch_vccz .LBB505_1982
; %bb.1973:
	v_and_b32_e32 v3, 0x7fffffff, v10
	s_mov_b32 s2, 0x43f00000
	v_cmp_gt_u32_e32 vcc, s2, v3
                                        ; implicit-def: $vgpr1
	s_and_saveexec_b64 s[2:3], vcc
	s_xor_b64 s[2:3], exec, s[2:3]
	s_cbranch_execz .LBB505_1979
; %bb.1974:
	s_mov_b32 s6, 0x3c7fffff
	v_cmp_lt_u32_e32 vcc, s6, v3
                                        ; implicit-def: $vgpr1
	s_and_saveexec_b64 s[6:7], vcc
	s_xor_b64 s[6:7], exec, s[6:7]
; %bb.1975:
	v_bfe_u32 v1, v10, 20, 1
	s_mov_b32 s10, 0x407ffff
	v_add3_u32 v1, v10, v1, s10
	v_lshrrev_b32_e32 v3, 20, v1
	v_and_b32_e32 v1, 0xff00000, v1
	s_mov_b32 s10, 0x7f00000
	v_mov_b32_e32 v6, 0x7e
	v_cmp_ne_u32_e32 vcc, s10, v1
	s_nop 1
	v_cndmask_b32_e32 v1, v6, v3, vcc
; %bb.1976:
	s_andn2_saveexec_b64 s[6:7], s[6:7]
; %bb.1977:
	s_mov_b32 s10, 0x46800000
	v_add_f32_e64 v1, |v10|, s10
; %bb.1978:
	s_or_b64 exec, exec, s[6:7]
                                        ; implicit-def: $vgpr3
.LBB505_1979:
	s_andn2_saveexec_b64 s[2:3], s[2:3]
; %bb.1980:
	s_mov_b32 s6, 0x7f800000
	v_mov_b32_e32 v1, 0x7e
	v_mov_b32_e32 v6, 0x7f
	v_cmp_lt_u32_e32 vcc, s6, v3
	s_nop 1
	v_cndmask_b32_e32 v1, v1, v6, vcc
; %bb.1981:
	s_or_b64 exec, exec, s[2:3]
	v_lshrrev_b32_e32 v3, 24, v10
	s_movk_i32 s2, 0x80
	v_and_or_b32 v1, v3, s2, v1
	global_store_byte v[4:5], v1, off
.LBB505_1982:
	s_mov_b64 s[2:3], 0
.LBB505_1983:
	s_andn2_b64 vcc, exec, s[2:3]
	s_cbranch_vccnz .LBB505_1993
; %bb.1984:
	v_and_b32_e32 v3, 0x7fffffff, v10
	s_mov_b32 s2, 0x47800000
	v_cmp_gt_u32_e32 vcc, s2, v3
                                        ; implicit-def: $vgpr1
	s_and_saveexec_b64 s[2:3], vcc
	s_xor_b64 s[2:3], exec, s[2:3]
	s_cbranch_execz .LBB505_1990
; %bb.1985:
	s_mov_b32 s6, 0x387fffff
	v_cmp_lt_u32_e32 vcc, s6, v3
                                        ; implicit-def: $vgpr1
	s_and_saveexec_b64 s[6:7], vcc
	s_xor_b64 s[6:7], exec, s[6:7]
; %bb.1986:
	v_bfe_u32 v1, v10, 21, 1
	s_mov_b32 s10, 0x80fffff
	v_add3_u32 v1, v10, v1, s10
	v_lshrrev_b32_e32 v1, 21, v1
; %bb.1987:
	s_andn2_saveexec_b64 s[6:7], s[6:7]
; %bb.1988:
	s_mov_b32 s10, 0x43000000
	v_add_f32_e64 v1, |v10|, s10
; %bb.1989:
	s_or_b64 exec, exec, s[6:7]
                                        ; implicit-def: $vgpr3
.LBB505_1990:
	s_andn2_saveexec_b64 s[2:3], s[2:3]
; %bb.1991:
	s_mov_b32 s6, 0x7f800000
	v_mov_b32_e32 v1, 0x7c
	v_mov_b32_e32 v6, 0x7f
	v_cmp_lt_u32_e32 vcc, s6, v3
	s_nop 1
	v_cndmask_b32_e32 v1, v1, v6, vcc
; %bb.1992:
	s_or_b64 exec, exec, s[2:3]
	v_lshrrev_b32_e32 v3, 24, v10
	s_movk_i32 s2, 0x80
	v_and_or_b32 v1, v3, s2, v1
	global_store_byte v[4:5], v1, off
.LBB505_1993:
	s_mov_b64 s[2:3], 0
	s_mov_b64 s[6:7], -1
.LBB505_1994:
	s_andn2_b64 vcc, exec, s[2:3]
	s_mov_b64 s[2:3], 0
	s_cbranch_vccnz .LBB505_2001
; %bb.1995:
	s_cmp_gt_i32 s15, 14
	s_mov_b64 s[10:11], -1
	s_cbranch_scc0 .LBB505_1999
; %bb.1996:
	s_cmp_eq_u32 s15, 15
	s_mov_b64 s[0:1], -1
	s_cbranch_scc0 .LBB505_1998
; %bb.1997:
	v_bfe_u32 v1, v10, 16, 1
	s_movk_i32 s0, 0x7fff
	v_add3_u32 v1, v10, v1, s0
	v_cmp_o_f32_e32 vcc, v10, v10
	v_mov_b32_e32 v3, 0x7fc0
	s_mov_b64 s[0:1], 0
	v_cndmask_b32_sdwa v1, v3, v1, vcc dst_sel:DWORD dst_unused:UNUSED_PAD src0_sel:DWORD src1_sel:WORD_1
	global_store_short v[4:5], v1, off
	s_mov_b64 s[6:7], -1
.LBB505_1998:
	s_mov_b64 s[10:11], 0
.LBB505_1999:
	s_and_b64 vcc, exec, s[10:11]
	s_cbranch_vccz .LBB505_2001
; %bb.2000:
	s_cmp_lg_u32 s15, 11
	s_mov_b64 s[2:3], -1
	s_cselect_b64 s[0:1], -1, 0
.LBB505_2001:
	s_and_b64 vcc, exec, s[0:1]
	s_cbranch_vccnz .LBB505_2250
; %bb.2002:
	s_andn2_b64 vcc, exec, s[2:3]
	s_cbranch_vccnz .LBB505_2004
.LBB505_2003:
	v_cmp_neq_f32_e32 vcc, 0, v10
	v_cmp_neq_f32_e64 s[0:1], 0, v11
	s_or_b64 s[0:1], vcc, s[0:1]
	s_mov_b64 s[6:7], -1
	v_cndmask_b32_e64 v1, 0, 1, s[0:1]
	global_store_byte v[4:5], v1, off
.LBB505_2004:
	s_mov_b64 s[0:1], 0
	s_branch .LBB505_2006
.LBB505_2005:
	s_mov_b64 s[0:1], -1
	s_mov_b64 s[6:7], 0
.LBB505_2006:
	s_and_b64 vcc, exec, s[0:1]
	s_cbranch_vccz .LBB505_2045
; %bb.2007:
	s_cmp_lt_i32 s15, 5
	s_mov_b64 s[0:1], -1
	s_cbranch_scc1 .LBB505_2028
; %bb.2008:
	s_cmp_lt_i32 s15, 8
	s_cbranch_scc1 .LBB505_2018
; %bb.2009:
	s_cmp_lt_i32 s15, 9
	s_cbranch_scc1 .LBB505_2015
; %bb.2010:
	s_cmp_gt_i32 s15, 9
	s_cbranch_scc0 .LBB505_2012
; %bb.2011:
	v_cvt_f64_f32_e32 v[6:7], v10
	v_cvt_f64_f32_e32 v[8:9], v11
	global_store_dwordx4 v[4:5], v[6:9], off
	s_mov_b64 s[0:1], 0
.LBB505_2012:
	s_andn2_b64 vcc, exec, s[0:1]
	s_cbranch_vccnz .LBB505_2014
; %bb.2013:
	global_store_dwordx2 v[4:5], v[10:11], off
.LBB505_2014:
	s_mov_b64 s[0:1], 0
.LBB505_2015:
	s_andn2_b64 vcc, exec, s[0:1]
	s_cbranch_vccnz .LBB505_2017
; %bb.2016:
	v_cvt_f16_f32_e32 v1, v10
	v_cvt_f16_f32_sdwa v3, v11 dst_sel:WORD_1 dst_unused:UNUSED_PAD src0_sel:DWORD
	s_nop 0
	v_or_b32_e32 v1, v3, v1
	global_store_dword v[4:5], v1, off
.LBB505_2017:
	s_mov_b64 s[0:1], 0
.LBB505_2018:
	s_andn2_b64 vcc, exec, s[0:1]
	s_cbranch_vccnz .LBB505_2027
; %bb.2019:
	s_cmp_lt_i32 s15, 6
	s_mov_b64 s[0:1], -1
	s_cbranch_scc1 .LBB505_2025
; %bb.2020:
	s_cmp_gt_i32 s15, 6
	s_cbranch_scc0 .LBB505_2022
; %bb.2021:
	v_cvt_f64_f32_e32 v[6:7], v10
	global_store_dwordx2 v[4:5], v[6:7], off
	s_mov_b64 s[0:1], 0
.LBB505_2022:
	s_andn2_b64 vcc, exec, s[0:1]
	s_cbranch_vccnz .LBB505_2024
; %bb.2023:
	global_store_dword v[4:5], v10, off
.LBB505_2024:
	s_mov_b64 s[0:1], 0
.LBB505_2025:
	s_andn2_b64 vcc, exec, s[0:1]
	s_cbranch_vccnz .LBB505_2027
; %bb.2026:
	v_cvt_f16_f32_e32 v1, v10
	global_store_short v[4:5], v1, off
.LBB505_2027:
	s_mov_b64 s[0:1], 0
.LBB505_2028:
	s_andn2_b64 vcc, exec, s[0:1]
	s_cbranch_vccnz .LBB505_2044
; %bb.2029:
	s_cmp_lt_i32 s15, 2
	s_mov_b64 s[0:1], -1
	s_cbranch_scc1 .LBB505_2039
; %bb.2030:
	s_cmp_lt_i32 s15, 3
	s_cbranch_scc1 .LBB505_2036
; %bb.2031:
	s_cmp_gt_i32 s15, 3
	s_cbranch_scc0 .LBB505_2033
; %bb.2032:
	v_trunc_f32_e32 v1, v10
	s_mov_b32 s0, 0x2f800000
	v_mul_f32_e64 v3, |v1|, s0
	v_floor_f32_e32 v3, v3
	s_mov_b32 s0, 0xcf800000
	v_cvt_u32_f32_e32 v6, v3
	v_fma_f32 v3, v3, s0, |v1|
	v_cvt_u32_f32_e32 v3, v3
	v_ashrrev_i32_e32 v1, 31, v1
	v_xor_b32_e32 v7, v6, v1
	s_mov_b64 s[0:1], 0
	v_xor_b32_e32 v3, v3, v1
	v_sub_co_u32_e32 v6, vcc, v3, v1
	s_nop 1
	v_subb_co_u32_e32 v7, vcc, v7, v1, vcc
	global_store_dwordx2 v[4:5], v[6:7], off
.LBB505_2033:
	s_andn2_b64 vcc, exec, s[0:1]
	s_cbranch_vccnz .LBB505_2035
; %bb.2034:
	v_cvt_i32_f32_e32 v1, v10
	global_store_dword v[4:5], v1, off
.LBB505_2035:
	s_mov_b64 s[0:1], 0
.LBB505_2036:
	s_andn2_b64 vcc, exec, s[0:1]
	s_cbranch_vccnz .LBB505_2038
; %bb.2037:
	v_cvt_i32_f32_e32 v1, v10
	global_store_short v[4:5], v1, off
.LBB505_2038:
	s_mov_b64 s[0:1], 0
.LBB505_2039:
	s_andn2_b64 vcc, exec, s[0:1]
	s_cbranch_vccnz .LBB505_2044
; %bb.2040:
	s_cmp_gt_i32 s15, 0
	s_mov_b64 s[0:1], -1
	s_cbranch_scc0 .LBB505_2042
; %bb.2041:
	v_cvt_i32_f32_e32 v1, v10
	s_mov_b64 s[0:1], 0
	global_store_byte v[4:5], v1, off
.LBB505_2042:
	s_andn2_b64 vcc, exec, s[0:1]
	s_cbranch_vccnz .LBB505_2044
; %bb.2043:
	v_trunc_f32_e32 v1, v10
	s_mov_b32 s0, 0x2f800000
	v_mul_f32_e64 v3, |v1|, s0
	v_floor_f32_e32 v3, v3
	s_mov_b32 s0, 0xcf800000
	v_fma_f32 v3, v3, s0, |v1|
	v_cvt_u32_f32_e32 v3, v3
	v_ashrrev_i32_e32 v1, 31, v1
	v_xor_b32_e32 v3, v3, v1
	v_sub_u32_e32 v1, v3, v1
	global_store_byte v[4:5], v1, off
.LBB505_2044:
	s_mov_b64 s[6:7], -1
.LBB505_2045:
	s_andn2_b64 vcc, exec, s[6:7]
	s_cbranch_vccnz .LBB505_2241
; %bb.2046:
	v_mov_b32_e32 v3, 0
	s_cmp_lt_i32 s15, 11
	v_lshl_add_u64 v[2:3], s[4:5], 0, v[2:3]
	s_cbranch_scc1 .LBB505_2124
; %bb.2047:
	s_mov_b64 s[10:11], -1
	s_mov_b64 s[2:3], 0
	s_cmp_gt_i32 s15, 25
	s_mov_b64 s[6:7], 0
	s_mov_b64 s[0:1], 0
	s_cbranch_scc0 .LBB505_2080
; %bb.2048:
	s_cmp_gt_i32 s15, 28
	s_cbranch_scc0 .LBB505_2063
; %bb.2049:
	s_cmp_gt_i32 s15, 43
	;; [unrolled: 3-line block ×3, first 2 shown]
	s_cbranch_scc0 .LBB505_2053
; %bb.2051:
	s_mov_b64 s[0:1], -1
	s_mov_b64 s[10:11], 0
	s_cmp_eq_u32 s15, 46
	s_cbranch_scc0 .LBB505_2053
; %bb.2052:
	s_movk_i32 s0, 0x7fff
	v_bfe_u32 v4, v15, 16, 1
	v_add3_u32 v4, v15, v4, s0
	v_bfe_u32 v1, v14, 16, 1
	v_and_b32_e32 v4, 0xffff0000, v4
	v_mov_b32_e32 v5, 0x7fc00000
	v_cmp_o_f32_e32 vcc, v15, v15
	v_add3_u32 v1, v14, v1, s0
	s_mov_b64 s[0:1], 0
	v_cndmask_b32_e32 v4, v5, v4, vcc
	v_cmp_o_f32_e32 vcc, v14, v14
	v_mov_b32_e32 v5, 0x7fc0
	s_mov_b64 s[6:7], -1
	v_cndmask_b32_sdwa v1, v5, v1, vcc dst_sel:DWORD dst_unused:UNUSED_PAD src0_sel:DWORD src1_sel:WORD_1
	v_or_b32_e32 v1, v4, v1
	global_store_dword v[2:3], v1, off
.LBB505_2053:
	s_and_b64 vcc, exec, s[10:11]
	s_cbranch_vccz .LBB505_2058
; %bb.2054:
	s_cmp_eq_u32 s15, 44
	s_mov_b64 s[0:1], -1
	s_cbranch_scc0 .LBB505_2058
; %bb.2055:
	v_bfe_u32 v1, v14, 23, 8
	s_movk_i32 s0, 0xff
	v_cmp_ne_u32_e32 vcc, s0, v1
	v_mov_b32_e32 v4, 0xff
	s_and_saveexec_b64 s[6:7], vcc
; %bb.2056:
	s_mov_b32 s0, 0x3fffff
	v_and_b32_e32 v5, 0x400000, v14
	v_and_or_b32 v1, v14, s0, v1
	v_cmp_ne_u32_e32 vcc, 0, v5
	v_cmp_ne_u32_e64 s[0:1], 0, v1
	s_and_b64 s[0:1], vcc, s[0:1]
	v_lshrrev_b32_e32 v4, 23, v14
	v_cndmask_b32_e64 v1, 0, 1, s[0:1]
	v_add_u32_e32 v4, v4, v1
; %bb.2057:
	s_or_b64 exec, exec, s[6:7]
	s_mov_b64 s[0:1], 0
	s_mov_b64 s[6:7], -1
	global_store_byte v[2:3], v4, off
.LBB505_2058:
	s_mov_b64 s[10:11], 0
.LBB505_2059:
	s_and_b64 vcc, exec, s[10:11]
	s_cbranch_vccz .LBB505_2062
; %bb.2060:
	s_cmp_eq_u32 s15, 29
	s_mov_b64 s[0:1], -1
	s_cbranch_scc0 .LBB505_2062
; %bb.2061:
	v_trunc_f32_e32 v1, v14
	v_mul_f32_e32 v4, 0x2f800000, v1
	v_floor_f32_e32 v4, v4
	v_fmamk_f32 v1, v4, 0xcf800000, v1
	v_cvt_u32_f32_e32 v5, v4
	v_cvt_u32_f32_e32 v4, v1
	s_mov_b64 s[0:1], 0
	s_mov_b64 s[6:7], -1
	global_store_dwordx2 v[2:3], v[4:5], off
.LBB505_2062:
	s_mov_b64 s[10:11], 0
.LBB505_2063:
	s_and_b64 vcc, exec, s[10:11]
	s_cbranch_vccz .LBB505_2079
; %bb.2064:
	s_cmp_lt_i32 s15, 27
	s_mov_b64 s[6:7], -1
	s_cbranch_scc1 .LBB505_2070
; %bb.2065:
	v_cvt_u32_f32_e32 v1, v14
	s_cmp_gt_i32 s15, 27
	s_cbranch_scc0 .LBB505_2067
; %bb.2066:
	s_mov_b64 s[6:7], 0
	global_store_dword v[2:3], v1, off
.LBB505_2067:
	s_andn2_b64 vcc, exec, s[6:7]
	s_cbranch_vccnz .LBB505_2069
; %bb.2068:
	global_store_short v[2:3], v1, off
.LBB505_2069:
	s_mov_b64 s[6:7], 0
.LBB505_2070:
	s_andn2_b64 vcc, exec, s[6:7]
	s_cbranch_vccnz .LBB505_2078
; %bb.2071:
	v_and_b32_e32 v1, 0x7fffffff, v14
	s_mov_b32 s6, 0x43800000
	v_cmp_gt_u32_e32 vcc, s6, v1
	v_mov_b32_e32 v4, 0x80
	s_and_saveexec_b64 s[6:7], vcc
	s_cbranch_execz .LBB505_2077
; %bb.2072:
	s_mov_b32 s10, 0x3bffffff
	v_cmp_lt_u32_e32 vcc, s10, v1
	s_mov_b64 s[10:11], 0
                                        ; implicit-def: $vgpr1
	s_and_saveexec_b64 s[12:13], vcc
	s_xor_b64 s[12:13], exec, s[12:13]
	s_cbranch_execz .LBB505_2253
; %bb.2073:
	v_bfe_u32 v1, v14, 20, 1
	s_mov_b32 s16, 0x487ffff
	v_add3_u32 v1, v14, v1, s16
	s_mov_b64 s[10:11], exec
	v_lshrrev_b32_e32 v1, 20, v1
	s_andn2_saveexec_b64 s[12:13], s[12:13]
	s_cbranch_execnz .LBB505_2254
.LBB505_2074:
	s_or_b64 exec, exec, s[12:13]
	v_mov_b32_e32 v4, 0
	s_and_saveexec_b64 s[12:13], s[10:11]
.LBB505_2075:
	v_lshrrev_b32_e32 v4, 24, v14
	s_movk_i32 s10, 0x80
	v_and_or_b32 v4, v4, s10, v1
.LBB505_2076:
	s_or_b64 exec, exec, s[12:13]
.LBB505_2077:
	s_or_b64 exec, exec, s[6:7]
	global_store_byte v[2:3], v4, off
.LBB505_2078:
	s_mov_b64 s[6:7], -1
.LBB505_2079:
	s_mov_b64 s[10:11], 0
.LBB505_2080:
	s_and_b64 vcc, exec, s[10:11]
	s_cbranch_vccz .LBB505_2120
; %bb.2081:
	s_cmp_gt_i32 s15, 22
	s_mov_b64 s[2:3], -1
	s_cbranch_scc0 .LBB505_2113
; %bb.2082:
	s_cmp_lt_i32 s15, 24
	s_cbranch_scc1 .LBB505_2102
; %bb.2083:
	s_cmp_gt_i32 s15, 24
	s_cbranch_scc0 .LBB505_2091
; %bb.2084:
	v_and_b32_e32 v1, 0x7fffffff, v14
	s_mov_b32 s2, 0x47800000
	v_cmp_gt_u32_e32 vcc, s2, v1
	v_mov_b32_e32 v4, 0x80
	s_and_saveexec_b64 s[2:3], vcc
	s_cbranch_execz .LBB505_2090
; %bb.2085:
	s_mov_b32 s6, 0x37ffffff
	v_cmp_lt_u32_e32 vcc, s6, v1
	s_mov_b64 s[6:7], 0
                                        ; implicit-def: $vgpr1
	s_and_saveexec_b64 s[10:11], vcc
	s_xor_b64 s[10:11], exec, s[10:11]
	s_cbranch_execz .LBB505_2256
; %bb.2086:
	v_bfe_u32 v1, v14, 21, 1
	s_mov_b32 s12, 0x88fffff
	v_add3_u32 v1, v14, v1, s12
	s_mov_b64 s[6:7], exec
	v_lshrrev_b32_e32 v1, 21, v1
	s_andn2_saveexec_b64 s[10:11], s[10:11]
	s_cbranch_execnz .LBB505_2257
.LBB505_2087:
	s_or_b64 exec, exec, s[10:11]
	v_mov_b32_e32 v4, 0
	s_and_saveexec_b64 s[10:11], s[6:7]
.LBB505_2088:
	v_lshrrev_b32_e32 v4, 24, v14
	s_movk_i32 s6, 0x80
	v_and_or_b32 v4, v4, s6, v1
.LBB505_2089:
	s_or_b64 exec, exec, s[10:11]
.LBB505_2090:
	s_or_b64 exec, exec, s[2:3]
	s_mov_b64 s[2:3], 0
	global_store_byte v[2:3], v4, off
.LBB505_2091:
	s_and_b64 vcc, exec, s[2:3]
	s_cbranch_vccz .LBB505_2101
; %bb.2092:
	v_and_b32_e32 v4, 0x7fffffff, v14
	s_mov_b32 s2, 0x43f00000
	v_cmp_gt_u32_e32 vcc, s2, v4
                                        ; implicit-def: $vgpr1
	s_and_saveexec_b64 s[2:3], vcc
	s_xor_b64 s[2:3], exec, s[2:3]
	s_cbranch_execz .LBB505_2098
; %bb.2093:
	s_mov_b32 s6, 0x3c7fffff
	v_cmp_lt_u32_e32 vcc, s6, v4
                                        ; implicit-def: $vgpr1
	s_and_saveexec_b64 s[6:7], vcc
	s_xor_b64 s[6:7], exec, s[6:7]
; %bb.2094:
	v_bfe_u32 v1, v14, 20, 1
	s_mov_b32 s10, 0x407ffff
	v_add3_u32 v1, v14, v1, s10
	v_lshrrev_b32_e32 v4, 20, v1
	v_and_b32_e32 v1, 0xff00000, v1
	s_mov_b32 s10, 0x7f00000
	v_mov_b32_e32 v5, 0x7e
	v_cmp_ne_u32_e32 vcc, s10, v1
	s_nop 1
	v_cndmask_b32_e32 v1, v5, v4, vcc
; %bb.2095:
	s_andn2_saveexec_b64 s[6:7], s[6:7]
; %bb.2096:
	s_mov_b32 s10, 0x46800000
	v_add_f32_e64 v1, |v14|, s10
; %bb.2097:
	s_or_b64 exec, exec, s[6:7]
                                        ; implicit-def: $vgpr4
.LBB505_2098:
	s_andn2_saveexec_b64 s[2:3], s[2:3]
; %bb.2099:
	s_mov_b32 s6, 0x7f800000
	v_mov_b32_e32 v1, 0x7e
	v_mov_b32_e32 v5, 0x7f
	v_cmp_lt_u32_e32 vcc, s6, v4
	s_nop 1
	v_cndmask_b32_e32 v1, v1, v5, vcc
; %bb.2100:
	s_or_b64 exec, exec, s[2:3]
	v_lshrrev_b32_e32 v4, 24, v14
	s_movk_i32 s2, 0x80
	v_and_or_b32 v1, v4, s2, v1
	global_store_byte v[2:3], v1, off
.LBB505_2101:
	s_mov_b64 s[2:3], 0
.LBB505_2102:
	s_andn2_b64 vcc, exec, s[2:3]
	s_cbranch_vccnz .LBB505_2112
; %bb.2103:
	v_and_b32_e32 v4, 0x7fffffff, v14
	s_mov_b32 s2, 0x47800000
	v_cmp_gt_u32_e32 vcc, s2, v4
                                        ; implicit-def: $vgpr1
	s_and_saveexec_b64 s[2:3], vcc
	s_xor_b64 s[2:3], exec, s[2:3]
	s_cbranch_execz .LBB505_2109
; %bb.2104:
	s_mov_b32 s6, 0x387fffff
	v_cmp_lt_u32_e32 vcc, s6, v4
                                        ; implicit-def: $vgpr1
	s_and_saveexec_b64 s[6:7], vcc
	s_xor_b64 s[6:7], exec, s[6:7]
; %bb.2105:
	v_bfe_u32 v1, v14, 21, 1
	s_mov_b32 s10, 0x80fffff
	v_add3_u32 v1, v14, v1, s10
	v_lshrrev_b32_e32 v1, 21, v1
; %bb.2106:
	s_andn2_saveexec_b64 s[6:7], s[6:7]
; %bb.2107:
	s_mov_b32 s10, 0x43000000
	v_add_f32_e64 v1, |v14|, s10
; %bb.2108:
	s_or_b64 exec, exec, s[6:7]
                                        ; implicit-def: $vgpr4
.LBB505_2109:
	s_andn2_saveexec_b64 s[2:3], s[2:3]
; %bb.2110:
	s_mov_b32 s6, 0x7f800000
	v_mov_b32_e32 v1, 0x7c
	v_mov_b32_e32 v5, 0x7f
	v_cmp_lt_u32_e32 vcc, s6, v4
	s_nop 1
	v_cndmask_b32_e32 v1, v1, v5, vcc
; %bb.2111:
	s_or_b64 exec, exec, s[2:3]
	v_lshrrev_b32_e32 v4, 24, v14
	s_movk_i32 s2, 0x80
	v_and_or_b32 v1, v4, s2, v1
	global_store_byte v[2:3], v1, off
.LBB505_2112:
	s_mov_b64 s[2:3], 0
	s_mov_b64 s[6:7], -1
.LBB505_2113:
	s_andn2_b64 vcc, exec, s[2:3]
	s_mov_b64 s[2:3], 0
	s_cbranch_vccnz .LBB505_2120
; %bb.2114:
	s_cmp_gt_i32 s15, 14
	s_mov_b64 s[10:11], -1
	s_cbranch_scc0 .LBB505_2118
; %bb.2115:
	s_cmp_eq_u32 s15, 15
	s_mov_b64 s[0:1], -1
	s_cbranch_scc0 .LBB505_2117
; %bb.2116:
	v_bfe_u32 v1, v14, 16, 1
	s_movk_i32 s0, 0x7fff
	v_add3_u32 v1, v14, v1, s0
	v_cmp_o_f32_e32 vcc, v14, v14
	v_mov_b32_e32 v4, 0x7fc0
	s_mov_b64 s[0:1], 0
	v_cndmask_b32_sdwa v1, v4, v1, vcc dst_sel:DWORD dst_unused:UNUSED_PAD src0_sel:DWORD src1_sel:WORD_1
	global_store_short v[2:3], v1, off
	s_mov_b64 s[6:7], -1
.LBB505_2117:
	s_mov_b64 s[10:11], 0
.LBB505_2118:
	s_and_b64 vcc, exec, s[10:11]
	s_cbranch_vccz .LBB505_2120
; %bb.2119:
	s_cmp_lg_u32 s15, 11
	s_mov_b64 s[2:3], -1
	s_cselect_b64 s[0:1], -1, 0
.LBB505_2120:
	s_and_b64 vcc, exec, s[0:1]
	s_cbranch_vccnz .LBB505_2255
; %bb.2121:
	s_andn2_b64 vcc, exec, s[2:3]
	s_cbranch_vccnz .LBB505_2123
.LBB505_2122:
	v_cmp_neq_f32_e32 vcc, 0, v14
	v_cmp_neq_f32_e64 s[0:1], 0, v15
	s_or_b64 s[0:1], vcc, s[0:1]
	s_mov_b64 s[6:7], -1
	v_cndmask_b32_e64 v1, 0, 1, s[0:1]
	global_store_byte v[2:3], v1, off
.LBB505_2123:
	s_mov_b64 s[0:1], 0
	s_branch .LBB505_2125
.LBB505_2124:
	s_mov_b64 s[0:1], -1
	s_mov_b64 s[6:7], 0
.LBB505_2125:
	s_and_b64 vcc, exec, s[0:1]
	s_cbranch_vccz .LBB505_2164
; %bb.2126:
	s_cmp_lt_i32 s15, 5
	s_mov_b64 s[0:1], -1
	s_cbranch_scc1 .LBB505_2147
; %bb.2127:
	s_cmp_lt_i32 s15, 8
	s_cbranch_scc1 .LBB505_2137
; %bb.2128:
	s_cmp_lt_i32 s15, 9
	s_cbranch_scc1 .LBB505_2134
; %bb.2129:
	s_cmp_gt_i32 s15, 9
	s_cbranch_scc0 .LBB505_2131
; %bb.2130:
	v_cvt_f64_f32_e32 v[4:5], v14
	v_cvt_f64_f32_e32 v[6:7], v15
	global_store_dwordx4 v[2:3], v[4:7], off
	s_mov_b64 s[0:1], 0
.LBB505_2131:
	s_andn2_b64 vcc, exec, s[0:1]
	s_cbranch_vccnz .LBB505_2133
; %bb.2132:
	global_store_dwordx2 v[2:3], v[14:15], off
.LBB505_2133:
	s_mov_b64 s[0:1], 0
.LBB505_2134:
	s_andn2_b64 vcc, exec, s[0:1]
	s_cbranch_vccnz .LBB505_2136
; %bb.2135:
	v_cvt_f16_f32_e32 v1, v14
	v_cvt_f16_f32_sdwa v4, v15 dst_sel:WORD_1 dst_unused:UNUSED_PAD src0_sel:DWORD
	s_nop 0
	v_or_b32_e32 v1, v4, v1
	global_store_dword v[2:3], v1, off
.LBB505_2136:
	s_mov_b64 s[0:1], 0
.LBB505_2137:
	s_andn2_b64 vcc, exec, s[0:1]
	s_cbranch_vccnz .LBB505_2146
; %bb.2138:
	s_cmp_lt_i32 s15, 6
	s_mov_b64 s[0:1], -1
	s_cbranch_scc1 .LBB505_2144
; %bb.2139:
	s_cmp_gt_i32 s15, 6
	s_cbranch_scc0 .LBB505_2141
; %bb.2140:
	v_cvt_f64_f32_e32 v[4:5], v14
	global_store_dwordx2 v[2:3], v[4:5], off
	s_mov_b64 s[0:1], 0
.LBB505_2141:
	s_andn2_b64 vcc, exec, s[0:1]
	s_cbranch_vccnz .LBB505_2143
; %bb.2142:
	global_store_dword v[2:3], v14, off
.LBB505_2143:
	s_mov_b64 s[0:1], 0
.LBB505_2144:
	s_andn2_b64 vcc, exec, s[0:1]
	s_cbranch_vccnz .LBB505_2146
; %bb.2145:
	v_cvt_f16_f32_e32 v1, v14
	global_store_short v[2:3], v1, off
.LBB505_2146:
	s_mov_b64 s[0:1], 0
.LBB505_2147:
	s_andn2_b64 vcc, exec, s[0:1]
	s_cbranch_vccnz .LBB505_2163
; %bb.2148:
	s_cmp_lt_i32 s15, 2
	s_mov_b64 s[0:1], -1
	s_cbranch_scc1 .LBB505_2158
; %bb.2149:
	s_cmp_lt_i32 s15, 3
	s_cbranch_scc1 .LBB505_2155
; %bb.2150:
	s_cmp_gt_i32 s15, 3
	s_cbranch_scc0 .LBB505_2152
; %bb.2151:
	v_trunc_f32_e32 v1, v14
	s_mov_b32 s0, 0x2f800000
	v_mul_f32_e64 v4, |v1|, s0
	v_floor_f32_e32 v4, v4
	s_mov_b32 s0, 0xcf800000
	v_cvt_u32_f32_e32 v5, v4
	v_fma_f32 v4, v4, s0, |v1|
	v_cvt_u32_f32_e32 v4, v4
	v_ashrrev_i32_e32 v1, 31, v1
	v_xor_b32_e32 v5, v5, v1
	s_mov_b64 s[0:1], 0
	v_xor_b32_e32 v4, v4, v1
	v_sub_co_u32_e32 v4, vcc, v4, v1
	s_nop 1
	v_subb_co_u32_e32 v5, vcc, v5, v1, vcc
	global_store_dwordx2 v[2:3], v[4:5], off
.LBB505_2152:
	s_andn2_b64 vcc, exec, s[0:1]
	s_cbranch_vccnz .LBB505_2154
; %bb.2153:
	v_cvt_i32_f32_e32 v1, v14
	global_store_dword v[2:3], v1, off
.LBB505_2154:
	s_mov_b64 s[0:1], 0
.LBB505_2155:
	s_andn2_b64 vcc, exec, s[0:1]
	s_cbranch_vccnz .LBB505_2157
; %bb.2156:
	v_cvt_i32_f32_e32 v1, v14
	global_store_short v[2:3], v1, off
.LBB505_2157:
	s_mov_b64 s[0:1], 0
.LBB505_2158:
	s_andn2_b64 vcc, exec, s[0:1]
	s_cbranch_vccnz .LBB505_2163
; %bb.2159:
	s_cmp_gt_i32 s15, 0
	s_mov_b64 s[0:1], -1
	s_cbranch_scc0 .LBB505_2161
; %bb.2160:
	v_cvt_i32_f32_e32 v1, v14
	s_mov_b64 s[0:1], 0
	global_store_byte v[2:3], v1, off
.LBB505_2161:
	s_andn2_b64 vcc, exec, s[0:1]
	s_cbranch_vccnz .LBB505_2163
; %bb.2162:
	v_trunc_f32_e32 v1, v14
	s_mov_b32 s0, 0x2f800000
	v_mul_f32_e64 v4, |v1|, s0
	v_floor_f32_e32 v4, v4
	s_mov_b32 s0, 0xcf800000
	v_fma_f32 v4, v4, s0, |v1|
	v_cvt_u32_f32_e32 v4, v4
	v_ashrrev_i32_e32 v1, 31, v1
	v_xor_b32_e32 v4, v4, v1
	v_sub_u32_e32 v1, v4, v1
	global_store_byte v[2:3], v1, off
.LBB505_2163:
	s_mov_b64 s[6:7], -1
.LBB505_2164:
	s_andn2_b64 vcc, exec, s[6:7]
	s_cbranch_vccnz .LBB505_2241
; %bb.2165:
	v_mov_b32_e32 v1, 0
	s_cmp_lt_i32 s15, 11
	v_lshl_add_u64 v[0:1], s[4:5], 0, v[0:1]
	s_cbranch_scc1 .LBB505_2242
; %bb.2166:
	s_mov_b64 s[4:5], -1
	s_mov_b64 s[2:3], 0
	s_cmp_gt_i32 s15, 25
	s_mov_b64 s[0:1], 0
	s_cbranch_scc0 .LBB505_2199
; %bb.2167:
	s_cmp_gt_i32 s15, 28
	s_cbranch_scc0 .LBB505_2183
; %bb.2168:
	s_cmp_gt_i32 s15, 43
	;; [unrolled: 3-line block ×3, first 2 shown]
	s_cbranch_scc0 .LBB505_2173
; %bb.2170:
	s_cmp_eq_u32 s15, 46
	s_mov_b64 s[0:1], -1
	s_cbranch_scc0 .LBB505_2172
; %bb.2171:
	s_movk_i32 s0, 0x7fff
	v_bfe_u32 v3, v13, 16, 1
	v_add3_u32 v3, v13, v3, s0
	v_bfe_u32 v2, v12, 16, 1
	v_and_b32_e32 v3, 0xffff0000, v3
	v_mov_b32_e32 v4, 0x7fc00000
	v_cmp_o_f32_e32 vcc, v13, v13
	v_add3_u32 v2, v12, v2, s0
	s_mov_b64 s[0:1], 0
	v_cndmask_b32_e32 v3, v4, v3, vcc
	v_cmp_o_f32_e32 vcc, v12, v12
	v_mov_b32_e32 v4, 0x7fc0
	s_nop 0
	v_cndmask_b32_sdwa v2, v4, v2, vcc dst_sel:DWORD dst_unused:UNUSED_PAD src0_sel:DWORD src1_sel:WORD_1
	v_or_b32_e32 v2, v3, v2
	global_store_dword v[0:1], v2, off
.LBB505_2172:
	s_mov_b64 s[4:5], 0
.LBB505_2173:
	s_and_b64 vcc, exec, s[4:5]
	s_cbranch_vccz .LBB505_2178
; %bb.2174:
	s_cmp_eq_u32 s15, 44
	s_mov_b64 s[0:1], -1
	s_cbranch_scc0 .LBB505_2178
; %bb.2175:
	v_bfe_u32 v2, v12, 23, 8
	s_movk_i32 s0, 0xff
	v_cmp_ne_u32_e32 vcc, s0, v2
	v_mov_b32_e32 v3, 0xff
	s_and_saveexec_b64 s[4:5], vcc
; %bb.2176:
	s_mov_b32 s0, 0x3fffff
	v_and_b32_e32 v4, 0x400000, v12
	v_and_or_b32 v2, v12, s0, v2
	v_cmp_ne_u32_e32 vcc, 0, v4
	v_cmp_ne_u32_e64 s[0:1], 0, v2
	s_and_b64 s[0:1], vcc, s[0:1]
	v_lshrrev_b32_e32 v3, 23, v12
	v_cndmask_b32_e64 v2, 0, 1, s[0:1]
	v_add_u32_e32 v3, v3, v2
; %bb.2177:
	s_or_b64 exec, exec, s[4:5]
	s_mov_b64 s[0:1], 0
	global_store_byte v[0:1], v3, off
.LBB505_2178:
	s_mov_b64 s[4:5], 0
.LBB505_2179:
	s_and_b64 vcc, exec, s[4:5]
	s_cbranch_vccz .LBB505_2182
; %bb.2180:
	s_cmp_eq_u32 s15, 29
	s_mov_b64 s[0:1], -1
	s_cbranch_scc0 .LBB505_2182
; %bb.2181:
	v_trunc_f32_e32 v2, v12
	v_mul_f32_e32 v3, 0x2f800000, v2
	v_floor_f32_e32 v4, v3
	v_fmamk_f32 v2, v4, 0xcf800000, v2
	v_cvt_u32_f32_e32 v3, v4
	v_cvt_u32_f32_e32 v2, v2
	s_mov_b64 s[0:1], 0
	global_store_dwordx2 v[0:1], v[2:3], off
.LBB505_2182:
	s_mov_b64 s[4:5], 0
.LBB505_2183:
	s_and_b64 vcc, exec, s[4:5]
	s_cbranch_vccz .LBB505_2198
; %bb.2184:
	s_cmp_lt_i32 s15, 27
	s_mov_b64 s[4:5], -1
	s_cbranch_scc1 .LBB505_2190
; %bb.2185:
	s_cmp_gt_i32 s15, 27
	s_cbranch_scc0 .LBB505_2187
; %bb.2186:
	v_cvt_u32_f32_e32 v2, v12
	s_mov_b64 s[4:5], 0
	global_store_dword v[0:1], v2, off
.LBB505_2187:
	s_andn2_b64 vcc, exec, s[4:5]
	s_cbranch_vccnz .LBB505_2189
; %bb.2188:
	v_cvt_u32_f32_e32 v2, v12
	global_store_short v[0:1], v2, off
.LBB505_2189:
	s_mov_b64 s[4:5], 0
.LBB505_2190:
	s_andn2_b64 vcc, exec, s[4:5]
	s_cbranch_vccnz .LBB505_2198
; %bb.2191:
	v_and_b32_e32 v2, 0x7fffffff, v12
	s_mov_b32 s4, 0x43800000
	v_cmp_gt_u32_e32 vcc, s4, v2
	v_mov_b32_e32 v3, 0x80
	s_and_saveexec_b64 s[4:5], vcc
	s_cbranch_execz .LBB505_2197
; %bb.2192:
	s_mov_b32 s6, 0x3bffffff
	v_cmp_lt_u32_e32 vcc, s6, v2
	s_mov_b64 s[6:7], 0
                                        ; implicit-def: $vgpr2
	s_and_saveexec_b64 s[10:11], vcc
	s_xor_b64 s[10:11], exec, s[10:11]
	s_cbranch_execz .LBB505_2258
; %bb.2193:
	v_bfe_u32 v2, v12, 20, 1
	s_mov_b32 s12, 0x487ffff
	v_add3_u32 v2, v12, v2, s12
	s_mov_b64 s[6:7], exec
	v_lshrrev_b32_e32 v2, 20, v2
	s_andn2_saveexec_b64 s[10:11], s[10:11]
	s_cbranch_execnz .LBB505_2259
.LBB505_2194:
	s_or_b64 exec, exec, s[10:11]
	v_mov_b32_e32 v3, 0
	s_and_saveexec_b64 s[10:11], s[6:7]
.LBB505_2195:
	v_lshrrev_b32_e32 v3, 24, v12
	s_movk_i32 s6, 0x80
	v_and_or_b32 v3, v3, s6, v2
.LBB505_2196:
	s_or_b64 exec, exec, s[10:11]
.LBB505_2197:
	s_or_b64 exec, exec, s[4:5]
	global_store_byte v[0:1], v3, off
.LBB505_2198:
	s_mov_b64 s[4:5], 0
.LBB505_2199:
	s_and_b64 vcc, exec, s[4:5]
	s_cbranch_vccz .LBB505_2239
; %bb.2200:
	s_cmp_gt_i32 s15, 22
	s_mov_b64 s[2:3], -1
	s_cbranch_scc0 .LBB505_2232
; %bb.2201:
	s_cmp_lt_i32 s15, 24
	s_cbranch_scc1 .LBB505_2221
; %bb.2202:
	s_cmp_gt_i32 s15, 24
	s_cbranch_scc0 .LBB505_2210
; %bb.2203:
	v_and_b32_e32 v2, 0x7fffffff, v12
	s_mov_b32 s2, 0x47800000
	v_cmp_gt_u32_e32 vcc, s2, v2
	v_mov_b32_e32 v3, 0x80
	s_and_saveexec_b64 s[2:3], vcc
	s_cbranch_execz .LBB505_2209
; %bb.2204:
	s_mov_b32 s4, 0x37ffffff
	v_cmp_lt_u32_e32 vcc, s4, v2
	s_mov_b64 s[4:5], 0
                                        ; implicit-def: $vgpr2
	s_and_saveexec_b64 s[6:7], vcc
	s_xor_b64 s[6:7], exec, s[6:7]
	s_cbranch_execz .LBB505_2261
; %bb.2205:
	v_bfe_u32 v2, v12, 21, 1
	s_mov_b32 s10, 0x88fffff
	v_add3_u32 v2, v12, v2, s10
	s_mov_b64 s[4:5], exec
	v_lshrrev_b32_e32 v2, 21, v2
	s_andn2_saveexec_b64 s[6:7], s[6:7]
	s_cbranch_execnz .LBB505_2262
.LBB505_2206:
	s_or_b64 exec, exec, s[6:7]
	v_mov_b32_e32 v3, 0
	s_and_saveexec_b64 s[6:7], s[4:5]
.LBB505_2207:
	v_lshrrev_b32_e32 v3, 24, v12
	s_movk_i32 s4, 0x80
	v_and_or_b32 v3, v3, s4, v2
.LBB505_2208:
	s_or_b64 exec, exec, s[6:7]
.LBB505_2209:
	s_or_b64 exec, exec, s[2:3]
	s_mov_b64 s[2:3], 0
	global_store_byte v[0:1], v3, off
.LBB505_2210:
	s_and_b64 vcc, exec, s[2:3]
	s_cbranch_vccz .LBB505_2220
; %bb.2211:
	v_and_b32_e32 v3, 0x7fffffff, v12
	s_mov_b32 s2, 0x43f00000
	v_cmp_gt_u32_e32 vcc, s2, v3
                                        ; implicit-def: $vgpr2
	s_and_saveexec_b64 s[2:3], vcc
	s_xor_b64 s[2:3], exec, s[2:3]
	s_cbranch_execz .LBB505_2217
; %bb.2212:
	s_mov_b32 s4, 0x3c7fffff
	v_cmp_lt_u32_e32 vcc, s4, v3
                                        ; implicit-def: $vgpr2
	s_and_saveexec_b64 s[4:5], vcc
	s_xor_b64 s[4:5], exec, s[4:5]
; %bb.2213:
	v_bfe_u32 v2, v12, 20, 1
	s_mov_b32 s6, 0x407ffff
	v_add3_u32 v2, v12, v2, s6
	v_lshrrev_b32_e32 v3, 20, v2
	v_and_b32_e32 v2, 0xff00000, v2
	s_mov_b32 s6, 0x7f00000
	v_mov_b32_e32 v4, 0x7e
	v_cmp_ne_u32_e32 vcc, s6, v2
	s_nop 1
	v_cndmask_b32_e32 v2, v4, v3, vcc
; %bb.2214:
	s_andn2_saveexec_b64 s[4:5], s[4:5]
; %bb.2215:
	s_mov_b32 s6, 0x46800000
	v_add_f32_e64 v2, |v12|, s6
; %bb.2216:
	s_or_b64 exec, exec, s[4:5]
                                        ; implicit-def: $vgpr3
.LBB505_2217:
	s_andn2_saveexec_b64 s[2:3], s[2:3]
; %bb.2218:
	s_mov_b32 s4, 0x7f800000
	v_mov_b32_e32 v2, 0x7e
	v_mov_b32_e32 v4, 0x7f
	v_cmp_lt_u32_e32 vcc, s4, v3
	s_nop 1
	v_cndmask_b32_e32 v2, v2, v4, vcc
; %bb.2219:
	s_or_b64 exec, exec, s[2:3]
	v_lshrrev_b32_e32 v3, 24, v12
	s_movk_i32 s2, 0x80
	v_and_or_b32 v2, v3, s2, v2
	global_store_byte v[0:1], v2, off
.LBB505_2220:
	s_mov_b64 s[2:3], 0
.LBB505_2221:
	s_andn2_b64 vcc, exec, s[2:3]
	s_cbranch_vccnz .LBB505_2231
; %bb.2222:
	v_and_b32_e32 v3, 0x7fffffff, v12
	s_mov_b32 s2, 0x47800000
	v_cmp_gt_u32_e32 vcc, s2, v3
                                        ; implicit-def: $vgpr2
	s_and_saveexec_b64 s[2:3], vcc
	s_xor_b64 s[2:3], exec, s[2:3]
	s_cbranch_execz .LBB505_2228
; %bb.2223:
	s_mov_b32 s4, 0x387fffff
	v_cmp_lt_u32_e32 vcc, s4, v3
                                        ; implicit-def: $vgpr2
	s_and_saveexec_b64 s[4:5], vcc
	s_xor_b64 s[4:5], exec, s[4:5]
; %bb.2224:
	v_bfe_u32 v2, v12, 21, 1
	s_mov_b32 s6, 0x80fffff
	v_add3_u32 v2, v12, v2, s6
	v_lshrrev_b32_e32 v2, 21, v2
; %bb.2225:
	s_andn2_saveexec_b64 s[4:5], s[4:5]
; %bb.2226:
	s_mov_b32 s6, 0x43000000
	v_add_f32_e64 v2, |v12|, s6
; %bb.2227:
	s_or_b64 exec, exec, s[4:5]
                                        ; implicit-def: $vgpr3
.LBB505_2228:
	s_andn2_saveexec_b64 s[2:3], s[2:3]
; %bb.2229:
	s_mov_b32 s4, 0x7f800000
	v_mov_b32_e32 v2, 0x7c
	v_mov_b32_e32 v4, 0x7f
	v_cmp_lt_u32_e32 vcc, s4, v3
	s_nop 1
	v_cndmask_b32_e32 v2, v2, v4, vcc
; %bb.2230:
	s_or_b64 exec, exec, s[2:3]
	v_lshrrev_b32_e32 v3, 24, v12
	s_movk_i32 s2, 0x80
	v_and_or_b32 v2, v3, s2, v2
	global_store_byte v[0:1], v2, off
.LBB505_2231:
	s_mov_b64 s[2:3], 0
.LBB505_2232:
	s_andn2_b64 vcc, exec, s[2:3]
	s_mov_b64 s[2:3], 0
	s_cbranch_vccnz .LBB505_2239
; %bb.2233:
	s_cmp_gt_i32 s15, 14
	s_mov_b64 s[4:5], -1
	s_cbranch_scc0 .LBB505_2237
; %bb.2234:
	s_cmp_eq_u32 s15, 15
	s_mov_b64 s[0:1], -1
	s_cbranch_scc0 .LBB505_2236
; %bb.2235:
	v_bfe_u32 v2, v12, 16, 1
	s_movk_i32 s0, 0x7fff
	v_add3_u32 v2, v12, v2, s0
	v_cmp_o_f32_e32 vcc, v12, v12
	v_mov_b32_e32 v3, 0x7fc0
	s_mov_b64 s[0:1], 0
	v_cndmask_b32_sdwa v2, v3, v2, vcc dst_sel:DWORD dst_unused:UNUSED_PAD src0_sel:DWORD src1_sel:WORD_1
	global_store_short v[0:1], v2, off
.LBB505_2236:
	s_mov_b64 s[4:5], 0
.LBB505_2237:
	s_and_b64 vcc, exec, s[4:5]
	s_cbranch_vccz .LBB505_2239
; %bb.2238:
	s_cmp_lg_u32 s15, 11
	s_mov_b64 s[2:3], -1
	s_cselect_b64 s[0:1], -1, 0
.LBB505_2239:
	s_and_b64 vcc, exec, s[0:1]
	s_cbranch_vccnz .LBB505_2260
.LBB505_2240:
	s_mov_b64 s[0:1], 0
	s_branch .LBB505_1842
.LBB505_2241:
	s_mov_b64 s[0:1], 0
                                        ; implicit-def: $vgpr0_vgpr1
                                        ; implicit-def: $sgpr14
	s_branch .LBB505_1841
.LBB505_2242:
	s_mov_b64 s[2:3], 0
	s_mov_b64 s[0:1], -1
	s_branch .LBB505_1842
.LBB505_2243:
	s_andn2_saveexec_b64 s[12:13], s[12:13]
	s_cbranch_execz .LBB505_1790
.LBB505_2244:
	s_mov_b32 s16, 0x46000000
	v_add_f32_e64 v1, |v8|, s16
	v_and_b32_e32 v1, 0xff, v1
	v_cmp_ne_u32_e32 vcc, 0, v1
	s_andn2_b64 s[10:11], s[10:11], exec
	s_and_b64 s[16:17], vcc, exec
	s_or_b64 s[10:11], s[10:11], s[16:17]
	s_or_b64 exec, exec, s[12:13]
	v_mov_b32_e32 v3, 0
	s_and_saveexec_b64 s[12:13], s[10:11]
	s_cbranch_execnz .LBB505_1791
	s_branch .LBB505_1792
.LBB505_2245:
	s_trap 2
	s_or_b64 s[8:9], s[8:9], exec
	s_cbranch_execz .LBB505_1838
	s_branch .LBB505_1839
.LBB505_2246:
	s_andn2_saveexec_b64 s[10:11], s[10:11]
	s_cbranch_execz .LBB505_1803
.LBB505_2247:
	s_mov_b32 s12, 0x42800000
	v_add_f32_e64 v1, |v8|, s12
	v_and_b32_e32 v1, 0xff, v1
	v_cmp_ne_u32_e32 vcc, 0, v1
	s_andn2_b64 s[6:7], s[6:7], exec
	s_and_b64 s[12:13], vcc, exec
	s_or_b64 s[6:7], s[6:7], s[12:13]
	s_or_b64 exec, exec, s[10:11]
	v_mov_b32_e32 v3, 0
	s_and_saveexec_b64 s[10:11], s[6:7]
	s_cbranch_execnz .LBB505_1804
	s_branch .LBB505_1805
.LBB505_2248:
	s_andn2_saveexec_b64 s[12:13], s[12:13]
	s_cbranch_execz .LBB505_1955
.LBB505_2249:
	s_mov_b32 s16, 0x46000000
	v_add_f32_e64 v1, |v10|, s16
	v_and_b32_e32 v1, 0xff, v1
	v_cmp_ne_u32_e32 vcc, 0, v1
	s_andn2_b64 s[10:11], s[10:11], exec
	s_and_b64 s[16:17], vcc, exec
	s_or_b64 s[10:11], s[10:11], s[16:17]
	s_or_b64 exec, exec, s[12:13]
	v_mov_b32_e32 v3, 0
	s_and_saveexec_b64 s[12:13], s[10:11]
	s_cbranch_execnz .LBB505_1956
	s_branch .LBB505_1957
.LBB505_2250:
	s_trap 2
	s_or_b64 s[8:9], s[8:9], exec
	s_cbranch_execz .LBB505_2003
	s_branch .LBB505_2004
.LBB505_2251:
	s_andn2_saveexec_b64 s[10:11], s[10:11]
	s_cbranch_execz .LBB505_1968
.LBB505_2252:
	s_mov_b32 s12, 0x42800000
	v_add_f32_e64 v1, |v10|, s12
	v_and_b32_e32 v1, 0xff, v1
	v_cmp_ne_u32_e32 vcc, 0, v1
	s_andn2_b64 s[6:7], s[6:7], exec
	s_and_b64 s[12:13], vcc, exec
	s_or_b64 s[6:7], s[6:7], s[12:13]
	s_or_b64 exec, exec, s[10:11]
	v_mov_b32_e32 v3, 0
	s_and_saveexec_b64 s[10:11], s[6:7]
	s_cbranch_execnz .LBB505_1969
	s_branch .LBB505_1970
.LBB505_2253:
	s_andn2_saveexec_b64 s[12:13], s[12:13]
	s_cbranch_execz .LBB505_2074
.LBB505_2254:
	s_mov_b32 s16, 0x46000000
	v_add_f32_e64 v1, |v14|, s16
	v_and_b32_e32 v1, 0xff, v1
	v_cmp_ne_u32_e32 vcc, 0, v1
	s_andn2_b64 s[10:11], s[10:11], exec
	s_and_b64 s[16:17], vcc, exec
	s_or_b64 s[10:11], s[10:11], s[16:17]
	s_or_b64 exec, exec, s[12:13]
	v_mov_b32_e32 v4, 0
	s_and_saveexec_b64 s[12:13], s[10:11]
	s_cbranch_execnz .LBB505_2075
	s_branch .LBB505_2076
.LBB505_2255:
	s_trap 2
	s_or_b64 s[8:9], s[8:9], exec
	s_cbranch_execz .LBB505_2122
	s_branch .LBB505_2123
.LBB505_2256:
	s_andn2_saveexec_b64 s[10:11], s[10:11]
	s_cbranch_execz .LBB505_2087
.LBB505_2257:
	s_mov_b32 s12, 0x42800000
	v_add_f32_e64 v1, |v14|, s12
	v_and_b32_e32 v1, 0xff, v1
	v_cmp_ne_u32_e32 vcc, 0, v1
	s_andn2_b64 s[6:7], s[6:7], exec
	s_and_b64 s[12:13], vcc, exec
	s_or_b64 s[6:7], s[6:7], s[12:13]
	s_or_b64 exec, exec, s[10:11]
	v_mov_b32_e32 v4, 0
	s_and_saveexec_b64 s[10:11], s[6:7]
	s_cbranch_execnz .LBB505_2088
	s_branch .LBB505_2089
.LBB505_2258:
	s_andn2_saveexec_b64 s[10:11], s[10:11]
	s_cbranch_execz .LBB505_2194
.LBB505_2259:
	s_mov_b32 s12, 0x46000000
	v_add_f32_e64 v2, |v12|, s12
	v_and_b32_e32 v2, 0xff, v2
	v_cmp_ne_u32_e32 vcc, 0, v2
	s_andn2_b64 s[6:7], s[6:7], exec
	s_and_b64 s[12:13], vcc, exec
	s_or_b64 s[6:7], s[6:7], s[12:13]
	s_or_b64 exec, exec, s[10:11]
	v_mov_b32_e32 v3, 0
	s_and_saveexec_b64 s[10:11], s[6:7]
	s_cbranch_execnz .LBB505_2195
	s_branch .LBB505_2196
.LBB505_2260:
	s_mov_b64 s[2:3], 0
	s_or_b64 s[8:9], s[8:9], exec
	s_trap 2
	s_branch .LBB505_2240
.LBB505_2261:
	s_andn2_saveexec_b64 s[6:7], s[6:7]
	s_cbranch_execz .LBB505_2206
.LBB505_2262:
	s_mov_b32 s10, 0x42800000
	v_add_f32_e64 v2, |v12|, s10
	v_and_b32_e32 v2, 0xff, v2
	v_cmp_ne_u32_e32 vcc, 0, v2
	s_andn2_b64 s[4:5], s[4:5], exec
	s_and_b64 s[10:11], vcc, exec
	s_or_b64 s[4:5], s[4:5], s[10:11]
	s_or_b64 exec, exec, s[6:7]
	v_mov_b32_e32 v3, 0
	s_and_saveexec_b64 s[6:7], s[4:5]
	s_cbranch_execnz .LBB505_2207
	s_branch .LBB505_2208
	.section	.rodata,"a",@progbits
	.p2align	6, 0x0
	.amdhsa_kernel _ZN2at6native32elementwise_kernel_manual_unrollILi128ELi4EZNS0_15gpu_kernel_implIZZZNS0_22nan_to_num_kernel_cudaERNS_18TensorIteratorBaseESt8optionalIdES6_S6_ENKUlvE_clEvENKUlvE0_clEvEUlN3c107complexIfEEE_EEvS4_RKT_EUlibE0_EEviT1_
		.amdhsa_group_segment_fixed_size 0
		.amdhsa_private_segment_fixed_size 0
		.amdhsa_kernarg_size 368
		.amdhsa_user_sgpr_count 2
		.amdhsa_user_sgpr_dispatch_ptr 0
		.amdhsa_user_sgpr_queue_ptr 0
		.amdhsa_user_sgpr_kernarg_segment_ptr 1
		.amdhsa_user_sgpr_dispatch_id 0
		.amdhsa_user_sgpr_kernarg_preload_length 0
		.amdhsa_user_sgpr_kernarg_preload_offset 0
		.amdhsa_user_sgpr_private_segment_size 0
		.amdhsa_uses_dynamic_stack 0
		.amdhsa_enable_private_segment 0
		.amdhsa_system_sgpr_workgroup_id_x 1
		.amdhsa_system_sgpr_workgroup_id_y 0
		.amdhsa_system_sgpr_workgroup_id_z 0
		.amdhsa_system_sgpr_workgroup_info 0
		.amdhsa_system_vgpr_workitem_id 0
		.amdhsa_next_free_vgpr 20
		.amdhsa_next_free_sgpr 81
		.amdhsa_accum_offset 20
		.amdhsa_reserve_vcc 1
		.amdhsa_float_round_mode_32 0
		.amdhsa_float_round_mode_16_64 0
		.amdhsa_float_denorm_mode_32 3
		.amdhsa_float_denorm_mode_16_64 3
		.amdhsa_dx10_clamp 1
		.amdhsa_ieee_mode 1
		.amdhsa_fp16_overflow 0
		.amdhsa_tg_split 0
		.amdhsa_exception_fp_ieee_invalid_op 0
		.amdhsa_exception_fp_denorm_src 0
		.amdhsa_exception_fp_ieee_div_zero 0
		.amdhsa_exception_fp_ieee_overflow 0
		.amdhsa_exception_fp_ieee_underflow 0
		.amdhsa_exception_fp_ieee_inexact 0
		.amdhsa_exception_int_div_zero 0
	.end_amdhsa_kernel
	.section	.text._ZN2at6native32elementwise_kernel_manual_unrollILi128ELi4EZNS0_15gpu_kernel_implIZZZNS0_22nan_to_num_kernel_cudaERNS_18TensorIteratorBaseESt8optionalIdES6_S6_ENKUlvE_clEvENKUlvE0_clEvEUlN3c107complexIfEEE_EEvS4_RKT_EUlibE0_EEviT1_,"axG",@progbits,_ZN2at6native32elementwise_kernel_manual_unrollILi128ELi4EZNS0_15gpu_kernel_implIZZZNS0_22nan_to_num_kernel_cudaERNS_18TensorIteratorBaseESt8optionalIdES6_S6_ENKUlvE_clEvENKUlvE0_clEvEUlN3c107complexIfEEE_EEvS4_RKT_EUlibE0_EEviT1_,comdat
.Lfunc_end505:
	.size	_ZN2at6native32elementwise_kernel_manual_unrollILi128ELi4EZNS0_15gpu_kernel_implIZZZNS0_22nan_to_num_kernel_cudaERNS_18TensorIteratorBaseESt8optionalIdES6_S6_ENKUlvE_clEvENKUlvE0_clEvEUlN3c107complexIfEEE_EEvS4_RKT_EUlibE0_EEviT1_, .Lfunc_end505-_ZN2at6native32elementwise_kernel_manual_unrollILi128ELi4EZNS0_15gpu_kernel_implIZZZNS0_22nan_to_num_kernel_cudaERNS_18TensorIteratorBaseESt8optionalIdES6_S6_ENKUlvE_clEvENKUlvE0_clEvEUlN3c107complexIfEEE_EEvS4_RKT_EUlibE0_EEviT1_
                                        ; -- End function
	.set _ZN2at6native32elementwise_kernel_manual_unrollILi128ELi4EZNS0_15gpu_kernel_implIZZZNS0_22nan_to_num_kernel_cudaERNS_18TensorIteratorBaseESt8optionalIdES6_S6_ENKUlvE_clEvENKUlvE0_clEvEUlN3c107complexIfEEE_EEvS4_RKT_EUlibE0_EEviT1_.num_vgpr, 20
	.set _ZN2at6native32elementwise_kernel_manual_unrollILi128ELi4EZNS0_15gpu_kernel_implIZZZNS0_22nan_to_num_kernel_cudaERNS_18TensorIteratorBaseESt8optionalIdES6_S6_ENKUlvE_clEvENKUlvE0_clEvEUlN3c107complexIfEEE_EEvS4_RKT_EUlibE0_EEviT1_.num_agpr, 0
	.set _ZN2at6native32elementwise_kernel_manual_unrollILi128ELi4EZNS0_15gpu_kernel_implIZZZNS0_22nan_to_num_kernel_cudaERNS_18TensorIteratorBaseESt8optionalIdES6_S6_ENKUlvE_clEvENKUlvE0_clEvEUlN3c107complexIfEEE_EEvS4_RKT_EUlibE0_EEviT1_.numbered_sgpr, 81
	.set _ZN2at6native32elementwise_kernel_manual_unrollILi128ELi4EZNS0_15gpu_kernel_implIZZZNS0_22nan_to_num_kernel_cudaERNS_18TensorIteratorBaseESt8optionalIdES6_S6_ENKUlvE_clEvENKUlvE0_clEvEUlN3c107complexIfEEE_EEvS4_RKT_EUlibE0_EEviT1_.num_named_barrier, 0
	.set _ZN2at6native32elementwise_kernel_manual_unrollILi128ELi4EZNS0_15gpu_kernel_implIZZZNS0_22nan_to_num_kernel_cudaERNS_18TensorIteratorBaseESt8optionalIdES6_S6_ENKUlvE_clEvENKUlvE0_clEvEUlN3c107complexIfEEE_EEvS4_RKT_EUlibE0_EEviT1_.private_seg_size, 0
	.set _ZN2at6native32elementwise_kernel_manual_unrollILi128ELi4EZNS0_15gpu_kernel_implIZZZNS0_22nan_to_num_kernel_cudaERNS_18TensorIteratorBaseESt8optionalIdES6_S6_ENKUlvE_clEvENKUlvE0_clEvEUlN3c107complexIfEEE_EEvS4_RKT_EUlibE0_EEviT1_.uses_vcc, 1
	.set _ZN2at6native32elementwise_kernel_manual_unrollILi128ELi4EZNS0_15gpu_kernel_implIZZZNS0_22nan_to_num_kernel_cudaERNS_18TensorIteratorBaseESt8optionalIdES6_S6_ENKUlvE_clEvENKUlvE0_clEvEUlN3c107complexIfEEE_EEvS4_RKT_EUlibE0_EEviT1_.uses_flat_scratch, 0
	.set _ZN2at6native32elementwise_kernel_manual_unrollILi128ELi4EZNS0_15gpu_kernel_implIZZZNS0_22nan_to_num_kernel_cudaERNS_18TensorIteratorBaseESt8optionalIdES6_S6_ENKUlvE_clEvENKUlvE0_clEvEUlN3c107complexIfEEE_EEvS4_RKT_EUlibE0_EEviT1_.has_dyn_sized_stack, 0
	.set _ZN2at6native32elementwise_kernel_manual_unrollILi128ELi4EZNS0_15gpu_kernel_implIZZZNS0_22nan_to_num_kernel_cudaERNS_18TensorIteratorBaseESt8optionalIdES6_S6_ENKUlvE_clEvENKUlvE0_clEvEUlN3c107complexIfEEE_EEvS4_RKT_EUlibE0_EEviT1_.has_recursion, 0
	.set _ZN2at6native32elementwise_kernel_manual_unrollILi128ELi4EZNS0_15gpu_kernel_implIZZZNS0_22nan_to_num_kernel_cudaERNS_18TensorIteratorBaseESt8optionalIdES6_S6_ENKUlvE_clEvENKUlvE0_clEvEUlN3c107complexIfEEE_EEvS4_RKT_EUlibE0_EEviT1_.has_indirect_call, 0
	.section	.AMDGPU.csdata,"",@progbits
; Kernel info:
; codeLenInByte = 39988
; TotalNumSgprs: 87
; NumVgprs: 20
; NumAgprs: 0
; TotalNumVgprs: 20
; ScratchSize: 0
; MemoryBound: 1
; FloatMode: 240
; IeeeMode: 1
; LDSByteSize: 0 bytes/workgroup (compile time only)
; SGPRBlocks: 10
; VGPRBlocks: 2
; NumSGPRsForWavesPerEU: 87
; NumVGPRsForWavesPerEU: 20
; AccumOffset: 20
; Occupancy: 8
; WaveLimiterHint : 1
; COMPUTE_PGM_RSRC2:SCRATCH_EN: 0
; COMPUTE_PGM_RSRC2:USER_SGPR: 2
; COMPUTE_PGM_RSRC2:TRAP_HANDLER: 0
; COMPUTE_PGM_RSRC2:TGID_X_EN: 1
; COMPUTE_PGM_RSRC2:TGID_Y_EN: 0
; COMPUTE_PGM_RSRC2:TGID_Z_EN: 0
; COMPUTE_PGM_RSRC2:TIDIG_COMP_CNT: 0
; COMPUTE_PGM_RSRC3_GFX90A:ACCUM_OFFSET: 4
; COMPUTE_PGM_RSRC3_GFX90A:TG_SPLIT: 0
	.section	.text._ZN2at6native29vectorized_elementwise_kernelILi16EZZZNS0_22nan_to_num_kernel_cudaERNS_18TensorIteratorBaseESt8optionalIdES5_S5_ENKUlvE0_clEvENKUlvE_clEvEUldE_St5arrayIPcLm2EEEEviT0_T1_,"axG",@progbits,_ZN2at6native29vectorized_elementwise_kernelILi16EZZZNS0_22nan_to_num_kernel_cudaERNS_18TensorIteratorBaseESt8optionalIdES5_S5_ENKUlvE0_clEvENKUlvE_clEvEUldE_St5arrayIPcLm2EEEEviT0_T1_,comdat
	.globl	_ZN2at6native29vectorized_elementwise_kernelILi16EZZZNS0_22nan_to_num_kernel_cudaERNS_18TensorIteratorBaseESt8optionalIdES5_S5_ENKUlvE0_clEvENKUlvE_clEvEUldE_St5arrayIPcLm2EEEEviT0_T1_ ; -- Begin function _ZN2at6native29vectorized_elementwise_kernelILi16EZZZNS0_22nan_to_num_kernel_cudaERNS_18TensorIteratorBaseESt8optionalIdES5_S5_ENKUlvE0_clEvENKUlvE_clEvEUldE_St5arrayIPcLm2EEEEviT0_T1_
	.p2align	8
	.type	_ZN2at6native29vectorized_elementwise_kernelILi16EZZZNS0_22nan_to_num_kernel_cudaERNS_18TensorIteratorBaseESt8optionalIdES5_S5_ENKUlvE0_clEvENKUlvE_clEvEUldE_St5arrayIPcLm2EEEEviT0_T1_,@function
_ZN2at6native29vectorized_elementwise_kernelILi16EZZZNS0_22nan_to_num_kernel_cudaERNS_18TensorIteratorBaseESt8optionalIdES5_S5_ENKUlvE0_clEvENKUlvE_clEvEUldE_St5arrayIPcLm2EEEEviT0_T1_: ; @_ZN2at6native29vectorized_elementwise_kernelILi16EZZZNS0_22nan_to_num_kernel_cudaERNS_18TensorIteratorBaseESt8optionalIdES5_S5_ENKUlvE0_clEvENKUlvE_clEvEUldE_St5arrayIPcLm2EEEEviT0_T1_
; %bb.0:
	s_load_dword s3, s[0:1], 0x0
	s_load_dwordx8 s[4:11], s[0:1], 0x8
	s_load_dwordx2 s[12:13], s[0:1], 0x28
	s_lshl_b32 s2, s2, 10
	s_mov_b64 s[0:1], -1
	s_waitcnt lgkmcnt(0)
	s_sub_i32 s18, s3, s2
	s_cmpk_gt_i32 s18, 0x3ff
	s_cbranch_scc0 .LBB506_18
; %bb.1:
	s_ashr_i32 s3, s2, 31
	s_lshl_b64 s[0:1], s[2:3], 3
	s_add_u32 s14, s12, s0
	s_addc_u32 s15, s13, s1
	v_lshlrev_b32_e32 v1, 5, v0
	global_load_dwordx4 v[10:13], v1, s[14:15]
	global_load_dwordx4 v[6:9], v1, s[14:15] offset:16
	v_mov_b64_e32 v[2:3], s[4:5]
	s_waitcnt vmcnt(1)
	v_cmp_o_f64_e32 vcc, v[10:11], v[10:11]
	s_and_saveexec_b64 s[14:15], vcc
	s_cbranch_execz .LBB506_5
; %bb.2:
	s_mov_b32 s16, 0
	s_mov_b32 s17, 0x7ff00000
	v_cmp_neq_f64_e32 vcc, s[16:17], v[10:11]
	v_mov_b64_e32 v[2:3], s[6:7]
	s_and_saveexec_b64 s[16:17], vcc
; %bb.3:
	s_mov_b32 s20, 0
	s_mov_b32 s21, 0xfff00000
	v_mov_b32_e32 v2, s9
	v_cmp_eq_f64_e32 vcc, s[20:21], v[10:11]
	s_nop 1
	v_cndmask_b32_e32 v3, v11, v2, vcc
	v_mov_b32_e32 v2, s8
	v_cndmask_b32_e32 v2, v10, v2, vcc
; %bb.4:
	s_or_b64 exec, exec, s[16:17]
.LBB506_5:
	s_or_b64 exec, exec, s[14:15]
	v_cmp_o_f64_e32 vcc, v[12:13], v[12:13]
	v_mov_b64_e32 v[4:5], s[4:5]
	s_and_saveexec_b64 s[14:15], vcc
	s_cbranch_execz .LBB506_9
; %bb.6:
	s_mov_b32 s16, 0
	s_mov_b32 s17, 0x7ff00000
	v_cmp_neq_f64_e32 vcc, s[16:17], v[12:13]
	v_mov_b64_e32 v[4:5], s[6:7]
	s_and_saveexec_b64 s[16:17], vcc
; %bb.7:
	s_mov_b32 s20, 0
	s_mov_b32 s21, 0xfff00000
	v_mov_b32_e32 v4, s9
	v_cmp_eq_f64_e32 vcc, s[20:21], v[12:13]
	s_nop 1
	v_cndmask_b32_e32 v5, v13, v4, vcc
	v_mov_b32_e32 v4, s8
	v_cndmask_b32_e32 v4, v12, v4, vcc
; %bb.8:
	s_or_b64 exec, exec, s[16:17]
.LBB506_9:
	s_or_b64 exec, exec, s[14:15]
	s_waitcnt vmcnt(0)
	v_cmp_o_f64_e32 vcc, v[6:7], v[6:7]
	v_mov_b64_e32 v[10:11], s[4:5]
	s_and_saveexec_b64 s[14:15], vcc
	s_cbranch_execz .LBB506_13
; %bb.10:
	s_mov_b32 s16, 0
	s_mov_b32 s17, 0x7ff00000
	v_cmp_neq_f64_e32 vcc, s[16:17], v[6:7]
	v_mov_b64_e32 v[10:11], s[6:7]
	s_and_saveexec_b64 s[16:17], vcc
; %bb.11:
	s_mov_b32 s20, 0
	s_mov_b32 s21, 0xfff00000
	v_mov_b32_e32 v10, s9
	v_cmp_eq_f64_e32 vcc, s[20:21], v[6:7]
	s_nop 1
	v_cndmask_b32_e32 v11, v7, v10, vcc
	v_mov_b32_e32 v7, s8
	v_cndmask_b32_e32 v10, v6, v7, vcc
; %bb.12:
	s_or_b64 exec, exec, s[16:17]
.LBB506_13:
	s_or_b64 exec, exec, s[14:15]
	v_cmp_o_f64_e32 vcc, v[8:9], v[8:9]
	v_mov_b64_e32 v[12:13], s[4:5]
	s_and_saveexec_b64 s[14:15], vcc
	s_cbranch_execz .LBB506_17
; %bb.14:
	s_mov_b32 s16, 0
	s_mov_b32 s17, 0x7ff00000
	v_cmp_neq_f64_e32 vcc, s[16:17], v[8:9]
	v_mov_b64_e32 v[12:13], s[6:7]
	s_and_saveexec_b64 s[16:17], vcc
; %bb.15:
	s_mov_b32 s20, 0
	s_mov_b32 s21, 0xfff00000
	v_mov_b32_e32 v6, s9
	v_cmp_eq_f64_e32 vcc, s[20:21], v[8:9]
	s_nop 1
	v_cndmask_b32_e32 v13, v9, v6, vcc
	v_mov_b32_e32 v6, s8
	v_cndmask_b32_e32 v12, v8, v6, vcc
; %bb.16:
	s_or_b64 exec, exec, s[16:17]
.LBB506_17:
	s_or_b64 exec, exec, s[14:15]
	s_add_u32 s0, s10, s0
	s_addc_u32 s1, s11, s1
	global_store_dwordx4 v1, v[2:5], s[0:1]
	global_store_dwordx4 v1, v[10:13], s[0:1] offset:16
	s_mov_b64 s[0:1], 0
.LBB506_18:
	s_and_b64 vcc, exec, s[0:1]
	s_cbranch_vccz .LBB506_51
; %bb.19:
	v_cmp_gt_i32_e32 vcc, s18, v0
	v_mov_b64_e32 v[16:17], 0
	v_or_b32_e32 v2, s2, v0
	v_mov_b64_e32 v[18:19], 0
	v_mov_b32_e32 v1, v0
	s_and_saveexec_b64 s[0:1], vcc
	s_cbranch_execz .LBB506_21
; %bb.20:
	v_mov_b32_e32 v3, 0
	v_lshl_add_u64 v[4:5], v[2:3], 3, s[12:13]
	global_load_dwordx2 v[18:19], v[4:5], off
	v_or_b32_e32 v1, 0x100, v0
.LBB506_21:
	s_or_b64 exec, exec, s[0:1]
	v_cmp_gt_i32_e64 s[0:1], s18, v1
	s_and_saveexec_b64 s[14:15], s[0:1]
	s_cbranch_execz .LBB506_23
; %bb.22:
	v_add_u32_e32 v4, s2, v1
	v_mov_b32_e32 v5, 0
	v_lshl_add_u64 v[4:5], v[4:5], 3, s[12:13]
	global_load_dwordx2 v[16:17], v[4:5], off
	v_add_u32_e32 v1, 0x100, v1
.LBB506_23:
	s_or_b64 exec, exec, s[14:15]
	v_cmp_gt_i32_e64 s[0:1], s18, v1
	v_mov_b64_e32 v[6:7], 0
	v_mov_b64_e32 v[14:15], 0
	s_and_saveexec_b64 s[14:15], s[0:1]
	s_cbranch_execz .LBB506_25
; %bb.24:
	v_add_u32_e32 v4, s2, v1
	v_mov_b32_e32 v5, 0
	v_lshl_add_u64 v[4:5], v[4:5], 3, s[12:13]
	global_load_dwordx2 v[14:15], v[4:5], off
	v_add_u32_e32 v1, 0x100, v1
.LBB506_25:
	s_or_b64 exec, exec, s[14:15]
	v_cmp_gt_i32_e64 s[0:1], s18, v1
	s_and_saveexec_b64 s[14:15], s[0:1]
	s_cbranch_execz .LBB506_27
; %bb.26:
	v_add_u32_e32 v4, s2, v1
	v_mov_b32_e32 v5, 0
	v_lshl_add_u64 v[4:5], v[4:5], 3, s[12:13]
	global_load_dwordx2 v[6:7], v[4:5], off
.LBB506_27:
	s_or_b64 exec, exec, s[14:15]
	v_mov_b32_e32 v8, 0
	v_mov_b32_e32 v9, v8
	;; [unrolled: 1-line block ×8, first 2 shown]
	s_and_saveexec_b64 s[12:13], vcc
	s_cbranch_execz .LBB506_33
; %bb.28:
	s_waitcnt vmcnt(0)
	v_cmp_o_f64_e64 s[0:1], v[18:19], v[18:19]
	v_mov_b64_e32 v[8:9], s[4:5]
	s_and_saveexec_b64 s[14:15], s[0:1]
	s_cbranch_execz .LBB506_32
; %bb.29:
	s_mov_b32 s0, 0
	s_mov_b32 s1, 0x7ff00000
	v_cmp_neq_f64_e64 s[0:1], s[0:1], v[18:19]
	v_mov_b64_e32 v[8:9], s[6:7]
	s_and_saveexec_b64 s[16:17], s[0:1]
; %bb.30:
	s_mov_b32 s0, 0
	s_mov_b32 s1, 0xfff00000
	v_mov_b32_e32 v1, s9
	v_cmp_eq_f64_e64 s[0:1], s[0:1], v[18:19]
	s_nop 1
	v_cndmask_b32_e64 v9, v19, v1, s[0:1]
	v_mov_b32_e32 v1, s8
	v_cndmask_b32_e64 v8, v18, v1, s[0:1]
; %bb.31:
	s_or_b64 exec, exec, s[16:17]
.LBB506_32:
	s_or_b64 exec, exec, s[14:15]
	v_mov_b32_e32 v12, 0
	v_mov_b32_e32 v13, v12
	v_mov_b32_e32 v10, v12
	v_mov_b32_e32 v11, v12
	v_mov_b32_e32 v4, v12
	v_mov_b32_e32 v5, v12
.LBB506_33:
	s_or_b64 exec, exec, s[12:13]
	v_or_b32_e32 v1, 0x100, v0
	v_cmp_gt_i32_e64 s[0:1], s18, v1
	s_and_saveexec_b64 s[12:13], s[0:1]
	s_cbranch_execz .LBB506_39
; %bb.34:
	s_waitcnt vmcnt(0)
	v_cmp_o_f64_e64 s[0:1], v[16:17], v[16:17]
	v_mov_b64_e32 v[12:13], s[4:5]
	s_and_saveexec_b64 s[14:15], s[0:1]
	s_cbranch_execz .LBB506_38
; %bb.35:
	s_mov_b32 s0, 0
	s_mov_b32 s1, 0x7ff00000
	v_cmp_neq_f64_e64 s[0:1], s[0:1], v[16:17]
	v_mov_b64_e32 v[12:13], s[6:7]
	s_and_saveexec_b64 s[16:17], s[0:1]
; %bb.36:
	s_mov_b32 s0, 0
	s_mov_b32 s1, 0xfff00000
	v_mov_b32_e32 v3, s9
	v_cmp_eq_f64_e64 s[0:1], s[0:1], v[16:17]
	s_nop 1
	v_cndmask_b32_e64 v13, v17, v3, s[0:1]
	v_mov_b32_e32 v3, s8
	v_cndmask_b32_e64 v12, v16, v3, s[0:1]
; %bb.37:
	s_or_b64 exec, exec, s[16:17]
.LBB506_38:
	s_or_b64 exec, exec, s[14:15]
.LBB506_39:
	s_or_b64 exec, exec, s[12:13]
	v_or_b32_e32 v3, 0x200, v0
	v_cmp_gt_i32_e64 s[0:1], s18, v3
	s_and_saveexec_b64 s[12:13], s[0:1]
	s_cbranch_execz .LBB506_45
; %bb.40:
	s_waitcnt vmcnt(0)
	v_cmp_o_f64_e64 s[0:1], v[14:15], v[14:15]
	v_mov_b64_e32 v[10:11], s[4:5]
	s_and_saveexec_b64 s[14:15], s[0:1]
	s_cbranch_execz .LBB506_44
; %bb.41:
	s_mov_b32 s0, 0
	s_mov_b32 s1, 0x7ff00000
	v_cmp_neq_f64_e64 s[0:1], s[0:1], v[14:15]
	v_mov_b64_e32 v[10:11], s[6:7]
	s_and_saveexec_b64 s[16:17], s[0:1]
; %bb.42:
	s_mov_b32 s0, 0
	s_mov_b32 s1, 0xfff00000
	v_mov_b32_e32 v3, s9
	v_cmp_eq_f64_e64 s[0:1], s[0:1], v[14:15]
	s_nop 1
	v_cndmask_b32_e64 v11, v15, v3, s[0:1]
	v_mov_b32_e32 v3, s8
	v_cndmask_b32_e64 v10, v14, v3, s[0:1]
; %bb.43:
	s_or_b64 exec, exec, s[16:17]
.LBB506_44:
	s_or_b64 exec, exec, s[14:15]
.LBB506_45:
	s_or_b64 exec, exec, s[12:13]
	v_or_b32_e32 v3, 0x300, v0
	v_cmp_gt_i32_e64 s[0:1], s18, v3
	s_and_saveexec_b64 s[12:13], s[0:1]
	s_cbranch_execnz .LBB506_52
; %bb.46:
	s_or_b64 exec, exec, s[12:13]
	s_and_saveexec_b64 s[0:1], vcc
	s_xor_b64 s[0:1], exec, s[0:1]
	s_cbranch_execnz .LBB506_57
.LBB506_47:
	s_or_b64 exec, exec, s[0:1]
	v_cmp_gt_i32_e32 vcc, s18, v0
	s_and_saveexec_b64 s[0:1], vcc
	s_cbranch_execnz .LBB506_58
.LBB506_48:
	s_or_b64 exec, exec, s[0:1]
	v_cmp_gt_i32_e32 vcc, s18, v0
	s_and_saveexec_b64 s[0:1], vcc
	s_cbranch_execnz .LBB506_59
.LBB506_49:
	s_or_b64 exec, exec, s[0:1]
	v_cmp_gt_i32_e32 vcc, s18, v0
	s_and_saveexec_b64 s[0:1], vcc
	s_cbranch_execz .LBB506_51
.LBB506_50:
	v_add_u32_e32 v0, s2, v0
	v_mov_b32_e32 v1, 0
	v_lshl_add_u64 v[0:1], v[0:1], 3, s[10:11]
	global_store_dwordx2 v[0:1], v[4:5], off
.LBB506_51:
	s_endpgm
.LBB506_52:
	s_waitcnt vmcnt(0)
	v_cmp_o_f64_e64 s[0:1], v[6:7], v[6:7]
	v_mov_b64_e32 v[4:5], s[4:5]
	s_and_saveexec_b64 s[4:5], s[0:1]
	s_cbranch_execz .LBB506_56
; %bb.53:
	s_mov_b32 s0, 0
	s_mov_b32 s1, 0x7ff00000
	v_cmp_neq_f64_e64 s[0:1], s[0:1], v[6:7]
	v_mov_b64_e32 v[4:5], s[6:7]
	s_and_saveexec_b64 s[6:7], s[0:1]
; %bb.54:
	s_mov_b32 s0, 0
	s_mov_b32 s1, 0xfff00000
	v_mov_b32_e32 v3, s9
	v_cmp_eq_f64_e64 s[0:1], s[0:1], v[6:7]
	s_nop 1
	v_cndmask_b32_e64 v5, v7, v3, s[0:1]
	v_mov_b32_e32 v3, s8
	v_cndmask_b32_e64 v4, v6, v3, s[0:1]
; %bb.55:
	s_or_b64 exec, exec, s[6:7]
.LBB506_56:
	s_or_b64 exec, exec, s[4:5]
	s_or_b64 exec, exec, s[12:13]
	s_and_saveexec_b64 s[0:1], vcc
	s_xor_b64 s[0:1], exec, s[0:1]
	s_cbranch_execz .LBB506_47
.LBB506_57:
	v_mov_b32_e32 v3, 0
	v_lshl_add_u64 v[2:3], v[2:3], 3, s[10:11]
	v_mov_b32_e32 v0, v1
	global_store_dwordx2 v[2:3], v[8:9], off
	s_or_b64 exec, exec, s[0:1]
	v_cmp_gt_i32_e32 vcc, s18, v0
	s_and_saveexec_b64 s[0:1], vcc
	s_cbranch_execz .LBB506_48
.LBB506_58:
	v_add_u32_e32 v2, s2, v0
	v_mov_b32_e32 v3, 0
	v_lshl_add_u64 v[2:3], v[2:3], 3, s[10:11]
	v_add_u32_e32 v0, 0x100, v0
	global_store_dwordx2 v[2:3], v[12:13], off
	s_or_b64 exec, exec, s[0:1]
	v_cmp_gt_i32_e32 vcc, s18, v0
	s_and_saveexec_b64 s[0:1], vcc
	s_cbranch_execz .LBB506_49
.LBB506_59:
	v_add_u32_e32 v2, s2, v0
	v_mov_b32_e32 v3, 0
	v_lshl_add_u64 v[2:3], v[2:3], 3, s[10:11]
	v_add_u32_e32 v0, 0x100, v0
	global_store_dwordx2 v[2:3], v[10:11], off
	s_or_b64 exec, exec, s[0:1]
	v_cmp_gt_i32_e32 vcc, s18, v0
	s_and_saveexec_b64 s[0:1], vcc
	s_cbranch_execnz .LBB506_50
	s_branch .LBB506_51
	.section	.rodata,"a",@progbits
	.p2align	6, 0x0
	.amdhsa_kernel _ZN2at6native29vectorized_elementwise_kernelILi16EZZZNS0_22nan_to_num_kernel_cudaERNS_18TensorIteratorBaseESt8optionalIdES5_S5_ENKUlvE0_clEvENKUlvE_clEvEUldE_St5arrayIPcLm2EEEEviT0_T1_
		.amdhsa_group_segment_fixed_size 0
		.amdhsa_private_segment_fixed_size 0
		.amdhsa_kernarg_size 48
		.amdhsa_user_sgpr_count 2
		.amdhsa_user_sgpr_dispatch_ptr 0
		.amdhsa_user_sgpr_queue_ptr 0
		.amdhsa_user_sgpr_kernarg_segment_ptr 1
		.amdhsa_user_sgpr_dispatch_id 0
		.amdhsa_user_sgpr_kernarg_preload_length 0
		.amdhsa_user_sgpr_kernarg_preload_offset 0
		.amdhsa_user_sgpr_private_segment_size 0
		.amdhsa_uses_dynamic_stack 0
		.amdhsa_enable_private_segment 0
		.amdhsa_system_sgpr_workgroup_id_x 1
		.amdhsa_system_sgpr_workgroup_id_y 0
		.amdhsa_system_sgpr_workgroup_id_z 0
		.amdhsa_system_sgpr_workgroup_info 0
		.amdhsa_system_vgpr_workitem_id 0
		.amdhsa_next_free_vgpr 20
		.amdhsa_next_free_sgpr 22
		.amdhsa_accum_offset 20
		.amdhsa_reserve_vcc 1
		.amdhsa_float_round_mode_32 0
		.amdhsa_float_round_mode_16_64 0
		.amdhsa_float_denorm_mode_32 3
		.amdhsa_float_denorm_mode_16_64 3
		.amdhsa_dx10_clamp 1
		.amdhsa_ieee_mode 1
		.amdhsa_fp16_overflow 0
		.amdhsa_tg_split 0
		.amdhsa_exception_fp_ieee_invalid_op 0
		.amdhsa_exception_fp_denorm_src 0
		.amdhsa_exception_fp_ieee_div_zero 0
		.amdhsa_exception_fp_ieee_overflow 0
		.amdhsa_exception_fp_ieee_underflow 0
		.amdhsa_exception_fp_ieee_inexact 0
		.amdhsa_exception_int_div_zero 0
	.end_amdhsa_kernel
	.section	.text._ZN2at6native29vectorized_elementwise_kernelILi16EZZZNS0_22nan_to_num_kernel_cudaERNS_18TensorIteratorBaseESt8optionalIdES5_S5_ENKUlvE0_clEvENKUlvE_clEvEUldE_St5arrayIPcLm2EEEEviT0_T1_,"axG",@progbits,_ZN2at6native29vectorized_elementwise_kernelILi16EZZZNS0_22nan_to_num_kernel_cudaERNS_18TensorIteratorBaseESt8optionalIdES5_S5_ENKUlvE0_clEvENKUlvE_clEvEUldE_St5arrayIPcLm2EEEEviT0_T1_,comdat
.Lfunc_end506:
	.size	_ZN2at6native29vectorized_elementwise_kernelILi16EZZZNS0_22nan_to_num_kernel_cudaERNS_18TensorIteratorBaseESt8optionalIdES5_S5_ENKUlvE0_clEvENKUlvE_clEvEUldE_St5arrayIPcLm2EEEEviT0_T1_, .Lfunc_end506-_ZN2at6native29vectorized_elementwise_kernelILi16EZZZNS0_22nan_to_num_kernel_cudaERNS_18TensorIteratorBaseESt8optionalIdES5_S5_ENKUlvE0_clEvENKUlvE_clEvEUldE_St5arrayIPcLm2EEEEviT0_T1_
                                        ; -- End function
	.set _ZN2at6native29vectorized_elementwise_kernelILi16EZZZNS0_22nan_to_num_kernel_cudaERNS_18TensorIteratorBaseESt8optionalIdES5_S5_ENKUlvE0_clEvENKUlvE_clEvEUldE_St5arrayIPcLm2EEEEviT0_T1_.num_vgpr, 20
	.set _ZN2at6native29vectorized_elementwise_kernelILi16EZZZNS0_22nan_to_num_kernel_cudaERNS_18TensorIteratorBaseESt8optionalIdES5_S5_ENKUlvE0_clEvENKUlvE_clEvEUldE_St5arrayIPcLm2EEEEviT0_T1_.num_agpr, 0
	.set _ZN2at6native29vectorized_elementwise_kernelILi16EZZZNS0_22nan_to_num_kernel_cudaERNS_18TensorIteratorBaseESt8optionalIdES5_S5_ENKUlvE0_clEvENKUlvE_clEvEUldE_St5arrayIPcLm2EEEEviT0_T1_.numbered_sgpr, 22
	.set _ZN2at6native29vectorized_elementwise_kernelILi16EZZZNS0_22nan_to_num_kernel_cudaERNS_18TensorIteratorBaseESt8optionalIdES5_S5_ENKUlvE0_clEvENKUlvE_clEvEUldE_St5arrayIPcLm2EEEEviT0_T1_.num_named_barrier, 0
	.set _ZN2at6native29vectorized_elementwise_kernelILi16EZZZNS0_22nan_to_num_kernel_cudaERNS_18TensorIteratorBaseESt8optionalIdES5_S5_ENKUlvE0_clEvENKUlvE_clEvEUldE_St5arrayIPcLm2EEEEviT0_T1_.private_seg_size, 0
	.set _ZN2at6native29vectorized_elementwise_kernelILi16EZZZNS0_22nan_to_num_kernel_cudaERNS_18TensorIteratorBaseESt8optionalIdES5_S5_ENKUlvE0_clEvENKUlvE_clEvEUldE_St5arrayIPcLm2EEEEviT0_T1_.uses_vcc, 1
	.set _ZN2at6native29vectorized_elementwise_kernelILi16EZZZNS0_22nan_to_num_kernel_cudaERNS_18TensorIteratorBaseESt8optionalIdES5_S5_ENKUlvE0_clEvENKUlvE_clEvEUldE_St5arrayIPcLm2EEEEviT0_T1_.uses_flat_scratch, 0
	.set _ZN2at6native29vectorized_elementwise_kernelILi16EZZZNS0_22nan_to_num_kernel_cudaERNS_18TensorIteratorBaseESt8optionalIdES5_S5_ENKUlvE0_clEvENKUlvE_clEvEUldE_St5arrayIPcLm2EEEEviT0_T1_.has_dyn_sized_stack, 0
	.set _ZN2at6native29vectorized_elementwise_kernelILi16EZZZNS0_22nan_to_num_kernel_cudaERNS_18TensorIteratorBaseESt8optionalIdES5_S5_ENKUlvE0_clEvENKUlvE_clEvEUldE_St5arrayIPcLm2EEEEviT0_T1_.has_recursion, 0
	.set _ZN2at6native29vectorized_elementwise_kernelILi16EZZZNS0_22nan_to_num_kernel_cudaERNS_18TensorIteratorBaseESt8optionalIdES5_S5_ENKUlvE0_clEvENKUlvE_clEvEUldE_St5arrayIPcLm2EEEEviT0_T1_.has_indirect_call, 0
	.section	.AMDGPU.csdata,"",@progbits
; Kernel info:
; codeLenInByte = 1508
; TotalNumSgprs: 28
; NumVgprs: 20
; NumAgprs: 0
; TotalNumVgprs: 20
; ScratchSize: 0
; MemoryBound: 1
; FloatMode: 240
; IeeeMode: 1
; LDSByteSize: 0 bytes/workgroup (compile time only)
; SGPRBlocks: 3
; VGPRBlocks: 2
; NumSGPRsForWavesPerEU: 28
; NumVGPRsForWavesPerEU: 20
; AccumOffset: 20
; Occupancy: 8
; WaveLimiterHint : 0
; COMPUTE_PGM_RSRC2:SCRATCH_EN: 0
; COMPUTE_PGM_RSRC2:USER_SGPR: 2
; COMPUTE_PGM_RSRC2:TRAP_HANDLER: 0
; COMPUTE_PGM_RSRC2:TGID_X_EN: 1
; COMPUTE_PGM_RSRC2:TGID_Y_EN: 0
; COMPUTE_PGM_RSRC2:TGID_Z_EN: 0
; COMPUTE_PGM_RSRC2:TIDIG_COMP_CNT: 0
; COMPUTE_PGM_RSRC3_GFX90A:ACCUM_OFFSET: 4
; COMPUTE_PGM_RSRC3_GFX90A:TG_SPLIT: 0
	.section	.text._ZN2at6native29vectorized_elementwise_kernelILi8EZZZNS0_22nan_to_num_kernel_cudaERNS_18TensorIteratorBaseESt8optionalIdES5_S5_ENKUlvE0_clEvENKUlvE_clEvEUldE_St5arrayIPcLm2EEEEviT0_T1_,"axG",@progbits,_ZN2at6native29vectorized_elementwise_kernelILi8EZZZNS0_22nan_to_num_kernel_cudaERNS_18TensorIteratorBaseESt8optionalIdES5_S5_ENKUlvE0_clEvENKUlvE_clEvEUldE_St5arrayIPcLm2EEEEviT0_T1_,comdat
	.globl	_ZN2at6native29vectorized_elementwise_kernelILi8EZZZNS0_22nan_to_num_kernel_cudaERNS_18TensorIteratorBaseESt8optionalIdES5_S5_ENKUlvE0_clEvENKUlvE_clEvEUldE_St5arrayIPcLm2EEEEviT0_T1_ ; -- Begin function _ZN2at6native29vectorized_elementwise_kernelILi8EZZZNS0_22nan_to_num_kernel_cudaERNS_18TensorIteratorBaseESt8optionalIdES5_S5_ENKUlvE0_clEvENKUlvE_clEvEUldE_St5arrayIPcLm2EEEEviT0_T1_
	.p2align	8
	.type	_ZN2at6native29vectorized_elementwise_kernelILi8EZZZNS0_22nan_to_num_kernel_cudaERNS_18TensorIteratorBaseESt8optionalIdES5_S5_ENKUlvE0_clEvENKUlvE_clEvEUldE_St5arrayIPcLm2EEEEviT0_T1_,@function
_ZN2at6native29vectorized_elementwise_kernelILi8EZZZNS0_22nan_to_num_kernel_cudaERNS_18TensorIteratorBaseESt8optionalIdES5_S5_ENKUlvE0_clEvENKUlvE_clEvEUldE_St5arrayIPcLm2EEEEviT0_T1_: ; @_ZN2at6native29vectorized_elementwise_kernelILi8EZZZNS0_22nan_to_num_kernel_cudaERNS_18TensorIteratorBaseESt8optionalIdES5_S5_ENKUlvE0_clEvENKUlvE_clEvEUldE_St5arrayIPcLm2EEEEviT0_T1_
; %bb.0:
	s_load_dword s3, s[0:1], 0x0
	s_load_dwordx8 s[4:11], s[0:1], 0x8
	s_load_dwordx2 s[12:13], s[0:1], 0x28
	s_lshl_b32 s2, s2, 10
	s_mov_b64 s[0:1], -1
	s_waitcnt lgkmcnt(0)
	s_sub_i32 s18, s3, s2
	s_cmpk_gt_i32 s18, 0x3ff
	s_cbranch_scc0 .LBB507_18
; %bb.1:
	s_ashr_i32 s3, s2, 31
	s_lshl_b64 s[0:1], s[2:3], 3
	s_add_u32 s14, s12, s0
	s_addc_u32 s15, s13, s1
	v_lshlrev_b32_e32 v1, 5, v0
	global_load_dwordx4 v[10:13], v1, s[14:15]
	global_load_dwordx4 v[6:9], v1, s[14:15] offset:16
	v_mov_b64_e32 v[2:3], s[4:5]
	s_waitcnt vmcnt(1)
	v_cmp_o_f64_e32 vcc, v[10:11], v[10:11]
	s_and_saveexec_b64 s[14:15], vcc
	s_cbranch_execz .LBB507_5
; %bb.2:
	s_mov_b32 s16, 0
	s_mov_b32 s17, 0x7ff00000
	v_cmp_neq_f64_e32 vcc, s[16:17], v[10:11]
	v_mov_b64_e32 v[2:3], s[6:7]
	s_and_saveexec_b64 s[16:17], vcc
; %bb.3:
	s_mov_b32 s20, 0
	s_mov_b32 s21, 0xfff00000
	v_mov_b32_e32 v2, s9
	v_cmp_eq_f64_e32 vcc, s[20:21], v[10:11]
	s_nop 1
	v_cndmask_b32_e32 v3, v11, v2, vcc
	v_mov_b32_e32 v2, s8
	v_cndmask_b32_e32 v2, v10, v2, vcc
; %bb.4:
	s_or_b64 exec, exec, s[16:17]
.LBB507_5:
	s_or_b64 exec, exec, s[14:15]
	v_cmp_o_f64_e32 vcc, v[12:13], v[12:13]
	v_mov_b64_e32 v[4:5], s[4:5]
	s_and_saveexec_b64 s[14:15], vcc
	s_cbranch_execz .LBB507_9
; %bb.6:
	s_mov_b32 s16, 0
	s_mov_b32 s17, 0x7ff00000
	v_cmp_neq_f64_e32 vcc, s[16:17], v[12:13]
	v_mov_b64_e32 v[4:5], s[6:7]
	s_and_saveexec_b64 s[16:17], vcc
; %bb.7:
	s_mov_b32 s20, 0
	s_mov_b32 s21, 0xfff00000
	v_mov_b32_e32 v4, s9
	v_cmp_eq_f64_e32 vcc, s[20:21], v[12:13]
	s_nop 1
	v_cndmask_b32_e32 v5, v13, v4, vcc
	v_mov_b32_e32 v4, s8
	v_cndmask_b32_e32 v4, v12, v4, vcc
; %bb.8:
	s_or_b64 exec, exec, s[16:17]
.LBB507_9:
	s_or_b64 exec, exec, s[14:15]
	s_waitcnt vmcnt(0)
	v_cmp_o_f64_e32 vcc, v[6:7], v[6:7]
	v_mov_b64_e32 v[10:11], s[4:5]
	s_and_saveexec_b64 s[14:15], vcc
	s_cbranch_execz .LBB507_13
; %bb.10:
	s_mov_b32 s16, 0
	s_mov_b32 s17, 0x7ff00000
	v_cmp_neq_f64_e32 vcc, s[16:17], v[6:7]
	v_mov_b64_e32 v[10:11], s[6:7]
	s_and_saveexec_b64 s[16:17], vcc
; %bb.11:
	s_mov_b32 s20, 0
	s_mov_b32 s21, 0xfff00000
	v_mov_b32_e32 v10, s9
	v_cmp_eq_f64_e32 vcc, s[20:21], v[6:7]
	s_nop 1
	v_cndmask_b32_e32 v11, v7, v10, vcc
	v_mov_b32_e32 v7, s8
	v_cndmask_b32_e32 v10, v6, v7, vcc
; %bb.12:
	s_or_b64 exec, exec, s[16:17]
.LBB507_13:
	s_or_b64 exec, exec, s[14:15]
	v_cmp_o_f64_e32 vcc, v[8:9], v[8:9]
	v_mov_b64_e32 v[12:13], s[4:5]
	s_and_saveexec_b64 s[14:15], vcc
	s_cbranch_execz .LBB507_17
; %bb.14:
	s_mov_b32 s16, 0
	s_mov_b32 s17, 0x7ff00000
	v_cmp_neq_f64_e32 vcc, s[16:17], v[8:9]
	v_mov_b64_e32 v[12:13], s[6:7]
	s_and_saveexec_b64 s[16:17], vcc
; %bb.15:
	s_mov_b32 s20, 0
	s_mov_b32 s21, 0xfff00000
	v_mov_b32_e32 v6, s9
	v_cmp_eq_f64_e32 vcc, s[20:21], v[8:9]
	s_nop 1
	v_cndmask_b32_e32 v13, v9, v6, vcc
	v_mov_b32_e32 v6, s8
	v_cndmask_b32_e32 v12, v8, v6, vcc
; %bb.16:
	s_or_b64 exec, exec, s[16:17]
.LBB507_17:
	s_or_b64 exec, exec, s[14:15]
	s_add_u32 s0, s10, s0
	s_addc_u32 s1, s11, s1
	global_store_dwordx4 v1, v[2:5], s[0:1]
	global_store_dwordx4 v1, v[10:13], s[0:1] offset:16
	s_mov_b64 s[0:1], 0
.LBB507_18:
	s_and_b64 vcc, exec, s[0:1]
	s_cbranch_vccz .LBB507_51
; %bb.19:
	v_cmp_gt_i32_e32 vcc, s18, v0
	v_mov_b64_e32 v[16:17], 0
	v_or_b32_e32 v2, s2, v0
	v_mov_b64_e32 v[18:19], 0
	v_mov_b32_e32 v1, v0
	s_and_saveexec_b64 s[0:1], vcc
	s_cbranch_execz .LBB507_21
; %bb.20:
	v_mov_b32_e32 v3, 0
	v_lshl_add_u64 v[4:5], v[2:3], 3, s[12:13]
	global_load_dwordx2 v[18:19], v[4:5], off
	v_or_b32_e32 v1, 0x100, v0
.LBB507_21:
	s_or_b64 exec, exec, s[0:1]
	v_cmp_gt_i32_e64 s[0:1], s18, v1
	s_and_saveexec_b64 s[14:15], s[0:1]
	s_cbranch_execz .LBB507_23
; %bb.22:
	v_add_u32_e32 v4, s2, v1
	v_mov_b32_e32 v5, 0
	v_lshl_add_u64 v[4:5], v[4:5], 3, s[12:13]
	global_load_dwordx2 v[16:17], v[4:5], off
	v_add_u32_e32 v1, 0x100, v1
.LBB507_23:
	s_or_b64 exec, exec, s[14:15]
	v_cmp_gt_i32_e64 s[0:1], s18, v1
	v_mov_b64_e32 v[6:7], 0
	v_mov_b64_e32 v[14:15], 0
	s_and_saveexec_b64 s[14:15], s[0:1]
	s_cbranch_execz .LBB507_25
; %bb.24:
	v_add_u32_e32 v4, s2, v1
	v_mov_b32_e32 v5, 0
	v_lshl_add_u64 v[4:5], v[4:5], 3, s[12:13]
	global_load_dwordx2 v[14:15], v[4:5], off
	v_add_u32_e32 v1, 0x100, v1
.LBB507_25:
	s_or_b64 exec, exec, s[14:15]
	v_cmp_gt_i32_e64 s[0:1], s18, v1
	s_and_saveexec_b64 s[14:15], s[0:1]
	s_cbranch_execz .LBB507_27
; %bb.26:
	v_add_u32_e32 v4, s2, v1
	v_mov_b32_e32 v5, 0
	v_lshl_add_u64 v[4:5], v[4:5], 3, s[12:13]
	global_load_dwordx2 v[6:7], v[4:5], off
.LBB507_27:
	s_or_b64 exec, exec, s[14:15]
	v_mov_b32_e32 v8, 0
	v_mov_b32_e32 v9, v8
	;; [unrolled: 1-line block ×8, first 2 shown]
	s_and_saveexec_b64 s[12:13], vcc
	s_cbranch_execz .LBB507_33
; %bb.28:
	s_waitcnt vmcnt(0)
	v_cmp_o_f64_e64 s[0:1], v[18:19], v[18:19]
	v_mov_b64_e32 v[8:9], s[4:5]
	s_and_saveexec_b64 s[14:15], s[0:1]
	s_cbranch_execz .LBB507_32
; %bb.29:
	s_mov_b32 s0, 0
	s_mov_b32 s1, 0x7ff00000
	v_cmp_neq_f64_e64 s[0:1], s[0:1], v[18:19]
	v_mov_b64_e32 v[8:9], s[6:7]
	s_and_saveexec_b64 s[16:17], s[0:1]
; %bb.30:
	s_mov_b32 s0, 0
	s_mov_b32 s1, 0xfff00000
	v_mov_b32_e32 v1, s9
	v_cmp_eq_f64_e64 s[0:1], s[0:1], v[18:19]
	s_nop 1
	v_cndmask_b32_e64 v9, v19, v1, s[0:1]
	v_mov_b32_e32 v1, s8
	v_cndmask_b32_e64 v8, v18, v1, s[0:1]
; %bb.31:
	s_or_b64 exec, exec, s[16:17]
.LBB507_32:
	s_or_b64 exec, exec, s[14:15]
	v_mov_b32_e32 v12, 0
	v_mov_b32_e32 v13, v12
	;; [unrolled: 1-line block ×6, first 2 shown]
.LBB507_33:
	s_or_b64 exec, exec, s[12:13]
	v_or_b32_e32 v1, 0x100, v0
	v_cmp_gt_i32_e64 s[0:1], s18, v1
	s_and_saveexec_b64 s[12:13], s[0:1]
	s_cbranch_execz .LBB507_39
; %bb.34:
	s_waitcnt vmcnt(0)
	v_cmp_o_f64_e64 s[0:1], v[16:17], v[16:17]
	v_mov_b64_e32 v[12:13], s[4:5]
	s_and_saveexec_b64 s[14:15], s[0:1]
	s_cbranch_execz .LBB507_38
; %bb.35:
	s_mov_b32 s0, 0
	s_mov_b32 s1, 0x7ff00000
	v_cmp_neq_f64_e64 s[0:1], s[0:1], v[16:17]
	v_mov_b64_e32 v[12:13], s[6:7]
	s_and_saveexec_b64 s[16:17], s[0:1]
; %bb.36:
	s_mov_b32 s0, 0
	s_mov_b32 s1, 0xfff00000
	v_mov_b32_e32 v3, s9
	v_cmp_eq_f64_e64 s[0:1], s[0:1], v[16:17]
	s_nop 1
	v_cndmask_b32_e64 v13, v17, v3, s[0:1]
	v_mov_b32_e32 v3, s8
	v_cndmask_b32_e64 v12, v16, v3, s[0:1]
; %bb.37:
	s_or_b64 exec, exec, s[16:17]
.LBB507_38:
	s_or_b64 exec, exec, s[14:15]
.LBB507_39:
	s_or_b64 exec, exec, s[12:13]
	v_or_b32_e32 v3, 0x200, v0
	v_cmp_gt_i32_e64 s[0:1], s18, v3
	s_and_saveexec_b64 s[12:13], s[0:1]
	s_cbranch_execz .LBB507_45
; %bb.40:
	s_waitcnt vmcnt(0)
	v_cmp_o_f64_e64 s[0:1], v[14:15], v[14:15]
	v_mov_b64_e32 v[10:11], s[4:5]
	s_and_saveexec_b64 s[14:15], s[0:1]
	s_cbranch_execz .LBB507_44
; %bb.41:
	s_mov_b32 s0, 0
	s_mov_b32 s1, 0x7ff00000
	v_cmp_neq_f64_e64 s[0:1], s[0:1], v[14:15]
	v_mov_b64_e32 v[10:11], s[6:7]
	s_and_saveexec_b64 s[16:17], s[0:1]
; %bb.42:
	s_mov_b32 s0, 0
	s_mov_b32 s1, 0xfff00000
	v_mov_b32_e32 v3, s9
	v_cmp_eq_f64_e64 s[0:1], s[0:1], v[14:15]
	s_nop 1
	v_cndmask_b32_e64 v11, v15, v3, s[0:1]
	v_mov_b32_e32 v3, s8
	v_cndmask_b32_e64 v10, v14, v3, s[0:1]
; %bb.43:
	s_or_b64 exec, exec, s[16:17]
.LBB507_44:
	s_or_b64 exec, exec, s[14:15]
.LBB507_45:
	s_or_b64 exec, exec, s[12:13]
	v_or_b32_e32 v3, 0x300, v0
	v_cmp_gt_i32_e64 s[0:1], s18, v3
	s_and_saveexec_b64 s[12:13], s[0:1]
	s_cbranch_execnz .LBB507_52
; %bb.46:
	s_or_b64 exec, exec, s[12:13]
	s_and_saveexec_b64 s[0:1], vcc
	s_xor_b64 s[0:1], exec, s[0:1]
	s_cbranch_execnz .LBB507_57
.LBB507_47:
	s_or_b64 exec, exec, s[0:1]
	v_cmp_gt_i32_e32 vcc, s18, v0
	s_and_saveexec_b64 s[0:1], vcc
	s_cbranch_execnz .LBB507_58
.LBB507_48:
	s_or_b64 exec, exec, s[0:1]
	v_cmp_gt_i32_e32 vcc, s18, v0
	s_and_saveexec_b64 s[0:1], vcc
	s_cbranch_execnz .LBB507_59
.LBB507_49:
	s_or_b64 exec, exec, s[0:1]
	v_cmp_gt_i32_e32 vcc, s18, v0
	s_and_saveexec_b64 s[0:1], vcc
	s_cbranch_execz .LBB507_51
.LBB507_50:
	v_add_u32_e32 v0, s2, v0
	v_mov_b32_e32 v1, 0
	v_lshl_add_u64 v[0:1], v[0:1], 3, s[10:11]
	global_store_dwordx2 v[0:1], v[4:5], off
.LBB507_51:
	s_endpgm
.LBB507_52:
	s_waitcnt vmcnt(0)
	v_cmp_o_f64_e64 s[0:1], v[6:7], v[6:7]
	v_mov_b64_e32 v[4:5], s[4:5]
	s_and_saveexec_b64 s[4:5], s[0:1]
	s_cbranch_execz .LBB507_56
; %bb.53:
	s_mov_b32 s0, 0
	s_mov_b32 s1, 0x7ff00000
	v_cmp_neq_f64_e64 s[0:1], s[0:1], v[6:7]
	v_mov_b64_e32 v[4:5], s[6:7]
	s_and_saveexec_b64 s[6:7], s[0:1]
; %bb.54:
	s_mov_b32 s0, 0
	s_mov_b32 s1, 0xfff00000
	v_mov_b32_e32 v3, s9
	v_cmp_eq_f64_e64 s[0:1], s[0:1], v[6:7]
	s_nop 1
	v_cndmask_b32_e64 v5, v7, v3, s[0:1]
	v_mov_b32_e32 v3, s8
	v_cndmask_b32_e64 v4, v6, v3, s[0:1]
; %bb.55:
	s_or_b64 exec, exec, s[6:7]
.LBB507_56:
	s_or_b64 exec, exec, s[4:5]
	s_or_b64 exec, exec, s[12:13]
	s_and_saveexec_b64 s[0:1], vcc
	s_xor_b64 s[0:1], exec, s[0:1]
	s_cbranch_execz .LBB507_47
.LBB507_57:
	v_mov_b32_e32 v3, 0
	v_lshl_add_u64 v[2:3], v[2:3], 3, s[10:11]
	v_mov_b32_e32 v0, v1
	global_store_dwordx2 v[2:3], v[8:9], off
	s_or_b64 exec, exec, s[0:1]
	v_cmp_gt_i32_e32 vcc, s18, v0
	s_and_saveexec_b64 s[0:1], vcc
	s_cbranch_execz .LBB507_48
.LBB507_58:
	v_add_u32_e32 v2, s2, v0
	v_mov_b32_e32 v3, 0
	v_lshl_add_u64 v[2:3], v[2:3], 3, s[10:11]
	v_add_u32_e32 v0, 0x100, v0
	global_store_dwordx2 v[2:3], v[12:13], off
	s_or_b64 exec, exec, s[0:1]
	v_cmp_gt_i32_e32 vcc, s18, v0
	s_and_saveexec_b64 s[0:1], vcc
	s_cbranch_execz .LBB507_49
.LBB507_59:
	v_add_u32_e32 v2, s2, v0
	v_mov_b32_e32 v3, 0
	v_lshl_add_u64 v[2:3], v[2:3], 3, s[10:11]
	v_add_u32_e32 v0, 0x100, v0
	global_store_dwordx2 v[2:3], v[10:11], off
	s_or_b64 exec, exec, s[0:1]
	v_cmp_gt_i32_e32 vcc, s18, v0
	s_and_saveexec_b64 s[0:1], vcc
	s_cbranch_execnz .LBB507_50
	s_branch .LBB507_51
	.section	.rodata,"a",@progbits
	.p2align	6, 0x0
	.amdhsa_kernel _ZN2at6native29vectorized_elementwise_kernelILi8EZZZNS0_22nan_to_num_kernel_cudaERNS_18TensorIteratorBaseESt8optionalIdES5_S5_ENKUlvE0_clEvENKUlvE_clEvEUldE_St5arrayIPcLm2EEEEviT0_T1_
		.amdhsa_group_segment_fixed_size 0
		.amdhsa_private_segment_fixed_size 0
		.amdhsa_kernarg_size 48
		.amdhsa_user_sgpr_count 2
		.amdhsa_user_sgpr_dispatch_ptr 0
		.amdhsa_user_sgpr_queue_ptr 0
		.amdhsa_user_sgpr_kernarg_segment_ptr 1
		.amdhsa_user_sgpr_dispatch_id 0
		.amdhsa_user_sgpr_kernarg_preload_length 0
		.amdhsa_user_sgpr_kernarg_preload_offset 0
		.amdhsa_user_sgpr_private_segment_size 0
		.amdhsa_uses_dynamic_stack 0
		.amdhsa_enable_private_segment 0
		.amdhsa_system_sgpr_workgroup_id_x 1
		.amdhsa_system_sgpr_workgroup_id_y 0
		.amdhsa_system_sgpr_workgroup_id_z 0
		.amdhsa_system_sgpr_workgroup_info 0
		.amdhsa_system_vgpr_workitem_id 0
		.amdhsa_next_free_vgpr 20
		.amdhsa_next_free_sgpr 22
		.amdhsa_accum_offset 20
		.amdhsa_reserve_vcc 1
		.amdhsa_float_round_mode_32 0
		.amdhsa_float_round_mode_16_64 0
		.amdhsa_float_denorm_mode_32 3
		.amdhsa_float_denorm_mode_16_64 3
		.amdhsa_dx10_clamp 1
		.amdhsa_ieee_mode 1
		.amdhsa_fp16_overflow 0
		.amdhsa_tg_split 0
		.amdhsa_exception_fp_ieee_invalid_op 0
		.amdhsa_exception_fp_denorm_src 0
		.amdhsa_exception_fp_ieee_div_zero 0
		.amdhsa_exception_fp_ieee_overflow 0
		.amdhsa_exception_fp_ieee_underflow 0
		.amdhsa_exception_fp_ieee_inexact 0
		.amdhsa_exception_int_div_zero 0
	.end_amdhsa_kernel
	.section	.text._ZN2at6native29vectorized_elementwise_kernelILi8EZZZNS0_22nan_to_num_kernel_cudaERNS_18TensorIteratorBaseESt8optionalIdES5_S5_ENKUlvE0_clEvENKUlvE_clEvEUldE_St5arrayIPcLm2EEEEviT0_T1_,"axG",@progbits,_ZN2at6native29vectorized_elementwise_kernelILi8EZZZNS0_22nan_to_num_kernel_cudaERNS_18TensorIteratorBaseESt8optionalIdES5_S5_ENKUlvE0_clEvENKUlvE_clEvEUldE_St5arrayIPcLm2EEEEviT0_T1_,comdat
.Lfunc_end507:
	.size	_ZN2at6native29vectorized_elementwise_kernelILi8EZZZNS0_22nan_to_num_kernel_cudaERNS_18TensorIteratorBaseESt8optionalIdES5_S5_ENKUlvE0_clEvENKUlvE_clEvEUldE_St5arrayIPcLm2EEEEviT0_T1_, .Lfunc_end507-_ZN2at6native29vectorized_elementwise_kernelILi8EZZZNS0_22nan_to_num_kernel_cudaERNS_18TensorIteratorBaseESt8optionalIdES5_S5_ENKUlvE0_clEvENKUlvE_clEvEUldE_St5arrayIPcLm2EEEEviT0_T1_
                                        ; -- End function
	.set _ZN2at6native29vectorized_elementwise_kernelILi8EZZZNS0_22nan_to_num_kernel_cudaERNS_18TensorIteratorBaseESt8optionalIdES5_S5_ENKUlvE0_clEvENKUlvE_clEvEUldE_St5arrayIPcLm2EEEEviT0_T1_.num_vgpr, 20
	.set _ZN2at6native29vectorized_elementwise_kernelILi8EZZZNS0_22nan_to_num_kernel_cudaERNS_18TensorIteratorBaseESt8optionalIdES5_S5_ENKUlvE0_clEvENKUlvE_clEvEUldE_St5arrayIPcLm2EEEEviT0_T1_.num_agpr, 0
	.set _ZN2at6native29vectorized_elementwise_kernelILi8EZZZNS0_22nan_to_num_kernel_cudaERNS_18TensorIteratorBaseESt8optionalIdES5_S5_ENKUlvE0_clEvENKUlvE_clEvEUldE_St5arrayIPcLm2EEEEviT0_T1_.numbered_sgpr, 22
	.set _ZN2at6native29vectorized_elementwise_kernelILi8EZZZNS0_22nan_to_num_kernel_cudaERNS_18TensorIteratorBaseESt8optionalIdES5_S5_ENKUlvE0_clEvENKUlvE_clEvEUldE_St5arrayIPcLm2EEEEviT0_T1_.num_named_barrier, 0
	.set _ZN2at6native29vectorized_elementwise_kernelILi8EZZZNS0_22nan_to_num_kernel_cudaERNS_18TensorIteratorBaseESt8optionalIdES5_S5_ENKUlvE0_clEvENKUlvE_clEvEUldE_St5arrayIPcLm2EEEEviT0_T1_.private_seg_size, 0
	.set _ZN2at6native29vectorized_elementwise_kernelILi8EZZZNS0_22nan_to_num_kernel_cudaERNS_18TensorIteratorBaseESt8optionalIdES5_S5_ENKUlvE0_clEvENKUlvE_clEvEUldE_St5arrayIPcLm2EEEEviT0_T1_.uses_vcc, 1
	.set _ZN2at6native29vectorized_elementwise_kernelILi8EZZZNS0_22nan_to_num_kernel_cudaERNS_18TensorIteratorBaseESt8optionalIdES5_S5_ENKUlvE0_clEvENKUlvE_clEvEUldE_St5arrayIPcLm2EEEEviT0_T1_.uses_flat_scratch, 0
	.set _ZN2at6native29vectorized_elementwise_kernelILi8EZZZNS0_22nan_to_num_kernel_cudaERNS_18TensorIteratorBaseESt8optionalIdES5_S5_ENKUlvE0_clEvENKUlvE_clEvEUldE_St5arrayIPcLm2EEEEviT0_T1_.has_dyn_sized_stack, 0
	.set _ZN2at6native29vectorized_elementwise_kernelILi8EZZZNS0_22nan_to_num_kernel_cudaERNS_18TensorIteratorBaseESt8optionalIdES5_S5_ENKUlvE0_clEvENKUlvE_clEvEUldE_St5arrayIPcLm2EEEEviT0_T1_.has_recursion, 0
	.set _ZN2at6native29vectorized_elementwise_kernelILi8EZZZNS0_22nan_to_num_kernel_cudaERNS_18TensorIteratorBaseESt8optionalIdES5_S5_ENKUlvE0_clEvENKUlvE_clEvEUldE_St5arrayIPcLm2EEEEviT0_T1_.has_indirect_call, 0
	.section	.AMDGPU.csdata,"",@progbits
; Kernel info:
; codeLenInByte = 1508
; TotalNumSgprs: 28
; NumVgprs: 20
; NumAgprs: 0
; TotalNumVgprs: 20
; ScratchSize: 0
; MemoryBound: 1
; FloatMode: 240
; IeeeMode: 1
; LDSByteSize: 0 bytes/workgroup (compile time only)
; SGPRBlocks: 3
; VGPRBlocks: 2
; NumSGPRsForWavesPerEU: 28
; NumVGPRsForWavesPerEU: 20
; AccumOffset: 20
; Occupancy: 8
; WaveLimiterHint : 0
; COMPUTE_PGM_RSRC2:SCRATCH_EN: 0
; COMPUTE_PGM_RSRC2:USER_SGPR: 2
; COMPUTE_PGM_RSRC2:TRAP_HANDLER: 0
; COMPUTE_PGM_RSRC2:TGID_X_EN: 1
; COMPUTE_PGM_RSRC2:TGID_Y_EN: 0
; COMPUTE_PGM_RSRC2:TGID_Z_EN: 0
; COMPUTE_PGM_RSRC2:TIDIG_COMP_CNT: 0
; COMPUTE_PGM_RSRC3_GFX90A:ACCUM_OFFSET: 4
; COMPUTE_PGM_RSRC3_GFX90A:TG_SPLIT: 0
	.section	.text._ZN2at6native29vectorized_elementwise_kernelILi4EZZZNS0_22nan_to_num_kernel_cudaERNS_18TensorIteratorBaseESt8optionalIdES5_S5_ENKUlvE0_clEvENKUlvE_clEvEUldE_St5arrayIPcLm2EEEEviT0_T1_,"axG",@progbits,_ZN2at6native29vectorized_elementwise_kernelILi4EZZZNS0_22nan_to_num_kernel_cudaERNS_18TensorIteratorBaseESt8optionalIdES5_S5_ENKUlvE0_clEvENKUlvE_clEvEUldE_St5arrayIPcLm2EEEEviT0_T1_,comdat
	.globl	_ZN2at6native29vectorized_elementwise_kernelILi4EZZZNS0_22nan_to_num_kernel_cudaERNS_18TensorIteratorBaseESt8optionalIdES5_S5_ENKUlvE0_clEvENKUlvE_clEvEUldE_St5arrayIPcLm2EEEEviT0_T1_ ; -- Begin function _ZN2at6native29vectorized_elementwise_kernelILi4EZZZNS0_22nan_to_num_kernel_cudaERNS_18TensorIteratorBaseESt8optionalIdES5_S5_ENKUlvE0_clEvENKUlvE_clEvEUldE_St5arrayIPcLm2EEEEviT0_T1_
	.p2align	8
	.type	_ZN2at6native29vectorized_elementwise_kernelILi4EZZZNS0_22nan_to_num_kernel_cudaERNS_18TensorIteratorBaseESt8optionalIdES5_S5_ENKUlvE0_clEvENKUlvE_clEvEUldE_St5arrayIPcLm2EEEEviT0_T1_,@function
_ZN2at6native29vectorized_elementwise_kernelILi4EZZZNS0_22nan_to_num_kernel_cudaERNS_18TensorIteratorBaseESt8optionalIdES5_S5_ENKUlvE0_clEvENKUlvE_clEvEUldE_St5arrayIPcLm2EEEEviT0_T1_: ; @_ZN2at6native29vectorized_elementwise_kernelILi4EZZZNS0_22nan_to_num_kernel_cudaERNS_18TensorIteratorBaseESt8optionalIdES5_S5_ENKUlvE0_clEvENKUlvE_clEvEUldE_St5arrayIPcLm2EEEEviT0_T1_
; %bb.0:
	s_load_dword s3, s[0:1], 0x0
	s_load_dwordx8 s[4:11], s[0:1], 0x8
	s_load_dwordx2 s[12:13], s[0:1], 0x28
	s_lshl_b32 s2, s2, 10
	s_mov_b64 s[0:1], -1
	s_waitcnt lgkmcnt(0)
	s_sub_i32 s18, s3, s2
	s_cmpk_gt_i32 s18, 0x3ff
	s_cbranch_scc0 .LBB508_18
; %bb.1:
	s_ashr_i32 s3, s2, 31
	s_lshl_b64 s[0:1], s[2:3], 3
	s_add_u32 s14, s12, s0
	s_addc_u32 s15, s13, s1
	v_lshlrev_b32_e32 v1, 5, v0
	global_load_dwordx4 v[10:13], v1, s[14:15]
	global_load_dwordx4 v[6:9], v1, s[14:15] offset:16
	v_mov_b64_e32 v[2:3], s[4:5]
	s_waitcnt vmcnt(1)
	v_cmp_o_f64_e32 vcc, v[10:11], v[10:11]
	s_and_saveexec_b64 s[14:15], vcc
	s_cbranch_execz .LBB508_5
; %bb.2:
	s_mov_b32 s16, 0
	s_mov_b32 s17, 0x7ff00000
	v_cmp_neq_f64_e32 vcc, s[16:17], v[10:11]
	v_mov_b64_e32 v[2:3], s[6:7]
	s_and_saveexec_b64 s[16:17], vcc
; %bb.3:
	s_mov_b32 s20, 0
	s_mov_b32 s21, 0xfff00000
	v_mov_b32_e32 v2, s9
	v_cmp_eq_f64_e32 vcc, s[20:21], v[10:11]
	s_nop 1
	v_cndmask_b32_e32 v3, v11, v2, vcc
	v_mov_b32_e32 v2, s8
	v_cndmask_b32_e32 v2, v10, v2, vcc
; %bb.4:
	s_or_b64 exec, exec, s[16:17]
.LBB508_5:
	s_or_b64 exec, exec, s[14:15]
	v_cmp_o_f64_e32 vcc, v[12:13], v[12:13]
	v_mov_b64_e32 v[4:5], s[4:5]
	s_and_saveexec_b64 s[14:15], vcc
	s_cbranch_execz .LBB508_9
; %bb.6:
	s_mov_b32 s16, 0
	s_mov_b32 s17, 0x7ff00000
	v_cmp_neq_f64_e32 vcc, s[16:17], v[12:13]
	v_mov_b64_e32 v[4:5], s[6:7]
	s_and_saveexec_b64 s[16:17], vcc
; %bb.7:
	s_mov_b32 s20, 0
	s_mov_b32 s21, 0xfff00000
	v_mov_b32_e32 v4, s9
	v_cmp_eq_f64_e32 vcc, s[20:21], v[12:13]
	s_nop 1
	v_cndmask_b32_e32 v5, v13, v4, vcc
	v_mov_b32_e32 v4, s8
	v_cndmask_b32_e32 v4, v12, v4, vcc
; %bb.8:
	s_or_b64 exec, exec, s[16:17]
.LBB508_9:
	s_or_b64 exec, exec, s[14:15]
	s_waitcnt vmcnt(0)
	v_cmp_o_f64_e32 vcc, v[6:7], v[6:7]
	v_mov_b64_e32 v[10:11], s[4:5]
	s_and_saveexec_b64 s[14:15], vcc
	s_cbranch_execz .LBB508_13
; %bb.10:
	s_mov_b32 s16, 0
	s_mov_b32 s17, 0x7ff00000
	v_cmp_neq_f64_e32 vcc, s[16:17], v[6:7]
	v_mov_b64_e32 v[10:11], s[6:7]
	s_and_saveexec_b64 s[16:17], vcc
; %bb.11:
	s_mov_b32 s20, 0
	s_mov_b32 s21, 0xfff00000
	v_mov_b32_e32 v10, s9
	v_cmp_eq_f64_e32 vcc, s[20:21], v[6:7]
	s_nop 1
	v_cndmask_b32_e32 v11, v7, v10, vcc
	v_mov_b32_e32 v7, s8
	v_cndmask_b32_e32 v10, v6, v7, vcc
; %bb.12:
	s_or_b64 exec, exec, s[16:17]
.LBB508_13:
	s_or_b64 exec, exec, s[14:15]
	v_cmp_o_f64_e32 vcc, v[8:9], v[8:9]
	v_mov_b64_e32 v[12:13], s[4:5]
	s_and_saveexec_b64 s[14:15], vcc
	s_cbranch_execz .LBB508_17
; %bb.14:
	s_mov_b32 s16, 0
	s_mov_b32 s17, 0x7ff00000
	v_cmp_neq_f64_e32 vcc, s[16:17], v[8:9]
	v_mov_b64_e32 v[12:13], s[6:7]
	s_and_saveexec_b64 s[16:17], vcc
; %bb.15:
	s_mov_b32 s20, 0
	s_mov_b32 s21, 0xfff00000
	v_mov_b32_e32 v6, s9
	v_cmp_eq_f64_e32 vcc, s[20:21], v[8:9]
	s_nop 1
	v_cndmask_b32_e32 v13, v9, v6, vcc
	v_mov_b32_e32 v6, s8
	v_cndmask_b32_e32 v12, v8, v6, vcc
; %bb.16:
	s_or_b64 exec, exec, s[16:17]
.LBB508_17:
	s_or_b64 exec, exec, s[14:15]
	s_add_u32 s0, s10, s0
	s_addc_u32 s1, s11, s1
	global_store_dwordx4 v1, v[2:5], s[0:1]
	global_store_dwordx4 v1, v[10:13], s[0:1] offset:16
	s_mov_b64 s[0:1], 0
.LBB508_18:
	s_and_b64 vcc, exec, s[0:1]
	s_cbranch_vccz .LBB508_51
; %bb.19:
	v_cmp_gt_i32_e32 vcc, s18, v0
	v_mov_b64_e32 v[16:17], 0
	v_or_b32_e32 v2, s2, v0
	v_mov_b64_e32 v[18:19], 0
	v_mov_b32_e32 v1, v0
	s_and_saveexec_b64 s[0:1], vcc
	s_cbranch_execz .LBB508_21
; %bb.20:
	v_mov_b32_e32 v3, 0
	v_lshl_add_u64 v[4:5], v[2:3], 3, s[12:13]
	global_load_dwordx2 v[18:19], v[4:5], off
	v_or_b32_e32 v1, 0x100, v0
.LBB508_21:
	s_or_b64 exec, exec, s[0:1]
	v_cmp_gt_i32_e64 s[0:1], s18, v1
	s_and_saveexec_b64 s[14:15], s[0:1]
	s_cbranch_execz .LBB508_23
; %bb.22:
	v_add_u32_e32 v4, s2, v1
	v_mov_b32_e32 v5, 0
	v_lshl_add_u64 v[4:5], v[4:5], 3, s[12:13]
	global_load_dwordx2 v[16:17], v[4:5], off
	v_add_u32_e32 v1, 0x100, v1
.LBB508_23:
	s_or_b64 exec, exec, s[14:15]
	v_cmp_gt_i32_e64 s[0:1], s18, v1
	v_mov_b64_e32 v[6:7], 0
	v_mov_b64_e32 v[14:15], 0
	s_and_saveexec_b64 s[14:15], s[0:1]
	s_cbranch_execz .LBB508_25
; %bb.24:
	v_add_u32_e32 v4, s2, v1
	v_mov_b32_e32 v5, 0
	v_lshl_add_u64 v[4:5], v[4:5], 3, s[12:13]
	global_load_dwordx2 v[14:15], v[4:5], off
	v_add_u32_e32 v1, 0x100, v1
.LBB508_25:
	s_or_b64 exec, exec, s[14:15]
	v_cmp_gt_i32_e64 s[0:1], s18, v1
	s_and_saveexec_b64 s[14:15], s[0:1]
	s_cbranch_execz .LBB508_27
; %bb.26:
	v_add_u32_e32 v4, s2, v1
	v_mov_b32_e32 v5, 0
	v_lshl_add_u64 v[4:5], v[4:5], 3, s[12:13]
	global_load_dwordx2 v[6:7], v[4:5], off
.LBB508_27:
	s_or_b64 exec, exec, s[14:15]
	v_mov_b32_e32 v8, 0
	v_mov_b32_e32 v9, v8
	;; [unrolled: 1-line block ×8, first 2 shown]
	s_and_saveexec_b64 s[12:13], vcc
	s_cbranch_execz .LBB508_33
; %bb.28:
	s_waitcnt vmcnt(0)
	v_cmp_o_f64_e64 s[0:1], v[18:19], v[18:19]
	v_mov_b64_e32 v[8:9], s[4:5]
	s_and_saveexec_b64 s[14:15], s[0:1]
	s_cbranch_execz .LBB508_32
; %bb.29:
	s_mov_b32 s0, 0
	s_mov_b32 s1, 0x7ff00000
	v_cmp_neq_f64_e64 s[0:1], s[0:1], v[18:19]
	v_mov_b64_e32 v[8:9], s[6:7]
	s_and_saveexec_b64 s[16:17], s[0:1]
; %bb.30:
	s_mov_b32 s0, 0
	s_mov_b32 s1, 0xfff00000
	v_mov_b32_e32 v1, s9
	v_cmp_eq_f64_e64 s[0:1], s[0:1], v[18:19]
	s_nop 1
	v_cndmask_b32_e64 v9, v19, v1, s[0:1]
	v_mov_b32_e32 v1, s8
	v_cndmask_b32_e64 v8, v18, v1, s[0:1]
; %bb.31:
	s_or_b64 exec, exec, s[16:17]
.LBB508_32:
	s_or_b64 exec, exec, s[14:15]
	v_mov_b32_e32 v12, 0
	v_mov_b32_e32 v13, v12
	;; [unrolled: 1-line block ×6, first 2 shown]
.LBB508_33:
	s_or_b64 exec, exec, s[12:13]
	v_or_b32_e32 v1, 0x100, v0
	v_cmp_gt_i32_e64 s[0:1], s18, v1
	s_and_saveexec_b64 s[12:13], s[0:1]
	s_cbranch_execz .LBB508_39
; %bb.34:
	s_waitcnt vmcnt(0)
	v_cmp_o_f64_e64 s[0:1], v[16:17], v[16:17]
	v_mov_b64_e32 v[12:13], s[4:5]
	s_and_saveexec_b64 s[14:15], s[0:1]
	s_cbranch_execz .LBB508_38
; %bb.35:
	s_mov_b32 s0, 0
	s_mov_b32 s1, 0x7ff00000
	v_cmp_neq_f64_e64 s[0:1], s[0:1], v[16:17]
	v_mov_b64_e32 v[12:13], s[6:7]
	s_and_saveexec_b64 s[16:17], s[0:1]
; %bb.36:
	s_mov_b32 s0, 0
	s_mov_b32 s1, 0xfff00000
	v_mov_b32_e32 v3, s9
	v_cmp_eq_f64_e64 s[0:1], s[0:1], v[16:17]
	s_nop 1
	v_cndmask_b32_e64 v13, v17, v3, s[0:1]
	v_mov_b32_e32 v3, s8
	v_cndmask_b32_e64 v12, v16, v3, s[0:1]
; %bb.37:
	s_or_b64 exec, exec, s[16:17]
.LBB508_38:
	s_or_b64 exec, exec, s[14:15]
.LBB508_39:
	s_or_b64 exec, exec, s[12:13]
	v_or_b32_e32 v3, 0x200, v0
	v_cmp_gt_i32_e64 s[0:1], s18, v3
	s_and_saveexec_b64 s[12:13], s[0:1]
	s_cbranch_execz .LBB508_45
; %bb.40:
	s_waitcnt vmcnt(0)
	v_cmp_o_f64_e64 s[0:1], v[14:15], v[14:15]
	v_mov_b64_e32 v[10:11], s[4:5]
	s_and_saveexec_b64 s[14:15], s[0:1]
	s_cbranch_execz .LBB508_44
; %bb.41:
	s_mov_b32 s0, 0
	s_mov_b32 s1, 0x7ff00000
	v_cmp_neq_f64_e64 s[0:1], s[0:1], v[14:15]
	v_mov_b64_e32 v[10:11], s[6:7]
	s_and_saveexec_b64 s[16:17], s[0:1]
; %bb.42:
	s_mov_b32 s0, 0
	s_mov_b32 s1, 0xfff00000
	v_mov_b32_e32 v3, s9
	v_cmp_eq_f64_e64 s[0:1], s[0:1], v[14:15]
	s_nop 1
	v_cndmask_b32_e64 v11, v15, v3, s[0:1]
	v_mov_b32_e32 v3, s8
	v_cndmask_b32_e64 v10, v14, v3, s[0:1]
; %bb.43:
	s_or_b64 exec, exec, s[16:17]
.LBB508_44:
	s_or_b64 exec, exec, s[14:15]
.LBB508_45:
	s_or_b64 exec, exec, s[12:13]
	v_or_b32_e32 v3, 0x300, v0
	v_cmp_gt_i32_e64 s[0:1], s18, v3
	s_and_saveexec_b64 s[12:13], s[0:1]
	s_cbranch_execnz .LBB508_52
; %bb.46:
	s_or_b64 exec, exec, s[12:13]
	s_and_saveexec_b64 s[0:1], vcc
	s_xor_b64 s[0:1], exec, s[0:1]
	s_cbranch_execnz .LBB508_57
.LBB508_47:
	s_or_b64 exec, exec, s[0:1]
	v_cmp_gt_i32_e32 vcc, s18, v0
	s_and_saveexec_b64 s[0:1], vcc
	s_cbranch_execnz .LBB508_58
.LBB508_48:
	s_or_b64 exec, exec, s[0:1]
	v_cmp_gt_i32_e32 vcc, s18, v0
	s_and_saveexec_b64 s[0:1], vcc
	s_cbranch_execnz .LBB508_59
.LBB508_49:
	s_or_b64 exec, exec, s[0:1]
	v_cmp_gt_i32_e32 vcc, s18, v0
	s_and_saveexec_b64 s[0:1], vcc
	s_cbranch_execz .LBB508_51
.LBB508_50:
	v_add_u32_e32 v0, s2, v0
	v_mov_b32_e32 v1, 0
	v_lshl_add_u64 v[0:1], v[0:1], 3, s[10:11]
	global_store_dwordx2 v[0:1], v[4:5], off
.LBB508_51:
	s_endpgm
.LBB508_52:
	s_waitcnt vmcnt(0)
	v_cmp_o_f64_e64 s[0:1], v[6:7], v[6:7]
	v_mov_b64_e32 v[4:5], s[4:5]
	s_and_saveexec_b64 s[4:5], s[0:1]
	s_cbranch_execz .LBB508_56
; %bb.53:
	s_mov_b32 s0, 0
	s_mov_b32 s1, 0x7ff00000
	v_cmp_neq_f64_e64 s[0:1], s[0:1], v[6:7]
	v_mov_b64_e32 v[4:5], s[6:7]
	s_and_saveexec_b64 s[6:7], s[0:1]
; %bb.54:
	s_mov_b32 s0, 0
	s_mov_b32 s1, 0xfff00000
	v_mov_b32_e32 v3, s9
	v_cmp_eq_f64_e64 s[0:1], s[0:1], v[6:7]
	s_nop 1
	v_cndmask_b32_e64 v5, v7, v3, s[0:1]
	v_mov_b32_e32 v3, s8
	v_cndmask_b32_e64 v4, v6, v3, s[0:1]
; %bb.55:
	s_or_b64 exec, exec, s[6:7]
.LBB508_56:
	s_or_b64 exec, exec, s[4:5]
	s_or_b64 exec, exec, s[12:13]
	s_and_saveexec_b64 s[0:1], vcc
	s_xor_b64 s[0:1], exec, s[0:1]
	s_cbranch_execz .LBB508_47
.LBB508_57:
	v_mov_b32_e32 v3, 0
	v_lshl_add_u64 v[2:3], v[2:3], 3, s[10:11]
	v_mov_b32_e32 v0, v1
	global_store_dwordx2 v[2:3], v[8:9], off
	s_or_b64 exec, exec, s[0:1]
	v_cmp_gt_i32_e32 vcc, s18, v0
	s_and_saveexec_b64 s[0:1], vcc
	s_cbranch_execz .LBB508_48
.LBB508_58:
	v_add_u32_e32 v2, s2, v0
	v_mov_b32_e32 v3, 0
	v_lshl_add_u64 v[2:3], v[2:3], 3, s[10:11]
	v_add_u32_e32 v0, 0x100, v0
	global_store_dwordx2 v[2:3], v[12:13], off
	s_or_b64 exec, exec, s[0:1]
	v_cmp_gt_i32_e32 vcc, s18, v0
	s_and_saveexec_b64 s[0:1], vcc
	s_cbranch_execz .LBB508_49
.LBB508_59:
	v_add_u32_e32 v2, s2, v0
	v_mov_b32_e32 v3, 0
	v_lshl_add_u64 v[2:3], v[2:3], 3, s[10:11]
	v_add_u32_e32 v0, 0x100, v0
	global_store_dwordx2 v[2:3], v[10:11], off
	s_or_b64 exec, exec, s[0:1]
	v_cmp_gt_i32_e32 vcc, s18, v0
	s_and_saveexec_b64 s[0:1], vcc
	s_cbranch_execnz .LBB508_50
	s_branch .LBB508_51
	.section	.rodata,"a",@progbits
	.p2align	6, 0x0
	.amdhsa_kernel _ZN2at6native29vectorized_elementwise_kernelILi4EZZZNS0_22nan_to_num_kernel_cudaERNS_18TensorIteratorBaseESt8optionalIdES5_S5_ENKUlvE0_clEvENKUlvE_clEvEUldE_St5arrayIPcLm2EEEEviT0_T1_
		.amdhsa_group_segment_fixed_size 0
		.amdhsa_private_segment_fixed_size 0
		.amdhsa_kernarg_size 48
		.amdhsa_user_sgpr_count 2
		.amdhsa_user_sgpr_dispatch_ptr 0
		.amdhsa_user_sgpr_queue_ptr 0
		.amdhsa_user_sgpr_kernarg_segment_ptr 1
		.amdhsa_user_sgpr_dispatch_id 0
		.amdhsa_user_sgpr_kernarg_preload_length 0
		.amdhsa_user_sgpr_kernarg_preload_offset 0
		.amdhsa_user_sgpr_private_segment_size 0
		.amdhsa_uses_dynamic_stack 0
		.amdhsa_enable_private_segment 0
		.amdhsa_system_sgpr_workgroup_id_x 1
		.amdhsa_system_sgpr_workgroup_id_y 0
		.amdhsa_system_sgpr_workgroup_id_z 0
		.amdhsa_system_sgpr_workgroup_info 0
		.amdhsa_system_vgpr_workitem_id 0
		.amdhsa_next_free_vgpr 20
		.amdhsa_next_free_sgpr 22
		.amdhsa_accum_offset 20
		.amdhsa_reserve_vcc 1
		.amdhsa_float_round_mode_32 0
		.amdhsa_float_round_mode_16_64 0
		.amdhsa_float_denorm_mode_32 3
		.amdhsa_float_denorm_mode_16_64 3
		.amdhsa_dx10_clamp 1
		.amdhsa_ieee_mode 1
		.amdhsa_fp16_overflow 0
		.amdhsa_tg_split 0
		.amdhsa_exception_fp_ieee_invalid_op 0
		.amdhsa_exception_fp_denorm_src 0
		.amdhsa_exception_fp_ieee_div_zero 0
		.amdhsa_exception_fp_ieee_overflow 0
		.amdhsa_exception_fp_ieee_underflow 0
		.amdhsa_exception_fp_ieee_inexact 0
		.amdhsa_exception_int_div_zero 0
	.end_amdhsa_kernel
	.section	.text._ZN2at6native29vectorized_elementwise_kernelILi4EZZZNS0_22nan_to_num_kernel_cudaERNS_18TensorIteratorBaseESt8optionalIdES5_S5_ENKUlvE0_clEvENKUlvE_clEvEUldE_St5arrayIPcLm2EEEEviT0_T1_,"axG",@progbits,_ZN2at6native29vectorized_elementwise_kernelILi4EZZZNS0_22nan_to_num_kernel_cudaERNS_18TensorIteratorBaseESt8optionalIdES5_S5_ENKUlvE0_clEvENKUlvE_clEvEUldE_St5arrayIPcLm2EEEEviT0_T1_,comdat
.Lfunc_end508:
	.size	_ZN2at6native29vectorized_elementwise_kernelILi4EZZZNS0_22nan_to_num_kernel_cudaERNS_18TensorIteratorBaseESt8optionalIdES5_S5_ENKUlvE0_clEvENKUlvE_clEvEUldE_St5arrayIPcLm2EEEEviT0_T1_, .Lfunc_end508-_ZN2at6native29vectorized_elementwise_kernelILi4EZZZNS0_22nan_to_num_kernel_cudaERNS_18TensorIteratorBaseESt8optionalIdES5_S5_ENKUlvE0_clEvENKUlvE_clEvEUldE_St5arrayIPcLm2EEEEviT0_T1_
                                        ; -- End function
	.set _ZN2at6native29vectorized_elementwise_kernelILi4EZZZNS0_22nan_to_num_kernel_cudaERNS_18TensorIteratorBaseESt8optionalIdES5_S5_ENKUlvE0_clEvENKUlvE_clEvEUldE_St5arrayIPcLm2EEEEviT0_T1_.num_vgpr, 20
	.set _ZN2at6native29vectorized_elementwise_kernelILi4EZZZNS0_22nan_to_num_kernel_cudaERNS_18TensorIteratorBaseESt8optionalIdES5_S5_ENKUlvE0_clEvENKUlvE_clEvEUldE_St5arrayIPcLm2EEEEviT0_T1_.num_agpr, 0
	.set _ZN2at6native29vectorized_elementwise_kernelILi4EZZZNS0_22nan_to_num_kernel_cudaERNS_18TensorIteratorBaseESt8optionalIdES5_S5_ENKUlvE0_clEvENKUlvE_clEvEUldE_St5arrayIPcLm2EEEEviT0_T1_.numbered_sgpr, 22
	.set _ZN2at6native29vectorized_elementwise_kernelILi4EZZZNS0_22nan_to_num_kernel_cudaERNS_18TensorIteratorBaseESt8optionalIdES5_S5_ENKUlvE0_clEvENKUlvE_clEvEUldE_St5arrayIPcLm2EEEEviT0_T1_.num_named_barrier, 0
	.set _ZN2at6native29vectorized_elementwise_kernelILi4EZZZNS0_22nan_to_num_kernel_cudaERNS_18TensorIteratorBaseESt8optionalIdES5_S5_ENKUlvE0_clEvENKUlvE_clEvEUldE_St5arrayIPcLm2EEEEviT0_T1_.private_seg_size, 0
	.set _ZN2at6native29vectorized_elementwise_kernelILi4EZZZNS0_22nan_to_num_kernel_cudaERNS_18TensorIteratorBaseESt8optionalIdES5_S5_ENKUlvE0_clEvENKUlvE_clEvEUldE_St5arrayIPcLm2EEEEviT0_T1_.uses_vcc, 1
	.set _ZN2at6native29vectorized_elementwise_kernelILi4EZZZNS0_22nan_to_num_kernel_cudaERNS_18TensorIteratorBaseESt8optionalIdES5_S5_ENKUlvE0_clEvENKUlvE_clEvEUldE_St5arrayIPcLm2EEEEviT0_T1_.uses_flat_scratch, 0
	.set _ZN2at6native29vectorized_elementwise_kernelILi4EZZZNS0_22nan_to_num_kernel_cudaERNS_18TensorIteratorBaseESt8optionalIdES5_S5_ENKUlvE0_clEvENKUlvE_clEvEUldE_St5arrayIPcLm2EEEEviT0_T1_.has_dyn_sized_stack, 0
	.set _ZN2at6native29vectorized_elementwise_kernelILi4EZZZNS0_22nan_to_num_kernel_cudaERNS_18TensorIteratorBaseESt8optionalIdES5_S5_ENKUlvE0_clEvENKUlvE_clEvEUldE_St5arrayIPcLm2EEEEviT0_T1_.has_recursion, 0
	.set _ZN2at6native29vectorized_elementwise_kernelILi4EZZZNS0_22nan_to_num_kernel_cudaERNS_18TensorIteratorBaseESt8optionalIdES5_S5_ENKUlvE0_clEvENKUlvE_clEvEUldE_St5arrayIPcLm2EEEEviT0_T1_.has_indirect_call, 0
	.section	.AMDGPU.csdata,"",@progbits
; Kernel info:
; codeLenInByte = 1508
; TotalNumSgprs: 28
; NumVgprs: 20
; NumAgprs: 0
; TotalNumVgprs: 20
; ScratchSize: 0
; MemoryBound: 1
; FloatMode: 240
; IeeeMode: 1
; LDSByteSize: 0 bytes/workgroup (compile time only)
; SGPRBlocks: 3
; VGPRBlocks: 2
; NumSGPRsForWavesPerEU: 28
; NumVGPRsForWavesPerEU: 20
; AccumOffset: 20
; Occupancy: 8
; WaveLimiterHint : 0
; COMPUTE_PGM_RSRC2:SCRATCH_EN: 0
; COMPUTE_PGM_RSRC2:USER_SGPR: 2
; COMPUTE_PGM_RSRC2:TRAP_HANDLER: 0
; COMPUTE_PGM_RSRC2:TGID_X_EN: 1
; COMPUTE_PGM_RSRC2:TGID_Y_EN: 0
; COMPUTE_PGM_RSRC2:TGID_Z_EN: 0
; COMPUTE_PGM_RSRC2:TIDIG_COMP_CNT: 0
; COMPUTE_PGM_RSRC3_GFX90A:ACCUM_OFFSET: 4
; COMPUTE_PGM_RSRC3_GFX90A:TG_SPLIT: 0
	.section	.text._ZN2at6native29vectorized_elementwise_kernelILi2EZZZNS0_22nan_to_num_kernel_cudaERNS_18TensorIteratorBaseESt8optionalIdES5_S5_ENKUlvE0_clEvENKUlvE_clEvEUldE_St5arrayIPcLm2EEEEviT0_T1_,"axG",@progbits,_ZN2at6native29vectorized_elementwise_kernelILi2EZZZNS0_22nan_to_num_kernel_cudaERNS_18TensorIteratorBaseESt8optionalIdES5_S5_ENKUlvE0_clEvENKUlvE_clEvEUldE_St5arrayIPcLm2EEEEviT0_T1_,comdat
	.globl	_ZN2at6native29vectorized_elementwise_kernelILi2EZZZNS0_22nan_to_num_kernel_cudaERNS_18TensorIteratorBaseESt8optionalIdES5_S5_ENKUlvE0_clEvENKUlvE_clEvEUldE_St5arrayIPcLm2EEEEviT0_T1_ ; -- Begin function _ZN2at6native29vectorized_elementwise_kernelILi2EZZZNS0_22nan_to_num_kernel_cudaERNS_18TensorIteratorBaseESt8optionalIdES5_S5_ENKUlvE0_clEvENKUlvE_clEvEUldE_St5arrayIPcLm2EEEEviT0_T1_
	.p2align	8
	.type	_ZN2at6native29vectorized_elementwise_kernelILi2EZZZNS0_22nan_to_num_kernel_cudaERNS_18TensorIteratorBaseESt8optionalIdES5_S5_ENKUlvE0_clEvENKUlvE_clEvEUldE_St5arrayIPcLm2EEEEviT0_T1_,@function
_ZN2at6native29vectorized_elementwise_kernelILi2EZZZNS0_22nan_to_num_kernel_cudaERNS_18TensorIteratorBaseESt8optionalIdES5_S5_ENKUlvE0_clEvENKUlvE_clEvEUldE_St5arrayIPcLm2EEEEviT0_T1_: ; @_ZN2at6native29vectorized_elementwise_kernelILi2EZZZNS0_22nan_to_num_kernel_cudaERNS_18TensorIteratorBaseESt8optionalIdES5_S5_ENKUlvE0_clEvENKUlvE_clEvEUldE_St5arrayIPcLm2EEEEviT0_T1_
; %bb.0:
	s_load_dword s3, s[0:1], 0x0
	s_load_dwordx8 s[4:11], s[0:1], 0x8
	s_load_dwordx2 s[12:13], s[0:1], 0x28
	s_lshl_b32 s2, s2, 10
	s_mov_b64 s[0:1], -1
	s_waitcnt lgkmcnt(0)
	s_sub_i32 s18, s3, s2
	s_cmpk_gt_i32 s18, 0x3ff
	s_cbranch_scc0 .LBB509_18
; %bb.1:
	s_ashr_i32 s3, s2, 31
	s_lshl_b64 s[0:1], s[2:3], 3
	s_add_u32 s14, s12, s0
	s_addc_u32 s15, s13, s1
	v_mov_b32_e32 v15, 0
	v_lshlrev_b32_e32 v14, 4, v0
	v_lshl_add_u64 v[2:3], s[14:15], 0, v[14:15]
	v_add_co_u32_e32 v2, vcc, 0x1000, v2
	global_load_dwordx4 v[10:13], v14, s[14:15]
	s_nop 0
	v_addc_co_u32_e32 v3, vcc, 0, v3, vcc
	global_load_dwordx4 v[6:9], v[2:3], off
	v_mov_b64_e32 v[2:3], s[4:5]
	s_waitcnt vmcnt(1)
	v_cmp_o_f64_e32 vcc, v[10:11], v[10:11]
	s_and_saveexec_b64 s[14:15], vcc
	s_cbranch_execz .LBB509_5
; %bb.2:
	s_mov_b32 s16, 0
	s_mov_b32 s17, 0x7ff00000
	v_cmp_neq_f64_e32 vcc, s[16:17], v[10:11]
	v_mov_b64_e32 v[2:3], s[6:7]
	s_and_saveexec_b64 s[16:17], vcc
; %bb.3:
	s_mov_b32 s20, 0
	s_mov_b32 s21, 0xfff00000
	v_mov_b32_e32 v1, s9
	v_cmp_eq_f64_e32 vcc, s[20:21], v[10:11]
	s_nop 1
	v_cndmask_b32_e32 v3, v11, v1, vcc
	v_mov_b32_e32 v1, s8
	v_cndmask_b32_e32 v2, v10, v1, vcc
; %bb.4:
	s_or_b64 exec, exec, s[16:17]
.LBB509_5:
	s_or_b64 exec, exec, s[14:15]
	v_cmp_o_f64_e32 vcc, v[12:13], v[12:13]
	v_mov_b64_e32 v[4:5], s[4:5]
	s_and_saveexec_b64 s[14:15], vcc
	s_cbranch_execz .LBB509_9
; %bb.6:
	s_mov_b32 s16, 0
	s_mov_b32 s17, 0x7ff00000
	v_cmp_neq_f64_e32 vcc, s[16:17], v[12:13]
	v_mov_b64_e32 v[4:5], s[6:7]
	s_and_saveexec_b64 s[16:17], vcc
; %bb.7:
	s_mov_b32 s20, 0
	s_mov_b32 s21, 0xfff00000
	v_mov_b32_e32 v1, s9
	v_cmp_eq_f64_e32 vcc, s[20:21], v[12:13]
	s_nop 1
	v_cndmask_b32_e32 v5, v13, v1, vcc
	v_mov_b32_e32 v1, s8
	v_cndmask_b32_e32 v4, v12, v1, vcc
; %bb.8:
	s_or_b64 exec, exec, s[16:17]
.LBB509_9:
	s_or_b64 exec, exec, s[14:15]
	s_waitcnt vmcnt(0)
	v_cmp_o_f64_e32 vcc, v[6:7], v[6:7]
	v_mov_b64_e32 v[10:11], s[4:5]
	s_and_saveexec_b64 s[14:15], vcc
	s_cbranch_execz .LBB509_13
; %bb.10:
	s_mov_b32 s16, 0
	s_mov_b32 s17, 0x7ff00000
	v_cmp_neq_f64_e32 vcc, s[16:17], v[6:7]
	v_mov_b64_e32 v[10:11], s[6:7]
	s_and_saveexec_b64 s[16:17], vcc
; %bb.11:
	s_mov_b32 s20, 0
	s_mov_b32 s21, 0xfff00000
	v_mov_b32_e32 v1, s9
	v_cmp_eq_f64_e32 vcc, s[20:21], v[6:7]
	s_nop 1
	v_cndmask_b32_e32 v11, v7, v1, vcc
	v_mov_b32_e32 v1, s8
	v_cndmask_b32_e32 v10, v6, v1, vcc
; %bb.12:
	s_or_b64 exec, exec, s[16:17]
.LBB509_13:
	s_or_b64 exec, exec, s[14:15]
	v_cmp_o_f64_e32 vcc, v[8:9], v[8:9]
	v_mov_b64_e32 v[12:13], s[4:5]
	s_and_saveexec_b64 s[14:15], vcc
	s_cbranch_execz .LBB509_17
; %bb.14:
	s_mov_b32 s16, 0
	s_mov_b32 s17, 0x7ff00000
	v_cmp_neq_f64_e32 vcc, s[16:17], v[8:9]
	v_mov_b64_e32 v[12:13], s[6:7]
	s_and_saveexec_b64 s[16:17], vcc
; %bb.15:
	s_mov_b32 s20, 0
	s_mov_b32 s21, 0xfff00000
	v_mov_b32_e32 v1, s9
	v_cmp_eq_f64_e32 vcc, s[20:21], v[8:9]
	s_nop 1
	v_cndmask_b32_e32 v13, v9, v1, vcc
	v_mov_b32_e32 v1, s8
	v_cndmask_b32_e32 v12, v8, v1, vcc
; %bb.16:
	s_or_b64 exec, exec, s[16:17]
.LBB509_17:
	s_or_b64 exec, exec, s[14:15]
	s_add_u32 s0, s10, s0
	s_addc_u32 s1, s11, s1
	v_mov_b32_e32 v15, 0
	v_lshl_add_u64 v[6:7], s[0:1], 0, v[14:15]
	global_store_dwordx4 v14, v[2:5], s[0:1]
	s_mov_b64 s[0:1], 0
	s_nop 0
	v_add_co_u32_e32 v2, vcc, 0x1000, v6
	s_nop 1
	v_addc_co_u32_e32 v3, vcc, 0, v7, vcc
	global_store_dwordx4 v[2:3], v[10:13], off
.LBB509_18:
	s_and_b64 vcc, exec, s[0:1]
	s_cbranch_vccz .LBB509_51
; %bb.19:
	v_cmp_gt_i32_e32 vcc, s18, v0
	v_mov_b64_e32 v[16:17], 0
	v_or_b32_e32 v2, s2, v0
	v_mov_b64_e32 v[18:19], 0
	v_mov_b32_e32 v1, v0
	s_and_saveexec_b64 s[0:1], vcc
	s_cbranch_execz .LBB509_21
; %bb.20:
	v_mov_b32_e32 v3, 0
	v_lshl_add_u64 v[4:5], v[2:3], 3, s[12:13]
	global_load_dwordx2 v[18:19], v[4:5], off
	v_or_b32_e32 v1, 0x100, v0
.LBB509_21:
	s_or_b64 exec, exec, s[0:1]
	v_cmp_gt_i32_e64 s[0:1], s18, v1
	s_and_saveexec_b64 s[14:15], s[0:1]
	s_cbranch_execz .LBB509_23
; %bb.22:
	v_add_u32_e32 v4, s2, v1
	v_mov_b32_e32 v5, 0
	v_lshl_add_u64 v[4:5], v[4:5], 3, s[12:13]
	global_load_dwordx2 v[16:17], v[4:5], off
	v_add_u32_e32 v1, 0x100, v1
.LBB509_23:
	s_or_b64 exec, exec, s[14:15]
	v_cmp_gt_i32_e64 s[0:1], s18, v1
	v_mov_b64_e32 v[6:7], 0
	v_mov_b64_e32 v[14:15], 0
	s_and_saveexec_b64 s[14:15], s[0:1]
	s_cbranch_execz .LBB509_25
; %bb.24:
	v_add_u32_e32 v4, s2, v1
	v_mov_b32_e32 v5, 0
	v_lshl_add_u64 v[4:5], v[4:5], 3, s[12:13]
	global_load_dwordx2 v[14:15], v[4:5], off
	v_add_u32_e32 v1, 0x100, v1
.LBB509_25:
	s_or_b64 exec, exec, s[14:15]
	v_cmp_gt_i32_e64 s[0:1], s18, v1
	s_and_saveexec_b64 s[14:15], s[0:1]
	s_cbranch_execz .LBB509_27
; %bb.26:
	v_add_u32_e32 v4, s2, v1
	v_mov_b32_e32 v5, 0
	v_lshl_add_u64 v[4:5], v[4:5], 3, s[12:13]
	global_load_dwordx2 v[6:7], v[4:5], off
.LBB509_27:
	s_or_b64 exec, exec, s[14:15]
	v_mov_b32_e32 v8, 0
	v_mov_b32_e32 v9, v8
	;; [unrolled: 1-line block ×8, first 2 shown]
	s_and_saveexec_b64 s[12:13], vcc
	s_cbranch_execz .LBB509_33
; %bb.28:
	s_waitcnt vmcnt(0)
	v_cmp_o_f64_e64 s[0:1], v[18:19], v[18:19]
	v_mov_b64_e32 v[8:9], s[4:5]
	s_and_saveexec_b64 s[14:15], s[0:1]
	s_cbranch_execz .LBB509_32
; %bb.29:
	s_mov_b32 s0, 0
	s_mov_b32 s1, 0x7ff00000
	v_cmp_neq_f64_e64 s[0:1], s[0:1], v[18:19]
	v_mov_b64_e32 v[8:9], s[6:7]
	s_and_saveexec_b64 s[16:17], s[0:1]
; %bb.30:
	s_mov_b32 s0, 0
	s_mov_b32 s1, 0xfff00000
	v_mov_b32_e32 v1, s9
	v_cmp_eq_f64_e64 s[0:1], s[0:1], v[18:19]
	s_nop 1
	v_cndmask_b32_e64 v9, v19, v1, s[0:1]
	v_mov_b32_e32 v1, s8
	v_cndmask_b32_e64 v8, v18, v1, s[0:1]
; %bb.31:
	s_or_b64 exec, exec, s[16:17]
.LBB509_32:
	s_or_b64 exec, exec, s[14:15]
	v_mov_b32_e32 v12, 0
	v_mov_b32_e32 v13, v12
	;; [unrolled: 1-line block ×6, first 2 shown]
.LBB509_33:
	s_or_b64 exec, exec, s[12:13]
	v_or_b32_e32 v1, 0x100, v0
	v_cmp_gt_i32_e64 s[0:1], s18, v1
	s_and_saveexec_b64 s[12:13], s[0:1]
	s_cbranch_execz .LBB509_39
; %bb.34:
	s_waitcnt vmcnt(0)
	v_cmp_o_f64_e64 s[0:1], v[16:17], v[16:17]
	v_mov_b64_e32 v[12:13], s[4:5]
	s_and_saveexec_b64 s[14:15], s[0:1]
	s_cbranch_execz .LBB509_38
; %bb.35:
	s_mov_b32 s0, 0
	s_mov_b32 s1, 0x7ff00000
	v_cmp_neq_f64_e64 s[0:1], s[0:1], v[16:17]
	v_mov_b64_e32 v[12:13], s[6:7]
	s_and_saveexec_b64 s[16:17], s[0:1]
; %bb.36:
	s_mov_b32 s0, 0
	s_mov_b32 s1, 0xfff00000
	v_mov_b32_e32 v3, s9
	v_cmp_eq_f64_e64 s[0:1], s[0:1], v[16:17]
	s_nop 1
	v_cndmask_b32_e64 v13, v17, v3, s[0:1]
	v_mov_b32_e32 v3, s8
	v_cndmask_b32_e64 v12, v16, v3, s[0:1]
; %bb.37:
	s_or_b64 exec, exec, s[16:17]
.LBB509_38:
	s_or_b64 exec, exec, s[14:15]
.LBB509_39:
	s_or_b64 exec, exec, s[12:13]
	v_or_b32_e32 v3, 0x200, v0
	v_cmp_gt_i32_e64 s[0:1], s18, v3
	s_and_saveexec_b64 s[12:13], s[0:1]
	s_cbranch_execz .LBB509_45
; %bb.40:
	s_waitcnt vmcnt(0)
	v_cmp_o_f64_e64 s[0:1], v[14:15], v[14:15]
	v_mov_b64_e32 v[10:11], s[4:5]
	s_and_saveexec_b64 s[14:15], s[0:1]
	s_cbranch_execz .LBB509_44
; %bb.41:
	s_mov_b32 s0, 0
	s_mov_b32 s1, 0x7ff00000
	v_cmp_neq_f64_e64 s[0:1], s[0:1], v[14:15]
	v_mov_b64_e32 v[10:11], s[6:7]
	s_and_saveexec_b64 s[16:17], s[0:1]
; %bb.42:
	s_mov_b32 s0, 0
	s_mov_b32 s1, 0xfff00000
	v_mov_b32_e32 v3, s9
	v_cmp_eq_f64_e64 s[0:1], s[0:1], v[14:15]
	s_nop 1
	v_cndmask_b32_e64 v11, v15, v3, s[0:1]
	v_mov_b32_e32 v3, s8
	v_cndmask_b32_e64 v10, v14, v3, s[0:1]
; %bb.43:
	s_or_b64 exec, exec, s[16:17]
.LBB509_44:
	s_or_b64 exec, exec, s[14:15]
.LBB509_45:
	s_or_b64 exec, exec, s[12:13]
	v_or_b32_e32 v3, 0x300, v0
	v_cmp_gt_i32_e64 s[0:1], s18, v3
	s_and_saveexec_b64 s[12:13], s[0:1]
	s_cbranch_execnz .LBB509_52
; %bb.46:
	s_or_b64 exec, exec, s[12:13]
	s_and_saveexec_b64 s[0:1], vcc
	s_xor_b64 s[0:1], exec, s[0:1]
	s_cbranch_execnz .LBB509_57
.LBB509_47:
	s_or_b64 exec, exec, s[0:1]
	v_cmp_gt_i32_e32 vcc, s18, v0
	s_and_saveexec_b64 s[0:1], vcc
	s_cbranch_execnz .LBB509_58
.LBB509_48:
	s_or_b64 exec, exec, s[0:1]
	v_cmp_gt_i32_e32 vcc, s18, v0
	s_and_saveexec_b64 s[0:1], vcc
	s_cbranch_execnz .LBB509_59
.LBB509_49:
	s_or_b64 exec, exec, s[0:1]
	v_cmp_gt_i32_e32 vcc, s18, v0
	s_and_saveexec_b64 s[0:1], vcc
	s_cbranch_execz .LBB509_51
.LBB509_50:
	v_add_u32_e32 v0, s2, v0
	v_mov_b32_e32 v1, 0
	v_lshl_add_u64 v[0:1], v[0:1], 3, s[10:11]
	global_store_dwordx2 v[0:1], v[4:5], off
.LBB509_51:
	s_endpgm
.LBB509_52:
	s_waitcnt vmcnt(0)
	v_cmp_o_f64_e64 s[0:1], v[6:7], v[6:7]
	v_mov_b64_e32 v[4:5], s[4:5]
	s_and_saveexec_b64 s[4:5], s[0:1]
	s_cbranch_execz .LBB509_56
; %bb.53:
	s_mov_b32 s0, 0
	s_mov_b32 s1, 0x7ff00000
	v_cmp_neq_f64_e64 s[0:1], s[0:1], v[6:7]
	v_mov_b64_e32 v[4:5], s[6:7]
	s_and_saveexec_b64 s[6:7], s[0:1]
; %bb.54:
	s_mov_b32 s0, 0
	s_mov_b32 s1, 0xfff00000
	v_mov_b32_e32 v3, s9
	v_cmp_eq_f64_e64 s[0:1], s[0:1], v[6:7]
	s_nop 1
	v_cndmask_b32_e64 v5, v7, v3, s[0:1]
	v_mov_b32_e32 v3, s8
	v_cndmask_b32_e64 v4, v6, v3, s[0:1]
; %bb.55:
	s_or_b64 exec, exec, s[6:7]
.LBB509_56:
	s_or_b64 exec, exec, s[4:5]
	s_or_b64 exec, exec, s[12:13]
	s_and_saveexec_b64 s[0:1], vcc
	s_xor_b64 s[0:1], exec, s[0:1]
	s_cbranch_execz .LBB509_47
.LBB509_57:
	v_mov_b32_e32 v3, 0
	v_lshl_add_u64 v[2:3], v[2:3], 3, s[10:11]
	v_mov_b32_e32 v0, v1
	global_store_dwordx2 v[2:3], v[8:9], off
	s_or_b64 exec, exec, s[0:1]
	v_cmp_gt_i32_e32 vcc, s18, v0
	s_and_saveexec_b64 s[0:1], vcc
	s_cbranch_execz .LBB509_48
.LBB509_58:
	v_add_u32_e32 v2, s2, v0
	v_mov_b32_e32 v3, 0
	v_lshl_add_u64 v[2:3], v[2:3], 3, s[10:11]
	v_add_u32_e32 v0, 0x100, v0
	global_store_dwordx2 v[2:3], v[12:13], off
	s_or_b64 exec, exec, s[0:1]
	v_cmp_gt_i32_e32 vcc, s18, v0
	s_and_saveexec_b64 s[0:1], vcc
	s_cbranch_execz .LBB509_49
.LBB509_59:
	v_add_u32_e32 v2, s2, v0
	v_mov_b32_e32 v3, 0
	v_lshl_add_u64 v[2:3], v[2:3], 3, s[10:11]
	v_add_u32_e32 v0, 0x100, v0
	global_store_dwordx2 v[2:3], v[10:11], off
	s_or_b64 exec, exec, s[0:1]
	v_cmp_gt_i32_e32 vcc, s18, v0
	s_and_saveexec_b64 s[0:1], vcc
	s_cbranch_execnz .LBB509_50
	s_branch .LBB509_51
	.section	.rodata,"a",@progbits
	.p2align	6, 0x0
	.amdhsa_kernel _ZN2at6native29vectorized_elementwise_kernelILi2EZZZNS0_22nan_to_num_kernel_cudaERNS_18TensorIteratorBaseESt8optionalIdES5_S5_ENKUlvE0_clEvENKUlvE_clEvEUldE_St5arrayIPcLm2EEEEviT0_T1_
		.amdhsa_group_segment_fixed_size 0
		.amdhsa_private_segment_fixed_size 0
		.amdhsa_kernarg_size 48
		.amdhsa_user_sgpr_count 2
		.amdhsa_user_sgpr_dispatch_ptr 0
		.amdhsa_user_sgpr_queue_ptr 0
		.amdhsa_user_sgpr_kernarg_segment_ptr 1
		.amdhsa_user_sgpr_dispatch_id 0
		.amdhsa_user_sgpr_kernarg_preload_length 0
		.amdhsa_user_sgpr_kernarg_preload_offset 0
		.amdhsa_user_sgpr_private_segment_size 0
		.amdhsa_uses_dynamic_stack 0
		.amdhsa_enable_private_segment 0
		.amdhsa_system_sgpr_workgroup_id_x 1
		.amdhsa_system_sgpr_workgroup_id_y 0
		.amdhsa_system_sgpr_workgroup_id_z 0
		.amdhsa_system_sgpr_workgroup_info 0
		.amdhsa_system_vgpr_workitem_id 0
		.amdhsa_next_free_vgpr 20
		.amdhsa_next_free_sgpr 22
		.amdhsa_accum_offset 20
		.amdhsa_reserve_vcc 1
		.amdhsa_float_round_mode_32 0
		.amdhsa_float_round_mode_16_64 0
		.amdhsa_float_denorm_mode_32 3
		.amdhsa_float_denorm_mode_16_64 3
		.amdhsa_dx10_clamp 1
		.amdhsa_ieee_mode 1
		.amdhsa_fp16_overflow 0
		.amdhsa_tg_split 0
		.amdhsa_exception_fp_ieee_invalid_op 0
		.amdhsa_exception_fp_denorm_src 0
		.amdhsa_exception_fp_ieee_div_zero 0
		.amdhsa_exception_fp_ieee_overflow 0
		.amdhsa_exception_fp_ieee_underflow 0
		.amdhsa_exception_fp_ieee_inexact 0
		.amdhsa_exception_int_div_zero 0
	.end_amdhsa_kernel
	.section	.text._ZN2at6native29vectorized_elementwise_kernelILi2EZZZNS0_22nan_to_num_kernel_cudaERNS_18TensorIteratorBaseESt8optionalIdES5_S5_ENKUlvE0_clEvENKUlvE_clEvEUldE_St5arrayIPcLm2EEEEviT0_T1_,"axG",@progbits,_ZN2at6native29vectorized_elementwise_kernelILi2EZZZNS0_22nan_to_num_kernel_cudaERNS_18TensorIteratorBaseESt8optionalIdES5_S5_ENKUlvE0_clEvENKUlvE_clEvEUldE_St5arrayIPcLm2EEEEviT0_T1_,comdat
.Lfunc_end509:
	.size	_ZN2at6native29vectorized_elementwise_kernelILi2EZZZNS0_22nan_to_num_kernel_cudaERNS_18TensorIteratorBaseESt8optionalIdES5_S5_ENKUlvE0_clEvENKUlvE_clEvEUldE_St5arrayIPcLm2EEEEviT0_T1_, .Lfunc_end509-_ZN2at6native29vectorized_elementwise_kernelILi2EZZZNS0_22nan_to_num_kernel_cudaERNS_18TensorIteratorBaseESt8optionalIdES5_S5_ENKUlvE0_clEvENKUlvE_clEvEUldE_St5arrayIPcLm2EEEEviT0_T1_
                                        ; -- End function
	.set _ZN2at6native29vectorized_elementwise_kernelILi2EZZZNS0_22nan_to_num_kernel_cudaERNS_18TensorIteratorBaseESt8optionalIdES5_S5_ENKUlvE0_clEvENKUlvE_clEvEUldE_St5arrayIPcLm2EEEEviT0_T1_.num_vgpr, 20
	.set _ZN2at6native29vectorized_elementwise_kernelILi2EZZZNS0_22nan_to_num_kernel_cudaERNS_18TensorIteratorBaseESt8optionalIdES5_S5_ENKUlvE0_clEvENKUlvE_clEvEUldE_St5arrayIPcLm2EEEEviT0_T1_.num_agpr, 0
	.set _ZN2at6native29vectorized_elementwise_kernelILi2EZZZNS0_22nan_to_num_kernel_cudaERNS_18TensorIteratorBaseESt8optionalIdES5_S5_ENKUlvE0_clEvENKUlvE_clEvEUldE_St5arrayIPcLm2EEEEviT0_T1_.numbered_sgpr, 22
	.set _ZN2at6native29vectorized_elementwise_kernelILi2EZZZNS0_22nan_to_num_kernel_cudaERNS_18TensorIteratorBaseESt8optionalIdES5_S5_ENKUlvE0_clEvENKUlvE_clEvEUldE_St5arrayIPcLm2EEEEviT0_T1_.num_named_barrier, 0
	.set _ZN2at6native29vectorized_elementwise_kernelILi2EZZZNS0_22nan_to_num_kernel_cudaERNS_18TensorIteratorBaseESt8optionalIdES5_S5_ENKUlvE0_clEvENKUlvE_clEvEUldE_St5arrayIPcLm2EEEEviT0_T1_.private_seg_size, 0
	.set _ZN2at6native29vectorized_elementwise_kernelILi2EZZZNS0_22nan_to_num_kernel_cudaERNS_18TensorIteratorBaseESt8optionalIdES5_S5_ENKUlvE0_clEvENKUlvE_clEvEUldE_St5arrayIPcLm2EEEEviT0_T1_.uses_vcc, 1
	.set _ZN2at6native29vectorized_elementwise_kernelILi2EZZZNS0_22nan_to_num_kernel_cudaERNS_18TensorIteratorBaseESt8optionalIdES5_S5_ENKUlvE0_clEvENKUlvE_clEvEUldE_St5arrayIPcLm2EEEEviT0_T1_.uses_flat_scratch, 0
	.set _ZN2at6native29vectorized_elementwise_kernelILi2EZZZNS0_22nan_to_num_kernel_cudaERNS_18TensorIteratorBaseESt8optionalIdES5_S5_ENKUlvE0_clEvENKUlvE_clEvEUldE_St5arrayIPcLm2EEEEviT0_T1_.has_dyn_sized_stack, 0
	.set _ZN2at6native29vectorized_elementwise_kernelILi2EZZZNS0_22nan_to_num_kernel_cudaERNS_18TensorIteratorBaseESt8optionalIdES5_S5_ENKUlvE0_clEvENKUlvE_clEvEUldE_St5arrayIPcLm2EEEEviT0_T1_.has_recursion, 0
	.set _ZN2at6native29vectorized_elementwise_kernelILi2EZZZNS0_22nan_to_num_kernel_cudaERNS_18TensorIteratorBaseESt8optionalIdES5_S5_ENKUlvE0_clEvENKUlvE_clEvEUldE_St5arrayIPcLm2EEEEviT0_T1_.has_indirect_call, 0
	.section	.AMDGPU.csdata,"",@progbits
; Kernel info:
; codeLenInByte = 1568
; TotalNumSgprs: 28
; NumVgprs: 20
; NumAgprs: 0
; TotalNumVgprs: 20
; ScratchSize: 0
; MemoryBound: 0
; FloatMode: 240
; IeeeMode: 1
; LDSByteSize: 0 bytes/workgroup (compile time only)
; SGPRBlocks: 3
; VGPRBlocks: 2
; NumSGPRsForWavesPerEU: 28
; NumVGPRsForWavesPerEU: 20
; AccumOffset: 20
; Occupancy: 8
; WaveLimiterHint : 1
; COMPUTE_PGM_RSRC2:SCRATCH_EN: 0
; COMPUTE_PGM_RSRC2:USER_SGPR: 2
; COMPUTE_PGM_RSRC2:TRAP_HANDLER: 0
; COMPUTE_PGM_RSRC2:TGID_X_EN: 1
; COMPUTE_PGM_RSRC2:TGID_Y_EN: 0
; COMPUTE_PGM_RSRC2:TGID_Z_EN: 0
; COMPUTE_PGM_RSRC2:TIDIG_COMP_CNT: 0
; COMPUTE_PGM_RSRC3_GFX90A:ACCUM_OFFSET: 4
; COMPUTE_PGM_RSRC3_GFX90A:TG_SPLIT: 0
	.section	.text._ZN2at6native27unrolled_elementwise_kernelIZZZNS0_22nan_to_num_kernel_cudaERNS_18TensorIteratorBaseESt8optionalIdES5_S5_ENKUlvE0_clEvENKUlvE_clEvEUldE_St5arrayIPcLm2EELi4E23TrivialOffsetCalculatorILi1EjESD_NS0_6memory15LoadWithoutCastENSE_16StoreWithoutCastEEEviT_T0_T2_T3_T4_T5_,"axG",@progbits,_ZN2at6native27unrolled_elementwise_kernelIZZZNS0_22nan_to_num_kernel_cudaERNS_18TensorIteratorBaseESt8optionalIdES5_S5_ENKUlvE0_clEvENKUlvE_clEvEUldE_St5arrayIPcLm2EELi4E23TrivialOffsetCalculatorILi1EjESD_NS0_6memory15LoadWithoutCastENSE_16StoreWithoutCastEEEviT_T0_T2_T3_T4_T5_,comdat
	.globl	_ZN2at6native27unrolled_elementwise_kernelIZZZNS0_22nan_to_num_kernel_cudaERNS_18TensorIteratorBaseESt8optionalIdES5_S5_ENKUlvE0_clEvENKUlvE_clEvEUldE_St5arrayIPcLm2EELi4E23TrivialOffsetCalculatorILi1EjESD_NS0_6memory15LoadWithoutCastENSE_16StoreWithoutCastEEEviT_T0_T2_T3_T4_T5_ ; -- Begin function _ZN2at6native27unrolled_elementwise_kernelIZZZNS0_22nan_to_num_kernel_cudaERNS_18TensorIteratorBaseESt8optionalIdES5_S5_ENKUlvE0_clEvENKUlvE_clEvEUldE_St5arrayIPcLm2EELi4E23TrivialOffsetCalculatorILi1EjESD_NS0_6memory15LoadWithoutCastENSE_16StoreWithoutCastEEEviT_T0_T2_T3_T4_T5_
	.p2align	8
	.type	_ZN2at6native27unrolled_elementwise_kernelIZZZNS0_22nan_to_num_kernel_cudaERNS_18TensorIteratorBaseESt8optionalIdES5_S5_ENKUlvE0_clEvENKUlvE_clEvEUldE_St5arrayIPcLm2EELi4E23TrivialOffsetCalculatorILi1EjESD_NS0_6memory15LoadWithoutCastENSE_16StoreWithoutCastEEEviT_T0_T2_T3_T4_T5_,@function
_ZN2at6native27unrolled_elementwise_kernelIZZZNS0_22nan_to_num_kernel_cudaERNS_18TensorIteratorBaseESt8optionalIdES5_S5_ENKUlvE0_clEvENKUlvE_clEvEUldE_St5arrayIPcLm2EELi4E23TrivialOffsetCalculatorILi1EjESD_NS0_6memory15LoadWithoutCastENSE_16StoreWithoutCastEEEviT_T0_T2_T3_T4_T5_: ; @_ZN2at6native27unrolled_elementwise_kernelIZZZNS0_22nan_to_num_kernel_cudaERNS_18TensorIteratorBaseESt8optionalIdES5_S5_ENKUlvE0_clEvENKUlvE_clEvEUldE_St5arrayIPcLm2EELi4E23TrivialOffsetCalculatorILi1EjESD_NS0_6memory15LoadWithoutCastENSE_16StoreWithoutCastEEEviT_T0_T2_T3_T4_T5_
; %bb.0:
	s_load_dword s3, s[0:1], 0x0
	s_load_dwordx2 s[12:13], s[0:1], 0x28
	s_lshl_b32 s16, s2, 10
	v_mov_b64_e32 v[16:17], 0
	v_or_b32_e32 v2, s16, v0
	s_waitcnt lgkmcnt(0)
	s_sub_i32 s17, s3, s16
	v_cmp_gt_i32_e32 vcc, s17, v0
	v_mov_b64_e32 v[18:19], 0
	v_mov_b32_e32 v1, v0
	s_and_saveexec_b64 s[2:3], vcc
	s_cbranch_execz .LBB510_2
; %bb.1:
	v_mov_b32_e32 v3, 0
	v_lshl_add_u64 v[4:5], v[2:3], 3, s[12:13]
	global_load_dwordx2 v[18:19], v[4:5], off
	v_or_b32_e32 v1, 0x100, v0
.LBB510_2:
	s_or_b64 exec, exec, s[2:3]
	s_load_dwordx8 s[4:11], s[0:1], 0x8
	v_cmp_gt_i32_e64 s[0:1], s17, v1
	s_and_saveexec_b64 s[2:3], s[0:1]
	s_cbranch_execz .LBB510_4
; %bb.3:
	v_add_u32_e32 v4, s16, v1
	v_mov_b32_e32 v5, 0
	v_lshl_add_u64 v[4:5], v[4:5], 3, s[12:13]
	global_load_dwordx2 v[16:17], v[4:5], off
	v_add_u32_e32 v1, 0x100, v1
.LBB510_4:
	s_or_b64 exec, exec, s[2:3]
	v_cmp_gt_i32_e64 s[0:1], s17, v1
	v_mov_b64_e32 v[4:5], 0
	v_mov_b64_e32 v[14:15], 0
	s_and_saveexec_b64 s[2:3], s[0:1]
	s_cbranch_execz .LBB510_6
; %bb.5:
	v_add_u32_e32 v6, s16, v1
	v_mov_b32_e32 v7, 0
	v_lshl_add_u64 v[6:7], v[6:7], 3, s[12:13]
	global_load_dwordx2 v[14:15], v[6:7], off
	v_add_u32_e32 v1, 0x100, v1
.LBB510_6:
	s_or_b64 exec, exec, s[2:3]
	v_cmp_gt_i32_e64 s[0:1], s17, v1
	s_and_saveexec_b64 s[2:3], s[0:1]
	s_cbranch_execz .LBB510_8
; %bb.7:
	v_add_u32_e32 v4, s16, v1
	v_mov_b32_e32 v5, 0
	v_lshl_add_u64 v[4:5], v[4:5], 3, s[12:13]
	global_load_dwordx2 v[4:5], v[4:5], off
.LBB510_8:
	s_or_b64 exec, exec, s[2:3]
	v_mov_b32_e32 v8, 0
	v_mov_b32_e32 v9, v8
	;; [unrolled: 1-line block ×8, first 2 shown]
	s_and_saveexec_b64 s[2:3], vcc
	s_cbranch_execz .LBB510_14
; %bb.9:
	s_waitcnt vmcnt(0)
	v_cmp_o_f64_e64 s[0:1], v[18:19], v[18:19]
	s_waitcnt lgkmcnt(0)
	v_mov_b64_e32 v[8:9], s[4:5]
	s_and_saveexec_b64 s[12:13], s[0:1]
	s_cbranch_execz .LBB510_13
; %bb.10:
	s_mov_b32 s0, 0
	s_mov_b32 s1, 0x7ff00000
	v_cmp_neq_f64_e64 s[0:1], s[0:1], v[18:19]
	v_mov_b64_e32 v[8:9], s[6:7]
	s_and_saveexec_b64 s[14:15], s[0:1]
; %bb.11:
	s_mov_b32 s0, 0
	s_mov_b32 s1, 0xfff00000
	v_mov_b32_e32 v1, s9
	v_cmp_eq_f64_e64 s[0:1], s[0:1], v[18:19]
	s_nop 1
	v_cndmask_b32_e64 v9, v19, v1, s[0:1]
	v_mov_b32_e32 v1, s8
	v_cndmask_b32_e64 v8, v18, v1, s[0:1]
; %bb.12:
	s_or_b64 exec, exec, s[14:15]
.LBB510_13:
	s_or_b64 exec, exec, s[12:13]
	v_mov_b32_e32 v12, 0
	v_mov_b32_e32 v13, v12
	;; [unrolled: 1-line block ×6, first 2 shown]
.LBB510_14:
	s_or_b64 exec, exec, s[2:3]
	v_or_b32_e32 v1, 0x100, v0
	v_cmp_gt_i32_e64 s[0:1], s17, v1
	s_and_saveexec_b64 s[2:3], s[0:1]
	s_cbranch_execz .LBB510_20
; %bb.15:
	s_waitcnt vmcnt(0)
	v_cmp_o_f64_e64 s[0:1], v[16:17], v[16:17]
	s_waitcnt lgkmcnt(0)
	v_mov_b64_e32 v[12:13], s[4:5]
	s_and_saveexec_b64 s[12:13], s[0:1]
	s_cbranch_execz .LBB510_19
; %bb.16:
	s_mov_b32 s0, 0
	s_mov_b32 s1, 0x7ff00000
	v_cmp_neq_f64_e64 s[0:1], s[0:1], v[16:17]
	v_mov_b64_e32 v[12:13], s[6:7]
	s_and_saveexec_b64 s[14:15], s[0:1]
; %bb.17:
	s_mov_b32 s0, 0
	s_mov_b32 s1, 0xfff00000
	v_mov_b32_e32 v3, s9
	v_cmp_eq_f64_e64 s[0:1], s[0:1], v[16:17]
	s_nop 1
	v_cndmask_b32_e64 v13, v17, v3, s[0:1]
	v_mov_b32_e32 v3, s8
	v_cndmask_b32_e64 v12, v16, v3, s[0:1]
; %bb.18:
	s_or_b64 exec, exec, s[14:15]
.LBB510_19:
	s_or_b64 exec, exec, s[12:13]
.LBB510_20:
	s_or_b64 exec, exec, s[2:3]
	v_or_b32_e32 v3, 0x200, v0
	v_cmp_gt_i32_e64 s[0:1], s17, v3
	s_and_saveexec_b64 s[2:3], s[0:1]
	s_cbranch_execz .LBB510_26
; %bb.21:
	s_waitcnt vmcnt(0)
	v_cmp_o_f64_e64 s[0:1], v[14:15], v[14:15]
	s_waitcnt lgkmcnt(0)
	v_mov_b64_e32 v[10:11], s[4:5]
	s_and_saveexec_b64 s[12:13], s[0:1]
	s_cbranch_execz .LBB510_25
; %bb.22:
	s_mov_b32 s0, 0
	s_mov_b32 s1, 0x7ff00000
	v_cmp_neq_f64_e64 s[0:1], s[0:1], v[14:15]
	v_mov_b64_e32 v[10:11], s[6:7]
	s_and_saveexec_b64 s[14:15], s[0:1]
; %bb.23:
	s_mov_b32 s0, 0
	s_mov_b32 s1, 0xfff00000
	v_mov_b32_e32 v3, s9
	v_cmp_eq_f64_e64 s[0:1], s[0:1], v[14:15]
	s_nop 1
	v_cndmask_b32_e64 v11, v15, v3, s[0:1]
	v_mov_b32_e32 v3, s8
	v_cndmask_b32_e64 v10, v14, v3, s[0:1]
; %bb.24:
	s_or_b64 exec, exec, s[14:15]
.LBB510_25:
	s_or_b64 exec, exec, s[12:13]
.LBB510_26:
	s_or_b64 exec, exec, s[2:3]
	v_or_b32_e32 v3, 0x300, v0
	v_cmp_gt_i32_e64 s[0:1], s17, v3
	s_and_saveexec_b64 s[2:3], s[0:1]
	s_cbranch_execnz .LBB510_32
; %bb.27:
	s_or_b64 exec, exec, s[2:3]
	s_and_saveexec_b64 s[0:1], vcc
	s_xor_b64 s[0:1], exec, s[0:1]
	s_cbranch_execnz .LBB510_37
.LBB510_28:
	s_or_b64 exec, exec, s[0:1]
	v_cmp_gt_i32_e32 vcc, s17, v0
	s_and_saveexec_b64 s[0:1], vcc
	s_cbranch_execnz .LBB510_38
.LBB510_29:
	s_or_b64 exec, exec, s[0:1]
	v_cmp_gt_i32_e32 vcc, s17, v0
	s_and_saveexec_b64 s[0:1], vcc
	s_cbranch_execnz .LBB510_39
.LBB510_30:
	s_or_b64 exec, exec, s[0:1]
	v_cmp_gt_i32_e32 vcc, s17, v0
	s_and_saveexec_b64 s[0:1], vcc
	s_cbranch_execnz .LBB510_40
.LBB510_31:
	s_endpgm
.LBB510_32:
	s_waitcnt vmcnt(0)
	v_cmp_o_f64_e64 s[0:1], v[4:5], v[4:5]
	s_waitcnt lgkmcnt(0)
	v_mov_b64_e32 v[6:7], s[4:5]
	s_and_saveexec_b64 s[4:5], s[0:1]
	s_cbranch_execz .LBB510_36
; %bb.33:
	s_mov_b32 s0, 0
	s_mov_b32 s1, 0x7ff00000
	v_cmp_neq_f64_e64 s[0:1], s[0:1], v[4:5]
	v_mov_b64_e32 v[6:7], s[6:7]
	s_and_saveexec_b64 s[6:7], s[0:1]
; %bb.34:
	s_mov_b32 s0, 0
	s_mov_b32 s1, 0xfff00000
	v_mov_b32_e32 v3, s9
	v_cmp_eq_f64_e64 s[0:1], s[0:1], v[4:5]
	s_nop 1
	v_cndmask_b32_e64 v7, v5, v3, s[0:1]
	v_mov_b32_e32 v3, s8
	v_cndmask_b32_e64 v6, v4, v3, s[0:1]
; %bb.35:
	s_or_b64 exec, exec, s[6:7]
.LBB510_36:
	s_or_b64 exec, exec, s[4:5]
	s_or_b64 exec, exec, s[2:3]
	s_and_saveexec_b64 s[0:1], vcc
	s_xor_b64 s[0:1], exec, s[0:1]
	s_cbranch_execz .LBB510_28
.LBB510_37:
	v_mov_b32_e32 v3, 0
	s_waitcnt lgkmcnt(0)
	v_lshl_add_u64 v[2:3], v[2:3], 3, s[10:11]
	v_mov_b32_e32 v0, v1
	global_store_dwordx2 v[2:3], v[8:9], off
	s_or_b64 exec, exec, s[0:1]
	v_cmp_gt_i32_e32 vcc, s17, v0
	s_and_saveexec_b64 s[0:1], vcc
	s_cbranch_execz .LBB510_29
.LBB510_38:
	v_add_u32_e32 v2, 0x100, v0
	v_add_u32_e32 v0, s16, v0
	v_mov_b32_e32 v1, 0
	s_waitcnt lgkmcnt(0)
	v_lshl_add_u64 v[0:1], v[0:1], 3, s[10:11]
	global_store_dwordx2 v[0:1], v[12:13], off
	v_mov_b32_e32 v0, v2
	s_or_b64 exec, exec, s[0:1]
	v_cmp_gt_i32_e32 vcc, s17, v0
	s_and_saveexec_b64 s[0:1], vcc
	s_cbranch_execz .LBB510_30
.LBB510_39:
	v_add_u32_e32 v2, 0x100, v0
	v_add_u32_e32 v0, s16, v0
	v_mov_b32_e32 v1, 0
	s_waitcnt lgkmcnt(0)
	v_lshl_add_u64 v[0:1], v[0:1], 3, s[10:11]
	global_store_dwordx2 v[0:1], v[10:11], off
	v_mov_b32_e32 v0, v2
	s_or_b64 exec, exec, s[0:1]
	v_cmp_gt_i32_e32 vcc, s17, v0
	s_and_saveexec_b64 s[0:1], vcc
	s_cbranch_execz .LBB510_31
.LBB510_40:
	v_add_u32_e32 v0, s16, v0
	v_mov_b32_e32 v1, 0
	s_waitcnt lgkmcnt(0)
	v_lshl_add_u64 v[0:1], v[0:1], 3, s[10:11]
	global_store_dwordx2 v[0:1], v[6:7], off
	s_endpgm
	.section	.rodata,"a",@progbits
	.p2align	6, 0x0
	.amdhsa_kernel _ZN2at6native27unrolled_elementwise_kernelIZZZNS0_22nan_to_num_kernel_cudaERNS_18TensorIteratorBaseESt8optionalIdES5_S5_ENKUlvE0_clEvENKUlvE_clEvEUldE_St5arrayIPcLm2EELi4E23TrivialOffsetCalculatorILi1EjESD_NS0_6memory15LoadWithoutCastENSE_16StoreWithoutCastEEEviT_T0_T2_T3_T4_T5_
		.amdhsa_group_segment_fixed_size 0
		.amdhsa_private_segment_fixed_size 0
		.amdhsa_kernarg_size 52
		.amdhsa_user_sgpr_count 2
		.amdhsa_user_sgpr_dispatch_ptr 0
		.amdhsa_user_sgpr_queue_ptr 0
		.amdhsa_user_sgpr_kernarg_segment_ptr 1
		.amdhsa_user_sgpr_dispatch_id 0
		.amdhsa_user_sgpr_kernarg_preload_length 0
		.amdhsa_user_sgpr_kernarg_preload_offset 0
		.amdhsa_user_sgpr_private_segment_size 0
		.amdhsa_uses_dynamic_stack 0
		.amdhsa_enable_private_segment 0
		.amdhsa_system_sgpr_workgroup_id_x 1
		.amdhsa_system_sgpr_workgroup_id_y 0
		.amdhsa_system_sgpr_workgroup_id_z 0
		.amdhsa_system_sgpr_workgroup_info 0
		.amdhsa_system_vgpr_workitem_id 0
		.amdhsa_next_free_vgpr 20
		.amdhsa_next_free_sgpr 18
		.amdhsa_accum_offset 20
		.amdhsa_reserve_vcc 1
		.amdhsa_float_round_mode_32 0
		.amdhsa_float_round_mode_16_64 0
		.amdhsa_float_denorm_mode_32 3
		.amdhsa_float_denorm_mode_16_64 3
		.amdhsa_dx10_clamp 1
		.amdhsa_ieee_mode 1
		.amdhsa_fp16_overflow 0
		.amdhsa_tg_split 0
		.amdhsa_exception_fp_ieee_invalid_op 0
		.amdhsa_exception_fp_denorm_src 0
		.amdhsa_exception_fp_ieee_div_zero 0
		.amdhsa_exception_fp_ieee_overflow 0
		.amdhsa_exception_fp_ieee_underflow 0
		.amdhsa_exception_fp_ieee_inexact 0
		.amdhsa_exception_int_div_zero 0
	.end_amdhsa_kernel
	.section	.text._ZN2at6native27unrolled_elementwise_kernelIZZZNS0_22nan_to_num_kernel_cudaERNS_18TensorIteratorBaseESt8optionalIdES5_S5_ENKUlvE0_clEvENKUlvE_clEvEUldE_St5arrayIPcLm2EELi4E23TrivialOffsetCalculatorILi1EjESD_NS0_6memory15LoadWithoutCastENSE_16StoreWithoutCastEEEviT_T0_T2_T3_T4_T5_,"axG",@progbits,_ZN2at6native27unrolled_elementwise_kernelIZZZNS0_22nan_to_num_kernel_cudaERNS_18TensorIteratorBaseESt8optionalIdES5_S5_ENKUlvE0_clEvENKUlvE_clEvEUldE_St5arrayIPcLm2EELi4E23TrivialOffsetCalculatorILi1EjESD_NS0_6memory15LoadWithoutCastENSE_16StoreWithoutCastEEEviT_T0_T2_T3_T4_T5_,comdat
.Lfunc_end510:
	.size	_ZN2at6native27unrolled_elementwise_kernelIZZZNS0_22nan_to_num_kernel_cudaERNS_18TensorIteratorBaseESt8optionalIdES5_S5_ENKUlvE0_clEvENKUlvE_clEvEUldE_St5arrayIPcLm2EELi4E23TrivialOffsetCalculatorILi1EjESD_NS0_6memory15LoadWithoutCastENSE_16StoreWithoutCastEEEviT_T0_T2_T3_T4_T5_, .Lfunc_end510-_ZN2at6native27unrolled_elementwise_kernelIZZZNS0_22nan_to_num_kernel_cudaERNS_18TensorIteratorBaseESt8optionalIdES5_S5_ENKUlvE0_clEvENKUlvE_clEvEUldE_St5arrayIPcLm2EELi4E23TrivialOffsetCalculatorILi1EjESD_NS0_6memory15LoadWithoutCastENSE_16StoreWithoutCastEEEviT_T0_T2_T3_T4_T5_
                                        ; -- End function
	.set _ZN2at6native27unrolled_elementwise_kernelIZZZNS0_22nan_to_num_kernel_cudaERNS_18TensorIteratorBaseESt8optionalIdES5_S5_ENKUlvE0_clEvENKUlvE_clEvEUldE_St5arrayIPcLm2EELi4E23TrivialOffsetCalculatorILi1EjESD_NS0_6memory15LoadWithoutCastENSE_16StoreWithoutCastEEEviT_T0_T2_T3_T4_T5_.num_vgpr, 20
	.set _ZN2at6native27unrolled_elementwise_kernelIZZZNS0_22nan_to_num_kernel_cudaERNS_18TensorIteratorBaseESt8optionalIdES5_S5_ENKUlvE0_clEvENKUlvE_clEvEUldE_St5arrayIPcLm2EELi4E23TrivialOffsetCalculatorILi1EjESD_NS0_6memory15LoadWithoutCastENSE_16StoreWithoutCastEEEviT_T0_T2_T3_T4_T5_.num_agpr, 0
	.set _ZN2at6native27unrolled_elementwise_kernelIZZZNS0_22nan_to_num_kernel_cudaERNS_18TensorIteratorBaseESt8optionalIdES5_S5_ENKUlvE0_clEvENKUlvE_clEvEUldE_St5arrayIPcLm2EELi4E23TrivialOffsetCalculatorILi1EjESD_NS0_6memory15LoadWithoutCastENSE_16StoreWithoutCastEEEviT_T0_T2_T3_T4_T5_.numbered_sgpr, 18
	.set _ZN2at6native27unrolled_elementwise_kernelIZZZNS0_22nan_to_num_kernel_cudaERNS_18TensorIteratorBaseESt8optionalIdES5_S5_ENKUlvE0_clEvENKUlvE_clEvEUldE_St5arrayIPcLm2EELi4E23TrivialOffsetCalculatorILi1EjESD_NS0_6memory15LoadWithoutCastENSE_16StoreWithoutCastEEEviT_T0_T2_T3_T4_T5_.num_named_barrier, 0
	.set _ZN2at6native27unrolled_elementwise_kernelIZZZNS0_22nan_to_num_kernel_cudaERNS_18TensorIteratorBaseESt8optionalIdES5_S5_ENKUlvE0_clEvENKUlvE_clEvEUldE_St5arrayIPcLm2EELi4E23TrivialOffsetCalculatorILi1EjESD_NS0_6memory15LoadWithoutCastENSE_16StoreWithoutCastEEEviT_T0_T2_T3_T4_T5_.private_seg_size, 0
	.set _ZN2at6native27unrolled_elementwise_kernelIZZZNS0_22nan_to_num_kernel_cudaERNS_18TensorIteratorBaseESt8optionalIdES5_S5_ENKUlvE0_clEvENKUlvE_clEvEUldE_St5arrayIPcLm2EELi4E23TrivialOffsetCalculatorILi1EjESD_NS0_6memory15LoadWithoutCastENSE_16StoreWithoutCastEEEviT_T0_T2_T3_T4_T5_.uses_vcc, 1
	.set _ZN2at6native27unrolled_elementwise_kernelIZZZNS0_22nan_to_num_kernel_cudaERNS_18TensorIteratorBaseESt8optionalIdES5_S5_ENKUlvE0_clEvENKUlvE_clEvEUldE_St5arrayIPcLm2EELi4E23TrivialOffsetCalculatorILi1EjESD_NS0_6memory15LoadWithoutCastENSE_16StoreWithoutCastEEEviT_T0_T2_T3_T4_T5_.uses_flat_scratch, 0
	.set _ZN2at6native27unrolled_elementwise_kernelIZZZNS0_22nan_to_num_kernel_cudaERNS_18TensorIteratorBaseESt8optionalIdES5_S5_ENKUlvE0_clEvENKUlvE_clEvEUldE_St5arrayIPcLm2EELi4E23TrivialOffsetCalculatorILi1EjESD_NS0_6memory15LoadWithoutCastENSE_16StoreWithoutCastEEEviT_T0_T2_T3_T4_T5_.has_dyn_sized_stack, 0
	.set _ZN2at6native27unrolled_elementwise_kernelIZZZNS0_22nan_to_num_kernel_cudaERNS_18TensorIteratorBaseESt8optionalIdES5_S5_ENKUlvE0_clEvENKUlvE_clEvEUldE_St5arrayIPcLm2EELi4E23TrivialOffsetCalculatorILi1EjESD_NS0_6memory15LoadWithoutCastENSE_16StoreWithoutCastEEEviT_T0_T2_T3_T4_T5_.has_recursion, 0
	.set _ZN2at6native27unrolled_elementwise_kernelIZZZNS0_22nan_to_num_kernel_cudaERNS_18TensorIteratorBaseESt8optionalIdES5_S5_ENKUlvE0_clEvENKUlvE_clEvEUldE_St5arrayIPcLm2EELi4E23TrivialOffsetCalculatorILi1EjESD_NS0_6memory15LoadWithoutCastENSE_16StoreWithoutCastEEEviT_T0_T2_T3_T4_T5_.has_indirect_call, 0
	.section	.AMDGPU.csdata,"",@progbits
; Kernel info:
; codeLenInByte = 1120
; TotalNumSgprs: 24
; NumVgprs: 20
; NumAgprs: 0
; TotalNumVgprs: 20
; ScratchSize: 0
; MemoryBound: 0
; FloatMode: 240
; IeeeMode: 1
; LDSByteSize: 0 bytes/workgroup (compile time only)
; SGPRBlocks: 2
; VGPRBlocks: 2
; NumSGPRsForWavesPerEU: 24
; NumVGPRsForWavesPerEU: 20
; AccumOffset: 20
; Occupancy: 8
; WaveLimiterHint : 0
; COMPUTE_PGM_RSRC2:SCRATCH_EN: 0
; COMPUTE_PGM_RSRC2:USER_SGPR: 2
; COMPUTE_PGM_RSRC2:TRAP_HANDLER: 0
; COMPUTE_PGM_RSRC2:TGID_X_EN: 1
; COMPUTE_PGM_RSRC2:TGID_Y_EN: 0
; COMPUTE_PGM_RSRC2:TGID_Z_EN: 0
; COMPUTE_PGM_RSRC2:TIDIG_COMP_CNT: 0
; COMPUTE_PGM_RSRC3_GFX90A:ACCUM_OFFSET: 4
; COMPUTE_PGM_RSRC3_GFX90A:TG_SPLIT: 0
	.section	.text._ZN2at6native32elementwise_kernel_manual_unrollILi128ELi4EZNS0_22gpu_kernel_impl_nocastIZZZNS0_22nan_to_num_kernel_cudaERNS_18TensorIteratorBaseESt8optionalIdES6_S6_ENKUlvE0_clEvENKUlvE_clEvEUldE_EEvS4_RKT_EUlibE_EEviT1_,"axG",@progbits,_ZN2at6native32elementwise_kernel_manual_unrollILi128ELi4EZNS0_22gpu_kernel_impl_nocastIZZZNS0_22nan_to_num_kernel_cudaERNS_18TensorIteratorBaseESt8optionalIdES6_S6_ENKUlvE0_clEvENKUlvE_clEvEUldE_EEvS4_RKT_EUlibE_EEviT1_,comdat
	.globl	_ZN2at6native32elementwise_kernel_manual_unrollILi128ELi4EZNS0_22gpu_kernel_impl_nocastIZZZNS0_22nan_to_num_kernel_cudaERNS_18TensorIteratorBaseESt8optionalIdES6_S6_ENKUlvE0_clEvENKUlvE_clEvEUldE_EEvS4_RKT_EUlibE_EEviT1_ ; -- Begin function _ZN2at6native32elementwise_kernel_manual_unrollILi128ELi4EZNS0_22gpu_kernel_impl_nocastIZZZNS0_22nan_to_num_kernel_cudaERNS_18TensorIteratorBaseESt8optionalIdES6_S6_ENKUlvE0_clEvENKUlvE_clEvEUldE_EEvS4_RKT_EUlibE_EEviT1_
	.p2align	8
	.type	_ZN2at6native32elementwise_kernel_manual_unrollILi128ELi4EZNS0_22gpu_kernel_impl_nocastIZZZNS0_22nan_to_num_kernel_cudaERNS_18TensorIteratorBaseESt8optionalIdES6_S6_ENKUlvE0_clEvENKUlvE_clEvEUldE_EEvS4_RKT_EUlibE_EEviT1_,@function
_ZN2at6native32elementwise_kernel_manual_unrollILi128ELi4EZNS0_22gpu_kernel_impl_nocastIZZZNS0_22nan_to_num_kernel_cudaERNS_18TensorIteratorBaseESt8optionalIdES6_S6_ENKUlvE0_clEvENKUlvE_clEvEUldE_EEvS4_RKT_EUlibE_EEviT1_: ; @_ZN2at6native32elementwise_kernel_manual_unrollILi128ELi4EZNS0_22gpu_kernel_impl_nocastIZZZNS0_22nan_to_num_kernel_cudaERNS_18TensorIteratorBaseESt8optionalIdES6_S6_ENKUlvE0_clEvENKUlvE_clEvEUldE_EEvS4_RKT_EUlibE_EEviT1_
; %bb.0:
	s_load_dword s61, s[0:1], 0x0
	s_load_dword s33, s[0:1], 0x8
	s_add_u32 s34, s0, 8
	s_addc_u32 s35, s1, 0
	v_lshl_or_b32 v8, s2, 9, v0
	v_or_b32_e32 v16, 0x180, v8
	s_waitcnt lgkmcnt(0)
	s_add_i32 s60, s33, -1
	s_cmp_gt_u32 s60, 1
	v_cmp_le_i32_e32 vcc, s61, v16
	s_cselect_b64 s[40:41], -1, 0
	s_and_saveexec_b64 s[0:1], vcc
	s_xor_b64 s[42:43], exec, s[0:1]
	s_cbranch_execz .LBB511_8
; %bb.1:
	s_load_dwordx4 s[28:31], s[34:35], 0x4
	s_load_dwordx2 s[46:47], s[34:35], 0x14
	s_load_dwordx4 s[24:27], s[34:35], 0xc4
	s_load_dwordx2 s[44:45], s[34:35], 0x168
	s_load_dwordx8 s[0:7], s[34:35], 0x148
	s_cmp_lg_u32 s33, 0
	s_cselect_b64 s[52:53], -1, 0
	s_add_u32 s50, s34, 0xc4
	s_addc_u32 s51, s35, 0
	s_min_u32 s62, s60, 15
	s_cmp_gt_u32 s33, 1
	s_cselect_b64 s[48:49], -1, 0
	v_cmp_gt_i32_e32 vcc, s61, v8
	s_and_saveexec_b64 s[54:55], vcc
	s_cbranch_execz .LBB511_15
; %bb.2:
	s_andn2_b64 vcc, exec, s[40:41]
	s_cbranch_vccnz .LBB511_23
; %bb.3:
	s_andn2_b64 vcc, exec, s[52:53]
	s_cbranch_vccnz .LBB511_91
; %bb.4:
	s_add_i32 s64, s62, 1
	s_cmp_eq_u32 s60, 2
	s_cbranch_scc1 .LBB511_93
; %bb.5:
	s_and_b32 s63, s64, 28
	s_mov_b32 s65, 0
	v_mov_b32_e32 v0, 0
	v_mov_b32_e32 v2, 0
	s_mov_b64 s[56:57], s[34:35]
	s_mov_b64 s[58:59], s[50:51]
	v_mov_b32_e32 v4, v8
.LBB511_6:                              ; =>This Inner Loop Header: Depth=1
	s_load_dwordx8 s[16:23], s[56:57], 0x4
	s_load_dwordx4 s[36:39], s[56:57], 0x24
	s_load_dwordx8 s[8:15], s[58:59], 0x0
	s_add_u32 s56, s56, 48
	s_addc_u32 s57, s57, 0
	s_waitcnt lgkmcnt(0)
	v_mul_hi_u32 v1, s17, v4
	v_add_u32_e32 v1, v4, v1
	v_lshrrev_b32_e32 v1, s18, v1
	v_mul_lo_u32 v3, v1, s16
	v_mul_hi_u32 v5, s20, v1
	v_sub_u32_e32 v3, v4, v3
	v_add_u32_e32 v4, v1, v5
	v_lshrrev_b32_e32 v4, s21, v4
	v_mul_lo_u32 v6, v4, s19
	v_mul_hi_u32 v7, s23, v4
	v_sub_u32_e32 v1, v1, v6
	v_add_u32_e32 v6, v4, v7
	v_mul_lo_u32 v5, v3, s9
	v_mul_lo_u32 v3, v3, s8
	;; [unrolled: 1-line block ×4, first 2 shown]
	v_lshrrev_b32_e32 v6, s36, v6
	v_add3_u32 v0, v3, v0, v1
	v_mul_hi_u32 v3, s38, v6
	v_add3_u32 v1, v5, v2, v7
	v_mul_lo_u32 v2, v6, s22
	v_add_u32_e32 v3, v6, v3
	v_sub_u32_e32 v2, v4, v2
	v_lshrrev_b32_e32 v4, s39, v3
	s_add_i32 s65, s65, 4
	v_mul_lo_u32 v3, v4, s37
	s_add_u32 s58, s58, 32
	v_sub_u32_e32 v3, v6, v3
	s_addc_u32 s59, s59, 0
	v_mul_lo_u32 v5, v2, s12
	v_mul_lo_u32 v2, v2, s13
	;; [unrolled: 1-line block ×4, first 2 shown]
	s_cmp_lg_u32 s63, s65
	v_add3_u32 v2, v2, v1, v3
	v_add3_u32 v0, v5, v0, v6
	s_cbranch_scc1 .LBB511_6
; %bb.7:
	v_mov_b32_e32 v1, v2
	s_branch .LBB511_94
.LBB511_8:
	s_andn2_saveexec_b64 s[0:1], s[42:43]
	s_cbranch_execz .LBB511_128
.LBB511_9:
	v_cndmask_b32_e64 v0, 0, 1, s[40:41]
	v_cmp_ne_u32_e64 s[0:1], 1, v0
	s_andn2_b64 vcc, exec, s[40:41]
	s_cbranch_vccnz .LBB511_22
; %bb.10:
	s_cmp_lg_u32 s33, 0
	s_mov_b32 s26, 0
	s_cbranch_scc0 .LBB511_25
; %bb.11:
	s_min_u32 s27, s60, 15
	s_add_i32 s27, s27, 1
	s_cmp_eq_u32 s60, 2
	s_cbranch_scc1 .LBB511_26
; %bb.12:
	s_and_b32 s26, s27, 28
	s_add_u32 s2, s34, 0xc4
	s_addc_u32 s3, s35, 0
	s_mov_b32 s28, 0
	v_mov_b32_e32 v0, 0
	v_mov_b32_e32 v2, 0
	s_mov_b64 s[24:25], s[34:35]
	v_mov_b32_e32 v4, v8
.LBB511_13:                             ; =>This Inner Loop Header: Depth=1
	s_load_dwordx8 s[12:19], s[24:25], 0x4
	s_load_dwordx4 s[20:23], s[24:25], 0x24
	s_load_dwordx8 s[4:11], s[2:3], 0x0
	s_add_u32 s24, s24, 48
	s_addc_u32 s25, s25, 0
	s_waitcnt lgkmcnt(0)
	v_mul_hi_u32 v1, s13, v4
	v_add_u32_e32 v1, v4, v1
	v_lshrrev_b32_e32 v1, s14, v1
	v_mul_lo_u32 v3, v1, s12
	v_mul_hi_u32 v5, s16, v1
	v_sub_u32_e32 v3, v4, v3
	v_add_u32_e32 v4, v1, v5
	v_lshrrev_b32_e32 v4, s17, v4
	v_mul_lo_u32 v6, v4, s15
	v_mul_hi_u32 v7, s19, v4
	v_sub_u32_e32 v1, v1, v6
	v_add_u32_e32 v6, v4, v7
	v_mul_lo_u32 v5, v3, s5
	v_mul_lo_u32 v3, v3, s4
	;; [unrolled: 1-line block ×4, first 2 shown]
	v_lshrrev_b32_e32 v6, s20, v6
	v_add3_u32 v0, v3, v0, v1
	v_mul_hi_u32 v3, s22, v6
	v_add3_u32 v1, v5, v2, v7
	v_mul_lo_u32 v2, v6, s18
	v_add_u32_e32 v3, v6, v3
	v_sub_u32_e32 v2, v4, v2
	v_lshrrev_b32_e32 v4, s23, v3
	s_add_i32 s28, s28, 4
	v_mul_lo_u32 v3, v4, s21
	s_add_u32 s2, s2, 32
	v_sub_u32_e32 v3, v6, v3
	s_addc_u32 s3, s3, 0
	v_mul_lo_u32 v5, v2, s8
	v_mul_lo_u32 v2, v2, s9
	;; [unrolled: 1-line block ×4, first 2 shown]
	s_cmp_lg_u32 s26, s28
	v_add3_u32 v2, v2, v1, v3
	v_add3_u32 v0, v5, v0, v6
	s_cbranch_scc1 .LBB511_13
; %bb.14:
	v_mov_b32_e32 v1, v2
	s_and_b32 s6, s27, 3
	s_cmp_eq_u32 s6, 0
	s_cbranch_scc0 .LBB511_27
	s_branch .LBB511_29
.LBB511_15:
	s_or_b64 exec, exec, s[54:55]
	v_cmp_gt_i32_e32 vcc, s61, v8
	s_and_saveexec_b64 s[54:55], vcc
	s_cbranch_execz .LBB511_105
.LBB511_16:
	s_andn2_b64 vcc, exec, s[40:41]
	s_cbranch_vccnz .LBB511_24
; %bb.17:
	s_andn2_b64 vcc, exec, s[52:53]
	s_cbranch_vccnz .LBB511_92
; %bb.18:
	s_add_i32 s64, s62, 1
	s_cmp_eq_u32 s60, 2
	s_cbranch_scc1 .LBB511_114
; %bb.19:
	s_and_b32 s63, s64, 28
	s_mov_b32 s65, 0
	v_mov_b32_e32 v0, 0
	v_mov_b32_e32 v2, 0
	s_mov_b64 s[56:57], s[34:35]
	s_mov_b64 s[58:59], s[50:51]
	v_mov_b32_e32 v4, v8
.LBB511_20:                             ; =>This Inner Loop Header: Depth=1
	s_load_dwordx8 s[16:23], s[56:57], 0x4
	s_load_dwordx4 s[36:39], s[56:57], 0x24
	s_load_dwordx8 s[8:15], s[58:59], 0x0
	s_add_u32 s56, s56, 48
	s_addc_u32 s57, s57, 0
	s_waitcnt lgkmcnt(0)
	v_mul_hi_u32 v1, s17, v4
	v_add_u32_e32 v1, v4, v1
	v_lshrrev_b32_e32 v1, s18, v1
	v_mul_lo_u32 v3, v1, s16
	v_mul_hi_u32 v5, s20, v1
	v_sub_u32_e32 v3, v4, v3
	v_add_u32_e32 v4, v1, v5
	v_lshrrev_b32_e32 v4, s21, v4
	v_mul_lo_u32 v6, v4, s19
	v_mul_hi_u32 v7, s23, v4
	v_sub_u32_e32 v1, v1, v6
	v_add_u32_e32 v6, v4, v7
	v_mul_lo_u32 v5, v3, s9
	v_mul_lo_u32 v3, v3, s8
	;; [unrolled: 1-line block ×4, first 2 shown]
	v_lshrrev_b32_e32 v6, s36, v6
	v_add3_u32 v0, v3, v0, v1
	v_mul_hi_u32 v3, s38, v6
	v_add3_u32 v1, v5, v2, v7
	v_mul_lo_u32 v2, v6, s22
	v_add_u32_e32 v3, v6, v3
	v_sub_u32_e32 v2, v4, v2
	v_lshrrev_b32_e32 v4, s39, v3
	s_add_i32 s65, s65, 4
	v_mul_lo_u32 v3, v4, s37
	s_add_u32 s58, s58, 32
	v_sub_u32_e32 v3, v6, v3
	s_addc_u32 s59, s59, 0
	v_mul_lo_u32 v5, v2, s12
	v_mul_lo_u32 v2, v2, s13
	;; [unrolled: 1-line block ×4, first 2 shown]
	s_cmp_eq_u32 s63, s65
	v_add3_u32 v2, v2, v1, v3
	v_add3_u32 v0, v5, v0, v6
	s_cbranch_scc0 .LBB511_20
; %bb.21:
	v_mov_b32_e32 v1, v2
	s_branch .LBB511_115
.LBB511_22:
                                        ; implicit-def: $vgpr2
                                        ; implicit-def: $vgpr0
	s_branch .LBB511_30
.LBB511_23:
                                        ; implicit-def: $vgpr2
                                        ; implicit-def: $vgpr0
	s_branch .LBB511_98
.LBB511_24:
                                        ; implicit-def: $vgpr2
                                        ; implicit-def: $vgpr0
	s_branch .LBB511_119
.LBB511_25:
	v_mov_b32_e32 v2, 0
	v_mov_b32_e32 v0, 0
	s_branch .LBB511_29
.LBB511_26:
	v_mov_b32_e32 v0, 0
                                        ; implicit-def: $vgpr2
	v_mov_b32_e32 v1, v0
	v_mov_b32_e32 v4, v8
	s_and_b32 s6, s27, 3
	s_cmp_eq_u32 s6, 0
	s_cbranch_scc1 .LBB511_29
.LBB511_27:
	s_lshl_b32 s2, s26, 3
	s_add_u32 s2, s34, s2
	s_addc_u32 s3, s35, 0
	s_add_u32 s2, s2, 0xc4
	s_addc_u32 s3, s3, 0
	s_mul_i32 s4, s26, 12
	s_add_u32 s4, s34, s4
	s_addc_u32 s5, s35, 0
.LBB511_28:                             ; =>This Inner Loop Header: Depth=1
	s_load_dwordx2 s[8:9], s[4:5], 0x4
	s_load_dword s7, s[4:5], 0xc
	s_load_dwordx2 s[10:11], s[2:3], 0x0
	v_mov_b32_e32 v2, v1
	s_add_u32 s4, s4, 12
	s_waitcnt lgkmcnt(0)
	v_mul_hi_u32 v1, s9, v4
	v_add_u32_e32 v1, v4, v1
	v_lshrrev_b32_e32 v1, s7, v1
	s_addc_u32 s5, s5, 0
	v_mul_lo_u32 v3, v1, s8
	s_add_u32 s2, s2, 8
	v_sub_u32_e32 v5, v4, v3
	s_addc_u32 s3, s3, 0
	s_add_i32 s6, s6, -1
	v_mov_b32_e32 v4, v1
	v_mad_u64_u32 v[2:3], s[8:9], v5, s11, v[2:3]
	v_mad_u64_u32 v[0:1], s[8:9], v5, s10, v[0:1]
	s_cmp_lg_u32 s6, 0
	v_mov_b32_e32 v1, v2
	s_cbranch_scc1 .LBB511_28
.LBB511_29:
	s_cbranch_execnz .LBB511_32
.LBB511_30:
	s_load_dwordx4 s[4:7], s[34:35], 0x4
	s_load_dwordx2 s[2:3], s[34:35], 0xc4
	s_cmp_lt_u32 s33, 2
	s_waitcnt lgkmcnt(0)
	v_mul_hi_u32 v0, s5, v8
	v_add_u32_e32 v0, v8, v0
	v_lshrrev_b32_e32 v1, s6, v0
	v_mul_lo_u32 v0, v1, s4
	v_sub_u32_e32 v0, v8, v0
	v_mul_lo_u32 v2, v0, s3
	v_mul_lo_u32 v0, v0, s2
	s_cbranch_scc1 .LBB511_32
; %bb.31:
	s_load_dwordx4 s[4:7], s[34:35], 0x10
	s_load_dwordx2 s[2:3], s[34:35], 0xcc
	s_waitcnt lgkmcnt(0)
	v_mul_hi_u32 v3, s5, v1
	v_add_u32_e32 v3, v1, v3
	v_lshrrev_b32_e32 v3, s6, v3
	v_mul_lo_u32 v3, v3, s4
	v_sub_u32_e32 v3, v1, v3
	v_mad_u64_u32 v[0:1], s[4:5], v3, s2, v[0:1]
	v_mad_u64_u32 v[2:3], s[2:3], v3, s3, v[2:3]
.LBB511_32:
	s_and_b64 vcc, exec, s[0:1]
	v_add_u32_e32 v3, 0x80, v8
	s_cbranch_vccnz .LBB511_38
; %bb.33:
	s_cmp_lg_u32 s33, 0
	s_mov_b32 s26, 0
	s_cbranch_scc0 .LBB511_39
; %bb.34:
	s_min_u32 s27, s60, 15
	s_add_i32 s27, s27, 1
	s_cmp_eq_u32 s60, 2
	s_cbranch_scc1 .LBB511_40
; %bb.35:
	s_and_b32 s26, s27, 28
	s_add_u32 s2, s34, 0xc4
	s_addc_u32 s3, s35, 0
	s_mov_b32 s28, 0
	v_mov_b32_e32 v4, 0
	v_mov_b32_e32 v6, 0
	s_mov_b64 s[24:25], s[34:35]
	v_mov_b32_e32 v9, v3
.LBB511_36:                             ; =>This Inner Loop Header: Depth=1
	s_load_dwordx8 s[12:19], s[24:25], 0x4
	s_load_dwordx4 s[20:23], s[24:25], 0x24
	s_load_dwordx8 s[4:11], s[2:3], 0x0
	s_add_u32 s24, s24, 48
	s_addc_u32 s25, s25, 0
	s_waitcnt lgkmcnt(0)
	v_mul_hi_u32 v1, s13, v9
	v_add_u32_e32 v1, v9, v1
	v_lshrrev_b32_e32 v1, s14, v1
	v_mul_hi_u32 v7, s16, v1
	v_add_u32_e32 v7, v1, v7
	v_lshrrev_b32_e32 v7, s17, v7
	v_mul_lo_u32 v5, v1, s12
	v_mul_lo_u32 v10, v7, s15
	v_mul_hi_u32 v11, s19, v7
	v_sub_u32_e32 v5, v9, v5
	v_sub_u32_e32 v1, v1, v10
	v_add_u32_e32 v10, v7, v11
	v_mul_lo_u32 v9, v5, s5
	v_mul_lo_u32 v5, v5, s4
	;; [unrolled: 1-line block ×4, first 2 shown]
	v_lshrrev_b32_e32 v10, s20, v10
	v_add3_u32 v1, v5, v4, v1
	v_add3_u32 v4, v9, v6, v11
	v_mul_hi_u32 v6, s22, v10
	v_add_u32_e32 v6, v10, v6
	v_lshrrev_b32_e32 v9, s23, v6
	s_add_i32 s28, s28, 4
	v_mul_lo_u32 v5, v10, s18
	v_mul_lo_u32 v6, v9, s21
	s_add_u32 s2, s2, 32
	v_sub_u32_e32 v5, v7, v5
	v_sub_u32_e32 v6, v10, v6
	s_addc_u32 s3, s3, 0
	v_mul_lo_u32 v7, v5, s8
	v_mul_lo_u32 v5, v5, s9
	;; [unrolled: 1-line block ×4, first 2 shown]
	s_cmp_lg_u32 s26, s28
	v_add3_u32 v6, v5, v4, v6
	v_add3_u32 v4, v7, v1, v10
	s_cbranch_scc1 .LBB511_36
; %bb.37:
	v_mov_b32_e32 v1, v6
	s_and_b32 s6, s27, 3
	s_cmp_eq_u32 s6, 0
	s_cbranch_scc0 .LBB511_41
	s_branch .LBB511_43
.LBB511_38:
                                        ; implicit-def: $vgpr6
                                        ; implicit-def: $vgpr4
	s_branch .LBB511_44
.LBB511_39:
	v_mov_b32_e32 v6, 0
	v_mov_b32_e32 v4, 0
	s_branch .LBB511_43
.LBB511_40:
	v_mov_b32_e32 v4, 0
                                        ; implicit-def: $vgpr6
	v_mov_b32_e32 v1, v4
	v_mov_b32_e32 v9, v3
	s_and_b32 s6, s27, 3
	s_cmp_eq_u32 s6, 0
	s_cbranch_scc1 .LBB511_43
.LBB511_41:
	s_lshl_b32 s2, s26, 3
	s_add_u32 s2, s34, s2
	s_addc_u32 s3, s35, 0
	s_add_u32 s2, s2, 0xc4
	s_addc_u32 s3, s3, 0
	s_mul_i32 s4, s26, 12
	s_add_u32 s4, s34, s4
	s_addc_u32 s5, s35, 0
.LBB511_42:                             ; =>This Inner Loop Header: Depth=1
	s_load_dwordx2 s[8:9], s[4:5], 0x4
	s_load_dword s7, s[4:5], 0xc
	s_load_dwordx2 s[10:11], s[2:3], 0x0
	v_mov_b32_e32 v6, v1
	s_add_u32 s4, s4, 12
	s_waitcnt lgkmcnt(0)
	v_mul_hi_u32 v1, s9, v9
	v_add_u32_e32 v1, v9, v1
	v_lshrrev_b32_e32 v1, s7, v1
	s_addc_u32 s5, s5, 0
	v_mul_lo_u32 v5, v1, s8
	s_add_u32 s2, s2, 8
	v_sub_u32_e32 v5, v9, v5
	s_addc_u32 s3, s3, 0
	s_add_i32 s6, s6, -1
	v_mad_u64_u32 v[6:7], s[8:9], v5, s11, v[6:7]
	s_cmp_lg_u32 s6, 0
	v_mov_b32_e32 v9, v1
	v_mad_u64_u32 v[4:5], s[8:9], v5, s10, v[4:5]
	v_mov_b32_e32 v1, v6
	s_cbranch_scc1 .LBB511_42
.LBB511_43:
	s_cbranch_execnz .LBB511_46
.LBB511_44:
	s_load_dwordx4 s[4:7], s[34:35], 0x4
	s_load_dwordx2 s[2:3], s[34:35], 0xc4
	s_cmp_lt_u32 s33, 2
	s_waitcnt lgkmcnt(0)
	v_mul_hi_u32 v1, s5, v3
	v_add_u32_e32 v1, v3, v1
	v_lshrrev_b32_e32 v1, s6, v1
	v_mul_lo_u32 v4, v1, s4
	v_sub_u32_e32 v3, v3, v4
	v_mul_lo_u32 v6, v3, s3
	v_mul_lo_u32 v4, v3, s2
	s_cbranch_scc1 .LBB511_46
; %bb.45:
	s_load_dwordx4 s[4:7], s[34:35], 0x10
	s_load_dwordx2 s[2:3], s[34:35], 0xcc
	s_waitcnt lgkmcnt(0)
	v_mul_hi_u32 v3, s5, v1
	v_add_u32_e32 v3, v1, v3
	v_lshrrev_b32_e32 v3, s6, v3
	v_mul_lo_u32 v3, v3, s4
	v_sub_u32_e32 v1, v1, v3
	v_mad_u64_u32 v[4:5], s[4:5], v1, s2, v[4:5]
	v_mad_u64_u32 v[6:7], s[2:3], v1, s3, v[6:7]
.LBB511_46:
	s_and_b64 vcc, exec, s[0:1]
	v_add_u32_e32 v3, 0x100, v8
	s_cbranch_vccnz .LBB511_52
; %bb.47:
	s_cmp_lg_u32 s33, 0
	s_mov_b32 s26, 0
	s_cbranch_scc0 .LBB511_53
; %bb.48:
	s_min_u32 s27, s60, 15
	s_add_i32 s27, s27, 1
	s_cmp_eq_u32 s60, 2
	s_cbranch_scc1 .LBB511_54
; %bb.49:
	s_and_b32 s26, s27, 28
	s_add_u32 s2, s34, 0xc4
	s_addc_u32 s3, s35, 0
	s_mov_b32 s28, 0
	v_mov_b32_e32 v8, 0
	v_mov_b32_e32 v10, 0
	s_mov_b64 s[24:25], s[34:35]
	v_mov_b32_e32 v5, v3
.LBB511_50:                             ; =>This Inner Loop Header: Depth=1
	s_load_dwordx8 s[12:19], s[24:25], 0x4
	s_load_dwordx4 s[20:23], s[24:25], 0x24
	s_load_dwordx8 s[4:11], s[2:3], 0x0
	s_add_u32 s24, s24, 48
	s_addc_u32 s25, s25, 0
	s_waitcnt lgkmcnt(0)
	v_mul_hi_u32 v1, s13, v5
	v_add_u32_e32 v1, v5, v1
	v_lshrrev_b32_e32 v1, s14, v1
	v_mul_lo_u32 v7, v1, s12
	v_mul_hi_u32 v9, s16, v1
	v_sub_u32_e32 v5, v5, v7
	v_add_u32_e32 v7, v1, v9
	v_lshrrev_b32_e32 v7, s17, v7
	v_mul_lo_u32 v11, v7, s15
	v_mul_hi_u32 v12, s19, v7
	v_sub_u32_e32 v1, v1, v11
	v_add_u32_e32 v11, v7, v12
	v_mul_lo_u32 v9, v5, s5
	v_mul_lo_u32 v5, v5, s4
	;; [unrolled: 1-line block ×4, first 2 shown]
	v_lshrrev_b32_e32 v11, s20, v11
	v_add3_u32 v1, v5, v8, v1
	v_add3_u32 v8, v9, v10, v12
	v_mul_lo_u32 v5, v11, s18
	v_mul_hi_u32 v9, s22, v11
	v_sub_u32_e32 v5, v7, v5
	v_add_u32_e32 v7, v11, v9
	v_mul_lo_u32 v9, v5, s8
	v_mul_lo_u32 v10, v5, s9
	v_lshrrev_b32_e32 v5, s23, v7
	s_add_i32 s28, s28, 4
	v_mul_lo_u32 v7, v5, s21
	s_add_u32 s2, s2, 32
	v_sub_u32_e32 v7, v11, v7
	s_addc_u32 s3, s3, 0
	v_mul_lo_u32 v11, v7, s10
	v_mul_lo_u32 v7, v7, s11
	s_cmp_lg_u32 s26, s28
	v_add3_u32 v10, v10, v8, v7
	v_add3_u32 v8, v9, v1, v11
	s_cbranch_scc1 .LBB511_50
; %bb.51:
	v_mov_b32_e32 v1, v10
	s_and_b32 s6, s27, 3
	s_cmp_eq_u32 s6, 0
	s_cbranch_scc0 .LBB511_55
	s_branch .LBB511_57
.LBB511_52:
                                        ; implicit-def: $vgpr10
                                        ; implicit-def: $vgpr8
	s_branch .LBB511_58
.LBB511_53:
	v_mov_b32_e32 v10, 0
	v_mov_b32_e32 v8, 0
	s_branch .LBB511_57
.LBB511_54:
	v_mov_b32_e32 v8, 0
                                        ; implicit-def: $vgpr10
	v_mov_b32_e32 v1, v8
	v_mov_b32_e32 v5, v3
	s_and_b32 s6, s27, 3
	s_cmp_eq_u32 s6, 0
	s_cbranch_scc1 .LBB511_57
.LBB511_55:
	s_lshl_b32 s2, s26, 3
	s_add_u32 s2, s34, s2
	s_addc_u32 s3, s35, 0
	s_add_u32 s2, s2, 0xc4
	s_addc_u32 s3, s3, 0
	s_mul_i32 s4, s26, 12
	s_add_u32 s4, s34, s4
	s_addc_u32 s5, s35, 0
.LBB511_56:                             ; =>This Inner Loop Header: Depth=1
	s_load_dwordx2 s[8:9], s[4:5], 0x4
	s_load_dword s7, s[4:5], 0xc
	s_load_dwordx2 s[10:11], s[2:3], 0x0
	v_mov_b32_e32 v10, v1
	s_add_u32 s4, s4, 12
	s_waitcnt lgkmcnt(0)
	v_mul_hi_u32 v1, s9, v5
	v_add_u32_e32 v1, v5, v1
	v_lshrrev_b32_e32 v1, s7, v1
	s_addc_u32 s5, s5, 0
	v_mul_lo_u32 v7, v1, s8
	s_add_u32 s2, s2, 8
	v_sub_u32_e32 v7, v5, v7
	s_addc_u32 s3, s3, 0
	s_add_i32 s6, s6, -1
	v_mad_u64_u32 v[10:11], s[8:9], v7, s11, v[10:11]
	s_cmp_lg_u32 s6, 0
	v_mov_b32_e32 v5, v1
	v_mad_u64_u32 v[8:9], s[8:9], v7, s10, v[8:9]
	v_mov_b32_e32 v1, v10
	s_cbranch_scc1 .LBB511_56
.LBB511_57:
	s_cbranch_execnz .LBB511_60
.LBB511_58:
	s_load_dwordx4 s[4:7], s[34:35], 0x4
	s_load_dwordx2 s[2:3], s[34:35], 0xc4
	s_cmp_lt_u32 s33, 2
	s_waitcnt lgkmcnt(0)
	v_mul_hi_u32 v1, s5, v3
	v_add_u32_e32 v1, v3, v1
	v_lshrrev_b32_e32 v1, s6, v1
	v_mul_lo_u32 v5, v1, s4
	v_sub_u32_e32 v3, v3, v5
	v_mul_lo_u32 v10, v3, s3
	v_mul_lo_u32 v8, v3, s2
	s_cbranch_scc1 .LBB511_60
; %bb.59:
	s_load_dwordx4 s[4:7], s[34:35], 0x10
	s_load_dwordx2 s[2:3], s[34:35], 0xcc
	s_waitcnt lgkmcnt(0)
	v_mul_hi_u32 v3, s5, v1
	v_add_u32_e32 v3, v1, v3
	v_lshrrev_b32_e32 v3, s6, v3
	v_mul_lo_u32 v3, v3, s4
	v_sub_u32_e32 v1, v1, v3
	v_mad_u64_u32 v[8:9], s[4:5], v1, s2, v[8:9]
	v_mad_u64_u32 v[10:11], s[2:3], v1, s3, v[10:11]
.LBB511_60:
	s_and_b64 vcc, exec, s[0:1]
	s_cbranch_vccnz .LBB511_66
; %bb.61:
	s_cmp_lg_u32 s33, 0
	s_mov_b32 s24, 0
	s_cbranch_scc0 .LBB511_67
; %bb.62:
	s_min_u32 s25, s60, 15
	s_add_i32 s25, s25, 1
	s_cmp_eq_u32 s60, 2
	s_cbranch_scc1 .LBB511_68
; %bb.63:
	s_and_b32 s24, s25, 28
	s_add_u32 s20, s34, 0xc4
	s_addc_u32 s21, s35, 0
	s_mov_b32 s26, 0
	v_mov_b32_e32 v12, 0
	v_mov_b32_e32 v14, 0
	s_mov_b64 s[22:23], s[34:35]
	v_mov_b32_e32 v3, v16
.LBB511_64:                             ; =>This Inner Loop Header: Depth=1
	s_load_dwordx8 s[8:15], s[22:23], 0x4
	s_load_dwordx4 s[16:19], s[22:23], 0x24
	s_load_dwordx8 s[0:7], s[20:21], 0x0
	s_add_u32 s22, s22, 48
	s_addc_u32 s23, s23, 0
	s_waitcnt lgkmcnt(0)
	v_mul_hi_u32 v1, s9, v3
	v_add_u32_e32 v1, v3, v1
	v_lshrrev_b32_e32 v1, s10, v1
	v_mul_lo_u32 v5, v1, s8
	v_mul_hi_u32 v7, s12, v1
	v_sub_u32_e32 v3, v3, v5
	v_add_u32_e32 v5, v1, v7
	v_lshrrev_b32_e32 v5, s13, v5
	v_mul_lo_u32 v9, v5, s11
	v_mul_hi_u32 v11, s15, v5
	v_sub_u32_e32 v1, v1, v9
	v_add_u32_e32 v9, v5, v11
	v_mul_lo_u32 v7, v3, s1
	v_mul_lo_u32 v3, v3, s0
	;; [unrolled: 1-line block ×4, first 2 shown]
	v_lshrrev_b32_e32 v9, s16, v9
	v_add3_u32 v1, v3, v12, v1
	v_add3_u32 v7, v7, v14, v11
	v_mul_lo_u32 v3, v9, s14
	v_mul_hi_u32 v11, s18, v9
	v_sub_u32_e32 v3, v5, v3
	v_add_u32_e32 v5, v9, v11
	v_mul_lo_u32 v11, v3, s4
	v_mul_lo_u32 v12, v3, s5
	v_lshrrev_b32_e32 v3, s19, v5
	s_add_i32 s26, s26, 4
	v_mul_lo_u32 v5, v3, s17
	s_add_u32 s20, s20, 32
	v_sub_u32_e32 v5, v9, v5
	s_addc_u32 s21, s21, 0
	v_mul_lo_u32 v9, v5, s6
	v_mul_lo_u32 v5, v5, s7
	s_cmp_lg_u32 s24, s26
	v_add3_u32 v14, v12, v7, v5
	v_add3_u32 v12, v11, v1, v9
	s_cbranch_scc1 .LBB511_64
; %bb.65:
	v_mov_b32_e32 v1, v14
	s_and_b32 s4, s25, 3
	s_cmp_eq_u32 s4, 0
	s_cbranch_scc0 .LBB511_69
	s_branch .LBB511_71
.LBB511_66:
                                        ; implicit-def: $vgpr14
                                        ; implicit-def: $vgpr12
	s_branch .LBB511_72
.LBB511_67:
	v_mov_b32_e32 v14, 0
	v_mov_b32_e32 v12, 0
	s_branch .LBB511_71
.LBB511_68:
	v_mov_b32_e32 v12, 0
                                        ; implicit-def: $vgpr14
	v_mov_b32_e32 v1, v12
	v_mov_b32_e32 v3, v16
	s_and_b32 s4, s25, 3
	s_cmp_eq_u32 s4, 0
	s_cbranch_scc1 .LBB511_71
.LBB511_69:
	s_lshl_b32 s0, s24, 3
	s_add_u32 s0, s34, s0
	s_addc_u32 s1, s35, 0
	s_add_u32 s0, s0, 0xc4
	s_addc_u32 s1, s1, 0
	s_mul_i32 s2, s24, 12
	s_add_u32 s2, s34, s2
	s_addc_u32 s3, s35, 0
.LBB511_70:                             ; =>This Inner Loop Header: Depth=1
	s_load_dwordx2 s[6:7], s[2:3], 0x4
	s_load_dword s5, s[2:3], 0xc
	s_load_dwordx2 s[8:9], s[0:1], 0x0
	v_mov_b32_e32 v14, v1
	s_add_u32 s2, s2, 12
	s_waitcnt lgkmcnt(0)
	v_mul_hi_u32 v1, s7, v3
	v_add_u32_e32 v1, v3, v1
	v_lshrrev_b32_e32 v1, s5, v1
	s_addc_u32 s3, s3, 0
	v_mul_lo_u32 v5, v1, s6
	s_add_u32 s0, s0, 8
	v_sub_u32_e32 v5, v3, v5
	s_addc_u32 s1, s1, 0
	s_add_i32 s4, s4, -1
	v_mad_u64_u32 v[14:15], s[6:7], v5, s9, v[14:15]
	s_cmp_lg_u32 s4, 0
	v_mov_b32_e32 v3, v1
	v_mad_u64_u32 v[12:13], s[6:7], v5, s8, v[12:13]
	v_mov_b32_e32 v1, v14
	s_cbranch_scc1 .LBB511_70
.LBB511_71:
	s_cbranch_execnz .LBB511_74
.LBB511_72:
	s_load_dwordx4 s[0:3], s[34:35], 0x4
	s_load_dwordx2 s[4:5], s[34:35], 0xc4
	s_cmp_lt_u32 s33, 2
	s_waitcnt lgkmcnt(0)
	v_mul_hi_u32 v1, s1, v16
	v_add_u32_e32 v1, v16, v1
	v_lshrrev_b32_e32 v1, s2, v1
	v_mul_lo_u32 v3, v1, s0
	v_sub_u32_e32 v3, v16, v3
	v_mul_lo_u32 v14, v3, s5
	v_mul_lo_u32 v12, v3, s4
	s_cbranch_scc1 .LBB511_74
; %bb.73:
	s_load_dwordx4 s[0:3], s[34:35], 0x10
	s_load_dwordx2 s[4:5], s[34:35], 0xcc
	s_waitcnt lgkmcnt(0)
	v_mul_hi_u32 v3, s1, v1
	v_add_u32_e32 v3, v1, v3
	v_lshrrev_b32_e32 v3, s2, v3
	v_mul_lo_u32 v3, v3, s0
	v_sub_u32_e32 v1, v1, v3
	v_mad_u64_u32 v[12:13], s[0:1], v1, s4, v[12:13]
	v_mad_u64_u32 v[14:15], s[0:1], v1, s5, v[14:15]
.LBB511_74:
	s_load_dwordx4 s[0:3], s[34:35], 0x148
	s_load_dwordx2 s[4:5], s[34:35], 0x158
	s_waitcnt lgkmcnt(0)
	global_load_dwordx2 v[16:17], v2, s[2:3]
	v_mov_b64_e32 v[2:3], s[4:5]
	s_waitcnt vmcnt(0)
	v_cmp_o_f64_e32 vcc, v[16:17], v[16:17]
	s_and_saveexec_b64 s[6:7], vcc
	s_cbranch_execz .LBB511_78
; %bb.75:
	s_load_dwordx2 s[8:9], s[34:35], 0x160
	s_mov_b32 s10, 0
	s_mov_b32 s11, 0x7ff00000
	v_cmp_neq_f64_e32 vcc, s[10:11], v[16:17]
	s_waitcnt lgkmcnt(0)
	v_mov_b64_e32 v[2:3], s[8:9]
	s_and_saveexec_b64 s[8:9], vcc
	s_cbranch_execz .LBB511_77
; %bb.76:
	s_load_dwordx2 s[10:11], s[34:35], 0x168
	s_mov_b32 s12, 0
	s_mov_b32 s13, 0xfff00000
	v_cmp_eq_f64_e32 vcc, s[12:13], v[16:17]
	s_waitcnt lgkmcnt(0)
	v_mov_b32_e32 v1, s11
	v_mov_b32_e32 v2, s10
	v_cndmask_b32_e32 v3, v17, v1, vcc
	v_cndmask_b32_e32 v2, v16, v2, vcc
.LBB511_77:
	s_or_b64 exec, exec, s[8:9]
.LBB511_78:
	s_or_b64 exec, exec, s[6:7]
	global_load_dwordx2 v[16:17], v6, s[2:3]
	v_mov_b64_e32 v[6:7], s[4:5]
	s_waitcnt vmcnt(0)
	v_cmp_o_f64_e32 vcc, v[16:17], v[16:17]
	s_and_saveexec_b64 s[6:7], vcc
	s_cbranch_execz .LBB511_82
; %bb.79:
	s_load_dwordx2 s[8:9], s[34:35], 0x160
	s_mov_b32 s10, 0
	s_mov_b32 s11, 0x7ff00000
	v_cmp_neq_f64_e32 vcc, s[10:11], v[16:17]
	s_waitcnt lgkmcnt(0)
	v_mov_b64_e32 v[6:7], s[8:9]
	s_and_saveexec_b64 s[8:9], vcc
	s_cbranch_execz .LBB511_81
; %bb.80:
	s_load_dwordx2 s[10:11], s[34:35], 0x168
	s_mov_b32 s12, 0
	s_mov_b32 s13, 0xfff00000
	v_cmp_eq_f64_e32 vcc, s[12:13], v[16:17]
	s_waitcnt lgkmcnt(0)
	v_mov_b32_e32 v1, s11
	v_mov_b32_e32 v5, s10
	v_cndmask_b32_e32 v7, v17, v1, vcc
	v_cndmask_b32_e32 v6, v16, v5, vcc
.LBB511_81:
	s_or_b64 exec, exec, s[8:9]
.LBB511_82:
	s_or_b64 exec, exec, s[6:7]
	;; [unrolled: 29-line block ×4, first 2 shown]
	global_store_dwordx2 v0, v[2:3], s[0:1]
	global_store_dwordx2 v4, v[6:7], s[0:1]
	;; [unrolled: 1-line block ×4, first 2 shown]
	s_endpgm
.LBB511_91:
	v_mov_b32_e32 v2, 0
	v_mov_b32_e32 v0, 0
	s_branch .LBB511_97
.LBB511_92:
	v_mov_b32_e32 v2, 0
	v_mov_b32_e32 v0, 0
	s_branch .LBB511_118
.LBB511_93:
	v_mov_b32_e32 v0, 0
	s_mov_b32 s63, 0
	v_mov_b32_e32 v1, v0
                                        ; implicit-def: $vgpr2
	v_mov_b32_e32 v4, v8
.LBB511_94:
	s_and_b32 s12, s64, 3
	s_cmp_eq_u32 s12, 0
	s_cbranch_scc1 .LBB511_97
; %bb.95:
	s_lshl_b32 s8, s63, 3
	s_add_u32 s8, s34, s8
	s_addc_u32 s9, s35, 0
	s_add_u32 s8, s8, 0xc4
	s_addc_u32 s9, s9, 0
	s_mul_i32 s10, s63, 12
	s_add_u32 s10, s34, s10
	s_addc_u32 s11, s35, 0
.LBB511_96:                             ; =>This Inner Loop Header: Depth=1
	s_load_dwordx2 s[14:15], s[10:11], 0x4
	s_load_dword s13, s[10:11], 0xc
	s_load_dwordx2 s[16:17], s[8:9], 0x0
	v_mov_b32_e32 v2, v1
	s_add_u32 s10, s10, 12
	s_waitcnt lgkmcnt(0)
	v_mul_hi_u32 v1, s15, v4
	v_add_u32_e32 v1, v4, v1
	v_lshrrev_b32_e32 v1, s13, v1
	s_addc_u32 s11, s11, 0
	v_mul_lo_u32 v3, v1, s14
	s_add_u32 s8, s8, 8
	v_sub_u32_e32 v5, v4, v3
	s_addc_u32 s9, s9, 0
	s_add_i32 s12, s12, -1
	v_mov_b32_e32 v4, v1
	v_mad_u64_u32 v[2:3], s[14:15], v5, s17, v[2:3]
	v_mad_u64_u32 v[0:1], s[14:15], v5, s16, v[0:1]
	s_cmp_lg_u32 s12, 0
	v_mov_b32_e32 v1, v2
	s_cbranch_scc1 .LBB511_96
.LBB511_97:
	s_cbranch_execnz .LBB511_100
.LBB511_98:
	s_waitcnt lgkmcnt(0)
	v_mul_hi_u32 v0, s29, v8
	v_add_u32_e32 v0, v8, v0
	v_lshrrev_b32_e32 v1, s30, v0
	v_mul_lo_u32 v0, v1, s28
	v_sub_u32_e32 v0, v8, v0
	v_mul_lo_u32 v2, v0, s25
	s_andn2_b64 vcc, exec, s[48:49]
	v_mul_lo_u32 v0, v0, s24
	s_cbranch_vccnz .LBB511_100
; %bb.99:
	v_mul_hi_u32 v3, s46, v1
	v_add_u32_e32 v3, v1, v3
	v_lshrrev_b32_e32 v3, s47, v3
	v_mul_lo_u32 v3, v3, s31
	v_sub_u32_e32 v3, v1, v3
	v_mad_u64_u32 v[0:1], s[8:9], v3, s26, v[0:1]
	v_mad_u64_u32 v[2:3], s[8:9], v3, s27, v[2:3]
.LBB511_100:
	s_waitcnt lgkmcnt(0)
	global_load_dwordx2 v[4:5], v2, s[2:3]
	v_mov_b64_e32 v[2:3], s[4:5]
	s_waitcnt vmcnt(0)
	v_cmp_o_f64_e32 vcc, v[4:5], v[4:5]
	s_and_saveexec_b64 s[8:9], vcc
	s_cbranch_execz .LBB511_104
; %bb.101:
	s_mov_b32 s10, 0
	s_mov_b32 s11, 0x7ff00000
	v_cmp_neq_f64_e32 vcc, s[10:11], v[4:5]
	v_mov_b64_e32 v[2:3], s[6:7]
	s_and_saveexec_b64 s[10:11], vcc
; %bb.102:
	s_mov_b32 s12, 0
	s_mov_b32 s13, 0xfff00000
	v_mov_b32_e32 v1, s45
	v_cmp_eq_f64_e32 vcc, s[12:13], v[4:5]
	s_nop 1
	v_cndmask_b32_e32 v3, v5, v1, vcc
	v_mov_b32_e32 v1, s44
	v_cndmask_b32_e32 v2, v4, v1, vcc
; %bb.103:
	s_or_b64 exec, exec, s[10:11]
.LBB511_104:
	s_or_b64 exec, exec, s[8:9]
	v_add_u32_e32 v8, 0x80, v8
	global_store_dwordx2 v0, v[2:3], s[0:1]
	s_or_b64 exec, exec, s[54:55]
	v_cmp_gt_i32_e32 vcc, s61, v8
	s_and_saveexec_b64 s[54:55], vcc
	s_cbranch_execnz .LBB511_16
.LBB511_105:
	s_or_b64 exec, exec, s[54:55]
	v_cmp_gt_i32_e32 vcc, s61, v8
	s_and_saveexec_b64 s[54:55], vcc
	s_cbranch_execz .LBB511_126
.LBB511_106:
	s_andn2_b64 vcc, exec, s[40:41]
	s_cbranch_vccnz .LBB511_112
; %bb.107:
	s_andn2_b64 vcc, exec, s[52:53]
	s_cbranch_vccnz .LBB511_113
; %bb.108:
	s_add_i32 s64, s62, 1
	s_cmp_eq_u32 s60, 2
	s_cbranch_scc1 .LBB511_129
; %bb.109:
	s_and_b32 s63, s64, 28
	s_mov_b32 s65, 0
	v_mov_b32_e32 v0, 0
	v_mov_b32_e32 v2, 0
	s_mov_b64 s[56:57], s[34:35]
	s_mov_b64 s[58:59], s[50:51]
	v_mov_b32_e32 v4, v8
.LBB511_110:                            ; =>This Inner Loop Header: Depth=1
	s_load_dwordx8 s[16:23], s[56:57], 0x4
	s_load_dwordx4 s[36:39], s[56:57], 0x24
	s_load_dwordx8 s[8:15], s[58:59], 0x0
	s_add_u32 s56, s56, 48
	s_addc_u32 s57, s57, 0
	s_waitcnt lgkmcnt(0)
	v_mul_hi_u32 v1, s17, v4
	v_add_u32_e32 v1, v4, v1
	v_lshrrev_b32_e32 v1, s18, v1
	v_mul_lo_u32 v3, v1, s16
	v_mul_hi_u32 v5, s20, v1
	v_sub_u32_e32 v3, v4, v3
	v_add_u32_e32 v4, v1, v5
	v_lshrrev_b32_e32 v4, s21, v4
	v_mul_lo_u32 v6, v4, s19
	v_mul_hi_u32 v7, s23, v4
	v_sub_u32_e32 v1, v1, v6
	v_add_u32_e32 v6, v4, v7
	v_mul_lo_u32 v5, v3, s9
	v_mul_lo_u32 v3, v3, s8
	;; [unrolled: 1-line block ×4, first 2 shown]
	v_lshrrev_b32_e32 v6, s36, v6
	v_add3_u32 v0, v3, v0, v1
	v_mul_hi_u32 v3, s38, v6
	v_add3_u32 v1, v5, v2, v7
	v_mul_lo_u32 v2, v6, s22
	v_add_u32_e32 v3, v6, v3
	v_sub_u32_e32 v2, v4, v2
	v_lshrrev_b32_e32 v4, s39, v3
	s_add_i32 s65, s65, 4
	v_mul_lo_u32 v3, v4, s37
	s_add_u32 s58, s58, 32
	v_sub_u32_e32 v3, v6, v3
	s_addc_u32 s59, s59, 0
	v_mul_lo_u32 v5, v2, s12
	v_mul_lo_u32 v2, v2, s13
	;; [unrolled: 1-line block ×4, first 2 shown]
	s_cmp_eq_u32 s63, s65
	v_add3_u32 v2, v2, v1, v3
	v_add3_u32 v0, v5, v0, v6
	s_cbranch_scc0 .LBB511_110
; %bb.111:
	v_mov_b32_e32 v1, v2
	s_branch .LBB511_130
.LBB511_112:
                                        ; implicit-def: $vgpr2
                                        ; implicit-def: $vgpr0
	s_branch .LBB511_134
.LBB511_113:
	v_mov_b32_e32 v2, 0
	v_mov_b32_e32 v0, 0
	s_branch .LBB511_133
.LBB511_114:
	v_mov_b32_e32 v0, 0
	s_mov_b32 s63, 0
	v_mov_b32_e32 v1, v0
                                        ; implicit-def: $vgpr2
	v_mov_b32_e32 v4, v8
.LBB511_115:
	s_and_b32 s12, s64, 3
	s_cmp_eq_u32 s12, 0
	s_cbranch_scc1 .LBB511_118
; %bb.116:
	s_lshl_b32 s8, s63, 3
	s_add_u32 s8, s34, s8
	s_addc_u32 s9, s35, 0
	s_add_u32 s8, s8, 0xc4
	s_addc_u32 s9, s9, 0
	s_mul_i32 s10, s63, 12
	s_add_u32 s10, s34, s10
	s_addc_u32 s11, s35, 0
.LBB511_117:                            ; =>This Inner Loop Header: Depth=1
	s_load_dwordx2 s[14:15], s[10:11], 0x4
	s_load_dword s13, s[10:11], 0xc
	s_load_dwordx2 s[16:17], s[8:9], 0x0
	v_mov_b32_e32 v2, v1
	s_add_u32 s10, s10, 12
	s_waitcnt lgkmcnt(0)
	v_mul_hi_u32 v1, s15, v4
	v_add_u32_e32 v1, v4, v1
	v_lshrrev_b32_e32 v1, s13, v1
	s_addc_u32 s11, s11, 0
	v_mul_lo_u32 v3, v1, s14
	s_add_u32 s8, s8, 8
	v_sub_u32_e32 v5, v4, v3
	s_addc_u32 s9, s9, 0
	s_add_i32 s12, s12, -1
	v_mov_b32_e32 v4, v1
	v_mad_u64_u32 v[2:3], s[14:15], v5, s17, v[2:3]
	v_mad_u64_u32 v[0:1], s[14:15], v5, s16, v[0:1]
	s_cmp_lg_u32 s12, 0
	v_mov_b32_e32 v1, v2
	s_cbranch_scc1 .LBB511_117
.LBB511_118:
	s_cbranch_execnz .LBB511_121
.LBB511_119:
	s_waitcnt lgkmcnt(0)
	v_mul_hi_u32 v0, s29, v8
	v_add_u32_e32 v0, v8, v0
	v_lshrrev_b32_e32 v1, s30, v0
	v_mul_lo_u32 v0, v1, s28
	v_sub_u32_e32 v0, v8, v0
	v_mul_lo_u32 v2, v0, s25
	s_andn2_b64 vcc, exec, s[48:49]
	v_mul_lo_u32 v0, v0, s24
	s_cbranch_vccnz .LBB511_121
; %bb.120:
	v_mul_hi_u32 v3, s46, v1
	v_add_u32_e32 v3, v1, v3
	v_lshrrev_b32_e32 v3, s47, v3
	v_mul_lo_u32 v3, v3, s31
	v_sub_u32_e32 v3, v1, v3
	v_mad_u64_u32 v[0:1], s[8:9], v3, s26, v[0:1]
	v_mad_u64_u32 v[2:3], s[8:9], v3, s27, v[2:3]
.LBB511_121:
	s_waitcnt lgkmcnt(0)
	global_load_dwordx2 v[4:5], v2, s[2:3]
	v_mov_b64_e32 v[2:3], s[4:5]
	s_waitcnt vmcnt(0)
	v_cmp_o_f64_e32 vcc, v[4:5], v[4:5]
	s_and_saveexec_b64 s[8:9], vcc
	s_cbranch_execz .LBB511_125
; %bb.122:
	s_mov_b32 s10, 0
	s_mov_b32 s11, 0x7ff00000
	v_cmp_neq_f64_e32 vcc, s[10:11], v[4:5]
	v_mov_b64_e32 v[2:3], s[6:7]
	s_and_saveexec_b64 s[10:11], vcc
; %bb.123:
	s_mov_b32 s12, 0
	s_mov_b32 s13, 0xfff00000
	v_mov_b32_e32 v1, s45
	v_cmp_eq_f64_e32 vcc, s[12:13], v[4:5]
	s_nop 1
	v_cndmask_b32_e32 v3, v5, v1, vcc
	v_mov_b32_e32 v1, s44
	v_cndmask_b32_e32 v2, v4, v1, vcc
; %bb.124:
	s_or_b64 exec, exec, s[10:11]
.LBB511_125:
	s_or_b64 exec, exec, s[8:9]
	v_add_u32_e32 v8, 0x80, v8
	global_store_dwordx2 v0, v[2:3], s[0:1]
	s_or_b64 exec, exec, s[54:55]
	v_cmp_gt_i32_e32 vcc, s61, v8
	s_and_saveexec_b64 s[54:55], vcc
	s_cbranch_execnz .LBB511_106
.LBB511_126:
	s_or_b64 exec, exec, s[54:55]
	v_cmp_gt_i32_e32 vcc, s61, v8
	s_and_saveexec_b64 s[54:55], vcc
	s_cbranch_execnz .LBB511_141
.LBB511_127:
	s_or_b64 exec, exec, s[54:55]
                                        ; implicit-def: $vgpr16
                                        ; implicit-def: $vgpr8
	s_waitcnt lgkmcnt(0)
	s_andn2_saveexec_b64 s[0:1], s[42:43]
	s_cbranch_execnz .LBB511_9
.LBB511_128:
	s_endpgm
.LBB511_129:
	v_mov_b32_e32 v0, 0
	s_mov_b32 s63, 0
	v_mov_b32_e32 v1, v0
                                        ; implicit-def: $vgpr2
	v_mov_b32_e32 v4, v8
.LBB511_130:
	s_and_b32 s12, s64, 3
	s_cmp_eq_u32 s12, 0
	s_cbranch_scc1 .LBB511_133
; %bb.131:
	s_lshl_b32 s8, s63, 3
	s_add_u32 s8, s34, s8
	s_addc_u32 s9, s35, 0
	s_add_u32 s8, s8, 0xc4
	s_addc_u32 s9, s9, 0
	s_mul_i32 s10, s63, 12
	s_add_u32 s10, s34, s10
	s_addc_u32 s11, s35, 0
.LBB511_132:                            ; =>This Inner Loop Header: Depth=1
	s_load_dwordx2 s[14:15], s[10:11], 0x4
	s_load_dword s13, s[10:11], 0xc
	s_load_dwordx2 s[16:17], s[8:9], 0x0
	v_mov_b32_e32 v2, v1
	s_add_u32 s10, s10, 12
	s_waitcnt lgkmcnt(0)
	v_mul_hi_u32 v1, s15, v4
	v_add_u32_e32 v1, v4, v1
	v_lshrrev_b32_e32 v1, s13, v1
	s_addc_u32 s11, s11, 0
	v_mul_lo_u32 v3, v1, s14
	s_add_u32 s8, s8, 8
	v_sub_u32_e32 v5, v4, v3
	s_addc_u32 s9, s9, 0
	s_add_i32 s12, s12, -1
	v_mov_b32_e32 v4, v1
	v_mad_u64_u32 v[2:3], s[14:15], v5, s17, v[2:3]
	v_mad_u64_u32 v[0:1], s[14:15], v5, s16, v[0:1]
	s_cmp_lg_u32 s12, 0
	v_mov_b32_e32 v1, v2
	s_cbranch_scc1 .LBB511_132
.LBB511_133:
	s_cbranch_execnz .LBB511_136
.LBB511_134:
	s_waitcnt lgkmcnt(0)
	v_mul_hi_u32 v0, s29, v8
	v_add_u32_e32 v0, v8, v0
	v_lshrrev_b32_e32 v1, s30, v0
	v_mul_lo_u32 v0, v1, s28
	v_sub_u32_e32 v0, v8, v0
	v_mul_lo_u32 v2, v0, s25
	s_andn2_b64 vcc, exec, s[48:49]
	v_mul_lo_u32 v0, v0, s24
	s_cbranch_vccnz .LBB511_136
; %bb.135:
	v_mul_hi_u32 v3, s46, v1
	v_add_u32_e32 v3, v1, v3
	v_lshrrev_b32_e32 v3, s47, v3
	v_mul_lo_u32 v3, v3, s31
	v_sub_u32_e32 v3, v1, v3
	v_mad_u64_u32 v[0:1], s[8:9], v3, s26, v[0:1]
	v_mad_u64_u32 v[2:3], s[8:9], v3, s27, v[2:3]
.LBB511_136:
	s_waitcnt lgkmcnt(0)
	global_load_dwordx2 v[4:5], v2, s[2:3]
	v_mov_b64_e32 v[2:3], s[4:5]
	s_waitcnt vmcnt(0)
	v_cmp_o_f64_e32 vcc, v[4:5], v[4:5]
	s_and_saveexec_b64 s[8:9], vcc
	s_cbranch_execz .LBB511_140
; %bb.137:
	s_mov_b32 s10, 0
	s_mov_b32 s11, 0x7ff00000
	v_cmp_neq_f64_e32 vcc, s[10:11], v[4:5]
	v_mov_b64_e32 v[2:3], s[6:7]
	s_and_saveexec_b64 s[10:11], vcc
; %bb.138:
	s_mov_b32 s12, 0
	s_mov_b32 s13, 0xfff00000
	v_mov_b32_e32 v1, s45
	v_cmp_eq_f64_e32 vcc, s[12:13], v[4:5]
	s_nop 1
	v_cndmask_b32_e32 v3, v5, v1, vcc
	v_mov_b32_e32 v1, s44
	v_cndmask_b32_e32 v2, v4, v1, vcc
; %bb.139:
	s_or_b64 exec, exec, s[10:11]
.LBB511_140:
	s_or_b64 exec, exec, s[8:9]
	v_add_u32_e32 v8, 0x80, v8
	global_store_dwordx2 v0, v[2:3], s[0:1]
	s_or_b64 exec, exec, s[54:55]
	v_cmp_gt_i32_e32 vcc, s61, v8
	s_and_saveexec_b64 s[54:55], vcc
	s_cbranch_execz .LBB511_127
.LBB511_141:
	s_andn2_b64 vcc, exec, s[40:41]
	s_cbranch_vccnz .LBB511_147
; %bb.142:
	s_andn2_b64 vcc, exec, s[52:53]
	s_cbranch_vccnz .LBB511_148
; %bb.143:
	s_add_i32 s62, s62, 1
	s_cmp_eq_u32 s60, 2
	s_cbranch_scc1 .LBB511_149
; %bb.144:
	s_and_b32 s56, s62, 28
	s_mov_b32 s57, 0
	v_mov_b32_e32 v0, 0
	v_mov_b32_e32 v2, 0
	s_mov_b64 s[52:53], s[34:35]
	v_mov_b32_e32 v4, v8
.LBB511_145:                            ; =>This Inner Loop Header: Depth=1
	s_load_dwordx8 s[16:23], s[52:53], 0x4
	s_load_dwordx4 s[36:39], s[52:53], 0x24
	s_load_dwordx8 s[8:15], s[50:51], 0x0
	s_add_u32 s52, s52, 48
	s_addc_u32 s53, s53, 0
	s_waitcnt lgkmcnt(0)
	v_mul_hi_u32 v1, s17, v4
	v_add_u32_e32 v1, v4, v1
	v_lshrrev_b32_e32 v1, s18, v1
	v_mul_lo_u32 v3, v1, s16
	v_mul_hi_u32 v5, s20, v1
	v_sub_u32_e32 v3, v4, v3
	v_add_u32_e32 v4, v1, v5
	v_lshrrev_b32_e32 v4, s21, v4
	v_mul_lo_u32 v6, v4, s19
	v_mul_hi_u32 v7, s23, v4
	v_sub_u32_e32 v1, v1, v6
	v_add_u32_e32 v6, v4, v7
	v_mul_lo_u32 v5, v3, s9
	v_mul_lo_u32 v3, v3, s8
	;; [unrolled: 1-line block ×4, first 2 shown]
	v_lshrrev_b32_e32 v6, s36, v6
	v_add3_u32 v0, v3, v0, v1
	v_mul_hi_u32 v3, s38, v6
	v_add3_u32 v1, v5, v2, v7
	v_mul_lo_u32 v2, v6, s22
	v_add_u32_e32 v3, v6, v3
	v_sub_u32_e32 v2, v4, v2
	v_lshrrev_b32_e32 v4, s39, v3
	s_add_i32 s57, s57, 4
	v_mul_lo_u32 v3, v4, s37
	s_add_u32 s50, s50, 32
	v_sub_u32_e32 v3, v6, v3
	s_addc_u32 s51, s51, 0
	v_mul_lo_u32 v5, v2, s12
	v_mul_lo_u32 v2, v2, s13
	;; [unrolled: 1-line block ×4, first 2 shown]
	s_cmp_eq_u32 s56, s57
	v_add3_u32 v2, v2, v1, v3
	v_add3_u32 v0, v5, v0, v6
	s_cbranch_scc0 .LBB511_145
; %bb.146:
	v_mov_b32_e32 v1, v2
	s_branch .LBB511_150
.LBB511_147:
                                        ; implicit-def: $vgpr2
                                        ; implicit-def: $vgpr0
	s_branch .LBB511_154
.LBB511_148:
	v_mov_b32_e32 v2, 0
	v_mov_b32_e32 v0, 0
	s_branch .LBB511_153
.LBB511_149:
	v_mov_b32_e32 v0, 0
	s_mov_b32 s56, 0
	v_mov_b32_e32 v1, v0
                                        ; implicit-def: $vgpr2
	v_mov_b32_e32 v4, v8
.LBB511_150:
	s_and_b32 s12, s62, 3
	s_cmp_eq_u32 s12, 0
	s_cbranch_scc1 .LBB511_153
; %bb.151:
	s_lshl_b32 s8, s56, 3
	s_add_u32 s8, s34, s8
	s_addc_u32 s9, s35, 0
	s_add_u32 s8, s8, 0xc4
	s_addc_u32 s9, s9, 0
	s_mul_i32 s10, s56, 12
	s_add_u32 s10, s34, s10
	s_addc_u32 s11, s35, 0
.LBB511_152:                            ; =>This Inner Loop Header: Depth=1
	s_load_dwordx2 s[14:15], s[10:11], 0x4
	s_load_dword s13, s[10:11], 0xc
	s_load_dwordx2 s[16:17], s[8:9], 0x0
	v_mov_b32_e32 v2, v1
	s_add_u32 s10, s10, 12
	s_waitcnt lgkmcnt(0)
	v_mul_hi_u32 v1, s15, v4
	v_add_u32_e32 v1, v4, v1
	v_lshrrev_b32_e32 v1, s13, v1
	s_addc_u32 s11, s11, 0
	v_mul_lo_u32 v3, v1, s14
	s_add_u32 s8, s8, 8
	v_sub_u32_e32 v5, v4, v3
	s_addc_u32 s9, s9, 0
	s_add_i32 s12, s12, -1
	v_mov_b32_e32 v4, v1
	v_mad_u64_u32 v[2:3], s[14:15], v5, s17, v[2:3]
	v_mad_u64_u32 v[0:1], s[14:15], v5, s16, v[0:1]
	s_cmp_lg_u32 s12, 0
	v_mov_b32_e32 v1, v2
	s_cbranch_scc1 .LBB511_152
.LBB511_153:
	s_cbranch_execnz .LBB511_156
.LBB511_154:
	s_waitcnt lgkmcnt(0)
	v_mul_hi_u32 v0, s29, v8
	v_add_u32_e32 v0, v8, v0
	v_lshrrev_b32_e32 v1, s30, v0
	v_mul_lo_u32 v0, v1, s28
	v_sub_u32_e32 v0, v8, v0
	v_mul_lo_u32 v2, v0, s25
	s_andn2_b64 vcc, exec, s[48:49]
	v_mul_lo_u32 v0, v0, s24
	s_cbranch_vccnz .LBB511_156
; %bb.155:
	v_mul_hi_u32 v3, s46, v1
	v_add_u32_e32 v3, v1, v3
	v_lshrrev_b32_e32 v3, s47, v3
	v_mul_lo_u32 v3, v3, s31
	v_sub_u32_e32 v3, v1, v3
	v_mad_u64_u32 v[0:1], s[8:9], v3, s26, v[0:1]
	v_mad_u64_u32 v[2:3], s[8:9], v3, s27, v[2:3]
.LBB511_156:
	s_waitcnt lgkmcnt(0)
	global_load_dwordx2 v[4:5], v2, s[2:3]
	v_mov_b64_e32 v[2:3], s[4:5]
	s_waitcnt vmcnt(0)
	v_cmp_o_f64_e32 vcc, v[4:5], v[4:5]
	s_and_saveexec_b64 s[2:3], vcc
	s_cbranch_execz .LBB511_160
; %bb.157:
	s_mov_b32 s4, 0
	s_mov_b32 s5, 0x7ff00000
	v_cmp_neq_f64_e32 vcc, s[4:5], v[4:5]
	v_mov_b64_e32 v[2:3], s[6:7]
	s_and_saveexec_b64 s[4:5], vcc
; %bb.158:
	s_mov_b32 s6, 0
	s_mov_b32 s7, 0xfff00000
	v_mov_b32_e32 v1, s45
	v_cmp_eq_f64_e32 vcc, s[6:7], v[4:5]
	s_nop 1
	v_cndmask_b32_e32 v3, v5, v1, vcc
	v_mov_b32_e32 v1, s44
	v_cndmask_b32_e32 v2, v4, v1, vcc
; %bb.159:
	s_or_b64 exec, exec, s[4:5]
.LBB511_160:
	s_or_b64 exec, exec, s[2:3]
	global_store_dwordx2 v0, v[2:3], s[0:1]
	s_or_b64 exec, exec, s[54:55]
                                        ; implicit-def: $vgpr16
                                        ; implicit-def: $vgpr8
	s_andn2_saveexec_b64 s[0:1], s[42:43]
	s_cbranch_execz .LBB511_128
	s_branch .LBB511_9
	.section	.rodata,"a",@progbits
	.p2align	6, 0x0
	.amdhsa_kernel _ZN2at6native32elementwise_kernel_manual_unrollILi128ELi4EZNS0_22gpu_kernel_impl_nocastIZZZNS0_22nan_to_num_kernel_cudaERNS_18TensorIteratorBaseESt8optionalIdES6_S6_ENKUlvE0_clEvENKUlvE_clEvEUldE_EEvS4_RKT_EUlibE_EEviT1_
		.amdhsa_group_segment_fixed_size 0
		.amdhsa_private_segment_fixed_size 0
		.amdhsa_kernarg_size 376
		.amdhsa_user_sgpr_count 2
		.amdhsa_user_sgpr_dispatch_ptr 0
		.amdhsa_user_sgpr_queue_ptr 0
		.amdhsa_user_sgpr_kernarg_segment_ptr 1
		.amdhsa_user_sgpr_dispatch_id 0
		.amdhsa_user_sgpr_kernarg_preload_length 0
		.amdhsa_user_sgpr_kernarg_preload_offset 0
		.amdhsa_user_sgpr_private_segment_size 0
		.amdhsa_uses_dynamic_stack 0
		.amdhsa_enable_private_segment 0
		.amdhsa_system_sgpr_workgroup_id_x 1
		.amdhsa_system_sgpr_workgroup_id_y 0
		.amdhsa_system_sgpr_workgroup_id_z 0
		.amdhsa_system_sgpr_workgroup_info 0
		.amdhsa_system_vgpr_workitem_id 0
		.amdhsa_next_free_vgpr 18
		.amdhsa_next_free_sgpr 66
		.amdhsa_accum_offset 20
		.amdhsa_reserve_vcc 1
		.amdhsa_float_round_mode_32 0
		.amdhsa_float_round_mode_16_64 0
		.amdhsa_float_denorm_mode_32 3
		.amdhsa_float_denorm_mode_16_64 3
		.amdhsa_dx10_clamp 1
		.amdhsa_ieee_mode 1
		.amdhsa_fp16_overflow 0
		.amdhsa_tg_split 0
		.amdhsa_exception_fp_ieee_invalid_op 0
		.amdhsa_exception_fp_denorm_src 0
		.amdhsa_exception_fp_ieee_div_zero 0
		.amdhsa_exception_fp_ieee_overflow 0
		.amdhsa_exception_fp_ieee_underflow 0
		.amdhsa_exception_fp_ieee_inexact 0
		.amdhsa_exception_int_div_zero 0
	.end_amdhsa_kernel
	.section	.text._ZN2at6native32elementwise_kernel_manual_unrollILi128ELi4EZNS0_22gpu_kernel_impl_nocastIZZZNS0_22nan_to_num_kernel_cudaERNS_18TensorIteratorBaseESt8optionalIdES6_S6_ENKUlvE0_clEvENKUlvE_clEvEUldE_EEvS4_RKT_EUlibE_EEviT1_,"axG",@progbits,_ZN2at6native32elementwise_kernel_manual_unrollILi128ELi4EZNS0_22gpu_kernel_impl_nocastIZZZNS0_22nan_to_num_kernel_cudaERNS_18TensorIteratorBaseESt8optionalIdES6_S6_ENKUlvE0_clEvENKUlvE_clEvEUldE_EEvS4_RKT_EUlibE_EEviT1_,comdat
.Lfunc_end511:
	.size	_ZN2at6native32elementwise_kernel_manual_unrollILi128ELi4EZNS0_22gpu_kernel_impl_nocastIZZZNS0_22nan_to_num_kernel_cudaERNS_18TensorIteratorBaseESt8optionalIdES6_S6_ENKUlvE0_clEvENKUlvE_clEvEUldE_EEvS4_RKT_EUlibE_EEviT1_, .Lfunc_end511-_ZN2at6native32elementwise_kernel_manual_unrollILi128ELi4EZNS0_22gpu_kernel_impl_nocastIZZZNS0_22nan_to_num_kernel_cudaERNS_18TensorIteratorBaseESt8optionalIdES6_S6_ENKUlvE0_clEvENKUlvE_clEvEUldE_EEvS4_RKT_EUlibE_EEviT1_
                                        ; -- End function
	.set _ZN2at6native32elementwise_kernel_manual_unrollILi128ELi4EZNS0_22gpu_kernel_impl_nocastIZZZNS0_22nan_to_num_kernel_cudaERNS_18TensorIteratorBaseESt8optionalIdES6_S6_ENKUlvE0_clEvENKUlvE_clEvEUldE_EEvS4_RKT_EUlibE_EEviT1_.num_vgpr, 18
	.set _ZN2at6native32elementwise_kernel_manual_unrollILi128ELi4EZNS0_22gpu_kernel_impl_nocastIZZZNS0_22nan_to_num_kernel_cudaERNS_18TensorIteratorBaseESt8optionalIdES6_S6_ENKUlvE0_clEvENKUlvE_clEvEUldE_EEvS4_RKT_EUlibE_EEviT1_.num_agpr, 0
	.set _ZN2at6native32elementwise_kernel_manual_unrollILi128ELi4EZNS0_22gpu_kernel_impl_nocastIZZZNS0_22nan_to_num_kernel_cudaERNS_18TensorIteratorBaseESt8optionalIdES6_S6_ENKUlvE0_clEvENKUlvE_clEvEUldE_EEvS4_RKT_EUlibE_EEviT1_.numbered_sgpr, 66
	.set _ZN2at6native32elementwise_kernel_manual_unrollILi128ELi4EZNS0_22gpu_kernel_impl_nocastIZZZNS0_22nan_to_num_kernel_cudaERNS_18TensorIteratorBaseESt8optionalIdES6_S6_ENKUlvE0_clEvENKUlvE_clEvEUldE_EEvS4_RKT_EUlibE_EEviT1_.num_named_barrier, 0
	.set _ZN2at6native32elementwise_kernel_manual_unrollILi128ELi4EZNS0_22gpu_kernel_impl_nocastIZZZNS0_22nan_to_num_kernel_cudaERNS_18TensorIteratorBaseESt8optionalIdES6_S6_ENKUlvE0_clEvENKUlvE_clEvEUldE_EEvS4_RKT_EUlibE_EEviT1_.private_seg_size, 0
	.set _ZN2at6native32elementwise_kernel_manual_unrollILi128ELi4EZNS0_22gpu_kernel_impl_nocastIZZZNS0_22nan_to_num_kernel_cudaERNS_18TensorIteratorBaseESt8optionalIdES6_S6_ENKUlvE0_clEvENKUlvE_clEvEUldE_EEvS4_RKT_EUlibE_EEviT1_.uses_vcc, 1
	.set _ZN2at6native32elementwise_kernel_manual_unrollILi128ELi4EZNS0_22gpu_kernel_impl_nocastIZZZNS0_22nan_to_num_kernel_cudaERNS_18TensorIteratorBaseESt8optionalIdES6_S6_ENKUlvE0_clEvENKUlvE_clEvEUldE_EEvS4_RKT_EUlibE_EEviT1_.uses_flat_scratch, 0
	.set _ZN2at6native32elementwise_kernel_manual_unrollILi128ELi4EZNS0_22gpu_kernel_impl_nocastIZZZNS0_22nan_to_num_kernel_cudaERNS_18TensorIteratorBaseESt8optionalIdES6_S6_ENKUlvE0_clEvENKUlvE_clEvEUldE_EEvS4_RKT_EUlibE_EEviT1_.has_dyn_sized_stack, 0
	.set _ZN2at6native32elementwise_kernel_manual_unrollILi128ELi4EZNS0_22gpu_kernel_impl_nocastIZZZNS0_22nan_to_num_kernel_cudaERNS_18TensorIteratorBaseESt8optionalIdES6_S6_ENKUlvE0_clEvENKUlvE_clEvEUldE_EEvS4_RKT_EUlibE_EEviT1_.has_recursion, 0
	.set _ZN2at6native32elementwise_kernel_manual_unrollILi128ELi4EZNS0_22gpu_kernel_impl_nocastIZZZNS0_22nan_to_num_kernel_cudaERNS_18TensorIteratorBaseESt8optionalIdES6_S6_ENKUlvE0_clEvENKUlvE_clEvEUldE_EEvS4_RKT_EUlibE_EEviT1_.has_indirect_call, 0
	.section	.AMDGPU.csdata,"",@progbits
; Kernel info:
; codeLenInByte = 6548
; TotalNumSgprs: 72
; NumVgprs: 18
; NumAgprs: 0
; TotalNumVgprs: 18
; ScratchSize: 0
; MemoryBound: 0
; FloatMode: 240
; IeeeMode: 1
; LDSByteSize: 0 bytes/workgroup (compile time only)
; SGPRBlocks: 8
; VGPRBlocks: 2
; NumSGPRsForWavesPerEU: 72
; NumVGPRsForWavesPerEU: 18
; AccumOffset: 20
; Occupancy: 8
; WaveLimiterHint : 1
; COMPUTE_PGM_RSRC2:SCRATCH_EN: 0
; COMPUTE_PGM_RSRC2:USER_SGPR: 2
; COMPUTE_PGM_RSRC2:TRAP_HANDLER: 0
; COMPUTE_PGM_RSRC2:TGID_X_EN: 1
; COMPUTE_PGM_RSRC2:TGID_Y_EN: 0
; COMPUTE_PGM_RSRC2:TGID_Z_EN: 0
; COMPUTE_PGM_RSRC2:TIDIG_COMP_CNT: 0
; COMPUTE_PGM_RSRC3_GFX90A:ACCUM_OFFSET: 4
; COMPUTE_PGM_RSRC3_GFX90A:TG_SPLIT: 0
	.section	.text._ZN2at6native32elementwise_kernel_manual_unrollILi128ELi4EZNS0_15gpu_kernel_implIZZZNS0_22nan_to_num_kernel_cudaERNS_18TensorIteratorBaseESt8optionalIdES6_S6_ENKUlvE0_clEvENKUlvE_clEvEUldE_EEvS4_RKT_EUlibE_EEviT1_,"axG",@progbits,_ZN2at6native32elementwise_kernel_manual_unrollILi128ELi4EZNS0_15gpu_kernel_implIZZZNS0_22nan_to_num_kernel_cudaERNS_18TensorIteratorBaseESt8optionalIdES6_S6_ENKUlvE0_clEvENKUlvE_clEvEUldE_EEvS4_RKT_EUlibE_EEviT1_,comdat
	.globl	_ZN2at6native32elementwise_kernel_manual_unrollILi128ELi4EZNS0_15gpu_kernel_implIZZZNS0_22nan_to_num_kernel_cudaERNS_18TensorIteratorBaseESt8optionalIdES6_S6_ENKUlvE0_clEvENKUlvE_clEvEUldE_EEvS4_RKT_EUlibE_EEviT1_ ; -- Begin function _ZN2at6native32elementwise_kernel_manual_unrollILi128ELi4EZNS0_15gpu_kernel_implIZZZNS0_22nan_to_num_kernel_cudaERNS_18TensorIteratorBaseESt8optionalIdES6_S6_ENKUlvE0_clEvENKUlvE_clEvEUldE_EEvS4_RKT_EUlibE_EEviT1_
	.p2align	8
	.type	_ZN2at6native32elementwise_kernel_manual_unrollILi128ELi4EZNS0_15gpu_kernel_implIZZZNS0_22nan_to_num_kernel_cudaERNS_18TensorIteratorBaseESt8optionalIdES6_S6_ENKUlvE0_clEvENKUlvE_clEvEUldE_EEvS4_RKT_EUlibE_EEviT1_,@function
_ZN2at6native32elementwise_kernel_manual_unrollILi128ELi4EZNS0_15gpu_kernel_implIZZZNS0_22nan_to_num_kernel_cudaERNS_18TensorIteratorBaseESt8optionalIdES6_S6_ENKUlvE0_clEvENKUlvE_clEvEUldE_EEvS4_RKT_EUlibE_EEviT1_: ; @_ZN2at6native32elementwise_kernel_manual_unrollILi128ELi4EZNS0_15gpu_kernel_implIZZZNS0_22nan_to_num_kernel_cudaERNS_18TensorIteratorBaseESt8optionalIdES6_S6_ENKUlvE0_clEvENKUlvE_clEvEUldE_EEvS4_RKT_EUlibE_EEviT1_
; %bb.0:
	s_load_dwordx2 s[14:15], s[0:1], 0x30
	s_load_dword s33, s[0:1], 0x38
	s_load_dword s44, s[0:1], 0x0
	s_load_dwordx4 s[4:7], s[0:1], 0x8
	s_load_dwordx2 s[12:13], s[0:1], 0x18
	s_load_dwordx4 s[8:11], s[0:1], 0x20
	v_lshl_or_b32 v10, s2, 9, v0
	v_or_b32_e32 v0, 0x180, v10
	s_waitcnt lgkmcnt(0)
	s_bfe_u32 s48, s33, 0x80008
	v_cmp_le_i32_e32 vcc, s44, v0
	s_mov_b64 s[2:3], 0
	s_mov_b64 s[18:19], 0
	s_and_saveexec_b64 s[0:1], vcc
	s_xor_b64 s[16:17], exec, s[0:1]
	s_cbranch_execz .LBB512_1043
; %bb.1:
	v_cmp_gt_i32_e32 vcc, s44, v10
	s_mov_b64 s[24:25], -1
	s_mov_b64 s[26:27], 0
	s_mov_b64 s[20:21], 0
	s_and_saveexec_b64 s[22:23], vcc
	s_cbranch_execz .LBB512_256
; %bb.2:
	v_mul_lo_u32 v0, v10, s13
	v_ashrrev_i32_e32 v1, 31, v0
	s_and_b32 s28, 0xffff, s48
	s_cmp_lt_i32 s28, 11
	v_lshl_add_u64 v[0:1], s[6:7], 0, v[0:1]
	s_cbranch_scc1 .LBB512_9
; %bb.3:
	s_cmp_gt_i32 s28, 25
	s_cbranch_scc0 .LBB512_22
; %bb.4:
	s_cmp_gt_i32 s28, 28
	s_cbranch_scc0 .LBB512_26
	;; [unrolled: 3-line block ×4, first 2 shown]
; %bb.7:
	s_cmp_eq_u32 s28, 46
	s_cbranch_scc0 .LBB512_32
; %bb.8:
	global_load_dword v2, v[0:1], off
	s_mov_b64 s[0:1], -1
	s_waitcnt vmcnt(0)
	v_lshlrev_b32_e32 v2, 16, v2
	v_cvt_f64_f32_e32 v[2:3], v2
	s_branch .LBB512_34
.LBB512_9:
                                        ; implicit-def: $vgpr2_vgpr3
	s_mov_b64 s[0:1], 0
	s_cbranch_execnz .LBB512_207
.LBB512_10:
	s_andn2_b64 vcc, exec, s[0:1]
	s_cbranch_vccnz .LBB512_254
.LBB512_11:
	s_waitcnt vmcnt(0)
	v_cmp_o_f64_e32 vcc, v[2:3], v[2:3]
	v_mov_b64_e32 v[0:1], s[8:9]
	s_and_saveexec_b64 s[0:1], vcc
	s_cbranch_execz .LBB512_15
; %bb.12:
	s_mov_b32 s18, 0
	s_mov_b32 s19, 0x7ff00000
	v_cmp_neq_f64_e32 vcc, s[18:19], v[2:3]
	v_mov_b64_e32 v[0:1], s[10:11]
	s_and_saveexec_b64 s[18:19], vcc
; %bb.13:
	s_mov_b32 s24, 0
	s_mov_b32 s25, 0xfff00000
	v_mov_b32_e32 v0, s15
	v_cmp_eq_f64_e32 vcc, s[24:25], v[2:3]
	s_nop 1
	v_cndmask_b32_e32 v1, v3, v0, vcc
	v_mov_b32_e32 v0, s14
	v_cndmask_b32_e32 v0, v2, v0, vcc
; %bb.14:
	s_or_b64 exec, exec, s[18:19]
.LBB512_15:
	s_or_b64 exec, exec, s[0:1]
	v_mul_lo_u32 v2, v10, s12
	v_ashrrev_i32_e32 v3, 31, v2
	s_and_b32 s30, s33, 0xff
	s_cmp_lt_i32 s30, 11
	v_lshl_add_u64 v[4:5], s[4:5], 0, v[2:3]
	s_cbranch_scc1 .LBB512_23
; %bb.16:
	s_and_b32 s31, 0xffff, s30
	s_cmp_gt_i32 s31, 25
	s_cbranch_scc0 .LBB512_27
; %bb.17:
	s_cmp_gt_i32 s31, 28
	s_cbranch_scc0 .LBB512_29
; %bb.18:
	;; [unrolled: 3-line block ×4, first 2 shown]
	s_mov_b64 s[24:25], 0
	s_mov_b64 s[0:1], -1
	s_cmp_eq_u32 s31, 46
	s_mov_b64 s[18:19], 0
	s_cbranch_scc0 .LBB512_38
; %bb.21:
	v_cvt_f32_f64_e32 v2, v[0:1]
	v_bfe_u32 v3, v2, 16, 1
	s_movk_i32 s0, 0x7fff
	v_add3_u32 v3, v2, v3, s0
	v_cmp_o_f32_e32 vcc, v2, v2
	v_mov_b32_e32 v2, 0x7fc0
	s_mov_b64 s[18:19], -1
	v_cndmask_b32_sdwa v2, v2, v3, vcc dst_sel:DWORD dst_unused:UNUSED_PAD src0_sel:DWORD src1_sel:WORD_1
	global_store_dword v[4:5], v2, off
	s_mov_b64 s[0:1], 0
	s_branch .LBB512_38
.LBB512_22:
	s_mov_b64 s[0:1], 0
                                        ; implicit-def: $vgpr2_vgpr3
	s_cbranch_execnz .LBB512_174
	s_branch .LBB512_206
.LBB512_23:
	s_mov_b64 s[0:1], 0
	s_mov_b64 s[18:19], 0
	s_cbranch_execnz .LBB512_107
.LBB512_24:
	s_andn2_b64 vcc, exec, s[18:19]
	s_cbranch_vccnz .LBB512_145
.LBB512_25:
	v_add_u32_e32 v10, 0x80, v10
	s_mov_b64 s[24:25], -1
	s_branch .LBB512_255
.LBB512_26:
	s_mov_b64 s[18:19], -1
	s_mov_b64 s[0:1], 0
                                        ; implicit-def: $vgpr2_vgpr3
	s_branch .LBB512_153
.LBB512_27:
	s_mov_b64 s[24:25], -1
	s_mov_b64 s[0:1], 0
	s_mov_b64 s[18:19], 0
	s_branch .LBB512_65
.LBB512_28:
	s_mov_b64 s[18:19], -1
	s_mov_b64 s[0:1], 0
                                        ; implicit-def: $vgpr2_vgpr3
	s_branch .LBB512_148
.LBB512_29:
	s_mov_b64 s[24:25], -1
	s_mov_b64 s[0:1], 0
	s_mov_b64 s[18:19], 0
	s_branch .LBB512_48
.LBB512_30:
	s_mov_b64 s[18:19], -1
	s_branch .LBB512_33
.LBB512_31:
	s_mov_b64 s[24:25], -1
	s_mov_b64 s[0:1], 0
	s_mov_b64 s[18:19], 0
	s_branch .LBB512_44
.LBB512_32:
	s_mov_b64 s[20:21], -1
.LBB512_33:
	s_mov_b64 s[0:1], 0
                                        ; implicit-def: $vgpr2_vgpr3
.LBB512_34:
	s_and_b64 vcc, exec, s[18:19]
	s_cbranch_vccz .LBB512_147
; %bb.35:
	s_cmp_eq_u32 s28, 44
	s_cbranch_scc0 .LBB512_146
; %bb.36:
	global_load_ubyte v4, v[0:1], off
	s_movk_i32 s18, 0xff
	v_bfrev_b32_e32 v5, 4
	v_mov_b32_e32 v6, 0x7ff80000
	v_bfrev_b32_e32 v7, 28
	s_mov_b64 s[0:1], -1
	s_mov_b64 s[20:21], 0
	s_waitcnt vmcnt(0)
	v_lshlrev_b32_e32 v2, 23, v4
	v_cvt_f64_f32_e32 v[2:3], v2
	v_cmp_ne_u32_e32 vcc, s18, v4
	s_nop 1
	v_cndmask_b32_e32 v2, v5, v2, vcc
	v_cndmask_b32_e32 v3, v6, v3, vcc
	v_cmp_ne_u32_e32 vcc, 0, v4
	s_nop 1
	v_cndmask_b32_e32 v3, v7, v3, vcc
	v_cndmask_b32_e32 v2, 0, v2, vcc
	s_branch .LBB512_147
.LBB512_37:
	s_mov_b64 s[24:25], -1
	s_mov_b64 s[0:1], 0
	s_mov_b64 s[18:19], 0
.LBB512_38:
	s_and_b64 vcc, exec, s[24:25]
	s_cbranch_vccz .LBB512_43
; %bb.39:
	s_cmp_eq_u32 s31, 44
	s_mov_b64 s[0:1], -1
	s_cbranch_scc0 .LBB512_43
; %bb.40:
	v_cvt_f32_f64_e32 v2, v[0:1]
	v_bfe_u32 v3, v2, 23, 8
	s_movk_i32 s0, 0xff
	v_cmp_ne_u32_e32 vcc, s0, v3
	v_mov_b32_e32 v6, 0xff
	s_and_saveexec_b64 s[18:19], vcc
; %bb.41:
	s_mov_b32 s0, 0x3fffff
	v_lshrrev_b32_e32 v6, 23, v2
	v_and_b32_e32 v7, 0x400000, v2
	v_and_or_b32 v2, v2, s0, v3
	v_cmp_ne_u32_e32 vcc, 0, v7
	v_cmp_ne_u32_e64 s[0:1], 0, v2
	s_and_b64 s[0:1], vcc, s[0:1]
	s_nop 0
	v_cndmask_b32_e64 v2, 0, 1, s[0:1]
	v_add_u32_e32 v6, v6, v2
; %bb.42:
	s_or_b64 exec, exec, s[18:19]
	s_mov_b64 s[18:19], -1
	s_mov_b64 s[0:1], 0
	global_store_byte v[4:5], v6, off
.LBB512_43:
	s_mov_b64 s[24:25], 0
.LBB512_44:
	s_and_b64 vcc, exec, s[24:25]
	s_cbranch_vccz .LBB512_47
; %bb.45:
	s_cmp_eq_u32 s31, 29
	s_mov_b64 s[0:1], -1
	s_cbranch_scc0 .LBB512_47
; %bb.46:
	v_trunc_f64_e32 v[2:3], v[0:1]
	s_movk_i32 s0, 0xffe0
	v_ldexp_f64 v[6:7], v[2:3], s0
	v_floor_f64_e32 v[6:7], v[6:7]
	v_fmac_f64_e32 v[2:3], 0xc1f00000, v[6:7]
	v_cvt_u32_f64_e32 v9, v[6:7]
	v_cvt_u32_f64_e32 v8, v[2:3]
	global_store_dwordx2 v[4:5], v[8:9], off
	s_mov_b64 s[18:19], -1
	s_mov_b64 s[0:1], 0
.LBB512_47:
	s_mov_b64 s[24:25], 0
.LBB512_48:
	s_and_b64 vcc, exec, s[24:25]
	s_cbranch_vccz .LBB512_64
; %bb.49:
	s_cmp_lt_i32 s31, 27
	s_mov_b64 s[18:19], -1
	s_cbranch_scc1 .LBB512_55
; %bb.50:
	s_cmp_gt_i32 s31, 27
	v_cvt_u32_f64_e32 v2, v[0:1]
	s_cbranch_scc0 .LBB512_52
; %bb.51:
	s_mov_b64 s[18:19], 0
	global_store_dword v[4:5], v2, off
.LBB512_52:
	s_andn2_b64 vcc, exec, s[18:19]
	s_cbranch_vccnz .LBB512_54
; %bb.53:
	global_store_short v[4:5], v2, off
.LBB512_54:
	s_mov_b64 s[18:19], 0
.LBB512_55:
	s_andn2_b64 vcc, exec, s[18:19]
	s_cbranch_vccnz .LBB512_63
; %bb.56:
	v_cvt_f32_f64_e32 v2, v[0:1]
	v_and_b32_e32 v3, 0x7fffffff, v2
	s_mov_b32 s18, 0x43800000
	v_cmp_gt_u32_e32 vcc, s18, v3
	v_mov_b32_e32 v6, 0x80
	s_and_saveexec_b64 s[18:19], vcc
	s_cbranch_execz .LBB512_62
; %bb.57:
	s_mov_b32 s24, 0x3bffffff
	v_cmp_lt_u32_e32 vcc, s24, v3
	s_mov_b64 s[24:25], 0
                                        ; implicit-def: $vgpr3
	s_and_saveexec_b64 s[28:29], vcc
	s_xor_b64 s[28:29], exec, s[28:29]
	s_cbranch_execz .LBB512_287
; %bb.58:
	v_bfe_u32 v3, v2, 20, 1
	s_mov_b32 s34, 0x487ffff
	v_add3_u32 v3, v2, v3, s34
	s_mov_b64 s[24:25], exec
	v_lshrrev_b32_e32 v3, 20, v3
	s_andn2_saveexec_b64 s[28:29], s[28:29]
	s_cbranch_execnz .LBB512_288
.LBB512_59:
	s_or_b64 exec, exec, s[28:29]
	v_mov_b32_e32 v6, 0
	s_and_saveexec_b64 s[28:29], s[24:25]
.LBB512_60:
	v_lshrrev_b32_e32 v2, 24, v2
	s_movk_i32 s24, 0x80
	v_and_or_b32 v6, v2, s24, v3
.LBB512_61:
	s_or_b64 exec, exec, s[28:29]
.LBB512_62:
	s_or_b64 exec, exec, s[18:19]
	global_store_byte v[4:5], v6, off
.LBB512_63:
	s_mov_b64 s[18:19], -1
.LBB512_64:
	s_mov_b64 s[24:25], 0
.LBB512_65:
	s_and_b64 vcc, exec, s[24:25]
	s_cbranch_vccz .LBB512_106
; %bb.66:
	s_cmp_gt_i32 s31, 22
	s_mov_b64 s[24:25], -1
	s_cbranch_scc0 .LBB512_98
; %bb.67:
	s_cmp_lt_i32 s31, 24
	s_mov_b64 s[18:19], -1
	s_cbranch_scc1 .LBB512_87
; %bb.68:
	s_cmp_gt_i32 s31, 24
	s_cbranch_scc0 .LBB512_76
; %bb.69:
	v_cvt_f32_f64_e32 v2, v[0:1]
	v_and_b32_e32 v3, 0x7fffffff, v2
	s_mov_b32 s18, 0x47800000
	v_cmp_gt_u32_e32 vcc, s18, v3
	v_mov_b32_e32 v6, 0x80
	s_and_saveexec_b64 s[18:19], vcc
	s_cbranch_execz .LBB512_75
; %bb.70:
	s_mov_b32 s24, 0x37ffffff
	v_cmp_lt_u32_e32 vcc, s24, v3
	s_mov_b64 s[24:25], 0
                                        ; implicit-def: $vgpr3
	s_and_saveexec_b64 s[28:29], vcc
	s_xor_b64 s[28:29], exec, s[28:29]
	s_cbranch_execz .LBB512_291
; %bb.71:
	v_bfe_u32 v3, v2, 21, 1
	s_mov_b32 s34, 0x88fffff
	v_add3_u32 v3, v2, v3, s34
	s_mov_b64 s[24:25], exec
	v_lshrrev_b32_e32 v3, 21, v3
	s_andn2_saveexec_b64 s[28:29], s[28:29]
	s_cbranch_execnz .LBB512_292
.LBB512_72:
	s_or_b64 exec, exec, s[28:29]
	v_mov_b32_e32 v6, 0
	s_and_saveexec_b64 s[28:29], s[24:25]
.LBB512_73:
	v_lshrrev_b32_e32 v2, 24, v2
	s_movk_i32 s24, 0x80
	v_and_or_b32 v6, v2, s24, v3
.LBB512_74:
	s_or_b64 exec, exec, s[28:29]
.LBB512_75:
	s_or_b64 exec, exec, s[18:19]
	s_mov_b64 s[18:19], 0
	global_store_byte v[4:5], v6, off
.LBB512_76:
	s_and_b64 vcc, exec, s[18:19]
	s_cbranch_vccz .LBB512_86
; %bb.77:
	v_cvt_f32_f64_e32 v2, v[0:1]
	v_and_b32_e32 v6, 0x7fffffff, v2
	s_mov_b32 s18, 0x43f00000
	v_cmp_gt_u32_e32 vcc, s18, v6
                                        ; implicit-def: $vgpr3
	s_and_saveexec_b64 s[18:19], vcc
	s_xor_b64 s[18:19], exec, s[18:19]
	s_cbranch_execz .LBB512_83
; %bb.78:
	s_mov_b32 s24, 0x3c7fffff
	v_cmp_lt_u32_e32 vcc, s24, v6
                                        ; implicit-def: $vgpr3
	s_and_saveexec_b64 s[24:25], vcc
	s_xor_b64 s[24:25], exec, s[24:25]
; %bb.79:
	v_bfe_u32 v3, v2, 20, 1
	s_mov_b32 s28, 0x407ffff
	v_add3_u32 v3, v2, v3, s28
	v_lshrrev_b32_e32 v6, 20, v3
	v_and_b32_e32 v3, 0xff00000, v3
	s_mov_b32 s28, 0x7f00000
	v_mov_b32_e32 v7, 0x7e
	v_cmp_ne_u32_e32 vcc, s28, v3
	s_nop 1
	v_cndmask_b32_e32 v3, v7, v6, vcc
; %bb.80:
	s_andn2_saveexec_b64 s[24:25], s[24:25]
; %bb.81:
	s_mov_b32 s28, 0x46800000
	v_add_f32_e64 v3, |v2|, s28
; %bb.82:
	s_or_b64 exec, exec, s[24:25]
                                        ; implicit-def: $vgpr6
.LBB512_83:
	s_andn2_saveexec_b64 s[18:19], s[18:19]
; %bb.84:
	s_mov_b32 s24, 0x7f800000
	v_mov_b32_e32 v3, 0x7e
	v_mov_b32_e32 v7, 0x7f
	v_cmp_lt_u32_e32 vcc, s24, v6
	s_nop 1
	v_cndmask_b32_e32 v3, v3, v7, vcc
; %bb.85:
	s_or_b64 exec, exec, s[18:19]
	v_lshrrev_b32_e32 v2, 24, v2
	s_movk_i32 s18, 0x80
	v_and_or_b32 v2, v2, s18, v3
	global_store_byte v[4:5], v2, off
.LBB512_86:
	s_mov_b64 s[18:19], 0
.LBB512_87:
	s_andn2_b64 vcc, exec, s[18:19]
	s_cbranch_vccnz .LBB512_97
; %bb.88:
	v_cvt_f32_f64_e32 v2, v[0:1]
	v_and_b32_e32 v6, 0x7fffffff, v2
	s_mov_b32 s18, 0x47800000
	v_cmp_gt_u32_e32 vcc, s18, v6
                                        ; implicit-def: $vgpr3
	s_and_saveexec_b64 s[18:19], vcc
	s_xor_b64 s[18:19], exec, s[18:19]
	s_cbranch_execz .LBB512_94
; %bb.89:
	s_mov_b32 s24, 0x387fffff
	v_cmp_lt_u32_e32 vcc, s24, v6
                                        ; implicit-def: $vgpr3
	s_and_saveexec_b64 s[24:25], vcc
	s_xor_b64 s[24:25], exec, s[24:25]
; %bb.90:
	v_bfe_u32 v3, v2, 21, 1
	s_mov_b32 s28, 0x80fffff
	v_add3_u32 v3, v2, v3, s28
	v_lshrrev_b32_e32 v3, 21, v3
; %bb.91:
	s_andn2_saveexec_b64 s[24:25], s[24:25]
; %bb.92:
	s_mov_b32 s28, 0x43000000
	v_add_f32_e64 v3, |v2|, s28
; %bb.93:
	s_or_b64 exec, exec, s[24:25]
                                        ; implicit-def: $vgpr6
.LBB512_94:
	s_andn2_saveexec_b64 s[18:19], s[18:19]
; %bb.95:
	s_mov_b32 s24, 0x7f800000
	v_mov_b32_e32 v3, 0x7c
	v_mov_b32_e32 v7, 0x7f
	v_cmp_lt_u32_e32 vcc, s24, v6
	s_nop 1
	v_cndmask_b32_e32 v3, v3, v7, vcc
; %bb.96:
	s_or_b64 exec, exec, s[18:19]
	v_lshrrev_b32_e32 v2, 24, v2
	s_movk_i32 s18, 0x80
	v_and_or_b32 v2, v2, s18, v3
	global_store_byte v[4:5], v2, off
.LBB512_97:
	s_mov_b64 s[24:25], 0
	s_mov_b64 s[18:19], -1
.LBB512_98:
	s_andn2_b64 vcc, exec, s[24:25]
	s_cbranch_vccnz .LBB512_106
; %bb.99:
	s_cmp_gt_i32 s31, 14
	s_mov_b64 s[24:25], -1
	s_cbranch_scc0 .LBB512_103
; %bb.100:
	s_cmp_eq_u32 s31, 15
	s_mov_b64 s[0:1], -1
	s_cbranch_scc0 .LBB512_102
; %bb.101:
	v_cvt_f32_f64_e32 v2, v[0:1]
	v_bfe_u32 v3, v2, 16, 1
	s_movk_i32 s0, 0x7fff
	v_add3_u32 v3, v2, v3, s0
	v_cmp_o_f32_e32 vcc, v2, v2
	v_mov_b32_e32 v2, 0x7fc0
	s_mov_b64 s[18:19], -1
	v_cndmask_b32_sdwa v2, v2, v3, vcc dst_sel:DWORD dst_unused:UNUSED_PAD src0_sel:DWORD src1_sel:WORD_1
	global_store_short v[4:5], v2, off
	s_mov_b64 s[0:1], 0
.LBB512_102:
	s_mov_b64 s[24:25], 0
.LBB512_103:
	s_and_b64 vcc, exec, s[24:25]
	s_cbranch_vccz .LBB512_106
; %bb.104:
	s_cmp_eq_u32 s31, 11
	s_mov_b64 s[0:1], -1
	s_cbranch_scc0 .LBB512_106
; %bb.105:
	v_cmp_neq_f64_e32 vcc, 0, v[0:1]
	s_mov_b64 s[0:1], 0
	s_mov_b64 s[18:19], -1
	v_cndmask_b32_e64 v2, 0, 1, vcc
	global_store_byte v[4:5], v2, off
.LBB512_106:
	s_branch .LBB512_24
.LBB512_107:
	s_and_b32 s24, 0xffff, s30
	s_cmp_lt_i32 s24, 5
	s_mov_b64 s[18:19], -1
	s_cbranch_scc1 .LBB512_128
; %bb.108:
	s_cmp_lt_i32 s24, 8
	s_cbranch_scc1 .LBB512_118
; %bb.109:
	s_cmp_lt_i32 s24, 9
	s_cbranch_scc1 .LBB512_115
; %bb.110:
	s_cmp_gt_i32 s24, 9
	s_cbranch_scc0 .LBB512_112
; %bb.111:
	v_mov_b32_e32 v2, 0
	v_mov_b32_e32 v3, v2
	global_store_dwordx4 v[4:5], v[0:3], off
	s_mov_b64 s[18:19], 0
.LBB512_112:
	s_andn2_b64 vcc, exec, s[18:19]
	s_cbranch_vccnz .LBB512_114
; %bb.113:
	v_cvt_f32_f64_e32 v2, v[0:1]
	v_mov_b32_e32 v3, 0
	global_store_dwordx2 v[4:5], v[2:3], off
.LBB512_114:
	s_mov_b64 s[18:19], 0
.LBB512_115:
	s_andn2_b64 vcc, exec, s[18:19]
	s_cbranch_vccnz .LBB512_117
; %bb.116:
	s_movk_i32 s18, 0x1ff
	v_and_or_b32 v2, v1, s18, v0
	v_cmp_ne_u32_e32 vcc, 0, v2
	v_lshrrev_b32_e32 v3, 8, v1
	s_movk_i32 s18, 0xffe
	v_cndmask_b32_e64 v2, 0, 1, vcc
	v_bfe_u32 v6, v1, 20, 11
	v_and_or_b32 v2, v3, s18, v2
	v_sub_u32_e32 v7, 0x3f1, v6
	v_or_b32_e32 v3, 0x1000, v2
	v_med3_i32 v7, v7, 0, 13
	v_lshrrev_b32_e32 v8, v7, v3
	v_lshlrev_b32_e32 v7, v7, v8
	v_cmp_ne_u32_e32 vcc, v7, v3
	v_add_u32_e32 v6, 0xfffffc10, v6
	v_lshl_or_b32 v7, v6, 12, v2
	v_cndmask_b32_e64 v3, 0, 1, vcc
	v_or_b32_e32 v3, v8, v3
	v_cmp_gt_i32_e32 vcc, 1, v6
	s_movk_i32 s18, 0x40f
	s_nop 0
	v_cndmask_b32_e32 v3, v7, v3, vcc
	v_and_b32_e32 v7, 7, v3
	v_cmp_lt_i32_e32 vcc, 5, v7
	v_lshrrev_b32_e32 v3, 2, v3
	s_nop 0
	v_cndmask_b32_e64 v8, 0, 1, vcc
	v_cmp_eq_u32_e32 vcc, 3, v7
	s_nop 1
	v_cndmask_b32_e64 v7, 0, 1, vcc
	v_or_b32_e32 v7, v7, v8
	v_add_u32_e32 v3, v3, v7
	v_mov_b32_e32 v7, 0x7c00
	v_cmp_gt_i32_e32 vcc, 31, v6
	v_mov_b32_e32 v8, 0x7e00
	s_nop 0
	v_cndmask_b32_e32 v3, v7, v3, vcc
	v_cmp_ne_u32_e32 vcc, 0, v2
	s_nop 1
	v_cndmask_b32_e32 v2, v7, v8, vcc
	v_cmp_eq_u32_e32 vcc, s18, v6
	s_mov_b32 s18, 0x8000
	s_nop 0
	v_cndmask_b32_e32 v2, v3, v2, vcc
	v_and_b32_sdwa v3, v1, s18 dst_sel:DWORD dst_unused:UNUSED_PAD src0_sel:WORD_1 src1_sel:DWORD
	s_mov_b32 s18, 0xffff
	v_bitop3_b32 v2, v3, s18, v2 bitop3:0xc8
	global_store_dword v[4:5], v2, off
.LBB512_117:
	s_mov_b64 s[18:19], 0
.LBB512_118:
	s_andn2_b64 vcc, exec, s[18:19]
	s_cbranch_vccnz .LBB512_127
; %bb.119:
	s_cmp_lt_i32 s24, 6
	s_mov_b64 s[18:19], -1
	s_cbranch_scc1 .LBB512_125
; %bb.120:
	s_cmp_gt_i32 s24, 6
	s_cbranch_scc0 .LBB512_122
; %bb.121:
	global_store_dwordx2 v[4:5], v[0:1], off
	s_mov_b64 s[18:19], 0
.LBB512_122:
	s_andn2_b64 vcc, exec, s[18:19]
	s_cbranch_vccnz .LBB512_124
; %bb.123:
	v_cvt_f32_f64_e32 v2, v[0:1]
	global_store_dword v[4:5], v2, off
.LBB512_124:
	s_mov_b64 s[18:19], 0
.LBB512_125:
	s_andn2_b64 vcc, exec, s[18:19]
	s_cbranch_vccnz .LBB512_127
; %bb.126:
	s_movk_i32 s18, 0x1ff
	v_and_or_b32 v2, v1, s18, v0
	v_cmp_ne_u32_e32 vcc, 0, v2
	v_lshrrev_b32_e32 v3, 8, v1
	s_movk_i32 s18, 0xffe
	v_cndmask_b32_e64 v2, 0, 1, vcc
	v_bfe_u32 v6, v1, 20, 11
	v_and_or_b32 v2, v3, s18, v2
	v_sub_u32_e32 v7, 0x3f1, v6
	v_or_b32_e32 v3, 0x1000, v2
	v_med3_i32 v7, v7, 0, 13
	v_lshrrev_b32_e32 v8, v7, v3
	v_lshlrev_b32_e32 v7, v7, v8
	v_cmp_ne_u32_e32 vcc, v7, v3
	v_add_u32_e32 v6, 0xfffffc10, v6
	v_lshl_or_b32 v7, v6, 12, v2
	v_cndmask_b32_e64 v3, 0, 1, vcc
	v_or_b32_e32 v3, v8, v3
	v_cmp_gt_i32_e32 vcc, 1, v6
	s_movk_i32 s18, 0x40f
	s_nop 0
	v_cndmask_b32_e32 v3, v7, v3, vcc
	v_and_b32_e32 v7, 7, v3
	v_cmp_lt_i32_e32 vcc, 5, v7
	v_lshrrev_b32_e32 v3, 2, v3
	s_nop 0
	v_cndmask_b32_e64 v8, 0, 1, vcc
	v_cmp_eq_u32_e32 vcc, 3, v7
	s_nop 1
	v_cndmask_b32_e64 v7, 0, 1, vcc
	v_or_b32_e32 v7, v7, v8
	v_add_u32_e32 v3, v3, v7
	v_mov_b32_e32 v7, 0x7c00
	v_cmp_gt_i32_e32 vcc, 31, v6
	v_mov_b32_e32 v8, 0x7e00
	s_nop 0
	v_cndmask_b32_e32 v3, v7, v3, vcc
	v_cmp_ne_u32_e32 vcc, 0, v2
	s_nop 1
	v_cndmask_b32_e32 v2, v7, v8, vcc
	v_cmp_eq_u32_e32 vcc, s18, v6
	s_mov_b32 s18, 0x8000
	s_nop 0
	v_cndmask_b32_e32 v2, v3, v2, vcc
	v_lshrrev_b32_e32 v3, 16, v1
	v_and_or_b32 v2, v3, s18, v2
	global_store_short v[4:5], v2, off
.LBB512_127:
	s_mov_b64 s[18:19], 0
.LBB512_128:
	s_andn2_b64 vcc, exec, s[18:19]
	s_cbranch_vccnz .LBB512_144
; %bb.129:
	s_cmp_lt_i32 s24, 2
	s_mov_b64 s[18:19], -1
	s_cbranch_scc1 .LBB512_139
; %bb.130:
	s_cmp_lt_i32 s24, 3
	s_cbranch_scc1 .LBB512_136
; %bb.131:
	s_cmp_gt_i32 s24, 3
	s_cbranch_scc0 .LBB512_133
; %bb.132:
	v_trunc_f64_e32 v[2:3], v[0:1]
	s_movk_i32 s18, 0xffe0
	v_ldexp_f64 v[6:7], v[2:3], s18
	v_floor_f64_e32 v[6:7], v[6:7]
	v_fmac_f64_e32 v[2:3], 0xc1f00000, v[6:7]
	v_cvt_i32_f64_e32 v9, v[6:7]
	v_cvt_u32_f64_e32 v8, v[2:3]
	global_store_dwordx2 v[4:5], v[8:9], off
	s_mov_b64 s[18:19], 0
.LBB512_133:
	s_andn2_b64 vcc, exec, s[18:19]
	s_cbranch_vccnz .LBB512_135
; %bb.134:
	v_cvt_i32_f64_e32 v2, v[0:1]
	global_store_dword v[4:5], v2, off
.LBB512_135:
	s_mov_b64 s[18:19], 0
.LBB512_136:
	s_andn2_b64 vcc, exec, s[18:19]
	s_cbranch_vccnz .LBB512_138
; %bb.137:
	v_cvt_i32_f64_e32 v2, v[0:1]
	global_store_short v[4:5], v2, off
.LBB512_138:
	s_mov_b64 s[18:19], 0
.LBB512_139:
	s_andn2_b64 vcc, exec, s[18:19]
	s_cbranch_vccnz .LBB512_144
; %bb.140:
	s_cmp_gt_i32 s24, 0
	s_mov_b64 s[18:19], -1
	s_cbranch_scc0 .LBB512_142
; %bb.141:
	v_cvt_i32_f64_e32 v2, v[0:1]
	global_store_byte v[4:5], v2, off
	s_mov_b64 s[18:19], 0
.LBB512_142:
	s_andn2_b64 vcc, exec, s[18:19]
	s_cbranch_vccnz .LBB512_144
; %bb.143:
	v_trunc_f64_e32 v[0:1], v[0:1]
	s_movk_i32 s18, 0xffe0
	v_ldexp_f64 v[2:3], v[0:1], s18
	v_floor_f64_e32 v[2:3], v[2:3]
	v_fmac_f64_e32 v[0:1], 0xc1f00000, v[2:3]
	v_cvt_u32_f64_e32 v0, v[0:1]
	global_store_byte v[4:5], v0, off
.LBB512_144:
	s_branch .LBB512_25
.LBB512_145:
	s_mov_b64 s[24:25], 0
                                        ; implicit-def: $vgpr10
	s_branch .LBB512_255
.LBB512_146:
	s_mov_b64 s[20:21], -1
                                        ; implicit-def: $vgpr2_vgpr3
.LBB512_147:
	s_mov_b64 s[18:19], 0
.LBB512_148:
	s_and_b64 vcc, exec, s[18:19]
	s_cbranch_vccz .LBB512_152
; %bb.149:
	s_cmp_eq_u32 s28, 29
	s_cbranch_scc0 .LBB512_151
; %bb.150:
	global_load_dwordx2 v[2:3], v[0:1], off
	s_mov_b64 s[0:1], -1
	s_mov_b64 s[20:21], 0
	s_mov_b64 s[18:19], 0
	s_waitcnt vmcnt(0)
	v_cvt_f64_u32_e32 v[4:5], v3
	v_cvt_f64_u32_e32 v[2:3], v2
	v_ldexp_f64 v[4:5], v[4:5], 32
	v_add_f64 v[2:3], v[4:5], v[2:3]
	s_branch .LBB512_153
.LBB512_151:
	s_mov_b64 s[20:21], -1
                                        ; implicit-def: $vgpr2_vgpr3
.LBB512_152:
	s_mov_b64 s[18:19], 0
.LBB512_153:
	s_and_b64 vcc, exec, s[18:19]
	s_cbranch_vccz .LBB512_173
; %bb.154:
	s_cmp_lt_i32 s28, 27
	s_cbranch_scc1 .LBB512_157
; %bb.155:
	s_cmp_gt_i32 s28, 27
	s_cbranch_scc0 .LBB512_158
; %bb.156:
	global_load_dword v2, v[0:1], off
	s_mov_b64 s[0:1], 0
	s_waitcnt vmcnt(0)
	v_cvt_f64_u32_e32 v[2:3], v2
	s_branch .LBB512_159
.LBB512_157:
	s_mov_b64 s[0:1], -1
                                        ; implicit-def: $vgpr2_vgpr3
	s_branch .LBB512_162
.LBB512_158:
	s_mov_b64 s[0:1], -1
                                        ; implicit-def: $vgpr2_vgpr3
.LBB512_159:
	s_andn2_b64 vcc, exec, s[0:1]
	s_cbranch_vccnz .LBB512_161
; %bb.160:
	global_load_ushort v2, v[0:1], off
	s_waitcnt vmcnt(0)
	v_cvt_f64_u32_e32 v[2:3], v2
.LBB512_161:
	s_mov_b64 s[0:1], 0
.LBB512_162:
	s_andn2_b64 vcc, exec, s[0:1]
	s_cbranch_vccnz .LBB512_172
; %bb.163:
	global_load_ubyte v4, v[0:1], off
	s_movk_i32 s0, 0x7f
	s_waitcnt vmcnt(0)
	v_cmp_lt_i16_e32 vcc, s0, v4
	s_mov_b64 s[0:1], 0
	s_and_saveexec_b64 s[18:19], vcc
	s_xor_b64 s[18:19], exec, s[18:19]
	s_cbranch_execz .LBB512_167
; %bb.164:
	s_movk_i32 s0, 0x80
	v_cmp_eq_u16_e32 vcc, s0, v4
	s_mov_b64 s[0:1], -1
	s_and_saveexec_b64 s[24:25], vcc
; %bb.165:
	s_xor_b64 s[0:1], exec, -1
; %bb.166:
	s_or_b64 exec, exec, s[24:25]
	s_and_b64 s[0:1], s[0:1], exec
.LBB512_167:
	s_or_saveexec_b64 s[18:19], s[18:19]
	v_bfrev_b32_e32 v2, 4
	v_mov_b32_e32 v3, 0x7ff80000
	s_xor_b64 exec, exec, s[18:19]
; %bb.168:
	v_cmp_ne_u16_e32 vcc, 0, v4
	s_andn2_b64 s[0:1], s[0:1], exec
	s_and_b64 s[24:25], vcc, exec
	v_mov_b64_e32 v[2:3], 0
	s_or_b64 s[0:1], s[0:1], s[24:25]
; %bb.169:
	s_or_b64 exec, exec, s[18:19]
	s_and_saveexec_b64 s[18:19], s[0:1]
	s_cbranch_execz .LBB512_171
; %bb.170:
	v_and_b32_e32 v3, 0xffff, v4
	v_lshlrev_b32_e32 v2, 24, v4
	v_and_b32_e32 v4, 7, v3
	v_ffbh_u32_e32 v6, v4
	v_min_u32_e32 v6, 32, v6
	v_subrev_u32_e32 v7, 28, v6
	v_bfe_u32 v5, v3, 3, 4
	v_lshlrev_b32_e32 v3, v7, v3
	v_sub_u32_e32 v6, 29, v6
	v_and_b32_e32 v3, 7, v3
	v_cmp_eq_u32_e32 vcc, 0, v5
	v_and_b32_e32 v2, 0x80000000, v2
	s_nop 0
	v_cndmask_b32_e32 v5, v5, v6, vcc
	v_cndmask_b32_e32 v3, v4, v3, vcc
	v_mov_b32_e32 v4, 0x3b800000
	v_lshlrev_b32_e32 v3, 20, v3
	v_lshl_add_u32 v4, v5, 23, v4
	v_or3_b32 v2, v2, v4, v3
	v_cvt_f64_f32_e32 v[2:3], v2
.LBB512_171:
	s_or_b64 exec, exec, s[18:19]
.LBB512_172:
	s_mov_b64 s[0:1], -1
.LBB512_173:
	s_branch .LBB512_206
.LBB512_174:
	s_cmp_gt_i32 s28, 22
	s_cbranch_scc0 .LBB512_186
; %bb.175:
	s_cmp_lt_i32 s28, 24
	s_cbranch_scc1 .LBB512_187
; %bb.176:
	s_cmp_gt_i32 s28, 24
	s_cbranch_scc0 .LBB512_188
; %bb.177:
	global_load_ubyte v4, v[0:1], off
	s_movk_i32 s0, 0x7f
	s_waitcnt vmcnt(0)
	v_cmp_lt_i16_e32 vcc, s0, v4
	s_mov_b64 s[0:1], 0
	s_and_saveexec_b64 s[18:19], vcc
	s_xor_b64 s[18:19], exec, s[18:19]
	s_cbranch_execz .LBB512_181
; %bb.178:
	s_movk_i32 s0, 0x80
	v_cmp_eq_u16_e32 vcc, s0, v4
	s_mov_b64 s[0:1], -1
	s_and_saveexec_b64 s[24:25], vcc
; %bb.179:
	s_xor_b64 s[0:1], exec, -1
; %bb.180:
	s_or_b64 exec, exec, s[24:25]
	s_and_b64 s[0:1], s[0:1], exec
.LBB512_181:
	s_or_saveexec_b64 s[18:19], s[18:19]
	v_bfrev_b32_e32 v2, 4
	v_mov_b32_e32 v3, 0x7ff80000
	s_xor_b64 exec, exec, s[18:19]
; %bb.182:
	v_cmp_ne_u16_e32 vcc, 0, v4
	s_andn2_b64 s[0:1], s[0:1], exec
	s_and_b64 s[24:25], vcc, exec
	v_mov_b64_e32 v[2:3], 0
	s_or_b64 s[0:1], s[0:1], s[24:25]
; %bb.183:
	s_or_b64 exec, exec, s[18:19]
	s_and_saveexec_b64 s[18:19], s[0:1]
	s_cbranch_execz .LBB512_185
; %bb.184:
	v_and_b32_e32 v3, 0xffff, v4
	v_lshlrev_b32_e32 v2, 24, v4
	v_and_b32_e32 v4, 3, v3
	v_ffbh_u32_e32 v6, v4
	v_min_u32_e32 v6, 32, v6
	v_subrev_u32_e32 v7, 29, v6
	v_bfe_u32 v5, v3, 2, 5
	v_lshlrev_b32_e32 v3, v7, v3
	v_sub_u32_e32 v6, 30, v6
	v_and_b32_e32 v3, 3, v3
	v_cmp_eq_u32_e32 vcc, 0, v5
	v_and_b32_e32 v2, 0x80000000, v2
	s_nop 0
	v_cndmask_b32_e32 v5, v5, v6, vcc
	v_cndmask_b32_e32 v3, v4, v3, vcc
	v_mov_b32_e32 v4, 0x37800000
	v_lshlrev_b32_e32 v3, 21, v3
	v_lshl_add_u32 v4, v5, 23, v4
	v_or3_b32 v2, v2, v4, v3
	v_cvt_f64_f32_e32 v[2:3], v2
.LBB512_185:
	s_or_b64 exec, exec, s[18:19]
	s_mov_b64 s[0:1], 0
	s_branch .LBB512_189
.LBB512_186:
	s_mov_b64 s[18:19], -1
                                        ; implicit-def: $vgpr2_vgpr3
	s_branch .LBB512_195
.LBB512_187:
	s_mov_b64 s[0:1], -1
                                        ; implicit-def: $vgpr2_vgpr3
	s_branch .LBB512_192
.LBB512_188:
	s_mov_b64 s[0:1], -1
                                        ; implicit-def: $vgpr2_vgpr3
.LBB512_189:
	s_and_b64 vcc, exec, s[0:1]
	s_cbranch_vccz .LBB512_191
; %bb.190:
	global_load_ubyte v2, v[0:1], off
	s_mov_b32 s0, 0x7f800000
	s_waitcnt vmcnt(0)
	v_lshlrev_b32_e32 v2, 24, v2
	v_and_b32_e32 v3, 0x7f000000, v2
	v_ffbh_u32_e32 v4, v3
	v_min_u32_e32 v4, 32, v4
	v_sub_u32_e64 v4, v4, 4 clamp
	v_lshlrev_b32_e32 v6, v4, v3
	v_lshlrev_b32_e32 v4, 23, v4
	v_lshrrev_b32_e32 v6, 4, v6
	v_add_u32_e32 v5, 0x1000000, v3
	v_sub_u32_e32 v4, v6, v4
	v_ashrrev_i32_e32 v5, 8, v5
	v_add_u32_e32 v4, 0x3c000000, v4
	v_and_or_b32 v4, v5, s0, v4
	v_cmp_ne_u32_e32 vcc, 0, v3
	s_brev_b32 s0, 1
	s_nop 0
	v_cndmask_b32_e32 v3, 0, v4, vcc
	v_and_or_b32 v2, v2, s0, v3
	v_cvt_f64_f32_e32 v[2:3], v2
.LBB512_191:
	s_mov_b64 s[0:1], 0
.LBB512_192:
	s_andn2_b64 vcc, exec, s[0:1]
	s_cbranch_vccnz .LBB512_194
; %bb.193:
	global_load_ubyte v2, v[0:1], off
	s_movk_i32 s0, 0x7f00
	s_brev_b32 s1, 16
	s_waitcnt vmcnt(0)
	v_lshlrev_b16_e32 v3, 8, v2
	v_lshlrev_b32_e32 v2, 25, v2
	v_lshrrev_b32_e32 v4, 4, v2
	v_and_or_b32 v5, v3, s0, 0.5
	v_or_b32_e32 v4, 0x70000000, v4
	v_add_f32_e32 v5, -0.5, v5
	v_mul_f32_e32 v4, 0x7800000, v4
	v_cmp_gt_u32_e32 vcc, s1, v2
	v_bfe_i32 v3, v3, 0, 16
	s_brev_b32 s0, 1
	v_cndmask_b32_e32 v2, v4, v5, vcc
	v_and_or_b32 v2, v3, s0, v2
	v_cvt_f64_f32_e32 v[2:3], v2
.LBB512_194:
	s_mov_b64 s[18:19], 0
	s_mov_b64 s[0:1], -1
.LBB512_195:
	s_andn2_b64 vcc, exec, s[18:19]
	s_cbranch_vccnz .LBB512_206
; %bb.196:
	s_cmp_gt_i32 s28, 14
	s_cbranch_scc0 .LBB512_199
; %bb.197:
	s_cmp_eq_u32 s28, 15
	s_cbranch_scc0 .LBB512_200
; %bb.198:
	global_load_ushort v2, v[0:1], off
	s_mov_b64 s[0:1], -1
	s_mov_b64 s[20:21], 0
	s_waitcnt vmcnt(0)
	v_lshlrev_b32_e32 v2, 16, v2
	v_cvt_f64_f32_e32 v[2:3], v2
	s_branch .LBB512_201
.LBB512_199:
	s_mov_b64 s[18:19], -1
                                        ; implicit-def: $vgpr2_vgpr3
	s_branch .LBB512_202
.LBB512_200:
	s_mov_b64 s[20:21], -1
                                        ; implicit-def: $vgpr2_vgpr3
.LBB512_201:
	s_mov_b64 s[18:19], 0
.LBB512_202:
	s_and_b64 vcc, exec, s[18:19]
	s_cbranch_vccz .LBB512_206
; %bb.203:
	s_cmp_eq_u32 s28, 11
	s_cbranch_scc0 .LBB512_205
; %bb.204:
	global_load_ubyte v3, v[0:1], off
	v_mov_b32_e32 v4, 0x3ff00000
	v_mov_b32_e32 v2, 0
	s_mov_b64 s[0:1], -1
	s_mov_b64 s[20:21], 0
	s_waitcnt vmcnt(0)
	v_cmp_ne_u16_e32 vcc, 0, v3
	s_nop 1
	v_cndmask_b32_e32 v3, 0, v4, vcc
	s_branch .LBB512_206
.LBB512_205:
	s_mov_b64 s[20:21], -1
                                        ; implicit-def: $vgpr2_vgpr3
.LBB512_206:
	s_branch .LBB512_10
.LBB512_207:
	s_cmp_lt_i32 s28, 5
	s_cbranch_scc1 .LBB512_212
; %bb.208:
	s_cmp_lt_i32 s28, 8
	s_cbranch_scc1 .LBB512_213
; %bb.209:
	;; [unrolled: 3-line block ×3, first 2 shown]
	s_cmp_gt_i32 s28, 9
	s_cbranch_scc0 .LBB512_215
; %bb.211:
	global_load_dwordx2 v[2:3], v[0:1], off
	s_mov_b64 s[0:1], 0
	s_branch .LBB512_216
.LBB512_212:
                                        ; implicit-def: $vgpr2_vgpr3
	s_branch .LBB512_234
.LBB512_213:
	s_mov_b64 s[0:1], -1
                                        ; implicit-def: $vgpr2_vgpr3
	s_branch .LBB512_222
.LBB512_214:
	s_mov_b64 s[0:1], -1
                                        ; implicit-def: $vgpr2_vgpr3
	s_branch .LBB512_219
.LBB512_215:
	s_mov_b64 s[0:1], -1
                                        ; implicit-def: $vgpr2_vgpr3
.LBB512_216:
	s_andn2_b64 vcc, exec, s[0:1]
	s_cbranch_vccnz .LBB512_218
; %bb.217:
	global_load_dword v2, v[0:1], off
	s_waitcnt vmcnt(0)
	v_cvt_f64_f32_e32 v[2:3], v2
.LBB512_218:
	s_mov_b64 s[0:1], 0
.LBB512_219:
	s_andn2_b64 vcc, exec, s[0:1]
	s_cbranch_vccnz .LBB512_221
; %bb.220:
	global_load_dword v2, v[0:1], off
	s_waitcnt vmcnt(0)
	v_cvt_f32_f16_e32 v2, v2
	v_cvt_f64_f32_e32 v[2:3], v2
.LBB512_221:
	s_mov_b64 s[0:1], 0
.LBB512_222:
	s_andn2_b64 vcc, exec, s[0:1]
	s_cbranch_vccnz .LBB512_233
; %bb.223:
	s_cmp_lt_i32 s28, 6
	s_cbranch_scc1 .LBB512_226
; %bb.224:
	s_cmp_gt_i32 s28, 6
	s_cbranch_scc0 .LBB512_227
; %bb.225:
	global_load_dwordx2 v[2:3], v[0:1], off
	s_mov_b64 s[0:1], 0
	s_branch .LBB512_228
.LBB512_226:
	s_mov_b64 s[0:1], -1
                                        ; implicit-def: $vgpr2_vgpr3
	s_branch .LBB512_231
.LBB512_227:
	s_mov_b64 s[0:1], -1
                                        ; implicit-def: $vgpr2_vgpr3
.LBB512_228:
	s_andn2_b64 vcc, exec, s[0:1]
	s_cbranch_vccnz .LBB512_230
; %bb.229:
	global_load_dword v2, v[0:1], off
	s_waitcnt vmcnt(0)
	v_cvt_f64_f32_e32 v[2:3], v2
.LBB512_230:
	s_mov_b64 s[0:1], 0
.LBB512_231:
	s_andn2_b64 vcc, exec, s[0:1]
	s_cbranch_vccnz .LBB512_233
; %bb.232:
	global_load_ushort v2, v[0:1], off
	s_waitcnt vmcnt(0)
	v_cvt_f32_f16_e32 v2, v2
	v_cvt_f64_f32_e32 v[2:3], v2
.LBB512_233:
	s_cbranch_execnz .LBB512_253
.LBB512_234:
	s_cmp_lt_i32 s28, 2
	s_cbranch_scc1 .LBB512_238
; %bb.235:
	s_cmp_lt_i32 s28, 3
	s_cbranch_scc1 .LBB512_239
; %bb.236:
	s_cmp_gt_i32 s28, 3
	s_cbranch_scc0 .LBB512_240
; %bb.237:
	global_load_dwordx2 v[2:3], v[0:1], off
	s_mov_b64 s[0:1], 0
	s_waitcnt vmcnt(0)
	v_cvt_f64_i32_e32 v[4:5], v3
	v_cvt_f64_u32_e32 v[2:3], v2
	v_ldexp_f64 v[4:5], v[4:5], 32
	v_add_f64 v[2:3], v[4:5], v[2:3]
	s_branch .LBB512_241
.LBB512_238:
	s_mov_b64 s[0:1], -1
                                        ; implicit-def: $vgpr2_vgpr3
	s_branch .LBB512_247
.LBB512_239:
	s_mov_b64 s[0:1], -1
                                        ; implicit-def: $vgpr2_vgpr3
	s_branch .LBB512_244
.LBB512_240:
	s_mov_b64 s[0:1], -1
                                        ; implicit-def: $vgpr2_vgpr3
.LBB512_241:
	s_andn2_b64 vcc, exec, s[0:1]
	s_cbranch_vccnz .LBB512_243
; %bb.242:
	global_load_dword v2, v[0:1], off
	s_waitcnt vmcnt(0)
	v_cvt_f64_i32_e32 v[2:3], v2
.LBB512_243:
	s_mov_b64 s[0:1], 0
.LBB512_244:
	s_andn2_b64 vcc, exec, s[0:1]
	s_cbranch_vccnz .LBB512_246
; %bb.245:
	global_load_sshort v2, v[0:1], off
	s_waitcnt vmcnt(0)
	v_cvt_f64_i32_e32 v[2:3], v2
.LBB512_246:
	s_mov_b64 s[0:1], 0
.LBB512_247:
	s_andn2_b64 vcc, exec, s[0:1]
	s_cbranch_vccnz .LBB512_253
; %bb.248:
	s_cmp_gt_i32 s28, 0
	s_cbranch_scc0 .LBB512_250
; %bb.249:
	global_load_sbyte v2, v[0:1], off
	s_mov_b64 s[0:1], 0
	s_waitcnt vmcnt(0)
	v_cvt_f64_i32_e32 v[2:3], v2
	s_branch .LBB512_251
.LBB512_250:
	s_mov_b64 s[0:1], -1
                                        ; implicit-def: $vgpr2_vgpr3
.LBB512_251:
	s_andn2_b64 vcc, exec, s[0:1]
	s_cbranch_vccnz .LBB512_253
; %bb.252:
	global_load_ubyte v0, v[0:1], off
	s_waitcnt vmcnt(0)
	v_cvt_f64_u32_e32 v[2:3], v0
.LBB512_253:
	s_branch .LBB512_11
.LBB512_254:
	s_mov_b64 s[0:1], 0
                                        ; implicit-def: $vgpr10
	s_mov_b64 s[24:25], 0
.LBB512_255:
	s_and_b64 s[18:19], s[0:1], exec
	s_and_b64 s[20:21], s[20:21], exec
	s_orn2_b64 s[24:25], s[24:25], exec
.LBB512_256:
	s_or_b64 exec, exec, s[22:23]
	s_mov_b64 s[28:29], 0
	s_mov_b64 s[0:1], 0
                                        ; implicit-def: $vgpr0_vgpr1
                                        ; implicit-def: $vgpr2_vgpr3
	s_and_saveexec_b64 s[22:23], s[24:25]
	s_cbranch_execz .LBB512_265
; %bb.257:
	v_cmp_gt_i32_e32 vcc, s44, v10
	s_mov_b64 s[0:1], -1
	s_mov_b64 s[24:25], s[20:21]
	s_mov_b64 s[26:27], s[18:19]
	s_and_saveexec_b64 s[28:29], vcc
	s_cbranch_execz .LBB512_521
; %bb.258:
	v_mul_lo_u32 v0, v10, s13
	v_ashrrev_i32_e32 v1, 31, v0
	s_and_b32 s34, 0xffff, s48
	s_cmp_lt_i32 s34, 11
	v_lshl_add_u64 v[0:1], s[6:7], 0, v[0:1]
	s_cbranch_scc1 .LBB512_268
; %bb.259:
	s_cmp_gt_i32 s34, 25
	s_cbranch_scc0 .LBB512_281
; %bb.260:
	s_cmp_gt_i32 s34, 28
	s_cbranch_scc0 .LBB512_283
	;; [unrolled: 3-line block ×4, first 2 shown]
; %bb.263:
	s_cmp_eq_u32 s34, 46
	s_mov_b64 s[26:27], 0
	s_cbranch_scc0 .LBB512_293
; %bb.264:
	global_load_dword v2, v[0:1], off
	s_mov_b64 s[24:25], 0
	s_waitcnt vmcnt(0)
	v_lshlrev_b32_e32 v2, 16, v2
	v_cvt_f64_f32_e32 v[2:3], v2
	s_branch .LBB512_294
.LBB512_265:
	s_or_b64 exec, exec, s[22:23]
	s_mov_b64 s[22:23], 0
	s_and_saveexec_b64 s[24:25], s[20:21]
	s_cbranch_execnz .LBB512_871
.LBB512_266:
	s_or_b64 exec, exec, s[24:25]
	s_and_saveexec_b64 s[20:21], s[26:27]
	s_xor_b64 s[20:21], exec, s[20:21]
	s_cbranch_execz .LBB512_872
.LBB512_267:
	global_load_ubyte v3, v[0:1], off
	v_mov_b32_e32 v4, 0x3ff00000
	s_waitcnt vmcnt(1)
	v_mov_b32_e32 v2, 0
	s_or_b64 s[0:1], s[0:1], exec
	s_waitcnt vmcnt(0)
	v_cmp_ne_u16_e32 vcc, 0, v3
	s_nop 1
	v_cndmask_b32_e32 v3, 0, v4, vcc
	s_or_b64 exec, exec, s[20:21]
	s_and_saveexec_b64 s[20:21], s[28:29]
	s_cbranch_execz .LBB512_918
	s_branch .LBB512_873
.LBB512_268:
	s_mov_b64 s[0:1], 0
                                        ; implicit-def: $vgpr2_vgpr3
	s_mov_b64 s[24:25], s[20:21]
	s_cbranch_execnz .LBB512_471
.LBB512_269:
	s_andn2_b64 vcc, exec, s[0:1]
	s_cbranch_vccnz .LBB512_519
.LBB512_270:
	s_waitcnt vmcnt(0)
	v_cmp_o_f64_e32 vcc, v[2:3], v[2:3]
	v_mov_b64_e32 v[0:1], s[8:9]
	s_and_saveexec_b64 s[0:1], vcc
	s_cbranch_execz .LBB512_274
; %bb.271:
	s_mov_b32 s26, 0
	s_mov_b32 s27, 0x7ff00000
	v_cmp_neq_f64_e32 vcc, s[26:27], v[2:3]
	v_mov_b64_e32 v[0:1], s[10:11]
	s_and_saveexec_b64 s[26:27], vcc
; %bb.272:
	s_mov_b32 s30, 0
	s_mov_b32 s31, 0xfff00000
	v_mov_b32_e32 v0, s15
	v_cmp_eq_f64_e32 vcc, s[30:31], v[2:3]
	s_nop 1
	v_cndmask_b32_e32 v1, v3, v0, vcc
	v_mov_b32_e32 v0, s14
	v_cndmask_b32_e32 v0, v2, v0, vcc
; %bb.273:
	s_or_b64 exec, exec, s[26:27]
.LBB512_274:
	s_or_b64 exec, exec, s[0:1]
	v_mul_lo_u32 v2, v10, s12
	v_ashrrev_i32_e32 v3, 31, v2
	s_and_b32 s36, s33, 0xff
	s_cmp_lt_i32 s36, 11
	v_lshl_add_u64 v[4:5], s[4:5], 0, v[2:3]
	s_cbranch_scc1 .LBB512_282
; %bb.275:
	s_and_b32 s37, 0xffff, s36
	s_cmp_gt_i32 s37, 25
	s_cbranch_scc0 .LBB512_284
; %bb.276:
	s_cmp_gt_i32 s37, 28
	s_cbranch_scc0 .LBB512_286
; %bb.277:
	;; [unrolled: 3-line block ×4, first 2 shown]
	s_mov_b64 s[30:31], 0
	s_mov_b64 s[0:1], -1
	s_cmp_eq_u32 s37, 46
	s_mov_b64 s[26:27], 0
	s_cbranch_scc0 .LBB512_298
; %bb.280:
	v_cvt_f32_f64_e32 v2, v[0:1]
	v_bfe_u32 v3, v2, 16, 1
	s_movk_i32 s0, 0x7fff
	v_add3_u32 v3, v2, v3, s0
	v_cmp_o_f32_e32 vcc, v2, v2
	v_mov_b32_e32 v2, 0x7fc0
	s_mov_b64 s[26:27], -1
	v_cndmask_b32_sdwa v2, v2, v3, vcc dst_sel:DWORD dst_unused:UNUSED_PAD src0_sel:DWORD src1_sel:WORD_1
	global_store_dword v[4:5], v2, off
	s_mov_b64 s[0:1], 0
	s_branch .LBB512_298
.LBB512_281:
	s_mov_b64 s[26:27], -1
	s_mov_b64 s[0:1], 0
	s_mov_b64 s[24:25], s[20:21]
                                        ; implicit-def: $vgpr2_vgpr3
	s_branch .LBB512_437
.LBB512_282:
	s_mov_b64 s[30:31], -1
	s_mov_b64 s[26:27], 0
	s_mov_b64 s[0:1], s[18:19]
	s_branch .LBB512_367
.LBB512_283:
	s_mov_b64 s[26:27], -1
	s_mov_b64 s[0:1], 0
	s_mov_b64 s[24:25], s[20:21]
                                        ; implicit-def: $vgpr2_vgpr3
	s_branch .LBB512_416
.LBB512_284:
	s_mov_b64 s[30:31], -1
	s_mov_b64 s[26:27], 0
	s_mov_b64 s[0:1], s[18:19]
	s_branch .LBB512_325
.LBB512_285:
	s_mov_b64 s[26:27], -1
	s_mov_b64 s[0:1], 0
	s_mov_b64 s[24:25], s[20:21]
                                        ; implicit-def: $vgpr2_vgpr3
	s_branch .LBB512_411
.LBB512_286:
	s_mov_b64 s[30:31], -1
	s_mov_b64 s[26:27], 0
	s_mov_b64 s[0:1], s[18:19]
	s_branch .LBB512_308
.LBB512_287:
	s_andn2_saveexec_b64 s[28:29], s[28:29]
	s_cbranch_execz .LBB512_59
.LBB512_288:
	s_mov_b32 s34, 0x46000000
	v_add_f32_e64 v3, |v2|, s34
	v_and_b32_e32 v3, 0xff, v3
	v_cmp_ne_u32_e32 vcc, 0, v3
	s_andn2_b64 s[24:25], s[24:25], exec
	s_and_b64 s[34:35], vcc, exec
	s_or_b64 s[24:25], s[24:25], s[34:35]
	s_or_b64 exec, exec, s[28:29]
	v_mov_b32_e32 v6, 0
	s_and_saveexec_b64 s[28:29], s[24:25]
	s_cbranch_execnz .LBB512_60
	s_branch .LBB512_61
.LBB512_289:
	s_mov_b64 s[26:27], -1
	s_mov_b64 s[0:1], 0
	s_mov_b64 s[24:25], s[20:21]
                                        ; implicit-def: $vgpr2_vgpr3
	s_branch .LBB512_294
.LBB512_290:
	s_mov_b64 s[30:31], -1
	s_mov_b64 s[26:27], 0
	s_mov_b64 s[0:1], s[18:19]
	s_branch .LBB512_304
.LBB512_291:
	s_andn2_saveexec_b64 s[28:29], s[28:29]
	s_cbranch_execz .LBB512_72
.LBB512_292:
	s_mov_b32 s34, 0x42800000
	v_add_f32_e64 v3, |v2|, s34
	v_and_b32_e32 v3, 0xff, v3
	v_cmp_ne_u32_e32 vcc, 0, v3
	s_andn2_b64 s[24:25], s[24:25], exec
	s_and_b64 s[34:35], vcc, exec
	s_or_b64 s[24:25], s[24:25], s[34:35]
	s_or_b64 exec, exec, s[28:29]
	v_mov_b32_e32 v6, 0
	s_and_saveexec_b64 s[28:29], s[24:25]
	s_cbranch_execnz .LBB512_73
	s_branch .LBB512_74
.LBB512_293:
	s_mov_b64 s[24:25], -1
                                        ; implicit-def: $vgpr2_vgpr3
	s_mov_b64 s[0:1], 0
.LBB512_294:
	s_and_b64 vcc, exec, s[26:27]
	s_cbranch_vccz .LBB512_410
; %bb.295:
	s_cmp_eq_u32 s34, 44
	s_cbranch_scc0 .LBB512_409
; %bb.296:
	global_load_ubyte v4, v[0:1], off
	s_movk_i32 s24, 0xff
	v_bfrev_b32_e32 v5, 4
	v_mov_b32_e32 v6, 0x7ff80000
	v_bfrev_b32_e32 v7, 28
	s_mov_b64 s[0:1], -1
	s_waitcnt vmcnt(0)
	v_lshlrev_b32_e32 v2, 23, v4
	v_cvt_f64_f32_e32 v[2:3], v2
	v_cmp_ne_u32_e32 vcc, s24, v4
	s_mov_b64 s[24:25], 0
	s_nop 0
	v_cndmask_b32_e32 v2, v5, v2, vcc
	v_cndmask_b32_e32 v3, v6, v3, vcc
	v_cmp_ne_u32_e32 vcc, 0, v4
	s_nop 1
	v_cndmask_b32_e32 v3, v7, v3, vcc
	v_cndmask_b32_e32 v2, 0, v2, vcc
	s_branch .LBB512_410
.LBB512_297:
	s_mov_b64 s[30:31], -1
	s_mov_b64 s[26:27], 0
	s_mov_b64 s[0:1], s[18:19]
.LBB512_298:
	s_and_b64 vcc, exec, s[30:31]
	s_cbranch_vccz .LBB512_303
; %bb.299:
	s_cmp_eq_u32 s37, 44
	s_mov_b64 s[0:1], -1
	s_cbranch_scc0 .LBB512_303
; %bb.300:
	v_cvt_f32_f64_e32 v2, v[0:1]
	v_bfe_u32 v3, v2, 23, 8
	s_movk_i32 s0, 0xff
	v_cmp_ne_u32_e32 vcc, s0, v3
	v_mov_b32_e32 v6, 0xff
	s_and_saveexec_b64 s[26:27], vcc
; %bb.301:
	s_mov_b32 s0, 0x3fffff
	v_lshrrev_b32_e32 v6, 23, v2
	v_and_b32_e32 v7, 0x400000, v2
	v_and_or_b32 v2, v2, s0, v3
	v_cmp_ne_u32_e32 vcc, 0, v7
	v_cmp_ne_u32_e64 s[0:1], 0, v2
	s_and_b64 s[0:1], vcc, s[0:1]
	s_nop 0
	v_cndmask_b32_e64 v2, 0, 1, s[0:1]
	v_add_u32_e32 v6, v6, v2
; %bb.302:
	s_or_b64 exec, exec, s[26:27]
	s_mov_b64 s[26:27], -1
	s_mov_b64 s[0:1], 0
	global_store_byte v[4:5], v6, off
.LBB512_303:
	s_mov_b64 s[30:31], 0
.LBB512_304:
	s_and_b64 vcc, exec, s[30:31]
	s_cbranch_vccz .LBB512_307
; %bb.305:
	s_cmp_eq_u32 s37, 29
	s_mov_b64 s[0:1], -1
	s_cbranch_scc0 .LBB512_307
; %bb.306:
	v_trunc_f64_e32 v[2:3], v[0:1]
	s_movk_i32 s0, 0xffe0
	v_ldexp_f64 v[6:7], v[2:3], s0
	v_floor_f64_e32 v[6:7], v[6:7]
	v_fmac_f64_e32 v[2:3], 0xc1f00000, v[6:7]
	v_cvt_u32_f64_e32 v9, v[6:7]
	v_cvt_u32_f64_e32 v8, v[2:3]
	global_store_dwordx2 v[4:5], v[8:9], off
	s_mov_b64 s[26:27], -1
	s_mov_b64 s[0:1], 0
.LBB512_307:
	s_mov_b64 s[30:31], 0
.LBB512_308:
	s_and_b64 vcc, exec, s[30:31]
	s_cbranch_vccz .LBB512_324
; %bb.309:
	s_cmp_lt_i32 s37, 27
	s_mov_b64 s[26:27], -1
	s_cbranch_scc1 .LBB512_315
; %bb.310:
	s_cmp_gt_i32 s37, 27
	v_cvt_u32_f64_e32 v2, v[0:1]
	s_cbranch_scc0 .LBB512_312
; %bb.311:
	s_mov_b64 s[26:27], 0
	global_store_dword v[4:5], v2, off
.LBB512_312:
	s_andn2_b64 vcc, exec, s[26:27]
	s_cbranch_vccnz .LBB512_314
; %bb.313:
	global_store_short v[4:5], v2, off
.LBB512_314:
	s_mov_b64 s[26:27], 0
.LBB512_315:
	s_andn2_b64 vcc, exec, s[26:27]
	s_cbranch_vccnz .LBB512_323
; %bb.316:
	v_cvt_f32_f64_e32 v2, v[0:1]
	v_and_b32_e32 v3, 0x7fffffff, v2
	s_mov_b32 s26, 0x43800000
	v_cmp_gt_u32_e32 vcc, s26, v3
	v_mov_b32_e32 v6, 0x80
	s_and_saveexec_b64 s[26:27], vcc
	s_cbranch_execz .LBB512_322
; %bb.317:
	s_mov_b32 s30, 0x3bffffff
	v_cmp_lt_u32_e32 vcc, s30, v3
	s_mov_b64 s[30:31], 0
                                        ; implicit-def: $vgpr3
	s_and_saveexec_b64 s[34:35], vcc
	s_xor_b64 s[34:35], exec, s[34:35]
	s_cbranch_execz .LBB512_534
; %bb.318:
	v_bfe_u32 v3, v2, 20, 1
	s_mov_b32 s38, 0x487ffff
	v_add3_u32 v3, v2, v3, s38
	s_mov_b64 s[30:31], exec
	v_lshrrev_b32_e32 v3, 20, v3
	s_andn2_saveexec_b64 s[34:35], s[34:35]
	s_cbranch_execnz .LBB512_535
.LBB512_319:
	s_or_b64 exec, exec, s[34:35]
	v_mov_b32_e32 v6, 0
	s_and_saveexec_b64 s[34:35], s[30:31]
.LBB512_320:
	v_lshrrev_b32_e32 v2, 24, v2
	s_movk_i32 s30, 0x80
	v_and_or_b32 v6, v2, s30, v3
.LBB512_321:
	s_or_b64 exec, exec, s[34:35]
.LBB512_322:
	s_or_b64 exec, exec, s[26:27]
	global_store_byte v[4:5], v6, off
.LBB512_323:
	s_mov_b64 s[26:27], -1
.LBB512_324:
	s_mov_b64 s[30:31], 0
.LBB512_325:
	s_and_b64 vcc, exec, s[30:31]
	s_cbranch_vccz .LBB512_366
; %bb.326:
	s_cmp_gt_i32 s37, 22
	s_mov_b64 s[30:31], -1
	s_cbranch_scc0 .LBB512_358
; %bb.327:
	s_cmp_lt_i32 s37, 24
	s_mov_b64 s[26:27], -1
	s_cbranch_scc1 .LBB512_347
; %bb.328:
	s_cmp_gt_i32 s37, 24
	s_cbranch_scc0 .LBB512_336
; %bb.329:
	v_cvt_f32_f64_e32 v2, v[0:1]
	v_and_b32_e32 v3, 0x7fffffff, v2
	s_mov_b32 s26, 0x47800000
	v_cmp_gt_u32_e32 vcc, s26, v3
	v_mov_b32_e32 v6, 0x80
	s_and_saveexec_b64 s[26:27], vcc
	s_cbranch_execz .LBB512_335
; %bb.330:
	s_mov_b32 s30, 0x37ffffff
	v_cmp_lt_u32_e32 vcc, s30, v3
	s_mov_b64 s[30:31], 0
                                        ; implicit-def: $vgpr3
	s_and_saveexec_b64 s[34:35], vcc
	s_xor_b64 s[34:35], exec, s[34:35]
	s_cbranch_execz .LBB512_537
; %bb.331:
	v_bfe_u32 v3, v2, 21, 1
	s_mov_b32 s38, 0x88fffff
	v_add3_u32 v3, v2, v3, s38
	s_mov_b64 s[30:31], exec
	v_lshrrev_b32_e32 v3, 21, v3
	s_andn2_saveexec_b64 s[34:35], s[34:35]
	s_cbranch_execnz .LBB512_538
.LBB512_332:
	s_or_b64 exec, exec, s[34:35]
	v_mov_b32_e32 v6, 0
	s_and_saveexec_b64 s[34:35], s[30:31]
.LBB512_333:
	v_lshrrev_b32_e32 v2, 24, v2
	s_movk_i32 s30, 0x80
	v_and_or_b32 v6, v2, s30, v3
.LBB512_334:
	s_or_b64 exec, exec, s[34:35]
.LBB512_335:
	s_or_b64 exec, exec, s[26:27]
	s_mov_b64 s[26:27], 0
	global_store_byte v[4:5], v6, off
.LBB512_336:
	s_and_b64 vcc, exec, s[26:27]
	s_cbranch_vccz .LBB512_346
; %bb.337:
	v_cvt_f32_f64_e32 v2, v[0:1]
	v_and_b32_e32 v6, 0x7fffffff, v2
	s_mov_b32 s26, 0x43f00000
	v_cmp_gt_u32_e32 vcc, s26, v6
                                        ; implicit-def: $vgpr3
	s_and_saveexec_b64 s[26:27], vcc
	s_xor_b64 s[26:27], exec, s[26:27]
	s_cbranch_execz .LBB512_343
; %bb.338:
	s_mov_b32 s30, 0x3c7fffff
	v_cmp_lt_u32_e32 vcc, s30, v6
                                        ; implicit-def: $vgpr3
	s_and_saveexec_b64 s[30:31], vcc
	s_xor_b64 s[30:31], exec, s[30:31]
; %bb.339:
	v_bfe_u32 v3, v2, 20, 1
	s_mov_b32 s34, 0x407ffff
	v_add3_u32 v3, v2, v3, s34
	v_lshrrev_b32_e32 v6, 20, v3
	v_and_b32_e32 v3, 0xff00000, v3
	s_mov_b32 s34, 0x7f00000
	v_mov_b32_e32 v7, 0x7e
	v_cmp_ne_u32_e32 vcc, s34, v3
	s_nop 1
	v_cndmask_b32_e32 v3, v7, v6, vcc
; %bb.340:
	s_andn2_saveexec_b64 s[30:31], s[30:31]
; %bb.341:
	s_mov_b32 s34, 0x46800000
	v_add_f32_e64 v3, |v2|, s34
; %bb.342:
	s_or_b64 exec, exec, s[30:31]
                                        ; implicit-def: $vgpr6
.LBB512_343:
	s_andn2_saveexec_b64 s[26:27], s[26:27]
; %bb.344:
	s_mov_b32 s30, 0x7f800000
	v_mov_b32_e32 v3, 0x7e
	v_mov_b32_e32 v7, 0x7f
	v_cmp_lt_u32_e32 vcc, s30, v6
	s_nop 1
	v_cndmask_b32_e32 v3, v3, v7, vcc
; %bb.345:
	s_or_b64 exec, exec, s[26:27]
	v_lshrrev_b32_e32 v2, 24, v2
	s_movk_i32 s26, 0x80
	v_and_or_b32 v2, v2, s26, v3
	global_store_byte v[4:5], v2, off
.LBB512_346:
	s_mov_b64 s[26:27], 0
.LBB512_347:
	s_andn2_b64 vcc, exec, s[26:27]
	s_cbranch_vccnz .LBB512_357
; %bb.348:
	v_cvt_f32_f64_e32 v2, v[0:1]
	v_and_b32_e32 v6, 0x7fffffff, v2
	s_mov_b32 s26, 0x47800000
	v_cmp_gt_u32_e32 vcc, s26, v6
                                        ; implicit-def: $vgpr3
	s_and_saveexec_b64 s[26:27], vcc
	s_xor_b64 s[26:27], exec, s[26:27]
	s_cbranch_execz .LBB512_354
; %bb.349:
	s_mov_b32 s30, 0x387fffff
	v_cmp_lt_u32_e32 vcc, s30, v6
                                        ; implicit-def: $vgpr3
	s_and_saveexec_b64 s[30:31], vcc
	s_xor_b64 s[30:31], exec, s[30:31]
; %bb.350:
	v_bfe_u32 v3, v2, 21, 1
	s_mov_b32 s34, 0x80fffff
	v_add3_u32 v3, v2, v3, s34
	v_lshrrev_b32_e32 v3, 21, v3
; %bb.351:
	s_andn2_saveexec_b64 s[30:31], s[30:31]
; %bb.352:
	s_mov_b32 s34, 0x43000000
	v_add_f32_e64 v3, |v2|, s34
; %bb.353:
	s_or_b64 exec, exec, s[30:31]
                                        ; implicit-def: $vgpr6
.LBB512_354:
	s_andn2_saveexec_b64 s[26:27], s[26:27]
; %bb.355:
	s_mov_b32 s30, 0x7f800000
	v_mov_b32_e32 v3, 0x7c
	v_mov_b32_e32 v7, 0x7f
	v_cmp_lt_u32_e32 vcc, s30, v6
	s_nop 1
	v_cndmask_b32_e32 v3, v3, v7, vcc
; %bb.356:
	s_or_b64 exec, exec, s[26:27]
	v_lshrrev_b32_e32 v2, 24, v2
	s_movk_i32 s26, 0x80
	v_and_or_b32 v2, v2, s26, v3
	global_store_byte v[4:5], v2, off
.LBB512_357:
	s_mov_b64 s[30:31], 0
	s_mov_b64 s[26:27], -1
.LBB512_358:
	s_andn2_b64 vcc, exec, s[30:31]
	s_cbranch_vccnz .LBB512_366
; %bb.359:
	s_cmp_gt_i32 s37, 14
	s_mov_b64 s[30:31], -1
	s_cbranch_scc0 .LBB512_363
; %bb.360:
	s_cmp_eq_u32 s37, 15
	s_mov_b64 s[0:1], -1
	s_cbranch_scc0 .LBB512_362
; %bb.361:
	v_cvt_f32_f64_e32 v2, v[0:1]
	v_bfe_u32 v3, v2, 16, 1
	s_movk_i32 s0, 0x7fff
	v_add3_u32 v3, v2, v3, s0
	v_cmp_o_f32_e32 vcc, v2, v2
	v_mov_b32_e32 v2, 0x7fc0
	s_mov_b64 s[26:27], -1
	v_cndmask_b32_sdwa v2, v2, v3, vcc dst_sel:DWORD dst_unused:UNUSED_PAD src0_sel:DWORD src1_sel:WORD_1
	global_store_short v[4:5], v2, off
	s_mov_b64 s[0:1], 0
.LBB512_362:
	s_mov_b64 s[30:31], 0
.LBB512_363:
	s_and_b64 vcc, exec, s[30:31]
	s_cbranch_vccz .LBB512_366
; %bb.364:
	s_cmp_eq_u32 s37, 11
	s_mov_b64 s[0:1], -1
	s_cbranch_scc0 .LBB512_366
; %bb.365:
	v_cmp_neq_f64_e32 vcc, 0, v[0:1]
	s_mov_b64 s[0:1], 0
	s_mov_b64 s[26:27], -1
	v_cndmask_b32_e64 v2, 0, 1, vcc
	global_store_byte v[4:5], v2, off
.LBB512_366:
	s_mov_b64 s[30:31], 0
.LBB512_367:
	s_and_b64 vcc, exec, s[30:31]
	s_cbranch_vccz .LBB512_406
; %bb.368:
	s_and_b32 s30, 0xffff, s36
	s_cmp_lt_i32 s30, 5
	s_mov_b64 s[26:27], -1
	s_cbranch_scc1 .LBB512_389
; %bb.369:
	s_cmp_lt_i32 s30, 8
	s_cbranch_scc1 .LBB512_379
; %bb.370:
	s_cmp_lt_i32 s30, 9
	s_cbranch_scc1 .LBB512_376
; %bb.371:
	s_cmp_gt_i32 s30, 9
	s_cbranch_scc0 .LBB512_373
; %bb.372:
	v_mov_b32_e32 v2, 0
	v_mov_b32_e32 v3, v2
	s_mov_b64 s[26:27], 0
	global_store_dwordx4 v[4:5], v[0:3], off
.LBB512_373:
	s_andn2_b64 vcc, exec, s[26:27]
	s_cbranch_vccnz .LBB512_375
; %bb.374:
	v_cvt_f32_f64_e32 v2, v[0:1]
	v_mov_b32_e32 v3, 0
	global_store_dwordx2 v[4:5], v[2:3], off
.LBB512_375:
	s_mov_b64 s[26:27], 0
.LBB512_376:
	s_andn2_b64 vcc, exec, s[26:27]
	s_cbranch_vccnz .LBB512_378
; %bb.377:
	s_movk_i32 s26, 0x1ff
	v_and_or_b32 v2, v1, s26, v0
	v_cmp_ne_u32_e32 vcc, 0, v2
	v_lshrrev_b32_e32 v3, 8, v1
	s_movk_i32 s26, 0xffe
	v_cndmask_b32_e64 v2, 0, 1, vcc
	v_bfe_u32 v6, v1, 20, 11
	v_and_or_b32 v2, v3, s26, v2
	v_sub_u32_e32 v7, 0x3f1, v6
	v_or_b32_e32 v3, 0x1000, v2
	v_med3_i32 v7, v7, 0, 13
	v_lshrrev_b32_e32 v8, v7, v3
	v_lshlrev_b32_e32 v7, v7, v8
	v_cmp_ne_u32_e32 vcc, v7, v3
	v_add_u32_e32 v6, 0xfffffc10, v6
	v_lshl_or_b32 v7, v6, 12, v2
	v_cndmask_b32_e64 v3, 0, 1, vcc
	v_or_b32_e32 v3, v8, v3
	v_cmp_gt_i32_e32 vcc, 1, v6
	s_movk_i32 s26, 0x40f
	s_nop 0
	v_cndmask_b32_e32 v3, v7, v3, vcc
	v_and_b32_e32 v7, 7, v3
	v_cmp_lt_i32_e32 vcc, 5, v7
	v_lshrrev_b32_e32 v3, 2, v3
	s_nop 0
	v_cndmask_b32_e64 v8, 0, 1, vcc
	v_cmp_eq_u32_e32 vcc, 3, v7
	s_nop 1
	v_cndmask_b32_e64 v7, 0, 1, vcc
	v_or_b32_e32 v7, v7, v8
	v_add_u32_e32 v3, v3, v7
	v_mov_b32_e32 v7, 0x7c00
	v_cmp_gt_i32_e32 vcc, 31, v6
	v_mov_b32_e32 v8, 0x7e00
	s_nop 0
	v_cndmask_b32_e32 v3, v7, v3, vcc
	v_cmp_ne_u32_e32 vcc, 0, v2
	s_nop 1
	v_cndmask_b32_e32 v2, v7, v8, vcc
	v_cmp_eq_u32_e32 vcc, s26, v6
	s_mov_b32 s26, 0x8000
	s_nop 0
	v_cndmask_b32_e32 v2, v3, v2, vcc
	v_and_b32_sdwa v3, v1, s26 dst_sel:DWORD dst_unused:UNUSED_PAD src0_sel:WORD_1 src1_sel:DWORD
	s_mov_b32 s26, 0xffff
	v_bitop3_b32 v2, v3, s26, v2 bitop3:0xc8
	global_store_dword v[4:5], v2, off
.LBB512_378:
	s_mov_b64 s[26:27], 0
.LBB512_379:
	s_andn2_b64 vcc, exec, s[26:27]
	s_cbranch_vccnz .LBB512_388
; %bb.380:
	s_cmp_lt_i32 s30, 6
	s_mov_b64 s[26:27], -1
	s_cbranch_scc1 .LBB512_386
; %bb.381:
	s_cmp_gt_i32 s30, 6
	s_cbranch_scc0 .LBB512_383
; %bb.382:
	s_mov_b64 s[26:27], 0
	global_store_dwordx2 v[4:5], v[0:1], off
.LBB512_383:
	s_andn2_b64 vcc, exec, s[26:27]
	s_cbranch_vccnz .LBB512_385
; %bb.384:
	v_cvt_f32_f64_e32 v2, v[0:1]
	global_store_dword v[4:5], v2, off
.LBB512_385:
	s_mov_b64 s[26:27], 0
.LBB512_386:
	s_andn2_b64 vcc, exec, s[26:27]
	s_cbranch_vccnz .LBB512_388
; %bb.387:
	s_movk_i32 s26, 0x1ff
	v_and_or_b32 v2, v1, s26, v0
	v_cmp_ne_u32_e32 vcc, 0, v2
	v_lshrrev_b32_e32 v3, 8, v1
	s_movk_i32 s26, 0xffe
	v_cndmask_b32_e64 v2, 0, 1, vcc
	v_bfe_u32 v6, v1, 20, 11
	v_and_or_b32 v2, v3, s26, v2
	v_sub_u32_e32 v7, 0x3f1, v6
	v_or_b32_e32 v3, 0x1000, v2
	v_med3_i32 v7, v7, 0, 13
	v_lshrrev_b32_e32 v8, v7, v3
	v_lshlrev_b32_e32 v7, v7, v8
	v_cmp_ne_u32_e32 vcc, v7, v3
	v_add_u32_e32 v6, 0xfffffc10, v6
	v_lshl_or_b32 v7, v6, 12, v2
	v_cndmask_b32_e64 v3, 0, 1, vcc
	v_or_b32_e32 v3, v8, v3
	v_cmp_gt_i32_e32 vcc, 1, v6
	s_movk_i32 s26, 0x40f
	s_nop 0
	v_cndmask_b32_e32 v3, v7, v3, vcc
	v_and_b32_e32 v7, 7, v3
	v_cmp_lt_i32_e32 vcc, 5, v7
	v_lshrrev_b32_e32 v3, 2, v3
	s_nop 0
	v_cndmask_b32_e64 v8, 0, 1, vcc
	v_cmp_eq_u32_e32 vcc, 3, v7
	s_nop 1
	v_cndmask_b32_e64 v7, 0, 1, vcc
	v_or_b32_e32 v7, v7, v8
	v_add_u32_e32 v3, v3, v7
	v_mov_b32_e32 v7, 0x7c00
	v_cmp_gt_i32_e32 vcc, 31, v6
	v_mov_b32_e32 v8, 0x7e00
	s_nop 0
	v_cndmask_b32_e32 v3, v7, v3, vcc
	v_cmp_ne_u32_e32 vcc, 0, v2
	s_nop 1
	v_cndmask_b32_e32 v2, v7, v8, vcc
	v_cmp_eq_u32_e32 vcc, s26, v6
	s_mov_b32 s26, 0x8000
	s_nop 0
	v_cndmask_b32_e32 v2, v3, v2, vcc
	v_lshrrev_b32_e32 v3, 16, v1
	v_and_or_b32 v2, v3, s26, v2
	global_store_short v[4:5], v2, off
.LBB512_388:
	s_mov_b64 s[26:27], 0
.LBB512_389:
	s_andn2_b64 vcc, exec, s[26:27]
	s_cbranch_vccnz .LBB512_405
; %bb.390:
	s_cmp_lt_i32 s30, 2
	s_mov_b64 s[26:27], -1
	s_cbranch_scc1 .LBB512_400
; %bb.391:
	s_cmp_lt_i32 s30, 3
	s_cbranch_scc1 .LBB512_397
; %bb.392:
	s_cmp_gt_i32 s30, 3
	s_cbranch_scc0 .LBB512_394
; %bb.393:
	v_trunc_f64_e32 v[2:3], v[0:1]
	s_movk_i32 s26, 0xffe0
	v_ldexp_f64 v[6:7], v[2:3], s26
	v_floor_f64_e32 v[6:7], v[6:7]
	v_fmac_f64_e32 v[2:3], 0xc1f00000, v[6:7]
	v_cvt_i32_f64_e32 v9, v[6:7]
	v_cvt_u32_f64_e32 v8, v[2:3]
	s_mov_b64 s[26:27], 0
	global_store_dwordx2 v[4:5], v[8:9], off
.LBB512_394:
	s_andn2_b64 vcc, exec, s[26:27]
	s_cbranch_vccnz .LBB512_396
; %bb.395:
	v_cvt_i32_f64_e32 v2, v[0:1]
	global_store_dword v[4:5], v2, off
.LBB512_396:
	s_mov_b64 s[26:27], 0
.LBB512_397:
	s_andn2_b64 vcc, exec, s[26:27]
	s_cbranch_vccnz .LBB512_399
; %bb.398:
	v_cvt_i32_f64_e32 v2, v[0:1]
	global_store_short v[4:5], v2, off
.LBB512_399:
	s_mov_b64 s[26:27], 0
.LBB512_400:
	s_andn2_b64 vcc, exec, s[26:27]
	s_cbranch_vccnz .LBB512_405
; %bb.401:
	s_cmp_gt_i32 s30, 0
	s_mov_b64 s[26:27], -1
	s_cbranch_scc0 .LBB512_403
; %bb.402:
	v_cvt_i32_f64_e32 v2, v[0:1]
	s_mov_b64 s[26:27], 0
	global_store_byte v[4:5], v2, off
.LBB512_403:
	s_andn2_b64 vcc, exec, s[26:27]
	s_cbranch_vccnz .LBB512_405
; %bb.404:
	v_trunc_f64_e32 v[0:1], v[0:1]
	s_movk_i32 s26, 0xffe0
	v_ldexp_f64 v[2:3], v[0:1], s26
	v_floor_f64_e32 v[2:3], v[2:3]
	v_fmac_f64_e32 v[0:1], 0xc1f00000, v[2:3]
	v_cvt_u32_f64_e32 v0, v[0:1]
	global_store_byte v[4:5], v0, off
.LBB512_405:
	s_mov_b64 s[26:27], -1
.LBB512_406:
	s_andn2_b64 vcc, exec, s[26:27]
	s_cbranch_vccnz .LBB512_408
; %bb.407:
	v_add_u32_e32 v10, 0x80, v10
	s_mov_b64 s[30:31], -1
	s_branch .LBB512_520
.LBB512_408:
	s_mov_b64 s[30:31], 0
                                        ; implicit-def: $vgpr10
	s_branch .LBB512_520
.LBB512_409:
	s_mov_b64 s[24:25], -1
                                        ; implicit-def: $vgpr2_vgpr3
.LBB512_410:
	s_mov_b64 s[26:27], 0
.LBB512_411:
	s_and_b64 vcc, exec, s[26:27]
	s_cbranch_vccz .LBB512_415
; %bb.412:
	s_cmp_eq_u32 s34, 29
	s_cbranch_scc0 .LBB512_414
; %bb.413:
	global_load_dwordx2 v[2:3], v[0:1], off
	s_mov_b64 s[0:1], -1
	s_mov_b64 s[24:25], 0
	s_mov_b64 s[26:27], 0
	s_waitcnt vmcnt(0)
	v_cvt_f64_u32_e32 v[4:5], v3
	v_cvt_f64_u32_e32 v[2:3], v2
	v_ldexp_f64 v[4:5], v[4:5], 32
	v_add_f64 v[2:3], v[4:5], v[2:3]
	s_branch .LBB512_416
.LBB512_414:
	s_mov_b64 s[24:25], -1
                                        ; implicit-def: $vgpr2_vgpr3
.LBB512_415:
	s_mov_b64 s[26:27], 0
.LBB512_416:
	s_and_b64 vcc, exec, s[26:27]
	s_cbranch_vccz .LBB512_436
; %bb.417:
	s_cmp_lt_i32 s34, 27
	s_cbranch_scc1 .LBB512_420
; %bb.418:
	s_cmp_gt_i32 s34, 27
	s_cbranch_scc0 .LBB512_421
; %bb.419:
	global_load_dword v2, v[0:1], off
	s_mov_b64 s[0:1], 0
	s_waitcnt vmcnt(0)
	v_cvt_f64_u32_e32 v[2:3], v2
	s_branch .LBB512_422
.LBB512_420:
	s_mov_b64 s[0:1], -1
                                        ; implicit-def: $vgpr2_vgpr3
	s_branch .LBB512_425
.LBB512_421:
	s_mov_b64 s[0:1], -1
                                        ; implicit-def: $vgpr2_vgpr3
.LBB512_422:
	s_andn2_b64 vcc, exec, s[0:1]
	s_cbranch_vccnz .LBB512_424
; %bb.423:
	global_load_ushort v2, v[0:1], off
	s_waitcnt vmcnt(0)
	v_cvt_f64_u32_e32 v[2:3], v2
.LBB512_424:
	s_mov_b64 s[0:1], 0
.LBB512_425:
	s_andn2_b64 vcc, exec, s[0:1]
	s_cbranch_vccnz .LBB512_435
; %bb.426:
	global_load_ubyte v4, v[0:1], off
	s_movk_i32 s0, 0x7f
	s_waitcnt vmcnt(0)
	v_cmp_lt_i16_e32 vcc, s0, v4
	s_mov_b64 s[0:1], 0
	s_and_saveexec_b64 s[26:27], vcc
	s_xor_b64 s[26:27], exec, s[26:27]
	s_cbranch_execz .LBB512_430
; %bb.427:
	s_movk_i32 s0, 0x80
	v_cmp_eq_u16_e32 vcc, s0, v4
	s_mov_b64 s[0:1], -1
	s_and_saveexec_b64 s[30:31], vcc
; %bb.428:
	s_xor_b64 s[0:1], exec, -1
; %bb.429:
	s_or_b64 exec, exec, s[30:31]
	s_and_b64 s[0:1], s[0:1], exec
.LBB512_430:
	s_or_saveexec_b64 s[26:27], s[26:27]
	v_bfrev_b32_e32 v2, 4
	v_mov_b32_e32 v3, 0x7ff80000
	s_xor_b64 exec, exec, s[26:27]
; %bb.431:
	v_cmp_ne_u16_e32 vcc, 0, v4
	s_andn2_b64 s[0:1], s[0:1], exec
	s_and_b64 s[30:31], vcc, exec
	v_mov_b64_e32 v[2:3], 0
	s_or_b64 s[0:1], s[0:1], s[30:31]
; %bb.432:
	s_or_b64 exec, exec, s[26:27]
	s_and_saveexec_b64 s[26:27], s[0:1]
	s_cbranch_execz .LBB512_434
; %bb.433:
	v_and_b32_e32 v3, 0xffff, v4
	v_lshlrev_b32_e32 v2, 24, v4
	v_and_b32_e32 v4, 7, v3
	v_ffbh_u32_e32 v6, v4
	v_min_u32_e32 v6, 32, v6
	v_subrev_u32_e32 v7, 28, v6
	v_bfe_u32 v5, v3, 3, 4
	v_lshlrev_b32_e32 v3, v7, v3
	v_sub_u32_e32 v6, 29, v6
	v_and_b32_e32 v3, 7, v3
	v_cmp_eq_u32_e32 vcc, 0, v5
	v_and_b32_e32 v2, 0x80000000, v2
	s_nop 0
	v_cndmask_b32_e32 v5, v5, v6, vcc
	v_cndmask_b32_e32 v3, v4, v3, vcc
	v_mov_b32_e32 v4, 0x3b800000
	v_lshlrev_b32_e32 v3, 20, v3
	v_lshl_add_u32 v4, v5, 23, v4
	v_or3_b32 v2, v2, v4, v3
	v_cvt_f64_f32_e32 v[2:3], v2
.LBB512_434:
	s_or_b64 exec, exec, s[26:27]
.LBB512_435:
	s_mov_b64 s[0:1], -1
.LBB512_436:
	s_mov_b64 s[26:27], 0
.LBB512_437:
	s_and_b64 vcc, exec, s[26:27]
	s_cbranch_vccz .LBB512_470
; %bb.438:
	s_cmp_gt_i32 s34, 22
	s_cbranch_scc0 .LBB512_450
; %bb.439:
	s_cmp_lt_i32 s34, 24
	s_cbranch_scc1 .LBB512_451
; %bb.440:
	s_cmp_gt_i32 s34, 24
	s_cbranch_scc0 .LBB512_452
; %bb.441:
	global_load_ubyte v4, v[0:1], off
	s_movk_i32 s0, 0x7f
	s_waitcnt vmcnt(0)
	v_cmp_lt_i16_e32 vcc, s0, v4
	s_mov_b64 s[0:1], 0
	s_and_saveexec_b64 s[26:27], vcc
	s_xor_b64 s[26:27], exec, s[26:27]
	s_cbranch_execz .LBB512_445
; %bb.442:
	s_movk_i32 s0, 0x80
	v_cmp_eq_u16_e32 vcc, s0, v4
	s_mov_b64 s[0:1], -1
	s_and_saveexec_b64 s[30:31], vcc
; %bb.443:
	s_xor_b64 s[0:1], exec, -1
; %bb.444:
	s_or_b64 exec, exec, s[30:31]
	s_and_b64 s[0:1], s[0:1], exec
.LBB512_445:
	s_or_saveexec_b64 s[26:27], s[26:27]
	v_bfrev_b32_e32 v2, 4
	v_mov_b32_e32 v3, 0x7ff80000
	s_xor_b64 exec, exec, s[26:27]
; %bb.446:
	v_cmp_ne_u16_e32 vcc, 0, v4
	s_andn2_b64 s[0:1], s[0:1], exec
	s_and_b64 s[30:31], vcc, exec
	v_mov_b64_e32 v[2:3], 0
	s_or_b64 s[0:1], s[0:1], s[30:31]
; %bb.447:
	s_or_b64 exec, exec, s[26:27]
	s_and_saveexec_b64 s[26:27], s[0:1]
	s_cbranch_execz .LBB512_449
; %bb.448:
	v_and_b32_e32 v3, 0xffff, v4
	v_lshlrev_b32_e32 v2, 24, v4
	v_and_b32_e32 v4, 3, v3
	v_ffbh_u32_e32 v6, v4
	v_min_u32_e32 v6, 32, v6
	v_subrev_u32_e32 v7, 29, v6
	v_bfe_u32 v5, v3, 2, 5
	v_lshlrev_b32_e32 v3, v7, v3
	v_sub_u32_e32 v6, 30, v6
	v_and_b32_e32 v3, 3, v3
	v_cmp_eq_u32_e32 vcc, 0, v5
	v_and_b32_e32 v2, 0x80000000, v2
	s_nop 0
	v_cndmask_b32_e32 v5, v5, v6, vcc
	v_cndmask_b32_e32 v3, v4, v3, vcc
	v_mov_b32_e32 v4, 0x37800000
	v_lshlrev_b32_e32 v3, 21, v3
	v_lshl_add_u32 v4, v5, 23, v4
	v_or3_b32 v2, v2, v4, v3
	v_cvt_f64_f32_e32 v[2:3], v2
.LBB512_449:
	s_or_b64 exec, exec, s[26:27]
	s_mov_b64 s[0:1], 0
	s_branch .LBB512_453
.LBB512_450:
	s_mov_b64 s[26:27], -1
                                        ; implicit-def: $vgpr2_vgpr3
	s_branch .LBB512_459
.LBB512_451:
	s_mov_b64 s[0:1], -1
                                        ; implicit-def: $vgpr2_vgpr3
	s_branch .LBB512_456
.LBB512_452:
	s_mov_b64 s[0:1], -1
                                        ; implicit-def: $vgpr2_vgpr3
.LBB512_453:
	s_and_b64 vcc, exec, s[0:1]
	s_cbranch_vccz .LBB512_455
; %bb.454:
	global_load_ubyte v2, v[0:1], off
	s_mov_b32 s0, 0x7f800000
	s_waitcnt vmcnt(0)
	v_lshlrev_b32_e32 v2, 24, v2
	v_and_b32_e32 v3, 0x7f000000, v2
	v_ffbh_u32_e32 v4, v3
	v_min_u32_e32 v4, 32, v4
	v_sub_u32_e64 v4, v4, 4 clamp
	v_lshlrev_b32_e32 v6, v4, v3
	v_lshlrev_b32_e32 v4, 23, v4
	v_lshrrev_b32_e32 v6, 4, v6
	v_add_u32_e32 v5, 0x1000000, v3
	v_sub_u32_e32 v4, v6, v4
	v_ashrrev_i32_e32 v5, 8, v5
	v_add_u32_e32 v4, 0x3c000000, v4
	v_and_or_b32 v4, v5, s0, v4
	v_cmp_ne_u32_e32 vcc, 0, v3
	s_brev_b32 s0, 1
	s_nop 0
	v_cndmask_b32_e32 v3, 0, v4, vcc
	v_and_or_b32 v2, v2, s0, v3
	v_cvt_f64_f32_e32 v[2:3], v2
.LBB512_455:
	s_mov_b64 s[0:1], 0
.LBB512_456:
	s_andn2_b64 vcc, exec, s[0:1]
	s_cbranch_vccnz .LBB512_458
; %bb.457:
	global_load_ubyte v2, v[0:1], off
	s_movk_i32 s0, 0x7f00
	s_brev_b32 s1, 16
	s_waitcnt vmcnt(0)
	v_lshlrev_b16_e32 v3, 8, v2
	v_lshlrev_b32_e32 v2, 25, v2
	v_lshrrev_b32_e32 v4, 4, v2
	v_and_or_b32 v5, v3, s0, 0.5
	v_or_b32_e32 v4, 0x70000000, v4
	v_add_f32_e32 v5, -0.5, v5
	v_mul_f32_e32 v4, 0x7800000, v4
	v_cmp_gt_u32_e32 vcc, s1, v2
	v_bfe_i32 v3, v3, 0, 16
	s_brev_b32 s0, 1
	v_cndmask_b32_e32 v2, v4, v5, vcc
	v_and_or_b32 v2, v3, s0, v2
	v_cvt_f64_f32_e32 v[2:3], v2
.LBB512_458:
	s_mov_b64 s[26:27], 0
	s_mov_b64 s[0:1], -1
.LBB512_459:
	s_andn2_b64 vcc, exec, s[26:27]
	s_cbranch_vccnz .LBB512_470
; %bb.460:
	s_cmp_gt_i32 s34, 14
	s_cbranch_scc0 .LBB512_463
; %bb.461:
	s_cmp_eq_u32 s34, 15
	s_cbranch_scc0 .LBB512_464
; %bb.462:
	global_load_ushort v2, v[0:1], off
	s_mov_b64 s[0:1], -1
	s_mov_b64 s[24:25], 0
	s_waitcnt vmcnt(0)
	v_lshlrev_b32_e32 v2, 16, v2
	v_cvt_f64_f32_e32 v[2:3], v2
	s_branch .LBB512_465
.LBB512_463:
	s_mov_b64 s[26:27], -1
                                        ; implicit-def: $vgpr2_vgpr3
	s_branch .LBB512_466
.LBB512_464:
	s_mov_b64 s[24:25], -1
                                        ; implicit-def: $vgpr2_vgpr3
.LBB512_465:
	s_mov_b64 s[26:27], 0
.LBB512_466:
	s_and_b64 vcc, exec, s[26:27]
	s_cbranch_vccz .LBB512_470
; %bb.467:
	s_cmp_eq_u32 s34, 11
	s_cbranch_scc0 .LBB512_469
; %bb.468:
	global_load_ubyte v3, v[0:1], off
	v_mov_b32_e32 v4, 0x3ff00000
	s_waitcnt vmcnt(1)
	v_mov_b32_e32 v2, 0
	s_mov_b64 s[0:1], -1
	s_mov_b64 s[24:25], 0
	s_waitcnt vmcnt(0)
	v_cmp_ne_u16_e32 vcc, 0, v3
	s_nop 1
	v_cndmask_b32_e32 v3, 0, v4, vcc
	s_branch .LBB512_470
.LBB512_469:
	s_mov_b64 s[24:25], -1
                                        ; implicit-def: $vgpr2_vgpr3
.LBB512_470:
	s_branch .LBB512_269
.LBB512_471:
	s_cmp_lt_i32 s34, 5
	s_cbranch_scc1 .LBB512_476
; %bb.472:
	s_cmp_lt_i32 s34, 8
	s_cbranch_scc1 .LBB512_477
; %bb.473:
	;; [unrolled: 3-line block ×3, first 2 shown]
	s_cmp_gt_i32 s34, 9
	s_cbranch_scc0 .LBB512_479
; %bb.475:
	global_load_dwordx2 v[2:3], v[0:1], off
	s_mov_b64 s[0:1], 0
	s_branch .LBB512_480
.LBB512_476:
	s_mov_b64 s[0:1], -1
                                        ; implicit-def: $vgpr2_vgpr3
	s_branch .LBB512_498
.LBB512_477:
	s_mov_b64 s[0:1], -1
                                        ; implicit-def: $vgpr2_vgpr3
	s_branch .LBB512_486
.LBB512_478:
	s_mov_b64 s[0:1], -1
                                        ; implicit-def: $vgpr2_vgpr3
	s_branch .LBB512_483
.LBB512_479:
	s_mov_b64 s[0:1], -1
                                        ; implicit-def: $vgpr2_vgpr3
.LBB512_480:
	s_andn2_b64 vcc, exec, s[0:1]
	s_cbranch_vccnz .LBB512_482
; %bb.481:
	global_load_dword v2, v[0:1], off
	s_waitcnt vmcnt(0)
	v_cvt_f64_f32_e32 v[2:3], v2
.LBB512_482:
	s_mov_b64 s[0:1], 0
.LBB512_483:
	s_andn2_b64 vcc, exec, s[0:1]
	s_cbranch_vccnz .LBB512_485
; %bb.484:
	global_load_dword v2, v[0:1], off
	s_waitcnt vmcnt(0)
	v_cvt_f32_f16_e32 v2, v2
	v_cvt_f64_f32_e32 v[2:3], v2
.LBB512_485:
	s_mov_b64 s[0:1], 0
.LBB512_486:
	s_andn2_b64 vcc, exec, s[0:1]
	s_cbranch_vccnz .LBB512_497
; %bb.487:
	s_cmp_lt_i32 s34, 6
	s_cbranch_scc1 .LBB512_490
; %bb.488:
	s_cmp_gt_i32 s34, 6
	s_cbranch_scc0 .LBB512_491
; %bb.489:
	global_load_dwordx2 v[2:3], v[0:1], off
	s_mov_b64 s[0:1], 0
	s_branch .LBB512_492
.LBB512_490:
	s_mov_b64 s[0:1], -1
                                        ; implicit-def: $vgpr2_vgpr3
	s_branch .LBB512_495
.LBB512_491:
	s_mov_b64 s[0:1], -1
                                        ; implicit-def: $vgpr2_vgpr3
.LBB512_492:
	s_andn2_b64 vcc, exec, s[0:1]
	s_cbranch_vccnz .LBB512_494
; %bb.493:
	global_load_dword v2, v[0:1], off
	s_waitcnt vmcnt(0)
	v_cvt_f64_f32_e32 v[2:3], v2
.LBB512_494:
	s_mov_b64 s[0:1], 0
.LBB512_495:
	s_andn2_b64 vcc, exec, s[0:1]
	s_cbranch_vccnz .LBB512_497
; %bb.496:
	global_load_ushort v2, v[0:1], off
	s_waitcnt vmcnt(0)
	v_cvt_f32_f16_e32 v2, v2
	v_cvt_f64_f32_e32 v[2:3], v2
.LBB512_497:
	s_mov_b64 s[0:1], 0
.LBB512_498:
	s_andn2_b64 vcc, exec, s[0:1]
	s_cbranch_vccnz .LBB512_518
; %bb.499:
	s_cmp_lt_i32 s34, 2
	s_cbranch_scc1 .LBB512_503
; %bb.500:
	s_cmp_lt_i32 s34, 3
	s_cbranch_scc1 .LBB512_504
; %bb.501:
	s_cmp_gt_i32 s34, 3
	s_cbranch_scc0 .LBB512_505
; %bb.502:
	global_load_dwordx2 v[2:3], v[0:1], off
	s_mov_b64 s[0:1], 0
	s_waitcnt vmcnt(0)
	v_cvt_f64_i32_e32 v[4:5], v3
	v_cvt_f64_u32_e32 v[2:3], v2
	v_ldexp_f64 v[4:5], v[4:5], 32
	v_add_f64 v[2:3], v[4:5], v[2:3]
	s_branch .LBB512_506
.LBB512_503:
	s_mov_b64 s[0:1], -1
                                        ; implicit-def: $vgpr2_vgpr3
	s_branch .LBB512_512
.LBB512_504:
	s_mov_b64 s[0:1], -1
                                        ; implicit-def: $vgpr2_vgpr3
	s_branch .LBB512_509
.LBB512_505:
	s_mov_b64 s[0:1], -1
                                        ; implicit-def: $vgpr2_vgpr3
.LBB512_506:
	s_andn2_b64 vcc, exec, s[0:1]
	s_cbranch_vccnz .LBB512_508
; %bb.507:
	global_load_dword v2, v[0:1], off
	s_waitcnt vmcnt(0)
	v_cvt_f64_i32_e32 v[2:3], v2
.LBB512_508:
	s_mov_b64 s[0:1], 0
.LBB512_509:
	s_andn2_b64 vcc, exec, s[0:1]
	s_cbranch_vccnz .LBB512_511
; %bb.510:
	global_load_sshort v2, v[0:1], off
	s_waitcnt vmcnt(0)
	v_cvt_f64_i32_e32 v[2:3], v2
.LBB512_511:
	s_mov_b64 s[0:1], 0
.LBB512_512:
	s_andn2_b64 vcc, exec, s[0:1]
	s_cbranch_vccnz .LBB512_518
; %bb.513:
	s_cmp_gt_i32 s34, 0
	s_cbranch_scc0 .LBB512_515
; %bb.514:
	global_load_sbyte v2, v[0:1], off
	s_mov_b64 s[0:1], 0
	s_waitcnt vmcnt(0)
	v_cvt_f64_i32_e32 v[2:3], v2
	s_branch .LBB512_516
.LBB512_515:
	s_mov_b64 s[0:1], -1
                                        ; implicit-def: $vgpr2_vgpr3
.LBB512_516:
	s_andn2_b64 vcc, exec, s[0:1]
	s_cbranch_vccnz .LBB512_518
; %bb.517:
	global_load_ubyte v0, v[0:1], off
	s_waitcnt vmcnt(0)
	v_cvt_f64_u32_e32 v[2:3], v0
.LBB512_518:
	s_branch .LBB512_270
.LBB512_519:
	s_mov_b64 s[30:31], 0
                                        ; implicit-def: $vgpr10
	s_mov_b64 s[0:1], s[18:19]
.LBB512_520:
	s_andn2_b64 s[26:27], s[18:19], exec
	s_and_b64 s[0:1], s[0:1], exec
	s_or_b64 s[26:27], s[26:27], s[0:1]
	s_andn2_b64 s[0:1], s[20:21], exec
	s_and_b64 s[24:25], s[24:25], exec
	s_or_b64 s[24:25], s[0:1], s[24:25]
	s_orn2_b64 s[0:1], s[30:31], exec
.LBB512_521:
	s_or_b64 exec, exec, s[28:29]
	s_mov_b64 s[30:31], 0
	s_mov_b64 s[34:35], 0
	;; [unrolled: 1-line block ×3, first 2 shown]
                                        ; implicit-def: $vgpr0_vgpr1
                                        ; implicit-def: $vgpr2_vgpr3
	s_and_saveexec_b64 s[28:29], s[0:1]
	s_cbranch_execz .LBB512_870
; %bb.522:
	v_cmp_gt_i32_e32 vcc, s44, v10
	s_mov_b64 s[40:41], -1
	s_mov_b64 s[0:1], s[24:25]
	s_mov_b64 s[36:37], s[26:27]
	s_and_saveexec_b64 s[30:31], vcc
	s_cbranch_execz .LBB512_784
; %bb.523:
	v_mul_lo_u32 v0, v10, s13
	v_ashrrev_i32_e32 v1, 31, v0
	s_and_b32 s40, 0xffff, s48
	s_cmp_lt_i32 s40, 11
	v_lshl_add_u64 v[0:1], s[6:7], 0, v[0:1]
	s_cbranch_scc1 .LBB512_530
; %bb.524:
	s_cmp_gt_i32 s40, 25
	s_cbranch_scc0 .LBB512_531
; %bb.525:
	s_cmp_gt_i32 s40, 28
	s_cbranch_scc0 .LBB512_532
	;; [unrolled: 3-line block ×4, first 2 shown]
; %bb.528:
	s_cmp_eq_u32 s40, 46
	s_mov_b64 s[36:37], 0
	s_cbranch_scc0 .LBB512_539
; %bb.529:
	global_load_dword v2, v[0:1], off
	s_mov_b64 s[0:1], -1
	s_waitcnt vmcnt(0)
	v_lshlrev_b32_e32 v2, 16, v2
	v_cvt_f64_f32_e32 v[2:3], v2
	s_branch .LBB512_540
.LBB512_530:
	s_mov_b64 s[36:37], -1
	s_mov_b64 s[0:1], 0
                                        ; implicit-def: $vgpr2_vgpr3
	s_mov_b64 s[34:35], s[24:25]
	s_branch .LBB512_605
.LBB512_531:
	s_mov_b64 s[36:37], -1
	s_mov_b64 s[0:1], 0
	s_mov_b64 s[34:35], s[24:25]
                                        ; implicit-def: $vgpr2_vgpr3
	s_branch .LBB512_571
.LBB512_532:
	s_mov_b64 s[36:37], -1
	s_mov_b64 s[0:1], 0
	s_mov_b64 s[34:35], s[24:25]
                                        ; implicit-def: $vgpr2_vgpr3
	s_branch .LBB512_550
.LBB512_533:
	s_mov_b64 s[36:37], -1
	s_mov_b64 s[0:1], 0
	s_mov_b64 s[34:35], s[24:25]
                                        ; implicit-def: $vgpr2_vgpr3
	s_branch .LBB512_545
.LBB512_534:
	s_andn2_saveexec_b64 s[34:35], s[34:35]
	s_cbranch_execz .LBB512_319
.LBB512_535:
	s_mov_b32 s38, 0x46000000
	v_add_f32_e64 v3, |v2|, s38
	v_and_b32_e32 v3, 0xff, v3
	v_cmp_ne_u32_e32 vcc, 0, v3
	s_andn2_b64 s[30:31], s[30:31], exec
	s_and_b64 s[38:39], vcc, exec
	s_or_b64 s[30:31], s[30:31], s[38:39]
	s_or_b64 exec, exec, s[34:35]
	v_mov_b32_e32 v6, 0
	s_and_saveexec_b64 s[34:35], s[30:31]
	s_cbranch_execnz .LBB512_320
	s_branch .LBB512_321
.LBB512_536:
	s_mov_b64 s[36:37], -1
	s_mov_b64 s[0:1], 0
	s_mov_b64 s[34:35], s[24:25]
                                        ; implicit-def: $vgpr2_vgpr3
	s_branch .LBB512_540
.LBB512_537:
	s_andn2_saveexec_b64 s[34:35], s[34:35]
	s_cbranch_execz .LBB512_332
.LBB512_538:
	s_mov_b32 s38, 0x42800000
	v_add_f32_e64 v3, |v2|, s38
	v_and_b32_e32 v3, 0xff, v3
	v_cmp_ne_u32_e32 vcc, 0, v3
	s_andn2_b64 s[30:31], s[30:31], exec
	s_and_b64 s[38:39], vcc, exec
	s_or_b64 s[30:31], s[30:31], s[38:39]
	s_or_b64 exec, exec, s[34:35]
	v_mov_b32_e32 v6, 0
	s_and_saveexec_b64 s[34:35], s[30:31]
	s_cbranch_execnz .LBB512_333
	s_branch .LBB512_334
.LBB512_539:
	s_mov_b64 s[34:35], -1
                                        ; implicit-def: $vgpr2_vgpr3
	s_mov_b64 s[0:1], 0
.LBB512_540:
	s_and_b64 vcc, exec, s[36:37]
	s_cbranch_vccz .LBB512_544
; %bb.541:
	s_cmp_eq_u32 s40, 44
	s_cbranch_scc0 .LBB512_543
; %bb.542:
	global_load_ubyte v4, v[0:1], off
	s_movk_i32 s34, 0xff
	v_bfrev_b32_e32 v5, 4
	v_mov_b32_e32 v6, 0x7ff80000
	v_bfrev_b32_e32 v7, 28
	s_mov_b64 s[0:1], -1
	s_waitcnt vmcnt(0)
	v_lshlrev_b32_e32 v2, 23, v4
	v_cvt_f64_f32_e32 v[2:3], v2
	v_cmp_ne_u32_e32 vcc, s34, v4
	s_mov_b64 s[34:35], 0
	s_nop 0
	v_cndmask_b32_e32 v2, v5, v2, vcc
	v_cndmask_b32_e32 v3, v6, v3, vcc
	v_cmp_ne_u32_e32 vcc, 0, v4
	s_nop 1
	v_cndmask_b32_e32 v3, v7, v3, vcc
	v_cndmask_b32_e32 v2, 0, v2, vcc
	s_branch .LBB512_544
.LBB512_543:
	s_mov_b64 s[34:35], -1
                                        ; implicit-def: $vgpr2_vgpr3
.LBB512_544:
	s_mov_b64 s[36:37], 0
.LBB512_545:
	s_and_b64 vcc, exec, s[36:37]
	s_cbranch_vccz .LBB512_549
; %bb.546:
	s_cmp_eq_u32 s40, 29
	s_cbranch_scc0 .LBB512_548
; %bb.547:
	global_load_dwordx2 v[2:3], v[0:1], off
	s_mov_b64 s[0:1], -1
	s_mov_b64 s[34:35], 0
	s_mov_b64 s[36:37], 0
	s_waitcnt vmcnt(0)
	v_cvt_f64_u32_e32 v[4:5], v3
	v_cvt_f64_u32_e32 v[2:3], v2
	v_ldexp_f64 v[4:5], v[4:5], 32
	v_add_f64 v[2:3], v[4:5], v[2:3]
	s_branch .LBB512_550
.LBB512_548:
	s_mov_b64 s[34:35], -1
                                        ; implicit-def: $vgpr2_vgpr3
.LBB512_549:
	s_mov_b64 s[36:37], 0
.LBB512_550:
	s_and_b64 vcc, exec, s[36:37]
	s_cbranch_vccz .LBB512_570
; %bb.551:
	s_cmp_lt_i32 s40, 27
	s_cbranch_scc1 .LBB512_554
; %bb.552:
	s_cmp_gt_i32 s40, 27
	s_cbranch_scc0 .LBB512_555
; %bb.553:
	global_load_dword v2, v[0:1], off
	s_mov_b64 s[0:1], 0
	s_waitcnt vmcnt(0)
	v_cvt_f64_u32_e32 v[2:3], v2
	s_branch .LBB512_556
.LBB512_554:
	s_mov_b64 s[0:1], -1
                                        ; implicit-def: $vgpr2_vgpr3
	s_branch .LBB512_559
.LBB512_555:
	s_mov_b64 s[0:1], -1
                                        ; implicit-def: $vgpr2_vgpr3
.LBB512_556:
	s_andn2_b64 vcc, exec, s[0:1]
	s_cbranch_vccnz .LBB512_558
; %bb.557:
	global_load_ushort v2, v[0:1], off
	s_waitcnt vmcnt(0)
	v_cvt_f64_u32_e32 v[2:3], v2
.LBB512_558:
	s_mov_b64 s[0:1], 0
.LBB512_559:
	s_andn2_b64 vcc, exec, s[0:1]
	s_cbranch_vccnz .LBB512_569
; %bb.560:
	global_load_ubyte v4, v[0:1], off
	s_movk_i32 s0, 0x7f
	s_waitcnt vmcnt(0)
	v_cmp_lt_i16_e32 vcc, s0, v4
	s_mov_b64 s[0:1], 0
	s_and_saveexec_b64 s[36:37], vcc
	s_xor_b64 s[36:37], exec, s[36:37]
	s_cbranch_execz .LBB512_564
; %bb.561:
	s_movk_i32 s0, 0x80
	v_cmp_eq_u16_e32 vcc, s0, v4
	s_mov_b64 s[0:1], -1
	s_and_saveexec_b64 s[38:39], vcc
; %bb.562:
	s_xor_b64 s[0:1], exec, -1
; %bb.563:
	s_or_b64 exec, exec, s[38:39]
	s_and_b64 s[0:1], s[0:1], exec
.LBB512_564:
	s_or_saveexec_b64 s[36:37], s[36:37]
	v_bfrev_b32_e32 v2, 4
	v_mov_b32_e32 v3, 0x7ff80000
	s_xor_b64 exec, exec, s[36:37]
; %bb.565:
	v_cmp_ne_u16_e32 vcc, 0, v4
	s_andn2_b64 s[0:1], s[0:1], exec
	s_and_b64 s[38:39], vcc, exec
	v_mov_b64_e32 v[2:3], 0
	s_or_b64 s[0:1], s[0:1], s[38:39]
; %bb.566:
	s_or_b64 exec, exec, s[36:37]
	s_and_saveexec_b64 s[36:37], s[0:1]
	s_cbranch_execz .LBB512_568
; %bb.567:
	v_and_b32_e32 v3, 0xffff, v4
	v_lshlrev_b32_e32 v2, 24, v4
	v_and_b32_e32 v4, 7, v3
	v_ffbh_u32_e32 v6, v4
	v_min_u32_e32 v6, 32, v6
	v_subrev_u32_e32 v7, 28, v6
	v_bfe_u32 v5, v3, 3, 4
	v_lshlrev_b32_e32 v3, v7, v3
	v_sub_u32_e32 v6, 29, v6
	v_and_b32_e32 v3, 7, v3
	v_cmp_eq_u32_e32 vcc, 0, v5
	v_and_b32_e32 v2, 0x80000000, v2
	s_nop 0
	v_cndmask_b32_e32 v5, v5, v6, vcc
	v_cndmask_b32_e32 v3, v4, v3, vcc
	v_mov_b32_e32 v4, 0x3b800000
	v_lshlrev_b32_e32 v3, 20, v3
	v_lshl_add_u32 v4, v5, 23, v4
	v_or3_b32 v2, v2, v4, v3
	v_cvt_f64_f32_e32 v[2:3], v2
.LBB512_568:
	s_or_b64 exec, exec, s[36:37]
.LBB512_569:
	s_mov_b64 s[0:1], -1
.LBB512_570:
	s_mov_b64 s[36:37], 0
.LBB512_571:
	s_and_b64 vcc, exec, s[36:37]
	s_cbranch_vccz .LBB512_604
; %bb.572:
	s_cmp_gt_i32 s40, 22
	s_cbranch_scc0 .LBB512_584
; %bb.573:
	s_cmp_lt_i32 s40, 24
	s_cbranch_scc1 .LBB512_585
; %bb.574:
	s_cmp_gt_i32 s40, 24
	s_cbranch_scc0 .LBB512_586
; %bb.575:
	global_load_ubyte v4, v[0:1], off
	s_movk_i32 s0, 0x7f
	s_waitcnt vmcnt(0)
	v_cmp_lt_i16_e32 vcc, s0, v4
	s_mov_b64 s[0:1], 0
	s_and_saveexec_b64 s[36:37], vcc
	s_xor_b64 s[36:37], exec, s[36:37]
	s_cbranch_execz .LBB512_579
; %bb.576:
	s_movk_i32 s0, 0x80
	v_cmp_eq_u16_e32 vcc, s0, v4
	s_mov_b64 s[0:1], -1
	s_and_saveexec_b64 s[38:39], vcc
; %bb.577:
	s_xor_b64 s[0:1], exec, -1
; %bb.578:
	s_or_b64 exec, exec, s[38:39]
	s_and_b64 s[0:1], s[0:1], exec
.LBB512_579:
	s_or_saveexec_b64 s[36:37], s[36:37]
	v_bfrev_b32_e32 v2, 4
	v_mov_b32_e32 v3, 0x7ff80000
	s_xor_b64 exec, exec, s[36:37]
; %bb.580:
	v_cmp_ne_u16_e32 vcc, 0, v4
	s_andn2_b64 s[0:1], s[0:1], exec
	s_and_b64 s[38:39], vcc, exec
	v_mov_b64_e32 v[2:3], 0
	s_or_b64 s[0:1], s[0:1], s[38:39]
; %bb.581:
	s_or_b64 exec, exec, s[36:37]
	s_and_saveexec_b64 s[36:37], s[0:1]
	s_cbranch_execz .LBB512_583
; %bb.582:
	v_and_b32_e32 v3, 0xffff, v4
	v_lshlrev_b32_e32 v2, 24, v4
	v_and_b32_e32 v4, 3, v3
	v_ffbh_u32_e32 v6, v4
	v_min_u32_e32 v6, 32, v6
	v_subrev_u32_e32 v7, 29, v6
	v_bfe_u32 v5, v3, 2, 5
	v_lshlrev_b32_e32 v3, v7, v3
	v_sub_u32_e32 v6, 30, v6
	v_and_b32_e32 v3, 3, v3
	v_cmp_eq_u32_e32 vcc, 0, v5
	v_and_b32_e32 v2, 0x80000000, v2
	s_nop 0
	v_cndmask_b32_e32 v5, v5, v6, vcc
	v_cndmask_b32_e32 v3, v4, v3, vcc
	v_mov_b32_e32 v4, 0x37800000
	v_lshlrev_b32_e32 v3, 21, v3
	v_lshl_add_u32 v4, v5, 23, v4
	v_or3_b32 v2, v2, v4, v3
	v_cvt_f64_f32_e32 v[2:3], v2
.LBB512_583:
	s_or_b64 exec, exec, s[36:37]
	s_mov_b64 s[0:1], 0
	s_branch .LBB512_587
.LBB512_584:
	s_mov_b64 s[36:37], -1
                                        ; implicit-def: $vgpr2_vgpr3
	s_branch .LBB512_593
.LBB512_585:
	s_mov_b64 s[0:1], -1
                                        ; implicit-def: $vgpr2_vgpr3
	s_branch .LBB512_590
.LBB512_586:
	s_mov_b64 s[0:1], -1
                                        ; implicit-def: $vgpr2_vgpr3
.LBB512_587:
	s_and_b64 vcc, exec, s[0:1]
	s_cbranch_vccz .LBB512_589
; %bb.588:
	global_load_ubyte v2, v[0:1], off
	s_mov_b32 s0, 0x7f800000
	s_waitcnt vmcnt(0)
	v_lshlrev_b32_e32 v2, 24, v2
	v_and_b32_e32 v3, 0x7f000000, v2
	v_ffbh_u32_e32 v4, v3
	v_min_u32_e32 v4, 32, v4
	v_sub_u32_e64 v4, v4, 4 clamp
	v_lshlrev_b32_e32 v6, v4, v3
	v_lshlrev_b32_e32 v4, 23, v4
	v_lshrrev_b32_e32 v6, 4, v6
	v_add_u32_e32 v5, 0x1000000, v3
	v_sub_u32_e32 v4, v6, v4
	v_ashrrev_i32_e32 v5, 8, v5
	v_add_u32_e32 v4, 0x3c000000, v4
	v_and_or_b32 v4, v5, s0, v4
	v_cmp_ne_u32_e32 vcc, 0, v3
	s_brev_b32 s0, 1
	s_nop 0
	v_cndmask_b32_e32 v3, 0, v4, vcc
	v_and_or_b32 v2, v2, s0, v3
	v_cvt_f64_f32_e32 v[2:3], v2
.LBB512_589:
	s_mov_b64 s[0:1], 0
.LBB512_590:
	s_andn2_b64 vcc, exec, s[0:1]
	s_cbranch_vccnz .LBB512_592
; %bb.591:
	global_load_ubyte v2, v[0:1], off
	s_movk_i32 s0, 0x7f00
	s_brev_b32 s1, 16
	s_waitcnt vmcnt(0)
	v_lshlrev_b16_e32 v3, 8, v2
	v_lshlrev_b32_e32 v2, 25, v2
	v_lshrrev_b32_e32 v4, 4, v2
	v_and_or_b32 v5, v3, s0, 0.5
	v_or_b32_e32 v4, 0x70000000, v4
	v_add_f32_e32 v5, -0.5, v5
	v_mul_f32_e32 v4, 0x7800000, v4
	v_cmp_gt_u32_e32 vcc, s1, v2
	v_bfe_i32 v3, v3, 0, 16
	s_brev_b32 s0, 1
	v_cndmask_b32_e32 v2, v4, v5, vcc
	v_and_or_b32 v2, v3, s0, v2
	v_cvt_f64_f32_e32 v[2:3], v2
.LBB512_592:
	s_mov_b64 s[36:37], 0
	s_mov_b64 s[0:1], -1
.LBB512_593:
	s_andn2_b64 vcc, exec, s[36:37]
	s_cbranch_vccnz .LBB512_604
; %bb.594:
	s_cmp_gt_i32 s40, 14
	s_cbranch_scc0 .LBB512_597
; %bb.595:
	s_cmp_eq_u32 s40, 15
	s_cbranch_scc0 .LBB512_598
; %bb.596:
	global_load_ushort v2, v[0:1], off
	s_mov_b64 s[0:1], -1
	s_mov_b64 s[34:35], 0
	s_waitcnt vmcnt(0)
	v_lshlrev_b32_e32 v2, 16, v2
	v_cvt_f64_f32_e32 v[2:3], v2
	s_branch .LBB512_599
.LBB512_597:
	s_mov_b64 s[36:37], -1
                                        ; implicit-def: $vgpr2_vgpr3
	s_branch .LBB512_600
.LBB512_598:
	s_mov_b64 s[34:35], -1
                                        ; implicit-def: $vgpr2_vgpr3
.LBB512_599:
	s_mov_b64 s[36:37], 0
.LBB512_600:
	s_and_b64 vcc, exec, s[36:37]
	s_cbranch_vccz .LBB512_604
; %bb.601:
	s_cmp_eq_u32 s40, 11
	s_cbranch_scc0 .LBB512_603
; %bb.602:
	global_load_ubyte v3, v[0:1], off
	v_mov_b32_e32 v4, 0x3ff00000
	s_waitcnt vmcnt(1)
	v_mov_b32_e32 v2, 0
	s_mov_b64 s[0:1], -1
	s_mov_b64 s[34:35], 0
	s_waitcnt vmcnt(0)
	v_cmp_ne_u16_e32 vcc, 0, v3
	s_nop 1
	v_cndmask_b32_e32 v3, 0, v4, vcc
	s_branch .LBB512_604
.LBB512_603:
	s_mov_b64 s[34:35], -1
                                        ; implicit-def: $vgpr2_vgpr3
.LBB512_604:
	s_mov_b64 s[36:37], 0
.LBB512_605:
	s_and_b64 vcc, exec, s[36:37]
	s_cbranch_vccz .LBB512_654
; %bb.606:
	s_cmp_lt_i32 s40, 5
	s_cbranch_scc1 .LBB512_611
; %bb.607:
	s_cmp_lt_i32 s40, 8
	s_cbranch_scc1 .LBB512_612
; %bb.608:
	s_cmp_lt_i32 s40, 9
	s_cbranch_scc1 .LBB512_613
; %bb.609:
	s_cmp_gt_i32 s40, 9
	s_cbranch_scc0 .LBB512_614
; %bb.610:
	global_load_dwordx2 v[2:3], v[0:1], off
	s_mov_b64 s[0:1], 0
	s_branch .LBB512_615
.LBB512_611:
	s_mov_b64 s[0:1], -1
                                        ; implicit-def: $vgpr2_vgpr3
	s_branch .LBB512_633
.LBB512_612:
	s_mov_b64 s[0:1], -1
                                        ; implicit-def: $vgpr2_vgpr3
	s_branch .LBB512_621
.LBB512_613:
	s_mov_b64 s[0:1], -1
                                        ; implicit-def: $vgpr2_vgpr3
	s_branch .LBB512_618
.LBB512_614:
	s_mov_b64 s[0:1], -1
                                        ; implicit-def: $vgpr2_vgpr3
.LBB512_615:
	s_andn2_b64 vcc, exec, s[0:1]
	s_cbranch_vccnz .LBB512_617
; %bb.616:
	global_load_dword v2, v[0:1], off
	s_waitcnt vmcnt(0)
	v_cvt_f64_f32_e32 v[2:3], v2
.LBB512_617:
	s_mov_b64 s[0:1], 0
.LBB512_618:
	s_andn2_b64 vcc, exec, s[0:1]
	s_cbranch_vccnz .LBB512_620
; %bb.619:
	global_load_dword v2, v[0:1], off
	s_waitcnt vmcnt(0)
	v_cvt_f32_f16_e32 v2, v2
	v_cvt_f64_f32_e32 v[2:3], v2
.LBB512_620:
	s_mov_b64 s[0:1], 0
.LBB512_621:
	s_andn2_b64 vcc, exec, s[0:1]
	s_cbranch_vccnz .LBB512_632
; %bb.622:
	s_cmp_lt_i32 s40, 6
	s_cbranch_scc1 .LBB512_625
; %bb.623:
	s_cmp_gt_i32 s40, 6
	s_cbranch_scc0 .LBB512_626
; %bb.624:
	global_load_dwordx2 v[2:3], v[0:1], off
	s_mov_b64 s[0:1], 0
	s_branch .LBB512_627
.LBB512_625:
	s_mov_b64 s[0:1], -1
                                        ; implicit-def: $vgpr2_vgpr3
	s_branch .LBB512_630
.LBB512_626:
	s_mov_b64 s[0:1], -1
                                        ; implicit-def: $vgpr2_vgpr3
.LBB512_627:
	s_andn2_b64 vcc, exec, s[0:1]
	s_cbranch_vccnz .LBB512_629
; %bb.628:
	global_load_dword v2, v[0:1], off
	s_waitcnt vmcnt(0)
	v_cvt_f64_f32_e32 v[2:3], v2
.LBB512_629:
	s_mov_b64 s[0:1], 0
.LBB512_630:
	s_andn2_b64 vcc, exec, s[0:1]
	s_cbranch_vccnz .LBB512_632
; %bb.631:
	global_load_ushort v2, v[0:1], off
	s_waitcnt vmcnt(0)
	v_cvt_f32_f16_e32 v2, v2
	v_cvt_f64_f32_e32 v[2:3], v2
.LBB512_632:
	s_mov_b64 s[0:1], 0
.LBB512_633:
	s_andn2_b64 vcc, exec, s[0:1]
	s_cbranch_vccnz .LBB512_653
; %bb.634:
	s_cmp_lt_i32 s40, 2
	s_cbranch_scc1 .LBB512_638
; %bb.635:
	s_cmp_lt_i32 s40, 3
	s_cbranch_scc1 .LBB512_639
; %bb.636:
	s_cmp_gt_i32 s40, 3
	s_cbranch_scc0 .LBB512_640
; %bb.637:
	global_load_dwordx2 v[2:3], v[0:1], off
	s_mov_b64 s[0:1], 0
	s_waitcnt vmcnt(0)
	v_cvt_f64_i32_e32 v[4:5], v3
	v_cvt_f64_u32_e32 v[2:3], v2
	v_ldexp_f64 v[4:5], v[4:5], 32
	v_add_f64 v[2:3], v[4:5], v[2:3]
	s_branch .LBB512_641
.LBB512_638:
	s_mov_b64 s[0:1], -1
                                        ; implicit-def: $vgpr2_vgpr3
	s_branch .LBB512_647
.LBB512_639:
	s_mov_b64 s[0:1], -1
                                        ; implicit-def: $vgpr2_vgpr3
	s_branch .LBB512_644
.LBB512_640:
	s_mov_b64 s[0:1], -1
                                        ; implicit-def: $vgpr2_vgpr3
.LBB512_641:
	s_andn2_b64 vcc, exec, s[0:1]
	s_cbranch_vccnz .LBB512_643
; %bb.642:
	global_load_dword v2, v[0:1], off
	s_waitcnt vmcnt(0)
	v_cvt_f64_i32_e32 v[2:3], v2
.LBB512_643:
	s_mov_b64 s[0:1], 0
.LBB512_644:
	s_andn2_b64 vcc, exec, s[0:1]
	s_cbranch_vccnz .LBB512_646
; %bb.645:
	global_load_sshort v2, v[0:1], off
	s_waitcnt vmcnt(0)
	v_cvt_f64_i32_e32 v[2:3], v2
.LBB512_646:
	s_mov_b64 s[0:1], 0
.LBB512_647:
	s_andn2_b64 vcc, exec, s[0:1]
	s_cbranch_vccnz .LBB512_653
; %bb.648:
	s_cmp_gt_i32 s40, 0
	s_cbranch_scc0 .LBB512_650
; %bb.649:
	global_load_sbyte v2, v[0:1], off
	s_mov_b64 s[0:1], 0
	s_waitcnt vmcnt(0)
	v_cvt_f64_i32_e32 v[2:3], v2
	s_branch .LBB512_651
.LBB512_650:
	s_mov_b64 s[0:1], -1
                                        ; implicit-def: $vgpr2_vgpr3
.LBB512_651:
	s_andn2_b64 vcc, exec, s[0:1]
	s_cbranch_vccnz .LBB512_653
; %bb.652:
	global_load_ubyte v0, v[0:1], off
	s_waitcnt vmcnt(0)
	v_cvt_f64_u32_e32 v[2:3], v0
.LBB512_653:
	s_mov_b64 s[0:1], -1
.LBB512_654:
	s_andn2_b64 vcc, exec, s[0:1]
	s_cbranch_vccnz .LBB512_666
; %bb.655:
	s_waitcnt vmcnt(0)
	v_cmp_o_f64_e32 vcc, v[2:3], v[2:3]
	v_mov_b64_e32 v[0:1], s[8:9]
	s_and_saveexec_b64 s[0:1], vcc
	s_cbranch_execz .LBB512_659
; %bb.656:
	s_mov_b32 s36, 0
	s_mov_b32 s37, 0x7ff00000
	v_cmp_neq_f64_e32 vcc, s[36:37], v[2:3]
	v_mov_b64_e32 v[0:1], s[10:11]
	s_and_saveexec_b64 s[36:37], vcc
; %bb.657:
	s_mov_b32 s38, 0
	s_mov_b32 s39, 0xfff00000
	v_mov_b32_e32 v0, s15
	v_cmp_eq_f64_e32 vcc, s[38:39], v[2:3]
	s_nop 1
	v_cndmask_b32_e32 v1, v3, v0, vcc
	v_mov_b32_e32 v0, s14
	v_cndmask_b32_e32 v0, v2, v0, vcc
; %bb.658:
	s_or_b64 exec, exec, s[36:37]
.LBB512_659:
	s_or_b64 exec, exec, s[0:1]
	v_mul_lo_u32 v2, v10, s12
	v_ashrrev_i32_e32 v3, 31, v2
	s_and_b32 s42, s33, 0xff
	s_cmp_lt_i32 s42, 11
	v_lshl_add_u64 v[4:5], s[4:5], 0, v[2:3]
	s_cbranch_scc1 .LBB512_667
; %bb.660:
	s_and_b32 s43, 0xffff, s42
	s_cmp_gt_i32 s43, 25
	s_cbranch_scc0 .LBB512_668
; %bb.661:
	s_cmp_gt_i32 s43, 28
	s_cbranch_scc0 .LBB512_669
; %bb.662:
	;; [unrolled: 3-line block ×4, first 2 shown]
	s_mov_b64 s[38:39], 0
	s_mov_b64 s[0:1], -1
	s_cmp_eq_u32 s43, 46
	s_mov_b64 s[36:37], 0
	s_cbranch_scc0 .LBB512_672
; %bb.665:
	v_cvt_f32_f64_e32 v2, v[0:1]
	v_bfe_u32 v3, v2, 16, 1
	s_movk_i32 s0, 0x7fff
	v_add3_u32 v3, v2, v3, s0
	v_cmp_o_f32_e32 vcc, v2, v2
	v_mov_b32_e32 v2, 0x7fc0
	s_mov_b64 s[36:37], -1
	v_cndmask_b32_sdwa v2, v2, v3, vcc dst_sel:DWORD dst_unused:UNUSED_PAD src0_sel:DWORD src1_sel:WORD_1
	global_store_dword v[4:5], v2, off
	s_mov_b64 s[0:1], 0
	s_branch .LBB512_672
.LBB512_666:
	s_mov_b64 s[38:39], 0
                                        ; implicit-def: $vgpr10
	s_mov_b64 s[0:1], s[26:27]
	s_branch .LBB512_783
.LBB512_667:
	s_mov_b64 s[38:39], -1
	s_mov_b64 s[36:37], 0
	s_mov_b64 s[0:1], s[26:27]
	s_branch .LBB512_741
.LBB512_668:
	s_mov_b64 s[38:39], -1
	s_mov_b64 s[36:37], 0
	s_mov_b64 s[0:1], s[26:27]
	s_branch .LBB512_699
.LBB512_669:
	s_mov_b64 s[38:39], -1
	s_mov_b64 s[36:37], 0
	s_mov_b64 s[0:1], s[26:27]
	s_branch .LBB512_682
.LBB512_670:
	s_mov_b64 s[38:39], -1
	s_mov_b64 s[36:37], 0
	s_mov_b64 s[0:1], s[26:27]
	s_branch .LBB512_678
.LBB512_671:
	s_mov_b64 s[38:39], -1
	s_mov_b64 s[36:37], 0
	s_mov_b64 s[0:1], s[26:27]
.LBB512_672:
	s_and_b64 vcc, exec, s[38:39]
	s_cbranch_vccz .LBB512_677
; %bb.673:
	s_cmp_eq_u32 s43, 44
	s_mov_b64 s[0:1], -1
	s_cbranch_scc0 .LBB512_677
; %bb.674:
	v_cvt_f32_f64_e32 v2, v[0:1]
	v_bfe_u32 v3, v2, 23, 8
	s_movk_i32 s0, 0xff
	v_cmp_ne_u32_e32 vcc, s0, v3
	v_mov_b32_e32 v6, 0xff
	s_and_saveexec_b64 s[36:37], vcc
; %bb.675:
	s_mov_b32 s0, 0x3fffff
	v_lshrrev_b32_e32 v6, 23, v2
	v_and_b32_e32 v7, 0x400000, v2
	v_and_or_b32 v2, v2, s0, v3
	v_cmp_ne_u32_e32 vcc, 0, v7
	v_cmp_ne_u32_e64 s[0:1], 0, v2
	s_and_b64 s[0:1], vcc, s[0:1]
	s_nop 0
	v_cndmask_b32_e64 v2, 0, 1, s[0:1]
	v_add_u32_e32 v6, v6, v2
; %bb.676:
	s_or_b64 exec, exec, s[36:37]
	s_mov_b64 s[36:37], -1
	s_mov_b64 s[0:1], 0
	global_store_byte v[4:5], v6, off
.LBB512_677:
	s_mov_b64 s[38:39], 0
.LBB512_678:
	s_and_b64 vcc, exec, s[38:39]
	s_cbranch_vccz .LBB512_681
; %bb.679:
	s_cmp_eq_u32 s43, 29
	s_mov_b64 s[0:1], -1
	s_cbranch_scc0 .LBB512_681
; %bb.680:
	v_trunc_f64_e32 v[2:3], v[0:1]
	s_movk_i32 s0, 0xffe0
	v_ldexp_f64 v[6:7], v[2:3], s0
	v_floor_f64_e32 v[6:7], v[6:7]
	v_fmac_f64_e32 v[2:3], 0xc1f00000, v[6:7]
	v_cvt_u32_f64_e32 v9, v[6:7]
	v_cvt_u32_f64_e32 v8, v[2:3]
	global_store_dwordx2 v[4:5], v[8:9], off
	s_mov_b64 s[36:37], -1
	s_mov_b64 s[0:1], 0
.LBB512_681:
	s_mov_b64 s[38:39], 0
.LBB512_682:
	s_and_b64 vcc, exec, s[38:39]
	s_cbranch_vccz .LBB512_698
; %bb.683:
	s_cmp_lt_i32 s43, 27
	s_mov_b64 s[36:37], -1
	s_cbranch_scc1 .LBB512_689
; %bb.684:
	s_cmp_gt_i32 s43, 27
	v_cvt_u32_f64_e32 v2, v[0:1]
	s_cbranch_scc0 .LBB512_686
; %bb.685:
	s_mov_b64 s[36:37], 0
	global_store_dword v[4:5], v2, off
.LBB512_686:
	s_andn2_b64 vcc, exec, s[36:37]
	s_cbranch_vccnz .LBB512_688
; %bb.687:
	global_store_short v[4:5], v2, off
.LBB512_688:
	s_mov_b64 s[36:37], 0
.LBB512_689:
	s_andn2_b64 vcc, exec, s[36:37]
	s_cbranch_vccnz .LBB512_697
; %bb.690:
	v_cvt_f32_f64_e32 v2, v[0:1]
	v_and_b32_e32 v3, 0x7fffffff, v2
	s_mov_b32 s36, 0x43800000
	v_cmp_gt_u32_e32 vcc, s36, v3
	v_mov_b32_e32 v6, 0x80
	s_and_saveexec_b64 s[36:37], vcc
	s_cbranch_execz .LBB512_696
; %bb.691:
	s_mov_b32 s38, 0x3bffffff
	v_cmp_lt_u32_e32 vcc, s38, v3
	s_mov_b64 s[38:39], 0
                                        ; implicit-def: $vgpr3
	s_and_saveexec_b64 s[40:41], vcc
	s_xor_b64 s[40:41], exec, s[40:41]
	s_cbranch_execz .LBB512_797
; %bb.692:
	v_bfe_u32 v3, v2, 20, 1
	s_mov_b32 s45, 0x487ffff
	v_add3_u32 v3, v2, v3, s45
	s_mov_b64 s[38:39], exec
	v_lshrrev_b32_e32 v3, 20, v3
	s_andn2_saveexec_b64 s[40:41], s[40:41]
	s_cbranch_execnz .LBB512_798
.LBB512_693:
	s_or_b64 exec, exec, s[40:41]
	v_mov_b32_e32 v6, 0
	s_and_saveexec_b64 s[40:41], s[38:39]
.LBB512_694:
	v_lshrrev_b32_e32 v2, 24, v2
	s_movk_i32 s38, 0x80
	v_and_or_b32 v6, v2, s38, v3
.LBB512_695:
	s_or_b64 exec, exec, s[40:41]
.LBB512_696:
	s_or_b64 exec, exec, s[36:37]
	global_store_byte v[4:5], v6, off
.LBB512_697:
	s_mov_b64 s[36:37], -1
.LBB512_698:
	s_mov_b64 s[38:39], 0
.LBB512_699:
	s_and_b64 vcc, exec, s[38:39]
	s_cbranch_vccz .LBB512_740
; %bb.700:
	s_cmp_gt_i32 s43, 22
	s_mov_b64 s[38:39], -1
	s_cbranch_scc0 .LBB512_732
; %bb.701:
	s_cmp_lt_i32 s43, 24
	s_mov_b64 s[36:37], -1
	s_cbranch_scc1 .LBB512_721
; %bb.702:
	s_cmp_gt_i32 s43, 24
	s_cbranch_scc0 .LBB512_710
; %bb.703:
	v_cvt_f32_f64_e32 v2, v[0:1]
	v_and_b32_e32 v3, 0x7fffffff, v2
	s_mov_b32 s36, 0x47800000
	v_cmp_gt_u32_e32 vcc, s36, v3
	v_mov_b32_e32 v6, 0x80
	s_and_saveexec_b64 s[36:37], vcc
	s_cbranch_execz .LBB512_709
; %bb.704:
	s_mov_b32 s38, 0x37ffffff
	v_cmp_lt_u32_e32 vcc, s38, v3
	s_mov_b64 s[38:39], 0
                                        ; implicit-def: $vgpr3
	s_and_saveexec_b64 s[40:41], vcc
	s_xor_b64 s[40:41], exec, s[40:41]
	s_cbranch_execz .LBB512_800
; %bb.705:
	v_bfe_u32 v3, v2, 21, 1
	s_mov_b32 s45, 0x88fffff
	v_add3_u32 v3, v2, v3, s45
	s_mov_b64 s[38:39], exec
	v_lshrrev_b32_e32 v3, 21, v3
	s_andn2_saveexec_b64 s[40:41], s[40:41]
	s_cbranch_execnz .LBB512_801
.LBB512_706:
	s_or_b64 exec, exec, s[40:41]
	v_mov_b32_e32 v6, 0
	s_and_saveexec_b64 s[40:41], s[38:39]
.LBB512_707:
	v_lshrrev_b32_e32 v2, 24, v2
	s_movk_i32 s38, 0x80
	v_and_or_b32 v6, v2, s38, v3
.LBB512_708:
	s_or_b64 exec, exec, s[40:41]
.LBB512_709:
	s_or_b64 exec, exec, s[36:37]
	s_mov_b64 s[36:37], 0
	global_store_byte v[4:5], v6, off
.LBB512_710:
	s_and_b64 vcc, exec, s[36:37]
	s_cbranch_vccz .LBB512_720
; %bb.711:
	v_cvt_f32_f64_e32 v2, v[0:1]
	v_and_b32_e32 v6, 0x7fffffff, v2
	s_mov_b32 s36, 0x43f00000
	v_cmp_gt_u32_e32 vcc, s36, v6
                                        ; implicit-def: $vgpr3
	s_and_saveexec_b64 s[36:37], vcc
	s_xor_b64 s[36:37], exec, s[36:37]
	s_cbranch_execz .LBB512_717
; %bb.712:
	s_mov_b32 s38, 0x3c7fffff
	v_cmp_lt_u32_e32 vcc, s38, v6
                                        ; implicit-def: $vgpr3
	s_and_saveexec_b64 s[38:39], vcc
	s_xor_b64 s[38:39], exec, s[38:39]
; %bb.713:
	v_bfe_u32 v3, v2, 20, 1
	s_mov_b32 s40, 0x407ffff
	v_add3_u32 v3, v2, v3, s40
	v_lshrrev_b32_e32 v6, 20, v3
	v_and_b32_e32 v3, 0xff00000, v3
	s_mov_b32 s40, 0x7f00000
	v_mov_b32_e32 v7, 0x7e
	v_cmp_ne_u32_e32 vcc, s40, v3
	s_nop 1
	v_cndmask_b32_e32 v3, v7, v6, vcc
; %bb.714:
	s_andn2_saveexec_b64 s[38:39], s[38:39]
; %bb.715:
	s_mov_b32 s40, 0x46800000
	v_add_f32_e64 v3, |v2|, s40
; %bb.716:
	s_or_b64 exec, exec, s[38:39]
                                        ; implicit-def: $vgpr6
.LBB512_717:
	s_andn2_saveexec_b64 s[36:37], s[36:37]
; %bb.718:
	s_mov_b32 s38, 0x7f800000
	v_mov_b32_e32 v3, 0x7e
	v_mov_b32_e32 v7, 0x7f
	v_cmp_lt_u32_e32 vcc, s38, v6
	s_nop 1
	v_cndmask_b32_e32 v3, v3, v7, vcc
; %bb.719:
	s_or_b64 exec, exec, s[36:37]
	v_lshrrev_b32_e32 v2, 24, v2
	s_movk_i32 s36, 0x80
	v_and_or_b32 v2, v2, s36, v3
	global_store_byte v[4:5], v2, off
.LBB512_720:
	s_mov_b64 s[36:37], 0
.LBB512_721:
	s_andn2_b64 vcc, exec, s[36:37]
	s_cbranch_vccnz .LBB512_731
; %bb.722:
	v_cvt_f32_f64_e32 v2, v[0:1]
	v_and_b32_e32 v6, 0x7fffffff, v2
	s_mov_b32 s36, 0x47800000
	v_cmp_gt_u32_e32 vcc, s36, v6
                                        ; implicit-def: $vgpr3
	s_and_saveexec_b64 s[36:37], vcc
	s_xor_b64 s[36:37], exec, s[36:37]
	s_cbranch_execz .LBB512_728
; %bb.723:
	s_mov_b32 s38, 0x387fffff
	v_cmp_lt_u32_e32 vcc, s38, v6
                                        ; implicit-def: $vgpr3
	s_and_saveexec_b64 s[38:39], vcc
	s_xor_b64 s[38:39], exec, s[38:39]
; %bb.724:
	v_bfe_u32 v3, v2, 21, 1
	s_mov_b32 s40, 0x80fffff
	v_add3_u32 v3, v2, v3, s40
	v_lshrrev_b32_e32 v3, 21, v3
; %bb.725:
	s_andn2_saveexec_b64 s[38:39], s[38:39]
; %bb.726:
	s_mov_b32 s40, 0x43000000
	v_add_f32_e64 v3, |v2|, s40
; %bb.727:
	s_or_b64 exec, exec, s[38:39]
                                        ; implicit-def: $vgpr6
.LBB512_728:
	s_andn2_saveexec_b64 s[36:37], s[36:37]
; %bb.729:
	s_mov_b32 s38, 0x7f800000
	v_mov_b32_e32 v3, 0x7c
	v_mov_b32_e32 v7, 0x7f
	v_cmp_lt_u32_e32 vcc, s38, v6
	s_nop 1
	v_cndmask_b32_e32 v3, v3, v7, vcc
; %bb.730:
	s_or_b64 exec, exec, s[36:37]
	v_lshrrev_b32_e32 v2, 24, v2
	s_movk_i32 s36, 0x80
	v_and_or_b32 v2, v2, s36, v3
	global_store_byte v[4:5], v2, off
.LBB512_731:
	s_mov_b64 s[38:39], 0
	s_mov_b64 s[36:37], -1
.LBB512_732:
	s_andn2_b64 vcc, exec, s[38:39]
	s_cbranch_vccnz .LBB512_740
; %bb.733:
	s_cmp_gt_i32 s43, 14
	s_mov_b64 s[38:39], -1
	s_cbranch_scc0 .LBB512_737
; %bb.734:
	s_cmp_eq_u32 s43, 15
	s_mov_b64 s[0:1], -1
	s_cbranch_scc0 .LBB512_736
; %bb.735:
	v_cvt_f32_f64_e32 v2, v[0:1]
	v_bfe_u32 v3, v2, 16, 1
	s_movk_i32 s0, 0x7fff
	v_add3_u32 v3, v2, v3, s0
	v_cmp_o_f32_e32 vcc, v2, v2
	v_mov_b32_e32 v2, 0x7fc0
	s_mov_b64 s[36:37], -1
	v_cndmask_b32_sdwa v2, v2, v3, vcc dst_sel:DWORD dst_unused:UNUSED_PAD src0_sel:DWORD src1_sel:WORD_1
	global_store_short v[4:5], v2, off
	s_mov_b64 s[0:1], 0
.LBB512_736:
	s_mov_b64 s[38:39], 0
.LBB512_737:
	s_and_b64 vcc, exec, s[38:39]
	s_cbranch_vccz .LBB512_740
; %bb.738:
	s_cmp_eq_u32 s43, 11
	s_mov_b64 s[0:1], -1
	s_cbranch_scc0 .LBB512_740
; %bb.739:
	v_cmp_neq_f64_e32 vcc, 0, v[0:1]
	s_mov_b64 s[0:1], 0
	s_mov_b64 s[36:37], -1
	v_cndmask_b32_e64 v2, 0, 1, vcc
	global_store_byte v[4:5], v2, off
.LBB512_740:
	s_mov_b64 s[38:39], 0
.LBB512_741:
	s_and_b64 vcc, exec, s[38:39]
	s_cbranch_vccz .LBB512_780
; %bb.742:
	s_and_b32 s38, 0xffff, s42
	s_cmp_lt_i32 s38, 5
	s_mov_b64 s[36:37], -1
	s_cbranch_scc1 .LBB512_763
; %bb.743:
	s_cmp_lt_i32 s38, 8
	s_cbranch_scc1 .LBB512_753
; %bb.744:
	s_cmp_lt_i32 s38, 9
	s_cbranch_scc1 .LBB512_750
; %bb.745:
	s_cmp_gt_i32 s38, 9
	s_cbranch_scc0 .LBB512_747
; %bb.746:
	v_mov_b32_e32 v2, 0
	v_mov_b32_e32 v3, v2
	s_mov_b64 s[36:37], 0
	global_store_dwordx4 v[4:5], v[0:3], off
.LBB512_747:
	s_andn2_b64 vcc, exec, s[36:37]
	s_cbranch_vccnz .LBB512_749
; %bb.748:
	v_cvt_f32_f64_e32 v2, v[0:1]
	v_mov_b32_e32 v3, 0
	global_store_dwordx2 v[4:5], v[2:3], off
.LBB512_749:
	s_mov_b64 s[36:37], 0
.LBB512_750:
	s_andn2_b64 vcc, exec, s[36:37]
	s_cbranch_vccnz .LBB512_752
; %bb.751:
	s_movk_i32 s36, 0x1ff
	v_and_or_b32 v2, v1, s36, v0
	v_cmp_ne_u32_e32 vcc, 0, v2
	v_lshrrev_b32_e32 v3, 8, v1
	s_movk_i32 s36, 0xffe
	v_cndmask_b32_e64 v2, 0, 1, vcc
	v_bfe_u32 v6, v1, 20, 11
	v_and_or_b32 v2, v3, s36, v2
	v_sub_u32_e32 v7, 0x3f1, v6
	v_or_b32_e32 v3, 0x1000, v2
	v_med3_i32 v7, v7, 0, 13
	v_lshrrev_b32_e32 v8, v7, v3
	v_lshlrev_b32_e32 v7, v7, v8
	v_cmp_ne_u32_e32 vcc, v7, v3
	v_add_u32_e32 v6, 0xfffffc10, v6
	v_lshl_or_b32 v7, v6, 12, v2
	v_cndmask_b32_e64 v3, 0, 1, vcc
	v_or_b32_e32 v3, v8, v3
	v_cmp_gt_i32_e32 vcc, 1, v6
	s_movk_i32 s36, 0x40f
	s_nop 0
	v_cndmask_b32_e32 v3, v7, v3, vcc
	v_and_b32_e32 v7, 7, v3
	v_cmp_lt_i32_e32 vcc, 5, v7
	v_lshrrev_b32_e32 v3, 2, v3
	s_nop 0
	v_cndmask_b32_e64 v8, 0, 1, vcc
	v_cmp_eq_u32_e32 vcc, 3, v7
	s_nop 1
	v_cndmask_b32_e64 v7, 0, 1, vcc
	v_or_b32_e32 v7, v7, v8
	v_add_u32_e32 v3, v3, v7
	v_mov_b32_e32 v7, 0x7c00
	v_cmp_gt_i32_e32 vcc, 31, v6
	v_mov_b32_e32 v8, 0x7e00
	s_nop 0
	v_cndmask_b32_e32 v3, v7, v3, vcc
	v_cmp_ne_u32_e32 vcc, 0, v2
	s_nop 1
	v_cndmask_b32_e32 v2, v7, v8, vcc
	v_cmp_eq_u32_e32 vcc, s36, v6
	s_mov_b32 s36, 0x8000
	s_nop 0
	v_cndmask_b32_e32 v2, v3, v2, vcc
	v_and_b32_sdwa v3, v1, s36 dst_sel:DWORD dst_unused:UNUSED_PAD src0_sel:WORD_1 src1_sel:DWORD
	s_mov_b32 s36, 0xffff
	v_bitop3_b32 v2, v3, s36, v2 bitop3:0xc8
	global_store_dword v[4:5], v2, off
.LBB512_752:
	s_mov_b64 s[36:37], 0
.LBB512_753:
	s_andn2_b64 vcc, exec, s[36:37]
	s_cbranch_vccnz .LBB512_762
; %bb.754:
	s_cmp_lt_i32 s38, 6
	s_mov_b64 s[36:37], -1
	s_cbranch_scc1 .LBB512_760
; %bb.755:
	s_cmp_gt_i32 s38, 6
	s_cbranch_scc0 .LBB512_757
; %bb.756:
	s_mov_b64 s[36:37], 0
	global_store_dwordx2 v[4:5], v[0:1], off
.LBB512_757:
	s_andn2_b64 vcc, exec, s[36:37]
	s_cbranch_vccnz .LBB512_759
; %bb.758:
	v_cvt_f32_f64_e32 v2, v[0:1]
	global_store_dword v[4:5], v2, off
.LBB512_759:
	s_mov_b64 s[36:37], 0
.LBB512_760:
	s_andn2_b64 vcc, exec, s[36:37]
	s_cbranch_vccnz .LBB512_762
; %bb.761:
	s_movk_i32 s36, 0x1ff
	v_and_or_b32 v2, v1, s36, v0
	v_cmp_ne_u32_e32 vcc, 0, v2
	v_lshrrev_b32_e32 v3, 8, v1
	s_movk_i32 s36, 0xffe
	v_cndmask_b32_e64 v2, 0, 1, vcc
	v_bfe_u32 v6, v1, 20, 11
	v_and_or_b32 v2, v3, s36, v2
	v_sub_u32_e32 v7, 0x3f1, v6
	v_or_b32_e32 v3, 0x1000, v2
	v_med3_i32 v7, v7, 0, 13
	v_lshrrev_b32_e32 v8, v7, v3
	v_lshlrev_b32_e32 v7, v7, v8
	v_cmp_ne_u32_e32 vcc, v7, v3
	v_add_u32_e32 v6, 0xfffffc10, v6
	v_lshl_or_b32 v7, v6, 12, v2
	v_cndmask_b32_e64 v3, 0, 1, vcc
	v_or_b32_e32 v3, v8, v3
	v_cmp_gt_i32_e32 vcc, 1, v6
	s_movk_i32 s36, 0x40f
	s_nop 0
	v_cndmask_b32_e32 v3, v7, v3, vcc
	v_and_b32_e32 v7, 7, v3
	v_cmp_lt_i32_e32 vcc, 5, v7
	v_lshrrev_b32_e32 v3, 2, v3
	s_nop 0
	v_cndmask_b32_e64 v8, 0, 1, vcc
	v_cmp_eq_u32_e32 vcc, 3, v7
	s_nop 1
	v_cndmask_b32_e64 v7, 0, 1, vcc
	v_or_b32_e32 v7, v7, v8
	v_add_u32_e32 v3, v3, v7
	v_mov_b32_e32 v7, 0x7c00
	v_cmp_gt_i32_e32 vcc, 31, v6
	v_mov_b32_e32 v8, 0x7e00
	s_nop 0
	v_cndmask_b32_e32 v3, v7, v3, vcc
	v_cmp_ne_u32_e32 vcc, 0, v2
	s_nop 1
	v_cndmask_b32_e32 v2, v7, v8, vcc
	v_cmp_eq_u32_e32 vcc, s36, v6
	s_mov_b32 s36, 0x8000
	s_nop 0
	v_cndmask_b32_e32 v2, v3, v2, vcc
	v_lshrrev_b32_e32 v3, 16, v1
	v_and_or_b32 v2, v3, s36, v2
	global_store_short v[4:5], v2, off
.LBB512_762:
	s_mov_b64 s[36:37], 0
.LBB512_763:
	s_andn2_b64 vcc, exec, s[36:37]
	s_cbranch_vccnz .LBB512_779
; %bb.764:
	s_cmp_lt_i32 s38, 2
	s_mov_b64 s[36:37], -1
	s_cbranch_scc1 .LBB512_774
; %bb.765:
	s_cmp_lt_i32 s38, 3
	s_cbranch_scc1 .LBB512_771
; %bb.766:
	s_cmp_gt_i32 s38, 3
	s_cbranch_scc0 .LBB512_768
; %bb.767:
	v_trunc_f64_e32 v[2:3], v[0:1]
	s_movk_i32 s36, 0xffe0
	v_ldexp_f64 v[6:7], v[2:3], s36
	v_floor_f64_e32 v[6:7], v[6:7]
	v_fmac_f64_e32 v[2:3], 0xc1f00000, v[6:7]
	v_cvt_i32_f64_e32 v9, v[6:7]
	v_cvt_u32_f64_e32 v8, v[2:3]
	s_mov_b64 s[36:37], 0
	global_store_dwordx2 v[4:5], v[8:9], off
.LBB512_768:
	s_andn2_b64 vcc, exec, s[36:37]
	s_cbranch_vccnz .LBB512_770
; %bb.769:
	v_cvt_i32_f64_e32 v2, v[0:1]
	global_store_dword v[4:5], v2, off
.LBB512_770:
	s_mov_b64 s[36:37], 0
.LBB512_771:
	s_andn2_b64 vcc, exec, s[36:37]
	s_cbranch_vccnz .LBB512_773
; %bb.772:
	v_cvt_i32_f64_e32 v2, v[0:1]
	global_store_short v[4:5], v2, off
.LBB512_773:
	s_mov_b64 s[36:37], 0
.LBB512_774:
	s_andn2_b64 vcc, exec, s[36:37]
	s_cbranch_vccnz .LBB512_779
; %bb.775:
	s_cmp_gt_i32 s38, 0
	s_mov_b64 s[36:37], -1
	s_cbranch_scc0 .LBB512_777
; %bb.776:
	v_cvt_i32_f64_e32 v2, v[0:1]
	s_mov_b64 s[36:37], 0
	global_store_byte v[4:5], v2, off
.LBB512_777:
	s_andn2_b64 vcc, exec, s[36:37]
	s_cbranch_vccnz .LBB512_779
; %bb.778:
	v_trunc_f64_e32 v[0:1], v[0:1]
	s_movk_i32 s36, 0xffe0
	v_ldexp_f64 v[2:3], v[0:1], s36
	v_floor_f64_e32 v[2:3], v[2:3]
	v_fmac_f64_e32 v[0:1], 0xc1f00000, v[2:3]
	v_cvt_u32_f64_e32 v0, v[0:1]
	global_store_byte v[4:5], v0, off
.LBB512_779:
	s_mov_b64 s[36:37], -1
.LBB512_780:
	s_andn2_b64 vcc, exec, s[36:37]
	s_cbranch_vccnz .LBB512_782
; %bb.781:
	v_add_u32_e32 v10, 0x80, v10
	s_mov_b64 s[38:39], -1
	s_branch .LBB512_783
.LBB512_782:
	s_mov_b64 s[38:39], 0
                                        ; implicit-def: $vgpr10
.LBB512_783:
	s_andn2_b64 s[36:37], s[26:27], exec
	s_and_b64 s[0:1], s[0:1], exec
	s_or_b64 s[36:37], s[36:37], s[0:1]
	s_andn2_b64 s[0:1], s[24:25], exec
	s_and_b64 s[34:35], s[34:35], exec
	s_or_b64 s[0:1], s[0:1], s[34:35]
	s_orn2_b64 s[40:41], s[38:39], exec
.LBB512_784:
	s_or_b64 exec, exec, s[30:31]
	s_mov_b64 s[38:39], 0
	s_mov_b64 s[34:35], 0
	;; [unrolled: 1-line block ×3, first 2 shown]
                                        ; implicit-def: $vgpr0_vgpr1
                                        ; implicit-def: $vgpr2_vgpr3
	s_and_saveexec_b64 s[30:31], s[40:41]
	s_cbranch_execz .LBB512_869
; %bb.785:
	v_cmp_gt_i32_e32 vcc, s44, v10
	s_mov_b64 s[40:41], 0
	s_mov_b64 s[44:45], s[0:1]
	;; [unrolled: 1-line block ×3, first 2 shown]
                                        ; implicit-def: $vgpr0_vgpr1
                                        ; implicit-def: $vgpr2_vgpr3
	s_and_saveexec_b64 s[34:35], vcc
	s_cbranch_execz .LBB512_868
; %bb.786:
	v_mul_lo_u32 v0, v10, s13
	v_ashrrev_i32_e32 v1, 31, v0
	s_and_b32 s49, 0xffff, s48
	s_cmp_lt_i32 s49, 11
	v_lshl_add_u64 v[0:1], s[6:7], 0, v[0:1]
	s_cbranch_scc1 .LBB512_793
; %bb.787:
	s_cmp_gt_i32 s49, 25
	s_cbranch_scc0 .LBB512_794
; %bb.788:
	s_cmp_gt_i32 s49, 28
	s_cbranch_scc0 .LBB512_795
	;; [unrolled: 3-line block ×4, first 2 shown]
; %bb.791:
	s_cmp_eq_u32 s49, 46
	s_mov_b64 s[44:45], 0
	s_cbranch_scc0 .LBB512_802
; %bb.792:
	global_load_dword v2, v[0:1], off
	s_mov_b64 s[42:43], -1
	s_waitcnt vmcnt(0)
	v_lshlrev_b32_e32 v2, 16, v2
	v_cvt_f64_f32_e32 v[2:3], v2
	s_branch .LBB512_804
.LBB512_793:
	s_mov_b64 s[44:45], -1
                                        ; implicit-def: $vgpr2_vgpr3
	s_mov_b64 s[38:39], s[0:1]
	s_branch .LBB512_867
.LBB512_794:
	s_mov_b64 s[44:45], -1
	s_mov_b64 s[38:39], s[0:1]
                                        ; implicit-def: $vgpr2_vgpr3
	s_branch .LBB512_835
.LBB512_795:
	s_mov_b64 s[44:45], -1
	s_mov_b64 s[38:39], s[0:1]
                                        ; implicit-def: $vgpr2_vgpr3
	s_branch .LBB512_814
.LBB512_796:
	s_mov_b64 s[44:45], -1
	s_mov_b64 s[38:39], s[0:1]
                                        ; implicit-def: $vgpr2_vgpr3
	s_branch .LBB512_809
.LBB512_797:
	s_andn2_saveexec_b64 s[40:41], s[40:41]
	s_cbranch_execz .LBB512_693
.LBB512_798:
	s_mov_b32 s45, 0x46000000
	v_add_f32_e64 v3, |v2|, s45
	v_and_b32_e32 v3, 0xff, v3
	v_cmp_ne_u32_e32 vcc, 0, v3
	s_andn2_b64 s[38:39], s[38:39], exec
	s_and_b64 s[46:47], vcc, exec
	s_or_b64 s[38:39], s[38:39], s[46:47]
	s_or_b64 exec, exec, s[40:41]
	v_mov_b32_e32 v6, 0
	s_and_saveexec_b64 s[40:41], s[38:39]
	s_cbranch_execnz .LBB512_694
	s_branch .LBB512_695
.LBB512_799:
	s_mov_b64 s[44:45], -1
	s_mov_b64 s[38:39], s[0:1]
	s_branch .LBB512_803
.LBB512_800:
	s_andn2_saveexec_b64 s[40:41], s[40:41]
	s_cbranch_execz .LBB512_706
.LBB512_801:
	s_mov_b32 s45, 0x42800000
	v_add_f32_e64 v3, |v2|, s45
	v_and_b32_e32 v3, 0xff, v3
	v_cmp_ne_u32_e32 vcc, 0, v3
	s_andn2_b64 s[38:39], s[38:39], exec
	s_and_b64 s[46:47], vcc, exec
	s_or_b64 s[38:39], s[38:39], s[46:47]
	s_or_b64 exec, exec, s[40:41]
	v_mov_b32_e32 v6, 0
	s_and_saveexec_b64 s[40:41], s[38:39]
	s_cbranch_execnz .LBB512_707
	s_branch .LBB512_708
.LBB512_802:
	s_mov_b64 s[38:39], -1
.LBB512_803:
                                        ; implicit-def: $vgpr2_vgpr3
.LBB512_804:
	s_and_b64 vcc, exec, s[44:45]
	s_cbranch_vccz .LBB512_808
; %bb.805:
	s_cmp_eq_u32 s49, 44
	s_cbranch_scc0 .LBB512_807
; %bb.806:
	global_load_ubyte v4, v[0:1], off
	s_movk_i32 s42, 0xff
	v_bfrev_b32_e32 v5, 4
	v_mov_b32_e32 v6, 0x7ff80000
	v_bfrev_b32_e32 v7, 28
	s_mov_b64 s[38:39], 0
	s_waitcnt vmcnt(0)
	v_lshlrev_b32_e32 v2, 23, v4
	v_cvt_f64_f32_e32 v[2:3], v2
	v_cmp_ne_u32_e32 vcc, s42, v4
	s_mov_b64 s[42:43], -1
	s_nop 0
	v_cndmask_b32_e32 v2, v5, v2, vcc
	v_cndmask_b32_e32 v3, v6, v3, vcc
	v_cmp_ne_u32_e32 vcc, 0, v4
	s_nop 1
	v_cndmask_b32_e32 v3, v7, v3, vcc
	v_cndmask_b32_e32 v2, 0, v2, vcc
	s_branch .LBB512_808
.LBB512_807:
	s_mov_b64 s[38:39], -1
                                        ; implicit-def: $vgpr2_vgpr3
.LBB512_808:
	s_mov_b64 s[44:45], 0
.LBB512_809:
	s_and_b64 vcc, exec, s[44:45]
	s_cbranch_vccz .LBB512_813
; %bb.810:
	s_cmp_eq_u32 s49, 29
	s_cbranch_scc0 .LBB512_812
; %bb.811:
	global_load_dwordx2 v[2:3], v[0:1], off
	s_mov_b64 s[38:39], 0
	s_mov_b64 s[42:43], -1
	s_mov_b64 s[44:45], 0
	s_waitcnt vmcnt(0)
	v_cvt_f64_u32_e32 v[4:5], v3
	v_cvt_f64_u32_e32 v[2:3], v2
	v_ldexp_f64 v[4:5], v[4:5], 32
	v_add_f64 v[2:3], v[4:5], v[2:3]
	s_branch .LBB512_814
.LBB512_812:
	s_mov_b64 s[38:39], -1
                                        ; implicit-def: $vgpr2_vgpr3
.LBB512_813:
	s_mov_b64 s[44:45], 0
.LBB512_814:
	s_and_b64 vcc, exec, s[44:45]
	s_cbranch_vccz .LBB512_834
; %bb.815:
	s_cmp_lt_i32 s49, 27
	s_cbranch_scc1 .LBB512_818
; %bb.816:
	s_cmp_gt_i32 s49, 27
	s_cbranch_scc0 .LBB512_819
; %bb.817:
	global_load_dword v2, v[0:1], off
	s_mov_b64 s[42:43], 0
	s_waitcnt vmcnt(0)
	v_cvt_f64_u32_e32 v[2:3], v2
	s_branch .LBB512_820
.LBB512_818:
	s_mov_b64 s[42:43], -1
                                        ; implicit-def: $vgpr2_vgpr3
	s_branch .LBB512_823
.LBB512_819:
	s_mov_b64 s[42:43], -1
                                        ; implicit-def: $vgpr2_vgpr3
.LBB512_820:
	s_andn2_b64 vcc, exec, s[42:43]
	s_cbranch_vccnz .LBB512_822
; %bb.821:
	global_load_ushort v2, v[0:1], off
	s_waitcnt vmcnt(0)
	v_cvt_f64_u32_e32 v[2:3], v2
.LBB512_822:
	s_mov_b64 s[42:43], 0
.LBB512_823:
	s_andn2_b64 vcc, exec, s[42:43]
	s_cbranch_vccnz .LBB512_833
; %bb.824:
	global_load_ubyte v4, v[0:1], off
	s_movk_i32 s42, 0x7f
	s_waitcnt vmcnt(0)
	v_cmp_lt_i16_e32 vcc, s42, v4
	s_mov_b64 s[42:43], 0
	s_and_saveexec_b64 s[44:45], vcc
	s_xor_b64 s[44:45], exec, s[44:45]
	s_cbranch_execz .LBB512_828
; %bb.825:
	s_movk_i32 s42, 0x80
	v_cmp_eq_u16_e32 vcc, s42, v4
	s_mov_b64 s[42:43], -1
	s_and_saveexec_b64 s[46:47], vcc
; %bb.826:
	s_xor_b64 s[42:43], exec, -1
; %bb.827:
	s_or_b64 exec, exec, s[46:47]
	s_and_b64 s[42:43], s[42:43], exec
.LBB512_828:
	s_or_saveexec_b64 s[44:45], s[44:45]
	v_bfrev_b32_e32 v2, 4
	v_mov_b32_e32 v3, 0x7ff80000
	s_xor_b64 exec, exec, s[44:45]
; %bb.829:
	v_cmp_ne_u16_e32 vcc, 0, v4
	s_andn2_b64 s[42:43], s[42:43], exec
	s_and_b64 s[46:47], vcc, exec
	v_mov_b64_e32 v[2:3], 0
	s_or_b64 s[42:43], s[42:43], s[46:47]
; %bb.830:
	s_or_b64 exec, exec, s[44:45]
	s_and_saveexec_b64 s[44:45], s[42:43]
	s_cbranch_execz .LBB512_832
; %bb.831:
	v_and_b32_e32 v3, 0xffff, v4
	v_lshlrev_b32_e32 v2, 24, v4
	v_and_b32_e32 v4, 7, v3
	v_ffbh_u32_e32 v6, v4
	v_min_u32_e32 v6, 32, v6
	v_subrev_u32_e32 v7, 28, v6
	v_bfe_u32 v5, v3, 3, 4
	v_lshlrev_b32_e32 v3, v7, v3
	v_sub_u32_e32 v6, 29, v6
	v_and_b32_e32 v3, 7, v3
	v_cmp_eq_u32_e32 vcc, 0, v5
	v_and_b32_e32 v2, 0x80000000, v2
	s_nop 0
	v_cndmask_b32_e32 v5, v5, v6, vcc
	v_cndmask_b32_e32 v3, v4, v3, vcc
	v_mov_b32_e32 v4, 0x3b800000
	v_lshlrev_b32_e32 v3, 20, v3
	v_lshl_add_u32 v4, v5, 23, v4
	v_or3_b32 v2, v2, v4, v3
	v_cvt_f64_f32_e32 v[2:3], v2
.LBB512_832:
	s_or_b64 exec, exec, s[44:45]
.LBB512_833:
	s_mov_b64 s[42:43], -1
.LBB512_834:
	s_mov_b64 s[44:45], 0
.LBB512_835:
	s_and_b64 vcc, exec, s[44:45]
	s_cbranch_vccz .LBB512_866
; %bb.836:
	s_cmp_gt_i32 s49, 22
	s_cbranch_scc0 .LBB512_848
; %bb.837:
	s_cmp_lt_i32 s49, 24
	s_cbranch_scc1 .LBB512_849
; %bb.838:
	s_cmp_gt_i32 s49, 24
	s_cbranch_scc0 .LBB512_850
; %bb.839:
	global_load_ubyte v4, v[0:1], off
	s_movk_i32 s40, 0x7f
	s_waitcnt vmcnt(0)
	v_cmp_lt_i16_e32 vcc, s40, v4
	s_mov_b64 s[40:41], 0
	s_and_saveexec_b64 s[42:43], vcc
	s_xor_b64 s[42:43], exec, s[42:43]
	s_cbranch_execz .LBB512_843
; %bb.840:
	s_movk_i32 s40, 0x80
	v_cmp_eq_u16_e32 vcc, s40, v4
	s_mov_b64 s[40:41], -1
	s_and_saveexec_b64 s[44:45], vcc
; %bb.841:
	s_xor_b64 s[40:41], exec, -1
; %bb.842:
	s_or_b64 exec, exec, s[44:45]
	s_and_b64 s[40:41], s[40:41], exec
.LBB512_843:
	s_or_saveexec_b64 s[42:43], s[42:43]
	v_bfrev_b32_e32 v2, 4
	v_mov_b32_e32 v3, 0x7ff80000
	s_xor_b64 exec, exec, s[42:43]
; %bb.844:
	v_cmp_ne_u16_e32 vcc, 0, v4
	s_andn2_b64 s[40:41], s[40:41], exec
	s_and_b64 s[44:45], vcc, exec
	v_mov_b64_e32 v[2:3], 0
	s_or_b64 s[40:41], s[40:41], s[44:45]
; %bb.845:
	s_or_b64 exec, exec, s[42:43]
	s_and_saveexec_b64 s[42:43], s[40:41]
	s_cbranch_execz .LBB512_847
; %bb.846:
	v_and_b32_e32 v3, 0xffff, v4
	v_lshlrev_b32_e32 v2, 24, v4
	v_and_b32_e32 v4, 3, v3
	v_ffbh_u32_e32 v6, v4
	v_min_u32_e32 v6, 32, v6
	v_subrev_u32_e32 v7, 29, v6
	v_bfe_u32 v5, v3, 2, 5
	v_lshlrev_b32_e32 v3, v7, v3
	v_sub_u32_e32 v6, 30, v6
	v_and_b32_e32 v3, 3, v3
	v_cmp_eq_u32_e32 vcc, 0, v5
	v_and_b32_e32 v2, 0x80000000, v2
	s_nop 0
	v_cndmask_b32_e32 v5, v5, v6, vcc
	v_cndmask_b32_e32 v3, v4, v3, vcc
	v_mov_b32_e32 v4, 0x37800000
	v_lshlrev_b32_e32 v3, 21, v3
	v_lshl_add_u32 v4, v5, 23, v4
	v_or3_b32 v2, v2, v4, v3
	v_cvt_f64_f32_e32 v[2:3], v2
.LBB512_847:
	s_or_b64 exec, exec, s[42:43]
	s_mov_b64 s[40:41], 0
	s_branch .LBB512_851
.LBB512_848:
	s_mov_b64 s[40:41], -1
                                        ; implicit-def: $vgpr2_vgpr3
	s_branch .LBB512_857
.LBB512_849:
	s_mov_b64 s[40:41], -1
                                        ; implicit-def: $vgpr2_vgpr3
	s_branch .LBB512_854
.LBB512_850:
	s_mov_b64 s[40:41], -1
                                        ; implicit-def: $vgpr2_vgpr3
.LBB512_851:
	s_and_b64 vcc, exec, s[40:41]
	s_cbranch_vccz .LBB512_853
; %bb.852:
	global_load_ubyte v2, v[0:1], off
	s_mov_b32 s40, 0x7f800000
	s_waitcnt vmcnt(0)
	v_lshlrev_b32_e32 v2, 24, v2
	v_and_b32_e32 v3, 0x7f000000, v2
	v_ffbh_u32_e32 v4, v3
	v_min_u32_e32 v4, 32, v4
	v_sub_u32_e64 v4, v4, 4 clamp
	v_lshlrev_b32_e32 v6, v4, v3
	v_lshlrev_b32_e32 v4, 23, v4
	v_lshrrev_b32_e32 v6, 4, v6
	v_add_u32_e32 v5, 0x1000000, v3
	v_sub_u32_e32 v4, v6, v4
	v_ashrrev_i32_e32 v5, 8, v5
	v_add_u32_e32 v4, 0x3c000000, v4
	v_and_or_b32 v4, v5, s40, v4
	v_cmp_ne_u32_e32 vcc, 0, v3
	s_brev_b32 s40, 1
	s_nop 0
	v_cndmask_b32_e32 v3, 0, v4, vcc
	v_and_or_b32 v2, v2, s40, v3
	v_cvt_f64_f32_e32 v[2:3], v2
.LBB512_853:
	s_mov_b64 s[40:41], 0
.LBB512_854:
	s_andn2_b64 vcc, exec, s[40:41]
	s_cbranch_vccnz .LBB512_856
; %bb.855:
	global_load_ubyte v2, v[0:1], off
	s_movk_i32 s40, 0x7f00
	s_brev_b32 s41, 16
	s_waitcnt vmcnt(0)
	v_lshlrev_b16_e32 v3, 8, v2
	v_lshlrev_b32_e32 v2, 25, v2
	v_lshrrev_b32_e32 v4, 4, v2
	v_and_or_b32 v5, v3, s40, 0.5
	v_or_b32_e32 v4, 0x70000000, v4
	v_add_f32_e32 v5, -0.5, v5
	v_mul_f32_e32 v4, 0x7800000, v4
	v_cmp_gt_u32_e32 vcc, s41, v2
	v_bfe_i32 v3, v3, 0, 16
	s_brev_b32 s40, 1
	v_cndmask_b32_e32 v2, v4, v5, vcc
	v_and_or_b32 v2, v3, s40, v2
	v_cvt_f64_f32_e32 v[2:3], v2
.LBB512_856:
	s_mov_b64 s[40:41], 0
	s_mov_b64 s[42:43], -1
.LBB512_857:
	s_andn2_b64 vcc, exec, s[40:41]
	s_mov_b64 s[40:41], 0
	s_cbranch_vccnz .LBB512_866
; %bb.858:
	s_cmp_gt_i32 s49, 14
	s_cbranch_scc0 .LBB512_861
; %bb.859:
	s_cmp_eq_u32 s49, 15
	s_cbranch_scc0 .LBB512_862
; %bb.860:
	global_load_ushort v2, v[0:1], off
	s_mov_b64 s[38:39], 0
	s_mov_b64 s[42:43], -1
	s_waitcnt vmcnt(0)
	v_lshlrev_b32_e32 v2, 16, v2
	v_cvt_f64_f32_e32 v[2:3], v2
	s_branch .LBB512_863
.LBB512_861:
	s_mov_b64 s[44:45], -1
                                        ; implicit-def: $vgpr2_vgpr3
	s_branch .LBB512_864
.LBB512_862:
	s_mov_b64 s[38:39], -1
                                        ; implicit-def: $vgpr2_vgpr3
.LBB512_863:
	s_mov_b64 s[44:45], 0
.LBB512_864:
	s_and_b64 vcc, exec, s[44:45]
	s_cbranch_vccz .LBB512_866
; %bb.865:
	s_cmp_lg_u32 s49, 11
	s_cselect_b64 s[44:45], -1, 0
	s_andn2_b64 s[38:39], s[38:39], exec
	s_and_b64 s[44:45], s[44:45], exec
	s_mov_b64 s[40:41], -1
	s_or_b64 s[38:39], s[38:39], s[44:45]
.LBB512_866:
	s_mov_b64 s[44:45], 0
.LBB512_867:
	s_and_b64 s[46:47], s[44:45], exec
	s_andn2_b64 s[44:45], s[0:1], exec
	s_and_b64 s[38:39], s[38:39], exec
	s_and_b64 s[42:43], s[42:43], exec
	;; [unrolled: 1-line block ×3, first 2 shown]
	s_or_b64 s[44:45], s[44:45], s[38:39]
.LBB512_868:
	s_or_b64 exec, exec, s[34:35]
	s_and_b64 s[38:39], s[40:41], exec
	s_andn2_b64 s[0:1], s[0:1], exec
	s_and_b64 s[40:41], s[44:45], exec
	s_and_b64 s[42:43], s[42:43], exec
	;; [unrolled: 1-line block ×3, first 2 shown]
	s_or_b64 s[0:1], s[0:1], s[40:41]
.LBB512_869:
	s_or_b64 exec, exec, s[30:31]
	s_andn2_b64 s[26:27], s[26:27], exec
	s_and_b64 s[30:31], s[36:37], exec
	s_andn2_b64 s[24:25], s[24:25], exec
	s_and_b64 s[0:1], s[0:1], exec
	s_or_b64 s[26:27], s[26:27], s[30:31]
	s_and_b64 s[36:37], s[42:43], exec
	s_and_b64 s[34:35], s[34:35], exec
	;; [unrolled: 1-line block ×3, first 2 shown]
	s_or_b64 s[24:25], s[24:25], s[0:1]
.LBB512_870:
	s_or_b64 exec, exec, s[28:29]
	s_andn2_b64 s[0:1], s[18:19], exec
	s_and_b64 s[18:19], s[26:27], exec
	s_andn2_b64 s[20:21], s[20:21], exec
	s_and_b64 s[24:25], s[24:25], exec
	s_or_b64 s[18:19], s[0:1], s[18:19]
	s_and_b64 s[0:1], s[36:37], exec
	s_and_b64 s[28:29], s[34:35], exec
	;; [unrolled: 1-line block ×3, first 2 shown]
	s_or_b64 s[20:21], s[20:21], s[24:25]
	s_or_b64 exec, exec, s[22:23]
	s_mov_b64 s[22:23], 0
	s_and_saveexec_b64 s[24:25], s[20:21]
	s_cbranch_execz .LBB512_266
.LBB512_871:
	s_mov_b64 s[22:23], exec
	s_andn2_b64 s[26:27], s[26:27], exec
	s_trap 2
	s_or_b64 exec, exec, s[24:25]
	s_and_saveexec_b64 s[20:21], s[26:27]
	s_xor_b64 s[20:21], exec, s[20:21]
	s_cbranch_execnz .LBB512_267
.LBB512_872:
	s_or_b64 exec, exec, s[20:21]
	s_and_saveexec_b64 s[20:21], s[28:29]
	s_cbranch_execz .LBB512_918
.LBB512_873:
	s_sext_i32_i16 s24, s48
	s_cmp_lt_i32 s24, 5
	s_cbranch_scc1 .LBB512_878
; %bb.874:
	s_cmp_lt_i32 s24, 8
	s_cbranch_scc1 .LBB512_879
; %bb.875:
	;; [unrolled: 3-line block ×3, first 2 shown]
	s_cmp_gt_i32 s24, 9
	s_cbranch_scc0 .LBB512_881
; %bb.877:
	global_load_dwordx2 v[2:3], v[0:1], off
	s_mov_b64 s[24:25], 0
	s_branch .LBB512_882
.LBB512_878:
                                        ; implicit-def: $vgpr2_vgpr3
	s_branch .LBB512_899
.LBB512_879:
                                        ; implicit-def: $vgpr2_vgpr3
	s_branch .LBB512_888
.LBB512_880:
	s_mov_b64 s[24:25], -1
                                        ; implicit-def: $vgpr2_vgpr3
	s_branch .LBB512_885
.LBB512_881:
	s_mov_b64 s[24:25], -1
                                        ; implicit-def: $vgpr2_vgpr3
.LBB512_882:
	s_andn2_b64 vcc, exec, s[24:25]
	s_cbranch_vccnz .LBB512_884
; %bb.883:
	global_load_dword v2, v[0:1], off
	s_waitcnt vmcnt(0)
	v_cvt_f64_f32_e32 v[2:3], v2
.LBB512_884:
	s_mov_b64 s[24:25], 0
.LBB512_885:
	s_andn2_b64 vcc, exec, s[24:25]
	s_cbranch_vccnz .LBB512_887
; %bb.886:
	global_load_dword v2, v[0:1], off
	s_waitcnt vmcnt(0)
	v_cvt_f32_f16_e32 v2, v2
	v_cvt_f64_f32_e32 v[2:3], v2
.LBB512_887:
	s_cbranch_execnz .LBB512_898
.LBB512_888:
	s_sext_i32_i16 s24, s48
	s_cmp_lt_i32 s24, 6
	s_cbranch_scc1 .LBB512_891
; %bb.889:
	s_cmp_gt_i32 s24, 6
	s_cbranch_scc0 .LBB512_892
; %bb.890:
	global_load_dwordx2 v[2:3], v[0:1], off
	s_mov_b64 s[24:25], 0
	s_branch .LBB512_893
.LBB512_891:
	s_mov_b64 s[24:25], -1
                                        ; implicit-def: $vgpr2_vgpr3
	s_branch .LBB512_896
.LBB512_892:
	s_mov_b64 s[24:25], -1
                                        ; implicit-def: $vgpr2_vgpr3
.LBB512_893:
	s_andn2_b64 vcc, exec, s[24:25]
	s_cbranch_vccnz .LBB512_895
; %bb.894:
	global_load_dword v2, v[0:1], off
	s_waitcnt vmcnt(0)
	v_cvt_f64_f32_e32 v[2:3], v2
.LBB512_895:
	s_mov_b64 s[24:25], 0
.LBB512_896:
	s_andn2_b64 vcc, exec, s[24:25]
	s_cbranch_vccnz .LBB512_898
; %bb.897:
	global_load_ushort v2, v[0:1], off
	s_waitcnt vmcnt(0)
	v_cvt_f32_f16_e32 v2, v2
	v_cvt_f64_f32_e32 v[2:3], v2
.LBB512_898:
	s_cbranch_execnz .LBB512_917
.LBB512_899:
	s_sext_i32_i16 s24, s48
	s_cmp_lt_i32 s24, 2
	s_cbranch_scc1 .LBB512_903
; %bb.900:
	s_cmp_lt_i32 s24, 3
	s_cbranch_scc1 .LBB512_904
; %bb.901:
	s_cmp_gt_i32 s24, 3
	s_cbranch_scc0 .LBB512_905
; %bb.902:
	global_load_dwordx2 v[2:3], v[0:1], off
	s_mov_b64 s[24:25], 0
	s_waitcnt vmcnt(0)
	v_cvt_f64_i32_e32 v[4:5], v3
	v_cvt_f64_u32_e32 v[2:3], v2
	v_ldexp_f64 v[4:5], v[4:5], 32
	v_add_f64 v[2:3], v[4:5], v[2:3]
	s_branch .LBB512_906
.LBB512_903:
                                        ; implicit-def: $vgpr2_vgpr3
	s_branch .LBB512_912
.LBB512_904:
	s_mov_b64 s[24:25], -1
                                        ; implicit-def: $vgpr2_vgpr3
	s_branch .LBB512_909
.LBB512_905:
	s_mov_b64 s[24:25], -1
                                        ; implicit-def: $vgpr2_vgpr3
.LBB512_906:
	s_andn2_b64 vcc, exec, s[24:25]
	s_cbranch_vccnz .LBB512_908
; %bb.907:
	global_load_dword v2, v[0:1], off
	s_waitcnt vmcnt(0)
	v_cvt_f64_i32_e32 v[2:3], v2
.LBB512_908:
	s_mov_b64 s[24:25], 0
.LBB512_909:
	s_andn2_b64 vcc, exec, s[24:25]
	s_cbranch_vccnz .LBB512_911
; %bb.910:
	global_load_sshort v2, v[0:1], off
	s_waitcnt vmcnt(0)
	v_cvt_f64_i32_e32 v[2:3], v2
.LBB512_911:
	s_cbranch_execnz .LBB512_917
.LBB512_912:
	s_sext_i32_i16 s24, s48
	s_cmp_gt_i32 s24, 0
	s_cbranch_scc0 .LBB512_914
; %bb.913:
	global_load_sbyte v2, v[0:1], off
	s_mov_b64 s[24:25], 0
	s_waitcnt vmcnt(0)
	v_cvt_f64_i32_e32 v[2:3], v2
	s_branch .LBB512_915
.LBB512_914:
	s_mov_b64 s[24:25], -1
                                        ; implicit-def: $vgpr2_vgpr3
.LBB512_915:
	s_andn2_b64 vcc, exec, s[24:25]
	s_cbranch_vccnz .LBB512_917
; %bb.916:
	global_load_ubyte v0, v[0:1], off
	s_waitcnt vmcnt(0)
	v_cvt_f64_u32_e32 v[2:3], v0
.LBB512_917:
	s_or_b64 s[0:1], s[0:1], exec
.LBB512_918:
	s_or_b64 exec, exec, s[20:21]
	s_mov_b64 s[26:27], 0
	s_mov_b64 s[24:25], 0
                                        ; implicit-def: $sgpr34
                                        ; implicit-def: $vgpr4_vgpr5
                                        ; implicit-def: $vgpr0_vgpr1
	s_and_saveexec_b64 s[20:21], s[0:1]
	s_cbranch_execz .LBB512_997
; %bb.919:
	s_waitcnt vmcnt(0)
	v_cmp_o_f64_e32 vcc, v[2:3], v[2:3]
	v_mov_b64_e32 v[0:1], s[8:9]
	s_and_saveexec_b64 s[0:1], vcc
	s_cbranch_execz .LBB512_923
; %bb.920:
	s_mov_b32 s24, 0
	s_mov_b32 s25, 0x7ff00000
	v_cmp_neq_f64_e32 vcc, s[24:25], v[2:3]
	v_mov_b64_e32 v[0:1], s[10:11]
	s_and_saveexec_b64 s[24:25], vcc
; %bb.921:
	s_mov_b32 s26, 0
	s_mov_b32 s27, 0xfff00000
	v_mov_b32_e32 v0, s15
	v_cmp_eq_f64_e32 vcc, s[26:27], v[2:3]
	s_nop 1
	v_cndmask_b32_e32 v1, v3, v0, vcc
	v_mov_b32_e32 v0, s14
	v_cndmask_b32_e32 v0, v2, v0, vcc
; %bb.922:
	s_or_b64 exec, exec, s[24:25]
.LBB512_923:
	s_or_b64 exec, exec, s[0:1]
	v_mul_lo_u32 v2, v10, s12
	v_ashrrev_i32_e32 v3, 31, v2
	s_and_b32 s34, s33, 0xff
	s_cmp_lt_i32 s34, 11
	v_lshl_add_u64 v[4:5], s[4:5], 0, v[2:3]
	s_cbranch_scc1 .LBB512_1000
; %bb.924:
	s_and_b32 s35, 0xffff, s34
	s_mov_b64 s[26:27], -1
	s_cmp_gt_i32 s35, 25
	s_mov_b64 s[0:1], s[18:19]
	s_cbranch_scc0 .LBB512_957
; %bb.925:
	s_mov_b64 s[24:25], -1
	s_cmp_gt_i32 s35, 28
	s_mov_b64 s[0:1], s[18:19]
	s_cbranch_scc0 .LBB512_941
; %bb.926:
	s_cmp_gt_i32 s35, 43
	s_mov_b64 s[0:1], s[18:19]
	s_cbranch_scc0 .LBB512_937
; %bb.927:
	;; [unrolled: 4-line block ×3, first 2 shown]
	s_cmp_eq_u32 s35, 46
	s_mov_b64 s[0:1], -1
	s_cbranch_scc0 .LBB512_930
; %bb.929:
	v_cvt_f32_f64_e32 v2, v[0:1]
	v_bfe_u32 v3, v2, 16, 1
	s_movk_i32 s0, 0x7fff
	v_add3_u32 v3, v2, v3, s0
	v_cmp_o_f32_e32 vcc, v2, v2
	v_mov_b32_e32 v2, 0x7fc0
	s_mov_b64 s[0:1], 0
	v_cndmask_b32_sdwa v2, v2, v3, vcc dst_sel:DWORD dst_unused:UNUSED_PAD src0_sel:DWORD src1_sel:WORD_1
	global_store_dword v[4:5], v2, off
.LBB512_930:
	s_mov_b64 s[24:25], 0
.LBB512_931:
	s_and_b64 vcc, exec, s[24:25]
	s_cbranch_vccz .LBB512_936
; %bb.932:
	s_cmp_eq_u32 s35, 44
	s_mov_b64 s[0:1], -1
	s_cbranch_scc0 .LBB512_936
; %bb.933:
	v_cvt_f32_f64_e32 v2, v[0:1]
	v_bfe_u32 v3, v2, 23, 8
	s_movk_i32 s0, 0xff
	v_cmp_ne_u32_e32 vcc, s0, v3
	v_mov_b32_e32 v6, 0xff
	s_and_saveexec_b64 s[24:25], vcc
; %bb.934:
	s_mov_b32 s0, 0x3fffff
	v_lshrrev_b32_e32 v6, 23, v2
	v_and_b32_e32 v7, 0x400000, v2
	v_and_or_b32 v2, v2, s0, v3
	v_cmp_ne_u32_e32 vcc, 0, v7
	v_cmp_ne_u32_e64 s[0:1], 0, v2
	s_and_b64 s[0:1], vcc, s[0:1]
	s_nop 0
	v_cndmask_b32_e64 v2, 0, 1, s[0:1]
	v_add_u32_e32 v6, v6, v2
; %bb.935:
	s_or_b64 exec, exec, s[24:25]
	s_mov_b64 s[0:1], 0
	global_store_byte v[4:5], v6, off
.LBB512_936:
	s_mov_b64 s[24:25], 0
.LBB512_937:
	s_and_b64 vcc, exec, s[24:25]
	s_cbranch_vccz .LBB512_940
; %bb.938:
	s_cmp_eq_u32 s35, 29
	s_mov_b64 s[0:1], -1
	s_cbranch_scc0 .LBB512_940
; %bb.939:
	v_trunc_f64_e32 v[2:3], v[0:1]
	s_movk_i32 s0, 0xffe0
	v_ldexp_f64 v[6:7], v[2:3], s0
	v_floor_f64_e32 v[6:7], v[6:7]
	v_fmac_f64_e32 v[2:3], 0xc1f00000, v[6:7]
	v_cvt_u32_f64_e32 v9, v[6:7]
	v_cvt_u32_f64_e32 v8, v[2:3]
	global_store_dwordx2 v[4:5], v[8:9], off
	s_mov_b64 s[0:1], 0
.LBB512_940:
	s_mov_b64 s[24:25], 0
.LBB512_941:
	s_and_b64 vcc, exec, s[24:25]
	s_cbranch_vccz .LBB512_956
; %bb.942:
	s_cmp_lt_i32 s35, 27
	s_mov_b64 s[24:25], -1
	s_cbranch_scc1 .LBB512_948
; %bb.943:
	s_cmp_gt_i32 s35, 27
	v_cvt_u32_f64_e32 v2, v[0:1]
	s_cbranch_scc0 .LBB512_945
; %bb.944:
	s_mov_b64 s[24:25], 0
	global_store_dword v[4:5], v2, off
.LBB512_945:
	s_andn2_b64 vcc, exec, s[24:25]
	s_cbranch_vccnz .LBB512_947
; %bb.946:
	global_store_short v[4:5], v2, off
.LBB512_947:
	s_mov_b64 s[24:25], 0
.LBB512_948:
	s_andn2_b64 vcc, exec, s[24:25]
	s_cbranch_vccnz .LBB512_956
; %bb.949:
	v_cvt_f32_f64_e32 v2, v[0:1]
	v_and_b32_e32 v3, 0x7fffffff, v2
	s_mov_b32 s24, 0x43800000
	v_cmp_gt_u32_e32 vcc, s24, v3
	v_mov_b32_e32 v6, 0x80
	s_and_saveexec_b64 s[24:25], vcc
	s_cbranch_execz .LBB512_955
; %bb.950:
	s_mov_b32 s26, 0x3bffffff
	v_cmp_lt_u32_e32 vcc, s26, v3
	s_mov_b64 s[26:27], 0
                                        ; implicit-def: $vgpr3
	s_and_saveexec_b64 s[28:29], vcc
	s_xor_b64 s[28:29], exec, s[28:29]
	s_cbranch_execz .LBB512_1057
; %bb.951:
	v_bfe_u32 v3, v2, 20, 1
	s_mov_b32 s30, 0x487ffff
	v_add3_u32 v3, v2, v3, s30
	s_mov_b64 s[26:27], exec
	v_lshrrev_b32_e32 v3, 20, v3
	s_andn2_saveexec_b64 s[28:29], s[28:29]
	s_cbranch_execnz .LBB512_1058
.LBB512_952:
	s_or_b64 exec, exec, s[28:29]
	v_mov_b32_e32 v6, 0
	s_and_saveexec_b64 s[28:29], s[26:27]
.LBB512_953:
	v_lshrrev_b32_e32 v2, 24, v2
	s_movk_i32 s26, 0x80
	v_and_or_b32 v6, v2, s26, v3
.LBB512_954:
	s_or_b64 exec, exec, s[28:29]
.LBB512_955:
	s_or_b64 exec, exec, s[24:25]
	global_store_byte v[4:5], v6, off
.LBB512_956:
	s_mov_b64 s[26:27], 0
.LBB512_957:
	s_mov_b64 s[24:25], 0
	s_and_b64 vcc, exec, s[26:27]
	s_cbranch_vccz .LBB512_1001
; %bb.958:
	s_cmp_gt_i32 s35, 22
	s_mov_b64 s[26:27], -1
	s_cbranch_scc0 .LBB512_990
; %bb.959:
	s_cmp_lt_i32 s35, 24
	s_cbranch_scc1 .LBB512_979
; %bb.960:
	s_cmp_gt_i32 s35, 24
	s_cbranch_scc0 .LBB512_968
; %bb.961:
	v_cvt_f32_f64_e32 v2, v[0:1]
	v_and_b32_e32 v3, 0x7fffffff, v2
	s_mov_b32 s26, 0x47800000
	v_cmp_gt_u32_e32 vcc, s26, v3
	v_mov_b32_e32 v6, 0x80
	s_and_saveexec_b64 s[26:27], vcc
	s_cbranch_execz .LBB512_967
; %bb.962:
	s_mov_b32 s28, 0x37ffffff
	v_cmp_lt_u32_e32 vcc, s28, v3
	s_mov_b64 s[28:29], 0
                                        ; implicit-def: $vgpr3
	s_and_saveexec_b64 s[30:31], vcc
	s_xor_b64 s[30:31], exec, s[30:31]
	s_cbranch_execz .LBB512_1186
; %bb.963:
	v_bfe_u32 v3, v2, 21, 1
	s_mov_b32 s36, 0x88fffff
	v_add3_u32 v3, v2, v3, s36
	s_mov_b64 s[28:29], exec
	v_lshrrev_b32_e32 v3, 21, v3
	s_andn2_saveexec_b64 s[30:31], s[30:31]
	s_cbranch_execnz .LBB512_1187
.LBB512_964:
	s_or_b64 exec, exec, s[30:31]
	v_mov_b32_e32 v6, 0
	s_and_saveexec_b64 s[30:31], s[28:29]
.LBB512_965:
	v_lshrrev_b32_e32 v2, 24, v2
	s_movk_i32 s28, 0x80
	v_and_or_b32 v6, v2, s28, v3
.LBB512_966:
	s_or_b64 exec, exec, s[30:31]
.LBB512_967:
	s_or_b64 exec, exec, s[26:27]
	s_mov_b64 s[26:27], 0
	global_store_byte v[4:5], v6, off
.LBB512_968:
	s_and_b64 vcc, exec, s[26:27]
	s_cbranch_vccz .LBB512_978
; %bb.969:
	v_cvt_f32_f64_e32 v2, v[0:1]
	v_and_b32_e32 v6, 0x7fffffff, v2
	s_mov_b32 s26, 0x43f00000
	v_cmp_gt_u32_e32 vcc, s26, v6
                                        ; implicit-def: $vgpr3
	s_and_saveexec_b64 s[26:27], vcc
	s_xor_b64 s[26:27], exec, s[26:27]
	s_cbranch_execz .LBB512_975
; %bb.970:
	s_mov_b32 s28, 0x3c7fffff
	v_cmp_lt_u32_e32 vcc, s28, v6
                                        ; implicit-def: $vgpr3
	s_and_saveexec_b64 s[28:29], vcc
	s_xor_b64 s[28:29], exec, s[28:29]
; %bb.971:
	v_bfe_u32 v3, v2, 20, 1
	s_mov_b32 s30, 0x407ffff
	v_add3_u32 v3, v2, v3, s30
	v_lshrrev_b32_e32 v6, 20, v3
	v_and_b32_e32 v3, 0xff00000, v3
	s_mov_b32 s30, 0x7f00000
	v_mov_b32_e32 v7, 0x7e
	v_cmp_ne_u32_e32 vcc, s30, v3
	s_nop 1
	v_cndmask_b32_e32 v3, v7, v6, vcc
; %bb.972:
	s_andn2_saveexec_b64 s[28:29], s[28:29]
; %bb.973:
	s_mov_b32 s30, 0x46800000
	v_add_f32_e64 v3, |v2|, s30
; %bb.974:
	s_or_b64 exec, exec, s[28:29]
                                        ; implicit-def: $vgpr6
.LBB512_975:
	s_andn2_saveexec_b64 s[26:27], s[26:27]
; %bb.976:
	s_mov_b32 s28, 0x7f800000
	v_mov_b32_e32 v3, 0x7e
	v_mov_b32_e32 v7, 0x7f
	v_cmp_lt_u32_e32 vcc, s28, v6
	s_nop 1
	v_cndmask_b32_e32 v3, v3, v7, vcc
; %bb.977:
	s_or_b64 exec, exec, s[26:27]
	v_lshrrev_b32_e32 v2, 24, v2
	s_movk_i32 s26, 0x80
	v_and_or_b32 v2, v2, s26, v3
	global_store_byte v[4:5], v2, off
.LBB512_978:
	s_mov_b64 s[26:27], 0
.LBB512_979:
	s_andn2_b64 vcc, exec, s[26:27]
	s_cbranch_vccnz .LBB512_989
; %bb.980:
	v_cvt_f32_f64_e32 v2, v[0:1]
	v_and_b32_e32 v6, 0x7fffffff, v2
	s_mov_b32 s26, 0x47800000
	v_cmp_gt_u32_e32 vcc, s26, v6
                                        ; implicit-def: $vgpr3
	s_and_saveexec_b64 s[26:27], vcc
	s_xor_b64 s[26:27], exec, s[26:27]
	s_cbranch_execz .LBB512_986
; %bb.981:
	s_mov_b32 s28, 0x387fffff
	v_cmp_lt_u32_e32 vcc, s28, v6
                                        ; implicit-def: $vgpr3
	s_and_saveexec_b64 s[28:29], vcc
	s_xor_b64 s[28:29], exec, s[28:29]
; %bb.982:
	v_bfe_u32 v3, v2, 21, 1
	s_mov_b32 s30, 0x80fffff
	v_add3_u32 v3, v2, v3, s30
	v_lshrrev_b32_e32 v3, 21, v3
; %bb.983:
	s_andn2_saveexec_b64 s[28:29], s[28:29]
; %bb.984:
	s_mov_b32 s30, 0x43000000
	v_add_f32_e64 v3, |v2|, s30
; %bb.985:
	s_or_b64 exec, exec, s[28:29]
                                        ; implicit-def: $vgpr6
.LBB512_986:
	s_andn2_saveexec_b64 s[26:27], s[26:27]
; %bb.987:
	s_mov_b32 s28, 0x7f800000
	v_mov_b32_e32 v3, 0x7c
	v_mov_b32_e32 v7, 0x7f
	v_cmp_lt_u32_e32 vcc, s28, v6
	s_nop 1
	v_cndmask_b32_e32 v3, v3, v7, vcc
; %bb.988:
	s_or_b64 exec, exec, s[26:27]
	v_lshrrev_b32_e32 v2, 24, v2
	s_movk_i32 s26, 0x80
	v_and_or_b32 v2, v2, s26, v3
	global_store_byte v[4:5], v2, off
.LBB512_989:
	s_mov_b64 s[26:27], 0
.LBB512_990:
	s_andn2_b64 vcc, exec, s[26:27]
	s_mov_b64 s[26:27], 0
	s_cbranch_vccnz .LBB512_1002
; %bb.991:
	s_cmp_gt_i32 s35, 14
	s_mov_b64 s[28:29], -1
	s_cbranch_scc0 .LBB512_995
; %bb.992:
	s_cmp_eq_u32 s35, 15
	s_mov_b64 s[0:1], -1
	s_cbranch_scc0 .LBB512_994
; %bb.993:
	v_cvt_f32_f64_e32 v2, v[0:1]
	v_bfe_u32 v3, v2, 16, 1
	s_movk_i32 s0, 0x7fff
	v_add3_u32 v3, v2, v3, s0
	v_cmp_o_f32_e32 vcc, v2, v2
	v_mov_b32_e32 v2, 0x7fc0
	s_mov_b64 s[0:1], 0
	v_cndmask_b32_sdwa v2, v2, v3, vcc dst_sel:DWORD dst_unused:UNUSED_PAD src0_sel:DWORD src1_sel:WORD_1
	global_store_short v[4:5], v2, off
.LBB512_994:
	s_mov_b64 s[28:29], 0
.LBB512_995:
	s_and_b64 vcc, exec, s[28:29]
	s_cbranch_vccz .LBB512_1002
; %bb.996:
	s_cmp_lg_u32 s35, 11
	s_cselect_b64 s[28:29], -1, 0
	s_andn2_b64 s[0:1], s[0:1], exec
	s_and_b64 s[28:29], s[28:29], exec
	s_mov_b64 s[26:27], -1
	s_or_b64 s[0:1], s[0:1], s[28:29]
	s_branch .LBB512_1002
.LBB512_997:
	s_or_b64 exec, exec, s[20:21]
	s_and_saveexec_b64 s[0:1], s[18:19]
	s_cbranch_execnz .LBB512_1003
.LBB512_998:
	s_or_b64 exec, exec, s[0:1]
	s_and_saveexec_b64 s[0:1], s[26:27]
	s_xor_b64 s[0:1], exec, s[0:1]
	s_cbranch_execz .LBB512_1004
.LBB512_999:
	v_cmp_neq_f64_e32 vcc, 0, v[0:1]
	s_waitcnt vmcnt(0)
	s_nop 0
	v_cndmask_b32_e64 v2, 0, 1, vcc
	global_store_byte v[4:5], v2, off
	s_or_b64 exec, exec, s[0:1]
	s_and_saveexec_b64 s[0:1], s[24:25]
	s_xor_b64 s[0:1], exec, s[0:1]
	s_cbranch_execz .LBB512_1042
	s_branch .LBB512_1005
.LBB512_1000:
	s_mov_b64 s[26:27], 0
	s_mov_b64 s[24:25], -1
	s_mov_b64 s[0:1], s[18:19]
	s_branch .LBB512_1002
.LBB512_1001:
	s_mov_b64 s[26:27], 0
.LBB512_1002:
	s_andn2_b64 s[18:19], s[18:19], exec
	s_and_b64 s[0:1], s[0:1], exec
	s_and_b64 s[24:25], s[24:25], exec
	;; [unrolled: 1-line block ×3, first 2 shown]
	s_or_b64 s[18:19], s[18:19], s[0:1]
	s_or_b64 exec, exec, s[20:21]
	s_and_saveexec_b64 s[0:1], s[18:19]
	s_cbranch_execz .LBB512_998
.LBB512_1003:
	s_or_b64 s[22:23], s[22:23], exec
	s_andn2_b64 s[26:27], s[26:27], exec
	s_trap 2
	s_or_b64 exec, exec, s[0:1]
	s_and_saveexec_b64 s[0:1], s[26:27]
	s_xor_b64 s[0:1], exec, s[0:1]
	s_cbranch_execnz .LBB512_999
.LBB512_1004:
	s_or_b64 exec, exec, s[0:1]
	s_and_saveexec_b64 s[0:1], s[24:25]
	s_xor_b64 s[0:1], exec, s[0:1]
	s_cbranch_execz .LBB512_1042
.LBB512_1005:
	s_sext_i32_i16 s20, s34
	s_cmp_lt_i32 s20, 5
	s_mov_b64 s[18:19], -1
	s_cbranch_scc1 .LBB512_1026
; %bb.1006:
	s_cmp_lt_i32 s20, 8
	s_cbranch_scc1 .LBB512_1016
; %bb.1007:
	s_cmp_lt_i32 s20, 9
	s_cbranch_scc1 .LBB512_1013
; %bb.1008:
	s_cmp_gt_i32 s20, 9
	s_cbranch_scc0 .LBB512_1010
; %bb.1009:
	s_waitcnt vmcnt(0)
	v_mov_b32_e32 v2, 0
	v_mov_b32_e32 v3, v2
	s_mov_b64 s[18:19], 0
	global_store_dwordx4 v[4:5], v[0:3], off
.LBB512_1010:
	s_andn2_b64 vcc, exec, s[18:19]
	s_cbranch_vccnz .LBB512_1012
; %bb.1011:
	s_waitcnt vmcnt(0)
	v_cvt_f32_f64_e32 v2, v[0:1]
	v_mov_b32_e32 v3, 0
	global_store_dwordx2 v[4:5], v[2:3], off
.LBB512_1012:
	s_mov_b64 s[18:19], 0
.LBB512_1013:
	s_andn2_b64 vcc, exec, s[18:19]
	s_cbranch_vccnz .LBB512_1015
; %bb.1014:
	s_movk_i32 s18, 0x1ff
	s_waitcnt vmcnt(0)
	v_and_or_b32 v2, v1, s18, v0
	v_cmp_ne_u32_e32 vcc, 0, v2
	v_lshrrev_b32_e32 v3, 8, v1
	s_movk_i32 s18, 0xffe
	v_cndmask_b32_e64 v2, 0, 1, vcc
	v_bfe_u32 v6, v1, 20, 11
	v_and_or_b32 v2, v3, s18, v2
	v_sub_u32_e32 v7, 0x3f1, v6
	v_or_b32_e32 v3, 0x1000, v2
	v_med3_i32 v7, v7, 0, 13
	v_lshrrev_b32_e32 v8, v7, v3
	v_lshlrev_b32_e32 v7, v7, v8
	v_cmp_ne_u32_e32 vcc, v7, v3
	v_add_u32_e32 v6, 0xfffffc10, v6
	v_lshl_or_b32 v7, v6, 12, v2
	v_cndmask_b32_e64 v3, 0, 1, vcc
	v_or_b32_e32 v3, v8, v3
	v_cmp_gt_i32_e32 vcc, 1, v6
	s_movk_i32 s18, 0x40f
	s_nop 0
	v_cndmask_b32_e32 v3, v7, v3, vcc
	v_and_b32_e32 v7, 7, v3
	v_cmp_lt_i32_e32 vcc, 5, v7
	v_lshrrev_b32_e32 v3, 2, v3
	s_nop 0
	v_cndmask_b32_e64 v8, 0, 1, vcc
	v_cmp_eq_u32_e32 vcc, 3, v7
	s_nop 1
	v_cndmask_b32_e64 v7, 0, 1, vcc
	v_or_b32_e32 v7, v7, v8
	v_add_u32_e32 v3, v3, v7
	v_mov_b32_e32 v7, 0x7c00
	v_cmp_gt_i32_e32 vcc, 31, v6
	v_mov_b32_e32 v8, 0x7e00
	s_nop 0
	v_cndmask_b32_e32 v3, v7, v3, vcc
	v_cmp_ne_u32_e32 vcc, 0, v2
	s_nop 1
	v_cndmask_b32_e32 v2, v7, v8, vcc
	v_cmp_eq_u32_e32 vcc, s18, v6
	s_mov_b32 s18, 0x8000
	s_nop 0
	v_cndmask_b32_e32 v2, v3, v2, vcc
	v_and_b32_sdwa v3, v1, s18 dst_sel:DWORD dst_unused:UNUSED_PAD src0_sel:WORD_1 src1_sel:DWORD
	s_mov_b32 s18, 0xffff
	v_bitop3_b32 v2, v3, s18, v2 bitop3:0xc8
	global_store_dword v[4:5], v2, off
.LBB512_1015:
	s_mov_b64 s[18:19], 0
.LBB512_1016:
	s_andn2_b64 vcc, exec, s[18:19]
	s_cbranch_vccnz .LBB512_1025
; %bb.1017:
	s_sext_i32_i16 s20, s34
	s_cmp_lt_i32 s20, 6
	s_mov_b64 s[18:19], -1
	s_cbranch_scc1 .LBB512_1023
; %bb.1018:
	s_cmp_gt_i32 s20, 6
	s_cbranch_scc0 .LBB512_1020
; %bb.1019:
	s_mov_b64 s[18:19], 0
	global_store_dwordx2 v[4:5], v[0:1], off
.LBB512_1020:
	s_andn2_b64 vcc, exec, s[18:19]
	s_cbranch_vccnz .LBB512_1022
; %bb.1021:
	s_waitcnt vmcnt(0)
	v_cvt_f32_f64_e32 v2, v[0:1]
	global_store_dword v[4:5], v2, off
.LBB512_1022:
	s_mov_b64 s[18:19], 0
.LBB512_1023:
	s_andn2_b64 vcc, exec, s[18:19]
	s_cbranch_vccnz .LBB512_1025
; %bb.1024:
	s_movk_i32 s18, 0x1ff
	s_waitcnt vmcnt(0)
	v_and_or_b32 v2, v1, s18, v0
	v_cmp_ne_u32_e32 vcc, 0, v2
	v_lshrrev_b32_e32 v3, 8, v1
	s_movk_i32 s18, 0xffe
	v_cndmask_b32_e64 v2, 0, 1, vcc
	v_bfe_u32 v6, v1, 20, 11
	v_and_or_b32 v2, v3, s18, v2
	v_sub_u32_e32 v7, 0x3f1, v6
	v_or_b32_e32 v3, 0x1000, v2
	v_med3_i32 v7, v7, 0, 13
	v_lshrrev_b32_e32 v8, v7, v3
	v_lshlrev_b32_e32 v7, v7, v8
	v_cmp_ne_u32_e32 vcc, v7, v3
	v_add_u32_e32 v6, 0xfffffc10, v6
	v_lshl_or_b32 v7, v6, 12, v2
	v_cndmask_b32_e64 v3, 0, 1, vcc
	v_or_b32_e32 v3, v8, v3
	v_cmp_gt_i32_e32 vcc, 1, v6
	s_movk_i32 s18, 0x40f
	s_nop 0
	v_cndmask_b32_e32 v3, v7, v3, vcc
	v_and_b32_e32 v7, 7, v3
	v_cmp_lt_i32_e32 vcc, 5, v7
	v_lshrrev_b32_e32 v3, 2, v3
	s_nop 0
	v_cndmask_b32_e64 v8, 0, 1, vcc
	v_cmp_eq_u32_e32 vcc, 3, v7
	s_nop 1
	v_cndmask_b32_e64 v7, 0, 1, vcc
	v_or_b32_e32 v7, v7, v8
	v_add_u32_e32 v3, v3, v7
	v_mov_b32_e32 v7, 0x7c00
	v_cmp_gt_i32_e32 vcc, 31, v6
	v_mov_b32_e32 v8, 0x7e00
	s_nop 0
	v_cndmask_b32_e32 v3, v7, v3, vcc
	v_cmp_ne_u32_e32 vcc, 0, v2
	s_nop 1
	v_cndmask_b32_e32 v2, v7, v8, vcc
	v_cmp_eq_u32_e32 vcc, s18, v6
	s_mov_b32 s18, 0x8000
	s_nop 0
	v_cndmask_b32_e32 v2, v3, v2, vcc
	v_lshrrev_b32_e32 v3, 16, v1
	v_and_or_b32 v2, v3, s18, v2
	global_store_short v[4:5], v2, off
.LBB512_1025:
	s_mov_b64 s[18:19], 0
.LBB512_1026:
	s_andn2_b64 vcc, exec, s[18:19]
	s_cbranch_vccnz .LBB512_1042
; %bb.1027:
	s_sext_i32_i16 s20, s34
	s_cmp_lt_i32 s20, 2
	s_mov_b64 s[18:19], -1
	s_cbranch_scc1 .LBB512_1037
; %bb.1028:
	s_cmp_lt_i32 s20, 3
	s_cbranch_scc1 .LBB512_1034
; %bb.1029:
	s_cmp_gt_i32 s20, 3
	s_cbranch_scc0 .LBB512_1031
; %bb.1030:
	s_waitcnt vmcnt(0)
	v_trunc_f64_e32 v[2:3], v[0:1]
	s_movk_i32 s18, 0xffe0
	v_ldexp_f64 v[6:7], v[2:3], s18
	v_floor_f64_e32 v[6:7], v[6:7]
	v_fmac_f64_e32 v[2:3], 0xc1f00000, v[6:7]
	v_cvt_i32_f64_e32 v9, v[6:7]
	v_cvt_u32_f64_e32 v8, v[2:3]
	s_mov_b64 s[18:19], 0
	global_store_dwordx2 v[4:5], v[8:9], off
.LBB512_1031:
	s_andn2_b64 vcc, exec, s[18:19]
	s_cbranch_vccnz .LBB512_1033
; %bb.1032:
	s_waitcnt vmcnt(0)
	v_cvt_i32_f64_e32 v2, v[0:1]
	global_store_dword v[4:5], v2, off
.LBB512_1033:
	s_mov_b64 s[18:19], 0
.LBB512_1034:
	s_andn2_b64 vcc, exec, s[18:19]
	s_cbranch_vccnz .LBB512_1036
; %bb.1035:
	s_waitcnt vmcnt(0)
	v_cvt_i32_f64_e32 v2, v[0:1]
	global_store_short v[4:5], v2, off
.LBB512_1036:
	s_mov_b64 s[18:19], 0
.LBB512_1037:
	s_andn2_b64 vcc, exec, s[18:19]
	s_cbranch_vccnz .LBB512_1042
; %bb.1038:
	s_sext_i32_i16 s18, s34
	s_cmp_gt_i32 s18, 0
	s_mov_b64 s[18:19], -1
	s_cbranch_scc0 .LBB512_1040
; %bb.1039:
	s_waitcnt vmcnt(0)
	v_cvt_i32_f64_e32 v2, v[0:1]
	s_mov_b64 s[18:19], 0
	global_store_byte v[4:5], v2, off
.LBB512_1040:
	s_andn2_b64 vcc, exec, s[18:19]
	s_cbranch_vccnz .LBB512_1042
; %bb.1041:
	v_trunc_f64_e32 v[0:1], v[0:1]
	s_movk_i32 s18, 0xffe0
	s_waitcnt vmcnt(0)
	v_ldexp_f64 v[2:3], v[0:1], s18
	v_floor_f64_e32 v[2:3], v[2:3]
	v_fmac_f64_e32 v[0:1], 0xc1f00000, v[2:3]
	v_cvt_u32_f64_e32 v0, v[0:1]
	global_store_byte v[4:5], v0, off
.LBB512_1042:
	s_or_b64 exec, exec, s[0:1]
	s_and_b64 s[18:19], s[22:23], exec
                                        ; implicit-def: $vgpr10
.LBB512_1043:
	s_or_saveexec_b64 s[16:17], s[16:17]
	s_mov_b64 s[0:1], 0
                                        ; implicit-def: $sgpr22
                                        ; implicit-def: $vgpr4_vgpr5
                                        ; implicit-def: $vgpr0_vgpr1
	s_xor_b64 exec, exec, s[16:17]
	s_cbranch_execz .LBB512_1653
; %bb.1044:
	v_mul_lo_u32 v0, s13, v10
	v_ashrrev_i32_e32 v1, 31, v0
	s_and_b32 s28, 0xffff, s48
	s_cmp_lt_i32 s28, 11
	s_waitcnt vmcnt(0)
	v_lshl_add_u64 v[2:3], s[6:7], 0, v[0:1]
	s_cbranch_scc1 .LBB512_1051
; %bb.1045:
	s_cmp_gt_i32 s28, 25
	s_cbranch_scc0 .LBB512_1053
; %bb.1046:
	s_cmp_gt_i32 s28, 28
	s_cbranch_scc0 .LBB512_1054
; %bb.1047:
	s_cmp_gt_i32 s28, 43
	s_cbranch_scc0 .LBB512_1055
; %bb.1048:
	s_cmp_gt_i32 s28, 45
	s_cbranch_scc0 .LBB512_1056
; %bb.1049:
	s_cmp_eq_u32 s28, 46
	s_mov_b64 s[20:21], 0
	s_cbranch_scc0 .LBB512_1059
; %bb.1050:
	global_load_dword v1, v[2:3], off
	s_mov_b64 s[22:23], -1
	s_waitcnt vmcnt(0)
	v_lshlrev_b32_e32 v1, 16, v1
	v_cvt_f64_f32_e32 v[4:5], v1
	s_branch .LBB512_1060
.LBB512_1051:
	s_mov_b64 s[22:23], 0
                                        ; implicit-def: $vgpr4_vgpr5
	s_mov_b64 s[20:21], s[18:19]
	s_cbranch_execnz .LBB512_1123
.LBB512_1052:
	s_andn2_b64 vcc, exec, s[22:23]
                                        ; implicit-def: $vgpr2_vgpr3
	s_cbranch_vccz .LBB512_1168
	s_branch .LBB512_1650
.LBB512_1053:
	s_mov_b64 s[22:23], 0
                                        ; implicit-def: $vgpr4_vgpr5
	s_cbranch_execnz .LBB512_1090
	s_branch .LBB512_1119
.LBB512_1054:
	s_mov_b64 s[20:21], -1
	s_mov_b64 s[22:23], 0
                                        ; implicit-def: $vgpr4_vgpr5
	s_branch .LBB512_1069
.LBB512_1055:
	s_mov_b64 s[22:23], 0
                                        ; implicit-def: $vgpr4_vgpr5
	s_cbranch_execnz .LBB512_1065
	s_branch .LBB512_1068
.LBB512_1056:
	s_mov_b64 s[20:21], -1
	s_mov_b64 s[22:23], 0
                                        ; implicit-def: $vgpr4_vgpr5
	s_branch .LBB512_1060
.LBB512_1057:
	s_andn2_saveexec_b64 s[28:29], s[28:29]
	s_cbranch_execz .LBB512_952
.LBB512_1058:
	s_mov_b32 s30, 0x46000000
	v_add_f32_e64 v3, |v2|, s30
	v_and_b32_e32 v3, 0xff, v3
	v_cmp_ne_u32_e32 vcc, 0, v3
	s_andn2_b64 s[26:27], s[26:27], exec
	s_and_b64 s[30:31], vcc, exec
	s_or_b64 s[26:27], s[26:27], s[30:31]
	s_or_b64 exec, exec, s[28:29]
	v_mov_b32_e32 v6, 0
	s_and_saveexec_b64 s[28:29], s[26:27]
	s_cbranch_execnz .LBB512_953
	s_branch .LBB512_954
.LBB512_1059:
	s_mov_b64 s[0:1], -1
                                        ; implicit-def: $vgpr4_vgpr5
	s_mov_b64 s[22:23], 0
.LBB512_1060:
	s_and_b64 vcc, exec, s[20:21]
	s_cbranch_vccz .LBB512_1063
; %bb.1061:
	s_cmp_eq_u32 s28, 44
	s_cbranch_scc0 .LBB512_1064
; %bb.1062:
	global_load_ubyte v1, v[2:3], off
	s_movk_i32 s20, 0xff
	v_bfrev_b32_e32 v6, 4
	v_mov_b32_e32 v7, 0x7ff80000
	v_bfrev_b32_e32 v8, 28
	s_mov_b64 s[0:1], 0
	s_mov_b64 s[22:23], -1
	s_waitcnt vmcnt(0)
	v_lshlrev_b32_e32 v4, 23, v1
	v_cvt_f64_f32_e32 v[4:5], v4
	v_cmp_ne_u32_e32 vcc, s20, v1
	s_nop 1
	v_cndmask_b32_e32 v4, v6, v4, vcc
	v_cndmask_b32_e32 v5, v7, v5, vcc
	v_cmp_ne_u32_e32 vcc, 0, v1
	s_nop 1
	v_cndmask_b32_e32 v5, v8, v5, vcc
	v_cndmask_b32_e32 v4, 0, v4, vcc
.LBB512_1063:
	s_branch .LBB512_1068
.LBB512_1064:
	s_mov_b64 s[0:1], -1
                                        ; implicit-def: $vgpr4_vgpr5
	s_branch .LBB512_1068
.LBB512_1065:
	s_cmp_eq_u32 s28, 29
	s_cbranch_scc0 .LBB512_1067
; %bb.1066:
	global_load_dwordx2 v[4:5], v[2:3], off
	s_mov_b64 s[0:1], 0
	s_mov_b64 s[22:23], -1
	s_mov_b64 s[20:21], 0
	s_waitcnt vmcnt(0)
	v_cvt_f64_u32_e32 v[6:7], v5
	v_cvt_f64_u32_e32 v[4:5], v4
	v_ldexp_f64 v[6:7], v[6:7], 32
	v_add_f64 v[4:5], v[6:7], v[4:5]
	s_branch .LBB512_1069
.LBB512_1067:
	s_mov_b64 s[0:1], -1
                                        ; implicit-def: $vgpr4_vgpr5
.LBB512_1068:
	s_mov_b64 s[20:21], 0
.LBB512_1069:
	s_and_b64 vcc, exec, s[20:21]
	s_cbranch_vccz .LBB512_1089
; %bb.1070:
	s_cmp_lt_i32 s28, 27
	s_cbranch_scc1 .LBB512_1073
; %bb.1071:
	s_cmp_gt_i32 s28, 27
	s_cbranch_scc0 .LBB512_1074
; %bb.1072:
	global_load_dword v1, v[2:3], off
	s_mov_b64 s[20:21], 0
	s_waitcnt vmcnt(0)
	v_cvt_f64_u32_e32 v[4:5], v1
	s_branch .LBB512_1075
.LBB512_1073:
	s_mov_b64 s[20:21], -1
                                        ; implicit-def: $vgpr4_vgpr5
	s_branch .LBB512_1078
.LBB512_1074:
	s_mov_b64 s[20:21], -1
                                        ; implicit-def: $vgpr4_vgpr5
.LBB512_1075:
	s_andn2_b64 vcc, exec, s[20:21]
	s_cbranch_vccnz .LBB512_1077
; %bb.1076:
	global_load_ushort v1, v[2:3], off
	s_waitcnt vmcnt(0)
	v_cvt_f64_u32_e32 v[4:5], v1
.LBB512_1077:
	s_mov_b64 s[20:21], 0
.LBB512_1078:
	s_andn2_b64 vcc, exec, s[20:21]
	s_cbranch_vccnz .LBB512_1088
; %bb.1079:
	global_load_ubyte v1, v[2:3], off
	s_movk_i32 s20, 0x7f
	s_waitcnt vmcnt(0)
	v_cmp_lt_i16_e32 vcc, s20, v1
	s_mov_b64 s[20:21], 0
	s_and_saveexec_b64 s[22:23], vcc
	s_xor_b64 s[22:23], exec, s[22:23]
	s_cbranch_execz .LBB512_1083
; %bb.1080:
	s_movk_i32 s20, 0x80
	v_cmp_eq_u16_e32 vcc, s20, v1
	s_mov_b64 s[20:21], -1
	s_and_saveexec_b64 s[24:25], vcc
; %bb.1081:
	s_xor_b64 s[20:21], exec, -1
; %bb.1082:
	s_or_b64 exec, exec, s[24:25]
	s_and_b64 s[20:21], s[20:21], exec
.LBB512_1083:
	s_or_saveexec_b64 s[22:23], s[22:23]
	v_bfrev_b32_e32 v4, 4
	v_mov_b32_e32 v5, 0x7ff80000
	s_xor_b64 exec, exec, s[22:23]
; %bb.1084:
	v_cmp_ne_u16_e32 vcc, 0, v1
	s_andn2_b64 s[20:21], s[20:21], exec
	s_and_b64 s[24:25], vcc, exec
	v_mov_b64_e32 v[4:5], 0
	s_or_b64 s[20:21], s[20:21], s[24:25]
; %bb.1085:
	s_or_b64 exec, exec, s[22:23]
	s_and_saveexec_b64 s[22:23], s[20:21]
	s_cbranch_execz .LBB512_1087
; %bb.1086:
	v_lshlrev_b32_e32 v4, 24, v1
	v_and_b32_e32 v1, 0xffff, v1
	v_and_b32_e32 v5, 7, v1
	v_ffbh_u32_e32 v7, v5
	v_min_u32_e32 v7, 32, v7
	v_subrev_u32_e32 v8, 28, v7
	v_bfe_u32 v6, v1, 3, 4
	v_lshlrev_b32_e32 v1, v8, v1
	v_sub_u32_e32 v7, 29, v7
	v_and_b32_e32 v1, 7, v1
	v_cmp_eq_u32_e32 vcc, 0, v6
	v_and_b32_e32 v4, 0x80000000, v4
	s_nop 0
	v_cndmask_b32_e32 v6, v6, v7, vcc
	v_cndmask_b32_e32 v1, v5, v1, vcc
	v_mov_b32_e32 v5, 0x3b800000
	v_lshlrev_b32_e32 v1, 20, v1
	v_lshl_add_u32 v5, v6, 23, v5
	v_or3_b32 v1, v4, v5, v1
	v_cvt_f64_f32_e32 v[4:5], v1
.LBB512_1087:
	s_or_b64 exec, exec, s[22:23]
.LBB512_1088:
	s_mov_b64 s[22:23], -1
.LBB512_1089:
	s_branch .LBB512_1119
.LBB512_1090:
	s_cmp_gt_i32 s28, 22
	s_cbranch_scc0 .LBB512_1102
; %bb.1091:
	s_cmp_lt_i32 s28, 24
	s_cbranch_scc1 .LBB512_1103
; %bb.1092:
	s_cmp_gt_i32 s28, 24
	s_cbranch_scc0 .LBB512_1104
; %bb.1093:
	global_load_ubyte v1, v[2:3], off
	s_movk_i32 s2, 0x7f
	s_waitcnt vmcnt(0)
	v_cmp_lt_i16_e32 vcc, s2, v1
	s_mov_b64 s[2:3], 0
	s_and_saveexec_b64 s[20:21], vcc
	s_xor_b64 s[20:21], exec, s[20:21]
	s_cbranch_execz .LBB512_1097
; %bb.1094:
	s_movk_i32 s2, 0x80
	v_cmp_eq_u16_e32 vcc, s2, v1
	s_mov_b64 s[2:3], -1
	s_and_saveexec_b64 s[22:23], vcc
; %bb.1095:
	s_xor_b64 s[2:3], exec, -1
; %bb.1096:
	s_or_b64 exec, exec, s[22:23]
	s_and_b64 s[2:3], s[2:3], exec
.LBB512_1097:
	s_or_saveexec_b64 s[20:21], s[20:21]
	v_bfrev_b32_e32 v4, 4
	v_mov_b32_e32 v5, 0x7ff80000
	s_xor_b64 exec, exec, s[20:21]
; %bb.1098:
	v_cmp_ne_u16_e32 vcc, 0, v1
	s_andn2_b64 s[2:3], s[2:3], exec
	s_and_b64 s[22:23], vcc, exec
	v_mov_b64_e32 v[4:5], 0
	s_or_b64 s[2:3], s[2:3], s[22:23]
; %bb.1099:
	s_or_b64 exec, exec, s[20:21]
	s_and_saveexec_b64 s[20:21], s[2:3]
	s_cbranch_execz .LBB512_1101
; %bb.1100:
	v_lshlrev_b32_e32 v4, 24, v1
	v_and_b32_e32 v1, 0xffff, v1
	v_and_b32_e32 v5, 3, v1
	v_ffbh_u32_e32 v7, v5
	v_min_u32_e32 v7, 32, v7
	v_subrev_u32_e32 v8, 29, v7
	v_bfe_u32 v6, v1, 2, 5
	v_lshlrev_b32_e32 v1, v8, v1
	v_sub_u32_e32 v7, 30, v7
	v_and_b32_e32 v1, 3, v1
	v_cmp_eq_u32_e32 vcc, 0, v6
	v_and_b32_e32 v4, 0x80000000, v4
	s_nop 0
	v_cndmask_b32_e32 v6, v6, v7, vcc
	v_cndmask_b32_e32 v1, v5, v1, vcc
	v_mov_b32_e32 v5, 0x37800000
	v_lshlrev_b32_e32 v1, 21, v1
	v_lshl_add_u32 v5, v6, 23, v5
	v_or3_b32 v1, v4, v5, v1
	v_cvt_f64_f32_e32 v[4:5], v1
.LBB512_1101:
	s_or_b64 exec, exec, s[20:21]
	s_mov_b64 s[2:3], 0
	s_branch .LBB512_1105
.LBB512_1102:
                                        ; implicit-def: $vgpr4_vgpr5
	s_mov_b64 s[2:3], 0
	s_branch .LBB512_1111
.LBB512_1103:
	s_mov_b64 s[2:3], -1
                                        ; implicit-def: $vgpr4_vgpr5
	s_branch .LBB512_1108
.LBB512_1104:
	s_mov_b64 s[2:3], -1
                                        ; implicit-def: $vgpr4_vgpr5
.LBB512_1105:
	s_and_b64 vcc, exec, s[2:3]
	s_cbranch_vccz .LBB512_1107
; %bb.1106:
	global_load_ubyte v1, v[2:3], off
	s_mov_b32 s2, 0x7f800000
	s_waitcnt vmcnt(0)
	v_lshlrev_b32_e32 v1, 24, v1
	v_and_b32_e32 v4, 0x7f000000, v1
	v_ffbh_u32_e32 v5, v4
	v_min_u32_e32 v5, 32, v5
	v_sub_u32_e64 v5, v5, 4 clamp
	v_lshlrev_b32_e32 v7, v5, v4
	v_lshlrev_b32_e32 v5, 23, v5
	v_lshrrev_b32_e32 v7, 4, v7
	v_add_u32_e32 v6, 0x1000000, v4
	v_sub_u32_e32 v5, v7, v5
	v_ashrrev_i32_e32 v6, 8, v6
	v_add_u32_e32 v5, 0x3c000000, v5
	v_and_or_b32 v5, v6, s2, v5
	v_cmp_ne_u32_e32 vcc, 0, v4
	s_brev_b32 s2, 1
	s_nop 0
	v_cndmask_b32_e32 v4, 0, v5, vcc
	v_and_or_b32 v1, v1, s2, v4
	v_cvt_f64_f32_e32 v[4:5], v1
.LBB512_1107:
	s_mov_b64 s[2:3], 0
.LBB512_1108:
	s_andn2_b64 vcc, exec, s[2:3]
	s_cbranch_vccnz .LBB512_1110
; %bb.1109:
	global_load_ubyte v1, v[2:3], off
	s_movk_i32 s2, 0x7f00
	s_brev_b32 s3, 16
	s_waitcnt vmcnt(0)
	v_lshlrev_b16_e32 v4, 8, v1
	v_lshlrev_b32_e32 v1, 25, v1
	v_lshrrev_b32_e32 v5, 4, v1
	v_and_or_b32 v6, v4, s2, 0.5
	v_or_b32_e32 v5, 0x70000000, v5
	v_add_f32_e32 v6, -0.5, v6
	v_mul_f32_e32 v5, 0x7800000, v5
	v_cmp_gt_u32_e32 vcc, s3, v1
	v_bfe_i32 v4, v4, 0, 16
	s_brev_b32 s2, 1
	v_cndmask_b32_e32 v1, v5, v6, vcc
	v_and_or_b32 v1, v4, s2, v1
	v_cvt_f64_f32_e32 v[4:5], v1
.LBB512_1110:
	s_mov_b64 s[22:23], -1
	s_mov_b64 s[2:3], 0
	s_cbranch_execnz .LBB512_1119
.LBB512_1111:
	s_cmp_gt_i32 s28, 14
	s_cbranch_scc0 .LBB512_1114
; %bb.1112:
	s_cmp_eq_u32 s28, 15
	s_cbranch_scc0 .LBB512_1115
; %bb.1113:
	global_load_ushort v1, v[2:3], off
	s_mov_b64 s[0:1], 0
	s_mov_b64 s[22:23], -1
	s_waitcnt vmcnt(0)
	v_lshlrev_b32_e32 v1, 16, v1
	v_cvt_f64_f32_e32 v[4:5], v1
	s_branch .LBB512_1116
.LBB512_1114:
	s_mov_b64 s[20:21], -1
                                        ; implicit-def: $vgpr4_vgpr5
	s_branch .LBB512_1117
.LBB512_1115:
	s_mov_b64 s[0:1], -1
                                        ; implicit-def: $vgpr4_vgpr5
.LBB512_1116:
	s_mov_b64 s[20:21], 0
.LBB512_1117:
	s_and_b64 vcc, exec, s[20:21]
	s_cbranch_vccz .LBB512_1119
; %bb.1118:
	s_cmp_lg_u32 s28, 11
	s_mov_b64 s[2:3], -1
	s_cselect_b64 s[0:1], -1, 0
.LBB512_1119:
	s_and_b64 vcc, exec, s[0:1]
	s_mov_b64 s[20:21], s[18:19]
	s_cbranch_vccnz .LBB512_1184
; %bb.1120:
	s_andn2_b64 vcc, exec, s[2:3]
	s_cbranch_vccnz .LBB512_1122
.LBB512_1121:
	global_load_ubyte v1, v[2:3], off
	v_mov_b32_e32 v5, 0x3ff00000
	v_mov_b32_e32 v4, 0
	s_mov_b64 s[22:23], -1
	s_waitcnt vmcnt(0)
	v_cmp_ne_u16_e32 vcc, 0, v1
	s_nop 1
	v_cndmask_b32_e32 v5, 0, v5, vcc
.LBB512_1122:
	s_branch .LBB512_1052
.LBB512_1123:
	s_cmp_lt_i32 s28, 5
	s_cbranch_scc1 .LBB512_1128
; %bb.1124:
	s_cmp_lt_i32 s28, 8
	s_cbranch_scc1 .LBB512_1129
; %bb.1125:
	;; [unrolled: 3-line block ×3, first 2 shown]
	s_cmp_gt_i32 s28, 9
	s_cbranch_scc0 .LBB512_1131
; %bb.1127:
	global_load_dwordx2 v[4:5], v[2:3], off
	s_mov_b64 s[0:1], 0
	s_branch .LBB512_1132
.LBB512_1128:
                                        ; implicit-def: $vgpr4_vgpr5
	s_branch .LBB512_1149
.LBB512_1129:
                                        ; implicit-def: $vgpr4_vgpr5
	s_branch .LBB512_1138
.LBB512_1130:
	s_mov_b64 s[0:1], -1
                                        ; implicit-def: $vgpr4_vgpr5
	s_branch .LBB512_1135
.LBB512_1131:
	s_mov_b64 s[0:1], -1
                                        ; implicit-def: $vgpr4_vgpr5
.LBB512_1132:
	s_andn2_b64 vcc, exec, s[0:1]
	s_cbranch_vccnz .LBB512_1134
; %bb.1133:
	global_load_dword v1, v[2:3], off
	s_waitcnt vmcnt(0)
	v_cvt_f64_f32_e32 v[4:5], v1
.LBB512_1134:
	s_mov_b64 s[0:1], 0
.LBB512_1135:
	s_andn2_b64 vcc, exec, s[0:1]
	s_cbranch_vccnz .LBB512_1137
; %bb.1136:
	global_load_dword v1, v[2:3], off
	s_waitcnt vmcnt(0)
	v_cvt_f32_f16_e32 v1, v1
	v_cvt_f64_f32_e32 v[4:5], v1
.LBB512_1137:
	s_cbranch_execnz .LBB512_1148
.LBB512_1138:
	s_cmp_lt_i32 s28, 6
	s_cbranch_scc1 .LBB512_1141
; %bb.1139:
	s_cmp_gt_i32 s28, 6
	s_cbranch_scc0 .LBB512_1142
; %bb.1140:
	global_load_dwordx2 v[4:5], v[2:3], off
	s_mov_b64 s[0:1], 0
	s_branch .LBB512_1143
.LBB512_1141:
	s_mov_b64 s[0:1], -1
                                        ; implicit-def: $vgpr4_vgpr5
	s_branch .LBB512_1146
.LBB512_1142:
	s_mov_b64 s[0:1], -1
                                        ; implicit-def: $vgpr4_vgpr5
.LBB512_1143:
	s_andn2_b64 vcc, exec, s[0:1]
	s_cbranch_vccnz .LBB512_1145
; %bb.1144:
	global_load_dword v1, v[2:3], off
	s_waitcnt vmcnt(0)
	v_cvt_f64_f32_e32 v[4:5], v1
.LBB512_1145:
	s_mov_b64 s[0:1], 0
.LBB512_1146:
	s_andn2_b64 vcc, exec, s[0:1]
	s_cbranch_vccnz .LBB512_1148
; %bb.1147:
	global_load_ushort v1, v[2:3], off
	s_waitcnt vmcnt(0)
	v_cvt_f32_f16_e32 v1, v1
	v_cvt_f64_f32_e32 v[4:5], v1
.LBB512_1148:
	s_cbranch_execnz .LBB512_1167
.LBB512_1149:
	s_cmp_lt_i32 s28, 2
	s_cbranch_scc1 .LBB512_1153
; %bb.1150:
	s_cmp_lt_i32 s28, 3
	s_cbranch_scc1 .LBB512_1154
; %bb.1151:
	s_cmp_gt_i32 s28, 3
	s_cbranch_scc0 .LBB512_1155
; %bb.1152:
	global_load_dwordx2 v[4:5], v[2:3], off
	s_mov_b64 s[0:1], 0
	s_waitcnt vmcnt(0)
	v_cvt_f64_i32_e32 v[6:7], v5
	v_cvt_f64_u32_e32 v[4:5], v4
	v_ldexp_f64 v[6:7], v[6:7], 32
	v_add_f64 v[4:5], v[6:7], v[4:5]
	s_branch .LBB512_1156
.LBB512_1153:
                                        ; implicit-def: $vgpr4_vgpr5
	s_branch .LBB512_1162
.LBB512_1154:
	s_mov_b64 s[0:1], -1
                                        ; implicit-def: $vgpr4_vgpr5
	s_branch .LBB512_1159
.LBB512_1155:
	s_mov_b64 s[0:1], -1
                                        ; implicit-def: $vgpr4_vgpr5
.LBB512_1156:
	s_andn2_b64 vcc, exec, s[0:1]
	s_cbranch_vccnz .LBB512_1158
; %bb.1157:
	global_load_dword v1, v[2:3], off
	s_waitcnt vmcnt(0)
	v_cvt_f64_i32_e32 v[4:5], v1
.LBB512_1158:
	s_mov_b64 s[0:1], 0
.LBB512_1159:
	s_andn2_b64 vcc, exec, s[0:1]
	s_cbranch_vccnz .LBB512_1161
; %bb.1160:
	global_load_sshort v1, v[2:3], off
	s_waitcnt vmcnt(0)
	v_cvt_f64_i32_e32 v[4:5], v1
.LBB512_1161:
	s_cbranch_execnz .LBB512_1167
.LBB512_1162:
	s_cmp_gt_i32 s28, 0
	s_cbranch_scc0 .LBB512_1164
; %bb.1163:
	global_load_sbyte v1, v[2:3], off
	s_mov_b64 s[0:1], 0
	s_waitcnt vmcnt(0)
	v_cvt_f64_i32_e32 v[4:5], v1
	s_branch .LBB512_1165
.LBB512_1164:
	s_mov_b64 s[0:1], -1
                                        ; implicit-def: $vgpr4_vgpr5
.LBB512_1165:
	s_andn2_b64 vcc, exec, s[0:1]
	s_cbranch_vccnz .LBB512_1167
; %bb.1166:
	global_load_ubyte v1, v[2:3], off
	s_waitcnt vmcnt(0)
	v_cvt_f64_u32_e32 v[4:5], v1
.LBB512_1167:
                                        ; implicit-def: $vgpr2_vgpr3
.LBB512_1168:
	s_waitcnt vmcnt(0)
	v_cmp_o_f64_e32 vcc, v[4:5], v[4:5]
	v_mov_b64_e32 v[6:7], s[8:9]
	s_and_saveexec_b64 s[0:1], vcc
	s_cbranch_execz .LBB512_1172
; %bb.1169:
	s_mov_b32 s2, 0
	s_mov_b32 s3, 0x7ff00000
	v_cmp_neq_f64_e32 vcc, s[2:3], v[4:5]
	v_mov_b64_e32 v[6:7], s[10:11]
	s_and_saveexec_b64 s[2:3], vcc
; %bb.1170:
	s_mov_b32 s22, 0
	s_mov_b32 s23, 0xfff00000
	v_mov_b32_e32 v1, s15
	v_cmp_eq_f64_e32 vcc, s[22:23], v[4:5]
	s_nop 1
	v_cndmask_b32_e32 v7, v5, v1, vcc
	v_mov_b32_e32 v1, s14
	v_cndmask_b32_e32 v6, v4, v1, vcc
; %bb.1171:
	s_or_b64 exec, exec, s[2:3]
.LBB512_1172:
	s_or_b64 exec, exec, s[0:1]
	s_lshl_b32 s13, s13, 7
	v_add_u32_e32 v0, s13, v0
	v_ashrrev_i32_e32 v1, 31, v0
	s_cmp_lt_i32 s28, 11
	v_lshl_add_u64 v[2:3], s[6:7], 0, v[0:1]
	s_cbranch_scc1 .LBB512_1179
; %bb.1173:
	s_cmp_gt_i32 s28, 25
	s_mov_b64 s[2:3], 0
	s_cbranch_scc0 .LBB512_1181
; %bb.1174:
	s_cmp_gt_i32 s28, 28
	s_cbranch_scc0 .LBB512_1182
; %bb.1175:
	s_cmp_gt_i32 s28, 43
	;; [unrolled: 3-line block ×3, first 2 shown]
	s_cbranch_scc0 .LBB512_1185
; %bb.1177:
	s_cmp_eq_u32 s28, 46
	s_mov_b64 s[24:25], 0
	s_cbranch_scc0 .LBB512_1188
; %bb.1178:
	global_load_dword v1, v[2:3], off
	s_mov_b64 s[0:1], 0
	s_mov_b64 s[22:23], -1
	s_waitcnt vmcnt(0)
	v_lshlrev_b32_e32 v1, 16, v1
	v_cvt_f64_f32_e32 v[8:9], v1
	s_branch .LBB512_1189
.LBB512_1179:
	s_mov_b64 s[22:23], 0
                                        ; implicit-def: $vgpr8_vgpr9
	s_cbranch_execnz .LBB512_1254
.LBB512_1180:
	s_andn2_b64 vcc, exec, s[22:23]
	s_cbranch_vccnz .LBB512_1650
	s_branch .LBB512_1301
.LBB512_1181:
	s_mov_b64 s[22:23], 0
	s_mov_b64 s[0:1], 0
                                        ; implicit-def: $vgpr8_vgpr9
	s_cbranch_execnz .LBB512_1220
	s_branch .LBB512_1250
.LBB512_1182:
	s_mov_b64 s[24:25], -1
	s_mov_b64 s[22:23], 0
	s_mov_b64 s[0:1], 0
                                        ; implicit-def: $vgpr8_vgpr9
	s_branch .LBB512_1199
.LBB512_1183:
	s_mov_b64 s[24:25], -1
	s_mov_b64 s[22:23], 0
	s_mov_b64 s[0:1], 0
                                        ; implicit-def: $vgpr8_vgpr9
	s_branch .LBB512_1194
.LBB512_1184:
	s_or_b64 s[20:21], s[18:19], exec
	s_trap 2
	s_cbranch_execz .LBB512_1121
	s_branch .LBB512_1122
.LBB512_1185:
	s_mov_b64 s[24:25], -1
	s_mov_b64 s[22:23], 0
	s_mov_b64 s[0:1], 0
                                        ; implicit-def: $vgpr8_vgpr9
	s_branch .LBB512_1189
.LBB512_1186:
	s_andn2_saveexec_b64 s[30:31], s[30:31]
	s_cbranch_execz .LBB512_964
.LBB512_1187:
	s_mov_b32 s36, 0x42800000
	v_add_f32_e64 v3, |v2|, s36
	v_and_b32_e32 v3, 0xff, v3
	v_cmp_ne_u32_e32 vcc, 0, v3
	s_andn2_b64 s[28:29], s[28:29], exec
	s_and_b64 s[36:37], vcc, exec
	s_or_b64 s[28:29], s[28:29], s[36:37]
	s_or_b64 exec, exec, s[30:31]
	v_mov_b32_e32 v6, 0
	s_and_saveexec_b64 s[30:31], s[28:29]
	s_cbranch_execnz .LBB512_965
	s_branch .LBB512_966
.LBB512_1188:
	s_mov_b64 s[0:1], -1
                                        ; implicit-def: $vgpr8_vgpr9
	s_mov_b64 s[22:23], 0
.LBB512_1189:
	s_and_b64 vcc, exec, s[24:25]
	s_cbranch_vccz .LBB512_1193
; %bb.1190:
	s_cmp_eq_u32 s28, 44
	s_cbranch_scc0 .LBB512_1192
; %bb.1191:
	global_load_ubyte v1, v[2:3], off
	s_movk_i32 s22, 0xff
	v_bfrev_b32_e32 v8, 4
	v_mov_b32_e32 v9, 0x7ff80000
	v_bfrev_b32_e32 v11, 28
	s_mov_b64 s[0:1], 0
	s_waitcnt vmcnt(0)
	v_lshlrev_b32_e32 v4, 23, v1
	v_cvt_f64_f32_e32 v[4:5], v4
	v_cmp_ne_u32_e32 vcc, s22, v1
	s_mov_b64 s[22:23], -1
	s_nop 0
	v_cndmask_b32_e32 v4, v8, v4, vcc
	v_cndmask_b32_e32 v5, v9, v5, vcc
	v_cmp_ne_u32_e32 vcc, 0, v1
	s_nop 1
	v_cndmask_b32_e32 v9, v11, v5, vcc
	v_cndmask_b32_e32 v8, 0, v4, vcc
	s_branch .LBB512_1193
.LBB512_1192:
	s_mov_b64 s[0:1], -1
                                        ; implicit-def: $vgpr8_vgpr9
.LBB512_1193:
	s_mov_b64 s[24:25], 0
.LBB512_1194:
	s_and_b64 vcc, exec, s[24:25]
	s_cbranch_vccz .LBB512_1198
; %bb.1195:
	s_cmp_eq_u32 s28, 29
	s_cbranch_scc0 .LBB512_1197
; %bb.1196:
	global_load_dwordx2 v[4:5], v[2:3], off
	s_mov_b64 s[0:1], 0
	s_mov_b64 s[22:23], -1
	s_mov_b64 s[24:25], 0
	s_waitcnt vmcnt(0)
	v_cvt_f64_u32_e32 v[8:9], v5
	v_cvt_f64_u32_e32 v[4:5], v4
	v_ldexp_f64 v[8:9], v[8:9], 32
	v_add_f64 v[8:9], v[8:9], v[4:5]
	s_branch .LBB512_1199
.LBB512_1197:
	s_mov_b64 s[0:1], -1
                                        ; implicit-def: $vgpr8_vgpr9
.LBB512_1198:
	s_mov_b64 s[24:25], 0
.LBB512_1199:
	s_and_b64 vcc, exec, s[24:25]
	s_cbranch_vccz .LBB512_1219
; %bb.1200:
	s_cmp_lt_i32 s28, 27
	s_cbranch_scc1 .LBB512_1203
; %bb.1201:
	s_cmp_gt_i32 s28, 27
	s_cbranch_scc0 .LBB512_1204
; %bb.1202:
	global_load_dword v1, v[2:3], off
	s_mov_b64 s[22:23], 0
	s_waitcnt vmcnt(0)
	v_cvt_f64_u32_e32 v[8:9], v1
	s_branch .LBB512_1205
.LBB512_1203:
	s_mov_b64 s[22:23], -1
                                        ; implicit-def: $vgpr8_vgpr9
	s_branch .LBB512_1208
.LBB512_1204:
	s_mov_b64 s[22:23], -1
                                        ; implicit-def: $vgpr8_vgpr9
.LBB512_1205:
	s_andn2_b64 vcc, exec, s[22:23]
	s_cbranch_vccnz .LBB512_1207
; %bb.1206:
	global_load_ushort v1, v[2:3], off
	s_waitcnt vmcnt(0)
	v_cvt_f64_u32_e32 v[8:9], v1
.LBB512_1207:
	s_mov_b64 s[22:23], 0
.LBB512_1208:
	s_andn2_b64 vcc, exec, s[22:23]
	s_cbranch_vccnz .LBB512_1218
; %bb.1209:
	global_load_ubyte v1, v[2:3], off
	s_movk_i32 s22, 0x7f
	s_waitcnt vmcnt(0)
	v_cmp_lt_i16_e32 vcc, s22, v1
	s_mov_b64 s[22:23], 0
	s_and_saveexec_b64 s[24:25], vcc
	s_xor_b64 s[24:25], exec, s[24:25]
	s_cbranch_execz .LBB512_1213
; %bb.1210:
	s_movk_i32 s22, 0x80
	v_cmp_eq_u16_e32 vcc, s22, v1
	s_mov_b64 s[22:23], -1
	s_and_saveexec_b64 s[26:27], vcc
; %bb.1211:
	s_xor_b64 s[22:23], exec, -1
; %bb.1212:
	s_or_b64 exec, exec, s[26:27]
	s_and_b64 s[22:23], s[22:23], exec
.LBB512_1213:
	s_or_saveexec_b64 s[24:25], s[24:25]
	v_bfrev_b32_e32 v8, 4
	v_mov_b32_e32 v9, 0x7ff80000
	s_xor_b64 exec, exec, s[24:25]
; %bb.1214:
	v_cmp_ne_u16_e32 vcc, 0, v1
	s_andn2_b64 s[22:23], s[22:23], exec
	s_and_b64 s[26:27], vcc, exec
	v_mov_b64_e32 v[8:9], 0
	s_or_b64 s[22:23], s[22:23], s[26:27]
; %bb.1215:
	s_or_b64 exec, exec, s[24:25]
	s_and_saveexec_b64 s[24:25], s[22:23]
	s_cbranch_execz .LBB512_1217
; %bb.1216:
	v_lshlrev_b32_e32 v4, 24, v1
	v_and_b32_e32 v1, 0xffff, v1
	v_and_b32_e32 v5, 7, v1
	v_ffbh_u32_e32 v9, v5
	v_min_u32_e32 v9, 32, v9
	v_subrev_u32_e32 v11, 28, v9
	v_bfe_u32 v8, v1, 3, 4
	v_lshlrev_b32_e32 v1, v11, v1
	v_sub_u32_e32 v9, 29, v9
	v_and_b32_e32 v1, 7, v1
	v_cmp_eq_u32_e32 vcc, 0, v8
	v_and_b32_e32 v4, 0x80000000, v4
	s_nop 0
	v_cndmask_b32_e32 v8, v8, v9, vcc
	v_cndmask_b32_e32 v1, v5, v1, vcc
	v_mov_b32_e32 v5, 0x3b800000
	v_lshlrev_b32_e32 v1, 20, v1
	v_lshl_add_u32 v5, v8, 23, v5
	v_or3_b32 v1, v4, v5, v1
	v_cvt_f64_f32_e32 v[8:9], v1
.LBB512_1217:
	s_or_b64 exec, exec, s[24:25]
.LBB512_1218:
	s_mov_b64 s[22:23], -1
.LBB512_1219:
	s_branch .LBB512_1250
.LBB512_1220:
	s_cmp_gt_i32 s28, 22
	s_cbranch_scc0 .LBB512_1232
; %bb.1221:
	s_cmp_lt_i32 s28, 24
	s_cbranch_scc1 .LBB512_1233
; %bb.1222:
	s_cmp_gt_i32 s28, 24
	s_cbranch_scc0 .LBB512_1234
; %bb.1223:
	global_load_ubyte v1, v[2:3], off
	s_movk_i32 s2, 0x7f
	s_waitcnt vmcnt(0)
	v_cmp_lt_i16_e32 vcc, s2, v1
	s_mov_b64 s[2:3], 0
	s_and_saveexec_b64 s[22:23], vcc
	s_xor_b64 s[22:23], exec, s[22:23]
	s_cbranch_execz .LBB512_1227
; %bb.1224:
	s_movk_i32 s2, 0x80
	v_cmp_eq_u16_e32 vcc, s2, v1
	s_mov_b64 s[2:3], -1
	s_and_saveexec_b64 s[24:25], vcc
; %bb.1225:
	s_xor_b64 s[2:3], exec, -1
; %bb.1226:
	s_or_b64 exec, exec, s[24:25]
	s_and_b64 s[2:3], s[2:3], exec
.LBB512_1227:
	s_or_saveexec_b64 s[22:23], s[22:23]
	v_bfrev_b32_e32 v8, 4
	v_mov_b32_e32 v9, 0x7ff80000
	s_xor_b64 exec, exec, s[22:23]
; %bb.1228:
	v_cmp_ne_u16_e32 vcc, 0, v1
	s_andn2_b64 s[2:3], s[2:3], exec
	s_and_b64 s[24:25], vcc, exec
	v_mov_b64_e32 v[8:9], 0
	s_or_b64 s[2:3], s[2:3], s[24:25]
; %bb.1229:
	s_or_b64 exec, exec, s[22:23]
	s_and_saveexec_b64 s[22:23], s[2:3]
	s_cbranch_execz .LBB512_1231
; %bb.1230:
	v_lshlrev_b32_e32 v4, 24, v1
	v_and_b32_e32 v1, 0xffff, v1
	v_and_b32_e32 v5, 3, v1
	v_ffbh_u32_e32 v9, v5
	v_min_u32_e32 v9, 32, v9
	v_subrev_u32_e32 v11, 29, v9
	v_bfe_u32 v8, v1, 2, 5
	v_lshlrev_b32_e32 v1, v11, v1
	v_sub_u32_e32 v9, 30, v9
	v_and_b32_e32 v1, 3, v1
	v_cmp_eq_u32_e32 vcc, 0, v8
	v_and_b32_e32 v4, 0x80000000, v4
	s_nop 0
	v_cndmask_b32_e32 v8, v8, v9, vcc
	v_cndmask_b32_e32 v1, v5, v1, vcc
	v_mov_b32_e32 v5, 0x37800000
	v_lshlrev_b32_e32 v1, 21, v1
	v_lshl_add_u32 v5, v8, 23, v5
	v_or3_b32 v1, v4, v5, v1
	v_cvt_f64_f32_e32 v[8:9], v1
.LBB512_1231:
	s_or_b64 exec, exec, s[22:23]
	s_mov_b64 s[2:3], 0
	s_branch .LBB512_1235
.LBB512_1232:
	s_mov_b64 s[2:3], -1
                                        ; implicit-def: $vgpr8_vgpr9
	s_branch .LBB512_1241
.LBB512_1233:
	s_mov_b64 s[2:3], -1
                                        ; implicit-def: $vgpr8_vgpr9
	s_branch .LBB512_1238
.LBB512_1234:
	s_mov_b64 s[2:3], -1
                                        ; implicit-def: $vgpr8_vgpr9
.LBB512_1235:
	s_and_b64 vcc, exec, s[2:3]
	s_cbranch_vccz .LBB512_1237
; %bb.1236:
	global_load_ubyte v1, v[2:3], off
	s_mov_b32 s2, 0x7f800000
	s_waitcnt vmcnt(0)
	v_lshlrev_b32_e32 v1, 24, v1
	v_and_b32_e32 v4, 0x7f000000, v1
	v_ffbh_u32_e32 v5, v4
	v_min_u32_e32 v5, 32, v5
	v_sub_u32_e64 v5, v5, 4 clamp
	v_lshlrev_b32_e32 v9, v5, v4
	v_lshlrev_b32_e32 v5, 23, v5
	v_lshrrev_b32_e32 v9, 4, v9
	v_add_u32_e32 v8, 0x1000000, v4
	v_sub_u32_e32 v5, v9, v5
	v_ashrrev_i32_e32 v8, 8, v8
	v_add_u32_e32 v5, 0x3c000000, v5
	v_and_or_b32 v5, v8, s2, v5
	v_cmp_ne_u32_e32 vcc, 0, v4
	s_brev_b32 s2, 1
	s_nop 0
	v_cndmask_b32_e32 v4, 0, v5, vcc
	v_and_or_b32 v1, v1, s2, v4
	v_cvt_f64_f32_e32 v[8:9], v1
.LBB512_1237:
	s_mov_b64 s[2:3], 0
.LBB512_1238:
	s_andn2_b64 vcc, exec, s[2:3]
	s_cbranch_vccnz .LBB512_1240
; %bb.1239:
	global_load_ubyte v1, v[2:3], off
	s_movk_i32 s2, 0x7f00
	s_brev_b32 s3, 16
	s_waitcnt vmcnt(0)
	v_lshlrev_b16_e32 v4, 8, v1
	v_lshlrev_b32_e32 v1, 25, v1
	v_lshrrev_b32_e32 v5, 4, v1
	v_and_or_b32 v8, v4, s2, 0.5
	v_or_b32_e32 v5, 0x70000000, v5
	v_add_f32_e32 v8, -0.5, v8
	v_mul_f32_e32 v5, 0x7800000, v5
	v_cmp_gt_u32_e32 vcc, s3, v1
	v_bfe_i32 v4, v4, 0, 16
	s_brev_b32 s2, 1
	v_cndmask_b32_e32 v1, v5, v8, vcc
	v_and_or_b32 v1, v4, s2, v1
	v_cvt_f64_f32_e32 v[8:9], v1
.LBB512_1240:
	s_mov_b64 s[2:3], 0
	s_mov_b64 s[22:23], -1
.LBB512_1241:
	s_andn2_b64 vcc, exec, s[2:3]
	s_mov_b64 s[2:3], 0
	s_cbranch_vccnz .LBB512_1250
; %bb.1242:
	s_cmp_gt_i32 s28, 14
	s_cbranch_scc0 .LBB512_1245
; %bb.1243:
	s_cmp_eq_u32 s28, 15
	s_cbranch_scc0 .LBB512_1246
; %bb.1244:
	global_load_ushort v1, v[2:3], off
	s_mov_b64 s[0:1], 0
	s_mov_b64 s[22:23], -1
	s_waitcnt vmcnt(0)
	v_lshlrev_b32_e32 v1, 16, v1
	v_cvt_f64_f32_e32 v[8:9], v1
	s_branch .LBB512_1247
.LBB512_1245:
	s_mov_b64 s[24:25], -1
                                        ; implicit-def: $vgpr8_vgpr9
	s_branch .LBB512_1248
.LBB512_1246:
	s_mov_b64 s[0:1], -1
                                        ; implicit-def: $vgpr8_vgpr9
.LBB512_1247:
	s_mov_b64 s[24:25], 0
.LBB512_1248:
	s_and_b64 vcc, exec, s[24:25]
	s_cbranch_vccz .LBB512_1250
; %bb.1249:
	s_cmp_lg_u32 s28, 11
	s_mov_b64 s[2:3], -1
	s_cselect_b64 s[0:1], -1, 0
.LBB512_1250:
	s_and_b64 vcc, exec, s[0:1]
	s_cbranch_vccnz .LBB512_1317
; %bb.1251:
	s_andn2_b64 vcc, exec, s[2:3]
	s_cbranch_vccnz .LBB512_1253
.LBB512_1252:
	global_load_ubyte v1, v[2:3], off
	v_mov_b32_e32 v4, 0x3ff00000
	v_mov_b32_e32 v8, 0
	s_mov_b64 s[22:23], -1
	s_waitcnt vmcnt(0)
	v_cmp_ne_u16_e32 vcc, 0, v1
	s_nop 1
	v_cndmask_b32_e32 v9, 0, v4, vcc
.LBB512_1253:
	s_branch .LBB512_1180
.LBB512_1254:
	s_cmp_lt_i32 s28, 5
	s_cbranch_scc1 .LBB512_1259
; %bb.1255:
	s_cmp_lt_i32 s28, 8
	s_cbranch_scc1 .LBB512_1260
; %bb.1256:
	;; [unrolled: 3-line block ×3, first 2 shown]
	s_cmp_gt_i32 s28, 9
	s_cbranch_scc0 .LBB512_1262
; %bb.1258:
	global_load_dwordx2 v[8:9], v[2:3], off
	s_mov_b64 s[0:1], 0
	s_branch .LBB512_1263
.LBB512_1259:
                                        ; implicit-def: $vgpr8_vgpr9
	s_branch .LBB512_1281
.LBB512_1260:
	s_mov_b64 s[0:1], -1
                                        ; implicit-def: $vgpr8_vgpr9
	s_branch .LBB512_1269
.LBB512_1261:
	s_mov_b64 s[0:1], -1
                                        ; implicit-def: $vgpr8_vgpr9
	s_branch .LBB512_1266
.LBB512_1262:
	s_mov_b64 s[0:1], -1
                                        ; implicit-def: $vgpr8_vgpr9
.LBB512_1263:
	s_andn2_b64 vcc, exec, s[0:1]
	s_cbranch_vccnz .LBB512_1265
; %bb.1264:
	global_load_dword v1, v[2:3], off
	s_waitcnt vmcnt(0)
	v_cvt_f64_f32_e32 v[8:9], v1
.LBB512_1265:
	s_mov_b64 s[0:1], 0
.LBB512_1266:
	s_andn2_b64 vcc, exec, s[0:1]
	s_cbranch_vccnz .LBB512_1268
; %bb.1267:
	global_load_dword v1, v[2:3], off
	s_waitcnt vmcnt(0)
	v_cvt_f32_f16_e32 v1, v1
	v_cvt_f64_f32_e32 v[8:9], v1
.LBB512_1268:
	s_mov_b64 s[0:1], 0
.LBB512_1269:
	s_andn2_b64 vcc, exec, s[0:1]
	s_cbranch_vccnz .LBB512_1280
; %bb.1270:
	s_cmp_lt_i32 s28, 6
	s_cbranch_scc1 .LBB512_1273
; %bb.1271:
	s_cmp_gt_i32 s28, 6
	s_cbranch_scc0 .LBB512_1274
; %bb.1272:
	global_load_dwordx2 v[8:9], v[2:3], off
	s_mov_b64 s[0:1], 0
	s_branch .LBB512_1275
.LBB512_1273:
	s_mov_b64 s[0:1], -1
                                        ; implicit-def: $vgpr8_vgpr9
	s_branch .LBB512_1278
.LBB512_1274:
	s_mov_b64 s[0:1], -1
                                        ; implicit-def: $vgpr8_vgpr9
.LBB512_1275:
	s_andn2_b64 vcc, exec, s[0:1]
	s_cbranch_vccnz .LBB512_1277
; %bb.1276:
	global_load_dword v1, v[2:3], off
	s_waitcnt vmcnt(0)
	v_cvt_f64_f32_e32 v[8:9], v1
.LBB512_1277:
	s_mov_b64 s[0:1], 0
.LBB512_1278:
	s_andn2_b64 vcc, exec, s[0:1]
	s_cbranch_vccnz .LBB512_1280
; %bb.1279:
	global_load_ushort v1, v[2:3], off
	s_waitcnt vmcnt(0)
	v_cvt_f32_f16_e32 v1, v1
	v_cvt_f64_f32_e32 v[8:9], v1
.LBB512_1280:
	s_cbranch_execnz .LBB512_1300
.LBB512_1281:
	s_cmp_lt_i32 s28, 2
	s_cbranch_scc1 .LBB512_1285
; %bb.1282:
	s_cmp_lt_i32 s28, 3
	s_cbranch_scc1 .LBB512_1286
; %bb.1283:
	s_cmp_gt_i32 s28, 3
	s_cbranch_scc0 .LBB512_1287
; %bb.1284:
	global_load_dwordx2 v[4:5], v[2:3], off
	s_mov_b64 s[0:1], 0
	s_waitcnt vmcnt(0)
	v_cvt_f64_i32_e32 v[8:9], v5
	v_cvt_f64_u32_e32 v[4:5], v4
	v_ldexp_f64 v[8:9], v[8:9], 32
	v_add_f64 v[8:9], v[8:9], v[4:5]
	s_branch .LBB512_1288
.LBB512_1285:
	s_mov_b64 s[0:1], -1
                                        ; implicit-def: $vgpr8_vgpr9
	s_branch .LBB512_1294
.LBB512_1286:
	s_mov_b64 s[0:1], -1
                                        ; implicit-def: $vgpr8_vgpr9
	s_branch .LBB512_1291
.LBB512_1287:
	s_mov_b64 s[0:1], -1
                                        ; implicit-def: $vgpr8_vgpr9
.LBB512_1288:
	s_andn2_b64 vcc, exec, s[0:1]
	s_cbranch_vccnz .LBB512_1290
; %bb.1289:
	global_load_dword v1, v[2:3], off
	s_waitcnt vmcnt(0)
	v_cvt_f64_i32_e32 v[8:9], v1
.LBB512_1290:
	s_mov_b64 s[0:1], 0
.LBB512_1291:
	s_andn2_b64 vcc, exec, s[0:1]
	s_cbranch_vccnz .LBB512_1293
; %bb.1292:
	global_load_sshort v1, v[2:3], off
	s_waitcnt vmcnt(0)
	v_cvt_f64_i32_e32 v[8:9], v1
.LBB512_1293:
	s_mov_b64 s[0:1], 0
.LBB512_1294:
	s_andn2_b64 vcc, exec, s[0:1]
	s_cbranch_vccnz .LBB512_1300
; %bb.1295:
	s_cmp_gt_i32 s28, 0
	s_cbranch_scc0 .LBB512_1297
; %bb.1296:
	global_load_sbyte v1, v[2:3], off
	s_mov_b64 s[0:1], 0
	s_waitcnt vmcnt(0)
	v_cvt_f64_i32_e32 v[8:9], v1
	s_branch .LBB512_1298
.LBB512_1297:
	s_mov_b64 s[0:1], -1
                                        ; implicit-def: $vgpr8_vgpr9
.LBB512_1298:
	s_andn2_b64 vcc, exec, s[0:1]
	s_cbranch_vccnz .LBB512_1300
; %bb.1299:
	global_load_ubyte v1, v[2:3], off
	s_waitcnt vmcnt(0)
	v_cvt_f64_u32_e32 v[8:9], v1
.LBB512_1300:
.LBB512_1301:
	s_waitcnt vmcnt(0)
	v_cmp_o_f64_e32 vcc, v[8:9], v[8:9]
	v_mov_b64_e32 v[4:5], s[8:9]
	s_and_saveexec_b64 s[0:1], vcc
	s_cbranch_execz .LBB512_1305
; %bb.1302:
	s_mov_b32 s2, 0
	s_mov_b32 s3, 0x7ff00000
	v_cmp_neq_f64_e32 vcc, s[2:3], v[8:9]
	v_mov_b64_e32 v[4:5], s[10:11]
	s_and_saveexec_b64 s[2:3], vcc
; %bb.1303:
	s_mov_b32 s22, 0
	s_mov_b32 s23, 0xfff00000
	v_mov_b32_e32 v1, s15
	v_cmp_eq_f64_e32 vcc, s[22:23], v[8:9]
	s_nop 1
	v_cndmask_b32_e32 v5, v9, v1, vcc
	v_mov_b32_e32 v1, s14
	v_cndmask_b32_e32 v4, v8, v1, vcc
; %bb.1304:
	s_or_b64 exec, exec, s[2:3]
.LBB512_1305:
	s_or_b64 exec, exec, s[0:1]
	v_add_u32_e32 v0, s13, v0
	v_ashrrev_i32_e32 v1, 31, v0
	s_cmp_lt_i32 s28, 11
	v_lshl_add_u64 v[2:3], s[6:7], 0, v[0:1]
	s_cbranch_scc1 .LBB512_1312
; %bb.1306:
	s_cmp_gt_i32 s28, 25
	s_mov_b64 s[2:3], 0
	s_cbranch_scc0 .LBB512_1314
; %bb.1307:
	s_cmp_gt_i32 s28, 28
	s_cbranch_scc0 .LBB512_1315
; %bb.1308:
	s_cmp_gt_i32 s28, 43
	s_cbranch_scc0 .LBB512_1316
; %bb.1309:
	s_cmp_gt_i32 s28, 45
	s_cbranch_scc0 .LBB512_1318
; %bb.1310:
	s_cmp_eq_u32 s28, 46
	s_mov_b64 s[24:25], 0
	s_cbranch_scc0 .LBB512_1319
; %bb.1311:
	global_load_dword v1, v[2:3], off
	s_mov_b64 s[0:1], 0
	s_mov_b64 s[22:23], -1
	s_waitcnt vmcnt(0)
	v_lshlrev_b32_e32 v1, 16, v1
	v_cvt_f64_f32_e32 v[8:9], v1
	s_branch .LBB512_1320
.LBB512_1312:
	s_mov_b64 s[22:23], 0
                                        ; implicit-def: $vgpr8_vgpr9
	s_cbranch_execnz .LBB512_1386
.LBB512_1313:
	s_andn2_b64 vcc, exec, s[22:23]
	s_cbranch_vccnz .LBB512_1650
	s_branch .LBB512_1434
.LBB512_1314:
	s_mov_b64 s[24:25], -1
	s_mov_b64 s[22:23], 0
	s_mov_b64 s[0:1], 0
                                        ; implicit-def: $vgpr8_vgpr9
	s_branch .LBB512_1351
.LBB512_1315:
	s_mov_b64 s[24:25], -1
	s_mov_b64 s[22:23], 0
	s_mov_b64 s[0:1], 0
                                        ; implicit-def: $vgpr8_vgpr9
	s_branch .LBB512_1330
.LBB512_1316:
	s_mov_b64 s[24:25], -1
	s_mov_b64 s[22:23], 0
	s_mov_b64 s[0:1], 0
                                        ; implicit-def: $vgpr8_vgpr9
	s_branch .LBB512_1325
.LBB512_1317:
	s_trap 2
	s_or_b64 s[20:21], s[20:21], exec
	s_cbranch_execz .LBB512_1252
	s_branch .LBB512_1253
.LBB512_1318:
	s_mov_b64 s[24:25], -1
	s_mov_b64 s[22:23], 0
	s_mov_b64 s[0:1], 0
                                        ; implicit-def: $vgpr8_vgpr9
	s_branch .LBB512_1320
.LBB512_1319:
	s_mov_b64 s[0:1], -1
                                        ; implicit-def: $vgpr8_vgpr9
	s_mov_b64 s[22:23], 0
.LBB512_1320:
	s_and_b64 vcc, exec, s[24:25]
	s_cbranch_vccz .LBB512_1324
; %bb.1321:
	s_cmp_eq_u32 s28, 44
	s_cbranch_scc0 .LBB512_1323
; %bb.1322:
	global_load_ubyte v1, v[2:3], off
	s_movk_i32 s22, 0xff
	v_bfrev_b32_e32 v11, 4
	v_mov_b32_e32 v12, 0x7ff80000
	v_bfrev_b32_e32 v13, 28
	s_mov_b64 s[0:1], 0
	s_waitcnt vmcnt(0)
	v_lshlrev_b32_e32 v8, 23, v1
	v_cvt_f64_f32_e32 v[8:9], v8
	v_cmp_ne_u32_e32 vcc, s22, v1
	s_mov_b64 s[22:23], -1
	s_nop 0
	v_cndmask_b32_e32 v8, v11, v8, vcc
	v_cndmask_b32_e32 v9, v12, v9, vcc
	v_cmp_ne_u32_e32 vcc, 0, v1
	s_nop 1
	v_cndmask_b32_e32 v9, v13, v9, vcc
	v_cndmask_b32_e32 v8, 0, v8, vcc
	s_branch .LBB512_1324
.LBB512_1323:
	s_mov_b64 s[0:1], -1
                                        ; implicit-def: $vgpr8_vgpr9
.LBB512_1324:
	s_mov_b64 s[24:25], 0
.LBB512_1325:
	s_and_b64 vcc, exec, s[24:25]
	s_cbranch_vccz .LBB512_1329
; %bb.1326:
	s_cmp_eq_u32 s28, 29
	s_cbranch_scc0 .LBB512_1328
; %bb.1327:
	global_load_dwordx2 v[8:9], v[2:3], off
	s_mov_b64 s[0:1], 0
	s_mov_b64 s[22:23], -1
	s_mov_b64 s[24:25], 0
	s_waitcnt vmcnt(0)
	v_cvt_f64_u32_e32 v[12:13], v9
	v_cvt_f64_u32_e32 v[8:9], v8
	v_ldexp_f64 v[12:13], v[12:13], 32
	v_add_f64 v[8:9], v[12:13], v[8:9]
	s_branch .LBB512_1330
.LBB512_1328:
	s_mov_b64 s[0:1], -1
                                        ; implicit-def: $vgpr8_vgpr9
.LBB512_1329:
	s_mov_b64 s[24:25], 0
.LBB512_1330:
	s_and_b64 vcc, exec, s[24:25]
	s_cbranch_vccz .LBB512_1350
; %bb.1331:
	s_cmp_lt_i32 s28, 27
	s_cbranch_scc1 .LBB512_1334
; %bb.1332:
	s_cmp_gt_i32 s28, 27
	s_cbranch_scc0 .LBB512_1335
; %bb.1333:
	global_load_dword v1, v[2:3], off
	s_mov_b64 s[22:23], 0
	s_waitcnt vmcnt(0)
	v_cvt_f64_u32_e32 v[8:9], v1
	s_branch .LBB512_1336
.LBB512_1334:
	s_mov_b64 s[22:23], -1
                                        ; implicit-def: $vgpr8_vgpr9
	s_branch .LBB512_1339
.LBB512_1335:
	s_mov_b64 s[22:23], -1
                                        ; implicit-def: $vgpr8_vgpr9
.LBB512_1336:
	s_andn2_b64 vcc, exec, s[22:23]
	s_cbranch_vccnz .LBB512_1338
; %bb.1337:
	global_load_ushort v1, v[2:3], off
	s_waitcnt vmcnt(0)
	v_cvt_f64_u32_e32 v[8:9], v1
.LBB512_1338:
	s_mov_b64 s[22:23], 0
.LBB512_1339:
	s_andn2_b64 vcc, exec, s[22:23]
	s_cbranch_vccnz .LBB512_1349
; %bb.1340:
	global_load_ubyte v1, v[2:3], off
	s_movk_i32 s22, 0x7f
	s_waitcnt vmcnt(0)
	v_cmp_lt_i16_e32 vcc, s22, v1
	s_mov_b64 s[22:23], 0
	s_and_saveexec_b64 s[24:25], vcc
	s_xor_b64 s[24:25], exec, s[24:25]
	s_cbranch_execz .LBB512_1344
; %bb.1341:
	s_movk_i32 s22, 0x80
	v_cmp_eq_u16_e32 vcc, s22, v1
	s_mov_b64 s[22:23], -1
	s_and_saveexec_b64 s[26:27], vcc
; %bb.1342:
	s_xor_b64 s[22:23], exec, -1
; %bb.1343:
	s_or_b64 exec, exec, s[26:27]
	s_and_b64 s[22:23], s[22:23], exec
.LBB512_1344:
	s_or_saveexec_b64 s[24:25], s[24:25]
	v_bfrev_b32_e32 v8, 4
	v_mov_b32_e32 v9, 0x7ff80000
	s_xor_b64 exec, exec, s[24:25]
; %bb.1345:
	v_cmp_ne_u16_e32 vcc, 0, v1
	s_andn2_b64 s[22:23], s[22:23], exec
	s_and_b64 s[26:27], vcc, exec
	v_mov_b64_e32 v[8:9], 0
	s_or_b64 s[22:23], s[22:23], s[26:27]
; %bb.1346:
	s_or_b64 exec, exec, s[24:25]
	s_and_saveexec_b64 s[24:25], s[22:23]
	s_cbranch_execz .LBB512_1348
; %bb.1347:
	v_lshlrev_b32_e32 v8, 24, v1
	v_and_b32_e32 v1, 0xffff, v1
	v_and_b32_e32 v9, 7, v1
	v_ffbh_u32_e32 v12, v9
	v_min_u32_e32 v12, 32, v12
	v_subrev_u32_e32 v13, 28, v12
	v_bfe_u32 v11, v1, 3, 4
	v_lshlrev_b32_e32 v1, v13, v1
	v_sub_u32_e32 v12, 29, v12
	v_and_b32_e32 v1, 7, v1
	v_cmp_eq_u32_e32 vcc, 0, v11
	v_and_b32_e32 v8, 0x80000000, v8
	s_nop 0
	v_cndmask_b32_e32 v11, v11, v12, vcc
	v_cndmask_b32_e32 v1, v9, v1, vcc
	v_mov_b32_e32 v9, 0x3b800000
	v_lshlrev_b32_e32 v1, 20, v1
	v_lshl_add_u32 v9, v11, 23, v9
	v_or3_b32 v1, v8, v9, v1
	v_cvt_f64_f32_e32 v[8:9], v1
.LBB512_1348:
	s_or_b64 exec, exec, s[24:25]
.LBB512_1349:
	s_mov_b64 s[22:23], -1
.LBB512_1350:
	s_mov_b64 s[24:25], 0
.LBB512_1351:
	s_and_b64 vcc, exec, s[24:25]
	s_cbranch_vccz .LBB512_1382
; %bb.1352:
	s_cmp_gt_i32 s28, 22
	s_cbranch_scc0 .LBB512_1364
; %bb.1353:
	s_cmp_lt_i32 s28, 24
	s_cbranch_scc1 .LBB512_1365
; %bb.1354:
	s_cmp_gt_i32 s28, 24
	s_cbranch_scc0 .LBB512_1366
; %bb.1355:
	global_load_ubyte v1, v[2:3], off
	s_movk_i32 s2, 0x7f
	s_waitcnt vmcnt(0)
	v_cmp_lt_i16_e32 vcc, s2, v1
	s_mov_b64 s[2:3], 0
	s_and_saveexec_b64 s[22:23], vcc
	s_xor_b64 s[22:23], exec, s[22:23]
	s_cbranch_execz .LBB512_1359
; %bb.1356:
	s_movk_i32 s2, 0x80
	v_cmp_eq_u16_e32 vcc, s2, v1
	s_mov_b64 s[2:3], -1
	s_and_saveexec_b64 s[24:25], vcc
; %bb.1357:
	s_xor_b64 s[2:3], exec, -1
; %bb.1358:
	s_or_b64 exec, exec, s[24:25]
	s_and_b64 s[2:3], s[2:3], exec
.LBB512_1359:
	s_or_saveexec_b64 s[22:23], s[22:23]
	v_bfrev_b32_e32 v8, 4
	v_mov_b32_e32 v9, 0x7ff80000
	s_xor_b64 exec, exec, s[22:23]
; %bb.1360:
	v_cmp_ne_u16_e32 vcc, 0, v1
	s_andn2_b64 s[2:3], s[2:3], exec
	s_and_b64 s[24:25], vcc, exec
	v_mov_b64_e32 v[8:9], 0
	s_or_b64 s[2:3], s[2:3], s[24:25]
; %bb.1361:
	s_or_b64 exec, exec, s[22:23]
	s_and_saveexec_b64 s[22:23], s[2:3]
	s_cbranch_execz .LBB512_1363
; %bb.1362:
	v_lshlrev_b32_e32 v8, 24, v1
	v_and_b32_e32 v1, 0xffff, v1
	v_and_b32_e32 v9, 3, v1
	v_ffbh_u32_e32 v12, v9
	v_min_u32_e32 v12, 32, v12
	v_subrev_u32_e32 v13, 29, v12
	v_bfe_u32 v11, v1, 2, 5
	v_lshlrev_b32_e32 v1, v13, v1
	v_sub_u32_e32 v12, 30, v12
	v_and_b32_e32 v1, 3, v1
	v_cmp_eq_u32_e32 vcc, 0, v11
	v_and_b32_e32 v8, 0x80000000, v8
	s_nop 0
	v_cndmask_b32_e32 v11, v11, v12, vcc
	v_cndmask_b32_e32 v1, v9, v1, vcc
	v_mov_b32_e32 v9, 0x37800000
	v_lshlrev_b32_e32 v1, 21, v1
	v_lshl_add_u32 v9, v11, 23, v9
	v_or3_b32 v1, v8, v9, v1
	v_cvt_f64_f32_e32 v[8:9], v1
.LBB512_1363:
	s_or_b64 exec, exec, s[22:23]
	s_mov_b64 s[2:3], 0
	s_branch .LBB512_1367
.LBB512_1364:
	s_mov_b64 s[2:3], -1
                                        ; implicit-def: $vgpr8_vgpr9
	s_branch .LBB512_1373
.LBB512_1365:
	s_mov_b64 s[2:3], -1
                                        ; implicit-def: $vgpr8_vgpr9
	s_branch .LBB512_1370
.LBB512_1366:
	s_mov_b64 s[2:3], -1
                                        ; implicit-def: $vgpr8_vgpr9
.LBB512_1367:
	s_and_b64 vcc, exec, s[2:3]
	s_cbranch_vccz .LBB512_1369
; %bb.1368:
	global_load_ubyte v1, v[2:3], off
	s_mov_b32 s2, 0x7f800000
	s_waitcnt vmcnt(0)
	v_lshlrev_b32_e32 v1, 24, v1
	v_and_b32_e32 v8, 0x7f000000, v1
	v_ffbh_u32_e32 v9, v8
	v_min_u32_e32 v9, 32, v9
	v_sub_u32_e64 v9, v9, 4 clamp
	v_lshlrev_b32_e32 v12, v9, v8
	v_lshlrev_b32_e32 v9, 23, v9
	v_lshrrev_b32_e32 v12, 4, v12
	v_add_u32_e32 v11, 0x1000000, v8
	v_sub_u32_e32 v9, v12, v9
	v_ashrrev_i32_e32 v11, 8, v11
	v_add_u32_e32 v9, 0x3c000000, v9
	v_and_or_b32 v9, v11, s2, v9
	v_cmp_ne_u32_e32 vcc, 0, v8
	s_brev_b32 s2, 1
	s_nop 0
	v_cndmask_b32_e32 v8, 0, v9, vcc
	v_and_or_b32 v1, v1, s2, v8
	v_cvt_f64_f32_e32 v[8:9], v1
.LBB512_1369:
	s_mov_b64 s[2:3], 0
.LBB512_1370:
	s_andn2_b64 vcc, exec, s[2:3]
	s_cbranch_vccnz .LBB512_1372
; %bb.1371:
	global_load_ubyte v1, v[2:3], off
	s_movk_i32 s2, 0x7f00
	s_brev_b32 s3, 16
	s_waitcnt vmcnt(0)
	v_lshlrev_b16_e32 v8, 8, v1
	v_lshlrev_b32_e32 v1, 25, v1
	v_lshrrev_b32_e32 v9, 4, v1
	v_and_or_b32 v11, v8, s2, 0.5
	v_or_b32_e32 v9, 0x70000000, v9
	v_add_f32_e32 v11, -0.5, v11
	v_mul_f32_e32 v9, 0x7800000, v9
	v_cmp_gt_u32_e32 vcc, s3, v1
	v_bfe_i32 v8, v8, 0, 16
	s_brev_b32 s2, 1
	v_cndmask_b32_e32 v1, v9, v11, vcc
	v_and_or_b32 v1, v8, s2, v1
	v_cvt_f64_f32_e32 v[8:9], v1
.LBB512_1372:
	s_mov_b64 s[2:3], 0
	s_mov_b64 s[22:23], -1
.LBB512_1373:
	s_andn2_b64 vcc, exec, s[2:3]
	s_mov_b64 s[2:3], 0
	s_cbranch_vccnz .LBB512_1382
; %bb.1374:
	s_cmp_gt_i32 s28, 14
	s_cbranch_scc0 .LBB512_1377
; %bb.1375:
	s_cmp_eq_u32 s28, 15
	s_cbranch_scc0 .LBB512_1378
; %bb.1376:
	global_load_ushort v1, v[2:3], off
	s_mov_b64 s[0:1], 0
	s_mov_b64 s[22:23], -1
	s_waitcnt vmcnt(0)
	v_lshlrev_b32_e32 v1, 16, v1
	v_cvt_f64_f32_e32 v[8:9], v1
	s_branch .LBB512_1379
.LBB512_1377:
	s_mov_b64 s[24:25], -1
                                        ; implicit-def: $vgpr8_vgpr9
	s_branch .LBB512_1380
.LBB512_1378:
	s_mov_b64 s[0:1], -1
                                        ; implicit-def: $vgpr8_vgpr9
.LBB512_1379:
	s_mov_b64 s[24:25], 0
.LBB512_1380:
	s_and_b64 vcc, exec, s[24:25]
	s_cbranch_vccz .LBB512_1382
; %bb.1381:
	s_cmp_lg_u32 s28, 11
	s_mov_b64 s[2:3], -1
	s_cselect_b64 s[0:1], -1, 0
.LBB512_1382:
	s_and_b64 vcc, exec, s[0:1]
	s_cbranch_vccnz .LBB512_1449
; %bb.1383:
	s_andn2_b64 vcc, exec, s[2:3]
	s_cbranch_vccnz .LBB512_1385
.LBB512_1384:
	global_load_ubyte v1, v[2:3], off
	v_mov_b32_e32 v9, 0x3ff00000
	v_mov_b32_e32 v8, 0
	s_mov_b64 s[22:23], -1
	s_waitcnt vmcnt(0)
	v_cmp_ne_u16_e32 vcc, 0, v1
	s_nop 1
	v_cndmask_b32_e32 v9, 0, v9, vcc
.LBB512_1385:
	s_branch .LBB512_1313
.LBB512_1386:
	s_cmp_lt_i32 s28, 5
	s_cbranch_scc1 .LBB512_1391
; %bb.1387:
	s_cmp_lt_i32 s28, 8
	s_cbranch_scc1 .LBB512_1392
; %bb.1388:
	;; [unrolled: 3-line block ×3, first 2 shown]
	s_cmp_gt_i32 s28, 9
	s_cbranch_scc0 .LBB512_1394
; %bb.1390:
	global_load_dwordx2 v[8:9], v[2:3], off
	s_mov_b64 s[0:1], 0
	s_branch .LBB512_1395
.LBB512_1391:
	s_mov_b64 s[0:1], -1
                                        ; implicit-def: $vgpr8_vgpr9
	s_branch .LBB512_1413
.LBB512_1392:
	s_mov_b64 s[0:1], -1
                                        ; implicit-def: $vgpr8_vgpr9
	s_branch .LBB512_1401
.LBB512_1393:
	s_mov_b64 s[0:1], -1
                                        ; implicit-def: $vgpr8_vgpr9
	s_branch .LBB512_1398
.LBB512_1394:
	s_mov_b64 s[0:1], -1
                                        ; implicit-def: $vgpr8_vgpr9
.LBB512_1395:
	s_andn2_b64 vcc, exec, s[0:1]
	s_cbranch_vccnz .LBB512_1397
; %bb.1396:
	global_load_dword v1, v[2:3], off
	s_waitcnt vmcnt(0)
	v_cvt_f64_f32_e32 v[8:9], v1
.LBB512_1397:
	s_mov_b64 s[0:1], 0
.LBB512_1398:
	s_andn2_b64 vcc, exec, s[0:1]
	s_cbranch_vccnz .LBB512_1400
; %bb.1399:
	global_load_dword v1, v[2:3], off
	s_waitcnt vmcnt(0)
	v_cvt_f32_f16_e32 v1, v1
	v_cvt_f64_f32_e32 v[8:9], v1
.LBB512_1400:
	s_mov_b64 s[0:1], 0
.LBB512_1401:
	s_andn2_b64 vcc, exec, s[0:1]
	s_cbranch_vccnz .LBB512_1412
; %bb.1402:
	s_cmp_lt_i32 s28, 6
	s_cbranch_scc1 .LBB512_1405
; %bb.1403:
	s_cmp_gt_i32 s28, 6
	s_cbranch_scc0 .LBB512_1406
; %bb.1404:
	global_load_dwordx2 v[8:9], v[2:3], off
	s_mov_b64 s[0:1], 0
	s_branch .LBB512_1407
.LBB512_1405:
	s_mov_b64 s[0:1], -1
                                        ; implicit-def: $vgpr8_vgpr9
	s_branch .LBB512_1410
.LBB512_1406:
	s_mov_b64 s[0:1], -1
                                        ; implicit-def: $vgpr8_vgpr9
.LBB512_1407:
	s_andn2_b64 vcc, exec, s[0:1]
	s_cbranch_vccnz .LBB512_1409
; %bb.1408:
	global_load_dword v1, v[2:3], off
	s_waitcnt vmcnt(0)
	v_cvt_f64_f32_e32 v[8:9], v1
.LBB512_1409:
	s_mov_b64 s[0:1], 0
.LBB512_1410:
	s_andn2_b64 vcc, exec, s[0:1]
	s_cbranch_vccnz .LBB512_1412
; %bb.1411:
	global_load_ushort v1, v[2:3], off
	s_waitcnt vmcnt(0)
	v_cvt_f32_f16_e32 v1, v1
	v_cvt_f64_f32_e32 v[8:9], v1
.LBB512_1412:
	s_mov_b64 s[0:1], 0
.LBB512_1413:
	s_andn2_b64 vcc, exec, s[0:1]
	s_cbranch_vccnz .LBB512_1433
; %bb.1414:
	s_cmp_lt_i32 s28, 2
	s_cbranch_scc1 .LBB512_1418
; %bb.1415:
	s_cmp_lt_i32 s28, 3
	s_cbranch_scc1 .LBB512_1419
; %bb.1416:
	s_cmp_gt_i32 s28, 3
	s_cbranch_scc0 .LBB512_1420
; %bb.1417:
	global_load_dwordx2 v[8:9], v[2:3], off
	s_mov_b64 s[0:1], 0
	s_waitcnt vmcnt(0)
	v_cvt_f64_i32_e32 v[12:13], v9
	v_cvt_f64_u32_e32 v[8:9], v8
	v_ldexp_f64 v[12:13], v[12:13], 32
	v_add_f64 v[8:9], v[12:13], v[8:9]
	s_branch .LBB512_1421
.LBB512_1418:
	s_mov_b64 s[0:1], -1
                                        ; implicit-def: $vgpr8_vgpr9
	s_branch .LBB512_1427
.LBB512_1419:
	s_mov_b64 s[0:1], -1
                                        ; implicit-def: $vgpr8_vgpr9
	s_branch .LBB512_1424
.LBB512_1420:
	s_mov_b64 s[0:1], -1
                                        ; implicit-def: $vgpr8_vgpr9
.LBB512_1421:
	s_andn2_b64 vcc, exec, s[0:1]
	s_cbranch_vccnz .LBB512_1423
; %bb.1422:
	global_load_dword v1, v[2:3], off
	s_waitcnt vmcnt(0)
	v_cvt_f64_i32_e32 v[8:9], v1
.LBB512_1423:
	s_mov_b64 s[0:1], 0
.LBB512_1424:
	s_andn2_b64 vcc, exec, s[0:1]
	s_cbranch_vccnz .LBB512_1426
; %bb.1425:
	global_load_sshort v1, v[2:3], off
	s_waitcnt vmcnt(0)
	v_cvt_f64_i32_e32 v[8:9], v1
.LBB512_1426:
	s_mov_b64 s[0:1], 0
.LBB512_1427:
	s_andn2_b64 vcc, exec, s[0:1]
	s_cbranch_vccnz .LBB512_1433
; %bb.1428:
	s_cmp_gt_i32 s28, 0
	s_cbranch_scc0 .LBB512_1430
; %bb.1429:
	global_load_sbyte v1, v[2:3], off
	s_mov_b64 s[0:1], 0
	s_waitcnt vmcnt(0)
	v_cvt_f64_i32_e32 v[8:9], v1
	s_branch .LBB512_1431
.LBB512_1430:
	s_mov_b64 s[0:1], -1
                                        ; implicit-def: $vgpr8_vgpr9
.LBB512_1431:
	s_andn2_b64 vcc, exec, s[0:1]
	s_cbranch_vccnz .LBB512_1433
; %bb.1432:
	global_load_ubyte v1, v[2:3], off
	s_waitcnt vmcnt(0)
	v_cvt_f64_u32_e32 v[8:9], v1
.LBB512_1433:
.LBB512_1434:
	s_waitcnt vmcnt(0)
	v_cmp_o_f64_e32 vcc, v[8:9], v[8:9]
	v_mov_b64_e32 v[2:3], s[8:9]
	s_and_saveexec_b64 s[0:1], vcc
	s_cbranch_execz .LBB512_1438
; %bb.1435:
	s_mov_b32 s2, 0
	s_mov_b32 s3, 0x7ff00000
	v_cmp_neq_f64_e32 vcc, s[2:3], v[8:9]
	v_mov_b64_e32 v[2:3], s[10:11]
	s_and_saveexec_b64 s[2:3], vcc
; %bb.1436:
	s_mov_b32 s22, 0
	s_mov_b32 s23, 0xfff00000
	v_mov_b32_e32 v1, s15
	v_cmp_eq_f64_e32 vcc, s[22:23], v[8:9]
	s_nop 1
	v_cndmask_b32_e32 v3, v9, v1, vcc
	v_mov_b32_e32 v1, s14
	v_cndmask_b32_e32 v2, v8, v1, vcc
; %bb.1437:
	s_or_b64 exec, exec, s[2:3]
.LBB512_1438:
	s_or_b64 exec, exec, s[0:1]
	v_add_u32_e32 v0, s13, v0
	v_ashrrev_i32_e32 v1, 31, v0
	s_cmp_lt_i32 s28, 11
	v_lshl_add_u64 v[0:1], s[6:7], 0, v[0:1]
	s_cbranch_scc1 .LBB512_1445
; %bb.1439:
	s_cmp_gt_i32 s28, 25
	s_mov_b64 s[2:3], 0
	s_cbranch_scc0 .LBB512_1446
; %bb.1440:
	s_cmp_gt_i32 s28, 28
	s_cbranch_scc0 .LBB512_1447
; %bb.1441:
	s_cmp_gt_i32 s28, 43
	;; [unrolled: 3-line block ×3, first 2 shown]
	s_cbranch_scc0 .LBB512_1450
; %bb.1443:
	s_cmp_eq_u32 s28, 46
	s_mov_b64 s[22:23], 0
	s_cbranch_scc0 .LBB512_1451
; %bb.1444:
	global_load_dword v8, v[0:1], off
	s_mov_b64 s[0:1], 0
	s_mov_b64 s[6:7], -1
	s_waitcnt vmcnt(0)
	v_lshlrev_b32_e32 v8, 16, v8
	v_cvt_f64_f32_e32 v[8:9], v8
	s_branch .LBB512_1452
.LBB512_1445:
	s_mov_b64 s[0:1], -1
	s_mov_b64 s[6:7], 0
                                        ; implicit-def: $vgpr8_vgpr9
	s_branch .LBB512_1518
.LBB512_1446:
	s_mov_b64 s[22:23], -1
	s_mov_b64 s[6:7], 0
	s_mov_b64 s[0:1], 0
                                        ; implicit-def: $vgpr8_vgpr9
	s_branch .LBB512_1483
.LBB512_1447:
	s_mov_b64 s[22:23], -1
	s_mov_b64 s[6:7], 0
	s_mov_b64 s[0:1], 0
                                        ; implicit-def: $vgpr8_vgpr9
	s_branch .LBB512_1462
.LBB512_1448:
	s_mov_b64 s[22:23], -1
	s_mov_b64 s[6:7], 0
	s_mov_b64 s[0:1], 0
                                        ; implicit-def: $vgpr8_vgpr9
	s_branch .LBB512_1457
.LBB512_1449:
	s_trap 2
	s_or_b64 s[20:21], s[20:21], exec
	s_cbranch_execz .LBB512_1384
	s_branch .LBB512_1385
.LBB512_1450:
	s_mov_b64 s[22:23], -1
	s_mov_b64 s[6:7], 0
	s_mov_b64 s[0:1], 0
                                        ; implicit-def: $vgpr8_vgpr9
	s_branch .LBB512_1452
.LBB512_1451:
	s_mov_b64 s[0:1], -1
                                        ; implicit-def: $vgpr8_vgpr9
	s_mov_b64 s[6:7], 0
.LBB512_1452:
	s_and_b64 vcc, exec, s[22:23]
	s_cbranch_vccz .LBB512_1456
; %bb.1453:
	s_cmp_eq_u32 s28, 44
	s_cbranch_scc0 .LBB512_1455
; %bb.1454:
	global_load_ubyte v11, v[0:1], off
	s_movk_i32 s6, 0xff
	v_bfrev_b32_e32 v12, 4
	v_mov_b32_e32 v13, 0x7ff80000
	v_bfrev_b32_e32 v14, 28
	s_mov_b64 s[0:1], 0
	s_waitcnt vmcnt(0)
	v_lshlrev_b32_e32 v8, 23, v11
	v_cvt_f64_f32_e32 v[8:9], v8
	v_cmp_ne_u32_e32 vcc, s6, v11
	s_mov_b64 s[6:7], -1
	s_nop 0
	v_cndmask_b32_e32 v8, v12, v8, vcc
	v_cndmask_b32_e32 v9, v13, v9, vcc
	v_cmp_ne_u32_e32 vcc, 0, v11
	s_nop 1
	v_cndmask_b32_e32 v9, v14, v9, vcc
	v_cndmask_b32_e32 v8, 0, v8, vcc
	s_branch .LBB512_1456
.LBB512_1455:
	s_mov_b64 s[0:1], -1
                                        ; implicit-def: $vgpr8_vgpr9
.LBB512_1456:
	s_mov_b64 s[22:23], 0
.LBB512_1457:
	s_and_b64 vcc, exec, s[22:23]
	s_cbranch_vccz .LBB512_1461
; %bb.1458:
	s_cmp_eq_u32 s28, 29
	s_cbranch_scc0 .LBB512_1460
; %bb.1459:
	global_load_dwordx2 v[8:9], v[0:1], off
	s_mov_b64 s[0:1], 0
	s_mov_b64 s[6:7], -1
	s_mov_b64 s[22:23], 0
	s_waitcnt vmcnt(0)
	v_cvt_f64_u32_e32 v[12:13], v9
	v_cvt_f64_u32_e32 v[8:9], v8
	v_ldexp_f64 v[12:13], v[12:13], 32
	v_add_f64 v[8:9], v[12:13], v[8:9]
	s_branch .LBB512_1462
.LBB512_1460:
	s_mov_b64 s[0:1], -1
                                        ; implicit-def: $vgpr8_vgpr9
.LBB512_1461:
	s_mov_b64 s[22:23], 0
.LBB512_1462:
	s_and_b64 vcc, exec, s[22:23]
	s_cbranch_vccz .LBB512_1482
; %bb.1463:
	s_cmp_lt_i32 s28, 27
	s_cbranch_scc1 .LBB512_1466
; %bb.1464:
	s_cmp_gt_i32 s28, 27
	s_cbranch_scc0 .LBB512_1467
; %bb.1465:
	global_load_dword v8, v[0:1], off
	s_mov_b64 s[6:7], 0
	s_waitcnt vmcnt(0)
	v_cvt_f64_u32_e32 v[8:9], v8
	s_branch .LBB512_1468
.LBB512_1466:
	s_mov_b64 s[6:7], -1
                                        ; implicit-def: $vgpr8_vgpr9
	s_branch .LBB512_1471
.LBB512_1467:
	s_mov_b64 s[6:7], -1
                                        ; implicit-def: $vgpr8_vgpr9
.LBB512_1468:
	s_andn2_b64 vcc, exec, s[6:7]
	s_cbranch_vccnz .LBB512_1470
; %bb.1469:
	global_load_ushort v8, v[0:1], off
	s_waitcnt vmcnt(0)
	v_cvt_f64_u32_e32 v[8:9], v8
.LBB512_1470:
	s_mov_b64 s[6:7], 0
.LBB512_1471:
	s_andn2_b64 vcc, exec, s[6:7]
	s_cbranch_vccnz .LBB512_1481
; %bb.1472:
	global_load_ubyte v11, v[0:1], off
	s_movk_i32 s6, 0x7f
	s_waitcnt vmcnt(0)
	v_cmp_lt_i16_e32 vcc, s6, v11
	s_mov_b64 s[6:7], 0
	s_and_saveexec_b64 s[22:23], vcc
	s_xor_b64 s[22:23], exec, s[22:23]
	s_cbranch_execz .LBB512_1476
; %bb.1473:
	s_movk_i32 s6, 0x80
	v_cmp_eq_u16_e32 vcc, s6, v11
	s_mov_b64 s[6:7], -1
	s_and_saveexec_b64 s[24:25], vcc
; %bb.1474:
	s_xor_b64 s[6:7], exec, -1
; %bb.1475:
	s_or_b64 exec, exec, s[24:25]
	s_and_b64 s[6:7], s[6:7], exec
.LBB512_1476:
	s_or_saveexec_b64 s[22:23], s[22:23]
	v_bfrev_b32_e32 v8, 4
	v_mov_b32_e32 v9, 0x7ff80000
	s_xor_b64 exec, exec, s[22:23]
; %bb.1477:
	v_cmp_ne_u16_e32 vcc, 0, v11
	s_andn2_b64 s[6:7], s[6:7], exec
	s_and_b64 s[24:25], vcc, exec
	v_mov_b64_e32 v[8:9], 0
	s_or_b64 s[6:7], s[6:7], s[24:25]
; %bb.1478:
	s_or_b64 exec, exec, s[22:23]
	s_and_saveexec_b64 s[22:23], s[6:7]
	s_cbranch_execz .LBB512_1480
; %bb.1479:
	v_and_b32_e32 v9, 0xffff, v11
	v_lshlrev_b32_e32 v8, 24, v11
	v_and_b32_e32 v11, 7, v9
	v_ffbh_u32_e32 v13, v11
	v_min_u32_e32 v13, 32, v13
	v_subrev_u32_e32 v14, 28, v13
	v_bfe_u32 v12, v9, 3, 4
	v_lshlrev_b32_e32 v9, v14, v9
	v_sub_u32_e32 v13, 29, v13
	v_and_b32_e32 v9, 7, v9
	v_cmp_eq_u32_e32 vcc, 0, v12
	v_and_b32_e32 v8, 0x80000000, v8
	s_nop 0
	v_cndmask_b32_e32 v12, v12, v13, vcc
	v_cndmask_b32_e32 v9, v11, v9, vcc
	v_mov_b32_e32 v11, 0x3b800000
	v_lshlrev_b32_e32 v9, 20, v9
	v_lshl_add_u32 v11, v12, 23, v11
	v_or3_b32 v8, v8, v11, v9
	v_cvt_f64_f32_e32 v[8:9], v8
.LBB512_1480:
	s_or_b64 exec, exec, s[22:23]
.LBB512_1481:
	s_mov_b64 s[6:7], -1
.LBB512_1482:
	s_mov_b64 s[22:23], 0
.LBB512_1483:
	s_and_b64 vcc, exec, s[22:23]
	s_cbranch_vccz .LBB512_1514
; %bb.1484:
	s_cmp_gt_i32 s28, 22
	s_cbranch_scc0 .LBB512_1496
; %bb.1485:
	s_cmp_lt_i32 s28, 24
	s_cbranch_scc1 .LBB512_1497
; %bb.1486:
	s_cmp_gt_i32 s28, 24
	s_cbranch_scc0 .LBB512_1498
; %bb.1487:
	global_load_ubyte v11, v[0:1], off
	s_movk_i32 s2, 0x7f
	s_waitcnt vmcnt(0)
	v_cmp_lt_i16_e32 vcc, s2, v11
	s_mov_b64 s[2:3], 0
	s_and_saveexec_b64 s[6:7], vcc
	s_xor_b64 s[6:7], exec, s[6:7]
	s_cbranch_execz .LBB512_1491
; %bb.1488:
	s_movk_i32 s2, 0x80
	v_cmp_eq_u16_e32 vcc, s2, v11
	s_mov_b64 s[2:3], -1
	s_and_saveexec_b64 s[22:23], vcc
; %bb.1489:
	s_xor_b64 s[2:3], exec, -1
; %bb.1490:
	s_or_b64 exec, exec, s[22:23]
	s_and_b64 s[2:3], s[2:3], exec
.LBB512_1491:
	s_or_saveexec_b64 s[6:7], s[6:7]
	v_bfrev_b32_e32 v8, 4
	v_mov_b32_e32 v9, 0x7ff80000
	s_xor_b64 exec, exec, s[6:7]
; %bb.1492:
	v_cmp_ne_u16_e32 vcc, 0, v11
	s_andn2_b64 s[2:3], s[2:3], exec
	s_and_b64 s[22:23], vcc, exec
	v_mov_b64_e32 v[8:9], 0
	s_or_b64 s[2:3], s[2:3], s[22:23]
; %bb.1493:
	s_or_b64 exec, exec, s[6:7]
	s_and_saveexec_b64 s[6:7], s[2:3]
	s_cbranch_execz .LBB512_1495
; %bb.1494:
	v_and_b32_e32 v9, 0xffff, v11
	v_lshlrev_b32_e32 v8, 24, v11
	v_and_b32_e32 v11, 3, v9
	v_ffbh_u32_e32 v13, v11
	v_min_u32_e32 v13, 32, v13
	v_subrev_u32_e32 v14, 29, v13
	v_bfe_u32 v12, v9, 2, 5
	v_lshlrev_b32_e32 v9, v14, v9
	v_sub_u32_e32 v13, 30, v13
	v_and_b32_e32 v9, 3, v9
	v_cmp_eq_u32_e32 vcc, 0, v12
	v_and_b32_e32 v8, 0x80000000, v8
	s_nop 0
	v_cndmask_b32_e32 v12, v12, v13, vcc
	v_cndmask_b32_e32 v9, v11, v9, vcc
	v_mov_b32_e32 v11, 0x37800000
	v_lshlrev_b32_e32 v9, 21, v9
	v_lshl_add_u32 v11, v12, 23, v11
	v_or3_b32 v8, v8, v11, v9
	v_cvt_f64_f32_e32 v[8:9], v8
.LBB512_1495:
	s_or_b64 exec, exec, s[6:7]
	s_mov_b64 s[2:3], 0
	s_branch .LBB512_1499
.LBB512_1496:
	s_mov_b64 s[2:3], -1
                                        ; implicit-def: $vgpr8_vgpr9
	s_branch .LBB512_1505
.LBB512_1497:
	s_mov_b64 s[2:3], -1
                                        ; implicit-def: $vgpr8_vgpr9
	s_branch .LBB512_1502
.LBB512_1498:
	s_mov_b64 s[2:3], -1
                                        ; implicit-def: $vgpr8_vgpr9
.LBB512_1499:
	s_and_b64 vcc, exec, s[2:3]
	s_cbranch_vccz .LBB512_1501
; %bb.1500:
	global_load_ubyte v8, v[0:1], off
	s_mov_b32 s2, 0x7f800000
	s_waitcnt vmcnt(0)
	v_lshlrev_b32_e32 v8, 24, v8
	v_and_b32_e32 v9, 0x7f000000, v8
	v_ffbh_u32_e32 v11, v9
	v_min_u32_e32 v11, 32, v11
	v_sub_u32_e64 v11, v11, 4 clamp
	v_lshlrev_b32_e32 v13, v11, v9
	v_lshlrev_b32_e32 v11, 23, v11
	v_lshrrev_b32_e32 v13, 4, v13
	v_add_u32_e32 v12, 0x1000000, v9
	v_sub_u32_e32 v11, v13, v11
	v_ashrrev_i32_e32 v12, 8, v12
	v_add_u32_e32 v11, 0x3c000000, v11
	v_and_or_b32 v11, v12, s2, v11
	v_cmp_ne_u32_e32 vcc, 0, v9
	s_brev_b32 s2, 1
	s_nop 0
	v_cndmask_b32_e32 v9, 0, v11, vcc
	v_and_or_b32 v8, v8, s2, v9
	v_cvt_f64_f32_e32 v[8:9], v8
.LBB512_1501:
	s_mov_b64 s[2:3], 0
.LBB512_1502:
	s_andn2_b64 vcc, exec, s[2:3]
	s_cbranch_vccnz .LBB512_1504
; %bb.1503:
	global_load_ubyte v8, v[0:1], off
	s_movk_i32 s2, 0x7f00
	s_brev_b32 s3, 16
	s_waitcnt vmcnt(0)
	v_lshlrev_b16_e32 v9, 8, v8
	v_lshlrev_b32_e32 v8, 25, v8
	v_lshrrev_b32_e32 v11, 4, v8
	v_and_or_b32 v12, v9, s2, 0.5
	v_or_b32_e32 v11, 0x70000000, v11
	v_add_f32_e32 v12, -0.5, v12
	v_mul_f32_e32 v11, 0x7800000, v11
	v_cmp_gt_u32_e32 vcc, s3, v8
	v_bfe_i32 v9, v9, 0, 16
	s_brev_b32 s2, 1
	v_cndmask_b32_e32 v8, v11, v12, vcc
	v_and_or_b32 v8, v9, s2, v8
	v_cvt_f64_f32_e32 v[8:9], v8
.LBB512_1504:
	s_mov_b64 s[2:3], 0
	s_mov_b64 s[6:7], -1
.LBB512_1505:
	s_andn2_b64 vcc, exec, s[2:3]
	s_mov_b64 s[2:3], 0
	s_cbranch_vccnz .LBB512_1514
; %bb.1506:
	s_cmp_gt_i32 s28, 14
	s_cbranch_scc0 .LBB512_1509
; %bb.1507:
	s_cmp_eq_u32 s28, 15
	s_cbranch_scc0 .LBB512_1510
; %bb.1508:
	global_load_ushort v8, v[0:1], off
	s_mov_b64 s[0:1], 0
	s_mov_b64 s[6:7], -1
	s_waitcnt vmcnt(0)
	v_lshlrev_b32_e32 v8, 16, v8
	v_cvt_f64_f32_e32 v[8:9], v8
	s_branch .LBB512_1511
.LBB512_1509:
	s_mov_b64 s[22:23], -1
                                        ; implicit-def: $vgpr8_vgpr9
	s_branch .LBB512_1512
.LBB512_1510:
	s_mov_b64 s[0:1], -1
                                        ; implicit-def: $vgpr8_vgpr9
.LBB512_1511:
	s_mov_b64 s[22:23], 0
.LBB512_1512:
	s_and_b64 vcc, exec, s[22:23]
	s_cbranch_vccz .LBB512_1514
; %bb.1513:
	s_cmp_lg_u32 s28, 11
	s_mov_b64 s[2:3], -1
	s_cselect_b64 s[0:1], -1, 0
.LBB512_1514:
	s_and_b64 vcc, exec, s[0:1]
	s_cbranch_vccnz .LBB512_2053
; %bb.1515:
	s_andn2_b64 vcc, exec, s[2:3]
	s_cbranch_vccnz .LBB512_1517
.LBB512_1516:
	global_load_ubyte v9, v[0:1], off
	v_mov_b32_e32 v11, 0x3ff00000
	v_mov_b32_e32 v8, 0
	s_mov_b64 s[6:7], -1
	s_waitcnt vmcnt(0)
	v_cmp_ne_u16_e32 vcc, 0, v9
	s_nop 1
	v_cndmask_b32_e32 v9, 0, v11, vcc
.LBB512_1517:
	s_mov_b64 s[0:1], 0
.LBB512_1518:
	s_and_b64 vcc, exec, s[0:1]
	s_cbranch_vccz .LBB512_1567
; %bb.1519:
	s_cmp_lt_i32 s28, 5
	s_cbranch_scc1 .LBB512_1524
; %bb.1520:
	s_cmp_lt_i32 s28, 8
	s_cbranch_scc1 .LBB512_1525
	;; [unrolled: 3-line block ×3, first 2 shown]
; %bb.1522:
	s_cmp_gt_i32 s28, 9
	s_cbranch_scc0 .LBB512_1527
; %bb.1523:
	global_load_dwordx2 v[8:9], v[0:1], off
	s_mov_b64 s[0:1], 0
	s_branch .LBB512_1528
.LBB512_1524:
	s_mov_b64 s[0:1], -1
                                        ; implicit-def: $vgpr8_vgpr9
	s_branch .LBB512_1546
.LBB512_1525:
	s_mov_b64 s[0:1], -1
                                        ; implicit-def: $vgpr8_vgpr9
	s_branch .LBB512_1534
.LBB512_1526:
	s_mov_b64 s[0:1], -1
                                        ; implicit-def: $vgpr8_vgpr9
	s_branch .LBB512_1531
.LBB512_1527:
	s_mov_b64 s[0:1], -1
                                        ; implicit-def: $vgpr8_vgpr9
.LBB512_1528:
	s_andn2_b64 vcc, exec, s[0:1]
	s_cbranch_vccnz .LBB512_1530
; %bb.1529:
	global_load_dword v8, v[0:1], off
	s_waitcnt vmcnt(0)
	v_cvt_f64_f32_e32 v[8:9], v8
.LBB512_1530:
	s_mov_b64 s[0:1], 0
.LBB512_1531:
	s_andn2_b64 vcc, exec, s[0:1]
	s_cbranch_vccnz .LBB512_1533
; %bb.1532:
	global_load_dword v8, v[0:1], off
	s_waitcnt vmcnt(0)
	v_cvt_f32_f16_e32 v8, v8
	v_cvt_f64_f32_e32 v[8:9], v8
.LBB512_1533:
	s_mov_b64 s[0:1], 0
.LBB512_1534:
	s_andn2_b64 vcc, exec, s[0:1]
	s_cbranch_vccnz .LBB512_1545
; %bb.1535:
	s_cmp_lt_i32 s28, 6
	s_cbranch_scc1 .LBB512_1538
; %bb.1536:
	s_cmp_gt_i32 s28, 6
	s_cbranch_scc0 .LBB512_1539
; %bb.1537:
	global_load_dwordx2 v[8:9], v[0:1], off
	s_mov_b64 s[0:1], 0
	s_branch .LBB512_1540
.LBB512_1538:
	s_mov_b64 s[0:1], -1
                                        ; implicit-def: $vgpr8_vgpr9
	s_branch .LBB512_1543
.LBB512_1539:
	s_mov_b64 s[0:1], -1
                                        ; implicit-def: $vgpr8_vgpr9
.LBB512_1540:
	s_andn2_b64 vcc, exec, s[0:1]
	s_cbranch_vccnz .LBB512_1542
; %bb.1541:
	global_load_dword v8, v[0:1], off
	s_waitcnt vmcnt(0)
	v_cvt_f64_f32_e32 v[8:9], v8
.LBB512_1542:
	s_mov_b64 s[0:1], 0
.LBB512_1543:
	s_andn2_b64 vcc, exec, s[0:1]
	s_cbranch_vccnz .LBB512_1545
; %bb.1544:
	global_load_ushort v8, v[0:1], off
	s_waitcnt vmcnt(0)
	v_cvt_f32_f16_e32 v8, v8
	v_cvt_f64_f32_e32 v[8:9], v8
.LBB512_1545:
	s_mov_b64 s[0:1], 0
.LBB512_1546:
	s_andn2_b64 vcc, exec, s[0:1]
	s_cbranch_vccnz .LBB512_1566
; %bb.1547:
	s_cmp_lt_i32 s28, 2
	s_cbranch_scc1 .LBB512_1551
; %bb.1548:
	s_cmp_lt_i32 s28, 3
	s_cbranch_scc1 .LBB512_1552
; %bb.1549:
	s_cmp_gt_i32 s28, 3
	s_cbranch_scc0 .LBB512_1553
; %bb.1550:
	global_load_dwordx2 v[8:9], v[0:1], off
	s_mov_b64 s[0:1], 0
	s_waitcnt vmcnt(0)
	v_cvt_f64_i32_e32 v[12:13], v9
	v_cvt_f64_u32_e32 v[8:9], v8
	v_ldexp_f64 v[12:13], v[12:13], 32
	v_add_f64 v[8:9], v[12:13], v[8:9]
	s_branch .LBB512_1554
.LBB512_1551:
	s_mov_b64 s[0:1], -1
                                        ; implicit-def: $vgpr8_vgpr9
	s_branch .LBB512_1560
.LBB512_1552:
	s_mov_b64 s[0:1], -1
                                        ; implicit-def: $vgpr8_vgpr9
	s_branch .LBB512_1557
.LBB512_1553:
	s_mov_b64 s[0:1], -1
                                        ; implicit-def: $vgpr8_vgpr9
.LBB512_1554:
	s_andn2_b64 vcc, exec, s[0:1]
	s_cbranch_vccnz .LBB512_1556
; %bb.1555:
	global_load_dword v8, v[0:1], off
	s_waitcnt vmcnt(0)
	v_cvt_f64_i32_e32 v[8:9], v8
.LBB512_1556:
	s_mov_b64 s[0:1], 0
.LBB512_1557:
	s_andn2_b64 vcc, exec, s[0:1]
	s_cbranch_vccnz .LBB512_1559
; %bb.1558:
	global_load_sshort v8, v[0:1], off
	s_waitcnt vmcnt(0)
	v_cvt_f64_i32_e32 v[8:9], v8
.LBB512_1559:
	s_mov_b64 s[0:1], 0
.LBB512_1560:
	s_andn2_b64 vcc, exec, s[0:1]
	s_cbranch_vccnz .LBB512_1566
; %bb.1561:
	s_cmp_gt_i32 s28, 0
	s_cbranch_scc0 .LBB512_1563
; %bb.1562:
	global_load_sbyte v8, v[0:1], off
	s_mov_b64 s[0:1], 0
	s_waitcnt vmcnt(0)
	v_cvt_f64_i32_e32 v[8:9], v8
	s_branch .LBB512_1564
.LBB512_1563:
	s_mov_b64 s[0:1], -1
                                        ; implicit-def: $vgpr8_vgpr9
.LBB512_1564:
	s_andn2_b64 vcc, exec, s[0:1]
	s_cbranch_vccnz .LBB512_1566
; %bb.1565:
	global_load_ubyte v0, v[0:1], off
	s_waitcnt vmcnt(0)
	v_cvt_f64_u32_e32 v[8:9], v0
.LBB512_1566:
	s_mov_b64 s[6:7], -1
.LBB512_1567:
	s_andn2_b64 vcc, exec, s[6:7]
	s_cbranch_vccnz .LBB512_1650
; %bb.1568:
	s_waitcnt vmcnt(0)
	v_cmp_o_f64_e32 vcc, v[8:9], v[8:9]
	v_mov_b64_e32 v[0:1], s[8:9]
	s_and_saveexec_b64 s[0:1], vcc
	s_cbranch_execz .LBB512_1572
; %bb.1569:
	s_mov_b32 s2, 0
	s_mov_b32 s3, 0x7ff00000
	v_cmp_neq_f64_e32 vcc, s[2:3], v[8:9]
	v_mov_b64_e32 v[0:1], s[10:11]
	s_and_saveexec_b64 s[2:3], vcc
; %bb.1570:
	s_mov_b32 s6, 0
	s_mov_b32 s7, 0xfff00000
	v_mov_b32_e32 v0, s15
	v_cmp_eq_f64_e32 vcc, s[6:7], v[8:9]
	s_nop 1
	v_cndmask_b32_e32 v1, v9, v0, vcc
	v_mov_b32_e32 v0, s14
	v_cndmask_b32_e32 v0, v8, v0, vcc
; %bb.1571:
	s_or_b64 exec, exec, s[2:3]
.LBB512_1572:
	s_or_b64 exec, exec, s[0:1]
	v_mul_lo_u32 v10, s12, v10
	v_ashrrev_i32_e32 v11, 31, v10
	s_and_b32 s22, s33, 0xff
	s_cmp_lt_i32 s22, 11
	v_lshl_add_u64 v[12:13], s[4:5], 0, v[10:11]
	s_cbranch_scc1 .LBB512_1696
; %bb.1573:
	s_and_b32 s13, 0xffff, s22
	s_mov_b64 s[8:9], -1
	s_mov_b64 s[2:3], 0
	s_cmp_gt_i32 s13, 25
	s_mov_b64 s[6:7], 0
	s_mov_b64 s[0:1], 0
	s_cbranch_scc0 .LBB512_1606
; %bb.1574:
	s_cmp_gt_i32 s13, 28
	s_cbranch_scc0 .LBB512_1589
; %bb.1575:
	s_cmp_gt_i32 s13, 43
	;; [unrolled: 3-line block ×3, first 2 shown]
	s_cbranch_scc0 .LBB512_1579
; %bb.1577:
	s_mov_b64 s[0:1], -1
	s_mov_b64 s[8:9], 0
	s_cmp_eq_u32 s13, 46
	s_cbranch_scc0 .LBB512_1579
; %bb.1578:
	v_cvt_f32_f64_e32 v8, v[6:7]
	v_bfe_u32 v9, v8, 16, 1
	s_movk_i32 s0, 0x7fff
	v_add3_u32 v9, v8, v9, s0
	v_cmp_o_f32_e32 vcc, v8, v8
	v_mov_b32_e32 v8, 0x7fc0
	s_mov_b64 s[0:1], 0
	v_cndmask_b32_sdwa v8, v8, v9, vcc dst_sel:DWORD dst_unused:UNUSED_PAD src0_sel:DWORD src1_sel:WORD_1
	global_store_dword v[12:13], v8, off
	s_mov_b64 s[6:7], -1
.LBB512_1579:
	s_and_b64 vcc, exec, s[8:9]
	s_cbranch_vccz .LBB512_1584
; %bb.1580:
	s_cmp_eq_u32 s13, 44
	s_mov_b64 s[0:1], -1
	s_cbranch_scc0 .LBB512_1584
; %bb.1581:
	v_cvt_f32_f64_e32 v8, v[6:7]
	v_bfe_u32 v9, v8, 23, 8
	s_movk_i32 s0, 0xff
	v_cmp_ne_u32_e32 vcc, s0, v9
	v_mov_b32_e32 v11, 0xff
	s_and_saveexec_b64 s[6:7], vcc
; %bb.1582:
	s_mov_b32 s0, 0x3fffff
	v_lshrrev_b32_e32 v11, 23, v8
	v_and_b32_e32 v14, 0x400000, v8
	v_and_or_b32 v8, v8, s0, v9
	v_cmp_ne_u32_e32 vcc, 0, v14
	v_cmp_ne_u32_e64 s[0:1], 0, v8
	s_and_b64 s[0:1], vcc, s[0:1]
	s_nop 0
	v_cndmask_b32_e64 v8, 0, 1, s[0:1]
	v_add_u32_e32 v11, v11, v8
; %bb.1583:
	s_or_b64 exec, exec, s[6:7]
	s_mov_b64 s[0:1], 0
	s_mov_b64 s[6:7], -1
	global_store_byte v[12:13], v11, off
.LBB512_1584:
	s_mov_b64 s[8:9], 0
.LBB512_1585:
	s_and_b64 vcc, exec, s[8:9]
	s_cbranch_vccz .LBB512_1588
; %bb.1586:
	s_cmp_eq_u32 s13, 29
	s_mov_b64 s[0:1], -1
	s_cbranch_scc0 .LBB512_1588
; %bb.1587:
	v_trunc_f64_e32 v[8:9], v[6:7]
	s_movk_i32 s0, 0xffe0
	v_ldexp_f64 v[14:15], v[8:9], s0
	v_floor_f64_e32 v[14:15], v[14:15]
	v_fmac_f64_e32 v[8:9], 0xc1f00000, v[14:15]
	v_cvt_u32_f64_e32 v17, v[14:15]
	v_cvt_u32_f64_e32 v16, v[8:9]
	global_store_dwordx2 v[12:13], v[16:17], off
	s_mov_b64 s[0:1], 0
	s_mov_b64 s[6:7], -1
.LBB512_1588:
	s_mov_b64 s[8:9], 0
.LBB512_1589:
	s_and_b64 vcc, exec, s[8:9]
	s_cbranch_vccz .LBB512_1605
; %bb.1590:
	s_cmp_lt_i32 s13, 27
	s_mov_b64 s[6:7], -1
	s_cbranch_scc1 .LBB512_1596
; %bb.1591:
	s_cmp_gt_i32 s13, 27
	v_cvt_u32_f64_e32 v8, v[6:7]
	s_cbranch_scc0 .LBB512_1593
; %bb.1592:
	s_mov_b64 s[6:7], 0
	global_store_dword v[12:13], v8, off
.LBB512_1593:
	s_andn2_b64 vcc, exec, s[6:7]
	s_cbranch_vccnz .LBB512_1595
; %bb.1594:
	global_store_short v[12:13], v8, off
.LBB512_1595:
	s_mov_b64 s[6:7], 0
.LBB512_1596:
	s_andn2_b64 vcc, exec, s[6:7]
	s_cbranch_vccnz .LBB512_1604
; %bb.1597:
	v_cvt_f32_f64_e32 v8, v[6:7]
	v_and_b32_e32 v9, 0x7fffffff, v8
	s_mov_b32 s6, 0x43800000
	v_cmp_gt_u32_e32 vcc, s6, v9
	v_mov_b32_e32 v11, 0x80
	s_and_saveexec_b64 s[6:7], vcc
	s_cbranch_execz .LBB512_1603
; %bb.1598:
	s_mov_b32 s8, 0x3bffffff
	v_cmp_lt_u32_e32 vcc, s8, v9
	s_mov_b64 s[8:9], 0
                                        ; implicit-def: $vgpr9
	s_and_saveexec_b64 s[10:11], vcc
	s_xor_b64 s[10:11], exec, s[10:11]
	s_cbranch_execz .LBB512_2054
; %bb.1599:
	v_bfe_u32 v9, v8, 20, 1
	s_mov_b32 s14, 0x487ffff
	v_add3_u32 v9, v8, v9, s14
	s_mov_b64 s[8:9], exec
	v_lshrrev_b32_e32 v9, 20, v9
	s_andn2_saveexec_b64 s[10:11], s[10:11]
	s_cbranch_execnz .LBB512_2055
.LBB512_1600:
	s_or_b64 exec, exec, s[10:11]
	v_mov_b32_e32 v11, 0
	s_and_saveexec_b64 s[10:11], s[8:9]
.LBB512_1601:
	v_lshrrev_b32_e32 v8, 24, v8
	s_movk_i32 s8, 0x80
	v_and_or_b32 v11, v8, s8, v9
.LBB512_1602:
	s_or_b64 exec, exec, s[10:11]
.LBB512_1603:
	s_or_b64 exec, exec, s[6:7]
	global_store_byte v[12:13], v11, off
.LBB512_1604:
	s_mov_b64 s[6:7], -1
.LBB512_1605:
	s_mov_b64 s[8:9], 0
.LBB512_1606:
	s_and_b64 vcc, exec, s[8:9]
	s_cbranch_vccz .LBB512_1646
; %bb.1607:
	s_cmp_gt_i32 s13, 22
	s_mov_b64 s[2:3], -1
	s_cbranch_scc0 .LBB512_1639
; %bb.1608:
	s_cmp_lt_i32 s13, 24
	s_cbranch_scc1 .LBB512_1628
; %bb.1609:
	s_cmp_gt_i32 s13, 24
	s_cbranch_scc0 .LBB512_1617
; %bb.1610:
	v_cvt_f32_f64_e32 v8, v[6:7]
	v_and_b32_e32 v9, 0x7fffffff, v8
	s_mov_b32 s2, 0x47800000
	v_cmp_gt_u32_e32 vcc, s2, v9
	v_mov_b32_e32 v11, 0x80
	s_and_saveexec_b64 s[2:3], vcc
	s_cbranch_execz .LBB512_1616
; %bb.1611:
	s_mov_b32 s6, 0x37ffffff
	v_cmp_lt_u32_e32 vcc, s6, v9
	s_mov_b64 s[6:7], 0
                                        ; implicit-def: $vgpr9
	s_and_saveexec_b64 s[8:9], vcc
	s_xor_b64 s[8:9], exec, s[8:9]
	s_cbranch_execz .LBB512_2057
; %bb.1612:
	v_bfe_u32 v9, v8, 21, 1
	s_mov_b32 s10, 0x88fffff
	v_add3_u32 v9, v8, v9, s10
	s_mov_b64 s[6:7], exec
	v_lshrrev_b32_e32 v9, 21, v9
	s_andn2_saveexec_b64 s[8:9], s[8:9]
	s_cbranch_execnz .LBB512_2058
.LBB512_1613:
	s_or_b64 exec, exec, s[8:9]
	v_mov_b32_e32 v11, 0
	s_and_saveexec_b64 s[8:9], s[6:7]
.LBB512_1614:
	v_lshrrev_b32_e32 v8, 24, v8
	s_movk_i32 s6, 0x80
	v_and_or_b32 v11, v8, s6, v9
.LBB512_1615:
	s_or_b64 exec, exec, s[8:9]
.LBB512_1616:
	s_or_b64 exec, exec, s[2:3]
	s_mov_b64 s[2:3], 0
	global_store_byte v[12:13], v11, off
.LBB512_1617:
	s_and_b64 vcc, exec, s[2:3]
	s_cbranch_vccz .LBB512_1627
; %bb.1618:
	v_cvt_f32_f64_e32 v8, v[6:7]
	v_and_b32_e32 v11, 0x7fffffff, v8
	s_mov_b32 s2, 0x43f00000
	v_cmp_gt_u32_e32 vcc, s2, v11
                                        ; implicit-def: $vgpr9
	s_and_saveexec_b64 s[2:3], vcc
	s_xor_b64 s[2:3], exec, s[2:3]
	s_cbranch_execz .LBB512_1624
; %bb.1619:
	s_mov_b32 s6, 0x3c7fffff
	v_cmp_lt_u32_e32 vcc, s6, v11
                                        ; implicit-def: $vgpr9
	s_and_saveexec_b64 s[6:7], vcc
	s_xor_b64 s[6:7], exec, s[6:7]
; %bb.1620:
	v_bfe_u32 v9, v8, 20, 1
	s_mov_b32 s8, 0x407ffff
	v_add3_u32 v9, v8, v9, s8
	v_lshrrev_b32_e32 v11, 20, v9
	v_and_b32_e32 v9, 0xff00000, v9
	s_mov_b32 s8, 0x7f00000
	v_mov_b32_e32 v14, 0x7e
	v_cmp_ne_u32_e32 vcc, s8, v9
	s_nop 1
	v_cndmask_b32_e32 v9, v14, v11, vcc
; %bb.1621:
	s_andn2_saveexec_b64 s[6:7], s[6:7]
; %bb.1622:
	s_mov_b32 s8, 0x46800000
	v_add_f32_e64 v9, |v8|, s8
; %bb.1623:
	s_or_b64 exec, exec, s[6:7]
                                        ; implicit-def: $vgpr11
.LBB512_1624:
	s_andn2_saveexec_b64 s[2:3], s[2:3]
; %bb.1625:
	s_mov_b32 s6, 0x7f800000
	v_mov_b32_e32 v9, 0x7e
	v_mov_b32_e32 v14, 0x7f
	v_cmp_lt_u32_e32 vcc, s6, v11
	s_nop 1
	v_cndmask_b32_e32 v9, v9, v14, vcc
; %bb.1626:
	s_or_b64 exec, exec, s[2:3]
	v_lshrrev_b32_e32 v8, 24, v8
	s_movk_i32 s2, 0x80
	v_and_or_b32 v8, v8, s2, v9
	global_store_byte v[12:13], v8, off
.LBB512_1627:
	s_mov_b64 s[2:3], 0
.LBB512_1628:
	s_andn2_b64 vcc, exec, s[2:3]
	s_cbranch_vccnz .LBB512_1638
; %bb.1629:
	v_cvt_f32_f64_e32 v8, v[6:7]
	v_and_b32_e32 v11, 0x7fffffff, v8
	s_mov_b32 s2, 0x47800000
	v_cmp_gt_u32_e32 vcc, s2, v11
                                        ; implicit-def: $vgpr9
	s_and_saveexec_b64 s[2:3], vcc
	s_xor_b64 s[2:3], exec, s[2:3]
	s_cbranch_execz .LBB512_1635
; %bb.1630:
	s_mov_b32 s6, 0x387fffff
	v_cmp_lt_u32_e32 vcc, s6, v11
                                        ; implicit-def: $vgpr9
	s_and_saveexec_b64 s[6:7], vcc
	s_xor_b64 s[6:7], exec, s[6:7]
; %bb.1631:
	v_bfe_u32 v9, v8, 21, 1
	s_mov_b32 s8, 0x80fffff
	v_add3_u32 v9, v8, v9, s8
	v_lshrrev_b32_e32 v9, 21, v9
; %bb.1632:
	s_andn2_saveexec_b64 s[6:7], s[6:7]
; %bb.1633:
	s_mov_b32 s8, 0x43000000
	v_add_f32_e64 v9, |v8|, s8
; %bb.1634:
	s_or_b64 exec, exec, s[6:7]
                                        ; implicit-def: $vgpr11
.LBB512_1635:
	s_andn2_saveexec_b64 s[2:3], s[2:3]
; %bb.1636:
	s_mov_b32 s6, 0x7f800000
	v_mov_b32_e32 v9, 0x7c
	v_mov_b32_e32 v14, 0x7f
	v_cmp_lt_u32_e32 vcc, s6, v11
	s_nop 1
	v_cndmask_b32_e32 v9, v9, v14, vcc
; %bb.1637:
	s_or_b64 exec, exec, s[2:3]
	v_lshrrev_b32_e32 v8, 24, v8
	s_movk_i32 s2, 0x80
	v_and_or_b32 v8, v8, s2, v9
	global_store_byte v[12:13], v8, off
.LBB512_1638:
	s_mov_b64 s[2:3], 0
	s_mov_b64 s[6:7], -1
.LBB512_1639:
	s_andn2_b64 vcc, exec, s[2:3]
	s_mov_b64 s[2:3], 0
	s_cbranch_vccnz .LBB512_1646
; %bb.1640:
	s_cmp_gt_i32 s13, 14
	s_mov_b64 s[8:9], -1
	s_cbranch_scc0 .LBB512_1644
; %bb.1641:
	s_cmp_eq_u32 s13, 15
	s_mov_b64 s[0:1], -1
	s_cbranch_scc0 .LBB512_1643
; %bb.1642:
	v_cvt_f32_f64_e32 v8, v[6:7]
	v_bfe_u32 v9, v8, 16, 1
	s_movk_i32 s0, 0x7fff
	v_add3_u32 v9, v8, v9, s0
	v_cmp_o_f32_e32 vcc, v8, v8
	v_mov_b32_e32 v8, 0x7fc0
	s_mov_b64 s[0:1], 0
	v_cndmask_b32_sdwa v8, v8, v9, vcc dst_sel:DWORD dst_unused:UNUSED_PAD src0_sel:DWORD src1_sel:WORD_1
	global_store_short v[12:13], v8, off
	s_mov_b64 s[6:7], -1
.LBB512_1643:
	s_mov_b64 s[8:9], 0
.LBB512_1644:
	s_and_b64 vcc, exec, s[8:9]
	s_cbranch_vccz .LBB512_1646
; %bb.1645:
	s_cmp_lg_u32 s13, 11
	s_mov_b64 s[2:3], -1
	s_cselect_b64 s[0:1], -1, 0
.LBB512_1646:
	s_and_b64 vcc, exec, s[0:1]
	s_cbranch_vccnz .LBB512_2056
; %bb.1647:
	s_andn2_b64 vcc, exec, s[2:3]
	s_cbranch_vccnz .LBB512_1649
.LBB512_1648:
	v_cmp_neq_f64_e32 vcc, 0, v[6:7]
	s_mov_b64 s[6:7], -1
	s_nop 0
	v_cndmask_b32_e64 v8, 0, 1, vcc
	global_store_byte v[12:13], v8, off
.LBB512_1649:
	s_mov_b64 s[0:1], 0
	s_branch .LBB512_1697
.LBB512_1650:
	s_mov_b64 s[0:1], 0
                                        ; implicit-def: $sgpr22
                                        ; implicit-def: $vgpr4_vgpr5
                                        ; implicit-def: $vgpr0_vgpr1
.LBB512_1651:
	s_mov_b64 s[2:3], 0
.LBB512_1652:
	s_andn2_b64 s[4:5], s[18:19], exec
	s_and_b64 s[6:7], s[20:21], exec
	s_and_b64 s[0:1], s[0:1], exec
	;; [unrolled: 1-line block ×3, first 2 shown]
	s_or_b64 s[18:19], s[4:5], s[6:7]
.LBB512_1653:
	s_or_b64 exec, exec, s[16:17]
	s_and_saveexec_b64 s[4:5], s[18:19]
	s_cbranch_execz .LBB512_1656
; %bb.1654:
	; divergent unreachable
	s_or_b64 exec, exec, s[4:5]
	s_and_saveexec_b64 s[4:5], s[2:3]
	s_xor_b64 s[2:3], exec, s[4:5]
	s_cbranch_execnz .LBB512_1657
.LBB512_1655:
	s_or_b64 exec, exec, s[2:3]
	s_and_saveexec_b64 s[2:3], s[0:1]
	s_cbranch_execnz .LBB512_1658
	s_branch .LBB512_1695
.LBB512_1656:
	s_or_b64 exec, exec, s[4:5]
	s_and_saveexec_b64 s[4:5], s[2:3]
	s_xor_b64 s[2:3], exec, s[4:5]
	s_cbranch_execz .LBB512_1655
.LBB512_1657:
	v_cmp_neq_f64_e32 vcc, 0, v[0:1]
	s_waitcnt vmcnt(0)
	s_nop 0
	v_cndmask_b32_e64 v2, 0, 1, vcc
	global_store_byte v[4:5], v2, off
	s_or_b64 exec, exec, s[2:3]
	s_and_saveexec_b64 s[2:3], s[0:1]
	s_cbranch_execz .LBB512_1695
.LBB512_1658:
	s_sext_i32_i16 s2, s22
	s_cmp_lt_i32 s2, 5
	s_mov_b64 s[0:1], -1
	s_cbranch_scc1 .LBB512_1679
; %bb.1659:
	s_cmp_lt_i32 s2, 8
	s_cbranch_scc1 .LBB512_1669
; %bb.1660:
	s_cmp_lt_i32 s2, 9
	s_cbranch_scc1 .LBB512_1666
; %bb.1661:
	s_cmp_gt_i32 s2, 9
	s_cbranch_scc0 .LBB512_1663
; %bb.1662:
	s_waitcnt vmcnt(0)
	v_mov_b32_e32 v2, 0
	v_mov_b32_e32 v3, v2
	global_store_dwordx4 v[4:5], v[0:3], off
	s_mov_b64 s[0:1], 0
.LBB512_1663:
	s_andn2_b64 vcc, exec, s[0:1]
	s_cbranch_vccnz .LBB512_1665
; %bb.1664:
	s_waitcnt vmcnt(0)
	v_cvt_f32_f64_e32 v2, v[0:1]
	v_mov_b32_e32 v3, 0
	global_store_dwordx2 v[4:5], v[2:3], off
.LBB512_1665:
	s_mov_b64 s[0:1], 0
.LBB512_1666:
	s_andn2_b64 vcc, exec, s[0:1]
	s_cbranch_vccnz .LBB512_1668
; %bb.1667:
	s_movk_i32 s0, 0x1ff
	s_waitcnt vmcnt(0)
	v_and_or_b32 v2, v1, s0, v0
	v_cmp_ne_u32_e32 vcc, 0, v2
	v_lshrrev_b32_e32 v3, 8, v1
	s_movk_i32 s0, 0xffe
	v_cndmask_b32_e64 v2, 0, 1, vcc
	v_bfe_u32 v6, v1, 20, 11
	v_and_or_b32 v2, v3, s0, v2
	v_sub_u32_e32 v7, 0x3f1, v6
	v_or_b32_e32 v3, 0x1000, v2
	v_med3_i32 v7, v7, 0, 13
	v_lshrrev_b32_e32 v8, v7, v3
	v_lshlrev_b32_e32 v7, v7, v8
	v_cmp_ne_u32_e32 vcc, v7, v3
	v_add_u32_e32 v6, 0xfffffc10, v6
	v_lshl_or_b32 v7, v6, 12, v2
	v_cndmask_b32_e64 v3, 0, 1, vcc
	v_or_b32_e32 v3, v8, v3
	v_cmp_gt_i32_e32 vcc, 1, v6
	s_movk_i32 s0, 0x40f
	s_nop 0
	v_cndmask_b32_e32 v3, v7, v3, vcc
	v_and_b32_e32 v7, 7, v3
	v_cmp_lt_i32_e32 vcc, 5, v7
	v_lshrrev_b32_e32 v3, 2, v3
	s_nop 0
	v_cndmask_b32_e64 v8, 0, 1, vcc
	v_cmp_eq_u32_e32 vcc, 3, v7
	s_nop 1
	v_cndmask_b32_e64 v7, 0, 1, vcc
	v_or_b32_e32 v7, v7, v8
	v_add_u32_e32 v3, v3, v7
	v_mov_b32_e32 v7, 0x7c00
	v_cmp_gt_i32_e32 vcc, 31, v6
	v_mov_b32_e32 v8, 0x7e00
	s_nop 0
	v_cndmask_b32_e32 v3, v7, v3, vcc
	v_cmp_ne_u32_e32 vcc, 0, v2
	s_nop 1
	v_cndmask_b32_e32 v2, v7, v8, vcc
	v_cmp_eq_u32_e32 vcc, s0, v6
	s_mov_b32 s0, 0x8000
	s_nop 0
	v_cndmask_b32_e32 v2, v3, v2, vcc
	v_and_b32_sdwa v3, v1, s0 dst_sel:DWORD dst_unused:UNUSED_PAD src0_sel:WORD_1 src1_sel:DWORD
	s_mov_b32 s0, 0xffff
	v_bitop3_b32 v2, v3, s0, v2 bitop3:0xc8
	global_store_dword v[4:5], v2, off
.LBB512_1668:
	s_mov_b64 s[0:1], 0
.LBB512_1669:
	s_andn2_b64 vcc, exec, s[0:1]
	s_cbranch_vccnz .LBB512_1678
; %bb.1670:
	s_sext_i32_i16 s2, s22
	s_cmp_lt_i32 s2, 6
	s_mov_b64 s[0:1], -1
	s_cbranch_scc1 .LBB512_1676
; %bb.1671:
	s_cmp_gt_i32 s2, 6
	s_cbranch_scc0 .LBB512_1673
; %bb.1672:
	s_waitcnt vmcnt(0)
	global_store_dwordx2 v[4:5], v[0:1], off
	s_mov_b64 s[0:1], 0
.LBB512_1673:
	s_andn2_b64 vcc, exec, s[0:1]
	s_cbranch_vccnz .LBB512_1675
; %bb.1674:
	s_waitcnt vmcnt(0)
	v_cvt_f32_f64_e32 v2, v[0:1]
	global_store_dword v[4:5], v2, off
.LBB512_1675:
	s_mov_b64 s[0:1], 0
.LBB512_1676:
	s_andn2_b64 vcc, exec, s[0:1]
	s_cbranch_vccnz .LBB512_1678
; %bb.1677:
	s_movk_i32 s0, 0x1ff
	s_waitcnt vmcnt(0)
	v_and_or_b32 v2, v1, s0, v0
	v_cmp_ne_u32_e32 vcc, 0, v2
	v_lshrrev_b32_e32 v3, 8, v1
	s_movk_i32 s0, 0xffe
	v_cndmask_b32_e64 v2, 0, 1, vcc
	v_bfe_u32 v6, v1, 20, 11
	v_and_or_b32 v2, v3, s0, v2
	v_sub_u32_e32 v7, 0x3f1, v6
	v_or_b32_e32 v3, 0x1000, v2
	v_med3_i32 v7, v7, 0, 13
	v_lshrrev_b32_e32 v8, v7, v3
	v_lshlrev_b32_e32 v7, v7, v8
	v_cmp_ne_u32_e32 vcc, v7, v3
	v_add_u32_e32 v6, 0xfffffc10, v6
	v_lshl_or_b32 v7, v6, 12, v2
	v_cndmask_b32_e64 v3, 0, 1, vcc
	v_or_b32_e32 v3, v8, v3
	v_cmp_gt_i32_e32 vcc, 1, v6
	s_movk_i32 s0, 0x40f
	s_nop 0
	v_cndmask_b32_e32 v3, v7, v3, vcc
	v_and_b32_e32 v7, 7, v3
	v_cmp_lt_i32_e32 vcc, 5, v7
	v_lshrrev_b32_e32 v3, 2, v3
	s_nop 0
	v_cndmask_b32_e64 v8, 0, 1, vcc
	v_cmp_eq_u32_e32 vcc, 3, v7
	s_nop 1
	v_cndmask_b32_e64 v7, 0, 1, vcc
	v_or_b32_e32 v7, v7, v8
	v_add_u32_e32 v3, v3, v7
	v_mov_b32_e32 v7, 0x7c00
	v_cmp_gt_i32_e32 vcc, 31, v6
	v_mov_b32_e32 v8, 0x7e00
	s_nop 0
	v_cndmask_b32_e32 v3, v7, v3, vcc
	v_cmp_ne_u32_e32 vcc, 0, v2
	s_nop 1
	v_cndmask_b32_e32 v2, v7, v8, vcc
	v_cmp_eq_u32_e32 vcc, s0, v6
	s_mov_b32 s0, 0x8000
	s_nop 0
	v_cndmask_b32_e32 v2, v3, v2, vcc
	v_lshrrev_b32_e32 v3, 16, v1
	v_and_or_b32 v2, v3, s0, v2
	global_store_short v[4:5], v2, off
.LBB512_1678:
	s_mov_b64 s[0:1], 0
.LBB512_1679:
	s_andn2_b64 vcc, exec, s[0:1]
	s_cbranch_vccnz .LBB512_1695
; %bb.1680:
	s_sext_i32_i16 s2, s22
	s_cmp_lt_i32 s2, 2
	s_mov_b64 s[0:1], -1
	s_cbranch_scc1 .LBB512_1690
; %bb.1681:
	s_cmp_lt_i32 s2, 3
	s_cbranch_scc1 .LBB512_1687
; %bb.1682:
	s_cmp_gt_i32 s2, 3
	s_cbranch_scc0 .LBB512_1684
; %bb.1683:
	s_waitcnt vmcnt(0)
	v_trunc_f64_e32 v[2:3], v[0:1]
	s_movk_i32 s0, 0xffe0
	v_ldexp_f64 v[6:7], v[2:3], s0
	v_floor_f64_e32 v[6:7], v[6:7]
	v_fmac_f64_e32 v[2:3], 0xc1f00000, v[6:7]
	v_cvt_i32_f64_e32 v9, v[6:7]
	v_cvt_u32_f64_e32 v8, v[2:3]
	global_store_dwordx2 v[4:5], v[8:9], off
	s_mov_b64 s[0:1], 0
.LBB512_1684:
	s_andn2_b64 vcc, exec, s[0:1]
	s_cbranch_vccnz .LBB512_1686
; %bb.1685:
	s_waitcnt vmcnt(0)
	v_cvt_i32_f64_e32 v2, v[0:1]
	global_store_dword v[4:5], v2, off
.LBB512_1686:
	s_mov_b64 s[0:1], 0
.LBB512_1687:
	s_andn2_b64 vcc, exec, s[0:1]
	s_cbranch_vccnz .LBB512_1689
; %bb.1688:
	s_waitcnt vmcnt(0)
	v_cvt_i32_f64_e32 v2, v[0:1]
	global_store_short v[4:5], v2, off
.LBB512_1689:
	s_mov_b64 s[0:1], 0
.LBB512_1690:
	s_andn2_b64 vcc, exec, s[0:1]
	s_cbranch_vccnz .LBB512_1695
; %bb.1691:
	s_sext_i32_i16 s0, s22
	s_cmp_gt_i32 s0, 0
	s_mov_b64 s[0:1], -1
	s_cbranch_scc0 .LBB512_1693
; %bb.1692:
	s_waitcnt vmcnt(0)
	v_cvt_i32_f64_e32 v2, v[0:1]
	global_store_byte v[4:5], v2, off
	s_mov_b64 s[0:1], 0
.LBB512_1693:
	s_andn2_b64 vcc, exec, s[0:1]
	s_cbranch_vccnz .LBB512_1695
; %bb.1694:
	v_trunc_f64_e32 v[0:1], v[0:1]
	s_movk_i32 s0, 0xffe0
	s_waitcnt vmcnt(0)
	v_ldexp_f64 v[2:3], v[0:1], s0
	v_floor_f64_e32 v[2:3], v[2:3]
	v_fmac_f64_e32 v[0:1], 0xc1f00000, v[2:3]
	v_cvt_u32_f64_e32 v0, v[0:1]
	global_store_byte v[4:5], v0, off
	s_endpgm
.LBB512_1695:
	s_endpgm
.LBB512_1696:
	s_mov_b64 s[0:1], -1
	s_mov_b64 s[6:7], 0
.LBB512_1697:
	s_and_b64 vcc, exec, s[0:1]
	s_cbranch_vccz .LBB512_1736
; %bb.1698:
	s_and_b32 s2, 0xffff, s22
	s_cmp_lt_i32 s2, 5
	s_mov_b64 s[0:1], -1
	s_cbranch_scc1 .LBB512_1719
; %bb.1699:
	s_cmp_lt_i32 s2, 8
	s_cbranch_scc1 .LBB512_1709
; %bb.1700:
	s_cmp_lt_i32 s2, 9
	s_cbranch_scc1 .LBB512_1706
; %bb.1701:
	s_cmp_gt_i32 s2, 9
	s_cbranch_scc0 .LBB512_1703
; %bb.1702:
	v_mov_b32_e32 v8, 0
	v_mov_b32_e32 v9, v8
	global_store_dwordx4 v[12:13], v[6:9], off
	s_mov_b64 s[0:1], 0
.LBB512_1703:
	s_andn2_b64 vcc, exec, s[0:1]
	s_cbranch_vccnz .LBB512_1705
; %bb.1704:
	v_cvt_f32_f64_e32 v8, v[6:7]
	v_mov_b32_e32 v9, 0
	global_store_dwordx2 v[12:13], v[8:9], off
.LBB512_1705:
	s_mov_b64 s[0:1], 0
.LBB512_1706:
	s_andn2_b64 vcc, exec, s[0:1]
	s_cbranch_vccnz .LBB512_1708
; %bb.1707:
	s_movk_i32 s0, 0x1ff
	v_and_or_b32 v8, v7, s0, v6
	v_cmp_ne_u32_e32 vcc, 0, v8
	v_lshrrev_b32_e32 v9, 8, v7
	s_movk_i32 s0, 0xffe
	v_cndmask_b32_e64 v8, 0, 1, vcc
	v_bfe_u32 v11, v7, 20, 11
	v_and_or_b32 v8, v9, s0, v8
	v_sub_u32_e32 v14, 0x3f1, v11
	v_or_b32_e32 v9, 0x1000, v8
	v_med3_i32 v14, v14, 0, 13
	v_lshrrev_b32_e32 v15, v14, v9
	v_lshlrev_b32_e32 v14, v14, v15
	v_cmp_ne_u32_e32 vcc, v14, v9
	v_add_u32_e32 v11, 0xfffffc10, v11
	v_lshl_or_b32 v14, v11, 12, v8
	v_cndmask_b32_e64 v9, 0, 1, vcc
	v_or_b32_e32 v9, v15, v9
	v_cmp_gt_i32_e32 vcc, 1, v11
	s_movk_i32 s0, 0x40f
	s_nop 0
	v_cndmask_b32_e32 v9, v14, v9, vcc
	v_and_b32_e32 v14, 7, v9
	v_cmp_lt_i32_e32 vcc, 5, v14
	v_lshrrev_b32_e32 v9, 2, v9
	s_nop 0
	v_cndmask_b32_e64 v15, 0, 1, vcc
	v_cmp_eq_u32_e32 vcc, 3, v14
	s_nop 1
	v_cndmask_b32_e64 v14, 0, 1, vcc
	v_or_b32_e32 v14, v14, v15
	v_add_u32_e32 v9, v9, v14
	v_mov_b32_e32 v14, 0x7c00
	v_cmp_gt_i32_e32 vcc, 31, v11
	v_mov_b32_e32 v15, 0x7e00
	s_nop 0
	v_cndmask_b32_e32 v9, v14, v9, vcc
	v_cmp_ne_u32_e32 vcc, 0, v8
	s_nop 1
	v_cndmask_b32_e32 v8, v14, v15, vcc
	v_cmp_eq_u32_e32 vcc, s0, v11
	s_mov_b32 s0, 0x8000
	s_nop 0
	v_cndmask_b32_e32 v8, v9, v8, vcc
	v_and_b32_sdwa v9, v7, s0 dst_sel:DWORD dst_unused:UNUSED_PAD src0_sel:WORD_1 src1_sel:DWORD
	s_mov_b32 s0, 0xffff
	v_bitop3_b32 v8, v9, s0, v8 bitop3:0xc8
	global_store_dword v[12:13], v8, off
.LBB512_1708:
	s_mov_b64 s[0:1], 0
.LBB512_1709:
	s_andn2_b64 vcc, exec, s[0:1]
	s_cbranch_vccnz .LBB512_1718
; %bb.1710:
	s_cmp_lt_i32 s2, 6
	s_mov_b64 s[0:1], -1
	s_cbranch_scc1 .LBB512_1716
; %bb.1711:
	s_cmp_gt_i32 s2, 6
	s_cbranch_scc0 .LBB512_1713
; %bb.1712:
	global_store_dwordx2 v[12:13], v[6:7], off
	s_mov_b64 s[0:1], 0
.LBB512_1713:
	s_andn2_b64 vcc, exec, s[0:1]
	s_cbranch_vccnz .LBB512_1715
; %bb.1714:
	v_cvt_f32_f64_e32 v8, v[6:7]
	global_store_dword v[12:13], v8, off
.LBB512_1715:
	s_mov_b64 s[0:1], 0
.LBB512_1716:
	s_andn2_b64 vcc, exec, s[0:1]
	s_cbranch_vccnz .LBB512_1718
; %bb.1717:
	s_movk_i32 s0, 0x1ff
	v_and_or_b32 v8, v7, s0, v6
	v_cmp_ne_u32_e32 vcc, 0, v8
	v_lshrrev_b32_e32 v9, 8, v7
	s_movk_i32 s0, 0xffe
	v_cndmask_b32_e64 v8, 0, 1, vcc
	v_bfe_u32 v11, v7, 20, 11
	v_and_or_b32 v8, v9, s0, v8
	v_sub_u32_e32 v14, 0x3f1, v11
	v_or_b32_e32 v9, 0x1000, v8
	v_med3_i32 v14, v14, 0, 13
	v_lshrrev_b32_e32 v15, v14, v9
	v_lshlrev_b32_e32 v14, v14, v15
	v_cmp_ne_u32_e32 vcc, v14, v9
	v_add_u32_e32 v11, 0xfffffc10, v11
	v_lshl_or_b32 v14, v11, 12, v8
	v_cndmask_b32_e64 v9, 0, 1, vcc
	v_or_b32_e32 v9, v15, v9
	v_cmp_gt_i32_e32 vcc, 1, v11
	s_movk_i32 s0, 0x40f
	s_nop 0
	v_cndmask_b32_e32 v9, v14, v9, vcc
	v_and_b32_e32 v14, 7, v9
	v_cmp_lt_i32_e32 vcc, 5, v14
	v_lshrrev_b32_e32 v9, 2, v9
	s_nop 0
	v_cndmask_b32_e64 v15, 0, 1, vcc
	v_cmp_eq_u32_e32 vcc, 3, v14
	s_nop 1
	v_cndmask_b32_e64 v14, 0, 1, vcc
	v_or_b32_e32 v14, v14, v15
	v_add_u32_e32 v9, v9, v14
	v_mov_b32_e32 v14, 0x7c00
	v_cmp_gt_i32_e32 vcc, 31, v11
	v_mov_b32_e32 v15, 0x7e00
	s_nop 0
	v_cndmask_b32_e32 v9, v14, v9, vcc
	v_cmp_ne_u32_e32 vcc, 0, v8
	s_nop 1
	v_cndmask_b32_e32 v8, v14, v15, vcc
	v_cmp_eq_u32_e32 vcc, s0, v11
	s_mov_b32 s0, 0x8000
	s_nop 0
	v_cndmask_b32_e32 v8, v9, v8, vcc
	v_lshrrev_b32_e32 v9, 16, v7
	v_and_or_b32 v8, v9, s0, v8
	global_store_short v[12:13], v8, off
.LBB512_1718:
	s_mov_b64 s[0:1], 0
.LBB512_1719:
	s_andn2_b64 vcc, exec, s[0:1]
	s_cbranch_vccnz .LBB512_1735
; %bb.1720:
	s_cmp_lt_i32 s2, 2
	s_mov_b64 s[0:1], -1
	s_cbranch_scc1 .LBB512_1730
; %bb.1721:
	s_cmp_lt_i32 s2, 3
	s_cbranch_scc1 .LBB512_1727
; %bb.1722:
	s_cmp_gt_i32 s2, 3
	s_cbranch_scc0 .LBB512_1724
; %bb.1723:
	v_trunc_f64_e32 v[8:9], v[6:7]
	s_movk_i32 s0, 0xffe0
	v_ldexp_f64 v[14:15], v[8:9], s0
	v_floor_f64_e32 v[14:15], v[14:15]
	v_fmac_f64_e32 v[8:9], 0xc1f00000, v[14:15]
	v_cvt_i32_f64_e32 v17, v[14:15]
	v_cvt_u32_f64_e32 v16, v[8:9]
	global_store_dwordx2 v[12:13], v[16:17], off
	s_mov_b64 s[0:1], 0
.LBB512_1724:
	s_andn2_b64 vcc, exec, s[0:1]
	s_cbranch_vccnz .LBB512_1726
; %bb.1725:
	v_cvt_i32_f64_e32 v8, v[6:7]
	global_store_dword v[12:13], v8, off
.LBB512_1726:
	s_mov_b64 s[0:1], 0
.LBB512_1727:
	s_andn2_b64 vcc, exec, s[0:1]
	s_cbranch_vccnz .LBB512_1729
; %bb.1728:
	v_cvt_i32_f64_e32 v8, v[6:7]
	global_store_short v[12:13], v8, off
.LBB512_1729:
	s_mov_b64 s[0:1], 0
.LBB512_1730:
	s_andn2_b64 vcc, exec, s[0:1]
	s_cbranch_vccnz .LBB512_1735
; %bb.1731:
	s_cmp_gt_i32 s2, 0
	s_mov_b64 s[0:1], -1
	s_cbranch_scc0 .LBB512_1733
; %bb.1732:
	v_cvt_i32_f64_e32 v8, v[6:7]
	global_store_byte v[12:13], v8, off
	s_mov_b64 s[0:1], 0
.LBB512_1733:
	s_andn2_b64 vcc, exec, s[0:1]
	s_cbranch_vccnz .LBB512_1735
; %bb.1734:
	v_trunc_f64_e32 v[6:7], v[6:7]
	s_movk_i32 s0, 0xffe0
	v_ldexp_f64 v[8:9], v[6:7], s0
	v_floor_f64_e32 v[8:9], v[8:9]
	v_fmac_f64_e32 v[6:7], 0xc1f00000, v[8:9]
	v_cvt_u32_f64_e32 v6, v[6:7]
	global_store_byte v[12:13], v6, off
.LBB512_1735:
	s_mov_b64 s[6:7], -1
.LBB512_1736:
	s_andn2_b64 vcc, exec, s[6:7]
	s_cbranch_vccnz .LBB512_2051
; %bb.1737:
	s_lshl_b32 s12, s12, 7
	v_add_u32_e32 v8, s12, v10
	v_ashrrev_i32_e32 v9, 31, v8
	s_cmp_lt_i32 s22, 11
	v_lshl_add_u64 v[10:11], s[4:5], 0, v[8:9]
	s_cbranch_scc1 .LBB512_1815
; %bb.1738:
	s_and_b32 s13, 0xffff, s22
	s_mov_b64 s[8:9], -1
	s_mov_b64 s[2:3], 0
	s_cmp_gt_i32 s13, 25
	s_mov_b64 s[6:7], 0
	s_mov_b64 s[0:1], 0
	s_cbranch_scc0 .LBB512_1771
; %bb.1739:
	s_cmp_gt_i32 s13, 28
	s_cbranch_scc0 .LBB512_1754
; %bb.1740:
	s_cmp_gt_i32 s13, 43
	;; [unrolled: 3-line block ×3, first 2 shown]
	s_cbranch_scc0 .LBB512_1744
; %bb.1742:
	s_mov_b64 s[0:1], -1
	s_mov_b64 s[8:9], 0
	s_cmp_eq_u32 s13, 46
	s_cbranch_scc0 .LBB512_1744
; %bb.1743:
	v_cvt_f32_f64_e32 v6, v[4:5]
	v_bfe_u32 v7, v6, 16, 1
	s_movk_i32 s0, 0x7fff
	v_add3_u32 v7, v6, v7, s0
	v_cmp_o_f32_e32 vcc, v6, v6
	v_mov_b32_e32 v6, 0x7fc0
	s_mov_b64 s[0:1], 0
	v_cndmask_b32_sdwa v6, v6, v7, vcc dst_sel:DWORD dst_unused:UNUSED_PAD src0_sel:DWORD src1_sel:WORD_1
	global_store_dword v[10:11], v6, off
	s_mov_b64 s[6:7], -1
.LBB512_1744:
	s_and_b64 vcc, exec, s[8:9]
	s_cbranch_vccz .LBB512_1749
; %bb.1745:
	s_cmp_eq_u32 s13, 44
	s_mov_b64 s[0:1], -1
	s_cbranch_scc0 .LBB512_1749
; %bb.1746:
	v_cvt_f32_f64_e32 v6, v[4:5]
	v_bfe_u32 v7, v6, 23, 8
	s_movk_i32 s0, 0xff
	v_cmp_ne_u32_e32 vcc, s0, v7
	v_mov_b32_e32 v9, 0xff
	s_and_saveexec_b64 s[6:7], vcc
; %bb.1747:
	s_mov_b32 s0, 0x3fffff
	v_lshrrev_b32_e32 v9, 23, v6
	v_and_b32_e32 v12, 0x400000, v6
	v_and_or_b32 v6, v6, s0, v7
	v_cmp_ne_u32_e32 vcc, 0, v12
	v_cmp_ne_u32_e64 s[0:1], 0, v6
	s_and_b64 s[0:1], vcc, s[0:1]
	s_nop 0
	v_cndmask_b32_e64 v6, 0, 1, s[0:1]
	v_add_u32_e32 v9, v9, v6
; %bb.1748:
	s_or_b64 exec, exec, s[6:7]
	s_mov_b64 s[0:1], 0
	s_mov_b64 s[6:7], -1
	global_store_byte v[10:11], v9, off
.LBB512_1749:
	s_mov_b64 s[8:9], 0
.LBB512_1750:
	s_and_b64 vcc, exec, s[8:9]
	s_cbranch_vccz .LBB512_1753
; %bb.1751:
	s_cmp_eq_u32 s13, 29
	s_mov_b64 s[0:1], -1
	s_cbranch_scc0 .LBB512_1753
; %bb.1752:
	v_trunc_f64_e32 v[6:7], v[4:5]
	s_movk_i32 s0, 0xffe0
	v_ldexp_f64 v[12:13], v[6:7], s0
	v_floor_f64_e32 v[12:13], v[12:13]
	v_fmac_f64_e32 v[6:7], 0xc1f00000, v[12:13]
	v_cvt_u32_f64_e32 v15, v[12:13]
	v_cvt_u32_f64_e32 v14, v[6:7]
	global_store_dwordx2 v[10:11], v[14:15], off
	s_mov_b64 s[0:1], 0
	s_mov_b64 s[6:7], -1
.LBB512_1753:
	s_mov_b64 s[8:9], 0
.LBB512_1754:
	s_and_b64 vcc, exec, s[8:9]
	s_cbranch_vccz .LBB512_1770
; %bb.1755:
	s_cmp_lt_i32 s13, 27
	s_mov_b64 s[6:7], -1
	s_cbranch_scc1 .LBB512_1761
; %bb.1756:
	s_cmp_gt_i32 s13, 27
	v_cvt_u32_f64_e32 v6, v[4:5]
	s_cbranch_scc0 .LBB512_1758
; %bb.1757:
	s_mov_b64 s[6:7], 0
	global_store_dword v[10:11], v6, off
.LBB512_1758:
	s_andn2_b64 vcc, exec, s[6:7]
	s_cbranch_vccnz .LBB512_1760
; %bb.1759:
	global_store_short v[10:11], v6, off
.LBB512_1760:
	s_mov_b64 s[6:7], 0
.LBB512_1761:
	s_andn2_b64 vcc, exec, s[6:7]
	s_cbranch_vccnz .LBB512_1769
; %bb.1762:
	v_cvt_f32_f64_e32 v6, v[4:5]
	v_and_b32_e32 v7, 0x7fffffff, v6
	s_mov_b32 s6, 0x43800000
	v_cmp_gt_u32_e32 vcc, s6, v7
	v_mov_b32_e32 v9, 0x80
	s_and_saveexec_b64 s[6:7], vcc
	s_cbranch_execz .LBB512_1768
; %bb.1763:
	s_mov_b32 s8, 0x3bffffff
	v_cmp_lt_u32_e32 vcc, s8, v7
	s_mov_b64 s[8:9], 0
                                        ; implicit-def: $vgpr7
	s_and_saveexec_b64 s[10:11], vcc
	s_xor_b64 s[10:11], exec, s[10:11]
	s_cbranch_execz .LBB512_2059
; %bb.1764:
	v_bfe_u32 v7, v6, 20, 1
	s_mov_b32 s14, 0x487ffff
	v_add3_u32 v7, v6, v7, s14
	s_mov_b64 s[8:9], exec
	v_lshrrev_b32_e32 v7, 20, v7
	s_andn2_saveexec_b64 s[10:11], s[10:11]
	s_cbranch_execnz .LBB512_2060
.LBB512_1765:
	s_or_b64 exec, exec, s[10:11]
	v_mov_b32_e32 v9, 0
	s_and_saveexec_b64 s[10:11], s[8:9]
.LBB512_1766:
	v_lshrrev_b32_e32 v6, 24, v6
	s_movk_i32 s8, 0x80
	v_and_or_b32 v9, v6, s8, v7
.LBB512_1767:
	s_or_b64 exec, exec, s[10:11]
.LBB512_1768:
	s_or_b64 exec, exec, s[6:7]
	global_store_byte v[10:11], v9, off
.LBB512_1769:
	s_mov_b64 s[6:7], -1
.LBB512_1770:
	s_mov_b64 s[8:9], 0
.LBB512_1771:
	s_and_b64 vcc, exec, s[8:9]
	s_cbranch_vccz .LBB512_1811
; %bb.1772:
	s_cmp_gt_i32 s13, 22
	s_mov_b64 s[2:3], -1
	s_cbranch_scc0 .LBB512_1804
; %bb.1773:
	s_cmp_lt_i32 s13, 24
	s_cbranch_scc1 .LBB512_1793
; %bb.1774:
	s_cmp_gt_i32 s13, 24
	s_cbranch_scc0 .LBB512_1782
; %bb.1775:
	v_cvt_f32_f64_e32 v6, v[4:5]
	v_and_b32_e32 v7, 0x7fffffff, v6
	s_mov_b32 s2, 0x47800000
	v_cmp_gt_u32_e32 vcc, s2, v7
	v_mov_b32_e32 v9, 0x80
	s_and_saveexec_b64 s[2:3], vcc
	s_cbranch_execz .LBB512_1781
; %bb.1776:
	s_mov_b32 s6, 0x37ffffff
	v_cmp_lt_u32_e32 vcc, s6, v7
	s_mov_b64 s[6:7], 0
                                        ; implicit-def: $vgpr7
	s_and_saveexec_b64 s[8:9], vcc
	s_xor_b64 s[8:9], exec, s[8:9]
	s_cbranch_execz .LBB512_2062
; %bb.1777:
	v_bfe_u32 v7, v6, 21, 1
	s_mov_b32 s10, 0x88fffff
	v_add3_u32 v7, v6, v7, s10
	s_mov_b64 s[6:7], exec
	v_lshrrev_b32_e32 v7, 21, v7
	s_andn2_saveexec_b64 s[8:9], s[8:9]
	s_cbranch_execnz .LBB512_2063
.LBB512_1778:
	s_or_b64 exec, exec, s[8:9]
	v_mov_b32_e32 v9, 0
	s_and_saveexec_b64 s[8:9], s[6:7]
.LBB512_1779:
	v_lshrrev_b32_e32 v6, 24, v6
	s_movk_i32 s6, 0x80
	v_and_or_b32 v9, v6, s6, v7
.LBB512_1780:
	s_or_b64 exec, exec, s[8:9]
.LBB512_1781:
	s_or_b64 exec, exec, s[2:3]
	s_mov_b64 s[2:3], 0
	global_store_byte v[10:11], v9, off
.LBB512_1782:
	s_and_b64 vcc, exec, s[2:3]
	s_cbranch_vccz .LBB512_1792
; %bb.1783:
	v_cvt_f32_f64_e32 v6, v[4:5]
	v_and_b32_e32 v9, 0x7fffffff, v6
	s_mov_b32 s2, 0x43f00000
	v_cmp_gt_u32_e32 vcc, s2, v9
                                        ; implicit-def: $vgpr7
	s_and_saveexec_b64 s[2:3], vcc
	s_xor_b64 s[2:3], exec, s[2:3]
	s_cbranch_execz .LBB512_1789
; %bb.1784:
	s_mov_b32 s6, 0x3c7fffff
	v_cmp_lt_u32_e32 vcc, s6, v9
                                        ; implicit-def: $vgpr7
	s_and_saveexec_b64 s[6:7], vcc
	s_xor_b64 s[6:7], exec, s[6:7]
; %bb.1785:
	v_bfe_u32 v7, v6, 20, 1
	s_mov_b32 s8, 0x407ffff
	v_add3_u32 v7, v6, v7, s8
	v_lshrrev_b32_e32 v9, 20, v7
	v_and_b32_e32 v7, 0xff00000, v7
	s_mov_b32 s8, 0x7f00000
	v_mov_b32_e32 v12, 0x7e
	v_cmp_ne_u32_e32 vcc, s8, v7
	s_nop 1
	v_cndmask_b32_e32 v7, v12, v9, vcc
; %bb.1786:
	s_andn2_saveexec_b64 s[6:7], s[6:7]
; %bb.1787:
	s_mov_b32 s8, 0x46800000
	v_add_f32_e64 v7, |v6|, s8
; %bb.1788:
	s_or_b64 exec, exec, s[6:7]
                                        ; implicit-def: $vgpr9
.LBB512_1789:
	s_andn2_saveexec_b64 s[2:3], s[2:3]
; %bb.1790:
	s_mov_b32 s6, 0x7f800000
	v_mov_b32_e32 v7, 0x7e
	v_mov_b32_e32 v12, 0x7f
	v_cmp_lt_u32_e32 vcc, s6, v9
	s_nop 1
	v_cndmask_b32_e32 v7, v7, v12, vcc
; %bb.1791:
	s_or_b64 exec, exec, s[2:3]
	v_lshrrev_b32_e32 v6, 24, v6
	s_movk_i32 s2, 0x80
	v_and_or_b32 v6, v6, s2, v7
	global_store_byte v[10:11], v6, off
.LBB512_1792:
	s_mov_b64 s[2:3], 0
.LBB512_1793:
	s_andn2_b64 vcc, exec, s[2:3]
	s_cbranch_vccnz .LBB512_1803
; %bb.1794:
	v_cvt_f32_f64_e32 v6, v[4:5]
	v_and_b32_e32 v9, 0x7fffffff, v6
	s_mov_b32 s2, 0x47800000
	v_cmp_gt_u32_e32 vcc, s2, v9
                                        ; implicit-def: $vgpr7
	s_and_saveexec_b64 s[2:3], vcc
	s_xor_b64 s[2:3], exec, s[2:3]
	s_cbranch_execz .LBB512_1800
; %bb.1795:
	s_mov_b32 s6, 0x387fffff
	v_cmp_lt_u32_e32 vcc, s6, v9
                                        ; implicit-def: $vgpr7
	s_and_saveexec_b64 s[6:7], vcc
	s_xor_b64 s[6:7], exec, s[6:7]
; %bb.1796:
	v_bfe_u32 v7, v6, 21, 1
	s_mov_b32 s8, 0x80fffff
	v_add3_u32 v7, v6, v7, s8
	v_lshrrev_b32_e32 v7, 21, v7
; %bb.1797:
	s_andn2_saveexec_b64 s[6:7], s[6:7]
; %bb.1798:
	s_mov_b32 s8, 0x43000000
	v_add_f32_e64 v7, |v6|, s8
; %bb.1799:
	s_or_b64 exec, exec, s[6:7]
                                        ; implicit-def: $vgpr9
.LBB512_1800:
	s_andn2_saveexec_b64 s[2:3], s[2:3]
; %bb.1801:
	s_mov_b32 s6, 0x7f800000
	v_mov_b32_e32 v7, 0x7c
	v_mov_b32_e32 v12, 0x7f
	v_cmp_lt_u32_e32 vcc, s6, v9
	s_nop 1
	v_cndmask_b32_e32 v7, v7, v12, vcc
; %bb.1802:
	s_or_b64 exec, exec, s[2:3]
	v_lshrrev_b32_e32 v6, 24, v6
	s_movk_i32 s2, 0x80
	v_and_or_b32 v6, v6, s2, v7
	global_store_byte v[10:11], v6, off
.LBB512_1803:
	s_mov_b64 s[2:3], 0
	s_mov_b64 s[6:7], -1
.LBB512_1804:
	s_andn2_b64 vcc, exec, s[2:3]
	s_mov_b64 s[2:3], 0
	s_cbranch_vccnz .LBB512_1811
; %bb.1805:
	s_cmp_gt_i32 s13, 14
	s_mov_b64 s[8:9], -1
	s_cbranch_scc0 .LBB512_1809
; %bb.1806:
	s_cmp_eq_u32 s13, 15
	s_mov_b64 s[0:1], -1
	s_cbranch_scc0 .LBB512_1808
; %bb.1807:
	v_cvt_f32_f64_e32 v6, v[4:5]
	v_bfe_u32 v7, v6, 16, 1
	s_movk_i32 s0, 0x7fff
	v_add3_u32 v7, v6, v7, s0
	v_cmp_o_f32_e32 vcc, v6, v6
	v_mov_b32_e32 v6, 0x7fc0
	s_mov_b64 s[0:1], 0
	v_cndmask_b32_sdwa v6, v6, v7, vcc dst_sel:DWORD dst_unused:UNUSED_PAD src0_sel:DWORD src1_sel:WORD_1
	global_store_short v[10:11], v6, off
	s_mov_b64 s[6:7], -1
.LBB512_1808:
	s_mov_b64 s[8:9], 0
.LBB512_1809:
	s_and_b64 vcc, exec, s[8:9]
	s_cbranch_vccz .LBB512_1811
; %bb.1810:
	s_cmp_lg_u32 s13, 11
	s_mov_b64 s[2:3], -1
	s_cselect_b64 s[0:1], -1, 0
.LBB512_1811:
	s_and_b64 vcc, exec, s[0:1]
	s_cbranch_vccnz .LBB512_2061
; %bb.1812:
	s_andn2_b64 vcc, exec, s[2:3]
	s_cbranch_vccnz .LBB512_1814
.LBB512_1813:
	v_cmp_neq_f64_e32 vcc, 0, v[4:5]
	s_mov_b64 s[6:7], -1
	s_nop 0
	v_cndmask_b32_e64 v6, 0, 1, vcc
	global_store_byte v[10:11], v6, off
.LBB512_1814:
	s_mov_b64 s[0:1], 0
	s_branch .LBB512_1816
.LBB512_1815:
	s_mov_b64 s[0:1], -1
	s_mov_b64 s[6:7], 0
.LBB512_1816:
	s_and_b64 vcc, exec, s[0:1]
	s_cbranch_vccz .LBB512_1855
; %bb.1817:
	s_and_b32 s2, 0xffff, s22
	s_cmp_lt_i32 s2, 5
	s_mov_b64 s[0:1], -1
	s_cbranch_scc1 .LBB512_1838
; %bb.1818:
	s_cmp_lt_i32 s2, 8
	s_cbranch_scc1 .LBB512_1828
; %bb.1819:
	s_cmp_lt_i32 s2, 9
	s_cbranch_scc1 .LBB512_1825
; %bb.1820:
	s_cmp_gt_i32 s2, 9
	s_cbranch_scc0 .LBB512_1822
; %bb.1821:
	v_mov_b32_e32 v6, 0
	v_mov_b32_e32 v7, v6
	global_store_dwordx4 v[10:11], v[4:7], off
	s_mov_b64 s[0:1], 0
.LBB512_1822:
	s_andn2_b64 vcc, exec, s[0:1]
	s_cbranch_vccnz .LBB512_1824
; %bb.1823:
	v_cvt_f32_f64_e32 v6, v[4:5]
	v_mov_b32_e32 v7, 0
	global_store_dwordx2 v[10:11], v[6:7], off
.LBB512_1824:
	s_mov_b64 s[0:1], 0
.LBB512_1825:
	s_andn2_b64 vcc, exec, s[0:1]
	s_cbranch_vccnz .LBB512_1827
; %bb.1826:
	s_movk_i32 s0, 0x1ff
	v_and_or_b32 v6, v5, s0, v4
	v_cmp_ne_u32_e32 vcc, 0, v6
	v_lshrrev_b32_e32 v7, 8, v5
	s_movk_i32 s0, 0xffe
	v_cndmask_b32_e64 v6, 0, 1, vcc
	v_bfe_u32 v9, v5, 20, 11
	v_and_or_b32 v6, v7, s0, v6
	v_sub_u32_e32 v12, 0x3f1, v9
	v_or_b32_e32 v7, 0x1000, v6
	v_med3_i32 v12, v12, 0, 13
	v_lshrrev_b32_e32 v13, v12, v7
	v_lshlrev_b32_e32 v12, v12, v13
	v_cmp_ne_u32_e32 vcc, v12, v7
	v_add_u32_e32 v9, 0xfffffc10, v9
	v_lshl_or_b32 v12, v9, 12, v6
	v_cndmask_b32_e64 v7, 0, 1, vcc
	v_or_b32_e32 v7, v13, v7
	v_cmp_gt_i32_e32 vcc, 1, v9
	s_movk_i32 s0, 0x40f
	s_nop 0
	v_cndmask_b32_e32 v7, v12, v7, vcc
	v_and_b32_e32 v12, 7, v7
	v_cmp_lt_i32_e32 vcc, 5, v12
	v_lshrrev_b32_e32 v7, 2, v7
	s_nop 0
	v_cndmask_b32_e64 v13, 0, 1, vcc
	v_cmp_eq_u32_e32 vcc, 3, v12
	s_nop 1
	v_cndmask_b32_e64 v12, 0, 1, vcc
	v_or_b32_e32 v12, v12, v13
	v_add_u32_e32 v7, v7, v12
	v_mov_b32_e32 v12, 0x7c00
	v_cmp_gt_i32_e32 vcc, 31, v9
	v_mov_b32_e32 v13, 0x7e00
	s_nop 0
	v_cndmask_b32_e32 v7, v12, v7, vcc
	v_cmp_ne_u32_e32 vcc, 0, v6
	s_nop 1
	v_cndmask_b32_e32 v6, v12, v13, vcc
	v_cmp_eq_u32_e32 vcc, s0, v9
	s_mov_b32 s0, 0x8000
	s_nop 0
	v_cndmask_b32_e32 v6, v7, v6, vcc
	v_and_b32_sdwa v7, v5, s0 dst_sel:DWORD dst_unused:UNUSED_PAD src0_sel:WORD_1 src1_sel:DWORD
	s_mov_b32 s0, 0xffff
	v_bitop3_b32 v6, v7, s0, v6 bitop3:0xc8
	global_store_dword v[10:11], v6, off
.LBB512_1827:
	s_mov_b64 s[0:1], 0
.LBB512_1828:
	s_andn2_b64 vcc, exec, s[0:1]
	s_cbranch_vccnz .LBB512_1837
; %bb.1829:
	s_cmp_lt_i32 s2, 6
	s_mov_b64 s[0:1], -1
	s_cbranch_scc1 .LBB512_1835
; %bb.1830:
	s_cmp_gt_i32 s2, 6
	s_cbranch_scc0 .LBB512_1832
; %bb.1831:
	global_store_dwordx2 v[10:11], v[4:5], off
	s_mov_b64 s[0:1], 0
.LBB512_1832:
	s_andn2_b64 vcc, exec, s[0:1]
	s_cbranch_vccnz .LBB512_1834
; %bb.1833:
	v_cvt_f32_f64_e32 v6, v[4:5]
	global_store_dword v[10:11], v6, off
.LBB512_1834:
	s_mov_b64 s[0:1], 0
.LBB512_1835:
	s_andn2_b64 vcc, exec, s[0:1]
	s_cbranch_vccnz .LBB512_1837
; %bb.1836:
	s_movk_i32 s0, 0x1ff
	v_and_or_b32 v6, v5, s0, v4
	v_cmp_ne_u32_e32 vcc, 0, v6
	v_lshrrev_b32_e32 v7, 8, v5
	s_movk_i32 s0, 0xffe
	v_cndmask_b32_e64 v6, 0, 1, vcc
	v_bfe_u32 v9, v5, 20, 11
	v_and_or_b32 v6, v7, s0, v6
	v_sub_u32_e32 v12, 0x3f1, v9
	v_or_b32_e32 v7, 0x1000, v6
	v_med3_i32 v12, v12, 0, 13
	v_lshrrev_b32_e32 v13, v12, v7
	v_lshlrev_b32_e32 v12, v12, v13
	v_cmp_ne_u32_e32 vcc, v12, v7
	v_add_u32_e32 v9, 0xfffffc10, v9
	v_lshl_or_b32 v12, v9, 12, v6
	v_cndmask_b32_e64 v7, 0, 1, vcc
	v_or_b32_e32 v7, v13, v7
	v_cmp_gt_i32_e32 vcc, 1, v9
	s_movk_i32 s0, 0x40f
	s_nop 0
	v_cndmask_b32_e32 v7, v12, v7, vcc
	v_and_b32_e32 v12, 7, v7
	v_cmp_lt_i32_e32 vcc, 5, v12
	v_lshrrev_b32_e32 v7, 2, v7
	s_nop 0
	v_cndmask_b32_e64 v13, 0, 1, vcc
	v_cmp_eq_u32_e32 vcc, 3, v12
	s_nop 1
	v_cndmask_b32_e64 v12, 0, 1, vcc
	v_or_b32_e32 v12, v12, v13
	v_add_u32_e32 v7, v7, v12
	v_mov_b32_e32 v12, 0x7c00
	v_cmp_gt_i32_e32 vcc, 31, v9
	v_mov_b32_e32 v13, 0x7e00
	s_nop 0
	v_cndmask_b32_e32 v7, v12, v7, vcc
	v_cmp_ne_u32_e32 vcc, 0, v6
	s_nop 1
	v_cndmask_b32_e32 v6, v12, v13, vcc
	v_cmp_eq_u32_e32 vcc, s0, v9
	s_mov_b32 s0, 0x8000
	s_nop 0
	v_cndmask_b32_e32 v6, v7, v6, vcc
	v_lshrrev_b32_e32 v7, 16, v5
	v_and_or_b32 v6, v7, s0, v6
	global_store_short v[10:11], v6, off
.LBB512_1837:
	s_mov_b64 s[0:1], 0
.LBB512_1838:
	s_andn2_b64 vcc, exec, s[0:1]
	s_cbranch_vccnz .LBB512_1854
; %bb.1839:
	s_cmp_lt_i32 s2, 2
	s_mov_b64 s[0:1], -1
	s_cbranch_scc1 .LBB512_1849
; %bb.1840:
	s_cmp_lt_i32 s2, 3
	s_cbranch_scc1 .LBB512_1846
; %bb.1841:
	s_cmp_gt_i32 s2, 3
	s_cbranch_scc0 .LBB512_1843
; %bb.1842:
	v_trunc_f64_e32 v[6:7], v[4:5]
	s_movk_i32 s0, 0xffe0
	v_ldexp_f64 v[12:13], v[6:7], s0
	v_floor_f64_e32 v[12:13], v[12:13]
	v_fmac_f64_e32 v[6:7], 0xc1f00000, v[12:13]
	v_cvt_i32_f64_e32 v15, v[12:13]
	v_cvt_u32_f64_e32 v14, v[6:7]
	global_store_dwordx2 v[10:11], v[14:15], off
	s_mov_b64 s[0:1], 0
.LBB512_1843:
	s_andn2_b64 vcc, exec, s[0:1]
	s_cbranch_vccnz .LBB512_1845
; %bb.1844:
	v_cvt_i32_f64_e32 v6, v[4:5]
	global_store_dword v[10:11], v6, off
.LBB512_1845:
	s_mov_b64 s[0:1], 0
.LBB512_1846:
	s_andn2_b64 vcc, exec, s[0:1]
	s_cbranch_vccnz .LBB512_1848
; %bb.1847:
	v_cvt_i32_f64_e32 v6, v[4:5]
	global_store_short v[10:11], v6, off
.LBB512_1848:
	s_mov_b64 s[0:1], 0
.LBB512_1849:
	s_andn2_b64 vcc, exec, s[0:1]
	s_cbranch_vccnz .LBB512_1854
; %bb.1850:
	s_cmp_gt_i32 s2, 0
	s_mov_b64 s[0:1], -1
	s_cbranch_scc0 .LBB512_1852
; %bb.1851:
	v_cvt_i32_f64_e32 v6, v[4:5]
	global_store_byte v[10:11], v6, off
	s_mov_b64 s[0:1], 0
.LBB512_1852:
	s_andn2_b64 vcc, exec, s[0:1]
	s_cbranch_vccnz .LBB512_1854
; %bb.1853:
	v_trunc_f64_e32 v[4:5], v[4:5]
	s_movk_i32 s0, 0xffe0
	v_ldexp_f64 v[6:7], v[4:5], s0
	v_floor_f64_e32 v[6:7], v[6:7]
	v_fmac_f64_e32 v[4:5], 0xc1f00000, v[6:7]
	v_cvt_u32_f64_e32 v4, v[4:5]
	global_store_byte v[10:11], v4, off
.LBB512_1854:
	s_mov_b64 s[6:7], -1
.LBB512_1855:
	s_andn2_b64 vcc, exec, s[6:7]
	s_cbranch_vccnz .LBB512_2051
; %bb.1856:
	v_add_u32_e32 v6, s12, v8
	v_ashrrev_i32_e32 v7, 31, v6
	s_cmp_lt_i32 s22, 11
	v_lshl_add_u64 v[8:9], s[4:5], 0, v[6:7]
	s_cbranch_scc1 .LBB512_1934
; %bb.1857:
	s_and_b32 s13, 0xffff, s22
	s_mov_b64 s[8:9], -1
	s_mov_b64 s[2:3], 0
	s_cmp_gt_i32 s13, 25
	s_mov_b64 s[6:7], 0
	s_mov_b64 s[0:1], 0
	s_cbranch_scc0 .LBB512_1890
; %bb.1858:
	s_cmp_gt_i32 s13, 28
	s_cbranch_scc0 .LBB512_1873
; %bb.1859:
	s_cmp_gt_i32 s13, 43
	;; [unrolled: 3-line block ×3, first 2 shown]
	s_cbranch_scc0 .LBB512_1863
; %bb.1861:
	s_mov_b64 s[0:1], -1
	s_mov_b64 s[8:9], 0
	s_cmp_eq_u32 s13, 46
	s_cbranch_scc0 .LBB512_1863
; %bb.1862:
	v_cvt_f32_f64_e32 v4, v[2:3]
	v_bfe_u32 v5, v4, 16, 1
	s_movk_i32 s0, 0x7fff
	v_add3_u32 v5, v4, v5, s0
	v_cmp_o_f32_e32 vcc, v4, v4
	v_mov_b32_e32 v4, 0x7fc0
	s_mov_b64 s[0:1], 0
	v_cndmask_b32_sdwa v4, v4, v5, vcc dst_sel:DWORD dst_unused:UNUSED_PAD src0_sel:DWORD src1_sel:WORD_1
	global_store_dword v[8:9], v4, off
	s_mov_b64 s[6:7], -1
.LBB512_1863:
	s_and_b64 vcc, exec, s[8:9]
	s_cbranch_vccz .LBB512_1868
; %bb.1864:
	s_cmp_eq_u32 s13, 44
	s_mov_b64 s[0:1], -1
	s_cbranch_scc0 .LBB512_1868
; %bb.1865:
	v_cvt_f32_f64_e32 v4, v[2:3]
	v_bfe_u32 v5, v4, 23, 8
	s_movk_i32 s0, 0xff
	v_cmp_ne_u32_e32 vcc, s0, v5
	v_mov_b32_e32 v7, 0xff
	s_and_saveexec_b64 s[6:7], vcc
; %bb.1866:
	s_mov_b32 s0, 0x3fffff
	v_lshrrev_b32_e32 v7, 23, v4
	v_and_b32_e32 v10, 0x400000, v4
	v_and_or_b32 v4, v4, s0, v5
	v_cmp_ne_u32_e32 vcc, 0, v10
	v_cmp_ne_u32_e64 s[0:1], 0, v4
	s_and_b64 s[0:1], vcc, s[0:1]
	s_nop 0
	v_cndmask_b32_e64 v4, 0, 1, s[0:1]
	v_add_u32_e32 v7, v7, v4
; %bb.1867:
	s_or_b64 exec, exec, s[6:7]
	s_mov_b64 s[0:1], 0
	s_mov_b64 s[6:7], -1
	global_store_byte v[8:9], v7, off
.LBB512_1868:
	s_mov_b64 s[8:9], 0
.LBB512_1869:
	s_and_b64 vcc, exec, s[8:9]
	s_cbranch_vccz .LBB512_1872
; %bb.1870:
	s_cmp_eq_u32 s13, 29
	s_mov_b64 s[0:1], -1
	s_cbranch_scc0 .LBB512_1872
; %bb.1871:
	v_trunc_f64_e32 v[4:5], v[2:3]
	s_movk_i32 s0, 0xffe0
	v_ldexp_f64 v[10:11], v[4:5], s0
	v_floor_f64_e32 v[10:11], v[10:11]
	v_fmac_f64_e32 v[4:5], 0xc1f00000, v[10:11]
	v_cvt_u32_f64_e32 v13, v[10:11]
	v_cvt_u32_f64_e32 v12, v[4:5]
	global_store_dwordx2 v[8:9], v[12:13], off
	s_mov_b64 s[0:1], 0
	s_mov_b64 s[6:7], -1
.LBB512_1872:
	s_mov_b64 s[8:9], 0
.LBB512_1873:
	s_and_b64 vcc, exec, s[8:9]
	s_cbranch_vccz .LBB512_1889
; %bb.1874:
	s_cmp_lt_i32 s13, 27
	s_mov_b64 s[6:7], -1
	s_cbranch_scc1 .LBB512_1880
; %bb.1875:
	s_cmp_gt_i32 s13, 27
	v_cvt_u32_f64_e32 v4, v[2:3]
	s_cbranch_scc0 .LBB512_1877
; %bb.1876:
	s_mov_b64 s[6:7], 0
	global_store_dword v[8:9], v4, off
.LBB512_1877:
	s_andn2_b64 vcc, exec, s[6:7]
	s_cbranch_vccnz .LBB512_1879
; %bb.1878:
	global_store_short v[8:9], v4, off
.LBB512_1879:
	s_mov_b64 s[6:7], 0
.LBB512_1880:
	s_andn2_b64 vcc, exec, s[6:7]
	s_cbranch_vccnz .LBB512_1888
; %bb.1881:
	v_cvt_f32_f64_e32 v4, v[2:3]
	v_and_b32_e32 v5, 0x7fffffff, v4
	s_mov_b32 s6, 0x43800000
	v_cmp_gt_u32_e32 vcc, s6, v5
	v_mov_b32_e32 v7, 0x80
	s_and_saveexec_b64 s[6:7], vcc
	s_cbranch_execz .LBB512_1887
; %bb.1882:
	s_mov_b32 s8, 0x3bffffff
	v_cmp_lt_u32_e32 vcc, s8, v5
	s_mov_b64 s[8:9], 0
                                        ; implicit-def: $vgpr5
	s_and_saveexec_b64 s[10:11], vcc
	s_xor_b64 s[10:11], exec, s[10:11]
	s_cbranch_execz .LBB512_2064
; %bb.1883:
	v_bfe_u32 v5, v4, 20, 1
	s_mov_b32 s14, 0x487ffff
	v_add3_u32 v5, v4, v5, s14
	s_mov_b64 s[8:9], exec
	v_lshrrev_b32_e32 v5, 20, v5
	s_andn2_saveexec_b64 s[10:11], s[10:11]
	s_cbranch_execnz .LBB512_2065
.LBB512_1884:
	s_or_b64 exec, exec, s[10:11]
	v_mov_b32_e32 v7, 0
	s_and_saveexec_b64 s[10:11], s[8:9]
.LBB512_1885:
	v_lshrrev_b32_e32 v4, 24, v4
	s_movk_i32 s8, 0x80
	v_and_or_b32 v7, v4, s8, v5
.LBB512_1886:
	s_or_b64 exec, exec, s[10:11]
.LBB512_1887:
	s_or_b64 exec, exec, s[6:7]
	global_store_byte v[8:9], v7, off
.LBB512_1888:
	s_mov_b64 s[6:7], -1
.LBB512_1889:
	s_mov_b64 s[8:9], 0
.LBB512_1890:
	s_and_b64 vcc, exec, s[8:9]
	s_cbranch_vccz .LBB512_1930
; %bb.1891:
	s_cmp_gt_i32 s13, 22
	s_mov_b64 s[2:3], -1
	s_cbranch_scc0 .LBB512_1923
; %bb.1892:
	s_cmp_lt_i32 s13, 24
	s_cbranch_scc1 .LBB512_1912
; %bb.1893:
	s_cmp_gt_i32 s13, 24
	s_cbranch_scc0 .LBB512_1901
; %bb.1894:
	v_cvt_f32_f64_e32 v4, v[2:3]
	v_and_b32_e32 v5, 0x7fffffff, v4
	s_mov_b32 s2, 0x47800000
	v_cmp_gt_u32_e32 vcc, s2, v5
	v_mov_b32_e32 v7, 0x80
	s_and_saveexec_b64 s[2:3], vcc
	s_cbranch_execz .LBB512_1900
; %bb.1895:
	s_mov_b32 s6, 0x37ffffff
	v_cmp_lt_u32_e32 vcc, s6, v5
	s_mov_b64 s[6:7], 0
                                        ; implicit-def: $vgpr5
	s_and_saveexec_b64 s[8:9], vcc
	s_xor_b64 s[8:9], exec, s[8:9]
	s_cbranch_execz .LBB512_2067
; %bb.1896:
	v_bfe_u32 v5, v4, 21, 1
	s_mov_b32 s10, 0x88fffff
	v_add3_u32 v5, v4, v5, s10
	s_mov_b64 s[6:7], exec
	v_lshrrev_b32_e32 v5, 21, v5
	s_andn2_saveexec_b64 s[8:9], s[8:9]
	s_cbranch_execnz .LBB512_2068
.LBB512_1897:
	s_or_b64 exec, exec, s[8:9]
	v_mov_b32_e32 v7, 0
	s_and_saveexec_b64 s[8:9], s[6:7]
.LBB512_1898:
	v_lshrrev_b32_e32 v4, 24, v4
	s_movk_i32 s6, 0x80
	v_and_or_b32 v7, v4, s6, v5
.LBB512_1899:
	s_or_b64 exec, exec, s[8:9]
.LBB512_1900:
	s_or_b64 exec, exec, s[2:3]
	s_mov_b64 s[2:3], 0
	global_store_byte v[8:9], v7, off
.LBB512_1901:
	s_and_b64 vcc, exec, s[2:3]
	s_cbranch_vccz .LBB512_1911
; %bb.1902:
	v_cvt_f32_f64_e32 v4, v[2:3]
	v_and_b32_e32 v7, 0x7fffffff, v4
	s_mov_b32 s2, 0x43f00000
	v_cmp_gt_u32_e32 vcc, s2, v7
                                        ; implicit-def: $vgpr5
	s_and_saveexec_b64 s[2:3], vcc
	s_xor_b64 s[2:3], exec, s[2:3]
	s_cbranch_execz .LBB512_1908
; %bb.1903:
	s_mov_b32 s6, 0x3c7fffff
	v_cmp_lt_u32_e32 vcc, s6, v7
                                        ; implicit-def: $vgpr5
	s_and_saveexec_b64 s[6:7], vcc
	s_xor_b64 s[6:7], exec, s[6:7]
; %bb.1904:
	v_bfe_u32 v5, v4, 20, 1
	s_mov_b32 s8, 0x407ffff
	v_add3_u32 v5, v4, v5, s8
	v_lshrrev_b32_e32 v7, 20, v5
	v_and_b32_e32 v5, 0xff00000, v5
	s_mov_b32 s8, 0x7f00000
	v_mov_b32_e32 v10, 0x7e
	v_cmp_ne_u32_e32 vcc, s8, v5
	s_nop 1
	v_cndmask_b32_e32 v5, v10, v7, vcc
; %bb.1905:
	s_andn2_saveexec_b64 s[6:7], s[6:7]
; %bb.1906:
	s_mov_b32 s8, 0x46800000
	v_add_f32_e64 v5, |v4|, s8
; %bb.1907:
	s_or_b64 exec, exec, s[6:7]
                                        ; implicit-def: $vgpr7
.LBB512_1908:
	s_andn2_saveexec_b64 s[2:3], s[2:3]
; %bb.1909:
	s_mov_b32 s6, 0x7f800000
	v_mov_b32_e32 v5, 0x7e
	v_mov_b32_e32 v10, 0x7f
	v_cmp_lt_u32_e32 vcc, s6, v7
	s_nop 1
	v_cndmask_b32_e32 v5, v5, v10, vcc
; %bb.1910:
	s_or_b64 exec, exec, s[2:3]
	v_lshrrev_b32_e32 v4, 24, v4
	s_movk_i32 s2, 0x80
	v_and_or_b32 v4, v4, s2, v5
	global_store_byte v[8:9], v4, off
.LBB512_1911:
	s_mov_b64 s[2:3], 0
.LBB512_1912:
	s_andn2_b64 vcc, exec, s[2:3]
	s_cbranch_vccnz .LBB512_1922
; %bb.1913:
	v_cvt_f32_f64_e32 v4, v[2:3]
	v_and_b32_e32 v7, 0x7fffffff, v4
	s_mov_b32 s2, 0x47800000
	v_cmp_gt_u32_e32 vcc, s2, v7
                                        ; implicit-def: $vgpr5
	s_and_saveexec_b64 s[2:3], vcc
	s_xor_b64 s[2:3], exec, s[2:3]
	s_cbranch_execz .LBB512_1919
; %bb.1914:
	s_mov_b32 s6, 0x387fffff
	v_cmp_lt_u32_e32 vcc, s6, v7
                                        ; implicit-def: $vgpr5
	s_and_saveexec_b64 s[6:7], vcc
	s_xor_b64 s[6:7], exec, s[6:7]
; %bb.1915:
	v_bfe_u32 v5, v4, 21, 1
	s_mov_b32 s8, 0x80fffff
	v_add3_u32 v5, v4, v5, s8
	v_lshrrev_b32_e32 v5, 21, v5
; %bb.1916:
	s_andn2_saveexec_b64 s[6:7], s[6:7]
; %bb.1917:
	s_mov_b32 s8, 0x43000000
	v_add_f32_e64 v5, |v4|, s8
; %bb.1918:
	s_or_b64 exec, exec, s[6:7]
                                        ; implicit-def: $vgpr7
.LBB512_1919:
	s_andn2_saveexec_b64 s[2:3], s[2:3]
; %bb.1920:
	s_mov_b32 s6, 0x7f800000
	v_mov_b32_e32 v5, 0x7c
	v_mov_b32_e32 v10, 0x7f
	v_cmp_lt_u32_e32 vcc, s6, v7
	s_nop 1
	v_cndmask_b32_e32 v5, v5, v10, vcc
; %bb.1921:
	s_or_b64 exec, exec, s[2:3]
	v_lshrrev_b32_e32 v4, 24, v4
	s_movk_i32 s2, 0x80
	v_and_or_b32 v4, v4, s2, v5
	global_store_byte v[8:9], v4, off
.LBB512_1922:
	s_mov_b64 s[2:3], 0
	s_mov_b64 s[6:7], -1
.LBB512_1923:
	s_andn2_b64 vcc, exec, s[2:3]
	s_mov_b64 s[2:3], 0
	s_cbranch_vccnz .LBB512_1930
; %bb.1924:
	s_cmp_gt_i32 s13, 14
	s_mov_b64 s[8:9], -1
	s_cbranch_scc0 .LBB512_1928
; %bb.1925:
	s_cmp_eq_u32 s13, 15
	s_mov_b64 s[0:1], -1
	s_cbranch_scc0 .LBB512_1927
; %bb.1926:
	v_cvt_f32_f64_e32 v4, v[2:3]
	v_bfe_u32 v5, v4, 16, 1
	s_movk_i32 s0, 0x7fff
	v_add3_u32 v5, v4, v5, s0
	v_cmp_o_f32_e32 vcc, v4, v4
	v_mov_b32_e32 v4, 0x7fc0
	s_mov_b64 s[0:1], 0
	v_cndmask_b32_sdwa v4, v4, v5, vcc dst_sel:DWORD dst_unused:UNUSED_PAD src0_sel:DWORD src1_sel:WORD_1
	global_store_short v[8:9], v4, off
	s_mov_b64 s[6:7], -1
.LBB512_1927:
	s_mov_b64 s[8:9], 0
.LBB512_1928:
	s_and_b64 vcc, exec, s[8:9]
	s_cbranch_vccz .LBB512_1930
; %bb.1929:
	s_cmp_lg_u32 s13, 11
	s_mov_b64 s[2:3], -1
	s_cselect_b64 s[0:1], -1, 0
.LBB512_1930:
	s_and_b64 vcc, exec, s[0:1]
	s_cbranch_vccnz .LBB512_2066
; %bb.1931:
	s_andn2_b64 vcc, exec, s[2:3]
	s_cbranch_vccnz .LBB512_1933
.LBB512_1932:
	v_cmp_neq_f64_e32 vcc, 0, v[2:3]
	s_mov_b64 s[6:7], -1
	s_nop 0
	v_cndmask_b32_e64 v4, 0, 1, vcc
	global_store_byte v[8:9], v4, off
.LBB512_1933:
	s_mov_b64 s[0:1], 0
	s_branch .LBB512_1935
.LBB512_1934:
	s_mov_b64 s[0:1], -1
	s_mov_b64 s[6:7], 0
.LBB512_1935:
	s_and_b64 vcc, exec, s[0:1]
	s_cbranch_vccz .LBB512_1974
; %bb.1936:
	s_and_b32 s2, 0xffff, s22
	s_cmp_lt_i32 s2, 5
	s_mov_b64 s[0:1], -1
	s_cbranch_scc1 .LBB512_1957
; %bb.1937:
	s_cmp_lt_i32 s2, 8
	s_cbranch_scc1 .LBB512_1947
; %bb.1938:
	s_cmp_lt_i32 s2, 9
	s_cbranch_scc1 .LBB512_1944
; %bb.1939:
	s_cmp_gt_i32 s2, 9
	s_cbranch_scc0 .LBB512_1941
; %bb.1940:
	v_mov_b32_e32 v4, 0
	v_mov_b32_e32 v5, v4
	global_store_dwordx4 v[8:9], v[2:5], off
	s_mov_b64 s[0:1], 0
.LBB512_1941:
	s_andn2_b64 vcc, exec, s[0:1]
	s_cbranch_vccnz .LBB512_1943
; %bb.1942:
	v_cvt_f32_f64_e32 v4, v[2:3]
	v_mov_b32_e32 v5, 0
	global_store_dwordx2 v[8:9], v[4:5], off
.LBB512_1943:
	s_mov_b64 s[0:1], 0
.LBB512_1944:
	s_andn2_b64 vcc, exec, s[0:1]
	s_cbranch_vccnz .LBB512_1946
; %bb.1945:
	s_movk_i32 s0, 0x1ff
	v_and_or_b32 v4, v3, s0, v2
	v_cmp_ne_u32_e32 vcc, 0, v4
	v_lshrrev_b32_e32 v5, 8, v3
	s_movk_i32 s0, 0xffe
	v_cndmask_b32_e64 v4, 0, 1, vcc
	v_bfe_u32 v7, v3, 20, 11
	v_and_or_b32 v4, v5, s0, v4
	v_sub_u32_e32 v10, 0x3f1, v7
	v_or_b32_e32 v5, 0x1000, v4
	v_med3_i32 v10, v10, 0, 13
	v_lshrrev_b32_e32 v11, v10, v5
	v_lshlrev_b32_e32 v10, v10, v11
	v_cmp_ne_u32_e32 vcc, v10, v5
	v_add_u32_e32 v7, 0xfffffc10, v7
	v_lshl_or_b32 v10, v7, 12, v4
	v_cndmask_b32_e64 v5, 0, 1, vcc
	v_or_b32_e32 v5, v11, v5
	v_cmp_gt_i32_e32 vcc, 1, v7
	s_movk_i32 s0, 0x40f
	s_nop 0
	v_cndmask_b32_e32 v5, v10, v5, vcc
	v_and_b32_e32 v10, 7, v5
	v_cmp_lt_i32_e32 vcc, 5, v10
	v_lshrrev_b32_e32 v5, 2, v5
	s_nop 0
	v_cndmask_b32_e64 v11, 0, 1, vcc
	v_cmp_eq_u32_e32 vcc, 3, v10
	s_nop 1
	v_cndmask_b32_e64 v10, 0, 1, vcc
	v_or_b32_e32 v10, v10, v11
	v_add_u32_e32 v5, v5, v10
	v_mov_b32_e32 v10, 0x7c00
	v_cmp_gt_i32_e32 vcc, 31, v7
	v_mov_b32_e32 v11, 0x7e00
	s_nop 0
	v_cndmask_b32_e32 v5, v10, v5, vcc
	v_cmp_ne_u32_e32 vcc, 0, v4
	s_nop 1
	v_cndmask_b32_e32 v4, v10, v11, vcc
	v_cmp_eq_u32_e32 vcc, s0, v7
	s_mov_b32 s0, 0x8000
	s_nop 0
	v_cndmask_b32_e32 v4, v5, v4, vcc
	v_and_b32_sdwa v5, v3, s0 dst_sel:DWORD dst_unused:UNUSED_PAD src0_sel:WORD_1 src1_sel:DWORD
	s_mov_b32 s0, 0xffff
	v_bitop3_b32 v4, v5, s0, v4 bitop3:0xc8
	global_store_dword v[8:9], v4, off
.LBB512_1946:
	s_mov_b64 s[0:1], 0
.LBB512_1947:
	s_andn2_b64 vcc, exec, s[0:1]
	s_cbranch_vccnz .LBB512_1956
; %bb.1948:
	s_cmp_lt_i32 s2, 6
	s_mov_b64 s[0:1], -1
	s_cbranch_scc1 .LBB512_1954
; %bb.1949:
	s_cmp_gt_i32 s2, 6
	s_cbranch_scc0 .LBB512_1951
; %bb.1950:
	global_store_dwordx2 v[8:9], v[2:3], off
	s_mov_b64 s[0:1], 0
.LBB512_1951:
	s_andn2_b64 vcc, exec, s[0:1]
	s_cbranch_vccnz .LBB512_1953
; %bb.1952:
	v_cvt_f32_f64_e32 v4, v[2:3]
	global_store_dword v[8:9], v4, off
.LBB512_1953:
	s_mov_b64 s[0:1], 0
.LBB512_1954:
	s_andn2_b64 vcc, exec, s[0:1]
	s_cbranch_vccnz .LBB512_1956
; %bb.1955:
	s_movk_i32 s0, 0x1ff
	v_and_or_b32 v4, v3, s0, v2
	v_cmp_ne_u32_e32 vcc, 0, v4
	v_lshrrev_b32_e32 v5, 8, v3
	s_movk_i32 s0, 0xffe
	v_cndmask_b32_e64 v4, 0, 1, vcc
	v_bfe_u32 v7, v3, 20, 11
	v_and_or_b32 v4, v5, s0, v4
	v_sub_u32_e32 v10, 0x3f1, v7
	v_or_b32_e32 v5, 0x1000, v4
	v_med3_i32 v10, v10, 0, 13
	v_lshrrev_b32_e32 v11, v10, v5
	v_lshlrev_b32_e32 v10, v10, v11
	v_cmp_ne_u32_e32 vcc, v10, v5
	v_add_u32_e32 v7, 0xfffffc10, v7
	v_lshl_or_b32 v10, v7, 12, v4
	v_cndmask_b32_e64 v5, 0, 1, vcc
	v_or_b32_e32 v5, v11, v5
	v_cmp_gt_i32_e32 vcc, 1, v7
	s_movk_i32 s0, 0x40f
	s_nop 0
	v_cndmask_b32_e32 v5, v10, v5, vcc
	v_and_b32_e32 v10, 7, v5
	v_cmp_lt_i32_e32 vcc, 5, v10
	v_lshrrev_b32_e32 v5, 2, v5
	s_nop 0
	v_cndmask_b32_e64 v11, 0, 1, vcc
	v_cmp_eq_u32_e32 vcc, 3, v10
	s_nop 1
	v_cndmask_b32_e64 v10, 0, 1, vcc
	v_or_b32_e32 v10, v10, v11
	v_add_u32_e32 v5, v5, v10
	v_mov_b32_e32 v10, 0x7c00
	v_cmp_gt_i32_e32 vcc, 31, v7
	v_mov_b32_e32 v11, 0x7e00
	s_nop 0
	v_cndmask_b32_e32 v5, v10, v5, vcc
	v_cmp_ne_u32_e32 vcc, 0, v4
	s_nop 1
	v_cndmask_b32_e32 v4, v10, v11, vcc
	v_cmp_eq_u32_e32 vcc, s0, v7
	s_mov_b32 s0, 0x8000
	s_nop 0
	v_cndmask_b32_e32 v4, v5, v4, vcc
	v_lshrrev_b32_e32 v5, 16, v3
	v_and_or_b32 v4, v5, s0, v4
	global_store_short v[8:9], v4, off
.LBB512_1956:
	s_mov_b64 s[0:1], 0
.LBB512_1957:
	s_andn2_b64 vcc, exec, s[0:1]
	s_cbranch_vccnz .LBB512_1973
; %bb.1958:
	s_cmp_lt_i32 s2, 2
	s_mov_b64 s[0:1], -1
	s_cbranch_scc1 .LBB512_1968
; %bb.1959:
	s_cmp_lt_i32 s2, 3
	s_cbranch_scc1 .LBB512_1965
; %bb.1960:
	s_cmp_gt_i32 s2, 3
	s_cbranch_scc0 .LBB512_1962
; %bb.1961:
	v_trunc_f64_e32 v[4:5], v[2:3]
	s_movk_i32 s0, 0xffe0
	v_ldexp_f64 v[10:11], v[4:5], s0
	v_floor_f64_e32 v[10:11], v[10:11]
	v_fmac_f64_e32 v[4:5], 0xc1f00000, v[10:11]
	v_cvt_i32_f64_e32 v13, v[10:11]
	v_cvt_u32_f64_e32 v12, v[4:5]
	global_store_dwordx2 v[8:9], v[12:13], off
	s_mov_b64 s[0:1], 0
.LBB512_1962:
	s_andn2_b64 vcc, exec, s[0:1]
	s_cbranch_vccnz .LBB512_1964
; %bb.1963:
	v_cvt_i32_f64_e32 v4, v[2:3]
	global_store_dword v[8:9], v4, off
.LBB512_1964:
	s_mov_b64 s[0:1], 0
.LBB512_1965:
	s_andn2_b64 vcc, exec, s[0:1]
	s_cbranch_vccnz .LBB512_1967
; %bb.1966:
	v_cvt_i32_f64_e32 v4, v[2:3]
	global_store_short v[8:9], v4, off
.LBB512_1967:
	s_mov_b64 s[0:1], 0
.LBB512_1968:
	s_andn2_b64 vcc, exec, s[0:1]
	s_cbranch_vccnz .LBB512_1973
; %bb.1969:
	s_cmp_gt_i32 s2, 0
	s_mov_b64 s[0:1], -1
	s_cbranch_scc0 .LBB512_1971
; %bb.1970:
	v_cvt_i32_f64_e32 v4, v[2:3]
	global_store_byte v[8:9], v4, off
	s_mov_b64 s[0:1], 0
.LBB512_1971:
	s_andn2_b64 vcc, exec, s[0:1]
	s_cbranch_vccnz .LBB512_1973
; %bb.1972:
	v_trunc_f64_e32 v[2:3], v[2:3]
	s_movk_i32 s0, 0xffe0
	v_ldexp_f64 v[4:5], v[2:3], s0
	v_floor_f64_e32 v[4:5], v[4:5]
	v_fmac_f64_e32 v[2:3], 0xc1f00000, v[4:5]
	v_cvt_u32_f64_e32 v2, v[2:3]
	global_store_byte v[8:9], v2, off
.LBB512_1973:
	s_mov_b64 s[6:7], -1
.LBB512_1974:
	s_andn2_b64 vcc, exec, s[6:7]
	s_cbranch_vccnz .LBB512_2051
; %bb.1975:
	v_add_u32_e32 v2, s12, v6
	v_ashrrev_i32_e32 v3, 31, v2
	s_cmp_lt_i32 s22, 11
	v_lshl_add_u64 v[4:5], s[4:5], 0, v[2:3]
	s_cbranch_scc1 .LBB512_2052
; %bb.1976:
	s_and_b32 s10, 0xffff, s22
	s_mov_b64 s[4:5], -1
	s_mov_b64 s[2:3], 0
	s_cmp_gt_i32 s10, 25
	s_mov_b64 s[0:1], 0
	s_cbranch_scc0 .LBB512_2009
; %bb.1977:
	s_cmp_gt_i32 s10, 28
	s_cbranch_scc0 .LBB512_1993
; %bb.1978:
	s_cmp_gt_i32 s10, 43
	;; [unrolled: 3-line block ×3, first 2 shown]
	s_cbranch_scc0 .LBB512_1983
; %bb.1980:
	s_cmp_eq_u32 s10, 46
	s_mov_b64 s[0:1], -1
	s_cbranch_scc0 .LBB512_1982
; %bb.1981:
	v_cvt_f32_f64_e32 v2, v[0:1]
	v_bfe_u32 v3, v2, 16, 1
	s_movk_i32 s0, 0x7fff
	v_add3_u32 v3, v2, v3, s0
	v_cmp_o_f32_e32 vcc, v2, v2
	v_mov_b32_e32 v2, 0x7fc0
	s_mov_b64 s[0:1], 0
	v_cndmask_b32_sdwa v2, v2, v3, vcc dst_sel:DWORD dst_unused:UNUSED_PAD src0_sel:DWORD src1_sel:WORD_1
	global_store_dword v[4:5], v2, off
.LBB512_1982:
	s_mov_b64 s[4:5], 0
.LBB512_1983:
	s_and_b64 vcc, exec, s[4:5]
	s_cbranch_vccz .LBB512_1988
; %bb.1984:
	s_cmp_eq_u32 s10, 44
	s_mov_b64 s[0:1], -1
	s_cbranch_scc0 .LBB512_1988
; %bb.1985:
	v_cvt_f32_f64_e32 v2, v[0:1]
	v_bfe_u32 v3, v2, 23, 8
	s_movk_i32 s0, 0xff
	v_cmp_ne_u32_e32 vcc, s0, v3
	v_mov_b32_e32 v6, 0xff
	s_and_saveexec_b64 s[4:5], vcc
; %bb.1986:
	s_mov_b32 s0, 0x3fffff
	v_lshrrev_b32_e32 v6, 23, v2
	v_and_b32_e32 v7, 0x400000, v2
	v_and_or_b32 v2, v2, s0, v3
	v_cmp_ne_u32_e32 vcc, 0, v7
	v_cmp_ne_u32_e64 s[0:1], 0, v2
	s_and_b64 s[0:1], vcc, s[0:1]
	s_nop 0
	v_cndmask_b32_e64 v2, 0, 1, s[0:1]
	v_add_u32_e32 v6, v6, v2
; %bb.1987:
	s_or_b64 exec, exec, s[4:5]
	s_mov_b64 s[0:1], 0
	global_store_byte v[4:5], v6, off
.LBB512_1988:
	s_mov_b64 s[4:5], 0
.LBB512_1989:
	s_and_b64 vcc, exec, s[4:5]
	s_cbranch_vccz .LBB512_1992
; %bb.1990:
	s_cmp_eq_u32 s10, 29
	s_mov_b64 s[0:1], -1
	s_cbranch_scc0 .LBB512_1992
; %bb.1991:
	v_trunc_f64_e32 v[2:3], v[0:1]
	s_movk_i32 s0, 0xffe0
	v_ldexp_f64 v[6:7], v[2:3], s0
	v_floor_f64_e32 v[6:7], v[6:7]
	v_fmac_f64_e32 v[2:3], 0xc1f00000, v[6:7]
	v_cvt_u32_f64_e32 v9, v[6:7]
	v_cvt_u32_f64_e32 v8, v[2:3]
	global_store_dwordx2 v[4:5], v[8:9], off
	s_mov_b64 s[0:1], 0
.LBB512_1992:
	s_mov_b64 s[4:5], 0
.LBB512_1993:
	s_and_b64 vcc, exec, s[4:5]
	s_cbranch_vccz .LBB512_2008
; %bb.1994:
	s_cmp_lt_i32 s10, 27
	s_mov_b64 s[4:5], -1
	s_cbranch_scc1 .LBB512_2000
; %bb.1995:
	s_cmp_gt_i32 s10, 27
	v_cvt_u32_f64_e32 v2, v[0:1]
	s_cbranch_scc0 .LBB512_1997
; %bb.1996:
	global_store_dword v[4:5], v2, off
	s_mov_b64 s[4:5], 0
.LBB512_1997:
	s_andn2_b64 vcc, exec, s[4:5]
	s_cbranch_vccnz .LBB512_1999
; %bb.1998:
	global_store_short v[4:5], v2, off
.LBB512_1999:
	s_mov_b64 s[4:5], 0
.LBB512_2000:
	s_andn2_b64 vcc, exec, s[4:5]
	s_cbranch_vccnz .LBB512_2008
; %bb.2001:
	v_cvt_f32_f64_e32 v2, v[0:1]
	v_and_b32_e32 v3, 0x7fffffff, v2
	s_mov_b32 s4, 0x43800000
	v_cmp_gt_u32_e32 vcc, s4, v3
	v_mov_b32_e32 v6, 0x80
	s_and_saveexec_b64 s[4:5], vcc
	s_cbranch_execz .LBB512_2007
; %bb.2002:
	s_mov_b32 s6, 0x3bffffff
	v_cmp_lt_u32_e32 vcc, s6, v3
	s_mov_b64 s[6:7], 0
                                        ; implicit-def: $vgpr3
	s_and_saveexec_b64 s[8:9], vcc
	s_xor_b64 s[8:9], exec, s[8:9]
	s_cbranch_execz .LBB512_2069
; %bb.2003:
	v_bfe_u32 v3, v2, 20, 1
	s_mov_b32 s11, 0x487ffff
	v_add3_u32 v3, v2, v3, s11
	s_mov_b64 s[6:7], exec
	v_lshrrev_b32_e32 v3, 20, v3
	s_andn2_saveexec_b64 s[8:9], s[8:9]
	s_cbranch_execnz .LBB512_2070
.LBB512_2004:
	s_or_b64 exec, exec, s[8:9]
	v_mov_b32_e32 v6, 0
	s_and_saveexec_b64 s[8:9], s[6:7]
.LBB512_2005:
	v_lshrrev_b32_e32 v2, 24, v2
	s_movk_i32 s6, 0x80
	v_and_or_b32 v6, v2, s6, v3
.LBB512_2006:
	s_or_b64 exec, exec, s[8:9]
.LBB512_2007:
	s_or_b64 exec, exec, s[4:5]
	global_store_byte v[4:5], v6, off
.LBB512_2008:
	s_mov_b64 s[4:5], 0
.LBB512_2009:
	s_and_b64 vcc, exec, s[4:5]
	s_cbranch_vccz .LBB512_2049
; %bb.2010:
	s_cmp_gt_i32 s10, 22
	s_mov_b64 s[2:3], -1
	s_cbranch_scc0 .LBB512_2042
; %bb.2011:
	s_cmp_lt_i32 s10, 24
	s_cbranch_scc1 .LBB512_2031
; %bb.2012:
	s_cmp_gt_i32 s10, 24
	s_cbranch_scc0 .LBB512_2020
; %bb.2013:
	v_cvt_f32_f64_e32 v2, v[0:1]
	v_and_b32_e32 v3, 0x7fffffff, v2
	s_mov_b32 s2, 0x47800000
	v_cmp_gt_u32_e32 vcc, s2, v3
	v_mov_b32_e32 v6, 0x80
	s_and_saveexec_b64 s[2:3], vcc
	s_cbranch_execz .LBB512_2019
; %bb.2014:
	s_mov_b32 s4, 0x37ffffff
	v_cmp_lt_u32_e32 vcc, s4, v3
	s_mov_b64 s[4:5], 0
                                        ; implicit-def: $vgpr3
	s_and_saveexec_b64 s[6:7], vcc
	s_xor_b64 s[6:7], exec, s[6:7]
	s_cbranch_execz .LBB512_2072
; %bb.2015:
	v_bfe_u32 v3, v2, 21, 1
	s_mov_b32 s8, 0x88fffff
	v_add3_u32 v3, v2, v3, s8
	s_mov_b64 s[4:5], exec
	v_lshrrev_b32_e32 v3, 21, v3
	s_andn2_saveexec_b64 s[6:7], s[6:7]
	s_cbranch_execnz .LBB512_2073
.LBB512_2016:
	s_or_b64 exec, exec, s[6:7]
	v_mov_b32_e32 v6, 0
	s_and_saveexec_b64 s[6:7], s[4:5]
.LBB512_2017:
	v_lshrrev_b32_e32 v2, 24, v2
	s_movk_i32 s4, 0x80
	v_and_or_b32 v6, v2, s4, v3
.LBB512_2018:
	s_or_b64 exec, exec, s[6:7]
.LBB512_2019:
	s_or_b64 exec, exec, s[2:3]
	s_mov_b64 s[2:3], 0
	global_store_byte v[4:5], v6, off
.LBB512_2020:
	s_and_b64 vcc, exec, s[2:3]
	s_cbranch_vccz .LBB512_2030
; %bb.2021:
	v_cvt_f32_f64_e32 v2, v[0:1]
	v_and_b32_e32 v6, 0x7fffffff, v2
	s_mov_b32 s2, 0x43f00000
	v_cmp_gt_u32_e32 vcc, s2, v6
                                        ; implicit-def: $vgpr3
	s_and_saveexec_b64 s[2:3], vcc
	s_xor_b64 s[2:3], exec, s[2:3]
	s_cbranch_execz .LBB512_2027
; %bb.2022:
	s_mov_b32 s4, 0x3c7fffff
	v_cmp_lt_u32_e32 vcc, s4, v6
                                        ; implicit-def: $vgpr3
	s_and_saveexec_b64 s[4:5], vcc
	s_xor_b64 s[4:5], exec, s[4:5]
; %bb.2023:
	v_bfe_u32 v3, v2, 20, 1
	s_mov_b32 s6, 0x407ffff
	v_add3_u32 v3, v2, v3, s6
	v_lshrrev_b32_e32 v6, 20, v3
	v_and_b32_e32 v3, 0xff00000, v3
	s_mov_b32 s6, 0x7f00000
	v_mov_b32_e32 v7, 0x7e
	v_cmp_ne_u32_e32 vcc, s6, v3
	s_nop 1
	v_cndmask_b32_e32 v3, v7, v6, vcc
; %bb.2024:
	s_andn2_saveexec_b64 s[4:5], s[4:5]
; %bb.2025:
	s_mov_b32 s6, 0x46800000
	v_add_f32_e64 v3, |v2|, s6
; %bb.2026:
	s_or_b64 exec, exec, s[4:5]
                                        ; implicit-def: $vgpr6
.LBB512_2027:
	s_andn2_saveexec_b64 s[2:3], s[2:3]
; %bb.2028:
	s_mov_b32 s4, 0x7f800000
	v_mov_b32_e32 v3, 0x7e
	v_mov_b32_e32 v7, 0x7f
	v_cmp_lt_u32_e32 vcc, s4, v6
	s_nop 1
	v_cndmask_b32_e32 v3, v3, v7, vcc
; %bb.2029:
	s_or_b64 exec, exec, s[2:3]
	v_lshrrev_b32_e32 v2, 24, v2
	s_movk_i32 s2, 0x80
	v_and_or_b32 v2, v2, s2, v3
	global_store_byte v[4:5], v2, off
.LBB512_2030:
	s_mov_b64 s[2:3], 0
.LBB512_2031:
	s_andn2_b64 vcc, exec, s[2:3]
	s_cbranch_vccnz .LBB512_2041
; %bb.2032:
	v_cvt_f32_f64_e32 v2, v[0:1]
	v_and_b32_e32 v6, 0x7fffffff, v2
	s_mov_b32 s2, 0x47800000
	v_cmp_gt_u32_e32 vcc, s2, v6
                                        ; implicit-def: $vgpr3
	s_and_saveexec_b64 s[2:3], vcc
	s_xor_b64 s[2:3], exec, s[2:3]
	s_cbranch_execz .LBB512_2038
; %bb.2033:
	s_mov_b32 s4, 0x387fffff
	v_cmp_lt_u32_e32 vcc, s4, v6
                                        ; implicit-def: $vgpr3
	s_and_saveexec_b64 s[4:5], vcc
	s_xor_b64 s[4:5], exec, s[4:5]
; %bb.2034:
	v_bfe_u32 v3, v2, 21, 1
	s_mov_b32 s6, 0x80fffff
	v_add3_u32 v3, v2, v3, s6
	v_lshrrev_b32_e32 v3, 21, v3
; %bb.2035:
	s_andn2_saveexec_b64 s[4:5], s[4:5]
; %bb.2036:
	s_mov_b32 s6, 0x43000000
	v_add_f32_e64 v3, |v2|, s6
; %bb.2037:
	s_or_b64 exec, exec, s[4:5]
                                        ; implicit-def: $vgpr6
.LBB512_2038:
	s_andn2_saveexec_b64 s[2:3], s[2:3]
; %bb.2039:
	s_mov_b32 s4, 0x7f800000
	v_mov_b32_e32 v3, 0x7c
	v_mov_b32_e32 v7, 0x7f
	v_cmp_lt_u32_e32 vcc, s4, v6
	s_nop 1
	v_cndmask_b32_e32 v3, v3, v7, vcc
; %bb.2040:
	s_or_b64 exec, exec, s[2:3]
	v_lshrrev_b32_e32 v2, 24, v2
	s_movk_i32 s2, 0x80
	v_and_or_b32 v2, v2, s2, v3
	global_store_byte v[4:5], v2, off
.LBB512_2041:
	s_mov_b64 s[2:3], 0
.LBB512_2042:
	s_andn2_b64 vcc, exec, s[2:3]
	s_mov_b64 s[2:3], 0
	s_cbranch_vccnz .LBB512_2049
; %bb.2043:
	s_cmp_gt_i32 s10, 14
	s_mov_b64 s[4:5], -1
	s_cbranch_scc0 .LBB512_2047
; %bb.2044:
	s_cmp_eq_u32 s10, 15
	s_mov_b64 s[0:1], -1
	s_cbranch_scc0 .LBB512_2046
; %bb.2045:
	v_cvt_f32_f64_e32 v2, v[0:1]
	v_bfe_u32 v3, v2, 16, 1
	s_movk_i32 s0, 0x7fff
	v_add3_u32 v3, v2, v3, s0
	v_cmp_o_f32_e32 vcc, v2, v2
	v_mov_b32_e32 v2, 0x7fc0
	s_mov_b64 s[0:1], 0
	v_cndmask_b32_sdwa v2, v2, v3, vcc dst_sel:DWORD dst_unused:UNUSED_PAD src0_sel:DWORD src1_sel:WORD_1
	global_store_short v[4:5], v2, off
.LBB512_2046:
	s_mov_b64 s[4:5], 0
.LBB512_2047:
	s_and_b64 vcc, exec, s[4:5]
	s_cbranch_vccz .LBB512_2049
; %bb.2048:
	s_cmp_lg_u32 s10, 11
	s_mov_b64 s[2:3], -1
	s_cselect_b64 s[0:1], -1, 0
.LBB512_2049:
	s_and_b64 vcc, exec, s[0:1]
	s_cbranch_vccnz .LBB512_2071
.LBB512_2050:
	s_mov_b64 s[0:1], 0
	s_branch .LBB512_1652
.LBB512_2051:
	s_mov_b64 s[0:1], 0
                                        ; implicit-def: $sgpr22
                                        ; implicit-def: $vgpr4_vgpr5
	s_branch .LBB512_1651
.LBB512_2052:
	s_mov_b64 s[2:3], 0
	s_mov_b64 s[0:1], -1
	s_branch .LBB512_1652
.LBB512_2053:
	s_trap 2
	s_or_b64 s[20:21], s[20:21], exec
	s_cbranch_execz .LBB512_1516
	s_branch .LBB512_1517
.LBB512_2054:
	s_andn2_saveexec_b64 s[10:11], s[10:11]
	s_cbranch_execz .LBB512_1600
.LBB512_2055:
	s_mov_b32 s14, 0x46000000
	v_add_f32_e64 v9, |v8|, s14
	v_and_b32_e32 v9, 0xff, v9
	v_cmp_ne_u32_e32 vcc, 0, v9
	s_andn2_b64 s[8:9], s[8:9], exec
	s_and_b64 s[14:15], vcc, exec
	s_or_b64 s[8:9], s[8:9], s[14:15]
	s_or_b64 exec, exec, s[10:11]
	v_mov_b32_e32 v11, 0
	s_and_saveexec_b64 s[10:11], s[8:9]
	s_cbranch_execnz .LBB512_1601
	s_branch .LBB512_1602
.LBB512_2056:
	s_trap 2
	s_or_b64 s[20:21], s[20:21], exec
	s_cbranch_execz .LBB512_1648
	s_branch .LBB512_1649
.LBB512_2057:
	s_andn2_saveexec_b64 s[8:9], s[8:9]
	s_cbranch_execz .LBB512_1613
.LBB512_2058:
	s_mov_b32 s10, 0x42800000
	v_add_f32_e64 v9, |v8|, s10
	v_and_b32_e32 v9, 0xff, v9
	v_cmp_ne_u32_e32 vcc, 0, v9
	s_andn2_b64 s[6:7], s[6:7], exec
	s_and_b64 s[10:11], vcc, exec
	s_or_b64 s[6:7], s[6:7], s[10:11]
	s_or_b64 exec, exec, s[8:9]
	v_mov_b32_e32 v11, 0
	s_and_saveexec_b64 s[8:9], s[6:7]
	s_cbranch_execnz .LBB512_1614
	s_branch .LBB512_1615
.LBB512_2059:
	s_andn2_saveexec_b64 s[10:11], s[10:11]
	s_cbranch_execz .LBB512_1765
.LBB512_2060:
	s_mov_b32 s14, 0x46000000
	v_add_f32_e64 v7, |v6|, s14
	v_and_b32_e32 v7, 0xff, v7
	v_cmp_ne_u32_e32 vcc, 0, v7
	s_andn2_b64 s[8:9], s[8:9], exec
	s_and_b64 s[14:15], vcc, exec
	s_or_b64 s[8:9], s[8:9], s[14:15]
	s_or_b64 exec, exec, s[10:11]
	v_mov_b32_e32 v9, 0
	s_and_saveexec_b64 s[10:11], s[8:9]
	s_cbranch_execnz .LBB512_1766
	s_branch .LBB512_1767
.LBB512_2061:
	s_trap 2
	s_or_b64 s[20:21], s[20:21], exec
	s_cbranch_execz .LBB512_1813
	s_branch .LBB512_1814
.LBB512_2062:
	s_andn2_saveexec_b64 s[8:9], s[8:9]
	s_cbranch_execz .LBB512_1778
.LBB512_2063:
	s_mov_b32 s10, 0x42800000
	v_add_f32_e64 v7, |v6|, s10
	v_and_b32_e32 v7, 0xff, v7
	v_cmp_ne_u32_e32 vcc, 0, v7
	s_andn2_b64 s[6:7], s[6:7], exec
	s_and_b64 s[10:11], vcc, exec
	s_or_b64 s[6:7], s[6:7], s[10:11]
	s_or_b64 exec, exec, s[8:9]
	v_mov_b32_e32 v9, 0
	s_and_saveexec_b64 s[8:9], s[6:7]
	s_cbranch_execnz .LBB512_1779
	s_branch .LBB512_1780
.LBB512_2064:
	s_andn2_saveexec_b64 s[10:11], s[10:11]
	s_cbranch_execz .LBB512_1884
.LBB512_2065:
	s_mov_b32 s14, 0x46000000
	v_add_f32_e64 v5, |v4|, s14
	v_and_b32_e32 v5, 0xff, v5
	v_cmp_ne_u32_e32 vcc, 0, v5
	s_andn2_b64 s[8:9], s[8:9], exec
	s_and_b64 s[14:15], vcc, exec
	s_or_b64 s[8:9], s[8:9], s[14:15]
	s_or_b64 exec, exec, s[10:11]
	v_mov_b32_e32 v7, 0
	s_and_saveexec_b64 s[10:11], s[8:9]
	s_cbranch_execnz .LBB512_1885
	s_branch .LBB512_1886
.LBB512_2066:
	s_trap 2
	s_or_b64 s[20:21], s[20:21], exec
	s_cbranch_execz .LBB512_1932
	s_branch .LBB512_1933
.LBB512_2067:
	s_andn2_saveexec_b64 s[8:9], s[8:9]
	s_cbranch_execz .LBB512_1897
.LBB512_2068:
	s_mov_b32 s10, 0x42800000
	v_add_f32_e64 v5, |v4|, s10
	v_and_b32_e32 v5, 0xff, v5
	v_cmp_ne_u32_e32 vcc, 0, v5
	s_andn2_b64 s[6:7], s[6:7], exec
	s_and_b64 s[10:11], vcc, exec
	s_or_b64 s[6:7], s[6:7], s[10:11]
	s_or_b64 exec, exec, s[8:9]
	v_mov_b32_e32 v7, 0
	s_and_saveexec_b64 s[8:9], s[6:7]
	s_cbranch_execnz .LBB512_1898
	s_branch .LBB512_1899
.LBB512_2069:
	s_andn2_saveexec_b64 s[8:9], s[8:9]
	s_cbranch_execz .LBB512_2004
.LBB512_2070:
	s_mov_b32 s11, 0x46000000
	v_add_f32_e64 v3, |v2|, s11
	v_and_b32_e32 v3, 0xff, v3
	v_cmp_ne_u32_e32 vcc, 0, v3
	s_andn2_b64 s[6:7], s[6:7], exec
	s_and_b64 s[12:13], vcc, exec
	s_or_b64 s[6:7], s[6:7], s[12:13]
	s_or_b64 exec, exec, s[8:9]
	v_mov_b32_e32 v6, 0
	s_and_saveexec_b64 s[8:9], s[6:7]
	s_cbranch_execnz .LBB512_2005
	s_branch .LBB512_2006
.LBB512_2071:
	s_mov_b64 s[2:3], 0
	s_or_b64 s[20:21], s[20:21], exec
	s_trap 2
	s_branch .LBB512_2050
.LBB512_2072:
	s_andn2_saveexec_b64 s[6:7], s[6:7]
	s_cbranch_execz .LBB512_2016
.LBB512_2073:
	s_mov_b32 s8, 0x42800000
	v_add_f32_e64 v3, |v2|, s8
	v_and_b32_e32 v3, 0xff, v3
	v_cmp_ne_u32_e32 vcc, 0, v3
	s_andn2_b64 s[4:5], s[4:5], exec
	s_and_b64 s[8:9], vcc, exec
	s_or_b64 s[4:5], s[4:5], s[8:9]
	s_or_b64 exec, exec, s[6:7]
	v_mov_b32_e32 v6, 0
	s_and_saveexec_b64 s[6:7], s[4:5]
	s_cbranch_execnz .LBB512_2017
	s_branch .LBB512_2018
	.section	.rodata,"a",@progbits
	.p2align	6, 0x0
	.amdhsa_kernel _ZN2at6native32elementwise_kernel_manual_unrollILi128ELi4EZNS0_15gpu_kernel_implIZZZNS0_22nan_to_num_kernel_cudaERNS_18TensorIteratorBaseESt8optionalIdES6_S6_ENKUlvE0_clEvENKUlvE_clEvEUldE_EEvS4_RKT_EUlibE_EEviT1_
		.amdhsa_group_segment_fixed_size 0
		.amdhsa_private_segment_fixed_size 0
		.amdhsa_kernarg_size 64
		.amdhsa_user_sgpr_count 2
		.amdhsa_user_sgpr_dispatch_ptr 0
		.amdhsa_user_sgpr_queue_ptr 0
		.amdhsa_user_sgpr_kernarg_segment_ptr 1
		.amdhsa_user_sgpr_dispatch_id 0
		.amdhsa_user_sgpr_kernarg_preload_length 0
		.amdhsa_user_sgpr_kernarg_preload_offset 0
		.amdhsa_user_sgpr_private_segment_size 0
		.amdhsa_uses_dynamic_stack 0
		.amdhsa_enable_private_segment 0
		.amdhsa_system_sgpr_workgroup_id_x 1
		.amdhsa_system_sgpr_workgroup_id_y 0
		.amdhsa_system_sgpr_workgroup_id_z 0
		.amdhsa_system_sgpr_workgroup_info 0
		.amdhsa_system_vgpr_workitem_id 0
		.amdhsa_next_free_vgpr 18
		.amdhsa_next_free_sgpr 50
		.amdhsa_accum_offset 20
		.amdhsa_reserve_vcc 1
		.amdhsa_float_round_mode_32 0
		.amdhsa_float_round_mode_16_64 0
		.amdhsa_float_denorm_mode_32 3
		.amdhsa_float_denorm_mode_16_64 3
		.amdhsa_dx10_clamp 1
		.amdhsa_ieee_mode 1
		.amdhsa_fp16_overflow 0
		.amdhsa_tg_split 0
		.amdhsa_exception_fp_ieee_invalid_op 0
		.amdhsa_exception_fp_denorm_src 0
		.amdhsa_exception_fp_ieee_div_zero 0
		.amdhsa_exception_fp_ieee_overflow 0
		.amdhsa_exception_fp_ieee_underflow 0
		.amdhsa_exception_fp_ieee_inexact 0
		.amdhsa_exception_int_div_zero 0
	.end_amdhsa_kernel
	.section	.text._ZN2at6native32elementwise_kernel_manual_unrollILi128ELi4EZNS0_15gpu_kernel_implIZZZNS0_22nan_to_num_kernel_cudaERNS_18TensorIteratorBaseESt8optionalIdES6_S6_ENKUlvE0_clEvENKUlvE_clEvEUldE_EEvS4_RKT_EUlibE_EEviT1_,"axG",@progbits,_ZN2at6native32elementwise_kernel_manual_unrollILi128ELi4EZNS0_15gpu_kernel_implIZZZNS0_22nan_to_num_kernel_cudaERNS_18TensorIteratorBaseESt8optionalIdES6_S6_ENKUlvE0_clEvENKUlvE_clEvEUldE_EEvS4_RKT_EUlibE_EEviT1_,comdat
.Lfunc_end512:
	.size	_ZN2at6native32elementwise_kernel_manual_unrollILi128ELi4EZNS0_15gpu_kernel_implIZZZNS0_22nan_to_num_kernel_cudaERNS_18TensorIteratorBaseESt8optionalIdES6_S6_ENKUlvE0_clEvENKUlvE_clEvEUldE_EEvS4_RKT_EUlibE_EEviT1_, .Lfunc_end512-_ZN2at6native32elementwise_kernel_manual_unrollILi128ELi4EZNS0_15gpu_kernel_implIZZZNS0_22nan_to_num_kernel_cudaERNS_18TensorIteratorBaseESt8optionalIdES6_S6_ENKUlvE0_clEvENKUlvE_clEvEUldE_EEvS4_RKT_EUlibE_EEviT1_
                                        ; -- End function
	.set _ZN2at6native32elementwise_kernel_manual_unrollILi128ELi4EZNS0_15gpu_kernel_implIZZZNS0_22nan_to_num_kernel_cudaERNS_18TensorIteratorBaseESt8optionalIdES6_S6_ENKUlvE0_clEvENKUlvE_clEvEUldE_EEvS4_RKT_EUlibE_EEviT1_.num_vgpr, 18
	.set _ZN2at6native32elementwise_kernel_manual_unrollILi128ELi4EZNS0_15gpu_kernel_implIZZZNS0_22nan_to_num_kernel_cudaERNS_18TensorIteratorBaseESt8optionalIdES6_S6_ENKUlvE0_clEvENKUlvE_clEvEUldE_EEvS4_RKT_EUlibE_EEviT1_.num_agpr, 0
	.set _ZN2at6native32elementwise_kernel_manual_unrollILi128ELi4EZNS0_15gpu_kernel_implIZZZNS0_22nan_to_num_kernel_cudaERNS_18TensorIteratorBaseESt8optionalIdES6_S6_ENKUlvE0_clEvENKUlvE_clEvEUldE_EEvS4_RKT_EUlibE_EEviT1_.numbered_sgpr, 50
	.set _ZN2at6native32elementwise_kernel_manual_unrollILi128ELi4EZNS0_15gpu_kernel_implIZZZNS0_22nan_to_num_kernel_cudaERNS_18TensorIteratorBaseESt8optionalIdES6_S6_ENKUlvE0_clEvENKUlvE_clEvEUldE_EEvS4_RKT_EUlibE_EEviT1_.num_named_barrier, 0
	.set _ZN2at6native32elementwise_kernel_manual_unrollILi128ELi4EZNS0_15gpu_kernel_implIZZZNS0_22nan_to_num_kernel_cudaERNS_18TensorIteratorBaseESt8optionalIdES6_S6_ENKUlvE0_clEvENKUlvE_clEvEUldE_EEvS4_RKT_EUlibE_EEviT1_.private_seg_size, 0
	.set _ZN2at6native32elementwise_kernel_manual_unrollILi128ELi4EZNS0_15gpu_kernel_implIZZZNS0_22nan_to_num_kernel_cudaERNS_18TensorIteratorBaseESt8optionalIdES6_S6_ENKUlvE0_clEvENKUlvE_clEvEUldE_EEvS4_RKT_EUlibE_EEviT1_.uses_vcc, 1
	.set _ZN2at6native32elementwise_kernel_manual_unrollILi128ELi4EZNS0_15gpu_kernel_implIZZZNS0_22nan_to_num_kernel_cudaERNS_18TensorIteratorBaseESt8optionalIdES6_S6_ENKUlvE0_clEvENKUlvE_clEvEUldE_EEvS4_RKT_EUlibE_EEviT1_.uses_flat_scratch, 0
	.set _ZN2at6native32elementwise_kernel_manual_unrollILi128ELi4EZNS0_15gpu_kernel_implIZZZNS0_22nan_to_num_kernel_cudaERNS_18TensorIteratorBaseESt8optionalIdES6_S6_ENKUlvE0_clEvENKUlvE_clEvEUldE_EEvS4_RKT_EUlibE_EEviT1_.has_dyn_sized_stack, 0
	.set _ZN2at6native32elementwise_kernel_manual_unrollILi128ELi4EZNS0_15gpu_kernel_implIZZZNS0_22nan_to_num_kernel_cudaERNS_18TensorIteratorBaseESt8optionalIdES6_S6_ENKUlvE0_clEvENKUlvE_clEvEUldE_EEvS4_RKT_EUlibE_EEviT1_.has_recursion, 0
	.set _ZN2at6native32elementwise_kernel_manual_unrollILi128ELi4EZNS0_15gpu_kernel_implIZZZNS0_22nan_to_num_kernel_cudaERNS_18TensorIteratorBaseESt8optionalIdES6_S6_ENKUlvE0_clEvENKUlvE_clEvEUldE_EEvS4_RKT_EUlibE_EEviT1_.has_indirect_call, 0
	.section	.AMDGPU.csdata,"",@progbits
; Kernel info:
; codeLenInByte = 36388
; TotalNumSgprs: 56
; NumVgprs: 18
; NumAgprs: 0
; TotalNumVgprs: 18
; ScratchSize: 0
; MemoryBound: 1
; FloatMode: 240
; IeeeMode: 1
; LDSByteSize: 0 bytes/workgroup (compile time only)
; SGPRBlocks: 6
; VGPRBlocks: 2
; NumSGPRsForWavesPerEU: 56
; NumVGPRsForWavesPerEU: 18
; AccumOffset: 20
; Occupancy: 8
; WaveLimiterHint : 0
; COMPUTE_PGM_RSRC2:SCRATCH_EN: 0
; COMPUTE_PGM_RSRC2:USER_SGPR: 2
; COMPUTE_PGM_RSRC2:TRAP_HANDLER: 0
; COMPUTE_PGM_RSRC2:TGID_X_EN: 1
; COMPUTE_PGM_RSRC2:TGID_Y_EN: 0
; COMPUTE_PGM_RSRC2:TGID_Z_EN: 0
; COMPUTE_PGM_RSRC2:TIDIG_COMP_CNT: 0
; COMPUTE_PGM_RSRC3_GFX90A:ACCUM_OFFSET: 4
; COMPUTE_PGM_RSRC3_GFX90A:TG_SPLIT: 0
	.section	.text._ZN2at6native32elementwise_kernel_manual_unrollILi128ELi4EZNS0_15gpu_kernel_implIZZZNS0_22nan_to_num_kernel_cudaERNS_18TensorIteratorBaseESt8optionalIdES6_S6_ENKUlvE0_clEvENKUlvE_clEvEUldE_EEvS4_RKT_EUlibE0_EEviT1_,"axG",@progbits,_ZN2at6native32elementwise_kernel_manual_unrollILi128ELi4EZNS0_15gpu_kernel_implIZZZNS0_22nan_to_num_kernel_cudaERNS_18TensorIteratorBaseESt8optionalIdES6_S6_ENKUlvE0_clEvENKUlvE_clEvEUldE_EEvS4_RKT_EUlibE0_EEviT1_,comdat
	.globl	_ZN2at6native32elementwise_kernel_manual_unrollILi128ELi4EZNS0_15gpu_kernel_implIZZZNS0_22nan_to_num_kernel_cudaERNS_18TensorIteratorBaseESt8optionalIdES6_S6_ENKUlvE0_clEvENKUlvE_clEvEUldE_EEvS4_RKT_EUlibE0_EEviT1_ ; -- Begin function _ZN2at6native32elementwise_kernel_manual_unrollILi128ELi4EZNS0_15gpu_kernel_implIZZZNS0_22nan_to_num_kernel_cudaERNS_18TensorIteratorBaseESt8optionalIdES6_S6_ENKUlvE0_clEvENKUlvE_clEvEUldE_EEvS4_RKT_EUlibE0_EEviT1_
	.p2align	8
	.type	_ZN2at6native32elementwise_kernel_manual_unrollILi128ELi4EZNS0_15gpu_kernel_implIZZZNS0_22nan_to_num_kernel_cudaERNS_18TensorIteratorBaseESt8optionalIdES6_S6_ENKUlvE0_clEvENKUlvE_clEvEUldE_EEvS4_RKT_EUlibE0_EEviT1_,@function
_ZN2at6native32elementwise_kernel_manual_unrollILi128ELi4EZNS0_15gpu_kernel_implIZZZNS0_22nan_to_num_kernel_cudaERNS_18TensorIteratorBaseESt8optionalIdES6_S6_ENKUlvE0_clEvENKUlvE_clEvEUldE_EEvS4_RKT_EUlibE0_EEviT1_: ; @_ZN2at6native32elementwise_kernel_manual_unrollILi128ELi4EZNS0_15gpu_kernel_implIZZZNS0_22nan_to_num_kernel_cudaERNS_18TensorIteratorBaseESt8optionalIdES6_S6_ENKUlvE0_clEvENKUlvE_clEvEUldE_EEvS4_RKT_EUlibE0_EEviT1_
; %bb.0:
	s_load_dword s76, s[0:1], 0x0
	s_load_dword s33, s[0:1], 0x8
	s_add_u32 s34, s0, 8
	s_addc_u32 s35, s1, 0
	v_lshl_or_b32 v10, s2, 9, v0
	v_or_b32_e32 v16, 0x180, v10
	s_waitcnt lgkmcnt(0)
	s_add_i32 s78, s33, -1
	s_cmp_gt_u32 s78, 1
	v_cmp_le_i32_e32 vcc, s76, v16
	s_cselect_b64 s[46:47], -1, 0
	s_mov_b64 s[44:45], 0
	s_mov_b64 s[24:25], 0
	s_and_saveexec_b64 s[2:3], vcc
	s_xor_b64 s[48:49], exec, s[2:3]
	s_cbranch_execz .LBB513_1106
; %bb.1:
	s_load_dwordx4 s[28:31], s[34:35], 0x4
	s_load_dwordx2 s[52:53], s[34:35], 0x14
	s_load_dwordx2 s[50:51], s[34:35], 0x168
	s_load_dword s79, s[34:35], 0x170
	s_cmp_lg_u32 s33, 0
	s_load_dwordx4 s[36:39], s[34:35], 0xc4
	s_load_dwordx8 s[4:11], s[34:35], 0x148
	s_cselect_b64 s[58:59], -1, 0
	s_add_u32 s56, s34, 0xc4
	s_addc_u32 s57, s35, 0
	s_min_u32 s81, s78, 15
	s_cmp_gt_u32 s33, 1
	s_cselect_b64 s[54:55], -1, 0
	s_waitcnt lgkmcnt(0)
	s_bfe_u32 s80, s79, 0x80008
	v_cmp_gt_i32_e32 vcc, s76, v10
	s_mov_b64 s[12:13], -1
	s_mov_b64 s[68:69], 0
	s_mov_b64 s[62:63], 0
	;; [unrolled: 1-line block ×3, first 2 shown]
	s_and_saveexec_b64 s[64:65], vcc
	s_cbranch_execz .LBB513_271
; %bb.2:
	s_andn2_b64 vcc, exec, s[46:47]
	s_cbranch_vccnz .LBB513_8
; %bb.3:
	s_andn2_b64 vcc, exec, s[58:59]
	s_cbranch_vccnz .LBB513_9
; %bb.4:
	s_add_i32 s63, s81, 1
	s_cmp_eq_u32 s78, 2
	s_cbranch_scc1 .LBB513_10
; %bb.5:
	s_and_b32 s62, s63, 28
	s_mov_b32 s66, 0
	v_mov_b32_e32 v2, 0
	v_mov_b32_e32 v0, 0
	s_mov_b64 s[2:3], s[34:35]
	s_mov_b64 s[60:61], s[56:57]
	v_mov_b32_e32 v4, v10
.LBB513_6:                              ; =>This Inner Loop Header: Depth=1
	s_load_dwordx8 s[20:27], s[2:3], 0x4
	s_load_dwordx4 s[40:43], s[2:3], 0x24
	s_load_dwordx8 s[12:19], s[60:61], 0x0
	s_add_u32 s2, s2, 48
	s_addc_u32 s3, s3, 0
	s_waitcnt lgkmcnt(0)
	v_mul_hi_u32 v1, s21, v4
	v_add_u32_e32 v1, v4, v1
	v_lshrrev_b32_e32 v1, s22, v1
	v_mul_lo_u32 v3, v1, s20
	v_mul_hi_u32 v5, s24, v1
	v_sub_u32_e32 v3, v4, v3
	v_add_u32_e32 v4, v1, v5
	v_lshrrev_b32_e32 v4, s25, v4
	v_mul_lo_u32 v6, v4, s23
	v_mul_hi_u32 v7, s27, v4
	v_sub_u32_e32 v1, v1, v6
	v_add_u32_e32 v6, v4, v7
	v_mul_lo_u32 v5, v3, s13
	v_mul_lo_u32 v3, v3, s12
	;; [unrolled: 1-line block ×4, first 2 shown]
	v_lshrrev_b32_e32 v6, s40, v6
	v_add3_u32 v1, v3, v2, v1
	v_mul_hi_u32 v3, s42, v6
	v_mul_lo_u32 v2, v6, s26
	v_add_u32_e32 v3, v6, v3
	v_sub_u32_e32 v2, v4, v2
	v_lshrrev_b32_e32 v4, s43, v3
	s_add_i32 s66, s66, 4
	v_mul_lo_u32 v3, v4, s41
	s_add_u32 s60, s60, 32
	v_sub_u32_e32 v3, v6, v3
	s_addc_u32 s61, s61, 0
	v_add3_u32 v0, v5, v0, v7
	v_mul_lo_u32 v5, v2, s16
	v_mul_lo_u32 v2, v2, s17
	;; [unrolled: 1-line block ×4, first 2 shown]
	s_cmp_lg_u32 s62, s66
	v_add3_u32 v0, v2, v0, v3
	v_add3_u32 v2, v5, v1, v6
	s_cbranch_scc1 .LBB513_6
; %bb.7:
	v_mov_b32_e32 v1, v0
	s_branch .LBB513_11
.LBB513_8:
                                        ; implicit-def: $vgpr0
                                        ; implicit-def: $vgpr2
	s_branch .LBB513_15
.LBB513_9:
	v_mov_b32_e32 v0, 0
	v_mov_b32_e32 v2, 0
	s_branch .LBB513_14
.LBB513_10:
	v_mov_b32_e32 v2, 0
	s_mov_b32 s62, 0
	v_mov_b32_e32 v1, v2
                                        ; implicit-def: $vgpr0
	v_mov_b32_e32 v4, v10
.LBB513_11:
	s_and_b32 s14, s63, 3
	s_cmp_eq_u32 s14, 0
	s_cbranch_scc1 .LBB513_14
; %bb.12:
	s_lshl_b32 s2, s62, 3
	s_add_u32 s2, s34, s2
	s_addc_u32 s3, s35, 0
	s_add_u32 s2, s2, 0xc4
	s_addc_u32 s3, s3, 0
	s_mul_i32 s12, s62, 12
	s_add_u32 s12, s34, s12
	s_addc_u32 s13, s35, 0
.LBB513_13:                             ; =>This Inner Loop Header: Depth=1
	s_load_dwordx2 s[16:17], s[12:13], 0x4
	s_load_dword s15, s[12:13], 0xc
	s_load_dwordx2 s[18:19], s[2:3], 0x0
	v_mov_b32_e32 v0, v1
	s_add_u32 s12, s12, 12
	s_waitcnt lgkmcnt(0)
	v_mul_hi_u32 v1, s17, v4
	v_add_u32_e32 v1, v4, v1
	v_lshrrev_b32_e32 v1, s15, v1
	s_addc_u32 s13, s13, 0
	v_mul_lo_u32 v3, v1, s16
	s_add_u32 s2, s2, 8
	v_sub_u32_e32 v3, v4, v3
	s_addc_u32 s3, s3, 0
	s_add_i32 s14, s14, -1
	v_mov_b32_e32 v4, v1
	v_mad_u64_u32 v[0:1], s[16:17], v3, s19, v[0:1]
	s_cmp_lg_u32 s14, 0
	v_mad_u64_u32 v[2:3], s[16:17], v3, s18, v[2:3]
	v_mov_b32_e32 v1, v0
	s_cbranch_scc1 .LBB513_13
.LBB513_14:
	s_cbranch_execnz .LBB513_17
.LBB513_15:
	v_mul_hi_u32 v0, s29, v10
	v_add_u32_e32 v0, v10, v0
	v_lshrrev_b32_e32 v1, s30, v0
	v_mul_lo_u32 v0, v1, s28
	v_sub_u32_e32 v2, v10, v0
	v_mul_lo_u32 v0, v2, s37
	s_andn2_b64 vcc, exec, s[54:55]
	v_mul_lo_u32 v2, v2, s36
	s_cbranch_vccnz .LBB513_17
; %bb.16:
	v_mul_hi_u32 v3, s52, v1
	v_add_u32_e32 v3, v1, v3
	v_lshrrev_b32_e32 v3, s53, v3
	v_mul_lo_u32 v3, v3, s31
	v_sub_u32_e32 v1, v1, v3
	v_mad_u64_u32 v[2:3], s[2:3], v1, s38, v[2:3]
	v_mad_u64_u32 v[0:1], s[2:3], v1, s39, v[0:1]
.LBB513_17:
	v_mov_b32_e32 v1, 0
	s_and_b32 s18, 0xffff, s80
	s_cmp_lt_i32 s18, 11
	v_lshl_add_u64 v[0:1], s[6:7], 0, v[0:1]
	s_cbranch_scc1 .LBB513_24
; %bb.18:
	s_cmp_gt_i32 s18, 25
	s_cbranch_scc0 .LBB513_37
; %bb.19:
	s_cmp_gt_i32 s18, 28
	s_cbranch_scc0 .LBB513_40
	;; [unrolled: 3-line block ×4, first 2 shown]
; %bb.22:
	s_cmp_eq_u32 s18, 46
	s_mov_b64 s[14:15], 0
	s_cbranch_scc0 .LBB513_46
; %bb.23:
	global_load_dword v3, v[0:1], off
	s_mov_b64 s[2:3], -1
	s_mov_b64 s[12:13], 0
	s_waitcnt vmcnt(0)
	v_lshlrev_b32_e32 v3, 16, v3
	v_cvt_f64_f32_e32 v[4:5], v3
	s_branch .LBB513_48
.LBB513_24:
	s_mov_b64 s[12:13], 0
                                        ; implicit-def: $vgpr4_vgpr5
	s_mov_b64 s[2:3], 0
	s_cbranch_execnz .LBB513_221
.LBB513_25:
	s_andn2_b64 vcc, exec, s[2:3]
	s_cbranch_vccnz .LBB513_268
.LBB513_26:
	s_waitcnt vmcnt(0)
	v_cmp_o_f64_e32 vcc, v[4:5], v[4:5]
	v_mov_b64_e32 v[0:1], s[8:9]
	s_and_saveexec_b64 s[2:3], vcc
	s_cbranch_execz .LBB513_30
; %bb.27:
	s_mov_b32 s14, 0
	s_mov_b32 s15, 0x7ff00000
	v_cmp_neq_f64_e32 vcc, s[14:15], v[4:5]
	v_mov_b64_e32 v[0:1], s[10:11]
	s_and_saveexec_b64 s[14:15], vcc
; %bb.28:
	s_mov_b32 s16, 0
	s_mov_b32 s17, 0xfff00000
	v_mov_b32_e32 v0, s51
	v_cmp_eq_f64_e32 vcc, s[16:17], v[4:5]
	s_nop 1
	v_cndmask_b32_e32 v1, v5, v0, vcc
	v_mov_b32_e32 v0, s50
	v_cndmask_b32_e32 v0, v4, v0, vcc
; %bb.29:
	s_or_b64 exec, exec, s[14:15]
.LBB513_30:
	s_or_b64 exec, exec, s[2:3]
	v_mov_b32_e32 v3, 0
	s_and_b32 s20, s79, 0xff
	s_cmp_lt_i32 s20, 11
	v_lshl_add_u64 v[4:5], s[4:5], 0, v[2:3]
	s_cbranch_scc1 .LBB513_38
; %bb.31:
	s_and_b32 s21, 0xffff, s20
	s_cmp_gt_i32 s21, 25
	s_cbranch_scc0 .LBB513_41
; %bb.32:
	s_cmp_gt_i32 s21, 28
	s_cbranch_scc0 .LBB513_43
; %bb.33:
	;; [unrolled: 3-line block ×4, first 2 shown]
	s_mov_b64 s[16:17], 0
	s_mov_b64 s[2:3], -1
	s_cmp_eq_u32 s21, 46
	s_mov_b64 s[14:15], 0
	s_cbranch_scc0 .LBB513_52
; %bb.36:
	v_cvt_f32_f64_e32 v2, v[0:1]
	v_bfe_u32 v3, v2, 16, 1
	s_movk_i32 s2, 0x7fff
	v_add3_u32 v3, v2, v3, s2
	v_cmp_o_f32_e32 vcc, v2, v2
	v_mov_b32_e32 v2, 0x7fc0
	s_mov_b64 s[14:15], -1
	v_cndmask_b32_sdwa v2, v2, v3, vcc dst_sel:DWORD dst_unused:UNUSED_PAD src0_sel:DWORD src1_sel:WORD_1
	global_store_dword v[4:5], v2, off
	s_mov_b64 s[2:3], 0
	s_branch .LBB513_52
.LBB513_37:
	s_mov_b64 s[12:13], 0
	s_mov_b64 s[2:3], 0
                                        ; implicit-def: $vgpr4_vgpr5
	s_cbranch_execnz .LBB513_188
	s_branch .LBB513_220
.LBB513_38:
	s_mov_b64 s[2:3], 0
	s_mov_b64 s[14:15], 0
	s_cbranch_execnz .LBB513_121
.LBB513_39:
	s_andn2_b64 vcc, exec, s[14:15]
	s_cbranch_vccnz .LBB513_269
	s_branch .LBB513_159
.LBB513_40:
	s_mov_b64 s[14:15], -1
	s_mov_b64 s[12:13], 0
	s_mov_b64 s[2:3], 0
                                        ; implicit-def: $vgpr4_vgpr5
	s_branch .LBB513_167
.LBB513_41:
	s_mov_b64 s[16:17], -1
	s_mov_b64 s[2:3], 0
	s_mov_b64 s[14:15], 0
	s_branch .LBB513_79
.LBB513_42:
	s_mov_b64 s[14:15], -1
	s_mov_b64 s[12:13], 0
	s_mov_b64 s[2:3], 0
                                        ; implicit-def: $vgpr4_vgpr5
	s_branch .LBB513_162
.LBB513_43:
	s_mov_b64 s[16:17], -1
	s_mov_b64 s[2:3], 0
	s_mov_b64 s[14:15], 0
	s_branch .LBB513_62
.LBB513_44:
	s_mov_b64 s[14:15], -1
	s_mov_b64 s[12:13], 0
	s_branch .LBB513_47
.LBB513_45:
	s_mov_b64 s[16:17], -1
	s_mov_b64 s[2:3], 0
	s_mov_b64 s[14:15], 0
	s_branch .LBB513_58
.LBB513_46:
	s_mov_b64 s[12:13], -1
.LBB513_47:
	s_mov_b64 s[2:3], 0
                                        ; implicit-def: $vgpr4_vgpr5
.LBB513_48:
	s_and_b64 vcc, exec, s[14:15]
	s_cbranch_vccz .LBB513_161
; %bb.49:
	s_cmp_eq_u32 s18, 44
	s_cbranch_scc0 .LBB513_160
; %bb.50:
	global_load_ubyte v3, v[0:1], off
	s_movk_i32 s12, 0xff
	v_bfrev_b32_e32 v6, 4
	v_mov_b32_e32 v7, 0x7ff80000
	v_bfrev_b32_e32 v8, 28
	s_mov_b64 s[2:3], -1
	s_waitcnt vmcnt(0)
	v_lshlrev_b32_e32 v4, 23, v3
	v_cvt_f64_f32_e32 v[4:5], v4
	v_cmp_ne_u32_e32 vcc, s12, v3
	s_mov_b64 s[12:13], 0
	s_nop 0
	v_cndmask_b32_e32 v4, v6, v4, vcc
	v_cndmask_b32_e32 v5, v7, v5, vcc
	v_cmp_ne_u32_e32 vcc, 0, v3
	s_nop 1
	v_cndmask_b32_e32 v5, v8, v5, vcc
	v_cndmask_b32_e32 v4, 0, v4, vcc
	s_branch .LBB513_161
.LBB513_51:
	s_mov_b64 s[16:17], -1
	s_mov_b64 s[2:3], 0
	s_mov_b64 s[14:15], 0
.LBB513_52:
	s_and_b64 vcc, exec, s[16:17]
	s_cbranch_vccz .LBB513_57
; %bb.53:
	s_cmp_eq_u32 s21, 44
	s_mov_b64 s[2:3], -1
	s_cbranch_scc0 .LBB513_57
; %bb.54:
	v_cvt_f32_f64_e32 v2, v[0:1]
	v_bfe_u32 v3, v2, 23, 8
	s_movk_i32 s2, 0xff
	v_cmp_ne_u32_e32 vcc, s2, v3
	v_mov_b32_e32 v6, 0xff
	s_and_saveexec_b64 s[14:15], vcc
; %bb.55:
	s_mov_b32 s2, 0x3fffff
	v_lshrrev_b32_e32 v6, 23, v2
	v_and_b32_e32 v7, 0x400000, v2
	v_and_or_b32 v2, v2, s2, v3
	v_cmp_ne_u32_e32 vcc, 0, v7
	v_cmp_ne_u32_e64 s[2:3], 0, v2
	s_and_b64 s[2:3], vcc, s[2:3]
	s_nop 0
	v_cndmask_b32_e64 v2, 0, 1, s[2:3]
	v_add_u32_e32 v6, v6, v2
; %bb.56:
	s_or_b64 exec, exec, s[14:15]
	s_mov_b64 s[14:15], -1
	s_mov_b64 s[2:3], 0
	global_store_byte v[4:5], v6, off
.LBB513_57:
	s_mov_b64 s[16:17], 0
.LBB513_58:
	s_and_b64 vcc, exec, s[16:17]
	s_cbranch_vccz .LBB513_61
; %bb.59:
	s_cmp_eq_u32 s21, 29
	s_mov_b64 s[2:3], -1
	s_cbranch_scc0 .LBB513_61
; %bb.60:
	v_trunc_f64_e32 v[2:3], v[0:1]
	s_movk_i32 s2, 0xffe0
	v_ldexp_f64 v[6:7], v[2:3], s2
	v_floor_f64_e32 v[6:7], v[6:7]
	v_fmac_f64_e32 v[2:3], 0xc1f00000, v[6:7]
	v_cvt_u32_f64_e32 v9, v[6:7]
	v_cvt_u32_f64_e32 v8, v[2:3]
	global_store_dwordx2 v[4:5], v[8:9], off
	s_mov_b64 s[14:15], -1
	s_mov_b64 s[2:3], 0
.LBB513_61:
	s_mov_b64 s[16:17], 0
.LBB513_62:
	s_and_b64 vcc, exec, s[16:17]
	s_cbranch_vccz .LBB513_78
; %bb.63:
	s_cmp_lt_i32 s21, 27
	s_mov_b64 s[14:15], -1
	s_cbranch_scc1 .LBB513_69
; %bb.64:
	s_cmp_gt_i32 s21, 27
	v_cvt_u32_f64_e32 v2, v[0:1]
	s_cbranch_scc0 .LBB513_66
; %bb.65:
	s_mov_b64 s[14:15], 0
	global_store_dword v[4:5], v2, off
.LBB513_66:
	s_andn2_b64 vcc, exec, s[14:15]
	s_cbranch_vccnz .LBB513_68
; %bb.67:
	global_store_short v[4:5], v2, off
.LBB513_68:
	s_mov_b64 s[14:15], 0
.LBB513_69:
	s_andn2_b64 vcc, exec, s[14:15]
	s_cbranch_vccnz .LBB513_77
; %bb.70:
	v_cvt_f32_f64_e32 v2, v[0:1]
	v_and_b32_e32 v3, 0x7fffffff, v2
	s_mov_b32 s14, 0x43800000
	v_cmp_gt_u32_e32 vcc, s14, v3
	v_mov_b32_e32 v6, 0x80
	s_and_saveexec_b64 s[14:15], vcc
	s_cbranch_execz .LBB513_76
; %bb.71:
	s_mov_b32 s16, 0x3bffffff
	v_cmp_lt_u32_e32 vcc, s16, v3
	s_mov_b64 s[16:17], 0
                                        ; implicit-def: $vgpr3
	s_and_saveexec_b64 s[18:19], vcc
	s_xor_b64 s[18:19], exec, s[18:19]
	s_cbranch_execz .LBB513_317
; %bb.72:
	v_bfe_u32 v3, v2, 20, 1
	s_mov_b32 s22, 0x487ffff
	v_add3_u32 v3, v2, v3, s22
	s_mov_b64 s[16:17], exec
	v_lshrrev_b32_e32 v3, 20, v3
	s_andn2_saveexec_b64 s[18:19], s[18:19]
	s_cbranch_execnz .LBB513_318
.LBB513_73:
	s_or_b64 exec, exec, s[18:19]
	v_mov_b32_e32 v6, 0
	s_and_saveexec_b64 s[18:19], s[16:17]
.LBB513_74:
	v_lshrrev_b32_e32 v2, 24, v2
	s_movk_i32 s16, 0x80
	v_and_or_b32 v6, v2, s16, v3
.LBB513_75:
	s_or_b64 exec, exec, s[18:19]
.LBB513_76:
	s_or_b64 exec, exec, s[14:15]
	global_store_byte v[4:5], v6, off
.LBB513_77:
	s_mov_b64 s[14:15], -1
.LBB513_78:
	s_mov_b64 s[16:17], 0
.LBB513_79:
	s_and_b64 vcc, exec, s[16:17]
	s_cbranch_vccz .LBB513_120
; %bb.80:
	s_cmp_gt_i32 s21, 22
	s_mov_b64 s[16:17], -1
	s_cbranch_scc0 .LBB513_112
; %bb.81:
	s_cmp_lt_i32 s21, 24
	s_mov_b64 s[14:15], -1
	s_cbranch_scc1 .LBB513_101
; %bb.82:
	s_cmp_gt_i32 s21, 24
	s_cbranch_scc0 .LBB513_90
; %bb.83:
	v_cvt_f32_f64_e32 v2, v[0:1]
	v_and_b32_e32 v3, 0x7fffffff, v2
	s_mov_b32 s14, 0x47800000
	v_cmp_gt_u32_e32 vcc, s14, v3
	v_mov_b32_e32 v6, 0x80
	s_and_saveexec_b64 s[14:15], vcc
	s_cbranch_execz .LBB513_89
; %bb.84:
	s_mov_b32 s16, 0x37ffffff
	v_cmp_lt_u32_e32 vcc, s16, v3
	s_mov_b64 s[16:17], 0
                                        ; implicit-def: $vgpr3
	s_and_saveexec_b64 s[18:19], vcc
	s_xor_b64 s[18:19], exec, s[18:19]
	s_cbranch_execz .LBB513_321
; %bb.85:
	v_bfe_u32 v3, v2, 21, 1
	s_mov_b32 s22, 0x88fffff
	v_add3_u32 v3, v2, v3, s22
	s_mov_b64 s[16:17], exec
	v_lshrrev_b32_e32 v3, 21, v3
	s_andn2_saveexec_b64 s[18:19], s[18:19]
	s_cbranch_execnz .LBB513_322
.LBB513_86:
	s_or_b64 exec, exec, s[18:19]
	v_mov_b32_e32 v6, 0
	s_and_saveexec_b64 s[18:19], s[16:17]
.LBB513_87:
	v_lshrrev_b32_e32 v2, 24, v2
	s_movk_i32 s16, 0x80
	v_and_or_b32 v6, v2, s16, v3
.LBB513_88:
	s_or_b64 exec, exec, s[18:19]
.LBB513_89:
	s_or_b64 exec, exec, s[14:15]
	s_mov_b64 s[14:15], 0
	global_store_byte v[4:5], v6, off
.LBB513_90:
	s_and_b64 vcc, exec, s[14:15]
	s_cbranch_vccz .LBB513_100
; %bb.91:
	v_cvt_f32_f64_e32 v2, v[0:1]
	v_and_b32_e32 v6, 0x7fffffff, v2
	s_mov_b32 s14, 0x43f00000
	v_cmp_gt_u32_e32 vcc, s14, v6
                                        ; implicit-def: $vgpr3
	s_and_saveexec_b64 s[14:15], vcc
	s_xor_b64 s[14:15], exec, s[14:15]
	s_cbranch_execz .LBB513_97
; %bb.92:
	s_mov_b32 s16, 0x3c7fffff
	v_cmp_lt_u32_e32 vcc, s16, v6
                                        ; implicit-def: $vgpr3
	s_and_saveexec_b64 s[16:17], vcc
	s_xor_b64 s[16:17], exec, s[16:17]
; %bb.93:
	v_bfe_u32 v3, v2, 20, 1
	s_mov_b32 s18, 0x407ffff
	v_add3_u32 v3, v2, v3, s18
	v_lshrrev_b32_e32 v6, 20, v3
	v_and_b32_e32 v3, 0xff00000, v3
	s_mov_b32 s18, 0x7f00000
	v_mov_b32_e32 v7, 0x7e
	v_cmp_ne_u32_e32 vcc, s18, v3
	s_nop 1
	v_cndmask_b32_e32 v3, v7, v6, vcc
; %bb.94:
	s_andn2_saveexec_b64 s[16:17], s[16:17]
; %bb.95:
	s_mov_b32 s18, 0x46800000
	v_add_f32_e64 v3, |v2|, s18
; %bb.96:
	s_or_b64 exec, exec, s[16:17]
                                        ; implicit-def: $vgpr6
.LBB513_97:
	s_andn2_saveexec_b64 s[14:15], s[14:15]
; %bb.98:
	s_mov_b32 s16, 0x7f800000
	v_mov_b32_e32 v3, 0x7e
	v_mov_b32_e32 v7, 0x7f
	v_cmp_lt_u32_e32 vcc, s16, v6
	s_nop 1
	v_cndmask_b32_e32 v3, v3, v7, vcc
; %bb.99:
	s_or_b64 exec, exec, s[14:15]
	v_lshrrev_b32_e32 v2, 24, v2
	s_movk_i32 s14, 0x80
	v_and_or_b32 v2, v2, s14, v3
	global_store_byte v[4:5], v2, off
.LBB513_100:
	s_mov_b64 s[14:15], 0
.LBB513_101:
	s_andn2_b64 vcc, exec, s[14:15]
	s_cbranch_vccnz .LBB513_111
; %bb.102:
	v_cvt_f32_f64_e32 v2, v[0:1]
	v_and_b32_e32 v6, 0x7fffffff, v2
	s_mov_b32 s14, 0x47800000
	v_cmp_gt_u32_e32 vcc, s14, v6
                                        ; implicit-def: $vgpr3
	s_and_saveexec_b64 s[14:15], vcc
	s_xor_b64 s[14:15], exec, s[14:15]
	s_cbranch_execz .LBB513_108
; %bb.103:
	s_mov_b32 s16, 0x387fffff
	v_cmp_lt_u32_e32 vcc, s16, v6
                                        ; implicit-def: $vgpr3
	s_and_saveexec_b64 s[16:17], vcc
	s_xor_b64 s[16:17], exec, s[16:17]
; %bb.104:
	v_bfe_u32 v3, v2, 21, 1
	s_mov_b32 s18, 0x80fffff
	v_add3_u32 v3, v2, v3, s18
	v_lshrrev_b32_e32 v3, 21, v3
; %bb.105:
	s_andn2_saveexec_b64 s[16:17], s[16:17]
; %bb.106:
	s_mov_b32 s18, 0x43000000
	v_add_f32_e64 v3, |v2|, s18
; %bb.107:
	s_or_b64 exec, exec, s[16:17]
                                        ; implicit-def: $vgpr6
.LBB513_108:
	s_andn2_saveexec_b64 s[14:15], s[14:15]
; %bb.109:
	s_mov_b32 s16, 0x7f800000
	v_mov_b32_e32 v3, 0x7c
	v_mov_b32_e32 v7, 0x7f
	v_cmp_lt_u32_e32 vcc, s16, v6
	s_nop 1
	v_cndmask_b32_e32 v3, v3, v7, vcc
; %bb.110:
	s_or_b64 exec, exec, s[14:15]
	v_lshrrev_b32_e32 v2, 24, v2
	s_movk_i32 s14, 0x80
	v_and_or_b32 v2, v2, s14, v3
	global_store_byte v[4:5], v2, off
.LBB513_111:
	s_mov_b64 s[16:17], 0
	s_mov_b64 s[14:15], -1
.LBB513_112:
	s_andn2_b64 vcc, exec, s[16:17]
	s_cbranch_vccnz .LBB513_120
; %bb.113:
	s_cmp_gt_i32 s21, 14
	s_mov_b64 s[16:17], -1
	s_cbranch_scc0 .LBB513_117
; %bb.114:
	s_cmp_eq_u32 s21, 15
	s_mov_b64 s[2:3], -1
	s_cbranch_scc0 .LBB513_116
; %bb.115:
	v_cvt_f32_f64_e32 v2, v[0:1]
	v_bfe_u32 v3, v2, 16, 1
	s_movk_i32 s2, 0x7fff
	v_add3_u32 v3, v2, v3, s2
	v_cmp_o_f32_e32 vcc, v2, v2
	v_mov_b32_e32 v2, 0x7fc0
	s_mov_b64 s[14:15], -1
	v_cndmask_b32_sdwa v2, v2, v3, vcc dst_sel:DWORD dst_unused:UNUSED_PAD src0_sel:DWORD src1_sel:WORD_1
	global_store_short v[4:5], v2, off
	s_mov_b64 s[2:3], 0
.LBB513_116:
	s_mov_b64 s[16:17], 0
.LBB513_117:
	s_and_b64 vcc, exec, s[16:17]
	s_cbranch_vccz .LBB513_120
; %bb.118:
	s_cmp_eq_u32 s21, 11
	s_mov_b64 s[2:3], -1
	s_cbranch_scc0 .LBB513_120
; %bb.119:
	v_cmp_neq_f64_e32 vcc, 0, v[0:1]
	s_mov_b64 s[2:3], 0
	s_mov_b64 s[14:15], -1
	v_cndmask_b32_e64 v2, 0, 1, vcc
	global_store_byte v[4:5], v2, off
.LBB513_120:
	s_branch .LBB513_39
.LBB513_121:
	s_and_b32 s16, 0xffff, s20
	s_cmp_lt_i32 s16, 5
	s_mov_b64 s[14:15], -1
	s_cbranch_scc1 .LBB513_142
; %bb.122:
	s_cmp_lt_i32 s16, 8
	s_cbranch_scc1 .LBB513_132
; %bb.123:
	s_cmp_lt_i32 s16, 9
	s_cbranch_scc1 .LBB513_129
; %bb.124:
	s_cmp_gt_i32 s16, 9
	s_cbranch_scc0 .LBB513_126
; %bb.125:
	v_mov_b32_e32 v2, 0
	v_mov_b32_e32 v3, v2
	global_store_dwordx4 v[4:5], v[0:3], off
	s_mov_b64 s[14:15], 0
.LBB513_126:
	s_andn2_b64 vcc, exec, s[14:15]
	s_cbranch_vccnz .LBB513_128
; %bb.127:
	v_cvt_f32_f64_e32 v2, v[0:1]
	v_mov_b32_e32 v3, 0
	global_store_dwordx2 v[4:5], v[2:3], off
.LBB513_128:
	s_mov_b64 s[14:15], 0
.LBB513_129:
	s_andn2_b64 vcc, exec, s[14:15]
	s_cbranch_vccnz .LBB513_131
; %bb.130:
	s_movk_i32 s14, 0x1ff
	v_and_or_b32 v2, v1, s14, v0
	v_cmp_ne_u32_e32 vcc, 0, v2
	v_lshrrev_b32_e32 v3, 8, v1
	s_movk_i32 s14, 0xffe
	v_cndmask_b32_e64 v2, 0, 1, vcc
	v_bfe_u32 v6, v1, 20, 11
	v_and_or_b32 v2, v3, s14, v2
	v_sub_u32_e32 v7, 0x3f1, v6
	v_or_b32_e32 v3, 0x1000, v2
	v_med3_i32 v7, v7, 0, 13
	v_lshrrev_b32_e32 v8, v7, v3
	v_lshlrev_b32_e32 v7, v7, v8
	v_cmp_ne_u32_e32 vcc, v7, v3
	v_add_u32_e32 v6, 0xfffffc10, v6
	v_lshl_or_b32 v7, v6, 12, v2
	v_cndmask_b32_e64 v3, 0, 1, vcc
	v_or_b32_e32 v3, v8, v3
	v_cmp_gt_i32_e32 vcc, 1, v6
	s_movk_i32 s14, 0x40f
	s_nop 0
	v_cndmask_b32_e32 v3, v7, v3, vcc
	v_and_b32_e32 v7, 7, v3
	v_cmp_lt_i32_e32 vcc, 5, v7
	v_lshrrev_b32_e32 v3, 2, v3
	s_nop 0
	v_cndmask_b32_e64 v8, 0, 1, vcc
	v_cmp_eq_u32_e32 vcc, 3, v7
	s_nop 1
	v_cndmask_b32_e64 v7, 0, 1, vcc
	v_or_b32_e32 v7, v7, v8
	v_add_u32_e32 v3, v3, v7
	v_mov_b32_e32 v7, 0x7c00
	v_cmp_gt_i32_e32 vcc, 31, v6
	v_mov_b32_e32 v8, 0x7e00
	s_nop 0
	v_cndmask_b32_e32 v3, v7, v3, vcc
	v_cmp_ne_u32_e32 vcc, 0, v2
	s_nop 1
	v_cndmask_b32_e32 v2, v7, v8, vcc
	v_cmp_eq_u32_e32 vcc, s14, v6
	s_mov_b32 s14, 0x8000
	s_nop 0
	v_cndmask_b32_e32 v2, v3, v2, vcc
	v_and_b32_sdwa v3, v1, s14 dst_sel:DWORD dst_unused:UNUSED_PAD src0_sel:WORD_1 src1_sel:DWORD
	s_mov_b32 s14, 0xffff
	v_bitop3_b32 v2, v3, s14, v2 bitop3:0xc8
	global_store_dword v[4:5], v2, off
.LBB513_131:
	s_mov_b64 s[14:15], 0
.LBB513_132:
	s_andn2_b64 vcc, exec, s[14:15]
	s_cbranch_vccnz .LBB513_141
; %bb.133:
	s_cmp_lt_i32 s16, 6
	s_mov_b64 s[14:15], -1
	s_cbranch_scc1 .LBB513_139
; %bb.134:
	s_cmp_gt_i32 s16, 6
	s_cbranch_scc0 .LBB513_136
; %bb.135:
	global_store_dwordx2 v[4:5], v[0:1], off
	s_mov_b64 s[14:15], 0
.LBB513_136:
	s_andn2_b64 vcc, exec, s[14:15]
	s_cbranch_vccnz .LBB513_138
; %bb.137:
	v_cvt_f32_f64_e32 v2, v[0:1]
	global_store_dword v[4:5], v2, off
.LBB513_138:
	s_mov_b64 s[14:15], 0
.LBB513_139:
	s_andn2_b64 vcc, exec, s[14:15]
	s_cbranch_vccnz .LBB513_141
; %bb.140:
	s_movk_i32 s14, 0x1ff
	v_and_or_b32 v2, v1, s14, v0
	v_cmp_ne_u32_e32 vcc, 0, v2
	v_lshrrev_b32_e32 v3, 8, v1
	s_movk_i32 s14, 0xffe
	v_cndmask_b32_e64 v2, 0, 1, vcc
	v_bfe_u32 v6, v1, 20, 11
	v_and_or_b32 v2, v3, s14, v2
	v_sub_u32_e32 v7, 0x3f1, v6
	v_or_b32_e32 v3, 0x1000, v2
	v_med3_i32 v7, v7, 0, 13
	v_lshrrev_b32_e32 v8, v7, v3
	v_lshlrev_b32_e32 v7, v7, v8
	v_cmp_ne_u32_e32 vcc, v7, v3
	v_add_u32_e32 v6, 0xfffffc10, v6
	v_lshl_or_b32 v7, v6, 12, v2
	v_cndmask_b32_e64 v3, 0, 1, vcc
	v_or_b32_e32 v3, v8, v3
	v_cmp_gt_i32_e32 vcc, 1, v6
	s_movk_i32 s14, 0x40f
	s_nop 0
	v_cndmask_b32_e32 v3, v7, v3, vcc
	v_and_b32_e32 v7, 7, v3
	v_cmp_lt_i32_e32 vcc, 5, v7
	v_lshrrev_b32_e32 v3, 2, v3
	s_nop 0
	v_cndmask_b32_e64 v8, 0, 1, vcc
	v_cmp_eq_u32_e32 vcc, 3, v7
	s_nop 1
	v_cndmask_b32_e64 v7, 0, 1, vcc
	v_or_b32_e32 v7, v7, v8
	v_add_u32_e32 v3, v3, v7
	v_mov_b32_e32 v7, 0x7c00
	v_cmp_gt_i32_e32 vcc, 31, v6
	v_mov_b32_e32 v8, 0x7e00
	s_nop 0
	v_cndmask_b32_e32 v3, v7, v3, vcc
	v_cmp_ne_u32_e32 vcc, 0, v2
	s_nop 1
	v_cndmask_b32_e32 v2, v7, v8, vcc
	v_cmp_eq_u32_e32 vcc, s14, v6
	s_mov_b32 s14, 0x8000
	s_nop 0
	v_cndmask_b32_e32 v2, v3, v2, vcc
	v_lshrrev_b32_e32 v3, 16, v1
	v_and_or_b32 v2, v3, s14, v2
	global_store_short v[4:5], v2, off
.LBB513_141:
	s_mov_b64 s[14:15], 0
.LBB513_142:
	s_andn2_b64 vcc, exec, s[14:15]
	s_cbranch_vccnz .LBB513_158
; %bb.143:
	s_cmp_lt_i32 s16, 2
	s_mov_b64 s[14:15], -1
	s_cbranch_scc1 .LBB513_153
; %bb.144:
	s_cmp_lt_i32 s16, 3
	s_cbranch_scc1 .LBB513_150
; %bb.145:
	s_cmp_gt_i32 s16, 3
	s_cbranch_scc0 .LBB513_147
; %bb.146:
	v_trunc_f64_e32 v[2:3], v[0:1]
	s_movk_i32 s14, 0xffe0
	v_ldexp_f64 v[6:7], v[2:3], s14
	v_floor_f64_e32 v[6:7], v[6:7]
	v_fmac_f64_e32 v[2:3], 0xc1f00000, v[6:7]
	v_cvt_i32_f64_e32 v9, v[6:7]
	v_cvt_u32_f64_e32 v8, v[2:3]
	global_store_dwordx2 v[4:5], v[8:9], off
	s_mov_b64 s[14:15], 0
.LBB513_147:
	s_andn2_b64 vcc, exec, s[14:15]
	s_cbranch_vccnz .LBB513_149
; %bb.148:
	v_cvt_i32_f64_e32 v2, v[0:1]
	global_store_dword v[4:5], v2, off
.LBB513_149:
	s_mov_b64 s[14:15], 0
.LBB513_150:
	s_andn2_b64 vcc, exec, s[14:15]
	s_cbranch_vccnz .LBB513_152
; %bb.151:
	v_cvt_i32_f64_e32 v2, v[0:1]
	global_store_short v[4:5], v2, off
.LBB513_152:
	s_mov_b64 s[14:15], 0
.LBB513_153:
	s_andn2_b64 vcc, exec, s[14:15]
	s_cbranch_vccnz .LBB513_158
; %bb.154:
	s_cmp_gt_i32 s16, 0
	s_mov_b64 s[14:15], -1
	s_cbranch_scc0 .LBB513_156
; %bb.155:
	v_cvt_i32_f64_e32 v2, v[0:1]
	global_store_byte v[4:5], v2, off
	s_mov_b64 s[14:15], 0
.LBB513_156:
	s_andn2_b64 vcc, exec, s[14:15]
	s_cbranch_vccnz .LBB513_158
; %bb.157:
	v_trunc_f64_e32 v[0:1], v[0:1]
	s_movk_i32 s14, 0xffe0
	v_ldexp_f64 v[2:3], v[0:1], s14
	v_floor_f64_e32 v[2:3], v[2:3]
	v_fmac_f64_e32 v[0:1], 0xc1f00000, v[2:3]
	v_cvt_u32_f64_e32 v0, v[0:1]
	global_store_byte v[4:5], v0, off
.LBB513_158:
.LBB513_159:
	v_add_u32_e32 v10, 0x80, v10
	s_mov_b64 s[14:15], -1
	s_branch .LBB513_270
.LBB513_160:
	s_mov_b64 s[12:13], -1
                                        ; implicit-def: $vgpr4_vgpr5
.LBB513_161:
	s_mov_b64 s[14:15], 0
.LBB513_162:
	s_and_b64 vcc, exec, s[14:15]
	s_cbranch_vccz .LBB513_166
; %bb.163:
	s_cmp_eq_u32 s18, 29
	s_cbranch_scc0 .LBB513_165
; %bb.164:
	global_load_dwordx2 v[4:5], v[0:1], off
	s_mov_b64 s[2:3], -1
	s_mov_b64 s[12:13], 0
	s_mov_b64 s[14:15], 0
	s_waitcnt vmcnt(0)
	v_cvt_f64_u32_e32 v[6:7], v5
	v_cvt_f64_u32_e32 v[4:5], v4
	v_ldexp_f64 v[6:7], v[6:7], 32
	v_add_f64 v[4:5], v[6:7], v[4:5]
	s_branch .LBB513_167
.LBB513_165:
	s_mov_b64 s[12:13], -1
                                        ; implicit-def: $vgpr4_vgpr5
.LBB513_166:
	s_mov_b64 s[14:15], 0
.LBB513_167:
	s_and_b64 vcc, exec, s[14:15]
	s_cbranch_vccz .LBB513_187
; %bb.168:
	s_cmp_lt_i32 s18, 27
	s_cbranch_scc1 .LBB513_171
; %bb.169:
	s_cmp_gt_i32 s18, 27
	s_cbranch_scc0 .LBB513_172
; %bb.170:
	global_load_dword v3, v[0:1], off
	s_mov_b64 s[2:3], 0
	s_waitcnt vmcnt(0)
	v_cvt_f64_u32_e32 v[4:5], v3
	s_branch .LBB513_173
.LBB513_171:
	s_mov_b64 s[2:3], -1
                                        ; implicit-def: $vgpr4_vgpr5
	s_branch .LBB513_176
.LBB513_172:
	s_mov_b64 s[2:3], -1
                                        ; implicit-def: $vgpr4_vgpr5
.LBB513_173:
	s_andn2_b64 vcc, exec, s[2:3]
	s_cbranch_vccnz .LBB513_175
; %bb.174:
	global_load_ushort v3, v[0:1], off
	s_waitcnt vmcnt(0)
	v_cvt_f64_u32_e32 v[4:5], v3
.LBB513_175:
	s_mov_b64 s[2:3], 0
.LBB513_176:
	s_andn2_b64 vcc, exec, s[2:3]
	s_cbranch_vccnz .LBB513_186
; %bb.177:
	global_load_ubyte v3, v[0:1], off
	s_movk_i32 s2, 0x7f
	s_waitcnt vmcnt(0)
	v_cmp_lt_i16_e32 vcc, s2, v3
	s_mov_b64 s[2:3], 0
	s_and_saveexec_b64 s[14:15], vcc
	s_xor_b64 s[14:15], exec, s[14:15]
	s_cbranch_execz .LBB513_181
; %bb.178:
	s_movk_i32 s2, 0x80
	v_cmp_eq_u16_e32 vcc, s2, v3
	s_mov_b64 s[2:3], -1
	s_and_saveexec_b64 s[16:17], vcc
; %bb.179:
	s_xor_b64 s[2:3], exec, -1
; %bb.180:
	s_or_b64 exec, exec, s[16:17]
	s_and_b64 s[2:3], s[2:3], exec
.LBB513_181:
	s_or_saveexec_b64 s[14:15], s[14:15]
	v_bfrev_b32_e32 v4, 4
	v_mov_b32_e32 v5, 0x7ff80000
	s_xor_b64 exec, exec, s[14:15]
; %bb.182:
	v_cmp_ne_u16_e32 vcc, 0, v3
	s_andn2_b64 s[2:3], s[2:3], exec
	s_and_b64 s[16:17], vcc, exec
	v_mov_b64_e32 v[4:5], 0
	s_or_b64 s[2:3], s[2:3], s[16:17]
; %bb.183:
	s_or_b64 exec, exec, s[14:15]
	s_and_saveexec_b64 s[14:15], s[2:3]
	s_cbranch_execz .LBB513_185
; %bb.184:
	v_lshlrev_b32_e32 v4, 24, v3
	v_and_b32_e32 v3, 0xffff, v3
	v_and_b32_e32 v5, 7, v3
	v_ffbh_u32_e32 v7, v5
	v_min_u32_e32 v7, 32, v7
	v_subrev_u32_e32 v8, 28, v7
	v_bfe_u32 v6, v3, 3, 4
	v_lshlrev_b32_e32 v3, v8, v3
	v_sub_u32_e32 v7, 29, v7
	v_and_b32_e32 v3, 7, v3
	v_cmp_eq_u32_e32 vcc, 0, v6
	v_and_b32_e32 v4, 0x80000000, v4
	s_nop 0
	v_cndmask_b32_e32 v6, v6, v7, vcc
	v_cndmask_b32_e32 v3, v5, v3, vcc
	v_mov_b32_e32 v5, 0x3b800000
	v_lshlrev_b32_e32 v3, 20, v3
	v_lshl_add_u32 v5, v6, 23, v5
	v_or3_b32 v3, v4, v5, v3
	v_cvt_f64_f32_e32 v[4:5], v3
.LBB513_185:
	s_or_b64 exec, exec, s[14:15]
.LBB513_186:
	s_mov_b64 s[2:3], -1
.LBB513_187:
	s_branch .LBB513_220
.LBB513_188:
	s_cmp_gt_i32 s18, 22
	s_cbranch_scc0 .LBB513_200
; %bb.189:
	s_cmp_lt_i32 s18, 24
	s_cbranch_scc1 .LBB513_201
; %bb.190:
	s_cmp_gt_i32 s18, 24
	s_cbranch_scc0 .LBB513_202
; %bb.191:
	global_load_ubyte v3, v[0:1], off
	s_movk_i32 s2, 0x7f
	s_waitcnt vmcnt(0)
	v_cmp_lt_i16_e32 vcc, s2, v3
	s_mov_b64 s[2:3], 0
	s_and_saveexec_b64 s[14:15], vcc
	s_xor_b64 s[14:15], exec, s[14:15]
	s_cbranch_execz .LBB513_195
; %bb.192:
	s_movk_i32 s2, 0x80
	v_cmp_eq_u16_e32 vcc, s2, v3
	s_mov_b64 s[2:3], -1
	s_and_saveexec_b64 s[16:17], vcc
; %bb.193:
	s_xor_b64 s[2:3], exec, -1
; %bb.194:
	s_or_b64 exec, exec, s[16:17]
	s_and_b64 s[2:3], s[2:3], exec
.LBB513_195:
	s_or_saveexec_b64 s[14:15], s[14:15]
	v_bfrev_b32_e32 v4, 4
	v_mov_b32_e32 v5, 0x7ff80000
	s_xor_b64 exec, exec, s[14:15]
; %bb.196:
	v_cmp_ne_u16_e32 vcc, 0, v3
	s_andn2_b64 s[2:3], s[2:3], exec
	s_and_b64 s[16:17], vcc, exec
	v_mov_b64_e32 v[4:5], 0
	s_or_b64 s[2:3], s[2:3], s[16:17]
; %bb.197:
	s_or_b64 exec, exec, s[14:15]
	s_and_saveexec_b64 s[14:15], s[2:3]
	s_cbranch_execz .LBB513_199
; %bb.198:
	v_lshlrev_b32_e32 v4, 24, v3
	v_and_b32_e32 v3, 0xffff, v3
	v_and_b32_e32 v5, 3, v3
	v_ffbh_u32_e32 v7, v5
	v_min_u32_e32 v7, 32, v7
	v_subrev_u32_e32 v8, 29, v7
	v_bfe_u32 v6, v3, 2, 5
	v_lshlrev_b32_e32 v3, v8, v3
	v_sub_u32_e32 v7, 30, v7
	v_and_b32_e32 v3, 3, v3
	v_cmp_eq_u32_e32 vcc, 0, v6
	v_and_b32_e32 v4, 0x80000000, v4
	s_nop 0
	v_cndmask_b32_e32 v6, v6, v7, vcc
	v_cndmask_b32_e32 v3, v5, v3, vcc
	v_mov_b32_e32 v5, 0x37800000
	v_lshlrev_b32_e32 v3, 21, v3
	v_lshl_add_u32 v5, v6, 23, v5
	v_or3_b32 v3, v4, v5, v3
	v_cvt_f64_f32_e32 v[4:5], v3
.LBB513_199:
	s_or_b64 exec, exec, s[14:15]
	s_mov_b64 s[2:3], 0
	s_branch .LBB513_203
.LBB513_200:
	s_mov_b64 s[14:15], -1
                                        ; implicit-def: $vgpr4_vgpr5
	s_branch .LBB513_209
.LBB513_201:
	s_mov_b64 s[2:3], -1
                                        ; implicit-def: $vgpr4_vgpr5
	s_branch .LBB513_206
.LBB513_202:
	s_mov_b64 s[2:3], -1
                                        ; implicit-def: $vgpr4_vgpr5
.LBB513_203:
	s_and_b64 vcc, exec, s[2:3]
	s_cbranch_vccz .LBB513_205
; %bb.204:
	global_load_ubyte v3, v[0:1], off
	s_mov_b32 s2, 0x7f800000
	s_waitcnt vmcnt(0)
	v_lshlrev_b32_e32 v3, 24, v3
	v_and_b32_e32 v4, 0x7f000000, v3
	v_ffbh_u32_e32 v5, v4
	v_min_u32_e32 v5, 32, v5
	v_sub_u32_e64 v5, v5, 4 clamp
	v_lshlrev_b32_e32 v7, v5, v4
	v_lshlrev_b32_e32 v5, 23, v5
	v_lshrrev_b32_e32 v7, 4, v7
	v_add_u32_e32 v6, 0x1000000, v4
	v_sub_u32_e32 v5, v7, v5
	v_ashrrev_i32_e32 v6, 8, v6
	v_add_u32_e32 v5, 0x3c000000, v5
	v_and_or_b32 v5, v6, s2, v5
	v_cmp_ne_u32_e32 vcc, 0, v4
	s_brev_b32 s2, 1
	s_nop 0
	v_cndmask_b32_e32 v4, 0, v5, vcc
	v_and_or_b32 v3, v3, s2, v4
	v_cvt_f64_f32_e32 v[4:5], v3
.LBB513_205:
	s_mov_b64 s[2:3], 0
.LBB513_206:
	s_andn2_b64 vcc, exec, s[2:3]
	s_cbranch_vccnz .LBB513_208
; %bb.207:
	global_load_ubyte v3, v[0:1], off
	s_movk_i32 s2, 0x7f00
	s_brev_b32 s3, 16
	s_waitcnt vmcnt(0)
	v_lshlrev_b16_e32 v4, 8, v3
	v_lshlrev_b32_e32 v3, 25, v3
	v_lshrrev_b32_e32 v5, 4, v3
	v_and_or_b32 v6, v4, s2, 0.5
	v_or_b32_e32 v5, 0x70000000, v5
	v_add_f32_e32 v6, -0.5, v6
	v_mul_f32_e32 v5, 0x7800000, v5
	v_cmp_gt_u32_e32 vcc, s3, v3
	v_bfe_i32 v4, v4, 0, 16
	s_brev_b32 s2, 1
	v_cndmask_b32_e32 v3, v5, v6, vcc
	v_and_or_b32 v3, v4, s2, v3
	v_cvt_f64_f32_e32 v[4:5], v3
.LBB513_208:
	s_mov_b64 s[14:15], 0
	s_mov_b64 s[2:3], -1
.LBB513_209:
	s_andn2_b64 vcc, exec, s[14:15]
	s_cbranch_vccnz .LBB513_220
; %bb.210:
	s_cmp_gt_i32 s18, 14
	s_cbranch_scc0 .LBB513_213
; %bb.211:
	s_cmp_eq_u32 s18, 15
	s_cbranch_scc0 .LBB513_214
; %bb.212:
	global_load_ushort v3, v[0:1], off
	s_mov_b64 s[2:3], -1
	s_mov_b64 s[12:13], 0
	s_waitcnt vmcnt(0)
	v_lshlrev_b32_e32 v3, 16, v3
	v_cvt_f64_f32_e32 v[4:5], v3
	s_branch .LBB513_215
.LBB513_213:
	s_mov_b64 s[14:15], -1
                                        ; implicit-def: $vgpr4_vgpr5
	s_branch .LBB513_216
.LBB513_214:
	s_mov_b64 s[12:13], -1
                                        ; implicit-def: $vgpr4_vgpr5
.LBB513_215:
	s_mov_b64 s[14:15], 0
.LBB513_216:
	s_and_b64 vcc, exec, s[14:15]
	s_cbranch_vccz .LBB513_220
; %bb.217:
	s_cmp_eq_u32 s18, 11
	s_cbranch_scc0 .LBB513_219
; %bb.218:
	global_load_ubyte v3, v[0:1], off
	v_mov_b32_e32 v5, 0x3ff00000
	v_mov_b32_e32 v4, 0
	s_mov_b64 s[2:3], -1
	s_mov_b64 s[12:13], 0
	s_waitcnt vmcnt(0)
	v_cmp_ne_u16_e32 vcc, 0, v3
	s_nop 1
	v_cndmask_b32_e32 v5, 0, v5, vcc
	s_branch .LBB513_220
.LBB513_219:
	s_mov_b64 s[12:13], -1
                                        ; implicit-def: $vgpr4_vgpr5
.LBB513_220:
	s_branch .LBB513_25
.LBB513_221:
	s_cmp_lt_i32 s18, 5
	s_cbranch_scc1 .LBB513_226
; %bb.222:
	s_cmp_lt_i32 s18, 8
	s_cbranch_scc1 .LBB513_227
; %bb.223:
	;; [unrolled: 3-line block ×3, first 2 shown]
	s_cmp_gt_i32 s18, 9
	s_cbranch_scc0 .LBB513_229
; %bb.225:
	global_load_dwordx2 v[4:5], v[0:1], off
	s_mov_b64 s[2:3], 0
	s_branch .LBB513_230
.LBB513_226:
                                        ; implicit-def: $vgpr4_vgpr5
	s_branch .LBB513_248
.LBB513_227:
	s_mov_b64 s[2:3], -1
                                        ; implicit-def: $vgpr4_vgpr5
	s_branch .LBB513_236
.LBB513_228:
	s_mov_b64 s[2:3], -1
                                        ; implicit-def: $vgpr4_vgpr5
	s_branch .LBB513_233
.LBB513_229:
	s_mov_b64 s[2:3], -1
                                        ; implicit-def: $vgpr4_vgpr5
.LBB513_230:
	s_andn2_b64 vcc, exec, s[2:3]
	s_cbranch_vccnz .LBB513_232
; %bb.231:
	global_load_dword v3, v[0:1], off
	s_waitcnt vmcnt(0)
	v_cvt_f64_f32_e32 v[4:5], v3
.LBB513_232:
	s_mov_b64 s[2:3], 0
.LBB513_233:
	s_andn2_b64 vcc, exec, s[2:3]
	s_cbranch_vccnz .LBB513_235
; %bb.234:
	global_load_dword v3, v[0:1], off
	s_waitcnt vmcnt(0)
	v_cvt_f32_f16_e32 v3, v3
	v_cvt_f64_f32_e32 v[4:5], v3
.LBB513_235:
	s_mov_b64 s[2:3], 0
.LBB513_236:
	s_andn2_b64 vcc, exec, s[2:3]
	s_cbranch_vccnz .LBB513_247
; %bb.237:
	s_cmp_lt_i32 s18, 6
	s_cbranch_scc1 .LBB513_240
; %bb.238:
	s_cmp_gt_i32 s18, 6
	s_cbranch_scc0 .LBB513_241
; %bb.239:
	global_load_dwordx2 v[4:5], v[0:1], off
	s_mov_b64 s[2:3], 0
	s_branch .LBB513_242
.LBB513_240:
	s_mov_b64 s[2:3], -1
                                        ; implicit-def: $vgpr4_vgpr5
	s_branch .LBB513_245
.LBB513_241:
	s_mov_b64 s[2:3], -1
                                        ; implicit-def: $vgpr4_vgpr5
.LBB513_242:
	s_andn2_b64 vcc, exec, s[2:3]
	s_cbranch_vccnz .LBB513_244
; %bb.243:
	global_load_dword v3, v[0:1], off
	s_waitcnt vmcnt(0)
	v_cvt_f64_f32_e32 v[4:5], v3
.LBB513_244:
	s_mov_b64 s[2:3], 0
.LBB513_245:
	s_andn2_b64 vcc, exec, s[2:3]
	s_cbranch_vccnz .LBB513_247
; %bb.246:
	global_load_ushort v3, v[0:1], off
	s_waitcnt vmcnt(0)
	v_cvt_f32_f16_e32 v3, v3
	v_cvt_f64_f32_e32 v[4:5], v3
.LBB513_247:
	s_cbranch_execnz .LBB513_267
.LBB513_248:
	s_cmp_lt_i32 s18, 2
	s_cbranch_scc1 .LBB513_252
; %bb.249:
	s_cmp_lt_i32 s18, 3
	s_cbranch_scc1 .LBB513_253
; %bb.250:
	s_cmp_gt_i32 s18, 3
	s_cbranch_scc0 .LBB513_254
; %bb.251:
	global_load_dwordx2 v[4:5], v[0:1], off
	s_mov_b64 s[2:3], 0
	s_waitcnt vmcnt(0)
	v_cvt_f64_i32_e32 v[6:7], v5
	v_cvt_f64_u32_e32 v[4:5], v4
	v_ldexp_f64 v[6:7], v[6:7], 32
	v_add_f64 v[4:5], v[6:7], v[4:5]
	s_branch .LBB513_255
.LBB513_252:
	s_mov_b64 s[2:3], -1
                                        ; implicit-def: $vgpr4_vgpr5
	s_branch .LBB513_261
.LBB513_253:
	s_mov_b64 s[2:3], -1
                                        ; implicit-def: $vgpr4_vgpr5
	s_branch .LBB513_258
.LBB513_254:
	s_mov_b64 s[2:3], -1
                                        ; implicit-def: $vgpr4_vgpr5
.LBB513_255:
	s_andn2_b64 vcc, exec, s[2:3]
	s_cbranch_vccnz .LBB513_257
; %bb.256:
	global_load_dword v3, v[0:1], off
	s_waitcnt vmcnt(0)
	v_cvt_f64_i32_e32 v[4:5], v3
.LBB513_257:
	s_mov_b64 s[2:3], 0
.LBB513_258:
	s_andn2_b64 vcc, exec, s[2:3]
	s_cbranch_vccnz .LBB513_260
; %bb.259:
	global_load_sshort v3, v[0:1], off
	s_waitcnt vmcnt(0)
	v_cvt_f64_i32_e32 v[4:5], v3
.LBB513_260:
	s_mov_b64 s[2:3], 0
.LBB513_261:
	s_andn2_b64 vcc, exec, s[2:3]
	s_cbranch_vccnz .LBB513_267
; %bb.262:
	s_cmp_gt_i32 s18, 0
	s_cbranch_scc0 .LBB513_264
; %bb.263:
	global_load_sbyte v3, v[0:1], off
	s_mov_b64 s[2:3], 0
	s_waitcnt vmcnt(0)
	v_cvt_f64_i32_e32 v[4:5], v3
	s_branch .LBB513_265
.LBB513_264:
	s_mov_b64 s[2:3], -1
                                        ; implicit-def: $vgpr4_vgpr5
.LBB513_265:
	s_andn2_b64 vcc, exec, s[2:3]
	s_cbranch_vccnz .LBB513_267
; %bb.266:
	global_load_ubyte v0, v[0:1], off
	s_waitcnt vmcnt(0)
	v_cvt_f64_u32_e32 v[4:5], v0
.LBB513_267:
	s_branch .LBB513_26
.LBB513_268:
	s_mov_b64 s[2:3], 0
.LBB513_269:
	s_mov_b64 s[14:15], 0
                                        ; implicit-def: $vgpr10
.LBB513_270:
	s_and_b64 s[60:61], s[2:3], exec
	s_and_b64 s[62:63], s[12:13], exec
	s_orn2_b64 s[12:13], s[14:15], exec
.LBB513_271:
	s_or_b64 exec, exec, s[64:65]
	s_mov_b64 s[14:15], 0
	s_mov_b64 s[2:3], 0
                                        ; implicit-def: $vgpr0_vgpr1
                                        ; implicit-def: $vgpr2
                                        ; implicit-def: $vgpr6_vgpr7
	s_and_saveexec_b64 s[64:65], s[12:13]
	s_cbranch_execz .LBB513_279
; %bb.272:
	v_cmp_gt_i32_e32 vcc, s76, v10
	s_mov_b64 s[2:3], -1
	s_mov_b64 s[66:67], s[62:63]
	s_mov_b64 s[68:69], s[60:61]
	s_and_saveexec_b64 s[70:71], vcc
	s_cbranch_execz .LBB513_552
; %bb.273:
	s_andn2_b64 vcc, exec, s[46:47]
	s_cbranch_vccnz .LBB513_282
; %bb.274:
	s_andn2_b64 vcc, exec, s[58:59]
	s_cbranch_vccnz .LBB513_283
; %bb.275:
	s_add_i32 s69, s81, 1
	s_cmp_eq_u32 s78, 2
	s_cbranch_scc1 .LBB513_284
; %bb.276:
	s_and_b32 s68, s69, 28
	s_mov_b32 s72, 0
	v_mov_b32_e32 v2, 0
	v_mov_b32_e32 v0, 0
	s_mov_b64 s[2:3], s[34:35]
	s_mov_b64 s[66:67], s[56:57]
	s_waitcnt vmcnt(0)
	v_mov_b32_e32 v4, v10
.LBB513_277:                            ; =>This Inner Loop Header: Depth=1
	s_load_dwordx8 s[20:27], s[2:3], 0x4
	s_load_dwordx4 s[40:43], s[2:3], 0x24
	s_load_dwordx8 s[12:19], s[66:67], 0x0
	s_add_u32 s2, s2, 48
	s_addc_u32 s3, s3, 0
	s_waitcnt lgkmcnt(0)
	v_mul_hi_u32 v1, s21, v4
	v_add_u32_e32 v1, v4, v1
	v_lshrrev_b32_e32 v1, s22, v1
	v_mul_lo_u32 v3, v1, s20
	v_mul_hi_u32 v5, s24, v1
	v_sub_u32_e32 v3, v4, v3
	v_add_u32_e32 v4, v1, v5
	v_lshrrev_b32_e32 v4, s25, v4
	v_mul_lo_u32 v6, v4, s23
	v_mul_hi_u32 v7, s27, v4
	v_sub_u32_e32 v1, v1, v6
	v_add_u32_e32 v6, v4, v7
	v_mul_lo_u32 v5, v3, s13
	v_mul_lo_u32 v3, v3, s12
	;; [unrolled: 1-line block ×4, first 2 shown]
	v_lshrrev_b32_e32 v6, s40, v6
	v_add3_u32 v1, v3, v2, v1
	v_mul_hi_u32 v3, s42, v6
	v_mul_lo_u32 v2, v6, s26
	v_add_u32_e32 v3, v6, v3
	v_sub_u32_e32 v2, v4, v2
	v_lshrrev_b32_e32 v4, s43, v3
	s_add_i32 s72, s72, 4
	v_mul_lo_u32 v3, v4, s41
	s_add_u32 s66, s66, 32
	v_sub_u32_e32 v3, v6, v3
	s_addc_u32 s67, s67, 0
	v_add3_u32 v0, v5, v0, v7
	v_mul_lo_u32 v5, v2, s16
	v_mul_lo_u32 v2, v2, s17
	;; [unrolled: 1-line block ×4, first 2 shown]
	s_cmp_eq_u32 s68, s72
	v_add3_u32 v0, v2, v0, v3
	v_add3_u32 v2, v5, v1, v6
	s_cbranch_scc0 .LBB513_277
; %bb.278:
	v_mov_b32_e32 v1, v0
	s_branch .LBB513_285
.LBB513_279:
	s_or_b64 exec, exec, s[64:65]
	s_mov_b64 s[6:7], 0
	s_and_saveexec_b64 s[12:13], s[62:63]
	s_cbranch_execnz .LBB513_934
.LBB513_280:
	s_or_b64 exec, exec, s[12:13]
	s_and_saveexec_b64 s[12:13], s[68:69]
	s_xor_b64 s[12:13], exec, s[12:13]
	s_cbranch_execz .LBB513_935
.LBB513_281:
	global_load_ubyte v3, v[0:1], off
	s_waitcnt vmcnt(1)
	v_mov_b32_e32 v4, 0x3ff00000
	v_mov_b32_e32 v6, 0
	s_or_b64 s[2:3], s[2:3], exec
	s_waitcnt vmcnt(0)
	v_cmp_ne_u16_e32 vcc, 0, v3
	s_nop 1
	v_cndmask_b32_e32 v7, 0, v4, vcc
	s_or_b64 exec, exec, s[12:13]
	s_and_saveexec_b64 s[12:13], s[14:15]
	s_cbranch_execz .LBB513_981
	s_branch .LBB513_936
.LBB513_282:
                                        ; implicit-def: $vgpr0
                                        ; implicit-def: $vgpr2
	s_andn2_b64 vcc, exec, s[2:3]
	s_cbranch_vccz .LBB513_289
	s_branch .LBB513_291
.LBB513_283:
	v_mov_b32_e32 v0, 0
	v_mov_b32_e32 v2, 0
	s_branch .LBB513_288
.LBB513_284:
	v_mov_b32_e32 v2, 0
	s_mov_b32 s68, 0
	v_mov_b32_e32 v1, v2
                                        ; implicit-def: $vgpr0
	s_waitcnt vmcnt(0)
	v_mov_b32_e32 v4, v10
.LBB513_285:
	s_and_b32 s14, s69, 3
	s_cmp_eq_u32 s14, 0
	s_cbranch_scc1 .LBB513_288
; %bb.286:
	s_lshl_b32 s2, s68, 3
	s_add_u32 s2, s34, s2
	s_addc_u32 s3, s35, 0
	s_add_u32 s2, s2, 0xc4
	s_addc_u32 s3, s3, 0
	s_mul_i32 s12, s68, 12
	s_add_u32 s12, s34, s12
	s_addc_u32 s13, s35, 0
.LBB513_287:                            ; =>This Inner Loop Header: Depth=1
	s_load_dwordx2 s[16:17], s[12:13], 0x4
	s_load_dword s15, s[12:13], 0xc
	s_load_dwordx2 s[18:19], s[2:3], 0x0
	v_mov_b32_e32 v0, v1
	s_add_u32 s12, s12, 12
	s_waitcnt lgkmcnt(0)
	v_mul_hi_u32 v1, s17, v4
	v_add_u32_e32 v1, v4, v1
	v_lshrrev_b32_e32 v1, s15, v1
	s_addc_u32 s13, s13, 0
	v_mul_lo_u32 v3, v1, s16
	s_add_u32 s2, s2, 8
	v_sub_u32_e32 v3, v4, v3
	s_addc_u32 s3, s3, 0
	s_add_i32 s14, s14, -1
	v_mov_b32_e32 v4, v1
	v_mad_u64_u32 v[0:1], s[16:17], v3, s19, v[0:1]
	s_cmp_lg_u32 s14, 0
	v_mad_u64_u32 v[2:3], s[16:17], v3, s18, v[2:3]
	v_mov_b32_e32 v1, v0
	s_cbranch_scc1 .LBB513_287
.LBB513_288:
	s_cbranch_execnz .LBB513_291
.LBB513_289:
	v_mul_hi_u32 v0, s29, v10
	v_add_u32_e32 v0, v10, v0
	v_lshrrev_b32_e32 v1, s30, v0
	v_mul_lo_u32 v0, v1, s28
	v_sub_u32_e32 v2, v10, v0
	v_mul_lo_u32 v0, v2, s37
	s_andn2_b64 vcc, exec, s[54:55]
	v_mul_lo_u32 v2, v2, s36
	s_cbranch_vccnz .LBB513_291
; %bb.290:
	v_mul_hi_u32 v3, s52, v1
	v_add_u32_e32 v3, v1, v3
	v_lshrrev_b32_e32 v3, s53, v3
	v_mul_lo_u32 v3, v3, s31
	v_sub_u32_e32 v1, v1, v3
	v_mad_u64_u32 v[2:3], s[2:3], v1, s38, v[2:3]
	v_mad_u64_u32 v[0:1], s[2:3], v1, s39, v[0:1]
.LBB513_291:
	v_mov_b32_e32 v1, 0
	s_and_b32 s18, 0xffff, s80
	s_cmp_lt_i32 s18, 11
	v_lshl_add_u64 v[0:1], s[6:7], 0, v[0:1]
	s_cbranch_scc1 .LBB513_298
; %bb.292:
	s_cmp_gt_i32 s18, 25
	s_cbranch_scc0 .LBB513_311
; %bb.293:
	s_cmp_gt_i32 s18, 28
	s_cbranch_scc0 .LBB513_313
	;; [unrolled: 3-line block ×4, first 2 shown]
; %bb.296:
	s_cmp_eq_u32 s18, 46
	s_mov_b64 s[14:15], 0
	s_cbranch_scc0 .LBB513_323
; %bb.297:
	global_load_dword v3, v[0:1], off
	s_mov_b64 s[2:3], -1
	s_mov_b64 s[12:13], 0
	s_waitcnt vmcnt(0)
	v_lshlrev_b32_e32 v3, 16, v3
	v_cvt_f64_f32_e32 v[4:5], v3
	s_branch .LBB513_324
.LBB513_298:
	s_mov_b64 s[2:3], 0
                                        ; implicit-def: $vgpr4_vgpr5
	s_mov_b64 s[12:13], s[62:63]
	s_cbranch_execnz .LBB513_501
.LBB513_299:
	s_andn2_b64 vcc, exec, s[2:3]
	s_cbranch_vccnz .LBB513_549
.LBB513_300:
	s_waitcnt vmcnt(0)
	v_cmp_o_f64_e32 vcc, v[4:5], v[4:5]
	v_mov_b64_e32 v[0:1], s[8:9]
	s_and_saveexec_b64 s[2:3], vcc
	s_cbranch_execz .LBB513_304
; %bb.301:
	s_mov_b32 s14, 0
	s_mov_b32 s15, 0x7ff00000
	v_cmp_neq_f64_e32 vcc, s[14:15], v[4:5]
	v_mov_b64_e32 v[0:1], s[10:11]
	s_and_saveexec_b64 s[14:15], vcc
; %bb.302:
	s_mov_b32 s16, 0
	s_mov_b32 s17, 0xfff00000
	v_mov_b32_e32 v0, s51
	v_cmp_eq_f64_e32 vcc, s[16:17], v[4:5]
	s_nop 1
	v_cndmask_b32_e32 v1, v5, v0, vcc
	v_mov_b32_e32 v0, s50
	v_cndmask_b32_e32 v0, v4, v0, vcc
; %bb.303:
	s_or_b64 exec, exec, s[14:15]
.LBB513_304:
	s_or_b64 exec, exec, s[2:3]
	v_mov_b32_e32 v3, 0
	s_and_b32 s20, s79, 0xff
	s_cmp_lt_i32 s20, 11
	v_lshl_add_u64 v[4:5], s[4:5], 0, v[2:3]
	s_cbranch_scc1 .LBB513_312
; %bb.305:
	s_and_b32 s21, 0xffff, s20
	s_cmp_gt_i32 s21, 25
	s_cbranch_scc0 .LBB513_314
; %bb.306:
	s_cmp_gt_i32 s21, 28
	s_cbranch_scc0 .LBB513_316
; %bb.307:
	;; [unrolled: 3-line block ×4, first 2 shown]
	s_mov_b64 s[16:17], 0
	s_mov_b64 s[2:3], -1
	s_cmp_eq_u32 s21, 46
	s_mov_b64 s[14:15], 0
	s_cbranch_scc0 .LBB513_328
; %bb.310:
	v_cvt_f32_f64_e32 v2, v[0:1]
	v_bfe_u32 v3, v2, 16, 1
	s_movk_i32 s2, 0x7fff
	v_add3_u32 v3, v2, v3, s2
	v_cmp_o_f32_e32 vcc, v2, v2
	v_mov_b32_e32 v2, 0x7fc0
	s_mov_b64 s[14:15], -1
	v_cndmask_b32_sdwa v2, v2, v3, vcc dst_sel:DWORD dst_unused:UNUSED_PAD src0_sel:DWORD src1_sel:WORD_1
	global_store_dword v[4:5], v2, off
	s_mov_b64 s[2:3], 0
	s_branch .LBB513_328
.LBB513_311:
	s_mov_b64 s[14:15], -1
	s_mov_b64 s[2:3], 0
	s_mov_b64 s[12:13], s[62:63]
                                        ; implicit-def: $vgpr4_vgpr5
	s_branch .LBB513_467
.LBB513_312:
	s_mov_b64 s[16:17], -1
	s_mov_b64 s[14:15], 0
	s_mov_b64 s[2:3], s[60:61]
	s_branch .LBB513_397
.LBB513_313:
	s_mov_b64 s[14:15], -1
	s_mov_b64 s[2:3], 0
	s_mov_b64 s[12:13], s[62:63]
                                        ; implicit-def: $vgpr4_vgpr5
	s_branch .LBB513_446
.LBB513_314:
	s_mov_b64 s[16:17], -1
	s_mov_b64 s[14:15], 0
	s_mov_b64 s[2:3], s[60:61]
	s_branch .LBB513_355
.LBB513_315:
	s_mov_b64 s[14:15], -1
	s_mov_b64 s[2:3], 0
	s_mov_b64 s[12:13], s[62:63]
                                        ; implicit-def: $vgpr4_vgpr5
	s_branch .LBB513_441
.LBB513_316:
	s_mov_b64 s[16:17], -1
	s_mov_b64 s[14:15], 0
	s_mov_b64 s[2:3], s[60:61]
	s_branch .LBB513_338
.LBB513_317:
	s_andn2_saveexec_b64 s[18:19], s[18:19]
	s_cbranch_execz .LBB513_73
.LBB513_318:
	s_mov_b32 s22, 0x46000000
	v_add_f32_e64 v3, |v2|, s22
	v_and_b32_e32 v3, 0xff, v3
	v_cmp_ne_u32_e32 vcc, 0, v3
	s_andn2_b64 s[16:17], s[16:17], exec
	s_and_b64 s[22:23], vcc, exec
	s_or_b64 s[16:17], s[16:17], s[22:23]
	s_or_b64 exec, exec, s[18:19]
	v_mov_b32_e32 v6, 0
	s_and_saveexec_b64 s[18:19], s[16:17]
	s_cbranch_execnz .LBB513_74
	s_branch .LBB513_75
.LBB513_319:
	s_mov_b64 s[14:15], -1
	s_mov_b64 s[2:3], 0
	s_mov_b64 s[12:13], s[62:63]
                                        ; implicit-def: $vgpr4_vgpr5
	s_branch .LBB513_324
.LBB513_320:
	s_mov_b64 s[16:17], -1
	s_mov_b64 s[14:15], 0
	s_mov_b64 s[2:3], s[60:61]
	s_branch .LBB513_334
.LBB513_321:
	s_andn2_saveexec_b64 s[18:19], s[18:19]
	s_cbranch_execz .LBB513_86
.LBB513_322:
	s_mov_b32 s22, 0x42800000
	v_add_f32_e64 v3, |v2|, s22
	v_and_b32_e32 v3, 0xff, v3
	v_cmp_ne_u32_e32 vcc, 0, v3
	s_andn2_b64 s[16:17], s[16:17], exec
	s_and_b64 s[22:23], vcc, exec
	s_or_b64 s[16:17], s[16:17], s[22:23]
	s_or_b64 exec, exec, s[18:19]
	v_mov_b32_e32 v6, 0
	s_and_saveexec_b64 s[18:19], s[16:17]
	s_cbranch_execnz .LBB513_87
	s_branch .LBB513_88
.LBB513_323:
	s_mov_b64 s[12:13], -1
                                        ; implicit-def: $vgpr4_vgpr5
	s_mov_b64 s[2:3], 0
.LBB513_324:
	s_and_b64 vcc, exec, s[14:15]
	s_cbranch_vccz .LBB513_440
; %bb.325:
	s_cmp_eq_u32 s18, 44
	s_cbranch_scc0 .LBB513_439
; %bb.326:
	global_load_ubyte v3, v[0:1], off
	s_movk_i32 s12, 0xff
	v_bfrev_b32_e32 v6, 4
	v_mov_b32_e32 v7, 0x7ff80000
	v_bfrev_b32_e32 v8, 28
	s_mov_b64 s[2:3], -1
	s_waitcnt vmcnt(0)
	v_lshlrev_b32_e32 v4, 23, v3
	v_cvt_f64_f32_e32 v[4:5], v4
	v_cmp_ne_u32_e32 vcc, s12, v3
	s_mov_b64 s[12:13], 0
	s_nop 0
	v_cndmask_b32_e32 v4, v6, v4, vcc
	v_cndmask_b32_e32 v5, v7, v5, vcc
	v_cmp_ne_u32_e32 vcc, 0, v3
	s_nop 1
	v_cndmask_b32_e32 v5, v8, v5, vcc
	v_cndmask_b32_e32 v4, 0, v4, vcc
	s_branch .LBB513_440
.LBB513_327:
	s_mov_b64 s[16:17], -1
	s_mov_b64 s[14:15], 0
	s_mov_b64 s[2:3], s[60:61]
.LBB513_328:
	s_and_b64 vcc, exec, s[16:17]
	s_cbranch_vccz .LBB513_333
; %bb.329:
	s_cmp_eq_u32 s21, 44
	s_mov_b64 s[2:3], -1
	s_cbranch_scc0 .LBB513_333
; %bb.330:
	v_cvt_f32_f64_e32 v2, v[0:1]
	v_bfe_u32 v3, v2, 23, 8
	s_movk_i32 s2, 0xff
	v_cmp_ne_u32_e32 vcc, s2, v3
	v_mov_b32_e32 v6, 0xff
	s_and_saveexec_b64 s[14:15], vcc
; %bb.331:
	s_mov_b32 s2, 0x3fffff
	v_lshrrev_b32_e32 v6, 23, v2
	v_and_b32_e32 v7, 0x400000, v2
	v_and_or_b32 v2, v2, s2, v3
	v_cmp_ne_u32_e32 vcc, 0, v7
	v_cmp_ne_u32_e64 s[2:3], 0, v2
	s_and_b64 s[2:3], vcc, s[2:3]
	s_nop 0
	v_cndmask_b32_e64 v2, 0, 1, s[2:3]
	v_add_u32_e32 v6, v6, v2
; %bb.332:
	s_or_b64 exec, exec, s[14:15]
	s_mov_b64 s[14:15], -1
	s_mov_b64 s[2:3], 0
	global_store_byte v[4:5], v6, off
.LBB513_333:
	s_mov_b64 s[16:17], 0
.LBB513_334:
	s_and_b64 vcc, exec, s[16:17]
	s_cbranch_vccz .LBB513_337
; %bb.335:
	s_cmp_eq_u32 s21, 29
	s_mov_b64 s[2:3], -1
	s_cbranch_scc0 .LBB513_337
; %bb.336:
	v_trunc_f64_e32 v[2:3], v[0:1]
	s_movk_i32 s2, 0xffe0
	v_ldexp_f64 v[6:7], v[2:3], s2
	v_floor_f64_e32 v[6:7], v[6:7]
	v_fmac_f64_e32 v[2:3], 0xc1f00000, v[6:7]
	v_cvt_u32_f64_e32 v9, v[6:7]
	v_cvt_u32_f64_e32 v8, v[2:3]
	global_store_dwordx2 v[4:5], v[8:9], off
	s_mov_b64 s[14:15], -1
	s_mov_b64 s[2:3], 0
.LBB513_337:
	s_mov_b64 s[16:17], 0
.LBB513_338:
	s_and_b64 vcc, exec, s[16:17]
	s_cbranch_vccz .LBB513_354
; %bb.339:
	s_cmp_lt_i32 s21, 27
	s_mov_b64 s[14:15], -1
	s_cbranch_scc1 .LBB513_345
; %bb.340:
	s_cmp_gt_i32 s21, 27
	v_cvt_u32_f64_e32 v2, v[0:1]
	s_cbranch_scc0 .LBB513_342
; %bb.341:
	s_mov_b64 s[14:15], 0
	global_store_dword v[4:5], v2, off
.LBB513_342:
	s_andn2_b64 vcc, exec, s[14:15]
	s_cbranch_vccnz .LBB513_344
; %bb.343:
	global_store_short v[4:5], v2, off
.LBB513_344:
	s_mov_b64 s[14:15], 0
.LBB513_345:
	s_andn2_b64 vcc, exec, s[14:15]
	s_cbranch_vccnz .LBB513_353
; %bb.346:
	v_cvt_f32_f64_e32 v2, v[0:1]
	v_and_b32_e32 v3, 0x7fffffff, v2
	s_mov_b32 s14, 0x43800000
	v_cmp_gt_u32_e32 vcc, s14, v3
	v_mov_b32_e32 v6, 0x80
	s_and_saveexec_b64 s[14:15], vcc
	s_cbranch_execz .LBB513_352
; %bb.347:
	s_mov_b32 s16, 0x3bffffff
	v_cmp_lt_u32_e32 vcc, s16, v3
	s_mov_b64 s[16:17], 0
                                        ; implicit-def: $vgpr3
	s_and_saveexec_b64 s[18:19], vcc
	s_xor_b64 s[18:19], exec, s[18:19]
	s_cbranch_execz .LBB513_581
; %bb.348:
	v_bfe_u32 v3, v2, 20, 1
	s_mov_b32 s22, 0x487ffff
	v_add3_u32 v3, v2, v3, s22
	s_mov_b64 s[16:17], exec
	v_lshrrev_b32_e32 v3, 20, v3
	s_andn2_saveexec_b64 s[18:19], s[18:19]
	s_cbranch_execnz .LBB513_582
.LBB513_349:
	s_or_b64 exec, exec, s[18:19]
	v_mov_b32_e32 v6, 0
	s_and_saveexec_b64 s[18:19], s[16:17]
.LBB513_350:
	v_lshrrev_b32_e32 v2, 24, v2
	s_movk_i32 s16, 0x80
	v_and_or_b32 v6, v2, s16, v3
.LBB513_351:
	s_or_b64 exec, exec, s[18:19]
.LBB513_352:
	s_or_b64 exec, exec, s[14:15]
	global_store_byte v[4:5], v6, off
.LBB513_353:
	s_mov_b64 s[14:15], -1
.LBB513_354:
	s_mov_b64 s[16:17], 0
.LBB513_355:
	s_and_b64 vcc, exec, s[16:17]
	s_cbranch_vccz .LBB513_396
; %bb.356:
	s_cmp_gt_i32 s21, 22
	s_mov_b64 s[16:17], -1
	s_cbranch_scc0 .LBB513_388
; %bb.357:
	s_cmp_lt_i32 s21, 24
	s_mov_b64 s[14:15], -1
	s_cbranch_scc1 .LBB513_377
; %bb.358:
	s_cmp_gt_i32 s21, 24
	s_cbranch_scc0 .LBB513_366
; %bb.359:
	v_cvt_f32_f64_e32 v2, v[0:1]
	v_and_b32_e32 v3, 0x7fffffff, v2
	s_mov_b32 s14, 0x47800000
	v_cmp_gt_u32_e32 vcc, s14, v3
	v_mov_b32_e32 v6, 0x80
	s_and_saveexec_b64 s[14:15], vcc
	s_cbranch_execz .LBB513_365
; %bb.360:
	s_mov_b32 s16, 0x37ffffff
	v_cmp_lt_u32_e32 vcc, s16, v3
	s_mov_b64 s[16:17], 0
                                        ; implicit-def: $vgpr3
	s_and_saveexec_b64 s[18:19], vcc
	s_xor_b64 s[18:19], exec, s[18:19]
	s_cbranch_execz .LBB513_584
; %bb.361:
	v_bfe_u32 v3, v2, 21, 1
	s_mov_b32 s22, 0x88fffff
	v_add3_u32 v3, v2, v3, s22
	s_mov_b64 s[16:17], exec
	v_lshrrev_b32_e32 v3, 21, v3
	s_andn2_saveexec_b64 s[18:19], s[18:19]
	s_cbranch_execnz .LBB513_585
.LBB513_362:
	s_or_b64 exec, exec, s[18:19]
	v_mov_b32_e32 v6, 0
	s_and_saveexec_b64 s[18:19], s[16:17]
.LBB513_363:
	v_lshrrev_b32_e32 v2, 24, v2
	s_movk_i32 s16, 0x80
	v_and_or_b32 v6, v2, s16, v3
.LBB513_364:
	s_or_b64 exec, exec, s[18:19]
.LBB513_365:
	s_or_b64 exec, exec, s[14:15]
	s_mov_b64 s[14:15], 0
	global_store_byte v[4:5], v6, off
.LBB513_366:
	s_and_b64 vcc, exec, s[14:15]
	s_cbranch_vccz .LBB513_376
; %bb.367:
	v_cvt_f32_f64_e32 v2, v[0:1]
	v_and_b32_e32 v6, 0x7fffffff, v2
	s_mov_b32 s14, 0x43f00000
	v_cmp_gt_u32_e32 vcc, s14, v6
                                        ; implicit-def: $vgpr3
	s_and_saveexec_b64 s[14:15], vcc
	s_xor_b64 s[14:15], exec, s[14:15]
	s_cbranch_execz .LBB513_373
; %bb.368:
	s_mov_b32 s16, 0x3c7fffff
	v_cmp_lt_u32_e32 vcc, s16, v6
                                        ; implicit-def: $vgpr3
	s_and_saveexec_b64 s[16:17], vcc
	s_xor_b64 s[16:17], exec, s[16:17]
; %bb.369:
	v_bfe_u32 v3, v2, 20, 1
	s_mov_b32 s18, 0x407ffff
	v_add3_u32 v3, v2, v3, s18
	v_lshrrev_b32_e32 v6, 20, v3
	v_and_b32_e32 v3, 0xff00000, v3
	s_mov_b32 s18, 0x7f00000
	v_mov_b32_e32 v7, 0x7e
	v_cmp_ne_u32_e32 vcc, s18, v3
	s_nop 1
	v_cndmask_b32_e32 v3, v7, v6, vcc
; %bb.370:
	s_andn2_saveexec_b64 s[16:17], s[16:17]
; %bb.371:
	s_mov_b32 s18, 0x46800000
	v_add_f32_e64 v3, |v2|, s18
; %bb.372:
	s_or_b64 exec, exec, s[16:17]
                                        ; implicit-def: $vgpr6
.LBB513_373:
	s_andn2_saveexec_b64 s[14:15], s[14:15]
; %bb.374:
	s_mov_b32 s16, 0x7f800000
	v_mov_b32_e32 v3, 0x7e
	v_mov_b32_e32 v7, 0x7f
	v_cmp_lt_u32_e32 vcc, s16, v6
	s_nop 1
	v_cndmask_b32_e32 v3, v3, v7, vcc
; %bb.375:
	s_or_b64 exec, exec, s[14:15]
	v_lshrrev_b32_e32 v2, 24, v2
	s_movk_i32 s14, 0x80
	v_and_or_b32 v2, v2, s14, v3
	global_store_byte v[4:5], v2, off
.LBB513_376:
	s_mov_b64 s[14:15], 0
.LBB513_377:
	s_andn2_b64 vcc, exec, s[14:15]
	s_cbranch_vccnz .LBB513_387
; %bb.378:
	v_cvt_f32_f64_e32 v2, v[0:1]
	v_and_b32_e32 v6, 0x7fffffff, v2
	s_mov_b32 s14, 0x47800000
	v_cmp_gt_u32_e32 vcc, s14, v6
                                        ; implicit-def: $vgpr3
	s_and_saveexec_b64 s[14:15], vcc
	s_xor_b64 s[14:15], exec, s[14:15]
	s_cbranch_execz .LBB513_384
; %bb.379:
	s_mov_b32 s16, 0x387fffff
	v_cmp_lt_u32_e32 vcc, s16, v6
                                        ; implicit-def: $vgpr3
	s_and_saveexec_b64 s[16:17], vcc
	s_xor_b64 s[16:17], exec, s[16:17]
; %bb.380:
	v_bfe_u32 v3, v2, 21, 1
	s_mov_b32 s18, 0x80fffff
	v_add3_u32 v3, v2, v3, s18
	v_lshrrev_b32_e32 v3, 21, v3
; %bb.381:
	s_andn2_saveexec_b64 s[16:17], s[16:17]
; %bb.382:
	s_mov_b32 s18, 0x43000000
	v_add_f32_e64 v3, |v2|, s18
; %bb.383:
	s_or_b64 exec, exec, s[16:17]
                                        ; implicit-def: $vgpr6
.LBB513_384:
	s_andn2_saveexec_b64 s[14:15], s[14:15]
; %bb.385:
	s_mov_b32 s16, 0x7f800000
	v_mov_b32_e32 v3, 0x7c
	v_mov_b32_e32 v7, 0x7f
	v_cmp_lt_u32_e32 vcc, s16, v6
	s_nop 1
	v_cndmask_b32_e32 v3, v3, v7, vcc
; %bb.386:
	s_or_b64 exec, exec, s[14:15]
	v_lshrrev_b32_e32 v2, 24, v2
	s_movk_i32 s14, 0x80
	v_and_or_b32 v2, v2, s14, v3
	global_store_byte v[4:5], v2, off
.LBB513_387:
	s_mov_b64 s[16:17], 0
	s_mov_b64 s[14:15], -1
.LBB513_388:
	s_andn2_b64 vcc, exec, s[16:17]
	s_cbranch_vccnz .LBB513_396
; %bb.389:
	s_cmp_gt_i32 s21, 14
	s_mov_b64 s[16:17], -1
	s_cbranch_scc0 .LBB513_393
; %bb.390:
	s_cmp_eq_u32 s21, 15
	s_mov_b64 s[2:3], -1
	s_cbranch_scc0 .LBB513_392
; %bb.391:
	v_cvt_f32_f64_e32 v2, v[0:1]
	v_bfe_u32 v3, v2, 16, 1
	s_movk_i32 s2, 0x7fff
	v_add3_u32 v3, v2, v3, s2
	v_cmp_o_f32_e32 vcc, v2, v2
	v_mov_b32_e32 v2, 0x7fc0
	s_mov_b64 s[14:15], -1
	v_cndmask_b32_sdwa v2, v2, v3, vcc dst_sel:DWORD dst_unused:UNUSED_PAD src0_sel:DWORD src1_sel:WORD_1
	global_store_short v[4:5], v2, off
	s_mov_b64 s[2:3], 0
.LBB513_392:
	s_mov_b64 s[16:17], 0
.LBB513_393:
	s_and_b64 vcc, exec, s[16:17]
	s_cbranch_vccz .LBB513_396
; %bb.394:
	s_cmp_eq_u32 s21, 11
	s_mov_b64 s[2:3], -1
	s_cbranch_scc0 .LBB513_396
; %bb.395:
	v_cmp_neq_f64_e32 vcc, 0, v[0:1]
	s_mov_b64 s[2:3], 0
	s_mov_b64 s[14:15], -1
	v_cndmask_b32_e64 v2, 0, 1, vcc
	global_store_byte v[4:5], v2, off
.LBB513_396:
	s_mov_b64 s[16:17], 0
.LBB513_397:
	s_and_b64 vcc, exec, s[16:17]
	s_cbranch_vccz .LBB513_436
; %bb.398:
	s_and_b32 s16, 0xffff, s20
	s_cmp_lt_i32 s16, 5
	s_mov_b64 s[14:15], -1
	s_cbranch_scc1 .LBB513_419
; %bb.399:
	s_cmp_lt_i32 s16, 8
	s_cbranch_scc1 .LBB513_409
; %bb.400:
	s_cmp_lt_i32 s16, 9
	s_cbranch_scc1 .LBB513_406
; %bb.401:
	s_cmp_gt_i32 s16, 9
	s_cbranch_scc0 .LBB513_403
; %bb.402:
	v_mov_b32_e32 v2, 0
	v_mov_b32_e32 v3, v2
	s_mov_b64 s[14:15], 0
	global_store_dwordx4 v[4:5], v[0:3], off
.LBB513_403:
	s_andn2_b64 vcc, exec, s[14:15]
	s_cbranch_vccnz .LBB513_405
; %bb.404:
	v_cvt_f32_f64_e32 v2, v[0:1]
	v_mov_b32_e32 v3, 0
	global_store_dwordx2 v[4:5], v[2:3], off
.LBB513_405:
	s_mov_b64 s[14:15], 0
.LBB513_406:
	s_andn2_b64 vcc, exec, s[14:15]
	s_cbranch_vccnz .LBB513_408
; %bb.407:
	s_movk_i32 s14, 0x1ff
	v_and_or_b32 v2, v1, s14, v0
	v_cmp_ne_u32_e32 vcc, 0, v2
	v_lshrrev_b32_e32 v3, 8, v1
	s_movk_i32 s14, 0xffe
	v_cndmask_b32_e64 v2, 0, 1, vcc
	v_bfe_u32 v6, v1, 20, 11
	v_and_or_b32 v2, v3, s14, v2
	v_sub_u32_e32 v7, 0x3f1, v6
	v_or_b32_e32 v3, 0x1000, v2
	v_med3_i32 v7, v7, 0, 13
	v_lshrrev_b32_e32 v8, v7, v3
	v_lshlrev_b32_e32 v7, v7, v8
	v_cmp_ne_u32_e32 vcc, v7, v3
	v_add_u32_e32 v6, 0xfffffc10, v6
	v_lshl_or_b32 v7, v6, 12, v2
	v_cndmask_b32_e64 v3, 0, 1, vcc
	v_or_b32_e32 v3, v8, v3
	v_cmp_gt_i32_e32 vcc, 1, v6
	s_movk_i32 s14, 0x40f
	s_nop 0
	v_cndmask_b32_e32 v3, v7, v3, vcc
	v_and_b32_e32 v7, 7, v3
	v_cmp_lt_i32_e32 vcc, 5, v7
	v_lshrrev_b32_e32 v3, 2, v3
	s_nop 0
	v_cndmask_b32_e64 v8, 0, 1, vcc
	v_cmp_eq_u32_e32 vcc, 3, v7
	s_nop 1
	v_cndmask_b32_e64 v7, 0, 1, vcc
	v_or_b32_e32 v7, v7, v8
	v_add_u32_e32 v3, v3, v7
	v_mov_b32_e32 v7, 0x7c00
	v_cmp_gt_i32_e32 vcc, 31, v6
	v_mov_b32_e32 v8, 0x7e00
	s_nop 0
	v_cndmask_b32_e32 v3, v7, v3, vcc
	v_cmp_ne_u32_e32 vcc, 0, v2
	s_nop 1
	v_cndmask_b32_e32 v2, v7, v8, vcc
	v_cmp_eq_u32_e32 vcc, s14, v6
	s_mov_b32 s14, 0x8000
	s_nop 0
	v_cndmask_b32_e32 v2, v3, v2, vcc
	v_and_b32_sdwa v3, v1, s14 dst_sel:DWORD dst_unused:UNUSED_PAD src0_sel:WORD_1 src1_sel:DWORD
	s_mov_b32 s14, 0xffff
	v_bitop3_b32 v2, v3, s14, v2 bitop3:0xc8
	global_store_dword v[4:5], v2, off
.LBB513_408:
	s_mov_b64 s[14:15], 0
.LBB513_409:
	s_andn2_b64 vcc, exec, s[14:15]
	s_cbranch_vccnz .LBB513_418
; %bb.410:
	s_cmp_lt_i32 s16, 6
	s_mov_b64 s[14:15], -1
	s_cbranch_scc1 .LBB513_416
; %bb.411:
	s_cmp_gt_i32 s16, 6
	s_cbranch_scc0 .LBB513_413
; %bb.412:
	s_mov_b64 s[14:15], 0
	global_store_dwordx2 v[4:5], v[0:1], off
.LBB513_413:
	s_andn2_b64 vcc, exec, s[14:15]
	s_cbranch_vccnz .LBB513_415
; %bb.414:
	v_cvt_f32_f64_e32 v2, v[0:1]
	global_store_dword v[4:5], v2, off
.LBB513_415:
	s_mov_b64 s[14:15], 0
.LBB513_416:
	s_andn2_b64 vcc, exec, s[14:15]
	s_cbranch_vccnz .LBB513_418
; %bb.417:
	s_movk_i32 s14, 0x1ff
	v_and_or_b32 v2, v1, s14, v0
	v_cmp_ne_u32_e32 vcc, 0, v2
	v_lshrrev_b32_e32 v3, 8, v1
	s_movk_i32 s14, 0xffe
	v_cndmask_b32_e64 v2, 0, 1, vcc
	v_bfe_u32 v6, v1, 20, 11
	v_and_or_b32 v2, v3, s14, v2
	v_sub_u32_e32 v7, 0x3f1, v6
	v_or_b32_e32 v3, 0x1000, v2
	v_med3_i32 v7, v7, 0, 13
	v_lshrrev_b32_e32 v8, v7, v3
	v_lshlrev_b32_e32 v7, v7, v8
	v_cmp_ne_u32_e32 vcc, v7, v3
	v_add_u32_e32 v6, 0xfffffc10, v6
	v_lshl_or_b32 v7, v6, 12, v2
	v_cndmask_b32_e64 v3, 0, 1, vcc
	v_or_b32_e32 v3, v8, v3
	v_cmp_gt_i32_e32 vcc, 1, v6
	s_movk_i32 s14, 0x40f
	s_nop 0
	v_cndmask_b32_e32 v3, v7, v3, vcc
	v_and_b32_e32 v7, 7, v3
	v_cmp_lt_i32_e32 vcc, 5, v7
	v_lshrrev_b32_e32 v3, 2, v3
	s_nop 0
	v_cndmask_b32_e64 v8, 0, 1, vcc
	v_cmp_eq_u32_e32 vcc, 3, v7
	s_nop 1
	v_cndmask_b32_e64 v7, 0, 1, vcc
	v_or_b32_e32 v7, v7, v8
	v_add_u32_e32 v3, v3, v7
	v_mov_b32_e32 v7, 0x7c00
	v_cmp_gt_i32_e32 vcc, 31, v6
	v_mov_b32_e32 v8, 0x7e00
	s_nop 0
	v_cndmask_b32_e32 v3, v7, v3, vcc
	v_cmp_ne_u32_e32 vcc, 0, v2
	s_nop 1
	v_cndmask_b32_e32 v2, v7, v8, vcc
	v_cmp_eq_u32_e32 vcc, s14, v6
	s_mov_b32 s14, 0x8000
	s_nop 0
	v_cndmask_b32_e32 v2, v3, v2, vcc
	v_lshrrev_b32_e32 v3, 16, v1
	v_and_or_b32 v2, v3, s14, v2
	global_store_short v[4:5], v2, off
.LBB513_418:
	s_mov_b64 s[14:15], 0
.LBB513_419:
	s_andn2_b64 vcc, exec, s[14:15]
	s_cbranch_vccnz .LBB513_435
; %bb.420:
	s_cmp_lt_i32 s16, 2
	s_mov_b64 s[14:15], -1
	s_cbranch_scc1 .LBB513_430
; %bb.421:
	s_cmp_lt_i32 s16, 3
	s_cbranch_scc1 .LBB513_427
; %bb.422:
	s_cmp_gt_i32 s16, 3
	s_cbranch_scc0 .LBB513_424
; %bb.423:
	v_trunc_f64_e32 v[2:3], v[0:1]
	s_movk_i32 s14, 0xffe0
	v_ldexp_f64 v[6:7], v[2:3], s14
	v_floor_f64_e32 v[6:7], v[6:7]
	v_fmac_f64_e32 v[2:3], 0xc1f00000, v[6:7]
	v_cvt_i32_f64_e32 v9, v[6:7]
	v_cvt_u32_f64_e32 v8, v[2:3]
	s_mov_b64 s[14:15], 0
	global_store_dwordx2 v[4:5], v[8:9], off
.LBB513_424:
	s_andn2_b64 vcc, exec, s[14:15]
	s_cbranch_vccnz .LBB513_426
; %bb.425:
	v_cvt_i32_f64_e32 v2, v[0:1]
	global_store_dword v[4:5], v2, off
.LBB513_426:
	s_mov_b64 s[14:15], 0
.LBB513_427:
	s_andn2_b64 vcc, exec, s[14:15]
	s_cbranch_vccnz .LBB513_429
; %bb.428:
	v_cvt_i32_f64_e32 v2, v[0:1]
	global_store_short v[4:5], v2, off
.LBB513_429:
	s_mov_b64 s[14:15], 0
.LBB513_430:
	s_andn2_b64 vcc, exec, s[14:15]
	s_cbranch_vccnz .LBB513_435
; %bb.431:
	s_cmp_gt_i32 s16, 0
	s_mov_b64 s[14:15], -1
	s_cbranch_scc0 .LBB513_433
; %bb.432:
	v_cvt_i32_f64_e32 v2, v[0:1]
	s_mov_b64 s[14:15], 0
	global_store_byte v[4:5], v2, off
.LBB513_433:
	s_andn2_b64 vcc, exec, s[14:15]
	s_cbranch_vccnz .LBB513_435
; %bb.434:
	v_trunc_f64_e32 v[0:1], v[0:1]
	s_movk_i32 s14, 0xffe0
	v_ldexp_f64 v[2:3], v[0:1], s14
	v_floor_f64_e32 v[2:3], v[2:3]
	v_fmac_f64_e32 v[0:1], 0xc1f00000, v[2:3]
	v_cvt_u32_f64_e32 v0, v[0:1]
	global_store_byte v[4:5], v0, off
.LBB513_435:
	s_mov_b64 s[14:15], -1
.LBB513_436:
	s_andn2_b64 vcc, exec, s[14:15]
	s_cbranch_vccnz .LBB513_438
; %bb.437:
	v_add_u32_e32 v10, 0x80, v10
	s_mov_b64 s[14:15], -1
	s_branch .LBB513_551
.LBB513_438:
	s_mov_b64 s[14:15], 0
	s_branch .LBB513_550
.LBB513_439:
	s_mov_b64 s[12:13], -1
                                        ; implicit-def: $vgpr4_vgpr5
.LBB513_440:
	s_mov_b64 s[14:15], 0
.LBB513_441:
	s_and_b64 vcc, exec, s[14:15]
	s_cbranch_vccz .LBB513_445
; %bb.442:
	s_cmp_eq_u32 s18, 29
	s_cbranch_scc0 .LBB513_444
; %bb.443:
	global_load_dwordx2 v[4:5], v[0:1], off
	s_mov_b64 s[2:3], -1
	s_mov_b64 s[12:13], 0
	s_mov_b64 s[14:15], 0
	s_waitcnt vmcnt(0)
	v_cvt_f64_u32_e32 v[6:7], v5
	v_cvt_f64_u32_e32 v[4:5], v4
	v_ldexp_f64 v[6:7], v[6:7], 32
	v_add_f64 v[4:5], v[6:7], v[4:5]
	s_branch .LBB513_446
.LBB513_444:
	s_mov_b64 s[12:13], -1
                                        ; implicit-def: $vgpr4_vgpr5
.LBB513_445:
	s_mov_b64 s[14:15], 0
.LBB513_446:
	s_and_b64 vcc, exec, s[14:15]
	s_cbranch_vccz .LBB513_466
; %bb.447:
	s_cmp_lt_i32 s18, 27
	s_cbranch_scc1 .LBB513_450
; %bb.448:
	s_cmp_gt_i32 s18, 27
	s_cbranch_scc0 .LBB513_451
; %bb.449:
	global_load_dword v3, v[0:1], off
	s_mov_b64 s[2:3], 0
	s_waitcnt vmcnt(0)
	v_cvt_f64_u32_e32 v[4:5], v3
	s_branch .LBB513_452
.LBB513_450:
	s_mov_b64 s[2:3], -1
                                        ; implicit-def: $vgpr4_vgpr5
	s_branch .LBB513_455
.LBB513_451:
	s_mov_b64 s[2:3], -1
                                        ; implicit-def: $vgpr4_vgpr5
.LBB513_452:
	s_andn2_b64 vcc, exec, s[2:3]
	s_cbranch_vccnz .LBB513_454
; %bb.453:
	global_load_ushort v3, v[0:1], off
	s_waitcnt vmcnt(0)
	v_cvt_f64_u32_e32 v[4:5], v3
.LBB513_454:
	s_mov_b64 s[2:3], 0
.LBB513_455:
	s_andn2_b64 vcc, exec, s[2:3]
	s_cbranch_vccnz .LBB513_465
; %bb.456:
	global_load_ubyte v3, v[0:1], off
	s_movk_i32 s2, 0x7f
	s_waitcnt vmcnt(0)
	v_cmp_lt_i16_e32 vcc, s2, v3
	s_mov_b64 s[2:3], 0
	s_and_saveexec_b64 s[14:15], vcc
	s_xor_b64 s[14:15], exec, s[14:15]
	s_cbranch_execz .LBB513_460
; %bb.457:
	s_movk_i32 s2, 0x80
	v_cmp_eq_u16_e32 vcc, s2, v3
	s_mov_b64 s[2:3], -1
	s_and_saveexec_b64 s[16:17], vcc
; %bb.458:
	s_xor_b64 s[2:3], exec, -1
; %bb.459:
	s_or_b64 exec, exec, s[16:17]
	s_and_b64 s[2:3], s[2:3], exec
.LBB513_460:
	s_or_saveexec_b64 s[14:15], s[14:15]
	v_bfrev_b32_e32 v4, 4
	v_mov_b32_e32 v5, 0x7ff80000
	s_xor_b64 exec, exec, s[14:15]
; %bb.461:
	v_cmp_ne_u16_e32 vcc, 0, v3
	s_andn2_b64 s[2:3], s[2:3], exec
	s_and_b64 s[16:17], vcc, exec
	v_mov_b64_e32 v[4:5], 0
	s_or_b64 s[2:3], s[2:3], s[16:17]
; %bb.462:
	s_or_b64 exec, exec, s[14:15]
	s_and_saveexec_b64 s[14:15], s[2:3]
	s_cbranch_execz .LBB513_464
; %bb.463:
	v_lshlrev_b32_e32 v4, 24, v3
	v_and_b32_e32 v3, 0xffff, v3
	v_and_b32_e32 v5, 7, v3
	v_ffbh_u32_e32 v7, v5
	v_min_u32_e32 v7, 32, v7
	v_subrev_u32_e32 v8, 28, v7
	v_bfe_u32 v6, v3, 3, 4
	v_lshlrev_b32_e32 v3, v8, v3
	v_sub_u32_e32 v7, 29, v7
	v_and_b32_e32 v3, 7, v3
	v_cmp_eq_u32_e32 vcc, 0, v6
	v_and_b32_e32 v4, 0x80000000, v4
	s_nop 0
	v_cndmask_b32_e32 v6, v6, v7, vcc
	v_cndmask_b32_e32 v3, v5, v3, vcc
	v_mov_b32_e32 v5, 0x3b800000
	v_lshlrev_b32_e32 v3, 20, v3
	v_lshl_add_u32 v5, v6, 23, v5
	v_or3_b32 v3, v4, v5, v3
	v_cvt_f64_f32_e32 v[4:5], v3
.LBB513_464:
	s_or_b64 exec, exec, s[14:15]
.LBB513_465:
	s_mov_b64 s[2:3], -1
.LBB513_466:
	s_mov_b64 s[14:15], 0
.LBB513_467:
	s_and_b64 vcc, exec, s[14:15]
	s_cbranch_vccz .LBB513_500
; %bb.468:
	s_cmp_gt_i32 s18, 22
	s_cbranch_scc0 .LBB513_480
; %bb.469:
	s_cmp_lt_i32 s18, 24
	s_cbranch_scc1 .LBB513_481
; %bb.470:
	s_cmp_gt_i32 s18, 24
	s_cbranch_scc0 .LBB513_482
; %bb.471:
	global_load_ubyte v3, v[0:1], off
	s_movk_i32 s2, 0x7f
	s_waitcnt vmcnt(0)
	v_cmp_lt_i16_e32 vcc, s2, v3
	s_mov_b64 s[2:3], 0
	s_and_saveexec_b64 s[14:15], vcc
	s_xor_b64 s[14:15], exec, s[14:15]
	s_cbranch_execz .LBB513_475
; %bb.472:
	s_movk_i32 s2, 0x80
	v_cmp_eq_u16_e32 vcc, s2, v3
	s_mov_b64 s[2:3], -1
	s_and_saveexec_b64 s[16:17], vcc
; %bb.473:
	s_xor_b64 s[2:3], exec, -1
; %bb.474:
	s_or_b64 exec, exec, s[16:17]
	s_and_b64 s[2:3], s[2:3], exec
.LBB513_475:
	s_or_saveexec_b64 s[14:15], s[14:15]
	v_bfrev_b32_e32 v4, 4
	v_mov_b32_e32 v5, 0x7ff80000
	s_xor_b64 exec, exec, s[14:15]
; %bb.476:
	v_cmp_ne_u16_e32 vcc, 0, v3
	s_andn2_b64 s[2:3], s[2:3], exec
	s_and_b64 s[16:17], vcc, exec
	v_mov_b64_e32 v[4:5], 0
	s_or_b64 s[2:3], s[2:3], s[16:17]
; %bb.477:
	s_or_b64 exec, exec, s[14:15]
	s_and_saveexec_b64 s[14:15], s[2:3]
	s_cbranch_execz .LBB513_479
; %bb.478:
	v_lshlrev_b32_e32 v4, 24, v3
	v_and_b32_e32 v3, 0xffff, v3
	v_and_b32_e32 v5, 3, v3
	v_ffbh_u32_e32 v7, v5
	v_min_u32_e32 v7, 32, v7
	v_subrev_u32_e32 v8, 29, v7
	v_bfe_u32 v6, v3, 2, 5
	v_lshlrev_b32_e32 v3, v8, v3
	v_sub_u32_e32 v7, 30, v7
	v_and_b32_e32 v3, 3, v3
	v_cmp_eq_u32_e32 vcc, 0, v6
	v_and_b32_e32 v4, 0x80000000, v4
	s_nop 0
	v_cndmask_b32_e32 v6, v6, v7, vcc
	v_cndmask_b32_e32 v3, v5, v3, vcc
	v_mov_b32_e32 v5, 0x37800000
	v_lshlrev_b32_e32 v3, 21, v3
	v_lshl_add_u32 v5, v6, 23, v5
	v_or3_b32 v3, v4, v5, v3
	v_cvt_f64_f32_e32 v[4:5], v3
.LBB513_479:
	s_or_b64 exec, exec, s[14:15]
	s_mov_b64 s[2:3], 0
	s_branch .LBB513_483
.LBB513_480:
	s_mov_b64 s[14:15], -1
                                        ; implicit-def: $vgpr4_vgpr5
	s_branch .LBB513_489
.LBB513_481:
	s_mov_b64 s[2:3], -1
                                        ; implicit-def: $vgpr4_vgpr5
	s_branch .LBB513_486
.LBB513_482:
	s_mov_b64 s[2:3], -1
                                        ; implicit-def: $vgpr4_vgpr5
.LBB513_483:
	s_and_b64 vcc, exec, s[2:3]
	s_cbranch_vccz .LBB513_485
; %bb.484:
	global_load_ubyte v3, v[0:1], off
	s_mov_b32 s2, 0x7f800000
	s_waitcnt vmcnt(0)
	v_lshlrev_b32_e32 v3, 24, v3
	v_and_b32_e32 v4, 0x7f000000, v3
	v_ffbh_u32_e32 v5, v4
	v_min_u32_e32 v5, 32, v5
	v_sub_u32_e64 v5, v5, 4 clamp
	v_lshlrev_b32_e32 v7, v5, v4
	v_lshlrev_b32_e32 v5, 23, v5
	v_lshrrev_b32_e32 v7, 4, v7
	v_add_u32_e32 v6, 0x1000000, v4
	v_sub_u32_e32 v5, v7, v5
	v_ashrrev_i32_e32 v6, 8, v6
	v_add_u32_e32 v5, 0x3c000000, v5
	v_and_or_b32 v5, v6, s2, v5
	v_cmp_ne_u32_e32 vcc, 0, v4
	s_brev_b32 s2, 1
	s_nop 0
	v_cndmask_b32_e32 v4, 0, v5, vcc
	v_and_or_b32 v3, v3, s2, v4
	v_cvt_f64_f32_e32 v[4:5], v3
.LBB513_485:
	s_mov_b64 s[2:3], 0
.LBB513_486:
	s_andn2_b64 vcc, exec, s[2:3]
	s_cbranch_vccnz .LBB513_488
; %bb.487:
	global_load_ubyte v3, v[0:1], off
	s_movk_i32 s2, 0x7f00
	s_brev_b32 s3, 16
	s_waitcnt vmcnt(0)
	v_lshlrev_b16_e32 v4, 8, v3
	v_lshlrev_b32_e32 v3, 25, v3
	v_lshrrev_b32_e32 v5, 4, v3
	v_and_or_b32 v6, v4, s2, 0.5
	v_or_b32_e32 v5, 0x70000000, v5
	v_add_f32_e32 v6, -0.5, v6
	v_mul_f32_e32 v5, 0x7800000, v5
	v_cmp_gt_u32_e32 vcc, s3, v3
	v_bfe_i32 v4, v4, 0, 16
	s_brev_b32 s2, 1
	v_cndmask_b32_e32 v3, v5, v6, vcc
	v_and_or_b32 v3, v4, s2, v3
	v_cvt_f64_f32_e32 v[4:5], v3
.LBB513_488:
	s_mov_b64 s[14:15], 0
	s_mov_b64 s[2:3], -1
.LBB513_489:
	s_andn2_b64 vcc, exec, s[14:15]
	s_cbranch_vccnz .LBB513_500
; %bb.490:
	s_cmp_gt_i32 s18, 14
	s_cbranch_scc0 .LBB513_493
; %bb.491:
	s_cmp_eq_u32 s18, 15
	s_cbranch_scc0 .LBB513_494
; %bb.492:
	global_load_ushort v3, v[0:1], off
	s_mov_b64 s[2:3], -1
	s_mov_b64 s[12:13], 0
	s_waitcnt vmcnt(0)
	v_lshlrev_b32_e32 v3, 16, v3
	v_cvt_f64_f32_e32 v[4:5], v3
	s_branch .LBB513_495
.LBB513_493:
	s_mov_b64 s[14:15], -1
                                        ; implicit-def: $vgpr4_vgpr5
	s_branch .LBB513_496
.LBB513_494:
	s_mov_b64 s[12:13], -1
                                        ; implicit-def: $vgpr4_vgpr5
.LBB513_495:
	s_mov_b64 s[14:15], 0
.LBB513_496:
	s_and_b64 vcc, exec, s[14:15]
	s_cbranch_vccz .LBB513_500
; %bb.497:
	s_cmp_eq_u32 s18, 11
	s_cbranch_scc0 .LBB513_499
; %bb.498:
	global_load_ubyte v3, v[0:1], off
	s_waitcnt vmcnt(1)
	v_mov_b32_e32 v5, 0x3ff00000
	v_mov_b32_e32 v4, 0
	s_mov_b64 s[2:3], -1
	s_mov_b64 s[12:13], 0
	s_waitcnt vmcnt(0)
	v_cmp_ne_u16_e32 vcc, 0, v3
	s_nop 1
	v_cndmask_b32_e32 v5, 0, v5, vcc
	s_branch .LBB513_500
.LBB513_499:
	s_mov_b64 s[12:13], -1
                                        ; implicit-def: $vgpr4_vgpr5
.LBB513_500:
	s_branch .LBB513_299
.LBB513_501:
	s_cmp_lt_i32 s18, 5
	s_cbranch_scc1 .LBB513_506
; %bb.502:
	s_cmp_lt_i32 s18, 8
	s_cbranch_scc1 .LBB513_507
; %bb.503:
	;; [unrolled: 3-line block ×3, first 2 shown]
	s_cmp_gt_i32 s18, 9
	s_cbranch_scc0 .LBB513_509
; %bb.505:
	global_load_dwordx2 v[4:5], v[0:1], off
	s_mov_b64 s[2:3], 0
	s_branch .LBB513_510
.LBB513_506:
	s_mov_b64 s[2:3], -1
                                        ; implicit-def: $vgpr4_vgpr5
	s_branch .LBB513_528
.LBB513_507:
	s_mov_b64 s[2:3], -1
                                        ; implicit-def: $vgpr4_vgpr5
	s_branch .LBB513_516
.LBB513_508:
	s_mov_b64 s[2:3], -1
                                        ; implicit-def: $vgpr4_vgpr5
	s_branch .LBB513_513
.LBB513_509:
	s_mov_b64 s[2:3], -1
                                        ; implicit-def: $vgpr4_vgpr5
.LBB513_510:
	s_andn2_b64 vcc, exec, s[2:3]
	s_cbranch_vccnz .LBB513_512
; %bb.511:
	global_load_dword v3, v[0:1], off
	s_waitcnt vmcnt(0)
	v_cvt_f64_f32_e32 v[4:5], v3
.LBB513_512:
	s_mov_b64 s[2:3], 0
.LBB513_513:
	s_andn2_b64 vcc, exec, s[2:3]
	s_cbranch_vccnz .LBB513_515
; %bb.514:
	global_load_dword v3, v[0:1], off
	s_waitcnt vmcnt(0)
	v_cvt_f32_f16_e32 v3, v3
	v_cvt_f64_f32_e32 v[4:5], v3
.LBB513_515:
	s_mov_b64 s[2:3], 0
.LBB513_516:
	s_andn2_b64 vcc, exec, s[2:3]
	s_cbranch_vccnz .LBB513_527
; %bb.517:
	s_cmp_lt_i32 s18, 6
	s_cbranch_scc1 .LBB513_520
; %bb.518:
	s_cmp_gt_i32 s18, 6
	s_cbranch_scc0 .LBB513_521
; %bb.519:
	global_load_dwordx2 v[4:5], v[0:1], off
	s_mov_b64 s[2:3], 0
	s_branch .LBB513_522
.LBB513_520:
	s_mov_b64 s[2:3], -1
                                        ; implicit-def: $vgpr4_vgpr5
	s_branch .LBB513_525
.LBB513_521:
	s_mov_b64 s[2:3], -1
                                        ; implicit-def: $vgpr4_vgpr5
.LBB513_522:
	s_andn2_b64 vcc, exec, s[2:3]
	s_cbranch_vccnz .LBB513_524
; %bb.523:
	global_load_dword v3, v[0:1], off
	s_waitcnt vmcnt(0)
	v_cvt_f64_f32_e32 v[4:5], v3
.LBB513_524:
	s_mov_b64 s[2:3], 0
.LBB513_525:
	s_andn2_b64 vcc, exec, s[2:3]
	s_cbranch_vccnz .LBB513_527
; %bb.526:
	global_load_ushort v3, v[0:1], off
	s_waitcnt vmcnt(0)
	v_cvt_f32_f16_e32 v3, v3
	v_cvt_f64_f32_e32 v[4:5], v3
.LBB513_527:
	s_mov_b64 s[2:3], 0
.LBB513_528:
	s_andn2_b64 vcc, exec, s[2:3]
	s_cbranch_vccnz .LBB513_548
; %bb.529:
	s_cmp_lt_i32 s18, 2
	s_cbranch_scc1 .LBB513_533
; %bb.530:
	s_cmp_lt_i32 s18, 3
	s_cbranch_scc1 .LBB513_534
; %bb.531:
	s_cmp_gt_i32 s18, 3
	s_cbranch_scc0 .LBB513_535
; %bb.532:
	global_load_dwordx2 v[4:5], v[0:1], off
	s_mov_b64 s[2:3], 0
	s_waitcnt vmcnt(0)
	v_cvt_f64_i32_e32 v[6:7], v5
	v_cvt_f64_u32_e32 v[4:5], v4
	v_ldexp_f64 v[6:7], v[6:7], 32
	v_add_f64 v[4:5], v[6:7], v[4:5]
	s_branch .LBB513_536
.LBB513_533:
	s_mov_b64 s[2:3], -1
                                        ; implicit-def: $vgpr4_vgpr5
	s_branch .LBB513_542
.LBB513_534:
	s_mov_b64 s[2:3], -1
                                        ; implicit-def: $vgpr4_vgpr5
	s_branch .LBB513_539
.LBB513_535:
	s_mov_b64 s[2:3], -1
                                        ; implicit-def: $vgpr4_vgpr5
.LBB513_536:
	s_andn2_b64 vcc, exec, s[2:3]
	s_cbranch_vccnz .LBB513_538
; %bb.537:
	global_load_dword v3, v[0:1], off
	s_waitcnt vmcnt(0)
	v_cvt_f64_i32_e32 v[4:5], v3
.LBB513_538:
	s_mov_b64 s[2:3], 0
.LBB513_539:
	s_andn2_b64 vcc, exec, s[2:3]
	s_cbranch_vccnz .LBB513_541
; %bb.540:
	global_load_sshort v3, v[0:1], off
	s_waitcnt vmcnt(0)
	v_cvt_f64_i32_e32 v[4:5], v3
.LBB513_541:
	s_mov_b64 s[2:3], 0
.LBB513_542:
	s_andn2_b64 vcc, exec, s[2:3]
	s_cbranch_vccnz .LBB513_548
; %bb.543:
	s_cmp_gt_i32 s18, 0
	s_cbranch_scc0 .LBB513_545
; %bb.544:
	global_load_sbyte v3, v[0:1], off
	s_mov_b64 s[2:3], 0
	s_waitcnt vmcnt(0)
	v_cvt_f64_i32_e32 v[4:5], v3
	s_branch .LBB513_546
.LBB513_545:
	s_mov_b64 s[2:3], -1
                                        ; implicit-def: $vgpr4_vgpr5
.LBB513_546:
	s_andn2_b64 vcc, exec, s[2:3]
	s_cbranch_vccnz .LBB513_548
; %bb.547:
	global_load_ubyte v0, v[0:1], off
	s_waitcnt vmcnt(0)
	v_cvt_f64_u32_e32 v[4:5], v0
.LBB513_548:
	s_branch .LBB513_300
.LBB513_549:
	s_mov_b64 s[14:15], 0
	s_mov_b64 s[2:3], s[60:61]
.LBB513_550:
                                        ; implicit-def: $vgpr10
.LBB513_551:
	s_andn2_b64 s[16:17], s[60:61], exec
	s_and_b64 s[2:3], s[2:3], exec
	s_or_b64 s[68:69], s[16:17], s[2:3]
	s_andn2_b64 s[2:3], s[62:63], exec
	s_and_b64 s[12:13], s[12:13], exec
	s_or_b64 s[66:67], s[2:3], s[12:13]
	s_orn2_b64 s[2:3], s[14:15], exec
.LBB513_552:
	s_or_b64 exec, exec, s[70:71]
	s_mov_b64 s[12:13], 0
	s_mov_b64 s[14:15], 0
	;; [unrolled: 1-line block ×3, first 2 shown]
                                        ; implicit-def: $vgpr0_vgpr1
                                        ; implicit-def: $vgpr2
                                        ; implicit-def: $vgpr6_vgpr7
	s_and_saveexec_b64 s[70:71], s[2:3]
	s_cbranch_execz .LBB513_933
; %bb.553:
	v_cmp_gt_i32_e32 vcc, s76, v10
	s_mov_b64 s[18:19], -1
	s_mov_b64 s[2:3], s[66:67]
	s_mov_b64 s[74:75], s[68:69]
	s_and_saveexec_b64 s[72:73], vcc
	s_cbranch_execz .LBB513_832
; %bb.554:
	s_andn2_b64 vcc, exec, s[46:47]
	s_cbranch_vccnz .LBB513_560
; %bb.555:
	s_andn2_b64 vcc, exec, s[58:59]
	s_cbranch_vccnz .LBB513_561
; %bb.556:
	s_add_i32 s82, s81, 1
	s_cmp_eq_u32 s78, 2
	s_cbranch_scc1 .LBB513_562
; %bb.557:
	s_and_b32 s77, s82, 28
	s_mov_b32 s83, 0
	v_mov_b32_e32 v2, 0
	v_mov_b32_e32 v0, 0
	s_mov_b64 s[2:3], s[34:35]
	s_mov_b64 s[74:75], s[56:57]
	s_waitcnt vmcnt(0)
	v_mov_b32_e32 v4, v10
.LBB513_558:                            ; =>This Inner Loop Header: Depth=1
	s_load_dwordx8 s[20:27], s[2:3], 0x4
	s_load_dwordx4 s[40:43], s[2:3], 0x24
	s_load_dwordx8 s[12:19], s[74:75], 0x0
	s_add_u32 s2, s2, 48
	s_addc_u32 s3, s3, 0
	s_waitcnt lgkmcnt(0)
	v_mul_hi_u32 v1, s21, v4
	v_add_u32_e32 v1, v4, v1
	v_lshrrev_b32_e32 v1, s22, v1
	v_mul_lo_u32 v3, v1, s20
	v_mul_hi_u32 v5, s24, v1
	v_sub_u32_e32 v3, v4, v3
	v_add_u32_e32 v4, v1, v5
	v_lshrrev_b32_e32 v4, s25, v4
	v_mul_lo_u32 v6, v4, s23
	v_mul_hi_u32 v7, s27, v4
	v_sub_u32_e32 v1, v1, v6
	v_add_u32_e32 v6, v4, v7
	v_mul_lo_u32 v5, v3, s13
	v_mul_lo_u32 v3, v3, s12
	;; [unrolled: 1-line block ×4, first 2 shown]
	v_lshrrev_b32_e32 v6, s40, v6
	v_add3_u32 v1, v3, v2, v1
	v_mul_hi_u32 v3, s42, v6
	v_mul_lo_u32 v2, v6, s26
	v_add_u32_e32 v3, v6, v3
	v_sub_u32_e32 v2, v4, v2
	v_lshrrev_b32_e32 v4, s43, v3
	s_add_i32 s83, s83, 4
	v_mul_lo_u32 v3, v4, s41
	s_add_u32 s74, s74, 32
	v_sub_u32_e32 v3, v6, v3
	s_addc_u32 s75, s75, 0
	v_add3_u32 v0, v5, v0, v7
	v_mul_lo_u32 v5, v2, s16
	v_mul_lo_u32 v2, v2, s17
	;; [unrolled: 1-line block ×4, first 2 shown]
	s_cmp_eq_u32 s77, s83
	v_add3_u32 v0, v2, v0, v3
	v_add3_u32 v2, v5, v1, v6
	s_cbranch_scc0 .LBB513_558
; %bb.559:
	v_mov_b32_e32 v1, v0
	s_branch .LBB513_563
.LBB513_560:
	s_mov_b64 s[2:3], -1
                                        ; implicit-def: $vgpr0
                                        ; implicit-def: $vgpr2
	s_branch .LBB513_567
.LBB513_561:
	v_mov_b32_e32 v0, 0
	v_mov_b32_e32 v2, 0
	s_branch .LBB513_566
.LBB513_562:
	v_mov_b32_e32 v2, 0
	s_mov_b32 s77, 0
	v_mov_b32_e32 v1, v2
                                        ; implicit-def: $vgpr0
	s_waitcnt vmcnt(0)
	v_mov_b32_e32 v4, v10
.LBB513_563:
	s_and_b32 s14, s82, 3
	s_cmp_eq_u32 s14, 0
	s_cbranch_scc1 .LBB513_566
; %bb.564:
	s_lshl_b32 s2, s77, 3
	s_add_u32 s2, s34, s2
	s_addc_u32 s3, s35, 0
	s_add_u32 s2, s2, 0xc4
	s_addc_u32 s3, s3, 0
	s_mul_i32 s12, s77, 12
	s_add_u32 s12, s34, s12
	s_addc_u32 s13, s35, 0
.LBB513_565:                            ; =>This Inner Loop Header: Depth=1
	s_load_dwordx2 s[16:17], s[12:13], 0x4
	s_load_dword s15, s[12:13], 0xc
	s_load_dwordx2 s[18:19], s[2:3], 0x0
	v_mov_b32_e32 v0, v1
	s_add_u32 s12, s12, 12
	s_waitcnt lgkmcnt(0)
	v_mul_hi_u32 v1, s17, v4
	v_add_u32_e32 v1, v4, v1
	v_lshrrev_b32_e32 v1, s15, v1
	s_addc_u32 s13, s13, 0
	v_mul_lo_u32 v3, v1, s16
	s_add_u32 s2, s2, 8
	v_sub_u32_e32 v3, v4, v3
	s_addc_u32 s3, s3, 0
	s_add_i32 s14, s14, -1
	v_mov_b32_e32 v4, v1
	v_mad_u64_u32 v[0:1], s[16:17], v3, s19, v[0:1]
	s_cmp_lg_u32 s14, 0
	v_mad_u64_u32 v[2:3], s[16:17], v3, s18, v[2:3]
	v_mov_b32_e32 v1, v0
	s_cbranch_scc1 .LBB513_565
.LBB513_566:
	s_mov_b64 s[2:3], 0
.LBB513_567:
	s_andn2_b64 vcc, exec, s[2:3]
	s_cbranch_vccnz .LBB513_570
; %bb.568:
	v_mul_hi_u32 v0, s29, v10
	v_add_u32_e32 v0, v10, v0
	v_lshrrev_b32_e32 v1, s30, v0
	v_mul_lo_u32 v0, v1, s28
	v_sub_u32_e32 v2, v10, v0
	v_mul_lo_u32 v0, v2, s37
	s_andn2_b64 vcc, exec, s[54:55]
	v_mul_lo_u32 v2, v2, s36
	s_cbranch_vccnz .LBB513_570
; %bb.569:
	v_mul_hi_u32 v3, s52, v1
	v_add_u32_e32 v3, v1, v3
	v_lshrrev_b32_e32 v3, s53, v3
	v_mul_lo_u32 v3, v3, s31
	v_sub_u32_e32 v1, v1, v3
	v_mad_u64_u32 v[2:3], s[2:3], v1, s38, v[2:3]
	v_mad_u64_u32 v[0:1], s[2:3], v1, s39, v[0:1]
.LBB513_570:
	v_mov_b32_e32 v1, 0
	s_and_b32 s18, 0xffff, s80
	s_cmp_lt_i32 s18, 11
	v_lshl_add_u64 v[0:1], s[6:7], 0, v[0:1]
	s_cbranch_scc1 .LBB513_577
; %bb.571:
	s_cmp_gt_i32 s18, 25
	s_cbranch_scc0 .LBB513_578
; %bb.572:
	s_cmp_gt_i32 s18, 28
	s_cbranch_scc0 .LBB513_579
	;; [unrolled: 3-line block ×4, first 2 shown]
; %bb.575:
	s_cmp_eq_u32 s18, 46
	s_mov_b64 s[14:15], 0
	s_cbranch_scc0 .LBB513_586
; %bb.576:
	global_load_dword v3, v[0:1], off
	s_mov_b64 s[2:3], -1
	s_mov_b64 s[12:13], 0
	s_waitcnt vmcnt(0)
	v_lshlrev_b32_e32 v3, 16, v3
	v_cvt_f64_f32_e32 v[4:5], v3
	s_branch .LBB513_587
.LBB513_577:
	s_mov_b64 s[14:15], -1
	s_mov_b64 s[2:3], 0
                                        ; implicit-def: $vgpr4_vgpr5
	s_mov_b64 s[12:13], s[66:67]
	s_branch .LBB513_652
.LBB513_578:
	s_mov_b64 s[14:15], -1
	s_mov_b64 s[2:3], 0
	s_mov_b64 s[12:13], s[66:67]
                                        ; implicit-def: $vgpr4_vgpr5
	s_branch .LBB513_618
.LBB513_579:
	s_mov_b64 s[14:15], -1
	s_mov_b64 s[2:3], 0
	s_mov_b64 s[12:13], s[66:67]
                                        ; implicit-def: $vgpr4_vgpr5
	s_branch .LBB513_597
.LBB513_580:
	s_mov_b64 s[14:15], -1
	s_mov_b64 s[2:3], 0
	s_mov_b64 s[12:13], s[66:67]
                                        ; implicit-def: $vgpr4_vgpr5
	s_branch .LBB513_592
.LBB513_581:
	s_andn2_saveexec_b64 s[18:19], s[18:19]
	s_cbranch_execz .LBB513_349
.LBB513_582:
	s_mov_b32 s22, 0x46000000
	v_add_f32_e64 v3, |v2|, s22
	v_and_b32_e32 v3, 0xff, v3
	v_cmp_ne_u32_e32 vcc, 0, v3
	s_andn2_b64 s[16:17], s[16:17], exec
	s_and_b64 s[22:23], vcc, exec
	s_or_b64 s[16:17], s[16:17], s[22:23]
	s_or_b64 exec, exec, s[18:19]
	v_mov_b32_e32 v6, 0
	s_and_saveexec_b64 s[18:19], s[16:17]
	s_cbranch_execnz .LBB513_350
	s_branch .LBB513_351
.LBB513_583:
	s_mov_b64 s[14:15], -1
	s_mov_b64 s[2:3], 0
	s_mov_b64 s[12:13], s[66:67]
                                        ; implicit-def: $vgpr4_vgpr5
	s_branch .LBB513_587
.LBB513_584:
	s_andn2_saveexec_b64 s[18:19], s[18:19]
	s_cbranch_execz .LBB513_362
.LBB513_585:
	s_mov_b32 s22, 0x42800000
	v_add_f32_e64 v3, |v2|, s22
	v_and_b32_e32 v3, 0xff, v3
	v_cmp_ne_u32_e32 vcc, 0, v3
	s_andn2_b64 s[16:17], s[16:17], exec
	s_and_b64 s[22:23], vcc, exec
	s_or_b64 s[16:17], s[16:17], s[22:23]
	s_or_b64 exec, exec, s[18:19]
	v_mov_b32_e32 v6, 0
	s_and_saveexec_b64 s[18:19], s[16:17]
	s_cbranch_execnz .LBB513_363
	s_branch .LBB513_364
.LBB513_586:
	s_mov_b64 s[12:13], -1
                                        ; implicit-def: $vgpr4_vgpr5
	s_mov_b64 s[2:3], 0
.LBB513_587:
	s_and_b64 vcc, exec, s[14:15]
	s_cbranch_vccz .LBB513_591
; %bb.588:
	s_cmp_eq_u32 s18, 44
	s_cbranch_scc0 .LBB513_590
; %bb.589:
	global_load_ubyte v3, v[0:1], off
	s_movk_i32 s12, 0xff
	v_bfrev_b32_e32 v6, 4
	v_mov_b32_e32 v7, 0x7ff80000
	v_bfrev_b32_e32 v8, 28
	s_mov_b64 s[2:3], -1
	s_waitcnt vmcnt(0)
	v_lshlrev_b32_e32 v4, 23, v3
	v_cvt_f64_f32_e32 v[4:5], v4
	v_cmp_ne_u32_e32 vcc, s12, v3
	s_mov_b64 s[12:13], 0
	s_nop 0
	v_cndmask_b32_e32 v4, v6, v4, vcc
	v_cndmask_b32_e32 v5, v7, v5, vcc
	v_cmp_ne_u32_e32 vcc, 0, v3
	s_nop 1
	v_cndmask_b32_e32 v5, v8, v5, vcc
	v_cndmask_b32_e32 v4, 0, v4, vcc
	s_branch .LBB513_591
.LBB513_590:
	s_mov_b64 s[12:13], -1
                                        ; implicit-def: $vgpr4_vgpr5
.LBB513_591:
	s_mov_b64 s[14:15], 0
.LBB513_592:
	s_and_b64 vcc, exec, s[14:15]
	s_cbranch_vccz .LBB513_596
; %bb.593:
	s_cmp_eq_u32 s18, 29
	s_cbranch_scc0 .LBB513_595
; %bb.594:
	global_load_dwordx2 v[4:5], v[0:1], off
	s_mov_b64 s[2:3], -1
	s_mov_b64 s[12:13], 0
	s_mov_b64 s[14:15], 0
	s_waitcnt vmcnt(0)
	v_cvt_f64_u32_e32 v[6:7], v5
	v_cvt_f64_u32_e32 v[4:5], v4
	v_ldexp_f64 v[6:7], v[6:7], 32
	v_add_f64 v[4:5], v[6:7], v[4:5]
	s_branch .LBB513_597
.LBB513_595:
	s_mov_b64 s[12:13], -1
                                        ; implicit-def: $vgpr4_vgpr5
.LBB513_596:
	s_mov_b64 s[14:15], 0
.LBB513_597:
	s_and_b64 vcc, exec, s[14:15]
	s_cbranch_vccz .LBB513_617
; %bb.598:
	s_cmp_lt_i32 s18, 27
	s_cbranch_scc1 .LBB513_601
; %bb.599:
	s_cmp_gt_i32 s18, 27
	s_cbranch_scc0 .LBB513_602
; %bb.600:
	global_load_dword v3, v[0:1], off
	s_mov_b64 s[2:3], 0
	s_waitcnt vmcnt(0)
	v_cvt_f64_u32_e32 v[4:5], v3
	s_branch .LBB513_603
.LBB513_601:
	s_mov_b64 s[2:3], -1
                                        ; implicit-def: $vgpr4_vgpr5
	s_branch .LBB513_606
.LBB513_602:
	s_mov_b64 s[2:3], -1
                                        ; implicit-def: $vgpr4_vgpr5
.LBB513_603:
	s_andn2_b64 vcc, exec, s[2:3]
	s_cbranch_vccnz .LBB513_605
; %bb.604:
	global_load_ushort v3, v[0:1], off
	s_waitcnt vmcnt(0)
	v_cvt_f64_u32_e32 v[4:5], v3
.LBB513_605:
	s_mov_b64 s[2:3], 0
.LBB513_606:
	s_andn2_b64 vcc, exec, s[2:3]
	s_cbranch_vccnz .LBB513_616
; %bb.607:
	global_load_ubyte v3, v[0:1], off
	s_movk_i32 s2, 0x7f
	s_waitcnt vmcnt(0)
	v_cmp_lt_i16_e32 vcc, s2, v3
	s_mov_b64 s[2:3], 0
	s_and_saveexec_b64 s[14:15], vcc
	s_xor_b64 s[14:15], exec, s[14:15]
	s_cbranch_execz .LBB513_611
; %bb.608:
	s_movk_i32 s2, 0x80
	v_cmp_eq_u16_e32 vcc, s2, v3
	s_mov_b64 s[2:3], -1
	s_and_saveexec_b64 s[16:17], vcc
; %bb.609:
	s_xor_b64 s[2:3], exec, -1
; %bb.610:
	s_or_b64 exec, exec, s[16:17]
	s_and_b64 s[2:3], s[2:3], exec
.LBB513_611:
	s_or_saveexec_b64 s[14:15], s[14:15]
	v_bfrev_b32_e32 v4, 4
	v_mov_b32_e32 v5, 0x7ff80000
	s_xor_b64 exec, exec, s[14:15]
; %bb.612:
	v_cmp_ne_u16_e32 vcc, 0, v3
	s_andn2_b64 s[2:3], s[2:3], exec
	s_and_b64 s[16:17], vcc, exec
	v_mov_b64_e32 v[4:5], 0
	s_or_b64 s[2:3], s[2:3], s[16:17]
; %bb.613:
	s_or_b64 exec, exec, s[14:15]
	s_and_saveexec_b64 s[14:15], s[2:3]
	s_cbranch_execz .LBB513_615
; %bb.614:
	v_lshlrev_b32_e32 v4, 24, v3
	v_and_b32_e32 v3, 0xffff, v3
	v_and_b32_e32 v5, 7, v3
	v_ffbh_u32_e32 v7, v5
	v_min_u32_e32 v7, 32, v7
	v_subrev_u32_e32 v8, 28, v7
	v_bfe_u32 v6, v3, 3, 4
	v_lshlrev_b32_e32 v3, v8, v3
	v_sub_u32_e32 v7, 29, v7
	v_and_b32_e32 v3, 7, v3
	v_cmp_eq_u32_e32 vcc, 0, v6
	v_and_b32_e32 v4, 0x80000000, v4
	s_nop 0
	v_cndmask_b32_e32 v6, v6, v7, vcc
	v_cndmask_b32_e32 v3, v5, v3, vcc
	v_mov_b32_e32 v5, 0x3b800000
	v_lshlrev_b32_e32 v3, 20, v3
	v_lshl_add_u32 v5, v6, 23, v5
	v_or3_b32 v3, v4, v5, v3
	v_cvt_f64_f32_e32 v[4:5], v3
.LBB513_615:
	s_or_b64 exec, exec, s[14:15]
.LBB513_616:
	s_mov_b64 s[2:3], -1
.LBB513_617:
	s_mov_b64 s[14:15], 0
.LBB513_618:
	s_and_b64 vcc, exec, s[14:15]
	s_cbranch_vccz .LBB513_651
; %bb.619:
	s_cmp_gt_i32 s18, 22
	s_cbranch_scc0 .LBB513_631
; %bb.620:
	s_cmp_lt_i32 s18, 24
	s_cbranch_scc1 .LBB513_632
; %bb.621:
	s_cmp_gt_i32 s18, 24
	s_cbranch_scc0 .LBB513_633
; %bb.622:
	global_load_ubyte v3, v[0:1], off
	s_movk_i32 s2, 0x7f
	s_waitcnt vmcnt(0)
	v_cmp_lt_i16_e32 vcc, s2, v3
	s_mov_b64 s[2:3], 0
	s_and_saveexec_b64 s[14:15], vcc
	s_xor_b64 s[14:15], exec, s[14:15]
	s_cbranch_execz .LBB513_626
; %bb.623:
	s_movk_i32 s2, 0x80
	v_cmp_eq_u16_e32 vcc, s2, v3
	s_mov_b64 s[2:3], -1
	s_and_saveexec_b64 s[16:17], vcc
; %bb.624:
	s_xor_b64 s[2:3], exec, -1
; %bb.625:
	s_or_b64 exec, exec, s[16:17]
	s_and_b64 s[2:3], s[2:3], exec
.LBB513_626:
	s_or_saveexec_b64 s[14:15], s[14:15]
	v_bfrev_b32_e32 v4, 4
	v_mov_b32_e32 v5, 0x7ff80000
	s_xor_b64 exec, exec, s[14:15]
; %bb.627:
	v_cmp_ne_u16_e32 vcc, 0, v3
	s_andn2_b64 s[2:3], s[2:3], exec
	s_and_b64 s[16:17], vcc, exec
	v_mov_b64_e32 v[4:5], 0
	s_or_b64 s[2:3], s[2:3], s[16:17]
; %bb.628:
	s_or_b64 exec, exec, s[14:15]
	s_and_saveexec_b64 s[14:15], s[2:3]
	s_cbranch_execz .LBB513_630
; %bb.629:
	v_lshlrev_b32_e32 v4, 24, v3
	v_and_b32_e32 v3, 0xffff, v3
	v_and_b32_e32 v5, 3, v3
	v_ffbh_u32_e32 v7, v5
	v_min_u32_e32 v7, 32, v7
	v_subrev_u32_e32 v8, 29, v7
	v_bfe_u32 v6, v3, 2, 5
	v_lshlrev_b32_e32 v3, v8, v3
	v_sub_u32_e32 v7, 30, v7
	v_and_b32_e32 v3, 3, v3
	v_cmp_eq_u32_e32 vcc, 0, v6
	v_and_b32_e32 v4, 0x80000000, v4
	s_nop 0
	v_cndmask_b32_e32 v6, v6, v7, vcc
	v_cndmask_b32_e32 v3, v5, v3, vcc
	v_mov_b32_e32 v5, 0x37800000
	v_lshlrev_b32_e32 v3, 21, v3
	v_lshl_add_u32 v5, v6, 23, v5
	v_or3_b32 v3, v4, v5, v3
	v_cvt_f64_f32_e32 v[4:5], v3
.LBB513_630:
	s_or_b64 exec, exec, s[14:15]
	s_mov_b64 s[2:3], 0
	s_branch .LBB513_634
.LBB513_631:
	s_mov_b64 s[14:15], -1
                                        ; implicit-def: $vgpr4_vgpr5
	s_branch .LBB513_640
.LBB513_632:
	s_mov_b64 s[2:3], -1
                                        ; implicit-def: $vgpr4_vgpr5
	s_branch .LBB513_637
.LBB513_633:
	s_mov_b64 s[2:3], -1
                                        ; implicit-def: $vgpr4_vgpr5
.LBB513_634:
	s_and_b64 vcc, exec, s[2:3]
	s_cbranch_vccz .LBB513_636
; %bb.635:
	global_load_ubyte v3, v[0:1], off
	s_mov_b32 s2, 0x7f800000
	s_waitcnt vmcnt(0)
	v_lshlrev_b32_e32 v3, 24, v3
	v_and_b32_e32 v4, 0x7f000000, v3
	v_ffbh_u32_e32 v5, v4
	v_min_u32_e32 v5, 32, v5
	v_sub_u32_e64 v5, v5, 4 clamp
	v_lshlrev_b32_e32 v7, v5, v4
	v_lshlrev_b32_e32 v5, 23, v5
	v_lshrrev_b32_e32 v7, 4, v7
	v_add_u32_e32 v6, 0x1000000, v4
	v_sub_u32_e32 v5, v7, v5
	v_ashrrev_i32_e32 v6, 8, v6
	v_add_u32_e32 v5, 0x3c000000, v5
	v_and_or_b32 v5, v6, s2, v5
	v_cmp_ne_u32_e32 vcc, 0, v4
	s_brev_b32 s2, 1
	s_nop 0
	v_cndmask_b32_e32 v4, 0, v5, vcc
	v_and_or_b32 v3, v3, s2, v4
	v_cvt_f64_f32_e32 v[4:5], v3
.LBB513_636:
	s_mov_b64 s[2:3], 0
.LBB513_637:
	s_andn2_b64 vcc, exec, s[2:3]
	s_cbranch_vccnz .LBB513_639
; %bb.638:
	global_load_ubyte v3, v[0:1], off
	s_movk_i32 s2, 0x7f00
	s_brev_b32 s3, 16
	s_waitcnt vmcnt(0)
	v_lshlrev_b16_e32 v4, 8, v3
	v_lshlrev_b32_e32 v3, 25, v3
	v_lshrrev_b32_e32 v5, 4, v3
	v_and_or_b32 v6, v4, s2, 0.5
	v_or_b32_e32 v5, 0x70000000, v5
	v_add_f32_e32 v6, -0.5, v6
	v_mul_f32_e32 v5, 0x7800000, v5
	v_cmp_gt_u32_e32 vcc, s3, v3
	v_bfe_i32 v4, v4, 0, 16
	s_brev_b32 s2, 1
	v_cndmask_b32_e32 v3, v5, v6, vcc
	v_and_or_b32 v3, v4, s2, v3
	v_cvt_f64_f32_e32 v[4:5], v3
.LBB513_639:
	s_mov_b64 s[14:15], 0
	s_mov_b64 s[2:3], -1
.LBB513_640:
	s_andn2_b64 vcc, exec, s[14:15]
	s_cbranch_vccnz .LBB513_651
; %bb.641:
	s_cmp_gt_i32 s18, 14
	s_cbranch_scc0 .LBB513_644
; %bb.642:
	s_cmp_eq_u32 s18, 15
	s_cbranch_scc0 .LBB513_645
; %bb.643:
	global_load_ushort v3, v[0:1], off
	s_mov_b64 s[2:3], -1
	s_mov_b64 s[12:13], 0
	s_waitcnt vmcnt(0)
	v_lshlrev_b32_e32 v3, 16, v3
	v_cvt_f64_f32_e32 v[4:5], v3
	s_branch .LBB513_646
.LBB513_644:
	s_mov_b64 s[14:15], -1
                                        ; implicit-def: $vgpr4_vgpr5
	s_branch .LBB513_647
.LBB513_645:
	s_mov_b64 s[12:13], -1
                                        ; implicit-def: $vgpr4_vgpr5
.LBB513_646:
	s_mov_b64 s[14:15], 0
.LBB513_647:
	s_and_b64 vcc, exec, s[14:15]
	s_cbranch_vccz .LBB513_651
; %bb.648:
	s_cmp_eq_u32 s18, 11
	s_cbranch_scc0 .LBB513_650
; %bb.649:
	global_load_ubyte v3, v[0:1], off
	s_waitcnt vmcnt(1)
	v_mov_b32_e32 v5, 0x3ff00000
	v_mov_b32_e32 v4, 0
	s_mov_b64 s[2:3], -1
	s_mov_b64 s[12:13], 0
	s_waitcnt vmcnt(0)
	v_cmp_ne_u16_e32 vcc, 0, v3
	s_nop 1
	v_cndmask_b32_e32 v5, 0, v5, vcc
	s_branch .LBB513_651
.LBB513_650:
	s_mov_b64 s[12:13], -1
                                        ; implicit-def: $vgpr4_vgpr5
.LBB513_651:
	s_mov_b64 s[14:15], 0
.LBB513_652:
	s_and_b64 vcc, exec, s[14:15]
	s_cbranch_vccz .LBB513_701
; %bb.653:
	s_cmp_lt_i32 s18, 5
	s_cbranch_scc1 .LBB513_658
; %bb.654:
	s_cmp_lt_i32 s18, 8
	s_cbranch_scc1 .LBB513_659
	;; [unrolled: 3-line block ×3, first 2 shown]
; %bb.656:
	s_cmp_gt_i32 s18, 9
	s_cbranch_scc0 .LBB513_661
; %bb.657:
	global_load_dwordx2 v[4:5], v[0:1], off
	s_mov_b64 s[2:3], 0
	s_branch .LBB513_662
.LBB513_658:
	s_mov_b64 s[2:3], -1
                                        ; implicit-def: $vgpr4_vgpr5
	s_branch .LBB513_680
.LBB513_659:
	s_mov_b64 s[2:3], -1
                                        ; implicit-def: $vgpr4_vgpr5
	s_branch .LBB513_668
.LBB513_660:
	s_mov_b64 s[2:3], -1
                                        ; implicit-def: $vgpr4_vgpr5
	s_branch .LBB513_665
.LBB513_661:
	s_mov_b64 s[2:3], -1
                                        ; implicit-def: $vgpr4_vgpr5
.LBB513_662:
	s_andn2_b64 vcc, exec, s[2:3]
	s_cbranch_vccnz .LBB513_664
; %bb.663:
	global_load_dword v3, v[0:1], off
	s_waitcnt vmcnt(0)
	v_cvt_f64_f32_e32 v[4:5], v3
.LBB513_664:
	s_mov_b64 s[2:3], 0
.LBB513_665:
	s_andn2_b64 vcc, exec, s[2:3]
	s_cbranch_vccnz .LBB513_667
; %bb.666:
	global_load_dword v3, v[0:1], off
	s_waitcnt vmcnt(0)
	v_cvt_f32_f16_e32 v3, v3
	v_cvt_f64_f32_e32 v[4:5], v3
.LBB513_667:
	s_mov_b64 s[2:3], 0
.LBB513_668:
	s_andn2_b64 vcc, exec, s[2:3]
	s_cbranch_vccnz .LBB513_679
; %bb.669:
	s_cmp_lt_i32 s18, 6
	s_cbranch_scc1 .LBB513_672
; %bb.670:
	s_cmp_gt_i32 s18, 6
	s_cbranch_scc0 .LBB513_673
; %bb.671:
	global_load_dwordx2 v[4:5], v[0:1], off
	s_mov_b64 s[2:3], 0
	s_branch .LBB513_674
.LBB513_672:
	s_mov_b64 s[2:3], -1
                                        ; implicit-def: $vgpr4_vgpr5
	s_branch .LBB513_677
.LBB513_673:
	s_mov_b64 s[2:3], -1
                                        ; implicit-def: $vgpr4_vgpr5
.LBB513_674:
	s_andn2_b64 vcc, exec, s[2:3]
	s_cbranch_vccnz .LBB513_676
; %bb.675:
	global_load_dword v3, v[0:1], off
	s_waitcnt vmcnt(0)
	v_cvt_f64_f32_e32 v[4:5], v3
.LBB513_676:
	s_mov_b64 s[2:3], 0
.LBB513_677:
	s_andn2_b64 vcc, exec, s[2:3]
	s_cbranch_vccnz .LBB513_679
; %bb.678:
	global_load_ushort v3, v[0:1], off
	s_waitcnt vmcnt(0)
	v_cvt_f32_f16_e32 v3, v3
	v_cvt_f64_f32_e32 v[4:5], v3
.LBB513_679:
	s_mov_b64 s[2:3], 0
.LBB513_680:
	s_andn2_b64 vcc, exec, s[2:3]
	s_cbranch_vccnz .LBB513_700
; %bb.681:
	s_cmp_lt_i32 s18, 2
	s_cbranch_scc1 .LBB513_685
; %bb.682:
	s_cmp_lt_i32 s18, 3
	s_cbranch_scc1 .LBB513_686
; %bb.683:
	s_cmp_gt_i32 s18, 3
	s_cbranch_scc0 .LBB513_687
; %bb.684:
	global_load_dwordx2 v[4:5], v[0:1], off
	s_mov_b64 s[2:3], 0
	s_waitcnt vmcnt(0)
	v_cvt_f64_i32_e32 v[6:7], v5
	v_cvt_f64_u32_e32 v[4:5], v4
	v_ldexp_f64 v[6:7], v[6:7], 32
	v_add_f64 v[4:5], v[6:7], v[4:5]
	s_branch .LBB513_688
.LBB513_685:
	s_mov_b64 s[2:3], -1
                                        ; implicit-def: $vgpr4_vgpr5
	s_branch .LBB513_694
.LBB513_686:
	s_mov_b64 s[2:3], -1
                                        ; implicit-def: $vgpr4_vgpr5
	s_branch .LBB513_691
.LBB513_687:
	s_mov_b64 s[2:3], -1
                                        ; implicit-def: $vgpr4_vgpr5
.LBB513_688:
	s_andn2_b64 vcc, exec, s[2:3]
	s_cbranch_vccnz .LBB513_690
; %bb.689:
	global_load_dword v3, v[0:1], off
	s_waitcnt vmcnt(0)
	v_cvt_f64_i32_e32 v[4:5], v3
.LBB513_690:
	s_mov_b64 s[2:3], 0
.LBB513_691:
	s_andn2_b64 vcc, exec, s[2:3]
	s_cbranch_vccnz .LBB513_693
; %bb.692:
	global_load_sshort v3, v[0:1], off
	s_waitcnt vmcnt(0)
	v_cvt_f64_i32_e32 v[4:5], v3
.LBB513_693:
	s_mov_b64 s[2:3], 0
.LBB513_694:
	s_andn2_b64 vcc, exec, s[2:3]
	s_cbranch_vccnz .LBB513_700
; %bb.695:
	s_cmp_gt_i32 s18, 0
	s_cbranch_scc0 .LBB513_697
; %bb.696:
	global_load_sbyte v3, v[0:1], off
	s_mov_b64 s[2:3], 0
	s_waitcnt vmcnt(0)
	v_cvt_f64_i32_e32 v[4:5], v3
	s_branch .LBB513_698
.LBB513_697:
	s_mov_b64 s[2:3], -1
                                        ; implicit-def: $vgpr4_vgpr5
.LBB513_698:
	s_andn2_b64 vcc, exec, s[2:3]
	s_cbranch_vccnz .LBB513_700
; %bb.699:
	global_load_ubyte v0, v[0:1], off
	s_waitcnt vmcnt(0)
	v_cvt_f64_u32_e32 v[4:5], v0
.LBB513_700:
	s_mov_b64 s[2:3], -1
.LBB513_701:
	s_andn2_b64 vcc, exec, s[2:3]
	s_cbranch_vccnz .LBB513_713
; %bb.702:
	s_waitcnt vmcnt(0)
	v_cmp_o_f64_e32 vcc, v[4:5], v[4:5]
	v_mov_b64_e32 v[0:1], s[8:9]
	s_and_saveexec_b64 s[2:3], vcc
	s_cbranch_execz .LBB513_706
; %bb.703:
	s_mov_b32 s14, 0
	s_mov_b32 s15, 0x7ff00000
	v_cmp_neq_f64_e32 vcc, s[14:15], v[4:5]
	v_mov_b64_e32 v[0:1], s[10:11]
	s_and_saveexec_b64 s[14:15], vcc
; %bb.704:
	s_mov_b32 s16, 0
	s_mov_b32 s17, 0xfff00000
	v_mov_b32_e32 v0, s51
	v_cmp_eq_f64_e32 vcc, s[16:17], v[4:5]
	s_nop 1
	v_cndmask_b32_e32 v1, v5, v0, vcc
	v_mov_b32_e32 v0, s50
	v_cndmask_b32_e32 v0, v4, v0, vcc
; %bb.705:
	s_or_b64 exec, exec, s[14:15]
.LBB513_706:
	s_or_b64 exec, exec, s[2:3]
	v_mov_b32_e32 v3, 0
	s_and_b32 s20, s79, 0xff
	s_cmp_lt_i32 s20, 11
	v_lshl_add_u64 v[4:5], s[4:5], 0, v[2:3]
	s_cbranch_scc1 .LBB513_714
; %bb.707:
	s_and_b32 s21, 0xffff, s20
	s_cmp_gt_i32 s21, 25
	s_cbranch_scc0 .LBB513_715
; %bb.708:
	s_cmp_gt_i32 s21, 28
	s_cbranch_scc0 .LBB513_716
; %bb.709:
	;; [unrolled: 3-line block ×4, first 2 shown]
	s_mov_b64 s[16:17], 0
	s_mov_b64 s[2:3], -1
	s_cmp_eq_u32 s21, 46
	s_mov_b64 s[14:15], 0
	s_cbranch_scc0 .LBB513_719
; %bb.712:
	v_cvt_f32_f64_e32 v2, v[0:1]
	v_bfe_u32 v3, v2, 16, 1
	s_movk_i32 s2, 0x7fff
	v_add3_u32 v3, v2, v3, s2
	v_cmp_o_f32_e32 vcc, v2, v2
	v_mov_b32_e32 v2, 0x7fc0
	s_mov_b64 s[14:15], -1
	v_cndmask_b32_sdwa v2, v2, v3, vcc dst_sel:DWORD dst_unused:UNUSED_PAD src0_sel:DWORD src1_sel:WORD_1
	global_store_dword v[4:5], v2, off
	s_mov_b64 s[2:3], 0
	s_branch .LBB513_719
.LBB513_713:
	s_mov_b64 s[14:15], 0
	s_mov_b64 s[2:3], s[68:69]
	s_branch .LBB513_830
.LBB513_714:
	s_mov_b64 s[16:17], -1
	s_mov_b64 s[14:15], 0
	s_mov_b64 s[2:3], s[68:69]
	s_branch .LBB513_788
.LBB513_715:
	s_mov_b64 s[16:17], -1
	s_mov_b64 s[14:15], 0
	s_mov_b64 s[2:3], s[68:69]
	s_branch .LBB513_746
.LBB513_716:
	s_mov_b64 s[16:17], -1
	s_mov_b64 s[14:15], 0
	s_mov_b64 s[2:3], s[68:69]
	s_branch .LBB513_729
.LBB513_717:
	s_mov_b64 s[16:17], -1
	s_mov_b64 s[14:15], 0
	s_mov_b64 s[2:3], s[68:69]
	s_branch .LBB513_725
.LBB513_718:
	s_mov_b64 s[16:17], -1
	s_mov_b64 s[14:15], 0
	s_mov_b64 s[2:3], s[68:69]
.LBB513_719:
	s_and_b64 vcc, exec, s[16:17]
	s_cbranch_vccz .LBB513_724
; %bb.720:
	s_cmp_eq_u32 s21, 44
	s_mov_b64 s[2:3], -1
	s_cbranch_scc0 .LBB513_724
; %bb.721:
	v_cvt_f32_f64_e32 v2, v[0:1]
	v_bfe_u32 v3, v2, 23, 8
	s_movk_i32 s2, 0xff
	v_cmp_ne_u32_e32 vcc, s2, v3
	v_mov_b32_e32 v6, 0xff
	s_and_saveexec_b64 s[14:15], vcc
; %bb.722:
	s_mov_b32 s2, 0x3fffff
	v_lshrrev_b32_e32 v6, 23, v2
	v_and_b32_e32 v7, 0x400000, v2
	v_and_or_b32 v2, v2, s2, v3
	v_cmp_ne_u32_e32 vcc, 0, v7
	v_cmp_ne_u32_e64 s[2:3], 0, v2
	s_and_b64 s[2:3], vcc, s[2:3]
	s_nop 0
	v_cndmask_b32_e64 v2, 0, 1, s[2:3]
	v_add_u32_e32 v6, v6, v2
; %bb.723:
	s_or_b64 exec, exec, s[14:15]
	s_mov_b64 s[14:15], -1
	s_mov_b64 s[2:3], 0
	global_store_byte v[4:5], v6, off
.LBB513_724:
	s_mov_b64 s[16:17], 0
.LBB513_725:
	s_and_b64 vcc, exec, s[16:17]
	s_cbranch_vccz .LBB513_728
; %bb.726:
	s_cmp_eq_u32 s21, 29
	s_mov_b64 s[2:3], -1
	s_cbranch_scc0 .LBB513_728
; %bb.727:
	v_trunc_f64_e32 v[2:3], v[0:1]
	s_movk_i32 s2, 0xffe0
	v_ldexp_f64 v[6:7], v[2:3], s2
	v_floor_f64_e32 v[6:7], v[6:7]
	v_fmac_f64_e32 v[2:3], 0xc1f00000, v[6:7]
	v_cvt_u32_f64_e32 v9, v[6:7]
	v_cvt_u32_f64_e32 v8, v[2:3]
	global_store_dwordx2 v[4:5], v[8:9], off
	s_mov_b64 s[14:15], -1
	s_mov_b64 s[2:3], 0
.LBB513_728:
	s_mov_b64 s[16:17], 0
.LBB513_729:
	s_and_b64 vcc, exec, s[16:17]
	s_cbranch_vccz .LBB513_745
; %bb.730:
	s_cmp_lt_i32 s21, 27
	s_mov_b64 s[14:15], -1
	s_cbranch_scc1 .LBB513_736
; %bb.731:
	s_cmp_gt_i32 s21, 27
	v_cvt_u32_f64_e32 v2, v[0:1]
	s_cbranch_scc0 .LBB513_733
; %bb.732:
	s_mov_b64 s[14:15], 0
	global_store_dword v[4:5], v2, off
.LBB513_733:
	s_andn2_b64 vcc, exec, s[14:15]
	s_cbranch_vccnz .LBB513_735
; %bb.734:
	global_store_short v[4:5], v2, off
.LBB513_735:
	s_mov_b64 s[14:15], 0
.LBB513_736:
	s_andn2_b64 vcc, exec, s[14:15]
	s_cbranch_vccnz .LBB513_744
; %bb.737:
	v_cvt_f32_f64_e32 v2, v[0:1]
	v_and_b32_e32 v3, 0x7fffffff, v2
	s_mov_b32 s14, 0x43800000
	v_cmp_gt_u32_e32 vcc, s14, v3
	v_mov_b32_e32 v6, 0x80
	s_and_saveexec_b64 s[14:15], vcc
	s_cbranch_execz .LBB513_743
; %bb.738:
	s_mov_b32 s16, 0x3bffffff
	v_cmp_lt_u32_e32 vcc, s16, v3
	s_mov_b64 s[16:17], 0
                                        ; implicit-def: $vgpr3
	s_and_saveexec_b64 s[18:19], vcc
	s_xor_b64 s[18:19], exec, s[18:19]
	s_cbranch_execz .LBB513_861
; %bb.739:
	v_bfe_u32 v3, v2, 20, 1
	s_mov_b32 s22, 0x487ffff
	v_add3_u32 v3, v2, v3, s22
	s_mov_b64 s[16:17], exec
	v_lshrrev_b32_e32 v3, 20, v3
	s_andn2_saveexec_b64 s[18:19], s[18:19]
	s_cbranch_execnz .LBB513_862
.LBB513_740:
	s_or_b64 exec, exec, s[18:19]
	v_mov_b32_e32 v6, 0
	s_and_saveexec_b64 s[18:19], s[16:17]
.LBB513_741:
	v_lshrrev_b32_e32 v2, 24, v2
	s_movk_i32 s16, 0x80
	v_and_or_b32 v6, v2, s16, v3
.LBB513_742:
	s_or_b64 exec, exec, s[18:19]
.LBB513_743:
	s_or_b64 exec, exec, s[14:15]
	global_store_byte v[4:5], v6, off
.LBB513_744:
	s_mov_b64 s[14:15], -1
.LBB513_745:
	s_mov_b64 s[16:17], 0
.LBB513_746:
	s_and_b64 vcc, exec, s[16:17]
	s_cbranch_vccz .LBB513_787
; %bb.747:
	s_cmp_gt_i32 s21, 22
	s_mov_b64 s[16:17], -1
	s_cbranch_scc0 .LBB513_779
; %bb.748:
	s_cmp_lt_i32 s21, 24
	s_mov_b64 s[14:15], -1
	s_cbranch_scc1 .LBB513_768
; %bb.749:
	s_cmp_gt_i32 s21, 24
	s_cbranch_scc0 .LBB513_757
; %bb.750:
	v_cvt_f32_f64_e32 v2, v[0:1]
	v_and_b32_e32 v3, 0x7fffffff, v2
	s_mov_b32 s14, 0x47800000
	v_cmp_gt_u32_e32 vcc, s14, v3
	v_mov_b32_e32 v6, 0x80
	s_and_saveexec_b64 s[14:15], vcc
	s_cbranch_execz .LBB513_756
; %bb.751:
	s_mov_b32 s16, 0x37ffffff
	v_cmp_lt_u32_e32 vcc, s16, v3
	s_mov_b64 s[16:17], 0
                                        ; implicit-def: $vgpr3
	s_and_saveexec_b64 s[18:19], vcc
	s_xor_b64 s[18:19], exec, s[18:19]
	s_cbranch_execz .LBB513_864
; %bb.752:
	v_bfe_u32 v3, v2, 21, 1
	s_mov_b32 s22, 0x88fffff
	v_add3_u32 v3, v2, v3, s22
	s_mov_b64 s[16:17], exec
	v_lshrrev_b32_e32 v3, 21, v3
	s_andn2_saveexec_b64 s[18:19], s[18:19]
	s_cbranch_execnz .LBB513_865
.LBB513_753:
	s_or_b64 exec, exec, s[18:19]
	v_mov_b32_e32 v6, 0
	s_and_saveexec_b64 s[18:19], s[16:17]
.LBB513_754:
	v_lshrrev_b32_e32 v2, 24, v2
	s_movk_i32 s16, 0x80
	v_and_or_b32 v6, v2, s16, v3
.LBB513_755:
	s_or_b64 exec, exec, s[18:19]
.LBB513_756:
	s_or_b64 exec, exec, s[14:15]
	s_mov_b64 s[14:15], 0
	global_store_byte v[4:5], v6, off
.LBB513_757:
	s_and_b64 vcc, exec, s[14:15]
	s_cbranch_vccz .LBB513_767
; %bb.758:
	v_cvt_f32_f64_e32 v2, v[0:1]
	v_and_b32_e32 v6, 0x7fffffff, v2
	s_mov_b32 s14, 0x43f00000
	v_cmp_gt_u32_e32 vcc, s14, v6
                                        ; implicit-def: $vgpr3
	s_and_saveexec_b64 s[14:15], vcc
	s_xor_b64 s[14:15], exec, s[14:15]
	s_cbranch_execz .LBB513_764
; %bb.759:
	s_mov_b32 s16, 0x3c7fffff
	v_cmp_lt_u32_e32 vcc, s16, v6
                                        ; implicit-def: $vgpr3
	s_and_saveexec_b64 s[16:17], vcc
	s_xor_b64 s[16:17], exec, s[16:17]
; %bb.760:
	v_bfe_u32 v3, v2, 20, 1
	s_mov_b32 s18, 0x407ffff
	v_add3_u32 v3, v2, v3, s18
	v_lshrrev_b32_e32 v6, 20, v3
	v_and_b32_e32 v3, 0xff00000, v3
	s_mov_b32 s18, 0x7f00000
	v_mov_b32_e32 v7, 0x7e
	v_cmp_ne_u32_e32 vcc, s18, v3
	s_nop 1
	v_cndmask_b32_e32 v3, v7, v6, vcc
; %bb.761:
	s_andn2_saveexec_b64 s[16:17], s[16:17]
; %bb.762:
	s_mov_b32 s18, 0x46800000
	v_add_f32_e64 v3, |v2|, s18
; %bb.763:
	s_or_b64 exec, exec, s[16:17]
                                        ; implicit-def: $vgpr6
.LBB513_764:
	s_andn2_saveexec_b64 s[14:15], s[14:15]
; %bb.765:
	s_mov_b32 s16, 0x7f800000
	v_mov_b32_e32 v3, 0x7e
	v_mov_b32_e32 v7, 0x7f
	v_cmp_lt_u32_e32 vcc, s16, v6
	s_nop 1
	v_cndmask_b32_e32 v3, v3, v7, vcc
; %bb.766:
	s_or_b64 exec, exec, s[14:15]
	v_lshrrev_b32_e32 v2, 24, v2
	s_movk_i32 s14, 0x80
	v_and_or_b32 v2, v2, s14, v3
	global_store_byte v[4:5], v2, off
.LBB513_767:
	s_mov_b64 s[14:15], 0
.LBB513_768:
	s_andn2_b64 vcc, exec, s[14:15]
	s_cbranch_vccnz .LBB513_778
; %bb.769:
	v_cvt_f32_f64_e32 v2, v[0:1]
	v_and_b32_e32 v6, 0x7fffffff, v2
	s_mov_b32 s14, 0x47800000
	v_cmp_gt_u32_e32 vcc, s14, v6
                                        ; implicit-def: $vgpr3
	s_and_saveexec_b64 s[14:15], vcc
	s_xor_b64 s[14:15], exec, s[14:15]
	s_cbranch_execz .LBB513_775
; %bb.770:
	s_mov_b32 s16, 0x387fffff
	v_cmp_lt_u32_e32 vcc, s16, v6
                                        ; implicit-def: $vgpr3
	s_and_saveexec_b64 s[16:17], vcc
	s_xor_b64 s[16:17], exec, s[16:17]
; %bb.771:
	v_bfe_u32 v3, v2, 21, 1
	s_mov_b32 s18, 0x80fffff
	v_add3_u32 v3, v2, v3, s18
	v_lshrrev_b32_e32 v3, 21, v3
; %bb.772:
	s_andn2_saveexec_b64 s[16:17], s[16:17]
; %bb.773:
	s_mov_b32 s18, 0x43000000
	v_add_f32_e64 v3, |v2|, s18
; %bb.774:
	s_or_b64 exec, exec, s[16:17]
                                        ; implicit-def: $vgpr6
.LBB513_775:
	s_andn2_saveexec_b64 s[14:15], s[14:15]
; %bb.776:
	s_mov_b32 s16, 0x7f800000
	v_mov_b32_e32 v3, 0x7c
	v_mov_b32_e32 v7, 0x7f
	v_cmp_lt_u32_e32 vcc, s16, v6
	s_nop 1
	v_cndmask_b32_e32 v3, v3, v7, vcc
; %bb.777:
	s_or_b64 exec, exec, s[14:15]
	v_lshrrev_b32_e32 v2, 24, v2
	s_movk_i32 s14, 0x80
	v_and_or_b32 v2, v2, s14, v3
	global_store_byte v[4:5], v2, off
.LBB513_778:
	s_mov_b64 s[16:17], 0
	s_mov_b64 s[14:15], -1
.LBB513_779:
	s_andn2_b64 vcc, exec, s[16:17]
	s_cbranch_vccnz .LBB513_787
; %bb.780:
	s_cmp_gt_i32 s21, 14
	s_mov_b64 s[16:17], -1
	s_cbranch_scc0 .LBB513_784
; %bb.781:
	s_cmp_eq_u32 s21, 15
	s_mov_b64 s[2:3], -1
	s_cbranch_scc0 .LBB513_783
; %bb.782:
	v_cvt_f32_f64_e32 v2, v[0:1]
	v_bfe_u32 v3, v2, 16, 1
	s_movk_i32 s2, 0x7fff
	v_add3_u32 v3, v2, v3, s2
	v_cmp_o_f32_e32 vcc, v2, v2
	v_mov_b32_e32 v2, 0x7fc0
	s_mov_b64 s[14:15], -1
	v_cndmask_b32_sdwa v2, v2, v3, vcc dst_sel:DWORD dst_unused:UNUSED_PAD src0_sel:DWORD src1_sel:WORD_1
	global_store_short v[4:5], v2, off
	s_mov_b64 s[2:3], 0
.LBB513_783:
	s_mov_b64 s[16:17], 0
.LBB513_784:
	s_and_b64 vcc, exec, s[16:17]
	s_cbranch_vccz .LBB513_787
; %bb.785:
	s_cmp_eq_u32 s21, 11
	s_mov_b64 s[2:3], -1
	s_cbranch_scc0 .LBB513_787
; %bb.786:
	v_cmp_neq_f64_e32 vcc, 0, v[0:1]
	s_mov_b64 s[2:3], 0
	s_mov_b64 s[14:15], -1
	v_cndmask_b32_e64 v2, 0, 1, vcc
	global_store_byte v[4:5], v2, off
.LBB513_787:
	s_mov_b64 s[16:17], 0
.LBB513_788:
	s_and_b64 vcc, exec, s[16:17]
	s_cbranch_vccz .LBB513_827
; %bb.789:
	s_and_b32 s16, 0xffff, s20
	s_cmp_lt_i32 s16, 5
	s_mov_b64 s[14:15], -1
	s_cbranch_scc1 .LBB513_810
; %bb.790:
	s_cmp_lt_i32 s16, 8
	s_cbranch_scc1 .LBB513_800
; %bb.791:
	s_cmp_lt_i32 s16, 9
	s_cbranch_scc1 .LBB513_797
; %bb.792:
	s_cmp_gt_i32 s16, 9
	s_cbranch_scc0 .LBB513_794
; %bb.793:
	v_mov_b32_e32 v2, 0
	v_mov_b32_e32 v3, v2
	s_mov_b64 s[14:15], 0
	global_store_dwordx4 v[4:5], v[0:3], off
.LBB513_794:
	s_andn2_b64 vcc, exec, s[14:15]
	s_cbranch_vccnz .LBB513_796
; %bb.795:
	v_cvt_f32_f64_e32 v2, v[0:1]
	v_mov_b32_e32 v3, 0
	global_store_dwordx2 v[4:5], v[2:3], off
.LBB513_796:
	s_mov_b64 s[14:15], 0
.LBB513_797:
	s_andn2_b64 vcc, exec, s[14:15]
	s_cbranch_vccnz .LBB513_799
; %bb.798:
	s_movk_i32 s14, 0x1ff
	v_and_or_b32 v2, v1, s14, v0
	v_cmp_ne_u32_e32 vcc, 0, v2
	v_lshrrev_b32_e32 v3, 8, v1
	s_movk_i32 s14, 0xffe
	v_cndmask_b32_e64 v2, 0, 1, vcc
	v_bfe_u32 v6, v1, 20, 11
	v_and_or_b32 v2, v3, s14, v2
	v_sub_u32_e32 v7, 0x3f1, v6
	v_or_b32_e32 v3, 0x1000, v2
	v_med3_i32 v7, v7, 0, 13
	v_lshrrev_b32_e32 v8, v7, v3
	v_lshlrev_b32_e32 v7, v7, v8
	v_cmp_ne_u32_e32 vcc, v7, v3
	v_add_u32_e32 v6, 0xfffffc10, v6
	v_lshl_or_b32 v7, v6, 12, v2
	v_cndmask_b32_e64 v3, 0, 1, vcc
	v_or_b32_e32 v3, v8, v3
	v_cmp_gt_i32_e32 vcc, 1, v6
	s_movk_i32 s14, 0x40f
	s_nop 0
	v_cndmask_b32_e32 v3, v7, v3, vcc
	v_and_b32_e32 v7, 7, v3
	v_cmp_lt_i32_e32 vcc, 5, v7
	v_lshrrev_b32_e32 v3, 2, v3
	s_nop 0
	v_cndmask_b32_e64 v8, 0, 1, vcc
	v_cmp_eq_u32_e32 vcc, 3, v7
	s_nop 1
	v_cndmask_b32_e64 v7, 0, 1, vcc
	v_or_b32_e32 v7, v7, v8
	v_add_u32_e32 v3, v3, v7
	v_mov_b32_e32 v7, 0x7c00
	v_cmp_gt_i32_e32 vcc, 31, v6
	v_mov_b32_e32 v8, 0x7e00
	s_nop 0
	v_cndmask_b32_e32 v3, v7, v3, vcc
	v_cmp_ne_u32_e32 vcc, 0, v2
	s_nop 1
	v_cndmask_b32_e32 v2, v7, v8, vcc
	v_cmp_eq_u32_e32 vcc, s14, v6
	s_mov_b32 s14, 0x8000
	s_nop 0
	v_cndmask_b32_e32 v2, v3, v2, vcc
	v_and_b32_sdwa v3, v1, s14 dst_sel:DWORD dst_unused:UNUSED_PAD src0_sel:WORD_1 src1_sel:DWORD
	s_mov_b32 s14, 0xffff
	v_bitop3_b32 v2, v3, s14, v2 bitop3:0xc8
	global_store_dword v[4:5], v2, off
.LBB513_799:
	s_mov_b64 s[14:15], 0
.LBB513_800:
	s_andn2_b64 vcc, exec, s[14:15]
	s_cbranch_vccnz .LBB513_809
; %bb.801:
	s_cmp_lt_i32 s16, 6
	s_mov_b64 s[14:15], -1
	s_cbranch_scc1 .LBB513_807
; %bb.802:
	s_cmp_gt_i32 s16, 6
	s_cbranch_scc0 .LBB513_804
; %bb.803:
	s_mov_b64 s[14:15], 0
	global_store_dwordx2 v[4:5], v[0:1], off
.LBB513_804:
	s_andn2_b64 vcc, exec, s[14:15]
	s_cbranch_vccnz .LBB513_806
; %bb.805:
	v_cvt_f32_f64_e32 v2, v[0:1]
	global_store_dword v[4:5], v2, off
.LBB513_806:
	s_mov_b64 s[14:15], 0
.LBB513_807:
	s_andn2_b64 vcc, exec, s[14:15]
	s_cbranch_vccnz .LBB513_809
; %bb.808:
	s_movk_i32 s14, 0x1ff
	v_and_or_b32 v2, v1, s14, v0
	v_cmp_ne_u32_e32 vcc, 0, v2
	v_lshrrev_b32_e32 v3, 8, v1
	s_movk_i32 s14, 0xffe
	v_cndmask_b32_e64 v2, 0, 1, vcc
	v_bfe_u32 v6, v1, 20, 11
	v_and_or_b32 v2, v3, s14, v2
	v_sub_u32_e32 v7, 0x3f1, v6
	v_or_b32_e32 v3, 0x1000, v2
	v_med3_i32 v7, v7, 0, 13
	v_lshrrev_b32_e32 v8, v7, v3
	v_lshlrev_b32_e32 v7, v7, v8
	v_cmp_ne_u32_e32 vcc, v7, v3
	v_add_u32_e32 v6, 0xfffffc10, v6
	v_lshl_or_b32 v7, v6, 12, v2
	v_cndmask_b32_e64 v3, 0, 1, vcc
	v_or_b32_e32 v3, v8, v3
	v_cmp_gt_i32_e32 vcc, 1, v6
	s_movk_i32 s14, 0x40f
	s_nop 0
	v_cndmask_b32_e32 v3, v7, v3, vcc
	v_and_b32_e32 v7, 7, v3
	v_cmp_lt_i32_e32 vcc, 5, v7
	v_lshrrev_b32_e32 v3, 2, v3
	s_nop 0
	v_cndmask_b32_e64 v8, 0, 1, vcc
	v_cmp_eq_u32_e32 vcc, 3, v7
	s_nop 1
	v_cndmask_b32_e64 v7, 0, 1, vcc
	v_or_b32_e32 v7, v7, v8
	v_add_u32_e32 v3, v3, v7
	v_mov_b32_e32 v7, 0x7c00
	v_cmp_gt_i32_e32 vcc, 31, v6
	v_mov_b32_e32 v8, 0x7e00
	s_nop 0
	v_cndmask_b32_e32 v3, v7, v3, vcc
	v_cmp_ne_u32_e32 vcc, 0, v2
	s_nop 1
	v_cndmask_b32_e32 v2, v7, v8, vcc
	v_cmp_eq_u32_e32 vcc, s14, v6
	s_mov_b32 s14, 0x8000
	s_nop 0
	v_cndmask_b32_e32 v2, v3, v2, vcc
	v_lshrrev_b32_e32 v3, 16, v1
	v_and_or_b32 v2, v3, s14, v2
	global_store_short v[4:5], v2, off
.LBB513_809:
	s_mov_b64 s[14:15], 0
.LBB513_810:
	s_andn2_b64 vcc, exec, s[14:15]
	s_cbranch_vccnz .LBB513_826
; %bb.811:
	s_cmp_lt_i32 s16, 2
	s_mov_b64 s[14:15], -1
	s_cbranch_scc1 .LBB513_821
; %bb.812:
	s_cmp_lt_i32 s16, 3
	s_cbranch_scc1 .LBB513_818
; %bb.813:
	s_cmp_gt_i32 s16, 3
	s_cbranch_scc0 .LBB513_815
; %bb.814:
	v_trunc_f64_e32 v[2:3], v[0:1]
	s_movk_i32 s14, 0xffe0
	v_ldexp_f64 v[6:7], v[2:3], s14
	v_floor_f64_e32 v[6:7], v[6:7]
	v_fmac_f64_e32 v[2:3], 0xc1f00000, v[6:7]
	v_cvt_i32_f64_e32 v9, v[6:7]
	v_cvt_u32_f64_e32 v8, v[2:3]
	s_mov_b64 s[14:15], 0
	global_store_dwordx2 v[4:5], v[8:9], off
.LBB513_815:
	s_andn2_b64 vcc, exec, s[14:15]
	s_cbranch_vccnz .LBB513_817
; %bb.816:
	v_cvt_i32_f64_e32 v2, v[0:1]
	global_store_dword v[4:5], v2, off
.LBB513_817:
	s_mov_b64 s[14:15], 0
.LBB513_818:
	s_andn2_b64 vcc, exec, s[14:15]
	s_cbranch_vccnz .LBB513_820
; %bb.819:
	v_cvt_i32_f64_e32 v2, v[0:1]
	global_store_short v[4:5], v2, off
.LBB513_820:
	s_mov_b64 s[14:15], 0
.LBB513_821:
	s_andn2_b64 vcc, exec, s[14:15]
	s_cbranch_vccnz .LBB513_826
; %bb.822:
	s_cmp_gt_i32 s16, 0
	s_mov_b64 s[14:15], -1
	s_cbranch_scc0 .LBB513_824
; %bb.823:
	v_cvt_i32_f64_e32 v2, v[0:1]
	s_mov_b64 s[14:15], 0
	global_store_byte v[4:5], v2, off
.LBB513_824:
	s_andn2_b64 vcc, exec, s[14:15]
	s_cbranch_vccnz .LBB513_826
; %bb.825:
	v_trunc_f64_e32 v[0:1], v[0:1]
	s_movk_i32 s14, 0xffe0
	v_ldexp_f64 v[2:3], v[0:1], s14
	v_floor_f64_e32 v[2:3], v[2:3]
	v_fmac_f64_e32 v[0:1], 0xc1f00000, v[2:3]
	v_cvt_u32_f64_e32 v0, v[0:1]
	global_store_byte v[4:5], v0, off
.LBB513_826:
	s_mov_b64 s[14:15], -1
.LBB513_827:
	s_andn2_b64 vcc, exec, s[14:15]
	s_cbranch_vccnz .LBB513_829
; %bb.828:
	v_add_u32_e32 v10, 0x80, v10
	s_mov_b64 s[14:15], -1
	s_branch .LBB513_831
.LBB513_829:
	s_mov_b64 s[14:15], 0
.LBB513_830:
                                        ; implicit-def: $vgpr10
.LBB513_831:
	s_andn2_b64 s[16:17], s[68:69], exec
	s_and_b64 s[2:3], s[2:3], exec
	s_or_b64 s[74:75], s[16:17], s[2:3]
	s_andn2_b64 s[2:3], s[66:67], exec
	s_and_b64 s[12:13], s[12:13], exec
	s_or_b64 s[2:3], s[2:3], s[12:13]
	s_orn2_b64 s[18:19], s[14:15], exec
.LBB513_832:
	s_or_b64 exec, exec, s[72:73]
	s_mov_b64 s[12:13], 0
	s_mov_b64 s[14:15], 0
	;; [unrolled: 1-line block ×3, first 2 shown]
                                        ; implicit-def: $vgpr0_vgpr1
                                        ; implicit-def: $vgpr2
                                        ; implicit-def: $vgpr6_vgpr7
	s_and_saveexec_b64 s[72:73], s[18:19]
	s_cbranch_execz .LBB513_932
; %bb.833:
	v_cmp_gt_i32_e32 vcc, s76, v10
	s_mov_b64 s[18:19], s[2:3]
                                        ; implicit-def: $vgpr0_vgpr1
                                        ; implicit-def: $vgpr2
                                        ; implicit-def: $vgpr6_vgpr7
	s_and_saveexec_b64 s[76:77], vcc
	s_cbranch_execz .LBB513_931
; %bb.834:
	s_andn2_b64 vcc, exec, s[46:47]
	s_cbranch_vccnz .LBB513_840
; %bb.835:
	s_andn2_b64 vcc, exec, s[58:59]
	s_cbranch_vccnz .LBB513_841
; %bb.836:
	s_add_i32 s82, s81, 1
	s_cmp_eq_u32 s78, 2
	s_cbranch_scc1 .LBB513_842
; %bb.837:
	s_and_b32 s81, s82, 28
	s_mov_b32 s83, 0
	v_mov_b32_e32 v2, 0
	v_mov_b32_e32 v0, 0
	s_mov_b64 s[58:59], s[34:35]
	s_waitcnt vmcnt(0)
	v_mov_b32_e32 v4, v10
.LBB513_838:                            ; =>This Inner Loop Header: Depth=1
	s_load_dwordx8 s[20:27], s[58:59], 0x4
	s_load_dwordx4 s[40:43], s[58:59], 0x24
	s_load_dwordx8 s[12:19], s[56:57], 0x0
	s_add_u32 s58, s58, 48
	s_addc_u32 s59, s59, 0
	s_waitcnt lgkmcnt(0)
	v_mul_hi_u32 v1, s21, v4
	v_add_u32_e32 v1, v4, v1
	v_lshrrev_b32_e32 v1, s22, v1
	v_mul_lo_u32 v3, v1, s20
	v_mul_hi_u32 v5, s24, v1
	v_sub_u32_e32 v3, v4, v3
	v_add_u32_e32 v4, v1, v5
	v_lshrrev_b32_e32 v4, s25, v4
	v_mul_lo_u32 v6, v4, s23
	v_mul_hi_u32 v7, s27, v4
	v_sub_u32_e32 v1, v1, v6
	v_add_u32_e32 v6, v4, v7
	v_mul_lo_u32 v5, v3, s13
	v_mul_lo_u32 v3, v3, s12
	;; [unrolled: 1-line block ×4, first 2 shown]
	v_lshrrev_b32_e32 v6, s40, v6
	v_add3_u32 v1, v3, v2, v1
	v_mul_hi_u32 v3, s42, v6
	v_mul_lo_u32 v2, v6, s26
	v_add_u32_e32 v3, v6, v3
	v_sub_u32_e32 v2, v4, v2
	v_lshrrev_b32_e32 v4, s43, v3
	s_add_i32 s83, s83, 4
	v_mul_lo_u32 v3, v4, s41
	s_add_u32 s56, s56, 32
	v_sub_u32_e32 v3, v6, v3
	s_addc_u32 s57, s57, 0
	v_add3_u32 v0, v5, v0, v7
	v_mul_lo_u32 v5, v2, s16
	v_mul_lo_u32 v2, v2, s17
	;; [unrolled: 1-line block ×4, first 2 shown]
	s_cmp_eq_u32 s81, s83
	v_add3_u32 v0, v2, v0, v3
	v_add3_u32 v2, v5, v1, v6
	s_cbranch_scc0 .LBB513_838
; %bb.839:
	v_mov_b32_e32 v1, v0
	s_branch .LBB513_843
.LBB513_840:
	s_mov_b64 s[12:13], -1
                                        ; implicit-def: $vgpr0
                                        ; implicit-def: $vgpr2
	s_branch .LBB513_847
.LBB513_841:
	v_mov_b32_e32 v0, 0
	v_mov_b32_e32 v2, 0
	s_branch .LBB513_846
.LBB513_842:
	v_mov_b32_e32 v2, 0
	s_mov_b32 s81, 0
	v_mov_b32_e32 v1, v2
                                        ; implicit-def: $vgpr0
	s_waitcnt vmcnt(0)
	v_mov_b32_e32 v4, v10
.LBB513_843:
	s_and_b32 s16, s82, 3
	s_cmp_eq_u32 s16, 0
	s_cbranch_scc1 .LBB513_846
; %bb.844:
	s_lshl_b32 s12, s81, 3
	s_add_u32 s12, s34, s12
	s_addc_u32 s13, s35, 0
	s_add_u32 s12, s12, 0xc4
	s_addc_u32 s13, s13, 0
	s_mul_i32 s14, s81, 12
	s_add_u32 s14, s34, s14
	s_addc_u32 s15, s35, 0
.LBB513_845:                            ; =>This Inner Loop Header: Depth=1
	s_load_dwordx2 s[18:19], s[14:15], 0x4
	s_load_dword s17, s[14:15], 0xc
	s_load_dwordx2 s[20:21], s[12:13], 0x0
	v_mov_b32_e32 v0, v1
	s_add_u32 s14, s14, 12
	s_waitcnt lgkmcnt(0)
	v_mul_hi_u32 v1, s19, v4
	v_add_u32_e32 v1, v4, v1
	v_lshrrev_b32_e32 v1, s17, v1
	s_addc_u32 s15, s15, 0
	v_mul_lo_u32 v3, v1, s18
	s_add_u32 s12, s12, 8
	v_sub_u32_e32 v3, v4, v3
	s_addc_u32 s13, s13, 0
	s_add_i32 s16, s16, -1
	v_mov_b32_e32 v4, v1
	v_mad_u64_u32 v[0:1], s[18:19], v3, s21, v[0:1]
	s_cmp_lg_u32 s16, 0
	v_mad_u64_u32 v[2:3], s[18:19], v3, s20, v[2:3]
	v_mov_b32_e32 v1, v0
	s_cbranch_scc1 .LBB513_845
.LBB513_846:
	s_mov_b64 s[12:13], 0
.LBB513_847:
	s_andn2_b64 vcc, exec, s[12:13]
	s_cbranch_vccnz .LBB513_850
; %bb.848:
	v_mul_hi_u32 v0, s29, v10
	v_add_u32_e32 v0, v10, v0
	v_lshrrev_b32_e32 v1, s30, v0
	v_mul_lo_u32 v0, v1, s28
	v_sub_u32_e32 v2, v10, v0
	v_mul_lo_u32 v0, v2, s37
	s_andn2_b64 vcc, exec, s[54:55]
	v_mul_lo_u32 v2, v2, s36
	s_cbranch_vccnz .LBB513_850
; %bb.849:
	v_mul_hi_u32 v3, s52, v1
	v_add_u32_e32 v3, v1, v3
	v_lshrrev_b32_e32 v3, s53, v3
	v_mul_lo_u32 v3, v3, s31
	v_sub_u32_e32 v1, v1, v3
	v_mad_u64_u32 v[2:3], s[12:13], v1, s38, v[2:3]
	v_mad_u64_u32 v[0:1], s[12:13], v1, s39, v[0:1]
.LBB513_850:
	v_mov_b32_e32 v1, 0
	s_and_b32 s20, 0xffff, s80
	s_cmp_lt_i32 s20, 11
	v_lshl_add_u64 v[0:1], s[6:7], 0, v[0:1]
	s_cbranch_scc1 .LBB513_857
; %bb.851:
	s_cmp_gt_i32 s20, 25
	s_mov_b64 s[12:13], 0
	s_cbranch_scc0 .LBB513_858
; %bb.852:
	s_cmp_gt_i32 s20, 28
	s_cbranch_scc0 .LBB513_859
; %bb.853:
	s_cmp_gt_i32 s20, 43
	s_cbranch_scc0 .LBB513_860
; %bb.854:
	s_cmp_gt_i32 s20, 45
	s_cbranch_scc0 .LBB513_863
; %bb.855:
	s_cmp_eq_u32 s20, 46
	s_mov_b64 s[16:17], 0
	s_cbranch_scc0 .LBB513_866
; %bb.856:
	global_load_dword v3, v[0:1], off
	s_mov_b64 s[6:7], 0
	s_mov_b64 s[14:15], -1
	s_waitcnt vmcnt(0)
	v_lshlrev_b32_e32 v3, 16, v3
	v_cvt_f64_f32_e32 v[6:7], v3
	s_branch .LBB513_867
.LBB513_857:
	s_mov_b64 s[18:19], -1
	s_mov_b64 s[14:15], 0
	s_mov_b64 s[12:13], 0
	;; [unrolled: 1-line block ×3, first 2 shown]
                                        ; implicit-def: $vgpr6_vgpr7
	s_branch .LBB513_930
.LBB513_858:
	s_mov_b64 s[16:17], -1
	s_mov_b64 s[14:15], 0
	s_mov_b64 s[6:7], s[2:3]
                                        ; implicit-def: $vgpr6_vgpr7
	s_branch .LBB513_898
.LBB513_859:
	s_mov_b64 s[16:17], -1
	s_mov_b64 s[14:15], 0
	s_mov_b64 s[6:7], s[2:3]
                                        ; implicit-def: $vgpr6_vgpr7
	s_branch .LBB513_877
.LBB513_860:
	s_mov_b64 s[16:17], -1
	s_mov_b64 s[14:15], 0
	s_mov_b64 s[6:7], s[2:3]
                                        ; implicit-def: $vgpr6_vgpr7
	s_branch .LBB513_872
.LBB513_861:
	s_andn2_saveexec_b64 s[18:19], s[18:19]
	s_cbranch_execz .LBB513_740
.LBB513_862:
	s_mov_b32 s22, 0x46000000
	v_add_f32_e64 v3, |v2|, s22
	v_and_b32_e32 v3, 0xff, v3
	v_cmp_ne_u32_e32 vcc, 0, v3
	s_andn2_b64 s[16:17], s[16:17], exec
	s_and_b64 s[22:23], vcc, exec
	s_or_b64 s[16:17], s[16:17], s[22:23]
	s_or_b64 exec, exec, s[18:19]
	v_mov_b32_e32 v6, 0
	s_and_saveexec_b64 s[18:19], s[16:17]
	s_cbranch_execnz .LBB513_741
	s_branch .LBB513_742
.LBB513_863:
	s_mov_b64 s[16:17], -1
	s_mov_b64 s[14:15], 0
	s_mov_b64 s[6:7], s[2:3]
                                        ; implicit-def: $vgpr6_vgpr7
	s_branch .LBB513_867
.LBB513_864:
	s_andn2_saveexec_b64 s[18:19], s[18:19]
	s_cbranch_execz .LBB513_753
.LBB513_865:
	s_mov_b32 s22, 0x42800000
	v_add_f32_e64 v3, |v2|, s22
	v_and_b32_e32 v3, 0xff, v3
	v_cmp_ne_u32_e32 vcc, 0, v3
	s_andn2_b64 s[16:17], s[16:17], exec
	s_and_b64 s[22:23], vcc, exec
	s_or_b64 s[16:17], s[16:17], s[22:23]
	s_or_b64 exec, exec, s[18:19]
	v_mov_b32_e32 v6, 0
	s_and_saveexec_b64 s[18:19], s[16:17]
	s_cbranch_execnz .LBB513_754
	s_branch .LBB513_755
.LBB513_866:
	s_mov_b64 s[6:7], -1
                                        ; implicit-def: $vgpr6_vgpr7
	s_mov_b64 s[14:15], 0
.LBB513_867:
	s_and_b64 vcc, exec, s[16:17]
	s_cbranch_vccz .LBB513_871
; %bb.868:
	s_cmp_eq_u32 s20, 44
	s_cbranch_scc0 .LBB513_870
; %bb.869:
	global_load_ubyte v3, v[0:1], off
	s_movk_i32 s14, 0xff
	v_bfrev_b32_e32 v6, 4
	v_mov_b32_e32 v7, 0x7ff80000
	v_bfrev_b32_e32 v8, 28
	s_mov_b64 s[6:7], 0
	s_waitcnt vmcnt(0)
	v_lshlrev_b32_e32 v4, 23, v3
	v_cvt_f64_f32_e32 v[4:5], v4
	v_cmp_ne_u32_e32 vcc, s14, v3
	s_mov_b64 s[14:15], -1
	s_nop 0
	v_cndmask_b32_e32 v4, v6, v4, vcc
	v_cndmask_b32_e32 v5, v7, v5, vcc
	v_cmp_ne_u32_e32 vcc, 0, v3
	s_nop 1
	v_cndmask_b32_e32 v7, v8, v5, vcc
	v_cndmask_b32_e32 v6, 0, v4, vcc
	s_branch .LBB513_871
.LBB513_870:
	s_mov_b64 s[6:7], -1
                                        ; implicit-def: $vgpr6_vgpr7
.LBB513_871:
	s_mov_b64 s[16:17], 0
.LBB513_872:
	s_and_b64 vcc, exec, s[16:17]
	s_cbranch_vccz .LBB513_876
; %bb.873:
	s_cmp_eq_u32 s20, 29
	s_cbranch_scc0 .LBB513_875
; %bb.874:
	global_load_dwordx2 v[4:5], v[0:1], off
	s_mov_b64 s[6:7], 0
	s_mov_b64 s[14:15], -1
	s_mov_b64 s[16:17], 0
	s_waitcnt vmcnt(0)
	v_cvt_f64_u32_e32 v[6:7], v5
	v_cvt_f64_u32_e32 v[4:5], v4
	v_ldexp_f64 v[6:7], v[6:7], 32
	v_add_f64 v[6:7], v[6:7], v[4:5]
	s_branch .LBB513_877
.LBB513_875:
	s_mov_b64 s[6:7], -1
                                        ; implicit-def: $vgpr6_vgpr7
.LBB513_876:
	s_mov_b64 s[16:17], 0
.LBB513_877:
	s_and_b64 vcc, exec, s[16:17]
	s_cbranch_vccz .LBB513_897
; %bb.878:
	s_cmp_lt_i32 s20, 27
	s_cbranch_scc1 .LBB513_881
; %bb.879:
	s_cmp_gt_i32 s20, 27
	s_cbranch_scc0 .LBB513_882
; %bb.880:
	global_load_dword v3, v[0:1], off
	s_mov_b64 s[14:15], 0
	s_waitcnt vmcnt(0)
	v_cvt_f64_u32_e32 v[6:7], v3
	s_branch .LBB513_883
.LBB513_881:
	s_mov_b64 s[14:15], -1
                                        ; implicit-def: $vgpr6_vgpr7
	s_branch .LBB513_886
.LBB513_882:
	s_mov_b64 s[14:15], -1
                                        ; implicit-def: $vgpr6_vgpr7
.LBB513_883:
	s_andn2_b64 vcc, exec, s[14:15]
	s_cbranch_vccnz .LBB513_885
; %bb.884:
	global_load_ushort v3, v[0:1], off
	s_waitcnt vmcnt(0)
	v_cvt_f64_u32_e32 v[6:7], v3
.LBB513_885:
	s_mov_b64 s[14:15], 0
.LBB513_886:
	s_andn2_b64 vcc, exec, s[14:15]
	s_cbranch_vccnz .LBB513_896
; %bb.887:
	global_load_ubyte v3, v[0:1], off
	s_movk_i32 s14, 0x7f
	s_waitcnt vmcnt(0)
	v_cmp_lt_i16_e32 vcc, s14, v3
	s_mov_b64 s[14:15], 0
	s_and_saveexec_b64 s[16:17], vcc
	s_xor_b64 s[16:17], exec, s[16:17]
	s_cbranch_execz .LBB513_891
; %bb.888:
	s_movk_i32 s14, 0x80
	v_cmp_eq_u16_e32 vcc, s14, v3
	s_mov_b64 s[14:15], -1
	s_and_saveexec_b64 s[18:19], vcc
; %bb.889:
	s_xor_b64 s[14:15], exec, -1
; %bb.890:
	s_or_b64 exec, exec, s[18:19]
	s_and_b64 s[14:15], s[14:15], exec
.LBB513_891:
	s_or_saveexec_b64 s[16:17], s[16:17]
	v_bfrev_b32_e32 v6, 4
	v_mov_b32_e32 v7, 0x7ff80000
	s_xor_b64 exec, exec, s[16:17]
; %bb.892:
	v_cmp_ne_u16_e32 vcc, 0, v3
	s_andn2_b64 s[14:15], s[14:15], exec
	s_and_b64 s[18:19], vcc, exec
	v_mov_b64_e32 v[6:7], 0
	s_or_b64 s[14:15], s[14:15], s[18:19]
; %bb.893:
	s_or_b64 exec, exec, s[16:17]
	s_and_saveexec_b64 s[16:17], s[14:15]
	s_cbranch_execz .LBB513_895
; %bb.894:
	v_lshlrev_b32_e32 v4, 24, v3
	v_and_b32_e32 v3, 0xffff, v3
	v_and_b32_e32 v5, 7, v3
	v_ffbh_u32_e32 v7, v5
	v_min_u32_e32 v7, 32, v7
	v_subrev_u32_e32 v8, 28, v7
	v_bfe_u32 v6, v3, 3, 4
	v_lshlrev_b32_e32 v3, v8, v3
	v_sub_u32_e32 v7, 29, v7
	v_and_b32_e32 v3, 7, v3
	v_cmp_eq_u32_e32 vcc, 0, v6
	v_and_b32_e32 v4, 0x80000000, v4
	s_nop 0
	v_cndmask_b32_e32 v6, v6, v7, vcc
	v_cndmask_b32_e32 v3, v5, v3, vcc
	v_mov_b32_e32 v5, 0x3b800000
	v_lshlrev_b32_e32 v3, 20, v3
	v_lshl_add_u32 v5, v6, 23, v5
	v_or3_b32 v3, v4, v5, v3
	v_cvt_f64_f32_e32 v[6:7], v3
.LBB513_895:
	s_or_b64 exec, exec, s[16:17]
.LBB513_896:
	s_mov_b64 s[14:15], -1
.LBB513_897:
	s_mov_b64 s[16:17], 0
.LBB513_898:
	s_and_b64 vcc, exec, s[16:17]
	s_cbranch_vccz .LBB513_929
; %bb.899:
	s_cmp_gt_i32 s20, 22
	s_cbranch_scc0 .LBB513_911
; %bb.900:
	s_cmp_lt_i32 s20, 24
	s_cbranch_scc1 .LBB513_912
; %bb.901:
	s_cmp_gt_i32 s20, 24
	s_cbranch_scc0 .LBB513_913
; %bb.902:
	global_load_ubyte v3, v[0:1], off
	s_movk_i32 s12, 0x7f
	s_waitcnt vmcnt(0)
	v_cmp_lt_i16_e32 vcc, s12, v3
	s_mov_b64 s[12:13], 0
	s_and_saveexec_b64 s[14:15], vcc
	s_xor_b64 s[14:15], exec, s[14:15]
	s_cbranch_execz .LBB513_906
; %bb.903:
	s_movk_i32 s12, 0x80
	v_cmp_eq_u16_e32 vcc, s12, v3
	s_mov_b64 s[12:13], -1
	s_and_saveexec_b64 s[16:17], vcc
; %bb.904:
	s_xor_b64 s[12:13], exec, -1
; %bb.905:
	s_or_b64 exec, exec, s[16:17]
	s_and_b64 s[12:13], s[12:13], exec
.LBB513_906:
	s_or_saveexec_b64 s[14:15], s[14:15]
	v_bfrev_b32_e32 v6, 4
	v_mov_b32_e32 v7, 0x7ff80000
	s_xor_b64 exec, exec, s[14:15]
; %bb.907:
	v_cmp_ne_u16_e32 vcc, 0, v3
	s_andn2_b64 s[12:13], s[12:13], exec
	s_and_b64 s[16:17], vcc, exec
	v_mov_b64_e32 v[6:7], 0
	s_or_b64 s[12:13], s[12:13], s[16:17]
; %bb.908:
	s_or_b64 exec, exec, s[14:15]
	s_and_saveexec_b64 s[14:15], s[12:13]
	s_cbranch_execz .LBB513_910
; %bb.909:
	v_lshlrev_b32_e32 v4, 24, v3
	v_and_b32_e32 v3, 0xffff, v3
	v_and_b32_e32 v5, 3, v3
	v_ffbh_u32_e32 v7, v5
	v_min_u32_e32 v7, 32, v7
	v_subrev_u32_e32 v8, 29, v7
	v_bfe_u32 v6, v3, 2, 5
	v_lshlrev_b32_e32 v3, v8, v3
	v_sub_u32_e32 v7, 30, v7
	v_and_b32_e32 v3, 3, v3
	v_cmp_eq_u32_e32 vcc, 0, v6
	v_and_b32_e32 v4, 0x80000000, v4
	s_nop 0
	v_cndmask_b32_e32 v6, v6, v7, vcc
	v_cndmask_b32_e32 v3, v5, v3, vcc
	v_mov_b32_e32 v5, 0x37800000
	v_lshlrev_b32_e32 v3, 21, v3
	v_lshl_add_u32 v5, v6, 23, v5
	v_or3_b32 v3, v4, v5, v3
	v_cvt_f64_f32_e32 v[6:7], v3
.LBB513_910:
	s_or_b64 exec, exec, s[14:15]
	s_mov_b64 s[12:13], 0
	s_branch .LBB513_914
.LBB513_911:
	s_mov_b64 s[12:13], -1
                                        ; implicit-def: $vgpr6_vgpr7
	s_branch .LBB513_920
.LBB513_912:
	s_mov_b64 s[12:13], -1
                                        ; implicit-def: $vgpr6_vgpr7
	s_branch .LBB513_917
.LBB513_913:
	s_mov_b64 s[12:13], -1
                                        ; implicit-def: $vgpr6_vgpr7
.LBB513_914:
	s_and_b64 vcc, exec, s[12:13]
	s_cbranch_vccz .LBB513_916
; %bb.915:
	global_load_ubyte v3, v[0:1], off
	s_mov_b32 s12, 0x7f800000
	s_waitcnt vmcnt(0)
	v_lshlrev_b32_e32 v3, 24, v3
	v_and_b32_e32 v4, 0x7f000000, v3
	v_ffbh_u32_e32 v5, v4
	v_min_u32_e32 v5, 32, v5
	v_sub_u32_e64 v5, v5, 4 clamp
	v_lshlrev_b32_e32 v7, v5, v4
	v_lshlrev_b32_e32 v5, 23, v5
	v_lshrrev_b32_e32 v7, 4, v7
	v_add_u32_e32 v6, 0x1000000, v4
	v_sub_u32_e32 v5, v7, v5
	v_ashrrev_i32_e32 v6, 8, v6
	v_add_u32_e32 v5, 0x3c000000, v5
	v_and_or_b32 v5, v6, s12, v5
	v_cmp_ne_u32_e32 vcc, 0, v4
	s_brev_b32 s12, 1
	s_nop 0
	v_cndmask_b32_e32 v4, 0, v5, vcc
	v_and_or_b32 v3, v3, s12, v4
	v_cvt_f64_f32_e32 v[6:7], v3
.LBB513_916:
	s_mov_b64 s[12:13], 0
.LBB513_917:
	s_andn2_b64 vcc, exec, s[12:13]
	s_cbranch_vccnz .LBB513_919
; %bb.918:
	global_load_ubyte v3, v[0:1], off
	s_movk_i32 s12, 0x7f00
	s_brev_b32 s13, 16
	s_waitcnt vmcnt(0)
	v_lshlrev_b16_e32 v4, 8, v3
	v_lshlrev_b32_e32 v3, 25, v3
	v_lshrrev_b32_e32 v5, 4, v3
	v_and_or_b32 v6, v4, s12, 0.5
	v_or_b32_e32 v5, 0x70000000, v5
	v_add_f32_e32 v6, -0.5, v6
	v_mul_f32_e32 v5, 0x7800000, v5
	v_cmp_gt_u32_e32 vcc, s13, v3
	v_bfe_i32 v4, v4, 0, 16
	s_brev_b32 s12, 1
	v_cndmask_b32_e32 v3, v5, v6, vcc
	v_and_or_b32 v3, v4, s12, v3
	v_cvt_f64_f32_e32 v[6:7], v3
.LBB513_919:
	s_mov_b64 s[12:13], 0
	s_mov_b64 s[14:15], -1
.LBB513_920:
	s_andn2_b64 vcc, exec, s[12:13]
	s_mov_b64 s[12:13], 0
	s_cbranch_vccnz .LBB513_929
; %bb.921:
	s_cmp_gt_i32 s20, 14
	s_cbranch_scc0 .LBB513_924
; %bb.922:
	s_cmp_eq_u32 s20, 15
	s_cbranch_scc0 .LBB513_925
; %bb.923:
	global_load_ushort v3, v[0:1], off
	s_mov_b64 s[6:7], 0
	s_mov_b64 s[14:15], -1
	s_waitcnt vmcnt(0)
	v_lshlrev_b32_e32 v3, 16, v3
	v_cvt_f64_f32_e32 v[6:7], v3
	s_branch .LBB513_926
.LBB513_924:
	s_mov_b64 s[16:17], -1
                                        ; implicit-def: $vgpr6_vgpr7
	s_branch .LBB513_927
.LBB513_925:
	s_mov_b64 s[6:7], -1
                                        ; implicit-def: $vgpr6_vgpr7
.LBB513_926:
	s_mov_b64 s[16:17], 0
.LBB513_927:
	s_and_b64 vcc, exec, s[16:17]
	s_cbranch_vccz .LBB513_929
; %bb.928:
	s_cmp_lg_u32 s20, 11
	s_cselect_b64 s[16:17], -1, 0
	s_andn2_b64 s[6:7], s[6:7], exec
	s_and_b64 s[16:17], s[16:17], exec
	s_mov_b64 s[12:13], -1
	s_or_b64 s[6:7], s[6:7], s[16:17]
.LBB513_929:
	s_mov_b64 s[18:19], 0
.LBB513_930:
	s_and_b64 s[16:17], s[14:15], exec
	s_and_b64 s[14:15], s[18:19], exec
	s_andn2_b64 s[18:19], s[2:3], exec
	s_and_b64 s[6:7], s[6:7], exec
	s_and_b64 s[12:13], s[12:13], exec
	s_or_b64 s[18:19], s[18:19], s[6:7]
.LBB513_931:
	s_or_b64 exec, exec, s[76:77]
	s_andn2_b64 s[2:3], s[2:3], exec
	s_and_b64 s[6:7], s[18:19], exec
	s_and_b64 s[16:17], s[16:17], exec
	;; [unrolled: 1-line block ×4, first 2 shown]
	s_or_b64 s[2:3], s[2:3], s[6:7]
.LBB513_932:
	s_or_b64 exec, exec, s[72:73]
	s_andn2_b64 s[6:7], s[68:69], exec
	s_and_b64 s[18:19], s[74:75], exec
	s_or_b64 s[68:69], s[6:7], s[18:19]
	s_andn2_b64 s[6:7], s[66:67], exec
	s_and_b64 s[2:3], s[2:3], exec
	s_and_b64 s[16:17], s[16:17], exec
	;; [unrolled: 1-line block ×4, first 2 shown]
	s_or_b64 s[66:67], s[6:7], s[2:3]
.LBB513_933:
	s_or_b64 exec, exec, s[70:71]
	s_andn2_b64 s[2:3], s[60:61], exec
	s_and_b64 s[6:7], s[68:69], exec
	s_or_b64 s[60:61], s[2:3], s[6:7]
	s_and_b64 s[68:69], s[12:13], exec
	s_andn2_b64 s[6:7], s[62:63], exec
	s_and_b64 s[12:13], s[66:67], exec
	s_and_b64 s[2:3], s[16:17], exec
	;; [unrolled: 1-line block ×3, first 2 shown]
	s_or_b64 s[62:63], s[6:7], s[12:13]
	s_or_b64 exec, exec, s[64:65]
	s_mov_b64 s[6:7], 0
	s_and_saveexec_b64 s[12:13], s[62:63]
	s_cbranch_execz .LBB513_280
.LBB513_934:
	s_mov_b64 s[6:7], exec
	s_andn2_b64 s[68:69], s[68:69], exec
	s_trap 2
	s_or_b64 exec, exec, s[12:13]
	s_and_saveexec_b64 s[12:13], s[68:69]
	s_xor_b64 s[12:13], exec, s[12:13]
	s_cbranch_execnz .LBB513_281
.LBB513_935:
	s_or_b64 exec, exec, s[12:13]
	s_and_saveexec_b64 s[12:13], s[14:15]
	s_cbranch_execz .LBB513_981
.LBB513_936:
	s_sext_i32_i16 s14, s80
	s_cmp_lt_i32 s14, 5
	s_cbranch_scc1 .LBB513_941
; %bb.937:
	s_cmp_lt_i32 s14, 8
	s_cbranch_scc1 .LBB513_942
; %bb.938:
	;; [unrolled: 3-line block ×3, first 2 shown]
	s_cmp_gt_i32 s14, 9
	s_cbranch_scc0 .LBB513_944
; %bb.940:
	global_load_dwordx2 v[6:7], v[0:1], off
	s_mov_b64 s[14:15], 0
	s_branch .LBB513_945
.LBB513_941:
                                        ; implicit-def: $vgpr6_vgpr7
	s_branch .LBB513_962
.LBB513_942:
                                        ; implicit-def: $vgpr6_vgpr7
	s_branch .LBB513_951
.LBB513_943:
	s_mov_b64 s[14:15], -1
                                        ; implicit-def: $vgpr6_vgpr7
	s_branch .LBB513_948
.LBB513_944:
	s_mov_b64 s[14:15], -1
                                        ; implicit-def: $vgpr6_vgpr7
.LBB513_945:
	s_andn2_b64 vcc, exec, s[14:15]
	s_cbranch_vccnz .LBB513_947
; %bb.946:
	global_load_dword v3, v[0:1], off
	s_waitcnt vmcnt(0)
	v_cvt_f64_f32_e32 v[6:7], v3
.LBB513_947:
	s_mov_b64 s[14:15], 0
.LBB513_948:
	s_andn2_b64 vcc, exec, s[14:15]
	s_cbranch_vccnz .LBB513_950
; %bb.949:
	global_load_dword v3, v[0:1], off
	s_waitcnt vmcnt(0)
	v_cvt_f32_f16_e32 v3, v3
	v_cvt_f64_f32_e32 v[6:7], v3
.LBB513_950:
	s_cbranch_execnz .LBB513_961
.LBB513_951:
	s_sext_i32_i16 s14, s80
	s_cmp_lt_i32 s14, 6
	s_cbranch_scc1 .LBB513_954
; %bb.952:
	s_cmp_gt_i32 s14, 6
	s_cbranch_scc0 .LBB513_955
; %bb.953:
	global_load_dwordx2 v[6:7], v[0:1], off
	s_mov_b64 s[14:15], 0
	s_branch .LBB513_956
.LBB513_954:
	s_mov_b64 s[14:15], -1
                                        ; implicit-def: $vgpr6_vgpr7
	s_branch .LBB513_959
.LBB513_955:
	s_mov_b64 s[14:15], -1
                                        ; implicit-def: $vgpr6_vgpr7
.LBB513_956:
	s_andn2_b64 vcc, exec, s[14:15]
	s_cbranch_vccnz .LBB513_958
; %bb.957:
	global_load_dword v3, v[0:1], off
	s_waitcnt vmcnt(0)
	v_cvt_f64_f32_e32 v[6:7], v3
.LBB513_958:
	s_mov_b64 s[14:15], 0
.LBB513_959:
	s_andn2_b64 vcc, exec, s[14:15]
	s_cbranch_vccnz .LBB513_961
; %bb.960:
	global_load_ushort v3, v[0:1], off
	s_waitcnt vmcnt(0)
	v_cvt_f32_f16_e32 v3, v3
	v_cvt_f64_f32_e32 v[6:7], v3
.LBB513_961:
	s_cbranch_execnz .LBB513_980
.LBB513_962:
	s_sext_i32_i16 s14, s80
	s_cmp_lt_i32 s14, 2
	s_cbranch_scc1 .LBB513_966
; %bb.963:
	s_cmp_lt_i32 s14, 3
	s_cbranch_scc1 .LBB513_967
; %bb.964:
	s_cmp_gt_i32 s14, 3
	s_cbranch_scc0 .LBB513_968
; %bb.965:
	global_load_dwordx2 v[4:5], v[0:1], off
	s_mov_b64 s[14:15], 0
	s_waitcnt vmcnt(0)
	v_cvt_f64_i32_e32 v[6:7], v5
	v_cvt_f64_u32_e32 v[4:5], v4
	v_ldexp_f64 v[6:7], v[6:7], 32
	v_add_f64 v[6:7], v[6:7], v[4:5]
	s_branch .LBB513_969
.LBB513_966:
                                        ; implicit-def: $vgpr6_vgpr7
	s_branch .LBB513_975
.LBB513_967:
	s_mov_b64 s[14:15], -1
                                        ; implicit-def: $vgpr6_vgpr7
	s_branch .LBB513_972
.LBB513_968:
	s_mov_b64 s[14:15], -1
                                        ; implicit-def: $vgpr6_vgpr7
.LBB513_969:
	s_andn2_b64 vcc, exec, s[14:15]
	s_cbranch_vccnz .LBB513_971
; %bb.970:
	global_load_dword v3, v[0:1], off
	s_waitcnt vmcnt(0)
	v_cvt_f64_i32_e32 v[6:7], v3
.LBB513_971:
	s_mov_b64 s[14:15], 0
.LBB513_972:
	s_andn2_b64 vcc, exec, s[14:15]
	s_cbranch_vccnz .LBB513_974
; %bb.973:
	global_load_sshort v3, v[0:1], off
	s_waitcnt vmcnt(0)
	v_cvt_f64_i32_e32 v[6:7], v3
.LBB513_974:
	s_cbranch_execnz .LBB513_980
.LBB513_975:
	s_sext_i32_i16 s14, s80
	s_cmp_gt_i32 s14, 0
	s_cbranch_scc0 .LBB513_977
; %bb.976:
	global_load_sbyte v3, v[0:1], off
	s_mov_b64 s[14:15], 0
	s_waitcnt vmcnt(0)
	v_cvt_f64_i32_e32 v[6:7], v3
	s_branch .LBB513_978
.LBB513_977:
	s_mov_b64 s[14:15], -1
                                        ; implicit-def: $vgpr6_vgpr7
.LBB513_978:
	s_andn2_b64 vcc, exec, s[14:15]
	s_cbranch_vccnz .LBB513_980
; %bb.979:
	global_load_ubyte v0, v[0:1], off
	s_waitcnt vmcnt(0)
	v_cvt_f64_u32_e32 v[6:7], v0
.LBB513_980:
	s_or_b64 s[2:3], s[2:3], exec
.LBB513_981:
	s_or_b64 exec, exec, s[12:13]
	s_mov_b64 s[16:17], 0
	s_mov_b64 s[14:15], 0
                                        ; implicit-def: $sgpr18
                                        ; implicit-def: $vgpr4_vgpr5
                                        ; implicit-def: $vgpr0_vgpr1
	s_and_saveexec_b64 s[12:13], s[2:3]
	s_cbranch_execz .LBB513_1060
; %bb.982:
	s_waitcnt vmcnt(0)
	v_cmp_o_f64_e32 vcc, v[6:7], v[6:7]
	v_mov_b64_e32 v[0:1], s[8:9]
	s_and_saveexec_b64 s[2:3], vcc
	s_cbranch_execz .LBB513_986
; %bb.983:
	s_mov_b32 s8, 0
	s_mov_b32 s9, 0x7ff00000
	v_cmp_neq_f64_e32 vcc, s[8:9], v[6:7]
	v_mov_b64_e32 v[0:1], s[10:11]
	s_and_saveexec_b64 s[8:9], vcc
; %bb.984:
	s_mov_b32 s10, 0
	s_mov_b32 s11, 0xfff00000
	v_mov_b32_e32 v0, s51
	v_cmp_eq_f64_e32 vcc, s[10:11], v[6:7]
	s_nop 1
	v_cndmask_b32_e32 v1, v7, v0, vcc
	v_mov_b32_e32 v0, s50
	v_cndmask_b32_e32 v0, v6, v0, vcc
; %bb.985:
	s_or_b64 exec, exec, s[8:9]
.LBB513_986:
	s_or_b64 exec, exec, s[2:3]
	v_mov_b32_e32 v3, 0
	s_and_b32 s18, s79, 0xff
	s_cmp_lt_i32 s18, 11
	v_lshl_add_u64 v[4:5], s[4:5], 0, v[2:3]
	s_cbranch_scc1 .LBB513_1063
; %bb.987:
	s_and_b32 s16, 0xffff, s18
	s_mov_b64 s[8:9], -1
	s_cmp_gt_i32 s16, 25
	s_mov_b64 s[2:3], s[60:61]
	s_cbranch_scc0 .LBB513_1020
; %bb.988:
	s_mov_b64 s[4:5], -1
	s_cmp_gt_i32 s16, 28
	s_mov_b64 s[2:3], s[60:61]
	s_cbranch_scc0 .LBB513_1004
; %bb.989:
	s_cmp_gt_i32 s16, 43
	s_mov_b64 s[2:3], s[60:61]
	s_cbranch_scc0 .LBB513_1000
; %bb.990:
	;; [unrolled: 4-line block ×3, first 2 shown]
	s_cmp_eq_u32 s16, 46
	s_mov_b64 s[2:3], -1
	s_cbranch_scc0 .LBB513_993
; %bb.992:
	v_cvt_f32_f64_e32 v2, v[0:1]
	v_bfe_u32 v3, v2, 16, 1
	s_movk_i32 s2, 0x7fff
	v_add3_u32 v3, v2, v3, s2
	v_cmp_o_f32_e32 vcc, v2, v2
	v_mov_b32_e32 v2, 0x7fc0
	s_mov_b64 s[2:3], 0
	v_cndmask_b32_sdwa v2, v2, v3, vcc dst_sel:DWORD dst_unused:UNUSED_PAD src0_sel:DWORD src1_sel:WORD_1
	global_store_dword v[4:5], v2, off
.LBB513_993:
	s_mov_b64 s[4:5], 0
.LBB513_994:
	s_and_b64 vcc, exec, s[4:5]
	s_cbranch_vccz .LBB513_999
; %bb.995:
	s_cmp_eq_u32 s16, 44
	s_mov_b64 s[2:3], -1
	s_cbranch_scc0 .LBB513_999
; %bb.996:
	v_cvt_f32_f64_e32 v2, v[0:1]
	v_bfe_u32 v3, v2, 23, 8
	s_movk_i32 s2, 0xff
	v_cmp_ne_u32_e32 vcc, s2, v3
	v_mov_b32_e32 v6, 0xff
	s_and_saveexec_b64 s[4:5], vcc
; %bb.997:
	s_mov_b32 s2, 0x3fffff
	v_lshrrev_b32_e32 v6, 23, v2
	v_and_b32_e32 v7, 0x400000, v2
	v_and_or_b32 v2, v2, s2, v3
	v_cmp_ne_u32_e32 vcc, 0, v7
	v_cmp_ne_u32_e64 s[2:3], 0, v2
	s_and_b64 s[2:3], vcc, s[2:3]
	s_nop 0
	v_cndmask_b32_e64 v2, 0, 1, s[2:3]
	v_add_u32_e32 v6, v6, v2
; %bb.998:
	s_or_b64 exec, exec, s[4:5]
	s_mov_b64 s[2:3], 0
	global_store_byte v[4:5], v6, off
.LBB513_999:
	s_mov_b64 s[4:5], 0
.LBB513_1000:
	s_and_b64 vcc, exec, s[4:5]
	s_cbranch_vccz .LBB513_1003
; %bb.1001:
	s_cmp_eq_u32 s16, 29
	s_mov_b64 s[2:3], -1
	s_cbranch_scc0 .LBB513_1003
; %bb.1002:
	v_trunc_f64_e32 v[2:3], v[0:1]
	s_movk_i32 s2, 0xffe0
	v_ldexp_f64 v[6:7], v[2:3], s2
	v_floor_f64_e32 v[6:7], v[6:7]
	v_fmac_f64_e32 v[2:3], 0xc1f00000, v[6:7]
	v_cvt_u32_f64_e32 v9, v[6:7]
	v_cvt_u32_f64_e32 v8, v[2:3]
	global_store_dwordx2 v[4:5], v[8:9], off
	s_mov_b64 s[2:3], 0
.LBB513_1003:
	s_mov_b64 s[4:5], 0
.LBB513_1004:
	s_and_b64 vcc, exec, s[4:5]
	s_cbranch_vccz .LBB513_1019
; %bb.1005:
	s_cmp_lt_i32 s16, 27
	s_mov_b64 s[4:5], -1
	s_cbranch_scc1 .LBB513_1011
; %bb.1006:
	s_cmp_gt_i32 s16, 27
	s_cbranch_scc0 .LBB513_1008
; %bb.1007:
	v_cvt_u32_f64_e32 v2, v[0:1]
	s_mov_b64 s[4:5], 0
	global_store_dword v[4:5], v2, off
.LBB513_1008:
	s_andn2_b64 vcc, exec, s[4:5]
	s_cbranch_vccnz .LBB513_1010
; %bb.1009:
	v_cvt_u32_f64_e32 v2, v[0:1]
	global_store_short v[4:5], v2, off
.LBB513_1010:
	s_mov_b64 s[4:5], 0
.LBB513_1011:
	s_andn2_b64 vcc, exec, s[4:5]
	s_cbranch_vccnz .LBB513_1019
; %bb.1012:
	v_cvt_f32_f64_e32 v2, v[0:1]
	v_and_b32_e32 v3, 0x7fffffff, v2
	s_mov_b32 s4, 0x43800000
	v_cmp_gt_u32_e32 vcc, s4, v3
	v_mov_b32_e32 v6, 0x80
	s_and_saveexec_b64 s[4:5], vcc
	s_cbranch_execz .LBB513_1018
; %bb.1013:
	s_mov_b32 s8, 0x3bffffff
	v_cmp_lt_u32_e32 vcc, s8, v3
	s_mov_b64 s[8:9], 0
                                        ; implicit-def: $vgpr3
	s_and_saveexec_b64 s[10:11], vcc
	s_xor_b64 s[10:11], exec, s[10:11]
	s_cbranch_execz .LBB513_1176
; %bb.1014:
	v_bfe_u32 v3, v2, 20, 1
	s_mov_b32 s14, 0x487ffff
	v_add3_u32 v3, v2, v3, s14
	s_mov_b64 s[8:9], exec
	v_lshrrev_b32_e32 v3, 20, v3
	s_andn2_saveexec_b64 s[10:11], s[10:11]
	s_cbranch_execnz .LBB513_1177
.LBB513_1015:
	s_or_b64 exec, exec, s[10:11]
	v_mov_b32_e32 v6, 0
	s_and_saveexec_b64 s[10:11], s[8:9]
.LBB513_1016:
	v_lshrrev_b32_e32 v2, 24, v2
	s_movk_i32 s8, 0x80
	v_and_or_b32 v6, v2, s8, v3
.LBB513_1017:
	s_or_b64 exec, exec, s[10:11]
.LBB513_1018:
	s_or_b64 exec, exec, s[4:5]
	global_store_byte v[4:5], v6, off
.LBB513_1019:
	s_mov_b64 s[8:9], 0
.LBB513_1020:
	s_mov_b64 s[4:5], 0
	s_and_b64 vcc, exec, s[8:9]
	s_cbranch_vccz .LBB513_1064
; %bb.1021:
	s_cmp_gt_i32 s16, 22
	s_mov_b64 s[8:9], -1
	s_cbranch_scc0 .LBB513_1053
; %bb.1022:
	s_cmp_lt_i32 s16, 24
	s_cbranch_scc1 .LBB513_1042
; %bb.1023:
	s_cmp_gt_i32 s16, 24
	s_cbranch_scc0 .LBB513_1031
; %bb.1024:
	v_cvt_f32_f64_e32 v2, v[0:1]
	v_and_b32_e32 v3, 0x7fffffff, v2
	s_mov_b32 s8, 0x47800000
	v_cmp_gt_u32_e32 vcc, s8, v3
	v_mov_b32_e32 v6, 0x80
	s_and_saveexec_b64 s[8:9], vcc
	s_cbranch_execz .LBB513_1030
; %bb.1025:
	s_mov_b32 s10, 0x37ffffff
	v_cmp_lt_u32_e32 vcc, s10, v3
	s_mov_b64 s[10:11], 0
                                        ; implicit-def: $vgpr3
	s_and_saveexec_b64 s[14:15], vcc
	s_xor_b64 s[14:15], exec, s[14:15]
	s_cbranch_execz .LBB513_1305
; %bb.1026:
	v_bfe_u32 v3, v2, 21, 1
	s_mov_b32 s17, 0x88fffff
	v_add3_u32 v3, v2, v3, s17
	s_mov_b64 s[10:11], exec
	v_lshrrev_b32_e32 v3, 21, v3
	s_andn2_saveexec_b64 s[14:15], s[14:15]
	s_cbranch_execnz .LBB513_1306
.LBB513_1027:
	s_or_b64 exec, exec, s[14:15]
	v_mov_b32_e32 v6, 0
	s_and_saveexec_b64 s[14:15], s[10:11]
.LBB513_1028:
	v_lshrrev_b32_e32 v2, 24, v2
	s_movk_i32 s10, 0x80
	v_and_or_b32 v6, v2, s10, v3
.LBB513_1029:
	s_or_b64 exec, exec, s[14:15]
.LBB513_1030:
	s_or_b64 exec, exec, s[8:9]
	s_mov_b64 s[8:9], 0
	global_store_byte v[4:5], v6, off
.LBB513_1031:
	s_and_b64 vcc, exec, s[8:9]
	s_cbranch_vccz .LBB513_1041
; %bb.1032:
	v_cvt_f32_f64_e32 v2, v[0:1]
	v_and_b32_e32 v6, 0x7fffffff, v2
	s_mov_b32 s8, 0x43f00000
	v_cmp_gt_u32_e32 vcc, s8, v6
                                        ; implicit-def: $vgpr3
	s_and_saveexec_b64 s[8:9], vcc
	s_xor_b64 s[8:9], exec, s[8:9]
	s_cbranch_execz .LBB513_1038
; %bb.1033:
	s_mov_b32 s10, 0x3c7fffff
	v_cmp_lt_u32_e32 vcc, s10, v6
                                        ; implicit-def: $vgpr3
	s_and_saveexec_b64 s[10:11], vcc
	s_xor_b64 s[10:11], exec, s[10:11]
; %bb.1034:
	v_bfe_u32 v3, v2, 20, 1
	s_mov_b32 s14, 0x407ffff
	v_add3_u32 v3, v2, v3, s14
	v_lshrrev_b32_e32 v6, 20, v3
	v_and_b32_e32 v3, 0xff00000, v3
	s_mov_b32 s14, 0x7f00000
	v_mov_b32_e32 v7, 0x7e
	v_cmp_ne_u32_e32 vcc, s14, v3
	s_nop 1
	v_cndmask_b32_e32 v3, v7, v6, vcc
; %bb.1035:
	s_andn2_saveexec_b64 s[10:11], s[10:11]
; %bb.1036:
	s_mov_b32 s14, 0x46800000
	v_add_f32_e64 v3, |v2|, s14
; %bb.1037:
	s_or_b64 exec, exec, s[10:11]
                                        ; implicit-def: $vgpr6
.LBB513_1038:
	s_andn2_saveexec_b64 s[8:9], s[8:9]
; %bb.1039:
	s_mov_b32 s10, 0x7f800000
	v_mov_b32_e32 v3, 0x7e
	v_mov_b32_e32 v7, 0x7f
	v_cmp_lt_u32_e32 vcc, s10, v6
	s_nop 1
	v_cndmask_b32_e32 v3, v3, v7, vcc
; %bb.1040:
	s_or_b64 exec, exec, s[8:9]
	v_lshrrev_b32_e32 v2, 24, v2
	s_movk_i32 s8, 0x80
	v_and_or_b32 v2, v2, s8, v3
	global_store_byte v[4:5], v2, off
.LBB513_1041:
	s_mov_b64 s[8:9], 0
.LBB513_1042:
	s_andn2_b64 vcc, exec, s[8:9]
	s_cbranch_vccnz .LBB513_1052
; %bb.1043:
	v_cvt_f32_f64_e32 v2, v[0:1]
	v_and_b32_e32 v6, 0x7fffffff, v2
	s_mov_b32 s8, 0x47800000
	v_cmp_gt_u32_e32 vcc, s8, v6
                                        ; implicit-def: $vgpr3
	s_and_saveexec_b64 s[8:9], vcc
	s_xor_b64 s[8:9], exec, s[8:9]
	s_cbranch_execz .LBB513_1049
; %bb.1044:
	s_mov_b32 s10, 0x387fffff
	v_cmp_lt_u32_e32 vcc, s10, v6
                                        ; implicit-def: $vgpr3
	s_and_saveexec_b64 s[10:11], vcc
	s_xor_b64 s[10:11], exec, s[10:11]
; %bb.1045:
	v_bfe_u32 v3, v2, 21, 1
	s_mov_b32 s14, 0x80fffff
	v_add3_u32 v3, v2, v3, s14
	v_lshrrev_b32_e32 v3, 21, v3
; %bb.1046:
	s_andn2_saveexec_b64 s[10:11], s[10:11]
; %bb.1047:
	s_mov_b32 s14, 0x43000000
	v_add_f32_e64 v3, |v2|, s14
; %bb.1048:
	s_or_b64 exec, exec, s[10:11]
                                        ; implicit-def: $vgpr6
.LBB513_1049:
	s_andn2_saveexec_b64 s[8:9], s[8:9]
; %bb.1050:
	s_mov_b32 s10, 0x7f800000
	v_mov_b32_e32 v3, 0x7c
	v_mov_b32_e32 v7, 0x7f
	v_cmp_lt_u32_e32 vcc, s10, v6
	s_nop 1
	v_cndmask_b32_e32 v3, v3, v7, vcc
; %bb.1051:
	s_or_b64 exec, exec, s[8:9]
	v_lshrrev_b32_e32 v2, 24, v2
	s_movk_i32 s8, 0x80
	v_and_or_b32 v2, v2, s8, v3
	global_store_byte v[4:5], v2, off
.LBB513_1052:
	s_mov_b64 s[8:9], 0
.LBB513_1053:
	s_andn2_b64 vcc, exec, s[8:9]
	s_mov_b64 s[8:9], 0
	s_cbranch_vccnz .LBB513_1065
; %bb.1054:
	s_cmp_gt_i32 s16, 14
	s_mov_b64 s[10:11], -1
	s_cbranch_scc0 .LBB513_1058
; %bb.1055:
	s_cmp_eq_u32 s16, 15
	s_mov_b64 s[2:3], -1
	s_cbranch_scc0 .LBB513_1057
; %bb.1056:
	v_cvt_f32_f64_e32 v2, v[0:1]
	v_bfe_u32 v3, v2, 16, 1
	s_movk_i32 s2, 0x7fff
	v_add3_u32 v3, v2, v3, s2
	v_cmp_o_f32_e32 vcc, v2, v2
	v_mov_b32_e32 v2, 0x7fc0
	s_mov_b64 s[2:3], 0
	v_cndmask_b32_sdwa v2, v2, v3, vcc dst_sel:DWORD dst_unused:UNUSED_PAD src0_sel:DWORD src1_sel:WORD_1
	global_store_short v[4:5], v2, off
.LBB513_1057:
	s_mov_b64 s[10:11], 0
.LBB513_1058:
	s_and_b64 vcc, exec, s[10:11]
	s_cbranch_vccz .LBB513_1065
; %bb.1059:
	s_cmp_lg_u32 s16, 11
	s_cselect_b64 s[10:11], -1, 0
	s_andn2_b64 s[2:3], s[2:3], exec
	s_and_b64 s[10:11], s[10:11], exec
	s_mov_b64 s[8:9], -1
	s_or_b64 s[2:3], s[2:3], s[10:11]
	s_branch .LBB513_1065
.LBB513_1060:
	s_or_b64 exec, exec, s[12:13]
	s_and_saveexec_b64 s[2:3], s[60:61]
	s_cbranch_execnz .LBB513_1066
.LBB513_1061:
	s_or_b64 exec, exec, s[2:3]
	s_and_saveexec_b64 s[2:3], s[16:17]
	s_xor_b64 s[2:3], exec, s[2:3]
	s_cbranch_execz .LBB513_1067
.LBB513_1062:
	v_cmp_neq_f64_e32 vcc, 0, v[0:1]
	s_nop 1
	v_cndmask_b32_e64 v2, 0, 1, vcc
	s_waitcnt vmcnt(0)
	global_store_byte v[4:5], v2, off
	s_or_b64 exec, exec, s[2:3]
	s_and_saveexec_b64 s[2:3], s[14:15]
	s_xor_b64 s[2:3], exec, s[2:3]
	s_cbranch_execz .LBB513_1105
	s_branch .LBB513_1068
.LBB513_1063:
	s_mov_b64 s[8:9], 0
	s_mov_b64 s[4:5], -1
	s_mov_b64 s[2:3], s[60:61]
	s_branch .LBB513_1065
.LBB513_1064:
	s_mov_b64 s[8:9], 0
.LBB513_1065:
	s_and_b64 s[14:15], s[4:5], exec
	s_andn2_b64 s[4:5], s[60:61], exec
	s_and_b64 s[2:3], s[2:3], exec
	s_and_b64 s[16:17], s[8:9], exec
	s_or_b64 s[60:61], s[4:5], s[2:3]
	s_or_b64 exec, exec, s[12:13]
	s_and_saveexec_b64 s[2:3], s[60:61]
	s_cbranch_execz .LBB513_1061
.LBB513_1066:
	s_or_b64 s[6:7], s[6:7], exec
	s_andn2_b64 s[16:17], s[16:17], exec
	s_trap 2
	s_or_b64 exec, exec, s[2:3]
	s_and_saveexec_b64 s[2:3], s[16:17]
	s_xor_b64 s[2:3], exec, s[2:3]
	s_cbranch_execnz .LBB513_1062
.LBB513_1067:
	s_or_b64 exec, exec, s[2:3]
	s_and_saveexec_b64 s[2:3], s[14:15]
	s_xor_b64 s[2:3], exec, s[2:3]
	s_cbranch_execz .LBB513_1105
.LBB513_1068:
	s_sext_i32_i16 s8, s18
	s_cmp_lt_i32 s8, 5
	s_mov_b64 s[4:5], -1
	s_cbranch_scc1 .LBB513_1089
; %bb.1069:
	s_cmp_lt_i32 s8, 8
	s_cbranch_scc1 .LBB513_1079
; %bb.1070:
	s_cmp_lt_i32 s8, 9
	s_cbranch_scc1 .LBB513_1076
; %bb.1071:
	s_cmp_gt_i32 s8, 9
	s_cbranch_scc0 .LBB513_1073
; %bb.1072:
	v_mov_b32_e32 v2, 0
	v_mov_b32_e32 v3, v2
	s_mov_b64 s[4:5], 0
	s_waitcnt vmcnt(0)
	global_store_dwordx4 v[4:5], v[0:3], off
.LBB513_1073:
	s_andn2_b64 vcc, exec, s[4:5]
	s_cbranch_vccnz .LBB513_1075
; %bb.1074:
	v_cvt_f32_f64_e32 v2, v[0:1]
	v_mov_b32_e32 v3, 0
	s_waitcnt vmcnt(0)
	global_store_dwordx2 v[4:5], v[2:3], off
.LBB513_1075:
	s_mov_b64 s[4:5], 0
.LBB513_1076:
	s_andn2_b64 vcc, exec, s[4:5]
	s_cbranch_vccnz .LBB513_1078
; %bb.1077:
	s_movk_i32 s4, 0x1ff
	v_and_or_b32 v2, v1, s4, v0
	v_cmp_ne_u32_e32 vcc, 0, v2
	v_lshrrev_b32_e32 v3, 8, v1
	s_movk_i32 s4, 0xffe
	v_cndmask_b32_e64 v2, 0, 1, vcc
	s_waitcnt vmcnt(0)
	v_bfe_u32 v6, v1, 20, 11
	v_and_or_b32 v2, v3, s4, v2
	v_sub_u32_e32 v7, 0x3f1, v6
	v_or_b32_e32 v3, 0x1000, v2
	v_med3_i32 v7, v7, 0, 13
	v_lshrrev_b32_e32 v8, v7, v3
	v_lshlrev_b32_e32 v7, v7, v8
	v_cmp_ne_u32_e32 vcc, v7, v3
	v_add_u32_e32 v6, 0xfffffc10, v6
	v_lshl_or_b32 v7, v6, 12, v2
	v_cndmask_b32_e64 v3, 0, 1, vcc
	v_or_b32_e32 v3, v8, v3
	v_cmp_gt_i32_e32 vcc, 1, v6
	s_movk_i32 s4, 0x40f
	s_nop 0
	v_cndmask_b32_e32 v3, v7, v3, vcc
	v_and_b32_e32 v7, 7, v3
	v_cmp_lt_i32_e32 vcc, 5, v7
	v_lshrrev_b32_e32 v3, 2, v3
	s_nop 0
	v_cndmask_b32_e64 v8, 0, 1, vcc
	v_cmp_eq_u32_e32 vcc, 3, v7
	s_nop 1
	v_cndmask_b32_e64 v7, 0, 1, vcc
	v_or_b32_e32 v7, v7, v8
	v_add_u32_e32 v3, v3, v7
	v_mov_b32_e32 v7, 0x7c00
	v_cmp_gt_i32_e32 vcc, 31, v6
	v_mov_b32_e32 v8, 0x7e00
	s_nop 0
	v_cndmask_b32_e32 v3, v7, v3, vcc
	v_cmp_ne_u32_e32 vcc, 0, v2
	s_nop 1
	v_cndmask_b32_e32 v2, v7, v8, vcc
	v_cmp_eq_u32_e32 vcc, s4, v6
	s_mov_b32 s4, 0x8000
	s_nop 0
	v_cndmask_b32_e32 v2, v3, v2, vcc
	v_and_b32_sdwa v3, v1, s4 dst_sel:DWORD dst_unused:UNUSED_PAD src0_sel:WORD_1 src1_sel:DWORD
	s_mov_b32 s4, 0xffff
	v_bitop3_b32 v2, v3, s4, v2 bitop3:0xc8
	global_store_dword v[4:5], v2, off
.LBB513_1078:
	s_mov_b64 s[4:5], 0
.LBB513_1079:
	s_andn2_b64 vcc, exec, s[4:5]
	s_cbranch_vccnz .LBB513_1088
; %bb.1080:
	s_sext_i32_i16 s8, s18
	s_cmp_lt_i32 s8, 6
	s_mov_b64 s[4:5], -1
	s_cbranch_scc1 .LBB513_1086
; %bb.1081:
	s_cmp_gt_i32 s8, 6
	s_cbranch_scc0 .LBB513_1083
; %bb.1082:
	s_mov_b64 s[4:5], 0
	s_waitcnt vmcnt(0)
	global_store_dwordx2 v[4:5], v[0:1], off
.LBB513_1083:
	s_andn2_b64 vcc, exec, s[4:5]
	s_cbranch_vccnz .LBB513_1085
; %bb.1084:
	v_cvt_f32_f64_e32 v2, v[0:1]
	s_waitcnt vmcnt(0)
	global_store_dword v[4:5], v2, off
.LBB513_1085:
	s_mov_b64 s[4:5], 0
.LBB513_1086:
	s_andn2_b64 vcc, exec, s[4:5]
	s_cbranch_vccnz .LBB513_1088
; %bb.1087:
	s_movk_i32 s4, 0x1ff
	v_and_or_b32 v2, v1, s4, v0
	v_cmp_ne_u32_e32 vcc, 0, v2
	v_lshrrev_b32_e32 v3, 8, v1
	s_movk_i32 s4, 0xffe
	v_cndmask_b32_e64 v2, 0, 1, vcc
	s_waitcnt vmcnt(0)
	v_bfe_u32 v6, v1, 20, 11
	v_and_or_b32 v2, v3, s4, v2
	v_sub_u32_e32 v7, 0x3f1, v6
	v_or_b32_e32 v3, 0x1000, v2
	v_med3_i32 v7, v7, 0, 13
	v_lshrrev_b32_e32 v8, v7, v3
	v_lshlrev_b32_e32 v7, v7, v8
	v_cmp_ne_u32_e32 vcc, v7, v3
	v_add_u32_e32 v6, 0xfffffc10, v6
	v_lshl_or_b32 v7, v6, 12, v2
	v_cndmask_b32_e64 v3, 0, 1, vcc
	v_or_b32_e32 v3, v8, v3
	v_cmp_gt_i32_e32 vcc, 1, v6
	s_movk_i32 s4, 0x40f
	s_nop 0
	v_cndmask_b32_e32 v3, v7, v3, vcc
	v_and_b32_e32 v7, 7, v3
	v_cmp_lt_i32_e32 vcc, 5, v7
	v_lshrrev_b32_e32 v3, 2, v3
	s_nop 0
	v_cndmask_b32_e64 v8, 0, 1, vcc
	v_cmp_eq_u32_e32 vcc, 3, v7
	s_nop 1
	v_cndmask_b32_e64 v7, 0, 1, vcc
	v_or_b32_e32 v7, v7, v8
	v_add_u32_e32 v3, v3, v7
	v_mov_b32_e32 v7, 0x7c00
	v_cmp_gt_i32_e32 vcc, 31, v6
	v_mov_b32_e32 v8, 0x7e00
	s_nop 0
	v_cndmask_b32_e32 v3, v7, v3, vcc
	v_cmp_ne_u32_e32 vcc, 0, v2
	s_nop 1
	v_cndmask_b32_e32 v2, v7, v8, vcc
	v_cmp_eq_u32_e32 vcc, s4, v6
	s_mov_b32 s4, 0x8000
	s_nop 0
	v_cndmask_b32_e32 v2, v3, v2, vcc
	v_lshrrev_b32_e32 v3, 16, v1
	v_and_or_b32 v2, v3, s4, v2
	global_store_short v[4:5], v2, off
.LBB513_1088:
	s_mov_b64 s[4:5], 0
.LBB513_1089:
	s_andn2_b64 vcc, exec, s[4:5]
	s_cbranch_vccnz .LBB513_1105
; %bb.1090:
	s_sext_i32_i16 s8, s18
	s_cmp_lt_i32 s8, 2
	s_mov_b64 s[4:5], -1
	s_cbranch_scc1 .LBB513_1100
; %bb.1091:
	s_cmp_lt_i32 s8, 3
	s_cbranch_scc1 .LBB513_1097
; %bb.1092:
	s_cmp_gt_i32 s8, 3
	s_cbranch_scc0 .LBB513_1094
; %bb.1093:
	v_trunc_f64_e32 v[2:3], v[0:1]
	s_movk_i32 s4, 0xffe0
	s_waitcnt vmcnt(0)
	v_ldexp_f64 v[6:7], v[2:3], s4
	v_floor_f64_e32 v[6:7], v[6:7]
	v_fmac_f64_e32 v[2:3], 0xc1f00000, v[6:7]
	v_cvt_i32_f64_e32 v9, v[6:7]
	v_cvt_u32_f64_e32 v8, v[2:3]
	s_mov_b64 s[4:5], 0
	global_store_dwordx2 v[4:5], v[8:9], off
.LBB513_1094:
	s_andn2_b64 vcc, exec, s[4:5]
	s_cbranch_vccnz .LBB513_1096
; %bb.1095:
	v_cvt_i32_f64_e32 v2, v[0:1]
	s_waitcnt vmcnt(0)
	global_store_dword v[4:5], v2, off
.LBB513_1096:
	s_mov_b64 s[4:5], 0
.LBB513_1097:
	s_andn2_b64 vcc, exec, s[4:5]
	s_cbranch_vccnz .LBB513_1099
; %bb.1098:
	v_cvt_i32_f64_e32 v2, v[0:1]
	s_waitcnt vmcnt(0)
	global_store_short v[4:5], v2, off
.LBB513_1099:
	s_mov_b64 s[4:5], 0
.LBB513_1100:
	s_andn2_b64 vcc, exec, s[4:5]
	s_cbranch_vccnz .LBB513_1105
; %bb.1101:
	s_sext_i32_i16 s4, s18
	s_cmp_gt_i32 s4, 0
	s_mov_b64 s[4:5], -1
	s_cbranch_scc0 .LBB513_1103
; %bb.1102:
	v_cvt_i32_f64_e32 v2, v[0:1]
	s_mov_b64 s[4:5], 0
	s_waitcnt vmcnt(0)
	global_store_byte v[4:5], v2, off
.LBB513_1103:
	s_andn2_b64 vcc, exec, s[4:5]
	s_cbranch_vccnz .LBB513_1105
; %bb.1104:
	v_trunc_f64_e32 v[0:1], v[0:1]
	s_movk_i32 s4, 0xffe0
	v_ldexp_f64 v[2:3], v[0:1], s4
	v_floor_f64_e32 v[2:3], v[2:3]
	v_fmac_f64_e32 v[0:1], 0xc1f00000, v[2:3]
	v_cvt_u32_f64_e32 v0, v[0:1]
	s_waitcnt vmcnt(0)
	global_store_byte v[4:5], v0, off
.LBB513_1105:
	s_or_b64 exec, exec, s[2:3]
	s_and_b64 s[24:25], s[6:7], exec
                                        ; implicit-def: $vgpr16
                                        ; implicit-def: $vgpr10
.LBB513_1106:
	s_or_saveexec_b64 s[26:27], s[48:49]
	s_mov_b64 s[6:7], 0
                                        ; implicit-def: $vgpr4_vgpr5
                                        ; implicit-def: $sgpr14
                                        ; implicit-def: $vgpr0_vgpr1
	s_xor_b64 exec, exec, s[26:27]
	s_cbranch_execz .LBB513_1772
; %bb.1107:
	v_cndmask_b32_e64 v0, 0, 1, s[46:47]
	v_cmp_ne_u32_e64 s[2:3], 1, v0
	s_andn2_b64 vcc, exec, s[46:47]
	s_cbranch_vccnz .LBB513_1113
; %bb.1108:
	s_cmp_lg_u32 s33, 0
	s_mov_b32 s36, 0
	s_cbranch_scc0 .LBB513_1114
; %bb.1109:
	s_min_u32 s37, s78, 15
	s_add_i32 s37, s37, 1
	s_cmp_eq_u32 s78, 2
	s_cbranch_scc1 .LBB513_1115
; %bb.1110:
	s_and_b32 s36, s37, 28
	s_add_u32 s28, s34, 0xc4
	s_addc_u32 s29, s35, 0
	s_mov_b32 s38, 0
	s_waitcnt vmcnt(0)
	v_mov_b32_e32 v4, 0
	v_mov_b32_e32 v2, 0
	s_mov_b64 s[30:31], s[34:35]
	v_mov_b32_e32 v0, v10
.LBB513_1111:                           ; =>This Inner Loop Header: Depth=1
	s_load_dwordx8 s[12:19], s[30:31], 0x4
	s_load_dwordx4 s[20:23], s[30:31], 0x24
	s_load_dwordx8 s[4:11], s[28:29], 0x0
	s_add_u32 s30, s30, 48
	s_addc_u32 s31, s31, 0
	s_waitcnt lgkmcnt(0)
	v_mul_hi_u32 v1, s13, v0
	v_add_u32_e32 v1, v0, v1
	v_lshrrev_b32_e32 v1, s14, v1
	v_mul_lo_u32 v3, v1, s12
	v_mul_hi_u32 v5, s16, v1
	v_sub_u32_e32 v0, v0, v3
	v_add_u32_e32 v3, v1, v5
	v_lshrrev_b32_e32 v3, s17, v3
	v_mul_lo_u32 v6, v3, s15
	v_mul_hi_u32 v7, s19, v3
	v_sub_u32_e32 v1, v1, v6
	v_add_u32_e32 v6, v3, v7
	v_mul_lo_u32 v5, v0, s5
	v_mul_lo_u32 v0, v0, s4
	;; [unrolled: 1-line block ×4, first 2 shown]
	v_lshrrev_b32_e32 v6, s20, v6
	v_add3_u32 v1, v0, v4, v1
	v_mul_lo_u32 v0, v6, s18
	v_mul_hi_u32 v4, s22, v6
	v_sub_u32_e32 v0, v3, v0
	v_add_u32_e32 v3, v6, v4
	v_add3_u32 v2, v5, v2, v7
	v_mul_lo_u32 v4, v0, s8
	v_mul_lo_u32 v5, v0, s9
	v_lshrrev_b32_e32 v0, s23, v3
	s_add_i32 s38, s38, 4
	v_mul_lo_u32 v3, v0, s21
	s_add_u32 s28, s28, 32
	v_sub_u32_e32 v3, v6, v3
	s_addc_u32 s29, s29, 0
	v_mul_lo_u32 v6, v3, s10
	v_mul_lo_u32 v3, v3, s11
	s_cmp_lg_u32 s36, s38
	v_add3_u32 v2, v5, v2, v3
	v_add3_u32 v4, v4, v1, v6
	s_cbranch_scc1 .LBB513_1111
; %bb.1112:
	v_mov_b32_e32 v1, v2
	s_and_b32 s8, s37, 3
	s_cmp_eq_u32 s8, 0
	s_cbranch_scc0 .LBB513_1116
	s_branch .LBB513_1118
.LBB513_1113:
                                        ; implicit-def: $vgpr2
                                        ; implicit-def: $vgpr4
	s_branch .LBB513_1119
.LBB513_1114:
	v_mov_b32_e32 v2, 0
	s_waitcnt vmcnt(0)
	v_mov_b32_e32 v4, 0
	s_branch .LBB513_1118
.LBB513_1115:
	s_waitcnt vmcnt(0)
	v_mov_b32_e32 v4, 0
                                        ; implicit-def: $vgpr2
	v_mov_b32_e32 v1, v4
	v_mov_b32_e32 v0, v10
	s_and_b32 s8, s37, 3
	s_cmp_eq_u32 s8, 0
	s_cbranch_scc1 .LBB513_1118
.LBB513_1116:
	s_lshl_b32 s4, s36, 3
	s_add_u32 s4, s34, s4
	s_addc_u32 s5, s35, 0
	s_add_u32 s4, s4, 0xc4
	s_addc_u32 s5, s5, 0
	s_mul_i32 s6, s36, 12
	s_add_u32 s6, s34, s6
	s_addc_u32 s7, s35, 0
.LBB513_1117:                           ; =>This Inner Loop Header: Depth=1
	s_load_dwordx2 s[10:11], s[6:7], 0x4
	s_load_dword s9, s[6:7], 0xc
	s_load_dwordx2 s[12:13], s[4:5], 0x0
	v_mov_b32_e32 v2, v1
	s_add_u32 s6, s6, 12
	s_waitcnt lgkmcnt(0)
	v_mul_hi_u32 v1, s11, v0
	v_add_u32_e32 v1, v0, v1
	v_lshrrev_b32_e32 v1, s9, v1
	s_addc_u32 s7, s7, 0
	v_mul_lo_u32 v3, v1, s10
	s_add_u32 s4, s4, 8
	v_sub_u32_e32 v5, v0, v3
	s_addc_u32 s5, s5, 0
	s_add_i32 s8, s8, -1
	v_mad_u64_u32 v[2:3], s[10:11], v5, s13, v[2:3]
	s_cmp_lg_u32 s8, 0
	v_mov_b32_e32 v0, v1
	v_mad_u64_u32 v[4:5], s[10:11], v5, s12, v[4:5]
	v_mov_b32_e32 v1, v2
	s_cbranch_scc1 .LBB513_1117
.LBB513_1118:
	s_cbranch_execnz .LBB513_1121
.LBB513_1119:
	s_load_dwordx4 s[4:7], s[34:35], 0x4
	s_load_dwordx2 s[8:9], s[34:35], 0xc4
	s_cmp_lt_u32 s33, 2
	s_waitcnt lgkmcnt(0)
	v_mul_hi_u32 v0, s5, v10
	v_add_u32_e32 v0, v10, v0
	v_lshrrev_b32_e32 v0, s6, v0
	v_mul_lo_u32 v1, v0, s4
	v_sub_u32_e32 v1, v10, v1
	v_mul_lo_u32 v2, v1, s9
	s_waitcnt vmcnt(0)
	v_mul_lo_u32 v4, v1, s8
	s_cbranch_scc1 .LBB513_1121
; %bb.1120:
	s_load_dwordx4 s[4:7], s[34:35], 0x10
	s_load_dwordx2 s[8:9], s[34:35], 0xcc
	s_waitcnt lgkmcnt(0)
	v_mul_hi_u32 v1, s5, v0
	v_add_u32_e32 v1, v0, v1
	v_lshrrev_b32_e32 v1, s6, v1
	v_mul_lo_u32 v1, v1, s4
	v_sub_u32_e32 v0, v0, v1
	v_mad_u64_u32 v[4:5], s[4:5], v0, s8, v[4:5]
	v_mad_u64_u32 v[2:3], s[4:5], v0, s9, v[2:3]
.LBB513_1121:
	s_and_b64 vcc, exec, s[2:3]
	v_add_u32_e32 v0, 0x80, v10
	s_cbranch_vccnz .LBB513_1127
; %bb.1122:
	s_cmp_lg_u32 s33, 0
	s_mov_b32 s36, 0
	s_cbranch_scc0 .LBB513_1128
; %bb.1123:
	s_min_u32 s37, s78, 15
	s_add_i32 s37, s37, 1
	s_cmp_eq_u32 s78, 2
	s_cbranch_scc1 .LBB513_1129
; %bb.1124:
	s_and_b32 s36, s37, 28
	s_add_u32 s28, s34, 0xc4
	s_addc_u32 s29, s35, 0
	s_mov_b32 s38, 0
	v_mov_b32_e32 v8, 0
	s_waitcnt vmcnt(0)
	v_mov_b32_e32 v6, 0
	s_mov_b64 s[30:31], s[34:35]
	v_mov_b32_e32 v3, v0
.LBB513_1125:                           ; =>This Inner Loop Header: Depth=1
	s_load_dwordx8 s[12:19], s[30:31], 0x4
	s_load_dwordx4 s[20:23], s[30:31], 0x24
	s_load_dwordx8 s[4:11], s[28:29], 0x0
	s_add_u32 s30, s30, 48
	s_addc_u32 s31, s31, 0
	s_waitcnt lgkmcnt(0)
	v_mul_hi_u32 v1, s13, v3
	v_add_u32_e32 v1, v3, v1
	v_lshrrev_b32_e32 v1, s14, v1
	v_mul_lo_u32 v5, v1, s12
	v_mul_hi_u32 v7, s16, v1
	v_sub_u32_e32 v3, v3, v5
	v_add_u32_e32 v5, v1, v7
	v_lshrrev_b32_e32 v5, s17, v5
	v_mul_lo_u32 v9, v5, s15
	v_mul_hi_u32 v11, s19, v5
	v_sub_u32_e32 v1, v1, v9
	v_add_u32_e32 v9, v5, v11
	v_mul_lo_u32 v7, v3, s5
	v_mul_lo_u32 v3, v3, s4
	;; [unrolled: 1-line block ×4, first 2 shown]
	v_lshrrev_b32_e32 v9, s20, v9
	v_add3_u32 v1, v3, v8, v1
	v_add3_u32 v6, v7, v6, v11
	v_mul_lo_u32 v3, v9, s18
	v_mul_hi_u32 v7, s22, v9
	v_sub_u32_e32 v3, v5, v3
	v_add_u32_e32 v5, v9, v7
	v_mul_lo_u32 v7, v3, s8
	v_mul_lo_u32 v8, v3, s9
	v_lshrrev_b32_e32 v3, s23, v5
	s_add_i32 s38, s38, 4
	v_mul_lo_u32 v5, v3, s21
	s_add_u32 s28, s28, 32
	v_sub_u32_e32 v5, v9, v5
	s_addc_u32 s29, s29, 0
	v_mul_lo_u32 v9, v5, s10
	v_mul_lo_u32 v5, v5, s11
	s_cmp_lg_u32 s36, s38
	v_add3_u32 v6, v8, v6, v5
	v_add3_u32 v8, v7, v1, v9
	s_cbranch_scc1 .LBB513_1125
; %bb.1126:
	v_mov_b32_e32 v1, v6
	s_and_b32 s8, s37, 3
	s_cmp_eq_u32 s8, 0
	s_cbranch_scc0 .LBB513_1130
	s_branch .LBB513_1132
.LBB513_1127:
                                        ; implicit-def: $vgpr6
                                        ; implicit-def: $vgpr8
	s_branch .LBB513_1133
.LBB513_1128:
	s_waitcnt vmcnt(0)
	v_mov_b32_e32 v6, 0
	v_mov_b32_e32 v8, 0
	s_branch .LBB513_1132
.LBB513_1129:
	v_mov_b32_e32 v8, 0
                                        ; implicit-def: $vgpr6
	v_mov_b32_e32 v1, v8
	v_mov_b32_e32 v3, v0
	s_and_b32 s8, s37, 3
	s_cmp_eq_u32 s8, 0
	s_cbranch_scc1 .LBB513_1132
.LBB513_1130:
	s_lshl_b32 s4, s36, 3
	s_add_u32 s4, s34, s4
	s_addc_u32 s5, s35, 0
	s_add_u32 s4, s4, 0xc4
	s_addc_u32 s5, s5, 0
	s_mul_i32 s6, s36, 12
	s_add_u32 s6, s34, s6
	s_addc_u32 s7, s35, 0
.LBB513_1131:                           ; =>This Inner Loop Header: Depth=1
	s_load_dwordx2 s[10:11], s[6:7], 0x4
	s_load_dword s9, s[6:7], 0xc
	s_load_dwordx2 s[12:13], s[4:5], 0x0
	s_waitcnt vmcnt(0)
	v_mov_b32_e32 v6, v1
	s_add_u32 s6, s6, 12
	s_waitcnt lgkmcnt(0)
	v_mul_hi_u32 v1, s11, v3
	v_add_u32_e32 v1, v3, v1
	v_lshrrev_b32_e32 v1, s9, v1
	s_addc_u32 s7, s7, 0
	v_mul_lo_u32 v5, v1, s10
	s_add_u32 s4, s4, 8
	v_sub_u32_e32 v5, v3, v5
	s_addc_u32 s5, s5, 0
	s_add_i32 s8, s8, -1
	v_mad_u64_u32 v[6:7], s[10:11], v5, s13, v[6:7]
	s_cmp_lg_u32 s8, 0
	v_mov_b32_e32 v3, v1
	v_mad_u64_u32 v[8:9], s[10:11], v5, s12, v[8:9]
	v_mov_b32_e32 v1, v6
	s_cbranch_scc1 .LBB513_1131
.LBB513_1132:
	s_cbranch_execnz .LBB513_1135
.LBB513_1133:
	s_load_dwordx4 s[4:7], s[34:35], 0x4
	s_load_dwordx2 s[8:9], s[34:35], 0xc4
	s_cmp_lt_u32 s33, 2
	s_waitcnt lgkmcnt(0)
	v_mul_hi_u32 v1, s5, v0
	v_add_u32_e32 v1, v0, v1
	v_lshrrev_b32_e32 v1, s6, v1
	v_mul_lo_u32 v3, v1, s4
	v_sub_u32_e32 v0, v0, v3
	s_waitcnt vmcnt(0)
	v_mul_lo_u32 v6, v0, s9
	v_mul_lo_u32 v8, v0, s8
	s_cbranch_scc1 .LBB513_1135
; %bb.1134:
	s_load_dwordx4 s[4:7], s[34:35], 0x10
	s_load_dwordx2 s[8:9], s[34:35], 0xcc
	s_waitcnt lgkmcnt(0)
	v_mul_hi_u32 v0, s5, v1
	v_add_u32_e32 v0, v1, v0
	v_lshrrev_b32_e32 v0, s6, v0
	v_mul_lo_u32 v0, v0, s4
	v_sub_u32_e32 v0, v1, v0
	v_mad_u64_u32 v[8:9], s[4:5], v0, s8, v[8:9]
	v_mad_u64_u32 v[6:7], s[4:5], v0, s9, v[6:7]
.LBB513_1135:
	s_and_b64 vcc, exec, s[2:3]
	v_add_u32_e32 v0, 0x100, v10
	s_cbranch_vccnz .LBB513_1141
; %bb.1136:
	s_cmp_lg_u32 s33, 0
	s_mov_b32 s36, 0
	s_cbranch_scc0 .LBB513_1142
; %bb.1137:
	s_min_u32 s37, s78, 15
	s_add_i32 s37, s37, 1
	s_cmp_eq_u32 s78, 2
	s_cbranch_scc1 .LBB513_1143
; %bb.1138:
	s_and_b32 s36, s37, 28
	s_add_u32 s28, s34, 0xc4
	s_addc_u32 s29, s35, 0
	s_mov_b32 s38, 0
	v_mov_b32_e32 v12, 0
	v_mov_b32_e32 v10, 0
	s_mov_b64 s[30:31], s[34:35]
	v_mov_b32_e32 v3, v0
.LBB513_1139:                           ; =>This Inner Loop Header: Depth=1
	s_load_dwordx8 s[12:19], s[30:31], 0x4
	s_load_dwordx4 s[20:23], s[30:31], 0x24
	s_load_dwordx8 s[4:11], s[28:29], 0x0
	s_add_u32 s30, s30, 48
	s_addc_u32 s31, s31, 0
	s_waitcnt lgkmcnt(0)
	v_mul_hi_u32 v1, s13, v3
	v_add_u32_e32 v1, v3, v1
	v_lshrrev_b32_e32 v1, s14, v1
	s_waitcnt vmcnt(0)
	v_mul_lo_u32 v5, v1, s12
	v_mul_hi_u32 v7, s16, v1
	v_sub_u32_e32 v3, v3, v5
	v_add_u32_e32 v5, v1, v7
	v_lshrrev_b32_e32 v5, s17, v5
	v_mul_lo_u32 v9, v5, s15
	v_mul_hi_u32 v11, s19, v5
	v_sub_u32_e32 v1, v1, v9
	v_add_u32_e32 v9, v5, v11
	v_mul_lo_u32 v7, v3, s5
	v_mul_lo_u32 v3, v3, s4
	;; [unrolled: 1-line block ×4, first 2 shown]
	v_lshrrev_b32_e32 v9, s20, v9
	v_add3_u32 v1, v3, v12, v1
	v_add3_u32 v7, v7, v10, v11
	v_mul_lo_u32 v3, v9, s18
	v_mul_hi_u32 v10, s22, v9
	v_sub_u32_e32 v3, v5, v3
	v_add_u32_e32 v5, v9, v10
	v_mul_lo_u32 v11, v3, s8
	v_mul_lo_u32 v10, v3, s9
	v_lshrrev_b32_e32 v3, s23, v5
	s_add_i32 s38, s38, 4
	v_mul_lo_u32 v5, v3, s21
	s_add_u32 s28, s28, 32
	v_sub_u32_e32 v5, v9, v5
	s_addc_u32 s29, s29, 0
	v_mul_lo_u32 v9, v5, s10
	v_mul_lo_u32 v5, v5, s11
	s_cmp_lg_u32 s36, s38
	v_add3_u32 v10, v10, v7, v5
	v_add3_u32 v12, v11, v1, v9
	s_cbranch_scc1 .LBB513_1139
; %bb.1140:
	v_mov_b32_e32 v1, v10
	s_and_b32 s8, s37, 3
	s_cmp_eq_u32 s8, 0
	s_cbranch_scc0 .LBB513_1144
	s_branch .LBB513_1146
.LBB513_1141:
                                        ; implicit-def: $vgpr10
                                        ; implicit-def: $vgpr12
	s_branch .LBB513_1147
.LBB513_1142:
	v_mov_b32_e32 v10, 0
	v_mov_b32_e32 v12, 0
	s_branch .LBB513_1146
.LBB513_1143:
	v_mov_b32_e32 v12, 0
                                        ; implicit-def: $vgpr10
	v_mov_b32_e32 v1, v12
	v_mov_b32_e32 v3, v0
	s_and_b32 s8, s37, 3
	s_cmp_eq_u32 s8, 0
	s_cbranch_scc1 .LBB513_1146
.LBB513_1144:
	s_lshl_b32 s4, s36, 3
	s_add_u32 s4, s34, s4
	s_addc_u32 s5, s35, 0
	s_add_u32 s4, s4, 0xc4
	s_addc_u32 s5, s5, 0
	s_mul_i32 s6, s36, 12
	s_add_u32 s6, s34, s6
	s_addc_u32 s7, s35, 0
.LBB513_1145:                           ; =>This Inner Loop Header: Depth=1
	s_load_dwordx2 s[10:11], s[6:7], 0x4
	s_load_dword s9, s[6:7], 0xc
	s_load_dwordx2 s[12:13], s[4:5], 0x0
	v_mov_b32_e32 v10, v1
	s_add_u32 s6, s6, 12
	s_waitcnt lgkmcnt(0)
	v_mul_hi_u32 v1, s11, v3
	v_add_u32_e32 v1, v3, v1
	v_lshrrev_b32_e32 v1, s9, v1
	s_addc_u32 s7, s7, 0
	s_waitcnt vmcnt(0)
	v_mul_lo_u32 v5, v1, s10
	s_add_u32 s4, s4, 8
	v_sub_u32_e32 v5, v3, v5
	s_addc_u32 s5, s5, 0
	s_add_i32 s8, s8, -1
	v_mad_u64_u32 v[10:11], s[10:11], v5, s13, v[10:11]
	s_cmp_lg_u32 s8, 0
	v_mov_b32_e32 v3, v1
	v_mad_u64_u32 v[12:13], s[10:11], v5, s12, v[12:13]
	v_mov_b32_e32 v1, v10
	s_cbranch_scc1 .LBB513_1145
.LBB513_1146:
	s_cbranch_execnz .LBB513_1149
.LBB513_1147:
	s_load_dwordx4 s[4:7], s[34:35], 0x4
	s_load_dwordx2 s[8:9], s[34:35], 0xc4
	s_cmp_lt_u32 s33, 2
	s_waitcnt lgkmcnt(0)
	v_mul_hi_u32 v1, s5, v0
	v_add_u32_e32 v1, v0, v1
	v_lshrrev_b32_e32 v1, s6, v1
	v_mul_lo_u32 v3, v1, s4
	v_sub_u32_e32 v0, v0, v3
	v_mul_lo_u32 v10, v0, s9
	v_mul_lo_u32 v12, v0, s8
	s_cbranch_scc1 .LBB513_1149
; %bb.1148:
	s_load_dwordx4 s[4:7], s[34:35], 0x10
	s_load_dwordx2 s[8:9], s[34:35], 0xcc
	s_waitcnt lgkmcnt(0)
	v_mul_hi_u32 v0, s5, v1
	v_add_u32_e32 v0, v1, v0
	v_lshrrev_b32_e32 v0, s6, v0
	v_mul_lo_u32 v0, v0, s4
	v_sub_u32_e32 v0, v1, v0
	v_mad_u64_u32 v[12:13], s[4:5], v0, s8, v[12:13]
	v_mad_u64_u32 v[10:11], s[4:5], v0, s9, v[10:11]
.LBB513_1149:
	s_and_b64 vcc, exec, s[2:3]
	s_cbranch_vccnz .LBB513_1155
; %bb.1150:
	s_cmp_lg_u32 s33, 0
	s_mov_b32 s30, 0
	s_cbranch_scc0 .LBB513_1156
; %bb.1151:
	s_min_u32 s31, s78, 15
	s_add_i32 s31, s31, 1
	s_cmp_eq_u32 s78, 2
	s_cbranch_scc1 .LBB513_1157
; %bb.1152:
	s_and_b32 s30, s31, 28
	s_add_u32 s2, s34, 0xc4
	s_addc_u32 s3, s35, 0
	s_mov_b32 s36, 0
	v_mov_b32_e32 v14, 0
	v_mov_b32_e32 v0, 0
	s_mov_b64 s[28:29], s[34:35]
	v_mov_b32_e32 v3, v16
.LBB513_1153:                           ; =>This Inner Loop Header: Depth=1
	s_load_dwordx8 s[12:19], s[28:29], 0x4
	s_load_dwordx4 s[20:23], s[28:29], 0x24
	s_load_dwordx8 s[4:11], s[2:3], 0x0
	s_add_u32 s28, s28, 48
	s_addc_u32 s29, s29, 0
	s_waitcnt lgkmcnt(0)
	v_mul_hi_u32 v1, s13, v3
	v_add_u32_e32 v1, v3, v1
	v_lshrrev_b32_e32 v1, s14, v1
	s_waitcnt vmcnt(0)
	v_mul_lo_u32 v5, v1, s12
	v_mul_hi_u32 v7, s16, v1
	v_sub_u32_e32 v3, v3, v5
	v_add_u32_e32 v5, v1, v7
	v_lshrrev_b32_e32 v5, s17, v5
	v_mul_lo_u32 v9, v5, s15
	v_mul_hi_u32 v11, s19, v5
	v_sub_u32_e32 v1, v1, v9
	v_add_u32_e32 v9, v5, v11
	v_mul_lo_u32 v7, v3, s5
	v_mul_lo_u32 v3, v3, s4
	;; [unrolled: 1-line block ×4, first 2 shown]
	v_lshrrev_b32_e32 v9, s20, v9
	v_add3_u32 v1, v3, v14, v1
	v_add3_u32 v0, v7, v0, v11
	v_mul_lo_u32 v3, v9, s18
	v_mul_hi_u32 v7, s22, v9
	v_sub_u32_e32 v3, v5, v3
	v_add_u32_e32 v5, v9, v7
	v_mul_lo_u32 v7, v3, s8
	v_mul_lo_u32 v11, v3, s9
	v_lshrrev_b32_e32 v3, s23, v5
	s_add_i32 s36, s36, 4
	v_mul_lo_u32 v5, v3, s21
	s_add_u32 s2, s2, 32
	v_sub_u32_e32 v5, v9, v5
	s_addc_u32 s3, s3, 0
	v_mul_lo_u32 v9, v5, s10
	v_mul_lo_u32 v5, v5, s11
	s_cmp_lg_u32 s30, s36
	v_add3_u32 v0, v11, v0, v5
	v_add3_u32 v14, v7, v1, v9
	s_cbranch_scc1 .LBB513_1153
; %bb.1154:
	v_mov_b32_e32 v1, v0
	s_and_b32 s6, s31, 3
	s_cmp_eq_u32 s6, 0
	s_cbranch_scc0 .LBB513_1158
	s_branch .LBB513_1160
.LBB513_1155:
                                        ; implicit-def: $vgpr0
                                        ; implicit-def: $vgpr14
	s_branch .LBB513_1161
.LBB513_1156:
	v_mov_b32_e32 v0, 0
	v_mov_b32_e32 v14, 0
	s_branch .LBB513_1160
.LBB513_1157:
	v_mov_b32_e32 v14, 0
                                        ; implicit-def: $vgpr0
	v_mov_b32_e32 v1, v14
	v_mov_b32_e32 v3, v16
	s_and_b32 s6, s31, 3
	s_cmp_eq_u32 s6, 0
	s_cbranch_scc1 .LBB513_1160
.LBB513_1158:
	s_lshl_b32 s2, s30, 3
	s_add_u32 s2, s34, s2
	s_addc_u32 s3, s35, 0
	s_add_u32 s2, s2, 0xc4
	s_addc_u32 s3, s3, 0
	s_mul_i32 s4, s30, 12
	s_add_u32 s4, s34, s4
	s_addc_u32 s5, s35, 0
.LBB513_1159:                           ; =>This Inner Loop Header: Depth=1
	s_load_dwordx2 s[8:9], s[4:5], 0x4
	s_load_dword s7, s[4:5], 0xc
	s_load_dwordx2 s[10:11], s[2:3], 0x0
	v_mov_b32_e32 v0, v1
	s_add_u32 s4, s4, 12
	s_waitcnt lgkmcnt(0)
	v_mul_hi_u32 v1, s9, v3
	v_add_u32_e32 v1, v3, v1
	v_lshrrev_b32_e32 v1, s7, v1
	s_addc_u32 s5, s5, 0
	s_waitcnt vmcnt(0)
	v_mul_lo_u32 v5, v1, s8
	s_add_u32 s2, s2, 8
	v_sub_u32_e32 v5, v3, v5
	s_addc_u32 s3, s3, 0
	s_add_i32 s6, s6, -1
	v_mov_b32_e32 v3, v1
	v_mad_u64_u32 v[0:1], s[8:9], v5, s11, v[0:1]
	s_cmp_lg_u32 s6, 0
	v_mad_u64_u32 v[14:15], s[8:9], v5, s10, v[14:15]
	v_mov_b32_e32 v1, v0
	s_cbranch_scc1 .LBB513_1159
.LBB513_1160:
	s_cbranch_execnz .LBB513_1163
.LBB513_1161:
	s_load_dwordx4 s[4:7], s[34:35], 0x4
	s_load_dwordx2 s[2:3], s[34:35], 0xc4
	s_cmp_lt_u32 s33, 2
	s_waitcnt lgkmcnt(0)
	v_mul_hi_u32 v0, s5, v16
	v_add_u32_e32 v0, v16, v0
	v_lshrrev_b32_e32 v1, s6, v0
	v_mul_lo_u32 v0, v1, s4
	v_sub_u32_e32 v3, v16, v0
	v_mul_lo_u32 v0, v3, s3
	v_mul_lo_u32 v14, v3, s2
	s_cbranch_scc1 .LBB513_1163
; %bb.1162:
	s_load_dwordx4 s[4:7], s[34:35], 0x10
	s_load_dwordx2 s[2:3], s[34:35], 0xcc
	s_waitcnt lgkmcnt(0)
	v_mul_hi_u32 v3, s5, v1
	v_add_u32_e32 v3, v1, v3
	v_lshrrev_b32_e32 v3, s6, v3
	v_mul_lo_u32 v3, v3, s4
	v_sub_u32_e32 v1, v1, v3
	v_mad_u64_u32 v[14:15], s[4:5], v1, s2, v[14:15]
	v_mad_u64_u32 v[0:1], s[2:3], v1, s3, v[0:1]
.LBB513_1163:
	s_load_dword s14, s[0:1], 0x178
	s_load_dwordx4 s[4:7], s[34:35], 0x148
	v_mov_b32_e32 v3, 0
	s_waitcnt lgkmcnt(0)
	s_bfe_u32 s15, s14, 0x80008
	s_cmp_lt_i32 s15, 11
	v_lshl_add_u64 v[2:3], s[6:7], 0, v[2:3]
	s_cbranch_scc1 .LBB513_1170
; %bb.1164:
	s_and_b32 s16, 0xffff, s15
	s_cmp_gt_i32 s16, 25
	s_mov_b64 s[8:9], 0
	s_cbranch_scc0 .LBB513_1172
; %bb.1165:
	s_cmp_gt_i32 s16, 28
	s_cbranch_scc0 .LBB513_1173
; %bb.1166:
	s_cmp_gt_i32 s16, 43
	;; [unrolled: 3-line block ×3, first 2 shown]
	s_cbranch_scc0 .LBB513_1175
; %bb.1168:
	s_cmp_eq_u32 s16, 46
	s_mov_b64 s[2:3], 0
	s_cbranch_scc0 .LBB513_1178
; %bb.1169:
	global_load_dword v1, v[2:3], off
	s_mov_b64 s[0:1], 0
	s_mov_b64 s[10:11], -1
	s_waitcnt vmcnt(0)
	v_lshlrev_b32_e32 v1, 16, v1
	v_cvt_f64_f32_e32 v[16:17], v1
	s_branch .LBB513_1179
.LBB513_1170:
	s_mov_b64 s[10:11], 0
                                        ; implicit-def: $vgpr16_vgpr17
	s_mov_b64 s[2:3], s[24:25]
	s_cbranch_execnz .LBB513_1242
.LBB513_1171:
	s_andn2_b64 vcc, exec, s[10:11]
                                        ; implicit-def: $vgpr2_vgpr3
	s_cbranch_vccz .LBB513_1287
	s_branch .LBB513_1769
.LBB513_1172:
	s_mov_b64 s[10:11], 0
	s_mov_b64 s[0:1], 0
                                        ; implicit-def: $vgpr16_vgpr17
	s_cbranch_execnz .LBB513_1209
	s_branch .LBB513_1238
.LBB513_1173:
	s_mov_b64 s[2:3], -1
	s_mov_b64 s[10:11], 0
	s_mov_b64 s[0:1], 0
                                        ; implicit-def: $vgpr16_vgpr17
	s_branch .LBB513_1188
.LBB513_1174:
	s_mov_b64 s[10:11], 0
	s_mov_b64 s[0:1], 0
                                        ; implicit-def: $vgpr16_vgpr17
	s_cbranch_execnz .LBB513_1184
	s_branch .LBB513_1187
.LBB513_1175:
	s_mov_b64 s[2:3], -1
	s_mov_b64 s[10:11], 0
	s_mov_b64 s[0:1], 0
                                        ; implicit-def: $vgpr16_vgpr17
	s_branch .LBB513_1179
.LBB513_1176:
	s_andn2_saveexec_b64 s[10:11], s[10:11]
	s_cbranch_execz .LBB513_1015
.LBB513_1177:
	s_mov_b32 s14, 0x46000000
	v_add_f32_e64 v3, |v2|, s14
	v_and_b32_e32 v3, 0xff, v3
	v_cmp_ne_u32_e32 vcc, 0, v3
	s_andn2_b64 s[8:9], s[8:9], exec
	s_and_b64 s[14:15], vcc, exec
	s_or_b64 s[8:9], s[8:9], s[14:15]
	s_or_b64 exec, exec, s[10:11]
	v_mov_b32_e32 v6, 0
	s_and_saveexec_b64 s[10:11], s[8:9]
	s_cbranch_execnz .LBB513_1016
	s_branch .LBB513_1017
.LBB513_1178:
	s_mov_b64 s[0:1], -1
                                        ; implicit-def: $vgpr16_vgpr17
	s_mov_b64 s[10:11], 0
.LBB513_1179:
	s_and_b64 vcc, exec, s[2:3]
	s_cbranch_vccz .LBB513_1182
; %bb.1180:
	s_cmp_eq_u32 s16, 44
	s_cbranch_scc0 .LBB513_1183
; %bb.1181:
	global_load_ubyte v1, v[2:3], off
	s_movk_i32 s2, 0xff
	s_waitcnt vmcnt(1)
	v_bfrev_b32_e32 v5, 4
	v_mov_b32_e32 v7, 0x7ff80000
	v_bfrev_b32_e32 v9, 28
	s_mov_b64 s[0:1], 0
	s_mov_b64 s[10:11], -1
	s_waitcnt vmcnt(0)
	v_lshlrev_b32_e32 v11, 23, v1
	v_cvt_f64_f32_e32 v[16:17], v11
	v_cmp_ne_u32_e32 vcc, s2, v1
	s_nop 1
	v_cndmask_b32_e32 v5, v5, v16, vcc
	v_cndmask_b32_e32 v7, v7, v17, vcc
	v_cmp_ne_u32_e32 vcc, 0, v1
	s_nop 1
	v_cndmask_b32_e32 v17, v9, v7, vcc
	v_cndmask_b32_e32 v16, 0, v5, vcc
.LBB513_1182:
	s_branch .LBB513_1187
.LBB513_1183:
	s_mov_b64 s[0:1], -1
                                        ; implicit-def: $vgpr16_vgpr17
	s_branch .LBB513_1187
.LBB513_1184:
	s_cmp_eq_u32 s16, 29
	s_cbranch_scc0 .LBB513_1186
; %bb.1185:
	global_load_dwordx2 v[16:17], v[2:3], off
	s_mov_b64 s[0:1], 0
	s_mov_b64 s[10:11], -1
	s_mov_b64 s[2:3], 0
	s_waitcnt vmcnt(0)
	v_cvt_f64_u32_e32 v[18:19], v17
	v_cvt_f64_u32_e32 v[16:17], v16
	v_ldexp_f64 v[18:19], v[18:19], 32
	v_add_f64 v[16:17], v[18:19], v[16:17]
	s_branch .LBB513_1188
.LBB513_1186:
	s_mov_b64 s[0:1], -1
                                        ; implicit-def: $vgpr16_vgpr17
.LBB513_1187:
	s_mov_b64 s[2:3], 0
.LBB513_1188:
	s_and_b64 vcc, exec, s[2:3]
	s_cbranch_vccz .LBB513_1208
; %bb.1189:
	s_cmp_lt_i32 s16, 27
	s_cbranch_scc1 .LBB513_1192
; %bb.1190:
	s_cmp_gt_i32 s16, 27
	s_cbranch_scc0 .LBB513_1193
; %bb.1191:
	global_load_dword v1, v[2:3], off
	s_mov_b64 s[2:3], 0
	s_waitcnt vmcnt(0)
	v_cvt_f64_u32_e32 v[16:17], v1
	s_branch .LBB513_1194
.LBB513_1192:
	s_mov_b64 s[2:3], -1
                                        ; implicit-def: $vgpr16_vgpr17
	s_branch .LBB513_1197
.LBB513_1193:
	s_mov_b64 s[2:3], -1
                                        ; implicit-def: $vgpr16_vgpr17
.LBB513_1194:
	s_andn2_b64 vcc, exec, s[2:3]
	s_cbranch_vccnz .LBB513_1196
; %bb.1195:
	global_load_ushort v1, v[2:3], off
	s_waitcnt vmcnt(0)
	v_cvt_f64_u32_e32 v[16:17], v1
.LBB513_1196:
	s_mov_b64 s[2:3], 0
.LBB513_1197:
	s_andn2_b64 vcc, exec, s[2:3]
	s_cbranch_vccnz .LBB513_1207
; %bb.1198:
	global_load_ubyte v1, v[2:3], off
	s_movk_i32 s2, 0x7f
	s_waitcnt vmcnt(0)
	v_cmp_lt_i16_e32 vcc, s2, v1
	s_mov_b64 s[2:3], 0
	s_and_saveexec_b64 s[10:11], vcc
	s_xor_b64 s[10:11], exec, s[10:11]
	s_cbranch_execz .LBB513_1202
; %bb.1199:
	s_movk_i32 s2, 0x80
	v_cmp_eq_u16_e32 vcc, s2, v1
	s_mov_b64 s[2:3], -1
	s_and_saveexec_b64 s[12:13], vcc
; %bb.1200:
	s_xor_b64 s[2:3], exec, -1
; %bb.1201:
	s_or_b64 exec, exec, s[12:13]
	s_and_b64 s[2:3], s[2:3], exec
.LBB513_1202:
	s_or_saveexec_b64 s[10:11], s[10:11]
	v_bfrev_b32_e32 v16, 4
	v_mov_b32_e32 v17, 0x7ff80000
	s_xor_b64 exec, exec, s[10:11]
; %bb.1203:
	v_cmp_ne_u16_e32 vcc, 0, v1
	s_andn2_b64 s[2:3], s[2:3], exec
	s_and_b64 s[12:13], vcc, exec
	v_mov_b64_e32 v[16:17], 0
	s_or_b64 s[2:3], s[2:3], s[12:13]
; %bb.1204:
	s_or_b64 exec, exec, s[10:11]
	s_and_saveexec_b64 s[10:11], s[2:3]
	s_cbranch_execz .LBB513_1206
; %bb.1205:
	v_lshlrev_b32_e32 v5, 24, v1
	v_and_b32_e32 v1, 0xffff, v1
	v_and_b32_e32 v7, 7, v1
	v_ffbh_u32_e32 v11, v7
	v_min_u32_e32 v11, 32, v11
	v_subrev_u32_e32 v13, 28, v11
	v_bfe_u32 v9, v1, 3, 4
	v_lshlrev_b32_e32 v1, v13, v1
	v_sub_u32_e32 v11, 29, v11
	v_and_b32_e32 v1, 7, v1
	v_cmp_eq_u32_e32 vcc, 0, v9
	v_and_b32_e32 v5, 0x80000000, v5
	s_nop 0
	v_cndmask_b32_e32 v9, v9, v11, vcc
	v_cndmask_b32_e32 v1, v7, v1, vcc
	v_mov_b32_e32 v7, 0x3b800000
	v_lshlrev_b32_e32 v1, 20, v1
	v_lshl_add_u32 v7, v9, 23, v7
	v_or3_b32 v1, v5, v7, v1
	v_cvt_f64_f32_e32 v[16:17], v1
.LBB513_1206:
	s_or_b64 exec, exec, s[10:11]
.LBB513_1207:
	s_mov_b64 s[10:11], -1
.LBB513_1208:
	s_branch .LBB513_1238
.LBB513_1209:
	s_cmp_gt_i32 s16, 22
	s_cbranch_scc0 .LBB513_1221
; %bb.1210:
	s_cmp_lt_i32 s16, 24
	s_cbranch_scc1 .LBB513_1222
; %bb.1211:
	s_cmp_gt_i32 s16, 24
	s_cbranch_scc0 .LBB513_1223
; %bb.1212:
	global_load_ubyte v1, v[2:3], off
	s_movk_i32 s2, 0x7f
	s_waitcnt vmcnt(0)
	v_cmp_lt_i16_e32 vcc, s2, v1
	s_mov_b64 s[2:3], 0
	s_and_saveexec_b64 s[8:9], vcc
	s_xor_b64 s[8:9], exec, s[8:9]
	s_cbranch_execz .LBB513_1216
; %bb.1213:
	s_movk_i32 s2, 0x80
	v_cmp_eq_u16_e32 vcc, s2, v1
	s_mov_b64 s[2:3], -1
	s_and_saveexec_b64 s[10:11], vcc
; %bb.1214:
	s_xor_b64 s[2:3], exec, -1
; %bb.1215:
	s_or_b64 exec, exec, s[10:11]
	s_and_b64 s[2:3], s[2:3], exec
.LBB513_1216:
	s_or_saveexec_b64 s[8:9], s[8:9]
	v_bfrev_b32_e32 v16, 4
	v_mov_b32_e32 v17, 0x7ff80000
	s_xor_b64 exec, exec, s[8:9]
; %bb.1217:
	v_cmp_ne_u16_e32 vcc, 0, v1
	s_andn2_b64 s[2:3], s[2:3], exec
	s_and_b64 s[10:11], vcc, exec
	v_mov_b64_e32 v[16:17], 0
	s_or_b64 s[2:3], s[2:3], s[10:11]
; %bb.1218:
	s_or_b64 exec, exec, s[8:9]
	s_and_saveexec_b64 s[8:9], s[2:3]
	s_cbranch_execz .LBB513_1220
; %bb.1219:
	v_lshlrev_b32_e32 v5, 24, v1
	v_and_b32_e32 v1, 0xffff, v1
	v_and_b32_e32 v7, 3, v1
	v_ffbh_u32_e32 v11, v7
	v_min_u32_e32 v11, 32, v11
	v_subrev_u32_e32 v13, 29, v11
	v_bfe_u32 v9, v1, 2, 5
	v_lshlrev_b32_e32 v1, v13, v1
	v_sub_u32_e32 v11, 30, v11
	v_and_b32_e32 v1, 3, v1
	v_cmp_eq_u32_e32 vcc, 0, v9
	v_and_b32_e32 v5, 0x80000000, v5
	s_nop 0
	v_cndmask_b32_e32 v9, v9, v11, vcc
	v_cndmask_b32_e32 v1, v7, v1, vcc
	v_mov_b32_e32 v7, 0x37800000
	v_lshlrev_b32_e32 v1, 21, v1
	v_lshl_add_u32 v7, v9, 23, v7
	v_or3_b32 v1, v5, v7, v1
	v_cvt_f64_f32_e32 v[16:17], v1
.LBB513_1220:
	s_or_b64 exec, exec, s[8:9]
	s_mov_b64 s[2:3], 0
	s_branch .LBB513_1224
.LBB513_1221:
                                        ; implicit-def: $vgpr16_vgpr17
	s_mov_b64 s[8:9], 0
	s_branch .LBB513_1230
.LBB513_1222:
	s_mov_b64 s[2:3], -1
                                        ; implicit-def: $vgpr16_vgpr17
	s_branch .LBB513_1227
.LBB513_1223:
	s_mov_b64 s[2:3], -1
                                        ; implicit-def: $vgpr16_vgpr17
.LBB513_1224:
	s_and_b64 vcc, exec, s[2:3]
	s_cbranch_vccz .LBB513_1226
; %bb.1225:
	global_load_ubyte v1, v[2:3], off
	s_mov_b32 s2, 0x7f800000
	s_waitcnt vmcnt(0)
	v_lshlrev_b32_e32 v1, 24, v1
	v_and_b32_e32 v5, 0x7f000000, v1
	v_ffbh_u32_e32 v7, v5
	v_min_u32_e32 v7, 32, v7
	v_sub_u32_e64 v7, v7, 4 clamp
	v_lshlrev_b32_e32 v11, v7, v5
	v_lshlrev_b32_e32 v7, 23, v7
	v_lshrrev_b32_e32 v11, 4, v11
	v_add_u32_e32 v9, 0x1000000, v5
	v_sub_u32_e32 v7, v11, v7
	v_ashrrev_i32_e32 v9, 8, v9
	v_add_u32_e32 v7, 0x3c000000, v7
	v_and_or_b32 v7, v9, s2, v7
	v_cmp_ne_u32_e32 vcc, 0, v5
	s_brev_b32 s2, 1
	s_nop 0
	v_cndmask_b32_e32 v5, 0, v7, vcc
	v_and_or_b32 v1, v1, s2, v5
	v_cvt_f64_f32_e32 v[16:17], v1
.LBB513_1226:
	s_mov_b64 s[2:3], 0
.LBB513_1227:
	s_andn2_b64 vcc, exec, s[2:3]
	s_cbranch_vccnz .LBB513_1229
; %bb.1228:
	global_load_ubyte v1, v[2:3], off
	s_movk_i32 s2, 0x7f00
	s_brev_b32 s3, 16
	s_waitcnt vmcnt(0)
	v_lshlrev_b16_e32 v5, 8, v1
	v_lshlrev_b32_e32 v1, 25, v1
	v_lshrrev_b32_e32 v7, 4, v1
	v_and_or_b32 v9, v5, s2, 0.5
	v_or_b32_e32 v7, 0x70000000, v7
	v_add_f32_e32 v9, -0.5, v9
	v_mul_f32_e32 v7, 0x7800000, v7
	v_cmp_gt_u32_e32 vcc, s3, v1
	v_bfe_i32 v5, v5, 0, 16
	s_brev_b32 s2, 1
	v_cndmask_b32_e32 v1, v7, v9, vcc
	v_and_or_b32 v1, v5, s2, v1
	v_cvt_f64_f32_e32 v[16:17], v1
.LBB513_1229:
	s_mov_b64 s[10:11], -1
	s_mov_b64 s[8:9], 0
	s_cbranch_execnz .LBB513_1238
.LBB513_1230:
	s_cmp_gt_i32 s16, 14
	s_cbranch_scc0 .LBB513_1233
; %bb.1231:
	s_cmp_eq_u32 s16, 15
	s_cbranch_scc0 .LBB513_1234
; %bb.1232:
	global_load_ushort v1, v[2:3], off
	s_mov_b64 s[0:1], 0
	s_mov_b64 s[10:11], -1
	s_waitcnt vmcnt(0)
	v_lshlrev_b32_e32 v1, 16, v1
	v_cvt_f64_f32_e32 v[16:17], v1
	s_branch .LBB513_1235
.LBB513_1233:
	s_mov_b64 s[2:3], -1
                                        ; implicit-def: $vgpr16_vgpr17
	s_branch .LBB513_1236
.LBB513_1234:
	s_mov_b64 s[0:1], -1
                                        ; implicit-def: $vgpr16_vgpr17
.LBB513_1235:
	s_mov_b64 s[2:3], 0
.LBB513_1236:
	s_and_b64 vcc, exec, s[2:3]
	s_cbranch_vccz .LBB513_1238
; %bb.1237:
	s_cmp_lg_u32 s16, 11
	s_mov_b64 s[8:9], -1
	s_cselect_b64 s[0:1], -1, 0
.LBB513_1238:
	s_and_b64 vcc, exec, s[0:1]
	s_mov_b64 s[2:3], s[24:25]
	s_cbranch_vccnz .LBB513_1303
; %bb.1239:
	s_andn2_b64 vcc, exec, s[8:9]
	s_cbranch_vccnz .LBB513_1241
.LBB513_1240:
	global_load_ubyte v1, v[2:3], off
	s_waitcnt vmcnt(1)
	v_mov_b32_e32 v5, 0x3ff00000
	v_mov_b32_e32 v16, 0
	s_mov_b64 s[10:11], -1
	s_waitcnt vmcnt(0)
	v_cmp_ne_u16_e32 vcc, 0, v1
	s_nop 1
	v_cndmask_b32_e32 v17, 0, v5, vcc
.LBB513_1241:
	s_branch .LBB513_1171
.LBB513_1242:
	s_and_b32 s8, 0xffff, s15
	s_cmp_lt_i32 s8, 5
	s_cbranch_scc1 .LBB513_1247
; %bb.1243:
	s_cmp_lt_i32 s8, 8
	s_cbranch_scc1 .LBB513_1248
; %bb.1244:
	;; [unrolled: 3-line block ×3, first 2 shown]
	s_cmp_gt_i32 s8, 9
	s_cbranch_scc0 .LBB513_1250
; %bb.1246:
	global_load_dwordx2 v[16:17], v[2:3], off
	s_mov_b64 s[0:1], 0
	s_branch .LBB513_1251
.LBB513_1247:
                                        ; implicit-def: $vgpr16_vgpr17
	s_branch .LBB513_1268
.LBB513_1248:
                                        ; implicit-def: $vgpr16_vgpr17
	s_branch .LBB513_1257
.LBB513_1249:
	s_mov_b64 s[0:1], -1
                                        ; implicit-def: $vgpr16_vgpr17
	s_branch .LBB513_1254
.LBB513_1250:
	s_mov_b64 s[0:1], -1
                                        ; implicit-def: $vgpr16_vgpr17
.LBB513_1251:
	s_andn2_b64 vcc, exec, s[0:1]
	s_cbranch_vccnz .LBB513_1253
; %bb.1252:
	global_load_dword v1, v[2:3], off
	s_waitcnt vmcnt(0)
	v_cvt_f64_f32_e32 v[16:17], v1
.LBB513_1253:
	s_mov_b64 s[0:1], 0
.LBB513_1254:
	s_andn2_b64 vcc, exec, s[0:1]
	s_cbranch_vccnz .LBB513_1256
; %bb.1255:
	global_load_dword v1, v[2:3], off
	s_waitcnt vmcnt(0)
	v_cvt_f32_f16_e32 v1, v1
	v_cvt_f64_f32_e32 v[16:17], v1
.LBB513_1256:
	s_cbranch_execnz .LBB513_1267
.LBB513_1257:
	s_cmp_lt_i32 s8, 6
	s_cbranch_scc1 .LBB513_1260
; %bb.1258:
	s_cmp_gt_i32 s8, 6
	s_cbranch_scc0 .LBB513_1261
; %bb.1259:
	global_load_dwordx2 v[16:17], v[2:3], off
	s_mov_b64 s[0:1], 0
	s_branch .LBB513_1262
.LBB513_1260:
	s_mov_b64 s[0:1], -1
                                        ; implicit-def: $vgpr16_vgpr17
	s_branch .LBB513_1265
.LBB513_1261:
	s_mov_b64 s[0:1], -1
                                        ; implicit-def: $vgpr16_vgpr17
.LBB513_1262:
	s_andn2_b64 vcc, exec, s[0:1]
	s_cbranch_vccnz .LBB513_1264
; %bb.1263:
	global_load_dword v1, v[2:3], off
	s_waitcnt vmcnt(0)
	v_cvt_f64_f32_e32 v[16:17], v1
.LBB513_1264:
	s_mov_b64 s[0:1], 0
.LBB513_1265:
	s_andn2_b64 vcc, exec, s[0:1]
	s_cbranch_vccnz .LBB513_1267
; %bb.1266:
	global_load_ushort v1, v[2:3], off
	s_waitcnt vmcnt(0)
	v_cvt_f32_f16_e32 v1, v1
	v_cvt_f64_f32_e32 v[16:17], v1
.LBB513_1267:
	s_cbranch_execnz .LBB513_1286
.LBB513_1268:
	s_cmp_lt_i32 s8, 2
	s_cbranch_scc1 .LBB513_1272
; %bb.1269:
	s_cmp_lt_i32 s8, 3
	s_cbranch_scc1 .LBB513_1273
; %bb.1270:
	s_cmp_gt_i32 s8, 3
	s_cbranch_scc0 .LBB513_1274
; %bb.1271:
	global_load_dwordx2 v[16:17], v[2:3], off
	s_mov_b64 s[0:1], 0
	s_waitcnt vmcnt(0)
	v_cvt_f64_i32_e32 v[18:19], v17
	v_cvt_f64_u32_e32 v[16:17], v16
	v_ldexp_f64 v[18:19], v[18:19], 32
	v_add_f64 v[16:17], v[18:19], v[16:17]
	s_branch .LBB513_1275
.LBB513_1272:
                                        ; implicit-def: $vgpr16_vgpr17
	s_branch .LBB513_1281
.LBB513_1273:
	s_mov_b64 s[0:1], -1
                                        ; implicit-def: $vgpr16_vgpr17
	s_branch .LBB513_1278
.LBB513_1274:
	s_mov_b64 s[0:1], -1
                                        ; implicit-def: $vgpr16_vgpr17
.LBB513_1275:
	s_andn2_b64 vcc, exec, s[0:1]
	s_cbranch_vccnz .LBB513_1277
; %bb.1276:
	global_load_dword v1, v[2:3], off
	s_waitcnt vmcnt(0)
	v_cvt_f64_i32_e32 v[16:17], v1
.LBB513_1277:
	s_mov_b64 s[0:1], 0
.LBB513_1278:
	s_andn2_b64 vcc, exec, s[0:1]
	s_cbranch_vccnz .LBB513_1280
; %bb.1279:
	global_load_sshort v1, v[2:3], off
	s_waitcnt vmcnt(0)
	v_cvt_f64_i32_e32 v[16:17], v1
.LBB513_1280:
	s_cbranch_execnz .LBB513_1286
.LBB513_1281:
	s_cmp_gt_i32 s8, 0
	s_cbranch_scc0 .LBB513_1283
; %bb.1282:
	global_load_sbyte v1, v[2:3], off
	s_mov_b64 s[0:1], 0
	s_waitcnt vmcnt(0)
	v_cvt_f64_i32_e32 v[16:17], v1
	s_branch .LBB513_1284
.LBB513_1283:
	s_mov_b64 s[0:1], -1
                                        ; implicit-def: $vgpr16_vgpr17
.LBB513_1284:
	s_andn2_b64 vcc, exec, s[0:1]
	s_cbranch_vccnz .LBB513_1286
; %bb.1285:
	global_load_ubyte v1, v[2:3], off
	s_waitcnt vmcnt(0)
	v_cvt_f64_u32_e32 v[16:17], v1
.LBB513_1286:
                                        ; implicit-def: $vgpr2_vgpr3
.LBB513_1287:
	s_load_dwordx2 s[0:1], s[34:35], 0x158
	s_waitcnt vmcnt(0)
	v_cmp_o_f64_e32 vcc, v[16:17], v[16:17]
	s_waitcnt lgkmcnt(0)
	v_mov_b64_e32 v[2:3], s[0:1]
	s_and_saveexec_b64 s[8:9], vcc
	s_cbranch_execz .LBB513_1291
; %bb.1288:
	s_load_dwordx2 s[10:11], s[34:35], 0x160
	s_mov_b32 s12, 0
	s_mov_b32 s13, 0x7ff00000
	v_cmp_neq_f64_e32 vcc, s[12:13], v[16:17]
	s_waitcnt lgkmcnt(0)
	v_mov_b64_e32 v[2:3], s[10:11]
	s_and_saveexec_b64 s[10:11], vcc
	s_cbranch_execz .LBB513_1290
; %bb.1289:
	s_load_dwordx2 s[12:13], s[34:35], 0x168
	s_mov_b32 s16, 0
	s_mov_b32 s17, 0xfff00000
	v_cmp_eq_f64_e32 vcc, s[16:17], v[16:17]
	s_waitcnt lgkmcnt(0)
	v_mov_b32_e32 v1, s13
	v_mov_b32_e32 v2, s12
	v_cndmask_b32_e32 v3, v17, v1, vcc
	v_cndmask_b32_e32 v2, v16, v2, vcc
.LBB513_1290:
	s_or_b64 exec, exec, s[10:11]
.LBB513_1291:
	s_or_b64 exec, exec, s[8:9]
	s_lshr_b32 s8, s14, 8
	v_mov_b32_e32 v7, 0
	s_and_b32 s18, s8, 0xff
	s_cmp_lt_i32 s18, 11
	v_lshl_add_u64 v[6:7], s[6:7], 0, v[6:7]
	s_cbranch_scc1 .LBB513_1298
; %bb.1292:
	s_and_b32 s19, 0xffff, s18
	s_cmp_gt_i32 s19, 25
	s_mov_b64 s[10:11], 0
	s_cbranch_scc0 .LBB513_1300
; %bb.1293:
	s_cmp_gt_i32 s19, 28
	s_cbranch_scc0 .LBB513_1301
; %bb.1294:
	s_cmp_gt_i32 s19, 43
	;; [unrolled: 3-line block ×3, first 2 shown]
	s_cbranch_scc0 .LBB513_1304
; %bb.1296:
	s_cmp_eq_u32 s19, 46
	s_mov_b64 s[14:15], 0
	s_cbranch_scc0 .LBB513_1307
; %bb.1297:
	global_load_dword v1, v[6:7], off
	s_mov_b64 s[8:9], 0
	s_mov_b64 s[12:13], -1
	s_waitcnt vmcnt(0)
	v_lshlrev_b32_e32 v1, 16, v1
	v_cvt_f64_f32_e32 v[16:17], v1
	s_branch .LBB513_1308
.LBB513_1298:
	s_mov_b64 s[12:13], 0
                                        ; implicit-def: $vgpr16_vgpr17
	s_cbranch_execnz .LBB513_1373
.LBB513_1299:
	s_andn2_b64 vcc, exec, s[12:13]
	s_cbranch_vccnz .LBB513_1769
	s_branch .LBB513_1420
.LBB513_1300:
	s_mov_b64 s[12:13], 0
	s_mov_b64 s[8:9], 0
                                        ; implicit-def: $vgpr16_vgpr17
	s_cbranch_execnz .LBB513_1339
	s_branch .LBB513_1369
.LBB513_1301:
	s_mov_b64 s[14:15], -1
	s_mov_b64 s[12:13], 0
	s_mov_b64 s[8:9], 0
                                        ; implicit-def: $vgpr16_vgpr17
	s_branch .LBB513_1318
.LBB513_1302:
	s_mov_b64 s[14:15], -1
	s_mov_b64 s[12:13], 0
	s_mov_b64 s[8:9], 0
                                        ; implicit-def: $vgpr16_vgpr17
	s_branch .LBB513_1313
.LBB513_1303:
	s_or_b64 s[2:3], s[24:25], exec
	s_trap 2
	s_cbranch_execz .LBB513_1240
	s_branch .LBB513_1241
.LBB513_1304:
	s_mov_b64 s[14:15], -1
	s_mov_b64 s[12:13], 0
	s_mov_b64 s[8:9], 0
                                        ; implicit-def: $vgpr16_vgpr17
	s_branch .LBB513_1308
.LBB513_1305:
	s_andn2_saveexec_b64 s[14:15], s[14:15]
	s_cbranch_execz .LBB513_1027
.LBB513_1306:
	s_mov_b32 s17, 0x42800000
	v_add_f32_e64 v3, |v2|, s17
	v_and_b32_e32 v3, 0xff, v3
	v_cmp_ne_u32_e32 vcc, 0, v3
	s_andn2_b64 s[10:11], s[10:11], exec
	s_and_b64 s[20:21], vcc, exec
	s_or_b64 s[10:11], s[10:11], s[20:21]
	s_or_b64 exec, exec, s[14:15]
	v_mov_b32_e32 v6, 0
	s_and_saveexec_b64 s[14:15], s[10:11]
	s_cbranch_execnz .LBB513_1028
	s_branch .LBB513_1029
.LBB513_1307:
	s_mov_b64 s[8:9], -1
                                        ; implicit-def: $vgpr16_vgpr17
	s_mov_b64 s[12:13], 0
.LBB513_1308:
	s_and_b64 vcc, exec, s[14:15]
	s_cbranch_vccz .LBB513_1312
; %bb.1309:
	s_cmp_eq_u32 s19, 44
	s_cbranch_scc0 .LBB513_1311
; %bb.1310:
	global_load_ubyte v1, v[6:7], off
	s_movk_i32 s12, 0xff
	v_bfrev_b32_e32 v5, 4
	v_mov_b32_e32 v9, 0x7ff80000
	v_bfrev_b32_e32 v11, 28
	s_mov_b64 s[8:9], 0
	s_waitcnt vmcnt(0)
	v_lshlrev_b32_e32 v13, 23, v1
	v_cvt_f64_f32_e32 v[16:17], v13
	v_cmp_ne_u32_e32 vcc, s12, v1
	s_mov_b64 s[12:13], -1
	s_nop 0
	v_cndmask_b32_e32 v5, v5, v16, vcc
	v_cndmask_b32_e32 v9, v9, v17, vcc
	v_cmp_ne_u32_e32 vcc, 0, v1
	s_nop 1
	v_cndmask_b32_e32 v17, v11, v9, vcc
	v_cndmask_b32_e32 v16, 0, v5, vcc
	s_branch .LBB513_1312
.LBB513_1311:
	s_mov_b64 s[8:9], -1
                                        ; implicit-def: $vgpr16_vgpr17
.LBB513_1312:
	s_mov_b64 s[14:15], 0
.LBB513_1313:
	s_and_b64 vcc, exec, s[14:15]
	s_cbranch_vccz .LBB513_1317
; %bb.1314:
	s_cmp_eq_u32 s19, 29
	s_cbranch_scc0 .LBB513_1316
; %bb.1315:
	global_load_dwordx2 v[16:17], v[6:7], off
	s_mov_b64 s[8:9], 0
	s_mov_b64 s[12:13], -1
	s_mov_b64 s[14:15], 0
	s_waitcnt vmcnt(0)
	v_cvt_f64_u32_e32 v[18:19], v17
	v_cvt_f64_u32_e32 v[16:17], v16
	v_ldexp_f64 v[18:19], v[18:19], 32
	v_add_f64 v[16:17], v[18:19], v[16:17]
	s_branch .LBB513_1318
.LBB513_1316:
	s_mov_b64 s[8:9], -1
                                        ; implicit-def: $vgpr16_vgpr17
.LBB513_1317:
	s_mov_b64 s[14:15], 0
.LBB513_1318:
	s_and_b64 vcc, exec, s[14:15]
	s_cbranch_vccz .LBB513_1338
; %bb.1319:
	s_cmp_lt_i32 s19, 27
	s_cbranch_scc1 .LBB513_1322
; %bb.1320:
	s_cmp_gt_i32 s19, 27
	s_cbranch_scc0 .LBB513_1323
; %bb.1321:
	global_load_dword v1, v[6:7], off
	s_mov_b64 s[12:13], 0
	s_waitcnt vmcnt(0)
	v_cvt_f64_u32_e32 v[16:17], v1
	s_branch .LBB513_1324
.LBB513_1322:
	s_mov_b64 s[12:13], -1
                                        ; implicit-def: $vgpr16_vgpr17
	s_branch .LBB513_1327
.LBB513_1323:
	s_mov_b64 s[12:13], -1
                                        ; implicit-def: $vgpr16_vgpr17
.LBB513_1324:
	s_andn2_b64 vcc, exec, s[12:13]
	s_cbranch_vccnz .LBB513_1326
; %bb.1325:
	global_load_ushort v1, v[6:7], off
	s_waitcnt vmcnt(0)
	v_cvt_f64_u32_e32 v[16:17], v1
.LBB513_1326:
	s_mov_b64 s[12:13], 0
.LBB513_1327:
	s_andn2_b64 vcc, exec, s[12:13]
	s_cbranch_vccnz .LBB513_1337
; %bb.1328:
	global_load_ubyte v1, v[6:7], off
	s_movk_i32 s12, 0x7f
	s_waitcnt vmcnt(0)
	v_cmp_lt_i16_e32 vcc, s12, v1
	s_mov_b64 s[12:13], 0
	s_and_saveexec_b64 s[14:15], vcc
	s_xor_b64 s[14:15], exec, s[14:15]
	s_cbranch_execz .LBB513_1332
; %bb.1329:
	s_movk_i32 s12, 0x80
	v_cmp_eq_u16_e32 vcc, s12, v1
	s_mov_b64 s[12:13], -1
	s_and_saveexec_b64 s[16:17], vcc
; %bb.1330:
	s_xor_b64 s[12:13], exec, -1
; %bb.1331:
	s_or_b64 exec, exec, s[16:17]
	s_and_b64 s[12:13], s[12:13], exec
.LBB513_1332:
	s_or_saveexec_b64 s[14:15], s[14:15]
	v_bfrev_b32_e32 v16, 4
	v_mov_b32_e32 v17, 0x7ff80000
	s_xor_b64 exec, exec, s[14:15]
; %bb.1333:
	v_cmp_ne_u16_e32 vcc, 0, v1
	s_andn2_b64 s[12:13], s[12:13], exec
	s_and_b64 s[16:17], vcc, exec
	v_mov_b64_e32 v[16:17], 0
	s_or_b64 s[12:13], s[12:13], s[16:17]
; %bb.1334:
	s_or_b64 exec, exec, s[14:15]
	s_and_saveexec_b64 s[14:15], s[12:13]
	s_cbranch_execz .LBB513_1336
; %bb.1335:
	v_lshlrev_b32_e32 v5, 24, v1
	v_and_b32_e32 v1, 0xffff, v1
	v_and_b32_e32 v9, 7, v1
	v_ffbh_u32_e32 v13, v9
	v_min_u32_e32 v13, 32, v13
	v_subrev_u32_e32 v15, 28, v13
	v_bfe_u32 v11, v1, 3, 4
	v_lshlrev_b32_e32 v1, v15, v1
	v_sub_u32_e32 v13, 29, v13
	v_and_b32_e32 v1, 7, v1
	v_cmp_eq_u32_e32 vcc, 0, v11
	v_and_b32_e32 v5, 0x80000000, v5
	s_nop 0
	v_cndmask_b32_e32 v11, v11, v13, vcc
	v_cndmask_b32_e32 v1, v9, v1, vcc
	v_mov_b32_e32 v9, 0x3b800000
	v_lshlrev_b32_e32 v1, 20, v1
	v_lshl_add_u32 v9, v11, 23, v9
	v_or3_b32 v1, v5, v9, v1
	v_cvt_f64_f32_e32 v[16:17], v1
.LBB513_1336:
	s_or_b64 exec, exec, s[14:15]
.LBB513_1337:
	s_mov_b64 s[12:13], -1
.LBB513_1338:
	s_branch .LBB513_1369
.LBB513_1339:
	s_cmp_gt_i32 s19, 22
	s_cbranch_scc0 .LBB513_1351
; %bb.1340:
	s_cmp_lt_i32 s19, 24
	s_cbranch_scc1 .LBB513_1352
; %bb.1341:
	s_cmp_gt_i32 s19, 24
	s_cbranch_scc0 .LBB513_1353
; %bb.1342:
	global_load_ubyte v1, v[6:7], off
	s_movk_i32 s10, 0x7f
	s_waitcnt vmcnt(0)
	v_cmp_lt_i16_e32 vcc, s10, v1
	s_mov_b64 s[10:11], 0
	s_and_saveexec_b64 s[12:13], vcc
	s_xor_b64 s[12:13], exec, s[12:13]
	s_cbranch_execz .LBB513_1346
; %bb.1343:
	s_movk_i32 s10, 0x80
	v_cmp_eq_u16_e32 vcc, s10, v1
	s_mov_b64 s[10:11], -1
	s_and_saveexec_b64 s[14:15], vcc
; %bb.1344:
	s_xor_b64 s[10:11], exec, -1
; %bb.1345:
	s_or_b64 exec, exec, s[14:15]
	s_and_b64 s[10:11], s[10:11], exec
.LBB513_1346:
	s_or_saveexec_b64 s[12:13], s[12:13]
	v_bfrev_b32_e32 v16, 4
	v_mov_b32_e32 v17, 0x7ff80000
	s_xor_b64 exec, exec, s[12:13]
; %bb.1347:
	v_cmp_ne_u16_e32 vcc, 0, v1
	s_andn2_b64 s[10:11], s[10:11], exec
	s_and_b64 s[14:15], vcc, exec
	v_mov_b64_e32 v[16:17], 0
	s_or_b64 s[10:11], s[10:11], s[14:15]
; %bb.1348:
	s_or_b64 exec, exec, s[12:13]
	s_and_saveexec_b64 s[12:13], s[10:11]
	s_cbranch_execz .LBB513_1350
; %bb.1349:
	v_lshlrev_b32_e32 v5, 24, v1
	v_and_b32_e32 v1, 0xffff, v1
	v_and_b32_e32 v9, 3, v1
	v_ffbh_u32_e32 v13, v9
	v_min_u32_e32 v13, 32, v13
	v_subrev_u32_e32 v15, 29, v13
	v_bfe_u32 v11, v1, 2, 5
	v_lshlrev_b32_e32 v1, v15, v1
	v_sub_u32_e32 v13, 30, v13
	v_and_b32_e32 v1, 3, v1
	v_cmp_eq_u32_e32 vcc, 0, v11
	v_and_b32_e32 v5, 0x80000000, v5
	s_nop 0
	v_cndmask_b32_e32 v11, v11, v13, vcc
	v_cndmask_b32_e32 v1, v9, v1, vcc
	v_mov_b32_e32 v9, 0x37800000
	v_lshlrev_b32_e32 v1, 21, v1
	v_lshl_add_u32 v9, v11, 23, v9
	v_or3_b32 v1, v5, v9, v1
	v_cvt_f64_f32_e32 v[16:17], v1
.LBB513_1350:
	s_or_b64 exec, exec, s[12:13]
	s_mov_b64 s[10:11], 0
	s_branch .LBB513_1354
.LBB513_1351:
	s_mov_b64 s[10:11], -1
                                        ; implicit-def: $vgpr16_vgpr17
	s_branch .LBB513_1360
.LBB513_1352:
	s_mov_b64 s[10:11], -1
                                        ; implicit-def: $vgpr16_vgpr17
	s_branch .LBB513_1357
.LBB513_1353:
	s_mov_b64 s[10:11], -1
                                        ; implicit-def: $vgpr16_vgpr17
.LBB513_1354:
	s_and_b64 vcc, exec, s[10:11]
	s_cbranch_vccz .LBB513_1356
; %bb.1355:
	global_load_ubyte v1, v[6:7], off
	s_mov_b32 s10, 0x7f800000
	s_waitcnt vmcnt(0)
	v_lshlrev_b32_e32 v1, 24, v1
	v_and_b32_e32 v5, 0x7f000000, v1
	v_ffbh_u32_e32 v9, v5
	v_min_u32_e32 v9, 32, v9
	v_sub_u32_e64 v9, v9, 4 clamp
	v_lshlrev_b32_e32 v13, v9, v5
	v_lshlrev_b32_e32 v9, 23, v9
	v_lshrrev_b32_e32 v13, 4, v13
	v_add_u32_e32 v11, 0x1000000, v5
	v_sub_u32_e32 v9, v13, v9
	v_ashrrev_i32_e32 v11, 8, v11
	v_add_u32_e32 v9, 0x3c000000, v9
	v_and_or_b32 v9, v11, s10, v9
	v_cmp_ne_u32_e32 vcc, 0, v5
	s_brev_b32 s10, 1
	s_nop 0
	v_cndmask_b32_e32 v5, 0, v9, vcc
	v_and_or_b32 v1, v1, s10, v5
	v_cvt_f64_f32_e32 v[16:17], v1
.LBB513_1356:
	s_mov_b64 s[10:11], 0
.LBB513_1357:
	s_andn2_b64 vcc, exec, s[10:11]
	s_cbranch_vccnz .LBB513_1359
; %bb.1358:
	global_load_ubyte v1, v[6:7], off
	s_movk_i32 s10, 0x7f00
	s_brev_b32 s11, 16
	s_waitcnt vmcnt(0)
	v_lshlrev_b16_e32 v5, 8, v1
	v_lshlrev_b32_e32 v1, 25, v1
	v_lshrrev_b32_e32 v9, 4, v1
	v_and_or_b32 v11, v5, s10, 0.5
	v_or_b32_e32 v9, 0x70000000, v9
	v_add_f32_e32 v11, -0.5, v11
	v_mul_f32_e32 v9, 0x7800000, v9
	v_cmp_gt_u32_e32 vcc, s11, v1
	v_bfe_i32 v5, v5, 0, 16
	s_brev_b32 s10, 1
	v_cndmask_b32_e32 v1, v9, v11, vcc
	v_and_or_b32 v1, v5, s10, v1
	v_cvt_f64_f32_e32 v[16:17], v1
.LBB513_1359:
	s_mov_b64 s[10:11], 0
	s_mov_b64 s[12:13], -1
.LBB513_1360:
	s_andn2_b64 vcc, exec, s[10:11]
	s_mov_b64 s[10:11], 0
	s_cbranch_vccnz .LBB513_1369
; %bb.1361:
	s_cmp_gt_i32 s19, 14
	s_cbranch_scc0 .LBB513_1364
; %bb.1362:
	s_cmp_eq_u32 s19, 15
	s_cbranch_scc0 .LBB513_1365
; %bb.1363:
	global_load_ushort v1, v[6:7], off
	s_mov_b64 s[8:9], 0
	s_mov_b64 s[12:13], -1
	s_waitcnt vmcnt(0)
	v_lshlrev_b32_e32 v1, 16, v1
	v_cvt_f64_f32_e32 v[16:17], v1
	s_branch .LBB513_1366
.LBB513_1364:
	s_mov_b64 s[14:15], -1
                                        ; implicit-def: $vgpr16_vgpr17
	s_branch .LBB513_1367
.LBB513_1365:
	s_mov_b64 s[8:9], -1
                                        ; implicit-def: $vgpr16_vgpr17
.LBB513_1366:
	s_mov_b64 s[14:15], 0
.LBB513_1367:
	s_and_b64 vcc, exec, s[14:15]
	s_cbranch_vccz .LBB513_1369
; %bb.1368:
	s_cmp_lg_u32 s19, 11
	s_mov_b64 s[10:11], -1
	s_cselect_b64 s[8:9], -1, 0
.LBB513_1369:
	s_and_b64 vcc, exec, s[8:9]
	s_cbranch_vccnz .LBB513_1436
; %bb.1370:
	s_andn2_b64 vcc, exec, s[10:11]
	s_cbranch_vccnz .LBB513_1372
.LBB513_1371:
	global_load_ubyte v1, v[6:7], off
	v_mov_b32_e32 v5, 0x3ff00000
	v_mov_b32_e32 v16, 0
	s_mov_b64 s[12:13], -1
	s_waitcnt vmcnt(0)
	v_cmp_ne_u16_e32 vcc, 0, v1
	s_nop 1
	v_cndmask_b32_e32 v17, 0, v5, vcc
.LBB513_1372:
	s_branch .LBB513_1299
.LBB513_1373:
	s_and_b32 s10, 0xffff, s18
	s_cmp_lt_i32 s10, 5
	s_cbranch_scc1 .LBB513_1378
; %bb.1374:
	s_cmp_lt_i32 s10, 8
	s_cbranch_scc1 .LBB513_1379
; %bb.1375:
	;; [unrolled: 3-line block ×3, first 2 shown]
	s_cmp_gt_i32 s10, 9
	s_cbranch_scc0 .LBB513_1381
; %bb.1377:
	global_load_dwordx2 v[16:17], v[6:7], off
	s_mov_b64 s[8:9], 0
	s_branch .LBB513_1382
.LBB513_1378:
                                        ; implicit-def: $vgpr16_vgpr17
	s_branch .LBB513_1400
.LBB513_1379:
	s_mov_b64 s[8:9], -1
                                        ; implicit-def: $vgpr16_vgpr17
	s_branch .LBB513_1388
.LBB513_1380:
	s_mov_b64 s[8:9], -1
                                        ; implicit-def: $vgpr16_vgpr17
	s_branch .LBB513_1385
.LBB513_1381:
	s_mov_b64 s[8:9], -1
                                        ; implicit-def: $vgpr16_vgpr17
.LBB513_1382:
	s_andn2_b64 vcc, exec, s[8:9]
	s_cbranch_vccnz .LBB513_1384
; %bb.1383:
	global_load_dword v1, v[6:7], off
	s_waitcnt vmcnt(0)
	v_cvt_f64_f32_e32 v[16:17], v1
.LBB513_1384:
	s_mov_b64 s[8:9], 0
.LBB513_1385:
	s_andn2_b64 vcc, exec, s[8:9]
	s_cbranch_vccnz .LBB513_1387
; %bb.1386:
	global_load_dword v1, v[6:7], off
	s_waitcnt vmcnt(0)
	v_cvt_f32_f16_e32 v1, v1
	v_cvt_f64_f32_e32 v[16:17], v1
.LBB513_1387:
	s_mov_b64 s[8:9], 0
.LBB513_1388:
	s_andn2_b64 vcc, exec, s[8:9]
	s_cbranch_vccnz .LBB513_1399
; %bb.1389:
	s_cmp_lt_i32 s10, 6
	s_cbranch_scc1 .LBB513_1392
; %bb.1390:
	s_cmp_gt_i32 s10, 6
	s_cbranch_scc0 .LBB513_1393
; %bb.1391:
	global_load_dwordx2 v[16:17], v[6:7], off
	s_mov_b64 s[8:9], 0
	s_branch .LBB513_1394
.LBB513_1392:
	s_mov_b64 s[8:9], -1
                                        ; implicit-def: $vgpr16_vgpr17
	s_branch .LBB513_1397
.LBB513_1393:
	s_mov_b64 s[8:9], -1
                                        ; implicit-def: $vgpr16_vgpr17
.LBB513_1394:
	s_andn2_b64 vcc, exec, s[8:9]
	s_cbranch_vccnz .LBB513_1396
; %bb.1395:
	global_load_dword v1, v[6:7], off
	s_waitcnt vmcnt(0)
	v_cvt_f64_f32_e32 v[16:17], v1
.LBB513_1396:
	s_mov_b64 s[8:9], 0
.LBB513_1397:
	s_andn2_b64 vcc, exec, s[8:9]
	s_cbranch_vccnz .LBB513_1399
; %bb.1398:
	global_load_ushort v1, v[6:7], off
	s_waitcnt vmcnt(0)
	v_cvt_f32_f16_e32 v1, v1
	v_cvt_f64_f32_e32 v[16:17], v1
.LBB513_1399:
	s_cbranch_execnz .LBB513_1419
.LBB513_1400:
	s_cmp_lt_i32 s10, 2
	s_cbranch_scc1 .LBB513_1404
; %bb.1401:
	s_cmp_lt_i32 s10, 3
	s_cbranch_scc1 .LBB513_1405
; %bb.1402:
	s_cmp_gt_i32 s10, 3
	s_cbranch_scc0 .LBB513_1406
; %bb.1403:
	global_load_dwordx2 v[16:17], v[6:7], off
	s_mov_b64 s[8:9], 0
	s_waitcnt vmcnt(0)
	v_cvt_f64_i32_e32 v[18:19], v17
	v_cvt_f64_u32_e32 v[16:17], v16
	v_ldexp_f64 v[18:19], v[18:19], 32
	v_add_f64 v[16:17], v[18:19], v[16:17]
	s_branch .LBB513_1407
.LBB513_1404:
	s_mov_b64 s[8:9], -1
                                        ; implicit-def: $vgpr16_vgpr17
	s_branch .LBB513_1413
.LBB513_1405:
	s_mov_b64 s[8:9], -1
                                        ; implicit-def: $vgpr16_vgpr17
	s_branch .LBB513_1410
.LBB513_1406:
	s_mov_b64 s[8:9], -1
                                        ; implicit-def: $vgpr16_vgpr17
.LBB513_1407:
	s_andn2_b64 vcc, exec, s[8:9]
	s_cbranch_vccnz .LBB513_1409
; %bb.1408:
	global_load_dword v1, v[6:7], off
	s_waitcnt vmcnt(0)
	v_cvt_f64_i32_e32 v[16:17], v1
.LBB513_1409:
	s_mov_b64 s[8:9], 0
.LBB513_1410:
	s_andn2_b64 vcc, exec, s[8:9]
	s_cbranch_vccnz .LBB513_1412
; %bb.1411:
	global_load_sshort v1, v[6:7], off
	s_waitcnt vmcnt(0)
	v_cvt_f64_i32_e32 v[16:17], v1
.LBB513_1412:
	s_mov_b64 s[8:9], 0
.LBB513_1413:
	s_andn2_b64 vcc, exec, s[8:9]
	s_cbranch_vccnz .LBB513_1419
; %bb.1414:
	s_cmp_gt_i32 s10, 0
	s_cbranch_scc0 .LBB513_1416
; %bb.1415:
	global_load_sbyte v1, v[6:7], off
	s_mov_b64 s[8:9], 0
	s_waitcnt vmcnt(0)
	v_cvt_f64_i32_e32 v[16:17], v1
	s_branch .LBB513_1417
.LBB513_1416:
	s_mov_b64 s[8:9], -1
                                        ; implicit-def: $vgpr16_vgpr17
.LBB513_1417:
	s_andn2_b64 vcc, exec, s[8:9]
	s_cbranch_vccnz .LBB513_1419
; %bb.1418:
	global_load_ubyte v1, v[6:7], off
	s_waitcnt vmcnt(0)
	v_cvt_f64_u32_e32 v[16:17], v1
.LBB513_1419:
.LBB513_1420:
	s_waitcnt vmcnt(0)
	v_cmp_o_f64_e32 vcc, v[16:17], v[16:17]
	v_mov_b64_e32 v[6:7], s[0:1]
	s_and_saveexec_b64 s[8:9], vcc
	s_cbranch_execz .LBB513_1424
; %bb.1421:
	s_load_dwordx2 s[10:11], s[34:35], 0x160
	s_mov_b32 s12, 0
	s_mov_b32 s13, 0x7ff00000
	v_cmp_neq_f64_e32 vcc, s[12:13], v[16:17]
	s_waitcnt lgkmcnt(0)
	v_mov_b64_e32 v[6:7], s[10:11]
	s_and_saveexec_b64 s[10:11], vcc
	s_cbranch_execz .LBB513_1423
; %bb.1422:
	s_load_dwordx2 s[12:13], s[34:35], 0x168
	s_mov_b32 s14, 0
	s_mov_b32 s15, 0xfff00000
	v_cmp_eq_f64_e32 vcc, s[14:15], v[16:17]
	s_waitcnt lgkmcnt(0)
	v_mov_b32_e32 v1, s13
	v_mov_b32_e32 v5, s12
	v_cndmask_b32_e32 v7, v17, v1, vcc
	v_cndmask_b32_e32 v6, v16, v5, vcc
.LBB513_1423:
	s_or_b64 exec, exec, s[10:11]
.LBB513_1424:
	s_or_b64 exec, exec, s[8:9]
	v_mov_b32_e32 v11, 0
	s_cmp_lt_i32 s18, 11
	v_lshl_add_u64 v[10:11], s[6:7], 0, v[10:11]
	s_cbranch_scc1 .LBB513_1431
; %bb.1425:
	s_and_b32 s19, 0xffff, s18
	s_cmp_gt_i32 s19, 25
	s_mov_b64 s[10:11], 0
	s_cbranch_scc0 .LBB513_1433
; %bb.1426:
	s_cmp_gt_i32 s19, 28
	s_cbranch_scc0 .LBB513_1434
; %bb.1427:
	s_cmp_gt_i32 s19, 43
	;; [unrolled: 3-line block ×3, first 2 shown]
	s_cbranch_scc0 .LBB513_1437
; %bb.1429:
	s_cmp_eq_u32 s19, 46
	s_mov_b64 s[14:15], 0
	s_cbranch_scc0 .LBB513_1438
; %bb.1430:
	global_load_dword v1, v[10:11], off
	s_mov_b64 s[8:9], 0
	s_mov_b64 s[12:13], -1
	s_waitcnt vmcnt(0)
	v_lshlrev_b32_e32 v1, 16, v1
	v_cvt_f64_f32_e32 v[16:17], v1
	s_branch .LBB513_1439
.LBB513_1431:
	s_mov_b64 s[12:13], 0
                                        ; implicit-def: $vgpr16_vgpr17
	s_cbranch_execnz .LBB513_1505
.LBB513_1432:
	s_andn2_b64 vcc, exec, s[12:13]
	s_cbranch_vccnz .LBB513_1769
	s_branch .LBB513_1553
.LBB513_1433:
	s_mov_b64 s[14:15], -1
	s_mov_b64 s[12:13], 0
	s_mov_b64 s[8:9], 0
                                        ; implicit-def: $vgpr16_vgpr17
	s_branch .LBB513_1470
.LBB513_1434:
	s_mov_b64 s[14:15], -1
	s_mov_b64 s[12:13], 0
	s_mov_b64 s[8:9], 0
                                        ; implicit-def: $vgpr16_vgpr17
	s_branch .LBB513_1449
.LBB513_1435:
	s_mov_b64 s[14:15], -1
	s_mov_b64 s[12:13], 0
	s_mov_b64 s[8:9], 0
                                        ; implicit-def: $vgpr16_vgpr17
	s_branch .LBB513_1444
.LBB513_1436:
	s_trap 2
	s_or_b64 s[2:3], s[2:3], exec
	s_cbranch_execz .LBB513_1371
	s_branch .LBB513_1372
.LBB513_1437:
	s_mov_b64 s[14:15], -1
	s_mov_b64 s[12:13], 0
	s_mov_b64 s[8:9], 0
                                        ; implicit-def: $vgpr16_vgpr17
	s_branch .LBB513_1439
.LBB513_1438:
	s_mov_b64 s[8:9], -1
                                        ; implicit-def: $vgpr16_vgpr17
	s_mov_b64 s[12:13], 0
.LBB513_1439:
	s_and_b64 vcc, exec, s[14:15]
	s_cbranch_vccz .LBB513_1443
; %bb.1440:
	s_cmp_eq_u32 s19, 44
	s_cbranch_scc0 .LBB513_1442
; %bb.1441:
	global_load_ubyte v1, v[10:11], off
	s_movk_i32 s12, 0xff
	v_bfrev_b32_e32 v5, 4
	v_mov_b32_e32 v9, 0x7ff80000
	v_bfrev_b32_e32 v13, 28
	s_mov_b64 s[8:9], 0
	s_waitcnt vmcnt(0)
	v_lshlrev_b32_e32 v15, 23, v1
	v_cvt_f64_f32_e32 v[16:17], v15
	v_cmp_ne_u32_e32 vcc, s12, v1
	s_mov_b64 s[12:13], -1
	s_nop 0
	v_cndmask_b32_e32 v5, v5, v16, vcc
	v_cndmask_b32_e32 v9, v9, v17, vcc
	v_cmp_ne_u32_e32 vcc, 0, v1
	s_nop 1
	v_cndmask_b32_e32 v17, v13, v9, vcc
	v_cndmask_b32_e32 v16, 0, v5, vcc
	s_branch .LBB513_1443
.LBB513_1442:
	s_mov_b64 s[8:9], -1
                                        ; implicit-def: $vgpr16_vgpr17
.LBB513_1443:
	s_mov_b64 s[14:15], 0
.LBB513_1444:
	s_and_b64 vcc, exec, s[14:15]
	s_cbranch_vccz .LBB513_1448
; %bb.1445:
	s_cmp_eq_u32 s19, 29
	s_cbranch_scc0 .LBB513_1447
; %bb.1446:
	global_load_dwordx2 v[16:17], v[10:11], off
	s_mov_b64 s[8:9], 0
	s_mov_b64 s[12:13], -1
	s_mov_b64 s[14:15], 0
	s_waitcnt vmcnt(0)
	v_cvt_f64_u32_e32 v[18:19], v17
	v_cvt_f64_u32_e32 v[16:17], v16
	v_ldexp_f64 v[18:19], v[18:19], 32
	v_add_f64 v[16:17], v[18:19], v[16:17]
	s_branch .LBB513_1449
.LBB513_1447:
	s_mov_b64 s[8:9], -1
                                        ; implicit-def: $vgpr16_vgpr17
.LBB513_1448:
	s_mov_b64 s[14:15], 0
.LBB513_1449:
	s_and_b64 vcc, exec, s[14:15]
	s_cbranch_vccz .LBB513_1469
; %bb.1450:
	s_cmp_lt_i32 s19, 27
	s_cbranch_scc1 .LBB513_1453
; %bb.1451:
	s_cmp_gt_i32 s19, 27
	s_cbranch_scc0 .LBB513_1454
; %bb.1452:
	global_load_dword v1, v[10:11], off
	s_mov_b64 s[12:13], 0
	s_waitcnt vmcnt(0)
	v_cvt_f64_u32_e32 v[16:17], v1
	s_branch .LBB513_1455
.LBB513_1453:
	s_mov_b64 s[12:13], -1
                                        ; implicit-def: $vgpr16_vgpr17
	s_branch .LBB513_1458
.LBB513_1454:
	s_mov_b64 s[12:13], -1
                                        ; implicit-def: $vgpr16_vgpr17
.LBB513_1455:
	s_andn2_b64 vcc, exec, s[12:13]
	s_cbranch_vccnz .LBB513_1457
; %bb.1456:
	global_load_ushort v1, v[10:11], off
	s_waitcnt vmcnt(0)
	v_cvt_f64_u32_e32 v[16:17], v1
.LBB513_1457:
	s_mov_b64 s[12:13], 0
.LBB513_1458:
	s_andn2_b64 vcc, exec, s[12:13]
	s_cbranch_vccnz .LBB513_1468
; %bb.1459:
	global_load_ubyte v1, v[10:11], off
	s_movk_i32 s12, 0x7f
	s_waitcnt vmcnt(0)
	v_cmp_lt_i16_e32 vcc, s12, v1
	s_mov_b64 s[12:13], 0
	s_and_saveexec_b64 s[14:15], vcc
	s_xor_b64 s[14:15], exec, s[14:15]
	s_cbranch_execz .LBB513_1463
; %bb.1460:
	s_movk_i32 s12, 0x80
	v_cmp_eq_u16_e32 vcc, s12, v1
	s_mov_b64 s[12:13], -1
	s_and_saveexec_b64 s[16:17], vcc
; %bb.1461:
	s_xor_b64 s[12:13], exec, -1
; %bb.1462:
	s_or_b64 exec, exec, s[16:17]
	s_and_b64 s[12:13], s[12:13], exec
.LBB513_1463:
	s_or_saveexec_b64 s[14:15], s[14:15]
	v_bfrev_b32_e32 v16, 4
	v_mov_b32_e32 v17, 0x7ff80000
	s_xor_b64 exec, exec, s[14:15]
; %bb.1464:
	v_cmp_ne_u16_e32 vcc, 0, v1
	s_andn2_b64 s[12:13], s[12:13], exec
	s_and_b64 s[16:17], vcc, exec
	v_mov_b64_e32 v[16:17], 0
	s_or_b64 s[12:13], s[12:13], s[16:17]
; %bb.1465:
	s_or_b64 exec, exec, s[14:15]
	s_and_saveexec_b64 s[14:15], s[12:13]
	s_cbranch_execz .LBB513_1467
; %bb.1466:
	v_lshlrev_b32_e32 v5, 24, v1
	v_and_b32_e32 v1, 0xffff, v1
	v_and_b32_e32 v9, 7, v1
	v_ffbh_u32_e32 v15, v9
	v_min_u32_e32 v15, 32, v15
	v_subrev_u32_e32 v16, 28, v15
	v_bfe_u32 v13, v1, 3, 4
	v_lshlrev_b32_e32 v1, v16, v1
	v_sub_u32_e32 v15, 29, v15
	v_and_b32_e32 v1, 7, v1
	v_cmp_eq_u32_e32 vcc, 0, v13
	v_and_b32_e32 v5, 0x80000000, v5
	s_nop 0
	v_cndmask_b32_e32 v13, v13, v15, vcc
	v_cndmask_b32_e32 v1, v9, v1, vcc
	v_mov_b32_e32 v9, 0x3b800000
	v_lshlrev_b32_e32 v1, 20, v1
	v_lshl_add_u32 v9, v13, 23, v9
	v_or3_b32 v1, v5, v9, v1
	v_cvt_f64_f32_e32 v[16:17], v1
.LBB513_1467:
	s_or_b64 exec, exec, s[14:15]
.LBB513_1468:
	s_mov_b64 s[12:13], -1
.LBB513_1469:
	s_mov_b64 s[14:15], 0
.LBB513_1470:
	s_and_b64 vcc, exec, s[14:15]
	s_cbranch_vccz .LBB513_1501
; %bb.1471:
	s_cmp_gt_i32 s19, 22
	s_cbranch_scc0 .LBB513_1483
; %bb.1472:
	s_cmp_lt_i32 s19, 24
	s_cbranch_scc1 .LBB513_1484
; %bb.1473:
	s_cmp_gt_i32 s19, 24
	s_cbranch_scc0 .LBB513_1485
; %bb.1474:
	global_load_ubyte v1, v[10:11], off
	s_movk_i32 s10, 0x7f
	s_waitcnt vmcnt(0)
	v_cmp_lt_i16_e32 vcc, s10, v1
	s_mov_b64 s[10:11], 0
	s_and_saveexec_b64 s[12:13], vcc
	s_xor_b64 s[12:13], exec, s[12:13]
	s_cbranch_execz .LBB513_1478
; %bb.1475:
	s_movk_i32 s10, 0x80
	v_cmp_eq_u16_e32 vcc, s10, v1
	s_mov_b64 s[10:11], -1
	s_and_saveexec_b64 s[14:15], vcc
; %bb.1476:
	s_xor_b64 s[10:11], exec, -1
; %bb.1477:
	s_or_b64 exec, exec, s[14:15]
	s_and_b64 s[10:11], s[10:11], exec
.LBB513_1478:
	s_or_saveexec_b64 s[12:13], s[12:13]
	v_bfrev_b32_e32 v16, 4
	v_mov_b32_e32 v17, 0x7ff80000
	s_xor_b64 exec, exec, s[12:13]
; %bb.1479:
	v_cmp_ne_u16_e32 vcc, 0, v1
	s_andn2_b64 s[10:11], s[10:11], exec
	s_and_b64 s[14:15], vcc, exec
	v_mov_b64_e32 v[16:17], 0
	s_or_b64 s[10:11], s[10:11], s[14:15]
; %bb.1480:
	s_or_b64 exec, exec, s[12:13]
	s_and_saveexec_b64 s[12:13], s[10:11]
	s_cbranch_execz .LBB513_1482
; %bb.1481:
	v_lshlrev_b32_e32 v5, 24, v1
	v_and_b32_e32 v1, 0xffff, v1
	v_and_b32_e32 v9, 3, v1
	v_ffbh_u32_e32 v15, v9
	v_min_u32_e32 v15, 32, v15
	v_subrev_u32_e32 v16, 29, v15
	v_bfe_u32 v13, v1, 2, 5
	v_lshlrev_b32_e32 v1, v16, v1
	v_sub_u32_e32 v15, 30, v15
	v_and_b32_e32 v1, 3, v1
	v_cmp_eq_u32_e32 vcc, 0, v13
	v_and_b32_e32 v5, 0x80000000, v5
	s_nop 0
	v_cndmask_b32_e32 v13, v13, v15, vcc
	v_cndmask_b32_e32 v1, v9, v1, vcc
	v_mov_b32_e32 v9, 0x37800000
	v_lshlrev_b32_e32 v1, 21, v1
	v_lshl_add_u32 v9, v13, 23, v9
	v_or3_b32 v1, v5, v9, v1
	v_cvt_f64_f32_e32 v[16:17], v1
.LBB513_1482:
	s_or_b64 exec, exec, s[12:13]
	s_mov_b64 s[10:11], 0
	s_branch .LBB513_1486
.LBB513_1483:
	s_mov_b64 s[10:11], -1
                                        ; implicit-def: $vgpr16_vgpr17
	s_branch .LBB513_1492
.LBB513_1484:
	s_mov_b64 s[10:11], -1
                                        ; implicit-def: $vgpr16_vgpr17
	s_branch .LBB513_1489
.LBB513_1485:
	s_mov_b64 s[10:11], -1
                                        ; implicit-def: $vgpr16_vgpr17
.LBB513_1486:
	s_and_b64 vcc, exec, s[10:11]
	s_cbranch_vccz .LBB513_1488
; %bb.1487:
	global_load_ubyte v1, v[10:11], off
	s_mov_b32 s10, 0x7f800000
	s_waitcnt vmcnt(0)
	v_lshlrev_b32_e32 v1, 24, v1
	v_and_b32_e32 v5, 0x7f000000, v1
	v_ffbh_u32_e32 v9, v5
	v_min_u32_e32 v9, 32, v9
	v_sub_u32_e64 v9, v9, 4 clamp
	v_lshlrev_b32_e32 v15, v9, v5
	v_lshlrev_b32_e32 v9, 23, v9
	v_lshrrev_b32_e32 v15, 4, v15
	v_add_u32_e32 v13, 0x1000000, v5
	v_sub_u32_e32 v9, v15, v9
	v_ashrrev_i32_e32 v13, 8, v13
	v_add_u32_e32 v9, 0x3c000000, v9
	v_and_or_b32 v9, v13, s10, v9
	v_cmp_ne_u32_e32 vcc, 0, v5
	s_brev_b32 s10, 1
	s_nop 0
	v_cndmask_b32_e32 v5, 0, v9, vcc
	v_and_or_b32 v1, v1, s10, v5
	v_cvt_f64_f32_e32 v[16:17], v1
.LBB513_1488:
	s_mov_b64 s[10:11], 0
.LBB513_1489:
	s_andn2_b64 vcc, exec, s[10:11]
	s_cbranch_vccnz .LBB513_1491
; %bb.1490:
	global_load_ubyte v1, v[10:11], off
	s_movk_i32 s10, 0x7f00
	s_brev_b32 s11, 16
	s_waitcnt vmcnt(0)
	v_lshlrev_b16_e32 v5, 8, v1
	v_lshlrev_b32_e32 v1, 25, v1
	v_lshrrev_b32_e32 v9, 4, v1
	v_and_or_b32 v13, v5, s10, 0.5
	v_or_b32_e32 v9, 0x70000000, v9
	v_add_f32_e32 v13, -0.5, v13
	v_mul_f32_e32 v9, 0x7800000, v9
	v_cmp_gt_u32_e32 vcc, s11, v1
	v_bfe_i32 v5, v5, 0, 16
	s_brev_b32 s10, 1
	v_cndmask_b32_e32 v1, v9, v13, vcc
	v_and_or_b32 v1, v5, s10, v1
	v_cvt_f64_f32_e32 v[16:17], v1
.LBB513_1491:
	s_mov_b64 s[10:11], 0
	s_mov_b64 s[12:13], -1
.LBB513_1492:
	s_andn2_b64 vcc, exec, s[10:11]
	s_mov_b64 s[10:11], 0
	s_cbranch_vccnz .LBB513_1501
; %bb.1493:
	s_cmp_gt_i32 s19, 14
	s_cbranch_scc0 .LBB513_1496
; %bb.1494:
	s_cmp_eq_u32 s19, 15
	s_cbranch_scc0 .LBB513_1497
; %bb.1495:
	global_load_ushort v1, v[10:11], off
	s_mov_b64 s[8:9], 0
	s_mov_b64 s[12:13], -1
	s_waitcnt vmcnt(0)
	v_lshlrev_b32_e32 v1, 16, v1
	v_cvt_f64_f32_e32 v[16:17], v1
	s_branch .LBB513_1498
.LBB513_1496:
	s_mov_b64 s[14:15], -1
                                        ; implicit-def: $vgpr16_vgpr17
	s_branch .LBB513_1499
.LBB513_1497:
	s_mov_b64 s[8:9], -1
                                        ; implicit-def: $vgpr16_vgpr17
.LBB513_1498:
	s_mov_b64 s[14:15], 0
.LBB513_1499:
	s_and_b64 vcc, exec, s[14:15]
	s_cbranch_vccz .LBB513_1501
; %bb.1500:
	s_cmp_lg_u32 s19, 11
	s_mov_b64 s[10:11], -1
	s_cselect_b64 s[8:9], -1, 0
.LBB513_1501:
	s_and_b64 vcc, exec, s[8:9]
	s_cbranch_vccnz .LBB513_1568
; %bb.1502:
	s_andn2_b64 vcc, exec, s[10:11]
	s_cbranch_vccnz .LBB513_1504
.LBB513_1503:
	global_load_ubyte v1, v[10:11], off
	v_mov_b32_e32 v5, 0x3ff00000
	v_mov_b32_e32 v16, 0
	s_mov_b64 s[12:13], -1
	s_waitcnt vmcnt(0)
	v_cmp_ne_u16_e32 vcc, 0, v1
	s_nop 1
	v_cndmask_b32_e32 v17, 0, v5, vcc
.LBB513_1504:
	s_branch .LBB513_1432
.LBB513_1505:
	s_and_b32 s10, 0xffff, s18
	s_cmp_lt_i32 s10, 5
	s_cbranch_scc1 .LBB513_1510
; %bb.1506:
	s_cmp_lt_i32 s10, 8
	s_cbranch_scc1 .LBB513_1511
; %bb.1507:
	;; [unrolled: 3-line block ×3, first 2 shown]
	s_cmp_gt_i32 s10, 9
	s_cbranch_scc0 .LBB513_1513
; %bb.1509:
	global_load_dwordx2 v[16:17], v[10:11], off
	s_mov_b64 s[8:9], 0
	s_branch .LBB513_1514
.LBB513_1510:
	s_mov_b64 s[8:9], -1
                                        ; implicit-def: $vgpr16_vgpr17
	s_branch .LBB513_1532
.LBB513_1511:
	s_mov_b64 s[8:9], -1
                                        ; implicit-def: $vgpr16_vgpr17
	s_branch .LBB513_1520
.LBB513_1512:
	s_mov_b64 s[8:9], -1
                                        ; implicit-def: $vgpr16_vgpr17
	s_branch .LBB513_1517
.LBB513_1513:
	s_mov_b64 s[8:9], -1
                                        ; implicit-def: $vgpr16_vgpr17
.LBB513_1514:
	s_andn2_b64 vcc, exec, s[8:9]
	s_cbranch_vccnz .LBB513_1516
; %bb.1515:
	global_load_dword v1, v[10:11], off
	s_waitcnt vmcnt(0)
	v_cvt_f64_f32_e32 v[16:17], v1
.LBB513_1516:
	s_mov_b64 s[8:9], 0
.LBB513_1517:
	s_andn2_b64 vcc, exec, s[8:9]
	s_cbranch_vccnz .LBB513_1519
; %bb.1518:
	global_load_dword v1, v[10:11], off
	s_waitcnt vmcnt(0)
	v_cvt_f32_f16_e32 v1, v1
	v_cvt_f64_f32_e32 v[16:17], v1
.LBB513_1519:
	s_mov_b64 s[8:9], 0
.LBB513_1520:
	s_andn2_b64 vcc, exec, s[8:9]
	s_cbranch_vccnz .LBB513_1531
; %bb.1521:
	s_cmp_lt_i32 s10, 6
	s_cbranch_scc1 .LBB513_1524
; %bb.1522:
	s_cmp_gt_i32 s10, 6
	s_cbranch_scc0 .LBB513_1525
; %bb.1523:
	global_load_dwordx2 v[16:17], v[10:11], off
	s_mov_b64 s[8:9], 0
	s_branch .LBB513_1526
.LBB513_1524:
	s_mov_b64 s[8:9], -1
                                        ; implicit-def: $vgpr16_vgpr17
	s_branch .LBB513_1529
.LBB513_1525:
	s_mov_b64 s[8:9], -1
                                        ; implicit-def: $vgpr16_vgpr17
.LBB513_1526:
	s_andn2_b64 vcc, exec, s[8:9]
	s_cbranch_vccnz .LBB513_1528
; %bb.1527:
	global_load_dword v1, v[10:11], off
	s_waitcnt vmcnt(0)
	v_cvt_f64_f32_e32 v[16:17], v1
.LBB513_1528:
	s_mov_b64 s[8:9], 0
.LBB513_1529:
	s_andn2_b64 vcc, exec, s[8:9]
	s_cbranch_vccnz .LBB513_1531
; %bb.1530:
	global_load_ushort v1, v[10:11], off
	s_waitcnt vmcnt(0)
	v_cvt_f32_f16_e32 v1, v1
	v_cvt_f64_f32_e32 v[16:17], v1
.LBB513_1531:
	s_mov_b64 s[8:9], 0
.LBB513_1532:
	s_andn2_b64 vcc, exec, s[8:9]
	s_cbranch_vccnz .LBB513_1552
; %bb.1533:
	s_cmp_lt_i32 s10, 2
	s_cbranch_scc1 .LBB513_1537
; %bb.1534:
	s_cmp_lt_i32 s10, 3
	s_cbranch_scc1 .LBB513_1538
; %bb.1535:
	s_cmp_gt_i32 s10, 3
	s_cbranch_scc0 .LBB513_1539
; %bb.1536:
	global_load_dwordx2 v[16:17], v[10:11], off
	s_mov_b64 s[8:9], 0
	s_waitcnt vmcnt(0)
	v_cvt_f64_i32_e32 v[18:19], v17
	v_cvt_f64_u32_e32 v[16:17], v16
	v_ldexp_f64 v[18:19], v[18:19], 32
	v_add_f64 v[16:17], v[18:19], v[16:17]
	s_branch .LBB513_1540
.LBB513_1537:
	s_mov_b64 s[8:9], -1
                                        ; implicit-def: $vgpr16_vgpr17
	s_branch .LBB513_1546
.LBB513_1538:
	s_mov_b64 s[8:9], -1
                                        ; implicit-def: $vgpr16_vgpr17
	s_branch .LBB513_1543
.LBB513_1539:
	s_mov_b64 s[8:9], -1
                                        ; implicit-def: $vgpr16_vgpr17
.LBB513_1540:
	s_andn2_b64 vcc, exec, s[8:9]
	s_cbranch_vccnz .LBB513_1542
; %bb.1541:
	global_load_dword v1, v[10:11], off
	s_waitcnt vmcnt(0)
	v_cvt_f64_i32_e32 v[16:17], v1
.LBB513_1542:
	s_mov_b64 s[8:9], 0
.LBB513_1543:
	s_andn2_b64 vcc, exec, s[8:9]
	s_cbranch_vccnz .LBB513_1545
; %bb.1544:
	global_load_sshort v1, v[10:11], off
	s_waitcnt vmcnt(0)
	v_cvt_f64_i32_e32 v[16:17], v1
.LBB513_1545:
	s_mov_b64 s[8:9], 0
.LBB513_1546:
	s_andn2_b64 vcc, exec, s[8:9]
	s_cbranch_vccnz .LBB513_1552
; %bb.1547:
	s_cmp_gt_i32 s10, 0
	s_cbranch_scc0 .LBB513_1549
; %bb.1548:
	global_load_sbyte v1, v[10:11], off
	s_mov_b64 s[8:9], 0
	s_waitcnt vmcnt(0)
	v_cvt_f64_i32_e32 v[16:17], v1
	s_branch .LBB513_1550
.LBB513_1549:
	s_mov_b64 s[8:9], -1
                                        ; implicit-def: $vgpr16_vgpr17
.LBB513_1550:
	s_andn2_b64 vcc, exec, s[8:9]
	s_cbranch_vccnz .LBB513_1552
; %bb.1551:
	global_load_ubyte v1, v[10:11], off
	s_waitcnt vmcnt(0)
	v_cvt_f64_u32_e32 v[16:17], v1
.LBB513_1552:
.LBB513_1553:
	s_waitcnt vmcnt(0)
	v_cmp_o_f64_e32 vcc, v[16:17], v[16:17]
	v_mov_b64_e32 v[10:11], s[0:1]
	s_and_saveexec_b64 s[8:9], vcc
	s_cbranch_execz .LBB513_1557
; %bb.1554:
	s_load_dwordx2 s[10:11], s[34:35], 0x160
	s_mov_b32 s12, 0
	s_mov_b32 s13, 0x7ff00000
	v_cmp_neq_f64_e32 vcc, s[12:13], v[16:17]
	s_waitcnt lgkmcnt(0)
	v_mov_b64_e32 v[10:11], s[10:11]
	s_and_saveexec_b64 s[10:11], vcc
	s_cbranch_execz .LBB513_1556
; %bb.1555:
	s_load_dwordx2 s[12:13], s[34:35], 0x168
	s_mov_b32 s14, 0
	s_mov_b32 s15, 0xfff00000
	v_cmp_eq_f64_e32 vcc, s[14:15], v[16:17]
	s_waitcnt lgkmcnt(0)
	v_mov_b32_e32 v1, s13
	v_mov_b32_e32 v5, s12
	v_cndmask_b32_e32 v11, v17, v1, vcc
	v_cndmask_b32_e32 v10, v16, v5, vcc
.LBB513_1556:
	s_or_b64 exec, exec, s[10:11]
.LBB513_1557:
	s_or_b64 exec, exec, s[8:9]
	v_mov_b32_e32 v1, 0
	s_cmp_lt_i32 s18, 11
	v_lshl_add_u64 v[0:1], s[6:7], 0, v[0:1]
	s_cbranch_scc1 .LBB513_1564
; %bb.1558:
	s_and_b32 s16, 0xffff, s18
	s_cmp_gt_i32 s16, 25
	s_mov_b64 s[8:9], 0
	s_cbranch_scc0 .LBB513_1565
; %bb.1559:
	s_cmp_gt_i32 s16, 28
	s_cbranch_scc0 .LBB513_1566
; %bb.1560:
	s_cmp_gt_i32 s16, 43
	;; [unrolled: 3-line block ×3, first 2 shown]
	s_cbranch_scc0 .LBB513_1569
; %bb.1562:
	s_cmp_eq_u32 s16, 46
	s_mov_b64 s[12:13], 0
	s_cbranch_scc0 .LBB513_1570
; %bb.1563:
	global_load_dword v5, v[0:1], off
	s_mov_b64 s[6:7], 0
	s_mov_b64 s[10:11], -1
	s_waitcnt vmcnt(0)
	v_lshlrev_b32_e32 v5, 16, v5
	v_cvt_f64_f32_e32 v[16:17], v5
	s_branch .LBB513_1571
.LBB513_1564:
	s_mov_b64 s[6:7], -1
	s_mov_b64 s[10:11], 0
                                        ; implicit-def: $vgpr16_vgpr17
	s_branch .LBB513_1637
.LBB513_1565:
	s_mov_b64 s[12:13], -1
	s_mov_b64 s[10:11], 0
	s_mov_b64 s[6:7], 0
                                        ; implicit-def: $vgpr16_vgpr17
	s_branch .LBB513_1602
.LBB513_1566:
	s_mov_b64 s[12:13], -1
	s_mov_b64 s[10:11], 0
	s_mov_b64 s[6:7], 0
                                        ; implicit-def: $vgpr16_vgpr17
	s_branch .LBB513_1581
.LBB513_1567:
	s_mov_b64 s[12:13], -1
	s_mov_b64 s[10:11], 0
	s_mov_b64 s[6:7], 0
                                        ; implicit-def: $vgpr16_vgpr17
	s_branch .LBB513_1576
.LBB513_1568:
	s_trap 2
	s_or_b64 s[2:3], s[2:3], exec
	s_cbranch_execz .LBB513_1503
	s_branch .LBB513_1504
.LBB513_1569:
	s_mov_b64 s[12:13], -1
	s_mov_b64 s[10:11], 0
	s_mov_b64 s[6:7], 0
                                        ; implicit-def: $vgpr16_vgpr17
	s_branch .LBB513_1571
.LBB513_1570:
	s_mov_b64 s[6:7], -1
                                        ; implicit-def: $vgpr16_vgpr17
	s_mov_b64 s[10:11], 0
.LBB513_1571:
	s_and_b64 vcc, exec, s[12:13]
	s_cbranch_vccz .LBB513_1575
; %bb.1572:
	s_cmp_eq_u32 s16, 44
	s_cbranch_scc0 .LBB513_1574
; %bb.1573:
	global_load_ubyte v5, v[0:1], off
	s_movk_i32 s10, 0xff
	v_bfrev_b32_e32 v9, 4
	v_mov_b32_e32 v13, 0x7ff80000
	v_bfrev_b32_e32 v15, 28
	s_mov_b64 s[6:7], 0
	s_waitcnt vmcnt(0)
	v_lshlrev_b32_e32 v16, 23, v5
	v_cvt_f64_f32_e32 v[16:17], v16
	v_cmp_ne_u32_e32 vcc, s10, v5
	s_mov_b64 s[10:11], -1
	s_nop 0
	v_cndmask_b32_e32 v9, v9, v16, vcc
	v_cndmask_b32_e32 v13, v13, v17, vcc
	v_cmp_ne_u32_e32 vcc, 0, v5
	s_nop 1
	v_cndmask_b32_e32 v17, v15, v13, vcc
	v_cndmask_b32_e32 v16, 0, v9, vcc
	s_branch .LBB513_1575
.LBB513_1574:
	s_mov_b64 s[6:7], -1
                                        ; implicit-def: $vgpr16_vgpr17
.LBB513_1575:
	s_mov_b64 s[12:13], 0
.LBB513_1576:
	s_and_b64 vcc, exec, s[12:13]
	s_cbranch_vccz .LBB513_1580
; %bb.1577:
	s_cmp_eq_u32 s16, 29
	s_cbranch_scc0 .LBB513_1579
; %bb.1578:
	global_load_dwordx2 v[16:17], v[0:1], off
	s_mov_b64 s[6:7], 0
	s_mov_b64 s[10:11], -1
	s_mov_b64 s[12:13], 0
	s_waitcnt vmcnt(0)
	v_cvt_f64_u32_e32 v[18:19], v17
	v_cvt_f64_u32_e32 v[16:17], v16
	v_ldexp_f64 v[18:19], v[18:19], 32
	v_add_f64 v[16:17], v[18:19], v[16:17]
	s_branch .LBB513_1581
.LBB513_1579:
	s_mov_b64 s[6:7], -1
                                        ; implicit-def: $vgpr16_vgpr17
.LBB513_1580:
	s_mov_b64 s[12:13], 0
.LBB513_1581:
	s_and_b64 vcc, exec, s[12:13]
	s_cbranch_vccz .LBB513_1601
; %bb.1582:
	s_cmp_lt_i32 s16, 27
	s_cbranch_scc1 .LBB513_1585
; %bb.1583:
	s_cmp_gt_i32 s16, 27
	s_cbranch_scc0 .LBB513_1586
; %bb.1584:
	global_load_dword v5, v[0:1], off
	s_mov_b64 s[10:11], 0
	s_waitcnt vmcnt(0)
	v_cvt_f64_u32_e32 v[16:17], v5
	s_branch .LBB513_1587
.LBB513_1585:
	s_mov_b64 s[10:11], -1
                                        ; implicit-def: $vgpr16_vgpr17
	s_branch .LBB513_1590
.LBB513_1586:
	s_mov_b64 s[10:11], -1
                                        ; implicit-def: $vgpr16_vgpr17
.LBB513_1587:
	s_andn2_b64 vcc, exec, s[10:11]
	s_cbranch_vccnz .LBB513_1589
; %bb.1588:
	global_load_ushort v5, v[0:1], off
	s_waitcnt vmcnt(0)
	v_cvt_f64_u32_e32 v[16:17], v5
.LBB513_1589:
	s_mov_b64 s[10:11], 0
.LBB513_1590:
	s_andn2_b64 vcc, exec, s[10:11]
	s_cbranch_vccnz .LBB513_1600
; %bb.1591:
	global_load_ubyte v5, v[0:1], off
	s_movk_i32 s10, 0x7f
	s_waitcnt vmcnt(0)
	v_cmp_lt_i16_e32 vcc, s10, v5
	s_mov_b64 s[10:11], 0
	s_and_saveexec_b64 s[12:13], vcc
	s_xor_b64 s[12:13], exec, s[12:13]
	s_cbranch_execz .LBB513_1595
; %bb.1592:
	s_movk_i32 s10, 0x80
	v_cmp_eq_u16_e32 vcc, s10, v5
	s_mov_b64 s[10:11], -1
	s_and_saveexec_b64 s[14:15], vcc
; %bb.1593:
	s_xor_b64 s[10:11], exec, -1
; %bb.1594:
	s_or_b64 exec, exec, s[14:15]
	s_and_b64 s[10:11], s[10:11], exec
.LBB513_1595:
	s_or_saveexec_b64 s[12:13], s[12:13]
	v_bfrev_b32_e32 v16, 4
	v_mov_b32_e32 v17, 0x7ff80000
	s_xor_b64 exec, exec, s[12:13]
; %bb.1596:
	v_cmp_ne_u16_e32 vcc, 0, v5
	s_andn2_b64 s[10:11], s[10:11], exec
	s_and_b64 s[14:15], vcc, exec
	v_mov_b64_e32 v[16:17], 0
	s_or_b64 s[10:11], s[10:11], s[14:15]
; %bb.1597:
	s_or_b64 exec, exec, s[12:13]
	s_and_saveexec_b64 s[12:13], s[10:11]
	s_cbranch_execz .LBB513_1599
; %bb.1598:
	v_lshlrev_b32_e32 v9, 24, v5
	v_and_b32_e32 v5, 0xffff, v5
	v_and_b32_e32 v13, 7, v5
	v_ffbh_u32_e32 v16, v13
	v_min_u32_e32 v16, 32, v16
	v_subrev_u32_e32 v17, 28, v16
	v_bfe_u32 v15, v5, 3, 4
	v_lshlrev_b32_e32 v5, v17, v5
	v_sub_u32_e32 v16, 29, v16
	v_and_b32_e32 v5, 7, v5
	v_cmp_eq_u32_e32 vcc, 0, v15
	v_and_b32_e32 v9, 0x80000000, v9
	s_nop 0
	v_cndmask_b32_e32 v15, v15, v16, vcc
	v_cndmask_b32_e32 v5, v13, v5, vcc
	v_mov_b32_e32 v13, 0x3b800000
	v_lshlrev_b32_e32 v5, 20, v5
	v_lshl_add_u32 v13, v15, 23, v13
	v_or3_b32 v5, v9, v13, v5
	v_cvt_f64_f32_e32 v[16:17], v5
.LBB513_1599:
	s_or_b64 exec, exec, s[12:13]
.LBB513_1600:
	s_mov_b64 s[10:11], -1
.LBB513_1601:
	s_mov_b64 s[12:13], 0
.LBB513_1602:
	s_and_b64 vcc, exec, s[12:13]
	s_cbranch_vccz .LBB513_1633
; %bb.1603:
	s_cmp_gt_i32 s16, 22
	s_cbranch_scc0 .LBB513_1615
; %bb.1604:
	s_cmp_lt_i32 s16, 24
	s_cbranch_scc1 .LBB513_1616
; %bb.1605:
	s_cmp_gt_i32 s16, 24
	s_cbranch_scc0 .LBB513_1617
; %bb.1606:
	global_load_ubyte v5, v[0:1], off
	s_movk_i32 s8, 0x7f
	s_waitcnt vmcnt(0)
	v_cmp_lt_i16_e32 vcc, s8, v5
	s_mov_b64 s[8:9], 0
	s_and_saveexec_b64 s[10:11], vcc
	s_xor_b64 s[10:11], exec, s[10:11]
	s_cbranch_execz .LBB513_1610
; %bb.1607:
	s_movk_i32 s8, 0x80
	v_cmp_eq_u16_e32 vcc, s8, v5
	s_mov_b64 s[8:9], -1
	s_and_saveexec_b64 s[12:13], vcc
; %bb.1608:
	s_xor_b64 s[8:9], exec, -1
; %bb.1609:
	s_or_b64 exec, exec, s[12:13]
	s_and_b64 s[8:9], s[8:9], exec
.LBB513_1610:
	s_or_saveexec_b64 s[10:11], s[10:11]
	v_bfrev_b32_e32 v16, 4
	v_mov_b32_e32 v17, 0x7ff80000
	s_xor_b64 exec, exec, s[10:11]
; %bb.1611:
	v_cmp_ne_u16_e32 vcc, 0, v5
	s_andn2_b64 s[8:9], s[8:9], exec
	s_and_b64 s[12:13], vcc, exec
	v_mov_b64_e32 v[16:17], 0
	s_or_b64 s[8:9], s[8:9], s[12:13]
; %bb.1612:
	s_or_b64 exec, exec, s[10:11]
	s_and_saveexec_b64 s[10:11], s[8:9]
	s_cbranch_execz .LBB513_1614
; %bb.1613:
	v_lshlrev_b32_e32 v9, 24, v5
	v_and_b32_e32 v5, 0xffff, v5
	v_and_b32_e32 v13, 3, v5
	v_ffbh_u32_e32 v16, v13
	v_min_u32_e32 v16, 32, v16
	v_subrev_u32_e32 v17, 29, v16
	v_bfe_u32 v15, v5, 2, 5
	v_lshlrev_b32_e32 v5, v17, v5
	v_sub_u32_e32 v16, 30, v16
	v_and_b32_e32 v5, 3, v5
	v_cmp_eq_u32_e32 vcc, 0, v15
	v_and_b32_e32 v9, 0x80000000, v9
	s_nop 0
	v_cndmask_b32_e32 v15, v15, v16, vcc
	v_cndmask_b32_e32 v5, v13, v5, vcc
	v_mov_b32_e32 v13, 0x37800000
	v_lshlrev_b32_e32 v5, 21, v5
	v_lshl_add_u32 v13, v15, 23, v13
	v_or3_b32 v5, v9, v13, v5
	v_cvt_f64_f32_e32 v[16:17], v5
.LBB513_1614:
	s_or_b64 exec, exec, s[10:11]
	s_mov_b64 s[8:9], 0
	s_branch .LBB513_1618
.LBB513_1615:
	s_mov_b64 s[8:9], -1
                                        ; implicit-def: $vgpr16_vgpr17
	s_branch .LBB513_1624
.LBB513_1616:
	s_mov_b64 s[8:9], -1
                                        ; implicit-def: $vgpr16_vgpr17
	s_branch .LBB513_1621
.LBB513_1617:
	s_mov_b64 s[8:9], -1
                                        ; implicit-def: $vgpr16_vgpr17
.LBB513_1618:
	s_and_b64 vcc, exec, s[8:9]
	s_cbranch_vccz .LBB513_1620
; %bb.1619:
	global_load_ubyte v5, v[0:1], off
	s_mov_b32 s8, 0x7f800000
	s_waitcnt vmcnt(0)
	v_lshlrev_b32_e32 v5, 24, v5
	v_and_b32_e32 v9, 0x7f000000, v5
	v_ffbh_u32_e32 v13, v9
	v_min_u32_e32 v13, 32, v13
	v_sub_u32_e64 v13, v13, 4 clamp
	v_lshlrev_b32_e32 v16, v13, v9
	v_lshlrev_b32_e32 v13, 23, v13
	v_lshrrev_b32_e32 v16, 4, v16
	v_add_u32_e32 v15, 0x1000000, v9
	v_sub_u32_e32 v13, v16, v13
	v_ashrrev_i32_e32 v15, 8, v15
	v_add_u32_e32 v13, 0x3c000000, v13
	v_and_or_b32 v13, v15, s8, v13
	v_cmp_ne_u32_e32 vcc, 0, v9
	s_brev_b32 s8, 1
	s_nop 0
	v_cndmask_b32_e32 v9, 0, v13, vcc
	v_and_or_b32 v5, v5, s8, v9
	v_cvt_f64_f32_e32 v[16:17], v5
.LBB513_1620:
	s_mov_b64 s[8:9], 0
.LBB513_1621:
	s_andn2_b64 vcc, exec, s[8:9]
	s_cbranch_vccnz .LBB513_1623
; %bb.1622:
	global_load_ubyte v5, v[0:1], off
	s_movk_i32 s8, 0x7f00
	s_brev_b32 s9, 16
	s_waitcnt vmcnt(0)
	v_lshlrev_b16_e32 v9, 8, v5
	v_lshlrev_b32_e32 v5, 25, v5
	v_lshrrev_b32_e32 v13, 4, v5
	v_and_or_b32 v15, v9, s8, 0.5
	v_or_b32_e32 v13, 0x70000000, v13
	v_add_f32_e32 v15, -0.5, v15
	v_mul_f32_e32 v13, 0x7800000, v13
	v_cmp_gt_u32_e32 vcc, s9, v5
	v_bfe_i32 v9, v9, 0, 16
	s_brev_b32 s8, 1
	v_cndmask_b32_e32 v5, v13, v15, vcc
	v_and_or_b32 v5, v9, s8, v5
	v_cvt_f64_f32_e32 v[16:17], v5
.LBB513_1623:
	s_mov_b64 s[8:9], 0
	s_mov_b64 s[10:11], -1
.LBB513_1624:
	s_andn2_b64 vcc, exec, s[8:9]
	s_mov_b64 s[8:9], 0
	s_cbranch_vccnz .LBB513_1633
; %bb.1625:
	s_cmp_gt_i32 s16, 14
	s_cbranch_scc0 .LBB513_1628
; %bb.1626:
	s_cmp_eq_u32 s16, 15
	s_cbranch_scc0 .LBB513_1629
; %bb.1627:
	global_load_ushort v5, v[0:1], off
	s_mov_b64 s[6:7], 0
	s_mov_b64 s[10:11], -1
	s_waitcnt vmcnt(0)
	v_lshlrev_b32_e32 v5, 16, v5
	v_cvt_f64_f32_e32 v[16:17], v5
	s_branch .LBB513_1630
.LBB513_1628:
	s_mov_b64 s[12:13], -1
                                        ; implicit-def: $vgpr16_vgpr17
	s_branch .LBB513_1631
.LBB513_1629:
	s_mov_b64 s[6:7], -1
                                        ; implicit-def: $vgpr16_vgpr17
.LBB513_1630:
	s_mov_b64 s[12:13], 0
.LBB513_1631:
	s_and_b64 vcc, exec, s[12:13]
	s_cbranch_vccz .LBB513_1633
; %bb.1632:
	s_cmp_lg_u32 s16, 11
	s_mov_b64 s[8:9], -1
	s_cselect_b64 s[6:7], -1, 0
.LBB513_1633:
	s_and_b64 vcc, exec, s[6:7]
	s_cbranch_vccnz .LBB513_2172
; %bb.1634:
	s_andn2_b64 vcc, exec, s[8:9]
	s_cbranch_vccnz .LBB513_1636
.LBB513_1635:
	global_load_ubyte v5, v[0:1], off
	v_mov_b32_e32 v9, 0x3ff00000
	v_mov_b32_e32 v16, 0
	s_mov_b64 s[10:11], -1
	s_waitcnt vmcnt(0)
	v_cmp_ne_u16_e32 vcc, 0, v5
	s_nop 1
	v_cndmask_b32_e32 v17, 0, v9, vcc
.LBB513_1636:
	s_mov_b64 s[6:7], 0
.LBB513_1637:
	s_and_b64 vcc, exec, s[6:7]
	s_cbranch_vccz .LBB513_1686
; %bb.1638:
	s_and_b32 s8, 0xffff, s18
	s_cmp_lt_i32 s8, 5
	s_cbranch_scc1 .LBB513_1643
; %bb.1639:
	s_cmp_lt_i32 s8, 8
	s_cbranch_scc1 .LBB513_1644
; %bb.1640:
	;; [unrolled: 3-line block ×3, first 2 shown]
	s_cmp_gt_i32 s8, 9
	s_cbranch_scc0 .LBB513_1646
; %bb.1642:
	global_load_dwordx2 v[16:17], v[0:1], off
	s_mov_b64 s[6:7], 0
	s_branch .LBB513_1647
.LBB513_1643:
	s_mov_b64 s[6:7], -1
                                        ; implicit-def: $vgpr16_vgpr17
	s_branch .LBB513_1665
.LBB513_1644:
	s_mov_b64 s[6:7], -1
                                        ; implicit-def: $vgpr16_vgpr17
	s_branch .LBB513_1653
.LBB513_1645:
	s_mov_b64 s[6:7], -1
                                        ; implicit-def: $vgpr16_vgpr17
	s_branch .LBB513_1650
.LBB513_1646:
	s_mov_b64 s[6:7], -1
                                        ; implicit-def: $vgpr16_vgpr17
.LBB513_1647:
	s_andn2_b64 vcc, exec, s[6:7]
	s_cbranch_vccnz .LBB513_1649
; %bb.1648:
	global_load_dword v5, v[0:1], off
	s_waitcnt vmcnt(0)
	v_cvt_f64_f32_e32 v[16:17], v5
.LBB513_1649:
	s_mov_b64 s[6:7], 0
.LBB513_1650:
	s_andn2_b64 vcc, exec, s[6:7]
	s_cbranch_vccnz .LBB513_1652
; %bb.1651:
	global_load_dword v5, v[0:1], off
	s_waitcnt vmcnt(0)
	v_cvt_f32_f16_e32 v5, v5
	v_cvt_f64_f32_e32 v[16:17], v5
.LBB513_1652:
	s_mov_b64 s[6:7], 0
.LBB513_1653:
	s_andn2_b64 vcc, exec, s[6:7]
	s_cbranch_vccnz .LBB513_1664
; %bb.1654:
	s_cmp_lt_i32 s8, 6
	s_cbranch_scc1 .LBB513_1657
; %bb.1655:
	s_cmp_gt_i32 s8, 6
	s_cbranch_scc0 .LBB513_1658
; %bb.1656:
	global_load_dwordx2 v[16:17], v[0:1], off
	s_mov_b64 s[6:7], 0
	s_branch .LBB513_1659
.LBB513_1657:
	s_mov_b64 s[6:7], -1
                                        ; implicit-def: $vgpr16_vgpr17
	s_branch .LBB513_1662
.LBB513_1658:
	s_mov_b64 s[6:7], -1
                                        ; implicit-def: $vgpr16_vgpr17
.LBB513_1659:
	s_andn2_b64 vcc, exec, s[6:7]
	s_cbranch_vccnz .LBB513_1661
; %bb.1660:
	global_load_dword v5, v[0:1], off
	s_waitcnt vmcnt(0)
	v_cvt_f64_f32_e32 v[16:17], v5
.LBB513_1661:
	s_mov_b64 s[6:7], 0
.LBB513_1662:
	s_andn2_b64 vcc, exec, s[6:7]
	s_cbranch_vccnz .LBB513_1664
; %bb.1663:
	global_load_ushort v5, v[0:1], off
	s_waitcnt vmcnt(0)
	v_cvt_f32_f16_e32 v5, v5
	v_cvt_f64_f32_e32 v[16:17], v5
.LBB513_1664:
	s_mov_b64 s[6:7], 0
.LBB513_1665:
	s_andn2_b64 vcc, exec, s[6:7]
	s_cbranch_vccnz .LBB513_1685
; %bb.1666:
	s_cmp_lt_i32 s8, 2
	s_cbranch_scc1 .LBB513_1670
; %bb.1667:
	s_cmp_lt_i32 s8, 3
	s_cbranch_scc1 .LBB513_1671
; %bb.1668:
	s_cmp_gt_i32 s8, 3
	s_cbranch_scc0 .LBB513_1672
; %bb.1669:
	global_load_dwordx2 v[16:17], v[0:1], off
	s_mov_b64 s[6:7], 0
	s_waitcnt vmcnt(0)
	v_cvt_f64_i32_e32 v[18:19], v17
	v_cvt_f64_u32_e32 v[16:17], v16
	v_ldexp_f64 v[18:19], v[18:19], 32
	v_add_f64 v[16:17], v[18:19], v[16:17]
	s_branch .LBB513_1673
.LBB513_1670:
	s_mov_b64 s[6:7], -1
                                        ; implicit-def: $vgpr16_vgpr17
	s_branch .LBB513_1679
.LBB513_1671:
	s_mov_b64 s[6:7], -1
                                        ; implicit-def: $vgpr16_vgpr17
	s_branch .LBB513_1676
.LBB513_1672:
	s_mov_b64 s[6:7], -1
                                        ; implicit-def: $vgpr16_vgpr17
.LBB513_1673:
	s_andn2_b64 vcc, exec, s[6:7]
	s_cbranch_vccnz .LBB513_1675
; %bb.1674:
	global_load_dword v5, v[0:1], off
	s_waitcnt vmcnt(0)
	v_cvt_f64_i32_e32 v[16:17], v5
.LBB513_1675:
	s_mov_b64 s[6:7], 0
.LBB513_1676:
	s_andn2_b64 vcc, exec, s[6:7]
	s_cbranch_vccnz .LBB513_1678
; %bb.1677:
	global_load_sshort v5, v[0:1], off
	s_waitcnt vmcnt(0)
	v_cvt_f64_i32_e32 v[16:17], v5
.LBB513_1678:
	s_mov_b64 s[6:7], 0
.LBB513_1679:
	s_andn2_b64 vcc, exec, s[6:7]
	s_cbranch_vccnz .LBB513_1685
; %bb.1680:
	s_cmp_gt_i32 s8, 0
	s_cbranch_scc0 .LBB513_1682
; %bb.1681:
	global_load_sbyte v5, v[0:1], off
	s_mov_b64 s[6:7], 0
	s_waitcnt vmcnt(0)
	v_cvt_f64_i32_e32 v[16:17], v5
	s_branch .LBB513_1683
.LBB513_1682:
	s_mov_b64 s[6:7], -1
                                        ; implicit-def: $vgpr16_vgpr17
.LBB513_1683:
	s_andn2_b64 vcc, exec, s[6:7]
	s_cbranch_vccnz .LBB513_1685
; %bb.1684:
	global_load_ubyte v0, v[0:1], off
	s_waitcnt vmcnt(0)
	v_cvt_f64_u32_e32 v[16:17], v0
.LBB513_1685:
	s_mov_b64 s[10:11], -1
.LBB513_1686:
	s_andn2_b64 vcc, exec, s[10:11]
	s_cbranch_vccnz .LBB513_1769
; %bb.1687:
	s_waitcnt vmcnt(0)
	v_cmp_o_f64_e32 vcc, v[16:17], v[16:17]
	v_mov_b64_e32 v[0:1], s[0:1]
	s_and_saveexec_b64 s[0:1], vcc
	s_cbranch_execz .LBB513_1691
; %bb.1688:
	s_load_dwordx2 s[6:7], s[34:35], 0x160
	s_mov_b32 s8, 0
	s_mov_b32 s9, 0x7ff00000
	v_cmp_neq_f64_e32 vcc, s[8:9], v[16:17]
	s_waitcnt lgkmcnt(0)
	v_mov_b64_e32 v[0:1], s[6:7]
	s_and_saveexec_b64 s[6:7], vcc
	s_cbranch_execz .LBB513_1690
; %bb.1689:
	s_load_dwordx2 s[8:9], s[34:35], 0x168
	s_mov_b32 s10, 0
	s_mov_b32 s11, 0xfff00000
	v_cmp_eq_f64_e32 vcc, s[10:11], v[16:17]
	s_waitcnt lgkmcnt(0)
	v_mov_b32_e32 v0, s9
	v_mov_b32_e32 v5, s8
	v_cndmask_b32_e32 v1, v17, v0, vcc
	v_cndmask_b32_e32 v0, v16, v5, vcc
.LBB513_1690:
	s_or_b64 exec, exec, s[6:7]
.LBB513_1691:
	s_or_b64 exec, exec, s[0:1]
	s_load_dword s0, s[34:35], 0x170
	v_mov_b32_e32 v5, 0
	v_lshl_add_u64 v[16:17], s[4:5], 0, v[4:5]
	s_waitcnt lgkmcnt(0)
	s_and_b32 s14, s0, 0xff
	s_cmp_lt_i32 s14, 11
	s_cbranch_scc1 .LBB513_1815
; %bb.1692:
	s_and_b32 s15, 0xffff, s14
	s_mov_b64 s[10:11], -1
	s_mov_b64 s[6:7], 0
	s_cmp_gt_i32 s15, 25
	s_mov_b64 s[8:9], 0
	s_mov_b64 s[0:1], 0
	s_cbranch_scc0 .LBB513_1725
; %bb.1693:
	s_cmp_gt_i32 s15, 28
	s_cbranch_scc0 .LBB513_1708
; %bb.1694:
	s_cmp_gt_i32 s15, 43
	;; [unrolled: 3-line block ×3, first 2 shown]
	s_cbranch_scc0 .LBB513_1698
; %bb.1696:
	s_mov_b64 s[0:1], -1
	s_mov_b64 s[10:11], 0
	s_cmp_eq_u32 s15, 46
	s_cbranch_scc0 .LBB513_1698
; %bb.1697:
	v_cvt_f32_f64_e32 v4, v[2:3]
	v_bfe_u32 v5, v4, 16, 1
	s_movk_i32 s0, 0x7fff
	v_add3_u32 v5, v4, v5, s0
	v_cmp_o_f32_e32 vcc, v4, v4
	v_mov_b32_e32 v4, 0x7fc0
	s_mov_b64 s[0:1], 0
	v_cndmask_b32_sdwa v4, v4, v5, vcc dst_sel:DWORD dst_unused:UNUSED_PAD src0_sel:DWORD src1_sel:WORD_1
	global_store_dword v[16:17], v4, off
	s_mov_b64 s[8:9], -1
.LBB513_1698:
	s_and_b64 vcc, exec, s[10:11]
	s_cbranch_vccz .LBB513_1703
; %bb.1699:
	s_cmp_eq_u32 s15, 44
	s_mov_b64 s[0:1], -1
	s_cbranch_scc0 .LBB513_1703
; %bb.1700:
	v_cvt_f32_f64_e32 v4, v[2:3]
	v_bfe_u32 v5, v4, 23, 8
	s_movk_i32 s0, 0xff
	v_cmp_ne_u32_e32 vcc, s0, v5
	v_mov_b32_e32 v9, 0xff
	s_and_saveexec_b64 s[8:9], vcc
; %bb.1701:
	s_mov_b32 s0, 0x3fffff
	v_lshrrev_b32_e32 v9, 23, v4
	v_and_b32_e32 v13, 0x400000, v4
	v_and_or_b32 v4, v4, s0, v5
	v_cmp_ne_u32_e32 vcc, 0, v13
	v_cmp_ne_u32_e64 s[0:1], 0, v4
	s_and_b64 s[0:1], vcc, s[0:1]
	s_nop 0
	v_cndmask_b32_e64 v4, 0, 1, s[0:1]
	v_add_u32_e32 v9, v9, v4
; %bb.1702:
	s_or_b64 exec, exec, s[8:9]
	s_mov_b64 s[0:1], 0
	s_mov_b64 s[8:9], -1
	global_store_byte v[16:17], v9, off
.LBB513_1703:
	s_mov_b64 s[10:11], 0
.LBB513_1704:
	s_and_b64 vcc, exec, s[10:11]
	s_cbranch_vccz .LBB513_1707
; %bb.1705:
	s_cmp_eq_u32 s15, 29
	s_mov_b64 s[0:1], -1
	s_cbranch_scc0 .LBB513_1707
; %bb.1706:
	v_trunc_f64_e32 v[4:5], v[2:3]
	s_movk_i32 s0, 0xffe0
	v_ldexp_f64 v[18:19], v[4:5], s0
	v_floor_f64_e32 v[18:19], v[18:19]
	v_fmac_f64_e32 v[4:5], 0xc1f00000, v[18:19]
	v_cvt_u32_f64_e32 v21, v[18:19]
	v_cvt_u32_f64_e32 v20, v[4:5]
	global_store_dwordx2 v[16:17], v[20:21], off
	s_mov_b64 s[0:1], 0
	s_mov_b64 s[8:9], -1
.LBB513_1707:
	s_mov_b64 s[10:11], 0
.LBB513_1708:
	s_and_b64 vcc, exec, s[10:11]
	s_cbranch_vccz .LBB513_1724
; %bb.1709:
	s_cmp_lt_i32 s15, 27
	s_mov_b64 s[8:9], -1
	s_cbranch_scc1 .LBB513_1715
; %bb.1710:
	s_cmp_gt_i32 s15, 27
	v_cvt_u32_f64_e32 v4, v[2:3]
	s_cbranch_scc0 .LBB513_1712
; %bb.1711:
	s_mov_b64 s[8:9], 0
	global_store_dword v[16:17], v4, off
.LBB513_1712:
	s_andn2_b64 vcc, exec, s[8:9]
	s_cbranch_vccnz .LBB513_1714
; %bb.1713:
	global_store_short v[16:17], v4, off
.LBB513_1714:
	s_mov_b64 s[8:9], 0
.LBB513_1715:
	s_andn2_b64 vcc, exec, s[8:9]
	s_cbranch_vccnz .LBB513_1723
; %bb.1716:
	v_cvt_f32_f64_e32 v4, v[2:3]
	v_and_b32_e32 v5, 0x7fffffff, v4
	s_mov_b32 s8, 0x43800000
	v_cmp_gt_u32_e32 vcc, s8, v5
	v_mov_b32_e32 v9, 0x80
	s_and_saveexec_b64 s[8:9], vcc
	s_cbranch_execz .LBB513_1722
; %bb.1717:
	s_mov_b32 s10, 0x3bffffff
	v_cmp_lt_u32_e32 vcc, s10, v5
	s_mov_b64 s[10:11], 0
                                        ; implicit-def: $vgpr5
	s_and_saveexec_b64 s[12:13], vcc
	s_xor_b64 s[12:13], exec, s[12:13]
	s_cbranch_execz .LBB513_2173
; %bb.1718:
	v_bfe_u32 v5, v4, 20, 1
	s_mov_b32 s16, 0x487ffff
	v_add3_u32 v5, v4, v5, s16
	s_mov_b64 s[10:11], exec
	v_lshrrev_b32_e32 v5, 20, v5
	s_andn2_saveexec_b64 s[12:13], s[12:13]
	s_cbranch_execnz .LBB513_2174
.LBB513_1719:
	s_or_b64 exec, exec, s[12:13]
	v_mov_b32_e32 v9, 0
	s_and_saveexec_b64 s[12:13], s[10:11]
.LBB513_1720:
	v_lshrrev_b32_e32 v4, 24, v4
	s_movk_i32 s10, 0x80
	v_and_or_b32 v9, v4, s10, v5
.LBB513_1721:
	s_or_b64 exec, exec, s[12:13]
.LBB513_1722:
	s_or_b64 exec, exec, s[8:9]
	global_store_byte v[16:17], v9, off
.LBB513_1723:
	s_mov_b64 s[8:9], -1
.LBB513_1724:
	s_mov_b64 s[10:11], 0
.LBB513_1725:
	s_and_b64 vcc, exec, s[10:11]
	s_cbranch_vccz .LBB513_1765
; %bb.1726:
	s_cmp_gt_i32 s15, 22
	s_mov_b64 s[6:7], -1
	s_cbranch_scc0 .LBB513_1758
; %bb.1727:
	s_cmp_lt_i32 s15, 24
	s_cbranch_scc1 .LBB513_1747
; %bb.1728:
	s_cmp_gt_i32 s15, 24
	s_cbranch_scc0 .LBB513_1736
; %bb.1729:
	v_cvt_f32_f64_e32 v4, v[2:3]
	v_and_b32_e32 v5, 0x7fffffff, v4
	s_mov_b32 s6, 0x47800000
	v_cmp_gt_u32_e32 vcc, s6, v5
	v_mov_b32_e32 v9, 0x80
	s_and_saveexec_b64 s[6:7], vcc
	s_cbranch_execz .LBB513_1735
; %bb.1730:
	s_mov_b32 s8, 0x37ffffff
	v_cmp_lt_u32_e32 vcc, s8, v5
	s_mov_b64 s[8:9], 0
                                        ; implicit-def: $vgpr5
	s_and_saveexec_b64 s[10:11], vcc
	s_xor_b64 s[10:11], exec, s[10:11]
	s_cbranch_execz .LBB513_2176
; %bb.1731:
	v_bfe_u32 v5, v4, 21, 1
	s_mov_b32 s12, 0x88fffff
	v_add3_u32 v5, v4, v5, s12
	s_mov_b64 s[8:9], exec
	v_lshrrev_b32_e32 v5, 21, v5
	s_andn2_saveexec_b64 s[10:11], s[10:11]
	s_cbranch_execnz .LBB513_2177
.LBB513_1732:
	s_or_b64 exec, exec, s[10:11]
	v_mov_b32_e32 v9, 0
	s_and_saveexec_b64 s[10:11], s[8:9]
.LBB513_1733:
	v_lshrrev_b32_e32 v4, 24, v4
	s_movk_i32 s8, 0x80
	v_and_or_b32 v9, v4, s8, v5
.LBB513_1734:
	s_or_b64 exec, exec, s[10:11]
.LBB513_1735:
	s_or_b64 exec, exec, s[6:7]
	s_mov_b64 s[6:7], 0
	global_store_byte v[16:17], v9, off
.LBB513_1736:
	s_and_b64 vcc, exec, s[6:7]
	s_cbranch_vccz .LBB513_1746
; %bb.1737:
	v_cvt_f32_f64_e32 v4, v[2:3]
	v_and_b32_e32 v9, 0x7fffffff, v4
	s_mov_b32 s6, 0x43f00000
	v_cmp_gt_u32_e32 vcc, s6, v9
                                        ; implicit-def: $vgpr5
	s_and_saveexec_b64 s[6:7], vcc
	s_xor_b64 s[6:7], exec, s[6:7]
	s_cbranch_execz .LBB513_1743
; %bb.1738:
	s_mov_b32 s8, 0x3c7fffff
	v_cmp_lt_u32_e32 vcc, s8, v9
                                        ; implicit-def: $vgpr5
	s_and_saveexec_b64 s[8:9], vcc
	s_xor_b64 s[8:9], exec, s[8:9]
; %bb.1739:
	v_bfe_u32 v5, v4, 20, 1
	s_mov_b32 s10, 0x407ffff
	v_add3_u32 v5, v4, v5, s10
	v_lshrrev_b32_e32 v9, 20, v5
	v_and_b32_e32 v5, 0xff00000, v5
	s_mov_b32 s10, 0x7f00000
	v_mov_b32_e32 v13, 0x7e
	v_cmp_ne_u32_e32 vcc, s10, v5
	s_nop 1
	v_cndmask_b32_e32 v5, v13, v9, vcc
; %bb.1740:
	s_andn2_saveexec_b64 s[8:9], s[8:9]
; %bb.1741:
	s_mov_b32 s10, 0x46800000
	v_add_f32_e64 v5, |v4|, s10
; %bb.1742:
	s_or_b64 exec, exec, s[8:9]
                                        ; implicit-def: $vgpr9
.LBB513_1743:
	s_andn2_saveexec_b64 s[6:7], s[6:7]
; %bb.1744:
	s_mov_b32 s8, 0x7f800000
	v_mov_b32_e32 v5, 0x7e
	v_mov_b32_e32 v13, 0x7f
	v_cmp_lt_u32_e32 vcc, s8, v9
	s_nop 1
	v_cndmask_b32_e32 v5, v5, v13, vcc
; %bb.1745:
	s_or_b64 exec, exec, s[6:7]
	v_lshrrev_b32_e32 v4, 24, v4
	s_movk_i32 s6, 0x80
	v_and_or_b32 v4, v4, s6, v5
	global_store_byte v[16:17], v4, off
.LBB513_1746:
	s_mov_b64 s[6:7], 0
.LBB513_1747:
	s_andn2_b64 vcc, exec, s[6:7]
	s_cbranch_vccnz .LBB513_1757
; %bb.1748:
	v_cvt_f32_f64_e32 v4, v[2:3]
	v_and_b32_e32 v9, 0x7fffffff, v4
	s_mov_b32 s6, 0x47800000
	v_cmp_gt_u32_e32 vcc, s6, v9
                                        ; implicit-def: $vgpr5
	s_and_saveexec_b64 s[6:7], vcc
	s_xor_b64 s[6:7], exec, s[6:7]
	s_cbranch_execz .LBB513_1754
; %bb.1749:
	s_mov_b32 s8, 0x387fffff
	v_cmp_lt_u32_e32 vcc, s8, v9
                                        ; implicit-def: $vgpr5
	s_and_saveexec_b64 s[8:9], vcc
	s_xor_b64 s[8:9], exec, s[8:9]
; %bb.1750:
	v_bfe_u32 v5, v4, 21, 1
	s_mov_b32 s10, 0x80fffff
	v_add3_u32 v5, v4, v5, s10
	v_lshrrev_b32_e32 v5, 21, v5
; %bb.1751:
	s_andn2_saveexec_b64 s[8:9], s[8:9]
; %bb.1752:
	s_mov_b32 s10, 0x43000000
	v_add_f32_e64 v5, |v4|, s10
; %bb.1753:
	s_or_b64 exec, exec, s[8:9]
                                        ; implicit-def: $vgpr9
.LBB513_1754:
	s_andn2_saveexec_b64 s[6:7], s[6:7]
; %bb.1755:
	s_mov_b32 s8, 0x7f800000
	v_mov_b32_e32 v5, 0x7c
	v_mov_b32_e32 v13, 0x7f
	v_cmp_lt_u32_e32 vcc, s8, v9
	s_nop 1
	v_cndmask_b32_e32 v5, v5, v13, vcc
; %bb.1756:
	s_or_b64 exec, exec, s[6:7]
	v_lshrrev_b32_e32 v4, 24, v4
	s_movk_i32 s6, 0x80
	v_and_or_b32 v4, v4, s6, v5
	global_store_byte v[16:17], v4, off
.LBB513_1757:
	s_mov_b64 s[6:7], 0
	s_mov_b64 s[8:9], -1
.LBB513_1758:
	s_andn2_b64 vcc, exec, s[6:7]
	s_mov_b64 s[6:7], 0
	s_cbranch_vccnz .LBB513_1765
; %bb.1759:
	s_cmp_gt_i32 s15, 14
	s_mov_b64 s[10:11], -1
	s_cbranch_scc0 .LBB513_1763
; %bb.1760:
	s_cmp_eq_u32 s15, 15
	s_mov_b64 s[0:1], -1
	s_cbranch_scc0 .LBB513_1762
; %bb.1761:
	v_cvt_f32_f64_e32 v4, v[2:3]
	v_bfe_u32 v5, v4, 16, 1
	s_movk_i32 s0, 0x7fff
	v_add3_u32 v5, v4, v5, s0
	v_cmp_o_f32_e32 vcc, v4, v4
	v_mov_b32_e32 v4, 0x7fc0
	s_mov_b64 s[0:1], 0
	v_cndmask_b32_sdwa v4, v4, v5, vcc dst_sel:DWORD dst_unused:UNUSED_PAD src0_sel:DWORD src1_sel:WORD_1
	global_store_short v[16:17], v4, off
	s_mov_b64 s[8:9], -1
.LBB513_1762:
	s_mov_b64 s[10:11], 0
.LBB513_1763:
	s_and_b64 vcc, exec, s[10:11]
	s_cbranch_vccz .LBB513_1765
; %bb.1764:
	s_cmp_lg_u32 s15, 11
	s_mov_b64 s[6:7], -1
	s_cselect_b64 s[0:1], -1, 0
.LBB513_1765:
	s_and_b64 vcc, exec, s[0:1]
	s_cbranch_vccnz .LBB513_2175
; %bb.1766:
	s_andn2_b64 vcc, exec, s[6:7]
	s_cbranch_vccnz .LBB513_1768
.LBB513_1767:
	v_cmp_neq_f64_e32 vcc, 0, v[2:3]
	s_mov_b64 s[8:9], -1
	s_nop 0
	v_cndmask_b32_e64 v4, 0, 1, vcc
	global_store_byte v[16:17], v4, off
.LBB513_1768:
	s_mov_b64 s[0:1], 0
	s_branch .LBB513_1816
.LBB513_1769:
	s_mov_b64 s[0:1], 0
                                        ; implicit-def: $vgpr4_vgpr5
                                        ; implicit-def: $sgpr14
                                        ; implicit-def: $vgpr0_vgpr1
.LBB513_1770:
	s_mov_b64 s[4:5], 0
.LBB513_1771:
	s_and_b64 s[6:7], s[0:1], exec
	s_andn2_b64 s[0:1], s[24:25], exec
	s_and_b64 s[2:3], s[2:3], exec
	s_and_b64 s[44:45], s[4:5], exec
	s_or_b64 s[24:25], s[0:1], s[2:3]
.LBB513_1772:
	s_or_b64 exec, exec, s[26:27]
	s_and_saveexec_b64 s[0:1], s[24:25]
	s_cbranch_execz .LBB513_1775
; %bb.1773:
	; divergent unreachable
	s_or_b64 exec, exec, s[0:1]
	s_and_saveexec_b64 s[0:1], s[44:45]
	s_xor_b64 s[0:1], exec, s[0:1]
	s_cbranch_execnz .LBB513_1776
.LBB513_1774:
	s_or_b64 exec, exec, s[0:1]
	s_and_saveexec_b64 s[0:1], s[6:7]
	s_cbranch_execnz .LBB513_1777
	s_branch .LBB513_1814
.LBB513_1775:
	s_or_b64 exec, exec, s[0:1]
	s_and_saveexec_b64 s[0:1], s[44:45]
	s_xor_b64 s[0:1], exec, s[0:1]
	s_cbranch_execz .LBB513_1774
.LBB513_1776:
	v_cmp_neq_f64_e32 vcc, 0, v[0:1]
	s_nop 1
	v_cndmask_b32_e64 v2, 0, 1, vcc
	s_waitcnt vmcnt(0)
	global_store_byte v[4:5], v2, off
	s_or_b64 exec, exec, s[0:1]
	s_and_saveexec_b64 s[0:1], s[6:7]
	s_cbranch_execz .LBB513_1814
.LBB513_1777:
	s_sext_i32_i16 s2, s14
	s_cmp_lt_i32 s2, 5
	s_mov_b64 s[0:1], -1
	s_cbranch_scc1 .LBB513_1798
; %bb.1778:
	s_cmp_lt_i32 s2, 8
	s_cbranch_scc1 .LBB513_1788
; %bb.1779:
	s_cmp_lt_i32 s2, 9
	s_cbranch_scc1 .LBB513_1785
; %bb.1780:
	s_cmp_gt_i32 s2, 9
	s_cbranch_scc0 .LBB513_1782
; %bb.1781:
	v_mov_b32_e32 v2, 0
	v_mov_b32_e32 v3, v2
	s_waitcnt vmcnt(0)
	global_store_dwordx4 v[4:5], v[0:3], off
	s_mov_b64 s[0:1], 0
.LBB513_1782:
	s_andn2_b64 vcc, exec, s[0:1]
	s_cbranch_vccnz .LBB513_1784
; %bb.1783:
	v_cvt_f32_f64_e32 v2, v[0:1]
	v_mov_b32_e32 v3, 0
	s_waitcnt vmcnt(0)
	global_store_dwordx2 v[4:5], v[2:3], off
.LBB513_1784:
	s_mov_b64 s[0:1], 0
.LBB513_1785:
	s_andn2_b64 vcc, exec, s[0:1]
	s_cbranch_vccnz .LBB513_1787
; %bb.1786:
	s_movk_i32 s0, 0x1ff
	v_and_or_b32 v2, v1, s0, v0
	v_cmp_ne_u32_e32 vcc, 0, v2
	v_lshrrev_b32_e32 v3, 8, v1
	s_movk_i32 s0, 0xffe
	v_cndmask_b32_e64 v2, 0, 1, vcc
	s_waitcnt vmcnt(0)
	v_bfe_u32 v6, v1, 20, 11
	v_and_or_b32 v2, v3, s0, v2
	v_sub_u32_e32 v7, 0x3f1, v6
	v_or_b32_e32 v3, 0x1000, v2
	v_med3_i32 v7, v7, 0, 13
	v_lshrrev_b32_e32 v8, v7, v3
	v_lshlrev_b32_e32 v7, v7, v8
	v_cmp_ne_u32_e32 vcc, v7, v3
	v_add_u32_e32 v6, 0xfffffc10, v6
	v_lshl_or_b32 v7, v6, 12, v2
	v_cndmask_b32_e64 v3, 0, 1, vcc
	v_or_b32_e32 v3, v8, v3
	v_cmp_gt_i32_e32 vcc, 1, v6
	s_movk_i32 s0, 0x40f
	s_nop 0
	v_cndmask_b32_e32 v3, v7, v3, vcc
	v_and_b32_e32 v7, 7, v3
	v_cmp_lt_i32_e32 vcc, 5, v7
	v_lshrrev_b32_e32 v3, 2, v3
	s_nop 0
	v_cndmask_b32_e64 v8, 0, 1, vcc
	v_cmp_eq_u32_e32 vcc, 3, v7
	s_nop 1
	v_cndmask_b32_e64 v7, 0, 1, vcc
	v_or_b32_e32 v7, v7, v8
	v_add_u32_e32 v3, v3, v7
	v_mov_b32_e32 v7, 0x7c00
	v_cmp_gt_i32_e32 vcc, 31, v6
	v_mov_b32_e32 v8, 0x7e00
	s_nop 0
	v_cndmask_b32_e32 v3, v7, v3, vcc
	v_cmp_ne_u32_e32 vcc, 0, v2
	s_nop 1
	v_cndmask_b32_e32 v2, v7, v8, vcc
	v_cmp_eq_u32_e32 vcc, s0, v6
	s_mov_b32 s0, 0x8000
	s_nop 0
	v_cndmask_b32_e32 v2, v3, v2, vcc
	v_and_b32_sdwa v3, v1, s0 dst_sel:DWORD dst_unused:UNUSED_PAD src0_sel:WORD_1 src1_sel:DWORD
	s_mov_b32 s0, 0xffff
	v_bitop3_b32 v2, v3, s0, v2 bitop3:0xc8
	global_store_dword v[4:5], v2, off
.LBB513_1787:
	s_mov_b64 s[0:1], 0
.LBB513_1788:
	s_andn2_b64 vcc, exec, s[0:1]
	s_cbranch_vccnz .LBB513_1797
; %bb.1789:
	s_sext_i32_i16 s2, s14
	s_cmp_lt_i32 s2, 6
	s_mov_b64 s[0:1], -1
	s_cbranch_scc1 .LBB513_1795
; %bb.1790:
	s_cmp_gt_i32 s2, 6
	s_cbranch_scc0 .LBB513_1792
; %bb.1791:
	s_waitcnt vmcnt(0)
	global_store_dwordx2 v[4:5], v[0:1], off
	s_mov_b64 s[0:1], 0
.LBB513_1792:
	s_andn2_b64 vcc, exec, s[0:1]
	s_cbranch_vccnz .LBB513_1794
; %bb.1793:
	v_cvt_f32_f64_e32 v2, v[0:1]
	s_waitcnt vmcnt(0)
	global_store_dword v[4:5], v2, off
.LBB513_1794:
	s_mov_b64 s[0:1], 0
.LBB513_1795:
	s_andn2_b64 vcc, exec, s[0:1]
	s_cbranch_vccnz .LBB513_1797
; %bb.1796:
	s_movk_i32 s0, 0x1ff
	v_and_or_b32 v2, v1, s0, v0
	v_cmp_ne_u32_e32 vcc, 0, v2
	v_lshrrev_b32_e32 v3, 8, v1
	s_movk_i32 s0, 0xffe
	v_cndmask_b32_e64 v2, 0, 1, vcc
	s_waitcnt vmcnt(0)
	v_bfe_u32 v6, v1, 20, 11
	v_and_or_b32 v2, v3, s0, v2
	v_sub_u32_e32 v7, 0x3f1, v6
	v_or_b32_e32 v3, 0x1000, v2
	v_med3_i32 v7, v7, 0, 13
	v_lshrrev_b32_e32 v8, v7, v3
	v_lshlrev_b32_e32 v7, v7, v8
	v_cmp_ne_u32_e32 vcc, v7, v3
	v_add_u32_e32 v6, 0xfffffc10, v6
	v_lshl_or_b32 v7, v6, 12, v2
	v_cndmask_b32_e64 v3, 0, 1, vcc
	v_or_b32_e32 v3, v8, v3
	v_cmp_gt_i32_e32 vcc, 1, v6
	s_movk_i32 s0, 0x40f
	s_nop 0
	v_cndmask_b32_e32 v3, v7, v3, vcc
	v_and_b32_e32 v7, 7, v3
	v_cmp_lt_i32_e32 vcc, 5, v7
	v_lshrrev_b32_e32 v3, 2, v3
	s_nop 0
	v_cndmask_b32_e64 v8, 0, 1, vcc
	v_cmp_eq_u32_e32 vcc, 3, v7
	s_nop 1
	v_cndmask_b32_e64 v7, 0, 1, vcc
	v_or_b32_e32 v7, v7, v8
	v_add_u32_e32 v3, v3, v7
	v_mov_b32_e32 v7, 0x7c00
	v_cmp_gt_i32_e32 vcc, 31, v6
	v_mov_b32_e32 v8, 0x7e00
	s_nop 0
	v_cndmask_b32_e32 v3, v7, v3, vcc
	v_cmp_ne_u32_e32 vcc, 0, v2
	s_nop 1
	v_cndmask_b32_e32 v2, v7, v8, vcc
	v_cmp_eq_u32_e32 vcc, s0, v6
	s_mov_b32 s0, 0x8000
	s_nop 0
	v_cndmask_b32_e32 v2, v3, v2, vcc
	v_lshrrev_b32_e32 v3, 16, v1
	v_and_or_b32 v2, v3, s0, v2
	global_store_short v[4:5], v2, off
.LBB513_1797:
	s_mov_b64 s[0:1], 0
.LBB513_1798:
	s_andn2_b64 vcc, exec, s[0:1]
	s_cbranch_vccnz .LBB513_1814
; %bb.1799:
	s_sext_i32_i16 s2, s14
	s_cmp_lt_i32 s2, 2
	s_mov_b64 s[0:1], -1
	s_cbranch_scc1 .LBB513_1809
; %bb.1800:
	s_cmp_lt_i32 s2, 3
	s_cbranch_scc1 .LBB513_1806
; %bb.1801:
	s_cmp_gt_i32 s2, 3
	s_cbranch_scc0 .LBB513_1803
; %bb.1802:
	v_trunc_f64_e32 v[2:3], v[0:1]
	s_movk_i32 s0, 0xffe0
	s_waitcnt vmcnt(0)
	v_ldexp_f64 v[6:7], v[2:3], s0
	v_floor_f64_e32 v[6:7], v[6:7]
	v_fmac_f64_e32 v[2:3], 0xc1f00000, v[6:7]
	v_cvt_i32_f64_e32 v9, v[6:7]
	v_cvt_u32_f64_e32 v8, v[2:3]
	global_store_dwordx2 v[4:5], v[8:9], off
	s_mov_b64 s[0:1], 0
.LBB513_1803:
	s_andn2_b64 vcc, exec, s[0:1]
	s_cbranch_vccnz .LBB513_1805
; %bb.1804:
	v_cvt_i32_f64_e32 v2, v[0:1]
	s_waitcnt vmcnt(0)
	global_store_dword v[4:5], v2, off
.LBB513_1805:
	s_mov_b64 s[0:1], 0
.LBB513_1806:
	s_andn2_b64 vcc, exec, s[0:1]
	s_cbranch_vccnz .LBB513_1808
; %bb.1807:
	v_cvt_i32_f64_e32 v2, v[0:1]
	s_waitcnt vmcnt(0)
	global_store_short v[4:5], v2, off
.LBB513_1808:
	s_mov_b64 s[0:1], 0
.LBB513_1809:
	s_andn2_b64 vcc, exec, s[0:1]
	s_cbranch_vccnz .LBB513_1814
; %bb.1810:
	s_sext_i32_i16 s0, s14
	s_cmp_gt_i32 s0, 0
	s_mov_b64 s[0:1], -1
	s_cbranch_scc0 .LBB513_1812
; %bb.1811:
	v_cvt_i32_f64_e32 v2, v[0:1]
	s_waitcnt vmcnt(0)
	global_store_byte v[4:5], v2, off
	s_mov_b64 s[0:1], 0
.LBB513_1812:
	s_andn2_b64 vcc, exec, s[0:1]
	s_cbranch_vccnz .LBB513_1814
; %bb.1813:
	v_trunc_f64_e32 v[0:1], v[0:1]
	s_movk_i32 s0, 0xffe0
	v_ldexp_f64 v[2:3], v[0:1], s0
	v_floor_f64_e32 v[2:3], v[2:3]
	v_fmac_f64_e32 v[0:1], 0xc1f00000, v[2:3]
	v_cvt_u32_f64_e32 v0, v[0:1]
	s_waitcnt vmcnt(0)
	global_store_byte v[4:5], v0, off
	s_endpgm
.LBB513_1814:
	s_endpgm
.LBB513_1815:
	s_mov_b64 s[0:1], -1
	s_mov_b64 s[8:9], 0
.LBB513_1816:
	s_and_b64 vcc, exec, s[0:1]
	s_cbranch_vccz .LBB513_1855
; %bb.1817:
	s_and_b32 s6, 0xffff, s14
	s_cmp_lt_i32 s6, 5
	s_mov_b64 s[0:1], -1
	s_cbranch_scc1 .LBB513_1838
; %bb.1818:
	s_cmp_lt_i32 s6, 8
	s_cbranch_scc1 .LBB513_1828
; %bb.1819:
	s_cmp_lt_i32 s6, 9
	s_cbranch_scc1 .LBB513_1825
; %bb.1820:
	s_cmp_gt_i32 s6, 9
	s_cbranch_scc0 .LBB513_1822
; %bb.1821:
	v_mov_b32_e32 v4, 0
	v_mov_b32_e32 v5, v4
	global_store_dwordx4 v[16:17], v[2:5], off
	s_mov_b64 s[0:1], 0
.LBB513_1822:
	s_andn2_b64 vcc, exec, s[0:1]
	s_cbranch_vccnz .LBB513_1824
; %bb.1823:
	v_cvt_f32_f64_e32 v4, v[2:3]
	v_mov_b32_e32 v5, 0
	global_store_dwordx2 v[16:17], v[4:5], off
.LBB513_1824:
	s_mov_b64 s[0:1], 0
.LBB513_1825:
	s_andn2_b64 vcc, exec, s[0:1]
	s_cbranch_vccnz .LBB513_1827
; %bb.1826:
	s_movk_i32 s0, 0x1ff
	v_and_or_b32 v4, v3, s0, v2
	v_cmp_ne_u32_e32 vcc, 0, v4
	v_lshrrev_b32_e32 v5, 8, v3
	s_movk_i32 s0, 0xffe
	v_cndmask_b32_e64 v4, 0, 1, vcc
	v_bfe_u32 v9, v3, 20, 11
	v_and_or_b32 v4, v5, s0, v4
	v_sub_u32_e32 v13, 0x3f1, v9
	v_or_b32_e32 v5, 0x1000, v4
	v_med3_i32 v13, v13, 0, 13
	v_lshrrev_b32_e32 v15, v13, v5
	v_lshlrev_b32_e32 v13, v13, v15
	v_cmp_ne_u32_e32 vcc, v13, v5
	v_add_u32_e32 v9, 0xfffffc10, v9
	v_lshl_or_b32 v13, v9, 12, v4
	v_cndmask_b32_e64 v5, 0, 1, vcc
	v_or_b32_e32 v5, v15, v5
	v_cmp_gt_i32_e32 vcc, 1, v9
	s_movk_i32 s0, 0x40f
	s_nop 0
	v_cndmask_b32_e32 v5, v13, v5, vcc
	v_and_b32_e32 v13, 7, v5
	v_cmp_lt_i32_e32 vcc, 5, v13
	v_lshrrev_b32_e32 v5, 2, v5
	s_nop 0
	v_cndmask_b32_e64 v15, 0, 1, vcc
	v_cmp_eq_u32_e32 vcc, 3, v13
	s_nop 1
	v_cndmask_b32_e64 v13, 0, 1, vcc
	v_or_b32_e32 v13, v13, v15
	v_add_u32_e32 v5, v5, v13
	v_mov_b32_e32 v13, 0x7c00
	v_cmp_gt_i32_e32 vcc, 31, v9
	v_mov_b32_e32 v15, 0x7e00
	s_nop 0
	v_cndmask_b32_e32 v5, v13, v5, vcc
	v_cmp_ne_u32_e32 vcc, 0, v4
	s_nop 1
	v_cndmask_b32_e32 v4, v13, v15, vcc
	v_cmp_eq_u32_e32 vcc, s0, v9
	s_mov_b32 s0, 0x8000
	s_nop 0
	v_cndmask_b32_e32 v4, v5, v4, vcc
	v_and_b32_sdwa v5, v3, s0 dst_sel:DWORD dst_unused:UNUSED_PAD src0_sel:WORD_1 src1_sel:DWORD
	s_mov_b32 s0, 0xffff
	v_bitop3_b32 v4, v5, s0, v4 bitop3:0xc8
	global_store_dword v[16:17], v4, off
.LBB513_1827:
	s_mov_b64 s[0:1], 0
.LBB513_1828:
	s_andn2_b64 vcc, exec, s[0:1]
	s_cbranch_vccnz .LBB513_1837
; %bb.1829:
	s_cmp_lt_i32 s6, 6
	s_mov_b64 s[0:1], -1
	s_cbranch_scc1 .LBB513_1835
; %bb.1830:
	s_cmp_gt_i32 s6, 6
	s_cbranch_scc0 .LBB513_1832
; %bb.1831:
	global_store_dwordx2 v[16:17], v[2:3], off
	s_mov_b64 s[0:1], 0
.LBB513_1832:
	s_andn2_b64 vcc, exec, s[0:1]
	s_cbranch_vccnz .LBB513_1834
; %bb.1833:
	v_cvt_f32_f64_e32 v4, v[2:3]
	global_store_dword v[16:17], v4, off
.LBB513_1834:
	s_mov_b64 s[0:1], 0
.LBB513_1835:
	s_andn2_b64 vcc, exec, s[0:1]
	s_cbranch_vccnz .LBB513_1837
; %bb.1836:
	s_movk_i32 s0, 0x1ff
	v_and_or_b32 v4, v3, s0, v2
	v_cmp_ne_u32_e32 vcc, 0, v4
	v_lshrrev_b32_e32 v5, 8, v3
	s_movk_i32 s0, 0xffe
	v_cndmask_b32_e64 v4, 0, 1, vcc
	v_bfe_u32 v9, v3, 20, 11
	v_and_or_b32 v4, v5, s0, v4
	v_sub_u32_e32 v13, 0x3f1, v9
	v_or_b32_e32 v5, 0x1000, v4
	v_med3_i32 v13, v13, 0, 13
	v_lshrrev_b32_e32 v15, v13, v5
	v_lshlrev_b32_e32 v13, v13, v15
	v_cmp_ne_u32_e32 vcc, v13, v5
	v_add_u32_e32 v9, 0xfffffc10, v9
	v_lshl_or_b32 v13, v9, 12, v4
	v_cndmask_b32_e64 v5, 0, 1, vcc
	v_or_b32_e32 v5, v15, v5
	v_cmp_gt_i32_e32 vcc, 1, v9
	s_movk_i32 s0, 0x40f
	s_nop 0
	v_cndmask_b32_e32 v5, v13, v5, vcc
	v_and_b32_e32 v13, 7, v5
	v_cmp_lt_i32_e32 vcc, 5, v13
	v_lshrrev_b32_e32 v5, 2, v5
	s_nop 0
	v_cndmask_b32_e64 v15, 0, 1, vcc
	v_cmp_eq_u32_e32 vcc, 3, v13
	s_nop 1
	v_cndmask_b32_e64 v13, 0, 1, vcc
	v_or_b32_e32 v13, v13, v15
	v_add_u32_e32 v5, v5, v13
	v_mov_b32_e32 v13, 0x7c00
	v_cmp_gt_i32_e32 vcc, 31, v9
	v_mov_b32_e32 v15, 0x7e00
	s_nop 0
	v_cndmask_b32_e32 v5, v13, v5, vcc
	v_cmp_ne_u32_e32 vcc, 0, v4
	s_nop 1
	v_cndmask_b32_e32 v4, v13, v15, vcc
	v_cmp_eq_u32_e32 vcc, s0, v9
	s_mov_b32 s0, 0x8000
	s_nop 0
	v_cndmask_b32_e32 v4, v5, v4, vcc
	v_lshrrev_b32_e32 v5, 16, v3
	v_and_or_b32 v4, v5, s0, v4
	global_store_short v[16:17], v4, off
.LBB513_1837:
	s_mov_b64 s[0:1], 0
.LBB513_1838:
	s_andn2_b64 vcc, exec, s[0:1]
	s_cbranch_vccnz .LBB513_1854
; %bb.1839:
	s_cmp_lt_i32 s6, 2
	s_mov_b64 s[0:1], -1
	s_cbranch_scc1 .LBB513_1849
; %bb.1840:
	s_cmp_lt_i32 s6, 3
	s_cbranch_scc1 .LBB513_1846
; %bb.1841:
	s_cmp_gt_i32 s6, 3
	s_cbranch_scc0 .LBB513_1843
; %bb.1842:
	v_trunc_f64_e32 v[4:5], v[2:3]
	s_movk_i32 s0, 0xffe0
	v_ldexp_f64 v[18:19], v[4:5], s0
	v_floor_f64_e32 v[18:19], v[18:19]
	v_fmac_f64_e32 v[4:5], 0xc1f00000, v[18:19]
	v_cvt_i32_f64_e32 v21, v[18:19]
	v_cvt_u32_f64_e32 v20, v[4:5]
	global_store_dwordx2 v[16:17], v[20:21], off
	s_mov_b64 s[0:1], 0
.LBB513_1843:
	s_andn2_b64 vcc, exec, s[0:1]
	s_cbranch_vccnz .LBB513_1845
; %bb.1844:
	v_cvt_i32_f64_e32 v4, v[2:3]
	global_store_dword v[16:17], v4, off
.LBB513_1845:
	s_mov_b64 s[0:1], 0
.LBB513_1846:
	s_andn2_b64 vcc, exec, s[0:1]
	s_cbranch_vccnz .LBB513_1848
; %bb.1847:
	v_cvt_i32_f64_e32 v4, v[2:3]
	global_store_short v[16:17], v4, off
.LBB513_1848:
	s_mov_b64 s[0:1], 0
.LBB513_1849:
	s_andn2_b64 vcc, exec, s[0:1]
	s_cbranch_vccnz .LBB513_1854
; %bb.1850:
	s_cmp_gt_i32 s6, 0
	s_mov_b64 s[0:1], -1
	s_cbranch_scc0 .LBB513_1852
; %bb.1851:
	v_cvt_i32_f64_e32 v4, v[2:3]
	global_store_byte v[16:17], v4, off
	s_mov_b64 s[0:1], 0
.LBB513_1852:
	s_andn2_b64 vcc, exec, s[0:1]
	s_cbranch_vccnz .LBB513_1854
; %bb.1853:
	v_trunc_f64_e32 v[2:3], v[2:3]
	s_movk_i32 s0, 0xffe0
	v_ldexp_f64 v[4:5], v[2:3], s0
	v_floor_f64_e32 v[4:5], v[4:5]
	v_fmac_f64_e32 v[2:3], 0xc1f00000, v[4:5]
	v_cvt_u32_f64_e32 v2, v[2:3]
	global_store_byte v[16:17], v2, off
.LBB513_1854:
	s_mov_b64 s[8:9], -1
.LBB513_1855:
	s_andn2_b64 vcc, exec, s[8:9]
	s_cbranch_vccnz .LBB513_2170
; %bb.1856:
	v_mov_b32_e32 v9, 0
	s_and_b32 s15, 0xffff, s14
	s_cmp_lt_i32 s15, 11
	v_lshl_add_u64 v[2:3], s[4:5], 0, v[8:9]
	s_cbranch_scc1 .LBB513_1934
; %bb.1857:
	s_mov_b64 s[10:11], -1
	s_mov_b64 s[6:7], 0
	s_cmp_gt_i32 s15, 25
	s_mov_b64 s[8:9], 0
	s_mov_b64 s[0:1], 0
	s_cbranch_scc0 .LBB513_1890
; %bb.1858:
	s_cmp_gt_i32 s15, 28
	s_cbranch_scc0 .LBB513_1873
; %bb.1859:
	s_cmp_gt_i32 s15, 43
	;; [unrolled: 3-line block ×3, first 2 shown]
	s_cbranch_scc0 .LBB513_1863
; %bb.1861:
	s_mov_b64 s[0:1], -1
	s_mov_b64 s[10:11], 0
	s_cmp_eq_u32 s15, 46
	s_cbranch_scc0 .LBB513_1863
; %bb.1862:
	v_cvt_f32_f64_e32 v4, v[6:7]
	v_bfe_u32 v5, v4, 16, 1
	s_movk_i32 s0, 0x7fff
	v_add3_u32 v5, v4, v5, s0
	v_cmp_o_f32_e32 vcc, v4, v4
	v_mov_b32_e32 v4, 0x7fc0
	s_mov_b64 s[0:1], 0
	v_cndmask_b32_sdwa v4, v4, v5, vcc dst_sel:DWORD dst_unused:UNUSED_PAD src0_sel:DWORD src1_sel:WORD_1
	global_store_dword v[2:3], v4, off
	s_mov_b64 s[8:9], -1
.LBB513_1863:
	s_and_b64 vcc, exec, s[10:11]
	s_cbranch_vccz .LBB513_1868
; %bb.1864:
	s_cmp_eq_u32 s15, 44
	s_mov_b64 s[0:1], -1
	s_cbranch_scc0 .LBB513_1868
; %bb.1865:
	v_cvt_f32_f64_e32 v4, v[6:7]
	v_bfe_u32 v5, v4, 23, 8
	s_movk_i32 s0, 0xff
	v_cmp_ne_u32_e32 vcc, s0, v5
	v_mov_b32_e32 v8, 0xff
	s_and_saveexec_b64 s[8:9], vcc
; %bb.1866:
	s_mov_b32 s0, 0x3fffff
	v_lshrrev_b32_e32 v8, 23, v4
	v_and_b32_e32 v9, 0x400000, v4
	v_and_or_b32 v4, v4, s0, v5
	v_cmp_ne_u32_e32 vcc, 0, v9
	v_cmp_ne_u32_e64 s[0:1], 0, v4
	s_and_b64 s[0:1], vcc, s[0:1]
	s_nop 0
	v_cndmask_b32_e64 v4, 0, 1, s[0:1]
	v_add_u32_e32 v8, v8, v4
; %bb.1867:
	s_or_b64 exec, exec, s[8:9]
	s_mov_b64 s[0:1], 0
	s_mov_b64 s[8:9], -1
	global_store_byte v[2:3], v8, off
.LBB513_1868:
	s_mov_b64 s[10:11], 0
.LBB513_1869:
	s_and_b64 vcc, exec, s[10:11]
	s_cbranch_vccz .LBB513_1872
; %bb.1870:
	s_cmp_eq_u32 s15, 29
	s_mov_b64 s[0:1], -1
	s_cbranch_scc0 .LBB513_1872
; %bb.1871:
	v_trunc_f64_e32 v[4:5], v[6:7]
	s_movk_i32 s0, 0xffe0
	v_ldexp_f64 v[8:9], v[4:5], s0
	v_floor_f64_e32 v[8:9], v[8:9]
	v_fmac_f64_e32 v[4:5], 0xc1f00000, v[8:9]
	v_cvt_u32_f64_e32 v17, v[8:9]
	v_cvt_u32_f64_e32 v16, v[4:5]
	global_store_dwordx2 v[2:3], v[16:17], off
	s_mov_b64 s[0:1], 0
	s_mov_b64 s[8:9], -1
.LBB513_1872:
	s_mov_b64 s[10:11], 0
.LBB513_1873:
	s_and_b64 vcc, exec, s[10:11]
	s_cbranch_vccz .LBB513_1889
; %bb.1874:
	s_cmp_lt_i32 s15, 27
	s_mov_b64 s[8:9], -1
	s_cbranch_scc1 .LBB513_1880
; %bb.1875:
	s_cmp_gt_i32 s15, 27
	s_cbranch_scc0 .LBB513_1877
; %bb.1876:
	v_cvt_u32_f64_e32 v4, v[6:7]
	s_mov_b64 s[8:9], 0
	global_store_dword v[2:3], v4, off
.LBB513_1877:
	s_andn2_b64 vcc, exec, s[8:9]
	s_cbranch_vccnz .LBB513_1879
; %bb.1878:
	v_cvt_u32_f64_e32 v4, v[6:7]
	global_store_short v[2:3], v4, off
.LBB513_1879:
	s_mov_b64 s[8:9], 0
.LBB513_1880:
	s_andn2_b64 vcc, exec, s[8:9]
	s_cbranch_vccnz .LBB513_1888
; %bb.1881:
	v_cvt_f32_f64_e32 v4, v[6:7]
	v_and_b32_e32 v5, 0x7fffffff, v4
	s_mov_b32 s8, 0x43800000
	v_cmp_gt_u32_e32 vcc, s8, v5
	v_mov_b32_e32 v8, 0x80
	s_and_saveexec_b64 s[8:9], vcc
	s_cbranch_execz .LBB513_1887
; %bb.1882:
	s_mov_b32 s10, 0x3bffffff
	v_cmp_lt_u32_e32 vcc, s10, v5
	s_mov_b64 s[10:11], 0
                                        ; implicit-def: $vgpr5
	s_and_saveexec_b64 s[12:13], vcc
	s_xor_b64 s[12:13], exec, s[12:13]
	s_cbranch_execz .LBB513_2178
; %bb.1883:
	v_bfe_u32 v5, v4, 20, 1
	s_mov_b32 s16, 0x487ffff
	v_add3_u32 v5, v4, v5, s16
	s_mov_b64 s[10:11], exec
	v_lshrrev_b32_e32 v5, 20, v5
	s_andn2_saveexec_b64 s[12:13], s[12:13]
	s_cbranch_execnz .LBB513_2179
.LBB513_1884:
	s_or_b64 exec, exec, s[12:13]
	v_mov_b32_e32 v8, 0
	s_and_saveexec_b64 s[12:13], s[10:11]
.LBB513_1885:
	v_lshrrev_b32_e32 v4, 24, v4
	s_movk_i32 s10, 0x80
	v_and_or_b32 v8, v4, s10, v5
.LBB513_1886:
	s_or_b64 exec, exec, s[12:13]
.LBB513_1887:
	s_or_b64 exec, exec, s[8:9]
	global_store_byte v[2:3], v8, off
.LBB513_1888:
	s_mov_b64 s[8:9], -1
.LBB513_1889:
	s_mov_b64 s[10:11], 0
.LBB513_1890:
	s_and_b64 vcc, exec, s[10:11]
	s_cbranch_vccz .LBB513_1930
; %bb.1891:
	s_cmp_gt_i32 s15, 22
	s_mov_b64 s[6:7], -1
	s_cbranch_scc0 .LBB513_1923
; %bb.1892:
	s_cmp_lt_i32 s15, 24
	s_cbranch_scc1 .LBB513_1912
; %bb.1893:
	s_cmp_gt_i32 s15, 24
	s_cbranch_scc0 .LBB513_1901
; %bb.1894:
	v_cvt_f32_f64_e32 v4, v[6:7]
	v_and_b32_e32 v5, 0x7fffffff, v4
	s_mov_b32 s6, 0x47800000
	v_cmp_gt_u32_e32 vcc, s6, v5
	v_mov_b32_e32 v8, 0x80
	s_and_saveexec_b64 s[6:7], vcc
	s_cbranch_execz .LBB513_1900
; %bb.1895:
	s_mov_b32 s8, 0x37ffffff
	v_cmp_lt_u32_e32 vcc, s8, v5
	s_mov_b64 s[8:9], 0
                                        ; implicit-def: $vgpr5
	s_and_saveexec_b64 s[10:11], vcc
	s_xor_b64 s[10:11], exec, s[10:11]
	s_cbranch_execz .LBB513_2181
; %bb.1896:
	v_bfe_u32 v5, v4, 21, 1
	s_mov_b32 s12, 0x88fffff
	v_add3_u32 v5, v4, v5, s12
	s_mov_b64 s[8:9], exec
	v_lshrrev_b32_e32 v5, 21, v5
	s_andn2_saveexec_b64 s[10:11], s[10:11]
	s_cbranch_execnz .LBB513_2182
.LBB513_1897:
	s_or_b64 exec, exec, s[10:11]
	v_mov_b32_e32 v8, 0
	s_and_saveexec_b64 s[10:11], s[8:9]
.LBB513_1898:
	v_lshrrev_b32_e32 v4, 24, v4
	s_movk_i32 s8, 0x80
	v_and_or_b32 v8, v4, s8, v5
.LBB513_1899:
	s_or_b64 exec, exec, s[10:11]
.LBB513_1900:
	s_or_b64 exec, exec, s[6:7]
	s_mov_b64 s[6:7], 0
	global_store_byte v[2:3], v8, off
.LBB513_1901:
	s_and_b64 vcc, exec, s[6:7]
	s_cbranch_vccz .LBB513_1911
; %bb.1902:
	v_cvt_f32_f64_e32 v4, v[6:7]
	v_and_b32_e32 v8, 0x7fffffff, v4
	s_mov_b32 s6, 0x43f00000
	v_cmp_gt_u32_e32 vcc, s6, v8
                                        ; implicit-def: $vgpr5
	s_and_saveexec_b64 s[6:7], vcc
	s_xor_b64 s[6:7], exec, s[6:7]
	s_cbranch_execz .LBB513_1908
; %bb.1903:
	s_mov_b32 s8, 0x3c7fffff
	v_cmp_lt_u32_e32 vcc, s8, v8
                                        ; implicit-def: $vgpr5
	s_and_saveexec_b64 s[8:9], vcc
	s_xor_b64 s[8:9], exec, s[8:9]
; %bb.1904:
	v_bfe_u32 v5, v4, 20, 1
	s_mov_b32 s10, 0x407ffff
	v_add3_u32 v5, v4, v5, s10
	v_lshrrev_b32_e32 v8, 20, v5
	v_and_b32_e32 v5, 0xff00000, v5
	s_mov_b32 s10, 0x7f00000
	v_mov_b32_e32 v9, 0x7e
	v_cmp_ne_u32_e32 vcc, s10, v5
	s_nop 1
	v_cndmask_b32_e32 v5, v9, v8, vcc
; %bb.1905:
	s_andn2_saveexec_b64 s[8:9], s[8:9]
; %bb.1906:
	s_mov_b32 s10, 0x46800000
	v_add_f32_e64 v5, |v4|, s10
; %bb.1907:
	s_or_b64 exec, exec, s[8:9]
                                        ; implicit-def: $vgpr8
.LBB513_1908:
	s_andn2_saveexec_b64 s[6:7], s[6:7]
; %bb.1909:
	s_mov_b32 s8, 0x7f800000
	v_mov_b32_e32 v5, 0x7e
	v_mov_b32_e32 v9, 0x7f
	v_cmp_lt_u32_e32 vcc, s8, v8
	s_nop 1
	v_cndmask_b32_e32 v5, v5, v9, vcc
; %bb.1910:
	s_or_b64 exec, exec, s[6:7]
	v_lshrrev_b32_e32 v4, 24, v4
	s_movk_i32 s6, 0x80
	v_and_or_b32 v4, v4, s6, v5
	global_store_byte v[2:3], v4, off
.LBB513_1911:
	s_mov_b64 s[6:7], 0
.LBB513_1912:
	s_andn2_b64 vcc, exec, s[6:7]
	s_cbranch_vccnz .LBB513_1922
; %bb.1913:
	v_cvt_f32_f64_e32 v4, v[6:7]
	v_and_b32_e32 v8, 0x7fffffff, v4
	s_mov_b32 s6, 0x47800000
	v_cmp_gt_u32_e32 vcc, s6, v8
                                        ; implicit-def: $vgpr5
	s_and_saveexec_b64 s[6:7], vcc
	s_xor_b64 s[6:7], exec, s[6:7]
	s_cbranch_execz .LBB513_1919
; %bb.1914:
	s_mov_b32 s8, 0x387fffff
	v_cmp_lt_u32_e32 vcc, s8, v8
                                        ; implicit-def: $vgpr5
	s_and_saveexec_b64 s[8:9], vcc
	s_xor_b64 s[8:9], exec, s[8:9]
; %bb.1915:
	v_bfe_u32 v5, v4, 21, 1
	s_mov_b32 s10, 0x80fffff
	v_add3_u32 v5, v4, v5, s10
	v_lshrrev_b32_e32 v5, 21, v5
; %bb.1916:
	s_andn2_saveexec_b64 s[8:9], s[8:9]
; %bb.1917:
	s_mov_b32 s10, 0x43000000
	v_add_f32_e64 v5, |v4|, s10
; %bb.1918:
	s_or_b64 exec, exec, s[8:9]
                                        ; implicit-def: $vgpr8
.LBB513_1919:
	s_andn2_saveexec_b64 s[6:7], s[6:7]
; %bb.1920:
	s_mov_b32 s8, 0x7f800000
	v_mov_b32_e32 v5, 0x7c
	v_mov_b32_e32 v9, 0x7f
	v_cmp_lt_u32_e32 vcc, s8, v8
	s_nop 1
	v_cndmask_b32_e32 v5, v5, v9, vcc
; %bb.1921:
	s_or_b64 exec, exec, s[6:7]
	v_lshrrev_b32_e32 v4, 24, v4
	s_movk_i32 s6, 0x80
	v_and_or_b32 v4, v4, s6, v5
	global_store_byte v[2:3], v4, off
.LBB513_1922:
	s_mov_b64 s[6:7], 0
	s_mov_b64 s[8:9], -1
.LBB513_1923:
	s_andn2_b64 vcc, exec, s[6:7]
	s_mov_b64 s[6:7], 0
	s_cbranch_vccnz .LBB513_1930
; %bb.1924:
	s_cmp_gt_i32 s15, 14
	s_mov_b64 s[10:11], -1
	s_cbranch_scc0 .LBB513_1928
; %bb.1925:
	s_cmp_eq_u32 s15, 15
	s_mov_b64 s[0:1], -1
	s_cbranch_scc0 .LBB513_1927
; %bb.1926:
	v_cvt_f32_f64_e32 v4, v[6:7]
	v_bfe_u32 v5, v4, 16, 1
	s_movk_i32 s0, 0x7fff
	v_add3_u32 v5, v4, v5, s0
	v_cmp_o_f32_e32 vcc, v4, v4
	v_mov_b32_e32 v4, 0x7fc0
	s_mov_b64 s[0:1], 0
	v_cndmask_b32_sdwa v4, v4, v5, vcc dst_sel:DWORD dst_unused:UNUSED_PAD src0_sel:DWORD src1_sel:WORD_1
	global_store_short v[2:3], v4, off
	s_mov_b64 s[8:9], -1
.LBB513_1927:
	s_mov_b64 s[10:11], 0
.LBB513_1928:
	s_and_b64 vcc, exec, s[10:11]
	s_cbranch_vccz .LBB513_1930
; %bb.1929:
	s_cmp_lg_u32 s15, 11
	s_mov_b64 s[6:7], -1
	s_cselect_b64 s[0:1], -1, 0
.LBB513_1930:
	s_and_b64 vcc, exec, s[0:1]
	s_cbranch_vccnz .LBB513_2180
; %bb.1931:
	s_andn2_b64 vcc, exec, s[6:7]
	s_cbranch_vccnz .LBB513_1933
.LBB513_1932:
	v_cmp_neq_f64_e32 vcc, 0, v[6:7]
	s_mov_b64 s[8:9], -1
	s_nop 0
	v_cndmask_b32_e64 v4, 0, 1, vcc
	global_store_byte v[2:3], v4, off
.LBB513_1933:
	s_mov_b64 s[0:1], 0
	s_branch .LBB513_1935
.LBB513_1934:
	s_mov_b64 s[0:1], -1
	s_mov_b64 s[8:9], 0
.LBB513_1935:
	s_and_b64 vcc, exec, s[0:1]
	s_cbranch_vccz .LBB513_1974
; %bb.1936:
	s_cmp_lt_i32 s15, 5
	s_mov_b64 s[0:1], -1
	s_cbranch_scc1 .LBB513_1957
; %bb.1937:
	s_cmp_lt_i32 s15, 8
	s_cbranch_scc1 .LBB513_1947
; %bb.1938:
	s_cmp_lt_i32 s15, 9
	s_cbranch_scc1 .LBB513_1944
; %bb.1939:
	s_cmp_gt_i32 s15, 9
	s_cbranch_scc0 .LBB513_1941
; %bb.1940:
	v_mov_b32_e32 v8, 0
	v_mov_b32_e32 v9, v8
	global_store_dwordx4 v[2:3], v[6:9], off
	s_mov_b64 s[0:1], 0
.LBB513_1941:
	s_andn2_b64 vcc, exec, s[0:1]
	s_cbranch_vccnz .LBB513_1943
; %bb.1942:
	v_cvt_f32_f64_e32 v4, v[6:7]
	v_mov_b32_e32 v5, 0
	global_store_dwordx2 v[2:3], v[4:5], off
.LBB513_1943:
	s_mov_b64 s[0:1], 0
.LBB513_1944:
	s_andn2_b64 vcc, exec, s[0:1]
	s_cbranch_vccnz .LBB513_1946
; %bb.1945:
	s_movk_i32 s0, 0x1ff
	v_and_or_b32 v4, v7, s0, v6
	v_cmp_ne_u32_e32 vcc, 0, v4
	v_lshrrev_b32_e32 v5, 8, v7
	s_movk_i32 s0, 0xffe
	v_cndmask_b32_e64 v4, 0, 1, vcc
	v_bfe_u32 v8, v7, 20, 11
	v_and_or_b32 v4, v5, s0, v4
	v_sub_u32_e32 v9, 0x3f1, v8
	v_or_b32_e32 v5, 0x1000, v4
	v_med3_i32 v9, v9, 0, 13
	v_lshrrev_b32_e32 v13, v9, v5
	v_lshlrev_b32_e32 v9, v9, v13
	v_cmp_ne_u32_e32 vcc, v9, v5
	v_add_u32_e32 v8, 0xfffffc10, v8
	v_lshl_or_b32 v9, v8, 12, v4
	v_cndmask_b32_e64 v5, 0, 1, vcc
	v_or_b32_e32 v5, v13, v5
	v_cmp_gt_i32_e32 vcc, 1, v8
	s_movk_i32 s0, 0x40f
	s_nop 0
	v_cndmask_b32_e32 v5, v9, v5, vcc
	v_and_b32_e32 v9, 7, v5
	v_cmp_lt_i32_e32 vcc, 5, v9
	v_lshrrev_b32_e32 v5, 2, v5
	s_nop 0
	v_cndmask_b32_e64 v13, 0, 1, vcc
	v_cmp_eq_u32_e32 vcc, 3, v9
	s_nop 1
	v_cndmask_b32_e64 v9, 0, 1, vcc
	v_or_b32_e32 v9, v9, v13
	v_add_u32_e32 v5, v5, v9
	v_mov_b32_e32 v9, 0x7c00
	v_cmp_gt_i32_e32 vcc, 31, v8
	v_mov_b32_e32 v13, 0x7e00
	s_nop 0
	v_cndmask_b32_e32 v5, v9, v5, vcc
	v_cmp_ne_u32_e32 vcc, 0, v4
	s_nop 1
	v_cndmask_b32_e32 v4, v9, v13, vcc
	v_cmp_eq_u32_e32 vcc, s0, v8
	s_mov_b32 s0, 0x8000
	s_nop 0
	v_cndmask_b32_e32 v4, v5, v4, vcc
	v_and_b32_sdwa v5, v7, s0 dst_sel:DWORD dst_unused:UNUSED_PAD src0_sel:WORD_1 src1_sel:DWORD
	s_mov_b32 s0, 0xffff
	v_bitop3_b32 v4, v5, s0, v4 bitop3:0xc8
	global_store_dword v[2:3], v4, off
.LBB513_1946:
	s_mov_b64 s[0:1], 0
.LBB513_1947:
	s_andn2_b64 vcc, exec, s[0:1]
	s_cbranch_vccnz .LBB513_1956
; %bb.1948:
	s_cmp_lt_i32 s15, 6
	s_mov_b64 s[0:1], -1
	s_cbranch_scc1 .LBB513_1954
; %bb.1949:
	s_cmp_gt_i32 s15, 6
	s_cbranch_scc0 .LBB513_1951
; %bb.1950:
	global_store_dwordx2 v[2:3], v[6:7], off
	s_mov_b64 s[0:1], 0
.LBB513_1951:
	s_andn2_b64 vcc, exec, s[0:1]
	s_cbranch_vccnz .LBB513_1953
; %bb.1952:
	v_cvt_f32_f64_e32 v4, v[6:7]
	global_store_dword v[2:3], v4, off
.LBB513_1953:
	s_mov_b64 s[0:1], 0
.LBB513_1954:
	s_andn2_b64 vcc, exec, s[0:1]
	s_cbranch_vccnz .LBB513_1956
; %bb.1955:
	s_movk_i32 s0, 0x1ff
	v_and_or_b32 v4, v7, s0, v6
	v_cmp_ne_u32_e32 vcc, 0, v4
	v_lshrrev_b32_e32 v5, 8, v7
	s_movk_i32 s0, 0xffe
	v_cndmask_b32_e64 v4, 0, 1, vcc
	v_bfe_u32 v8, v7, 20, 11
	v_and_or_b32 v4, v5, s0, v4
	v_sub_u32_e32 v9, 0x3f1, v8
	v_or_b32_e32 v5, 0x1000, v4
	v_med3_i32 v9, v9, 0, 13
	v_lshrrev_b32_e32 v13, v9, v5
	v_lshlrev_b32_e32 v9, v9, v13
	v_cmp_ne_u32_e32 vcc, v9, v5
	v_add_u32_e32 v8, 0xfffffc10, v8
	v_lshl_or_b32 v9, v8, 12, v4
	v_cndmask_b32_e64 v5, 0, 1, vcc
	v_or_b32_e32 v5, v13, v5
	v_cmp_gt_i32_e32 vcc, 1, v8
	s_movk_i32 s0, 0x40f
	s_nop 0
	v_cndmask_b32_e32 v5, v9, v5, vcc
	v_and_b32_e32 v9, 7, v5
	v_cmp_lt_i32_e32 vcc, 5, v9
	v_lshrrev_b32_e32 v5, 2, v5
	s_nop 0
	v_cndmask_b32_e64 v13, 0, 1, vcc
	v_cmp_eq_u32_e32 vcc, 3, v9
	s_nop 1
	v_cndmask_b32_e64 v9, 0, 1, vcc
	v_or_b32_e32 v9, v9, v13
	v_add_u32_e32 v5, v5, v9
	v_mov_b32_e32 v9, 0x7c00
	v_cmp_gt_i32_e32 vcc, 31, v8
	v_mov_b32_e32 v13, 0x7e00
	s_nop 0
	v_cndmask_b32_e32 v5, v9, v5, vcc
	v_cmp_ne_u32_e32 vcc, 0, v4
	s_nop 1
	v_cndmask_b32_e32 v4, v9, v13, vcc
	v_cmp_eq_u32_e32 vcc, s0, v8
	s_mov_b32 s0, 0x8000
	s_nop 0
	v_cndmask_b32_e32 v4, v5, v4, vcc
	v_lshrrev_b32_e32 v5, 16, v7
	v_and_or_b32 v4, v5, s0, v4
	global_store_short v[2:3], v4, off
.LBB513_1956:
	s_mov_b64 s[0:1], 0
.LBB513_1957:
	s_andn2_b64 vcc, exec, s[0:1]
	s_cbranch_vccnz .LBB513_1973
; %bb.1958:
	s_cmp_lt_i32 s15, 2
	s_mov_b64 s[0:1], -1
	s_cbranch_scc1 .LBB513_1968
; %bb.1959:
	s_cmp_lt_i32 s15, 3
	s_cbranch_scc1 .LBB513_1965
; %bb.1960:
	s_cmp_gt_i32 s15, 3
	s_cbranch_scc0 .LBB513_1962
; %bb.1961:
	v_trunc_f64_e32 v[4:5], v[6:7]
	s_movk_i32 s0, 0xffe0
	v_ldexp_f64 v[8:9], v[4:5], s0
	v_floor_f64_e32 v[8:9], v[8:9]
	v_fmac_f64_e32 v[4:5], 0xc1f00000, v[8:9]
	v_cvt_i32_f64_e32 v17, v[8:9]
	v_cvt_u32_f64_e32 v16, v[4:5]
	global_store_dwordx2 v[2:3], v[16:17], off
	s_mov_b64 s[0:1], 0
.LBB513_1962:
	s_andn2_b64 vcc, exec, s[0:1]
	s_cbranch_vccnz .LBB513_1964
; %bb.1963:
	v_cvt_i32_f64_e32 v4, v[6:7]
	global_store_dword v[2:3], v4, off
.LBB513_1964:
	s_mov_b64 s[0:1], 0
.LBB513_1965:
	s_andn2_b64 vcc, exec, s[0:1]
	s_cbranch_vccnz .LBB513_1967
; %bb.1966:
	v_cvt_i32_f64_e32 v4, v[6:7]
	global_store_short v[2:3], v4, off
.LBB513_1967:
	s_mov_b64 s[0:1], 0
.LBB513_1968:
	s_andn2_b64 vcc, exec, s[0:1]
	s_cbranch_vccnz .LBB513_1973
; %bb.1969:
	s_cmp_gt_i32 s15, 0
	s_mov_b64 s[0:1], -1
	s_cbranch_scc0 .LBB513_1971
; %bb.1970:
	v_cvt_i32_f64_e32 v4, v[6:7]
	global_store_byte v[2:3], v4, off
	s_mov_b64 s[0:1], 0
.LBB513_1971:
	s_andn2_b64 vcc, exec, s[0:1]
	s_cbranch_vccnz .LBB513_1973
; %bb.1972:
	v_trunc_f64_e32 v[4:5], v[6:7]
	s_movk_i32 s0, 0xffe0
	v_ldexp_f64 v[6:7], v[4:5], s0
	v_floor_f64_e32 v[6:7], v[6:7]
	v_fmac_f64_e32 v[4:5], 0xc1f00000, v[6:7]
	v_cvt_u32_f64_e32 v4, v[4:5]
	global_store_byte v[2:3], v4, off
.LBB513_1973:
	s_mov_b64 s[8:9], -1
.LBB513_1974:
	s_andn2_b64 vcc, exec, s[8:9]
	s_cbranch_vccnz .LBB513_2170
; %bb.1975:
	v_mov_b32_e32 v13, 0
	s_cmp_lt_i32 s15, 11
	v_lshl_add_u64 v[2:3], s[4:5], 0, v[12:13]
	s_cbranch_scc1 .LBB513_2053
; %bb.1976:
	s_mov_b64 s[10:11], -1
	s_mov_b64 s[6:7], 0
	s_cmp_gt_i32 s15, 25
	s_mov_b64 s[8:9], 0
	s_mov_b64 s[0:1], 0
	s_cbranch_scc0 .LBB513_2009
; %bb.1977:
	s_cmp_gt_i32 s15, 28
	s_cbranch_scc0 .LBB513_1992
; %bb.1978:
	s_cmp_gt_i32 s15, 43
	;; [unrolled: 3-line block ×3, first 2 shown]
	s_cbranch_scc0 .LBB513_1982
; %bb.1980:
	s_mov_b64 s[0:1], -1
	s_mov_b64 s[10:11], 0
	s_cmp_eq_u32 s15, 46
	s_cbranch_scc0 .LBB513_1982
; %bb.1981:
	v_cvt_f32_f64_e32 v4, v[10:11]
	v_bfe_u32 v5, v4, 16, 1
	s_movk_i32 s0, 0x7fff
	v_add3_u32 v5, v4, v5, s0
	v_cmp_o_f32_e32 vcc, v4, v4
	v_mov_b32_e32 v4, 0x7fc0
	s_mov_b64 s[0:1], 0
	v_cndmask_b32_sdwa v4, v4, v5, vcc dst_sel:DWORD dst_unused:UNUSED_PAD src0_sel:DWORD src1_sel:WORD_1
	global_store_dword v[2:3], v4, off
	s_mov_b64 s[8:9], -1
.LBB513_1982:
	s_and_b64 vcc, exec, s[10:11]
	s_cbranch_vccz .LBB513_1987
; %bb.1983:
	s_cmp_eq_u32 s15, 44
	s_mov_b64 s[0:1], -1
	s_cbranch_scc0 .LBB513_1987
; %bb.1984:
	v_cvt_f32_f64_e32 v4, v[10:11]
	v_bfe_u32 v5, v4, 23, 8
	s_movk_i32 s0, 0xff
	v_cmp_ne_u32_e32 vcc, s0, v5
	v_mov_b32_e32 v6, 0xff
	s_and_saveexec_b64 s[8:9], vcc
; %bb.1985:
	s_mov_b32 s0, 0x3fffff
	v_lshrrev_b32_e32 v6, 23, v4
	v_and_b32_e32 v7, 0x400000, v4
	v_and_or_b32 v4, v4, s0, v5
	v_cmp_ne_u32_e32 vcc, 0, v7
	v_cmp_ne_u32_e64 s[0:1], 0, v4
	s_and_b64 s[0:1], vcc, s[0:1]
	s_nop 0
	v_cndmask_b32_e64 v4, 0, 1, s[0:1]
	v_add_u32_e32 v6, v6, v4
; %bb.1986:
	s_or_b64 exec, exec, s[8:9]
	s_mov_b64 s[0:1], 0
	s_mov_b64 s[8:9], -1
	global_store_byte v[2:3], v6, off
.LBB513_1987:
	s_mov_b64 s[10:11], 0
.LBB513_1988:
	s_and_b64 vcc, exec, s[10:11]
	s_cbranch_vccz .LBB513_1991
; %bb.1989:
	s_cmp_eq_u32 s15, 29
	s_mov_b64 s[0:1], -1
	s_cbranch_scc0 .LBB513_1991
; %bb.1990:
	v_trunc_f64_e32 v[4:5], v[10:11]
	s_movk_i32 s0, 0xffe0
	v_ldexp_f64 v[6:7], v[4:5], s0
	v_floor_f64_e32 v[6:7], v[6:7]
	v_fmac_f64_e32 v[4:5], 0xc1f00000, v[6:7]
	v_cvt_u32_f64_e32 v9, v[6:7]
	v_cvt_u32_f64_e32 v8, v[4:5]
	global_store_dwordx2 v[2:3], v[8:9], off
	s_mov_b64 s[0:1], 0
	s_mov_b64 s[8:9], -1
.LBB513_1991:
	s_mov_b64 s[10:11], 0
.LBB513_1992:
	s_and_b64 vcc, exec, s[10:11]
	s_cbranch_vccz .LBB513_2008
; %bb.1993:
	s_cmp_lt_i32 s15, 27
	s_mov_b64 s[8:9], -1
	s_cbranch_scc1 .LBB513_1999
; %bb.1994:
	s_cmp_gt_i32 s15, 27
	v_cvt_u32_f64_e32 v4, v[10:11]
	s_cbranch_scc0 .LBB513_1996
; %bb.1995:
	s_mov_b64 s[8:9], 0
	global_store_dword v[2:3], v4, off
.LBB513_1996:
	s_andn2_b64 vcc, exec, s[8:9]
	s_cbranch_vccnz .LBB513_1998
; %bb.1997:
	global_store_short v[2:3], v4, off
.LBB513_1998:
	s_mov_b64 s[8:9], 0
.LBB513_1999:
	s_andn2_b64 vcc, exec, s[8:9]
	s_cbranch_vccnz .LBB513_2007
; %bb.2000:
	v_cvt_f32_f64_e32 v4, v[10:11]
	v_and_b32_e32 v5, 0x7fffffff, v4
	s_mov_b32 s8, 0x43800000
	v_cmp_gt_u32_e32 vcc, s8, v5
	v_mov_b32_e32 v6, 0x80
	s_and_saveexec_b64 s[8:9], vcc
	s_cbranch_execz .LBB513_2006
; %bb.2001:
	s_mov_b32 s10, 0x3bffffff
	v_cmp_lt_u32_e32 vcc, s10, v5
	s_mov_b64 s[10:11], 0
                                        ; implicit-def: $vgpr5
	s_and_saveexec_b64 s[12:13], vcc
	s_xor_b64 s[12:13], exec, s[12:13]
	s_cbranch_execz .LBB513_2183
; %bb.2002:
	v_bfe_u32 v5, v4, 20, 1
	s_mov_b32 s16, 0x487ffff
	v_add3_u32 v5, v4, v5, s16
	s_mov_b64 s[10:11], exec
	v_lshrrev_b32_e32 v5, 20, v5
	s_andn2_saveexec_b64 s[12:13], s[12:13]
	s_cbranch_execnz .LBB513_2184
.LBB513_2003:
	s_or_b64 exec, exec, s[12:13]
	v_mov_b32_e32 v6, 0
	s_and_saveexec_b64 s[12:13], s[10:11]
.LBB513_2004:
	v_lshrrev_b32_e32 v4, 24, v4
	s_movk_i32 s10, 0x80
	v_and_or_b32 v6, v4, s10, v5
.LBB513_2005:
	s_or_b64 exec, exec, s[12:13]
.LBB513_2006:
	s_or_b64 exec, exec, s[8:9]
	global_store_byte v[2:3], v6, off
.LBB513_2007:
	s_mov_b64 s[8:9], -1
.LBB513_2008:
	s_mov_b64 s[10:11], 0
.LBB513_2009:
	s_and_b64 vcc, exec, s[10:11]
	s_cbranch_vccz .LBB513_2049
; %bb.2010:
	s_cmp_gt_i32 s15, 22
	s_mov_b64 s[6:7], -1
	s_cbranch_scc0 .LBB513_2042
; %bb.2011:
	s_cmp_lt_i32 s15, 24
	s_cbranch_scc1 .LBB513_2031
; %bb.2012:
	s_cmp_gt_i32 s15, 24
	s_cbranch_scc0 .LBB513_2020
; %bb.2013:
	v_cvt_f32_f64_e32 v4, v[10:11]
	v_and_b32_e32 v5, 0x7fffffff, v4
	s_mov_b32 s6, 0x47800000
	v_cmp_gt_u32_e32 vcc, s6, v5
	v_mov_b32_e32 v6, 0x80
	s_and_saveexec_b64 s[6:7], vcc
	s_cbranch_execz .LBB513_2019
; %bb.2014:
	s_mov_b32 s8, 0x37ffffff
	v_cmp_lt_u32_e32 vcc, s8, v5
	s_mov_b64 s[8:9], 0
                                        ; implicit-def: $vgpr5
	s_and_saveexec_b64 s[10:11], vcc
	s_xor_b64 s[10:11], exec, s[10:11]
	s_cbranch_execz .LBB513_2186
; %bb.2015:
	v_bfe_u32 v5, v4, 21, 1
	s_mov_b32 s12, 0x88fffff
	v_add3_u32 v5, v4, v5, s12
	s_mov_b64 s[8:9], exec
	v_lshrrev_b32_e32 v5, 21, v5
	s_andn2_saveexec_b64 s[10:11], s[10:11]
	s_cbranch_execnz .LBB513_2187
.LBB513_2016:
	s_or_b64 exec, exec, s[10:11]
	v_mov_b32_e32 v6, 0
	s_and_saveexec_b64 s[10:11], s[8:9]
.LBB513_2017:
	v_lshrrev_b32_e32 v4, 24, v4
	s_movk_i32 s8, 0x80
	v_and_or_b32 v6, v4, s8, v5
.LBB513_2018:
	s_or_b64 exec, exec, s[10:11]
.LBB513_2019:
	s_or_b64 exec, exec, s[6:7]
	s_mov_b64 s[6:7], 0
	global_store_byte v[2:3], v6, off
.LBB513_2020:
	s_and_b64 vcc, exec, s[6:7]
	s_cbranch_vccz .LBB513_2030
; %bb.2021:
	v_cvt_f32_f64_e32 v4, v[10:11]
	v_and_b32_e32 v6, 0x7fffffff, v4
	s_mov_b32 s6, 0x43f00000
	v_cmp_gt_u32_e32 vcc, s6, v6
                                        ; implicit-def: $vgpr5
	s_and_saveexec_b64 s[6:7], vcc
	s_xor_b64 s[6:7], exec, s[6:7]
	s_cbranch_execz .LBB513_2027
; %bb.2022:
	s_mov_b32 s8, 0x3c7fffff
	v_cmp_lt_u32_e32 vcc, s8, v6
                                        ; implicit-def: $vgpr5
	s_and_saveexec_b64 s[8:9], vcc
	s_xor_b64 s[8:9], exec, s[8:9]
; %bb.2023:
	v_bfe_u32 v5, v4, 20, 1
	s_mov_b32 s10, 0x407ffff
	v_add3_u32 v5, v4, v5, s10
	v_lshrrev_b32_e32 v6, 20, v5
	v_and_b32_e32 v5, 0xff00000, v5
	s_mov_b32 s10, 0x7f00000
	v_mov_b32_e32 v7, 0x7e
	v_cmp_ne_u32_e32 vcc, s10, v5
	s_nop 1
	v_cndmask_b32_e32 v5, v7, v6, vcc
; %bb.2024:
	s_andn2_saveexec_b64 s[8:9], s[8:9]
; %bb.2025:
	s_mov_b32 s10, 0x46800000
	v_add_f32_e64 v5, |v4|, s10
; %bb.2026:
	s_or_b64 exec, exec, s[8:9]
                                        ; implicit-def: $vgpr6
.LBB513_2027:
	s_andn2_saveexec_b64 s[6:7], s[6:7]
; %bb.2028:
	s_mov_b32 s8, 0x7f800000
	v_mov_b32_e32 v5, 0x7e
	v_mov_b32_e32 v7, 0x7f
	v_cmp_lt_u32_e32 vcc, s8, v6
	s_nop 1
	v_cndmask_b32_e32 v5, v5, v7, vcc
; %bb.2029:
	s_or_b64 exec, exec, s[6:7]
	v_lshrrev_b32_e32 v4, 24, v4
	s_movk_i32 s6, 0x80
	v_and_or_b32 v4, v4, s6, v5
	global_store_byte v[2:3], v4, off
.LBB513_2030:
	s_mov_b64 s[6:7], 0
.LBB513_2031:
	s_andn2_b64 vcc, exec, s[6:7]
	s_cbranch_vccnz .LBB513_2041
; %bb.2032:
	v_cvt_f32_f64_e32 v4, v[10:11]
	v_and_b32_e32 v6, 0x7fffffff, v4
	s_mov_b32 s6, 0x47800000
	v_cmp_gt_u32_e32 vcc, s6, v6
                                        ; implicit-def: $vgpr5
	s_and_saveexec_b64 s[6:7], vcc
	s_xor_b64 s[6:7], exec, s[6:7]
	s_cbranch_execz .LBB513_2038
; %bb.2033:
	s_mov_b32 s8, 0x387fffff
	v_cmp_lt_u32_e32 vcc, s8, v6
                                        ; implicit-def: $vgpr5
	s_and_saveexec_b64 s[8:9], vcc
	s_xor_b64 s[8:9], exec, s[8:9]
; %bb.2034:
	v_bfe_u32 v5, v4, 21, 1
	s_mov_b32 s10, 0x80fffff
	v_add3_u32 v5, v4, v5, s10
	v_lshrrev_b32_e32 v5, 21, v5
; %bb.2035:
	s_andn2_saveexec_b64 s[8:9], s[8:9]
; %bb.2036:
	s_mov_b32 s10, 0x43000000
	v_add_f32_e64 v5, |v4|, s10
; %bb.2037:
	s_or_b64 exec, exec, s[8:9]
                                        ; implicit-def: $vgpr6
.LBB513_2038:
	s_andn2_saveexec_b64 s[6:7], s[6:7]
; %bb.2039:
	s_mov_b32 s8, 0x7f800000
	v_mov_b32_e32 v5, 0x7c
	v_mov_b32_e32 v7, 0x7f
	v_cmp_lt_u32_e32 vcc, s8, v6
	s_nop 1
	v_cndmask_b32_e32 v5, v5, v7, vcc
; %bb.2040:
	s_or_b64 exec, exec, s[6:7]
	v_lshrrev_b32_e32 v4, 24, v4
	s_movk_i32 s6, 0x80
	v_and_or_b32 v4, v4, s6, v5
	global_store_byte v[2:3], v4, off
.LBB513_2041:
	s_mov_b64 s[6:7], 0
	s_mov_b64 s[8:9], -1
.LBB513_2042:
	s_andn2_b64 vcc, exec, s[6:7]
	s_mov_b64 s[6:7], 0
	s_cbranch_vccnz .LBB513_2049
; %bb.2043:
	s_cmp_gt_i32 s15, 14
	s_mov_b64 s[10:11], -1
	s_cbranch_scc0 .LBB513_2047
; %bb.2044:
	s_cmp_eq_u32 s15, 15
	s_mov_b64 s[0:1], -1
	s_cbranch_scc0 .LBB513_2046
; %bb.2045:
	v_cvt_f32_f64_e32 v4, v[10:11]
	v_bfe_u32 v5, v4, 16, 1
	s_movk_i32 s0, 0x7fff
	v_add3_u32 v5, v4, v5, s0
	v_cmp_o_f32_e32 vcc, v4, v4
	v_mov_b32_e32 v4, 0x7fc0
	s_mov_b64 s[0:1], 0
	v_cndmask_b32_sdwa v4, v4, v5, vcc dst_sel:DWORD dst_unused:UNUSED_PAD src0_sel:DWORD src1_sel:WORD_1
	global_store_short v[2:3], v4, off
	s_mov_b64 s[8:9], -1
.LBB513_2046:
	s_mov_b64 s[10:11], 0
.LBB513_2047:
	s_and_b64 vcc, exec, s[10:11]
	s_cbranch_vccz .LBB513_2049
; %bb.2048:
	s_cmp_lg_u32 s15, 11
	s_mov_b64 s[6:7], -1
	s_cselect_b64 s[0:1], -1, 0
.LBB513_2049:
	s_and_b64 vcc, exec, s[0:1]
	s_cbranch_vccnz .LBB513_2185
; %bb.2050:
	s_andn2_b64 vcc, exec, s[6:7]
	s_cbranch_vccnz .LBB513_2052
.LBB513_2051:
	v_cmp_neq_f64_e32 vcc, 0, v[10:11]
	s_mov_b64 s[8:9], -1
	s_nop 0
	v_cndmask_b32_e64 v4, 0, 1, vcc
	global_store_byte v[2:3], v4, off
.LBB513_2052:
	s_mov_b64 s[0:1], 0
	s_branch .LBB513_2054
.LBB513_2053:
	s_mov_b64 s[0:1], -1
	s_mov_b64 s[8:9], 0
.LBB513_2054:
	s_and_b64 vcc, exec, s[0:1]
	s_cbranch_vccz .LBB513_2093
; %bb.2055:
	s_cmp_lt_i32 s15, 5
	s_mov_b64 s[0:1], -1
	s_cbranch_scc1 .LBB513_2076
; %bb.2056:
	s_cmp_lt_i32 s15, 8
	s_cbranch_scc1 .LBB513_2066
; %bb.2057:
	s_cmp_lt_i32 s15, 9
	s_cbranch_scc1 .LBB513_2063
; %bb.2058:
	s_cmp_gt_i32 s15, 9
	s_cbranch_scc0 .LBB513_2060
; %bb.2059:
	v_mov_b32_e32 v12, 0
	v_mov_b32_e32 v13, v12
	global_store_dwordx4 v[2:3], v[10:13], off
	s_mov_b64 s[0:1], 0
.LBB513_2060:
	s_andn2_b64 vcc, exec, s[0:1]
	s_cbranch_vccnz .LBB513_2062
; %bb.2061:
	v_cvt_f32_f64_e32 v4, v[10:11]
	v_mov_b32_e32 v5, 0
	global_store_dwordx2 v[2:3], v[4:5], off
.LBB513_2062:
	s_mov_b64 s[0:1], 0
.LBB513_2063:
	s_andn2_b64 vcc, exec, s[0:1]
	s_cbranch_vccnz .LBB513_2065
; %bb.2064:
	s_movk_i32 s0, 0x1ff
	v_and_or_b32 v4, v11, s0, v10
	v_cmp_ne_u32_e32 vcc, 0, v4
	v_lshrrev_b32_e32 v5, 8, v11
	s_movk_i32 s0, 0xffe
	v_cndmask_b32_e64 v4, 0, 1, vcc
	v_bfe_u32 v6, v11, 20, 11
	v_and_or_b32 v4, v5, s0, v4
	v_sub_u32_e32 v7, 0x3f1, v6
	v_or_b32_e32 v5, 0x1000, v4
	v_med3_i32 v7, v7, 0, 13
	v_lshrrev_b32_e32 v8, v7, v5
	v_lshlrev_b32_e32 v7, v7, v8
	v_cmp_ne_u32_e32 vcc, v7, v5
	v_add_u32_e32 v6, 0xfffffc10, v6
	v_lshl_or_b32 v7, v6, 12, v4
	v_cndmask_b32_e64 v5, 0, 1, vcc
	v_or_b32_e32 v5, v8, v5
	v_cmp_gt_i32_e32 vcc, 1, v6
	s_movk_i32 s0, 0x40f
	s_nop 0
	v_cndmask_b32_e32 v5, v7, v5, vcc
	v_and_b32_e32 v7, 7, v5
	v_cmp_lt_i32_e32 vcc, 5, v7
	v_lshrrev_b32_e32 v5, 2, v5
	s_nop 0
	v_cndmask_b32_e64 v8, 0, 1, vcc
	v_cmp_eq_u32_e32 vcc, 3, v7
	s_nop 1
	v_cndmask_b32_e64 v7, 0, 1, vcc
	v_or_b32_e32 v7, v7, v8
	v_add_u32_e32 v5, v5, v7
	v_mov_b32_e32 v7, 0x7c00
	v_cmp_gt_i32_e32 vcc, 31, v6
	v_mov_b32_e32 v8, 0x7e00
	s_nop 0
	v_cndmask_b32_e32 v5, v7, v5, vcc
	v_cmp_ne_u32_e32 vcc, 0, v4
	s_nop 1
	v_cndmask_b32_e32 v4, v7, v8, vcc
	v_cmp_eq_u32_e32 vcc, s0, v6
	s_mov_b32 s0, 0x8000
	s_nop 0
	v_cndmask_b32_e32 v4, v5, v4, vcc
	v_and_b32_sdwa v5, v11, s0 dst_sel:DWORD dst_unused:UNUSED_PAD src0_sel:WORD_1 src1_sel:DWORD
	s_mov_b32 s0, 0xffff
	v_bitop3_b32 v4, v5, s0, v4 bitop3:0xc8
	global_store_dword v[2:3], v4, off
.LBB513_2065:
	s_mov_b64 s[0:1], 0
.LBB513_2066:
	s_andn2_b64 vcc, exec, s[0:1]
	s_cbranch_vccnz .LBB513_2075
; %bb.2067:
	s_cmp_lt_i32 s15, 6
	s_mov_b64 s[0:1], -1
	s_cbranch_scc1 .LBB513_2073
; %bb.2068:
	s_cmp_gt_i32 s15, 6
	s_cbranch_scc0 .LBB513_2070
; %bb.2069:
	global_store_dwordx2 v[2:3], v[10:11], off
	s_mov_b64 s[0:1], 0
.LBB513_2070:
	s_andn2_b64 vcc, exec, s[0:1]
	s_cbranch_vccnz .LBB513_2072
; %bb.2071:
	v_cvt_f32_f64_e32 v4, v[10:11]
	global_store_dword v[2:3], v4, off
.LBB513_2072:
	s_mov_b64 s[0:1], 0
.LBB513_2073:
	s_andn2_b64 vcc, exec, s[0:1]
	s_cbranch_vccnz .LBB513_2075
; %bb.2074:
	s_movk_i32 s0, 0x1ff
	v_and_or_b32 v4, v11, s0, v10
	v_cmp_ne_u32_e32 vcc, 0, v4
	v_lshrrev_b32_e32 v5, 8, v11
	s_movk_i32 s0, 0xffe
	v_cndmask_b32_e64 v4, 0, 1, vcc
	v_bfe_u32 v6, v11, 20, 11
	v_and_or_b32 v4, v5, s0, v4
	v_sub_u32_e32 v7, 0x3f1, v6
	v_or_b32_e32 v5, 0x1000, v4
	v_med3_i32 v7, v7, 0, 13
	v_lshrrev_b32_e32 v8, v7, v5
	v_lshlrev_b32_e32 v7, v7, v8
	v_cmp_ne_u32_e32 vcc, v7, v5
	v_add_u32_e32 v6, 0xfffffc10, v6
	v_lshl_or_b32 v7, v6, 12, v4
	v_cndmask_b32_e64 v5, 0, 1, vcc
	v_or_b32_e32 v5, v8, v5
	v_cmp_gt_i32_e32 vcc, 1, v6
	s_movk_i32 s0, 0x40f
	s_nop 0
	v_cndmask_b32_e32 v5, v7, v5, vcc
	v_and_b32_e32 v7, 7, v5
	v_cmp_lt_i32_e32 vcc, 5, v7
	v_lshrrev_b32_e32 v5, 2, v5
	s_nop 0
	v_cndmask_b32_e64 v8, 0, 1, vcc
	v_cmp_eq_u32_e32 vcc, 3, v7
	s_nop 1
	v_cndmask_b32_e64 v7, 0, 1, vcc
	v_or_b32_e32 v7, v7, v8
	v_add_u32_e32 v5, v5, v7
	v_mov_b32_e32 v7, 0x7c00
	v_cmp_gt_i32_e32 vcc, 31, v6
	v_mov_b32_e32 v8, 0x7e00
	s_nop 0
	v_cndmask_b32_e32 v5, v7, v5, vcc
	v_cmp_ne_u32_e32 vcc, 0, v4
	s_nop 1
	v_cndmask_b32_e32 v4, v7, v8, vcc
	v_cmp_eq_u32_e32 vcc, s0, v6
	s_mov_b32 s0, 0x8000
	s_nop 0
	v_cndmask_b32_e32 v4, v5, v4, vcc
	v_lshrrev_b32_e32 v5, 16, v11
	v_and_or_b32 v4, v5, s0, v4
	global_store_short v[2:3], v4, off
.LBB513_2075:
	s_mov_b64 s[0:1], 0
.LBB513_2076:
	s_andn2_b64 vcc, exec, s[0:1]
	s_cbranch_vccnz .LBB513_2092
; %bb.2077:
	s_cmp_lt_i32 s15, 2
	s_mov_b64 s[0:1], -1
	s_cbranch_scc1 .LBB513_2087
; %bb.2078:
	s_cmp_lt_i32 s15, 3
	s_cbranch_scc1 .LBB513_2084
; %bb.2079:
	s_cmp_gt_i32 s15, 3
	s_cbranch_scc0 .LBB513_2081
; %bb.2080:
	v_trunc_f64_e32 v[4:5], v[10:11]
	s_movk_i32 s0, 0xffe0
	v_ldexp_f64 v[6:7], v[4:5], s0
	v_floor_f64_e32 v[6:7], v[6:7]
	v_fmac_f64_e32 v[4:5], 0xc1f00000, v[6:7]
	v_cvt_i32_f64_e32 v9, v[6:7]
	v_cvt_u32_f64_e32 v8, v[4:5]
	global_store_dwordx2 v[2:3], v[8:9], off
	s_mov_b64 s[0:1], 0
.LBB513_2081:
	s_andn2_b64 vcc, exec, s[0:1]
	s_cbranch_vccnz .LBB513_2083
; %bb.2082:
	v_cvt_i32_f64_e32 v4, v[10:11]
	global_store_dword v[2:3], v4, off
.LBB513_2083:
	s_mov_b64 s[0:1], 0
.LBB513_2084:
	s_andn2_b64 vcc, exec, s[0:1]
	s_cbranch_vccnz .LBB513_2086
; %bb.2085:
	v_cvt_i32_f64_e32 v4, v[10:11]
	global_store_short v[2:3], v4, off
.LBB513_2086:
	s_mov_b64 s[0:1], 0
.LBB513_2087:
	s_andn2_b64 vcc, exec, s[0:1]
	s_cbranch_vccnz .LBB513_2092
; %bb.2088:
	s_cmp_gt_i32 s15, 0
	s_mov_b64 s[0:1], -1
	s_cbranch_scc0 .LBB513_2090
; %bb.2089:
	v_cvt_i32_f64_e32 v4, v[10:11]
	global_store_byte v[2:3], v4, off
	s_mov_b64 s[0:1], 0
.LBB513_2090:
	s_andn2_b64 vcc, exec, s[0:1]
	s_cbranch_vccnz .LBB513_2092
; %bb.2091:
	v_trunc_f64_e32 v[4:5], v[10:11]
	s_movk_i32 s0, 0xffe0
	v_ldexp_f64 v[6:7], v[4:5], s0
	v_floor_f64_e32 v[6:7], v[6:7]
	v_fmac_f64_e32 v[4:5], 0xc1f00000, v[6:7]
	v_cvt_u32_f64_e32 v4, v[4:5]
	global_store_byte v[2:3], v4, off
.LBB513_2092:
	s_mov_b64 s[8:9], -1
.LBB513_2093:
	s_andn2_b64 vcc, exec, s[8:9]
	s_cbranch_vccnz .LBB513_2170
; %bb.2094:
	v_mov_b32_e32 v15, 0
	s_cmp_lt_i32 s15, 11
	v_lshl_add_u64 v[4:5], s[4:5], 0, v[14:15]
	s_cbranch_scc1 .LBB513_2171
; %bb.2095:
	s_mov_b64 s[6:7], -1
	s_mov_b64 s[4:5], 0
	s_cmp_gt_i32 s15, 25
	s_mov_b64 s[0:1], 0
	s_cbranch_scc0 .LBB513_2128
; %bb.2096:
	s_cmp_gt_i32 s15, 28
	s_cbranch_scc0 .LBB513_2112
; %bb.2097:
	s_cmp_gt_i32 s15, 43
	;; [unrolled: 3-line block ×3, first 2 shown]
	s_cbranch_scc0 .LBB513_2102
; %bb.2099:
	s_cmp_eq_u32 s15, 46
	s_mov_b64 s[0:1], -1
	s_cbranch_scc0 .LBB513_2101
; %bb.2100:
	v_cvt_f32_f64_e32 v2, v[0:1]
	v_bfe_u32 v3, v2, 16, 1
	s_movk_i32 s0, 0x7fff
	v_add3_u32 v3, v2, v3, s0
	v_cmp_o_f32_e32 vcc, v2, v2
	v_mov_b32_e32 v2, 0x7fc0
	s_mov_b64 s[0:1], 0
	v_cndmask_b32_sdwa v2, v2, v3, vcc dst_sel:DWORD dst_unused:UNUSED_PAD src0_sel:DWORD src1_sel:WORD_1
	global_store_dword v[4:5], v2, off
.LBB513_2101:
	s_mov_b64 s[6:7], 0
.LBB513_2102:
	s_and_b64 vcc, exec, s[6:7]
	s_cbranch_vccz .LBB513_2107
; %bb.2103:
	s_cmp_eq_u32 s15, 44
	s_mov_b64 s[0:1], -1
	s_cbranch_scc0 .LBB513_2107
; %bb.2104:
	v_cvt_f32_f64_e32 v2, v[0:1]
	v_bfe_u32 v3, v2, 23, 8
	s_movk_i32 s0, 0xff
	v_cmp_ne_u32_e32 vcc, s0, v3
	v_mov_b32_e32 v6, 0xff
	s_and_saveexec_b64 s[6:7], vcc
; %bb.2105:
	s_mov_b32 s0, 0x3fffff
	v_lshrrev_b32_e32 v6, 23, v2
	v_and_b32_e32 v7, 0x400000, v2
	v_and_or_b32 v2, v2, s0, v3
	v_cmp_ne_u32_e32 vcc, 0, v7
	v_cmp_ne_u32_e64 s[0:1], 0, v2
	s_and_b64 s[0:1], vcc, s[0:1]
	s_nop 0
	v_cndmask_b32_e64 v2, 0, 1, s[0:1]
	v_add_u32_e32 v6, v6, v2
; %bb.2106:
	s_or_b64 exec, exec, s[6:7]
	s_mov_b64 s[0:1], 0
	global_store_byte v[4:5], v6, off
.LBB513_2107:
	s_mov_b64 s[6:7], 0
.LBB513_2108:
	s_and_b64 vcc, exec, s[6:7]
	s_cbranch_vccz .LBB513_2111
; %bb.2109:
	s_cmp_eq_u32 s15, 29
	s_mov_b64 s[0:1], -1
	s_cbranch_scc0 .LBB513_2111
; %bb.2110:
	v_trunc_f64_e32 v[2:3], v[0:1]
	s_movk_i32 s0, 0xffe0
	v_ldexp_f64 v[6:7], v[2:3], s0
	v_floor_f64_e32 v[6:7], v[6:7]
	v_fmac_f64_e32 v[2:3], 0xc1f00000, v[6:7]
	v_cvt_u32_f64_e32 v9, v[6:7]
	v_cvt_u32_f64_e32 v8, v[2:3]
	global_store_dwordx2 v[4:5], v[8:9], off
	s_mov_b64 s[0:1], 0
.LBB513_2111:
	s_mov_b64 s[6:7], 0
.LBB513_2112:
	s_and_b64 vcc, exec, s[6:7]
	s_cbranch_vccz .LBB513_2127
; %bb.2113:
	s_cmp_lt_i32 s15, 27
	s_mov_b64 s[6:7], -1
	s_cbranch_scc1 .LBB513_2119
; %bb.2114:
	s_cmp_gt_i32 s15, 27
	s_cbranch_scc0 .LBB513_2116
; %bb.2115:
	v_cvt_u32_f64_e32 v2, v[0:1]
	global_store_dword v[4:5], v2, off
	s_mov_b64 s[6:7], 0
.LBB513_2116:
	s_andn2_b64 vcc, exec, s[6:7]
	s_cbranch_vccnz .LBB513_2118
; %bb.2117:
	v_cvt_u32_f64_e32 v2, v[0:1]
	global_store_short v[4:5], v2, off
.LBB513_2118:
	s_mov_b64 s[6:7], 0
.LBB513_2119:
	s_andn2_b64 vcc, exec, s[6:7]
	s_cbranch_vccnz .LBB513_2127
; %bb.2120:
	v_cvt_f32_f64_e32 v2, v[0:1]
	v_and_b32_e32 v3, 0x7fffffff, v2
	s_mov_b32 s6, 0x43800000
	v_cmp_gt_u32_e32 vcc, s6, v3
	v_mov_b32_e32 v6, 0x80
	s_and_saveexec_b64 s[6:7], vcc
	s_cbranch_execz .LBB513_2126
; %bb.2121:
	s_mov_b32 s8, 0x3bffffff
	v_cmp_lt_u32_e32 vcc, s8, v3
	s_mov_b64 s[8:9], 0
                                        ; implicit-def: $vgpr3
	s_and_saveexec_b64 s[10:11], vcc
	s_xor_b64 s[10:11], exec, s[10:11]
	s_cbranch_execz .LBB513_2188
; %bb.2122:
	v_bfe_u32 v3, v2, 20, 1
	s_mov_b32 s12, 0x487ffff
	v_add3_u32 v3, v2, v3, s12
	s_mov_b64 s[8:9], exec
	v_lshrrev_b32_e32 v3, 20, v3
	s_andn2_saveexec_b64 s[10:11], s[10:11]
	s_cbranch_execnz .LBB513_2189
.LBB513_2123:
	s_or_b64 exec, exec, s[10:11]
	v_mov_b32_e32 v6, 0
	s_and_saveexec_b64 s[10:11], s[8:9]
.LBB513_2124:
	v_lshrrev_b32_e32 v2, 24, v2
	s_movk_i32 s8, 0x80
	v_and_or_b32 v6, v2, s8, v3
.LBB513_2125:
	s_or_b64 exec, exec, s[10:11]
.LBB513_2126:
	s_or_b64 exec, exec, s[6:7]
	global_store_byte v[4:5], v6, off
.LBB513_2127:
	s_mov_b64 s[6:7], 0
.LBB513_2128:
	s_and_b64 vcc, exec, s[6:7]
	s_cbranch_vccz .LBB513_2168
; %bb.2129:
	s_cmp_gt_i32 s15, 22
	s_mov_b64 s[4:5], -1
	s_cbranch_scc0 .LBB513_2161
; %bb.2130:
	s_cmp_lt_i32 s15, 24
	s_cbranch_scc1 .LBB513_2150
; %bb.2131:
	s_cmp_gt_i32 s15, 24
	s_cbranch_scc0 .LBB513_2139
; %bb.2132:
	v_cvt_f32_f64_e32 v2, v[0:1]
	v_and_b32_e32 v3, 0x7fffffff, v2
	s_mov_b32 s4, 0x47800000
	v_cmp_gt_u32_e32 vcc, s4, v3
	v_mov_b32_e32 v6, 0x80
	s_and_saveexec_b64 s[4:5], vcc
	s_cbranch_execz .LBB513_2138
; %bb.2133:
	s_mov_b32 s6, 0x37ffffff
	v_cmp_lt_u32_e32 vcc, s6, v3
	s_mov_b64 s[6:7], 0
                                        ; implicit-def: $vgpr3
	s_and_saveexec_b64 s[8:9], vcc
	s_xor_b64 s[8:9], exec, s[8:9]
	s_cbranch_execz .LBB513_2191
; %bb.2134:
	v_bfe_u32 v3, v2, 21, 1
	s_mov_b32 s10, 0x88fffff
	v_add3_u32 v3, v2, v3, s10
	s_mov_b64 s[6:7], exec
	v_lshrrev_b32_e32 v3, 21, v3
	s_andn2_saveexec_b64 s[8:9], s[8:9]
	s_cbranch_execnz .LBB513_2192
.LBB513_2135:
	s_or_b64 exec, exec, s[8:9]
	v_mov_b32_e32 v6, 0
	s_and_saveexec_b64 s[8:9], s[6:7]
.LBB513_2136:
	v_lshrrev_b32_e32 v2, 24, v2
	s_movk_i32 s6, 0x80
	v_and_or_b32 v6, v2, s6, v3
.LBB513_2137:
	s_or_b64 exec, exec, s[8:9]
.LBB513_2138:
	s_or_b64 exec, exec, s[4:5]
	s_mov_b64 s[4:5], 0
	global_store_byte v[4:5], v6, off
.LBB513_2139:
	s_and_b64 vcc, exec, s[4:5]
	s_cbranch_vccz .LBB513_2149
; %bb.2140:
	v_cvt_f32_f64_e32 v2, v[0:1]
	v_and_b32_e32 v6, 0x7fffffff, v2
	s_mov_b32 s4, 0x43f00000
	v_cmp_gt_u32_e32 vcc, s4, v6
                                        ; implicit-def: $vgpr3
	s_and_saveexec_b64 s[4:5], vcc
	s_xor_b64 s[4:5], exec, s[4:5]
	s_cbranch_execz .LBB513_2146
; %bb.2141:
	s_mov_b32 s6, 0x3c7fffff
	v_cmp_lt_u32_e32 vcc, s6, v6
                                        ; implicit-def: $vgpr3
	s_and_saveexec_b64 s[6:7], vcc
	s_xor_b64 s[6:7], exec, s[6:7]
; %bb.2142:
	v_bfe_u32 v3, v2, 20, 1
	s_mov_b32 s8, 0x407ffff
	v_add3_u32 v3, v2, v3, s8
	v_lshrrev_b32_e32 v6, 20, v3
	v_and_b32_e32 v3, 0xff00000, v3
	s_mov_b32 s8, 0x7f00000
	v_mov_b32_e32 v7, 0x7e
	v_cmp_ne_u32_e32 vcc, s8, v3
	s_nop 1
	v_cndmask_b32_e32 v3, v7, v6, vcc
; %bb.2143:
	s_andn2_saveexec_b64 s[6:7], s[6:7]
; %bb.2144:
	s_mov_b32 s8, 0x46800000
	v_add_f32_e64 v3, |v2|, s8
; %bb.2145:
	s_or_b64 exec, exec, s[6:7]
                                        ; implicit-def: $vgpr6
.LBB513_2146:
	s_andn2_saveexec_b64 s[4:5], s[4:5]
; %bb.2147:
	s_mov_b32 s6, 0x7f800000
	v_mov_b32_e32 v3, 0x7e
	v_mov_b32_e32 v7, 0x7f
	v_cmp_lt_u32_e32 vcc, s6, v6
	s_nop 1
	v_cndmask_b32_e32 v3, v3, v7, vcc
; %bb.2148:
	s_or_b64 exec, exec, s[4:5]
	v_lshrrev_b32_e32 v2, 24, v2
	s_movk_i32 s4, 0x80
	v_and_or_b32 v2, v2, s4, v3
	global_store_byte v[4:5], v2, off
.LBB513_2149:
	s_mov_b64 s[4:5], 0
.LBB513_2150:
	s_andn2_b64 vcc, exec, s[4:5]
	s_cbranch_vccnz .LBB513_2160
; %bb.2151:
	v_cvt_f32_f64_e32 v2, v[0:1]
	v_and_b32_e32 v6, 0x7fffffff, v2
	s_mov_b32 s4, 0x47800000
	v_cmp_gt_u32_e32 vcc, s4, v6
                                        ; implicit-def: $vgpr3
	s_and_saveexec_b64 s[4:5], vcc
	s_xor_b64 s[4:5], exec, s[4:5]
	s_cbranch_execz .LBB513_2157
; %bb.2152:
	s_mov_b32 s6, 0x387fffff
	v_cmp_lt_u32_e32 vcc, s6, v6
                                        ; implicit-def: $vgpr3
	s_and_saveexec_b64 s[6:7], vcc
	s_xor_b64 s[6:7], exec, s[6:7]
; %bb.2153:
	v_bfe_u32 v3, v2, 21, 1
	s_mov_b32 s8, 0x80fffff
	v_add3_u32 v3, v2, v3, s8
	v_lshrrev_b32_e32 v3, 21, v3
; %bb.2154:
	s_andn2_saveexec_b64 s[6:7], s[6:7]
; %bb.2155:
	s_mov_b32 s8, 0x43000000
	v_add_f32_e64 v3, |v2|, s8
; %bb.2156:
	s_or_b64 exec, exec, s[6:7]
                                        ; implicit-def: $vgpr6
.LBB513_2157:
	s_andn2_saveexec_b64 s[4:5], s[4:5]
; %bb.2158:
	s_mov_b32 s6, 0x7f800000
	v_mov_b32_e32 v3, 0x7c
	v_mov_b32_e32 v7, 0x7f
	v_cmp_lt_u32_e32 vcc, s6, v6
	s_nop 1
	v_cndmask_b32_e32 v3, v3, v7, vcc
; %bb.2159:
	s_or_b64 exec, exec, s[4:5]
	v_lshrrev_b32_e32 v2, 24, v2
	s_movk_i32 s4, 0x80
	v_and_or_b32 v2, v2, s4, v3
	global_store_byte v[4:5], v2, off
.LBB513_2160:
	s_mov_b64 s[4:5], 0
.LBB513_2161:
	s_andn2_b64 vcc, exec, s[4:5]
	s_mov_b64 s[4:5], 0
	s_cbranch_vccnz .LBB513_2168
; %bb.2162:
	s_cmp_gt_i32 s15, 14
	s_mov_b64 s[6:7], -1
	s_cbranch_scc0 .LBB513_2166
; %bb.2163:
	s_cmp_eq_u32 s15, 15
	s_mov_b64 s[0:1], -1
	s_cbranch_scc0 .LBB513_2165
; %bb.2164:
	v_cvt_f32_f64_e32 v2, v[0:1]
	v_bfe_u32 v3, v2, 16, 1
	s_movk_i32 s0, 0x7fff
	v_add3_u32 v3, v2, v3, s0
	v_cmp_o_f32_e32 vcc, v2, v2
	v_mov_b32_e32 v2, 0x7fc0
	s_mov_b64 s[0:1], 0
	v_cndmask_b32_sdwa v2, v2, v3, vcc dst_sel:DWORD dst_unused:UNUSED_PAD src0_sel:DWORD src1_sel:WORD_1
	global_store_short v[4:5], v2, off
.LBB513_2165:
	s_mov_b64 s[6:7], 0
.LBB513_2166:
	s_and_b64 vcc, exec, s[6:7]
	s_cbranch_vccz .LBB513_2168
; %bb.2167:
	s_cmp_lg_u32 s15, 11
	s_mov_b64 s[4:5], -1
	s_cselect_b64 s[0:1], -1, 0
.LBB513_2168:
	s_and_b64 vcc, exec, s[0:1]
	s_cbranch_vccnz .LBB513_2190
.LBB513_2169:
	s_mov_b64 s[0:1], 0
	s_branch .LBB513_1771
.LBB513_2170:
	s_mov_b64 s[0:1], 0
                                        ; implicit-def: $vgpr4_vgpr5
                                        ; implicit-def: $sgpr14
	s_branch .LBB513_1770
.LBB513_2171:
	s_mov_b64 s[4:5], 0
	s_mov_b64 s[0:1], -1
	s_branch .LBB513_1771
.LBB513_2172:
	s_trap 2
	s_or_b64 s[2:3], s[2:3], exec
	s_cbranch_execz .LBB513_1635
	s_branch .LBB513_1636
.LBB513_2173:
	s_andn2_saveexec_b64 s[12:13], s[12:13]
	s_cbranch_execz .LBB513_1719
.LBB513_2174:
	s_mov_b32 s16, 0x46000000
	v_add_f32_e64 v5, |v4|, s16
	v_and_b32_e32 v5, 0xff, v5
	v_cmp_ne_u32_e32 vcc, 0, v5
	s_andn2_b64 s[10:11], s[10:11], exec
	s_and_b64 s[16:17], vcc, exec
	s_or_b64 s[10:11], s[10:11], s[16:17]
	s_or_b64 exec, exec, s[12:13]
	v_mov_b32_e32 v9, 0
	s_and_saveexec_b64 s[12:13], s[10:11]
	s_cbranch_execnz .LBB513_1720
	s_branch .LBB513_1721
.LBB513_2175:
	s_trap 2
	s_or_b64 s[2:3], s[2:3], exec
	s_cbranch_execz .LBB513_1767
	s_branch .LBB513_1768
.LBB513_2176:
	s_andn2_saveexec_b64 s[10:11], s[10:11]
	s_cbranch_execz .LBB513_1732
.LBB513_2177:
	s_mov_b32 s12, 0x42800000
	v_add_f32_e64 v5, |v4|, s12
	v_and_b32_e32 v5, 0xff, v5
	v_cmp_ne_u32_e32 vcc, 0, v5
	s_andn2_b64 s[8:9], s[8:9], exec
	s_and_b64 s[12:13], vcc, exec
	s_or_b64 s[8:9], s[8:9], s[12:13]
	s_or_b64 exec, exec, s[10:11]
	v_mov_b32_e32 v9, 0
	s_and_saveexec_b64 s[10:11], s[8:9]
	s_cbranch_execnz .LBB513_1733
	s_branch .LBB513_1734
.LBB513_2178:
	s_andn2_saveexec_b64 s[12:13], s[12:13]
	s_cbranch_execz .LBB513_1884
.LBB513_2179:
	s_mov_b32 s16, 0x46000000
	v_add_f32_e64 v5, |v4|, s16
	v_and_b32_e32 v5, 0xff, v5
	v_cmp_ne_u32_e32 vcc, 0, v5
	s_andn2_b64 s[10:11], s[10:11], exec
	s_and_b64 s[16:17], vcc, exec
	s_or_b64 s[10:11], s[10:11], s[16:17]
	s_or_b64 exec, exec, s[12:13]
	v_mov_b32_e32 v8, 0
	s_and_saveexec_b64 s[12:13], s[10:11]
	s_cbranch_execnz .LBB513_1885
	s_branch .LBB513_1886
.LBB513_2180:
	s_trap 2
	s_or_b64 s[2:3], s[2:3], exec
	s_cbranch_execz .LBB513_1932
	s_branch .LBB513_1933
.LBB513_2181:
	s_andn2_saveexec_b64 s[10:11], s[10:11]
	s_cbranch_execz .LBB513_1897
.LBB513_2182:
	s_mov_b32 s12, 0x42800000
	v_add_f32_e64 v5, |v4|, s12
	v_and_b32_e32 v5, 0xff, v5
	v_cmp_ne_u32_e32 vcc, 0, v5
	s_andn2_b64 s[8:9], s[8:9], exec
	s_and_b64 s[12:13], vcc, exec
	s_or_b64 s[8:9], s[8:9], s[12:13]
	s_or_b64 exec, exec, s[10:11]
	v_mov_b32_e32 v8, 0
	s_and_saveexec_b64 s[10:11], s[8:9]
	s_cbranch_execnz .LBB513_1898
	s_branch .LBB513_1899
.LBB513_2183:
	s_andn2_saveexec_b64 s[12:13], s[12:13]
	s_cbranch_execz .LBB513_2003
.LBB513_2184:
	s_mov_b32 s16, 0x46000000
	v_add_f32_e64 v5, |v4|, s16
	v_and_b32_e32 v5, 0xff, v5
	v_cmp_ne_u32_e32 vcc, 0, v5
	s_andn2_b64 s[10:11], s[10:11], exec
	s_and_b64 s[16:17], vcc, exec
	s_or_b64 s[10:11], s[10:11], s[16:17]
	s_or_b64 exec, exec, s[12:13]
	v_mov_b32_e32 v6, 0
	s_and_saveexec_b64 s[12:13], s[10:11]
	s_cbranch_execnz .LBB513_2004
	s_branch .LBB513_2005
.LBB513_2185:
	s_trap 2
	s_or_b64 s[2:3], s[2:3], exec
	s_cbranch_execz .LBB513_2051
	s_branch .LBB513_2052
.LBB513_2186:
	s_andn2_saveexec_b64 s[10:11], s[10:11]
	s_cbranch_execz .LBB513_2016
.LBB513_2187:
	s_mov_b32 s12, 0x42800000
	v_add_f32_e64 v5, |v4|, s12
	v_and_b32_e32 v5, 0xff, v5
	v_cmp_ne_u32_e32 vcc, 0, v5
	s_andn2_b64 s[8:9], s[8:9], exec
	s_and_b64 s[12:13], vcc, exec
	s_or_b64 s[8:9], s[8:9], s[12:13]
	s_or_b64 exec, exec, s[10:11]
	v_mov_b32_e32 v6, 0
	s_and_saveexec_b64 s[10:11], s[8:9]
	s_cbranch_execnz .LBB513_2017
	s_branch .LBB513_2018
.LBB513_2188:
	s_andn2_saveexec_b64 s[10:11], s[10:11]
	s_cbranch_execz .LBB513_2123
.LBB513_2189:
	s_mov_b32 s12, 0x46000000
	v_add_f32_e64 v3, |v2|, s12
	v_and_b32_e32 v3, 0xff, v3
	v_cmp_ne_u32_e32 vcc, 0, v3
	s_andn2_b64 s[8:9], s[8:9], exec
	s_and_b64 s[12:13], vcc, exec
	s_or_b64 s[8:9], s[8:9], s[12:13]
	s_or_b64 exec, exec, s[10:11]
	v_mov_b32_e32 v6, 0
	s_and_saveexec_b64 s[10:11], s[8:9]
	s_cbranch_execnz .LBB513_2124
	s_branch .LBB513_2125
.LBB513_2190:
	s_mov_b64 s[4:5], 0
	s_or_b64 s[2:3], s[2:3], exec
	s_trap 2
	s_branch .LBB513_2169
.LBB513_2191:
	s_andn2_saveexec_b64 s[8:9], s[8:9]
	s_cbranch_execz .LBB513_2135
.LBB513_2192:
	s_mov_b32 s10, 0x42800000
	v_add_f32_e64 v3, |v2|, s10
	v_and_b32_e32 v3, 0xff, v3
	v_cmp_ne_u32_e32 vcc, 0, v3
	s_andn2_b64 s[6:7], s[6:7], exec
	s_and_b64 s[10:11], vcc, exec
	s_or_b64 s[6:7], s[6:7], s[10:11]
	s_or_b64 exec, exec, s[8:9]
	v_mov_b32_e32 v6, 0
	s_and_saveexec_b64 s[8:9], s[6:7]
	s_cbranch_execnz .LBB513_2136
	s_branch .LBB513_2137
	.section	.rodata,"a",@progbits
	.p2align	6, 0x0
	.amdhsa_kernel _ZN2at6native32elementwise_kernel_manual_unrollILi128ELi4EZNS0_15gpu_kernel_implIZZZNS0_22nan_to_num_kernel_cudaERNS_18TensorIteratorBaseESt8optionalIdES6_S6_ENKUlvE0_clEvENKUlvE_clEvEUldE_EEvS4_RKT_EUlibE0_EEviT1_
		.amdhsa_group_segment_fixed_size 0
		.amdhsa_private_segment_fixed_size 0
		.amdhsa_kernarg_size 384
		.amdhsa_user_sgpr_count 2
		.amdhsa_user_sgpr_dispatch_ptr 0
		.amdhsa_user_sgpr_queue_ptr 0
		.amdhsa_user_sgpr_kernarg_segment_ptr 1
		.amdhsa_user_sgpr_dispatch_id 0
		.amdhsa_user_sgpr_kernarg_preload_length 0
		.amdhsa_user_sgpr_kernarg_preload_offset 0
		.amdhsa_user_sgpr_private_segment_size 0
		.amdhsa_uses_dynamic_stack 0
		.amdhsa_enable_private_segment 0
		.amdhsa_system_sgpr_workgroup_id_x 1
		.amdhsa_system_sgpr_workgroup_id_y 0
		.amdhsa_system_sgpr_workgroup_id_z 0
		.amdhsa_system_sgpr_workgroup_info 0
		.amdhsa_system_vgpr_workitem_id 0
		.amdhsa_next_free_vgpr 22
		.amdhsa_next_free_sgpr 84
		.amdhsa_accum_offset 24
		.amdhsa_reserve_vcc 1
		.amdhsa_float_round_mode_32 0
		.amdhsa_float_round_mode_16_64 0
		.amdhsa_float_denorm_mode_32 3
		.amdhsa_float_denorm_mode_16_64 3
		.amdhsa_dx10_clamp 1
		.amdhsa_ieee_mode 1
		.amdhsa_fp16_overflow 0
		.amdhsa_tg_split 0
		.amdhsa_exception_fp_ieee_invalid_op 0
		.amdhsa_exception_fp_denorm_src 0
		.amdhsa_exception_fp_ieee_div_zero 0
		.amdhsa_exception_fp_ieee_overflow 0
		.amdhsa_exception_fp_ieee_underflow 0
		.amdhsa_exception_fp_ieee_inexact 0
		.amdhsa_exception_int_div_zero 0
	.end_amdhsa_kernel
	.section	.text._ZN2at6native32elementwise_kernel_manual_unrollILi128ELi4EZNS0_15gpu_kernel_implIZZZNS0_22nan_to_num_kernel_cudaERNS_18TensorIteratorBaseESt8optionalIdES6_S6_ENKUlvE0_clEvENKUlvE_clEvEUldE_EEvS4_RKT_EUlibE0_EEviT1_,"axG",@progbits,_ZN2at6native32elementwise_kernel_manual_unrollILi128ELi4EZNS0_15gpu_kernel_implIZZZNS0_22nan_to_num_kernel_cudaERNS_18TensorIteratorBaseESt8optionalIdES6_S6_ENKUlvE0_clEvENKUlvE_clEvEUldE_EEvS4_RKT_EUlibE0_EEviT1_,comdat
.Lfunc_end513:
	.size	_ZN2at6native32elementwise_kernel_manual_unrollILi128ELi4EZNS0_15gpu_kernel_implIZZZNS0_22nan_to_num_kernel_cudaERNS_18TensorIteratorBaseESt8optionalIdES6_S6_ENKUlvE0_clEvENKUlvE_clEvEUldE_EEvS4_RKT_EUlibE0_EEviT1_, .Lfunc_end513-_ZN2at6native32elementwise_kernel_manual_unrollILi128ELi4EZNS0_15gpu_kernel_implIZZZNS0_22nan_to_num_kernel_cudaERNS_18TensorIteratorBaseESt8optionalIdES6_S6_ENKUlvE0_clEvENKUlvE_clEvEUldE_EEvS4_RKT_EUlibE0_EEviT1_
                                        ; -- End function
	.set _ZN2at6native32elementwise_kernel_manual_unrollILi128ELi4EZNS0_15gpu_kernel_implIZZZNS0_22nan_to_num_kernel_cudaERNS_18TensorIteratorBaseESt8optionalIdES6_S6_ENKUlvE0_clEvENKUlvE_clEvEUldE_EEvS4_RKT_EUlibE0_EEviT1_.num_vgpr, 22
	.set _ZN2at6native32elementwise_kernel_manual_unrollILi128ELi4EZNS0_15gpu_kernel_implIZZZNS0_22nan_to_num_kernel_cudaERNS_18TensorIteratorBaseESt8optionalIdES6_S6_ENKUlvE0_clEvENKUlvE_clEvEUldE_EEvS4_RKT_EUlibE0_EEviT1_.num_agpr, 0
	.set _ZN2at6native32elementwise_kernel_manual_unrollILi128ELi4EZNS0_15gpu_kernel_implIZZZNS0_22nan_to_num_kernel_cudaERNS_18TensorIteratorBaseESt8optionalIdES6_S6_ENKUlvE0_clEvENKUlvE_clEvEUldE_EEvS4_RKT_EUlibE0_EEviT1_.numbered_sgpr, 84
	.set _ZN2at6native32elementwise_kernel_manual_unrollILi128ELi4EZNS0_15gpu_kernel_implIZZZNS0_22nan_to_num_kernel_cudaERNS_18TensorIteratorBaseESt8optionalIdES6_S6_ENKUlvE0_clEvENKUlvE_clEvEUldE_EEvS4_RKT_EUlibE0_EEviT1_.num_named_barrier, 0
	.set _ZN2at6native32elementwise_kernel_manual_unrollILi128ELi4EZNS0_15gpu_kernel_implIZZZNS0_22nan_to_num_kernel_cudaERNS_18TensorIteratorBaseESt8optionalIdES6_S6_ENKUlvE0_clEvENKUlvE_clEvEUldE_EEvS4_RKT_EUlibE0_EEviT1_.private_seg_size, 0
	.set _ZN2at6native32elementwise_kernel_manual_unrollILi128ELi4EZNS0_15gpu_kernel_implIZZZNS0_22nan_to_num_kernel_cudaERNS_18TensorIteratorBaseESt8optionalIdES6_S6_ENKUlvE0_clEvENKUlvE_clEvEUldE_EEvS4_RKT_EUlibE0_EEviT1_.uses_vcc, 1
	.set _ZN2at6native32elementwise_kernel_manual_unrollILi128ELi4EZNS0_15gpu_kernel_implIZZZNS0_22nan_to_num_kernel_cudaERNS_18TensorIteratorBaseESt8optionalIdES6_S6_ENKUlvE0_clEvENKUlvE_clEvEUldE_EEvS4_RKT_EUlibE0_EEviT1_.uses_flat_scratch, 0
	.set _ZN2at6native32elementwise_kernel_manual_unrollILi128ELi4EZNS0_15gpu_kernel_implIZZZNS0_22nan_to_num_kernel_cudaERNS_18TensorIteratorBaseESt8optionalIdES6_S6_ENKUlvE0_clEvENKUlvE_clEvEUldE_EEvS4_RKT_EUlibE0_EEviT1_.has_dyn_sized_stack, 0
	.set _ZN2at6native32elementwise_kernel_manual_unrollILi128ELi4EZNS0_15gpu_kernel_implIZZZNS0_22nan_to_num_kernel_cudaERNS_18TensorIteratorBaseESt8optionalIdES6_S6_ENKUlvE0_clEvENKUlvE_clEvEUldE_EEvS4_RKT_EUlibE0_EEviT1_.has_recursion, 0
	.set _ZN2at6native32elementwise_kernel_manual_unrollILi128ELi4EZNS0_15gpu_kernel_implIZZZNS0_22nan_to_num_kernel_cudaERNS_18TensorIteratorBaseESt8optionalIdES6_S6_ENKUlvE0_clEvENKUlvE_clEvEUldE_EEvS4_RKT_EUlibE0_EEviT1_.has_indirect_call, 0
	.section	.AMDGPU.csdata,"",@progbits
; Kernel info:
; codeLenInByte = 41984
; TotalNumSgprs: 90
; NumVgprs: 22
; NumAgprs: 0
; TotalNumVgprs: 22
; ScratchSize: 0
; MemoryBound: 1
; FloatMode: 240
; IeeeMode: 1
; LDSByteSize: 0 bytes/workgroup (compile time only)
; SGPRBlocks: 11
; VGPRBlocks: 2
; NumSGPRsForWavesPerEU: 90
; NumVGPRsForWavesPerEU: 22
; AccumOffset: 24
; Occupancy: 8
; WaveLimiterHint : 1
; COMPUTE_PGM_RSRC2:SCRATCH_EN: 0
; COMPUTE_PGM_RSRC2:USER_SGPR: 2
; COMPUTE_PGM_RSRC2:TRAP_HANDLER: 0
; COMPUTE_PGM_RSRC2:TGID_X_EN: 1
; COMPUTE_PGM_RSRC2:TGID_Y_EN: 0
; COMPUTE_PGM_RSRC2:TGID_Z_EN: 0
; COMPUTE_PGM_RSRC2:TIDIG_COMP_CNT: 0
; COMPUTE_PGM_RSRC3_GFX90A:ACCUM_OFFSET: 5
; COMPUTE_PGM_RSRC3_GFX90A:TG_SPLIT: 0
	.section	.text._ZN2at6native29vectorized_elementwise_kernelILi16EZZZNS0_22nan_to_num_kernel_cudaERNS_18TensorIteratorBaseESt8optionalIdES5_S5_ENKUlvE0_clEvENKUlvE0_clEvEUlfE_St5arrayIPcLm2EEEEviT0_T1_,"axG",@progbits,_ZN2at6native29vectorized_elementwise_kernelILi16EZZZNS0_22nan_to_num_kernel_cudaERNS_18TensorIteratorBaseESt8optionalIdES5_S5_ENKUlvE0_clEvENKUlvE0_clEvEUlfE_St5arrayIPcLm2EEEEviT0_T1_,comdat
	.globl	_ZN2at6native29vectorized_elementwise_kernelILi16EZZZNS0_22nan_to_num_kernel_cudaERNS_18TensorIteratorBaseESt8optionalIdES5_S5_ENKUlvE0_clEvENKUlvE0_clEvEUlfE_St5arrayIPcLm2EEEEviT0_T1_ ; -- Begin function _ZN2at6native29vectorized_elementwise_kernelILi16EZZZNS0_22nan_to_num_kernel_cudaERNS_18TensorIteratorBaseESt8optionalIdES5_S5_ENKUlvE0_clEvENKUlvE0_clEvEUlfE_St5arrayIPcLm2EEEEviT0_T1_
	.p2align	8
	.type	_ZN2at6native29vectorized_elementwise_kernelILi16EZZZNS0_22nan_to_num_kernel_cudaERNS_18TensorIteratorBaseESt8optionalIdES5_S5_ENKUlvE0_clEvENKUlvE0_clEvEUlfE_St5arrayIPcLm2EEEEviT0_T1_,@function
_ZN2at6native29vectorized_elementwise_kernelILi16EZZZNS0_22nan_to_num_kernel_cudaERNS_18TensorIteratorBaseESt8optionalIdES5_S5_ENKUlvE0_clEvENKUlvE0_clEvEUlfE_St5arrayIPcLm2EEEEviT0_T1_: ; @_ZN2at6native29vectorized_elementwise_kernelILi16EZZZNS0_22nan_to_num_kernel_cudaERNS_18TensorIteratorBaseESt8optionalIdES5_S5_ENKUlvE0_clEvENKUlvE0_clEvEUlfE_St5arrayIPcLm2EEEEviT0_T1_
; %bb.0:
	s_load_dwordx8 s[4:11], s[0:1], 0x0
	s_lshl_b32 s2, s2, 10
	s_mov_b64 s[0:1], -1
	s_waitcnt lgkmcnt(0)
	s_sub_i32 s16, s4, s2
	s_cmpk_gt_i32 s16, 0x3ff
	s_cbranch_scc0 .LBB514_18
; %bb.1:
	s_ashr_i32 s3, s2, 31
	s_lshl_b64 s[0:1], s[2:3], 2
	s_add_u32 s12, s10, s0
	s_addc_u32 s13, s11, s1
	v_lshlrev_b32_e32 v1, 4, v0
	global_load_dwordx4 v[4:7], v1, s[12:13]
	v_mov_b32_e32 v2, s5
	s_waitcnt vmcnt(0)
	v_cmp_o_f32_e32 vcc, v4, v4
	s_and_saveexec_b64 s[12:13], vcc
	s_cbranch_execz .LBB514_5
; %bb.2:
	s_mov_b32 s3, 0x7f800000
	v_cmp_neq_f32_e32 vcc, s3, v4
	v_mov_b32_e32 v2, s6
	s_and_saveexec_b64 s[14:15], vcc
; %bb.3:
	s_mov_b32 s3, 0xff800000
	v_mov_b32_e32 v2, s7
	v_cmp_eq_f32_e32 vcc, s3, v4
	s_nop 1
	v_cndmask_b32_e32 v2, v4, v2, vcc
; %bb.4:
	s_or_b64 exec, exec, s[14:15]
.LBB514_5:
	s_or_b64 exec, exec, s[12:13]
	v_cmp_o_f32_e32 vcc, v5, v5
	v_mov_b32_e32 v3, s5
	s_and_saveexec_b64 s[12:13], vcc
	s_cbranch_execz .LBB514_9
; %bb.6:
	s_mov_b32 s3, 0x7f800000
	v_cmp_neq_f32_e32 vcc, s3, v5
	v_mov_b32_e32 v3, s6
	s_and_saveexec_b64 s[14:15], vcc
; %bb.7:
	s_mov_b32 s3, 0xff800000
	v_mov_b32_e32 v3, s7
	v_cmp_eq_f32_e32 vcc, s3, v5
	s_nop 1
	v_cndmask_b32_e32 v3, v5, v3, vcc
; %bb.8:
	s_or_b64 exec, exec, s[14:15]
.LBB514_9:
	s_or_b64 exec, exec, s[12:13]
	v_cmp_o_f32_e32 vcc, v6, v6
	v_mov_b32_e32 v4, s5
	;; [unrolled: 19-line block ×3, first 2 shown]
	s_and_saveexec_b64 s[12:13], vcc
	s_cbranch_execz .LBB514_17
; %bb.14:
	s_mov_b32 s3, 0x7f800000
	v_cmp_neq_f32_e32 vcc, s3, v7
	v_mov_b32_e32 v5, s6
	s_and_saveexec_b64 s[14:15], vcc
; %bb.15:
	s_mov_b32 s3, 0xff800000
	v_mov_b32_e32 v5, s7
	v_cmp_eq_f32_e32 vcc, s3, v7
	s_nop 1
	v_cndmask_b32_e32 v5, v7, v5, vcc
; %bb.16:
	s_or_b64 exec, exec, s[14:15]
.LBB514_17:
	s_or_b64 exec, exec, s[12:13]
	s_add_u32 s0, s8, s0
	s_addc_u32 s1, s9, s1
	global_store_dwordx4 v1, v[2:5], s[0:1]
	s_mov_b64 s[0:1], 0
.LBB514_18:
	s_and_b64 vcc, exec, s[0:1]
	s_cbranch_vccz .LBB514_51
; %bb.19:
	v_cmp_gt_i32_e32 vcc, s16, v0
	v_mov_b32_e32 v8, 0
	v_or_b32_e32 v6, s2, v0
	v_mov_b32_e32 v9, 0
	v_mov_b32_e32 v1, v0
	s_and_saveexec_b64 s[0:1], vcc
	s_cbranch_execz .LBB514_21
; %bb.20:
	v_mov_b32_e32 v7, 0
	v_lshl_add_u64 v[2:3], v[6:7], 2, s[10:11]
	global_load_dword v9, v[2:3], off
	v_or_b32_e32 v1, 0x100, v0
.LBB514_21:
	s_or_b64 exec, exec, s[0:1]
	v_cmp_gt_i32_e64 s[0:1], s16, v1
	s_and_saveexec_b64 s[12:13], s[0:1]
	s_cbranch_execz .LBB514_23
; %bb.22:
	v_add_u32_e32 v2, s2, v1
	v_mov_b32_e32 v3, 0
	v_lshl_add_u64 v[2:3], v[2:3], 2, s[10:11]
	global_load_dword v8, v[2:3], off
	v_add_u32_e32 v1, 0x100, v1
.LBB514_23:
	s_or_b64 exec, exec, s[12:13]
	v_cmp_gt_i32_e64 s[0:1], s16, v1
	v_mov_b32_e32 v5, 0
	v_mov_b32_e32 v7, 0
	s_and_saveexec_b64 s[12:13], s[0:1]
	s_cbranch_execz .LBB514_25
; %bb.24:
	v_add_u32_e32 v2, s2, v1
	v_mov_b32_e32 v3, 0
	v_lshl_add_u64 v[2:3], v[2:3], 2, s[10:11]
	global_load_dword v7, v[2:3], off
	v_add_u32_e32 v1, 0x100, v1
.LBB514_25:
	s_or_b64 exec, exec, s[12:13]
	v_cmp_gt_i32_e64 s[0:1], s16, v1
	s_and_saveexec_b64 s[12:13], s[0:1]
	s_cbranch_execz .LBB514_27
; %bb.26:
	v_add_u32_e32 v2, s2, v1
	v_mov_b32_e32 v3, 0
	v_lshl_add_u64 v[2:3], v[2:3], 2, s[10:11]
	global_load_dword v5, v[2:3], off
.LBB514_27:
	s_or_b64 exec, exec, s[12:13]
	v_mov_b32_e32 v2, 0
	v_mov_b32_e32 v1, v2
	;; [unrolled: 1-line block ×4, first 2 shown]
	s_and_saveexec_b64 s[10:11], vcc
	s_cbranch_execz .LBB514_33
; %bb.28:
	s_waitcnt vmcnt(0)
	v_cmp_o_f32_e64 s[0:1], v9, v9
	v_mov_b32_e32 v2, s5
	s_and_saveexec_b64 s[12:13], s[0:1]
	s_cbranch_execz .LBB514_32
; %bb.29:
	s_mov_b32 s0, 0x7f800000
	v_cmp_neq_f32_e64 s[0:1], s0, v9
	v_mov_b32_e32 v2, s6
	s_and_saveexec_b64 s[14:15], s[0:1]
; %bb.30:
	s_mov_b32 s0, 0xff800000
	v_mov_b32_e32 v1, s7
	v_cmp_eq_f32_e64 s[0:1], s0, v9
	s_nop 1
	v_cndmask_b32_e64 v2, v9, v1, s[0:1]
; %bb.31:
	s_or_b64 exec, exec, s[14:15]
.LBB514_32:
	s_or_b64 exec, exec, s[12:13]
	v_mov_b32_e32 v1, 0
	v_mov_b32_e32 v4, v1
	;; [unrolled: 1-line block ×3, first 2 shown]
.LBB514_33:
	s_or_b64 exec, exec, s[10:11]
	s_waitcnt vmcnt(0)
	v_or_b32_e32 v9, 0x100, v0
	v_cmp_gt_i32_e64 s[0:1], s16, v9
	s_and_saveexec_b64 s[10:11], s[0:1]
	s_cbranch_execz .LBB514_39
; %bb.34:
	v_cmp_o_f32_e64 s[0:1], v8, v8
	v_mov_b32_e32 v1, s5
	s_and_saveexec_b64 s[12:13], s[0:1]
	s_cbranch_execz .LBB514_38
; %bb.35:
	s_mov_b32 s0, 0x7f800000
	v_cmp_neq_f32_e64 s[0:1], s0, v8
	v_mov_b32_e32 v1, s6
	s_and_saveexec_b64 s[14:15], s[0:1]
; %bb.36:
	s_mov_b32 s0, 0xff800000
	v_mov_b32_e32 v1, s7
	v_cmp_eq_f32_e64 s[0:1], s0, v8
	s_nop 1
	v_cndmask_b32_e64 v1, v8, v1, s[0:1]
; %bb.37:
	s_or_b64 exec, exec, s[14:15]
.LBB514_38:
	s_or_b64 exec, exec, s[12:13]
.LBB514_39:
	s_or_b64 exec, exec, s[10:11]
	v_or_b32_e32 v8, 0x200, v0
	v_cmp_gt_i32_e64 s[0:1], s16, v8
	s_and_saveexec_b64 s[10:11], s[0:1]
	s_cbranch_execz .LBB514_45
; %bb.40:
	v_cmp_o_f32_e64 s[0:1], v7, v7
	v_mov_b32_e32 v4, s5
	s_and_saveexec_b64 s[12:13], s[0:1]
	s_cbranch_execz .LBB514_44
; %bb.41:
	s_mov_b32 s0, 0x7f800000
	v_cmp_neq_f32_e64 s[0:1], s0, v7
	v_mov_b32_e32 v4, s6
	s_and_saveexec_b64 s[14:15], s[0:1]
; %bb.42:
	s_mov_b32 s0, 0xff800000
	v_mov_b32_e32 v4, s7
	v_cmp_eq_f32_e64 s[0:1], s0, v7
	s_nop 1
	v_cndmask_b32_e64 v4, v7, v4, s[0:1]
; %bb.43:
	s_or_b64 exec, exec, s[14:15]
.LBB514_44:
	s_or_b64 exec, exec, s[12:13]
.LBB514_45:
	s_or_b64 exec, exec, s[10:11]
	v_or_b32_e32 v7, 0x300, v0
	v_cmp_gt_i32_e64 s[0:1], s16, v7
	s_and_saveexec_b64 s[10:11], s[0:1]
	s_cbranch_execnz .LBB514_52
; %bb.46:
	s_or_b64 exec, exec, s[10:11]
	s_and_saveexec_b64 s[0:1], vcc
	s_xor_b64 s[0:1], exec, s[0:1]
	s_cbranch_execnz .LBB514_57
.LBB514_47:
	s_or_b64 exec, exec, s[0:1]
	v_cmp_gt_i32_e32 vcc, s16, v0
	s_and_saveexec_b64 s[0:1], vcc
	s_cbranch_execnz .LBB514_58
.LBB514_48:
	s_or_b64 exec, exec, s[0:1]
	v_cmp_gt_i32_e32 vcc, s16, v0
	s_and_saveexec_b64 s[0:1], vcc
	s_cbranch_execnz .LBB514_59
.LBB514_49:
	s_or_b64 exec, exec, s[0:1]
	v_cmp_gt_i32_e32 vcc, s16, v0
	s_and_saveexec_b64 s[0:1], vcc
	s_cbranch_execz .LBB514_51
.LBB514_50:
	v_add_u32_e32 v0, s2, v0
	v_mov_b32_e32 v1, 0
	v_lshl_add_u64 v[0:1], v[0:1], 2, s[8:9]
	global_store_dword v[0:1], v3, off
.LBB514_51:
	s_endpgm
.LBB514_52:
	v_cmp_o_f32_e64 s[0:1], v5, v5
	v_mov_b32_e32 v3, s5
	s_and_saveexec_b64 s[4:5], s[0:1]
	s_cbranch_execz .LBB514_56
; %bb.53:
	s_mov_b32 s0, 0x7f800000
	v_cmp_neq_f32_e64 s[0:1], s0, v5
	v_mov_b32_e32 v3, s6
	s_and_saveexec_b64 s[12:13], s[0:1]
; %bb.54:
	s_mov_b32 s0, 0xff800000
	v_mov_b32_e32 v3, s7
	v_cmp_eq_f32_e64 s[0:1], s0, v5
	s_nop 1
	v_cndmask_b32_e64 v3, v5, v3, s[0:1]
; %bb.55:
	s_or_b64 exec, exec, s[12:13]
.LBB514_56:
	s_or_b64 exec, exec, s[4:5]
	s_or_b64 exec, exec, s[10:11]
	s_and_saveexec_b64 s[0:1], vcc
	s_xor_b64 s[0:1], exec, s[0:1]
	s_cbranch_execz .LBB514_47
.LBB514_57:
	v_mov_b32_e32 v7, 0
	v_lshl_add_u64 v[6:7], v[6:7], 2, s[8:9]
	v_mov_b32_e32 v0, v9
	global_store_dword v[6:7], v2, off
	s_or_b64 exec, exec, s[0:1]
	v_cmp_gt_i32_e32 vcc, s16, v0
	s_and_saveexec_b64 s[0:1], vcc
	s_cbranch_execz .LBB514_48
.LBB514_58:
	v_add_u32_e32 v6, s2, v0
	v_mov_b32_e32 v7, 0
	v_lshl_add_u64 v[6:7], v[6:7], 2, s[8:9]
	v_add_u32_e32 v0, 0x100, v0
	global_store_dword v[6:7], v1, off
	s_or_b64 exec, exec, s[0:1]
	v_cmp_gt_i32_e32 vcc, s16, v0
	s_and_saveexec_b64 s[0:1], vcc
	s_cbranch_execz .LBB514_49
.LBB514_59:
	v_add_u32_e32 v6, s2, v0
	v_mov_b32_e32 v7, 0
	v_lshl_add_u64 v[6:7], v[6:7], 2, s[8:9]
	v_add_u32_e32 v0, 0x100, v0
	global_store_dword v[6:7], v4, off
	s_or_b64 exec, exec, s[0:1]
	v_cmp_gt_i32_e32 vcc, s16, v0
	s_and_saveexec_b64 s[0:1], vcc
	s_cbranch_execnz .LBB514_50
	s_branch .LBB514_51
	.section	.rodata,"a",@progbits
	.p2align	6, 0x0
	.amdhsa_kernel _ZN2at6native29vectorized_elementwise_kernelILi16EZZZNS0_22nan_to_num_kernel_cudaERNS_18TensorIteratorBaseESt8optionalIdES5_S5_ENKUlvE0_clEvENKUlvE0_clEvEUlfE_St5arrayIPcLm2EEEEviT0_T1_
		.amdhsa_group_segment_fixed_size 0
		.amdhsa_private_segment_fixed_size 0
		.amdhsa_kernarg_size 32
		.amdhsa_user_sgpr_count 2
		.amdhsa_user_sgpr_dispatch_ptr 0
		.amdhsa_user_sgpr_queue_ptr 0
		.amdhsa_user_sgpr_kernarg_segment_ptr 1
		.amdhsa_user_sgpr_dispatch_id 0
		.amdhsa_user_sgpr_kernarg_preload_length 0
		.amdhsa_user_sgpr_kernarg_preload_offset 0
		.amdhsa_user_sgpr_private_segment_size 0
		.amdhsa_uses_dynamic_stack 0
		.amdhsa_enable_private_segment 0
		.amdhsa_system_sgpr_workgroup_id_x 1
		.amdhsa_system_sgpr_workgroup_id_y 0
		.amdhsa_system_sgpr_workgroup_id_z 0
		.amdhsa_system_sgpr_workgroup_info 0
		.amdhsa_system_vgpr_workitem_id 0
		.amdhsa_next_free_vgpr 10
		.amdhsa_next_free_sgpr 17
		.amdhsa_accum_offset 12
		.amdhsa_reserve_vcc 1
		.amdhsa_float_round_mode_32 0
		.amdhsa_float_round_mode_16_64 0
		.amdhsa_float_denorm_mode_32 3
		.amdhsa_float_denorm_mode_16_64 3
		.amdhsa_dx10_clamp 1
		.amdhsa_ieee_mode 1
		.amdhsa_fp16_overflow 0
		.amdhsa_tg_split 0
		.amdhsa_exception_fp_ieee_invalid_op 0
		.amdhsa_exception_fp_denorm_src 0
		.amdhsa_exception_fp_ieee_div_zero 0
		.amdhsa_exception_fp_ieee_overflow 0
		.amdhsa_exception_fp_ieee_underflow 0
		.amdhsa_exception_fp_ieee_inexact 0
		.amdhsa_exception_int_div_zero 0
	.end_amdhsa_kernel
	.section	.text._ZN2at6native29vectorized_elementwise_kernelILi16EZZZNS0_22nan_to_num_kernel_cudaERNS_18TensorIteratorBaseESt8optionalIdES5_S5_ENKUlvE0_clEvENKUlvE0_clEvEUlfE_St5arrayIPcLm2EEEEviT0_T1_,"axG",@progbits,_ZN2at6native29vectorized_elementwise_kernelILi16EZZZNS0_22nan_to_num_kernel_cudaERNS_18TensorIteratorBaseESt8optionalIdES5_S5_ENKUlvE0_clEvENKUlvE0_clEvEUlfE_St5arrayIPcLm2EEEEviT0_T1_,comdat
.Lfunc_end514:
	.size	_ZN2at6native29vectorized_elementwise_kernelILi16EZZZNS0_22nan_to_num_kernel_cudaERNS_18TensorIteratorBaseESt8optionalIdES5_S5_ENKUlvE0_clEvENKUlvE0_clEvEUlfE_St5arrayIPcLm2EEEEviT0_T1_, .Lfunc_end514-_ZN2at6native29vectorized_elementwise_kernelILi16EZZZNS0_22nan_to_num_kernel_cudaERNS_18TensorIteratorBaseESt8optionalIdES5_S5_ENKUlvE0_clEvENKUlvE0_clEvEUlfE_St5arrayIPcLm2EEEEviT0_T1_
                                        ; -- End function
	.set _ZN2at6native29vectorized_elementwise_kernelILi16EZZZNS0_22nan_to_num_kernel_cudaERNS_18TensorIteratorBaseESt8optionalIdES5_S5_ENKUlvE0_clEvENKUlvE0_clEvEUlfE_St5arrayIPcLm2EEEEviT0_T1_.num_vgpr, 10
	.set _ZN2at6native29vectorized_elementwise_kernelILi16EZZZNS0_22nan_to_num_kernel_cudaERNS_18TensorIteratorBaseESt8optionalIdES5_S5_ENKUlvE0_clEvENKUlvE0_clEvEUlfE_St5arrayIPcLm2EEEEviT0_T1_.num_agpr, 0
	.set _ZN2at6native29vectorized_elementwise_kernelILi16EZZZNS0_22nan_to_num_kernel_cudaERNS_18TensorIteratorBaseESt8optionalIdES5_S5_ENKUlvE0_clEvENKUlvE0_clEvEUlfE_St5arrayIPcLm2EEEEviT0_T1_.numbered_sgpr, 17
	.set _ZN2at6native29vectorized_elementwise_kernelILi16EZZZNS0_22nan_to_num_kernel_cudaERNS_18TensorIteratorBaseESt8optionalIdES5_S5_ENKUlvE0_clEvENKUlvE0_clEvEUlfE_St5arrayIPcLm2EEEEviT0_T1_.num_named_barrier, 0
	.set _ZN2at6native29vectorized_elementwise_kernelILi16EZZZNS0_22nan_to_num_kernel_cudaERNS_18TensorIteratorBaseESt8optionalIdES5_S5_ENKUlvE0_clEvENKUlvE0_clEvEUlfE_St5arrayIPcLm2EEEEviT0_T1_.private_seg_size, 0
	.set _ZN2at6native29vectorized_elementwise_kernelILi16EZZZNS0_22nan_to_num_kernel_cudaERNS_18TensorIteratorBaseESt8optionalIdES5_S5_ENKUlvE0_clEvENKUlvE0_clEvEUlfE_St5arrayIPcLm2EEEEviT0_T1_.uses_vcc, 1
	.set _ZN2at6native29vectorized_elementwise_kernelILi16EZZZNS0_22nan_to_num_kernel_cudaERNS_18TensorIteratorBaseESt8optionalIdES5_S5_ENKUlvE0_clEvENKUlvE0_clEvEUlfE_St5arrayIPcLm2EEEEviT0_T1_.uses_flat_scratch, 0
	.set _ZN2at6native29vectorized_elementwise_kernelILi16EZZZNS0_22nan_to_num_kernel_cudaERNS_18TensorIteratorBaseESt8optionalIdES5_S5_ENKUlvE0_clEvENKUlvE0_clEvEUlfE_St5arrayIPcLm2EEEEviT0_T1_.has_dyn_sized_stack, 0
	.set _ZN2at6native29vectorized_elementwise_kernelILi16EZZZNS0_22nan_to_num_kernel_cudaERNS_18TensorIteratorBaseESt8optionalIdES5_S5_ENKUlvE0_clEvENKUlvE0_clEvEUlfE_St5arrayIPcLm2EEEEviT0_T1_.has_recursion, 0
	.set _ZN2at6native29vectorized_elementwise_kernelILi16EZZZNS0_22nan_to_num_kernel_cudaERNS_18TensorIteratorBaseESt8optionalIdES5_S5_ENKUlvE0_clEvENKUlvE0_clEvEUlfE_St5arrayIPcLm2EEEEviT0_T1_.has_indirect_call, 0
	.section	.AMDGPU.csdata,"",@progbits
; Kernel info:
; codeLenInByte = 1292
; TotalNumSgprs: 23
; NumVgprs: 10
; NumAgprs: 0
; TotalNumVgprs: 10
; ScratchSize: 0
; MemoryBound: 0
; FloatMode: 240
; IeeeMode: 1
; LDSByteSize: 0 bytes/workgroup (compile time only)
; SGPRBlocks: 2
; VGPRBlocks: 1
; NumSGPRsForWavesPerEU: 23
; NumVGPRsForWavesPerEU: 10
; AccumOffset: 12
; Occupancy: 8
; WaveLimiterHint : 0
; COMPUTE_PGM_RSRC2:SCRATCH_EN: 0
; COMPUTE_PGM_RSRC2:USER_SGPR: 2
; COMPUTE_PGM_RSRC2:TRAP_HANDLER: 0
; COMPUTE_PGM_RSRC2:TGID_X_EN: 1
; COMPUTE_PGM_RSRC2:TGID_Y_EN: 0
; COMPUTE_PGM_RSRC2:TGID_Z_EN: 0
; COMPUTE_PGM_RSRC2:TIDIG_COMP_CNT: 0
; COMPUTE_PGM_RSRC3_GFX90A:ACCUM_OFFSET: 2
; COMPUTE_PGM_RSRC3_GFX90A:TG_SPLIT: 0
	.section	.text._ZN2at6native29vectorized_elementwise_kernelILi8EZZZNS0_22nan_to_num_kernel_cudaERNS_18TensorIteratorBaseESt8optionalIdES5_S5_ENKUlvE0_clEvENKUlvE0_clEvEUlfE_St5arrayIPcLm2EEEEviT0_T1_,"axG",@progbits,_ZN2at6native29vectorized_elementwise_kernelILi8EZZZNS0_22nan_to_num_kernel_cudaERNS_18TensorIteratorBaseESt8optionalIdES5_S5_ENKUlvE0_clEvENKUlvE0_clEvEUlfE_St5arrayIPcLm2EEEEviT0_T1_,comdat
	.globl	_ZN2at6native29vectorized_elementwise_kernelILi8EZZZNS0_22nan_to_num_kernel_cudaERNS_18TensorIteratorBaseESt8optionalIdES5_S5_ENKUlvE0_clEvENKUlvE0_clEvEUlfE_St5arrayIPcLm2EEEEviT0_T1_ ; -- Begin function _ZN2at6native29vectorized_elementwise_kernelILi8EZZZNS0_22nan_to_num_kernel_cudaERNS_18TensorIteratorBaseESt8optionalIdES5_S5_ENKUlvE0_clEvENKUlvE0_clEvEUlfE_St5arrayIPcLm2EEEEviT0_T1_
	.p2align	8
	.type	_ZN2at6native29vectorized_elementwise_kernelILi8EZZZNS0_22nan_to_num_kernel_cudaERNS_18TensorIteratorBaseESt8optionalIdES5_S5_ENKUlvE0_clEvENKUlvE0_clEvEUlfE_St5arrayIPcLm2EEEEviT0_T1_,@function
_ZN2at6native29vectorized_elementwise_kernelILi8EZZZNS0_22nan_to_num_kernel_cudaERNS_18TensorIteratorBaseESt8optionalIdES5_S5_ENKUlvE0_clEvENKUlvE0_clEvEUlfE_St5arrayIPcLm2EEEEviT0_T1_: ; @_ZN2at6native29vectorized_elementwise_kernelILi8EZZZNS0_22nan_to_num_kernel_cudaERNS_18TensorIteratorBaseESt8optionalIdES5_S5_ENKUlvE0_clEvENKUlvE0_clEvEUlfE_St5arrayIPcLm2EEEEviT0_T1_
; %bb.0:
	s_load_dwordx8 s[4:11], s[0:1], 0x0
	s_lshl_b32 s2, s2, 10
	s_mov_b64 s[0:1], -1
	s_waitcnt lgkmcnt(0)
	s_sub_i32 s16, s4, s2
	s_cmpk_gt_i32 s16, 0x3ff
	s_cbranch_scc0 .LBB515_18
; %bb.1:
	s_ashr_i32 s3, s2, 31
	s_lshl_b64 s[0:1], s[2:3], 2
	s_add_u32 s12, s10, s0
	s_addc_u32 s13, s11, s1
	v_lshlrev_b32_e32 v1, 4, v0
	global_load_dwordx4 v[4:7], v1, s[12:13]
	v_mov_b32_e32 v2, s5
	s_waitcnt vmcnt(0)
	v_cmp_o_f32_e32 vcc, v4, v4
	s_and_saveexec_b64 s[12:13], vcc
	s_cbranch_execz .LBB515_5
; %bb.2:
	s_mov_b32 s3, 0x7f800000
	v_cmp_neq_f32_e32 vcc, s3, v4
	v_mov_b32_e32 v2, s6
	s_and_saveexec_b64 s[14:15], vcc
; %bb.3:
	s_mov_b32 s3, 0xff800000
	v_mov_b32_e32 v2, s7
	v_cmp_eq_f32_e32 vcc, s3, v4
	s_nop 1
	v_cndmask_b32_e32 v2, v4, v2, vcc
; %bb.4:
	s_or_b64 exec, exec, s[14:15]
.LBB515_5:
	s_or_b64 exec, exec, s[12:13]
	v_cmp_o_f32_e32 vcc, v5, v5
	v_mov_b32_e32 v3, s5
	s_and_saveexec_b64 s[12:13], vcc
	s_cbranch_execz .LBB515_9
; %bb.6:
	s_mov_b32 s3, 0x7f800000
	v_cmp_neq_f32_e32 vcc, s3, v5
	v_mov_b32_e32 v3, s6
	s_and_saveexec_b64 s[14:15], vcc
; %bb.7:
	s_mov_b32 s3, 0xff800000
	v_mov_b32_e32 v3, s7
	v_cmp_eq_f32_e32 vcc, s3, v5
	s_nop 1
	v_cndmask_b32_e32 v3, v5, v3, vcc
; %bb.8:
	s_or_b64 exec, exec, s[14:15]
.LBB515_9:
	s_or_b64 exec, exec, s[12:13]
	v_cmp_o_f32_e32 vcc, v6, v6
	v_mov_b32_e32 v4, s5
	;; [unrolled: 19-line block ×3, first 2 shown]
	s_and_saveexec_b64 s[12:13], vcc
	s_cbranch_execz .LBB515_17
; %bb.14:
	s_mov_b32 s3, 0x7f800000
	v_cmp_neq_f32_e32 vcc, s3, v7
	v_mov_b32_e32 v5, s6
	s_and_saveexec_b64 s[14:15], vcc
; %bb.15:
	s_mov_b32 s3, 0xff800000
	v_mov_b32_e32 v5, s7
	v_cmp_eq_f32_e32 vcc, s3, v7
	s_nop 1
	v_cndmask_b32_e32 v5, v7, v5, vcc
; %bb.16:
	s_or_b64 exec, exec, s[14:15]
.LBB515_17:
	s_or_b64 exec, exec, s[12:13]
	s_add_u32 s0, s8, s0
	s_addc_u32 s1, s9, s1
	global_store_dwordx4 v1, v[2:5], s[0:1]
	s_mov_b64 s[0:1], 0
.LBB515_18:
	s_and_b64 vcc, exec, s[0:1]
	s_cbranch_vccz .LBB515_51
; %bb.19:
	v_cmp_gt_i32_e32 vcc, s16, v0
	v_mov_b32_e32 v8, 0
	v_or_b32_e32 v6, s2, v0
	v_mov_b32_e32 v9, 0
	v_mov_b32_e32 v1, v0
	s_and_saveexec_b64 s[0:1], vcc
	s_cbranch_execz .LBB515_21
; %bb.20:
	v_mov_b32_e32 v7, 0
	v_lshl_add_u64 v[2:3], v[6:7], 2, s[10:11]
	global_load_dword v9, v[2:3], off
	v_or_b32_e32 v1, 0x100, v0
.LBB515_21:
	s_or_b64 exec, exec, s[0:1]
	v_cmp_gt_i32_e64 s[0:1], s16, v1
	s_and_saveexec_b64 s[12:13], s[0:1]
	s_cbranch_execz .LBB515_23
; %bb.22:
	v_add_u32_e32 v2, s2, v1
	v_mov_b32_e32 v3, 0
	v_lshl_add_u64 v[2:3], v[2:3], 2, s[10:11]
	global_load_dword v8, v[2:3], off
	v_add_u32_e32 v1, 0x100, v1
.LBB515_23:
	s_or_b64 exec, exec, s[12:13]
	v_cmp_gt_i32_e64 s[0:1], s16, v1
	v_mov_b32_e32 v5, 0
	v_mov_b32_e32 v7, 0
	s_and_saveexec_b64 s[12:13], s[0:1]
	s_cbranch_execz .LBB515_25
; %bb.24:
	v_add_u32_e32 v2, s2, v1
	v_mov_b32_e32 v3, 0
	v_lshl_add_u64 v[2:3], v[2:3], 2, s[10:11]
	global_load_dword v7, v[2:3], off
	v_add_u32_e32 v1, 0x100, v1
.LBB515_25:
	s_or_b64 exec, exec, s[12:13]
	v_cmp_gt_i32_e64 s[0:1], s16, v1
	s_and_saveexec_b64 s[12:13], s[0:1]
	s_cbranch_execz .LBB515_27
; %bb.26:
	v_add_u32_e32 v2, s2, v1
	v_mov_b32_e32 v3, 0
	v_lshl_add_u64 v[2:3], v[2:3], 2, s[10:11]
	global_load_dword v5, v[2:3], off
.LBB515_27:
	s_or_b64 exec, exec, s[12:13]
	v_mov_b32_e32 v2, 0
	v_mov_b32_e32 v1, v2
	;; [unrolled: 1-line block ×4, first 2 shown]
	s_and_saveexec_b64 s[10:11], vcc
	s_cbranch_execz .LBB515_33
; %bb.28:
	s_waitcnt vmcnt(0)
	v_cmp_o_f32_e64 s[0:1], v9, v9
	v_mov_b32_e32 v2, s5
	s_and_saveexec_b64 s[12:13], s[0:1]
	s_cbranch_execz .LBB515_32
; %bb.29:
	s_mov_b32 s0, 0x7f800000
	v_cmp_neq_f32_e64 s[0:1], s0, v9
	v_mov_b32_e32 v2, s6
	s_and_saveexec_b64 s[14:15], s[0:1]
; %bb.30:
	s_mov_b32 s0, 0xff800000
	v_mov_b32_e32 v1, s7
	v_cmp_eq_f32_e64 s[0:1], s0, v9
	s_nop 1
	v_cndmask_b32_e64 v2, v9, v1, s[0:1]
; %bb.31:
	s_or_b64 exec, exec, s[14:15]
.LBB515_32:
	s_or_b64 exec, exec, s[12:13]
	v_mov_b32_e32 v1, 0
	v_mov_b32_e32 v4, v1
	v_mov_b32_e32 v3, v1
.LBB515_33:
	s_or_b64 exec, exec, s[10:11]
	s_waitcnt vmcnt(0)
	v_or_b32_e32 v9, 0x100, v0
	v_cmp_gt_i32_e64 s[0:1], s16, v9
	s_and_saveexec_b64 s[10:11], s[0:1]
	s_cbranch_execz .LBB515_39
; %bb.34:
	v_cmp_o_f32_e64 s[0:1], v8, v8
	v_mov_b32_e32 v1, s5
	s_and_saveexec_b64 s[12:13], s[0:1]
	s_cbranch_execz .LBB515_38
; %bb.35:
	s_mov_b32 s0, 0x7f800000
	v_cmp_neq_f32_e64 s[0:1], s0, v8
	v_mov_b32_e32 v1, s6
	s_and_saveexec_b64 s[14:15], s[0:1]
; %bb.36:
	s_mov_b32 s0, 0xff800000
	v_mov_b32_e32 v1, s7
	v_cmp_eq_f32_e64 s[0:1], s0, v8
	s_nop 1
	v_cndmask_b32_e64 v1, v8, v1, s[0:1]
; %bb.37:
	s_or_b64 exec, exec, s[14:15]
.LBB515_38:
	s_or_b64 exec, exec, s[12:13]
.LBB515_39:
	s_or_b64 exec, exec, s[10:11]
	v_or_b32_e32 v8, 0x200, v0
	v_cmp_gt_i32_e64 s[0:1], s16, v8
	s_and_saveexec_b64 s[10:11], s[0:1]
	s_cbranch_execz .LBB515_45
; %bb.40:
	v_cmp_o_f32_e64 s[0:1], v7, v7
	v_mov_b32_e32 v4, s5
	s_and_saveexec_b64 s[12:13], s[0:1]
	s_cbranch_execz .LBB515_44
; %bb.41:
	s_mov_b32 s0, 0x7f800000
	v_cmp_neq_f32_e64 s[0:1], s0, v7
	v_mov_b32_e32 v4, s6
	s_and_saveexec_b64 s[14:15], s[0:1]
; %bb.42:
	s_mov_b32 s0, 0xff800000
	v_mov_b32_e32 v4, s7
	v_cmp_eq_f32_e64 s[0:1], s0, v7
	s_nop 1
	v_cndmask_b32_e64 v4, v7, v4, s[0:1]
; %bb.43:
	s_or_b64 exec, exec, s[14:15]
.LBB515_44:
	s_or_b64 exec, exec, s[12:13]
.LBB515_45:
	s_or_b64 exec, exec, s[10:11]
	v_or_b32_e32 v7, 0x300, v0
	v_cmp_gt_i32_e64 s[0:1], s16, v7
	s_and_saveexec_b64 s[10:11], s[0:1]
	s_cbranch_execnz .LBB515_52
; %bb.46:
	s_or_b64 exec, exec, s[10:11]
	s_and_saveexec_b64 s[0:1], vcc
	s_xor_b64 s[0:1], exec, s[0:1]
	s_cbranch_execnz .LBB515_57
.LBB515_47:
	s_or_b64 exec, exec, s[0:1]
	v_cmp_gt_i32_e32 vcc, s16, v0
	s_and_saveexec_b64 s[0:1], vcc
	s_cbranch_execnz .LBB515_58
.LBB515_48:
	s_or_b64 exec, exec, s[0:1]
	v_cmp_gt_i32_e32 vcc, s16, v0
	s_and_saveexec_b64 s[0:1], vcc
	s_cbranch_execnz .LBB515_59
.LBB515_49:
	s_or_b64 exec, exec, s[0:1]
	v_cmp_gt_i32_e32 vcc, s16, v0
	s_and_saveexec_b64 s[0:1], vcc
	s_cbranch_execz .LBB515_51
.LBB515_50:
	v_add_u32_e32 v0, s2, v0
	v_mov_b32_e32 v1, 0
	v_lshl_add_u64 v[0:1], v[0:1], 2, s[8:9]
	global_store_dword v[0:1], v3, off
.LBB515_51:
	s_endpgm
.LBB515_52:
	v_cmp_o_f32_e64 s[0:1], v5, v5
	v_mov_b32_e32 v3, s5
	s_and_saveexec_b64 s[4:5], s[0:1]
	s_cbranch_execz .LBB515_56
; %bb.53:
	s_mov_b32 s0, 0x7f800000
	v_cmp_neq_f32_e64 s[0:1], s0, v5
	v_mov_b32_e32 v3, s6
	s_and_saveexec_b64 s[12:13], s[0:1]
; %bb.54:
	s_mov_b32 s0, 0xff800000
	v_mov_b32_e32 v3, s7
	v_cmp_eq_f32_e64 s[0:1], s0, v5
	s_nop 1
	v_cndmask_b32_e64 v3, v5, v3, s[0:1]
; %bb.55:
	s_or_b64 exec, exec, s[12:13]
.LBB515_56:
	s_or_b64 exec, exec, s[4:5]
	s_or_b64 exec, exec, s[10:11]
	s_and_saveexec_b64 s[0:1], vcc
	s_xor_b64 s[0:1], exec, s[0:1]
	s_cbranch_execz .LBB515_47
.LBB515_57:
	v_mov_b32_e32 v7, 0
	v_lshl_add_u64 v[6:7], v[6:7], 2, s[8:9]
	v_mov_b32_e32 v0, v9
	global_store_dword v[6:7], v2, off
	s_or_b64 exec, exec, s[0:1]
	v_cmp_gt_i32_e32 vcc, s16, v0
	s_and_saveexec_b64 s[0:1], vcc
	s_cbranch_execz .LBB515_48
.LBB515_58:
	v_add_u32_e32 v6, s2, v0
	v_mov_b32_e32 v7, 0
	v_lshl_add_u64 v[6:7], v[6:7], 2, s[8:9]
	v_add_u32_e32 v0, 0x100, v0
	global_store_dword v[6:7], v1, off
	s_or_b64 exec, exec, s[0:1]
	v_cmp_gt_i32_e32 vcc, s16, v0
	s_and_saveexec_b64 s[0:1], vcc
	s_cbranch_execz .LBB515_49
.LBB515_59:
	v_add_u32_e32 v6, s2, v0
	v_mov_b32_e32 v7, 0
	v_lshl_add_u64 v[6:7], v[6:7], 2, s[8:9]
	v_add_u32_e32 v0, 0x100, v0
	global_store_dword v[6:7], v4, off
	s_or_b64 exec, exec, s[0:1]
	v_cmp_gt_i32_e32 vcc, s16, v0
	s_and_saveexec_b64 s[0:1], vcc
	s_cbranch_execnz .LBB515_50
	s_branch .LBB515_51
	.section	.rodata,"a",@progbits
	.p2align	6, 0x0
	.amdhsa_kernel _ZN2at6native29vectorized_elementwise_kernelILi8EZZZNS0_22nan_to_num_kernel_cudaERNS_18TensorIteratorBaseESt8optionalIdES5_S5_ENKUlvE0_clEvENKUlvE0_clEvEUlfE_St5arrayIPcLm2EEEEviT0_T1_
		.amdhsa_group_segment_fixed_size 0
		.amdhsa_private_segment_fixed_size 0
		.amdhsa_kernarg_size 32
		.amdhsa_user_sgpr_count 2
		.amdhsa_user_sgpr_dispatch_ptr 0
		.amdhsa_user_sgpr_queue_ptr 0
		.amdhsa_user_sgpr_kernarg_segment_ptr 1
		.amdhsa_user_sgpr_dispatch_id 0
		.amdhsa_user_sgpr_kernarg_preload_length 0
		.amdhsa_user_sgpr_kernarg_preload_offset 0
		.amdhsa_user_sgpr_private_segment_size 0
		.amdhsa_uses_dynamic_stack 0
		.amdhsa_enable_private_segment 0
		.amdhsa_system_sgpr_workgroup_id_x 1
		.amdhsa_system_sgpr_workgroup_id_y 0
		.amdhsa_system_sgpr_workgroup_id_z 0
		.amdhsa_system_sgpr_workgroup_info 0
		.amdhsa_system_vgpr_workitem_id 0
		.amdhsa_next_free_vgpr 10
		.amdhsa_next_free_sgpr 17
		.amdhsa_accum_offset 12
		.amdhsa_reserve_vcc 1
		.amdhsa_float_round_mode_32 0
		.amdhsa_float_round_mode_16_64 0
		.amdhsa_float_denorm_mode_32 3
		.amdhsa_float_denorm_mode_16_64 3
		.amdhsa_dx10_clamp 1
		.amdhsa_ieee_mode 1
		.amdhsa_fp16_overflow 0
		.amdhsa_tg_split 0
		.amdhsa_exception_fp_ieee_invalid_op 0
		.amdhsa_exception_fp_denorm_src 0
		.amdhsa_exception_fp_ieee_div_zero 0
		.amdhsa_exception_fp_ieee_overflow 0
		.amdhsa_exception_fp_ieee_underflow 0
		.amdhsa_exception_fp_ieee_inexact 0
		.amdhsa_exception_int_div_zero 0
	.end_amdhsa_kernel
	.section	.text._ZN2at6native29vectorized_elementwise_kernelILi8EZZZNS0_22nan_to_num_kernel_cudaERNS_18TensorIteratorBaseESt8optionalIdES5_S5_ENKUlvE0_clEvENKUlvE0_clEvEUlfE_St5arrayIPcLm2EEEEviT0_T1_,"axG",@progbits,_ZN2at6native29vectorized_elementwise_kernelILi8EZZZNS0_22nan_to_num_kernel_cudaERNS_18TensorIteratorBaseESt8optionalIdES5_S5_ENKUlvE0_clEvENKUlvE0_clEvEUlfE_St5arrayIPcLm2EEEEviT0_T1_,comdat
.Lfunc_end515:
	.size	_ZN2at6native29vectorized_elementwise_kernelILi8EZZZNS0_22nan_to_num_kernel_cudaERNS_18TensorIteratorBaseESt8optionalIdES5_S5_ENKUlvE0_clEvENKUlvE0_clEvEUlfE_St5arrayIPcLm2EEEEviT0_T1_, .Lfunc_end515-_ZN2at6native29vectorized_elementwise_kernelILi8EZZZNS0_22nan_to_num_kernel_cudaERNS_18TensorIteratorBaseESt8optionalIdES5_S5_ENKUlvE0_clEvENKUlvE0_clEvEUlfE_St5arrayIPcLm2EEEEviT0_T1_
                                        ; -- End function
	.set _ZN2at6native29vectorized_elementwise_kernelILi8EZZZNS0_22nan_to_num_kernel_cudaERNS_18TensorIteratorBaseESt8optionalIdES5_S5_ENKUlvE0_clEvENKUlvE0_clEvEUlfE_St5arrayIPcLm2EEEEviT0_T1_.num_vgpr, 10
	.set _ZN2at6native29vectorized_elementwise_kernelILi8EZZZNS0_22nan_to_num_kernel_cudaERNS_18TensorIteratorBaseESt8optionalIdES5_S5_ENKUlvE0_clEvENKUlvE0_clEvEUlfE_St5arrayIPcLm2EEEEviT0_T1_.num_agpr, 0
	.set _ZN2at6native29vectorized_elementwise_kernelILi8EZZZNS0_22nan_to_num_kernel_cudaERNS_18TensorIteratorBaseESt8optionalIdES5_S5_ENKUlvE0_clEvENKUlvE0_clEvEUlfE_St5arrayIPcLm2EEEEviT0_T1_.numbered_sgpr, 17
	.set _ZN2at6native29vectorized_elementwise_kernelILi8EZZZNS0_22nan_to_num_kernel_cudaERNS_18TensorIteratorBaseESt8optionalIdES5_S5_ENKUlvE0_clEvENKUlvE0_clEvEUlfE_St5arrayIPcLm2EEEEviT0_T1_.num_named_barrier, 0
	.set _ZN2at6native29vectorized_elementwise_kernelILi8EZZZNS0_22nan_to_num_kernel_cudaERNS_18TensorIteratorBaseESt8optionalIdES5_S5_ENKUlvE0_clEvENKUlvE0_clEvEUlfE_St5arrayIPcLm2EEEEviT0_T1_.private_seg_size, 0
	.set _ZN2at6native29vectorized_elementwise_kernelILi8EZZZNS0_22nan_to_num_kernel_cudaERNS_18TensorIteratorBaseESt8optionalIdES5_S5_ENKUlvE0_clEvENKUlvE0_clEvEUlfE_St5arrayIPcLm2EEEEviT0_T1_.uses_vcc, 1
	.set _ZN2at6native29vectorized_elementwise_kernelILi8EZZZNS0_22nan_to_num_kernel_cudaERNS_18TensorIteratorBaseESt8optionalIdES5_S5_ENKUlvE0_clEvENKUlvE0_clEvEUlfE_St5arrayIPcLm2EEEEviT0_T1_.uses_flat_scratch, 0
	.set _ZN2at6native29vectorized_elementwise_kernelILi8EZZZNS0_22nan_to_num_kernel_cudaERNS_18TensorIteratorBaseESt8optionalIdES5_S5_ENKUlvE0_clEvENKUlvE0_clEvEUlfE_St5arrayIPcLm2EEEEviT0_T1_.has_dyn_sized_stack, 0
	.set _ZN2at6native29vectorized_elementwise_kernelILi8EZZZNS0_22nan_to_num_kernel_cudaERNS_18TensorIteratorBaseESt8optionalIdES5_S5_ENKUlvE0_clEvENKUlvE0_clEvEUlfE_St5arrayIPcLm2EEEEviT0_T1_.has_recursion, 0
	.set _ZN2at6native29vectorized_elementwise_kernelILi8EZZZNS0_22nan_to_num_kernel_cudaERNS_18TensorIteratorBaseESt8optionalIdES5_S5_ENKUlvE0_clEvENKUlvE0_clEvEUlfE_St5arrayIPcLm2EEEEviT0_T1_.has_indirect_call, 0
	.section	.AMDGPU.csdata,"",@progbits
; Kernel info:
; codeLenInByte = 1292
; TotalNumSgprs: 23
; NumVgprs: 10
; NumAgprs: 0
; TotalNumVgprs: 10
; ScratchSize: 0
; MemoryBound: 0
; FloatMode: 240
; IeeeMode: 1
; LDSByteSize: 0 bytes/workgroup (compile time only)
; SGPRBlocks: 2
; VGPRBlocks: 1
; NumSGPRsForWavesPerEU: 23
; NumVGPRsForWavesPerEU: 10
; AccumOffset: 12
; Occupancy: 8
; WaveLimiterHint : 0
; COMPUTE_PGM_RSRC2:SCRATCH_EN: 0
; COMPUTE_PGM_RSRC2:USER_SGPR: 2
; COMPUTE_PGM_RSRC2:TRAP_HANDLER: 0
; COMPUTE_PGM_RSRC2:TGID_X_EN: 1
; COMPUTE_PGM_RSRC2:TGID_Y_EN: 0
; COMPUTE_PGM_RSRC2:TGID_Z_EN: 0
; COMPUTE_PGM_RSRC2:TIDIG_COMP_CNT: 0
; COMPUTE_PGM_RSRC3_GFX90A:ACCUM_OFFSET: 2
; COMPUTE_PGM_RSRC3_GFX90A:TG_SPLIT: 0
	.section	.text._ZN2at6native29vectorized_elementwise_kernelILi4EZZZNS0_22nan_to_num_kernel_cudaERNS_18TensorIteratorBaseESt8optionalIdES5_S5_ENKUlvE0_clEvENKUlvE0_clEvEUlfE_St5arrayIPcLm2EEEEviT0_T1_,"axG",@progbits,_ZN2at6native29vectorized_elementwise_kernelILi4EZZZNS0_22nan_to_num_kernel_cudaERNS_18TensorIteratorBaseESt8optionalIdES5_S5_ENKUlvE0_clEvENKUlvE0_clEvEUlfE_St5arrayIPcLm2EEEEviT0_T1_,comdat
	.globl	_ZN2at6native29vectorized_elementwise_kernelILi4EZZZNS0_22nan_to_num_kernel_cudaERNS_18TensorIteratorBaseESt8optionalIdES5_S5_ENKUlvE0_clEvENKUlvE0_clEvEUlfE_St5arrayIPcLm2EEEEviT0_T1_ ; -- Begin function _ZN2at6native29vectorized_elementwise_kernelILi4EZZZNS0_22nan_to_num_kernel_cudaERNS_18TensorIteratorBaseESt8optionalIdES5_S5_ENKUlvE0_clEvENKUlvE0_clEvEUlfE_St5arrayIPcLm2EEEEviT0_T1_
	.p2align	8
	.type	_ZN2at6native29vectorized_elementwise_kernelILi4EZZZNS0_22nan_to_num_kernel_cudaERNS_18TensorIteratorBaseESt8optionalIdES5_S5_ENKUlvE0_clEvENKUlvE0_clEvEUlfE_St5arrayIPcLm2EEEEviT0_T1_,@function
_ZN2at6native29vectorized_elementwise_kernelILi4EZZZNS0_22nan_to_num_kernel_cudaERNS_18TensorIteratorBaseESt8optionalIdES5_S5_ENKUlvE0_clEvENKUlvE0_clEvEUlfE_St5arrayIPcLm2EEEEviT0_T1_: ; @_ZN2at6native29vectorized_elementwise_kernelILi4EZZZNS0_22nan_to_num_kernel_cudaERNS_18TensorIteratorBaseESt8optionalIdES5_S5_ENKUlvE0_clEvENKUlvE0_clEvEUlfE_St5arrayIPcLm2EEEEviT0_T1_
; %bb.0:
	s_load_dwordx8 s[4:11], s[0:1], 0x0
	s_lshl_b32 s2, s2, 10
	s_mov_b64 s[0:1], -1
	s_waitcnt lgkmcnt(0)
	s_sub_i32 s16, s4, s2
	s_cmpk_gt_i32 s16, 0x3ff
	s_cbranch_scc0 .LBB516_18
; %bb.1:
	s_ashr_i32 s3, s2, 31
	s_lshl_b64 s[0:1], s[2:3], 2
	s_add_u32 s12, s10, s0
	s_addc_u32 s13, s11, s1
	v_lshlrev_b32_e32 v1, 4, v0
	global_load_dwordx4 v[4:7], v1, s[12:13]
	v_mov_b32_e32 v2, s5
	s_waitcnt vmcnt(0)
	v_cmp_o_f32_e32 vcc, v4, v4
	s_and_saveexec_b64 s[12:13], vcc
	s_cbranch_execz .LBB516_5
; %bb.2:
	s_mov_b32 s3, 0x7f800000
	v_cmp_neq_f32_e32 vcc, s3, v4
	v_mov_b32_e32 v2, s6
	s_and_saveexec_b64 s[14:15], vcc
; %bb.3:
	s_mov_b32 s3, 0xff800000
	v_mov_b32_e32 v2, s7
	v_cmp_eq_f32_e32 vcc, s3, v4
	s_nop 1
	v_cndmask_b32_e32 v2, v4, v2, vcc
; %bb.4:
	s_or_b64 exec, exec, s[14:15]
.LBB516_5:
	s_or_b64 exec, exec, s[12:13]
	v_cmp_o_f32_e32 vcc, v5, v5
	v_mov_b32_e32 v3, s5
	s_and_saveexec_b64 s[12:13], vcc
	s_cbranch_execz .LBB516_9
; %bb.6:
	s_mov_b32 s3, 0x7f800000
	v_cmp_neq_f32_e32 vcc, s3, v5
	v_mov_b32_e32 v3, s6
	s_and_saveexec_b64 s[14:15], vcc
; %bb.7:
	s_mov_b32 s3, 0xff800000
	v_mov_b32_e32 v3, s7
	v_cmp_eq_f32_e32 vcc, s3, v5
	s_nop 1
	v_cndmask_b32_e32 v3, v5, v3, vcc
; %bb.8:
	s_or_b64 exec, exec, s[14:15]
.LBB516_9:
	s_or_b64 exec, exec, s[12:13]
	v_cmp_o_f32_e32 vcc, v6, v6
	v_mov_b32_e32 v4, s5
	;; [unrolled: 19-line block ×3, first 2 shown]
	s_and_saveexec_b64 s[12:13], vcc
	s_cbranch_execz .LBB516_17
; %bb.14:
	s_mov_b32 s3, 0x7f800000
	v_cmp_neq_f32_e32 vcc, s3, v7
	v_mov_b32_e32 v5, s6
	s_and_saveexec_b64 s[14:15], vcc
; %bb.15:
	s_mov_b32 s3, 0xff800000
	v_mov_b32_e32 v5, s7
	v_cmp_eq_f32_e32 vcc, s3, v7
	s_nop 1
	v_cndmask_b32_e32 v5, v7, v5, vcc
; %bb.16:
	s_or_b64 exec, exec, s[14:15]
.LBB516_17:
	s_or_b64 exec, exec, s[12:13]
	s_add_u32 s0, s8, s0
	s_addc_u32 s1, s9, s1
	global_store_dwordx4 v1, v[2:5], s[0:1]
	s_mov_b64 s[0:1], 0
.LBB516_18:
	s_and_b64 vcc, exec, s[0:1]
	s_cbranch_vccz .LBB516_51
; %bb.19:
	v_cmp_gt_i32_e32 vcc, s16, v0
	v_mov_b32_e32 v8, 0
	v_or_b32_e32 v6, s2, v0
	v_mov_b32_e32 v9, 0
	v_mov_b32_e32 v1, v0
	s_and_saveexec_b64 s[0:1], vcc
	s_cbranch_execz .LBB516_21
; %bb.20:
	v_mov_b32_e32 v7, 0
	v_lshl_add_u64 v[2:3], v[6:7], 2, s[10:11]
	global_load_dword v9, v[2:3], off
	v_or_b32_e32 v1, 0x100, v0
.LBB516_21:
	s_or_b64 exec, exec, s[0:1]
	v_cmp_gt_i32_e64 s[0:1], s16, v1
	s_and_saveexec_b64 s[12:13], s[0:1]
	s_cbranch_execz .LBB516_23
; %bb.22:
	v_add_u32_e32 v2, s2, v1
	v_mov_b32_e32 v3, 0
	v_lshl_add_u64 v[2:3], v[2:3], 2, s[10:11]
	global_load_dword v8, v[2:3], off
	v_add_u32_e32 v1, 0x100, v1
.LBB516_23:
	s_or_b64 exec, exec, s[12:13]
	v_cmp_gt_i32_e64 s[0:1], s16, v1
	v_mov_b32_e32 v5, 0
	v_mov_b32_e32 v7, 0
	s_and_saveexec_b64 s[12:13], s[0:1]
	s_cbranch_execz .LBB516_25
; %bb.24:
	v_add_u32_e32 v2, s2, v1
	v_mov_b32_e32 v3, 0
	v_lshl_add_u64 v[2:3], v[2:3], 2, s[10:11]
	global_load_dword v7, v[2:3], off
	v_add_u32_e32 v1, 0x100, v1
.LBB516_25:
	s_or_b64 exec, exec, s[12:13]
	v_cmp_gt_i32_e64 s[0:1], s16, v1
	s_and_saveexec_b64 s[12:13], s[0:1]
	s_cbranch_execz .LBB516_27
; %bb.26:
	v_add_u32_e32 v2, s2, v1
	v_mov_b32_e32 v3, 0
	v_lshl_add_u64 v[2:3], v[2:3], 2, s[10:11]
	global_load_dword v5, v[2:3], off
.LBB516_27:
	s_or_b64 exec, exec, s[12:13]
	v_mov_b32_e32 v2, 0
	v_mov_b32_e32 v1, v2
	;; [unrolled: 1-line block ×4, first 2 shown]
	s_and_saveexec_b64 s[10:11], vcc
	s_cbranch_execz .LBB516_33
; %bb.28:
	s_waitcnt vmcnt(0)
	v_cmp_o_f32_e64 s[0:1], v9, v9
	v_mov_b32_e32 v2, s5
	s_and_saveexec_b64 s[12:13], s[0:1]
	s_cbranch_execz .LBB516_32
; %bb.29:
	s_mov_b32 s0, 0x7f800000
	v_cmp_neq_f32_e64 s[0:1], s0, v9
	v_mov_b32_e32 v2, s6
	s_and_saveexec_b64 s[14:15], s[0:1]
; %bb.30:
	s_mov_b32 s0, 0xff800000
	v_mov_b32_e32 v1, s7
	v_cmp_eq_f32_e64 s[0:1], s0, v9
	s_nop 1
	v_cndmask_b32_e64 v2, v9, v1, s[0:1]
; %bb.31:
	s_or_b64 exec, exec, s[14:15]
.LBB516_32:
	s_or_b64 exec, exec, s[12:13]
	v_mov_b32_e32 v1, 0
	v_mov_b32_e32 v4, v1
	v_mov_b32_e32 v3, v1
.LBB516_33:
	s_or_b64 exec, exec, s[10:11]
	s_waitcnt vmcnt(0)
	v_or_b32_e32 v9, 0x100, v0
	v_cmp_gt_i32_e64 s[0:1], s16, v9
	s_and_saveexec_b64 s[10:11], s[0:1]
	s_cbranch_execz .LBB516_39
; %bb.34:
	v_cmp_o_f32_e64 s[0:1], v8, v8
	v_mov_b32_e32 v1, s5
	s_and_saveexec_b64 s[12:13], s[0:1]
	s_cbranch_execz .LBB516_38
; %bb.35:
	s_mov_b32 s0, 0x7f800000
	v_cmp_neq_f32_e64 s[0:1], s0, v8
	v_mov_b32_e32 v1, s6
	s_and_saveexec_b64 s[14:15], s[0:1]
; %bb.36:
	s_mov_b32 s0, 0xff800000
	v_mov_b32_e32 v1, s7
	v_cmp_eq_f32_e64 s[0:1], s0, v8
	s_nop 1
	v_cndmask_b32_e64 v1, v8, v1, s[0:1]
; %bb.37:
	s_or_b64 exec, exec, s[14:15]
.LBB516_38:
	s_or_b64 exec, exec, s[12:13]
.LBB516_39:
	s_or_b64 exec, exec, s[10:11]
	v_or_b32_e32 v8, 0x200, v0
	v_cmp_gt_i32_e64 s[0:1], s16, v8
	s_and_saveexec_b64 s[10:11], s[0:1]
	s_cbranch_execz .LBB516_45
; %bb.40:
	v_cmp_o_f32_e64 s[0:1], v7, v7
	v_mov_b32_e32 v4, s5
	s_and_saveexec_b64 s[12:13], s[0:1]
	s_cbranch_execz .LBB516_44
; %bb.41:
	s_mov_b32 s0, 0x7f800000
	v_cmp_neq_f32_e64 s[0:1], s0, v7
	v_mov_b32_e32 v4, s6
	s_and_saveexec_b64 s[14:15], s[0:1]
; %bb.42:
	s_mov_b32 s0, 0xff800000
	v_mov_b32_e32 v4, s7
	v_cmp_eq_f32_e64 s[0:1], s0, v7
	s_nop 1
	v_cndmask_b32_e64 v4, v7, v4, s[0:1]
; %bb.43:
	s_or_b64 exec, exec, s[14:15]
.LBB516_44:
	s_or_b64 exec, exec, s[12:13]
.LBB516_45:
	s_or_b64 exec, exec, s[10:11]
	v_or_b32_e32 v7, 0x300, v0
	v_cmp_gt_i32_e64 s[0:1], s16, v7
	s_and_saveexec_b64 s[10:11], s[0:1]
	s_cbranch_execnz .LBB516_52
; %bb.46:
	s_or_b64 exec, exec, s[10:11]
	s_and_saveexec_b64 s[0:1], vcc
	s_xor_b64 s[0:1], exec, s[0:1]
	s_cbranch_execnz .LBB516_57
.LBB516_47:
	s_or_b64 exec, exec, s[0:1]
	v_cmp_gt_i32_e32 vcc, s16, v0
	s_and_saveexec_b64 s[0:1], vcc
	s_cbranch_execnz .LBB516_58
.LBB516_48:
	s_or_b64 exec, exec, s[0:1]
	v_cmp_gt_i32_e32 vcc, s16, v0
	s_and_saveexec_b64 s[0:1], vcc
	s_cbranch_execnz .LBB516_59
.LBB516_49:
	s_or_b64 exec, exec, s[0:1]
	v_cmp_gt_i32_e32 vcc, s16, v0
	s_and_saveexec_b64 s[0:1], vcc
	s_cbranch_execz .LBB516_51
.LBB516_50:
	v_add_u32_e32 v0, s2, v0
	v_mov_b32_e32 v1, 0
	v_lshl_add_u64 v[0:1], v[0:1], 2, s[8:9]
	global_store_dword v[0:1], v3, off
.LBB516_51:
	s_endpgm
.LBB516_52:
	v_cmp_o_f32_e64 s[0:1], v5, v5
	v_mov_b32_e32 v3, s5
	s_and_saveexec_b64 s[4:5], s[0:1]
	s_cbranch_execz .LBB516_56
; %bb.53:
	s_mov_b32 s0, 0x7f800000
	v_cmp_neq_f32_e64 s[0:1], s0, v5
	v_mov_b32_e32 v3, s6
	s_and_saveexec_b64 s[12:13], s[0:1]
; %bb.54:
	s_mov_b32 s0, 0xff800000
	v_mov_b32_e32 v3, s7
	v_cmp_eq_f32_e64 s[0:1], s0, v5
	s_nop 1
	v_cndmask_b32_e64 v3, v5, v3, s[0:1]
; %bb.55:
	s_or_b64 exec, exec, s[12:13]
.LBB516_56:
	s_or_b64 exec, exec, s[4:5]
	s_or_b64 exec, exec, s[10:11]
	s_and_saveexec_b64 s[0:1], vcc
	s_xor_b64 s[0:1], exec, s[0:1]
	s_cbranch_execz .LBB516_47
.LBB516_57:
	v_mov_b32_e32 v7, 0
	v_lshl_add_u64 v[6:7], v[6:7], 2, s[8:9]
	v_mov_b32_e32 v0, v9
	global_store_dword v[6:7], v2, off
	s_or_b64 exec, exec, s[0:1]
	v_cmp_gt_i32_e32 vcc, s16, v0
	s_and_saveexec_b64 s[0:1], vcc
	s_cbranch_execz .LBB516_48
.LBB516_58:
	v_add_u32_e32 v6, s2, v0
	v_mov_b32_e32 v7, 0
	v_lshl_add_u64 v[6:7], v[6:7], 2, s[8:9]
	v_add_u32_e32 v0, 0x100, v0
	global_store_dword v[6:7], v1, off
	s_or_b64 exec, exec, s[0:1]
	v_cmp_gt_i32_e32 vcc, s16, v0
	s_and_saveexec_b64 s[0:1], vcc
	s_cbranch_execz .LBB516_49
.LBB516_59:
	v_add_u32_e32 v6, s2, v0
	v_mov_b32_e32 v7, 0
	v_lshl_add_u64 v[6:7], v[6:7], 2, s[8:9]
	v_add_u32_e32 v0, 0x100, v0
	global_store_dword v[6:7], v4, off
	s_or_b64 exec, exec, s[0:1]
	v_cmp_gt_i32_e32 vcc, s16, v0
	s_and_saveexec_b64 s[0:1], vcc
	s_cbranch_execnz .LBB516_50
	s_branch .LBB516_51
	.section	.rodata,"a",@progbits
	.p2align	6, 0x0
	.amdhsa_kernel _ZN2at6native29vectorized_elementwise_kernelILi4EZZZNS0_22nan_to_num_kernel_cudaERNS_18TensorIteratorBaseESt8optionalIdES5_S5_ENKUlvE0_clEvENKUlvE0_clEvEUlfE_St5arrayIPcLm2EEEEviT0_T1_
		.amdhsa_group_segment_fixed_size 0
		.amdhsa_private_segment_fixed_size 0
		.amdhsa_kernarg_size 32
		.amdhsa_user_sgpr_count 2
		.amdhsa_user_sgpr_dispatch_ptr 0
		.amdhsa_user_sgpr_queue_ptr 0
		.amdhsa_user_sgpr_kernarg_segment_ptr 1
		.amdhsa_user_sgpr_dispatch_id 0
		.amdhsa_user_sgpr_kernarg_preload_length 0
		.amdhsa_user_sgpr_kernarg_preload_offset 0
		.amdhsa_user_sgpr_private_segment_size 0
		.amdhsa_uses_dynamic_stack 0
		.amdhsa_enable_private_segment 0
		.amdhsa_system_sgpr_workgroup_id_x 1
		.amdhsa_system_sgpr_workgroup_id_y 0
		.amdhsa_system_sgpr_workgroup_id_z 0
		.amdhsa_system_sgpr_workgroup_info 0
		.amdhsa_system_vgpr_workitem_id 0
		.amdhsa_next_free_vgpr 10
		.amdhsa_next_free_sgpr 17
		.amdhsa_accum_offset 12
		.amdhsa_reserve_vcc 1
		.amdhsa_float_round_mode_32 0
		.amdhsa_float_round_mode_16_64 0
		.amdhsa_float_denorm_mode_32 3
		.amdhsa_float_denorm_mode_16_64 3
		.amdhsa_dx10_clamp 1
		.amdhsa_ieee_mode 1
		.amdhsa_fp16_overflow 0
		.amdhsa_tg_split 0
		.amdhsa_exception_fp_ieee_invalid_op 0
		.amdhsa_exception_fp_denorm_src 0
		.amdhsa_exception_fp_ieee_div_zero 0
		.amdhsa_exception_fp_ieee_overflow 0
		.amdhsa_exception_fp_ieee_underflow 0
		.amdhsa_exception_fp_ieee_inexact 0
		.amdhsa_exception_int_div_zero 0
	.end_amdhsa_kernel
	.section	.text._ZN2at6native29vectorized_elementwise_kernelILi4EZZZNS0_22nan_to_num_kernel_cudaERNS_18TensorIteratorBaseESt8optionalIdES5_S5_ENKUlvE0_clEvENKUlvE0_clEvEUlfE_St5arrayIPcLm2EEEEviT0_T1_,"axG",@progbits,_ZN2at6native29vectorized_elementwise_kernelILi4EZZZNS0_22nan_to_num_kernel_cudaERNS_18TensorIteratorBaseESt8optionalIdES5_S5_ENKUlvE0_clEvENKUlvE0_clEvEUlfE_St5arrayIPcLm2EEEEviT0_T1_,comdat
.Lfunc_end516:
	.size	_ZN2at6native29vectorized_elementwise_kernelILi4EZZZNS0_22nan_to_num_kernel_cudaERNS_18TensorIteratorBaseESt8optionalIdES5_S5_ENKUlvE0_clEvENKUlvE0_clEvEUlfE_St5arrayIPcLm2EEEEviT0_T1_, .Lfunc_end516-_ZN2at6native29vectorized_elementwise_kernelILi4EZZZNS0_22nan_to_num_kernel_cudaERNS_18TensorIteratorBaseESt8optionalIdES5_S5_ENKUlvE0_clEvENKUlvE0_clEvEUlfE_St5arrayIPcLm2EEEEviT0_T1_
                                        ; -- End function
	.set _ZN2at6native29vectorized_elementwise_kernelILi4EZZZNS0_22nan_to_num_kernel_cudaERNS_18TensorIteratorBaseESt8optionalIdES5_S5_ENKUlvE0_clEvENKUlvE0_clEvEUlfE_St5arrayIPcLm2EEEEviT0_T1_.num_vgpr, 10
	.set _ZN2at6native29vectorized_elementwise_kernelILi4EZZZNS0_22nan_to_num_kernel_cudaERNS_18TensorIteratorBaseESt8optionalIdES5_S5_ENKUlvE0_clEvENKUlvE0_clEvEUlfE_St5arrayIPcLm2EEEEviT0_T1_.num_agpr, 0
	.set _ZN2at6native29vectorized_elementwise_kernelILi4EZZZNS0_22nan_to_num_kernel_cudaERNS_18TensorIteratorBaseESt8optionalIdES5_S5_ENKUlvE0_clEvENKUlvE0_clEvEUlfE_St5arrayIPcLm2EEEEviT0_T1_.numbered_sgpr, 17
	.set _ZN2at6native29vectorized_elementwise_kernelILi4EZZZNS0_22nan_to_num_kernel_cudaERNS_18TensorIteratorBaseESt8optionalIdES5_S5_ENKUlvE0_clEvENKUlvE0_clEvEUlfE_St5arrayIPcLm2EEEEviT0_T1_.num_named_barrier, 0
	.set _ZN2at6native29vectorized_elementwise_kernelILi4EZZZNS0_22nan_to_num_kernel_cudaERNS_18TensorIteratorBaseESt8optionalIdES5_S5_ENKUlvE0_clEvENKUlvE0_clEvEUlfE_St5arrayIPcLm2EEEEviT0_T1_.private_seg_size, 0
	.set _ZN2at6native29vectorized_elementwise_kernelILi4EZZZNS0_22nan_to_num_kernel_cudaERNS_18TensorIteratorBaseESt8optionalIdES5_S5_ENKUlvE0_clEvENKUlvE0_clEvEUlfE_St5arrayIPcLm2EEEEviT0_T1_.uses_vcc, 1
	.set _ZN2at6native29vectorized_elementwise_kernelILi4EZZZNS0_22nan_to_num_kernel_cudaERNS_18TensorIteratorBaseESt8optionalIdES5_S5_ENKUlvE0_clEvENKUlvE0_clEvEUlfE_St5arrayIPcLm2EEEEviT0_T1_.uses_flat_scratch, 0
	.set _ZN2at6native29vectorized_elementwise_kernelILi4EZZZNS0_22nan_to_num_kernel_cudaERNS_18TensorIteratorBaseESt8optionalIdES5_S5_ENKUlvE0_clEvENKUlvE0_clEvEUlfE_St5arrayIPcLm2EEEEviT0_T1_.has_dyn_sized_stack, 0
	.set _ZN2at6native29vectorized_elementwise_kernelILi4EZZZNS0_22nan_to_num_kernel_cudaERNS_18TensorIteratorBaseESt8optionalIdES5_S5_ENKUlvE0_clEvENKUlvE0_clEvEUlfE_St5arrayIPcLm2EEEEviT0_T1_.has_recursion, 0
	.set _ZN2at6native29vectorized_elementwise_kernelILi4EZZZNS0_22nan_to_num_kernel_cudaERNS_18TensorIteratorBaseESt8optionalIdES5_S5_ENKUlvE0_clEvENKUlvE0_clEvEUlfE_St5arrayIPcLm2EEEEviT0_T1_.has_indirect_call, 0
	.section	.AMDGPU.csdata,"",@progbits
; Kernel info:
; codeLenInByte = 1292
; TotalNumSgprs: 23
; NumVgprs: 10
; NumAgprs: 0
; TotalNumVgprs: 10
; ScratchSize: 0
; MemoryBound: 0
; FloatMode: 240
; IeeeMode: 1
; LDSByteSize: 0 bytes/workgroup (compile time only)
; SGPRBlocks: 2
; VGPRBlocks: 1
; NumSGPRsForWavesPerEU: 23
; NumVGPRsForWavesPerEU: 10
; AccumOffset: 12
; Occupancy: 8
; WaveLimiterHint : 0
; COMPUTE_PGM_RSRC2:SCRATCH_EN: 0
; COMPUTE_PGM_RSRC2:USER_SGPR: 2
; COMPUTE_PGM_RSRC2:TRAP_HANDLER: 0
; COMPUTE_PGM_RSRC2:TGID_X_EN: 1
; COMPUTE_PGM_RSRC2:TGID_Y_EN: 0
; COMPUTE_PGM_RSRC2:TGID_Z_EN: 0
; COMPUTE_PGM_RSRC2:TIDIG_COMP_CNT: 0
; COMPUTE_PGM_RSRC3_GFX90A:ACCUM_OFFSET: 2
; COMPUTE_PGM_RSRC3_GFX90A:TG_SPLIT: 0
	.section	.text._ZN2at6native29vectorized_elementwise_kernelILi2EZZZNS0_22nan_to_num_kernel_cudaERNS_18TensorIteratorBaseESt8optionalIdES5_S5_ENKUlvE0_clEvENKUlvE0_clEvEUlfE_St5arrayIPcLm2EEEEviT0_T1_,"axG",@progbits,_ZN2at6native29vectorized_elementwise_kernelILi2EZZZNS0_22nan_to_num_kernel_cudaERNS_18TensorIteratorBaseESt8optionalIdES5_S5_ENKUlvE0_clEvENKUlvE0_clEvEUlfE_St5arrayIPcLm2EEEEviT0_T1_,comdat
	.globl	_ZN2at6native29vectorized_elementwise_kernelILi2EZZZNS0_22nan_to_num_kernel_cudaERNS_18TensorIteratorBaseESt8optionalIdES5_S5_ENKUlvE0_clEvENKUlvE0_clEvEUlfE_St5arrayIPcLm2EEEEviT0_T1_ ; -- Begin function _ZN2at6native29vectorized_elementwise_kernelILi2EZZZNS0_22nan_to_num_kernel_cudaERNS_18TensorIteratorBaseESt8optionalIdES5_S5_ENKUlvE0_clEvENKUlvE0_clEvEUlfE_St5arrayIPcLm2EEEEviT0_T1_
	.p2align	8
	.type	_ZN2at6native29vectorized_elementwise_kernelILi2EZZZNS0_22nan_to_num_kernel_cudaERNS_18TensorIteratorBaseESt8optionalIdES5_S5_ENKUlvE0_clEvENKUlvE0_clEvEUlfE_St5arrayIPcLm2EEEEviT0_T1_,@function
_ZN2at6native29vectorized_elementwise_kernelILi2EZZZNS0_22nan_to_num_kernel_cudaERNS_18TensorIteratorBaseESt8optionalIdES5_S5_ENKUlvE0_clEvENKUlvE0_clEvEUlfE_St5arrayIPcLm2EEEEviT0_T1_: ; @_ZN2at6native29vectorized_elementwise_kernelILi2EZZZNS0_22nan_to_num_kernel_cudaERNS_18TensorIteratorBaseESt8optionalIdES5_S5_ENKUlvE0_clEvENKUlvE0_clEvEUlfE_St5arrayIPcLm2EEEEviT0_T1_
; %bb.0:
	s_load_dwordx8 s[4:11], s[0:1], 0x0
	s_lshl_b32 s2, s2, 10
	s_mov_b64 s[0:1], -1
	s_waitcnt lgkmcnt(0)
	s_sub_i32 s16, s4, s2
	s_cmpk_gt_i32 s16, 0x3ff
	s_cbranch_scc0 .LBB517_18
; %bb.1:
	s_ashr_i32 s3, s2, 31
	s_lshl_b64 s[0:1], s[2:3], 2
	s_add_u32 s12, s10, s0
	s_addc_u32 s13, s11, s1
	v_lshlrev_b32_e32 v1, 3, v0
	global_load_dwordx2 v[6:7], v1, s[12:13]
	global_load_dwordx2 v[4:5], v1, s[12:13] offset:2048
	v_mov_b32_e32 v2, s5
	s_waitcnt vmcnt(1)
	v_cmp_o_f32_e32 vcc, v6, v6
	s_and_saveexec_b64 s[12:13], vcc
	s_cbranch_execz .LBB517_5
; %bb.2:
	s_mov_b32 s3, 0x7f800000
	v_cmp_neq_f32_e32 vcc, s3, v6
	v_mov_b32_e32 v2, s6
	s_and_saveexec_b64 s[14:15], vcc
; %bb.3:
	s_mov_b32 s3, 0xff800000
	v_mov_b32_e32 v2, s7
	v_cmp_eq_f32_e32 vcc, s3, v6
	s_nop 1
	v_cndmask_b32_e32 v2, v6, v2, vcc
; %bb.4:
	s_or_b64 exec, exec, s[14:15]
.LBB517_5:
	s_or_b64 exec, exec, s[12:13]
	v_cmp_o_f32_e32 vcc, v7, v7
	v_mov_b32_e32 v3, s5
	s_and_saveexec_b64 s[12:13], vcc
	s_cbranch_execz .LBB517_9
; %bb.6:
	s_mov_b32 s3, 0x7f800000
	v_cmp_neq_f32_e32 vcc, s3, v7
	v_mov_b32_e32 v3, s6
	s_and_saveexec_b64 s[14:15], vcc
; %bb.7:
	s_mov_b32 s3, 0xff800000
	v_mov_b32_e32 v3, s7
	v_cmp_eq_f32_e32 vcc, s3, v7
	s_nop 1
	v_cndmask_b32_e32 v3, v7, v3, vcc
; %bb.8:
	s_or_b64 exec, exec, s[14:15]
.LBB517_9:
	s_or_b64 exec, exec, s[12:13]
	s_waitcnt vmcnt(0)
	v_cmp_o_f32_e32 vcc, v4, v4
	v_mov_b32_e32 v6, s5
	s_and_saveexec_b64 s[12:13], vcc
	s_cbranch_execz .LBB517_13
; %bb.10:
	s_mov_b32 s3, 0x7f800000
	v_cmp_neq_f32_e32 vcc, s3, v4
	v_mov_b32_e32 v6, s6
	s_and_saveexec_b64 s[14:15], vcc
; %bb.11:
	s_mov_b32 s3, 0xff800000
	v_mov_b32_e32 v6, s7
	v_cmp_eq_f32_e32 vcc, s3, v4
	s_nop 1
	v_cndmask_b32_e32 v6, v4, v6, vcc
; %bb.12:
	s_or_b64 exec, exec, s[14:15]
.LBB517_13:
	s_or_b64 exec, exec, s[12:13]
	v_cmp_o_f32_e32 vcc, v5, v5
	v_mov_b32_e32 v7, s5
	s_and_saveexec_b64 s[12:13], vcc
	s_cbranch_execz .LBB517_17
; %bb.14:
	s_mov_b32 s3, 0x7f800000
	v_cmp_neq_f32_e32 vcc, s3, v5
	v_mov_b32_e32 v7, s6
	s_and_saveexec_b64 s[14:15], vcc
; %bb.15:
	s_mov_b32 s3, 0xff800000
	v_mov_b32_e32 v4, s7
	v_cmp_eq_f32_e32 vcc, s3, v5
	s_nop 1
	v_cndmask_b32_e32 v7, v5, v4, vcc
; %bb.16:
	s_or_b64 exec, exec, s[14:15]
.LBB517_17:
	s_or_b64 exec, exec, s[12:13]
	s_add_u32 s0, s8, s0
	s_addc_u32 s1, s9, s1
	global_store_dwordx2 v1, v[2:3], s[0:1]
	global_store_dwordx2 v1, v[6:7], s[0:1] offset:2048
	s_mov_b64 s[0:1], 0
.LBB517_18:
	s_and_b64 vcc, exec, s[0:1]
	s_cbranch_vccz .LBB517_51
; %bb.19:
	v_cmp_gt_i32_e32 vcc, s16, v0
	v_mov_b32_e32 v8, 0
	v_or_b32_e32 v6, s2, v0
	v_mov_b32_e32 v9, 0
	v_mov_b32_e32 v1, v0
	s_and_saveexec_b64 s[0:1], vcc
	s_cbranch_execz .LBB517_21
; %bb.20:
	v_mov_b32_e32 v7, 0
	v_lshl_add_u64 v[2:3], v[6:7], 2, s[10:11]
	global_load_dword v9, v[2:3], off
	v_or_b32_e32 v1, 0x100, v0
.LBB517_21:
	s_or_b64 exec, exec, s[0:1]
	v_cmp_gt_i32_e64 s[0:1], s16, v1
	s_and_saveexec_b64 s[12:13], s[0:1]
	s_cbranch_execz .LBB517_23
; %bb.22:
	v_add_u32_e32 v2, s2, v1
	v_mov_b32_e32 v3, 0
	v_lshl_add_u64 v[2:3], v[2:3], 2, s[10:11]
	global_load_dword v8, v[2:3], off
	v_add_u32_e32 v1, 0x100, v1
.LBB517_23:
	s_or_b64 exec, exec, s[12:13]
	v_cmp_gt_i32_e64 s[0:1], s16, v1
	v_mov_b32_e32 v5, 0
	v_mov_b32_e32 v7, 0
	s_and_saveexec_b64 s[12:13], s[0:1]
	s_cbranch_execz .LBB517_25
; %bb.24:
	v_add_u32_e32 v2, s2, v1
	v_mov_b32_e32 v3, 0
	v_lshl_add_u64 v[2:3], v[2:3], 2, s[10:11]
	global_load_dword v7, v[2:3], off
	v_add_u32_e32 v1, 0x100, v1
.LBB517_25:
	s_or_b64 exec, exec, s[12:13]
	v_cmp_gt_i32_e64 s[0:1], s16, v1
	s_and_saveexec_b64 s[12:13], s[0:1]
	s_cbranch_execz .LBB517_27
; %bb.26:
	v_add_u32_e32 v2, s2, v1
	v_mov_b32_e32 v3, 0
	v_lshl_add_u64 v[2:3], v[2:3], 2, s[10:11]
	global_load_dword v5, v[2:3], off
.LBB517_27:
	s_or_b64 exec, exec, s[12:13]
	v_mov_b32_e32 v2, 0
	v_mov_b32_e32 v1, v2
	;; [unrolled: 1-line block ×4, first 2 shown]
	s_and_saveexec_b64 s[10:11], vcc
	s_cbranch_execz .LBB517_33
; %bb.28:
	s_waitcnt vmcnt(0)
	v_cmp_o_f32_e64 s[0:1], v9, v9
	v_mov_b32_e32 v2, s5
	s_and_saveexec_b64 s[12:13], s[0:1]
	s_cbranch_execz .LBB517_32
; %bb.29:
	s_mov_b32 s0, 0x7f800000
	v_cmp_neq_f32_e64 s[0:1], s0, v9
	v_mov_b32_e32 v2, s6
	s_and_saveexec_b64 s[14:15], s[0:1]
; %bb.30:
	s_mov_b32 s0, 0xff800000
	v_mov_b32_e32 v1, s7
	v_cmp_eq_f32_e64 s[0:1], s0, v9
	s_nop 1
	v_cndmask_b32_e64 v2, v9, v1, s[0:1]
; %bb.31:
	s_or_b64 exec, exec, s[14:15]
.LBB517_32:
	s_or_b64 exec, exec, s[12:13]
	v_mov_b32_e32 v1, 0
	v_mov_b32_e32 v4, v1
	;; [unrolled: 1-line block ×3, first 2 shown]
.LBB517_33:
	s_or_b64 exec, exec, s[10:11]
	s_waitcnt vmcnt(0)
	v_or_b32_e32 v9, 0x100, v0
	v_cmp_gt_i32_e64 s[0:1], s16, v9
	s_and_saveexec_b64 s[10:11], s[0:1]
	s_cbranch_execz .LBB517_39
; %bb.34:
	v_cmp_o_f32_e64 s[0:1], v8, v8
	v_mov_b32_e32 v1, s5
	s_and_saveexec_b64 s[12:13], s[0:1]
	s_cbranch_execz .LBB517_38
; %bb.35:
	s_mov_b32 s0, 0x7f800000
	v_cmp_neq_f32_e64 s[0:1], s0, v8
	v_mov_b32_e32 v1, s6
	s_and_saveexec_b64 s[14:15], s[0:1]
; %bb.36:
	s_mov_b32 s0, 0xff800000
	v_mov_b32_e32 v1, s7
	v_cmp_eq_f32_e64 s[0:1], s0, v8
	s_nop 1
	v_cndmask_b32_e64 v1, v8, v1, s[0:1]
; %bb.37:
	s_or_b64 exec, exec, s[14:15]
.LBB517_38:
	s_or_b64 exec, exec, s[12:13]
.LBB517_39:
	s_or_b64 exec, exec, s[10:11]
	v_or_b32_e32 v8, 0x200, v0
	v_cmp_gt_i32_e64 s[0:1], s16, v8
	s_and_saveexec_b64 s[10:11], s[0:1]
	s_cbranch_execz .LBB517_45
; %bb.40:
	v_cmp_o_f32_e64 s[0:1], v7, v7
	v_mov_b32_e32 v4, s5
	s_and_saveexec_b64 s[12:13], s[0:1]
	s_cbranch_execz .LBB517_44
; %bb.41:
	s_mov_b32 s0, 0x7f800000
	v_cmp_neq_f32_e64 s[0:1], s0, v7
	v_mov_b32_e32 v4, s6
	s_and_saveexec_b64 s[14:15], s[0:1]
; %bb.42:
	s_mov_b32 s0, 0xff800000
	v_mov_b32_e32 v4, s7
	v_cmp_eq_f32_e64 s[0:1], s0, v7
	s_nop 1
	v_cndmask_b32_e64 v4, v7, v4, s[0:1]
; %bb.43:
	s_or_b64 exec, exec, s[14:15]
.LBB517_44:
	s_or_b64 exec, exec, s[12:13]
.LBB517_45:
	s_or_b64 exec, exec, s[10:11]
	v_or_b32_e32 v7, 0x300, v0
	v_cmp_gt_i32_e64 s[0:1], s16, v7
	s_and_saveexec_b64 s[10:11], s[0:1]
	s_cbranch_execnz .LBB517_52
; %bb.46:
	s_or_b64 exec, exec, s[10:11]
	s_and_saveexec_b64 s[0:1], vcc
	s_xor_b64 s[0:1], exec, s[0:1]
	s_cbranch_execnz .LBB517_57
.LBB517_47:
	s_or_b64 exec, exec, s[0:1]
	v_cmp_gt_i32_e32 vcc, s16, v0
	s_and_saveexec_b64 s[0:1], vcc
	s_cbranch_execnz .LBB517_58
.LBB517_48:
	s_or_b64 exec, exec, s[0:1]
	v_cmp_gt_i32_e32 vcc, s16, v0
	s_and_saveexec_b64 s[0:1], vcc
	s_cbranch_execnz .LBB517_59
.LBB517_49:
	s_or_b64 exec, exec, s[0:1]
	v_cmp_gt_i32_e32 vcc, s16, v0
	s_and_saveexec_b64 s[0:1], vcc
	s_cbranch_execz .LBB517_51
.LBB517_50:
	v_add_u32_e32 v0, s2, v0
	v_mov_b32_e32 v1, 0
	v_lshl_add_u64 v[0:1], v[0:1], 2, s[8:9]
	global_store_dword v[0:1], v3, off
.LBB517_51:
	s_endpgm
.LBB517_52:
	v_cmp_o_f32_e64 s[0:1], v5, v5
	v_mov_b32_e32 v3, s5
	s_and_saveexec_b64 s[4:5], s[0:1]
	s_cbranch_execz .LBB517_56
; %bb.53:
	s_mov_b32 s0, 0x7f800000
	v_cmp_neq_f32_e64 s[0:1], s0, v5
	v_mov_b32_e32 v3, s6
	s_and_saveexec_b64 s[12:13], s[0:1]
; %bb.54:
	s_mov_b32 s0, 0xff800000
	v_mov_b32_e32 v3, s7
	v_cmp_eq_f32_e64 s[0:1], s0, v5
	s_nop 1
	v_cndmask_b32_e64 v3, v5, v3, s[0:1]
; %bb.55:
	s_or_b64 exec, exec, s[12:13]
.LBB517_56:
	s_or_b64 exec, exec, s[4:5]
	s_or_b64 exec, exec, s[10:11]
	s_and_saveexec_b64 s[0:1], vcc
	s_xor_b64 s[0:1], exec, s[0:1]
	s_cbranch_execz .LBB517_47
.LBB517_57:
	v_mov_b32_e32 v7, 0
	v_lshl_add_u64 v[6:7], v[6:7], 2, s[8:9]
	v_mov_b32_e32 v0, v9
	global_store_dword v[6:7], v2, off
	s_or_b64 exec, exec, s[0:1]
	v_cmp_gt_i32_e32 vcc, s16, v0
	s_and_saveexec_b64 s[0:1], vcc
	s_cbranch_execz .LBB517_48
.LBB517_58:
	v_add_u32_e32 v6, s2, v0
	v_mov_b32_e32 v7, 0
	v_lshl_add_u64 v[6:7], v[6:7], 2, s[8:9]
	v_add_u32_e32 v0, 0x100, v0
	global_store_dword v[6:7], v1, off
	s_or_b64 exec, exec, s[0:1]
	v_cmp_gt_i32_e32 vcc, s16, v0
	s_and_saveexec_b64 s[0:1], vcc
	s_cbranch_execz .LBB517_49
.LBB517_59:
	v_add_u32_e32 v6, s2, v0
	v_mov_b32_e32 v7, 0
	v_lshl_add_u64 v[6:7], v[6:7], 2, s[8:9]
	v_add_u32_e32 v0, 0x100, v0
	global_store_dword v[6:7], v4, off
	s_or_b64 exec, exec, s[0:1]
	v_cmp_gt_i32_e32 vcc, s16, v0
	s_and_saveexec_b64 s[0:1], vcc
	s_cbranch_execnz .LBB517_50
	s_branch .LBB517_51
	.section	.rodata,"a",@progbits
	.p2align	6, 0x0
	.amdhsa_kernel _ZN2at6native29vectorized_elementwise_kernelILi2EZZZNS0_22nan_to_num_kernel_cudaERNS_18TensorIteratorBaseESt8optionalIdES5_S5_ENKUlvE0_clEvENKUlvE0_clEvEUlfE_St5arrayIPcLm2EEEEviT0_T1_
		.amdhsa_group_segment_fixed_size 0
		.amdhsa_private_segment_fixed_size 0
		.amdhsa_kernarg_size 32
		.amdhsa_user_sgpr_count 2
		.amdhsa_user_sgpr_dispatch_ptr 0
		.amdhsa_user_sgpr_queue_ptr 0
		.amdhsa_user_sgpr_kernarg_segment_ptr 1
		.amdhsa_user_sgpr_dispatch_id 0
		.amdhsa_user_sgpr_kernarg_preload_length 0
		.amdhsa_user_sgpr_kernarg_preload_offset 0
		.amdhsa_user_sgpr_private_segment_size 0
		.amdhsa_uses_dynamic_stack 0
		.amdhsa_enable_private_segment 0
		.amdhsa_system_sgpr_workgroup_id_x 1
		.amdhsa_system_sgpr_workgroup_id_y 0
		.amdhsa_system_sgpr_workgroup_id_z 0
		.amdhsa_system_sgpr_workgroup_info 0
		.amdhsa_system_vgpr_workitem_id 0
		.amdhsa_next_free_vgpr 10
		.amdhsa_next_free_sgpr 17
		.amdhsa_accum_offset 12
		.amdhsa_reserve_vcc 1
		.amdhsa_float_round_mode_32 0
		.amdhsa_float_round_mode_16_64 0
		.amdhsa_float_denorm_mode_32 3
		.amdhsa_float_denorm_mode_16_64 3
		.amdhsa_dx10_clamp 1
		.amdhsa_ieee_mode 1
		.amdhsa_fp16_overflow 0
		.amdhsa_tg_split 0
		.amdhsa_exception_fp_ieee_invalid_op 0
		.amdhsa_exception_fp_denorm_src 0
		.amdhsa_exception_fp_ieee_div_zero 0
		.amdhsa_exception_fp_ieee_overflow 0
		.amdhsa_exception_fp_ieee_underflow 0
		.amdhsa_exception_fp_ieee_inexact 0
		.amdhsa_exception_int_div_zero 0
	.end_amdhsa_kernel
	.section	.text._ZN2at6native29vectorized_elementwise_kernelILi2EZZZNS0_22nan_to_num_kernel_cudaERNS_18TensorIteratorBaseESt8optionalIdES5_S5_ENKUlvE0_clEvENKUlvE0_clEvEUlfE_St5arrayIPcLm2EEEEviT0_T1_,"axG",@progbits,_ZN2at6native29vectorized_elementwise_kernelILi2EZZZNS0_22nan_to_num_kernel_cudaERNS_18TensorIteratorBaseESt8optionalIdES5_S5_ENKUlvE0_clEvENKUlvE0_clEvEUlfE_St5arrayIPcLm2EEEEviT0_T1_,comdat
.Lfunc_end517:
	.size	_ZN2at6native29vectorized_elementwise_kernelILi2EZZZNS0_22nan_to_num_kernel_cudaERNS_18TensorIteratorBaseESt8optionalIdES5_S5_ENKUlvE0_clEvENKUlvE0_clEvEUlfE_St5arrayIPcLm2EEEEviT0_T1_, .Lfunc_end517-_ZN2at6native29vectorized_elementwise_kernelILi2EZZZNS0_22nan_to_num_kernel_cudaERNS_18TensorIteratorBaseESt8optionalIdES5_S5_ENKUlvE0_clEvENKUlvE0_clEvEUlfE_St5arrayIPcLm2EEEEviT0_T1_
                                        ; -- End function
	.set _ZN2at6native29vectorized_elementwise_kernelILi2EZZZNS0_22nan_to_num_kernel_cudaERNS_18TensorIteratorBaseESt8optionalIdES5_S5_ENKUlvE0_clEvENKUlvE0_clEvEUlfE_St5arrayIPcLm2EEEEviT0_T1_.num_vgpr, 10
	.set _ZN2at6native29vectorized_elementwise_kernelILi2EZZZNS0_22nan_to_num_kernel_cudaERNS_18TensorIteratorBaseESt8optionalIdES5_S5_ENKUlvE0_clEvENKUlvE0_clEvEUlfE_St5arrayIPcLm2EEEEviT0_T1_.num_agpr, 0
	.set _ZN2at6native29vectorized_elementwise_kernelILi2EZZZNS0_22nan_to_num_kernel_cudaERNS_18TensorIteratorBaseESt8optionalIdES5_S5_ENKUlvE0_clEvENKUlvE0_clEvEUlfE_St5arrayIPcLm2EEEEviT0_T1_.numbered_sgpr, 17
	.set _ZN2at6native29vectorized_elementwise_kernelILi2EZZZNS0_22nan_to_num_kernel_cudaERNS_18TensorIteratorBaseESt8optionalIdES5_S5_ENKUlvE0_clEvENKUlvE0_clEvEUlfE_St5arrayIPcLm2EEEEviT0_T1_.num_named_barrier, 0
	.set _ZN2at6native29vectorized_elementwise_kernelILi2EZZZNS0_22nan_to_num_kernel_cudaERNS_18TensorIteratorBaseESt8optionalIdES5_S5_ENKUlvE0_clEvENKUlvE0_clEvEUlfE_St5arrayIPcLm2EEEEviT0_T1_.private_seg_size, 0
	.set _ZN2at6native29vectorized_elementwise_kernelILi2EZZZNS0_22nan_to_num_kernel_cudaERNS_18TensorIteratorBaseESt8optionalIdES5_S5_ENKUlvE0_clEvENKUlvE0_clEvEUlfE_St5arrayIPcLm2EEEEviT0_T1_.uses_vcc, 1
	.set _ZN2at6native29vectorized_elementwise_kernelILi2EZZZNS0_22nan_to_num_kernel_cudaERNS_18TensorIteratorBaseESt8optionalIdES5_S5_ENKUlvE0_clEvENKUlvE0_clEvEUlfE_St5arrayIPcLm2EEEEviT0_T1_.uses_flat_scratch, 0
	.set _ZN2at6native29vectorized_elementwise_kernelILi2EZZZNS0_22nan_to_num_kernel_cudaERNS_18TensorIteratorBaseESt8optionalIdES5_S5_ENKUlvE0_clEvENKUlvE0_clEvEUlfE_St5arrayIPcLm2EEEEviT0_T1_.has_dyn_sized_stack, 0
	.set _ZN2at6native29vectorized_elementwise_kernelILi2EZZZNS0_22nan_to_num_kernel_cudaERNS_18TensorIteratorBaseESt8optionalIdES5_S5_ENKUlvE0_clEvENKUlvE0_clEvEUlfE_St5arrayIPcLm2EEEEviT0_T1_.has_recursion, 0
	.set _ZN2at6native29vectorized_elementwise_kernelILi2EZZZNS0_22nan_to_num_kernel_cudaERNS_18TensorIteratorBaseESt8optionalIdES5_S5_ENKUlvE0_clEvENKUlvE0_clEvEUlfE_St5arrayIPcLm2EEEEviT0_T1_.has_indirect_call, 0
	.section	.AMDGPU.csdata,"",@progbits
; Kernel info:
; codeLenInByte = 1312
; TotalNumSgprs: 23
; NumVgprs: 10
; NumAgprs: 0
; TotalNumVgprs: 10
; ScratchSize: 0
; MemoryBound: 0
; FloatMode: 240
; IeeeMode: 1
; LDSByteSize: 0 bytes/workgroup (compile time only)
; SGPRBlocks: 2
; VGPRBlocks: 1
; NumSGPRsForWavesPerEU: 23
; NumVGPRsForWavesPerEU: 10
; AccumOffset: 12
; Occupancy: 8
; WaveLimiterHint : 1
; COMPUTE_PGM_RSRC2:SCRATCH_EN: 0
; COMPUTE_PGM_RSRC2:USER_SGPR: 2
; COMPUTE_PGM_RSRC2:TRAP_HANDLER: 0
; COMPUTE_PGM_RSRC2:TGID_X_EN: 1
; COMPUTE_PGM_RSRC2:TGID_Y_EN: 0
; COMPUTE_PGM_RSRC2:TGID_Z_EN: 0
; COMPUTE_PGM_RSRC2:TIDIG_COMP_CNT: 0
; COMPUTE_PGM_RSRC3_GFX90A:ACCUM_OFFSET: 2
; COMPUTE_PGM_RSRC3_GFX90A:TG_SPLIT: 0
	.section	.text._ZN2at6native27unrolled_elementwise_kernelIZZZNS0_22nan_to_num_kernel_cudaERNS_18TensorIteratorBaseESt8optionalIdES5_S5_ENKUlvE0_clEvENKUlvE0_clEvEUlfE_St5arrayIPcLm2EELi4E23TrivialOffsetCalculatorILi1EjESD_NS0_6memory15LoadWithoutCastENSE_16StoreWithoutCastEEEviT_T0_T2_T3_T4_T5_,"axG",@progbits,_ZN2at6native27unrolled_elementwise_kernelIZZZNS0_22nan_to_num_kernel_cudaERNS_18TensorIteratorBaseESt8optionalIdES5_S5_ENKUlvE0_clEvENKUlvE0_clEvEUlfE_St5arrayIPcLm2EELi4E23TrivialOffsetCalculatorILi1EjESD_NS0_6memory15LoadWithoutCastENSE_16StoreWithoutCastEEEviT_T0_T2_T3_T4_T5_,comdat
	.globl	_ZN2at6native27unrolled_elementwise_kernelIZZZNS0_22nan_to_num_kernel_cudaERNS_18TensorIteratorBaseESt8optionalIdES5_S5_ENKUlvE0_clEvENKUlvE0_clEvEUlfE_St5arrayIPcLm2EELi4E23TrivialOffsetCalculatorILi1EjESD_NS0_6memory15LoadWithoutCastENSE_16StoreWithoutCastEEEviT_T0_T2_T3_T4_T5_ ; -- Begin function _ZN2at6native27unrolled_elementwise_kernelIZZZNS0_22nan_to_num_kernel_cudaERNS_18TensorIteratorBaseESt8optionalIdES5_S5_ENKUlvE0_clEvENKUlvE0_clEvEUlfE_St5arrayIPcLm2EELi4E23TrivialOffsetCalculatorILi1EjESD_NS0_6memory15LoadWithoutCastENSE_16StoreWithoutCastEEEviT_T0_T2_T3_T4_T5_
	.p2align	8
	.type	_ZN2at6native27unrolled_elementwise_kernelIZZZNS0_22nan_to_num_kernel_cudaERNS_18TensorIteratorBaseESt8optionalIdES5_S5_ENKUlvE0_clEvENKUlvE0_clEvEUlfE_St5arrayIPcLm2EELi4E23TrivialOffsetCalculatorILi1EjESD_NS0_6memory15LoadWithoutCastENSE_16StoreWithoutCastEEEviT_T0_T2_T3_T4_T5_,@function
_ZN2at6native27unrolled_elementwise_kernelIZZZNS0_22nan_to_num_kernel_cudaERNS_18TensorIteratorBaseESt8optionalIdES5_S5_ENKUlvE0_clEvENKUlvE0_clEvEUlfE_St5arrayIPcLm2EELi4E23TrivialOffsetCalculatorILi1EjESD_NS0_6memory15LoadWithoutCastENSE_16StoreWithoutCastEEEviT_T0_T2_T3_T4_T5_: ; @_ZN2at6native27unrolled_elementwise_kernelIZZZNS0_22nan_to_num_kernel_cudaERNS_18TensorIteratorBaseESt8optionalIdES5_S5_ENKUlvE0_clEvENKUlvE0_clEvEUlfE_St5arrayIPcLm2EELi4E23TrivialOffsetCalculatorILi1EjESD_NS0_6memory15LoadWithoutCastENSE_16StoreWithoutCastEEEviT_T0_T2_T3_T4_T5_
; %bb.0:
	s_load_dwordx8 s[4:11], s[0:1], 0x0
	s_lshl_b32 s14, s2, 10
	v_mov_b32_e32 v8, 0
	v_or_b32_e32 v6, s14, v0
	v_mov_b32_e32 v9, 0
	s_waitcnt lgkmcnt(0)
	s_sub_i32 s15, s4, s14
	v_cmp_gt_i32_e32 vcc, s15, v0
	v_mov_b32_e32 v1, v0
	s_and_saveexec_b64 s[0:1], vcc
	s_cbranch_execz .LBB518_2
; %bb.1:
	v_mov_b32_e32 v7, 0
	v_lshl_add_u64 v[2:3], v[6:7], 2, s[10:11]
	global_load_dword v9, v[2:3], off
	v_or_b32_e32 v1, 0x100, v0
.LBB518_2:
	s_or_b64 exec, exec, s[0:1]
	v_cmp_gt_i32_e64 s[0:1], s15, v1
	s_and_saveexec_b64 s[2:3], s[0:1]
	s_cbranch_execz .LBB518_4
; %bb.3:
	v_add_u32_e32 v2, s14, v1
	v_mov_b32_e32 v3, 0
	v_lshl_add_u64 v[2:3], v[2:3], 2, s[10:11]
	global_load_dword v8, v[2:3], off
	v_add_u32_e32 v1, 0x100, v1
.LBB518_4:
	s_or_b64 exec, exec, s[2:3]
	v_cmp_gt_i32_e64 s[0:1], s15, v1
	v_mov_b32_e32 v5, 0
	v_mov_b32_e32 v7, 0
	s_and_saveexec_b64 s[2:3], s[0:1]
	s_cbranch_execz .LBB518_6
; %bb.5:
	v_add_u32_e32 v2, s14, v1
	v_mov_b32_e32 v3, 0
	v_lshl_add_u64 v[2:3], v[2:3], 2, s[10:11]
	global_load_dword v7, v[2:3], off
	v_add_u32_e32 v1, 0x100, v1
.LBB518_6:
	s_or_b64 exec, exec, s[2:3]
	v_cmp_gt_i32_e64 s[0:1], s15, v1
	s_and_saveexec_b64 s[2:3], s[0:1]
	s_cbranch_execz .LBB518_8
; %bb.7:
	v_add_u32_e32 v2, s14, v1
	v_mov_b32_e32 v3, 0
	v_lshl_add_u64 v[2:3], v[2:3], 2, s[10:11]
	global_load_dword v5, v[2:3], off
.LBB518_8:
	s_or_b64 exec, exec, s[2:3]
	v_mov_b32_e32 v2, 0
	v_mov_b32_e32 v1, v2
	v_mov_b32_e32 v4, v2
	v_mov_b32_e32 v3, v2
	s_and_saveexec_b64 s[2:3], vcc
	s_cbranch_execz .LBB518_14
; %bb.9:
	s_waitcnt vmcnt(0)
	v_cmp_o_f32_e64 s[0:1], v9, v9
	v_mov_b32_e32 v2, s5
	s_and_saveexec_b64 s[10:11], s[0:1]
	s_cbranch_execz .LBB518_13
; %bb.10:
	s_mov_b32 s0, 0x7f800000
	v_cmp_neq_f32_e64 s[0:1], s0, v9
	v_mov_b32_e32 v2, s6
	s_and_saveexec_b64 s[12:13], s[0:1]
; %bb.11:
	s_mov_b32 s0, 0xff800000
	v_mov_b32_e32 v1, s7
	v_cmp_eq_f32_e64 s[0:1], s0, v9
	s_nop 1
	v_cndmask_b32_e64 v2, v9, v1, s[0:1]
; %bb.12:
	s_or_b64 exec, exec, s[12:13]
.LBB518_13:
	s_or_b64 exec, exec, s[10:11]
	v_mov_b32_e32 v1, 0
	v_mov_b32_e32 v4, v1
	;; [unrolled: 1-line block ×3, first 2 shown]
.LBB518_14:
	s_or_b64 exec, exec, s[2:3]
	s_waitcnt vmcnt(0)
	v_or_b32_e32 v9, 0x100, v0
	v_cmp_gt_i32_e64 s[0:1], s15, v9
	s_and_saveexec_b64 s[2:3], s[0:1]
	s_cbranch_execz .LBB518_20
; %bb.15:
	v_cmp_o_f32_e64 s[0:1], v8, v8
	v_mov_b32_e32 v1, s5
	s_and_saveexec_b64 s[10:11], s[0:1]
	s_cbranch_execz .LBB518_19
; %bb.16:
	s_mov_b32 s0, 0x7f800000
	v_cmp_neq_f32_e64 s[0:1], s0, v8
	v_mov_b32_e32 v1, s6
	s_and_saveexec_b64 s[12:13], s[0:1]
; %bb.17:
	s_mov_b32 s0, 0xff800000
	v_mov_b32_e32 v1, s7
	v_cmp_eq_f32_e64 s[0:1], s0, v8
	s_nop 1
	v_cndmask_b32_e64 v1, v8, v1, s[0:1]
; %bb.18:
	s_or_b64 exec, exec, s[12:13]
.LBB518_19:
	s_or_b64 exec, exec, s[10:11]
.LBB518_20:
	s_or_b64 exec, exec, s[2:3]
	v_or_b32_e32 v8, 0x200, v0
	v_cmp_gt_i32_e64 s[0:1], s15, v8
	s_and_saveexec_b64 s[2:3], s[0:1]
	s_cbranch_execz .LBB518_26
; %bb.21:
	v_cmp_o_f32_e64 s[0:1], v7, v7
	v_mov_b32_e32 v4, s5
	s_and_saveexec_b64 s[10:11], s[0:1]
	s_cbranch_execz .LBB518_25
; %bb.22:
	s_mov_b32 s0, 0x7f800000
	v_cmp_neq_f32_e64 s[0:1], s0, v7
	v_mov_b32_e32 v4, s6
	s_and_saveexec_b64 s[12:13], s[0:1]
; %bb.23:
	s_mov_b32 s0, 0xff800000
	v_mov_b32_e32 v4, s7
	v_cmp_eq_f32_e64 s[0:1], s0, v7
	s_nop 1
	v_cndmask_b32_e64 v4, v7, v4, s[0:1]
; %bb.24:
	s_or_b64 exec, exec, s[12:13]
.LBB518_25:
	s_or_b64 exec, exec, s[10:11]
.LBB518_26:
	s_or_b64 exec, exec, s[2:3]
	v_or_b32_e32 v7, 0x300, v0
	v_cmp_gt_i32_e64 s[0:1], s15, v7
	s_and_saveexec_b64 s[2:3], s[0:1]
	s_cbranch_execnz .LBB518_32
; %bb.27:
	s_or_b64 exec, exec, s[2:3]
	s_and_saveexec_b64 s[0:1], vcc
	s_xor_b64 s[0:1], exec, s[0:1]
	s_cbranch_execnz .LBB518_37
.LBB518_28:
	s_or_b64 exec, exec, s[0:1]
	v_cmp_gt_i32_e32 vcc, s15, v0
	s_and_saveexec_b64 s[0:1], vcc
	s_cbranch_execnz .LBB518_38
.LBB518_29:
	s_or_b64 exec, exec, s[0:1]
	v_cmp_gt_i32_e32 vcc, s15, v0
	s_and_saveexec_b64 s[0:1], vcc
	s_cbranch_execnz .LBB518_39
.LBB518_30:
	s_or_b64 exec, exec, s[0:1]
	v_cmp_gt_i32_e32 vcc, s15, v0
	s_and_saveexec_b64 s[0:1], vcc
	s_cbranch_execnz .LBB518_40
.LBB518_31:
	s_endpgm
.LBB518_32:
	v_cmp_o_f32_e64 s[0:1], v5, v5
	v_mov_b32_e32 v3, s5
	s_and_saveexec_b64 s[4:5], s[0:1]
	s_cbranch_execz .LBB518_36
; %bb.33:
	s_mov_b32 s0, 0x7f800000
	v_cmp_neq_f32_e64 s[0:1], s0, v5
	v_mov_b32_e32 v3, s6
	s_and_saveexec_b64 s[10:11], s[0:1]
; %bb.34:
	s_mov_b32 s0, 0xff800000
	v_mov_b32_e32 v3, s7
	v_cmp_eq_f32_e64 s[0:1], s0, v5
	s_nop 1
	v_cndmask_b32_e64 v3, v5, v3, s[0:1]
; %bb.35:
	s_or_b64 exec, exec, s[10:11]
.LBB518_36:
	s_or_b64 exec, exec, s[4:5]
	s_or_b64 exec, exec, s[2:3]
	s_and_saveexec_b64 s[0:1], vcc
	s_xor_b64 s[0:1], exec, s[0:1]
	s_cbranch_execz .LBB518_28
.LBB518_37:
	v_mov_b32_e32 v7, 0
	v_lshl_add_u64 v[6:7], v[6:7], 2, s[8:9]
	v_mov_b32_e32 v0, v9
	global_store_dword v[6:7], v2, off
	s_or_b64 exec, exec, s[0:1]
	v_cmp_gt_i32_e32 vcc, s15, v0
	s_and_saveexec_b64 s[0:1], vcc
	s_cbranch_execz .LBB518_29
.LBB518_38:
	v_add_u32_e32 v2, 0x100, v0
	v_add_u32_e32 v6, s14, v0
	v_mov_b32_e32 v7, 0
	v_lshl_add_u64 v[6:7], v[6:7], 2, s[8:9]
	v_mov_b32_e32 v0, v2
	global_store_dword v[6:7], v1, off
	s_or_b64 exec, exec, s[0:1]
	v_cmp_gt_i32_e32 vcc, s15, v0
	s_and_saveexec_b64 s[0:1], vcc
	s_cbranch_execz .LBB518_30
.LBB518_39:
	v_add_u32_e32 v2, 0x100, v0
	v_add_u32_e32 v0, s14, v0
	v_mov_b32_e32 v1, 0
	v_lshl_add_u64 v[0:1], v[0:1], 2, s[8:9]
	global_store_dword v[0:1], v4, off
	v_mov_b32_e32 v0, v2
	s_or_b64 exec, exec, s[0:1]
	v_cmp_gt_i32_e32 vcc, s15, v0
	s_and_saveexec_b64 s[0:1], vcc
	s_cbranch_execz .LBB518_31
.LBB518_40:
	v_add_u32_e32 v0, s14, v0
	v_mov_b32_e32 v1, 0
	v_lshl_add_u64 v[0:1], v[0:1], 2, s[8:9]
	global_store_dword v[0:1], v3, off
	s_endpgm
	.section	.rodata,"a",@progbits
	.p2align	6, 0x0
	.amdhsa_kernel _ZN2at6native27unrolled_elementwise_kernelIZZZNS0_22nan_to_num_kernel_cudaERNS_18TensorIteratorBaseESt8optionalIdES5_S5_ENKUlvE0_clEvENKUlvE0_clEvEUlfE_St5arrayIPcLm2EELi4E23TrivialOffsetCalculatorILi1EjESD_NS0_6memory15LoadWithoutCastENSE_16StoreWithoutCastEEEviT_T0_T2_T3_T4_T5_
		.amdhsa_group_segment_fixed_size 0
		.amdhsa_private_segment_fixed_size 0
		.amdhsa_kernarg_size 36
		.amdhsa_user_sgpr_count 2
		.amdhsa_user_sgpr_dispatch_ptr 0
		.amdhsa_user_sgpr_queue_ptr 0
		.amdhsa_user_sgpr_kernarg_segment_ptr 1
		.amdhsa_user_sgpr_dispatch_id 0
		.amdhsa_user_sgpr_kernarg_preload_length 0
		.amdhsa_user_sgpr_kernarg_preload_offset 0
		.amdhsa_user_sgpr_private_segment_size 0
		.amdhsa_uses_dynamic_stack 0
		.amdhsa_enable_private_segment 0
		.amdhsa_system_sgpr_workgroup_id_x 1
		.amdhsa_system_sgpr_workgroup_id_y 0
		.amdhsa_system_sgpr_workgroup_id_z 0
		.amdhsa_system_sgpr_workgroup_info 0
		.amdhsa_system_vgpr_workitem_id 0
		.amdhsa_next_free_vgpr 10
		.amdhsa_next_free_sgpr 16
		.amdhsa_accum_offset 12
		.amdhsa_reserve_vcc 1
		.amdhsa_float_round_mode_32 0
		.amdhsa_float_round_mode_16_64 0
		.amdhsa_float_denorm_mode_32 3
		.amdhsa_float_denorm_mode_16_64 3
		.amdhsa_dx10_clamp 1
		.amdhsa_ieee_mode 1
		.amdhsa_fp16_overflow 0
		.amdhsa_tg_split 0
		.amdhsa_exception_fp_ieee_invalid_op 0
		.amdhsa_exception_fp_denorm_src 0
		.amdhsa_exception_fp_ieee_div_zero 0
		.amdhsa_exception_fp_ieee_overflow 0
		.amdhsa_exception_fp_ieee_underflow 0
		.amdhsa_exception_fp_ieee_inexact 0
		.amdhsa_exception_int_div_zero 0
	.end_amdhsa_kernel
	.section	.text._ZN2at6native27unrolled_elementwise_kernelIZZZNS0_22nan_to_num_kernel_cudaERNS_18TensorIteratorBaseESt8optionalIdES5_S5_ENKUlvE0_clEvENKUlvE0_clEvEUlfE_St5arrayIPcLm2EELi4E23TrivialOffsetCalculatorILi1EjESD_NS0_6memory15LoadWithoutCastENSE_16StoreWithoutCastEEEviT_T0_T2_T3_T4_T5_,"axG",@progbits,_ZN2at6native27unrolled_elementwise_kernelIZZZNS0_22nan_to_num_kernel_cudaERNS_18TensorIteratorBaseESt8optionalIdES5_S5_ENKUlvE0_clEvENKUlvE0_clEvEUlfE_St5arrayIPcLm2EELi4E23TrivialOffsetCalculatorILi1EjESD_NS0_6memory15LoadWithoutCastENSE_16StoreWithoutCastEEEviT_T0_T2_T3_T4_T5_,comdat
.Lfunc_end518:
	.size	_ZN2at6native27unrolled_elementwise_kernelIZZZNS0_22nan_to_num_kernel_cudaERNS_18TensorIteratorBaseESt8optionalIdES5_S5_ENKUlvE0_clEvENKUlvE0_clEvEUlfE_St5arrayIPcLm2EELi4E23TrivialOffsetCalculatorILi1EjESD_NS0_6memory15LoadWithoutCastENSE_16StoreWithoutCastEEEviT_T0_T2_T3_T4_T5_, .Lfunc_end518-_ZN2at6native27unrolled_elementwise_kernelIZZZNS0_22nan_to_num_kernel_cudaERNS_18TensorIteratorBaseESt8optionalIdES5_S5_ENKUlvE0_clEvENKUlvE0_clEvEUlfE_St5arrayIPcLm2EELi4E23TrivialOffsetCalculatorILi1EjESD_NS0_6memory15LoadWithoutCastENSE_16StoreWithoutCastEEEviT_T0_T2_T3_T4_T5_
                                        ; -- End function
	.set _ZN2at6native27unrolled_elementwise_kernelIZZZNS0_22nan_to_num_kernel_cudaERNS_18TensorIteratorBaseESt8optionalIdES5_S5_ENKUlvE0_clEvENKUlvE0_clEvEUlfE_St5arrayIPcLm2EELi4E23TrivialOffsetCalculatorILi1EjESD_NS0_6memory15LoadWithoutCastENSE_16StoreWithoutCastEEEviT_T0_T2_T3_T4_T5_.num_vgpr, 10
	.set _ZN2at6native27unrolled_elementwise_kernelIZZZNS0_22nan_to_num_kernel_cudaERNS_18TensorIteratorBaseESt8optionalIdES5_S5_ENKUlvE0_clEvENKUlvE0_clEvEUlfE_St5arrayIPcLm2EELi4E23TrivialOffsetCalculatorILi1EjESD_NS0_6memory15LoadWithoutCastENSE_16StoreWithoutCastEEEviT_T0_T2_T3_T4_T5_.num_agpr, 0
	.set _ZN2at6native27unrolled_elementwise_kernelIZZZNS0_22nan_to_num_kernel_cudaERNS_18TensorIteratorBaseESt8optionalIdES5_S5_ENKUlvE0_clEvENKUlvE0_clEvEUlfE_St5arrayIPcLm2EELi4E23TrivialOffsetCalculatorILi1EjESD_NS0_6memory15LoadWithoutCastENSE_16StoreWithoutCastEEEviT_T0_T2_T3_T4_T5_.numbered_sgpr, 16
	.set _ZN2at6native27unrolled_elementwise_kernelIZZZNS0_22nan_to_num_kernel_cudaERNS_18TensorIteratorBaseESt8optionalIdES5_S5_ENKUlvE0_clEvENKUlvE0_clEvEUlfE_St5arrayIPcLm2EELi4E23TrivialOffsetCalculatorILi1EjESD_NS0_6memory15LoadWithoutCastENSE_16StoreWithoutCastEEEviT_T0_T2_T3_T4_T5_.num_named_barrier, 0
	.set _ZN2at6native27unrolled_elementwise_kernelIZZZNS0_22nan_to_num_kernel_cudaERNS_18TensorIteratorBaseESt8optionalIdES5_S5_ENKUlvE0_clEvENKUlvE0_clEvEUlfE_St5arrayIPcLm2EELi4E23TrivialOffsetCalculatorILi1EjESD_NS0_6memory15LoadWithoutCastENSE_16StoreWithoutCastEEEviT_T0_T2_T3_T4_T5_.private_seg_size, 0
	.set _ZN2at6native27unrolled_elementwise_kernelIZZZNS0_22nan_to_num_kernel_cudaERNS_18TensorIteratorBaseESt8optionalIdES5_S5_ENKUlvE0_clEvENKUlvE0_clEvEUlfE_St5arrayIPcLm2EELi4E23TrivialOffsetCalculatorILi1EjESD_NS0_6memory15LoadWithoutCastENSE_16StoreWithoutCastEEEviT_T0_T2_T3_T4_T5_.uses_vcc, 1
	.set _ZN2at6native27unrolled_elementwise_kernelIZZZNS0_22nan_to_num_kernel_cudaERNS_18TensorIteratorBaseESt8optionalIdES5_S5_ENKUlvE0_clEvENKUlvE0_clEvEUlfE_St5arrayIPcLm2EELi4E23TrivialOffsetCalculatorILi1EjESD_NS0_6memory15LoadWithoutCastENSE_16StoreWithoutCastEEEviT_T0_T2_T3_T4_T5_.uses_flat_scratch, 0
	.set _ZN2at6native27unrolled_elementwise_kernelIZZZNS0_22nan_to_num_kernel_cudaERNS_18TensorIteratorBaseESt8optionalIdES5_S5_ENKUlvE0_clEvENKUlvE0_clEvEUlfE_St5arrayIPcLm2EELi4E23TrivialOffsetCalculatorILi1EjESD_NS0_6memory15LoadWithoutCastENSE_16StoreWithoutCastEEEviT_T0_T2_T3_T4_T5_.has_dyn_sized_stack, 0
	.set _ZN2at6native27unrolled_elementwise_kernelIZZZNS0_22nan_to_num_kernel_cudaERNS_18TensorIteratorBaseESt8optionalIdES5_S5_ENKUlvE0_clEvENKUlvE0_clEvEUlfE_St5arrayIPcLm2EELi4E23TrivialOffsetCalculatorILi1EjESD_NS0_6memory15LoadWithoutCastENSE_16StoreWithoutCastEEEviT_T0_T2_T3_T4_T5_.has_recursion, 0
	.set _ZN2at6native27unrolled_elementwise_kernelIZZZNS0_22nan_to_num_kernel_cudaERNS_18TensorIteratorBaseESt8optionalIdES5_S5_ENKUlvE0_clEvENKUlvE0_clEvEUlfE_St5arrayIPcLm2EELi4E23TrivialOffsetCalculatorILi1EjESD_NS0_6memory15LoadWithoutCastENSE_16StoreWithoutCastEEEviT_T0_T2_T3_T4_T5_.has_indirect_call, 0
	.section	.AMDGPU.csdata,"",@progbits
; Kernel info:
; codeLenInByte = 956
; TotalNumSgprs: 22
; NumVgprs: 10
; NumAgprs: 0
; TotalNumVgprs: 10
; ScratchSize: 0
; MemoryBound: 0
; FloatMode: 240
; IeeeMode: 1
; LDSByteSize: 0 bytes/workgroup (compile time only)
; SGPRBlocks: 2
; VGPRBlocks: 1
; NumSGPRsForWavesPerEU: 22
; NumVGPRsForWavesPerEU: 10
; AccumOffset: 12
; Occupancy: 8
; WaveLimiterHint : 0
; COMPUTE_PGM_RSRC2:SCRATCH_EN: 0
; COMPUTE_PGM_RSRC2:USER_SGPR: 2
; COMPUTE_PGM_RSRC2:TRAP_HANDLER: 0
; COMPUTE_PGM_RSRC2:TGID_X_EN: 1
; COMPUTE_PGM_RSRC2:TGID_Y_EN: 0
; COMPUTE_PGM_RSRC2:TGID_Z_EN: 0
; COMPUTE_PGM_RSRC2:TIDIG_COMP_CNT: 0
; COMPUTE_PGM_RSRC3_GFX90A:ACCUM_OFFSET: 2
; COMPUTE_PGM_RSRC3_GFX90A:TG_SPLIT: 0
	.section	.text._ZN2at6native32elementwise_kernel_manual_unrollILi128ELi4EZNS0_22gpu_kernel_impl_nocastIZZZNS0_22nan_to_num_kernel_cudaERNS_18TensorIteratorBaseESt8optionalIdES6_S6_ENKUlvE0_clEvENKUlvE0_clEvEUlfE_EEvS4_RKT_EUlibE_EEviT1_,"axG",@progbits,_ZN2at6native32elementwise_kernel_manual_unrollILi128ELi4EZNS0_22gpu_kernel_impl_nocastIZZZNS0_22nan_to_num_kernel_cudaERNS_18TensorIteratorBaseESt8optionalIdES6_S6_ENKUlvE0_clEvENKUlvE0_clEvEUlfE_EEvS4_RKT_EUlibE_EEviT1_,comdat
	.globl	_ZN2at6native32elementwise_kernel_manual_unrollILi128ELi4EZNS0_22gpu_kernel_impl_nocastIZZZNS0_22nan_to_num_kernel_cudaERNS_18TensorIteratorBaseESt8optionalIdES6_S6_ENKUlvE0_clEvENKUlvE0_clEvEUlfE_EEvS4_RKT_EUlibE_EEviT1_ ; -- Begin function _ZN2at6native32elementwise_kernel_manual_unrollILi128ELi4EZNS0_22gpu_kernel_impl_nocastIZZZNS0_22nan_to_num_kernel_cudaERNS_18TensorIteratorBaseESt8optionalIdES6_S6_ENKUlvE0_clEvENKUlvE0_clEvEUlfE_EEvS4_RKT_EUlibE_EEviT1_
	.p2align	8
	.type	_ZN2at6native32elementwise_kernel_manual_unrollILi128ELi4EZNS0_22gpu_kernel_impl_nocastIZZZNS0_22nan_to_num_kernel_cudaERNS_18TensorIteratorBaseESt8optionalIdES6_S6_ENKUlvE0_clEvENKUlvE0_clEvEUlfE_EEvS4_RKT_EUlibE_EEviT1_,@function
_ZN2at6native32elementwise_kernel_manual_unrollILi128ELi4EZNS0_22gpu_kernel_impl_nocastIZZZNS0_22nan_to_num_kernel_cudaERNS_18TensorIteratorBaseESt8optionalIdES6_S6_ENKUlvE0_clEvENKUlvE0_clEvEUlfE_EEvS4_RKT_EUlibE_EEviT1_: ; @_ZN2at6native32elementwise_kernel_manual_unrollILi128ELi4EZNS0_22gpu_kernel_impl_nocastIZZZNS0_22nan_to_num_kernel_cudaERNS_18TensorIteratorBaseESt8optionalIdES6_S6_ENKUlvE0_clEvENKUlvE0_clEvEUlfE_EEvS4_RKT_EUlibE_EEviT1_
; %bb.0:
	s_load_dword s59, s[0:1], 0x0
	s_load_dword s33, s[0:1], 0x8
	s_add_u32 s34, s0, 8
	s_addc_u32 s35, s1, 0
	v_lshl_or_b32 v8, s2, 9, v0
	v_or_b32_e32 v16, 0x180, v8
	s_waitcnt lgkmcnt(0)
	s_add_i32 s58, s33, -1
	s_cmp_gt_u32 s58, 1
	v_cmp_le_i32_e32 vcc, s59, v16
	s_cselect_b64 s[40:41], -1, 0
	s_and_saveexec_b64 s[0:1], vcc
	s_xor_b64 s[42:43], exec, s[0:1]
	s_cbranch_execz .LBB519_8
; %bb.1:
	s_load_dwordx4 s[28:31], s[34:35], 0x4
	s_load_dwordx2 s[44:45], s[34:35], 0x14
	s_load_dwordx4 s[24:27], s[34:35], 0xc4
	s_load_dwordx8 s[0:7], s[34:35], 0x148
	s_cmp_lg_u32 s33, 0
	s_cselect_b64 s[50:51], -1, 0
	s_add_u32 s48, s34, 0xc4
	s_addc_u32 s49, s35, 0
	s_waitcnt lgkmcnt(0)
	s_min_u32 s7, s58, 15
	s_cmp_gt_u32 s33, 1
	s_cselect_b64 s[46:47], -1, 0
	v_cmp_gt_i32_e32 vcc, s59, v8
	s_and_saveexec_b64 s[52:53], vcc
	s_cbranch_execz .LBB519_15
; %bb.2:
	s_andn2_b64 vcc, exec, s[40:41]
	s_cbranch_vccnz .LBB519_23
; %bb.3:
	s_andn2_b64 vcc, exec, s[50:51]
	s_cbranch_vccnz .LBB519_91
; %bb.4:
	s_add_i32 s61, s7, 1
	s_cmp_eq_u32 s58, 2
	s_cbranch_scc1 .LBB519_93
; %bb.5:
	s_and_b32 s60, s61, 28
	s_mov_b32 s62, 0
	v_mov_b32_e32 v0, 0
	v_mov_b32_e32 v2, 0
	s_mov_b64 s[54:55], s[34:35]
	s_mov_b64 s[56:57], s[48:49]
	v_mov_b32_e32 v4, v8
.LBB519_6:                              ; =>This Inner Loop Header: Depth=1
	s_load_dwordx8 s[16:23], s[54:55], 0x4
	s_load_dwordx4 s[36:39], s[54:55], 0x24
	s_load_dwordx8 s[8:15], s[56:57], 0x0
	s_add_u32 s54, s54, 48
	s_addc_u32 s55, s55, 0
	s_waitcnt lgkmcnt(0)
	v_mul_hi_u32 v1, s17, v4
	v_add_u32_e32 v1, v4, v1
	v_lshrrev_b32_e32 v1, s18, v1
	v_mul_lo_u32 v3, v1, s16
	v_mul_hi_u32 v5, s20, v1
	v_sub_u32_e32 v3, v4, v3
	v_add_u32_e32 v4, v1, v5
	v_lshrrev_b32_e32 v4, s21, v4
	v_mul_lo_u32 v6, v4, s19
	v_mul_hi_u32 v7, s23, v4
	v_sub_u32_e32 v1, v1, v6
	v_add_u32_e32 v6, v4, v7
	v_mul_lo_u32 v5, v3, s9
	v_mul_lo_u32 v3, v3, s8
	;; [unrolled: 1-line block ×4, first 2 shown]
	v_lshrrev_b32_e32 v6, s36, v6
	v_add3_u32 v0, v3, v0, v1
	v_mul_hi_u32 v3, s38, v6
	v_add3_u32 v1, v5, v2, v7
	v_mul_lo_u32 v2, v6, s22
	v_add_u32_e32 v3, v6, v3
	v_sub_u32_e32 v2, v4, v2
	v_lshrrev_b32_e32 v4, s39, v3
	s_add_i32 s62, s62, 4
	v_mul_lo_u32 v3, v4, s37
	s_add_u32 s56, s56, 32
	v_sub_u32_e32 v3, v6, v3
	s_addc_u32 s57, s57, 0
	v_mul_lo_u32 v5, v2, s12
	v_mul_lo_u32 v2, v2, s13
	;; [unrolled: 1-line block ×4, first 2 shown]
	s_cmp_lg_u32 s60, s62
	v_add3_u32 v2, v2, v1, v3
	v_add3_u32 v0, v5, v0, v6
	s_cbranch_scc1 .LBB519_6
; %bb.7:
	v_mov_b32_e32 v1, v2
	s_branch .LBB519_94
.LBB519_8:
	s_andn2_saveexec_b64 s[0:1], s[42:43]
	s_cbranch_execz .LBB519_128
.LBB519_9:
	v_cndmask_b32_e64 v0, 0, 1, s[40:41]
	v_cmp_ne_u32_e64 s[0:1], 1, v0
	s_andn2_b64 vcc, exec, s[40:41]
	s_cbranch_vccnz .LBB519_22
; %bb.10:
	s_cmp_lg_u32 s33, 0
	s_mov_b32 s26, 0
	s_cbranch_scc0 .LBB519_25
; %bb.11:
	s_min_u32 s27, s58, 15
	s_add_i32 s27, s27, 1
	s_cmp_eq_u32 s58, 2
	s_cbranch_scc1 .LBB519_26
; %bb.12:
	s_and_b32 s26, s27, 28
	s_add_u32 s2, s34, 0xc4
	s_addc_u32 s3, s35, 0
	s_mov_b32 s28, 0
	v_mov_b32_e32 v0, 0
	v_mov_b32_e32 v2, 0
	s_mov_b64 s[24:25], s[34:35]
	v_mov_b32_e32 v4, v8
.LBB519_13:                             ; =>This Inner Loop Header: Depth=1
	s_load_dwordx8 s[12:19], s[24:25], 0x4
	s_load_dwordx4 s[20:23], s[24:25], 0x24
	s_load_dwordx8 s[4:11], s[2:3], 0x0
	s_add_u32 s24, s24, 48
	s_addc_u32 s25, s25, 0
	s_waitcnt lgkmcnt(0)
	v_mul_hi_u32 v1, s13, v4
	v_add_u32_e32 v1, v4, v1
	v_lshrrev_b32_e32 v1, s14, v1
	v_mul_lo_u32 v3, v1, s12
	v_mul_hi_u32 v5, s16, v1
	v_sub_u32_e32 v3, v4, v3
	v_add_u32_e32 v4, v1, v5
	v_lshrrev_b32_e32 v4, s17, v4
	v_mul_lo_u32 v6, v4, s15
	v_mul_hi_u32 v7, s19, v4
	v_sub_u32_e32 v1, v1, v6
	v_add_u32_e32 v6, v4, v7
	v_mul_lo_u32 v5, v3, s5
	v_mul_lo_u32 v3, v3, s4
	;; [unrolled: 1-line block ×4, first 2 shown]
	v_lshrrev_b32_e32 v6, s20, v6
	v_add3_u32 v0, v3, v0, v1
	v_mul_hi_u32 v3, s22, v6
	v_add3_u32 v1, v5, v2, v7
	v_mul_lo_u32 v2, v6, s18
	v_add_u32_e32 v3, v6, v3
	v_sub_u32_e32 v2, v4, v2
	v_lshrrev_b32_e32 v4, s23, v3
	s_add_i32 s28, s28, 4
	v_mul_lo_u32 v3, v4, s21
	s_add_u32 s2, s2, 32
	v_sub_u32_e32 v3, v6, v3
	s_addc_u32 s3, s3, 0
	v_mul_lo_u32 v5, v2, s8
	v_mul_lo_u32 v2, v2, s9
	;; [unrolled: 1-line block ×4, first 2 shown]
	s_cmp_lg_u32 s26, s28
	v_add3_u32 v2, v2, v1, v3
	v_add3_u32 v0, v5, v0, v6
	s_cbranch_scc1 .LBB519_13
; %bb.14:
	v_mov_b32_e32 v1, v2
	s_and_b32 s6, s27, 3
	s_cmp_eq_u32 s6, 0
	s_cbranch_scc0 .LBB519_27
	s_branch .LBB519_29
.LBB519_15:
	s_or_b64 exec, exec, s[52:53]
	v_cmp_gt_i32_e32 vcc, s59, v8
	s_and_saveexec_b64 s[52:53], vcc
	s_cbranch_execz .LBB519_105
.LBB519_16:
	s_andn2_b64 vcc, exec, s[40:41]
	s_cbranch_vccnz .LBB519_24
; %bb.17:
	s_andn2_b64 vcc, exec, s[50:51]
	s_cbranch_vccnz .LBB519_92
; %bb.18:
	s_add_i32 s61, s7, 1
	s_cmp_eq_u32 s58, 2
	s_cbranch_scc1 .LBB519_114
; %bb.19:
	s_and_b32 s60, s61, 28
	s_mov_b32 s62, 0
	v_mov_b32_e32 v0, 0
	v_mov_b32_e32 v2, 0
	s_mov_b64 s[54:55], s[34:35]
	s_mov_b64 s[56:57], s[48:49]
	v_mov_b32_e32 v4, v8
.LBB519_20:                             ; =>This Inner Loop Header: Depth=1
	s_load_dwordx8 s[16:23], s[54:55], 0x4
	s_load_dwordx4 s[36:39], s[54:55], 0x24
	s_load_dwordx8 s[8:15], s[56:57], 0x0
	s_add_u32 s54, s54, 48
	s_addc_u32 s55, s55, 0
	s_waitcnt lgkmcnt(0)
	v_mul_hi_u32 v1, s17, v4
	v_add_u32_e32 v1, v4, v1
	v_lshrrev_b32_e32 v1, s18, v1
	v_mul_lo_u32 v3, v1, s16
	v_mul_hi_u32 v5, s20, v1
	v_sub_u32_e32 v3, v4, v3
	v_add_u32_e32 v4, v1, v5
	v_lshrrev_b32_e32 v4, s21, v4
	v_mul_lo_u32 v6, v4, s19
	v_mul_hi_u32 v7, s23, v4
	v_sub_u32_e32 v1, v1, v6
	v_add_u32_e32 v6, v4, v7
	v_mul_lo_u32 v5, v3, s9
	v_mul_lo_u32 v3, v3, s8
	;; [unrolled: 1-line block ×4, first 2 shown]
	v_lshrrev_b32_e32 v6, s36, v6
	v_add3_u32 v0, v3, v0, v1
	v_mul_hi_u32 v3, s38, v6
	v_add3_u32 v1, v5, v2, v7
	v_mul_lo_u32 v2, v6, s22
	v_add_u32_e32 v3, v6, v3
	v_sub_u32_e32 v2, v4, v2
	v_lshrrev_b32_e32 v4, s39, v3
	s_add_i32 s62, s62, 4
	v_mul_lo_u32 v3, v4, s37
	s_add_u32 s56, s56, 32
	v_sub_u32_e32 v3, v6, v3
	s_addc_u32 s57, s57, 0
	v_mul_lo_u32 v5, v2, s12
	v_mul_lo_u32 v2, v2, s13
	;; [unrolled: 1-line block ×4, first 2 shown]
	s_cmp_eq_u32 s60, s62
	v_add3_u32 v2, v2, v1, v3
	v_add3_u32 v0, v5, v0, v6
	s_cbranch_scc0 .LBB519_20
; %bb.21:
	v_mov_b32_e32 v1, v2
	s_branch .LBB519_115
.LBB519_22:
                                        ; implicit-def: $vgpr2
                                        ; implicit-def: $vgpr0
	s_branch .LBB519_30
.LBB519_23:
                                        ; implicit-def: $vgpr2
                                        ; implicit-def: $vgpr0
	s_branch .LBB519_98
.LBB519_24:
                                        ; implicit-def: $vgpr2
                                        ; implicit-def: $vgpr0
	s_branch .LBB519_119
.LBB519_25:
	v_mov_b32_e32 v2, 0
	v_mov_b32_e32 v0, 0
	s_branch .LBB519_29
.LBB519_26:
	v_mov_b32_e32 v0, 0
                                        ; implicit-def: $vgpr2
	v_mov_b32_e32 v1, v0
	v_mov_b32_e32 v4, v8
	s_and_b32 s6, s27, 3
	s_cmp_eq_u32 s6, 0
	s_cbranch_scc1 .LBB519_29
.LBB519_27:
	s_lshl_b32 s2, s26, 3
	s_add_u32 s2, s34, s2
	s_addc_u32 s3, s35, 0
	s_add_u32 s2, s2, 0xc4
	s_addc_u32 s3, s3, 0
	s_mul_i32 s4, s26, 12
	s_add_u32 s4, s34, s4
	s_addc_u32 s5, s35, 0
.LBB519_28:                             ; =>This Inner Loop Header: Depth=1
	s_load_dwordx2 s[8:9], s[4:5], 0x4
	s_load_dword s7, s[4:5], 0xc
	s_load_dwordx2 s[10:11], s[2:3], 0x0
	v_mov_b32_e32 v2, v1
	s_add_u32 s4, s4, 12
	s_waitcnt lgkmcnt(0)
	v_mul_hi_u32 v1, s9, v4
	v_add_u32_e32 v1, v4, v1
	v_lshrrev_b32_e32 v1, s7, v1
	s_addc_u32 s5, s5, 0
	v_mul_lo_u32 v3, v1, s8
	s_add_u32 s2, s2, 8
	v_sub_u32_e32 v5, v4, v3
	s_addc_u32 s3, s3, 0
	s_add_i32 s6, s6, -1
	v_mov_b32_e32 v4, v1
	v_mad_u64_u32 v[2:3], s[8:9], v5, s11, v[2:3]
	v_mad_u64_u32 v[0:1], s[8:9], v5, s10, v[0:1]
	s_cmp_lg_u32 s6, 0
	v_mov_b32_e32 v1, v2
	s_cbranch_scc1 .LBB519_28
.LBB519_29:
	s_cbranch_execnz .LBB519_32
.LBB519_30:
	s_load_dwordx4 s[4:7], s[34:35], 0x4
	s_load_dwordx2 s[2:3], s[34:35], 0xc4
	s_cmp_lt_u32 s33, 2
	s_waitcnt lgkmcnt(0)
	v_mul_hi_u32 v0, s5, v8
	v_add_u32_e32 v0, v8, v0
	v_lshrrev_b32_e32 v1, s6, v0
	v_mul_lo_u32 v0, v1, s4
	v_sub_u32_e32 v0, v8, v0
	v_mul_lo_u32 v2, v0, s3
	v_mul_lo_u32 v0, v0, s2
	s_cbranch_scc1 .LBB519_32
; %bb.31:
	s_load_dwordx4 s[4:7], s[34:35], 0x10
	s_load_dwordx2 s[2:3], s[34:35], 0xcc
	s_waitcnt lgkmcnt(0)
	v_mul_hi_u32 v3, s5, v1
	v_add_u32_e32 v3, v1, v3
	v_lshrrev_b32_e32 v3, s6, v3
	v_mul_lo_u32 v3, v3, s4
	v_sub_u32_e32 v3, v1, v3
	v_mad_u64_u32 v[0:1], s[4:5], v3, s2, v[0:1]
	v_mad_u64_u32 v[2:3], s[2:3], v3, s3, v[2:3]
.LBB519_32:
	s_and_b64 vcc, exec, s[0:1]
	v_add_u32_e32 v3, 0x80, v8
	s_cbranch_vccnz .LBB519_38
; %bb.33:
	s_cmp_lg_u32 s33, 0
	s_mov_b32 s26, 0
	s_cbranch_scc0 .LBB519_39
; %bb.34:
	s_min_u32 s27, s58, 15
	s_add_i32 s27, s27, 1
	s_cmp_eq_u32 s58, 2
	s_cbranch_scc1 .LBB519_40
; %bb.35:
	s_and_b32 s26, s27, 28
	s_add_u32 s2, s34, 0xc4
	s_addc_u32 s3, s35, 0
	s_mov_b32 s28, 0
	v_mov_b32_e32 v4, 0
	v_mov_b32_e32 v6, 0
	s_mov_b64 s[24:25], s[34:35]
	v_mov_b32_e32 v9, v3
.LBB519_36:                             ; =>This Inner Loop Header: Depth=1
	s_load_dwordx8 s[12:19], s[24:25], 0x4
	s_load_dwordx4 s[20:23], s[24:25], 0x24
	s_load_dwordx8 s[4:11], s[2:3], 0x0
	s_add_u32 s24, s24, 48
	s_addc_u32 s25, s25, 0
	s_waitcnt lgkmcnt(0)
	v_mul_hi_u32 v1, s13, v9
	v_add_u32_e32 v1, v9, v1
	v_lshrrev_b32_e32 v1, s14, v1
	v_mul_hi_u32 v7, s16, v1
	v_add_u32_e32 v7, v1, v7
	v_lshrrev_b32_e32 v7, s17, v7
	v_mul_lo_u32 v5, v1, s12
	v_mul_lo_u32 v10, v7, s15
	v_mul_hi_u32 v11, s19, v7
	v_sub_u32_e32 v5, v9, v5
	v_sub_u32_e32 v1, v1, v10
	v_add_u32_e32 v10, v7, v11
	v_mul_lo_u32 v9, v5, s5
	v_mul_lo_u32 v5, v5, s4
	;; [unrolled: 1-line block ×4, first 2 shown]
	v_lshrrev_b32_e32 v10, s20, v10
	v_add3_u32 v1, v5, v4, v1
	v_add3_u32 v4, v9, v6, v11
	v_mul_hi_u32 v6, s22, v10
	v_add_u32_e32 v6, v10, v6
	v_lshrrev_b32_e32 v9, s23, v6
	s_add_i32 s28, s28, 4
	v_mul_lo_u32 v5, v10, s18
	v_mul_lo_u32 v6, v9, s21
	s_add_u32 s2, s2, 32
	v_sub_u32_e32 v5, v7, v5
	v_sub_u32_e32 v6, v10, v6
	s_addc_u32 s3, s3, 0
	v_mul_lo_u32 v7, v5, s8
	v_mul_lo_u32 v5, v5, s9
	v_mul_lo_u32 v10, v6, s10
	v_mul_lo_u32 v6, v6, s11
	s_cmp_lg_u32 s26, s28
	v_add3_u32 v6, v5, v4, v6
	v_add3_u32 v4, v7, v1, v10
	s_cbranch_scc1 .LBB519_36
; %bb.37:
	v_mov_b32_e32 v1, v6
	s_and_b32 s6, s27, 3
	s_cmp_eq_u32 s6, 0
	s_cbranch_scc0 .LBB519_41
	s_branch .LBB519_43
.LBB519_38:
                                        ; implicit-def: $vgpr6
                                        ; implicit-def: $vgpr4
	s_branch .LBB519_44
.LBB519_39:
	v_mov_b32_e32 v6, 0
	v_mov_b32_e32 v4, 0
	s_branch .LBB519_43
.LBB519_40:
	v_mov_b32_e32 v4, 0
                                        ; implicit-def: $vgpr6
	v_mov_b32_e32 v1, v4
	v_mov_b32_e32 v9, v3
	s_and_b32 s6, s27, 3
	s_cmp_eq_u32 s6, 0
	s_cbranch_scc1 .LBB519_43
.LBB519_41:
	s_lshl_b32 s2, s26, 3
	s_add_u32 s2, s34, s2
	s_addc_u32 s3, s35, 0
	s_add_u32 s2, s2, 0xc4
	s_addc_u32 s3, s3, 0
	s_mul_i32 s4, s26, 12
	s_add_u32 s4, s34, s4
	s_addc_u32 s5, s35, 0
.LBB519_42:                             ; =>This Inner Loop Header: Depth=1
	s_load_dwordx2 s[8:9], s[4:5], 0x4
	s_load_dword s7, s[4:5], 0xc
	s_load_dwordx2 s[10:11], s[2:3], 0x0
	v_mov_b32_e32 v6, v1
	s_add_u32 s4, s4, 12
	s_waitcnt lgkmcnt(0)
	v_mul_hi_u32 v1, s9, v9
	v_add_u32_e32 v1, v9, v1
	v_lshrrev_b32_e32 v1, s7, v1
	s_addc_u32 s5, s5, 0
	v_mul_lo_u32 v5, v1, s8
	s_add_u32 s2, s2, 8
	v_sub_u32_e32 v5, v9, v5
	s_addc_u32 s3, s3, 0
	s_add_i32 s6, s6, -1
	v_mad_u64_u32 v[6:7], s[8:9], v5, s11, v[6:7]
	s_cmp_lg_u32 s6, 0
	v_mov_b32_e32 v9, v1
	v_mad_u64_u32 v[4:5], s[8:9], v5, s10, v[4:5]
	v_mov_b32_e32 v1, v6
	s_cbranch_scc1 .LBB519_42
.LBB519_43:
	s_cbranch_execnz .LBB519_46
.LBB519_44:
	s_load_dwordx4 s[4:7], s[34:35], 0x4
	s_load_dwordx2 s[2:3], s[34:35], 0xc4
	s_cmp_lt_u32 s33, 2
	s_waitcnt lgkmcnt(0)
	v_mul_hi_u32 v1, s5, v3
	v_add_u32_e32 v1, v3, v1
	v_lshrrev_b32_e32 v1, s6, v1
	v_mul_lo_u32 v4, v1, s4
	v_sub_u32_e32 v3, v3, v4
	v_mul_lo_u32 v6, v3, s3
	v_mul_lo_u32 v4, v3, s2
	s_cbranch_scc1 .LBB519_46
; %bb.45:
	s_load_dwordx4 s[4:7], s[34:35], 0x10
	s_load_dwordx2 s[2:3], s[34:35], 0xcc
	s_waitcnt lgkmcnt(0)
	v_mul_hi_u32 v3, s5, v1
	v_add_u32_e32 v3, v1, v3
	v_lshrrev_b32_e32 v3, s6, v3
	v_mul_lo_u32 v3, v3, s4
	v_sub_u32_e32 v1, v1, v3
	v_mad_u64_u32 v[4:5], s[4:5], v1, s2, v[4:5]
	v_mad_u64_u32 v[6:7], s[2:3], v1, s3, v[6:7]
.LBB519_46:
	s_and_b64 vcc, exec, s[0:1]
	v_add_u32_e32 v3, 0x100, v8
	s_cbranch_vccnz .LBB519_52
; %bb.47:
	s_cmp_lg_u32 s33, 0
	s_mov_b32 s26, 0
	s_cbranch_scc0 .LBB519_53
; %bb.48:
	s_min_u32 s27, s58, 15
	s_add_i32 s27, s27, 1
	s_cmp_eq_u32 s58, 2
	s_cbranch_scc1 .LBB519_54
; %bb.49:
	s_and_b32 s26, s27, 28
	s_add_u32 s2, s34, 0xc4
	s_addc_u32 s3, s35, 0
	s_mov_b32 s28, 0
	v_mov_b32_e32 v8, 0
	v_mov_b32_e32 v10, 0
	s_mov_b64 s[24:25], s[34:35]
	v_mov_b32_e32 v5, v3
.LBB519_50:                             ; =>This Inner Loop Header: Depth=1
	s_load_dwordx8 s[12:19], s[24:25], 0x4
	s_load_dwordx4 s[20:23], s[24:25], 0x24
	s_load_dwordx8 s[4:11], s[2:3], 0x0
	s_add_u32 s24, s24, 48
	s_addc_u32 s25, s25, 0
	s_waitcnt lgkmcnt(0)
	v_mul_hi_u32 v1, s13, v5
	v_add_u32_e32 v1, v5, v1
	v_lshrrev_b32_e32 v1, s14, v1
	v_mul_lo_u32 v7, v1, s12
	v_mul_hi_u32 v9, s16, v1
	v_sub_u32_e32 v5, v5, v7
	v_add_u32_e32 v7, v1, v9
	v_lshrrev_b32_e32 v7, s17, v7
	v_mul_lo_u32 v11, v7, s15
	v_mul_hi_u32 v12, s19, v7
	v_sub_u32_e32 v1, v1, v11
	v_add_u32_e32 v11, v7, v12
	v_mul_lo_u32 v9, v5, s5
	v_mul_lo_u32 v5, v5, s4
	;; [unrolled: 1-line block ×4, first 2 shown]
	v_lshrrev_b32_e32 v11, s20, v11
	v_add3_u32 v1, v5, v8, v1
	v_add3_u32 v8, v9, v10, v12
	v_mul_lo_u32 v5, v11, s18
	v_mul_hi_u32 v9, s22, v11
	v_sub_u32_e32 v5, v7, v5
	v_add_u32_e32 v7, v11, v9
	v_mul_lo_u32 v9, v5, s8
	v_mul_lo_u32 v10, v5, s9
	v_lshrrev_b32_e32 v5, s23, v7
	s_add_i32 s28, s28, 4
	v_mul_lo_u32 v7, v5, s21
	s_add_u32 s2, s2, 32
	v_sub_u32_e32 v7, v11, v7
	s_addc_u32 s3, s3, 0
	v_mul_lo_u32 v11, v7, s10
	v_mul_lo_u32 v7, v7, s11
	s_cmp_lg_u32 s26, s28
	v_add3_u32 v10, v10, v8, v7
	v_add3_u32 v8, v9, v1, v11
	s_cbranch_scc1 .LBB519_50
; %bb.51:
	v_mov_b32_e32 v1, v10
	s_and_b32 s6, s27, 3
	s_cmp_eq_u32 s6, 0
	s_cbranch_scc0 .LBB519_55
	s_branch .LBB519_57
.LBB519_52:
                                        ; implicit-def: $vgpr10
                                        ; implicit-def: $vgpr8
	s_branch .LBB519_58
.LBB519_53:
	v_mov_b32_e32 v10, 0
	v_mov_b32_e32 v8, 0
	s_branch .LBB519_57
.LBB519_54:
	v_mov_b32_e32 v8, 0
                                        ; implicit-def: $vgpr10
	v_mov_b32_e32 v1, v8
	v_mov_b32_e32 v5, v3
	s_and_b32 s6, s27, 3
	s_cmp_eq_u32 s6, 0
	s_cbranch_scc1 .LBB519_57
.LBB519_55:
	s_lshl_b32 s2, s26, 3
	s_add_u32 s2, s34, s2
	s_addc_u32 s3, s35, 0
	s_add_u32 s2, s2, 0xc4
	s_addc_u32 s3, s3, 0
	s_mul_i32 s4, s26, 12
	s_add_u32 s4, s34, s4
	s_addc_u32 s5, s35, 0
.LBB519_56:                             ; =>This Inner Loop Header: Depth=1
	s_load_dwordx2 s[8:9], s[4:5], 0x4
	s_load_dword s7, s[4:5], 0xc
	s_load_dwordx2 s[10:11], s[2:3], 0x0
	v_mov_b32_e32 v10, v1
	s_add_u32 s4, s4, 12
	s_waitcnt lgkmcnt(0)
	v_mul_hi_u32 v1, s9, v5
	v_add_u32_e32 v1, v5, v1
	v_lshrrev_b32_e32 v1, s7, v1
	s_addc_u32 s5, s5, 0
	v_mul_lo_u32 v7, v1, s8
	s_add_u32 s2, s2, 8
	v_sub_u32_e32 v7, v5, v7
	s_addc_u32 s3, s3, 0
	s_add_i32 s6, s6, -1
	v_mad_u64_u32 v[10:11], s[8:9], v7, s11, v[10:11]
	s_cmp_lg_u32 s6, 0
	v_mov_b32_e32 v5, v1
	v_mad_u64_u32 v[8:9], s[8:9], v7, s10, v[8:9]
	v_mov_b32_e32 v1, v10
	s_cbranch_scc1 .LBB519_56
.LBB519_57:
	s_cbranch_execnz .LBB519_60
.LBB519_58:
	s_load_dwordx4 s[4:7], s[34:35], 0x4
	s_load_dwordx2 s[2:3], s[34:35], 0xc4
	s_cmp_lt_u32 s33, 2
	s_waitcnt lgkmcnt(0)
	v_mul_hi_u32 v1, s5, v3
	v_add_u32_e32 v1, v3, v1
	v_lshrrev_b32_e32 v1, s6, v1
	v_mul_lo_u32 v5, v1, s4
	v_sub_u32_e32 v3, v3, v5
	v_mul_lo_u32 v10, v3, s3
	v_mul_lo_u32 v8, v3, s2
	s_cbranch_scc1 .LBB519_60
; %bb.59:
	s_load_dwordx4 s[4:7], s[34:35], 0x10
	s_load_dwordx2 s[2:3], s[34:35], 0xcc
	s_waitcnt lgkmcnt(0)
	v_mul_hi_u32 v3, s5, v1
	v_add_u32_e32 v3, v1, v3
	v_lshrrev_b32_e32 v3, s6, v3
	v_mul_lo_u32 v3, v3, s4
	v_sub_u32_e32 v1, v1, v3
	v_mad_u64_u32 v[8:9], s[4:5], v1, s2, v[8:9]
	v_mad_u64_u32 v[10:11], s[2:3], v1, s3, v[10:11]
.LBB519_60:
	s_and_b64 vcc, exec, s[0:1]
	s_cbranch_vccnz .LBB519_66
; %bb.61:
	s_cmp_lg_u32 s33, 0
	s_mov_b32 s24, 0
	s_cbranch_scc0 .LBB519_67
; %bb.62:
	s_min_u32 s25, s58, 15
	s_add_i32 s25, s25, 1
	s_cmp_eq_u32 s58, 2
	s_cbranch_scc1 .LBB519_68
; %bb.63:
	s_and_b32 s24, s25, 28
	s_add_u32 s20, s34, 0xc4
	s_addc_u32 s21, s35, 0
	s_mov_b32 s26, 0
	v_mov_b32_e32 v12, 0
	v_mov_b32_e32 v14, 0
	s_mov_b64 s[22:23], s[34:35]
	v_mov_b32_e32 v3, v16
.LBB519_64:                             ; =>This Inner Loop Header: Depth=1
	s_load_dwordx8 s[8:15], s[22:23], 0x4
	s_load_dwordx4 s[16:19], s[22:23], 0x24
	s_load_dwordx8 s[0:7], s[20:21], 0x0
	s_add_u32 s22, s22, 48
	s_addc_u32 s23, s23, 0
	s_waitcnt lgkmcnt(0)
	v_mul_hi_u32 v1, s9, v3
	v_add_u32_e32 v1, v3, v1
	v_lshrrev_b32_e32 v1, s10, v1
	v_mul_lo_u32 v5, v1, s8
	v_mul_hi_u32 v7, s12, v1
	v_sub_u32_e32 v3, v3, v5
	v_add_u32_e32 v5, v1, v7
	v_lshrrev_b32_e32 v5, s13, v5
	v_mul_lo_u32 v9, v5, s11
	v_mul_hi_u32 v11, s15, v5
	v_sub_u32_e32 v1, v1, v9
	v_add_u32_e32 v9, v5, v11
	v_mul_lo_u32 v7, v3, s1
	v_mul_lo_u32 v3, v3, s0
	;; [unrolled: 1-line block ×4, first 2 shown]
	v_lshrrev_b32_e32 v9, s16, v9
	v_add3_u32 v1, v3, v12, v1
	v_add3_u32 v7, v7, v14, v11
	v_mul_lo_u32 v3, v9, s14
	v_mul_hi_u32 v11, s18, v9
	v_sub_u32_e32 v3, v5, v3
	v_add_u32_e32 v5, v9, v11
	v_mul_lo_u32 v11, v3, s4
	v_mul_lo_u32 v12, v3, s5
	v_lshrrev_b32_e32 v3, s19, v5
	s_add_i32 s26, s26, 4
	v_mul_lo_u32 v5, v3, s17
	s_add_u32 s20, s20, 32
	v_sub_u32_e32 v5, v9, v5
	s_addc_u32 s21, s21, 0
	v_mul_lo_u32 v9, v5, s6
	v_mul_lo_u32 v5, v5, s7
	s_cmp_lg_u32 s24, s26
	v_add3_u32 v14, v12, v7, v5
	v_add3_u32 v12, v11, v1, v9
	s_cbranch_scc1 .LBB519_64
; %bb.65:
	v_mov_b32_e32 v1, v14
	s_and_b32 s4, s25, 3
	s_cmp_eq_u32 s4, 0
	s_cbranch_scc0 .LBB519_69
	s_branch .LBB519_71
.LBB519_66:
                                        ; implicit-def: $vgpr14
                                        ; implicit-def: $vgpr12
	s_branch .LBB519_72
.LBB519_67:
	v_mov_b32_e32 v14, 0
	v_mov_b32_e32 v12, 0
	s_branch .LBB519_71
.LBB519_68:
	v_mov_b32_e32 v12, 0
                                        ; implicit-def: $vgpr14
	v_mov_b32_e32 v1, v12
	v_mov_b32_e32 v3, v16
	s_and_b32 s4, s25, 3
	s_cmp_eq_u32 s4, 0
	s_cbranch_scc1 .LBB519_71
.LBB519_69:
	s_lshl_b32 s0, s24, 3
	s_add_u32 s0, s34, s0
	s_addc_u32 s1, s35, 0
	s_add_u32 s0, s0, 0xc4
	s_addc_u32 s1, s1, 0
	s_mul_i32 s2, s24, 12
	s_add_u32 s2, s34, s2
	s_addc_u32 s3, s35, 0
.LBB519_70:                             ; =>This Inner Loop Header: Depth=1
	s_load_dwordx2 s[6:7], s[2:3], 0x4
	s_load_dword s5, s[2:3], 0xc
	s_load_dwordx2 s[8:9], s[0:1], 0x0
	v_mov_b32_e32 v14, v1
	s_add_u32 s2, s2, 12
	s_waitcnt lgkmcnt(0)
	v_mul_hi_u32 v1, s7, v3
	v_add_u32_e32 v1, v3, v1
	v_lshrrev_b32_e32 v1, s5, v1
	s_addc_u32 s3, s3, 0
	v_mul_lo_u32 v5, v1, s6
	s_add_u32 s0, s0, 8
	v_sub_u32_e32 v5, v3, v5
	s_addc_u32 s1, s1, 0
	s_add_i32 s4, s4, -1
	v_mad_u64_u32 v[14:15], s[6:7], v5, s9, v[14:15]
	s_cmp_lg_u32 s4, 0
	v_mov_b32_e32 v3, v1
	v_mad_u64_u32 v[12:13], s[6:7], v5, s8, v[12:13]
	v_mov_b32_e32 v1, v14
	s_cbranch_scc1 .LBB519_70
.LBB519_71:
	s_cbranch_execnz .LBB519_74
.LBB519_72:
	s_load_dwordx4 s[0:3], s[34:35], 0x4
	s_load_dwordx2 s[4:5], s[34:35], 0xc4
	s_cmp_lt_u32 s33, 2
	s_waitcnt lgkmcnt(0)
	v_mul_hi_u32 v1, s1, v16
	v_add_u32_e32 v1, v16, v1
	v_lshrrev_b32_e32 v1, s2, v1
	v_mul_lo_u32 v3, v1, s0
	v_sub_u32_e32 v3, v16, v3
	v_mul_lo_u32 v14, v3, s5
	v_mul_lo_u32 v12, v3, s4
	s_cbranch_scc1 .LBB519_74
; %bb.73:
	s_load_dwordx4 s[0:3], s[34:35], 0x10
	s_load_dwordx2 s[4:5], s[34:35], 0xcc
	s_waitcnt lgkmcnt(0)
	v_mul_hi_u32 v3, s1, v1
	v_add_u32_e32 v3, v1, v3
	v_lshrrev_b32_e32 v3, s2, v3
	v_mul_lo_u32 v3, v3, s0
	v_sub_u32_e32 v1, v1, v3
	v_mad_u64_u32 v[12:13], s[0:1], v1, s4, v[12:13]
	v_mad_u64_u32 v[14:15], s[0:1], v1, s5, v[14:15]
.LBB519_74:
	s_load_dwordx4 s[0:3], s[34:35], 0x148
	s_load_dword s8, s[34:35], 0x158
	s_waitcnt lgkmcnt(0)
	global_load_dword v2, v2, s[2:3]
	v_mov_b32_e32 v1, s8
	s_waitcnt vmcnt(0)
	v_cmp_o_f32_e32 vcc, v2, v2
	s_and_saveexec_b64 s[4:5], vcc
	s_cbranch_execz .LBB519_78
; %bb.75:
	s_load_dword s6, s[34:35], 0x15c
	s_mov_b32 s7, 0x7f800000
	v_cmp_neq_f32_e32 vcc, s7, v2
	s_waitcnt lgkmcnt(0)
	v_mov_b32_e32 v1, s6
	s_and_saveexec_b64 s[6:7], vcc
	s_cbranch_execz .LBB519_77
; %bb.76:
	s_load_dword s9, s[34:35], 0x160
	s_mov_b32 s10, 0xff800000
	v_cmp_eq_f32_e32 vcc, s10, v2
	s_waitcnt lgkmcnt(0)
	v_mov_b32_e32 v1, s9
	v_cndmask_b32_e32 v1, v2, v1, vcc
.LBB519_77:
	s_or_b64 exec, exec, s[6:7]
.LBB519_78:
	s_or_b64 exec, exec, s[4:5]
	global_load_dword v3, v6, s[2:3]
	v_mov_b32_e32 v2, s8
	s_waitcnt vmcnt(0)
	v_cmp_o_f32_e32 vcc, v3, v3
	s_and_saveexec_b64 s[4:5], vcc
	s_cbranch_execz .LBB519_82
; %bb.79:
	s_load_dword s6, s[34:35], 0x15c
	s_mov_b32 s7, 0x7f800000
	v_cmp_neq_f32_e32 vcc, s7, v3
	s_waitcnt lgkmcnt(0)
	v_mov_b32_e32 v2, s6
	s_and_saveexec_b64 s[6:7], vcc
	s_cbranch_execz .LBB519_81
; %bb.80:
	s_load_dword s9, s[34:35], 0x160
	s_mov_b32 s10, 0xff800000
	v_cmp_eq_f32_e32 vcc, s10, v3
	s_waitcnt lgkmcnt(0)
	v_mov_b32_e32 v2, s9
	v_cndmask_b32_e32 v2, v3, v2, vcc
.LBB519_81:
	s_or_b64 exec, exec, s[6:7]
.LBB519_82:
	s_or_b64 exec, exec, s[4:5]
	;; [unrolled: 25-line block ×4, first 2 shown]
	global_store_dword v0, v1, s[0:1]
	global_store_dword v4, v2, s[0:1]
	;; [unrolled: 1-line block ×4, first 2 shown]
	s_endpgm
.LBB519_91:
	v_mov_b32_e32 v2, 0
	v_mov_b32_e32 v0, 0
	s_branch .LBB519_97
.LBB519_92:
	v_mov_b32_e32 v2, 0
	v_mov_b32_e32 v0, 0
	s_branch .LBB519_118
.LBB519_93:
	v_mov_b32_e32 v0, 0
	s_mov_b32 s60, 0
	v_mov_b32_e32 v1, v0
                                        ; implicit-def: $vgpr2
	v_mov_b32_e32 v4, v8
.LBB519_94:
	s_and_b32 s12, s61, 3
	s_cmp_eq_u32 s12, 0
	s_cbranch_scc1 .LBB519_97
; %bb.95:
	s_lshl_b32 s8, s60, 3
	s_add_u32 s8, s34, s8
	s_addc_u32 s9, s35, 0
	s_add_u32 s8, s8, 0xc4
	s_addc_u32 s9, s9, 0
	s_mul_i32 s10, s60, 12
	s_add_u32 s10, s34, s10
	s_addc_u32 s11, s35, 0
.LBB519_96:                             ; =>This Inner Loop Header: Depth=1
	s_load_dwordx2 s[14:15], s[10:11], 0x4
	s_load_dword s13, s[10:11], 0xc
	s_load_dwordx2 s[16:17], s[8:9], 0x0
	v_mov_b32_e32 v2, v1
	s_add_u32 s10, s10, 12
	s_waitcnt lgkmcnt(0)
	v_mul_hi_u32 v1, s15, v4
	v_add_u32_e32 v1, v4, v1
	v_lshrrev_b32_e32 v1, s13, v1
	s_addc_u32 s11, s11, 0
	v_mul_lo_u32 v3, v1, s14
	s_add_u32 s8, s8, 8
	v_sub_u32_e32 v5, v4, v3
	s_addc_u32 s9, s9, 0
	s_add_i32 s12, s12, -1
	v_mov_b32_e32 v4, v1
	v_mad_u64_u32 v[2:3], s[14:15], v5, s17, v[2:3]
	v_mad_u64_u32 v[0:1], s[14:15], v5, s16, v[0:1]
	s_cmp_lg_u32 s12, 0
	v_mov_b32_e32 v1, v2
	s_cbranch_scc1 .LBB519_96
.LBB519_97:
	s_cbranch_execnz .LBB519_100
.LBB519_98:
	v_mul_hi_u32 v0, s29, v8
	v_add_u32_e32 v0, v8, v0
	v_lshrrev_b32_e32 v1, s30, v0
	v_mul_lo_u32 v0, v1, s28
	v_sub_u32_e32 v0, v8, v0
	v_mul_lo_u32 v2, v0, s25
	s_andn2_b64 vcc, exec, s[46:47]
	v_mul_lo_u32 v0, v0, s24
	s_cbranch_vccnz .LBB519_100
; %bb.99:
	v_mul_hi_u32 v3, s44, v1
	v_add_u32_e32 v3, v1, v3
	v_lshrrev_b32_e32 v3, s45, v3
	v_mul_lo_u32 v3, v3, s31
	v_sub_u32_e32 v3, v1, v3
	v_mad_u64_u32 v[0:1], s[8:9], v3, s26, v[0:1]
	v_mad_u64_u32 v[2:3], s[8:9], v3, s27, v[2:3]
.LBB519_100:
	global_load_dword v1, v2, s[2:3]
	v_mov_b32_e32 v2, s4
	s_waitcnt vmcnt(0)
	v_cmp_o_f32_e32 vcc, v1, v1
	s_and_saveexec_b64 s[8:9], vcc
	s_cbranch_execz .LBB519_104
; %bb.101:
	s_mov_b32 s10, 0x7f800000
	v_cmp_neq_f32_e32 vcc, s10, v1
	v_mov_b32_e32 v2, s5
	s_and_saveexec_b64 s[10:11], vcc
; %bb.102:
	s_mov_b32 s12, 0xff800000
	v_mov_b32_e32 v2, s6
	v_cmp_eq_f32_e32 vcc, s12, v1
	s_nop 1
	v_cndmask_b32_e32 v2, v1, v2, vcc
; %bb.103:
	s_or_b64 exec, exec, s[10:11]
.LBB519_104:
	s_or_b64 exec, exec, s[8:9]
	v_add_u32_e32 v8, 0x80, v8
	global_store_dword v0, v2, s[0:1]
	s_or_b64 exec, exec, s[52:53]
	v_cmp_gt_i32_e32 vcc, s59, v8
	s_and_saveexec_b64 s[52:53], vcc
	s_cbranch_execnz .LBB519_16
.LBB519_105:
	s_or_b64 exec, exec, s[52:53]
	v_cmp_gt_i32_e32 vcc, s59, v8
	s_and_saveexec_b64 s[52:53], vcc
	s_cbranch_execz .LBB519_126
.LBB519_106:
	s_andn2_b64 vcc, exec, s[40:41]
	s_cbranch_vccnz .LBB519_112
; %bb.107:
	s_andn2_b64 vcc, exec, s[50:51]
	s_cbranch_vccnz .LBB519_113
; %bb.108:
	s_add_i32 s61, s7, 1
	s_cmp_eq_u32 s58, 2
	s_cbranch_scc1 .LBB519_129
; %bb.109:
	s_and_b32 s60, s61, 28
	s_mov_b32 s62, 0
	v_mov_b32_e32 v0, 0
	v_mov_b32_e32 v2, 0
	s_mov_b64 s[54:55], s[34:35]
	s_mov_b64 s[56:57], s[48:49]
	v_mov_b32_e32 v4, v8
.LBB519_110:                            ; =>This Inner Loop Header: Depth=1
	s_load_dwordx8 s[16:23], s[54:55], 0x4
	s_load_dwordx4 s[36:39], s[54:55], 0x24
	s_load_dwordx8 s[8:15], s[56:57], 0x0
	s_add_u32 s54, s54, 48
	s_addc_u32 s55, s55, 0
	s_waitcnt lgkmcnt(0)
	v_mul_hi_u32 v1, s17, v4
	v_add_u32_e32 v1, v4, v1
	v_lshrrev_b32_e32 v1, s18, v1
	v_mul_lo_u32 v3, v1, s16
	v_mul_hi_u32 v5, s20, v1
	v_sub_u32_e32 v3, v4, v3
	v_add_u32_e32 v4, v1, v5
	v_lshrrev_b32_e32 v4, s21, v4
	v_mul_lo_u32 v6, v4, s19
	v_mul_hi_u32 v7, s23, v4
	v_sub_u32_e32 v1, v1, v6
	v_add_u32_e32 v6, v4, v7
	v_mul_lo_u32 v5, v3, s9
	v_mul_lo_u32 v3, v3, s8
	;; [unrolled: 1-line block ×4, first 2 shown]
	v_lshrrev_b32_e32 v6, s36, v6
	v_add3_u32 v0, v3, v0, v1
	v_mul_hi_u32 v3, s38, v6
	v_add3_u32 v1, v5, v2, v7
	v_mul_lo_u32 v2, v6, s22
	v_add_u32_e32 v3, v6, v3
	v_sub_u32_e32 v2, v4, v2
	v_lshrrev_b32_e32 v4, s39, v3
	s_add_i32 s62, s62, 4
	v_mul_lo_u32 v3, v4, s37
	s_add_u32 s56, s56, 32
	v_sub_u32_e32 v3, v6, v3
	s_addc_u32 s57, s57, 0
	v_mul_lo_u32 v5, v2, s12
	v_mul_lo_u32 v2, v2, s13
	;; [unrolled: 1-line block ×4, first 2 shown]
	s_cmp_eq_u32 s60, s62
	v_add3_u32 v2, v2, v1, v3
	v_add3_u32 v0, v5, v0, v6
	s_cbranch_scc0 .LBB519_110
; %bb.111:
	v_mov_b32_e32 v1, v2
	s_branch .LBB519_130
.LBB519_112:
                                        ; implicit-def: $vgpr2
                                        ; implicit-def: $vgpr0
	s_branch .LBB519_134
.LBB519_113:
	v_mov_b32_e32 v2, 0
	v_mov_b32_e32 v0, 0
	s_branch .LBB519_133
.LBB519_114:
	v_mov_b32_e32 v0, 0
	s_mov_b32 s60, 0
	v_mov_b32_e32 v1, v0
                                        ; implicit-def: $vgpr2
	v_mov_b32_e32 v4, v8
.LBB519_115:
	s_and_b32 s12, s61, 3
	s_cmp_eq_u32 s12, 0
	s_cbranch_scc1 .LBB519_118
; %bb.116:
	s_lshl_b32 s8, s60, 3
	s_add_u32 s8, s34, s8
	s_addc_u32 s9, s35, 0
	s_add_u32 s8, s8, 0xc4
	s_addc_u32 s9, s9, 0
	s_mul_i32 s10, s60, 12
	s_add_u32 s10, s34, s10
	s_addc_u32 s11, s35, 0
.LBB519_117:                            ; =>This Inner Loop Header: Depth=1
	s_load_dwordx2 s[14:15], s[10:11], 0x4
	s_load_dword s13, s[10:11], 0xc
	s_load_dwordx2 s[16:17], s[8:9], 0x0
	v_mov_b32_e32 v2, v1
	s_add_u32 s10, s10, 12
	s_waitcnt lgkmcnt(0)
	v_mul_hi_u32 v1, s15, v4
	v_add_u32_e32 v1, v4, v1
	v_lshrrev_b32_e32 v1, s13, v1
	s_addc_u32 s11, s11, 0
	v_mul_lo_u32 v3, v1, s14
	s_add_u32 s8, s8, 8
	v_sub_u32_e32 v5, v4, v3
	s_addc_u32 s9, s9, 0
	s_add_i32 s12, s12, -1
	v_mov_b32_e32 v4, v1
	v_mad_u64_u32 v[2:3], s[14:15], v5, s17, v[2:3]
	v_mad_u64_u32 v[0:1], s[14:15], v5, s16, v[0:1]
	s_cmp_lg_u32 s12, 0
	v_mov_b32_e32 v1, v2
	s_cbranch_scc1 .LBB519_117
.LBB519_118:
	s_cbranch_execnz .LBB519_121
.LBB519_119:
	v_mul_hi_u32 v0, s29, v8
	v_add_u32_e32 v0, v8, v0
	v_lshrrev_b32_e32 v1, s30, v0
	v_mul_lo_u32 v0, v1, s28
	v_sub_u32_e32 v0, v8, v0
	v_mul_lo_u32 v2, v0, s25
	s_andn2_b64 vcc, exec, s[46:47]
	v_mul_lo_u32 v0, v0, s24
	s_cbranch_vccnz .LBB519_121
; %bb.120:
	v_mul_hi_u32 v3, s44, v1
	v_add_u32_e32 v3, v1, v3
	v_lshrrev_b32_e32 v3, s45, v3
	v_mul_lo_u32 v3, v3, s31
	v_sub_u32_e32 v3, v1, v3
	v_mad_u64_u32 v[0:1], s[8:9], v3, s26, v[0:1]
	v_mad_u64_u32 v[2:3], s[8:9], v3, s27, v[2:3]
.LBB519_121:
	global_load_dword v1, v2, s[2:3]
	v_mov_b32_e32 v2, s4
	s_waitcnt vmcnt(0)
	v_cmp_o_f32_e32 vcc, v1, v1
	s_and_saveexec_b64 s[8:9], vcc
	s_cbranch_execz .LBB519_125
; %bb.122:
	s_mov_b32 s10, 0x7f800000
	v_cmp_neq_f32_e32 vcc, s10, v1
	v_mov_b32_e32 v2, s5
	s_and_saveexec_b64 s[10:11], vcc
; %bb.123:
	s_mov_b32 s12, 0xff800000
	v_mov_b32_e32 v2, s6
	v_cmp_eq_f32_e32 vcc, s12, v1
	s_nop 1
	v_cndmask_b32_e32 v2, v1, v2, vcc
; %bb.124:
	s_or_b64 exec, exec, s[10:11]
.LBB519_125:
	s_or_b64 exec, exec, s[8:9]
	v_add_u32_e32 v8, 0x80, v8
	global_store_dword v0, v2, s[0:1]
	s_or_b64 exec, exec, s[52:53]
	v_cmp_gt_i32_e32 vcc, s59, v8
	s_and_saveexec_b64 s[52:53], vcc
	s_cbranch_execnz .LBB519_106
.LBB519_126:
	s_or_b64 exec, exec, s[52:53]
	v_cmp_gt_i32_e32 vcc, s59, v8
	s_and_saveexec_b64 s[52:53], vcc
	s_cbranch_execnz .LBB519_141
.LBB519_127:
	s_or_b64 exec, exec, s[52:53]
                                        ; implicit-def: $vgpr16
                                        ; implicit-def: $vgpr8
	s_andn2_saveexec_b64 s[0:1], s[42:43]
	s_cbranch_execnz .LBB519_9
.LBB519_128:
	s_endpgm
.LBB519_129:
	v_mov_b32_e32 v0, 0
	s_mov_b32 s60, 0
	v_mov_b32_e32 v1, v0
                                        ; implicit-def: $vgpr2
	v_mov_b32_e32 v4, v8
.LBB519_130:
	s_and_b32 s12, s61, 3
	s_cmp_eq_u32 s12, 0
	s_cbranch_scc1 .LBB519_133
; %bb.131:
	s_lshl_b32 s8, s60, 3
	s_add_u32 s8, s34, s8
	s_addc_u32 s9, s35, 0
	s_add_u32 s8, s8, 0xc4
	s_addc_u32 s9, s9, 0
	s_mul_i32 s10, s60, 12
	s_add_u32 s10, s34, s10
	s_addc_u32 s11, s35, 0
.LBB519_132:                            ; =>This Inner Loop Header: Depth=1
	s_load_dwordx2 s[14:15], s[10:11], 0x4
	s_load_dword s13, s[10:11], 0xc
	s_load_dwordx2 s[16:17], s[8:9], 0x0
	v_mov_b32_e32 v2, v1
	s_add_u32 s10, s10, 12
	s_waitcnt lgkmcnt(0)
	v_mul_hi_u32 v1, s15, v4
	v_add_u32_e32 v1, v4, v1
	v_lshrrev_b32_e32 v1, s13, v1
	s_addc_u32 s11, s11, 0
	v_mul_lo_u32 v3, v1, s14
	s_add_u32 s8, s8, 8
	v_sub_u32_e32 v5, v4, v3
	s_addc_u32 s9, s9, 0
	s_add_i32 s12, s12, -1
	v_mov_b32_e32 v4, v1
	v_mad_u64_u32 v[2:3], s[14:15], v5, s17, v[2:3]
	v_mad_u64_u32 v[0:1], s[14:15], v5, s16, v[0:1]
	s_cmp_lg_u32 s12, 0
	v_mov_b32_e32 v1, v2
	s_cbranch_scc1 .LBB519_132
.LBB519_133:
	s_cbranch_execnz .LBB519_136
.LBB519_134:
	v_mul_hi_u32 v0, s29, v8
	v_add_u32_e32 v0, v8, v0
	v_lshrrev_b32_e32 v1, s30, v0
	v_mul_lo_u32 v0, v1, s28
	v_sub_u32_e32 v0, v8, v0
	v_mul_lo_u32 v2, v0, s25
	s_andn2_b64 vcc, exec, s[46:47]
	v_mul_lo_u32 v0, v0, s24
	s_cbranch_vccnz .LBB519_136
; %bb.135:
	v_mul_hi_u32 v3, s44, v1
	v_add_u32_e32 v3, v1, v3
	v_lshrrev_b32_e32 v3, s45, v3
	v_mul_lo_u32 v3, v3, s31
	v_sub_u32_e32 v3, v1, v3
	v_mad_u64_u32 v[0:1], s[8:9], v3, s26, v[0:1]
	v_mad_u64_u32 v[2:3], s[8:9], v3, s27, v[2:3]
.LBB519_136:
	global_load_dword v1, v2, s[2:3]
	v_mov_b32_e32 v2, s4
	s_waitcnt vmcnt(0)
	v_cmp_o_f32_e32 vcc, v1, v1
	s_and_saveexec_b64 s[8:9], vcc
	s_cbranch_execz .LBB519_140
; %bb.137:
	s_mov_b32 s10, 0x7f800000
	v_cmp_neq_f32_e32 vcc, s10, v1
	v_mov_b32_e32 v2, s5
	s_and_saveexec_b64 s[10:11], vcc
; %bb.138:
	s_mov_b32 s12, 0xff800000
	v_mov_b32_e32 v2, s6
	v_cmp_eq_f32_e32 vcc, s12, v1
	s_nop 1
	v_cndmask_b32_e32 v2, v1, v2, vcc
; %bb.139:
	s_or_b64 exec, exec, s[10:11]
.LBB519_140:
	s_or_b64 exec, exec, s[8:9]
	v_add_u32_e32 v8, 0x80, v8
	global_store_dword v0, v2, s[0:1]
	s_or_b64 exec, exec, s[52:53]
	v_cmp_gt_i32_e32 vcc, s59, v8
	s_and_saveexec_b64 s[52:53], vcc
	s_cbranch_execz .LBB519_127
.LBB519_141:
	s_andn2_b64 vcc, exec, s[40:41]
	s_cbranch_vccnz .LBB519_147
; %bb.142:
	s_andn2_b64 vcc, exec, s[50:51]
	s_cbranch_vccnz .LBB519_148
; %bb.143:
	s_add_i32 s54, s7, 1
	s_cmp_eq_u32 s58, 2
	s_cbranch_scc1 .LBB519_149
; %bb.144:
	s_and_b32 s7, s54, 28
	s_mov_b32 s55, 0
	v_mov_b32_e32 v0, 0
	v_mov_b32_e32 v2, 0
	s_mov_b64 s[50:51], s[34:35]
	v_mov_b32_e32 v4, v8
.LBB519_145:                            ; =>This Inner Loop Header: Depth=1
	s_load_dwordx8 s[16:23], s[50:51], 0x4
	s_load_dwordx4 s[36:39], s[50:51], 0x24
	s_load_dwordx8 s[8:15], s[48:49], 0x0
	s_add_u32 s50, s50, 48
	s_addc_u32 s51, s51, 0
	s_waitcnt lgkmcnt(0)
	v_mul_hi_u32 v1, s17, v4
	v_add_u32_e32 v1, v4, v1
	v_lshrrev_b32_e32 v1, s18, v1
	v_mul_lo_u32 v3, v1, s16
	v_mul_hi_u32 v5, s20, v1
	v_sub_u32_e32 v3, v4, v3
	v_add_u32_e32 v4, v1, v5
	v_lshrrev_b32_e32 v4, s21, v4
	v_mul_lo_u32 v6, v4, s19
	v_mul_hi_u32 v7, s23, v4
	v_sub_u32_e32 v1, v1, v6
	v_add_u32_e32 v6, v4, v7
	v_mul_lo_u32 v5, v3, s9
	v_mul_lo_u32 v3, v3, s8
	;; [unrolled: 1-line block ×4, first 2 shown]
	v_lshrrev_b32_e32 v6, s36, v6
	v_add3_u32 v0, v3, v0, v1
	v_mul_hi_u32 v3, s38, v6
	v_add3_u32 v1, v5, v2, v7
	v_mul_lo_u32 v2, v6, s22
	v_add_u32_e32 v3, v6, v3
	v_sub_u32_e32 v2, v4, v2
	v_lshrrev_b32_e32 v4, s39, v3
	s_add_i32 s55, s55, 4
	v_mul_lo_u32 v3, v4, s37
	s_add_u32 s48, s48, 32
	v_sub_u32_e32 v3, v6, v3
	s_addc_u32 s49, s49, 0
	v_mul_lo_u32 v5, v2, s12
	v_mul_lo_u32 v2, v2, s13
	;; [unrolled: 1-line block ×4, first 2 shown]
	s_cmp_eq_u32 s7, s55
	v_add3_u32 v2, v2, v1, v3
	v_add3_u32 v0, v5, v0, v6
	s_cbranch_scc0 .LBB519_145
; %bb.146:
	v_mov_b32_e32 v1, v2
	s_branch .LBB519_150
.LBB519_147:
                                        ; implicit-def: $vgpr2
                                        ; implicit-def: $vgpr0
	s_branch .LBB519_154
.LBB519_148:
	v_mov_b32_e32 v2, 0
	v_mov_b32_e32 v0, 0
	s_branch .LBB519_153
.LBB519_149:
	v_mov_b32_e32 v0, 0
	s_mov_b32 s7, 0
	v_mov_b32_e32 v1, v0
                                        ; implicit-def: $vgpr2
	v_mov_b32_e32 v4, v8
.LBB519_150:
	s_and_b32 s12, s54, 3
	s_cmp_eq_u32 s12, 0
	s_cbranch_scc1 .LBB519_153
; %bb.151:
	s_lshl_b32 s8, s7, 3
	s_add_u32 s8, s34, s8
	s_addc_u32 s9, s35, 0
	s_add_u32 s8, s8, 0xc4
	s_addc_u32 s9, s9, 0
	s_mul_i32 s7, s7, 12
	s_add_u32 s10, s34, s7
	s_addc_u32 s11, s35, 0
.LBB519_152:                            ; =>This Inner Loop Header: Depth=1
	s_load_dwordx2 s[14:15], s[10:11], 0x4
	s_load_dword s7, s[10:11], 0xc
	s_load_dwordx2 s[16:17], s[8:9], 0x0
	v_mov_b32_e32 v2, v1
	s_add_u32 s10, s10, 12
	s_waitcnt lgkmcnt(0)
	v_mul_hi_u32 v1, s15, v4
	v_add_u32_e32 v1, v4, v1
	v_lshrrev_b32_e32 v1, s7, v1
	s_addc_u32 s11, s11, 0
	v_mul_lo_u32 v3, v1, s14
	s_add_u32 s8, s8, 8
	v_sub_u32_e32 v5, v4, v3
	s_addc_u32 s9, s9, 0
	s_add_i32 s12, s12, -1
	v_mov_b32_e32 v4, v1
	v_mad_u64_u32 v[2:3], s[14:15], v5, s17, v[2:3]
	v_mad_u64_u32 v[0:1], s[14:15], v5, s16, v[0:1]
	s_cmp_lg_u32 s12, 0
	v_mov_b32_e32 v1, v2
	s_cbranch_scc1 .LBB519_152
.LBB519_153:
	s_cbranch_execnz .LBB519_156
.LBB519_154:
	v_mul_hi_u32 v0, s29, v8
	v_add_u32_e32 v0, v8, v0
	v_lshrrev_b32_e32 v1, s30, v0
	v_mul_lo_u32 v0, v1, s28
	v_sub_u32_e32 v0, v8, v0
	v_mul_lo_u32 v2, v0, s25
	s_andn2_b64 vcc, exec, s[46:47]
	v_mul_lo_u32 v0, v0, s24
	s_cbranch_vccnz .LBB519_156
; %bb.155:
	v_mul_hi_u32 v3, s44, v1
	v_add_u32_e32 v3, v1, v3
	v_lshrrev_b32_e32 v3, s45, v3
	v_mul_lo_u32 v3, v3, s31
	v_sub_u32_e32 v3, v1, v3
	v_mad_u64_u32 v[0:1], s[8:9], v3, s26, v[0:1]
	v_mad_u64_u32 v[2:3], s[8:9], v3, s27, v[2:3]
.LBB519_156:
	global_load_dword v1, v2, s[2:3]
	v_mov_b32_e32 v2, s4
	s_waitcnt vmcnt(0)
	v_cmp_o_f32_e32 vcc, v1, v1
	s_and_saveexec_b64 s[2:3], vcc
	s_cbranch_execz .LBB519_160
; %bb.157:
	s_mov_b32 s4, 0x7f800000
	v_cmp_neq_f32_e32 vcc, s4, v1
	v_mov_b32_e32 v2, s5
	s_and_saveexec_b64 s[4:5], vcc
; %bb.158:
	s_mov_b32 s7, 0xff800000
	v_mov_b32_e32 v2, s6
	v_cmp_eq_f32_e32 vcc, s7, v1
	s_nop 1
	v_cndmask_b32_e32 v2, v1, v2, vcc
; %bb.159:
	s_or_b64 exec, exec, s[4:5]
.LBB519_160:
	s_or_b64 exec, exec, s[2:3]
	global_store_dword v0, v2, s[0:1]
	s_or_b64 exec, exec, s[52:53]
                                        ; implicit-def: $vgpr16
                                        ; implicit-def: $vgpr8
	s_andn2_saveexec_b64 s[0:1], s[42:43]
	s_cbranch_execz .LBB519_128
	s_branch .LBB519_9
	.section	.rodata,"a",@progbits
	.p2align	6, 0x0
	.amdhsa_kernel _ZN2at6native32elementwise_kernel_manual_unrollILi128ELi4EZNS0_22gpu_kernel_impl_nocastIZZZNS0_22nan_to_num_kernel_cudaERNS_18TensorIteratorBaseESt8optionalIdES6_S6_ENKUlvE0_clEvENKUlvE0_clEvEUlfE_EEvS4_RKT_EUlibE_EEviT1_
		.amdhsa_group_segment_fixed_size 0
		.amdhsa_private_segment_fixed_size 0
		.amdhsa_kernarg_size 368
		.amdhsa_user_sgpr_count 2
		.amdhsa_user_sgpr_dispatch_ptr 0
		.amdhsa_user_sgpr_queue_ptr 0
		.amdhsa_user_sgpr_kernarg_segment_ptr 1
		.amdhsa_user_sgpr_dispatch_id 0
		.amdhsa_user_sgpr_kernarg_preload_length 0
		.amdhsa_user_sgpr_kernarg_preload_offset 0
		.amdhsa_user_sgpr_private_segment_size 0
		.amdhsa_uses_dynamic_stack 0
		.amdhsa_enable_private_segment 0
		.amdhsa_system_sgpr_workgroup_id_x 1
		.amdhsa_system_sgpr_workgroup_id_y 0
		.amdhsa_system_sgpr_workgroup_id_z 0
		.amdhsa_system_sgpr_workgroup_info 0
		.amdhsa_system_vgpr_workitem_id 0
		.amdhsa_next_free_vgpr 17
		.amdhsa_next_free_sgpr 63
		.amdhsa_accum_offset 20
		.amdhsa_reserve_vcc 1
		.amdhsa_float_round_mode_32 0
		.amdhsa_float_round_mode_16_64 0
		.amdhsa_float_denorm_mode_32 3
		.amdhsa_float_denorm_mode_16_64 3
		.amdhsa_dx10_clamp 1
		.amdhsa_ieee_mode 1
		.amdhsa_fp16_overflow 0
		.amdhsa_tg_split 0
		.amdhsa_exception_fp_ieee_invalid_op 0
		.amdhsa_exception_fp_denorm_src 0
		.amdhsa_exception_fp_ieee_div_zero 0
		.amdhsa_exception_fp_ieee_overflow 0
		.amdhsa_exception_fp_ieee_underflow 0
		.amdhsa_exception_fp_ieee_inexact 0
		.amdhsa_exception_int_div_zero 0
	.end_amdhsa_kernel
	.section	.text._ZN2at6native32elementwise_kernel_manual_unrollILi128ELi4EZNS0_22gpu_kernel_impl_nocastIZZZNS0_22nan_to_num_kernel_cudaERNS_18TensorIteratorBaseESt8optionalIdES6_S6_ENKUlvE0_clEvENKUlvE0_clEvEUlfE_EEvS4_RKT_EUlibE_EEviT1_,"axG",@progbits,_ZN2at6native32elementwise_kernel_manual_unrollILi128ELi4EZNS0_22gpu_kernel_impl_nocastIZZZNS0_22nan_to_num_kernel_cudaERNS_18TensorIteratorBaseESt8optionalIdES6_S6_ENKUlvE0_clEvENKUlvE0_clEvEUlfE_EEvS4_RKT_EUlibE_EEviT1_,comdat
.Lfunc_end519:
	.size	_ZN2at6native32elementwise_kernel_manual_unrollILi128ELi4EZNS0_22gpu_kernel_impl_nocastIZZZNS0_22nan_to_num_kernel_cudaERNS_18TensorIteratorBaseESt8optionalIdES6_S6_ENKUlvE0_clEvENKUlvE0_clEvEUlfE_EEvS4_RKT_EUlibE_EEviT1_, .Lfunc_end519-_ZN2at6native32elementwise_kernel_manual_unrollILi128ELi4EZNS0_22gpu_kernel_impl_nocastIZZZNS0_22nan_to_num_kernel_cudaERNS_18TensorIteratorBaseESt8optionalIdES6_S6_ENKUlvE0_clEvENKUlvE0_clEvEUlfE_EEvS4_RKT_EUlibE_EEviT1_
                                        ; -- End function
	.set _ZN2at6native32elementwise_kernel_manual_unrollILi128ELi4EZNS0_22gpu_kernel_impl_nocastIZZZNS0_22nan_to_num_kernel_cudaERNS_18TensorIteratorBaseESt8optionalIdES6_S6_ENKUlvE0_clEvENKUlvE0_clEvEUlfE_EEvS4_RKT_EUlibE_EEviT1_.num_vgpr, 17
	.set _ZN2at6native32elementwise_kernel_manual_unrollILi128ELi4EZNS0_22gpu_kernel_impl_nocastIZZZNS0_22nan_to_num_kernel_cudaERNS_18TensorIteratorBaseESt8optionalIdES6_S6_ENKUlvE0_clEvENKUlvE0_clEvEUlfE_EEvS4_RKT_EUlibE_EEviT1_.num_agpr, 0
	.set _ZN2at6native32elementwise_kernel_manual_unrollILi128ELi4EZNS0_22gpu_kernel_impl_nocastIZZZNS0_22nan_to_num_kernel_cudaERNS_18TensorIteratorBaseESt8optionalIdES6_S6_ENKUlvE0_clEvENKUlvE0_clEvEUlfE_EEvS4_RKT_EUlibE_EEviT1_.numbered_sgpr, 63
	.set _ZN2at6native32elementwise_kernel_manual_unrollILi128ELi4EZNS0_22gpu_kernel_impl_nocastIZZZNS0_22nan_to_num_kernel_cudaERNS_18TensorIteratorBaseESt8optionalIdES6_S6_ENKUlvE0_clEvENKUlvE0_clEvEUlfE_EEvS4_RKT_EUlibE_EEviT1_.num_named_barrier, 0
	.set _ZN2at6native32elementwise_kernel_manual_unrollILi128ELi4EZNS0_22gpu_kernel_impl_nocastIZZZNS0_22nan_to_num_kernel_cudaERNS_18TensorIteratorBaseESt8optionalIdES6_S6_ENKUlvE0_clEvENKUlvE0_clEvEUlfE_EEvS4_RKT_EUlibE_EEviT1_.private_seg_size, 0
	.set _ZN2at6native32elementwise_kernel_manual_unrollILi128ELi4EZNS0_22gpu_kernel_impl_nocastIZZZNS0_22nan_to_num_kernel_cudaERNS_18TensorIteratorBaseESt8optionalIdES6_S6_ENKUlvE0_clEvENKUlvE0_clEvEUlfE_EEvS4_RKT_EUlibE_EEviT1_.uses_vcc, 1
	.set _ZN2at6native32elementwise_kernel_manual_unrollILi128ELi4EZNS0_22gpu_kernel_impl_nocastIZZZNS0_22nan_to_num_kernel_cudaERNS_18TensorIteratorBaseESt8optionalIdES6_S6_ENKUlvE0_clEvENKUlvE0_clEvEUlfE_EEvS4_RKT_EUlibE_EEviT1_.uses_flat_scratch, 0
	.set _ZN2at6native32elementwise_kernel_manual_unrollILi128ELi4EZNS0_22gpu_kernel_impl_nocastIZZZNS0_22nan_to_num_kernel_cudaERNS_18TensorIteratorBaseESt8optionalIdES6_S6_ENKUlvE0_clEvENKUlvE0_clEvEUlfE_EEvS4_RKT_EUlibE_EEviT1_.has_dyn_sized_stack, 0
	.set _ZN2at6native32elementwise_kernel_manual_unrollILi128ELi4EZNS0_22gpu_kernel_impl_nocastIZZZNS0_22nan_to_num_kernel_cudaERNS_18TensorIteratorBaseESt8optionalIdES6_S6_ENKUlvE0_clEvENKUlvE0_clEvEUlfE_EEvS4_RKT_EUlibE_EEviT1_.has_recursion, 0
	.set _ZN2at6native32elementwise_kernel_manual_unrollILi128ELi4EZNS0_22gpu_kernel_impl_nocastIZZZNS0_22nan_to_num_kernel_cudaERNS_18TensorIteratorBaseESt8optionalIdES6_S6_ENKUlvE0_clEvENKUlvE0_clEvEUlfE_EEvS4_RKT_EUlibE_EEviT1_.has_indirect_call, 0
	.section	.AMDGPU.csdata,"",@progbits
; Kernel info:
; codeLenInByte = 6380
; TotalNumSgprs: 69
; NumVgprs: 17
; NumAgprs: 0
; TotalNumVgprs: 17
; ScratchSize: 0
; MemoryBound: 0
; FloatMode: 240
; IeeeMode: 1
; LDSByteSize: 0 bytes/workgroup (compile time only)
; SGPRBlocks: 8
; VGPRBlocks: 2
; NumSGPRsForWavesPerEU: 69
; NumVGPRsForWavesPerEU: 17
; AccumOffset: 20
; Occupancy: 8
; WaveLimiterHint : 1
; COMPUTE_PGM_RSRC2:SCRATCH_EN: 0
; COMPUTE_PGM_RSRC2:USER_SGPR: 2
; COMPUTE_PGM_RSRC2:TRAP_HANDLER: 0
; COMPUTE_PGM_RSRC2:TGID_X_EN: 1
; COMPUTE_PGM_RSRC2:TGID_Y_EN: 0
; COMPUTE_PGM_RSRC2:TGID_Z_EN: 0
; COMPUTE_PGM_RSRC2:TIDIG_COMP_CNT: 0
; COMPUTE_PGM_RSRC3_GFX90A:ACCUM_OFFSET: 4
; COMPUTE_PGM_RSRC3_GFX90A:TG_SPLIT: 0
	.section	.text._ZN2at6native32elementwise_kernel_manual_unrollILi128ELi4EZNS0_15gpu_kernel_implIZZZNS0_22nan_to_num_kernel_cudaERNS_18TensorIteratorBaseESt8optionalIdES6_S6_ENKUlvE0_clEvENKUlvE0_clEvEUlfE_EEvS4_RKT_EUlibE_EEviT1_,"axG",@progbits,_ZN2at6native32elementwise_kernel_manual_unrollILi128ELi4EZNS0_15gpu_kernel_implIZZZNS0_22nan_to_num_kernel_cudaERNS_18TensorIteratorBaseESt8optionalIdES6_S6_ENKUlvE0_clEvENKUlvE0_clEvEUlfE_EEvS4_RKT_EUlibE_EEviT1_,comdat
	.globl	_ZN2at6native32elementwise_kernel_manual_unrollILi128ELi4EZNS0_15gpu_kernel_implIZZZNS0_22nan_to_num_kernel_cudaERNS_18TensorIteratorBaseESt8optionalIdES6_S6_ENKUlvE0_clEvENKUlvE0_clEvEUlfE_EEvS4_RKT_EUlibE_EEviT1_ ; -- Begin function _ZN2at6native32elementwise_kernel_manual_unrollILi128ELi4EZNS0_15gpu_kernel_implIZZZNS0_22nan_to_num_kernel_cudaERNS_18TensorIteratorBaseESt8optionalIdES6_S6_ENKUlvE0_clEvENKUlvE0_clEvEUlfE_EEvS4_RKT_EUlibE_EEviT1_
	.p2align	8
	.type	_ZN2at6native32elementwise_kernel_manual_unrollILi128ELi4EZNS0_15gpu_kernel_implIZZZNS0_22nan_to_num_kernel_cudaERNS_18TensorIteratorBaseESt8optionalIdES6_S6_ENKUlvE0_clEvENKUlvE0_clEvEUlfE_EEvS4_RKT_EUlibE_EEviT1_,@function
_ZN2at6native32elementwise_kernel_manual_unrollILi128ELi4EZNS0_15gpu_kernel_implIZZZNS0_22nan_to_num_kernel_cudaERNS_18TensorIteratorBaseESt8optionalIdES6_S6_ENKUlvE0_clEvENKUlvE0_clEvEUlfE_EEvS4_RKT_EUlibE_EEviT1_: ; @_ZN2at6native32elementwise_kernel_manual_unrollILi128ELi4EZNS0_15gpu_kernel_implIZZZNS0_22nan_to_num_kernel_cudaERNS_18TensorIteratorBaseESt8optionalIdES6_S6_ENKUlvE0_clEvENKUlvE0_clEvEUlfE_EEvS4_RKT_EUlibE_EEviT1_
; %bb.0:
	s_load_dwordx2 s[12:13], s[0:1], 0x28
	s_load_dword s42, s[0:1], 0x0
	s_load_dwordx8 s[4:11], s[0:1], 0x8
	v_lshl_or_b32 v8, s2, 9, v0
	v_or_b32_e32 v0, 0x180, v8
	s_waitcnt lgkmcnt(0)
	s_bfe_u32 s33, s13, 0x80008
	v_cmp_le_i32_e32 vcc, s42, v0
	s_mov_b64 s[2:3], 0
	s_mov_b64 s[16:17], 0
	s_and_saveexec_b64 s[0:1], vcc
	s_xor_b64 s[14:15], exec, s[0:1]
	s_cbranch_execz .LBB520_1043
; %bb.1:
	v_cmp_gt_i32_e32 vcc, s42, v8
	s_mov_b64 s[22:23], -1
	s_mov_b64 s[24:25], 0
	s_mov_b64 s[18:19], 0
	s_and_saveexec_b64 s[20:21], vcc
	s_cbranch_execz .LBB520_256
; %bb.2:
	v_mul_lo_u32 v0, v8, s9
	v_ashrrev_i32_e32 v1, 31, v0
	s_and_b32 s26, 0xffff, s33
	s_cmp_lt_i32 s26, 11
	v_lshl_add_u64 v[0:1], s[6:7], 0, v[0:1]
	s_cbranch_scc1 .LBB520_9
; %bb.3:
	s_cmp_gt_i32 s26, 25
	s_cbranch_scc0 .LBB520_22
; %bb.4:
	s_cmp_gt_i32 s26, 28
	s_cbranch_scc0 .LBB520_26
	;; [unrolled: 3-line block ×4, first 2 shown]
; %bb.7:
	s_cmp_eq_u32 s26, 46
	s_cbranch_scc0 .LBB520_32
; %bb.8:
	global_load_dword v2, v[0:1], off
	s_mov_b64 s[0:1], -1
	s_waitcnt vmcnt(0)
	v_lshlrev_b32_e32 v2, 16, v2
	s_branch .LBB520_34
.LBB520_9:
                                        ; implicit-def: $vgpr2
	s_mov_b64 s[0:1], 0
	s_cbranch_execnz .LBB520_207
.LBB520_10:
	s_andn2_b64 vcc, exec, s[0:1]
	s_cbranch_vccnz .LBB520_254
.LBB520_11:
	s_waitcnt vmcnt(0)
	v_cmp_o_f32_e32 vcc, v2, v2
	v_mov_b32_e32 v0, s10
	s_and_saveexec_b64 s[0:1], vcc
	s_cbranch_execz .LBB520_15
; %bb.12:
	s_mov_b32 s16, 0x7f800000
	v_cmp_neq_f32_e32 vcc, s16, v2
	v_mov_b32_e32 v0, s11
	s_and_saveexec_b64 s[16:17], vcc
; %bb.13:
	s_mov_b32 s22, 0xff800000
	v_mov_b32_e32 v0, s12
	v_cmp_eq_f32_e32 vcc, s22, v2
	s_nop 1
	v_cndmask_b32_e32 v0, v2, v0, vcc
; %bb.14:
	s_or_b64 exec, exec, s[16:17]
.LBB520_15:
	s_or_b64 exec, exec, s[0:1]
	v_mul_lo_u32 v2, v8, s8
	v_ashrrev_i32_e32 v3, 31, v2
	s_and_b32 s28, s13, 0xff
	s_cmp_lt_i32 s28, 11
	v_lshl_add_u64 v[2:3], s[4:5], 0, v[2:3]
	s_cbranch_scc1 .LBB520_23
; %bb.16:
	s_and_b32 s29, 0xffff, s28
	s_cmp_gt_i32 s29, 25
	s_cbranch_scc0 .LBB520_27
; %bb.17:
	s_cmp_gt_i32 s29, 28
	s_cbranch_scc0 .LBB520_29
; %bb.18:
	;; [unrolled: 3-line block ×4, first 2 shown]
	s_mov_b64 s[22:23], 0
	s_mov_b64 s[0:1], -1
	s_cmp_eq_u32 s29, 46
	s_mov_b64 s[16:17], 0
	s_cbranch_scc0 .LBB520_38
; %bb.21:
	v_bfe_u32 v1, v0, 16, 1
	s_movk_i32 s0, 0x7fff
	v_add3_u32 v1, v0, v1, s0
	v_cmp_o_f32_e32 vcc, v0, v0
	v_mov_b32_e32 v4, 0x7fc0
	s_mov_b64 s[16:17], -1
	v_cndmask_b32_sdwa v1, v4, v1, vcc dst_sel:DWORD dst_unused:UNUSED_PAD src0_sel:DWORD src1_sel:WORD_1
	global_store_dword v[2:3], v1, off
	s_mov_b64 s[0:1], 0
	s_branch .LBB520_38
.LBB520_22:
	s_mov_b64 s[0:1], 0
                                        ; implicit-def: $vgpr2
	s_cbranch_execnz .LBB520_172
	s_branch .LBB520_206
.LBB520_23:
	s_mov_b64 s[0:1], 0
	s_mov_b64 s[16:17], 0
	s_cbranch_execnz .LBB520_107
.LBB520_24:
	s_andn2_b64 vcc, exec, s[16:17]
	s_cbranch_vccnz .LBB520_145
.LBB520_25:
	v_add_u32_e32 v8, 0x80, v8
	s_mov_b64 s[22:23], -1
	s_branch .LBB520_255
.LBB520_26:
	s_mov_b64 s[16:17], -1
	s_mov_b64 s[0:1], 0
                                        ; implicit-def: $vgpr2
	s_branch .LBB520_153
.LBB520_27:
	s_mov_b64 s[22:23], -1
	s_mov_b64 s[0:1], 0
	s_mov_b64 s[16:17], 0
	s_branch .LBB520_65
.LBB520_28:
	s_mov_b64 s[16:17], -1
	s_mov_b64 s[0:1], 0
                                        ; implicit-def: $vgpr2
	s_branch .LBB520_148
.LBB520_29:
	s_mov_b64 s[22:23], -1
	s_mov_b64 s[0:1], 0
	s_mov_b64 s[16:17], 0
	s_branch .LBB520_48
.LBB520_30:
	s_mov_b64 s[16:17], -1
	s_branch .LBB520_33
.LBB520_31:
	s_mov_b64 s[22:23], -1
	s_mov_b64 s[0:1], 0
	s_mov_b64 s[16:17], 0
	s_branch .LBB520_44
.LBB520_32:
	s_mov_b64 s[18:19], -1
.LBB520_33:
	s_mov_b64 s[0:1], 0
                                        ; implicit-def: $vgpr2
.LBB520_34:
	s_and_b64 vcc, exec, s[16:17]
	s_cbranch_vccz .LBB520_147
; %bb.35:
	s_cmp_eq_u32 s26, 44
	s_cbranch_scc0 .LBB520_146
; %bb.36:
	global_load_ubyte v2, v[0:1], off
	s_movk_i32 s16, 0xff
	v_mov_b32_e32 v3, 0x7f800001
	v_mov_b32_e32 v4, 0x400000
	s_mov_b64 s[0:1], -1
	s_mov_b64 s[18:19], 0
	s_waitcnt vmcnt(0)
	v_lshlrev_b32_e32 v5, 23, v2
	v_cmp_ne_u32_e32 vcc, s16, v2
	s_nop 1
	v_cndmask_b32_e32 v3, v3, v5, vcc
	v_cmp_ne_u32_e32 vcc, 0, v2
	s_nop 1
	v_cndmask_b32_e32 v2, v4, v3, vcc
	s_branch .LBB520_147
.LBB520_37:
	s_mov_b64 s[22:23], -1
	s_mov_b64 s[0:1], 0
	s_mov_b64 s[16:17], 0
.LBB520_38:
	s_and_b64 vcc, exec, s[22:23]
	s_cbranch_vccz .LBB520_43
; %bb.39:
	s_cmp_eq_u32 s29, 44
	s_mov_b64 s[0:1], -1
	s_cbranch_scc0 .LBB520_43
; %bb.40:
	v_bfe_u32 v1, v0, 23, 8
	s_movk_i32 s0, 0xff
	v_cmp_ne_u32_e32 vcc, s0, v1
	v_mov_b32_e32 v4, 0xff
	s_and_saveexec_b64 s[16:17], vcc
; %bb.41:
	s_mov_b32 s0, 0x3fffff
	v_and_b32_e32 v5, 0x400000, v0
	v_and_or_b32 v1, v0, s0, v1
	v_cmp_ne_u32_e32 vcc, 0, v5
	v_cmp_ne_u32_e64 s[0:1], 0, v1
	s_and_b64 s[0:1], vcc, s[0:1]
	v_lshrrev_b32_e32 v4, 23, v0
	v_cndmask_b32_e64 v1, 0, 1, s[0:1]
	v_add_u32_e32 v4, v4, v1
; %bb.42:
	s_or_b64 exec, exec, s[16:17]
	s_mov_b64 s[16:17], -1
	s_mov_b64 s[0:1], 0
	global_store_byte v[2:3], v4, off
.LBB520_43:
	s_mov_b64 s[22:23], 0
.LBB520_44:
	s_and_b64 vcc, exec, s[22:23]
	s_cbranch_vccz .LBB520_47
; %bb.45:
	s_cmp_eq_u32 s29, 29
	s_mov_b64 s[0:1], -1
	s_cbranch_scc0 .LBB520_47
; %bb.46:
	v_trunc_f32_e32 v1, v0
	v_mul_f32_e32 v4, 0x2f800000, v1
	v_floor_f32_e32 v4, v4
	v_fmamk_f32 v1, v4, 0xcf800000, v1
	v_cvt_u32_f32_e32 v5, v4
	v_cvt_u32_f32_e32 v4, v1
	s_mov_b64 s[16:17], -1
	s_mov_b64 s[0:1], 0
	s_mov_b64 s[22:23], 0
	global_store_dwordx2 v[2:3], v[4:5], off
	s_branch .LBB520_48
.LBB520_47:
	s_mov_b64 s[22:23], 0
.LBB520_48:
	s_and_b64 vcc, exec, s[22:23]
	s_cbranch_vccz .LBB520_64
; %bb.49:
	s_cmp_lt_i32 s29, 27
	s_mov_b64 s[16:17], -1
	s_cbranch_scc1 .LBB520_55
; %bb.50:
	v_cvt_u32_f32_e32 v1, v0
	s_cmp_gt_i32 s29, 27
	s_cbranch_scc0 .LBB520_52
; %bb.51:
	s_mov_b64 s[16:17], 0
	global_store_dword v[2:3], v1, off
.LBB520_52:
	s_andn2_b64 vcc, exec, s[16:17]
	s_cbranch_vccnz .LBB520_54
; %bb.53:
	global_store_short v[2:3], v1, off
.LBB520_54:
	s_mov_b64 s[16:17], 0
.LBB520_55:
	s_andn2_b64 vcc, exec, s[16:17]
	s_cbranch_vccnz .LBB520_63
; %bb.56:
	v_and_b32_e32 v1, 0x7fffffff, v0
	s_mov_b32 s16, 0x43800000
	v_cmp_gt_u32_e32 vcc, s16, v1
	v_mov_b32_e32 v4, 0x80
	s_and_saveexec_b64 s[16:17], vcc
	s_cbranch_execz .LBB520_62
; %bb.57:
	s_mov_b32 s22, 0x3bffffff
	v_cmp_lt_u32_e32 vcc, s22, v1
	s_mov_b64 s[22:23], 0
                                        ; implicit-def: $vgpr1
	s_and_saveexec_b64 s[26:27], vcc
	s_xor_b64 s[26:27], exec, s[26:27]
	s_cbranch_execz .LBB520_287
; %bb.58:
	v_bfe_u32 v1, v0, 20, 1
	s_mov_b32 s30, 0x487ffff
	v_add3_u32 v1, v0, v1, s30
	s_mov_b64 s[22:23], exec
	v_lshrrev_b32_e32 v1, 20, v1
	s_andn2_saveexec_b64 s[26:27], s[26:27]
	s_cbranch_execnz .LBB520_288
.LBB520_59:
	s_or_b64 exec, exec, s[26:27]
	v_mov_b32_e32 v4, 0
	s_and_saveexec_b64 s[26:27], s[22:23]
.LBB520_60:
	v_lshrrev_b32_e32 v4, 24, v0
	s_movk_i32 s22, 0x80
	v_and_or_b32 v4, v4, s22, v1
.LBB520_61:
	s_or_b64 exec, exec, s[26:27]
.LBB520_62:
	s_or_b64 exec, exec, s[16:17]
	global_store_byte v[2:3], v4, off
.LBB520_63:
	s_mov_b64 s[16:17], -1
.LBB520_64:
	s_mov_b64 s[22:23], 0
.LBB520_65:
	s_and_b64 vcc, exec, s[22:23]
	s_cbranch_vccz .LBB520_106
; %bb.66:
	s_cmp_gt_i32 s29, 22
	s_mov_b64 s[22:23], -1
	s_cbranch_scc0 .LBB520_98
; %bb.67:
	s_cmp_lt_i32 s29, 24
	s_mov_b64 s[16:17], -1
	s_cbranch_scc1 .LBB520_87
; %bb.68:
	s_cmp_gt_i32 s29, 24
	s_cbranch_scc0 .LBB520_76
; %bb.69:
	v_and_b32_e32 v1, 0x7fffffff, v0
	s_mov_b32 s16, 0x47800000
	v_cmp_gt_u32_e32 vcc, s16, v1
	v_mov_b32_e32 v4, 0x80
	s_and_saveexec_b64 s[16:17], vcc
	s_cbranch_execz .LBB520_75
; %bb.70:
	s_mov_b32 s22, 0x37ffffff
	v_cmp_lt_u32_e32 vcc, s22, v1
	s_mov_b64 s[22:23], 0
                                        ; implicit-def: $vgpr1
	s_and_saveexec_b64 s[26:27], vcc
	s_xor_b64 s[26:27], exec, s[26:27]
	s_cbranch_execz .LBB520_291
; %bb.71:
	v_bfe_u32 v1, v0, 21, 1
	s_mov_b32 s30, 0x88fffff
	v_add3_u32 v1, v0, v1, s30
	s_mov_b64 s[22:23], exec
	v_lshrrev_b32_e32 v1, 21, v1
	s_andn2_saveexec_b64 s[26:27], s[26:27]
	s_cbranch_execnz .LBB520_292
.LBB520_72:
	s_or_b64 exec, exec, s[26:27]
	v_mov_b32_e32 v4, 0
	s_and_saveexec_b64 s[26:27], s[22:23]
.LBB520_73:
	v_lshrrev_b32_e32 v4, 24, v0
	s_movk_i32 s22, 0x80
	v_and_or_b32 v4, v4, s22, v1
.LBB520_74:
	s_or_b64 exec, exec, s[26:27]
.LBB520_75:
	s_or_b64 exec, exec, s[16:17]
	s_mov_b64 s[16:17], 0
	global_store_byte v[2:3], v4, off
.LBB520_76:
	s_and_b64 vcc, exec, s[16:17]
	s_cbranch_vccz .LBB520_86
; %bb.77:
	v_and_b32_e32 v4, 0x7fffffff, v0
	s_mov_b32 s16, 0x43f00000
	v_cmp_gt_u32_e32 vcc, s16, v4
                                        ; implicit-def: $vgpr1
	s_and_saveexec_b64 s[16:17], vcc
	s_xor_b64 s[16:17], exec, s[16:17]
	s_cbranch_execz .LBB520_83
; %bb.78:
	s_mov_b32 s22, 0x3c7fffff
	v_cmp_lt_u32_e32 vcc, s22, v4
                                        ; implicit-def: $vgpr1
	s_and_saveexec_b64 s[22:23], vcc
	s_xor_b64 s[22:23], exec, s[22:23]
; %bb.79:
	v_bfe_u32 v1, v0, 20, 1
	s_mov_b32 s26, 0x407ffff
	v_add3_u32 v1, v0, v1, s26
	v_lshrrev_b32_e32 v4, 20, v1
	v_and_b32_e32 v1, 0xff00000, v1
	s_mov_b32 s26, 0x7f00000
	v_mov_b32_e32 v5, 0x7e
	v_cmp_ne_u32_e32 vcc, s26, v1
	s_nop 1
	v_cndmask_b32_e32 v1, v5, v4, vcc
; %bb.80:
	s_andn2_saveexec_b64 s[22:23], s[22:23]
; %bb.81:
	s_mov_b32 s26, 0x46800000
	v_add_f32_e64 v1, |v0|, s26
; %bb.82:
	s_or_b64 exec, exec, s[22:23]
                                        ; implicit-def: $vgpr4
.LBB520_83:
	s_andn2_saveexec_b64 s[16:17], s[16:17]
; %bb.84:
	s_mov_b32 s22, 0x7f800000
	v_mov_b32_e32 v1, 0x7e
	v_mov_b32_e32 v5, 0x7f
	v_cmp_lt_u32_e32 vcc, s22, v4
	s_nop 1
	v_cndmask_b32_e32 v1, v1, v5, vcc
; %bb.85:
	s_or_b64 exec, exec, s[16:17]
	v_lshrrev_b32_e32 v4, 24, v0
	s_movk_i32 s16, 0x80
	v_and_or_b32 v1, v4, s16, v1
	global_store_byte v[2:3], v1, off
.LBB520_86:
	s_mov_b64 s[16:17], 0
.LBB520_87:
	s_andn2_b64 vcc, exec, s[16:17]
	s_cbranch_vccnz .LBB520_97
; %bb.88:
	v_and_b32_e32 v4, 0x7fffffff, v0
	s_mov_b32 s16, 0x47800000
	v_cmp_gt_u32_e32 vcc, s16, v4
                                        ; implicit-def: $vgpr1
	s_and_saveexec_b64 s[16:17], vcc
	s_xor_b64 s[16:17], exec, s[16:17]
	s_cbranch_execz .LBB520_94
; %bb.89:
	s_mov_b32 s22, 0x387fffff
	v_cmp_lt_u32_e32 vcc, s22, v4
                                        ; implicit-def: $vgpr1
	s_and_saveexec_b64 s[22:23], vcc
	s_xor_b64 s[22:23], exec, s[22:23]
; %bb.90:
	v_bfe_u32 v1, v0, 21, 1
	s_mov_b32 s26, 0x80fffff
	v_add3_u32 v1, v0, v1, s26
	v_lshrrev_b32_e32 v1, 21, v1
; %bb.91:
	s_andn2_saveexec_b64 s[22:23], s[22:23]
; %bb.92:
	s_mov_b32 s26, 0x43000000
	v_add_f32_e64 v1, |v0|, s26
; %bb.93:
	s_or_b64 exec, exec, s[22:23]
                                        ; implicit-def: $vgpr4
.LBB520_94:
	s_andn2_saveexec_b64 s[16:17], s[16:17]
; %bb.95:
	s_mov_b32 s22, 0x7f800000
	v_mov_b32_e32 v1, 0x7c
	v_mov_b32_e32 v5, 0x7f
	v_cmp_lt_u32_e32 vcc, s22, v4
	s_nop 1
	v_cndmask_b32_e32 v1, v1, v5, vcc
; %bb.96:
	s_or_b64 exec, exec, s[16:17]
	v_lshrrev_b32_e32 v4, 24, v0
	s_movk_i32 s16, 0x80
	v_and_or_b32 v1, v4, s16, v1
	global_store_byte v[2:3], v1, off
.LBB520_97:
	s_mov_b64 s[22:23], 0
	s_mov_b64 s[16:17], -1
.LBB520_98:
	s_andn2_b64 vcc, exec, s[22:23]
	s_cbranch_vccnz .LBB520_106
; %bb.99:
	s_cmp_gt_i32 s29, 14
	s_mov_b64 s[22:23], -1
	s_cbranch_scc0 .LBB520_103
; %bb.100:
	s_cmp_eq_u32 s29, 15
	s_mov_b64 s[0:1], -1
	s_cbranch_scc0 .LBB520_102
; %bb.101:
	v_bfe_u32 v1, v0, 16, 1
	s_movk_i32 s0, 0x7fff
	v_add3_u32 v1, v0, v1, s0
	v_cmp_o_f32_e32 vcc, v0, v0
	v_mov_b32_e32 v4, 0x7fc0
	s_mov_b64 s[16:17], -1
	v_cndmask_b32_sdwa v1, v4, v1, vcc dst_sel:DWORD dst_unused:UNUSED_PAD src0_sel:DWORD src1_sel:WORD_1
	global_store_short v[2:3], v1, off
	s_mov_b64 s[0:1], 0
.LBB520_102:
	s_mov_b64 s[22:23], 0
.LBB520_103:
	s_and_b64 vcc, exec, s[22:23]
	s_cbranch_vccz .LBB520_106
; %bb.104:
	s_cmp_eq_u32 s29, 11
	s_mov_b64 s[0:1], -1
	s_cbranch_scc0 .LBB520_106
; %bb.105:
	v_cmp_neq_f32_e32 vcc, 0, v0
	s_mov_b64 s[16:17], -1
	s_mov_b64 s[0:1], 0
	v_cndmask_b32_e64 v1, 0, 1, vcc
	global_store_byte v[2:3], v1, off
.LBB520_106:
	s_branch .LBB520_24
.LBB520_107:
	s_and_b32 s22, 0xffff, s28
	s_cmp_lt_i32 s22, 5
	s_mov_b64 s[16:17], -1
	s_cbranch_scc1 .LBB520_128
; %bb.108:
	s_cmp_lt_i32 s22, 8
	s_cbranch_scc1 .LBB520_118
; %bb.109:
	s_cmp_lt_i32 s22, 9
	s_cbranch_scc1 .LBB520_115
; %bb.110:
	s_cmp_gt_i32 s22, 9
	s_cbranch_scc0 .LBB520_112
; %bb.111:
	v_mov_b32_e32 v6, 0
	v_cvt_f64_f32_e32 v[4:5], v0
	v_mov_b32_e32 v7, v6
	global_store_dwordx4 v[2:3], v[4:7], off
	s_mov_b64 s[16:17], 0
.LBB520_112:
	s_andn2_b64 vcc, exec, s[16:17]
	s_cbranch_vccnz .LBB520_114
; %bb.113:
	v_mov_b32_e32 v1, 0
	global_store_dwordx2 v[2:3], v[0:1], off
.LBB520_114:
	s_mov_b64 s[16:17], 0
.LBB520_115:
	s_andn2_b64 vcc, exec, s[16:17]
	s_cbranch_vccnz .LBB520_117
; %bb.116:
	v_cvt_f16_f32_e32 v1, v0
	global_store_dword v[2:3], v1, off
.LBB520_117:
	s_mov_b64 s[16:17], 0
.LBB520_118:
	s_andn2_b64 vcc, exec, s[16:17]
	s_cbranch_vccnz .LBB520_127
; %bb.119:
	s_cmp_lt_i32 s22, 6
	s_mov_b64 s[16:17], -1
	s_cbranch_scc1 .LBB520_125
; %bb.120:
	s_cmp_gt_i32 s22, 6
	s_cbranch_scc0 .LBB520_122
; %bb.121:
	v_cvt_f64_f32_e32 v[4:5], v0
	global_store_dwordx2 v[2:3], v[4:5], off
	s_mov_b64 s[16:17], 0
.LBB520_122:
	s_andn2_b64 vcc, exec, s[16:17]
	s_cbranch_vccnz .LBB520_124
; %bb.123:
	global_store_dword v[2:3], v0, off
.LBB520_124:
	s_mov_b64 s[16:17], 0
.LBB520_125:
	s_andn2_b64 vcc, exec, s[16:17]
	s_cbranch_vccnz .LBB520_127
; %bb.126:
	v_cvt_f16_f32_e32 v1, v0
	global_store_short v[2:3], v1, off
.LBB520_127:
	s_mov_b64 s[16:17], 0
.LBB520_128:
	s_andn2_b64 vcc, exec, s[16:17]
	s_cbranch_vccnz .LBB520_144
; %bb.129:
	s_cmp_lt_i32 s22, 2
	s_mov_b64 s[16:17], -1
	s_cbranch_scc1 .LBB520_139
; %bb.130:
	s_cmp_lt_i32 s22, 3
	s_cbranch_scc1 .LBB520_136
; %bb.131:
	s_cmp_gt_i32 s22, 3
	s_cbranch_scc0 .LBB520_133
; %bb.132:
	v_trunc_f32_e32 v1, v0
	s_mov_b32 s16, 0x2f800000
	v_mul_f32_e64 v4, |v1|, s16
	v_floor_f32_e32 v4, v4
	s_mov_b32 s16, 0xcf800000
	v_cvt_u32_f32_e32 v5, v4
	v_fma_f32 v4, v4, s16, |v1|
	v_cvt_u32_f32_e32 v4, v4
	v_ashrrev_i32_e32 v1, 31, v1
	v_xor_b32_e32 v5, v5, v1
	s_mov_b64 s[16:17], 0
	v_xor_b32_e32 v4, v4, v1
	v_sub_co_u32_e32 v4, vcc, v4, v1
	s_nop 1
	v_subb_co_u32_e32 v5, vcc, v5, v1, vcc
	global_store_dwordx2 v[2:3], v[4:5], off
.LBB520_133:
	s_andn2_b64 vcc, exec, s[16:17]
	s_cbranch_vccnz .LBB520_135
; %bb.134:
	v_cvt_i32_f32_e32 v1, v0
	global_store_dword v[2:3], v1, off
.LBB520_135:
	s_mov_b64 s[16:17], 0
.LBB520_136:
	s_andn2_b64 vcc, exec, s[16:17]
	s_cbranch_vccnz .LBB520_138
; %bb.137:
	v_cvt_i32_f32_e32 v1, v0
	global_store_short v[2:3], v1, off
.LBB520_138:
	s_mov_b64 s[16:17], 0
.LBB520_139:
	s_andn2_b64 vcc, exec, s[16:17]
	s_cbranch_vccnz .LBB520_144
; %bb.140:
	s_cmp_gt_i32 s22, 0
	s_mov_b64 s[16:17], -1
	s_cbranch_scc0 .LBB520_142
; %bb.141:
	v_cvt_i32_f32_e32 v1, v0
	s_mov_b64 s[16:17], 0
	global_store_byte v[2:3], v1, off
.LBB520_142:
	s_andn2_b64 vcc, exec, s[16:17]
	s_cbranch_vccnz .LBB520_144
; %bb.143:
	v_trunc_f32_e32 v0, v0
	s_mov_b32 s16, 0x2f800000
	v_mul_f32_e64 v1, |v0|, s16
	v_floor_f32_e32 v1, v1
	s_mov_b32 s16, 0xcf800000
	v_fma_f32 v1, v1, s16, |v0|
	v_cvt_u32_f32_e32 v1, v1
	v_ashrrev_i32_e32 v0, 31, v0
	v_xor_b32_e32 v1, v1, v0
	v_sub_u32_e32 v0, v1, v0
	global_store_byte v[2:3], v0, off
.LBB520_144:
	s_branch .LBB520_25
.LBB520_145:
	s_mov_b64 s[22:23], 0
                                        ; implicit-def: $vgpr8
	s_branch .LBB520_255
.LBB520_146:
	s_mov_b64 s[18:19], -1
                                        ; implicit-def: $vgpr2
.LBB520_147:
	s_mov_b64 s[16:17], 0
.LBB520_148:
	s_and_b64 vcc, exec, s[16:17]
	s_cbranch_vccz .LBB520_152
; %bb.149:
	s_cmp_eq_u32 s26, 29
	s_cbranch_scc0 .LBB520_151
; %bb.150:
	global_load_dwordx2 v[2:3], v[0:1], off
	s_mov_b64 s[0:1], -1
	s_mov_b64 s[18:19], 0
	s_mov_b64 s[16:17], 0
	s_waitcnt vmcnt(0)
	v_ffbh_u32_e32 v4, v3
	v_min_u32_e32 v4, 32, v4
	v_lshlrev_b64 v[2:3], v4, v[2:3]
	v_min_u32_e32 v2, 1, v2
	v_or_b32_e32 v2, v3, v2
	v_cvt_f32_u32_e32 v2, v2
	v_sub_u32_e32 v3, 32, v4
	v_ldexp_f32 v2, v2, v3
	s_branch .LBB520_153
.LBB520_151:
	s_mov_b64 s[18:19], -1
                                        ; implicit-def: $vgpr2
.LBB520_152:
	s_mov_b64 s[16:17], 0
.LBB520_153:
	s_and_b64 vcc, exec, s[16:17]
	s_cbranch_vccz .LBB520_171
; %bb.154:
	s_cmp_lt_i32 s26, 27
	s_cbranch_scc1 .LBB520_157
; %bb.155:
	s_cmp_gt_i32 s26, 27
	s_cbranch_scc0 .LBB520_158
; %bb.156:
	global_load_dword v2, v[0:1], off
	s_mov_b64 s[0:1], 0
	s_waitcnt vmcnt(0)
	v_cvt_f32_u32_e32 v2, v2
	s_branch .LBB520_159
.LBB520_157:
	s_mov_b64 s[0:1], -1
                                        ; implicit-def: $vgpr2
	s_branch .LBB520_162
.LBB520_158:
	s_mov_b64 s[0:1], -1
                                        ; implicit-def: $vgpr2
.LBB520_159:
	s_andn2_b64 vcc, exec, s[0:1]
	s_cbranch_vccnz .LBB520_161
; %bb.160:
	global_load_ushort v2, v[0:1], off
	s_waitcnt vmcnt(0)
	v_cvt_f32_u32_e32 v2, v2
.LBB520_161:
	s_mov_b64 s[0:1], 0
.LBB520_162:
	s_andn2_b64 vcc, exec, s[0:1]
	s_cbranch_vccnz .LBB520_170
; %bb.163:
	global_load_ubyte v3, v[0:1], off
	s_movk_i32 s0, 0x7f
	s_waitcnt vmcnt(0)
	v_cmp_lt_i16_e32 vcc, s0, v3
	s_mov_b64 s[0:1], 0
	s_and_saveexec_b64 s[16:17], vcc
	s_xor_b64 s[16:17], exec, s[16:17]
	s_cbranch_execz .LBB520_183
; %bb.164:
	s_movk_i32 s0, 0x80
	v_cmp_eq_u16_e32 vcc, s0, v3
	s_mov_b64 s[0:1], -1
	s_and_saveexec_b64 s[22:23], vcc
; %bb.165:
	s_xor_b64 s[0:1], exec, -1
; %bb.166:
	s_or_b64 exec, exec, s[22:23]
	s_and_b64 s[0:1], s[0:1], exec
	s_or_saveexec_b64 s[16:17], s[16:17]
	v_mov_b32_e32 v2, 0x7f800001
	s_xor_b64 exec, exec, s[16:17]
	s_cbranch_execnz .LBB520_184
.LBB520_167:
	s_or_b64 exec, exec, s[16:17]
	s_and_saveexec_b64 s[16:17], s[0:1]
	s_cbranch_execz .LBB520_169
.LBB520_168:
	v_lshlrev_b32_e32 v2, 24, v3
	v_and_b32_e32 v3, 0xffff, v3
	v_and_b32_e32 v4, 7, v3
	v_ffbh_u32_e32 v6, v4
	v_min_u32_e32 v6, 32, v6
	v_subrev_u32_e32 v7, 28, v6
	v_bfe_u32 v5, v3, 3, 4
	v_lshlrev_b32_e32 v3, v7, v3
	v_sub_u32_e32 v6, 29, v6
	v_and_b32_e32 v3, 7, v3
	v_cmp_eq_u32_e32 vcc, 0, v5
	v_and_b32_e32 v2, 0x80000000, v2
	s_nop 0
	v_cndmask_b32_e32 v5, v5, v6, vcc
	v_cndmask_b32_e32 v3, v4, v3, vcc
	v_mov_b32_e32 v4, 0x3b800000
	v_lshlrev_b32_e32 v3, 20, v3
	v_lshl_add_u32 v4, v5, 23, v4
	v_or3_b32 v2, v2, v4, v3
.LBB520_169:
	s_or_b64 exec, exec, s[16:17]
.LBB520_170:
	s_mov_b64 s[0:1], -1
.LBB520_171:
	s_branch .LBB520_206
.LBB520_172:
	s_cmp_gt_i32 s26, 22
	s_cbranch_scc0 .LBB520_182
; %bb.173:
	s_cmp_lt_i32 s26, 24
	s_cbranch_scc1 .LBB520_185
; %bb.174:
	s_cmp_gt_i32 s26, 24
	s_cbranch_scc0 .LBB520_186
; %bb.175:
	global_load_ubyte v3, v[0:1], off
	s_movk_i32 s0, 0x7f
	s_waitcnt vmcnt(0)
	v_cmp_lt_i16_e32 vcc, s0, v3
	s_mov_b64 s[0:1], 0
	s_and_saveexec_b64 s[16:17], vcc
	s_xor_b64 s[16:17], exec, s[16:17]
	s_cbranch_execz .LBB520_198
; %bb.176:
	s_movk_i32 s0, 0x80
	v_cmp_eq_u16_e32 vcc, s0, v3
	s_mov_b64 s[0:1], -1
	s_and_saveexec_b64 s[22:23], vcc
; %bb.177:
	s_xor_b64 s[0:1], exec, -1
; %bb.178:
	s_or_b64 exec, exec, s[22:23]
	s_and_b64 s[0:1], s[0:1], exec
	s_or_saveexec_b64 s[16:17], s[16:17]
	v_mov_b32_e32 v2, 0x7f800001
	s_xor_b64 exec, exec, s[16:17]
	s_cbranch_execnz .LBB520_199
.LBB520_179:
	s_or_b64 exec, exec, s[16:17]
	s_and_saveexec_b64 s[16:17], s[0:1]
	s_cbranch_execz .LBB520_181
.LBB520_180:
	v_lshlrev_b32_e32 v2, 24, v3
	v_and_b32_e32 v3, 0xffff, v3
	v_and_b32_e32 v4, 3, v3
	v_ffbh_u32_e32 v6, v4
	v_min_u32_e32 v6, 32, v6
	v_subrev_u32_e32 v7, 29, v6
	v_bfe_u32 v5, v3, 2, 5
	v_lshlrev_b32_e32 v3, v7, v3
	v_sub_u32_e32 v6, 30, v6
	v_and_b32_e32 v3, 3, v3
	v_cmp_eq_u32_e32 vcc, 0, v5
	v_and_b32_e32 v2, 0x80000000, v2
	s_nop 0
	v_cndmask_b32_e32 v5, v5, v6, vcc
	v_cndmask_b32_e32 v3, v4, v3, vcc
	v_mov_b32_e32 v4, 0x37800000
	v_lshlrev_b32_e32 v3, 21, v3
	v_lshl_add_u32 v4, v5, 23, v4
	v_or3_b32 v2, v2, v4, v3
.LBB520_181:
	s_or_b64 exec, exec, s[16:17]
	s_mov_b64 s[0:1], 0
	s_branch .LBB520_187
.LBB520_182:
	s_mov_b64 s[16:17], -1
                                        ; implicit-def: $vgpr2
	s_branch .LBB520_193
.LBB520_183:
	s_or_saveexec_b64 s[16:17], s[16:17]
	v_mov_b32_e32 v2, 0x7f800001
	s_xor_b64 exec, exec, s[16:17]
	s_cbranch_execz .LBB520_167
.LBB520_184:
	v_cmp_ne_u16_e32 vcc, 0, v3
	s_andn2_b64 s[0:1], s[0:1], exec
	s_and_b64 s[22:23], vcc, exec
	v_mov_b32_e32 v2, 0
	s_or_b64 s[0:1], s[0:1], s[22:23]
	s_or_b64 exec, exec, s[16:17]
	s_and_saveexec_b64 s[16:17], s[0:1]
	s_cbranch_execnz .LBB520_168
	s_branch .LBB520_169
.LBB520_185:
	s_mov_b64 s[0:1], -1
                                        ; implicit-def: $vgpr2
	s_branch .LBB520_190
.LBB520_186:
	s_mov_b64 s[0:1], -1
                                        ; implicit-def: $vgpr2
.LBB520_187:
	s_and_b64 vcc, exec, s[0:1]
	s_cbranch_vccz .LBB520_189
; %bb.188:
	global_load_ubyte v2, v[0:1], off
	s_mov_b32 s0, 0x7f800000
	s_waitcnt vmcnt(0)
	v_lshlrev_b32_e32 v2, 24, v2
	v_and_b32_e32 v3, 0x7f000000, v2
	v_ffbh_u32_e32 v4, v3
	v_min_u32_e32 v4, 32, v4
	v_sub_u32_e64 v4, v4, 4 clamp
	v_lshlrev_b32_e32 v6, v4, v3
	v_lshlrev_b32_e32 v4, 23, v4
	v_lshrrev_b32_e32 v6, 4, v6
	v_add_u32_e32 v5, 0x1000000, v3
	v_sub_u32_e32 v4, v6, v4
	v_ashrrev_i32_e32 v5, 8, v5
	v_add_u32_e32 v4, 0x3c000000, v4
	v_and_or_b32 v4, v5, s0, v4
	v_cmp_ne_u32_e32 vcc, 0, v3
	s_brev_b32 s0, 1
	s_nop 0
	v_cndmask_b32_e32 v3, 0, v4, vcc
	v_and_or_b32 v2, v2, s0, v3
.LBB520_189:
	s_mov_b64 s[0:1], 0
.LBB520_190:
	s_andn2_b64 vcc, exec, s[0:1]
	s_cbranch_vccnz .LBB520_192
; %bb.191:
	global_load_ubyte v2, v[0:1], off
	s_movk_i32 s0, 0x7f00
	s_brev_b32 s1, 16
	s_waitcnt vmcnt(0)
	v_lshlrev_b16_e32 v3, 8, v2
	v_lshlrev_b32_e32 v2, 25, v2
	v_lshrrev_b32_e32 v4, 4, v2
	v_and_or_b32 v5, v3, s0, 0.5
	v_or_b32_e32 v4, 0x70000000, v4
	v_add_f32_e32 v5, -0.5, v5
	v_mul_f32_e32 v4, 0x7800000, v4
	v_cmp_gt_u32_e32 vcc, s1, v2
	v_bfe_i32 v3, v3, 0, 16
	s_brev_b32 s0, 1
	v_cndmask_b32_e32 v2, v4, v5, vcc
	v_and_or_b32 v2, v3, s0, v2
.LBB520_192:
	s_mov_b64 s[16:17], 0
	s_mov_b64 s[0:1], -1
.LBB520_193:
	s_andn2_b64 vcc, exec, s[16:17]
	s_cbranch_vccnz .LBB520_206
; %bb.194:
	s_cmp_gt_i32 s26, 14
	s_cbranch_scc0 .LBB520_197
; %bb.195:
	s_cmp_eq_u32 s26, 15
	s_cbranch_scc0 .LBB520_200
; %bb.196:
	global_load_ushort v2, v[0:1], off
	s_mov_b64 s[0:1], -1
	s_mov_b64 s[18:19], 0
	s_waitcnt vmcnt(0)
	v_lshlrev_b32_e32 v2, 16, v2
	s_branch .LBB520_201
.LBB520_197:
	s_mov_b64 s[16:17], -1
                                        ; implicit-def: $vgpr2
	s_branch .LBB520_202
.LBB520_198:
	s_or_saveexec_b64 s[16:17], s[16:17]
	v_mov_b32_e32 v2, 0x7f800001
	s_xor_b64 exec, exec, s[16:17]
	s_cbranch_execz .LBB520_179
.LBB520_199:
	v_cmp_ne_u16_e32 vcc, 0, v3
	s_andn2_b64 s[0:1], s[0:1], exec
	s_and_b64 s[22:23], vcc, exec
	v_mov_b32_e32 v2, 0
	s_or_b64 s[0:1], s[0:1], s[22:23]
	s_or_b64 exec, exec, s[16:17]
	s_and_saveexec_b64 s[16:17], s[0:1]
	s_cbranch_execnz .LBB520_180
	s_branch .LBB520_181
.LBB520_200:
	s_mov_b64 s[18:19], -1
                                        ; implicit-def: $vgpr2
.LBB520_201:
	s_mov_b64 s[16:17], 0
.LBB520_202:
	s_and_b64 vcc, exec, s[16:17]
	s_cbranch_vccz .LBB520_206
; %bb.203:
	s_cmp_eq_u32 s26, 11
	s_cbranch_scc0 .LBB520_205
; %bb.204:
	global_load_ubyte v2, v[0:1], off
	s_mov_b64 s[0:1], -1
	s_mov_b64 s[18:19], 0
	s_waitcnt vmcnt(0)
	v_cmp_ne_u16_e32 vcc, 0, v2
	s_nop 1
	v_cndmask_b32_e64 v2, 0, 1.0, vcc
	s_branch .LBB520_206
.LBB520_205:
	s_mov_b64 s[18:19], -1
                                        ; implicit-def: $vgpr2
.LBB520_206:
	s_branch .LBB520_10
.LBB520_207:
	s_cmp_lt_i32 s26, 5
	s_cbranch_scc1 .LBB520_212
; %bb.208:
	s_cmp_lt_i32 s26, 8
	s_cbranch_scc1 .LBB520_213
; %bb.209:
	;; [unrolled: 3-line block ×3, first 2 shown]
	s_cmp_gt_i32 s26, 9
	s_cbranch_scc0 .LBB520_215
; %bb.211:
	global_load_dwordx2 v[2:3], v[0:1], off
	s_mov_b64 s[0:1], 0
	s_waitcnt vmcnt(0)
	v_cvt_f32_f64_e32 v2, v[2:3]
	s_branch .LBB520_216
.LBB520_212:
                                        ; implicit-def: $vgpr2
	s_branch .LBB520_234
.LBB520_213:
	s_mov_b64 s[0:1], -1
                                        ; implicit-def: $vgpr2
	s_branch .LBB520_222
.LBB520_214:
	s_mov_b64 s[0:1], -1
                                        ; implicit-def: $vgpr2
	s_branch .LBB520_219
.LBB520_215:
	s_mov_b64 s[0:1], -1
                                        ; implicit-def: $vgpr2
.LBB520_216:
	s_andn2_b64 vcc, exec, s[0:1]
	s_cbranch_vccnz .LBB520_218
; %bb.217:
	global_load_dword v2, v[0:1], off
.LBB520_218:
	s_mov_b64 s[0:1], 0
.LBB520_219:
	s_andn2_b64 vcc, exec, s[0:1]
	s_cbranch_vccnz .LBB520_221
; %bb.220:
	global_load_dword v2, v[0:1], off
	s_waitcnt vmcnt(0)
	v_cvt_f32_f16_e32 v2, v2
.LBB520_221:
	s_mov_b64 s[0:1], 0
.LBB520_222:
	s_andn2_b64 vcc, exec, s[0:1]
	s_cbranch_vccnz .LBB520_233
; %bb.223:
	s_cmp_lt_i32 s26, 6
	s_cbranch_scc1 .LBB520_226
; %bb.224:
	s_cmp_gt_i32 s26, 6
	s_cbranch_scc0 .LBB520_227
; %bb.225:
	global_load_dwordx2 v[2:3], v[0:1], off
	s_mov_b64 s[0:1], 0
	s_waitcnt vmcnt(0)
	v_cvt_f32_f64_e32 v2, v[2:3]
	s_branch .LBB520_228
.LBB520_226:
	s_mov_b64 s[0:1], -1
                                        ; implicit-def: $vgpr2
	s_branch .LBB520_231
.LBB520_227:
	s_mov_b64 s[0:1], -1
                                        ; implicit-def: $vgpr2
.LBB520_228:
	s_andn2_b64 vcc, exec, s[0:1]
	s_cbranch_vccnz .LBB520_230
; %bb.229:
	global_load_dword v2, v[0:1], off
.LBB520_230:
	s_mov_b64 s[0:1], 0
.LBB520_231:
	s_andn2_b64 vcc, exec, s[0:1]
	s_cbranch_vccnz .LBB520_233
; %bb.232:
	global_load_ushort v2, v[0:1], off
	s_waitcnt vmcnt(0)
	v_cvt_f32_f16_e32 v2, v2
.LBB520_233:
	s_cbranch_execnz .LBB520_253
.LBB520_234:
	s_cmp_lt_i32 s26, 2
	s_cbranch_scc1 .LBB520_238
; %bb.235:
	s_cmp_lt_i32 s26, 3
	s_cbranch_scc1 .LBB520_239
; %bb.236:
	s_cmp_gt_i32 s26, 3
	s_cbranch_scc0 .LBB520_240
; %bb.237:
	global_load_dwordx2 v[2:3], v[0:1], off
	s_mov_b64 s[0:1], 0
	s_waitcnt vmcnt(0)
	v_xor_b32_e32 v5, v2, v3
	v_ffbh_i32_e32 v4, v3
	v_ashrrev_i32_e32 v5, 31, v5
	v_add_u32_e32 v4, -1, v4
	v_add_u32_e32 v5, 32, v5
	v_min_u32_e32 v4, v4, v5
	v_lshlrev_b64 v[2:3], v4, v[2:3]
	v_min_u32_e32 v2, 1, v2
	v_or_b32_e32 v2, v3, v2
	v_cvt_f32_i32_e32 v2, v2
	v_sub_u32_e32 v3, 32, v4
	v_ldexp_f32 v2, v2, v3
	s_branch .LBB520_241
.LBB520_238:
	s_mov_b64 s[0:1], -1
                                        ; implicit-def: $vgpr2
	s_branch .LBB520_247
.LBB520_239:
	s_mov_b64 s[0:1], -1
                                        ; implicit-def: $vgpr2
	s_branch .LBB520_244
.LBB520_240:
	s_mov_b64 s[0:1], -1
                                        ; implicit-def: $vgpr2
.LBB520_241:
	s_andn2_b64 vcc, exec, s[0:1]
	s_cbranch_vccnz .LBB520_243
; %bb.242:
	global_load_dword v2, v[0:1], off
	s_waitcnt vmcnt(0)
	v_cvt_f32_i32_e32 v2, v2
.LBB520_243:
	s_mov_b64 s[0:1], 0
.LBB520_244:
	s_andn2_b64 vcc, exec, s[0:1]
	s_cbranch_vccnz .LBB520_246
; %bb.245:
	global_load_sshort v2, v[0:1], off
	s_waitcnt vmcnt(0)
	v_cvt_f32_i32_e32 v2, v2
.LBB520_246:
	s_mov_b64 s[0:1], 0
.LBB520_247:
	s_andn2_b64 vcc, exec, s[0:1]
	s_cbranch_vccnz .LBB520_253
; %bb.248:
	s_cmp_gt_i32 s26, 0
	s_cbranch_scc0 .LBB520_250
; %bb.249:
	global_load_sbyte v2, v[0:1], off
	s_mov_b64 s[0:1], 0
	s_waitcnt vmcnt(0)
	v_cvt_f32_i32_e32 v2, v2
	s_branch .LBB520_251
.LBB520_250:
	s_mov_b64 s[0:1], -1
                                        ; implicit-def: $vgpr2
.LBB520_251:
	s_andn2_b64 vcc, exec, s[0:1]
	s_cbranch_vccnz .LBB520_253
; %bb.252:
	global_load_ubyte v0, v[0:1], off
	s_waitcnt vmcnt(0)
	v_cvt_f32_ubyte0_e32 v2, v0
.LBB520_253:
	s_branch .LBB520_11
.LBB520_254:
	s_mov_b64 s[0:1], 0
                                        ; implicit-def: $vgpr8
	s_mov_b64 s[22:23], 0
.LBB520_255:
	s_and_b64 s[16:17], s[0:1], exec
	s_and_b64 s[18:19], s[18:19], exec
	s_orn2_b64 s[22:23], s[22:23], exec
.LBB520_256:
	s_or_b64 exec, exec, s[20:21]
	s_mov_b64 s[26:27], 0
	s_mov_b64 s[0:1], 0
                                        ; implicit-def: $vgpr0_vgpr1
                                        ; implicit-def: $vgpr4
	s_and_saveexec_b64 s[20:21], s[22:23]
	s_cbranch_execz .LBB520_265
; %bb.257:
	v_cmp_gt_i32_e32 vcc, s42, v8
	s_mov_b64 s[0:1], -1
	s_mov_b64 s[22:23], s[18:19]
	s_mov_b64 s[24:25], s[16:17]
	s_and_saveexec_b64 s[26:27], vcc
	s_cbranch_execz .LBB520_521
; %bb.258:
	v_mul_lo_u32 v0, v8, s9
	v_ashrrev_i32_e32 v1, 31, v0
	s_and_b32 s30, 0xffff, s33
	s_cmp_lt_i32 s30, 11
	v_lshl_add_u64 v[0:1], s[6:7], 0, v[0:1]
	s_cbranch_scc1 .LBB520_268
; %bb.259:
	s_cmp_gt_i32 s30, 25
	s_cbranch_scc0 .LBB520_281
; %bb.260:
	s_cmp_gt_i32 s30, 28
	s_cbranch_scc0 .LBB520_283
	;; [unrolled: 3-line block ×4, first 2 shown]
; %bb.263:
	s_cmp_eq_u32 s30, 46
	s_mov_b64 s[24:25], 0
	s_cbranch_scc0 .LBB520_293
; %bb.264:
	global_load_dword v2, v[0:1], off
	s_mov_b64 s[22:23], 0
	s_waitcnt vmcnt(0)
	v_lshlrev_b32_e32 v2, 16, v2
	s_branch .LBB520_294
.LBB520_265:
	s_or_b64 exec, exec, s[20:21]
	s_mov_b64 s[20:21], 0
	s_and_saveexec_b64 s[22:23], s[18:19]
	s_cbranch_execnz .LBB520_871
.LBB520_266:
	s_or_b64 exec, exec, s[22:23]
	s_and_saveexec_b64 s[18:19], s[24:25]
	s_xor_b64 s[18:19], exec, s[18:19]
	s_cbranch_execz .LBB520_872
.LBB520_267:
	global_load_ubyte v2, v[0:1], off
	s_or_b64 s[0:1], s[0:1], exec
	s_waitcnt vmcnt(0)
	v_cmp_ne_u16_e32 vcc, 0, v2
	s_nop 1
	v_cndmask_b32_e64 v4, 0, 1.0, vcc
	s_or_b64 exec, exec, s[18:19]
	s_and_saveexec_b64 s[18:19], s[26:27]
	s_cbranch_execz .LBB520_918
	s_branch .LBB520_873
.LBB520_268:
	s_mov_b64 s[0:1], 0
                                        ; implicit-def: $vgpr2
	s_mov_b64 s[22:23], s[18:19]
	s_cbranch_execnz .LBB520_471
.LBB520_269:
	s_andn2_b64 vcc, exec, s[0:1]
	s_cbranch_vccnz .LBB520_519
.LBB520_270:
	s_waitcnt vmcnt(0)
	v_cmp_o_f32_e32 vcc, v2, v2
	v_mov_b32_e32 v0, s10
	s_and_saveexec_b64 s[0:1], vcc
	s_cbranch_execz .LBB520_274
; %bb.271:
	s_mov_b32 s24, 0x7f800000
	v_cmp_neq_f32_e32 vcc, s24, v2
	v_mov_b32_e32 v0, s11
	s_and_saveexec_b64 s[24:25], vcc
; %bb.272:
	s_mov_b32 s28, 0xff800000
	v_mov_b32_e32 v0, s12
	v_cmp_eq_f32_e32 vcc, s28, v2
	s_nop 1
	v_cndmask_b32_e32 v0, v2, v0, vcc
; %bb.273:
	s_or_b64 exec, exec, s[24:25]
.LBB520_274:
	s_or_b64 exec, exec, s[0:1]
	v_mul_lo_u32 v2, v8, s8
	v_ashrrev_i32_e32 v3, 31, v2
	s_and_b32 s34, s13, 0xff
	s_cmp_lt_i32 s34, 11
	v_lshl_add_u64 v[2:3], s[4:5], 0, v[2:3]
	s_cbranch_scc1 .LBB520_282
; %bb.275:
	s_and_b32 s35, 0xffff, s34
	s_cmp_gt_i32 s35, 25
	s_cbranch_scc0 .LBB520_284
; %bb.276:
	s_cmp_gt_i32 s35, 28
	s_cbranch_scc0 .LBB520_286
; %bb.277:
	;; [unrolled: 3-line block ×4, first 2 shown]
	s_mov_b64 s[28:29], 0
	s_mov_b64 s[0:1], -1
	s_cmp_eq_u32 s35, 46
	s_mov_b64 s[24:25], 0
	s_cbranch_scc0 .LBB520_298
; %bb.280:
	v_bfe_u32 v1, v0, 16, 1
	s_movk_i32 s0, 0x7fff
	v_add3_u32 v1, v0, v1, s0
	v_cmp_o_f32_e32 vcc, v0, v0
	v_mov_b32_e32 v4, 0x7fc0
	s_mov_b64 s[24:25], -1
	v_cndmask_b32_sdwa v1, v4, v1, vcc dst_sel:DWORD dst_unused:UNUSED_PAD src0_sel:DWORD src1_sel:WORD_1
	global_store_dword v[2:3], v1, off
	s_mov_b64 s[0:1], 0
	s_branch .LBB520_298
.LBB520_281:
	s_mov_b64 s[24:25], -1
	s_mov_b64 s[0:1], 0
	s_mov_b64 s[22:23], s[18:19]
                                        ; implicit-def: $vgpr2
	s_branch .LBB520_435
.LBB520_282:
	s_mov_b64 s[28:29], -1
	s_mov_b64 s[24:25], 0
	s_mov_b64 s[0:1], s[16:17]
	s_branch .LBB520_367
.LBB520_283:
	s_mov_b64 s[24:25], -1
	s_mov_b64 s[0:1], 0
	s_mov_b64 s[22:23], s[18:19]
                                        ; implicit-def: $vgpr2
	s_branch .LBB520_416
.LBB520_284:
	s_mov_b64 s[28:29], -1
	s_mov_b64 s[24:25], 0
	s_mov_b64 s[0:1], s[16:17]
	s_branch .LBB520_325
.LBB520_285:
	s_mov_b64 s[24:25], -1
	s_mov_b64 s[0:1], 0
	s_mov_b64 s[22:23], s[18:19]
                                        ; implicit-def: $vgpr2
	s_branch .LBB520_411
.LBB520_286:
	s_mov_b64 s[28:29], -1
	s_mov_b64 s[24:25], 0
	s_mov_b64 s[0:1], s[16:17]
	s_branch .LBB520_308
.LBB520_287:
	s_andn2_saveexec_b64 s[26:27], s[26:27]
	s_cbranch_execz .LBB520_59
.LBB520_288:
	s_mov_b32 s30, 0x46000000
	v_add_f32_e64 v1, |v0|, s30
	v_and_b32_e32 v1, 0xff, v1
	v_cmp_ne_u32_e32 vcc, 0, v1
	s_andn2_b64 s[22:23], s[22:23], exec
	s_and_b64 s[30:31], vcc, exec
	s_or_b64 s[22:23], s[22:23], s[30:31]
	s_or_b64 exec, exec, s[26:27]
	v_mov_b32_e32 v4, 0
	s_and_saveexec_b64 s[26:27], s[22:23]
	s_cbranch_execnz .LBB520_60
	s_branch .LBB520_61
.LBB520_289:
	s_mov_b64 s[24:25], -1
	s_mov_b64 s[0:1], 0
	s_mov_b64 s[22:23], s[18:19]
                                        ; implicit-def: $vgpr2
	s_branch .LBB520_294
.LBB520_290:
	s_mov_b64 s[28:29], -1
	s_mov_b64 s[24:25], 0
	s_mov_b64 s[0:1], s[16:17]
	s_branch .LBB520_304
.LBB520_291:
	s_andn2_saveexec_b64 s[26:27], s[26:27]
	s_cbranch_execz .LBB520_72
.LBB520_292:
	s_mov_b32 s30, 0x42800000
	v_add_f32_e64 v1, |v0|, s30
	v_and_b32_e32 v1, 0xff, v1
	v_cmp_ne_u32_e32 vcc, 0, v1
	s_andn2_b64 s[22:23], s[22:23], exec
	s_and_b64 s[30:31], vcc, exec
	s_or_b64 s[22:23], s[22:23], s[30:31]
	s_or_b64 exec, exec, s[26:27]
	v_mov_b32_e32 v4, 0
	s_and_saveexec_b64 s[26:27], s[22:23]
	s_cbranch_execnz .LBB520_73
	s_branch .LBB520_74
.LBB520_293:
	s_mov_b64 s[22:23], -1
                                        ; implicit-def: $vgpr2
	s_mov_b64 s[0:1], 0
.LBB520_294:
	s_and_b64 vcc, exec, s[24:25]
	s_cbranch_vccz .LBB520_410
; %bb.295:
	s_cmp_eq_u32 s30, 44
	s_cbranch_scc0 .LBB520_409
; %bb.296:
	global_load_ubyte v2, v[0:1], off
	s_movk_i32 s22, 0xff
	v_mov_b32_e32 v3, 0x7f800001
	v_mov_b32_e32 v4, 0x400000
	s_mov_b64 s[0:1], -1
	s_waitcnt vmcnt(0)
	v_lshlrev_b32_e32 v5, 23, v2
	v_cmp_ne_u32_e32 vcc, s22, v2
	s_mov_b64 s[22:23], 0
	s_nop 0
	v_cndmask_b32_e32 v3, v3, v5, vcc
	v_cmp_ne_u32_e32 vcc, 0, v2
	s_nop 1
	v_cndmask_b32_e32 v2, v4, v3, vcc
	s_branch .LBB520_410
.LBB520_297:
	s_mov_b64 s[28:29], -1
	s_mov_b64 s[24:25], 0
	s_mov_b64 s[0:1], s[16:17]
.LBB520_298:
	s_and_b64 vcc, exec, s[28:29]
	s_cbranch_vccz .LBB520_303
; %bb.299:
	s_cmp_eq_u32 s35, 44
	s_mov_b64 s[0:1], -1
	s_cbranch_scc0 .LBB520_303
; %bb.300:
	v_bfe_u32 v1, v0, 23, 8
	s_movk_i32 s0, 0xff
	v_cmp_ne_u32_e32 vcc, s0, v1
	v_mov_b32_e32 v4, 0xff
	s_and_saveexec_b64 s[24:25], vcc
; %bb.301:
	s_mov_b32 s0, 0x3fffff
	v_and_b32_e32 v5, 0x400000, v0
	v_and_or_b32 v1, v0, s0, v1
	v_cmp_ne_u32_e32 vcc, 0, v5
	v_cmp_ne_u32_e64 s[0:1], 0, v1
	s_and_b64 s[0:1], vcc, s[0:1]
	v_lshrrev_b32_e32 v4, 23, v0
	v_cndmask_b32_e64 v1, 0, 1, s[0:1]
	v_add_u32_e32 v4, v4, v1
; %bb.302:
	s_or_b64 exec, exec, s[24:25]
	s_mov_b64 s[24:25], -1
	s_mov_b64 s[0:1], 0
	global_store_byte v[2:3], v4, off
.LBB520_303:
	s_mov_b64 s[28:29], 0
.LBB520_304:
	s_and_b64 vcc, exec, s[28:29]
	s_cbranch_vccz .LBB520_307
; %bb.305:
	s_cmp_eq_u32 s35, 29
	s_mov_b64 s[0:1], -1
	s_cbranch_scc0 .LBB520_307
; %bb.306:
	v_trunc_f32_e32 v1, v0
	v_mul_f32_e32 v4, 0x2f800000, v1
	v_floor_f32_e32 v4, v4
	v_fmamk_f32 v1, v4, 0xcf800000, v1
	v_cvt_u32_f32_e32 v5, v4
	v_cvt_u32_f32_e32 v4, v1
	s_mov_b64 s[24:25], -1
	s_mov_b64 s[0:1], 0
	s_mov_b64 s[28:29], 0
	global_store_dwordx2 v[2:3], v[4:5], off
	s_branch .LBB520_308
.LBB520_307:
	s_mov_b64 s[28:29], 0
.LBB520_308:
	s_and_b64 vcc, exec, s[28:29]
	s_cbranch_vccz .LBB520_324
; %bb.309:
	s_cmp_lt_i32 s35, 27
	s_mov_b64 s[24:25], -1
	s_cbranch_scc1 .LBB520_315
; %bb.310:
	v_cvt_u32_f32_e32 v1, v0
	s_cmp_gt_i32 s35, 27
	s_cbranch_scc0 .LBB520_312
; %bb.311:
	s_mov_b64 s[24:25], 0
	global_store_dword v[2:3], v1, off
.LBB520_312:
	s_andn2_b64 vcc, exec, s[24:25]
	s_cbranch_vccnz .LBB520_314
; %bb.313:
	global_store_short v[2:3], v1, off
.LBB520_314:
	s_mov_b64 s[24:25], 0
.LBB520_315:
	s_andn2_b64 vcc, exec, s[24:25]
	s_cbranch_vccnz .LBB520_323
; %bb.316:
	v_and_b32_e32 v1, 0x7fffffff, v0
	s_mov_b32 s24, 0x43800000
	v_cmp_gt_u32_e32 vcc, s24, v1
	v_mov_b32_e32 v4, 0x80
	s_and_saveexec_b64 s[24:25], vcc
	s_cbranch_execz .LBB520_322
; %bb.317:
	s_mov_b32 s28, 0x3bffffff
	v_cmp_lt_u32_e32 vcc, s28, v1
	s_mov_b64 s[28:29], 0
                                        ; implicit-def: $vgpr1
	s_and_saveexec_b64 s[30:31], vcc
	s_xor_b64 s[30:31], exec, s[30:31]
	s_cbranch_execz .LBB520_534
; %bb.318:
	v_bfe_u32 v1, v0, 20, 1
	s_mov_b32 s36, 0x487ffff
	v_add3_u32 v1, v0, v1, s36
	s_mov_b64 s[28:29], exec
	v_lshrrev_b32_e32 v1, 20, v1
	s_andn2_saveexec_b64 s[30:31], s[30:31]
	s_cbranch_execnz .LBB520_535
.LBB520_319:
	s_or_b64 exec, exec, s[30:31]
	v_mov_b32_e32 v4, 0
	s_and_saveexec_b64 s[30:31], s[28:29]
.LBB520_320:
	v_lshrrev_b32_e32 v4, 24, v0
	s_movk_i32 s28, 0x80
	v_and_or_b32 v4, v4, s28, v1
.LBB520_321:
	s_or_b64 exec, exec, s[30:31]
.LBB520_322:
	s_or_b64 exec, exec, s[24:25]
	global_store_byte v[2:3], v4, off
.LBB520_323:
	s_mov_b64 s[24:25], -1
.LBB520_324:
	s_mov_b64 s[28:29], 0
.LBB520_325:
	s_and_b64 vcc, exec, s[28:29]
	s_cbranch_vccz .LBB520_366
; %bb.326:
	s_cmp_gt_i32 s35, 22
	s_mov_b64 s[28:29], -1
	s_cbranch_scc0 .LBB520_358
; %bb.327:
	s_cmp_lt_i32 s35, 24
	s_mov_b64 s[24:25], -1
	s_cbranch_scc1 .LBB520_347
; %bb.328:
	s_cmp_gt_i32 s35, 24
	s_cbranch_scc0 .LBB520_336
; %bb.329:
	v_and_b32_e32 v1, 0x7fffffff, v0
	s_mov_b32 s24, 0x47800000
	v_cmp_gt_u32_e32 vcc, s24, v1
	v_mov_b32_e32 v4, 0x80
	s_and_saveexec_b64 s[24:25], vcc
	s_cbranch_execz .LBB520_335
; %bb.330:
	s_mov_b32 s28, 0x37ffffff
	v_cmp_lt_u32_e32 vcc, s28, v1
	s_mov_b64 s[28:29], 0
                                        ; implicit-def: $vgpr1
	s_and_saveexec_b64 s[30:31], vcc
	s_xor_b64 s[30:31], exec, s[30:31]
	s_cbranch_execz .LBB520_537
; %bb.331:
	v_bfe_u32 v1, v0, 21, 1
	s_mov_b32 s36, 0x88fffff
	v_add3_u32 v1, v0, v1, s36
	s_mov_b64 s[28:29], exec
	v_lshrrev_b32_e32 v1, 21, v1
	s_andn2_saveexec_b64 s[30:31], s[30:31]
	s_cbranch_execnz .LBB520_538
.LBB520_332:
	s_or_b64 exec, exec, s[30:31]
	v_mov_b32_e32 v4, 0
	s_and_saveexec_b64 s[30:31], s[28:29]
.LBB520_333:
	v_lshrrev_b32_e32 v4, 24, v0
	s_movk_i32 s28, 0x80
	v_and_or_b32 v4, v4, s28, v1
.LBB520_334:
	s_or_b64 exec, exec, s[30:31]
.LBB520_335:
	s_or_b64 exec, exec, s[24:25]
	s_mov_b64 s[24:25], 0
	global_store_byte v[2:3], v4, off
.LBB520_336:
	s_and_b64 vcc, exec, s[24:25]
	s_cbranch_vccz .LBB520_346
; %bb.337:
	v_and_b32_e32 v4, 0x7fffffff, v0
	s_mov_b32 s24, 0x43f00000
	v_cmp_gt_u32_e32 vcc, s24, v4
                                        ; implicit-def: $vgpr1
	s_and_saveexec_b64 s[24:25], vcc
	s_xor_b64 s[24:25], exec, s[24:25]
	s_cbranch_execz .LBB520_343
; %bb.338:
	s_mov_b32 s28, 0x3c7fffff
	v_cmp_lt_u32_e32 vcc, s28, v4
                                        ; implicit-def: $vgpr1
	s_and_saveexec_b64 s[28:29], vcc
	s_xor_b64 s[28:29], exec, s[28:29]
; %bb.339:
	v_bfe_u32 v1, v0, 20, 1
	s_mov_b32 s30, 0x407ffff
	v_add3_u32 v1, v0, v1, s30
	v_lshrrev_b32_e32 v4, 20, v1
	v_and_b32_e32 v1, 0xff00000, v1
	s_mov_b32 s30, 0x7f00000
	v_mov_b32_e32 v5, 0x7e
	v_cmp_ne_u32_e32 vcc, s30, v1
	s_nop 1
	v_cndmask_b32_e32 v1, v5, v4, vcc
; %bb.340:
	s_andn2_saveexec_b64 s[28:29], s[28:29]
; %bb.341:
	s_mov_b32 s30, 0x46800000
	v_add_f32_e64 v1, |v0|, s30
; %bb.342:
	s_or_b64 exec, exec, s[28:29]
                                        ; implicit-def: $vgpr4
.LBB520_343:
	s_andn2_saveexec_b64 s[24:25], s[24:25]
; %bb.344:
	s_mov_b32 s28, 0x7f800000
	v_mov_b32_e32 v1, 0x7e
	v_mov_b32_e32 v5, 0x7f
	v_cmp_lt_u32_e32 vcc, s28, v4
	s_nop 1
	v_cndmask_b32_e32 v1, v1, v5, vcc
; %bb.345:
	s_or_b64 exec, exec, s[24:25]
	v_lshrrev_b32_e32 v4, 24, v0
	s_movk_i32 s24, 0x80
	v_and_or_b32 v1, v4, s24, v1
	global_store_byte v[2:3], v1, off
.LBB520_346:
	s_mov_b64 s[24:25], 0
.LBB520_347:
	s_andn2_b64 vcc, exec, s[24:25]
	s_cbranch_vccnz .LBB520_357
; %bb.348:
	v_and_b32_e32 v4, 0x7fffffff, v0
	s_mov_b32 s24, 0x47800000
	v_cmp_gt_u32_e32 vcc, s24, v4
                                        ; implicit-def: $vgpr1
	s_and_saveexec_b64 s[24:25], vcc
	s_xor_b64 s[24:25], exec, s[24:25]
	s_cbranch_execz .LBB520_354
; %bb.349:
	s_mov_b32 s28, 0x387fffff
	v_cmp_lt_u32_e32 vcc, s28, v4
                                        ; implicit-def: $vgpr1
	s_and_saveexec_b64 s[28:29], vcc
	s_xor_b64 s[28:29], exec, s[28:29]
; %bb.350:
	v_bfe_u32 v1, v0, 21, 1
	s_mov_b32 s30, 0x80fffff
	v_add3_u32 v1, v0, v1, s30
	v_lshrrev_b32_e32 v1, 21, v1
; %bb.351:
	s_andn2_saveexec_b64 s[28:29], s[28:29]
; %bb.352:
	s_mov_b32 s30, 0x43000000
	v_add_f32_e64 v1, |v0|, s30
; %bb.353:
	s_or_b64 exec, exec, s[28:29]
                                        ; implicit-def: $vgpr4
.LBB520_354:
	s_andn2_saveexec_b64 s[24:25], s[24:25]
; %bb.355:
	s_mov_b32 s28, 0x7f800000
	v_mov_b32_e32 v1, 0x7c
	v_mov_b32_e32 v5, 0x7f
	v_cmp_lt_u32_e32 vcc, s28, v4
	s_nop 1
	v_cndmask_b32_e32 v1, v1, v5, vcc
; %bb.356:
	s_or_b64 exec, exec, s[24:25]
	v_lshrrev_b32_e32 v4, 24, v0
	s_movk_i32 s24, 0x80
	v_and_or_b32 v1, v4, s24, v1
	global_store_byte v[2:3], v1, off
.LBB520_357:
	s_mov_b64 s[28:29], 0
	s_mov_b64 s[24:25], -1
.LBB520_358:
	s_andn2_b64 vcc, exec, s[28:29]
	s_cbranch_vccnz .LBB520_366
; %bb.359:
	s_cmp_gt_i32 s35, 14
	s_mov_b64 s[28:29], -1
	s_cbranch_scc0 .LBB520_363
; %bb.360:
	s_cmp_eq_u32 s35, 15
	s_mov_b64 s[0:1], -1
	s_cbranch_scc0 .LBB520_362
; %bb.361:
	v_bfe_u32 v1, v0, 16, 1
	s_movk_i32 s0, 0x7fff
	v_add3_u32 v1, v0, v1, s0
	v_cmp_o_f32_e32 vcc, v0, v0
	v_mov_b32_e32 v4, 0x7fc0
	s_mov_b64 s[24:25], -1
	v_cndmask_b32_sdwa v1, v4, v1, vcc dst_sel:DWORD dst_unused:UNUSED_PAD src0_sel:DWORD src1_sel:WORD_1
	global_store_short v[2:3], v1, off
	s_mov_b64 s[0:1], 0
.LBB520_362:
	s_mov_b64 s[28:29], 0
.LBB520_363:
	s_and_b64 vcc, exec, s[28:29]
	s_cbranch_vccz .LBB520_366
; %bb.364:
	s_cmp_eq_u32 s35, 11
	s_mov_b64 s[0:1], -1
	s_cbranch_scc0 .LBB520_366
; %bb.365:
	v_cmp_neq_f32_e32 vcc, 0, v0
	s_mov_b64 s[24:25], -1
	s_mov_b64 s[0:1], 0
	v_cndmask_b32_e64 v1, 0, 1, vcc
	global_store_byte v[2:3], v1, off
.LBB520_366:
	s_mov_b64 s[28:29], 0
.LBB520_367:
	s_and_b64 vcc, exec, s[28:29]
	s_cbranch_vccz .LBB520_406
; %bb.368:
	s_and_b32 s28, 0xffff, s34
	s_cmp_lt_i32 s28, 5
	s_mov_b64 s[24:25], -1
	s_cbranch_scc1 .LBB520_389
; %bb.369:
	s_cmp_lt_i32 s28, 8
	s_cbranch_scc1 .LBB520_379
; %bb.370:
	s_cmp_lt_i32 s28, 9
	s_cbranch_scc1 .LBB520_376
; %bb.371:
	s_cmp_gt_i32 s28, 9
	s_cbranch_scc0 .LBB520_373
; %bb.372:
	v_mov_b32_e32 v6, 0
	v_cvt_f64_f32_e32 v[4:5], v0
	v_mov_b32_e32 v7, v6
	s_mov_b64 s[24:25], 0
	global_store_dwordx4 v[2:3], v[4:7], off
.LBB520_373:
	s_andn2_b64 vcc, exec, s[24:25]
	s_cbranch_vccnz .LBB520_375
; %bb.374:
	v_mov_b32_e32 v1, 0
	global_store_dwordx2 v[2:3], v[0:1], off
.LBB520_375:
	s_mov_b64 s[24:25], 0
.LBB520_376:
	s_andn2_b64 vcc, exec, s[24:25]
	s_cbranch_vccnz .LBB520_378
; %bb.377:
	v_cvt_f16_f32_e32 v1, v0
	global_store_dword v[2:3], v1, off
.LBB520_378:
	s_mov_b64 s[24:25], 0
.LBB520_379:
	s_andn2_b64 vcc, exec, s[24:25]
	s_cbranch_vccnz .LBB520_388
; %bb.380:
	s_cmp_lt_i32 s28, 6
	s_mov_b64 s[24:25], -1
	s_cbranch_scc1 .LBB520_386
; %bb.381:
	s_cmp_gt_i32 s28, 6
	s_cbranch_scc0 .LBB520_383
; %bb.382:
	v_cvt_f64_f32_e32 v[4:5], v0
	s_mov_b64 s[24:25], 0
	global_store_dwordx2 v[2:3], v[4:5], off
.LBB520_383:
	s_andn2_b64 vcc, exec, s[24:25]
	s_cbranch_vccnz .LBB520_385
; %bb.384:
	global_store_dword v[2:3], v0, off
.LBB520_385:
	s_mov_b64 s[24:25], 0
.LBB520_386:
	s_andn2_b64 vcc, exec, s[24:25]
	s_cbranch_vccnz .LBB520_388
; %bb.387:
	v_cvt_f16_f32_e32 v1, v0
	global_store_short v[2:3], v1, off
.LBB520_388:
	s_mov_b64 s[24:25], 0
.LBB520_389:
	s_andn2_b64 vcc, exec, s[24:25]
	s_cbranch_vccnz .LBB520_405
; %bb.390:
	s_cmp_lt_i32 s28, 2
	s_mov_b64 s[24:25], -1
	s_cbranch_scc1 .LBB520_400
; %bb.391:
	s_cmp_lt_i32 s28, 3
	s_cbranch_scc1 .LBB520_397
; %bb.392:
	s_cmp_gt_i32 s28, 3
	s_cbranch_scc0 .LBB520_394
; %bb.393:
	v_trunc_f32_e32 v1, v0
	s_mov_b32 s24, 0x2f800000
	v_mul_f32_e64 v4, |v1|, s24
	v_floor_f32_e32 v4, v4
	s_mov_b32 s24, 0xcf800000
	v_cvt_u32_f32_e32 v5, v4
	v_fma_f32 v4, v4, s24, |v1|
	v_cvt_u32_f32_e32 v4, v4
	v_ashrrev_i32_e32 v1, 31, v1
	v_xor_b32_e32 v5, v5, v1
	s_mov_b64 s[24:25], 0
	v_xor_b32_e32 v4, v4, v1
	v_sub_co_u32_e32 v4, vcc, v4, v1
	s_nop 1
	v_subb_co_u32_e32 v5, vcc, v5, v1, vcc
	global_store_dwordx2 v[2:3], v[4:5], off
.LBB520_394:
	s_andn2_b64 vcc, exec, s[24:25]
	s_cbranch_vccnz .LBB520_396
; %bb.395:
	v_cvt_i32_f32_e32 v1, v0
	global_store_dword v[2:3], v1, off
.LBB520_396:
	s_mov_b64 s[24:25], 0
.LBB520_397:
	s_andn2_b64 vcc, exec, s[24:25]
	s_cbranch_vccnz .LBB520_399
; %bb.398:
	v_cvt_i32_f32_e32 v1, v0
	global_store_short v[2:3], v1, off
.LBB520_399:
	s_mov_b64 s[24:25], 0
.LBB520_400:
	s_andn2_b64 vcc, exec, s[24:25]
	s_cbranch_vccnz .LBB520_405
; %bb.401:
	s_cmp_gt_i32 s28, 0
	s_mov_b64 s[24:25], -1
	s_cbranch_scc0 .LBB520_403
; %bb.402:
	v_cvt_i32_f32_e32 v1, v0
	s_mov_b64 s[24:25], 0
	global_store_byte v[2:3], v1, off
.LBB520_403:
	s_andn2_b64 vcc, exec, s[24:25]
	s_cbranch_vccnz .LBB520_405
; %bb.404:
	v_trunc_f32_e32 v0, v0
	s_mov_b32 s24, 0x2f800000
	v_mul_f32_e64 v1, |v0|, s24
	v_floor_f32_e32 v1, v1
	s_mov_b32 s24, 0xcf800000
	v_fma_f32 v1, v1, s24, |v0|
	v_cvt_u32_f32_e32 v1, v1
	v_ashrrev_i32_e32 v0, 31, v0
	v_xor_b32_e32 v1, v1, v0
	v_sub_u32_e32 v0, v1, v0
	global_store_byte v[2:3], v0, off
.LBB520_405:
	s_mov_b64 s[24:25], -1
.LBB520_406:
	s_andn2_b64 vcc, exec, s[24:25]
	s_cbranch_vccnz .LBB520_408
; %bb.407:
	v_add_u32_e32 v8, 0x80, v8
	s_mov_b64 s[28:29], -1
	s_branch .LBB520_520
.LBB520_408:
	s_mov_b64 s[28:29], 0
                                        ; implicit-def: $vgpr8
	s_branch .LBB520_520
.LBB520_409:
	s_mov_b64 s[22:23], -1
                                        ; implicit-def: $vgpr2
.LBB520_410:
	s_mov_b64 s[24:25], 0
.LBB520_411:
	s_and_b64 vcc, exec, s[24:25]
	s_cbranch_vccz .LBB520_415
; %bb.412:
	s_cmp_eq_u32 s30, 29
	s_cbranch_scc0 .LBB520_414
; %bb.413:
	global_load_dwordx2 v[2:3], v[0:1], off
	s_mov_b64 s[0:1], -1
	s_mov_b64 s[22:23], 0
	s_mov_b64 s[24:25], 0
	s_waitcnt vmcnt(0)
	v_ffbh_u32_e32 v4, v3
	v_min_u32_e32 v4, 32, v4
	v_lshlrev_b64 v[2:3], v4, v[2:3]
	v_min_u32_e32 v2, 1, v2
	v_or_b32_e32 v2, v3, v2
	v_cvt_f32_u32_e32 v2, v2
	v_sub_u32_e32 v3, 32, v4
	v_ldexp_f32 v2, v2, v3
	s_branch .LBB520_416
.LBB520_414:
	s_mov_b64 s[22:23], -1
                                        ; implicit-def: $vgpr2
.LBB520_415:
	s_mov_b64 s[24:25], 0
.LBB520_416:
	s_and_b64 vcc, exec, s[24:25]
	s_cbranch_vccz .LBB520_434
; %bb.417:
	s_cmp_lt_i32 s30, 27
	s_cbranch_scc1 .LBB520_420
; %bb.418:
	s_cmp_gt_i32 s30, 27
	s_cbranch_scc0 .LBB520_421
; %bb.419:
	global_load_dword v2, v[0:1], off
	s_mov_b64 s[0:1], 0
	s_waitcnt vmcnt(0)
	v_cvt_f32_u32_e32 v2, v2
	s_branch .LBB520_422
.LBB520_420:
	s_mov_b64 s[0:1], -1
                                        ; implicit-def: $vgpr2
	s_branch .LBB520_425
.LBB520_421:
	s_mov_b64 s[0:1], -1
                                        ; implicit-def: $vgpr2
.LBB520_422:
	s_andn2_b64 vcc, exec, s[0:1]
	s_cbranch_vccnz .LBB520_424
; %bb.423:
	global_load_ushort v2, v[0:1], off
	s_waitcnt vmcnt(0)
	v_cvt_f32_u32_e32 v2, v2
.LBB520_424:
	s_mov_b64 s[0:1], 0
.LBB520_425:
	s_andn2_b64 vcc, exec, s[0:1]
	s_cbranch_vccnz .LBB520_433
; %bb.426:
	global_load_ubyte v3, v[0:1], off
	s_movk_i32 s0, 0x7f
	s_waitcnt vmcnt(0)
	v_cmp_lt_i16_e32 vcc, s0, v3
	s_mov_b64 s[0:1], 0
	s_and_saveexec_b64 s[24:25], vcc
	s_xor_b64 s[24:25], exec, s[24:25]
	s_cbranch_execz .LBB520_447
; %bb.427:
	s_movk_i32 s0, 0x80
	v_cmp_eq_u16_e32 vcc, s0, v3
	s_mov_b64 s[0:1], -1
	s_and_saveexec_b64 s[28:29], vcc
; %bb.428:
	s_xor_b64 s[0:1], exec, -1
; %bb.429:
	s_or_b64 exec, exec, s[28:29]
	s_and_b64 s[0:1], s[0:1], exec
	s_or_saveexec_b64 s[24:25], s[24:25]
	v_mov_b32_e32 v2, 0x7f800001
	s_xor_b64 exec, exec, s[24:25]
	s_cbranch_execnz .LBB520_448
.LBB520_430:
	s_or_b64 exec, exec, s[24:25]
	s_and_saveexec_b64 s[24:25], s[0:1]
	s_cbranch_execz .LBB520_432
.LBB520_431:
	v_lshlrev_b32_e32 v2, 24, v3
	v_and_b32_e32 v3, 0xffff, v3
	v_and_b32_e32 v4, 7, v3
	v_ffbh_u32_e32 v6, v4
	v_min_u32_e32 v6, 32, v6
	v_subrev_u32_e32 v7, 28, v6
	v_bfe_u32 v5, v3, 3, 4
	v_lshlrev_b32_e32 v3, v7, v3
	v_sub_u32_e32 v6, 29, v6
	v_and_b32_e32 v3, 7, v3
	v_cmp_eq_u32_e32 vcc, 0, v5
	v_and_b32_e32 v2, 0x80000000, v2
	s_nop 0
	v_cndmask_b32_e32 v5, v5, v6, vcc
	v_cndmask_b32_e32 v3, v4, v3, vcc
	v_mov_b32_e32 v4, 0x3b800000
	v_lshlrev_b32_e32 v3, 20, v3
	v_lshl_add_u32 v4, v5, 23, v4
	v_or3_b32 v2, v2, v4, v3
.LBB520_432:
	s_or_b64 exec, exec, s[24:25]
.LBB520_433:
	s_mov_b64 s[0:1], -1
.LBB520_434:
	s_mov_b64 s[24:25], 0
.LBB520_435:
	s_and_b64 vcc, exec, s[24:25]
	s_cbranch_vccz .LBB520_470
; %bb.436:
	s_cmp_gt_i32 s30, 22
	s_cbranch_scc0 .LBB520_446
; %bb.437:
	s_cmp_lt_i32 s30, 24
	s_cbranch_scc1 .LBB520_449
; %bb.438:
	s_cmp_gt_i32 s30, 24
	s_cbranch_scc0 .LBB520_450
; %bb.439:
	global_load_ubyte v3, v[0:1], off
	s_movk_i32 s0, 0x7f
	s_waitcnt vmcnt(0)
	v_cmp_lt_i16_e32 vcc, s0, v3
	s_mov_b64 s[0:1], 0
	s_and_saveexec_b64 s[24:25], vcc
	s_xor_b64 s[24:25], exec, s[24:25]
	s_cbranch_execz .LBB520_462
; %bb.440:
	s_movk_i32 s0, 0x80
	v_cmp_eq_u16_e32 vcc, s0, v3
	s_mov_b64 s[0:1], -1
	s_and_saveexec_b64 s[28:29], vcc
; %bb.441:
	s_xor_b64 s[0:1], exec, -1
; %bb.442:
	s_or_b64 exec, exec, s[28:29]
	s_and_b64 s[0:1], s[0:1], exec
	s_or_saveexec_b64 s[24:25], s[24:25]
	v_mov_b32_e32 v2, 0x7f800001
	s_xor_b64 exec, exec, s[24:25]
	s_cbranch_execnz .LBB520_463
.LBB520_443:
	s_or_b64 exec, exec, s[24:25]
	s_and_saveexec_b64 s[24:25], s[0:1]
	s_cbranch_execz .LBB520_445
.LBB520_444:
	v_lshlrev_b32_e32 v2, 24, v3
	v_and_b32_e32 v3, 0xffff, v3
	v_and_b32_e32 v4, 3, v3
	v_ffbh_u32_e32 v6, v4
	v_min_u32_e32 v6, 32, v6
	v_subrev_u32_e32 v7, 29, v6
	v_bfe_u32 v5, v3, 2, 5
	v_lshlrev_b32_e32 v3, v7, v3
	v_sub_u32_e32 v6, 30, v6
	v_and_b32_e32 v3, 3, v3
	v_cmp_eq_u32_e32 vcc, 0, v5
	v_and_b32_e32 v2, 0x80000000, v2
	s_nop 0
	v_cndmask_b32_e32 v5, v5, v6, vcc
	v_cndmask_b32_e32 v3, v4, v3, vcc
	v_mov_b32_e32 v4, 0x37800000
	v_lshlrev_b32_e32 v3, 21, v3
	v_lshl_add_u32 v4, v5, 23, v4
	v_or3_b32 v2, v2, v4, v3
.LBB520_445:
	s_or_b64 exec, exec, s[24:25]
	s_mov_b64 s[0:1], 0
	s_branch .LBB520_451
.LBB520_446:
	s_mov_b64 s[24:25], -1
                                        ; implicit-def: $vgpr2
	s_branch .LBB520_457
.LBB520_447:
	s_or_saveexec_b64 s[24:25], s[24:25]
	v_mov_b32_e32 v2, 0x7f800001
	s_xor_b64 exec, exec, s[24:25]
	s_cbranch_execz .LBB520_430
.LBB520_448:
	v_cmp_ne_u16_e32 vcc, 0, v3
	s_andn2_b64 s[0:1], s[0:1], exec
	s_and_b64 s[28:29], vcc, exec
	v_mov_b32_e32 v2, 0
	s_or_b64 s[0:1], s[0:1], s[28:29]
	s_or_b64 exec, exec, s[24:25]
	s_and_saveexec_b64 s[24:25], s[0:1]
	s_cbranch_execnz .LBB520_431
	s_branch .LBB520_432
.LBB520_449:
	s_mov_b64 s[0:1], -1
                                        ; implicit-def: $vgpr2
	s_branch .LBB520_454
.LBB520_450:
	s_mov_b64 s[0:1], -1
                                        ; implicit-def: $vgpr2
.LBB520_451:
	s_and_b64 vcc, exec, s[0:1]
	s_cbranch_vccz .LBB520_453
; %bb.452:
	global_load_ubyte v2, v[0:1], off
	s_mov_b32 s0, 0x7f800000
	s_waitcnt vmcnt(0)
	v_lshlrev_b32_e32 v2, 24, v2
	v_and_b32_e32 v3, 0x7f000000, v2
	v_ffbh_u32_e32 v4, v3
	v_min_u32_e32 v4, 32, v4
	v_sub_u32_e64 v4, v4, 4 clamp
	v_lshlrev_b32_e32 v6, v4, v3
	v_lshlrev_b32_e32 v4, 23, v4
	v_lshrrev_b32_e32 v6, 4, v6
	v_add_u32_e32 v5, 0x1000000, v3
	v_sub_u32_e32 v4, v6, v4
	v_ashrrev_i32_e32 v5, 8, v5
	v_add_u32_e32 v4, 0x3c000000, v4
	v_and_or_b32 v4, v5, s0, v4
	v_cmp_ne_u32_e32 vcc, 0, v3
	s_brev_b32 s0, 1
	s_nop 0
	v_cndmask_b32_e32 v3, 0, v4, vcc
	v_and_or_b32 v2, v2, s0, v3
.LBB520_453:
	s_mov_b64 s[0:1], 0
.LBB520_454:
	s_andn2_b64 vcc, exec, s[0:1]
	s_cbranch_vccnz .LBB520_456
; %bb.455:
	global_load_ubyte v2, v[0:1], off
	s_movk_i32 s0, 0x7f00
	s_brev_b32 s1, 16
	s_waitcnt vmcnt(0)
	v_lshlrev_b16_e32 v3, 8, v2
	v_lshlrev_b32_e32 v2, 25, v2
	v_lshrrev_b32_e32 v4, 4, v2
	v_and_or_b32 v5, v3, s0, 0.5
	v_or_b32_e32 v4, 0x70000000, v4
	v_add_f32_e32 v5, -0.5, v5
	v_mul_f32_e32 v4, 0x7800000, v4
	v_cmp_gt_u32_e32 vcc, s1, v2
	v_bfe_i32 v3, v3, 0, 16
	s_brev_b32 s0, 1
	v_cndmask_b32_e32 v2, v4, v5, vcc
	v_and_or_b32 v2, v3, s0, v2
.LBB520_456:
	s_mov_b64 s[24:25], 0
	s_mov_b64 s[0:1], -1
.LBB520_457:
	s_andn2_b64 vcc, exec, s[24:25]
	s_cbranch_vccnz .LBB520_470
; %bb.458:
	s_cmp_gt_i32 s30, 14
	s_cbranch_scc0 .LBB520_461
; %bb.459:
	s_cmp_eq_u32 s30, 15
	s_cbranch_scc0 .LBB520_464
; %bb.460:
	global_load_ushort v2, v[0:1], off
	s_mov_b64 s[0:1], -1
	s_mov_b64 s[22:23], 0
	s_waitcnt vmcnt(0)
	v_lshlrev_b32_e32 v2, 16, v2
	s_branch .LBB520_465
.LBB520_461:
	s_mov_b64 s[24:25], -1
                                        ; implicit-def: $vgpr2
	s_branch .LBB520_466
.LBB520_462:
	s_or_saveexec_b64 s[24:25], s[24:25]
	v_mov_b32_e32 v2, 0x7f800001
	s_xor_b64 exec, exec, s[24:25]
	s_cbranch_execz .LBB520_443
.LBB520_463:
	v_cmp_ne_u16_e32 vcc, 0, v3
	s_andn2_b64 s[0:1], s[0:1], exec
	s_and_b64 s[28:29], vcc, exec
	v_mov_b32_e32 v2, 0
	s_or_b64 s[0:1], s[0:1], s[28:29]
	s_or_b64 exec, exec, s[24:25]
	s_and_saveexec_b64 s[24:25], s[0:1]
	s_cbranch_execnz .LBB520_444
	s_branch .LBB520_445
.LBB520_464:
	s_mov_b64 s[22:23], -1
                                        ; implicit-def: $vgpr2
.LBB520_465:
	s_mov_b64 s[24:25], 0
.LBB520_466:
	s_and_b64 vcc, exec, s[24:25]
	s_cbranch_vccz .LBB520_470
; %bb.467:
	s_cmp_eq_u32 s30, 11
	s_cbranch_scc0 .LBB520_469
; %bb.468:
	global_load_ubyte v2, v[0:1], off
	s_mov_b64 s[0:1], -1
	s_mov_b64 s[22:23], 0
	s_waitcnt vmcnt(0)
	v_cmp_ne_u16_e32 vcc, 0, v2
	s_nop 1
	v_cndmask_b32_e64 v2, 0, 1.0, vcc
	s_branch .LBB520_470
.LBB520_469:
	s_mov_b64 s[22:23], -1
                                        ; implicit-def: $vgpr2
.LBB520_470:
	s_branch .LBB520_269
.LBB520_471:
	s_cmp_lt_i32 s30, 5
	s_cbranch_scc1 .LBB520_476
; %bb.472:
	s_cmp_lt_i32 s30, 8
	s_cbranch_scc1 .LBB520_477
; %bb.473:
	;; [unrolled: 3-line block ×3, first 2 shown]
	s_cmp_gt_i32 s30, 9
	s_cbranch_scc0 .LBB520_479
; %bb.475:
	global_load_dwordx2 v[2:3], v[0:1], off
	s_mov_b64 s[0:1], 0
	s_waitcnt vmcnt(0)
	v_cvt_f32_f64_e32 v2, v[2:3]
	s_branch .LBB520_480
.LBB520_476:
	s_mov_b64 s[0:1], -1
                                        ; implicit-def: $vgpr2
	s_branch .LBB520_498
.LBB520_477:
	s_mov_b64 s[0:1], -1
                                        ; implicit-def: $vgpr2
	s_branch .LBB520_486
.LBB520_478:
	s_mov_b64 s[0:1], -1
                                        ; implicit-def: $vgpr2
	s_branch .LBB520_483
.LBB520_479:
	s_mov_b64 s[0:1], -1
                                        ; implicit-def: $vgpr2
.LBB520_480:
	s_andn2_b64 vcc, exec, s[0:1]
	s_cbranch_vccnz .LBB520_482
; %bb.481:
	global_load_dword v2, v[0:1], off
.LBB520_482:
	s_mov_b64 s[0:1], 0
.LBB520_483:
	s_andn2_b64 vcc, exec, s[0:1]
	s_cbranch_vccnz .LBB520_485
; %bb.484:
	global_load_dword v2, v[0:1], off
	s_waitcnt vmcnt(0)
	v_cvt_f32_f16_e32 v2, v2
.LBB520_485:
	s_mov_b64 s[0:1], 0
.LBB520_486:
	s_andn2_b64 vcc, exec, s[0:1]
	s_cbranch_vccnz .LBB520_497
; %bb.487:
	s_cmp_lt_i32 s30, 6
	s_cbranch_scc1 .LBB520_490
; %bb.488:
	s_cmp_gt_i32 s30, 6
	s_cbranch_scc0 .LBB520_491
; %bb.489:
	global_load_dwordx2 v[2:3], v[0:1], off
	s_mov_b64 s[0:1], 0
	s_waitcnt vmcnt(0)
	v_cvt_f32_f64_e32 v2, v[2:3]
	s_branch .LBB520_492
.LBB520_490:
	s_mov_b64 s[0:1], -1
                                        ; implicit-def: $vgpr2
	s_branch .LBB520_495
.LBB520_491:
	s_mov_b64 s[0:1], -1
                                        ; implicit-def: $vgpr2
.LBB520_492:
	s_andn2_b64 vcc, exec, s[0:1]
	s_cbranch_vccnz .LBB520_494
; %bb.493:
	global_load_dword v2, v[0:1], off
.LBB520_494:
	s_mov_b64 s[0:1], 0
.LBB520_495:
	s_andn2_b64 vcc, exec, s[0:1]
	s_cbranch_vccnz .LBB520_497
; %bb.496:
	global_load_ushort v2, v[0:1], off
	s_waitcnt vmcnt(0)
	v_cvt_f32_f16_e32 v2, v2
.LBB520_497:
	s_mov_b64 s[0:1], 0
.LBB520_498:
	s_andn2_b64 vcc, exec, s[0:1]
	s_cbranch_vccnz .LBB520_518
; %bb.499:
	s_cmp_lt_i32 s30, 2
	s_cbranch_scc1 .LBB520_503
; %bb.500:
	s_cmp_lt_i32 s30, 3
	s_cbranch_scc1 .LBB520_504
; %bb.501:
	s_cmp_gt_i32 s30, 3
	s_cbranch_scc0 .LBB520_505
; %bb.502:
	global_load_dwordx2 v[2:3], v[0:1], off
	s_mov_b64 s[0:1], 0
	s_waitcnt vmcnt(0)
	v_xor_b32_e32 v5, v2, v3
	v_ffbh_i32_e32 v4, v3
	v_ashrrev_i32_e32 v5, 31, v5
	v_add_u32_e32 v4, -1, v4
	v_add_u32_e32 v5, 32, v5
	v_min_u32_e32 v4, v4, v5
	v_lshlrev_b64 v[2:3], v4, v[2:3]
	v_min_u32_e32 v2, 1, v2
	v_or_b32_e32 v2, v3, v2
	v_cvt_f32_i32_e32 v2, v2
	v_sub_u32_e32 v3, 32, v4
	v_ldexp_f32 v2, v2, v3
	s_branch .LBB520_506
.LBB520_503:
	s_mov_b64 s[0:1], -1
                                        ; implicit-def: $vgpr2
	s_branch .LBB520_512
.LBB520_504:
	s_mov_b64 s[0:1], -1
                                        ; implicit-def: $vgpr2
	s_branch .LBB520_509
.LBB520_505:
	s_mov_b64 s[0:1], -1
                                        ; implicit-def: $vgpr2
.LBB520_506:
	s_andn2_b64 vcc, exec, s[0:1]
	s_cbranch_vccnz .LBB520_508
; %bb.507:
	global_load_dword v2, v[0:1], off
	s_waitcnt vmcnt(0)
	v_cvt_f32_i32_e32 v2, v2
.LBB520_508:
	s_mov_b64 s[0:1], 0
.LBB520_509:
	s_andn2_b64 vcc, exec, s[0:1]
	s_cbranch_vccnz .LBB520_511
; %bb.510:
	global_load_sshort v2, v[0:1], off
	s_waitcnt vmcnt(0)
	v_cvt_f32_i32_e32 v2, v2
.LBB520_511:
	s_mov_b64 s[0:1], 0
.LBB520_512:
	s_andn2_b64 vcc, exec, s[0:1]
	s_cbranch_vccnz .LBB520_518
; %bb.513:
	s_cmp_gt_i32 s30, 0
	s_cbranch_scc0 .LBB520_515
; %bb.514:
	global_load_sbyte v2, v[0:1], off
	s_mov_b64 s[0:1], 0
	s_waitcnt vmcnt(0)
	v_cvt_f32_i32_e32 v2, v2
	s_branch .LBB520_516
.LBB520_515:
	s_mov_b64 s[0:1], -1
                                        ; implicit-def: $vgpr2
.LBB520_516:
	s_andn2_b64 vcc, exec, s[0:1]
	s_cbranch_vccnz .LBB520_518
; %bb.517:
	global_load_ubyte v0, v[0:1], off
	s_waitcnt vmcnt(0)
	v_cvt_f32_ubyte0_e32 v2, v0
.LBB520_518:
	s_branch .LBB520_270
.LBB520_519:
	s_mov_b64 s[28:29], 0
                                        ; implicit-def: $vgpr8
	s_mov_b64 s[0:1], s[16:17]
.LBB520_520:
	s_andn2_b64 s[24:25], s[16:17], exec
	s_and_b64 s[0:1], s[0:1], exec
	s_or_b64 s[24:25], s[24:25], s[0:1]
	s_andn2_b64 s[0:1], s[18:19], exec
	s_and_b64 s[22:23], s[22:23], exec
	s_or_b64 s[22:23], s[0:1], s[22:23]
	s_orn2_b64 s[0:1], s[28:29], exec
.LBB520_521:
	s_or_b64 exec, exec, s[26:27]
	s_mov_b64 s[28:29], 0
	s_mov_b64 s[30:31], 0
	;; [unrolled: 1-line block ×3, first 2 shown]
                                        ; implicit-def: $vgpr0_vgpr1
                                        ; implicit-def: $vgpr4
	s_and_saveexec_b64 s[26:27], s[0:1]
	s_cbranch_execz .LBB520_870
; %bb.522:
	v_cmp_gt_i32_e32 vcc, s42, v8
	s_mov_b64 s[38:39], -1
	s_mov_b64 s[0:1], s[22:23]
	s_mov_b64 s[34:35], s[24:25]
	s_and_saveexec_b64 s[28:29], vcc
	s_cbranch_execz .LBB520_784
; %bb.523:
	v_mul_lo_u32 v0, v8, s9
	v_ashrrev_i32_e32 v1, 31, v0
	s_and_b32 s38, 0xffff, s33
	s_cmp_lt_i32 s38, 11
	v_lshl_add_u64 v[0:1], s[6:7], 0, v[0:1]
	s_cbranch_scc1 .LBB520_530
; %bb.524:
	s_cmp_gt_i32 s38, 25
	s_cbranch_scc0 .LBB520_531
; %bb.525:
	s_cmp_gt_i32 s38, 28
	s_cbranch_scc0 .LBB520_532
	;; [unrolled: 3-line block ×4, first 2 shown]
; %bb.528:
	s_cmp_eq_u32 s38, 46
	s_mov_b64 s[34:35], 0
	s_cbranch_scc0 .LBB520_539
; %bb.529:
	global_load_dword v2, v[0:1], off
	s_mov_b64 s[0:1], -1
	s_waitcnt vmcnt(0)
	v_lshlrev_b32_e32 v2, 16, v2
	s_branch .LBB520_540
.LBB520_530:
	s_mov_b64 s[34:35], -1
	s_mov_b64 s[0:1], 0
                                        ; implicit-def: $vgpr2
	s_mov_b64 s[30:31], s[22:23]
	s_branch .LBB520_605
.LBB520_531:
	s_mov_b64 s[34:35], -1
	s_mov_b64 s[0:1], 0
	s_mov_b64 s[30:31], s[22:23]
                                        ; implicit-def: $vgpr2
	s_branch .LBB520_569
.LBB520_532:
	s_mov_b64 s[34:35], -1
	s_mov_b64 s[0:1], 0
	s_mov_b64 s[30:31], s[22:23]
                                        ; implicit-def: $vgpr2
	s_branch .LBB520_550
.LBB520_533:
	s_mov_b64 s[34:35], -1
	s_mov_b64 s[0:1], 0
	s_mov_b64 s[30:31], s[22:23]
                                        ; implicit-def: $vgpr2
	s_branch .LBB520_545
.LBB520_534:
	s_andn2_saveexec_b64 s[30:31], s[30:31]
	s_cbranch_execz .LBB520_319
.LBB520_535:
	s_mov_b32 s36, 0x46000000
	v_add_f32_e64 v1, |v0|, s36
	v_and_b32_e32 v1, 0xff, v1
	v_cmp_ne_u32_e32 vcc, 0, v1
	s_andn2_b64 s[28:29], s[28:29], exec
	s_and_b64 s[36:37], vcc, exec
	s_or_b64 s[28:29], s[28:29], s[36:37]
	s_or_b64 exec, exec, s[30:31]
	v_mov_b32_e32 v4, 0
	s_and_saveexec_b64 s[30:31], s[28:29]
	s_cbranch_execnz .LBB520_320
	s_branch .LBB520_321
.LBB520_536:
	s_mov_b64 s[34:35], -1
	s_mov_b64 s[0:1], 0
	s_mov_b64 s[30:31], s[22:23]
                                        ; implicit-def: $vgpr2
	s_branch .LBB520_540
.LBB520_537:
	s_andn2_saveexec_b64 s[30:31], s[30:31]
	s_cbranch_execz .LBB520_332
.LBB520_538:
	s_mov_b32 s36, 0x42800000
	v_add_f32_e64 v1, |v0|, s36
	v_and_b32_e32 v1, 0xff, v1
	v_cmp_ne_u32_e32 vcc, 0, v1
	s_andn2_b64 s[28:29], s[28:29], exec
	s_and_b64 s[36:37], vcc, exec
	s_or_b64 s[28:29], s[28:29], s[36:37]
	s_or_b64 exec, exec, s[30:31]
	v_mov_b32_e32 v4, 0
	s_and_saveexec_b64 s[30:31], s[28:29]
	s_cbranch_execnz .LBB520_333
	s_branch .LBB520_334
.LBB520_539:
	s_mov_b64 s[30:31], -1
                                        ; implicit-def: $vgpr2
	s_mov_b64 s[0:1], 0
.LBB520_540:
	s_and_b64 vcc, exec, s[34:35]
	s_cbranch_vccz .LBB520_544
; %bb.541:
	s_cmp_eq_u32 s38, 44
	s_cbranch_scc0 .LBB520_543
; %bb.542:
	global_load_ubyte v2, v[0:1], off
	s_movk_i32 s30, 0xff
	v_mov_b32_e32 v3, 0x7f800001
	v_mov_b32_e32 v4, 0x400000
	s_mov_b64 s[0:1], -1
	s_waitcnt vmcnt(0)
	v_lshlrev_b32_e32 v5, 23, v2
	v_cmp_ne_u32_e32 vcc, s30, v2
	s_mov_b64 s[30:31], 0
	s_nop 0
	v_cndmask_b32_e32 v3, v3, v5, vcc
	v_cmp_ne_u32_e32 vcc, 0, v2
	s_nop 1
	v_cndmask_b32_e32 v2, v4, v3, vcc
	s_branch .LBB520_544
.LBB520_543:
	s_mov_b64 s[30:31], -1
                                        ; implicit-def: $vgpr2
.LBB520_544:
	s_mov_b64 s[34:35], 0
.LBB520_545:
	s_and_b64 vcc, exec, s[34:35]
	s_cbranch_vccz .LBB520_549
; %bb.546:
	s_cmp_eq_u32 s38, 29
	s_cbranch_scc0 .LBB520_548
; %bb.547:
	global_load_dwordx2 v[2:3], v[0:1], off
	s_mov_b64 s[0:1], -1
	s_mov_b64 s[30:31], 0
	s_mov_b64 s[34:35], 0
	s_waitcnt vmcnt(0)
	v_ffbh_u32_e32 v4, v3
	v_min_u32_e32 v4, 32, v4
	v_lshlrev_b64 v[2:3], v4, v[2:3]
	v_min_u32_e32 v2, 1, v2
	v_or_b32_e32 v2, v3, v2
	v_cvt_f32_u32_e32 v2, v2
	v_sub_u32_e32 v3, 32, v4
	v_ldexp_f32 v2, v2, v3
	s_branch .LBB520_550
.LBB520_548:
	s_mov_b64 s[30:31], -1
                                        ; implicit-def: $vgpr2
.LBB520_549:
	s_mov_b64 s[34:35], 0
.LBB520_550:
	s_and_b64 vcc, exec, s[34:35]
	s_cbranch_vccz .LBB520_568
; %bb.551:
	s_cmp_lt_i32 s38, 27
	s_cbranch_scc1 .LBB520_554
; %bb.552:
	s_cmp_gt_i32 s38, 27
	s_cbranch_scc0 .LBB520_555
; %bb.553:
	global_load_dword v2, v[0:1], off
	s_mov_b64 s[0:1], 0
	s_waitcnt vmcnt(0)
	v_cvt_f32_u32_e32 v2, v2
	s_branch .LBB520_556
.LBB520_554:
	s_mov_b64 s[0:1], -1
                                        ; implicit-def: $vgpr2
	s_branch .LBB520_559
.LBB520_555:
	s_mov_b64 s[0:1], -1
                                        ; implicit-def: $vgpr2
.LBB520_556:
	s_andn2_b64 vcc, exec, s[0:1]
	s_cbranch_vccnz .LBB520_558
; %bb.557:
	global_load_ushort v2, v[0:1], off
	s_waitcnt vmcnt(0)
	v_cvt_f32_u32_e32 v2, v2
.LBB520_558:
	s_mov_b64 s[0:1], 0
.LBB520_559:
	s_andn2_b64 vcc, exec, s[0:1]
	s_cbranch_vccnz .LBB520_567
; %bb.560:
	global_load_ubyte v3, v[0:1], off
	s_movk_i32 s0, 0x7f
	s_waitcnt vmcnt(0)
	v_cmp_lt_i16_e32 vcc, s0, v3
	s_mov_b64 s[0:1], 0
	s_and_saveexec_b64 s[34:35], vcc
	s_xor_b64 s[34:35], exec, s[34:35]
	s_cbranch_execz .LBB520_581
; %bb.561:
	s_movk_i32 s0, 0x80
	v_cmp_eq_u16_e32 vcc, s0, v3
	s_mov_b64 s[0:1], -1
	s_and_saveexec_b64 s[36:37], vcc
; %bb.562:
	s_xor_b64 s[0:1], exec, -1
; %bb.563:
	s_or_b64 exec, exec, s[36:37]
	s_and_b64 s[0:1], s[0:1], exec
	s_or_saveexec_b64 s[34:35], s[34:35]
	v_mov_b32_e32 v2, 0x7f800001
	s_xor_b64 exec, exec, s[34:35]
	s_cbranch_execnz .LBB520_582
.LBB520_564:
	s_or_b64 exec, exec, s[34:35]
	s_and_saveexec_b64 s[34:35], s[0:1]
	s_cbranch_execz .LBB520_566
.LBB520_565:
	v_lshlrev_b32_e32 v2, 24, v3
	v_and_b32_e32 v3, 0xffff, v3
	v_and_b32_e32 v4, 7, v3
	v_ffbh_u32_e32 v6, v4
	v_min_u32_e32 v6, 32, v6
	v_subrev_u32_e32 v7, 28, v6
	v_bfe_u32 v5, v3, 3, 4
	v_lshlrev_b32_e32 v3, v7, v3
	v_sub_u32_e32 v6, 29, v6
	v_and_b32_e32 v3, 7, v3
	v_cmp_eq_u32_e32 vcc, 0, v5
	v_and_b32_e32 v2, 0x80000000, v2
	s_nop 0
	v_cndmask_b32_e32 v5, v5, v6, vcc
	v_cndmask_b32_e32 v3, v4, v3, vcc
	v_mov_b32_e32 v4, 0x3b800000
	v_lshlrev_b32_e32 v3, 20, v3
	v_lshl_add_u32 v4, v5, 23, v4
	v_or3_b32 v2, v2, v4, v3
.LBB520_566:
	s_or_b64 exec, exec, s[34:35]
.LBB520_567:
	s_mov_b64 s[0:1], -1
.LBB520_568:
	s_mov_b64 s[34:35], 0
.LBB520_569:
	s_and_b64 vcc, exec, s[34:35]
	s_cbranch_vccz .LBB520_604
; %bb.570:
	s_cmp_gt_i32 s38, 22
	s_cbranch_scc0 .LBB520_580
; %bb.571:
	s_cmp_lt_i32 s38, 24
	s_cbranch_scc1 .LBB520_583
; %bb.572:
	s_cmp_gt_i32 s38, 24
	s_cbranch_scc0 .LBB520_584
; %bb.573:
	global_load_ubyte v3, v[0:1], off
	s_movk_i32 s0, 0x7f
	s_waitcnt vmcnt(0)
	v_cmp_lt_i16_e32 vcc, s0, v3
	s_mov_b64 s[0:1], 0
	s_and_saveexec_b64 s[34:35], vcc
	s_xor_b64 s[34:35], exec, s[34:35]
	s_cbranch_execz .LBB520_596
; %bb.574:
	s_movk_i32 s0, 0x80
	v_cmp_eq_u16_e32 vcc, s0, v3
	s_mov_b64 s[0:1], -1
	s_and_saveexec_b64 s[36:37], vcc
; %bb.575:
	s_xor_b64 s[0:1], exec, -1
; %bb.576:
	s_or_b64 exec, exec, s[36:37]
	s_and_b64 s[0:1], s[0:1], exec
	s_or_saveexec_b64 s[34:35], s[34:35]
	v_mov_b32_e32 v2, 0x7f800001
	s_xor_b64 exec, exec, s[34:35]
	s_cbranch_execnz .LBB520_597
.LBB520_577:
	s_or_b64 exec, exec, s[34:35]
	s_and_saveexec_b64 s[34:35], s[0:1]
	s_cbranch_execz .LBB520_579
.LBB520_578:
	v_lshlrev_b32_e32 v2, 24, v3
	v_and_b32_e32 v3, 0xffff, v3
	v_and_b32_e32 v4, 3, v3
	v_ffbh_u32_e32 v6, v4
	v_min_u32_e32 v6, 32, v6
	v_subrev_u32_e32 v7, 29, v6
	v_bfe_u32 v5, v3, 2, 5
	v_lshlrev_b32_e32 v3, v7, v3
	v_sub_u32_e32 v6, 30, v6
	v_and_b32_e32 v3, 3, v3
	v_cmp_eq_u32_e32 vcc, 0, v5
	v_and_b32_e32 v2, 0x80000000, v2
	s_nop 0
	v_cndmask_b32_e32 v5, v5, v6, vcc
	v_cndmask_b32_e32 v3, v4, v3, vcc
	v_mov_b32_e32 v4, 0x37800000
	v_lshlrev_b32_e32 v3, 21, v3
	v_lshl_add_u32 v4, v5, 23, v4
	v_or3_b32 v2, v2, v4, v3
.LBB520_579:
	s_or_b64 exec, exec, s[34:35]
	s_mov_b64 s[0:1], 0
	s_branch .LBB520_585
.LBB520_580:
	s_mov_b64 s[34:35], -1
                                        ; implicit-def: $vgpr2
	s_branch .LBB520_591
.LBB520_581:
	s_or_saveexec_b64 s[34:35], s[34:35]
	v_mov_b32_e32 v2, 0x7f800001
	s_xor_b64 exec, exec, s[34:35]
	s_cbranch_execz .LBB520_564
.LBB520_582:
	v_cmp_ne_u16_e32 vcc, 0, v3
	s_andn2_b64 s[0:1], s[0:1], exec
	s_and_b64 s[36:37], vcc, exec
	v_mov_b32_e32 v2, 0
	s_or_b64 s[0:1], s[0:1], s[36:37]
	s_or_b64 exec, exec, s[34:35]
	s_and_saveexec_b64 s[34:35], s[0:1]
	s_cbranch_execnz .LBB520_565
	s_branch .LBB520_566
.LBB520_583:
	s_mov_b64 s[0:1], -1
                                        ; implicit-def: $vgpr2
	s_branch .LBB520_588
.LBB520_584:
	s_mov_b64 s[0:1], -1
                                        ; implicit-def: $vgpr2
.LBB520_585:
	s_and_b64 vcc, exec, s[0:1]
	s_cbranch_vccz .LBB520_587
; %bb.586:
	global_load_ubyte v2, v[0:1], off
	s_mov_b32 s0, 0x7f800000
	s_waitcnt vmcnt(0)
	v_lshlrev_b32_e32 v2, 24, v2
	v_and_b32_e32 v3, 0x7f000000, v2
	v_ffbh_u32_e32 v4, v3
	v_min_u32_e32 v4, 32, v4
	v_sub_u32_e64 v4, v4, 4 clamp
	v_lshlrev_b32_e32 v6, v4, v3
	v_lshlrev_b32_e32 v4, 23, v4
	v_lshrrev_b32_e32 v6, 4, v6
	v_add_u32_e32 v5, 0x1000000, v3
	v_sub_u32_e32 v4, v6, v4
	v_ashrrev_i32_e32 v5, 8, v5
	v_add_u32_e32 v4, 0x3c000000, v4
	v_and_or_b32 v4, v5, s0, v4
	v_cmp_ne_u32_e32 vcc, 0, v3
	s_brev_b32 s0, 1
	s_nop 0
	v_cndmask_b32_e32 v3, 0, v4, vcc
	v_and_or_b32 v2, v2, s0, v3
.LBB520_587:
	s_mov_b64 s[0:1], 0
.LBB520_588:
	s_andn2_b64 vcc, exec, s[0:1]
	s_cbranch_vccnz .LBB520_590
; %bb.589:
	global_load_ubyte v2, v[0:1], off
	s_movk_i32 s0, 0x7f00
	s_brev_b32 s1, 16
	s_waitcnt vmcnt(0)
	v_lshlrev_b16_e32 v3, 8, v2
	v_lshlrev_b32_e32 v2, 25, v2
	v_lshrrev_b32_e32 v4, 4, v2
	v_and_or_b32 v5, v3, s0, 0.5
	v_or_b32_e32 v4, 0x70000000, v4
	v_add_f32_e32 v5, -0.5, v5
	v_mul_f32_e32 v4, 0x7800000, v4
	v_cmp_gt_u32_e32 vcc, s1, v2
	v_bfe_i32 v3, v3, 0, 16
	s_brev_b32 s0, 1
	v_cndmask_b32_e32 v2, v4, v5, vcc
	v_and_or_b32 v2, v3, s0, v2
.LBB520_590:
	s_mov_b64 s[34:35], 0
	s_mov_b64 s[0:1], -1
.LBB520_591:
	s_andn2_b64 vcc, exec, s[34:35]
	s_cbranch_vccnz .LBB520_604
; %bb.592:
	s_cmp_gt_i32 s38, 14
	s_cbranch_scc0 .LBB520_595
; %bb.593:
	s_cmp_eq_u32 s38, 15
	s_cbranch_scc0 .LBB520_598
; %bb.594:
	global_load_ushort v2, v[0:1], off
	s_mov_b64 s[0:1], -1
	s_mov_b64 s[30:31], 0
	s_waitcnt vmcnt(0)
	v_lshlrev_b32_e32 v2, 16, v2
	s_branch .LBB520_599
.LBB520_595:
	s_mov_b64 s[34:35], -1
                                        ; implicit-def: $vgpr2
	s_branch .LBB520_600
.LBB520_596:
	s_or_saveexec_b64 s[34:35], s[34:35]
	v_mov_b32_e32 v2, 0x7f800001
	s_xor_b64 exec, exec, s[34:35]
	s_cbranch_execz .LBB520_577
.LBB520_597:
	v_cmp_ne_u16_e32 vcc, 0, v3
	s_andn2_b64 s[0:1], s[0:1], exec
	s_and_b64 s[36:37], vcc, exec
	v_mov_b32_e32 v2, 0
	s_or_b64 s[0:1], s[0:1], s[36:37]
	s_or_b64 exec, exec, s[34:35]
	s_and_saveexec_b64 s[34:35], s[0:1]
	s_cbranch_execnz .LBB520_578
	s_branch .LBB520_579
.LBB520_598:
	s_mov_b64 s[30:31], -1
                                        ; implicit-def: $vgpr2
.LBB520_599:
	s_mov_b64 s[34:35], 0
.LBB520_600:
	s_and_b64 vcc, exec, s[34:35]
	s_cbranch_vccz .LBB520_604
; %bb.601:
	s_cmp_eq_u32 s38, 11
	s_cbranch_scc0 .LBB520_603
; %bb.602:
	global_load_ubyte v2, v[0:1], off
	s_mov_b64 s[0:1], -1
	s_mov_b64 s[30:31], 0
	s_waitcnt vmcnt(0)
	v_cmp_ne_u16_e32 vcc, 0, v2
	s_nop 1
	v_cndmask_b32_e64 v2, 0, 1.0, vcc
	s_branch .LBB520_604
.LBB520_603:
	s_mov_b64 s[30:31], -1
                                        ; implicit-def: $vgpr2
.LBB520_604:
	s_mov_b64 s[34:35], 0
.LBB520_605:
	s_and_b64 vcc, exec, s[34:35]
	s_cbranch_vccz .LBB520_654
; %bb.606:
	s_cmp_lt_i32 s38, 5
	s_cbranch_scc1 .LBB520_611
; %bb.607:
	s_cmp_lt_i32 s38, 8
	s_cbranch_scc1 .LBB520_612
; %bb.608:
	s_cmp_lt_i32 s38, 9
	s_cbranch_scc1 .LBB520_613
; %bb.609:
	s_cmp_gt_i32 s38, 9
	s_cbranch_scc0 .LBB520_614
; %bb.610:
	global_load_dwordx2 v[2:3], v[0:1], off
	s_mov_b64 s[0:1], 0
	s_waitcnt vmcnt(0)
	v_cvt_f32_f64_e32 v2, v[2:3]
	s_branch .LBB520_615
.LBB520_611:
	s_mov_b64 s[0:1], -1
                                        ; implicit-def: $vgpr2
	s_branch .LBB520_633
.LBB520_612:
	s_mov_b64 s[0:1], -1
                                        ; implicit-def: $vgpr2
	s_branch .LBB520_621
.LBB520_613:
	s_mov_b64 s[0:1], -1
                                        ; implicit-def: $vgpr2
	s_branch .LBB520_618
.LBB520_614:
	s_mov_b64 s[0:1], -1
                                        ; implicit-def: $vgpr2
.LBB520_615:
	s_andn2_b64 vcc, exec, s[0:1]
	s_cbranch_vccnz .LBB520_617
; %bb.616:
	global_load_dword v2, v[0:1], off
.LBB520_617:
	s_mov_b64 s[0:1], 0
.LBB520_618:
	s_andn2_b64 vcc, exec, s[0:1]
	s_cbranch_vccnz .LBB520_620
; %bb.619:
	global_load_dword v2, v[0:1], off
	s_waitcnt vmcnt(0)
	v_cvt_f32_f16_e32 v2, v2
.LBB520_620:
	s_mov_b64 s[0:1], 0
.LBB520_621:
	s_andn2_b64 vcc, exec, s[0:1]
	s_cbranch_vccnz .LBB520_632
; %bb.622:
	s_cmp_lt_i32 s38, 6
	s_cbranch_scc1 .LBB520_625
; %bb.623:
	s_cmp_gt_i32 s38, 6
	s_cbranch_scc0 .LBB520_626
; %bb.624:
	global_load_dwordx2 v[2:3], v[0:1], off
	s_mov_b64 s[0:1], 0
	s_waitcnt vmcnt(0)
	v_cvt_f32_f64_e32 v2, v[2:3]
	s_branch .LBB520_627
.LBB520_625:
	s_mov_b64 s[0:1], -1
                                        ; implicit-def: $vgpr2
	s_branch .LBB520_630
.LBB520_626:
	s_mov_b64 s[0:1], -1
                                        ; implicit-def: $vgpr2
.LBB520_627:
	s_andn2_b64 vcc, exec, s[0:1]
	s_cbranch_vccnz .LBB520_629
; %bb.628:
	global_load_dword v2, v[0:1], off
.LBB520_629:
	s_mov_b64 s[0:1], 0
.LBB520_630:
	s_andn2_b64 vcc, exec, s[0:1]
	s_cbranch_vccnz .LBB520_632
; %bb.631:
	global_load_ushort v2, v[0:1], off
	s_waitcnt vmcnt(0)
	v_cvt_f32_f16_e32 v2, v2
.LBB520_632:
	s_mov_b64 s[0:1], 0
.LBB520_633:
	s_andn2_b64 vcc, exec, s[0:1]
	s_cbranch_vccnz .LBB520_653
; %bb.634:
	s_cmp_lt_i32 s38, 2
	s_cbranch_scc1 .LBB520_638
; %bb.635:
	s_cmp_lt_i32 s38, 3
	s_cbranch_scc1 .LBB520_639
; %bb.636:
	s_cmp_gt_i32 s38, 3
	s_cbranch_scc0 .LBB520_640
; %bb.637:
	global_load_dwordx2 v[2:3], v[0:1], off
	s_mov_b64 s[0:1], 0
	s_waitcnt vmcnt(0)
	v_xor_b32_e32 v5, v2, v3
	v_ffbh_i32_e32 v4, v3
	v_ashrrev_i32_e32 v5, 31, v5
	v_add_u32_e32 v4, -1, v4
	v_add_u32_e32 v5, 32, v5
	v_min_u32_e32 v4, v4, v5
	v_lshlrev_b64 v[2:3], v4, v[2:3]
	v_min_u32_e32 v2, 1, v2
	v_or_b32_e32 v2, v3, v2
	v_cvt_f32_i32_e32 v2, v2
	v_sub_u32_e32 v3, 32, v4
	v_ldexp_f32 v2, v2, v3
	s_branch .LBB520_641
.LBB520_638:
	s_mov_b64 s[0:1], -1
                                        ; implicit-def: $vgpr2
	s_branch .LBB520_647
.LBB520_639:
	s_mov_b64 s[0:1], -1
                                        ; implicit-def: $vgpr2
	s_branch .LBB520_644
.LBB520_640:
	s_mov_b64 s[0:1], -1
                                        ; implicit-def: $vgpr2
.LBB520_641:
	s_andn2_b64 vcc, exec, s[0:1]
	s_cbranch_vccnz .LBB520_643
; %bb.642:
	global_load_dword v2, v[0:1], off
	s_waitcnt vmcnt(0)
	v_cvt_f32_i32_e32 v2, v2
.LBB520_643:
	s_mov_b64 s[0:1], 0
.LBB520_644:
	s_andn2_b64 vcc, exec, s[0:1]
	s_cbranch_vccnz .LBB520_646
; %bb.645:
	global_load_sshort v2, v[0:1], off
	s_waitcnt vmcnt(0)
	v_cvt_f32_i32_e32 v2, v2
.LBB520_646:
	s_mov_b64 s[0:1], 0
.LBB520_647:
	s_andn2_b64 vcc, exec, s[0:1]
	s_cbranch_vccnz .LBB520_653
; %bb.648:
	s_cmp_gt_i32 s38, 0
	s_cbranch_scc0 .LBB520_650
; %bb.649:
	global_load_sbyte v2, v[0:1], off
	s_mov_b64 s[0:1], 0
	s_waitcnt vmcnt(0)
	v_cvt_f32_i32_e32 v2, v2
	s_branch .LBB520_651
.LBB520_650:
	s_mov_b64 s[0:1], -1
                                        ; implicit-def: $vgpr2
.LBB520_651:
	s_andn2_b64 vcc, exec, s[0:1]
	s_cbranch_vccnz .LBB520_653
; %bb.652:
	global_load_ubyte v0, v[0:1], off
	s_waitcnt vmcnt(0)
	v_cvt_f32_ubyte0_e32 v2, v0
.LBB520_653:
	s_mov_b64 s[0:1], -1
.LBB520_654:
	s_andn2_b64 vcc, exec, s[0:1]
	s_cbranch_vccnz .LBB520_666
; %bb.655:
	s_waitcnt vmcnt(0)
	v_cmp_o_f32_e32 vcc, v2, v2
	v_mov_b32_e32 v0, s10
	s_and_saveexec_b64 s[0:1], vcc
	s_cbranch_execz .LBB520_659
; %bb.656:
	s_mov_b32 s34, 0x7f800000
	v_cmp_neq_f32_e32 vcc, s34, v2
	v_mov_b32_e32 v0, s11
	s_and_saveexec_b64 s[34:35], vcc
; %bb.657:
	s_mov_b32 s36, 0xff800000
	v_mov_b32_e32 v0, s12
	v_cmp_eq_f32_e32 vcc, s36, v2
	s_nop 1
	v_cndmask_b32_e32 v0, v2, v0, vcc
; %bb.658:
	s_or_b64 exec, exec, s[34:35]
.LBB520_659:
	s_or_b64 exec, exec, s[0:1]
	v_mul_lo_u32 v2, v8, s8
	v_ashrrev_i32_e32 v3, 31, v2
	s_and_b32 s40, s13, 0xff
	s_cmp_lt_i32 s40, 11
	v_lshl_add_u64 v[2:3], s[4:5], 0, v[2:3]
	s_cbranch_scc1 .LBB520_667
; %bb.660:
	s_and_b32 s41, 0xffff, s40
	s_cmp_gt_i32 s41, 25
	s_cbranch_scc0 .LBB520_668
; %bb.661:
	s_cmp_gt_i32 s41, 28
	s_cbranch_scc0 .LBB520_669
; %bb.662:
	;; [unrolled: 3-line block ×4, first 2 shown]
	s_mov_b64 s[36:37], 0
	s_mov_b64 s[0:1], -1
	s_cmp_eq_u32 s41, 46
	s_mov_b64 s[34:35], 0
	s_cbranch_scc0 .LBB520_672
; %bb.665:
	v_bfe_u32 v1, v0, 16, 1
	s_movk_i32 s0, 0x7fff
	v_add3_u32 v1, v0, v1, s0
	v_cmp_o_f32_e32 vcc, v0, v0
	v_mov_b32_e32 v4, 0x7fc0
	s_mov_b64 s[34:35], -1
	v_cndmask_b32_sdwa v1, v4, v1, vcc dst_sel:DWORD dst_unused:UNUSED_PAD src0_sel:DWORD src1_sel:WORD_1
	global_store_dword v[2:3], v1, off
	s_mov_b64 s[0:1], 0
	s_branch .LBB520_672
.LBB520_666:
	s_mov_b64 s[36:37], 0
                                        ; implicit-def: $vgpr8
	s_mov_b64 s[0:1], s[24:25]
	s_branch .LBB520_783
.LBB520_667:
	s_mov_b64 s[36:37], -1
	s_mov_b64 s[34:35], 0
	s_mov_b64 s[0:1], s[24:25]
	s_branch .LBB520_741
.LBB520_668:
	s_mov_b64 s[36:37], -1
	s_mov_b64 s[34:35], 0
	s_mov_b64 s[0:1], s[24:25]
	s_branch .LBB520_699
.LBB520_669:
	s_mov_b64 s[36:37], -1
	s_mov_b64 s[34:35], 0
	s_mov_b64 s[0:1], s[24:25]
	s_branch .LBB520_682
.LBB520_670:
	s_mov_b64 s[36:37], -1
	s_mov_b64 s[34:35], 0
	s_mov_b64 s[0:1], s[24:25]
	s_branch .LBB520_678
.LBB520_671:
	s_mov_b64 s[36:37], -1
	s_mov_b64 s[34:35], 0
	s_mov_b64 s[0:1], s[24:25]
.LBB520_672:
	s_and_b64 vcc, exec, s[36:37]
	s_cbranch_vccz .LBB520_677
; %bb.673:
	s_cmp_eq_u32 s41, 44
	s_mov_b64 s[0:1], -1
	s_cbranch_scc0 .LBB520_677
; %bb.674:
	v_bfe_u32 v1, v0, 23, 8
	s_movk_i32 s0, 0xff
	v_cmp_ne_u32_e32 vcc, s0, v1
	v_mov_b32_e32 v4, 0xff
	s_and_saveexec_b64 s[34:35], vcc
; %bb.675:
	s_mov_b32 s0, 0x3fffff
	v_and_b32_e32 v5, 0x400000, v0
	v_and_or_b32 v1, v0, s0, v1
	v_cmp_ne_u32_e32 vcc, 0, v5
	v_cmp_ne_u32_e64 s[0:1], 0, v1
	s_and_b64 s[0:1], vcc, s[0:1]
	v_lshrrev_b32_e32 v4, 23, v0
	v_cndmask_b32_e64 v1, 0, 1, s[0:1]
	v_add_u32_e32 v4, v4, v1
; %bb.676:
	s_or_b64 exec, exec, s[34:35]
	s_mov_b64 s[34:35], -1
	s_mov_b64 s[0:1], 0
	global_store_byte v[2:3], v4, off
.LBB520_677:
	s_mov_b64 s[36:37], 0
.LBB520_678:
	s_and_b64 vcc, exec, s[36:37]
	s_cbranch_vccz .LBB520_681
; %bb.679:
	s_cmp_eq_u32 s41, 29
	s_mov_b64 s[0:1], -1
	s_cbranch_scc0 .LBB520_681
; %bb.680:
	v_trunc_f32_e32 v1, v0
	v_mul_f32_e32 v4, 0x2f800000, v1
	v_floor_f32_e32 v4, v4
	v_fmamk_f32 v1, v4, 0xcf800000, v1
	v_cvt_u32_f32_e32 v5, v4
	v_cvt_u32_f32_e32 v4, v1
	s_mov_b64 s[34:35], -1
	s_mov_b64 s[0:1], 0
	s_mov_b64 s[36:37], 0
	global_store_dwordx2 v[2:3], v[4:5], off
	s_branch .LBB520_682
.LBB520_681:
	s_mov_b64 s[36:37], 0
.LBB520_682:
	s_and_b64 vcc, exec, s[36:37]
	s_cbranch_vccz .LBB520_698
; %bb.683:
	s_cmp_lt_i32 s41, 27
	s_mov_b64 s[34:35], -1
	s_cbranch_scc1 .LBB520_689
; %bb.684:
	v_cvt_u32_f32_e32 v1, v0
	s_cmp_gt_i32 s41, 27
	s_cbranch_scc0 .LBB520_686
; %bb.685:
	s_mov_b64 s[34:35], 0
	global_store_dword v[2:3], v1, off
.LBB520_686:
	s_andn2_b64 vcc, exec, s[34:35]
	s_cbranch_vccnz .LBB520_688
; %bb.687:
	global_store_short v[2:3], v1, off
.LBB520_688:
	s_mov_b64 s[34:35], 0
.LBB520_689:
	s_andn2_b64 vcc, exec, s[34:35]
	s_cbranch_vccnz .LBB520_697
; %bb.690:
	v_and_b32_e32 v1, 0x7fffffff, v0
	s_mov_b32 s34, 0x43800000
	v_cmp_gt_u32_e32 vcc, s34, v1
	v_mov_b32_e32 v4, 0x80
	s_and_saveexec_b64 s[34:35], vcc
	s_cbranch_execz .LBB520_696
; %bb.691:
	s_mov_b32 s36, 0x3bffffff
	v_cmp_lt_u32_e32 vcc, s36, v1
	s_mov_b64 s[36:37], 0
                                        ; implicit-def: $vgpr1
	s_and_saveexec_b64 s[38:39], vcc
	s_xor_b64 s[38:39], exec, s[38:39]
	s_cbranch_execz .LBB520_797
; %bb.692:
	v_bfe_u32 v1, v0, 20, 1
	s_mov_b32 s43, 0x487ffff
	v_add3_u32 v1, v0, v1, s43
	s_mov_b64 s[36:37], exec
	v_lshrrev_b32_e32 v1, 20, v1
	s_andn2_saveexec_b64 s[38:39], s[38:39]
	s_cbranch_execnz .LBB520_798
.LBB520_693:
	s_or_b64 exec, exec, s[38:39]
	v_mov_b32_e32 v4, 0
	s_and_saveexec_b64 s[38:39], s[36:37]
.LBB520_694:
	v_lshrrev_b32_e32 v4, 24, v0
	s_movk_i32 s36, 0x80
	v_and_or_b32 v4, v4, s36, v1
.LBB520_695:
	s_or_b64 exec, exec, s[38:39]
.LBB520_696:
	s_or_b64 exec, exec, s[34:35]
	global_store_byte v[2:3], v4, off
.LBB520_697:
	s_mov_b64 s[34:35], -1
.LBB520_698:
	s_mov_b64 s[36:37], 0
.LBB520_699:
	s_and_b64 vcc, exec, s[36:37]
	s_cbranch_vccz .LBB520_740
; %bb.700:
	s_cmp_gt_i32 s41, 22
	s_mov_b64 s[36:37], -1
	s_cbranch_scc0 .LBB520_732
; %bb.701:
	s_cmp_lt_i32 s41, 24
	s_mov_b64 s[34:35], -1
	s_cbranch_scc1 .LBB520_721
; %bb.702:
	s_cmp_gt_i32 s41, 24
	s_cbranch_scc0 .LBB520_710
; %bb.703:
	v_and_b32_e32 v1, 0x7fffffff, v0
	s_mov_b32 s34, 0x47800000
	v_cmp_gt_u32_e32 vcc, s34, v1
	v_mov_b32_e32 v4, 0x80
	s_and_saveexec_b64 s[34:35], vcc
	s_cbranch_execz .LBB520_709
; %bb.704:
	s_mov_b32 s36, 0x37ffffff
	v_cmp_lt_u32_e32 vcc, s36, v1
	s_mov_b64 s[36:37], 0
                                        ; implicit-def: $vgpr1
	s_and_saveexec_b64 s[38:39], vcc
	s_xor_b64 s[38:39], exec, s[38:39]
	s_cbranch_execz .LBB520_800
; %bb.705:
	v_bfe_u32 v1, v0, 21, 1
	s_mov_b32 s43, 0x88fffff
	v_add3_u32 v1, v0, v1, s43
	s_mov_b64 s[36:37], exec
	v_lshrrev_b32_e32 v1, 21, v1
	s_andn2_saveexec_b64 s[38:39], s[38:39]
	s_cbranch_execnz .LBB520_801
.LBB520_706:
	s_or_b64 exec, exec, s[38:39]
	v_mov_b32_e32 v4, 0
	s_and_saveexec_b64 s[38:39], s[36:37]
.LBB520_707:
	v_lshrrev_b32_e32 v4, 24, v0
	s_movk_i32 s36, 0x80
	v_and_or_b32 v4, v4, s36, v1
.LBB520_708:
	s_or_b64 exec, exec, s[38:39]
.LBB520_709:
	s_or_b64 exec, exec, s[34:35]
	s_mov_b64 s[34:35], 0
	global_store_byte v[2:3], v4, off
.LBB520_710:
	s_and_b64 vcc, exec, s[34:35]
	s_cbranch_vccz .LBB520_720
; %bb.711:
	v_and_b32_e32 v4, 0x7fffffff, v0
	s_mov_b32 s34, 0x43f00000
	v_cmp_gt_u32_e32 vcc, s34, v4
                                        ; implicit-def: $vgpr1
	s_and_saveexec_b64 s[34:35], vcc
	s_xor_b64 s[34:35], exec, s[34:35]
	s_cbranch_execz .LBB520_717
; %bb.712:
	s_mov_b32 s36, 0x3c7fffff
	v_cmp_lt_u32_e32 vcc, s36, v4
                                        ; implicit-def: $vgpr1
	s_and_saveexec_b64 s[36:37], vcc
	s_xor_b64 s[36:37], exec, s[36:37]
; %bb.713:
	v_bfe_u32 v1, v0, 20, 1
	s_mov_b32 s38, 0x407ffff
	v_add3_u32 v1, v0, v1, s38
	v_lshrrev_b32_e32 v4, 20, v1
	v_and_b32_e32 v1, 0xff00000, v1
	s_mov_b32 s38, 0x7f00000
	v_mov_b32_e32 v5, 0x7e
	v_cmp_ne_u32_e32 vcc, s38, v1
	s_nop 1
	v_cndmask_b32_e32 v1, v5, v4, vcc
; %bb.714:
	s_andn2_saveexec_b64 s[36:37], s[36:37]
; %bb.715:
	s_mov_b32 s38, 0x46800000
	v_add_f32_e64 v1, |v0|, s38
; %bb.716:
	s_or_b64 exec, exec, s[36:37]
                                        ; implicit-def: $vgpr4
.LBB520_717:
	s_andn2_saveexec_b64 s[34:35], s[34:35]
; %bb.718:
	s_mov_b32 s36, 0x7f800000
	v_mov_b32_e32 v1, 0x7e
	v_mov_b32_e32 v5, 0x7f
	v_cmp_lt_u32_e32 vcc, s36, v4
	s_nop 1
	v_cndmask_b32_e32 v1, v1, v5, vcc
; %bb.719:
	s_or_b64 exec, exec, s[34:35]
	v_lshrrev_b32_e32 v4, 24, v0
	s_movk_i32 s34, 0x80
	v_and_or_b32 v1, v4, s34, v1
	global_store_byte v[2:3], v1, off
.LBB520_720:
	s_mov_b64 s[34:35], 0
.LBB520_721:
	s_andn2_b64 vcc, exec, s[34:35]
	s_cbranch_vccnz .LBB520_731
; %bb.722:
	v_and_b32_e32 v4, 0x7fffffff, v0
	s_mov_b32 s34, 0x47800000
	v_cmp_gt_u32_e32 vcc, s34, v4
                                        ; implicit-def: $vgpr1
	s_and_saveexec_b64 s[34:35], vcc
	s_xor_b64 s[34:35], exec, s[34:35]
	s_cbranch_execz .LBB520_728
; %bb.723:
	s_mov_b32 s36, 0x387fffff
	v_cmp_lt_u32_e32 vcc, s36, v4
                                        ; implicit-def: $vgpr1
	s_and_saveexec_b64 s[36:37], vcc
	s_xor_b64 s[36:37], exec, s[36:37]
; %bb.724:
	v_bfe_u32 v1, v0, 21, 1
	s_mov_b32 s38, 0x80fffff
	v_add3_u32 v1, v0, v1, s38
	v_lshrrev_b32_e32 v1, 21, v1
; %bb.725:
	s_andn2_saveexec_b64 s[36:37], s[36:37]
; %bb.726:
	s_mov_b32 s38, 0x43000000
	v_add_f32_e64 v1, |v0|, s38
; %bb.727:
	s_or_b64 exec, exec, s[36:37]
                                        ; implicit-def: $vgpr4
.LBB520_728:
	s_andn2_saveexec_b64 s[34:35], s[34:35]
; %bb.729:
	s_mov_b32 s36, 0x7f800000
	v_mov_b32_e32 v1, 0x7c
	v_mov_b32_e32 v5, 0x7f
	v_cmp_lt_u32_e32 vcc, s36, v4
	s_nop 1
	v_cndmask_b32_e32 v1, v1, v5, vcc
; %bb.730:
	s_or_b64 exec, exec, s[34:35]
	v_lshrrev_b32_e32 v4, 24, v0
	s_movk_i32 s34, 0x80
	v_and_or_b32 v1, v4, s34, v1
	global_store_byte v[2:3], v1, off
.LBB520_731:
	s_mov_b64 s[36:37], 0
	s_mov_b64 s[34:35], -1
.LBB520_732:
	s_andn2_b64 vcc, exec, s[36:37]
	s_cbranch_vccnz .LBB520_740
; %bb.733:
	s_cmp_gt_i32 s41, 14
	s_mov_b64 s[36:37], -1
	s_cbranch_scc0 .LBB520_737
; %bb.734:
	s_cmp_eq_u32 s41, 15
	s_mov_b64 s[0:1], -1
	s_cbranch_scc0 .LBB520_736
; %bb.735:
	v_bfe_u32 v1, v0, 16, 1
	s_movk_i32 s0, 0x7fff
	v_add3_u32 v1, v0, v1, s0
	v_cmp_o_f32_e32 vcc, v0, v0
	v_mov_b32_e32 v4, 0x7fc0
	s_mov_b64 s[34:35], -1
	v_cndmask_b32_sdwa v1, v4, v1, vcc dst_sel:DWORD dst_unused:UNUSED_PAD src0_sel:DWORD src1_sel:WORD_1
	global_store_short v[2:3], v1, off
	s_mov_b64 s[0:1], 0
.LBB520_736:
	s_mov_b64 s[36:37], 0
.LBB520_737:
	s_and_b64 vcc, exec, s[36:37]
	s_cbranch_vccz .LBB520_740
; %bb.738:
	s_cmp_eq_u32 s41, 11
	s_mov_b64 s[0:1], -1
	s_cbranch_scc0 .LBB520_740
; %bb.739:
	v_cmp_neq_f32_e32 vcc, 0, v0
	s_mov_b64 s[34:35], -1
	s_mov_b64 s[0:1], 0
	v_cndmask_b32_e64 v1, 0, 1, vcc
	global_store_byte v[2:3], v1, off
.LBB520_740:
	s_mov_b64 s[36:37], 0
.LBB520_741:
	s_and_b64 vcc, exec, s[36:37]
	s_cbranch_vccz .LBB520_780
; %bb.742:
	s_and_b32 s36, 0xffff, s40
	s_cmp_lt_i32 s36, 5
	s_mov_b64 s[34:35], -1
	s_cbranch_scc1 .LBB520_763
; %bb.743:
	s_cmp_lt_i32 s36, 8
	s_cbranch_scc1 .LBB520_753
; %bb.744:
	s_cmp_lt_i32 s36, 9
	s_cbranch_scc1 .LBB520_750
; %bb.745:
	s_cmp_gt_i32 s36, 9
	s_cbranch_scc0 .LBB520_747
; %bb.746:
	v_mov_b32_e32 v6, 0
	v_cvt_f64_f32_e32 v[4:5], v0
	v_mov_b32_e32 v7, v6
	s_mov_b64 s[34:35], 0
	global_store_dwordx4 v[2:3], v[4:7], off
.LBB520_747:
	s_andn2_b64 vcc, exec, s[34:35]
	s_cbranch_vccnz .LBB520_749
; %bb.748:
	v_mov_b32_e32 v1, 0
	global_store_dwordx2 v[2:3], v[0:1], off
.LBB520_749:
	s_mov_b64 s[34:35], 0
.LBB520_750:
	s_andn2_b64 vcc, exec, s[34:35]
	s_cbranch_vccnz .LBB520_752
; %bb.751:
	v_cvt_f16_f32_e32 v1, v0
	global_store_dword v[2:3], v1, off
.LBB520_752:
	s_mov_b64 s[34:35], 0
.LBB520_753:
	s_andn2_b64 vcc, exec, s[34:35]
	s_cbranch_vccnz .LBB520_762
; %bb.754:
	s_cmp_lt_i32 s36, 6
	s_mov_b64 s[34:35], -1
	s_cbranch_scc1 .LBB520_760
; %bb.755:
	s_cmp_gt_i32 s36, 6
	s_cbranch_scc0 .LBB520_757
; %bb.756:
	v_cvt_f64_f32_e32 v[4:5], v0
	s_mov_b64 s[34:35], 0
	global_store_dwordx2 v[2:3], v[4:5], off
.LBB520_757:
	s_andn2_b64 vcc, exec, s[34:35]
	s_cbranch_vccnz .LBB520_759
; %bb.758:
	global_store_dword v[2:3], v0, off
.LBB520_759:
	s_mov_b64 s[34:35], 0
.LBB520_760:
	s_andn2_b64 vcc, exec, s[34:35]
	s_cbranch_vccnz .LBB520_762
; %bb.761:
	v_cvt_f16_f32_e32 v1, v0
	global_store_short v[2:3], v1, off
.LBB520_762:
	s_mov_b64 s[34:35], 0
.LBB520_763:
	s_andn2_b64 vcc, exec, s[34:35]
	s_cbranch_vccnz .LBB520_779
; %bb.764:
	s_cmp_lt_i32 s36, 2
	s_mov_b64 s[34:35], -1
	s_cbranch_scc1 .LBB520_774
; %bb.765:
	s_cmp_lt_i32 s36, 3
	s_cbranch_scc1 .LBB520_771
; %bb.766:
	s_cmp_gt_i32 s36, 3
	s_cbranch_scc0 .LBB520_768
; %bb.767:
	v_trunc_f32_e32 v1, v0
	s_mov_b32 s34, 0x2f800000
	v_mul_f32_e64 v4, |v1|, s34
	v_floor_f32_e32 v4, v4
	s_mov_b32 s34, 0xcf800000
	v_cvt_u32_f32_e32 v5, v4
	v_fma_f32 v4, v4, s34, |v1|
	v_cvt_u32_f32_e32 v4, v4
	v_ashrrev_i32_e32 v1, 31, v1
	v_xor_b32_e32 v5, v5, v1
	s_mov_b64 s[34:35], 0
	v_xor_b32_e32 v4, v4, v1
	v_sub_co_u32_e32 v4, vcc, v4, v1
	s_nop 1
	v_subb_co_u32_e32 v5, vcc, v5, v1, vcc
	global_store_dwordx2 v[2:3], v[4:5], off
.LBB520_768:
	s_andn2_b64 vcc, exec, s[34:35]
	s_cbranch_vccnz .LBB520_770
; %bb.769:
	v_cvt_i32_f32_e32 v1, v0
	global_store_dword v[2:3], v1, off
.LBB520_770:
	s_mov_b64 s[34:35], 0
.LBB520_771:
	s_andn2_b64 vcc, exec, s[34:35]
	s_cbranch_vccnz .LBB520_773
; %bb.772:
	v_cvt_i32_f32_e32 v1, v0
	global_store_short v[2:3], v1, off
.LBB520_773:
	s_mov_b64 s[34:35], 0
.LBB520_774:
	s_andn2_b64 vcc, exec, s[34:35]
	s_cbranch_vccnz .LBB520_779
; %bb.775:
	s_cmp_gt_i32 s36, 0
	s_mov_b64 s[34:35], -1
	s_cbranch_scc0 .LBB520_777
; %bb.776:
	v_cvt_i32_f32_e32 v1, v0
	s_mov_b64 s[34:35], 0
	global_store_byte v[2:3], v1, off
.LBB520_777:
	s_andn2_b64 vcc, exec, s[34:35]
	s_cbranch_vccnz .LBB520_779
; %bb.778:
	v_trunc_f32_e32 v0, v0
	s_mov_b32 s34, 0x2f800000
	v_mul_f32_e64 v1, |v0|, s34
	v_floor_f32_e32 v1, v1
	s_mov_b32 s34, 0xcf800000
	v_fma_f32 v1, v1, s34, |v0|
	v_cvt_u32_f32_e32 v1, v1
	v_ashrrev_i32_e32 v0, 31, v0
	v_xor_b32_e32 v1, v1, v0
	v_sub_u32_e32 v0, v1, v0
	global_store_byte v[2:3], v0, off
.LBB520_779:
	s_mov_b64 s[34:35], -1
.LBB520_780:
	s_andn2_b64 vcc, exec, s[34:35]
	s_cbranch_vccnz .LBB520_782
; %bb.781:
	v_add_u32_e32 v8, 0x80, v8
	s_mov_b64 s[36:37], -1
	s_branch .LBB520_783
.LBB520_782:
	s_mov_b64 s[36:37], 0
                                        ; implicit-def: $vgpr8
.LBB520_783:
	s_andn2_b64 s[34:35], s[24:25], exec
	s_and_b64 s[0:1], s[0:1], exec
	s_or_b64 s[34:35], s[34:35], s[0:1]
	s_andn2_b64 s[0:1], s[22:23], exec
	s_and_b64 s[30:31], s[30:31], exec
	s_or_b64 s[0:1], s[0:1], s[30:31]
	s_orn2_b64 s[38:39], s[36:37], exec
.LBB520_784:
	s_or_b64 exec, exec, s[28:29]
	s_mov_b64 s[36:37], 0
	s_mov_b64 s[30:31], 0
	;; [unrolled: 1-line block ×3, first 2 shown]
                                        ; implicit-def: $vgpr0_vgpr1
                                        ; implicit-def: $vgpr4
	s_and_saveexec_b64 s[28:29], s[38:39]
	s_cbranch_execz .LBB520_869
; %bb.785:
	v_cmp_gt_i32_e32 vcc, s42, v8
	s_mov_b64 s[38:39], 0
	s_mov_b64 s[42:43], s[0:1]
	;; [unrolled: 1-line block ×3, first 2 shown]
                                        ; implicit-def: $vgpr0_vgpr1
                                        ; implicit-def: $vgpr4
	s_and_saveexec_b64 s[30:31], vcc
	s_cbranch_execz .LBB520_868
; %bb.786:
	v_mul_lo_u32 v0, v8, s9
	v_ashrrev_i32_e32 v1, 31, v0
	s_and_b32 s46, 0xffff, s33
	s_cmp_lt_i32 s46, 11
	v_lshl_add_u64 v[0:1], s[6:7], 0, v[0:1]
	s_cbranch_scc1 .LBB520_793
; %bb.787:
	s_cmp_gt_i32 s46, 25
	s_cbranch_scc0 .LBB520_794
; %bb.788:
	s_cmp_gt_i32 s46, 28
	s_cbranch_scc0 .LBB520_795
	;; [unrolled: 3-line block ×4, first 2 shown]
; %bb.791:
	s_cmp_eq_u32 s46, 46
	s_mov_b64 s[42:43], 0
	s_cbranch_scc0 .LBB520_802
; %bb.792:
	global_load_dword v2, v[0:1], off
	s_mov_b64 s[40:41], -1
	s_waitcnt vmcnt(0)
	v_lshlrev_b32_e32 v4, 16, v2
	s_branch .LBB520_804
.LBB520_793:
	s_mov_b64 s[42:43], -1
                                        ; implicit-def: $vgpr4
	s_mov_b64 s[36:37], s[0:1]
	s_branch .LBB520_867
.LBB520_794:
	s_mov_b64 s[42:43], -1
	s_mov_b64 s[36:37], s[0:1]
                                        ; implicit-def: $vgpr4
	s_branch .LBB520_833
.LBB520_795:
	s_mov_b64 s[42:43], -1
	s_mov_b64 s[36:37], s[0:1]
                                        ; implicit-def: $vgpr4
	s_branch .LBB520_814
.LBB520_796:
	s_mov_b64 s[42:43], -1
	s_mov_b64 s[36:37], s[0:1]
                                        ; implicit-def: $vgpr4
	s_branch .LBB520_809
.LBB520_797:
	s_andn2_saveexec_b64 s[38:39], s[38:39]
	s_cbranch_execz .LBB520_693
.LBB520_798:
	s_mov_b32 s43, 0x46000000
	v_add_f32_e64 v1, |v0|, s43
	v_and_b32_e32 v1, 0xff, v1
	v_cmp_ne_u32_e32 vcc, 0, v1
	s_andn2_b64 s[36:37], s[36:37], exec
	s_and_b64 s[44:45], vcc, exec
	s_or_b64 s[36:37], s[36:37], s[44:45]
	s_or_b64 exec, exec, s[38:39]
	v_mov_b32_e32 v4, 0
	s_and_saveexec_b64 s[38:39], s[36:37]
	s_cbranch_execnz .LBB520_694
	s_branch .LBB520_695
.LBB520_799:
	s_mov_b64 s[42:43], -1
	s_mov_b64 s[36:37], s[0:1]
	s_branch .LBB520_803
.LBB520_800:
	s_andn2_saveexec_b64 s[38:39], s[38:39]
	s_cbranch_execz .LBB520_706
.LBB520_801:
	s_mov_b32 s43, 0x42800000
	v_add_f32_e64 v1, |v0|, s43
	v_and_b32_e32 v1, 0xff, v1
	v_cmp_ne_u32_e32 vcc, 0, v1
	s_andn2_b64 s[36:37], s[36:37], exec
	s_and_b64 s[44:45], vcc, exec
	s_or_b64 s[36:37], s[36:37], s[44:45]
	s_or_b64 exec, exec, s[38:39]
	v_mov_b32_e32 v4, 0
	s_and_saveexec_b64 s[38:39], s[36:37]
	s_cbranch_execnz .LBB520_707
	s_branch .LBB520_708
.LBB520_802:
	s_mov_b64 s[36:37], -1
.LBB520_803:
                                        ; implicit-def: $vgpr4
.LBB520_804:
	s_and_b64 vcc, exec, s[42:43]
	s_cbranch_vccz .LBB520_808
; %bb.805:
	s_cmp_eq_u32 s46, 44
	s_cbranch_scc0 .LBB520_807
; %bb.806:
	global_load_ubyte v2, v[0:1], off
	s_movk_i32 s40, 0xff
	v_mov_b32_e32 v3, 0x7f800001
	v_mov_b32_e32 v4, 0x400000
	s_mov_b64 s[36:37], 0
	s_waitcnt vmcnt(0)
	v_lshlrev_b32_e32 v5, 23, v2
	v_cmp_ne_u32_e32 vcc, s40, v2
	s_mov_b64 s[40:41], -1
	s_nop 0
	v_cndmask_b32_e32 v3, v3, v5, vcc
	v_cmp_ne_u32_e32 vcc, 0, v2
	s_nop 1
	v_cndmask_b32_e32 v4, v4, v3, vcc
	s_branch .LBB520_808
.LBB520_807:
	s_mov_b64 s[36:37], -1
                                        ; implicit-def: $vgpr4
.LBB520_808:
	s_mov_b64 s[42:43], 0
.LBB520_809:
	s_and_b64 vcc, exec, s[42:43]
	s_cbranch_vccz .LBB520_813
; %bb.810:
	s_cmp_eq_u32 s46, 29
	s_cbranch_scc0 .LBB520_812
; %bb.811:
	global_load_dwordx2 v[2:3], v[0:1], off
	s_mov_b64 s[36:37], 0
	s_mov_b64 s[40:41], -1
	s_mov_b64 s[42:43], 0
	s_waitcnt vmcnt(0)
	v_ffbh_u32_e32 v4, v3
	v_min_u32_e32 v4, 32, v4
	v_lshlrev_b64 v[2:3], v4, v[2:3]
	v_min_u32_e32 v2, 1, v2
	v_or_b32_e32 v2, v3, v2
	v_cvt_f32_u32_e32 v2, v2
	v_sub_u32_e32 v3, 32, v4
	v_ldexp_f32 v4, v2, v3
	s_branch .LBB520_814
.LBB520_812:
	s_mov_b64 s[36:37], -1
                                        ; implicit-def: $vgpr4
.LBB520_813:
	s_mov_b64 s[42:43], 0
.LBB520_814:
	s_and_b64 vcc, exec, s[42:43]
	s_cbranch_vccz .LBB520_832
; %bb.815:
	s_cmp_lt_i32 s46, 27
	s_cbranch_scc1 .LBB520_818
; %bb.816:
	s_cmp_gt_i32 s46, 27
	s_cbranch_scc0 .LBB520_819
; %bb.817:
	global_load_dword v2, v[0:1], off
	s_mov_b64 s[40:41], 0
	s_waitcnt vmcnt(0)
	v_cvt_f32_u32_e32 v4, v2
	s_branch .LBB520_820
.LBB520_818:
	s_mov_b64 s[40:41], -1
                                        ; implicit-def: $vgpr4
	s_branch .LBB520_823
.LBB520_819:
	s_mov_b64 s[40:41], -1
                                        ; implicit-def: $vgpr4
.LBB520_820:
	s_andn2_b64 vcc, exec, s[40:41]
	s_cbranch_vccnz .LBB520_822
; %bb.821:
	global_load_ushort v2, v[0:1], off
	s_waitcnt vmcnt(0)
	v_cvt_f32_u32_e32 v4, v2
.LBB520_822:
	s_mov_b64 s[40:41], 0
.LBB520_823:
	s_andn2_b64 vcc, exec, s[40:41]
	s_cbranch_vccnz .LBB520_831
; %bb.824:
	global_load_ubyte v2, v[0:1], off
	s_movk_i32 s40, 0x7f
	s_waitcnt vmcnt(0)
	v_cmp_lt_i16_e32 vcc, s40, v2
	s_mov_b64 s[40:41], 0
	s_and_saveexec_b64 s[42:43], vcc
	s_xor_b64 s[42:43], exec, s[42:43]
	s_cbranch_execz .LBB520_845
; %bb.825:
	s_movk_i32 s40, 0x80
	v_cmp_eq_u16_e32 vcc, s40, v2
	s_mov_b64 s[40:41], -1
	s_and_saveexec_b64 s[44:45], vcc
; %bb.826:
	s_xor_b64 s[40:41], exec, -1
; %bb.827:
	s_or_b64 exec, exec, s[44:45]
	s_and_b64 s[40:41], s[40:41], exec
	s_or_saveexec_b64 s[42:43], s[42:43]
	v_mov_b32_e32 v4, 0x7f800001
	s_xor_b64 exec, exec, s[42:43]
	s_cbranch_execnz .LBB520_846
.LBB520_828:
	s_or_b64 exec, exec, s[42:43]
	s_and_saveexec_b64 s[42:43], s[40:41]
	s_cbranch_execz .LBB520_830
.LBB520_829:
	v_lshlrev_b32_e32 v3, 24, v2
	v_and_b32_e32 v2, 0xffff, v2
	v_and_b32_e32 v4, 7, v2
	v_ffbh_u32_e32 v6, v4
	v_min_u32_e32 v6, 32, v6
	v_subrev_u32_e32 v7, 28, v6
	v_bfe_u32 v5, v2, 3, 4
	v_lshlrev_b32_e32 v2, v7, v2
	v_sub_u32_e32 v6, 29, v6
	v_and_b32_e32 v2, 7, v2
	v_cmp_eq_u32_e32 vcc, 0, v5
	v_and_b32_e32 v3, 0x80000000, v3
	s_nop 0
	v_cndmask_b32_e32 v5, v5, v6, vcc
	v_cndmask_b32_e32 v2, v4, v2, vcc
	v_mov_b32_e32 v4, 0x3b800000
	v_lshlrev_b32_e32 v2, 20, v2
	v_lshl_add_u32 v4, v5, 23, v4
	v_or3_b32 v4, v3, v4, v2
.LBB520_830:
	s_or_b64 exec, exec, s[42:43]
.LBB520_831:
	s_mov_b64 s[40:41], -1
.LBB520_832:
	s_mov_b64 s[42:43], 0
.LBB520_833:
	s_and_b64 vcc, exec, s[42:43]
	s_cbranch_vccz .LBB520_866
; %bb.834:
	s_cmp_gt_i32 s46, 22
	s_cbranch_scc0 .LBB520_844
; %bb.835:
	s_cmp_lt_i32 s46, 24
	s_cbranch_scc1 .LBB520_847
; %bb.836:
	s_cmp_gt_i32 s46, 24
	s_cbranch_scc0 .LBB520_848
; %bb.837:
	global_load_ubyte v2, v[0:1], off
	s_movk_i32 s38, 0x7f
	s_waitcnt vmcnt(0)
	v_cmp_lt_i16_e32 vcc, s38, v2
	s_mov_b64 s[38:39], 0
	s_and_saveexec_b64 s[40:41], vcc
	s_xor_b64 s[40:41], exec, s[40:41]
	s_cbranch_execz .LBB520_860
; %bb.838:
	s_movk_i32 s38, 0x80
	v_cmp_eq_u16_e32 vcc, s38, v2
	s_mov_b64 s[38:39], -1
	s_and_saveexec_b64 s[42:43], vcc
; %bb.839:
	s_xor_b64 s[38:39], exec, -1
; %bb.840:
	s_or_b64 exec, exec, s[42:43]
	s_and_b64 s[38:39], s[38:39], exec
	s_or_saveexec_b64 s[40:41], s[40:41]
	v_mov_b32_e32 v4, 0x7f800001
	s_xor_b64 exec, exec, s[40:41]
	s_cbranch_execnz .LBB520_861
.LBB520_841:
	s_or_b64 exec, exec, s[40:41]
	s_and_saveexec_b64 s[40:41], s[38:39]
	s_cbranch_execz .LBB520_843
.LBB520_842:
	v_lshlrev_b32_e32 v3, 24, v2
	v_and_b32_e32 v2, 0xffff, v2
	v_and_b32_e32 v4, 3, v2
	v_ffbh_u32_e32 v6, v4
	v_min_u32_e32 v6, 32, v6
	v_subrev_u32_e32 v7, 29, v6
	v_bfe_u32 v5, v2, 2, 5
	v_lshlrev_b32_e32 v2, v7, v2
	v_sub_u32_e32 v6, 30, v6
	v_and_b32_e32 v2, 3, v2
	v_cmp_eq_u32_e32 vcc, 0, v5
	v_and_b32_e32 v3, 0x80000000, v3
	s_nop 0
	v_cndmask_b32_e32 v5, v5, v6, vcc
	v_cndmask_b32_e32 v2, v4, v2, vcc
	v_mov_b32_e32 v4, 0x37800000
	v_lshlrev_b32_e32 v2, 21, v2
	v_lshl_add_u32 v4, v5, 23, v4
	v_or3_b32 v4, v3, v4, v2
.LBB520_843:
	s_or_b64 exec, exec, s[40:41]
	s_mov_b64 s[38:39], 0
	s_branch .LBB520_849
.LBB520_844:
	s_mov_b64 s[38:39], -1
                                        ; implicit-def: $vgpr4
	s_branch .LBB520_855
.LBB520_845:
	s_or_saveexec_b64 s[42:43], s[42:43]
	v_mov_b32_e32 v4, 0x7f800001
	s_xor_b64 exec, exec, s[42:43]
	s_cbranch_execz .LBB520_828
.LBB520_846:
	v_cmp_ne_u16_e32 vcc, 0, v2
	s_andn2_b64 s[40:41], s[40:41], exec
	s_and_b64 s[44:45], vcc, exec
	v_mov_b32_e32 v4, 0
	s_or_b64 s[40:41], s[40:41], s[44:45]
	s_or_b64 exec, exec, s[42:43]
	s_and_saveexec_b64 s[42:43], s[40:41]
	s_cbranch_execnz .LBB520_829
	s_branch .LBB520_830
.LBB520_847:
	s_mov_b64 s[38:39], -1
                                        ; implicit-def: $vgpr4
	s_branch .LBB520_852
.LBB520_848:
	s_mov_b64 s[38:39], -1
                                        ; implicit-def: $vgpr4
.LBB520_849:
	s_and_b64 vcc, exec, s[38:39]
	s_cbranch_vccz .LBB520_851
; %bb.850:
	global_load_ubyte v2, v[0:1], off
	s_mov_b32 s38, 0x7f800000
	s_waitcnt vmcnt(0)
	v_lshlrev_b32_e32 v2, 24, v2
	v_and_b32_e32 v3, 0x7f000000, v2
	v_ffbh_u32_e32 v4, v3
	v_min_u32_e32 v4, 32, v4
	v_sub_u32_e64 v4, v4, 4 clamp
	v_lshlrev_b32_e32 v6, v4, v3
	v_lshlrev_b32_e32 v4, 23, v4
	v_lshrrev_b32_e32 v6, 4, v6
	v_add_u32_e32 v5, 0x1000000, v3
	v_sub_u32_e32 v4, v6, v4
	v_ashrrev_i32_e32 v5, 8, v5
	v_add_u32_e32 v4, 0x3c000000, v4
	v_and_or_b32 v4, v5, s38, v4
	v_cmp_ne_u32_e32 vcc, 0, v3
	s_brev_b32 s38, 1
	s_nop 0
	v_cndmask_b32_e32 v3, 0, v4, vcc
	v_and_or_b32 v4, v2, s38, v3
.LBB520_851:
	s_mov_b64 s[38:39], 0
.LBB520_852:
	s_andn2_b64 vcc, exec, s[38:39]
	s_cbranch_vccnz .LBB520_854
; %bb.853:
	global_load_ubyte v2, v[0:1], off
	s_movk_i32 s38, 0x7f00
	s_brev_b32 s39, 16
	s_waitcnt vmcnt(0)
	v_lshlrev_b16_e32 v3, 8, v2
	v_lshlrev_b32_e32 v2, 25, v2
	v_lshrrev_b32_e32 v4, 4, v2
	v_and_or_b32 v5, v3, s38, 0.5
	v_or_b32_e32 v4, 0x70000000, v4
	v_add_f32_e32 v5, -0.5, v5
	v_mul_f32_e32 v4, 0x7800000, v4
	v_cmp_gt_u32_e32 vcc, s39, v2
	v_bfe_i32 v3, v3, 0, 16
	s_brev_b32 s38, 1
	v_cndmask_b32_e32 v2, v4, v5, vcc
	v_and_or_b32 v4, v3, s38, v2
.LBB520_854:
	s_mov_b64 s[38:39], 0
	s_mov_b64 s[40:41], -1
.LBB520_855:
	s_andn2_b64 vcc, exec, s[38:39]
	s_mov_b64 s[38:39], 0
	s_cbranch_vccnz .LBB520_866
; %bb.856:
	s_cmp_gt_i32 s46, 14
	s_cbranch_scc0 .LBB520_859
; %bb.857:
	s_cmp_eq_u32 s46, 15
	s_cbranch_scc0 .LBB520_862
; %bb.858:
	global_load_ushort v2, v[0:1], off
	s_mov_b64 s[36:37], 0
	s_mov_b64 s[40:41], -1
	s_waitcnt vmcnt(0)
	v_lshlrev_b32_e32 v4, 16, v2
	s_branch .LBB520_863
.LBB520_859:
	s_mov_b64 s[42:43], -1
                                        ; implicit-def: $vgpr4
	s_branch .LBB520_864
.LBB520_860:
	s_or_saveexec_b64 s[40:41], s[40:41]
	v_mov_b32_e32 v4, 0x7f800001
	s_xor_b64 exec, exec, s[40:41]
	s_cbranch_execz .LBB520_841
.LBB520_861:
	v_cmp_ne_u16_e32 vcc, 0, v2
	s_andn2_b64 s[38:39], s[38:39], exec
	s_and_b64 s[42:43], vcc, exec
	v_mov_b32_e32 v4, 0
	s_or_b64 s[38:39], s[38:39], s[42:43]
	s_or_b64 exec, exec, s[40:41]
	s_and_saveexec_b64 s[40:41], s[38:39]
	s_cbranch_execnz .LBB520_842
	s_branch .LBB520_843
.LBB520_862:
	s_mov_b64 s[36:37], -1
                                        ; implicit-def: $vgpr4
.LBB520_863:
	s_mov_b64 s[42:43], 0
.LBB520_864:
	s_and_b64 vcc, exec, s[42:43]
	s_cbranch_vccz .LBB520_866
; %bb.865:
	s_cmp_lg_u32 s46, 11
	s_cselect_b64 s[42:43], -1, 0
	s_andn2_b64 s[36:37], s[36:37], exec
	s_and_b64 s[42:43], s[42:43], exec
	s_mov_b64 s[38:39], -1
	s_or_b64 s[36:37], s[36:37], s[42:43]
.LBB520_866:
	s_mov_b64 s[42:43], 0
.LBB520_867:
	s_and_b64 s[44:45], s[42:43], exec
	s_andn2_b64 s[42:43], s[0:1], exec
	s_and_b64 s[36:37], s[36:37], exec
	s_and_b64 s[40:41], s[40:41], exec
	;; [unrolled: 1-line block ×3, first 2 shown]
	s_or_b64 s[42:43], s[42:43], s[36:37]
.LBB520_868:
	s_or_b64 exec, exec, s[30:31]
	s_and_b64 s[36:37], s[38:39], exec
	s_andn2_b64 s[0:1], s[0:1], exec
	s_and_b64 s[38:39], s[42:43], exec
	s_and_b64 s[40:41], s[40:41], exec
	;; [unrolled: 1-line block ×3, first 2 shown]
	s_or_b64 s[0:1], s[0:1], s[38:39]
.LBB520_869:
	s_or_b64 exec, exec, s[28:29]
	s_andn2_b64 s[24:25], s[24:25], exec
	s_and_b64 s[28:29], s[34:35], exec
	s_andn2_b64 s[22:23], s[22:23], exec
	s_and_b64 s[0:1], s[0:1], exec
	s_or_b64 s[24:25], s[24:25], s[28:29]
	s_and_b64 s[34:35], s[40:41], exec
	s_and_b64 s[30:31], s[30:31], exec
	;; [unrolled: 1-line block ×3, first 2 shown]
	s_or_b64 s[22:23], s[22:23], s[0:1]
.LBB520_870:
	s_or_b64 exec, exec, s[26:27]
	s_andn2_b64 s[0:1], s[16:17], exec
	s_and_b64 s[16:17], s[24:25], exec
	s_andn2_b64 s[18:19], s[18:19], exec
	s_and_b64 s[22:23], s[22:23], exec
	s_or_b64 s[16:17], s[0:1], s[16:17]
	s_and_b64 s[0:1], s[34:35], exec
	s_and_b64 s[26:27], s[30:31], exec
	;; [unrolled: 1-line block ×3, first 2 shown]
	s_or_b64 s[18:19], s[18:19], s[22:23]
	s_or_b64 exec, exec, s[20:21]
	s_mov_b64 s[20:21], 0
	s_and_saveexec_b64 s[22:23], s[18:19]
	s_cbranch_execz .LBB520_266
.LBB520_871:
	s_mov_b64 s[20:21], exec
	s_andn2_b64 s[24:25], s[24:25], exec
	s_trap 2
	s_or_b64 exec, exec, s[22:23]
	s_and_saveexec_b64 s[18:19], s[24:25]
	s_xor_b64 s[18:19], exec, s[18:19]
	s_cbranch_execnz .LBB520_267
.LBB520_872:
	s_or_b64 exec, exec, s[18:19]
	s_and_saveexec_b64 s[18:19], s[26:27]
	s_cbranch_execz .LBB520_918
.LBB520_873:
	s_sext_i32_i16 s22, s33
	s_cmp_lt_i32 s22, 5
	s_cbranch_scc1 .LBB520_878
; %bb.874:
	s_cmp_lt_i32 s22, 8
	s_cbranch_scc1 .LBB520_879
; %bb.875:
	;; [unrolled: 3-line block ×3, first 2 shown]
	s_cmp_gt_i32 s22, 9
	s_cbranch_scc0 .LBB520_881
; %bb.877:
	global_load_dwordx2 v[2:3], v[0:1], off
	s_mov_b64 s[22:23], 0
	s_waitcnt vmcnt(0)
	v_cvt_f32_f64_e32 v4, v[2:3]
	s_branch .LBB520_882
.LBB520_878:
                                        ; implicit-def: $vgpr4
	s_branch .LBB520_899
.LBB520_879:
                                        ; implicit-def: $vgpr4
	s_branch .LBB520_888
.LBB520_880:
	s_mov_b64 s[22:23], -1
                                        ; implicit-def: $vgpr4
	s_branch .LBB520_885
.LBB520_881:
	s_mov_b64 s[22:23], -1
                                        ; implicit-def: $vgpr4
.LBB520_882:
	s_andn2_b64 vcc, exec, s[22:23]
	s_cbranch_vccnz .LBB520_884
; %bb.883:
	global_load_dword v4, v[0:1], off
.LBB520_884:
	s_mov_b64 s[22:23], 0
.LBB520_885:
	s_andn2_b64 vcc, exec, s[22:23]
	s_cbranch_vccnz .LBB520_887
; %bb.886:
	global_load_dword v2, v[0:1], off
	s_waitcnt vmcnt(0)
	v_cvt_f32_f16_e32 v4, v2
.LBB520_887:
	s_cbranch_execnz .LBB520_898
.LBB520_888:
	s_sext_i32_i16 s22, s33
	s_cmp_lt_i32 s22, 6
	s_cbranch_scc1 .LBB520_891
; %bb.889:
	s_cmp_gt_i32 s22, 6
	s_cbranch_scc0 .LBB520_892
; %bb.890:
	global_load_dwordx2 v[2:3], v[0:1], off
	s_mov_b64 s[22:23], 0
	s_waitcnt vmcnt(0)
	v_cvt_f32_f64_e32 v4, v[2:3]
	s_branch .LBB520_893
.LBB520_891:
	s_mov_b64 s[22:23], -1
                                        ; implicit-def: $vgpr4
	s_branch .LBB520_896
.LBB520_892:
	s_mov_b64 s[22:23], -1
                                        ; implicit-def: $vgpr4
.LBB520_893:
	s_andn2_b64 vcc, exec, s[22:23]
	s_cbranch_vccnz .LBB520_895
; %bb.894:
	global_load_dword v4, v[0:1], off
.LBB520_895:
	s_mov_b64 s[22:23], 0
.LBB520_896:
	s_andn2_b64 vcc, exec, s[22:23]
	s_cbranch_vccnz .LBB520_898
; %bb.897:
	global_load_ushort v2, v[0:1], off
	s_waitcnt vmcnt(0)
	v_cvt_f32_f16_e32 v4, v2
.LBB520_898:
	s_cbranch_execnz .LBB520_917
.LBB520_899:
	s_sext_i32_i16 s22, s33
	s_cmp_lt_i32 s22, 2
	s_cbranch_scc1 .LBB520_903
; %bb.900:
	s_cmp_lt_i32 s22, 3
	s_cbranch_scc1 .LBB520_904
; %bb.901:
	s_cmp_gt_i32 s22, 3
	s_cbranch_scc0 .LBB520_905
; %bb.902:
	global_load_dwordx2 v[2:3], v[0:1], off
	s_mov_b64 s[22:23], 0
	s_waitcnt vmcnt(0)
	v_xor_b32_e32 v5, v2, v3
	v_ffbh_i32_e32 v4, v3
	v_ashrrev_i32_e32 v5, 31, v5
	v_add_u32_e32 v4, -1, v4
	v_add_u32_e32 v5, 32, v5
	v_min_u32_e32 v4, v4, v5
	v_lshlrev_b64 v[2:3], v4, v[2:3]
	v_min_u32_e32 v2, 1, v2
	v_or_b32_e32 v2, v3, v2
	v_cvt_f32_i32_e32 v2, v2
	v_sub_u32_e32 v3, 32, v4
	v_ldexp_f32 v4, v2, v3
	s_branch .LBB520_906
.LBB520_903:
                                        ; implicit-def: $vgpr4
	s_branch .LBB520_912
.LBB520_904:
	s_mov_b64 s[22:23], -1
                                        ; implicit-def: $vgpr4
	s_branch .LBB520_909
.LBB520_905:
	s_mov_b64 s[22:23], -1
                                        ; implicit-def: $vgpr4
.LBB520_906:
	s_andn2_b64 vcc, exec, s[22:23]
	s_cbranch_vccnz .LBB520_908
; %bb.907:
	global_load_dword v2, v[0:1], off
	s_waitcnt vmcnt(0)
	v_cvt_f32_i32_e32 v4, v2
.LBB520_908:
	s_mov_b64 s[22:23], 0
.LBB520_909:
	s_andn2_b64 vcc, exec, s[22:23]
	s_cbranch_vccnz .LBB520_911
; %bb.910:
	global_load_sshort v2, v[0:1], off
	s_waitcnt vmcnt(0)
	v_cvt_f32_i32_e32 v4, v2
.LBB520_911:
	s_cbranch_execnz .LBB520_917
.LBB520_912:
	s_sext_i32_i16 s22, s33
	s_cmp_gt_i32 s22, 0
	s_cbranch_scc0 .LBB520_914
; %bb.913:
	global_load_sbyte v2, v[0:1], off
	s_mov_b64 s[22:23], 0
	s_waitcnt vmcnt(0)
	v_cvt_f32_i32_e32 v4, v2
	s_branch .LBB520_915
.LBB520_914:
	s_mov_b64 s[22:23], -1
                                        ; implicit-def: $vgpr4
.LBB520_915:
	s_andn2_b64 vcc, exec, s[22:23]
	s_cbranch_vccnz .LBB520_917
; %bb.916:
	global_load_ubyte v0, v[0:1], off
	s_waitcnt vmcnt(0)
	v_cvt_f32_ubyte0_e32 v4, v0
.LBB520_917:
	s_or_b64 s[0:1], s[0:1], exec
.LBB520_918:
	s_or_b64 exec, exec, s[18:19]
	s_mov_b64 s[24:25], 0
	s_mov_b64 s[22:23], 0
                                        ; implicit-def: $sgpr30
                                        ; implicit-def: $vgpr2_vgpr3
                                        ; implicit-def: $vgpr0
	s_and_saveexec_b64 s[18:19], s[0:1]
	s_cbranch_execz .LBB520_940
; %bb.919:
	s_waitcnt vmcnt(0)
	v_cmp_o_f32_e32 vcc, v4, v4
	v_mov_b32_e32 v0, s10
	s_and_saveexec_b64 s[0:1], vcc
	s_cbranch_execz .LBB520_923
; %bb.920:
	s_mov_b32 s22, 0x7f800000
	v_cmp_neq_f32_e32 vcc, s22, v4
	v_mov_b32_e32 v0, s11
	s_and_saveexec_b64 s[22:23], vcc
; %bb.921:
	s_mov_b32 s24, 0xff800000
	v_mov_b32_e32 v0, s12
	v_cmp_eq_f32_e32 vcc, s24, v4
	s_nop 1
	v_cndmask_b32_e32 v0, v4, v0, vcc
; %bb.922:
	s_or_b64 exec, exec, s[22:23]
.LBB520_923:
	s_or_b64 exec, exec, s[0:1]
	v_mul_lo_u32 v2, v8, s8
	v_ashrrev_i32_e32 v3, 31, v2
	s_and_b32 s30, s13, 0xff
	s_cmp_lt_i32 s30, 11
	v_lshl_add_u64 v[2:3], s[4:5], 0, v[2:3]
	s_cbranch_scc1 .LBB520_943
; %bb.924:
	s_and_b32 s31, 0xffff, s30
	s_mov_b64 s[24:25], -1
	s_cmp_gt_i32 s31, 25
	s_mov_b64 s[0:1], s[16:17]
	s_cbranch_scc0 .LBB520_961
; %bb.925:
	s_mov_b64 s[22:23], -1
	s_cmp_gt_i32 s31, 28
	s_mov_b64 s[0:1], s[16:17]
	s_cbranch_scc0 .LBB520_945
; %bb.926:
	s_cmp_gt_i32 s31, 43
	s_mov_b64 s[0:1], s[16:17]
	s_cbranch_scc0 .LBB520_937
; %bb.927:
	;; [unrolled: 4-line block ×3, first 2 shown]
	s_cmp_eq_u32 s31, 46
	s_mov_b64 s[0:1], -1
	s_cbranch_scc0 .LBB520_930
; %bb.929:
	v_bfe_u32 v1, v0, 16, 1
	s_movk_i32 s0, 0x7fff
	v_add3_u32 v1, v0, v1, s0
	v_cmp_o_f32_e32 vcc, v0, v0
	v_mov_b32_e32 v4, 0x7fc0
	s_mov_b64 s[0:1], 0
	v_cndmask_b32_sdwa v1, v4, v1, vcc dst_sel:DWORD dst_unused:UNUSED_PAD src0_sel:DWORD src1_sel:WORD_1
	global_store_dword v[2:3], v1, off
.LBB520_930:
	s_mov_b64 s[22:23], 0
.LBB520_931:
	s_and_b64 vcc, exec, s[22:23]
	s_cbranch_vccz .LBB520_936
; %bb.932:
	s_cmp_eq_u32 s31, 44
	s_mov_b64 s[0:1], -1
	s_cbranch_scc0 .LBB520_936
; %bb.933:
	v_bfe_u32 v1, v0, 23, 8
	s_movk_i32 s0, 0xff
	v_cmp_ne_u32_e32 vcc, s0, v1
	v_mov_b32_e32 v4, 0xff
	s_and_saveexec_b64 s[22:23], vcc
; %bb.934:
	s_mov_b32 s0, 0x3fffff
	v_and_b32_e32 v5, 0x400000, v0
	v_and_or_b32 v1, v0, s0, v1
	v_cmp_ne_u32_e32 vcc, 0, v5
	v_cmp_ne_u32_e64 s[0:1], 0, v1
	s_and_b64 s[0:1], vcc, s[0:1]
	v_lshrrev_b32_e32 v4, 23, v0
	v_cndmask_b32_e64 v1, 0, 1, s[0:1]
	v_add_u32_e32 v4, v4, v1
; %bb.935:
	s_or_b64 exec, exec, s[22:23]
	s_mov_b64 s[0:1], 0
	global_store_byte v[2:3], v4, off
.LBB520_936:
	s_mov_b64 s[22:23], 0
.LBB520_937:
	s_and_b64 vcc, exec, s[22:23]
	s_cbranch_vccz .LBB520_944
; %bb.938:
	s_cmp_eq_u32 s31, 29
	s_mov_b64 s[0:1], -1
	s_cbranch_scc0 .LBB520_944
; %bb.939:
	v_trunc_f32_e32 v1, v0
	v_mul_f32_e32 v4, 0x2f800000, v1
	v_floor_f32_e32 v4, v4
	v_fmamk_f32 v1, v4, 0xcf800000, v1
	v_cvt_u32_f32_e32 v5, v4
	v_cvt_u32_f32_e32 v4, v1
	s_mov_b64 s[0:1], 0
	s_mov_b64 s[22:23], 0
	global_store_dwordx2 v[2:3], v[4:5], off
	s_branch .LBB520_945
.LBB520_940:
	s_or_b64 exec, exec, s[18:19]
	s_and_saveexec_b64 s[0:1], s[16:17]
	s_cbranch_execnz .LBB520_1003
.LBB520_941:
	s_or_b64 exec, exec, s[0:1]
	s_and_saveexec_b64 s[0:1], s[24:25]
	s_xor_b64 s[0:1], exec, s[0:1]
	s_cbranch_execz .LBB520_1004
.LBB520_942:
	v_cmp_neq_f32_e32 vcc, 0, v0
	s_nop 1
	v_cndmask_b32_e64 v1, 0, 1, vcc
	s_waitcnt vmcnt(0)
	global_store_byte v[2:3], v1, off
	s_or_b64 exec, exec, s[0:1]
	s_and_saveexec_b64 s[0:1], s[22:23]
	s_xor_b64 s[0:1], exec, s[0:1]
	s_cbranch_execz .LBB520_1042
	s_branch .LBB520_1005
.LBB520_943:
	s_mov_b64 s[24:25], 0
	s_mov_b64 s[22:23], -1
	s_mov_b64 s[0:1], s[16:17]
	s_branch .LBB520_1002
.LBB520_944:
	s_mov_b64 s[22:23], 0
.LBB520_945:
	s_and_b64 vcc, exec, s[22:23]
	s_cbranch_vccz .LBB520_960
; %bb.946:
	s_cmp_lt_i32 s31, 27
	s_mov_b64 s[22:23], -1
	s_cbranch_scc1 .LBB520_952
; %bb.947:
	v_cvt_u32_f32_e32 v1, v0
	s_cmp_gt_i32 s31, 27
	s_cbranch_scc0 .LBB520_949
; %bb.948:
	s_mov_b64 s[22:23], 0
	global_store_dword v[2:3], v1, off
.LBB520_949:
	s_andn2_b64 vcc, exec, s[22:23]
	s_cbranch_vccnz .LBB520_951
; %bb.950:
	global_store_short v[2:3], v1, off
.LBB520_951:
	s_mov_b64 s[22:23], 0
.LBB520_952:
	s_andn2_b64 vcc, exec, s[22:23]
	s_cbranch_vccnz .LBB520_960
; %bb.953:
	v_and_b32_e32 v1, 0x7fffffff, v0
	s_mov_b32 s22, 0x43800000
	v_cmp_gt_u32_e32 vcc, s22, v1
	v_mov_b32_e32 v4, 0x80
	s_and_saveexec_b64 s[22:23], vcc
	s_cbranch_execz .LBB520_959
; %bb.954:
	s_mov_b32 s24, 0x3bffffff
	v_cmp_lt_u32_e32 vcc, s24, v1
	s_mov_b64 s[24:25], 0
                                        ; implicit-def: $vgpr1
	s_and_saveexec_b64 s[26:27], vcc
	s_xor_b64 s[26:27], exec, s[26:27]
	s_cbranch_execz .LBB520_1057
; %bb.955:
	v_bfe_u32 v1, v0, 20, 1
	s_mov_b32 s28, 0x487ffff
	v_add3_u32 v1, v0, v1, s28
	s_mov_b64 s[24:25], exec
	v_lshrrev_b32_e32 v1, 20, v1
	s_andn2_saveexec_b64 s[26:27], s[26:27]
	s_cbranch_execnz .LBB520_1058
.LBB520_956:
	s_or_b64 exec, exec, s[26:27]
	v_mov_b32_e32 v4, 0
	s_and_saveexec_b64 s[26:27], s[24:25]
.LBB520_957:
	v_lshrrev_b32_e32 v4, 24, v0
	s_movk_i32 s24, 0x80
	v_and_or_b32 v4, v4, s24, v1
.LBB520_958:
	s_or_b64 exec, exec, s[26:27]
.LBB520_959:
	s_or_b64 exec, exec, s[22:23]
	global_store_byte v[2:3], v4, off
.LBB520_960:
	s_mov_b64 s[24:25], 0
.LBB520_961:
	s_mov_b64 s[22:23], 0
	s_and_b64 vcc, exec, s[24:25]
	s_cbranch_vccz .LBB520_1001
; %bb.962:
	s_cmp_gt_i32 s31, 22
	s_mov_b64 s[24:25], -1
	s_cbranch_scc0 .LBB520_994
; %bb.963:
	s_cmp_lt_i32 s31, 24
	s_cbranch_scc1 .LBB520_983
; %bb.964:
	s_cmp_gt_i32 s31, 24
	s_cbranch_scc0 .LBB520_972
; %bb.965:
	v_and_b32_e32 v1, 0x7fffffff, v0
	s_mov_b32 s24, 0x47800000
	v_cmp_gt_u32_e32 vcc, s24, v1
	v_mov_b32_e32 v4, 0x80
	s_and_saveexec_b64 s[24:25], vcc
	s_cbranch_execz .LBB520_971
; %bb.966:
	s_mov_b32 s26, 0x37ffffff
	v_cmp_lt_u32_e32 vcc, s26, v1
	s_mov_b64 s[26:27], 0
                                        ; implicit-def: $vgpr1
	s_and_saveexec_b64 s[28:29], vcc
	s_xor_b64 s[28:29], exec, s[28:29]
	s_cbranch_execz .LBB520_1186
; %bb.967:
	v_bfe_u32 v1, v0, 21, 1
	s_mov_b32 s34, 0x88fffff
	v_add3_u32 v1, v0, v1, s34
	s_mov_b64 s[26:27], exec
	v_lshrrev_b32_e32 v1, 21, v1
	s_andn2_saveexec_b64 s[28:29], s[28:29]
	s_cbranch_execnz .LBB520_1187
.LBB520_968:
	s_or_b64 exec, exec, s[28:29]
	v_mov_b32_e32 v4, 0
	s_and_saveexec_b64 s[28:29], s[26:27]
.LBB520_969:
	v_lshrrev_b32_e32 v4, 24, v0
	s_movk_i32 s26, 0x80
	v_and_or_b32 v4, v4, s26, v1
.LBB520_970:
	s_or_b64 exec, exec, s[28:29]
.LBB520_971:
	s_or_b64 exec, exec, s[24:25]
	s_mov_b64 s[24:25], 0
	global_store_byte v[2:3], v4, off
.LBB520_972:
	s_and_b64 vcc, exec, s[24:25]
	s_cbranch_vccz .LBB520_982
; %bb.973:
	v_and_b32_e32 v4, 0x7fffffff, v0
	s_mov_b32 s24, 0x43f00000
	v_cmp_gt_u32_e32 vcc, s24, v4
                                        ; implicit-def: $vgpr1
	s_and_saveexec_b64 s[24:25], vcc
	s_xor_b64 s[24:25], exec, s[24:25]
	s_cbranch_execz .LBB520_979
; %bb.974:
	s_mov_b32 s26, 0x3c7fffff
	v_cmp_lt_u32_e32 vcc, s26, v4
                                        ; implicit-def: $vgpr1
	s_and_saveexec_b64 s[26:27], vcc
	s_xor_b64 s[26:27], exec, s[26:27]
; %bb.975:
	v_bfe_u32 v1, v0, 20, 1
	s_mov_b32 s28, 0x407ffff
	v_add3_u32 v1, v0, v1, s28
	v_lshrrev_b32_e32 v4, 20, v1
	v_and_b32_e32 v1, 0xff00000, v1
	s_mov_b32 s28, 0x7f00000
	v_mov_b32_e32 v5, 0x7e
	v_cmp_ne_u32_e32 vcc, s28, v1
	s_nop 1
	v_cndmask_b32_e32 v1, v5, v4, vcc
; %bb.976:
	s_andn2_saveexec_b64 s[26:27], s[26:27]
; %bb.977:
	s_mov_b32 s28, 0x46800000
	v_add_f32_e64 v1, |v0|, s28
; %bb.978:
	s_or_b64 exec, exec, s[26:27]
                                        ; implicit-def: $vgpr4
.LBB520_979:
	s_andn2_saveexec_b64 s[24:25], s[24:25]
; %bb.980:
	s_mov_b32 s26, 0x7f800000
	v_mov_b32_e32 v1, 0x7e
	v_mov_b32_e32 v5, 0x7f
	v_cmp_lt_u32_e32 vcc, s26, v4
	s_nop 1
	v_cndmask_b32_e32 v1, v1, v5, vcc
; %bb.981:
	s_or_b64 exec, exec, s[24:25]
	v_lshrrev_b32_e32 v4, 24, v0
	s_movk_i32 s24, 0x80
	v_and_or_b32 v1, v4, s24, v1
	global_store_byte v[2:3], v1, off
.LBB520_982:
	s_mov_b64 s[24:25], 0
.LBB520_983:
	s_andn2_b64 vcc, exec, s[24:25]
	s_cbranch_vccnz .LBB520_993
; %bb.984:
	v_and_b32_e32 v4, 0x7fffffff, v0
	s_mov_b32 s24, 0x47800000
	v_cmp_gt_u32_e32 vcc, s24, v4
                                        ; implicit-def: $vgpr1
	s_and_saveexec_b64 s[24:25], vcc
	s_xor_b64 s[24:25], exec, s[24:25]
	s_cbranch_execz .LBB520_990
; %bb.985:
	s_mov_b32 s26, 0x387fffff
	v_cmp_lt_u32_e32 vcc, s26, v4
                                        ; implicit-def: $vgpr1
	s_and_saveexec_b64 s[26:27], vcc
	s_xor_b64 s[26:27], exec, s[26:27]
; %bb.986:
	v_bfe_u32 v1, v0, 21, 1
	s_mov_b32 s28, 0x80fffff
	v_add3_u32 v1, v0, v1, s28
	v_lshrrev_b32_e32 v1, 21, v1
; %bb.987:
	s_andn2_saveexec_b64 s[26:27], s[26:27]
; %bb.988:
	s_mov_b32 s28, 0x43000000
	v_add_f32_e64 v1, |v0|, s28
; %bb.989:
	s_or_b64 exec, exec, s[26:27]
                                        ; implicit-def: $vgpr4
.LBB520_990:
	s_andn2_saveexec_b64 s[24:25], s[24:25]
; %bb.991:
	s_mov_b32 s26, 0x7f800000
	v_mov_b32_e32 v1, 0x7c
	v_mov_b32_e32 v5, 0x7f
	v_cmp_lt_u32_e32 vcc, s26, v4
	s_nop 1
	v_cndmask_b32_e32 v1, v1, v5, vcc
; %bb.992:
	s_or_b64 exec, exec, s[24:25]
	v_lshrrev_b32_e32 v4, 24, v0
	s_movk_i32 s24, 0x80
	v_and_or_b32 v1, v4, s24, v1
	global_store_byte v[2:3], v1, off
.LBB520_993:
	s_mov_b64 s[24:25], 0
.LBB520_994:
	s_andn2_b64 vcc, exec, s[24:25]
	s_mov_b64 s[24:25], 0
	s_cbranch_vccnz .LBB520_1002
; %bb.995:
	s_cmp_gt_i32 s31, 14
	s_mov_b64 s[26:27], -1
	s_cbranch_scc0 .LBB520_999
; %bb.996:
	s_cmp_eq_u32 s31, 15
	s_mov_b64 s[0:1], -1
	s_cbranch_scc0 .LBB520_998
; %bb.997:
	v_bfe_u32 v1, v0, 16, 1
	s_movk_i32 s0, 0x7fff
	v_add3_u32 v1, v0, v1, s0
	v_cmp_o_f32_e32 vcc, v0, v0
	v_mov_b32_e32 v4, 0x7fc0
	s_mov_b64 s[0:1], 0
	v_cndmask_b32_sdwa v1, v4, v1, vcc dst_sel:DWORD dst_unused:UNUSED_PAD src0_sel:DWORD src1_sel:WORD_1
	global_store_short v[2:3], v1, off
.LBB520_998:
	s_mov_b64 s[26:27], 0
.LBB520_999:
	s_and_b64 vcc, exec, s[26:27]
	s_cbranch_vccz .LBB520_1002
; %bb.1000:
	s_cmp_lg_u32 s31, 11
	s_cselect_b64 s[26:27], -1, 0
	s_andn2_b64 s[0:1], s[0:1], exec
	s_and_b64 s[26:27], s[26:27], exec
	s_mov_b64 s[24:25], -1
	s_or_b64 s[0:1], s[0:1], s[26:27]
	s_branch .LBB520_1002
.LBB520_1001:
	s_mov_b64 s[24:25], 0
.LBB520_1002:
	s_andn2_b64 s[16:17], s[16:17], exec
	s_and_b64 s[0:1], s[0:1], exec
	s_and_b64 s[22:23], s[22:23], exec
	;; [unrolled: 1-line block ×3, first 2 shown]
	s_or_b64 s[16:17], s[16:17], s[0:1]
	s_or_b64 exec, exec, s[18:19]
	s_and_saveexec_b64 s[0:1], s[16:17]
	s_cbranch_execz .LBB520_941
.LBB520_1003:
	s_or_b64 s[20:21], s[20:21], exec
	s_andn2_b64 s[24:25], s[24:25], exec
	s_trap 2
	s_or_b64 exec, exec, s[0:1]
	s_and_saveexec_b64 s[0:1], s[24:25]
	s_xor_b64 s[0:1], exec, s[0:1]
	s_cbranch_execnz .LBB520_942
.LBB520_1004:
	s_or_b64 exec, exec, s[0:1]
	s_and_saveexec_b64 s[0:1], s[22:23]
	s_xor_b64 s[0:1], exec, s[0:1]
	s_cbranch_execz .LBB520_1042
.LBB520_1005:
	s_sext_i32_i16 s18, s30
	s_cmp_lt_i32 s18, 5
	s_mov_b64 s[16:17], -1
	s_cbranch_scc1 .LBB520_1026
; %bb.1006:
	s_cmp_lt_i32 s18, 8
	s_cbranch_scc1 .LBB520_1016
; %bb.1007:
	s_cmp_lt_i32 s18, 9
	s_cbranch_scc1 .LBB520_1013
; %bb.1008:
	s_cmp_gt_i32 s18, 9
	s_cbranch_scc0 .LBB520_1010
; %bb.1009:
	v_mov_b32_e32 v6, 0
	s_waitcnt vmcnt(0)
	v_cvt_f64_f32_e32 v[4:5], v0
	v_mov_b32_e32 v7, v6
	s_mov_b64 s[16:17], 0
	global_store_dwordx4 v[2:3], v[4:7], off
.LBB520_1010:
	s_andn2_b64 vcc, exec, s[16:17]
	s_cbranch_vccnz .LBB520_1012
; %bb.1011:
	v_mov_b32_e32 v1, 0
	s_waitcnt vmcnt(0)
	global_store_dwordx2 v[2:3], v[0:1], off
.LBB520_1012:
	s_mov_b64 s[16:17], 0
.LBB520_1013:
	s_andn2_b64 vcc, exec, s[16:17]
	s_cbranch_vccnz .LBB520_1015
; %bb.1014:
	v_cvt_f16_f32_e32 v1, v0
	s_waitcnt vmcnt(0)
	global_store_dword v[2:3], v1, off
.LBB520_1015:
	s_mov_b64 s[16:17], 0
.LBB520_1016:
	s_andn2_b64 vcc, exec, s[16:17]
	s_cbranch_vccnz .LBB520_1025
; %bb.1017:
	s_sext_i32_i16 s18, s30
	s_cmp_lt_i32 s18, 6
	s_mov_b64 s[16:17], -1
	s_cbranch_scc1 .LBB520_1023
; %bb.1018:
	s_cmp_gt_i32 s18, 6
	s_cbranch_scc0 .LBB520_1020
; %bb.1019:
	s_waitcnt vmcnt(0)
	v_cvt_f64_f32_e32 v[4:5], v0
	s_mov_b64 s[16:17], 0
	global_store_dwordx2 v[2:3], v[4:5], off
.LBB520_1020:
	s_andn2_b64 vcc, exec, s[16:17]
	s_cbranch_vccnz .LBB520_1022
; %bb.1021:
	s_waitcnt vmcnt(0)
	global_store_dword v[2:3], v0, off
.LBB520_1022:
	s_mov_b64 s[16:17], 0
.LBB520_1023:
	s_andn2_b64 vcc, exec, s[16:17]
	s_cbranch_vccnz .LBB520_1025
; %bb.1024:
	v_cvt_f16_f32_e32 v1, v0
	s_waitcnt vmcnt(0)
	global_store_short v[2:3], v1, off
.LBB520_1025:
	s_mov_b64 s[16:17], 0
.LBB520_1026:
	s_andn2_b64 vcc, exec, s[16:17]
	s_cbranch_vccnz .LBB520_1042
; %bb.1027:
	s_sext_i32_i16 s18, s30
	s_cmp_lt_i32 s18, 2
	s_mov_b64 s[16:17], -1
	s_cbranch_scc1 .LBB520_1037
; %bb.1028:
	s_cmp_lt_i32 s18, 3
	s_cbranch_scc1 .LBB520_1034
; %bb.1029:
	s_cmp_gt_i32 s18, 3
	s_cbranch_scc0 .LBB520_1031
; %bb.1030:
	v_trunc_f32_e32 v1, v0
	s_mov_b32 s16, 0x2f800000
	s_waitcnt vmcnt(0)
	v_mul_f32_e64 v4, |v1|, s16
	v_floor_f32_e32 v4, v4
	s_mov_b32 s16, 0xcf800000
	v_cvt_u32_f32_e32 v5, v4
	v_fma_f32 v4, v4, s16, |v1|
	v_cvt_u32_f32_e32 v4, v4
	v_ashrrev_i32_e32 v1, 31, v1
	v_xor_b32_e32 v5, v5, v1
	s_mov_b64 s[16:17], 0
	v_xor_b32_e32 v4, v4, v1
	v_sub_co_u32_e32 v4, vcc, v4, v1
	s_nop 1
	v_subb_co_u32_e32 v5, vcc, v5, v1, vcc
	global_store_dwordx2 v[2:3], v[4:5], off
.LBB520_1031:
	s_andn2_b64 vcc, exec, s[16:17]
	s_cbranch_vccnz .LBB520_1033
; %bb.1032:
	v_cvt_i32_f32_e32 v1, v0
	s_waitcnt vmcnt(0)
	global_store_dword v[2:3], v1, off
.LBB520_1033:
	s_mov_b64 s[16:17], 0
.LBB520_1034:
	s_andn2_b64 vcc, exec, s[16:17]
	s_cbranch_vccnz .LBB520_1036
; %bb.1035:
	v_cvt_i32_f32_e32 v1, v0
	s_waitcnt vmcnt(0)
	global_store_short v[2:3], v1, off
.LBB520_1036:
	s_mov_b64 s[16:17], 0
.LBB520_1037:
	s_andn2_b64 vcc, exec, s[16:17]
	s_cbranch_vccnz .LBB520_1042
; %bb.1038:
	s_sext_i32_i16 s16, s30
	s_cmp_gt_i32 s16, 0
	s_mov_b64 s[16:17], -1
	s_cbranch_scc0 .LBB520_1040
; %bb.1039:
	v_cvt_i32_f32_e32 v1, v0
	s_mov_b64 s[16:17], 0
	s_waitcnt vmcnt(0)
	global_store_byte v[2:3], v1, off
.LBB520_1040:
	s_andn2_b64 vcc, exec, s[16:17]
	s_cbranch_vccnz .LBB520_1042
; %bb.1041:
	v_trunc_f32_e32 v0, v0
	s_mov_b32 s16, 0x2f800000
	v_mul_f32_e64 v1, |v0|, s16
	v_floor_f32_e32 v1, v1
	s_mov_b32 s16, 0xcf800000
	v_fma_f32 v1, v1, s16, |v0|
	v_cvt_u32_f32_e32 v1, v1
	v_ashrrev_i32_e32 v0, 31, v0
	v_xor_b32_e32 v1, v1, v0
	v_sub_u32_e32 v0, v1, v0
	s_waitcnt vmcnt(0)
	global_store_byte v[2:3], v0, off
.LBB520_1042:
	s_or_b64 exec, exec, s[0:1]
	s_and_b64 s[16:17], s[20:21], exec
                                        ; implicit-def: $vgpr8
.LBB520_1043:
	s_or_saveexec_b64 s[14:15], s[14:15]
	s_mov_b64 s[0:1], 0
                                        ; implicit-def: $sgpr20
                                        ; implicit-def: $vgpr2_vgpr3
                                        ; implicit-def: $vgpr0
	s_xor_b64 exec, exec, s[14:15]
	s_cbranch_execz .LBB520_1653
; %bb.1044:
	v_mul_lo_u32 v0, s9, v8
	v_ashrrev_i32_e32 v1, 31, v0
	s_and_b32 s26, 0xffff, s33
	s_cmp_lt_i32 s26, 11
	s_waitcnt vmcnt(0)
	v_lshl_add_u64 v[2:3], s[6:7], 0, v[0:1]
	s_cbranch_scc1 .LBB520_1051
; %bb.1045:
	s_cmp_gt_i32 s26, 25
	s_cbranch_scc0 .LBB520_1053
; %bb.1046:
	s_cmp_gt_i32 s26, 28
	s_cbranch_scc0 .LBB520_1054
	;; [unrolled: 3-line block ×4, first 2 shown]
; %bb.1049:
	s_cmp_eq_u32 s26, 46
	s_mov_b64 s[18:19], 0
	s_cbranch_scc0 .LBB520_1059
; %bb.1050:
	global_load_dword v1, v[2:3], off
	s_mov_b64 s[20:21], -1
	s_waitcnt vmcnt(0)
	v_lshlrev_b32_e32 v1, 16, v1
	s_branch .LBB520_1060
.LBB520_1051:
	s_mov_b64 s[20:21], 0
                                        ; implicit-def: $vgpr1
	s_mov_b64 s[18:19], s[16:17]
	s_cbranch_execnz .LBB520_1123
.LBB520_1052:
	s_andn2_b64 vcc, exec, s[20:21]
	s_cbranch_vccz .LBB520_1168
	s_branch .LBB520_1650
.LBB520_1053:
	s_mov_b64 s[20:21], 0
                                        ; implicit-def: $vgpr1
	s_cbranch_execnz .LBB520_1088
	s_branch .LBB520_1119
.LBB520_1054:
	s_mov_b64 s[18:19], -1
	s_mov_b64 s[20:21], 0
                                        ; implicit-def: $vgpr1
	s_branch .LBB520_1069
.LBB520_1055:
	s_mov_b64 s[20:21], 0
                                        ; implicit-def: $vgpr1
	s_cbranch_execnz .LBB520_1065
	s_branch .LBB520_1068
.LBB520_1056:
	s_mov_b64 s[18:19], -1
	s_mov_b64 s[20:21], 0
                                        ; implicit-def: $vgpr1
	s_branch .LBB520_1060
.LBB520_1057:
	s_andn2_saveexec_b64 s[26:27], s[26:27]
	s_cbranch_execz .LBB520_956
.LBB520_1058:
	s_mov_b32 s28, 0x46000000
	v_add_f32_e64 v1, |v0|, s28
	v_and_b32_e32 v1, 0xff, v1
	v_cmp_ne_u32_e32 vcc, 0, v1
	s_andn2_b64 s[24:25], s[24:25], exec
	s_and_b64 s[28:29], vcc, exec
	s_or_b64 s[24:25], s[24:25], s[28:29]
	s_or_b64 exec, exec, s[26:27]
	v_mov_b32_e32 v4, 0
	s_and_saveexec_b64 s[26:27], s[24:25]
	s_cbranch_execnz .LBB520_957
	s_branch .LBB520_958
.LBB520_1059:
	s_mov_b64 s[0:1], -1
                                        ; implicit-def: $vgpr1
	s_mov_b64 s[20:21], 0
.LBB520_1060:
	s_and_b64 vcc, exec, s[18:19]
	s_cbranch_vccz .LBB520_1063
; %bb.1061:
	s_cmp_eq_u32 s26, 44
	s_cbranch_scc0 .LBB520_1064
; %bb.1062:
	global_load_ubyte v1, v[2:3], off
	s_movk_i32 s18, 0xff
	v_mov_b32_e32 v4, 0x7f800001
	v_mov_b32_e32 v5, 0x400000
	s_mov_b64 s[0:1], 0
	s_mov_b64 s[20:21], -1
	s_waitcnt vmcnt(0)
	v_lshlrev_b32_e32 v6, 23, v1
	v_cmp_ne_u32_e32 vcc, s18, v1
	s_nop 1
	v_cndmask_b32_e32 v4, v4, v6, vcc
	v_cmp_ne_u32_e32 vcc, 0, v1
	s_nop 1
	v_cndmask_b32_e32 v1, v5, v4, vcc
.LBB520_1063:
	s_branch .LBB520_1068
.LBB520_1064:
	s_mov_b64 s[0:1], -1
                                        ; implicit-def: $vgpr1
	s_branch .LBB520_1068
.LBB520_1065:
	s_cmp_eq_u32 s26, 29
	s_cbranch_scc0 .LBB520_1067
; %bb.1066:
	global_load_dwordx2 v[4:5], v[2:3], off
	s_mov_b64 s[0:1], 0
	s_mov_b64 s[20:21], -1
	s_mov_b64 s[18:19], 0
	s_waitcnt vmcnt(0)
	v_ffbh_u32_e32 v1, v5
	v_min_u32_e32 v1, 32, v1
	v_lshlrev_b64 v[4:5], v1, v[4:5]
	v_min_u32_e32 v4, 1, v4
	v_or_b32_e32 v4, v5, v4
	v_cvt_f32_u32_e32 v4, v4
	v_sub_u32_e32 v1, 32, v1
	v_ldexp_f32 v1, v4, v1
	s_branch .LBB520_1069
.LBB520_1067:
	s_mov_b64 s[0:1], -1
                                        ; implicit-def: $vgpr1
.LBB520_1068:
	s_mov_b64 s[18:19], 0
.LBB520_1069:
	s_and_b64 vcc, exec, s[18:19]
	s_cbranch_vccz .LBB520_1087
; %bb.1070:
	s_cmp_lt_i32 s26, 27
	s_cbranch_scc1 .LBB520_1073
; %bb.1071:
	s_cmp_gt_i32 s26, 27
	s_cbranch_scc0 .LBB520_1074
; %bb.1072:
	global_load_dword v1, v[2:3], off
	s_mov_b64 s[18:19], 0
	s_waitcnt vmcnt(0)
	v_cvt_f32_u32_e32 v1, v1
	s_branch .LBB520_1075
.LBB520_1073:
	s_mov_b64 s[18:19], -1
                                        ; implicit-def: $vgpr1
	s_branch .LBB520_1078
.LBB520_1074:
	s_mov_b64 s[18:19], -1
                                        ; implicit-def: $vgpr1
.LBB520_1075:
	s_andn2_b64 vcc, exec, s[18:19]
	s_cbranch_vccnz .LBB520_1077
; %bb.1076:
	global_load_ushort v1, v[2:3], off
	s_waitcnt vmcnt(0)
	v_cvt_f32_u32_e32 v1, v1
.LBB520_1077:
	s_mov_b64 s[18:19], 0
.LBB520_1078:
	s_andn2_b64 vcc, exec, s[18:19]
	s_cbranch_vccnz .LBB520_1086
; %bb.1079:
	global_load_ubyte v4, v[2:3], off
	s_movk_i32 s18, 0x7f
	s_waitcnt vmcnt(0)
	v_cmp_lt_i16_e32 vcc, s18, v4
	s_mov_b64 s[18:19], 0
	s_and_saveexec_b64 s[20:21], vcc
	s_xor_b64 s[20:21], exec, s[20:21]
	s_cbranch_execz .LBB520_1099
; %bb.1080:
	s_movk_i32 s18, 0x80
	v_cmp_eq_u16_e32 vcc, s18, v4
	s_mov_b64 s[18:19], -1
	s_and_saveexec_b64 s[22:23], vcc
; %bb.1081:
	s_xor_b64 s[18:19], exec, -1
; %bb.1082:
	s_or_b64 exec, exec, s[22:23]
	s_and_b64 s[18:19], s[18:19], exec
	s_or_saveexec_b64 s[20:21], s[20:21]
	v_mov_b32_e32 v1, 0x7f800001
	s_xor_b64 exec, exec, s[20:21]
	s_cbranch_execnz .LBB520_1100
.LBB520_1083:
	s_or_b64 exec, exec, s[20:21]
	s_and_saveexec_b64 s[20:21], s[18:19]
	s_cbranch_execz .LBB520_1085
.LBB520_1084:
	v_lshlrev_b32_e32 v1, 24, v4
	v_and_b32_e32 v4, 0xffff, v4
	v_and_b32_e32 v5, 7, v4
	v_ffbh_u32_e32 v7, v5
	v_min_u32_e32 v7, 32, v7
	v_subrev_u32_e32 v9, 28, v7
	v_bfe_u32 v6, v4, 3, 4
	v_lshlrev_b32_e32 v4, v9, v4
	v_sub_u32_e32 v7, 29, v7
	v_and_b32_e32 v4, 7, v4
	v_cmp_eq_u32_e32 vcc, 0, v6
	v_and_b32_e32 v1, 0x80000000, v1
	s_nop 0
	v_cndmask_b32_e32 v6, v6, v7, vcc
	v_cndmask_b32_e32 v4, v5, v4, vcc
	v_mov_b32_e32 v5, 0x3b800000
	v_lshlrev_b32_e32 v4, 20, v4
	v_lshl_add_u32 v5, v6, 23, v5
	v_or3_b32 v1, v1, v5, v4
.LBB520_1085:
	s_or_b64 exec, exec, s[20:21]
.LBB520_1086:
	s_mov_b64 s[20:21], -1
.LBB520_1087:
	s_branch .LBB520_1119
.LBB520_1088:
	s_cmp_gt_i32 s26, 22
	s_cbranch_scc0 .LBB520_1098
; %bb.1089:
	s_cmp_lt_i32 s26, 24
	s_cbranch_scc1 .LBB520_1101
; %bb.1090:
	s_cmp_gt_i32 s26, 24
	s_cbranch_scc0 .LBB520_1102
; %bb.1091:
	global_load_ubyte v4, v[2:3], off
	s_movk_i32 s2, 0x7f
	s_waitcnt vmcnt(0)
	v_cmp_lt_i16_e32 vcc, s2, v4
	s_mov_b64 s[2:3], 0
	s_and_saveexec_b64 s[18:19], vcc
	s_xor_b64 s[18:19], exec, s[18:19]
	s_cbranch_execz .LBB520_1113
; %bb.1092:
	s_movk_i32 s2, 0x80
	v_cmp_eq_u16_e32 vcc, s2, v4
	s_mov_b64 s[2:3], -1
	s_and_saveexec_b64 s[20:21], vcc
; %bb.1093:
	s_xor_b64 s[2:3], exec, -1
; %bb.1094:
	s_or_b64 exec, exec, s[20:21]
	s_and_b64 s[2:3], s[2:3], exec
	s_or_saveexec_b64 s[18:19], s[18:19]
	v_mov_b32_e32 v1, 0x7f800001
	s_xor_b64 exec, exec, s[18:19]
	s_cbranch_execnz .LBB520_1114
.LBB520_1095:
	s_or_b64 exec, exec, s[18:19]
	s_and_saveexec_b64 s[18:19], s[2:3]
	s_cbranch_execz .LBB520_1097
.LBB520_1096:
	v_lshlrev_b32_e32 v1, 24, v4
	v_and_b32_e32 v4, 0xffff, v4
	v_and_b32_e32 v5, 3, v4
	v_ffbh_u32_e32 v7, v5
	v_min_u32_e32 v7, 32, v7
	v_subrev_u32_e32 v9, 29, v7
	v_bfe_u32 v6, v4, 2, 5
	v_lshlrev_b32_e32 v4, v9, v4
	v_sub_u32_e32 v7, 30, v7
	v_and_b32_e32 v4, 3, v4
	v_cmp_eq_u32_e32 vcc, 0, v6
	v_and_b32_e32 v1, 0x80000000, v1
	s_nop 0
	v_cndmask_b32_e32 v6, v6, v7, vcc
	v_cndmask_b32_e32 v4, v5, v4, vcc
	v_mov_b32_e32 v5, 0x37800000
	v_lshlrev_b32_e32 v4, 21, v4
	v_lshl_add_u32 v5, v6, 23, v5
	v_or3_b32 v1, v1, v5, v4
.LBB520_1097:
	s_or_b64 exec, exec, s[18:19]
	s_mov_b64 s[2:3], 0
	s_branch .LBB520_1103
.LBB520_1098:
                                        ; implicit-def: $vgpr1
	s_mov_b64 s[2:3], 0
	s_branch .LBB520_1109
.LBB520_1099:
	s_or_saveexec_b64 s[20:21], s[20:21]
	v_mov_b32_e32 v1, 0x7f800001
	s_xor_b64 exec, exec, s[20:21]
	s_cbranch_execz .LBB520_1083
.LBB520_1100:
	v_cmp_ne_u16_e32 vcc, 0, v4
	s_andn2_b64 s[18:19], s[18:19], exec
	s_and_b64 s[22:23], vcc, exec
	v_mov_b32_e32 v1, 0
	s_or_b64 s[18:19], s[18:19], s[22:23]
	s_or_b64 exec, exec, s[20:21]
	s_and_saveexec_b64 s[20:21], s[18:19]
	s_cbranch_execnz .LBB520_1084
	s_branch .LBB520_1085
.LBB520_1101:
	s_mov_b64 s[2:3], -1
                                        ; implicit-def: $vgpr1
	s_branch .LBB520_1106
.LBB520_1102:
	s_mov_b64 s[2:3], -1
                                        ; implicit-def: $vgpr1
.LBB520_1103:
	s_and_b64 vcc, exec, s[2:3]
	s_cbranch_vccz .LBB520_1105
; %bb.1104:
	global_load_ubyte v1, v[2:3], off
	s_mov_b32 s2, 0x7f800000
	s_waitcnt vmcnt(0)
	v_lshlrev_b32_e32 v1, 24, v1
	v_and_b32_e32 v4, 0x7f000000, v1
	v_ffbh_u32_e32 v5, v4
	v_min_u32_e32 v5, 32, v5
	v_sub_u32_e64 v5, v5, 4 clamp
	v_lshlrev_b32_e32 v7, v5, v4
	v_lshlrev_b32_e32 v5, 23, v5
	v_lshrrev_b32_e32 v7, 4, v7
	v_add_u32_e32 v6, 0x1000000, v4
	v_sub_u32_e32 v5, v7, v5
	v_ashrrev_i32_e32 v6, 8, v6
	v_add_u32_e32 v5, 0x3c000000, v5
	v_and_or_b32 v5, v6, s2, v5
	v_cmp_ne_u32_e32 vcc, 0, v4
	s_brev_b32 s2, 1
	s_nop 0
	v_cndmask_b32_e32 v4, 0, v5, vcc
	v_and_or_b32 v1, v1, s2, v4
.LBB520_1105:
	s_mov_b64 s[2:3], 0
.LBB520_1106:
	s_andn2_b64 vcc, exec, s[2:3]
	s_cbranch_vccnz .LBB520_1108
; %bb.1107:
	global_load_ubyte v1, v[2:3], off
	s_movk_i32 s2, 0x7f00
	s_brev_b32 s3, 16
	s_waitcnt vmcnt(0)
	v_lshlrev_b16_e32 v4, 8, v1
	v_lshlrev_b32_e32 v1, 25, v1
	v_lshrrev_b32_e32 v5, 4, v1
	v_and_or_b32 v6, v4, s2, 0.5
	v_or_b32_e32 v5, 0x70000000, v5
	v_add_f32_e32 v6, -0.5, v6
	v_mul_f32_e32 v5, 0x7800000, v5
	v_cmp_gt_u32_e32 vcc, s3, v1
	v_bfe_i32 v4, v4, 0, 16
	s_brev_b32 s2, 1
	v_cndmask_b32_e32 v1, v5, v6, vcc
	v_and_or_b32 v1, v4, s2, v1
.LBB520_1108:
	s_mov_b64 s[20:21], -1
	s_mov_b64 s[2:3], 0
	s_cbranch_execnz .LBB520_1119
.LBB520_1109:
	s_cmp_gt_i32 s26, 14
	s_cbranch_scc0 .LBB520_1112
; %bb.1110:
	s_cmp_eq_u32 s26, 15
	s_cbranch_scc0 .LBB520_1115
; %bb.1111:
	global_load_ushort v1, v[2:3], off
	s_mov_b64 s[0:1], 0
	s_mov_b64 s[20:21], -1
	s_waitcnt vmcnt(0)
	v_lshlrev_b32_e32 v1, 16, v1
	s_branch .LBB520_1116
.LBB520_1112:
	s_mov_b64 s[18:19], -1
                                        ; implicit-def: $vgpr1
	s_branch .LBB520_1117
.LBB520_1113:
	s_or_saveexec_b64 s[18:19], s[18:19]
	v_mov_b32_e32 v1, 0x7f800001
	s_xor_b64 exec, exec, s[18:19]
	s_cbranch_execz .LBB520_1095
.LBB520_1114:
	v_cmp_ne_u16_e32 vcc, 0, v4
	s_andn2_b64 s[2:3], s[2:3], exec
	s_and_b64 s[20:21], vcc, exec
	v_mov_b32_e32 v1, 0
	s_or_b64 s[2:3], s[2:3], s[20:21]
	s_or_b64 exec, exec, s[18:19]
	s_and_saveexec_b64 s[18:19], s[2:3]
	s_cbranch_execnz .LBB520_1096
	s_branch .LBB520_1097
.LBB520_1115:
	s_mov_b64 s[0:1], -1
                                        ; implicit-def: $vgpr1
.LBB520_1116:
	s_mov_b64 s[18:19], 0
.LBB520_1117:
	s_and_b64 vcc, exec, s[18:19]
	s_cbranch_vccz .LBB520_1119
; %bb.1118:
	s_cmp_lg_u32 s26, 11
	s_mov_b64 s[2:3], -1
	s_cselect_b64 s[0:1], -1, 0
.LBB520_1119:
	s_and_b64 vcc, exec, s[0:1]
	s_mov_b64 s[18:19], s[16:17]
	s_cbranch_vccnz .LBB520_1184
; %bb.1120:
	s_andn2_b64 vcc, exec, s[2:3]
	s_cbranch_vccnz .LBB520_1122
.LBB520_1121:
	global_load_ubyte v1, v[2:3], off
	s_mov_b64 s[20:21], -1
	s_waitcnt vmcnt(0)
	v_cmp_ne_u16_e32 vcc, 0, v1
	s_nop 1
	v_cndmask_b32_e64 v1, 0, 1.0, vcc
.LBB520_1122:
	s_branch .LBB520_1052
.LBB520_1123:
	s_cmp_lt_i32 s26, 5
	s_cbranch_scc1 .LBB520_1128
; %bb.1124:
	s_cmp_lt_i32 s26, 8
	s_cbranch_scc1 .LBB520_1129
; %bb.1125:
	;; [unrolled: 3-line block ×3, first 2 shown]
	s_cmp_gt_i32 s26, 9
	s_cbranch_scc0 .LBB520_1131
; %bb.1127:
	global_load_dwordx2 v[4:5], v[2:3], off
	s_mov_b64 s[0:1], 0
	s_waitcnt vmcnt(0)
	v_cvt_f32_f64_e32 v1, v[4:5]
	s_branch .LBB520_1132
.LBB520_1128:
                                        ; implicit-def: $vgpr1
	s_branch .LBB520_1149
.LBB520_1129:
                                        ; implicit-def: $vgpr1
	s_branch .LBB520_1138
.LBB520_1130:
	s_mov_b64 s[0:1], -1
                                        ; implicit-def: $vgpr1
	s_branch .LBB520_1135
.LBB520_1131:
	s_mov_b64 s[0:1], -1
                                        ; implicit-def: $vgpr1
.LBB520_1132:
	s_andn2_b64 vcc, exec, s[0:1]
	s_cbranch_vccnz .LBB520_1134
; %bb.1133:
	global_load_dword v1, v[2:3], off
.LBB520_1134:
	s_mov_b64 s[0:1], 0
.LBB520_1135:
	s_andn2_b64 vcc, exec, s[0:1]
	s_cbranch_vccnz .LBB520_1137
; %bb.1136:
	global_load_dword v1, v[2:3], off
	s_waitcnt vmcnt(0)
	v_cvt_f32_f16_e32 v1, v1
.LBB520_1137:
	s_cbranch_execnz .LBB520_1148
.LBB520_1138:
	s_cmp_lt_i32 s26, 6
	s_cbranch_scc1 .LBB520_1141
; %bb.1139:
	s_cmp_gt_i32 s26, 6
	s_cbranch_scc0 .LBB520_1142
; %bb.1140:
	global_load_dwordx2 v[4:5], v[2:3], off
	s_mov_b64 s[0:1], 0
	s_waitcnt vmcnt(0)
	v_cvt_f32_f64_e32 v1, v[4:5]
	s_branch .LBB520_1143
.LBB520_1141:
	s_mov_b64 s[0:1], -1
                                        ; implicit-def: $vgpr1
	s_branch .LBB520_1146
.LBB520_1142:
	s_mov_b64 s[0:1], -1
                                        ; implicit-def: $vgpr1
.LBB520_1143:
	s_andn2_b64 vcc, exec, s[0:1]
	s_cbranch_vccnz .LBB520_1145
; %bb.1144:
	global_load_dword v1, v[2:3], off
.LBB520_1145:
	s_mov_b64 s[0:1], 0
.LBB520_1146:
	s_andn2_b64 vcc, exec, s[0:1]
	s_cbranch_vccnz .LBB520_1148
; %bb.1147:
	global_load_ushort v1, v[2:3], off
	s_waitcnt vmcnt(0)
	v_cvt_f32_f16_e32 v1, v1
.LBB520_1148:
	s_cbranch_execnz .LBB520_1167
.LBB520_1149:
	s_cmp_lt_i32 s26, 2
	s_cbranch_scc1 .LBB520_1153
; %bb.1150:
	s_cmp_lt_i32 s26, 3
	s_cbranch_scc1 .LBB520_1154
; %bb.1151:
	s_cmp_gt_i32 s26, 3
	s_cbranch_scc0 .LBB520_1155
; %bb.1152:
	global_load_dwordx2 v[4:5], v[2:3], off
	s_mov_b64 s[0:1], 0
	s_waitcnt vmcnt(0)
	v_xor_b32_e32 v6, v4, v5
	v_ffbh_i32_e32 v1, v5
	v_ashrrev_i32_e32 v6, 31, v6
	v_add_u32_e32 v1, -1, v1
	v_add_u32_e32 v6, 32, v6
	v_min_u32_e32 v1, v1, v6
	v_lshlrev_b64 v[4:5], v1, v[4:5]
	v_min_u32_e32 v4, 1, v4
	v_or_b32_e32 v4, v5, v4
	v_cvt_f32_i32_e32 v4, v4
	v_sub_u32_e32 v1, 32, v1
	v_ldexp_f32 v1, v4, v1
	s_branch .LBB520_1156
.LBB520_1153:
                                        ; implicit-def: $vgpr1
	s_branch .LBB520_1162
.LBB520_1154:
	s_mov_b64 s[0:1], -1
                                        ; implicit-def: $vgpr1
	s_branch .LBB520_1159
.LBB520_1155:
	s_mov_b64 s[0:1], -1
                                        ; implicit-def: $vgpr1
.LBB520_1156:
	s_andn2_b64 vcc, exec, s[0:1]
	s_cbranch_vccnz .LBB520_1158
; %bb.1157:
	global_load_dword v1, v[2:3], off
	s_waitcnt vmcnt(0)
	v_cvt_f32_i32_e32 v1, v1
.LBB520_1158:
	s_mov_b64 s[0:1], 0
.LBB520_1159:
	s_andn2_b64 vcc, exec, s[0:1]
	s_cbranch_vccnz .LBB520_1161
; %bb.1160:
	global_load_sshort v1, v[2:3], off
	s_waitcnt vmcnt(0)
	v_cvt_f32_i32_e32 v1, v1
.LBB520_1161:
	s_cbranch_execnz .LBB520_1167
.LBB520_1162:
	s_cmp_gt_i32 s26, 0
	s_cbranch_scc0 .LBB520_1164
; %bb.1163:
	global_load_sbyte v1, v[2:3], off
	s_mov_b64 s[0:1], 0
	s_waitcnt vmcnt(0)
	v_cvt_f32_i32_e32 v1, v1
	s_branch .LBB520_1165
.LBB520_1164:
	s_mov_b64 s[0:1], -1
                                        ; implicit-def: $vgpr1
.LBB520_1165:
	s_andn2_b64 vcc, exec, s[0:1]
	s_cbranch_vccnz .LBB520_1167
; %bb.1166:
	global_load_ubyte v1, v[2:3], off
	s_waitcnt vmcnt(0)
	v_cvt_f32_ubyte0_e32 v1, v1
.LBB520_1167:
.LBB520_1168:
	s_waitcnt vmcnt(0)
	v_cmp_o_f32_e32 vcc, v1, v1
	v_mov_b32_e32 v2, s10
	s_and_saveexec_b64 s[0:1], vcc
	s_cbranch_execz .LBB520_1172
; %bb.1169:
	s_mov_b32 s2, 0x7f800000
	v_cmp_neq_f32_e32 vcc, s2, v1
	v_mov_b32_e32 v2, s11
	s_and_saveexec_b64 s[2:3], vcc
; %bb.1170:
	s_mov_b32 s20, 0xff800000
	v_mov_b32_e32 v2, s12
	v_cmp_eq_f32_e32 vcc, s20, v1
	s_nop 1
	v_cndmask_b32_e32 v2, v1, v2, vcc
; %bb.1171:
	s_or_b64 exec, exec, s[2:3]
.LBB520_1172:
	s_or_b64 exec, exec, s[0:1]
	s_lshl_b32 s9, s9, 7
	v_add_u32_e32 v0, s9, v0
	v_ashrrev_i32_e32 v1, 31, v0
	s_cmp_lt_i32 s26, 11
	v_lshl_add_u64 v[4:5], s[6:7], 0, v[0:1]
	s_cbranch_scc1 .LBB520_1179
; %bb.1173:
	s_cmp_gt_i32 s26, 25
	s_mov_b64 s[2:3], 0
	s_cbranch_scc0 .LBB520_1181
; %bb.1174:
	s_cmp_gt_i32 s26, 28
	s_cbranch_scc0 .LBB520_1182
; %bb.1175:
	s_cmp_gt_i32 s26, 43
	s_cbranch_scc0 .LBB520_1183
; %bb.1176:
	s_cmp_gt_i32 s26, 45
	s_cbranch_scc0 .LBB520_1185
; %bb.1177:
	s_cmp_eq_u32 s26, 46
	s_mov_b64 s[22:23], 0
	s_cbranch_scc0 .LBB520_1188
; %bb.1178:
	global_load_dword v1, v[4:5], off
	s_mov_b64 s[0:1], 0
	s_mov_b64 s[20:21], -1
	s_waitcnt vmcnt(0)
	v_lshlrev_b32_e32 v1, 16, v1
	s_branch .LBB520_1189
.LBB520_1179:
	s_mov_b64 s[20:21], 0
                                        ; implicit-def: $vgpr1
	s_cbranch_execnz .LBB520_1254
.LBB520_1180:
	s_andn2_b64 vcc, exec, s[20:21]
	s_cbranch_vccnz .LBB520_1650
	s_branch .LBB520_1301
.LBB520_1181:
	s_mov_b64 s[20:21], 0
	s_mov_b64 s[0:1], 0
                                        ; implicit-def: $vgpr1
	s_cbranch_execnz .LBB520_1218
	s_branch .LBB520_1250
.LBB520_1182:
	s_mov_b64 s[22:23], -1
	s_mov_b64 s[20:21], 0
	s_mov_b64 s[0:1], 0
                                        ; implicit-def: $vgpr1
	s_branch .LBB520_1199
.LBB520_1183:
	s_mov_b64 s[22:23], -1
	s_mov_b64 s[20:21], 0
	s_mov_b64 s[0:1], 0
                                        ; implicit-def: $vgpr1
	s_branch .LBB520_1194
.LBB520_1184:
	s_or_b64 s[18:19], s[16:17], exec
	s_trap 2
	s_cbranch_execz .LBB520_1121
	s_branch .LBB520_1122
.LBB520_1185:
	s_mov_b64 s[22:23], -1
	s_mov_b64 s[20:21], 0
	s_mov_b64 s[0:1], 0
                                        ; implicit-def: $vgpr1
	s_branch .LBB520_1189
.LBB520_1186:
	s_andn2_saveexec_b64 s[28:29], s[28:29]
	s_cbranch_execz .LBB520_968
.LBB520_1187:
	s_mov_b32 s34, 0x42800000
	v_add_f32_e64 v1, |v0|, s34
	v_and_b32_e32 v1, 0xff, v1
	v_cmp_ne_u32_e32 vcc, 0, v1
	s_andn2_b64 s[26:27], s[26:27], exec
	s_and_b64 s[34:35], vcc, exec
	s_or_b64 s[26:27], s[26:27], s[34:35]
	s_or_b64 exec, exec, s[28:29]
	v_mov_b32_e32 v4, 0
	s_and_saveexec_b64 s[28:29], s[26:27]
	s_cbranch_execnz .LBB520_969
	s_branch .LBB520_970
.LBB520_1188:
	s_mov_b64 s[0:1], -1
                                        ; implicit-def: $vgpr1
	s_mov_b64 s[20:21], 0
.LBB520_1189:
	s_and_b64 vcc, exec, s[22:23]
	s_cbranch_vccz .LBB520_1193
; %bb.1190:
	s_cmp_eq_u32 s26, 44
	s_cbranch_scc0 .LBB520_1192
; %bb.1191:
	global_load_ubyte v1, v[4:5], off
	s_movk_i32 s20, 0xff
	v_mov_b32_e32 v3, 0x7f800001
	v_mov_b32_e32 v6, 0x400000
	s_mov_b64 s[0:1], 0
	s_waitcnt vmcnt(0)
	v_lshlrev_b32_e32 v7, 23, v1
	v_cmp_ne_u32_e32 vcc, s20, v1
	s_mov_b64 s[20:21], -1
	s_nop 0
	v_cndmask_b32_e32 v3, v3, v7, vcc
	v_cmp_ne_u32_e32 vcc, 0, v1
	s_nop 1
	v_cndmask_b32_e32 v1, v6, v3, vcc
	s_branch .LBB520_1193
.LBB520_1192:
	s_mov_b64 s[0:1], -1
                                        ; implicit-def: $vgpr1
.LBB520_1193:
	s_mov_b64 s[22:23], 0
.LBB520_1194:
	s_and_b64 vcc, exec, s[22:23]
	s_cbranch_vccz .LBB520_1198
; %bb.1195:
	s_cmp_eq_u32 s26, 29
	s_cbranch_scc0 .LBB520_1197
; %bb.1196:
	global_load_dwordx2 v[6:7], v[4:5], off
	s_mov_b64 s[0:1], 0
	s_mov_b64 s[20:21], -1
	s_mov_b64 s[22:23], 0
	s_waitcnt vmcnt(0)
	v_ffbh_u32_e32 v1, v7
	v_min_u32_e32 v1, 32, v1
	v_lshlrev_b64 v[6:7], v1, v[6:7]
	v_min_u32_e32 v3, 1, v6
	v_or_b32_e32 v3, v7, v3
	v_cvt_f32_u32_e32 v3, v3
	v_sub_u32_e32 v1, 32, v1
	v_ldexp_f32 v1, v3, v1
	s_branch .LBB520_1199
.LBB520_1197:
	s_mov_b64 s[0:1], -1
                                        ; implicit-def: $vgpr1
.LBB520_1198:
	s_mov_b64 s[22:23], 0
.LBB520_1199:
	s_and_b64 vcc, exec, s[22:23]
	s_cbranch_vccz .LBB520_1217
; %bb.1200:
	s_cmp_lt_i32 s26, 27
	s_cbranch_scc1 .LBB520_1203
; %bb.1201:
	s_cmp_gt_i32 s26, 27
	s_cbranch_scc0 .LBB520_1204
; %bb.1202:
	global_load_dword v1, v[4:5], off
	s_mov_b64 s[20:21], 0
	s_waitcnt vmcnt(0)
	v_cvt_f32_u32_e32 v1, v1
	s_branch .LBB520_1205
.LBB520_1203:
	s_mov_b64 s[20:21], -1
                                        ; implicit-def: $vgpr1
	s_branch .LBB520_1208
.LBB520_1204:
	s_mov_b64 s[20:21], -1
                                        ; implicit-def: $vgpr1
.LBB520_1205:
	s_andn2_b64 vcc, exec, s[20:21]
	s_cbranch_vccnz .LBB520_1207
; %bb.1206:
	global_load_ushort v1, v[4:5], off
	s_waitcnt vmcnt(0)
	v_cvt_f32_u32_e32 v1, v1
.LBB520_1207:
	s_mov_b64 s[20:21], 0
.LBB520_1208:
	s_andn2_b64 vcc, exec, s[20:21]
	s_cbranch_vccnz .LBB520_1216
; %bb.1209:
	global_load_ubyte v3, v[4:5], off
	s_movk_i32 s20, 0x7f
	s_waitcnt vmcnt(0)
	v_cmp_lt_i16_e32 vcc, s20, v3
	s_mov_b64 s[20:21], 0
	s_and_saveexec_b64 s[22:23], vcc
	s_xor_b64 s[22:23], exec, s[22:23]
	s_cbranch_execz .LBB520_1229
; %bb.1210:
	s_movk_i32 s20, 0x80
	v_cmp_eq_u16_e32 vcc, s20, v3
	s_mov_b64 s[20:21], -1
	s_and_saveexec_b64 s[24:25], vcc
; %bb.1211:
	s_xor_b64 s[20:21], exec, -1
; %bb.1212:
	s_or_b64 exec, exec, s[24:25]
	s_and_b64 s[20:21], s[20:21], exec
	s_or_saveexec_b64 s[22:23], s[22:23]
	v_mov_b32_e32 v1, 0x7f800001
	s_xor_b64 exec, exec, s[22:23]
	s_cbranch_execnz .LBB520_1230
.LBB520_1213:
	s_or_b64 exec, exec, s[22:23]
	s_and_saveexec_b64 s[22:23], s[20:21]
	s_cbranch_execz .LBB520_1215
.LBB520_1214:
	v_lshlrev_b32_e32 v1, 24, v3
	v_and_b32_e32 v3, 0xffff, v3
	v_and_b32_e32 v6, 7, v3
	v_ffbh_u32_e32 v9, v6
	v_min_u32_e32 v9, 32, v9
	v_subrev_u32_e32 v10, 28, v9
	v_bfe_u32 v7, v3, 3, 4
	v_lshlrev_b32_e32 v3, v10, v3
	v_sub_u32_e32 v9, 29, v9
	v_and_b32_e32 v3, 7, v3
	v_cmp_eq_u32_e32 vcc, 0, v7
	v_and_b32_e32 v1, 0x80000000, v1
	s_nop 0
	v_cndmask_b32_e32 v7, v7, v9, vcc
	v_cndmask_b32_e32 v3, v6, v3, vcc
	v_mov_b32_e32 v6, 0x3b800000
	v_lshlrev_b32_e32 v3, 20, v3
	v_lshl_add_u32 v6, v7, 23, v6
	v_or3_b32 v1, v1, v6, v3
.LBB520_1215:
	s_or_b64 exec, exec, s[22:23]
.LBB520_1216:
	s_mov_b64 s[20:21], -1
.LBB520_1217:
	s_branch .LBB520_1250
.LBB520_1218:
	s_cmp_gt_i32 s26, 22
	s_cbranch_scc0 .LBB520_1228
; %bb.1219:
	s_cmp_lt_i32 s26, 24
	s_cbranch_scc1 .LBB520_1231
; %bb.1220:
	s_cmp_gt_i32 s26, 24
	s_cbranch_scc0 .LBB520_1232
; %bb.1221:
	global_load_ubyte v3, v[4:5], off
	s_movk_i32 s2, 0x7f
	s_waitcnt vmcnt(0)
	v_cmp_lt_i16_e32 vcc, s2, v3
	s_mov_b64 s[2:3], 0
	s_and_saveexec_b64 s[20:21], vcc
	s_xor_b64 s[20:21], exec, s[20:21]
	s_cbranch_execz .LBB520_1244
; %bb.1222:
	s_movk_i32 s2, 0x80
	v_cmp_eq_u16_e32 vcc, s2, v3
	s_mov_b64 s[2:3], -1
	s_and_saveexec_b64 s[22:23], vcc
; %bb.1223:
	s_xor_b64 s[2:3], exec, -1
; %bb.1224:
	s_or_b64 exec, exec, s[22:23]
	s_and_b64 s[2:3], s[2:3], exec
	s_or_saveexec_b64 s[20:21], s[20:21]
	v_mov_b32_e32 v1, 0x7f800001
	s_xor_b64 exec, exec, s[20:21]
	s_cbranch_execnz .LBB520_1245
.LBB520_1225:
	s_or_b64 exec, exec, s[20:21]
	s_and_saveexec_b64 s[20:21], s[2:3]
	s_cbranch_execz .LBB520_1227
.LBB520_1226:
	v_lshlrev_b32_e32 v1, 24, v3
	v_and_b32_e32 v3, 0xffff, v3
	v_and_b32_e32 v6, 3, v3
	v_ffbh_u32_e32 v9, v6
	v_min_u32_e32 v9, 32, v9
	v_subrev_u32_e32 v10, 29, v9
	v_bfe_u32 v7, v3, 2, 5
	v_lshlrev_b32_e32 v3, v10, v3
	v_sub_u32_e32 v9, 30, v9
	v_and_b32_e32 v3, 3, v3
	v_cmp_eq_u32_e32 vcc, 0, v7
	v_and_b32_e32 v1, 0x80000000, v1
	s_nop 0
	v_cndmask_b32_e32 v7, v7, v9, vcc
	v_cndmask_b32_e32 v3, v6, v3, vcc
	v_mov_b32_e32 v6, 0x37800000
	v_lshlrev_b32_e32 v3, 21, v3
	v_lshl_add_u32 v6, v7, 23, v6
	v_or3_b32 v1, v1, v6, v3
.LBB520_1227:
	s_or_b64 exec, exec, s[20:21]
	s_mov_b64 s[2:3], 0
	s_branch .LBB520_1233
.LBB520_1228:
	s_mov_b64 s[2:3], -1
                                        ; implicit-def: $vgpr1
	s_branch .LBB520_1239
.LBB520_1229:
	s_or_saveexec_b64 s[22:23], s[22:23]
	v_mov_b32_e32 v1, 0x7f800001
	s_xor_b64 exec, exec, s[22:23]
	s_cbranch_execz .LBB520_1213
.LBB520_1230:
	v_cmp_ne_u16_e32 vcc, 0, v3
	s_andn2_b64 s[20:21], s[20:21], exec
	s_and_b64 s[24:25], vcc, exec
	v_mov_b32_e32 v1, 0
	s_or_b64 s[20:21], s[20:21], s[24:25]
	s_or_b64 exec, exec, s[22:23]
	s_and_saveexec_b64 s[22:23], s[20:21]
	s_cbranch_execnz .LBB520_1214
	s_branch .LBB520_1215
.LBB520_1231:
	s_mov_b64 s[2:3], -1
                                        ; implicit-def: $vgpr1
	s_branch .LBB520_1236
.LBB520_1232:
	s_mov_b64 s[2:3], -1
                                        ; implicit-def: $vgpr1
.LBB520_1233:
	s_and_b64 vcc, exec, s[2:3]
	s_cbranch_vccz .LBB520_1235
; %bb.1234:
	global_load_ubyte v1, v[4:5], off
	s_mov_b32 s2, 0x7f800000
	s_waitcnt vmcnt(0)
	v_lshlrev_b32_e32 v1, 24, v1
	v_and_b32_e32 v3, 0x7f000000, v1
	v_ffbh_u32_e32 v6, v3
	v_min_u32_e32 v6, 32, v6
	v_sub_u32_e64 v6, v6, 4 clamp
	v_lshlrev_b32_e32 v9, v6, v3
	v_lshlrev_b32_e32 v6, 23, v6
	v_lshrrev_b32_e32 v9, 4, v9
	v_add_u32_e32 v7, 0x1000000, v3
	v_sub_u32_e32 v6, v9, v6
	v_ashrrev_i32_e32 v7, 8, v7
	v_add_u32_e32 v6, 0x3c000000, v6
	v_and_or_b32 v6, v7, s2, v6
	v_cmp_ne_u32_e32 vcc, 0, v3
	s_brev_b32 s2, 1
	s_nop 0
	v_cndmask_b32_e32 v3, 0, v6, vcc
	v_and_or_b32 v1, v1, s2, v3
.LBB520_1235:
	s_mov_b64 s[2:3], 0
.LBB520_1236:
	s_andn2_b64 vcc, exec, s[2:3]
	s_cbranch_vccnz .LBB520_1238
; %bb.1237:
	global_load_ubyte v1, v[4:5], off
	s_movk_i32 s2, 0x7f00
	s_brev_b32 s3, 16
	s_waitcnt vmcnt(0)
	v_lshlrev_b16_e32 v3, 8, v1
	v_lshlrev_b32_e32 v1, 25, v1
	v_lshrrev_b32_e32 v6, 4, v1
	v_and_or_b32 v7, v3, s2, 0.5
	v_or_b32_e32 v6, 0x70000000, v6
	v_add_f32_e32 v7, -0.5, v7
	v_mul_f32_e32 v6, 0x7800000, v6
	v_cmp_gt_u32_e32 vcc, s3, v1
	v_bfe_i32 v3, v3, 0, 16
	s_brev_b32 s2, 1
	v_cndmask_b32_e32 v1, v6, v7, vcc
	v_and_or_b32 v1, v3, s2, v1
.LBB520_1238:
	s_mov_b64 s[2:3], 0
	s_mov_b64 s[20:21], -1
.LBB520_1239:
	s_andn2_b64 vcc, exec, s[2:3]
	s_mov_b64 s[2:3], 0
	s_cbranch_vccnz .LBB520_1250
; %bb.1240:
	s_cmp_gt_i32 s26, 14
	s_cbranch_scc0 .LBB520_1243
; %bb.1241:
	s_cmp_eq_u32 s26, 15
	s_cbranch_scc0 .LBB520_1246
; %bb.1242:
	global_load_ushort v1, v[4:5], off
	s_mov_b64 s[0:1], 0
	s_mov_b64 s[20:21], -1
	s_waitcnt vmcnt(0)
	v_lshlrev_b32_e32 v1, 16, v1
	s_branch .LBB520_1247
.LBB520_1243:
	s_mov_b64 s[22:23], -1
                                        ; implicit-def: $vgpr1
	s_branch .LBB520_1248
.LBB520_1244:
	s_or_saveexec_b64 s[20:21], s[20:21]
	v_mov_b32_e32 v1, 0x7f800001
	s_xor_b64 exec, exec, s[20:21]
	s_cbranch_execz .LBB520_1225
.LBB520_1245:
	v_cmp_ne_u16_e32 vcc, 0, v3
	s_andn2_b64 s[2:3], s[2:3], exec
	s_and_b64 s[22:23], vcc, exec
	v_mov_b32_e32 v1, 0
	s_or_b64 s[2:3], s[2:3], s[22:23]
	s_or_b64 exec, exec, s[20:21]
	s_and_saveexec_b64 s[20:21], s[2:3]
	s_cbranch_execnz .LBB520_1226
	s_branch .LBB520_1227
.LBB520_1246:
	s_mov_b64 s[0:1], -1
                                        ; implicit-def: $vgpr1
.LBB520_1247:
	s_mov_b64 s[22:23], 0
.LBB520_1248:
	s_and_b64 vcc, exec, s[22:23]
	s_cbranch_vccz .LBB520_1250
; %bb.1249:
	s_cmp_lg_u32 s26, 11
	s_mov_b64 s[2:3], -1
	s_cselect_b64 s[0:1], -1, 0
.LBB520_1250:
	s_and_b64 vcc, exec, s[0:1]
	s_cbranch_vccnz .LBB520_1317
; %bb.1251:
	s_andn2_b64 vcc, exec, s[2:3]
	s_cbranch_vccnz .LBB520_1253
.LBB520_1252:
	global_load_ubyte v1, v[4:5], off
	s_mov_b64 s[20:21], -1
	s_waitcnt vmcnt(0)
	v_cmp_ne_u16_e32 vcc, 0, v1
	s_nop 1
	v_cndmask_b32_e64 v1, 0, 1.0, vcc
.LBB520_1253:
	s_branch .LBB520_1180
.LBB520_1254:
	s_cmp_lt_i32 s26, 5
	s_cbranch_scc1 .LBB520_1259
; %bb.1255:
	s_cmp_lt_i32 s26, 8
	s_cbranch_scc1 .LBB520_1260
; %bb.1256:
	;; [unrolled: 3-line block ×3, first 2 shown]
	s_cmp_gt_i32 s26, 9
	s_cbranch_scc0 .LBB520_1262
; %bb.1258:
	global_load_dwordx2 v[6:7], v[4:5], off
	s_mov_b64 s[0:1], 0
	s_waitcnt vmcnt(0)
	v_cvt_f32_f64_e32 v1, v[6:7]
	s_branch .LBB520_1263
.LBB520_1259:
                                        ; implicit-def: $vgpr1
	s_branch .LBB520_1281
.LBB520_1260:
	s_mov_b64 s[0:1], -1
                                        ; implicit-def: $vgpr1
	s_branch .LBB520_1269
.LBB520_1261:
	s_mov_b64 s[0:1], -1
                                        ; implicit-def: $vgpr1
	s_branch .LBB520_1266
.LBB520_1262:
	s_mov_b64 s[0:1], -1
                                        ; implicit-def: $vgpr1
.LBB520_1263:
	s_andn2_b64 vcc, exec, s[0:1]
	s_cbranch_vccnz .LBB520_1265
; %bb.1264:
	global_load_dword v1, v[4:5], off
.LBB520_1265:
	s_mov_b64 s[0:1], 0
.LBB520_1266:
	s_andn2_b64 vcc, exec, s[0:1]
	s_cbranch_vccnz .LBB520_1268
; %bb.1267:
	global_load_dword v1, v[4:5], off
	s_waitcnt vmcnt(0)
	v_cvt_f32_f16_e32 v1, v1
.LBB520_1268:
	s_mov_b64 s[0:1], 0
.LBB520_1269:
	s_andn2_b64 vcc, exec, s[0:1]
	s_cbranch_vccnz .LBB520_1280
; %bb.1270:
	s_cmp_lt_i32 s26, 6
	s_cbranch_scc1 .LBB520_1273
; %bb.1271:
	s_cmp_gt_i32 s26, 6
	s_cbranch_scc0 .LBB520_1274
; %bb.1272:
	global_load_dwordx2 v[6:7], v[4:5], off
	s_mov_b64 s[0:1], 0
	s_waitcnt vmcnt(0)
	v_cvt_f32_f64_e32 v1, v[6:7]
	s_branch .LBB520_1275
.LBB520_1273:
	s_mov_b64 s[0:1], -1
                                        ; implicit-def: $vgpr1
	s_branch .LBB520_1278
.LBB520_1274:
	s_mov_b64 s[0:1], -1
                                        ; implicit-def: $vgpr1
.LBB520_1275:
	s_andn2_b64 vcc, exec, s[0:1]
	s_cbranch_vccnz .LBB520_1277
; %bb.1276:
	global_load_dword v1, v[4:5], off
.LBB520_1277:
	s_mov_b64 s[0:1], 0
.LBB520_1278:
	s_andn2_b64 vcc, exec, s[0:1]
	s_cbranch_vccnz .LBB520_1280
; %bb.1279:
	global_load_ushort v1, v[4:5], off
	s_waitcnt vmcnt(0)
	v_cvt_f32_f16_e32 v1, v1
.LBB520_1280:
	s_cbranch_execnz .LBB520_1300
.LBB520_1281:
	s_cmp_lt_i32 s26, 2
	s_cbranch_scc1 .LBB520_1285
; %bb.1282:
	s_cmp_lt_i32 s26, 3
	s_cbranch_scc1 .LBB520_1286
; %bb.1283:
	s_cmp_gt_i32 s26, 3
	s_cbranch_scc0 .LBB520_1287
; %bb.1284:
	global_load_dwordx2 v[6:7], v[4:5], off
	s_mov_b64 s[0:1], 0
	s_waitcnt vmcnt(0)
	v_xor_b32_e32 v3, v6, v7
	v_ffbh_i32_e32 v1, v7
	v_ashrrev_i32_e32 v3, 31, v3
	v_add_u32_e32 v1, -1, v1
	v_add_u32_e32 v3, 32, v3
	v_min_u32_e32 v1, v1, v3
	v_lshlrev_b64 v[6:7], v1, v[6:7]
	v_min_u32_e32 v3, 1, v6
	v_or_b32_e32 v3, v7, v3
	v_cvt_f32_i32_e32 v3, v3
	v_sub_u32_e32 v1, 32, v1
	v_ldexp_f32 v1, v3, v1
	s_branch .LBB520_1288
.LBB520_1285:
	s_mov_b64 s[0:1], -1
                                        ; implicit-def: $vgpr1
	s_branch .LBB520_1294
.LBB520_1286:
	s_mov_b64 s[0:1], -1
                                        ; implicit-def: $vgpr1
	s_branch .LBB520_1291
.LBB520_1287:
	s_mov_b64 s[0:1], -1
                                        ; implicit-def: $vgpr1
.LBB520_1288:
	s_andn2_b64 vcc, exec, s[0:1]
	s_cbranch_vccnz .LBB520_1290
; %bb.1289:
	global_load_dword v1, v[4:5], off
	s_waitcnt vmcnt(0)
	v_cvt_f32_i32_e32 v1, v1
.LBB520_1290:
	s_mov_b64 s[0:1], 0
.LBB520_1291:
	s_andn2_b64 vcc, exec, s[0:1]
	s_cbranch_vccnz .LBB520_1293
; %bb.1292:
	global_load_sshort v1, v[4:5], off
	s_waitcnt vmcnt(0)
	v_cvt_f32_i32_e32 v1, v1
.LBB520_1293:
	s_mov_b64 s[0:1], 0
.LBB520_1294:
	s_andn2_b64 vcc, exec, s[0:1]
	s_cbranch_vccnz .LBB520_1300
; %bb.1295:
	s_cmp_gt_i32 s26, 0
	s_cbranch_scc0 .LBB520_1297
; %bb.1296:
	global_load_sbyte v1, v[4:5], off
	s_mov_b64 s[0:1], 0
	s_waitcnt vmcnt(0)
	v_cvt_f32_i32_e32 v1, v1
	s_branch .LBB520_1298
.LBB520_1297:
	s_mov_b64 s[0:1], -1
                                        ; implicit-def: $vgpr1
.LBB520_1298:
	s_andn2_b64 vcc, exec, s[0:1]
	s_cbranch_vccnz .LBB520_1300
; %bb.1299:
	global_load_ubyte v1, v[4:5], off
	s_waitcnt vmcnt(0)
	v_cvt_f32_ubyte0_e32 v1, v1
.LBB520_1300:
.LBB520_1301:
	s_waitcnt vmcnt(0)
	v_cmp_o_f32_e32 vcc, v1, v1
	v_mov_b32_e32 v4, s10
	s_and_saveexec_b64 s[0:1], vcc
	s_cbranch_execz .LBB520_1305
; %bb.1302:
	s_mov_b32 s2, 0x7f800000
	v_cmp_neq_f32_e32 vcc, s2, v1
	v_mov_b32_e32 v4, s11
	s_and_saveexec_b64 s[2:3], vcc
; %bb.1303:
	s_mov_b32 s20, 0xff800000
	v_mov_b32_e32 v3, s12
	v_cmp_eq_f32_e32 vcc, s20, v1
	s_nop 1
	v_cndmask_b32_e32 v4, v1, v3, vcc
; %bb.1304:
	s_or_b64 exec, exec, s[2:3]
.LBB520_1305:
	s_or_b64 exec, exec, s[0:1]
	v_add_u32_e32 v0, s9, v0
	v_ashrrev_i32_e32 v1, 31, v0
	s_cmp_lt_i32 s26, 11
	v_lshl_add_u64 v[6:7], s[6:7], 0, v[0:1]
	s_cbranch_scc1 .LBB520_1312
; %bb.1306:
	s_cmp_gt_i32 s26, 25
	s_mov_b64 s[2:3], 0
	s_cbranch_scc0 .LBB520_1314
; %bb.1307:
	s_cmp_gt_i32 s26, 28
	s_cbranch_scc0 .LBB520_1315
; %bb.1308:
	s_cmp_gt_i32 s26, 43
	;; [unrolled: 3-line block ×3, first 2 shown]
	s_cbranch_scc0 .LBB520_1318
; %bb.1310:
	s_cmp_eq_u32 s26, 46
	s_mov_b64 s[22:23], 0
	s_cbranch_scc0 .LBB520_1319
; %bb.1311:
	global_load_dword v1, v[6:7], off
	s_mov_b64 s[0:1], 0
	s_mov_b64 s[20:21], -1
	s_waitcnt vmcnt(0)
	v_lshlrev_b32_e32 v1, 16, v1
	s_branch .LBB520_1320
.LBB520_1312:
	s_mov_b64 s[20:21], 0
                                        ; implicit-def: $vgpr1
	s_cbranch_execnz .LBB520_1386
.LBB520_1313:
	s_andn2_b64 vcc, exec, s[20:21]
	s_cbranch_vccnz .LBB520_1650
	s_branch .LBB520_1434
.LBB520_1314:
	s_mov_b64 s[22:23], -1
	s_mov_b64 s[20:21], 0
	s_mov_b64 s[0:1], 0
                                        ; implicit-def: $vgpr1
	s_branch .LBB520_1349
.LBB520_1315:
	s_mov_b64 s[22:23], -1
	s_mov_b64 s[20:21], 0
	s_mov_b64 s[0:1], 0
                                        ; implicit-def: $vgpr1
	s_branch .LBB520_1330
.LBB520_1316:
	s_mov_b64 s[22:23], -1
	s_mov_b64 s[20:21], 0
	s_mov_b64 s[0:1], 0
                                        ; implicit-def: $vgpr1
	s_branch .LBB520_1325
.LBB520_1317:
	s_trap 2
	s_or_b64 s[18:19], s[18:19], exec
	s_cbranch_execz .LBB520_1252
	s_branch .LBB520_1253
.LBB520_1318:
	s_mov_b64 s[22:23], -1
	s_mov_b64 s[20:21], 0
	s_mov_b64 s[0:1], 0
                                        ; implicit-def: $vgpr1
	s_branch .LBB520_1320
.LBB520_1319:
	s_mov_b64 s[0:1], -1
                                        ; implicit-def: $vgpr1
	s_mov_b64 s[20:21], 0
.LBB520_1320:
	s_and_b64 vcc, exec, s[22:23]
	s_cbranch_vccz .LBB520_1324
; %bb.1321:
	s_cmp_eq_u32 s26, 44
	s_cbranch_scc0 .LBB520_1323
; %bb.1322:
	global_load_ubyte v1, v[6:7], off
	s_movk_i32 s20, 0xff
	v_mov_b32_e32 v3, 0x7f800001
	v_mov_b32_e32 v5, 0x400000
	s_mov_b64 s[0:1], 0
	s_waitcnt vmcnt(0)
	v_lshlrev_b32_e32 v9, 23, v1
	v_cmp_ne_u32_e32 vcc, s20, v1
	s_mov_b64 s[20:21], -1
	s_nop 0
	v_cndmask_b32_e32 v3, v3, v9, vcc
	v_cmp_ne_u32_e32 vcc, 0, v1
	s_nop 1
	v_cndmask_b32_e32 v1, v5, v3, vcc
	s_branch .LBB520_1324
.LBB520_1323:
	s_mov_b64 s[0:1], -1
                                        ; implicit-def: $vgpr1
.LBB520_1324:
	s_mov_b64 s[22:23], 0
.LBB520_1325:
	s_and_b64 vcc, exec, s[22:23]
	s_cbranch_vccz .LBB520_1329
; %bb.1326:
	s_cmp_eq_u32 s26, 29
	s_cbranch_scc0 .LBB520_1328
; %bb.1327:
	global_load_dwordx2 v[10:11], v[6:7], off
	s_mov_b64 s[0:1], 0
	s_mov_b64 s[20:21], -1
	s_mov_b64 s[22:23], 0
	s_waitcnt vmcnt(0)
	v_ffbh_u32_e32 v1, v11
	v_min_u32_e32 v1, 32, v1
	v_lshlrev_b64 v[10:11], v1, v[10:11]
	v_min_u32_e32 v3, 1, v10
	v_or_b32_e32 v3, v11, v3
	v_cvt_f32_u32_e32 v3, v3
	v_sub_u32_e32 v1, 32, v1
	v_ldexp_f32 v1, v3, v1
	s_branch .LBB520_1330
.LBB520_1328:
	s_mov_b64 s[0:1], -1
                                        ; implicit-def: $vgpr1
.LBB520_1329:
	s_mov_b64 s[22:23], 0
.LBB520_1330:
	s_and_b64 vcc, exec, s[22:23]
	s_cbranch_vccz .LBB520_1348
; %bb.1331:
	s_cmp_lt_i32 s26, 27
	s_cbranch_scc1 .LBB520_1334
; %bb.1332:
	s_cmp_gt_i32 s26, 27
	s_cbranch_scc0 .LBB520_1335
; %bb.1333:
	global_load_dword v1, v[6:7], off
	s_mov_b64 s[20:21], 0
	s_waitcnt vmcnt(0)
	v_cvt_f32_u32_e32 v1, v1
	s_branch .LBB520_1336
.LBB520_1334:
	s_mov_b64 s[20:21], -1
                                        ; implicit-def: $vgpr1
	s_branch .LBB520_1339
.LBB520_1335:
	s_mov_b64 s[20:21], -1
                                        ; implicit-def: $vgpr1
.LBB520_1336:
	s_andn2_b64 vcc, exec, s[20:21]
	s_cbranch_vccnz .LBB520_1338
; %bb.1337:
	global_load_ushort v1, v[6:7], off
	s_waitcnt vmcnt(0)
	v_cvt_f32_u32_e32 v1, v1
.LBB520_1338:
	s_mov_b64 s[20:21], 0
.LBB520_1339:
	s_andn2_b64 vcc, exec, s[20:21]
	s_cbranch_vccnz .LBB520_1347
; %bb.1340:
	global_load_ubyte v3, v[6:7], off
	s_movk_i32 s20, 0x7f
	s_waitcnt vmcnt(0)
	v_cmp_lt_i16_e32 vcc, s20, v3
	s_mov_b64 s[20:21], 0
	s_and_saveexec_b64 s[22:23], vcc
	s_xor_b64 s[22:23], exec, s[22:23]
	s_cbranch_execz .LBB520_1361
; %bb.1341:
	s_movk_i32 s20, 0x80
	v_cmp_eq_u16_e32 vcc, s20, v3
	s_mov_b64 s[20:21], -1
	s_and_saveexec_b64 s[24:25], vcc
; %bb.1342:
	s_xor_b64 s[20:21], exec, -1
; %bb.1343:
	s_or_b64 exec, exec, s[24:25]
	s_and_b64 s[20:21], s[20:21], exec
	s_or_saveexec_b64 s[22:23], s[22:23]
	v_mov_b32_e32 v1, 0x7f800001
	s_xor_b64 exec, exec, s[22:23]
	s_cbranch_execnz .LBB520_1362
.LBB520_1344:
	s_or_b64 exec, exec, s[22:23]
	s_and_saveexec_b64 s[22:23], s[20:21]
	s_cbranch_execz .LBB520_1346
.LBB520_1345:
	v_lshlrev_b32_e32 v1, 24, v3
	v_and_b32_e32 v3, 0xffff, v3
	v_and_b32_e32 v5, 7, v3
	v_ffbh_u32_e32 v10, v5
	v_min_u32_e32 v10, 32, v10
	v_subrev_u32_e32 v11, 28, v10
	v_bfe_u32 v9, v3, 3, 4
	v_lshlrev_b32_e32 v3, v11, v3
	v_sub_u32_e32 v10, 29, v10
	v_and_b32_e32 v3, 7, v3
	v_cmp_eq_u32_e32 vcc, 0, v9
	v_and_b32_e32 v1, 0x80000000, v1
	s_nop 0
	v_cndmask_b32_e32 v9, v9, v10, vcc
	v_cndmask_b32_e32 v3, v5, v3, vcc
	v_mov_b32_e32 v5, 0x3b800000
	v_lshlrev_b32_e32 v3, 20, v3
	v_lshl_add_u32 v5, v9, 23, v5
	v_or3_b32 v1, v1, v5, v3
.LBB520_1346:
	s_or_b64 exec, exec, s[22:23]
.LBB520_1347:
	s_mov_b64 s[20:21], -1
.LBB520_1348:
	s_mov_b64 s[22:23], 0
.LBB520_1349:
	s_and_b64 vcc, exec, s[22:23]
	s_cbranch_vccz .LBB520_1382
; %bb.1350:
	s_cmp_gt_i32 s26, 22
	s_cbranch_scc0 .LBB520_1360
; %bb.1351:
	s_cmp_lt_i32 s26, 24
	s_cbranch_scc1 .LBB520_1363
; %bb.1352:
	s_cmp_gt_i32 s26, 24
	s_cbranch_scc0 .LBB520_1364
; %bb.1353:
	global_load_ubyte v3, v[6:7], off
	s_movk_i32 s2, 0x7f
	s_waitcnt vmcnt(0)
	v_cmp_lt_i16_e32 vcc, s2, v3
	s_mov_b64 s[2:3], 0
	s_and_saveexec_b64 s[20:21], vcc
	s_xor_b64 s[20:21], exec, s[20:21]
	s_cbranch_execz .LBB520_1376
; %bb.1354:
	s_movk_i32 s2, 0x80
	v_cmp_eq_u16_e32 vcc, s2, v3
	s_mov_b64 s[2:3], -1
	s_and_saveexec_b64 s[22:23], vcc
; %bb.1355:
	s_xor_b64 s[2:3], exec, -1
; %bb.1356:
	s_or_b64 exec, exec, s[22:23]
	s_and_b64 s[2:3], s[2:3], exec
	s_or_saveexec_b64 s[20:21], s[20:21]
	v_mov_b32_e32 v1, 0x7f800001
	s_xor_b64 exec, exec, s[20:21]
	s_cbranch_execnz .LBB520_1377
.LBB520_1357:
	s_or_b64 exec, exec, s[20:21]
	s_and_saveexec_b64 s[20:21], s[2:3]
	s_cbranch_execz .LBB520_1359
.LBB520_1358:
	v_lshlrev_b32_e32 v1, 24, v3
	v_and_b32_e32 v3, 0xffff, v3
	v_and_b32_e32 v5, 3, v3
	v_ffbh_u32_e32 v10, v5
	v_min_u32_e32 v10, 32, v10
	v_subrev_u32_e32 v11, 29, v10
	v_bfe_u32 v9, v3, 2, 5
	v_lshlrev_b32_e32 v3, v11, v3
	v_sub_u32_e32 v10, 30, v10
	v_and_b32_e32 v3, 3, v3
	v_cmp_eq_u32_e32 vcc, 0, v9
	v_and_b32_e32 v1, 0x80000000, v1
	s_nop 0
	v_cndmask_b32_e32 v9, v9, v10, vcc
	v_cndmask_b32_e32 v3, v5, v3, vcc
	v_mov_b32_e32 v5, 0x37800000
	v_lshlrev_b32_e32 v3, 21, v3
	v_lshl_add_u32 v5, v9, 23, v5
	v_or3_b32 v1, v1, v5, v3
.LBB520_1359:
	s_or_b64 exec, exec, s[20:21]
	s_mov_b64 s[2:3], 0
	s_branch .LBB520_1365
.LBB520_1360:
	s_mov_b64 s[2:3], -1
                                        ; implicit-def: $vgpr1
	s_branch .LBB520_1371
.LBB520_1361:
	s_or_saveexec_b64 s[22:23], s[22:23]
	v_mov_b32_e32 v1, 0x7f800001
	s_xor_b64 exec, exec, s[22:23]
	s_cbranch_execz .LBB520_1344
.LBB520_1362:
	v_cmp_ne_u16_e32 vcc, 0, v3
	s_andn2_b64 s[20:21], s[20:21], exec
	s_and_b64 s[24:25], vcc, exec
	v_mov_b32_e32 v1, 0
	s_or_b64 s[20:21], s[20:21], s[24:25]
	s_or_b64 exec, exec, s[22:23]
	s_and_saveexec_b64 s[22:23], s[20:21]
	s_cbranch_execnz .LBB520_1345
	s_branch .LBB520_1346
.LBB520_1363:
	s_mov_b64 s[2:3], -1
                                        ; implicit-def: $vgpr1
	s_branch .LBB520_1368
.LBB520_1364:
	s_mov_b64 s[2:3], -1
                                        ; implicit-def: $vgpr1
.LBB520_1365:
	s_and_b64 vcc, exec, s[2:3]
	s_cbranch_vccz .LBB520_1367
; %bb.1366:
	global_load_ubyte v1, v[6:7], off
	s_mov_b32 s2, 0x7f800000
	s_waitcnt vmcnt(0)
	v_lshlrev_b32_e32 v1, 24, v1
	v_and_b32_e32 v3, 0x7f000000, v1
	v_ffbh_u32_e32 v5, v3
	v_min_u32_e32 v5, 32, v5
	v_sub_u32_e64 v5, v5, 4 clamp
	v_lshlrev_b32_e32 v10, v5, v3
	v_lshlrev_b32_e32 v5, 23, v5
	v_lshrrev_b32_e32 v10, 4, v10
	v_add_u32_e32 v9, 0x1000000, v3
	v_sub_u32_e32 v5, v10, v5
	v_ashrrev_i32_e32 v9, 8, v9
	v_add_u32_e32 v5, 0x3c000000, v5
	v_and_or_b32 v5, v9, s2, v5
	v_cmp_ne_u32_e32 vcc, 0, v3
	s_brev_b32 s2, 1
	s_nop 0
	v_cndmask_b32_e32 v3, 0, v5, vcc
	v_and_or_b32 v1, v1, s2, v3
.LBB520_1367:
	s_mov_b64 s[2:3], 0
.LBB520_1368:
	s_andn2_b64 vcc, exec, s[2:3]
	s_cbranch_vccnz .LBB520_1370
; %bb.1369:
	global_load_ubyte v1, v[6:7], off
	s_movk_i32 s2, 0x7f00
	s_brev_b32 s3, 16
	s_waitcnt vmcnt(0)
	v_lshlrev_b16_e32 v3, 8, v1
	v_lshlrev_b32_e32 v1, 25, v1
	v_lshrrev_b32_e32 v5, 4, v1
	v_and_or_b32 v9, v3, s2, 0.5
	v_or_b32_e32 v5, 0x70000000, v5
	v_add_f32_e32 v9, -0.5, v9
	v_mul_f32_e32 v5, 0x7800000, v5
	v_cmp_gt_u32_e32 vcc, s3, v1
	v_bfe_i32 v3, v3, 0, 16
	s_brev_b32 s2, 1
	v_cndmask_b32_e32 v1, v5, v9, vcc
	v_and_or_b32 v1, v3, s2, v1
.LBB520_1370:
	s_mov_b64 s[2:3], 0
	s_mov_b64 s[20:21], -1
.LBB520_1371:
	s_andn2_b64 vcc, exec, s[2:3]
	s_mov_b64 s[2:3], 0
	s_cbranch_vccnz .LBB520_1382
; %bb.1372:
	s_cmp_gt_i32 s26, 14
	s_cbranch_scc0 .LBB520_1375
; %bb.1373:
	s_cmp_eq_u32 s26, 15
	s_cbranch_scc0 .LBB520_1378
; %bb.1374:
	global_load_ushort v1, v[6:7], off
	s_mov_b64 s[0:1], 0
	s_mov_b64 s[20:21], -1
	s_waitcnt vmcnt(0)
	v_lshlrev_b32_e32 v1, 16, v1
	s_branch .LBB520_1379
.LBB520_1375:
	s_mov_b64 s[22:23], -1
                                        ; implicit-def: $vgpr1
	s_branch .LBB520_1380
.LBB520_1376:
	s_or_saveexec_b64 s[20:21], s[20:21]
	v_mov_b32_e32 v1, 0x7f800001
	s_xor_b64 exec, exec, s[20:21]
	s_cbranch_execz .LBB520_1357
.LBB520_1377:
	v_cmp_ne_u16_e32 vcc, 0, v3
	s_andn2_b64 s[2:3], s[2:3], exec
	s_and_b64 s[22:23], vcc, exec
	v_mov_b32_e32 v1, 0
	s_or_b64 s[2:3], s[2:3], s[22:23]
	s_or_b64 exec, exec, s[20:21]
	s_and_saveexec_b64 s[20:21], s[2:3]
	s_cbranch_execnz .LBB520_1358
	s_branch .LBB520_1359
.LBB520_1378:
	s_mov_b64 s[0:1], -1
                                        ; implicit-def: $vgpr1
.LBB520_1379:
	s_mov_b64 s[22:23], 0
.LBB520_1380:
	s_and_b64 vcc, exec, s[22:23]
	s_cbranch_vccz .LBB520_1382
; %bb.1381:
	s_cmp_lg_u32 s26, 11
	s_mov_b64 s[2:3], -1
	s_cselect_b64 s[0:1], -1, 0
.LBB520_1382:
	s_and_b64 vcc, exec, s[0:1]
	s_cbranch_vccnz .LBB520_1449
; %bb.1383:
	s_andn2_b64 vcc, exec, s[2:3]
	s_cbranch_vccnz .LBB520_1385
.LBB520_1384:
	global_load_ubyte v1, v[6:7], off
	s_mov_b64 s[20:21], -1
	s_waitcnt vmcnt(0)
	v_cmp_ne_u16_e32 vcc, 0, v1
	s_nop 1
	v_cndmask_b32_e64 v1, 0, 1.0, vcc
.LBB520_1385:
	s_branch .LBB520_1313
.LBB520_1386:
	s_cmp_lt_i32 s26, 5
	s_cbranch_scc1 .LBB520_1391
; %bb.1387:
	s_cmp_lt_i32 s26, 8
	s_cbranch_scc1 .LBB520_1392
; %bb.1388:
	;; [unrolled: 3-line block ×3, first 2 shown]
	s_cmp_gt_i32 s26, 9
	s_cbranch_scc0 .LBB520_1394
; %bb.1390:
	global_load_dwordx2 v[10:11], v[6:7], off
	s_mov_b64 s[0:1], 0
	s_waitcnt vmcnt(0)
	v_cvt_f32_f64_e32 v1, v[10:11]
	s_branch .LBB520_1395
.LBB520_1391:
	s_mov_b64 s[0:1], -1
                                        ; implicit-def: $vgpr1
	s_branch .LBB520_1413
.LBB520_1392:
	s_mov_b64 s[0:1], -1
                                        ; implicit-def: $vgpr1
	s_branch .LBB520_1401
.LBB520_1393:
	s_mov_b64 s[0:1], -1
                                        ; implicit-def: $vgpr1
	s_branch .LBB520_1398
.LBB520_1394:
	s_mov_b64 s[0:1], -1
                                        ; implicit-def: $vgpr1
.LBB520_1395:
	s_andn2_b64 vcc, exec, s[0:1]
	s_cbranch_vccnz .LBB520_1397
; %bb.1396:
	global_load_dword v1, v[6:7], off
.LBB520_1397:
	s_mov_b64 s[0:1], 0
.LBB520_1398:
	s_andn2_b64 vcc, exec, s[0:1]
	s_cbranch_vccnz .LBB520_1400
; %bb.1399:
	global_load_dword v1, v[6:7], off
	s_waitcnt vmcnt(0)
	v_cvt_f32_f16_e32 v1, v1
.LBB520_1400:
	s_mov_b64 s[0:1], 0
.LBB520_1401:
	s_andn2_b64 vcc, exec, s[0:1]
	s_cbranch_vccnz .LBB520_1412
; %bb.1402:
	s_cmp_lt_i32 s26, 6
	s_cbranch_scc1 .LBB520_1405
; %bb.1403:
	s_cmp_gt_i32 s26, 6
	s_cbranch_scc0 .LBB520_1406
; %bb.1404:
	global_load_dwordx2 v[10:11], v[6:7], off
	s_mov_b64 s[0:1], 0
	s_waitcnt vmcnt(0)
	v_cvt_f32_f64_e32 v1, v[10:11]
	s_branch .LBB520_1407
.LBB520_1405:
	s_mov_b64 s[0:1], -1
                                        ; implicit-def: $vgpr1
	s_branch .LBB520_1410
.LBB520_1406:
	s_mov_b64 s[0:1], -1
                                        ; implicit-def: $vgpr1
.LBB520_1407:
	s_andn2_b64 vcc, exec, s[0:1]
	s_cbranch_vccnz .LBB520_1409
; %bb.1408:
	global_load_dword v1, v[6:7], off
.LBB520_1409:
	s_mov_b64 s[0:1], 0
.LBB520_1410:
	s_andn2_b64 vcc, exec, s[0:1]
	s_cbranch_vccnz .LBB520_1412
; %bb.1411:
	global_load_ushort v1, v[6:7], off
	s_waitcnt vmcnt(0)
	v_cvt_f32_f16_e32 v1, v1
.LBB520_1412:
	s_mov_b64 s[0:1], 0
.LBB520_1413:
	s_andn2_b64 vcc, exec, s[0:1]
	s_cbranch_vccnz .LBB520_1433
; %bb.1414:
	s_cmp_lt_i32 s26, 2
	s_cbranch_scc1 .LBB520_1418
; %bb.1415:
	s_cmp_lt_i32 s26, 3
	s_cbranch_scc1 .LBB520_1419
; %bb.1416:
	s_cmp_gt_i32 s26, 3
	s_cbranch_scc0 .LBB520_1420
; %bb.1417:
	global_load_dwordx2 v[10:11], v[6:7], off
	s_mov_b64 s[0:1], 0
	s_waitcnt vmcnt(0)
	v_xor_b32_e32 v3, v10, v11
	v_ffbh_i32_e32 v1, v11
	v_ashrrev_i32_e32 v3, 31, v3
	v_add_u32_e32 v1, -1, v1
	v_add_u32_e32 v3, 32, v3
	v_min_u32_e32 v1, v1, v3
	v_lshlrev_b64 v[10:11], v1, v[10:11]
	v_min_u32_e32 v3, 1, v10
	v_or_b32_e32 v3, v11, v3
	v_cvt_f32_i32_e32 v3, v3
	v_sub_u32_e32 v1, 32, v1
	v_ldexp_f32 v1, v3, v1
	s_branch .LBB520_1421
.LBB520_1418:
	s_mov_b64 s[0:1], -1
                                        ; implicit-def: $vgpr1
	s_branch .LBB520_1427
.LBB520_1419:
	s_mov_b64 s[0:1], -1
                                        ; implicit-def: $vgpr1
	s_branch .LBB520_1424
.LBB520_1420:
	s_mov_b64 s[0:1], -1
                                        ; implicit-def: $vgpr1
.LBB520_1421:
	s_andn2_b64 vcc, exec, s[0:1]
	s_cbranch_vccnz .LBB520_1423
; %bb.1422:
	global_load_dword v1, v[6:7], off
	s_waitcnt vmcnt(0)
	v_cvt_f32_i32_e32 v1, v1
.LBB520_1423:
	s_mov_b64 s[0:1], 0
.LBB520_1424:
	s_andn2_b64 vcc, exec, s[0:1]
	s_cbranch_vccnz .LBB520_1426
; %bb.1425:
	global_load_sshort v1, v[6:7], off
	s_waitcnt vmcnt(0)
	v_cvt_f32_i32_e32 v1, v1
.LBB520_1426:
	s_mov_b64 s[0:1], 0
.LBB520_1427:
	s_andn2_b64 vcc, exec, s[0:1]
	s_cbranch_vccnz .LBB520_1433
; %bb.1428:
	s_cmp_gt_i32 s26, 0
	s_cbranch_scc0 .LBB520_1430
; %bb.1429:
	global_load_sbyte v1, v[6:7], off
	s_mov_b64 s[0:1], 0
	s_waitcnt vmcnt(0)
	v_cvt_f32_i32_e32 v1, v1
	s_branch .LBB520_1431
.LBB520_1430:
	s_mov_b64 s[0:1], -1
                                        ; implicit-def: $vgpr1
.LBB520_1431:
	s_andn2_b64 vcc, exec, s[0:1]
	s_cbranch_vccnz .LBB520_1433
; %bb.1432:
	global_load_ubyte v1, v[6:7], off
	s_waitcnt vmcnt(0)
	v_cvt_f32_ubyte0_e32 v1, v1
.LBB520_1433:
.LBB520_1434:
	s_waitcnt vmcnt(0)
	v_cmp_o_f32_e32 vcc, v1, v1
	v_mov_b32_e32 v6, s10
	s_and_saveexec_b64 s[0:1], vcc
	s_cbranch_execz .LBB520_1438
; %bb.1435:
	s_mov_b32 s2, 0x7f800000
	v_cmp_neq_f32_e32 vcc, s2, v1
	v_mov_b32_e32 v6, s11
	s_and_saveexec_b64 s[2:3], vcc
; %bb.1436:
	s_mov_b32 s20, 0xff800000
	v_mov_b32_e32 v3, s12
	v_cmp_eq_f32_e32 vcc, s20, v1
	s_nop 1
	v_cndmask_b32_e32 v6, v1, v3, vcc
; %bb.1437:
	s_or_b64 exec, exec, s[2:3]
.LBB520_1438:
	s_or_b64 exec, exec, s[0:1]
	v_add_u32_e32 v0, s9, v0
	v_ashrrev_i32_e32 v1, 31, v0
	s_cmp_lt_i32 s26, 11
	v_lshl_add_u64 v[0:1], s[6:7], 0, v[0:1]
	s_cbranch_scc1 .LBB520_1445
; %bb.1439:
	s_cmp_gt_i32 s26, 25
	s_mov_b64 s[2:3], 0
	s_cbranch_scc0 .LBB520_1446
; %bb.1440:
	s_cmp_gt_i32 s26, 28
	s_cbranch_scc0 .LBB520_1447
; %bb.1441:
	s_cmp_gt_i32 s26, 43
	;; [unrolled: 3-line block ×3, first 2 shown]
	s_cbranch_scc0 .LBB520_1450
; %bb.1443:
	s_cmp_eq_u32 s26, 46
	s_mov_b64 s[20:21], 0
	s_cbranch_scc0 .LBB520_1451
; %bb.1444:
	global_load_dword v3, v[0:1], off
	s_mov_b64 s[0:1], 0
	s_mov_b64 s[6:7], -1
	s_waitcnt vmcnt(0)
	v_lshlrev_b32_e32 v3, 16, v3
	s_branch .LBB520_1452
.LBB520_1445:
	s_mov_b64 s[0:1], -1
	s_mov_b64 s[6:7], 0
                                        ; implicit-def: $vgpr3
	s_branch .LBB520_1518
.LBB520_1446:
	s_mov_b64 s[20:21], -1
	s_mov_b64 s[6:7], 0
	s_mov_b64 s[0:1], 0
                                        ; implicit-def: $vgpr3
	s_branch .LBB520_1481
.LBB520_1447:
	s_mov_b64 s[20:21], -1
	s_mov_b64 s[6:7], 0
	s_mov_b64 s[0:1], 0
                                        ; implicit-def: $vgpr3
	s_branch .LBB520_1462
.LBB520_1448:
	s_mov_b64 s[20:21], -1
	s_mov_b64 s[6:7], 0
	s_mov_b64 s[0:1], 0
                                        ; implicit-def: $vgpr3
	s_branch .LBB520_1457
.LBB520_1449:
	s_trap 2
	s_or_b64 s[18:19], s[18:19], exec
	s_cbranch_execz .LBB520_1384
	s_branch .LBB520_1385
.LBB520_1450:
	s_mov_b64 s[20:21], -1
	s_mov_b64 s[6:7], 0
	s_mov_b64 s[0:1], 0
                                        ; implicit-def: $vgpr3
	s_branch .LBB520_1452
.LBB520_1451:
	s_mov_b64 s[0:1], -1
                                        ; implicit-def: $vgpr3
	s_mov_b64 s[6:7], 0
.LBB520_1452:
	s_and_b64 vcc, exec, s[20:21]
	s_cbranch_vccz .LBB520_1456
; %bb.1453:
	s_cmp_eq_u32 s26, 44
	s_cbranch_scc0 .LBB520_1455
; %bb.1454:
	global_load_ubyte v3, v[0:1], off
	s_movk_i32 s6, 0xff
	v_mov_b32_e32 v5, 0x7f800001
	v_mov_b32_e32 v7, 0x400000
	s_mov_b64 s[0:1], 0
	s_waitcnt vmcnt(0)
	v_lshlrev_b32_e32 v9, 23, v3
	v_cmp_ne_u32_e32 vcc, s6, v3
	s_mov_b64 s[6:7], -1
	s_nop 0
	v_cndmask_b32_e32 v5, v5, v9, vcc
	v_cmp_ne_u32_e32 vcc, 0, v3
	s_nop 1
	v_cndmask_b32_e32 v3, v7, v5, vcc
	s_branch .LBB520_1456
.LBB520_1455:
	s_mov_b64 s[0:1], -1
                                        ; implicit-def: $vgpr3
.LBB520_1456:
	s_mov_b64 s[20:21], 0
.LBB520_1457:
	s_and_b64 vcc, exec, s[20:21]
	s_cbranch_vccz .LBB520_1461
; %bb.1458:
	s_cmp_eq_u32 s26, 29
	s_cbranch_scc0 .LBB520_1460
; %bb.1459:
	global_load_dwordx2 v[10:11], v[0:1], off
	s_mov_b64 s[0:1], 0
	s_mov_b64 s[6:7], -1
	s_mov_b64 s[20:21], 0
	s_waitcnt vmcnt(0)
	v_ffbh_u32_e32 v3, v11
	v_min_u32_e32 v3, 32, v3
	v_lshlrev_b64 v[10:11], v3, v[10:11]
	v_min_u32_e32 v5, 1, v10
	v_or_b32_e32 v5, v11, v5
	v_cvt_f32_u32_e32 v5, v5
	v_sub_u32_e32 v3, 32, v3
	v_ldexp_f32 v3, v5, v3
	s_branch .LBB520_1462
.LBB520_1460:
	s_mov_b64 s[0:1], -1
                                        ; implicit-def: $vgpr3
.LBB520_1461:
	s_mov_b64 s[20:21], 0
.LBB520_1462:
	s_and_b64 vcc, exec, s[20:21]
	s_cbranch_vccz .LBB520_1480
; %bb.1463:
	s_cmp_lt_i32 s26, 27
	s_cbranch_scc1 .LBB520_1466
; %bb.1464:
	s_cmp_gt_i32 s26, 27
	s_cbranch_scc0 .LBB520_1467
; %bb.1465:
	global_load_dword v3, v[0:1], off
	s_mov_b64 s[6:7], 0
	s_waitcnt vmcnt(0)
	v_cvt_f32_u32_e32 v3, v3
	s_branch .LBB520_1468
.LBB520_1466:
	s_mov_b64 s[6:7], -1
                                        ; implicit-def: $vgpr3
	s_branch .LBB520_1471
.LBB520_1467:
	s_mov_b64 s[6:7], -1
                                        ; implicit-def: $vgpr3
.LBB520_1468:
	s_andn2_b64 vcc, exec, s[6:7]
	s_cbranch_vccnz .LBB520_1470
; %bb.1469:
	global_load_ushort v3, v[0:1], off
	s_waitcnt vmcnt(0)
	v_cvt_f32_u32_e32 v3, v3
.LBB520_1470:
	s_mov_b64 s[6:7], 0
.LBB520_1471:
	s_andn2_b64 vcc, exec, s[6:7]
	s_cbranch_vccnz .LBB520_1479
; %bb.1472:
	global_load_ubyte v5, v[0:1], off
	s_movk_i32 s6, 0x7f
	s_waitcnt vmcnt(0)
	v_cmp_lt_i16_e32 vcc, s6, v5
	s_mov_b64 s[6:7], 0
	s_and_saveexec_b64 s[20:21], vcc
	s_xor_b64 s[20:21], exec, s[20:21]
	s_cbranch_execz .LBB520_1493
; %bb.1473:
	s_movk_i32 s6, 0x80
	v_cmp_eq_u16_e32 vcc, s6, v5
	s_mov_b64 s[6:7], -1
	s_and_saveexec_b64 s[22:23], vcc
; %bb.1474:
	s_xor_b64 s[6:7], exec, -1
; %bb.1475:
	s_or_b64 exec, exec, s[22:23]
	s_and_b64 s[6:7], s[6:7], exec
	s_or_saveexec_b64 s[20:21], s[20:21]
	v_mov_b32_e32 v3, 0x7f800001
	s_xor_b64 exec, exec, s[20:21]
	s_cbranch_execnz .LBB520_1494
.LBB520_1476:
	s_or_b64 exec, exec, s[20:21]
	s_and_saveexec_b64 s[20:21], s[6:7]
	s_cbranch_execz .LBB520_1478
.LBB520_1477:
	v_lshlrev_b32_e32 v3, 24, v5
	v_and_b32_e32 v5, 0xffff, v5
	v_and_b32_e32 v7, 7, v5
	v_ffbh_u32_e32 v10, v7
	v_min_u32_e32 v10, 32, v10
	v_subrev_u32_e32 v11, 28, v10
	v_bfe_u32 v9, v5, 3, 4
	v_lshlrev_b32_e32 v5, v11, v5
	v_sub_u32_e32 v10, 29, v10
	v_and_b32_e32 v5, 7, v5
	v_cmp_eq_u32_e32 vcc, 0, v9
	v_and_b32_e32 v3, 0x80000000, v3
	s_nop 0
	v_cndmask_b32_e32 v9, v9, v10, vcc
	v_cndmask_b32_e32 v5, v7, v5, vcc
	v_mov_b32_e32 v7, 0x3b800000
	v_lshlrev_b32_e32 v5, 20, v5
	v_lshl_add_u32 v7, v9, 23, v7
	v_or3_b32 v3, v3, v7, v5
.LBB520_1478:
	s_or_b64 exec, exec, s[20:21]
.LBB520_1479:
	s_mov_b64 s[6:7], -1
.LBB520_1480:
	s_mov_b64 s[20:21], 0
.LBB520_1481:
	s_and_b64 vcc, exec, s[20:21]
	s_cbranch_vccz .LBB520_1514
; %bb.1482:
	s_cmp_gt_i32 s26, 22
	s_cbranch_scc0 .LBB520_1492
; %bb.1483:
	s_cmp_lt_i32 s26, 24
	s_cbranch_scc1 .LBB520_1495
; %bb.1484:
	s_cmp_gt_i32 s26, 24
	s_cbranch_scc0 .LBB520_1496
; %bb.1485:
	global_load_ubyte v5, v[0:1], off
	s_movk_i32 s2, 0x7f
	s_waitcnt vmcnt(0)
	v_cmp_lt_i16_e32 vcc, s2, v5
	s_mov_b64 s[2:3], 0
	s_and_saveexec_b64 s[6:7], vcc
	s_xor_b64 s[6:7], exec, s[6:7]
	s_cbranch_execz .LBB520_1508
; %bb.1486:
	s_movk_i32 s2, 0x80
	v_cmp_eq_u16_e32 vcc, s2, v5
	s_mov_b64 s[2:3], -1
	s_and_saveexec_b64 s[20:21], vcc
; %bb.1487:
	s_xor_b64 s[2:3], exec, -1
; %bb.1488:
	s_or_b64 exec, exec, s[20:21]
	s_and_b64 s[2:3], s[2:3], exec
	s_or_saveexec_b64 s[6:7], s[6:7]
	v_mov_b32_e32 v3, 0x7f800001
	s_xor_b64 exec, exec, s[6:7]
	s_cbranch_execnz .LBB520_1509
.LBB520_1489:
	s_or_b64 exec, exec, s[6:7]
	s_and_saveexec_b64 s[6:7], s[2:3]
	s_cbranch_execz .LBB520_1491
.LBB520_1490:
	v_lshlrev_b32_e32 v3, 24, v5
	v_and_b32_e32 v5, 0xffff, v5
	v_and_b32_e32 v7, 3, v5
	v_ffbh_u32_e32 v10, v7
	v_min_u32_e32 v10, 32, v10
	v_subrev_u32_e32 v11, 29, v10
	v_bfe_u32 v9, v5, 2, 5
	v_lshlrev_b32_e32 v5, v11, v5
	v_sub_u32_e32 v10, 30, v10
	v_and_b32_e32 v5, 3, v5
	v_cmp_eq_u32_e32 vcc, 0, v9
	v_and_b32_e32 v3, 0x80000000, v3
	s_nop 0
	v_cndmask_b32_e32 v9, v9, v10, vcc
	v_cndmask_b32_e32 v5, v7, v5, vcc
	v_mov_b32_e32 v7, 0x37800000
	v_lshlrev_b32_e32 v5, 21, v5
	v_lshl_add_u32 v7, v9, 23, v7
	v_or3_b32 v3, v3, v7, v5
.LBB520_1491:
	s_or_b64 exec, exec, s[6:7]
	s_mov_b64 s[2:3], 0
	s_branch .LBB520_1497
.LBB520_1492:
	s_mov_b64 s[2:3], -1
                                        ; implicit-def: $vgpr3
	s_branch .LBB520_1503
.LBB520_1493:
	s_or_saveexec_b64 s[20:21], s[20:21]
	v_mov_b32_e32 v3, 0x7f800001
	s_xor_b64 exec, exec, s[20:21]
	s_cbranch_execz .LBB520_1476
.LBB520_1494:
	v_cmp_ne_u16_e32 vcc, 0, v5
	s_andn2_b64 s[6:7], s[6:7], exec
	s_and_b64 s[22:23], vcc, exec
	v_mov_b32_e32 v3, 0
	s_or_b64 s[6:7], s[6:7], s[22:23]
	s_or_b64 exec, exec, s[20:21]
	s_and_saveexec_b64 s[20:21], s[6:7]
	s_cbranch_execnz .LBB520_1477
	s_branch .LBB520_1478
.LBB520_1495:
	s_mov_b64 s[2:3], -1
                                        ; implicit-def: $vgpr3
	s_branch .LBB520_1500
.LBB520_1496:
	s_mov_b64 s[2:3], -1
                                        ; implicit-def: $vgpr3
.LBB520_1497:
	s_and_b64 vcc, exec, s[2:3]
	s_cbranch_vccz .LBB520_1499
; %bb.1498:
	global_load_ubyte v3, v[0:1], off
	s_mov_b32 s2, 0x7f800000
	s_waitcnt vmcnt(0)
	v_lshlrev_b32_e32 v3, 24, v3
	v_and_b32_e32 v5, 0x7f000000, v3
	v_ffbh_u32_e32 v7, v5
	v_min_u32_e32 v7, 32, v7
	v_sub_u32_e64 v7, v7, 4 clamp
	v_lshlrev_b32_e32 v10, v7, v5
	v_lshlrev_b32_e32 v7, 23, v7
	v_lshrrev_b32_e32 v10, 4, v10
	v_add_u32_e32 v9, 0x1000000, v5
	v_sub_u32_e32 v7, v10, v7
	v_ashrrev_i32_e32 v9, 8, v9
	v_add_u32_e32 v7, 0x3c000000, v7
	v_and_or_b32 v7, v9, s2, v7
	v_cmp_ne_u32_e32 vcc, 0, v5
	s_brev_b32 s2, 1
	s_nop 0
	v_cndmask_b32_e32 v5, 0, v7, vcc
	v_and_or_b32 v3, v3, s2, v5
.LBB520_1499:
	s_mov_b64 s[2:3], 0
.LBB520_1500:
	s_andn2_b64 vcc, exec, s[2:3]
	s_cbranch_vccnz .LBB520_1502
; %bb.1501:
	global_load_ubyte v3, v[0:1], off
	s_movk_i32 s2, 0x7f00
	s_brev_b32 s3, 16
	s_waitcnt vmcnt(0)
	v_lshlrev_b16_e32 v5, 8, v3
	v_lshlrev_b32_e32 v3, 25, v3
	v_lshrrev_b32_e32 v7, 4, v3
	v_and_or_b32 v9, v5, s2, 0.5
	v_or_b32_e32 v7, 0x70000000, v7
	v_add_f32_e32 v9, -0.5, v9
	v_mul_f32_e32 v7, 0x7800000, v7
	v_cmp_gt_u32_e32 vcc, s3, v3
	v_bfe_i32 v5, v5, 0, 16
	s_brev_b32 s2, 1
	v_cndmask_b32_e32 v3, v7, v9, vcc
	v_and_or_b32 v3, v5, s2, v3
.LBB520_1502:
	s_mov_b64 s[2:3], 0
	s_mov_b64 s[6:7], -1
.LBB520_1503:
	s_andn2_b64 vcc, exec, s[2:3]
	s_mov_b64 s[2:3], 0
	s_cbranch_vccnz .LBB520_1514
; %bb.1504:
	s_cmp_gt_i32 s26, 14
	s_cbranch_scc0 .LBB520_1507
; %bb.1505:
	s_cmp_eq_u32 s26, 15
	s_cbranch_scc0 .LBB520_1510
; %bb.1506:
	global_load_ushort v3, v[0:1], off
	s_mov_b64 s[0:1], 0
	s_mov_b64 s[6:7], -1
	s_waitcnt vmcnt(0)
	v_lshlrev_b32_e32 v3, 16, v3
	s_branch .LBB520_1511
.LBB520_1507:
	s_mov_b64 s[20:21], -1
                                        ; implicit-def: $vgpr3
	s_branch .LBB520_1512
.LBB520_1508:
	s_or_saveexec_b64 s[6:7], s[6:7]
	v_mov_b32_e32 v3, 0x7f800001
	s_xor_b64 exec, exec, s[6:7]
	s_cbranch_execz .LBB520_1489
.LBB520_1509:
	v_cmp_ne_u16_e32 vcc, 0, v5
	s_andn2_b64 s[2:3], s[2:3], exec
	s_and_b64 s[20:21], vcc, exec
	v_mov_b32_e32 v3, 0
	s_or_b64 s[2:3], s[2:3], s[20:21]
	s_or_b64 exec, exec, s[6:7]
	s_and_saveexec_b64 s[6:7], s[2:3]
	s_cbranch_execnz .LBB520_1490
	s_branch .LBB520_1491
.LBB520_1510:
	s_mov_b64 s[0:1], -1
                                        ; implicit-def: $vgpr3
.LBB520_1511:
	s_mov_b64 s[20:21], 0
.LBB520_1512:
	s_and_b64 vcc, exec, s[20:21]
	s_cbranch_vccz .LBB520_1514
; %bb.1513:
	s_cmp_lg_u32 s26, 11
	s_mov_b64 s[2:3], -1
	s_cselect_b64 s[0:1], -1, 0
.LBB520_1514:
	s_and_b64 vcc, exec, s[0:1]
	s_cbranch_vccnz .LBB520_2053
; %bb.1515:
	s_andn2_b64 vcc, exec, s[2:3]
	s_cbranch_vccnz .LBB520_1517
.LBB520_1516:
	global_load_ubyte v3, v[0:1], off
	s_mov_b64 s[6:7], -1
	s_waitcnt vmcnt(0)
	v_cmp_ne_u16_e32 vcc, 0, v3
	s_nop 1
	v_cndmask_b32_e64 v3, 0, 1.0, vcc
.LBB520_1517:
	s_mov_b64 s[0:1], 0
.LBB520_1518:
	s_and_b64 vcc, exec, s[0:1]
	s_cbranch_vccz .LBB520_1567
; %bb.1519:
	s_cmp_lt_i32 s26, 5
	s_cbranch_scc1 .LBB520_1524
; %bb.1520:
	s_cmp_lt_i32 s26, 8
	s_cbranch_scc1 .LBB520_1525
	;; [unrolled: 3-line block ×3, first 2 shown]
; %bb.1522:
	s_cmp_gt_i32 s26, 9
	s_cbranch_scc0 .LBB520_1527
; %bb.1523:
	global_load_dwordx2 v[10:11], v[0:1], off
	s_mov_b64 s[0:1], 0
	s_waitcnt vmcnt(0)
	v_cvt_f32_f64_e32 v3, v[10:11]
	s_branch .LBB520_1528
.LBB520_1524:
	s_mov_b64 s[0:1], -1
                                        ; implicit-def: $vgpr3
	s_branch .LBB520_1546
.LBB520_1525:
	s_mov_b64 s[0:1], -1
                                        ; implicit-def: $vgpr3
	s_branch .LBB520_1534
.LBB520_1526:
	s_mov_b64 s[0:1], -1
                                        ; implicit-def: $vgpr3
	s_branch .LBB520_1531
.LBB520_1527:
	s_mov_b64 s[0:1], -1
                                        ; implicit-def: $vgpr3
.LBB520_1528:
	s_andn2_b64 vcc, exec, s[0:1]
	s_cbranch_vccnz .LBB520_1530
; %bb.1529:
	global_load_dword v3, v[0:1], off
.LBB520_1530:
	s_mov_b64 s[0:1], 0
.LBB520_1531:
	s_andn2_b64 vcc, exec, s[0:1]
	s_cbranch_vccnz .LBB520_1533
; %bb.1532:
	global_load_dword v3, v[0:1], off
	s_waitcnt vmcnt(0)
	v_cvt_f32_f16_e32 v3, v3
.LBB520_1533:
	s_mov_b64 s[0:1], 0
.LBB520_1534:
	s_andn2_b64 vcc, exec, s[0:1]
	s_cbranch_vccnz .LBB520_1545
; %bb.1535:
	s_cmp_lt_i32 s26, 6
	s_cbranch_scc1 .LBB520_1538
; %bb.1536:
	s_cmp_gt_i32 s26, 6
	s_cbranch_scc0 .LBB520_1539
; %bb.1537:
	global_load_dwordx2 v[10:11], v[0:1], off
	s_mov_b64 s[0:1], 0
	s_waitcnt vmcnt(0)
	v_cvt_f32_f64_e32 v3, v[10:11]
	s_branch .LBB520_1540
.LBB520_1538:
	s_mov_b64 s[0:1], -1
                                        ; implicit-def: $vgpr3
	s_branch .LBB520_1543
.LBB520_1539:
	s_mov_b64 s[0:1], -1
                                        ; implicit-def: $vgpr3
.LBB520_1540:
	s_andn2_b64 vcc, exec, s[0:1]
	s_cbranch_vccnz .LBB520_1542
; %bb.1541:
	global_load_dword v3, v[0:1], off
.LBB520_1542:
	s_mov_b64 s[0:1], 0
.LBB520_1543:
	s_andn2_b64 vcc, exec, s[0:1]
	s_cbranch_vccnz .LBB520_1545
; %bb.1544:
	global_load_ushort v3, v[0:1], off
	s_waitcnt vmcnt(0)
	v_cvt_f32_f16_e32 v3, v3
.LBB520_1545:
	s_mov_b64 s[0:1], 0
.LBB520_1546:
	s_andn2_b64 vcc, exec, s[0:1]
	s_cbranch_vccnz .LBB520_1566
; %bb.1547:
	s_cmp_lt_i32 s26, 2
	s_cbranch_scc1 .LBB520_1551
; %bb.1548:
	s_cmp_lt_i32 s26, 3
	s_cbranch_scc1 .LBB520_1552
; %bb.1549:
	s_cmp_gt_i32 s26, 3
	s_cbranch_scc0 .LBB520_1553
; %bb.1550:
	global_load_dwordx2 v[10:11], v[0:1], off
	s_mov_b64 s[0:1], 0
	s_waitcnt vmcnt(0)
	v_xor_b32_e32 v5, v10, v11
	v_ffbh_i32_e32 v3, v11
	v_ashrrev_i32_e32 v5, 31, v5
	v_add_u32_e32 v3, -1, v3
	v_add_u32_e32 v5, 32, v5
	v_min_u32_e32 v3, v3, v5
	v_lshlrev_b64 v[10:11], v3, v[10:11]
	v_min_u32_e32 v5, 1, v10
	v_or_b32_e32 v5, v11, v5
	v_cvt_f32_i32_e32 v5, v5
	v_sub_u32_e32 v3, 32, v3
	v_ldexp_f32 v3, v5, v3
	s_branch .LBB520_1554
.LBB520_1551:
	s_mov_b64 s[0:1], -1
                                        ; implicit-def: $vgpr3
	s_branch .LBB520_1560
.LBB520_1552:
	s_mov_b64 s[0:1], -1
                                        ; implicit-def: $vgpr3
	s_branch .LBB520_1557
.LBB520_1553:
	s_mov_b64 s[0:1], -1
                                        ; implicit-def: $vgpr3
.LBB520_1554:
	s_andn2_b64 vcc, exec, s[0:1]
	s_cbranch_vccnz .LBB520_1556
; %bb.1555:
	global_load_dword v3, v[0:1], off
	s_waitcnt vmcnt(0)
	v_cvt_f32_i32_e32 v3, v3
.LBB520_1556:
	s_mov_b64 s[0:1], 0
.LBB520_1557:
	s_andn2_b64 vcc, exec, s[0:1]
	s_cbranch_vccnz .LBB520_1559
; %bb.1558:
	global_load_sshort v3, v[0:1], off
	s_waitcnt vmcnt(0)
	v_cvt_f32_i32_e32 v3, v3
.LBB520_1559:
	s_mov_b64 s[0:1], 0
.LBB520_1560:
	s_andn2_b64 vcc, exec, s[0:1]
	s_cbranch_vccnz .LBB520_1566
; %bb.1561:
	s_cmp_gt_i32 s26, 0
	s_cbranch_scc0 .LBB520_1563
; %bb.1562:
	global_load_sbyte v3, v[0:1], off
	s_mov_b64 s[0:1], 0
	s_waitcnt vmcnt(0)
	v_cvt_f32_i32_e32 v3, v3
	s_branch .LBB520_1564
.LBB520_1563:
	s_mov_b64 s[0:1], -1
                                        ; implicit-def: $vgpr3
.LBB520_1564:
	s_andn2_b64 vcc, exec, s[0:1]
	s_cbranch_vccnz .LBB520_1566
; %bb.1565:
	global_load_ubyte v0, v[0:1], off
	s_waitcnt vmcnt(0)
	v_cvt_f32_ubyte0_e32 v3, v0
.LBB520_1566:
	s_mov_b64 s[6:7], -1
.LBB520_1567:
	s_andn2_b64 vcc, exec, s[6:7]
	s_cbranch_vccnz .LBB520_1650
; %bb.1568:
	s_waitcnt vmcnt(0)
	v_cmp_o_f32_e32 vcc, v3, v3
	v_mov_b32_e32 v0, s10
	s_and_saveexec_b64 s[0:1], vcc
	s_cbranch_execz .LBB520_1572
; %bb.1569:
	s_mov_b32 s2, 0x7f800000
	v_cmp_neq_f32_e32 vcc, s2, v3
	v_mov_b32_e32 v0, s11
	s_and_saveexec_b64 s[2:3], vcc
; %bb.1570:
	s_mov_b32 s6, 0xff800000
	v_mov_b32_e32 v0, s12
	v_cmp_eq_f32_e32 vcc, s6, v3
	s_nop 1
	v_cndmask_b32_e32 v0, v3, v0, vcc
; %bb.1571:
	s_or_b64 exec, exec, s[2:3]
.LBB520_1572:
	s_or_b64 exec, exec, s[0:1]
	v_mul_lo_u32 v8, s8, v8
	v_ashrrev_i32_e32 v9, 31, v8
	s_and_b32 s20, s13, 0xff
	s_cmp_lt_i32 s20, 11
	v_lshl_add_u64 v[10:11], s[4:5], 0, v[8:9]
	s_cbranch_scc1 .LBB520_1696
; %bb.1573:
	s_and_b32 s9, 0xffff, s20
	s_mov_b64 s[10:11], -1
	s_mov_b64 s[2:3], 0
	s_cmp_gt_i32 s9, 25
	s_mov_b64 s[6:7], 0
	s_mov_b64 s[0:1], 0
	s_cbranch_scc0 .LBB520_1606
; %bb.1574:
	s_cmp_gt_i32 s9, 28
	s_cbranch_scc0 .LBB520_1589
; %bb.1575:
	s_cmp_gt_i32 s9, 43
	;; [unrolled: 3-line block ×3, first 2 shown]
	s_cbranch_scc0 .LBB520_1579
; %bb.1577:
	s_mov_b64 s[0:1], -1
	s_mov_b64 s[10:11], 0
	s_cmp_eq_u32 s9, 46
	s_cbranch_scc0 .LBB520_1579
; %bb.1578:
	v_bfe_u32 v1, v2, 16, 1
	s_movk_i32 s0, 0x7fff
	v_add3_u32 v1, v2, v1, s0
	v_cmp_o_f32_e32 vcc, v2, v2
	v_mov_b32_e32 v3, 0x7fc0
	s_mov_b64 s[0:1], 0
	v_cndmask_b32_sdwa v1, v3, v1, vcc dst_sel:DWORD dst_unused:UNUSED_PAD src0_sel:DWORD src1_sel:WORD_1
	global_store_dword v[10:11], v1, off
	s_mov_b64 s[6:7], -1
.LBB520_1579:
	s_and_b64 vcc, exec, s[10:11]
	s_cbranch_vccz .LBB520_1584
; %bb.1580:
	s_cmp_eq_u32 s9, 44
	s_mov_b64 s[0:1], -1
	s_cbranch_scc0 .LBB520_1584
; %bb.1581:
	v_bfe_u32 v1, v2, 23, 8
	s_movk_i32 s0, 0xff
	v_cmp_ne_u32_e32 vcc, s0, v1
	v_mov_b32_e32 v3, 0xff
	s_and_saveexec_b64 s[6:7], vcc
; %bb.1582:
	s_mov_b32 s0, 0x3fffff
	v_and_b32_e32 v5, 0x400000, v2
	v_and_or_b32 v1, v2, s0, v1
	v_cmp_ne_u32_e32 vcc, 0, v5
	v_cmp_ne_u32_e64 s[0:1], 0, v1
	s_and_b64 s[0:1], vcc, s[0:1]
	v_lshrrev_b32_e32 v3, 23, v2
	v_cndmask_b32_e64 v1, 0, 1, s[0:1]
	v_add_u32_e32 v3, v3, v1
; %bb.1583:
	s_or_b64 exec, exec, s[6:7]
	s_mov_b64 s[0:1], 0
	s_mov_b64 s[6:7], -1
	global_store_byte v[10:11], v3, off
.LBB520_1584:
	s_mov_b64 s[10:11], 0
.LBB520_1585:
	s_and_b64 vcc, exec, s[10:11]
	s_cbranch_vccz .LBB520_1588
; %bb.1586:
	s_cmp_eq_u32 s9, 29
	s_mov_b64 s[0:1], -1
	s_cbranch_scc0 .LBB520_1588
; %bb.1587:
	v_trunc_f32_e32 v1, v2
	v_mul_f32_e32 v3, 0x2f800000, v1
	v_floor_f32_e32 v3, v3
	v_fmamk_f32 v1, v3, 0xcf800000, v1
	v_cvt_u32_f32_e32 v13, v3
	v_cvt_u32_f32_e32 v12, v1
	s_mov_b64 s[0:1], 0
	s_mov_b64 s[6:7], -1
	global_store_dwordx2 v[10:11], v[12:13], off
.LBB520_1588:
	s_mov_b64 s[10:11], 0
.LBB520_1589:
	s_and_b64 vcc, exec, s[10:11]
	s_cbranch_vccz .LBB520_1605
; %bb.1590:
	s_cmp_lt_i32 s9, 27
	s_mov_b64 s[6:7], -1
	s_cbranch_scc1 .LBB520_1596
; %bb.1591:
	v_cvt_u32_f32_e32 v1, v2
	s_cmp_gt_i32 s9, 27
	s_cbranch_scc0 .LBB520_1593
; %bb.1592:
	s_mov_b64 s[6:7], 0
	global_store_dword v[10:11], v1, off
.LBB520_1593:
	s_andn2_b64 vcc, exec, s[6:7]
	s_cbranch_vccnz .LBB520_1595
; %bb.1594:
	global_store_short v[10:11], v1, off
.LBB520_1595:
	s_mov_b64 s[6:7], 0
.LBB520_1596:
	s_andn2_b64 vcc, exec, s[6:7]
	s_cbranch_vccnz .LBB520_1604
; %bb.1597:
	v_and_b32_e32 v1, 0x7fffffff, v2
	s_mov_b32 s6, 0x43800000
	v_cmp_gt_u32_e32 vcc, s6, v1
	v_mov_b32_e32 v3, 0x80
	s_and_saveexec_b64 s[6:7], vcc
	s_cbranch_execz .LBB520_1603
; %bb.1598:
	s_mov_b32 s10, 0x3bffffff
	v_cmp_lt_u32_e32 vcc, s10, v1
	s_mov_b64 s[10:11], 0
                                        ; implicit-def: $vgpr1
	s_and_saveexec_b64 s[12:13], vcc
	s_xor_b64 s[12:13], exec, s[12:13]
	s_cbranch_execz .LBB520_2054
; %bb.1599:
	v_bfe_u32 v1, v2, 20, 1
	s_mov_b32 s21, 0x487ffff
	v_add3_u32 v1, v2, v1, s21
	s_mov_b64 s[10:11], exec
	v_lshrrev_b32_e32 v1, 20, v1
	s_andn2_saveexec_b64 s[12:13], s[12:13]
	s_cbranch_execnz .LBB520_2055
.LBB520_1600:
	s_or_b64 exec, exec, s[12:13]
	v_mov_b32_e32 v3, 0
	s_and_saveexec_b64 s[12:13], s[10:11]
.LBB520_1601:
	v_lshrrev_b32_e32 v3, 24, v2
	s_movk_i32 s10, 0x80
	v_and_or_b32 v3, v3, s10, v1
.LBB520_1602:
	s_or_b64 exec, exec, s[12:13]
.LBB520_1603:
	s_or_b64 exec, exec, s[6:7]
	global_store_byte v[10:11], v3, off
.LBB520_1604:
	s_mov_b64 s[6:7], -1
.LBB520_1605:
	s_mov_b64 s[10:11], 0
.LBB520_1606:
	s_and_b64 vcc, exec, s[10:11]
	s_cbranch_vccz .LBB520_1646
; %bb.1607:
	s_cmp_gt_i32 s9, 22
	s_mov_b64 s[2:3], -1
	s_cbranch_scc0 .LBB520_1639
; %bb.1608:
	s_cmp_lt_i32 s9, 24
	s_cbranch_scc1 .LBB520_1628
; %bb.1609:
	s_cmp_gt_i32 s9, 24
	s_cbranch_scc0 .LBB520_1617
; %bb.1610:
	v_and_b32_e32 v1, 0x7fffffff, v2
	s_mov_b32 s2, 0x47800000
	v_cmp_gt_u32_e32 vcc, s2, v1
	v_mov_b32_e32 v3, 0x80
	s_and_saveexec_b64 s[2:3], vcc
	s_cbranch_execz .LBB520_1616
; %bb.1611:
	s_mov_b32 s6, 0x37ffffff
	v_cmp_lt_u32_e32 vcc, s6, v1
	s_mov_b64 s[6:7], 0
                                        ; implicit-def: $vgpr1
	s_and_saveexec_b64 s[10:11], vcc
	s_xor_b64 s[10:11], exec, s[10:11]
	s_cbranch_execz .LBB520_2057
; %bb.1612:
	v_bfe_u32 v1, v2, 21, 1
	s_mov_b32 s12, 0x88fffff
	v_add3_u32 v1, v2, v1, s12
	s_mov_b64 s[6:7], exec
	v_lshrrev_b32_e32 v1, 21, v1
	s_andn2_saveexec_b64 s[10:11], s[10:11]
	s_cbranch_execnz .LBB520_2058
.LBB520_1613:
	s_or_b64 exec, exec, s[10:11]
	v_mov_b32_e32 v3, 0
	s_and_saveexec_b64 s[10:11], s[6:7]
.LBB520_1614:
	v_lshrrev_b32_e32 v3, 24, v2
	s_movk_i32 s6, 0x80
	v_and_or_b32 v3, v3, s6, v1
.LBB520_1615:
	s_or_b64 exec, exec, s[10:11]
.LBB520_1616:
	s_or_b64 exec, exec, s[2:3]
	s_mov_b64 s[2:3], 0
	global_store_byte v[10:11], v3, off
.LBB520_1617:
	s_and_b64 vcc, exec, s[2:3]
	s_cbranch_vccz .LBB520_1627
; %bb.1618:
	v_and_b32_e32 v3, 0x7fffffff, v2
	s_mov_b32 s2, 0x43f00000
	v_cmp_gt_u32_e32 vcc, s2, v3
                                        ; implicit-def: $vgpr1
	s_and_saveexec_b64 s[2:3], vcc
	s_xor_b64 s[2:3], exec, s[2:3]
	s_cbranch_execz .LBB520_1624
; %bb.1619:
	s_mov_b32 s6, 0x3c7fffff
	v_cmp_lt_u32_e32 vcc, s6, v3
                                        ; implicit-def: $vgpr1
	s_and_saveexec_b64 s[6:7], vcc
	s_xor_b64 s[6:7], exec, s[6:7]
; %bb.1620:
	v_bfe_u32 v1, v2, 20, 1
	s_mov_b32 s10, 0x407ffff
	v_add3_u32 v1, v2, v1, s10
	v_lshrrev_b32_e32 v3, 20, v1
	v_and_b32_e32 v1, 0xff00000, v1
	s_mov_b32 s10, 0x7f00000
	v_mov_b32_e32 v5, 0x7e
	v_cmp_ne_u32_e32 vcc, s10, v1
	s_nop 1
	v_cndmask_b32_e32 v1, v5, v3, vcc
; %bb.1621:
	s_andn2_saveexec_b64 s[6:7], s[6:7]
; %bb.1622:
	s_mov_b32 s10, 0x46800000
	v_add_f32_e64 v1, |v2|, s10
; %bb.1623:
	s_or_b64 exec, exec, s[6:7]
                                        ; implicit-def: $vgpr3
.LBB520_1624:
	s_andn2_saveexec_b64 s[2:3], s[2:3]
; %bb.1625:
	s_mov_b32 s6, 0x7f800000
	v_mov_b32_e32 v1, 0x7e
	v_mov_b32_e32 v5, 0x7f
	v_cmp_lt_u32_e32 vcc, s6, v3
	s_nop 1
	v_cndmask_b32_e32 v1, v1, v5, vcc
; %bb.1626:
	s_or_b64 exec, exec, s[2:3]
	v_lshrrev_b32_e32 v3, 24, v2
	s_movk_i32 s2, 0x80
	v_and_or_b32 v1, v3, s2, v1
	global_store_byte v[10:11], v1, off
.LBB520_1627:
	s_mov_b64 s[2:3], 0
.LBB520_1628:
	s_andn2_b64 vcc, exec, s[2:3]
	s_cbranch_vccnz .LBB520_1638
; %bb.1629:
	v_and_b32_e32 v3, 0x7fffffff, v2
	s_mov_b32 s2, 0x47800000
	v_cmp_gt_u32_e32 vcc, s2, v3
                                        ; implicit-def: $vgpr1
	s_and_saveexec_b64 s[2:3], vcc
	s_xor_b64 s[2:3], exec, s[2:3]
	s_cbranch_execz .LBB520_1635
; %bb.1630:
	s_mov_b32 s6, 0x387fffff
	v_cmp_lt_u32_e32 vcc, s6, v3
                                        ; implicit-def: $vgpr1
	s_and_saveexec_b64 s[6:7], vcc
	s_xor_b64 s[6:7], exec, s[6:7]
; %bb.1631:
	v_bfe_u32 v1, v2, 21, 1
	s_mov_b32 s10, 0x80fffff
	v_add3_u32 v1, v2, v1, s10
	v_lshrrev_b32_e32 v1, 21, v1
; %bb.1632:
	s_andn2_saveexec_b64 s[6:7], s[6:7]
; %bb.1633:
	s_mov_b32 s10, 0x43000000
	v_add_f32_e64 v1, |v2|, s10
; %bb.1634:
	s_or_b64 exec, exec, s[6:7]
                                        ; implicit-def: $vgpr3
.LBB520_1635:
	s_andn2_saveexec_b64 s[2:3], s[2:3]
; %bb.1636:
	s_mov_b32 s6, 0x7f800000
	v_mov_b32_e32 v1, 0x7c
	v_mov_b32_e32 v5, 0x7f
	v_cmp_lt_u32_e32 vcc, s6, v3
	s_nop 1
	v_cndmask_b32_e32 v1, v1, v5, vcc
; %bb.1637:
	s_or_b64 exec, exec, s[2:3]
	v_lshrrev_b32_e32 v3, 24, v2
	s_movk_i32 s2, 0x80
	v_and_or_b32 v1, v3, s2, v1
	global_store_byte v[10:11], v1, off
.LBB520_1638:
	s_mov_b64 s[2:3], 0
	s_mov_b64 s[6:7], -1
.LBB520_1639:
	s_andn2_b64 vcc, exec, s[2:3]
	s_mov_b64 s[2:3], 0
	s_cbranch_vccnz .LBB520_1646
; %bb.1640:
	s_cmp_gt_i32 s9, 14
	s_mov_b64 s[10:11], -1
	s_cbranch_scc0 .LBB520_1644
; %bb.1641:
	s_cmp_eq_u32 s9, 15
	s_mov_b64 s[0:1], -1
	s_cbranch_scc0 .LBB520_1643
; %bb.1642:
	v_bfe_u32 v1, v2, 16, 1
	s_movk_i32 s0, 0x7fff
	v_add3_u32 v1, v2, v1, s0
	v_cmp_o_f32_e32 vcc, v2, v2
	v_mov_b32_e32 v3, 0x7fc0
	s_mov_b64 s[0:1], 0
	v_cndmask_b32_sdwa v1, v3, v1, vcc dst_sel:DWORD dst_unused:UNUSED_PAD src0_sel:DWORD src1_sel:WORD_1
	global_store_short v[10:11], v1, off
	s_mov_b64 s[6:7], -1
.LBB520_1643:
	s_mov_b64 s[10:11], 0
.LBB520_1644:
	s_and_b64 vcc, exec, s[10:11]
	s_cbranch_vccz .LBB520_1646
; %bb.1645:
	s_cmp_lg_u32 s9, 11
	s_mov_b64 s[2:3], -1
	s_cselect_b64 s[0:1], -1, 0
.LBB520_1646:
	s_and_b64 vcc, exec, s[0:1]
	s_cbranch_vccnz .LBB520_2056
; %bb.1647:
	s_andn2_b64 vcc, exec, s[2:3]
	s_cbranch_vccnz .LBB520_1649
.LBB520_1648:
	v_cmp_neq_f32_e32 vcc, 0, v2
	s_mov_b64 s[6:7], -1
	s_nop 0
	v_cndmask_b32_e64 v1, 0, 1, vcc
	global_store_byte v[10:11], v1, off
.LBB520_1649:
	s_mov_b64 s[0:1], 0
	s_branch .LBB520_1697
.LBB520_1650:
	s_mov_b64 s[0:1], 0
                                        ; implicit-def: $sgpr20
                                        ; implicit-def: $vgpr2_vgpr3
                                        ; implicit-def: $vgpr0
.LBB520_1651:
	s_mov_b64 s[2:3], 0
.LBB520_1652:
	s_andn2_b64 s[4:5], s[16:17], exec
	s_and_b64 s[6:7], s[18:19], exec
	s_and_b64 s[0:1], s[0:1], exec
	;; [unrolled: 1-line block ×3, first 2 shown]
	s_or_b64 s[16:17], s[4:5], s[6:7]
.LBB520_1653:
	s_or_b64 exec, exec, s[14:15]
	s_and_saveexec_b64 s[4:5], s[16:17]
	s_cbranch_execz .LBB520_1656
; %bb.1654:
	; divergent unreachable
	s_or_b64 exec, exec, s[4:5]
	s_and_saveexec_b64 s[4:5], s[2:3]
	s_xor_b64 s[2:3], exec, s[4:5]
	s_cbranch_execnz .LBB520_1657
.LBB520_1655:
	s_or_b64 exec, exec, s[2:3]
	s_and_saveexec_b64 s[2:3], s[0:1]
	s_cbranch_execnz .LBB520_1658
	s_branch .LBB520_1695
.LBB520_1656:
	s_or_b64 exec, exec, s[4:5]
	s_and_saveexec_b64 s[4:5], s[2:3]
	s_xor_b64 s[2:3], exec, s[4:5]
	s_cbranch_execz .LBB520_1655
.LBB520_1657:
	v_cmp_neq_f32_e32 vcc, 0, v0
	s_waitcnt vmcnt(0)
	s_nop 0
	v_cndmask_b32_e64 v1, 0, 1, vcc
	global_store_byte v[2:3], v1, off
	s_or_b64 exec, exec, s[2:3]
	s_and_saveexec_b64 s[2:3], s[0:1]
	s_cbranch_execz .LBB520_1695
.LBB520_1658:
	s_sext_i32_i16 s2, s20
	s_cmp_lt_i32 s2, 5
	s_mov_b64 s[0:1], -1
	s_cbranch_scc1 .LBB520_1679
; %bb.1659:
	s_cmp_lt_i32 s2, 8
	s_cbranch_scc1 .LBB520_1669
; %bb.1660:
	s_cmp_lt_i32 s2, 9
	s_cbranch_scc1 .LBB520_1666
; %bb.1661:
	s_cmp_gt_i32 s2, 9
	s_cbranch_scc0 .LBB520_1663
; %bb.1662:
	v_mov_b32_e32 v6, 0
	s_waitcnt vmcnt(0)
	v_cvt_f64_f32_e32 v[4:5], v0
	v_mov_b32_e32 v7, v6
	global_store_dwordx4 v[2:3], v[4:7], off
	s_mov_b64 s[0:1], 0
.LBB520_1663:
	s_andn2_b64 vcc, exec, s[0:1]
	s_cbranch_vccnz .LBB520_1665
; %bb.1664:
	s_waitcnt vmcnt(0)
	v_mov_b32_e32 v1, 0
	global_store_dwordx2 v[2:3], v[0:1], off
.LBB520_1665:
	s_mov_b64 s[0:1], 0
.LBB520_1666:
	s_andn2_b64 vcc, exec, s[0:1]
	s_cbranch_vccnz .LBB520_1668
; %bb.1667:
	s_waitcnt vmcnt(0)
	v_cvt_f16_f32_e32 v1, v0
	global_store_dword v[2:3], v1, off
.LBB520_1668:
	s_mov_b64 s[0:1], 0
.LBB520_1669:
	s_andn2_b64 vcc, exec, s[0:1]
	s_cbranch_vccnz .LBB520_1678
; %bb.1670:
	s_sext_i32_i16 s2, s20
	s_cmp_lt_i32 s2, 6
	s_mov_b64 s[0:1], -1
	s_cbranch_scc1 .LBB520_1676
; %bb.1671:
	s_cmp_gt_i32 s2, 6
	s_cbranch_scc0 .LBB520_1673
; %bb.1672:
	s_waitcnt vmcnt(0)
	v_cvt_f64_f32_e32 v[4:5], v0
	global_store_dwordx2 v[2:3], v[4:5], off
	s_mov_b64 s[0:1], 0
.LBB520_1673:
	s_andn2_b64 vcc, exec, s[0:1]
	s_cbranch_vccnz .LBB520_1675
; %bb.1674:
	s_waitcnt vmcnt(0)
	global_store_dword v[2:3], v0, off
.LBB520_1675:
	s_mov_b64 s[0:1], 0
.LBB520_1676:
	s_andn2_b64 vcc, exec, s[0:1]
	s_cbranch_vccnz .LBB520_1678
; %bb.1677:
	s_waitcnt vmcnt(0)
	v_cvt_f16_f32_e32 v1, v0
	global_store_short v[2:3], v1, off
.LBB520_1678:
	s_mov_b64 s[0:1], 0
.LBB520_1679:
	s_andn2_b64 vcc, exec, s[0:1]
	s_cbranch_vccnz .LBB520_1695
; %bb.1680:
	s_sext_i32_i16 s2, s20
	s_cmp_lt_i32 s2, 2
	s_mov_b64 s[0:1], -1
	s_cbranch_scc1 .LBB520_1690
; %bb.1681:
	s_cmp_lt_i32 s2, 3
	s_cbranch_scc1 .LBB520_1687
; %bb.1682:
	s_cmp_gt_i32 s2, 3
	s_cbranch_scc0 .LBB520_1684
; %bb.1683:
	s_waitcnt vmcnt(0)
	v_trunc_f32_e32 v1, v0
	s_mov_b32 s0, 0x2f800000
	v_mul_f32_e64 v4, |v1|, s0
	v_floor_f32_e32 v4, v4
	s_mov_b32 s0, 0xcf800000
	v_cvt_u32_f32_e32 v5, v4
	v_fma_f32 v4, v4, s0, |v1|
	v_cvt_u32_f32_e32 v4, v4
	v_ashrrev_i32_e32 v1, 31, v1
	v_xor_b32_e32 v5, v5, v1
	s_mov_b64 s[0:1], 0
	v_xor_b32_e32 v4, v4, v1
	v_sub_co_u32_e32 v4, vcc, v4, v1
	s_nop 1
	v_subb_co_u32_e32 v5, vcc, v5, v1, vcc
	global_store_dwordx2 v[2:3], v[4:5], off
.LBB520_1684:
	s_andn2_b64 vcc, exec, s[0:1]
	s_cbranch_vccnz .LBB520_1686
; %bb.1685:
	s_waitcnt vmcnt(0)
	v_cvt_i32_f32_e32 v1, v0
	global_store_dword v[2:3], v1, off
.LBB520_1686:
	s_mov_b64 s[0:1], 0
.LBB520_1687:
	s_andn2_b64 vcc, exec, s[0:1]
	s_cbranch_vccnz .LBB520_1689
; %bb.1688:
	s_waitcnt vmcnt(0)
	v_cvt_i32_f32_e32 v1, v0
	global_store_short v[2:3], v1, off
.LBB520_1689:
	s_mov_b64 s[0:1], 0
.LBB520_1690:
	s_andn2_b64 vcc, exec, s[0:1]
	s_cbranch_vccnz .LBB520_1695
; %bb.1691:
	s_sext_i32_i16 s0, s20
	s_cmp_gt_i32 s0, 0
	s_mov_b64 s[0:1], -1
	s_cbranch_scc0 .LBB520_1693
; %bb.1692:
	s_waitcnt vmcnt(0)
	v_cvt_i32_f32_e32 v1, v0
	s_mov_b64 s[0:1], 0
	global_store_byte v[2:3], v1, off
.LBB520_1693:
	s_andn2_b64 vcc, exec, s[0:1]
	s_cbranch_vccnz .LBB520_1695
; %bb.1694:
	v_trunc_f32_e32 v0, v0
	s_mov_b32 s0, 0x2f800000
	s_waitcnt vmcnt(0)
	v_mul_f32_e64 v1, |v0|, s0
	v_floor_f32_e32 v1, v1
	s_mov_b32 s0, 0xcf800000
	v_fma_f32 v1, v1, s0, |v0|
	v_cvt_u32_f32_e32 v1, v1
	v_ashrrev_i32_e32 v0, 31, v0
	v_xor_b32_e32 v1, v1, v0
	v_sub_u32_e32 v0, v1, v0
	global_store_byte v[2:3], v0, off
	s_endpgm
.LBB520_1695:
	s_endpgm
.LBB520_1696:
	s_mov_b64 s[0:1], -1
	s_mov_b64 s[6:7], 0
.LBB520_1697:
	s_and_b64 vcc, exec, s[0:1]
	s_cbranch_vccz .LBB520_1736
; %bb.1698:
	s_and_b32 s2, 0xffff, s20
	s_cmp_lt_i32 s2, 5
	s_mov_b64 s[0:1], -1
	s_cbranch_scc1 .LBB520_1719
; %bb.1699:
	s_cmp_lt_i32 s2, 8
	s_cbranch_scc1 .LBB520_1709
; %bb.1700:
	s_cmp_lt_i32 s2, 9
	s_cbranch_scc1 .LBB520_1706
; %bb.1701:
	s_cmp_gt_i32 s2, 9
	s_cbranch_scc0 .LBB520_1703
; %bb.1702:
	v_mov_b32_e32 v14, 0
	v_cvt_f64_f32_e32 v[12:13], v2
	v_mov_b32_e32 v15, v14
	global_store_dwordx4 v[10:11], v[12:15], off
	s_mov_b64 s[0:1], 0
.LBB520_1703:
	s_andn2_b64 vcc, exec, s[0:1]
	s_cbranch_vccnz .LBB520_1705
; %bb.1704:
	v_mov_b32_e32 v3, 0
	global_store_dwordx2 v[10:11], v[2:3], off
.LBB520_1705:
	s_mov_b64 s[0:1], 0
.LBB520_1706:
	s_andn2_b64 vcc, exec, s[0:1]
	s_cbranch_vccnz .LBB520_1708
; %bb.1707:
	v_cvt_f16_f32_e32 v1, v2
	global_store_dword v[10:11], v1, off
.LBB520_1708:
	s_mov_b64 s[0:1], 0
.LBB520_1709:
	s_andn2_b64 vcc, exec, s[0:1]
	s_cbranch_vccnz .LBB520_1718
; %bb.1710:
	s_cmp_lt_i32 s2, 6
	s_mov_b64 s[0:1], -1
	s_cbranch_scc1 .LBB520_1716
; %bb.1711:
	s_cmp_gt_i32 s2, 6
	s_cbranch_scc0 .LBB520_1713
; %bb.1712:
	v_cvt_f64_f32_e32 v[12:13], v2
	global_store_dwordx2 v[10:11], v[12:13], off
	s_mov_b64 s[0:1], 0
.LBB520_1713:
	s_andn2_b64 vcc, exec, s[0:1]
	s_cbranch_vccnz .LBB520_1715
; %bb.1714:
	global_store_dword v[10:11], v2, off
.LBB520_1715:
	s_mov_b64 s[0:1], 0
.LBB520_1716:
	s_andn2_b64 vcc, exec, s[0:1]
	s_cbranch_vccnz .LBB520_1718
; %bb.1717:
	v_cvt_f16_f32_e32 v1, v2
	global_store_short v[10:11], v1, off
.LBB520_1718:
	s_mov_b64 s[0:1], 0
.LBB520_1719:
	s_andn2_b64 vcc, exec, s[0:1]
	s_cbranch_vccnz .LBB520_1735
; %bb.1720:
	s_cmp_lt_i32 s2, 2
	s_mov_b64 s[0:1], -1
	s_cbranch_scc1 .LBB520_1730
; %bb.1721:
	s_cmp_lt_i32 s2, 3
	s_cbranch_scc1 .LBB520_1727
; %bb.1722:
	s_cmp_gt_i32 s2, 3
	s_cbranch_scc0 .LBB520_1724
; %bb.1723:
	v_trunc_f32_e32 v1, v2
	s_mov_b32 s0, 0x2f800000
	v_mul_f32_e64 v3, |v1|, s0
	v_floor_f32_e32 v3, v3
	s_mov_b32 s0, 0xcf800000
	v_cvt_u32_f32_e32 v5, v3
	v_fma_f32 v3, v3, s0, |v1|
	v_cvt_u32_f32_e32 v3, v3
	v_ashrrev_i32_e32 v1, 31, v1
	v_xor_b32_e32 v5, v5, v1
	s_mov_b64 s[0:1], 0
	v_xor_b32_e32 v3, v3, v1
	v_sub_co_u32_e32 v12, vcc, v3, v1
	s_nop 1
	v_subb_co_u32_e32 v13, vcc, v5, v1, vcc
	global_store_dwordx2 v[10:11], v[12:13], off
.LBB520_1724:
	s_andn2_b64 vcc, exec, s[0:1]
	s_cbranch_vccnz .LBB520_1726
; %bb.1725:
	v_cvt_i32_f32_e32 v1, v2
	global_store_dword v[10:11], v1, off
.LBB520_1726:
	s_mov_b64 s[0:1], 0
.LBB520_1727:
	s_andn2_b64 vcc, exec, s[0:1]
	s_cbranch_vccnz .LBB520_1729
; %bb.1728:
	v_cvt_i32_f32_e32 v1, v2
	global_store_short v[10:11], v1, off
.LBB520_1729:
	s_mov_b64 s[0:1], 0
.LBB520_1730:
	s_andn2_b64 vcc, exec, s[0:1]
	s_cbranch_vccnz .LBB520_1735
; %bb.1731:
	s_cmp_gt_i32 s2, 0
	s_mov_b64 s[0:1], -1
	s_cbranch_scc0 .LBB520_1733
; %bb.1732:
	v_cvt_i32_f32_e32 v1, v2
	s_mov_b64 s[0:1], 0
	global_store_byte v[10:11], v1, off
.LBB520_1733:
	s_andn2_b64 vcc, exec, s[0:1]
	s_cbranch_vccnz .LBB520_1735
; %bb.1734:
	v_trunc_f32_e32 v1, v2
	s_mov_b32 s0, 0x2f800000
	v_mul_f32_e64 v2, |v1|, s0
	v_floor_f32_e32 v2, v2
	s_mov_b32 s0, 0xcf800000
	v_fma_f32 v2, v2, s0, |v1|
	v_cvt_u32_f32_e32 v2, v2
	v_ashrrev_i32_e32 v1, 31, v1
	v_xor_b32_e32 v2, v2, v1
	v_sub_u32_e32 v1, v2, v1
	global_store_byte v[10:11], v1, off
.LBB520_1735:
	s_mov_b64 s[6:7], -1
.LBB520_1736:
	s_andn2_b64 vcc, exec, s[6:7]
	s_cbranch_vccnz .LBB520_2051
; %bb.1737:
	s_lshl_b32 s12, s8, 7
	v_add_u32_e32 v2, s12, v8
	v_ashrrev_i32_e32 v3, 31, v2
	s_cmp_lt_i32 s20, 11
	v_lshl_add_u64 v[8:9], s[4:5], 0, v[2:3]
	s_cbranch_scc1 .LBB520_1815
; %bb.1738:
	s_and_b32 s13, 0xffff, s20
	s_mov_b64 s[8:9], -1
	s_mov_b64 s[2:3], 0
	s_cmp_gt_i32 s13, 25
	s_mov_b64 s[6:7], 0
	s_mov_b64 s[0:1], 0
	s_cbranch_scc0 .LBB520_1771
; %bb.1739:
	s_cmp_gt_i32 s13, 28
	s_cbranch_scc0 .LBB520_1754
; %bb.1740:
	s_cmp_gt_i32 s13, 43
	;; [unrolled: 3-line block ×3, first 2 shown]
	s_cbranch_scc0 .LBB520_1744
; %bb.1742:
	s_mov_b64 s[0:1], -1
	s_mov_b64 s[8:9], 0
	s_cmp_eq_u32 s13, 46
	s_cbranch_scc0 .LBB520_1744
; %bb.1743:
	v_bfe_u32 v1, v4, 16, 1
	s_movk_i32 s0, 0x7fff
	v_add3_u32 v1, v4, v1, s0
	v_cmp_o_f32_e32 vcc, v4, v4
	v_mov_b32_e32 v3, 0x7fc0
	s_mov_b64 s[0:1], 0
	v_cndmask_b32_sdwa v1, v3, v1, vcc dst_sel:DWORD dst_unused:UNUSED_PAD src0_sel:DWORD src1_sel:WORD_1
	global_store_dword v[8:9], v1, off
	s_mov_b64 s[6:7], -1
.LBB520_1744:
	s_and_b64 vcc, exec, s[8:9]
	s_cbranch_vccz .LBB520_1749
; %bb.1745:
	s_cmp_eq_u32 s13, 44
	s_mov_b64 s[0:1], -1
	s_cbranch_scc0 .LBB520_1749
; %bb.1746:
	v_bfe_u32 v1, v4, 23, 8
	s_movk_i32 s0, 0xff
	v_cmp_ne_u32_e32 vcc, s0, v1
	v_mov_b32_e32 v3, 0xff
	s_and_saveexec_b64 s[6:7], vcc
; %bb.1747:
	s_mov_b32 s0, 0x3fffff
	v_and_b32_e32 v5, 0x400000, v4
	v_and_or_b32 v1, v4, s0, v1
	v_cmp_ne_u32_e32 vcc, 0, v5
	v_cmp_ne_u32_e64 s[0:1], 0, v1
	s_and_b64 s[0:1], vcc, s[0:1]
	v_lshrrev_b32_e32 v3, 23, v4
	v_cndmask_b32_e64 v1, 0, 1, s[0:1]
	v_add_u32_e32 v3, v3, v1
; %bb.1748:
	s_or_b64 exec, exec, s[6:7]
	s_mov_b64 s[0:1], 0
	s_mov_b64 s[6:7], -1
	global_store_byte v[8:9], v3, off
.LBB520_1749:
	s_mov_b64 s[8:9], 0
.LBB520_1750:
	s_and_b64 vcc, exec, s[8:9]
	s_cbranch_vccz .LBB520_1753
; %bb.1751:
	s_cmp_eq_u32 s13, 29
	s_mov_b64 s[0:1], -1
	s_cbranch_scc0 .LBB520_1753
; %bb.1752:
	v_trunc_f32_e32 v1, v4
	v_mul_f32_e32 v3, 0x2f800000, v1
	v_floor_f32_e32 v3, v3
	v_fmamk_f32 v1, v3, 0xcf800000, v1
	v_cvt_u32_f32_e32 v11, v3
	v_cvt_u32_f32_e32 v10, v1
	s_mov_b64 s[0:1], 0
	s_mov_b64 s[6:7], -1
	global_store_dwordx2 v[8:9], v[10:11], off
.LBB520_1753:
	s_mov_b64 s[8:9], 0
.LBB520_1754:
	s_and_b64 vcc, exec, s[8:9]
	s_cbranch_vccz .LBB520_1770
; %bb.1755:
	s_cmp_lt_i32 s13, 27
	s_mov_b64 s[6:7], -1
	s_cbranch_scc1 .LBB520_1761
; %bb.1756:
	v_cvt_u32_f32_e32 v1, v4
	s_cmp_gt_i32 s13, 27
	s_cbranch_scc0 .LBB520_1758
; %bb.1757:
	s_mov_b64 s[6:7], 0
	global_store_dword v[8:9], v1, off
.LBB520_1758:
	s_andn2_b64 vcc, exec, s[6:7]
	s_cbranch_vccnz .LBB520_1760
; %bb.1759:
	global_store_short v[8:9], v1, off
.LBB520_1760:
	s_mov_b64 s[6:7], 0
.LBB520_1761:
	s_andn2_b64 vcc, exec, s[6:7]
	s_cbranch_vccnz .LBB520_1769
; %bb.1762:
	v_and_b32_e32 v1, 0x7fffffff, v4
	s_mov_b32 s6, 0x43800000
	v_cmp_gt_u32_e32 vcc, s6, v1
	v_mov_b32_e32 v3, 0x80
	s_and_saveexec_b64 s[6:7], vcc
	s_cbranch_execz .LBB520_1768
; %bb.1763:
	s_mov_b32 s8, 0x3bffffff
	v_cmp_lt_u32_e32 vcc, s8, v1
	s_mov_b64 s[8:9], 0
                                        ; implicit-def: $vgpr1
	s_and_saveexec_b64 s[10:11], vcc
	s_xor_b64 s[10:11], exec, s[10:11]
	s_cbranch_execz .LBB520_2059
; %bb.1764:
	v_bfe_u32 v1, v4, 20, 1
	s_mov_b32 s21, 0x487ffff
	v_add3_u32 v1, v4, v1, s21
	s_mov_b64 s[8:9], exec
	v_lshrrev_b32_e32 v1, 20, v1
	s_andn2_saveexec_b64 s[10:11], s[10:11]
	s_cbranch_execnz .LBB520_2060
.LBB520_1765:
	s_or_b64 exec, exec, s[10:11]
	v_mov_b32_e32 v3, 0
	s_and_saveexec_b64 s[10:11], s[8:9]
.LBB520_1766:
	v_lshrrev_b32_e32 v3, 24, v4
	s_movk_i32 s8, 0x80
	v_and_or_b32 v3, v3, s8, v1
.LBB520_1767:
	s_or_b64 exec, exec, s[10:11]
.LBB520_1768:
	s_or_b64 exec, exec, s[6:7]
	global_store_byte v[8:9], v3, off
.LBB520_1769:
	s_mov_b64 s[6:7], -1
.LBB520_1770:
	s_mov_b64 s[8:9], 0
.LBB520_1771:
	s_and_b64 vcc, exec, s[8:9]
	s_cbranch_vccz .LBB520_1811
; %bb.1772:
	s_cmp_gt_i32 s13, 22
	s_mov_b64 s[2:3], -1
	s_cbranch_scc0 .LBB520_1804
; %bb.1773:
	s_cmp_lt_i32 s13, 24
	s_cbranch_scc1 .LBB520_1793
; %bb.1774:
	s_cmp_gt_i32 s13, 24
	s_cbranch_scc0 .LBB520_1782
; %bb.1775:
	v_and_b32_e32 v1, 0x7fffffff, v4
	s_mov_b32 s2, 0x47800000
	v_cmp_gt_u32_e32 vcc, s2, v1
	v_mov_b32_e32 v3, 0x80
	s_and_saveexec_b64 s[2:3], vcc
	s_cbranch_execz .LBB520_1781
; %bb.1776:
	s_mov_b32 s6, 0x37ffffff
	v_cmp_lt_u32_e32 vcc, s6, v1
	s_mov_b64 s[6:7], 0
                                        ; implicit-def: $vgpr1
	s_and_saveexec_b64 s[8:9], vcc
	s_xor_b64 s[8:9], exec, s[8:9]
	s_cbranch_execz .LBB520_2062
; %bb.1777:
	v_bfe_u32 v1, v4, 21, 1
	s_mov_b32 s10, 0x88fffff
	v_add3_u32 v1, v4, v1, s10
	s_mov_b64 s[6:7], exec
	v_lshrrev_b32_e32 v1, 21, v1
	s_andn2_saveexec_b64 s[8:9], s[8:9]
	s_cbranch_execnz .LBB520_2063
.LBB520_1778:
	s_or_b64 exec, exec, s[8:9]
	v_mov_b32_e32 v3, 0
	s_and_saveexec_b64 s[8:9], s[6:7]
.LBB520_1779:
	v_lshrrev_b32_e32 v3, 24, v4
	s_movk_i32 s6, 0x80
	v_and_or_b32 v3, v3, s6, v1
.LBB520_1780:
	s_or_b64 exec, exec, s[8:9]
.LBB520_1781:
	s_or_b64 exec, exec, s[2:3]
	s_mov_b64 s[2:3], 0
	global_store_byte v[8:9], v3, off
.LBB520_1782:
	s_and_b64 vcc, exec, s[2:3]
	s_cbranch_vccz .LBB520_1792
; %bb.1783:
	v_and_b32_e32 v3, 0x7fffffff, v4
	s_mov_b32 s2, 0x43f00000
	v_cmp_gt_u32_e32 vcc, s2, v3
                                        ; implicit-def: $vgpr1
	s_and_saveexec_b64 s[2:3], vcc
	s_xor_b64 s[2:3], exec, s[2:3]
	s_cbranch_execz .LBB520_1789
; %bb.1784:
	s_mov_b32 s6, 0x3c7fffff
	v_cmp_lt_u32_e32 vcc, s6, v3
                                        ; implicit-def: $vgpr1
	s_and_saveexec_b64 s[6:7], vcc
	s_xor_b64 s[6:7], exec, s[6:7]
; %bb.1785:
	v_bfe_u32 v1, v4, 20, 1
	s_mov_b32 s8, 0x407ffff
	v_add3_u32 v1, v4, v1, s8
	v_lshrrev_b32_e32 v3, 20, v1
	v_and_b32_e32 v1, 0xff00000, v1
	s_mov_b32 s8, 0x7f00000
	v_mov_b32_e32 v5, 0x7e
	v_cmp_ne_u32_e32 vcc, s8, v1
	s_nop 1
	v_cndmask_b32_e32 v1, v5, v3, vcc
; %bb.1786:
	s_andn2_saveexec_b64 s[6:7], s[6:7]
; %bb.1787:
	s_mov_b32 s8, 0x46800000
	v_add_f32_e64 v1, |v4|, s8
; %bb.1788:
	s_or_b64 exec, exec, s[6:7]
                                        ; implicit-def: $vgpr3
.LBB520_1789:
	s_andn2_saveexec_b64 s[2:3], s[2:3]
; %bb.1790:
	s_mov_b32 s6, 0x7f800000
	v_mov_b32_e32 v1, 0x7e
	v_mov_b32_e32 v5, 0x7f
	v_cmp_lt_u32_e32 vcc, s6, v3
	s_nop 1
	v_cndmask_b32_e32 v1, v1, v5, vcc
; %bb.1791:
	s_or_b64 exec, exec, s[2:3]
	v_lshrrev_b32_e32 v3, 24, v4
	s_movk_i32 s2, 0x80
	v_and_or_b32 v1, v3, s2, v1
	global_store_byte v[8:9], v1, off
.LBB520_1792:
	s_mov_b64 s[2:3], 0
.LBB520_1793:
	s_andn2_b64 vcc, exec, s[2:3]
	s_cbranch_vccnz .LBB520_1803
; %bb.1794:
	v_and_b32_e32 v3, 0x7fffffff, v4
	s_mov_b32 s2, 0x47800000
	v_cmp_gt_u32_e32 vcc, s2, v3
                                        ; implicit-def: $vgpr1
	s_and_saveexec_b64 s[2:3], vcc
	s_xor_b64 s[2:3], exec, s[2:3]
	s_cbranch_execz .LBB520_1800
; %bb.1795:
	s_mov_b32 s6, 0x387fffff
	v_cmp_lt_u32_e32 vcc, s6, v3
                                        ; implicit-def: $vgpr1
	s_and_saveexec_b64 s[6:7], vcc
	s_xor_b64 s[6:7], exec, s[6:7]
; %bb.1796:
	v_bfe_u32 v1, v4, 21, 1
	s_mov_b32 s8, 0x80fffff
	v_add3_u32 v1, v4, v1, s8
	v_lshrrev_b32_e32 v1, 21, v1
; %bb.1797:
	s_andn2_saveexec_b64 s[6:7], s[6:7]
; %bb.1798:
	s_mov_b32 s8, 0x43000000
	v_add_f32_e64 v1, |v4|, s8
; %bb.1799:
	s_or_b64 exec, exec, s[6:7]
                                        ; implicit-def: $vgpr3
.LBB520_1800:
	s_andn2_saveexec_b64 s[2:3], s[2:3]
; %bb.1801:
	s_mov_b32 s6, 0x7f800000
	v_mov_b32_e32 v1, 0x7c
	v_mov_b32_e32 v5, 0x7f
	v_cmp_lt_u32_e32 vcc, s6, v3
	s_nop 1
	v_cndmask_b32_e32 v1, v1, v5, vcc
; %bb.1802:
	s_or_b64 exec, exec, s[2:3]
	v_lshrrev_b32_e32 v3, 24, v4
	s_movk_i32 s2, 0x80
	v_and_or_b32 v1, v3, s2, v1
	global_store_byte v[8:9], v1, off
.LBB520_1803:
	s_mov_b64 s[2:3], 0
	s_mov_b64 s[6:7], -1
.LBB520_1804:
	s_andn2_b64 vcc, exec, s[2:3]
	s_mov_b64 s[2:3], 0
	s_cbranch_vccnz .LBB520_1811
; %bb.1805:
	s_cmp_gt_i32 s13, 14
	s_mov_b64 s[8:9], -1
	s_cbranch_scc0 .LBB520_1809
; %bb.1806:
	s_cmp_eq_u32 s13, 15
	s_mov_b64 s[0:1], -1
	s_cbranch_scc0 .LBB520_1808
; %bb.1807:
	v_bfe_u32 v1, v4, 16, 1
	s_movk_i32 s0, 0x7fff
	v_add3_u32 v1, v4, v1, s0
	v_cmp_o_f32_e32 vcc, v4, v4
	v_mov_b32_e32 v3, 0x7fc0
	s_mov_b64 s[0:1], 0
	v_cndmask_b32_sdwa v1, v3, v1, vcc dst_sel:DWORD dst_unused:UNUSED_PAD src0_sel:DWORD src1_sel:WORD_1
	global_store_short v[8:9], v1, off
	s_mov_b64 s[6:7], -1
.LBB520_1808:
	s_mov_b64 s[8:9], 0
.LBB520_1809:
	s_and_b64 vcc, exec, s[8:9]
	s_cbranch_vccz .LBB520_1811
; %bb.1810:
	s_cmp_lg_u32 s13, 11
	s_mov_b64 s[2:3], -1
	s_cselect_b64 s[0:1], -1, 0
.LBB520_1811:
	s_and_b64 vcc, exec, s[0:1]
	s_cbranch_vccnz .LBB520_2061
; %bb.1812:
	s_andn2_b64 vcc, exec, s[2:3]
	s_cbranch_vccnz .LBB520_1814
.LBB520_1813:
	v_cmp_neq_f32_e32 vcc, 0, v4
	s_mov_b64 s[6:7], -1
	s_nop 0
	v_cndmask_b32_e64 v1, 0, 1, vcc
	global_store_byte v[8:9], v1, off
.LBB520_1814:
	s_mov_b64 s[0:1], 0
	s_branch .LBB520_1816
.LBB520_1815:
	s_mov_b64 s[0:1], -1
	s_mov_b64 s[6:7], 0
.LBB520_1816:
	s_and_b64 vcc, exec, s[0:1]
	s_cbranch_vccz .LBB520_1855
; %bb.1817:
	s_and_b32 s2, 0xffff, s20
	s_cmp_lt_i32 s2, 5
	s_mov_b64 s[0:1], -1
	s_cbranch_scc1 .LBB520_1838
; %bb.1818:
	s_cmp_lt_i32 s2, 8
	s_cbranch_scc1 .LBB520_1828
; %bb.1819:
	s_cmp_lt_i32 s2, 9
	s_cbranch_scc1 .LBB520_1825
; %bb.1820:
	s_cmp_gt_i32 s2, 9
	s_cbranch_scc0 .LBB520_1822
; %bb.1821:
	v_mov_b32_e32 v12, 0
	v_cvt_f64_f32_e32 v[10:11], v4
	v_mov_b32_e32 v13, v12
	global_store_dwordx4 v[8:9], v[10:13], off
	s_mov_b64 s[0:1], 0
.LBB520_1822:
	s_andn2_b64 vcc, exec, s[0:1]
	s_cbranch_vccnz .LBB520_1824
; %bb.1823:
	v_mov_b32_e32 v5, 0
	global_store_dwordx2 v[8:9], v[4:5], off
.LBB520_1824:
	s_mov_b64 s[0:1], 0
.LBB520_1825:
	s_andn2_b64 vcc, exec, s[0:1]
	s_cbranch_vccnz .LBB520_1827
; %bb.1826:
	v_cvt_f16_f32_e32 v1, v4
	global_store_dword v[8:9], v1, off
.LBB520_1827:
	s_mov_b64 s[0:1], 0
.LBB520_1828:
	s_andn2_b64 vcc, exec, s[0:1]
	s_cbranch_vccnz .LBB520_1837
; %bb.1829:
	s_cmp_lt_i32 s2, 6
	s_mov_b64 s[0:1], -1
	s_cbranch_scc1 .LBB520_1835
; %bb.1830:
	s_cmp_gt_i32 s2, 6
	s_cbranch_scc0 .LBB520_1832
; %bb.1831:
	v_cvt_f64_f32_e32 v[10:11], v4
	global_store_dwordx2 v[8:9], v[10:11], off
	s_mov_b64 s[0:1], 0
.LBB520_1832:
	s_andn2_b64 vcc, exec, s[0:1]
	s_cbranch_vccnz .LBB520_1834
; %bb.1833:
	global_store_dword v[8:9], v4, off
.LBB520_1834:
	s_mov_b64 s[0:1], 0
.LBB520_1835:
	s_andn2_b64 vcc, exec, s[0:1]
	s_cbranch_vccnz .LBB520_1837
; %bb.1836:
	v_cvt_f16_f32_e32 v1, v4
	global_store_short v[8:9], v1, off
.LBB520_1837:
	s_mov_b64 s[0:1], 0
.LBB520_1838:
	s_andn2_b64 vcc, exec, s[0:1]
	s_cbranch_vccnz .LBB520_1854
; %bb.1839:
	s_cmp_lt_i32 s2, 2
	s_mov_b64 s[0:1], -1
	s_cbranch_scc1 .LBB520_1849
; %bb.1840:
	s_cmp_lt_i32 s2, 3
	s_cbranch_scc1 .LBB520_1846
; %bb.1841:
	s_cmp_gt_i32 s2, 3
	s_cbranch_scc0 .LBB520_1843
; %bb.1842:
	v_trunc_f32_e32 v1, v4
	s_mov_b32 s0, 0x2f800000
	v_mul_f32_e64 v3, |v1|, s0
	v_floor_f32_e32 v3, v3
	s_mov_b32 s0, 0xcf800000
	v_cvt_u32_f32_e32 v5, v3
	v_fma_f32 v3, v3, s0, |v1|
	v_cvt_u32_f32_e32 v3, v3
	v_ashrrev_i32_e32 v1, 31, v1
	v_xor_b32_e32 v5, v5, v1
	s_mov_b64 s[0:1], 0
	v_xor_b32_e32 v3, v3, v1
	v_sub_co_u32_e32 v10, vcc, v3, v1
	s_nop 1
	v_subb_co_u32_e32 v11, vcc, v5, v1, vcc
	global_store_dwordx2 v[8:9], v[10:11], off
.LBB520_1843:
	s_andn2_b64 vcc, exec, s[0:1]
	s_cbranch_vccnz .LBB520_1845
; %bb.1844:
	v_cvt_i32_f32_e32 v1, v4
	global_store_dword v[8:9], v1, off
.LBB520_1845:
	s_mov_b64 s[0:1], 0
.LBB520_1846:
	s_andn2_b64 vcc, exec, s[0:1]
	s_cbranch_vccnz .LBB520_1848
; %bb.1847:
	v_cvt_i32_f32_e32 v1, v4
	global_store_short v[8:9], v1, off
.LBB520_1848:
	s_mov_b64 s[0:1], 0
.LBB520_1849:
	s_andn2_b64 vcc, exec, s[0:1]
	s_cbranch_vccnz .LBB520_1854
; %bb.1850:
	s_cmp_gt_i32 s2, 0
	s_mov_b64 s[0:1], -1
	s_cbranch_scc0 .LBB520_1852
; %bb.1851:
	v_cvt_i32_f32_e32 v1, v4
	s_mov_b64 s[0:1], 0
	global_store_byte v[8:9], v1, off
.LBB520_1852:
	s_andn2_b64 vcc, exec, s[0:1]
	s_cbranch_vccnz .LBB520_1854
; %bb.1853:
	v_trunc_f32_e32 v1, v4
	s_mov_b32 s0, 0x2f800000
	v_mul_f32_e64 v3, |v1|, s0
	v_floor_f32_e32 v3, v3
	s_mov_b32 s0, 0xcf800000
	v_fma_f32 v3, v3, s0, |v1|
	v_cvt_u32_f32_e32 v3, v3
	v_ashrrev_i32_e32 v1, 31, v1
	v_xor_b32_e32 v3, v3, v1
	v_sub_u32_e32 v1, v3, v1
	global_store_byte v[8:9], v1, off
.LBB520_1854:
	s_mov_b64 s[6:7], -1
.LBB520_1855:
	s_andn2_b64 vcc, exec, s[6:7]
	s_cbranch_vccnz .LBB520_2051
; %bb.1856:
	v_add_u32_e32 v2, s12, v2
	v_ashrrev_i32_e32 v3, 31, v2
	s_cmp_lt_i32 s20, 11
	v_lshl_add_u64 v[4:5], s[4:5], 0, v[2:3]
	s_cbranch_scc1 .LBB520_1934
; %bb.1857:
	s_and_b32 s13, 0xffff, s20
	s_mov_b64 s[8:9], -1
	s_mov_b64 s[2:3], 0
	s_cmp_gt_i32 s13, 25
	s_mov_b64 s[6:7], 0
	s_mov_b64 s[0:1], 0
	s_cbranch_scc0 .LBB520_1890
; %bb.1858:
	s_cmp_gt_i32 s13, 28
	s_cbranch_scc0 .LBB520_1873
; %bb.1859:
	s_cmp_gt_i32 s13, 43
	;; [unrolled: 3-line block ×3, first 2 shown]
	s_cbranch_scc0 .LBB520_1863
; %bb.1861:
	s_mov_b64 s[0:1], -1
	s_mov_b64 s[8:9], 0
	s_cmp_eq_u32 s13, 46
	s_cbranch_scc0 .LBB520_1863
; %bb.1862:
	v_bfe_u32 v1, v6, 16, 1
	s_movk_i32 s0, 0x7fff
	v_add3_u32 v1, v6, v1, s0
	v_cmp_o_f32_e32 vcc, v6, v6
	v_mov_b32_e32 v3, 0x7fc0
	s_mov_b64 s[0:1], 0
	v_cndmask_b32_sdwa v1, v3, v1, vcc dst_sel:DWORD dst_unused:UNUSED_PAD src0_sel:DWORD src1_sel:WORD_1
	global_store_dword v[4:5], v1, off
	s_mov_b64 s[6:7], -1
.LBB520_1863:
	s_and_b64 vcc, exec, s[8:9]
	s_cbranch_vccz .LBB520_1868
; %bb.1864:
	s_cmp_eq_u32 s13, 44
	s_mov_b64 s[0:1], -1
	s_cbranch_scc0 .LBB520_1868
; %bb.1865:
	v_bfe_u32 v1, v6, 23, 8
	s_movk_i32 s0, 0xff
	v_cmp_ne_u32_e32 vcc, s0, v1
	v_mov_b32_e32 v3, 0xff
	s_and_saveexec_b64 s[6:7], vcc
; %bb.1866:
	s_mov_b32 s0, 0x3fffff
	v_and_b32_e32 v7, 0x400000, v6
	v_and_or_b32 v1, v6, s0, v1
	v_cmp_ne_u32_e32 vcc, 0, v7
	v_cmp_ne_u32_e64 s[0:1], 0, v1
	s_and_b64 s[0:1], vcc, s[0:1]
	v_lshrrev_b32_e32 v3, 23, v6
	v_cndmask_b32_e64 v1, 0, 1, s[0:1]
	v_add_u32_e32 v3, v3, v1
; %bb.1867:
	s_or_b64 exec, exec, s[6:7]
	s_mov_b64 s[0:1], 0
	s_mov_b64 s[6:7], -1
	global_store_byte v[4:5], v3, off
.LBB520_1868:
	s_mov_b64 s[8:9], 0
.LBB520_1869:
	s_and_b64 vcc, exec, s[8:9]
	s_cbranch_vccz .LBB520_1872
; %bb.1870:
	s_cmp_eq_u32 s13, 29
	s_mov_b64 s[0:1], -1
	s_cbranch_scc0 .LBB520_1872
; %bb.1871:
	v_trunc_f32_e32 v1, v6
	v_mul_f32_e32 v3, 0x2f800000, v1
	v_floor_f32_e32 v3, v3
	v_fmamk_f32 v1, v3, 0xcf800000, v1
	v_cvt_u32_f32_e32 v9, v3
	v_cvt_u32_f32_e32 v8, v1
	s_mov_b64 s[0:1], 0
	s_mov_b64 s[6:7], -1
	global_store_dwordx2 v[4:5], v[8:9], off
.LBB520_1872:
	s_mov_b64 s[8:9], 0
.LBB520_1873:
	s_and_b64 vcc, exec, s[8:9]
	s_cbranch_vccz .LBB520_1889
; %bb.1874:
	s_cmp_lt_i32 s13, 27
	s_mov_b64 s[6:7], -1
	s_cbranch_scc1 .LBB520_1880
; %bb.1875:
	v_cvt_u32_f32_e32 v1, v6
	s_cmp_gt_i32 s13, 27
	s_cbranch_scc0 .LBB520_1877
; %bb.1876:
	s_mov_b64 s[6:7], 0
	global_store_dword v[4:5], v1, off
.LBB520_1877:
	s_andn2_b64 vcc, exec, s[6:7]
	s_cbranch_vccnz .LBB520_1879
; %bb.1878:
	global_store_short v[4:5], v1, off
.LBB520_1879:
	s_mov_b64 s[6:7], 0
.LBB520_1880:
	s_andn2_b64 vcc, exec, s[6:7]
	s_cbranch_vccnz .LBB520_1888
; %bb.1881:
	v_and_b32_e32 v1, 0x7fffffff, v6
	s_mov_b32 s6, 0x43800000
	v_cmp_gt_u32_e32 vcc, s6, v1
	v_mov_b32_e32 v3, 0x80
	s_and_saveexec_b64 s[6:7], vcc
	s_cbranch_execz .LBB520_1887
; %bb.1882:
	s_mov_b32 s8, 0x3bffffff
	v_cmp_lt_u32_e32 vcc, s8, v1
	s_mov_b64 s[8:9], 0
                                        ; implicit-def: $vgpr1
	s_and_saveexec_b64 s[10:11], vcc
	s_xor_b64 s[10:11], exec, s[10:11]
	s_cbranch_execz .LBB520_2064
; %bb.1883:
	v_bfe_u32 v1, v6, 20, 1
	s_mov_b32 s21, 0x487ffff
	v_add3_u32 v1, v6, v1, s21
	s_mov_b64 s[8:9], exec
	v_lshrrev_b32_e32 v1, 20, v1
	s_andn2_saveexec_b64 s[10:11], s[10:11]
	s_cbranch_execnz .LBB520_2065
.LBB520_1884:
	s_or_b64 exec, exec, s[10:11]
	v_mov_b32_e32 v3, 0
	s_and_saveexec_b64 s[10:11], s[8:9]
.LBB520_1885:
	v_lshrrev_b32_e32 v3, 24, v6
	s_movk_i32 s8, 0x80
	v_and_or_b32 v3, v3, s8, v1
.LBB520_1886:
	s_or_b64 exec, exec, s[10:11]
.LBB520_1887:
	s_or_b64 exec, exec, s[6:7]
	global_store_byte v[4:5], v3, off
.LBB520_1888:
	s_mov_b64 s[6:7], -1
.LBB520_1889:
	s_mov_b64 s[8:9], 0
.LBB520_1890:
	s_and_b64 vcc, exec, s[8:9]
	s_cbranch_vccz .LBB520_1930
; %bb.1891:
	s_cmp_gt_i32 s13, 22
	s_mov_b64 s[2:3], -1
	s_cbranch_scc0 .LBB520_1923
; %bb.1892:
	s_cmp_lt_i32 s13, 24
	s_cbranch_scc1 .LBB520_1912
; %bb.1893:
	s_cmp_gt_i32 s13, 24
	s_cbranch_scc0 .LBB520_1901
; %bb.1894:
	v_and_b32_e32 v1, 0x7fffffff, v6
	s_mov_b32 s2, 0x47800000
	v_cmp_gt_u32_e32 vcc, s2, v1
	v_mov_b32_e32 v3, 0x80
	s_and_saveexec_b64 s[2:3], vcc
	s_cbranch_execz .LBB520_1900
; %bb.1895:
	s_mov_b32 s6, 0x37ffffff
	v_cmp_lt_u32_e32 vcc, s6, v1
	s_mov_b64 s[6:7], 0
                                        ; implicit-def: $vgpr1
	s_and_saveexec_b64 s[8:9], vcc
	s_xor_b64 s[8:9], exec, s[8:9]
	s_cbranch_execz .LBB520_2067
; %bb.1896:
	v_bfe_u32 v1, v6, 21, 1
	s_mov_b32 s10, 0x88fffff
	v_add3_u32 v1, v6, v1, s10
	s_mov_b64 s[6:7], exec
	v_lshrrev_b32_e32 v1, 21, v1
	s_andn2_saveexec_b64 s[8:9], s[8:9]
	s_cbranch_execnz .LBB520_2068
.LBB520_1897:
	s_or_b64 exec, exec, s[8:9]
	v_mov_b32_e32 v3, 0
	s_and_saveexec_b64 s[8:9], s[6:7]
.LBB520_1898:
	v_lshrrev_b32_e32 v3, 24, v6
	s_movk_i32 s6, 0x80
	v_and_or_b32 v3, v3, s6, v1
.LBB520_1899:
	s_or_b64 exec, exec, s[8:9]
.LBB520_1900:
	s_or_b64 exec, exec, s[2:3]
	s_mov_b64 s[2:3], 0
	global_store_byte v[4:5], v3, off
.LBB520_1901:
	s_and_b64 vcc, exec, s[2:3]
	s_cbranch_vccz .LBB520_1911
; %bb.1902:
	v_and_b32_e32 v3, 0x7fffffff, v6
	s_mov_b32 s2, 0x43f00000
	v_cmp_gt_u32_e32 vcc, s2, v3
                                        ; implicit-def: $vgpr1
	s_and_saveexec_b64 s[2:3], vcc
	s_xor_b64 s[2:3], exec, s[2:3]
	s_cbranch_execz .LBB520_1908
; %bb.1903:
	s_mov_b32 s6, 0x3c7fffff
	v_cmp_lt_u32_e32 vcc, s6, v3
                                        ; implicit-def: $vgpr1
	s_and_saveexec_b64 s[6:7], vcc
	s_xor_b64 s[6:7], exec, s[6:7]
; %bb.1904:
	v_bfe_u32 v1, v6, 20, 1
	s_mov_b32 s8, 0x407ffff
	v_add3_u32 v1, v6, v1, s8
	v_lshrrev_b32_e32 v3, 20, v1
	v_and_b32_e32 v1, 0xff00000, v1
	s_mov_b32 s8, 0x7f00000
	v_mov_b32_e32 v7, 0x7e
	v_cmp_ne_u32_e32 vcc, s8, v1
	s_nop 1
	v_cndmask_b32_e32 v1, v7, v3, vcc
; %bb.1905:
	s_andn2_saveexec_b64 s[6:7], s[6:7]
; %bb.1906:
	s_mov_b32 s8, 0x46800000
	v_add_f32_e64 v1, |v6|, s8
; %bb.1907:
	s_or_b64 exec, exec, s[6:7]
                                        ; implicit-def: $vgpr3
.LBB520_1908:
	s_andn2_saveexec_b64 s[2:3], s[2:3]
; %bb.1909:
	s_mov_b32 s6, 0x7f800000
	v_mov_b32_e32 v1, 0x7e
	v_mov_b32_e32 v7, 0x7f
	v_cmp_lt_u32_e32 vcc, s6, v3
	s_nop 1
	v_cndmask_b32_e32 v1, v1, v7, vcc
; %bb.1910:
	s_or_b64 exec, exec, s[2:3]
	v_lshrrev_b32_e32 v3, 24, v6
	s_movk_i32 s2, 0x80
	v_and_or_b32 v1, v3, s2, v1
	global_store_byte v[4:5], v1, off
.LBB520_1911:
	s_mov_b64 s[2:3], 0
.LBB520_1912:
	s_andn2_b64 vcc, exec, s[2:3]
	s_cbranch_vccnz .LBB520_1922
; %bb.1913:
	v_and_b32_e32 v3, 0x7fffffff, v6
	s_mov_b32 s2, 0x47800000
	v_cmp_gt_u32_e32 vcc, s2, v3
                                        ; implicit-def: $vgpr1
	s_and_saveexec_b64 s[2:3], vcc
	s_xor_b64 s[2:3], exec, s[2:3]
	s_cbranch_execz .LBB520_1919
; %bb.1914:
	s_mov_b32 s6, 0x387fffff
	v_cmp_lt_u32_e32 vcc, s6, v3
                                        ; implicit-def: $vgpr1
	s_and_saveexec_b64 s[6:7], vcc
	s_xor_b64 s[6:7], exec, s[6:7]
; %bb.1915:
	v_bfe_u32 v1, v6, 21, 1
	s_mov_b32 s8, 0x80fffff
	v_add3_u32 v1, v6, v1, s8
	v_lshrrev_b32_e32 v1, 21, v1
; %bb.1916:
	s_andn2_saveexec_b64 s[6:7], s[6:7]
; %bb.1917:
	s_mov_b32 s8, 0x43000000
	v_add_f32_e64 v1, |v6|, s8
; %bb.1918:
	s_or_b64 exec, exec, s[6:7]
                                        ; implicit-def: $vgpr3
.LBB520_1919:
	s_andn2_saveexec_b64 s[2:3], s[2:3]
; %bb.1920:
	s_mov_b32 s6, 0x7f800000
	v_mov_b32_e32 v1, 0x7c
	v_mov_b32_e32 v7, 0x7f
	v_cmp_lt_u32_e32 vcc, s6, v3
	s_nop 1
	v_cndmask_b32_e32 v1, v1, v7, vcc
; %bb.1921:
	s_or_b64 exec, exec, s[2:3]
	v_lshrrev_b32_e32 v3, 24, v6
	s_movk_i32 s2, 0x80
	v_and_or_b32 v1, v3, s2, v1
	global_store_byte v[4:5], v1, off
.LBB520_1922:
	s_mov_b64 s[2:3], 0
	s_mov_b64 s[6:7], -1
.LBB520_1923:
	s_andn2_b64 vcc, exec, s[2:3]
	s_mov_b64 s[2:3], 0
	s_cbranch_vccnz .LBB520_1930
; %bb.1924:
	s_cmp_gt_i32 s13, 14
	s_mov_b64 s[8:9], -1
	s_cbranch_scc0 .LBB520_1928
; %bb.1925:
	s_cmp_eq_u32 s13, 15
	s_mov_b64 s[0:1], -1
	s_cbranch_scc0 .LBB520_1927
; %bb.1926:
	v_bfe_u32 v1, v6, 16, 1
	s_movk_i32 s0, 0x7fff
	v_add3_u32 v1, v6, v1, s0
	v_cmp_o_f32_e32 vcc, v6, v6
	v_mov_b32_e32 v3, 0x7fc0
	s_mov_b64 s[0:1], 0
	v_cndmask_b32_sdwa v1, v3, v1, vcc dst_sel:DWORD dst_unused:UNUSED_PAD src0_sel:DWORD src1_sel:WORD_1
	global_store_short v[4:5], v1, off
	s_mov_b64 s[6:7], -1
.LBB520_1927:
	s_mov_b64 s[8:9], 0
.LBB520_1928:
	s_and_b64 vcc, exec, s[8:9]
	s_cbranch_vccz .LBB520_1930
; %bb.1929:
	s_cmp_lg_u32 s13, 11
	s_mov_b64 s[2:3], -1
	s_cselect_b64 s[0:1], -1, 0
.LBB520_1930:
	s_and_b64 vcc, exec, s[0:1]
	s_cbranch_vccnz .LBB520_2066
; %bb.1931:
	s_andn2_b64 vcc, exec, s[2:3]
	s_cbranch_vccnz .LBB520_1933
.LBB520_1932:
	v_cmp_neq_f32_e32 vcc, 0, v6
	s_mov_b64 s[6:7], -1
	s_nop 0
	v_cndmask_b32_e64 v1, 0, 1, vcc
	global_store_byte v[4:5], v1, off
.LBB520_1933:
	s_mov_b64 s[0:1], 0
	s_branch .LBB520_1935
.LBB520_1934:
	s_mov_b64 s[0:1], -1
	s_mov_b64 s[6:7], 0
.LBB520_1935:
	s_and_b64 vcc, exec, s[0:1]
	s_cbranch_vccz .LBB520_1974
; %bb.1936:
	s_and_b32 s2, 0xffff, s20
	s_cmp_lt_i32 s2, 5
	s_mov_b64 s[0:1], -1
	s_cbranch_scc1 .LBB520_1957
; %bb.1937:
	s_cmp_lt_i32 s2, 8
	s_cbranch_scc1 .LBB520_1947
; %bb.1938:
	s_cmp_lt_i32 s2, 9
	s_cbranch_scc1 .LBB520_1944
; %bb.1939:
	s_cmp_gt_i32 s2, 9
	s_cbranch_scc0 .LBB520_1941
; %bb.1940:
	v_mov_b32_e32 v10, 0
	v_cvt_f64_f32_e32 v[8:9], v6
	v_mov_b32_e32 v11, v10
	global_store_dwordx4 v[4:5], v[8:11], off
	s_mov_b64 s[0:1], 0
.LBB520_1941:
	s_andn2_b64 vcc, exec, s[0:1]
	s_cbranch_vccnz .LBB520_1943
; %bb.1942:
	v_mov_b32_e32 v7, 0
	global_store_dwordx2 v[4:5], v[6:7], off
.LBB520_1943:
	s_mov_b64 s[0:1], 0
.LBB520_1944:
	s_andn2_b64 vcc, exec, s[0:1]
	s_cbranch_vccnz .LBB520_1946
; %bb.1945:
	v_cvt_f16_f32_e32 v1, v6
	global_store_dword v[4:5], v1, off
.LBB520_1946:
	s_mov_b64 s[0:1], 0
.LBB520_1947:
	s_andn2_b64 vcc, exec, s[0:1]
	s_cbranch_vccnz .LBB520_1956
; %bb.1948:
	s_cmp_lt_i32 s2, 6
	s_mov_b64 s[0:1], -1
	s_cbranch_scc1 .LBB520_1954
; %bb.1949:
	s_cmp_gt_i32 s2, 6
	s_cbranch_scc0 .LBB520_1951
; %bb.1950:
	v_cvt_f64_f32_e32 v[8:9], v6
	global_store_dwordx2 v[4:5], v[8:9], off
	s_mov_b64 s[0:1], 0
.LBB520_1951:
	s_andn2_b64 vcc, exec, s[0:1]
	s_cbranch_vccnz .LBB520_1953
; %bb.1952:
	global_store_dword v[4:5], v6, off
.LBB520_1953:
	s_mov_b64 s[0:1], 0
.LBB520_1954:
	s_andn2_b64 vcc, exec, s[0:1]
	s_cbranch_vccnz .LBB520_1956
; %bb.1955:
	v_cvt_f16_f32_e32 v1, v6
	global_store_short v[4:5], v1, off
.LBB520_1956:
	s_mov_b64 s[0:1], 0
.LBB520_1957:
	s_andn2_b64 vcc, exec, s[0:1]
	s_cbranch_vccnz .LBB520_1973
; %bb.1958:
	s_cmp_lt_i32 s2, 2
	s_mov_b64 s[0:1], -1
	s_cbranch_scc1 .LBB520_1968
; %bb.1959:
	s_cmp_lt_i32 s2, 3
	s_cbranch_scc1 .LBB520_1965
; %bb.1960:
	s_cmp_gt_i32 s2, 3
	s_cbranch_scc0 .LBB520_1962
; %bb.1961:
	v_trunc_f32_e32 v1, v6
	s_mov_b32 s0, 0x2f800000
	v_mul_f32_e64 v3, |v1|, s0
	v_floor_f32_e32 v3, v3
	s_mov_b32 s0, 0xcf800000
	v_cvt_u32_f32_e32 v7, v3
	v_fma_f32 v3, v3, s0, |v1|
	v_cvt_u32_f32_e32 v3, v3
	v_ashrrev_i32_e32 v1, 31, v1
	v_xor_b32_e32 v7, v7, v1
	s_mov_b64 s[0:1], 0
	v_xor_b32_e32 v3, v3, v1
	v_sub_co_u32_e32 v8, vcc, v3, v1
	s_nop 1
	v_subb_co_u32_e32 v9, vcc, v7, v1, vcc
	global_store_dwordx2 v[4:5], v[8:9], off
.LBB520_1962:
	s_andn2_b64 vcc, exec, s[0:1]
	s_cbranch_vccnz .LBB520_1964
; %bb.1963:
	v_cvt_i32_f32_e32 v1, v6
	global_store_dword v[4:5], v1, off
.LBB520_1964:
	s_mov_b64 s[0:1], 0
.LBB520_1965:
	s_andn2_b64 vcc, exec, s[0:1]
	s_cbranch_vccnz .LBB520_1967
; %bb.1966:
	v_cvt_i32_f32_e32 v1, v6
	global_store_short v[4:5], v1, off
.LBB520_1967:
	s_mov_b64 s[0:1], 0
.LBB520_1968:
	s_andn2_b64 vcc, exec, s[0:1]
	s_cbranch_vccnz .LBB520_1973
; %bb.1969:
	s_cmp_gt_i32 s2, 0
	s_mov_b64 s[0:1], -1
	s_cbranch_scc0 .LBB520_1971
; %bb.1970:
	v_cvt_i32_f32_e32 v1, v6
	s_mov_b64 s[0:1], 0
	global_store_byte v[4:5], v1, off
.LBB520_1971:
	s_andn2_b64 vcc, exec, s[0:1]
	s_cbranch_vccnz .LBB520_1973
; %bb.1972:
	v_trunc_f32_e32 v1, v6
	s_mov_b32 s0, 0x2f800000
	v_mul_f32_e64 v3, |v1|, s0
	v_floor_f32_e32 v3, v3
	s_mov_b32 s0, 0xcf800000
	v_fma_f32 v3, v3, s0, |v1|
	v_cvt_u32_f32_e32 v3, v3
	v_ashrrev_i32_e32 v1, 31, v1
	v_xor_b32_e32 v3, v3, v1
	v_sub_u32_e32 v1, v3, v1
	global_store_byte v[4:5], v1, off
.LBB520_1973:
	s_mov_b64 s[6:7], -1
.LBB520_1974:
	s_andn2_b64 vcc, exec, s[6:7]
	s_cbranch_vccnz .LBB520_2051
; %bb.1975:
	v_add_u32_e32 v2, s12, v2
	v_ashrrev_i32_e32 v3, 31, v2
	s_cmp_lt_i32 s20, 11
	v_lshl_add_u64 v[2:3], s[4:5], 0, v[2:3]
	s_cbranch_scc1 .LBB520_2052
; %bb.1976:
	s_and_b32 s10, 0xffff, s20
	s_mov_b64 s[4:5], -1
	s_mov_b64 s[2:3], 0
	s_cmp_gt_i32 s10, 25
	s_mov_b64 s[0:1], 0
	s_cbranch_scc0 .LBB520_2009
; %bb.1977:
	s_cmp_gt_i32 s10, 28
	s_cbranch_scc0 .LBB520_1993
; %bb.1978:
	s_cmp_gt_i32 s10, 43
	;; [unrolled: 3-line block ×3, first 2 shown]
	s_cbranch_scc0 .LBB520_1983
; %bb.1980:
	s_cmp_eq_u32 s10, 46
	s_mov_b64 s[0:1], -1
	s_cbranch_scc0 .LBB520_1982
; %bb.1981:
	v_bfe_u32 v1, v0, 16, 1
	s_movk_i32 s0, 0x7fff
	v_add3_u32 v1, v0, v1, s0
	v_cmp_o_f32_e32 vcc, v0, v0
	v_mov_b32_e32 v4, 0x7fc0
	s_mov_b64 s[0:1], 0
	v_cndmask_b32_sdwa v1, v4, v1, vcc dst_sel:DWORD dst_unused:UNUSED_PAD src0_sel:DWORD src1_sel:WORD_1
	global_store_dword v[2:3], v1, off
.LBB520_1982:
	s_mov_b64 s[4:5], 0
.LBB520_1983:
	s_and_b64 vcc, exec, s[4:5]
	s_cbranch_vccz .LBB520_1988
; %bb.1984:
	s_cmp_eq_u32 s10, 44
	s_mov_b64 s[0:1], -1
	s_cbranch_scc0 .LBB520_1988
; %bb.1985:
	v_bfe_u32 v1, v0, 23, 8
	s_movk_i32 s0, 0xff
	v_cmp_ne_u32_e32 vcc, s0, v1
	v_mov_b32_e32 v4, 0xff
	s_and_saveexec_b64 s[4:5], vcc
; %bb.1986:
	s_mov_b32 s0, 0x3fffff
	v_and_b32_e32 v5, 0x400000, v0
	v_and_or_b32 v1, v0, s0, v1
	v_cmp_ne_u32_e32 vcc, 0, v5
	v_cmp_ne_u32_e64 s[0:1], 0, v1
	s_and_b64 s[0:1], vcc, s[0:1]
	v_lshrrev_b32_e32 v4, 23, v0
	v_cndmask_b32_e64 v1, 0, 1, s[0:1]
	v_add_u32_e32 v4, v4, v1
; %bb.1987:
	s_or_b64 exec, exec, s[4:5]
	s_mov_b64 s[0:1], 0
	global_store_byte v[2:3], v4, off
.LBB520_1988:
	s_mov_b64 s[4:5], 0
.LBB520_1989:
	s_and_b64 vcc, exec, s[4:5]
	s_cbranch_vccz .LBB520_1992
; %bb.1990:
	s_cmp_eq_u32 s10, 29
	s_mov_b64 s[0:1], -1
	s_cbranch_scc0 .LBB520_1992
; %bb.1991:
	v_trunc_f32_e32 v1, v0
	v_mul_f32_e32 v4, 0x2f800000, v1
	v_floor_f32_e32 v4, v4
	v_fmamk_f32 v1, v4, 0xcf800000, v1
	v_cvt_u32_f32_e32 v5, v4
	v_cvt_u32_f32_e32 v4, v1
	s_mov_b64 s[0:1], 0
	global_store_dwordx2 v[2:3], v[4:5], off
.LBB520_1992:
	s_mov_b64 s[4:5], 0
.LBB520_1993:
	s_and_b64 vcc, exec, s[4:5]
	s_cbranch_vccz .LBB520_2008
; %bb.1994:
	s_cmp_lt_i32 s10, 27
	s_mov_b64 s[4:5], -1
	s_cbranch_scc1 .LBB520_2000
; %bb.1995:
	v_cvt_u32_f32_e32 v1, v0
	s_cmp_gt_i32 s10, 27
	s_cbranch_scc0 .LBB520_1997
; %bb.1996:
	global_store_dword v[2:3], v1, off
	s_mov_b64 s[4:5], 0
.LBB520_1997:
	s_andn2_b64 vcc, exec, s[4:5]
	s_cbranch_vccnz .LBB520_1999
; %bb.1998:
	global_store_short v[2:3], v1, off
.LBB520_1999:
	s_mov_b64 s[4:5], 0
.LBB520_2000:
	s_andn2_b64 vcc, exec, s[4:5]
	s_cbranch_vccnz .LBB520_2008
; %bb.2001:
	v_and_b32_e32 v1, 0x7fffffff, v0
	s_mov_b32 s4, 0x43800000
	v_cmp_gt_u32_e32 vcc, s4, v1
	v_mov_b32_e32 v4, 0x80
	s_and_saveexec_b64 s[4:5], vcc
	s_cbranch_execz .LBB520_2007
; %bb.2002:
	s_mov_b32 s6, 0x3bffffff
	v_cmp_lt_u32_e32 vcc, s6, v1
	s_mov_b64 s[6:7], 0
                                        ; implicit-def: $vgpr1
	s_and_saveexec_b64 s[8:9], vcc
	s_xor_b64 s[8:9], exec, s[8:9]
	s_cbranch_execz .LBB520_2069
; %bb.2003:
	v_bfe_u32 v1, v0, 20, 1
	s_mov_b32 s11, 0x487ffff
	v_add3_u32 v1, v0, v1, s11
	s_mov_b64 s[6:7], exec
	v_lshrrev_b32_e32 v1, 20, v1
	s_andn2_saveexec_b64 s[8:9], s[8:9]
	s_cbranch_execnz .LBB520_2070
.LBB520_2004:
	s_or_b64 exec, exec, s[8:9]
	v_mov_b32_e32 v4, 0
	s_and_saveexec_b64 s[8:9], s[6:7]
.LBB520_2005:
	v_lshrrev_b32_e32 v4, 24, v0
	s_movk_i32 s6, 0x80
	v_and_or_b32 v4, v4, s6, v1
.LBB520_2006:
	s_or_b64 exec, exec, s[8:9]
.LBB520_2007:
	s_or_b64 exec, exec, s[4:5]
	global_store_byte v[2:3], v4, off
.LBB520_2008:
	s_mov_b64 s[4:5], 0
.LBB520_2009:
	s_and_b64 vcc, exec, s[4:5]
	s_cbranch_vccz .LBB520_2049
; %bb.2010:
	s_cmp_gt_i32 s10, 22
	s_mov_b64 s[2:3], -1
	s_cbranch_scc0 .LBB520_2042
; %bb.2011:
	s_cmp_lt_i32 s10, 24
	s_cbranch_scc1 .LBB520_2031
; %bb.2012:
	s_cmp_gt_i32 s10, 24
	s_cbranch_scc0 .LBB520_2020
; %bb.2013:
	v_and_b32_e32 v1, 0x7fffffff, v0
	s_mov_b32 s2, 0x47800000
	v_cmp_gt_u32_e32 vcc, s2, v1
	v_mov_b32_e32 v4, 0x80
	s_and_saveexec_b64 s[2:3], vcc
	s_cbranch_execz .LBB520_2019
; %bb.2014:
	s_mov_b32 s4, 0x37ffffff
	v_cmp_lt_u32_e32 vcc, s4, v1
	s_mov_b64 s[4:5], 0
                                        ; implicit-def: $vgpr1
	s_and_saveexec_b64 s[6:7], vcc
	s_xor_b64 s[6:7], exec, s[6:7]
	s_cbranch_execz .LBB520_2072
; %bb.2015:
	v_bfe_u32 v1, v0, 21, 1
	s_mov_b32 s8, 0x88fffff
	v_add3_u32 v1, v0, v1, s8
	s_mov_b64 s[4:5], exec
	v_lshrrev_b32_e32 v1, 21, v1
	s_andn2_saveexec_b64 s[6:7], s[6:7]
	s_cbranch_execnz .LBB520_2073
.LBB520_2016:
	s_or_b64 exec, exec, s[6:7]
	v_mov_b32_e32 v4, 0
	s_and_saveexec_b64 s[6:7], s[4:5]
.LBB520_2017:
	v_lshrrev_b32_e32 v4, 24, v0
	s_movk_i32 s4, 0x80
	v_and_or_b32 v4, v4, s4, v1
.LBB520_2018:
	s_or_b64 exec, exec, s[6:7]
.LBB520_2019:
	s_or_b64 exec, exec, s[2:3]
	s_mov_b64 s[2:3], 0
	global_store_byte v[2:3], v4, off
.LBB520_2020:
	s_and_b64 vcc, exec, s[2:3]
	s_cbranch_vccz .LBB520_2030
; %bb.2021:
	v_and_b32_e32 v4, 0x7fffffff, v0
	s_mov_b32 s2, 0x43f00000
	v_cmp_gt_u32_e32 vcc, s2, v4
                                        ; implicit-def: $vgpr1
	s_and_saveexec_b64 s[2:3], vcc
	s_xor_b64 s[2:3], exec, s[2:3]
	s_cbranch_execz .LBB520_2027
; %bb.2022:
	s_mov_b32 s4, 0x3c7fffff
	v_cmp_lt_u32_e32 vcc, s4, v4
                                        ; implicit-def: $vgpr1
	s_and_saveexec_b64 s[4:5], vcc
	s_xor_b64 s[4:5], exec, s[4:5]
; %bb.2023:
	v_bfe_u32 v1, v0, 20, 1
	s_mov_b32 s6, 0x407ffff
	v_add3_u32 v1, v0, v1, s6
	v_lshrrev_b32_e32 v4, 20, v1
	v_and_b32_e32 v1, 0xff00000, v1
	s_mov_b32 s6, 0x7f00000
	v_mov_b32_e32 v5, 0x7e
	v_cmp_ne_u32_e32 vcc, s6, v1
	s_nop 1
	v_cndmask_b32_e32 v1, v5, v4, vcc
; %bb.2024:
	s_andn2_saveexec_b64 s[4:5], s[4:5]
; %bb.2025:
	s_mov_b32 s6, 0x46800000
	v_add_f32_e64 v1, |v0|, s6
; %bb.2026:
	s_or_b64 exec, exec, s[4:5]
                                        ; implicit-def: $vgpr4
.LBB520_2027:
	s_andn2_saveexec_b64 s[2:3], s[2:3]
; %bb.2028:
	s_mov_b32 s4, 0x7f800000
	v_mov_b32_e32 v1, 0x7e
	v_mov_b32_e32 v5, 0x7f
	v_cmp_lt_u32_e32 vcc, s4, v4
	s_nop 1
	v_cndmask_b32_e32 v1, v1, v5, vcc
; %bb.2029:
	s_or_b64 exec, exec, s[2:3]
	v_lshrrev_b32_e32 v4, 24, v0
	s_movk_i32 s2, 0x80
	v_and_or_b32 v1, v4, s2, v1
	global_store_byte v[2:3], v1, off
.LBB520_2030:
	s_mov_b64 s[2:3], 0
.LBB520_2031:
	s_andn2_b64 vcc, exec, s[2:3]
	s_cbranch_vccnz .LBB520_2041
; %bb.2032:
	v_and_b32_e32 v4, 0x7fffffff, v0
	s_mov_b32 s2, 0x47800000
	v_cmp_gt_u32_e32 vcc, s2, v4
                                        ; implicit-def: $vgpr1
	s_and_saveexec_b64 s[2:3], vcc
	s_xor_b64 s[2:3], exec, s[2:3]
	s_cbranch_execz .LBB520_2038
; %bb.2033:
	s_mov_b32 s4, 0x387fffff
	v_cmp_lt_u32_e32 vcc, s4, v4
                                        ; implicit-def: $vgpr1
	s_and_saveexec_b64 s[4:5], vcc
	s_xor_b64 s[4:5], exec, s[4:5]
; %bb.2034:
	v_bfe_u32 v1, v0, 21, 1
	s_mov_b32 s6, 0x80fffff
	v_add3_u32 v1, v0, v1, s6
	v_lshrrev_b32_e32 v1, 21, v1
; %bb.2035:
	s_andn2_saveexec_b64 s[4:5], s[4:5]
; %bb.2036:
	s_mov_b32 s6, 0x43000000
	v_add_f32_e64 v1, |v0|, s6
; %bb.2037:
	s_or_b64 exec, exec, s[4:5]
                                        ; implicit-def: $vgpr4
.LBB520_2038:
	s_andn2_saveexec_b64 s[2:3], s[2:3]
; %bb.2039:
	s_mov_b32 s4, 0x7f800000
	v_mov_b32_e32 v1, 0x7c
	v_mov_b32_e32 v5, 0x7f
	v_cmp_lt_u32_e32 vcc, s4, v4
	s_nop 1
	v_cndmask_b32_e32 v1, v1, v5, vcc
; %bb.2040:
	s_or_b64 exec, exec, s[2:3]
	v_lshrrev_b32_e32 v4, 24, v0
	s_movk_i32 s2, 0x80
	v_and_or_b32 v1, v4, s2, v1
	global_store_byte v[2:3], v1, off
.LBB520_2041:
	s_mov_b64 s[2:3], 0
.LBB520_2042:
	s_andn2_b64 vcc, exec, s[2:3]
	s_mov_b64 s[2:3], 0
	s_cbranch_vccnz .LBB520_2049
; %bb.2043:
	s_cmp_gt_i32 s10, 14
	s_mov_b64 s[4:5], -1
	s_cbranch_scc0 .LBB520_2047
; %bb.2044:
	s_cmp_eq_u32 s10, 15
	s_mov_b64 s[0:1], -1
	s_cbranch_scc0 .LBB520_2046
; %bb.2045:
	v_bfe_u32 v1, v0, 16, 1
	s_movk_i32 s0, 0x7fff
	v_add3_u32 v1, v0, v1, s0
	v_cmp_o_f32_e32 vcc, v0, v0
	v_mov_b32_e32 v4, 0x7fc0
	s_mov_b64 s[0:1], 0
	v_cndmask_b32_sdwa v1, v4, v1, vcc dst_sel:DWORD dst_unused:UNUSED_PAD src0_sel:DWORD src1_sel:WORD_1
	global_store_short v[2:3], v1, off
.LBB520_2046:
	s_mov_b64 s[4:5], 0
.LBB520_2047:
	s_and_b64 vcc, exec, s[4:5]
	s_cbranch_vccz .LBB520_2049
; %bb.2048:
	s_cmp_lg_u32 s10, 11
	s_mov_b64 s[2:3], -1
	s_cselect_b64 s[0:1], -1, 0
.LBB520_2049:
	s_and_b64 vcc, exec, s[0:1]
	s_cbranch_vccnz .LBB520_2071
.LBB520_2050:
	s_mov_b64 s[0:1], 0
	s_branch .LBB520_1652
.LBB520_2051:
	s_mov_b64 s[0:1], 0
                                        ; implicit-def: $sgpr20
                                        ; implicit-def: $vgpr2_vgpr3
	s_branch .LBB520_1651
.LBB520_2052:
	s_mov_b64 s[2:3], 0
	s_mov_b64 s[0:1], -1
	s_branch .LBB520_1652
.LBB520_2053:
	s_trap 2
	s_or_b64 s[18:19], s[18:19], exec
	s_cbranch_execz .LBB520_1516
	s_branch .LBB520_1517
.LBB520_2054:
	s_andn2_saveexec_b64 s[12:13], s[12:13]
	s_cbranch_execz .LBB520_1600
.LBB520_2055:
	s_mov_b32 s21, 0x46000000
	v_add_f32_e64 v1, |v2|, s21
	v_and_b32_e32 v1, 0xff, v1
	v_cmp_ne_u32_e32 vcc, 0, v1
	s_andn2_b64 s[10:11], s[10:11], exec
	s_and_b64 s[22:23], vcc, exec
	s_or_b64 s[10:11], s[10:11], s[22:23]
	s_or_b64 exec, exec, s[12:13]
	v_mov_b32_e32 v3, 0
	s_and_saveexec_b64 s[12:13], s[10:11]
	s_cbranch_execnz .LBB520_1601
	s_branch .LBB520_1602
.LBB520_2056:
	s_trap 2
	s_or_b64 s[18:19], s[18:19], exec
	s_cbranch_execz .LBB520_1648
	s_branch .LBB520_1649
.LBB520_2057:
	s_andn2_saveexec_b64 s[10:11], s[10:11]
	s_cbranch_execz .LBB520_1613
.LBB520_2058:
	s_mov_b32 s12, 0x42800000
	v_add_f32_e64 v1, |v2|, s12
	v_and_b32_e32 v1, 0xff, v1
	v_cmp_ne_u32_e32 vcc, 0, v1
	s_andn2_b64 s[6:7], s[6:7], exec
	s_and_b64 s[12:13], vcc, exec
	s_or_b64 s[6:7], s[6:7], s[12:13]
	s_or_b64 exec, exec, s[10:11]
	v_mov_b32_e32 v3, 0
	s_and_saveexec_b64 s[10:11], s[6:7]
	s_cbranch_execnz .LBB520_1614
	s_branch .LBB520_1615
.LBB520_2059:
	s_andn2_saveexec_b64 s[10:11], s[10:11]
	s_cbranch_execz .LBB520_1765
.LBB520_2060:
	s_mov_b32 s21, 0x46000000
	v_add_f32_e64 v1, |v4|, s21
	v_and_b32_e32 v1, 0xff, v1
	v_cmp_ne_u32_e32 vcc, 0, v1
	s_andn2_b64 s[8:9], s[8:9], exec
	s_and_b64 s[22:23], vcc, exec
	s_or_b64 s[8:9], s[8:9], s[22:23]
	s_or_b64 exec, exec, s[10:11]
	v_mov_b32_e32 v3, 0
	s_and_saveexec_b64 s[10:11], s[8:9]
	s_cbranch_execnz .LBB520_1766
	s_branch .LBB520_1767
.LBB520_2061:
	s_trap 2
	s_or_b64 s[18:19], s[18:19], exec
	s_cbranch_execz .LBB520_1813
	s_branch .LBB520_1814
.LBB520_2062:
	s_andn2_saveexec_b64 s[8:9], s[8:9]
	s_cbranch_execz .LBB520_1778
.LBB520_2063:
	s_mov_b32 s10, 0x42800000
	v_add_f32_e64 v1, |v4|, s10
	v_and_b32_e32 v1, 0xff, v1
	v_cmp_ne_u32_e32 vcc, 0, v1
	s_andn2_b64 s[6:7], s[6:7], exec
	s_and_b64 s[10:11], vcc, exec
	s_or_b64 s[6:7], s[6:7], s[10:11]
	s_or_b64 exec, exec, s[8:9]
	v_mov_b32_e32 v3, 0
	s_and_saveexec_b64 s[8:9], s[6:7]
	s_cbranch_execnz .LBB520_1779
	s_branch .LBB520_1780
.LBB520_2064:
	s_andn2_saveexec_b64 s[10:11], s[10:11]
	s_cbranch_execz .LBB520_1884
.LBB520_2065:
	s_mov_b32 s21, 0x46000000
	v_add_f32_e64 v1, |v6|, s21
	v_and_b32_e32 v1, 0xff, v1
	v_cmp_ne_u32_e32 vcc, 0, v1
	s_andn2_b64 s[8:9], s[8:9], exec
	s_and_b64 s[22:23], vcc, exec
	s_or_b64 s[8:9], s[8:9], s[22:23]
	s_or_b64 exec, exec, s[10:11]
	v_mov_b32_e32 v3, 0
	s_and_saveexec_b64 s[10:11], s[8:9]
	s_cbranch_execnz .LBB520_1885
	s_branch .LBB520_1886
.LBB520_2066:
	s_trap 2
	s_or_b64 s[18:19], s[18:19], exec
	s_cbranch_execz .LBB520_1932
	s_branch .LBB520_1933
.LBB520_2067:
	s_andn2_saveexec_b64 s[8:9], s[8:9]
	s_cbranch_execz .LBB520_1897
.LBB520_2068:
	s_mov_b32 s10, 0x42800000
	v_add_f32_e64 v1, |v6|, s10
	v_and_b32_e32 v1, 0xff, v1
	v_cmp_ne_u32_e32 vcc, 0, v1
	s_andn2_b64 s[6:7], s[6:7], exec
	s_and_b64 s[10:11], vcc, exec
	s_or_b64 s[6:7], s[6:7], s[10:11]
	s_or_b64 exec, exec, s[8:9]
	v_mov_b32_e32 v3, 0
	s_and_saveexec_b64 s[8:9], s[6:7]
	s_cbranch_execnz .LBB520_1898
	s_branch .LBB520_1899
.LBB520_2069:
	s_andn2_saveexec_b64 s[8:9], s[8:9]
	s_cbranch_execz .LBB520_2004
.LBB520_2070:
	s_mov_b32 s11, 0x46000000
	v_add_f32_e64 v1, |v0|, s11
	v_and_b32_e32 v1, 0xff, v1
	v_cmp_ne_u32_e32 vcc, 0, v1
	s_andn2_b64 s[6:7], s[6:7], exec
	s_and_b64 s[12:13], vcc, exec
	s_or_b64 s[6:7], s[6:7], s[12:13]
	s_or_b64 exec, exec, s[8:9]
	v_mov_b32_e32 v4, 0
	s_and_saveexec_b64 s[8:9], s[6:7]
	s_cbranch_execnz .LBB520_2005
	s_branch .LBB520_2006
.LBB520_2071:
	s_mov_b64 s[2:3], 0
	s_or_b64 s[18:19], s[18:19], exec
	s_trap 2
	s_branch .LBB520_2050
.LBB520_2072:
	s_andn2_saveexec_b64 s[6:7], s[6:7]
	s_cbranch_execz .LBB520_2016
.LBB520_2073:
	s_mov_b32 s8, 0x42800000
	v_add_f32_e64 v1, |v0|, s8
	v_and_b32_e32 v1, 0xff, v1
	v_cmp_ne_u32_e32 vcc, 0, v1
	s_andn2_b64 s[4:5], s[4:5], exec
	s_and_b64 s[8:9], vcc, exec
	s_or_b64 s[4:5], s[4:5], s[8:9]
	s_or_b64 exec, exec, s[6:7]
	v_mov_b32_e32 v4, 0
	s_and_saveexec_b64 s[6:7], s[4:5]
	s_cbranch_execnz .LBB520_2017
	s_branch .LBB520_2018
	.section	.rodata,"a",@progbits
	.p2align	6, 0x0
	.amdhsa_kernel _ZN2at6native32elementwise_kernel_manual_unrollILi128ELi4EZNS0_15gpu_kernel_implIZZZNS0_22nan_to_num_kernel_cudaERNS_18TensorIteratorBaseESt8optionalIdES6_S6_ENKUlvE0_clEvENKUlvE0_clEvEUlfE_EEvS4_RKT_EUlibE_EEviT1_
		.amdhsa_group_segment_fixed_size 0
		.amdhsa_private_segment_fixed_size 0
		.amdhsa_kernarg_size 48
		.amdhsa_user_sgpr_count 2
		.amdhsa_user_sgpr_dispatch_ptr 0
		.amdhsa_user_sgpr_queue_ptr 0
		.amdhsa_user_sgpr_kernarg_segment_ptr 1
		.amdhsa_user_sgpr_dispatch_id 0
		.amdhsa_user_sgpr_kernarg_preload_length 0
		.amdhsa_user_sgpr_kernarg_preload_offset 0
		.amdhsa_user_sgpr_private_segment_size 0
		.amdhsa_uses_dynamic_stack 0
		.amdhsa_enable_private_segment 0
		.amdhsa_system_sgpr_workgroup_id_x 1
		.amdhsa_system_sgpr_workgroup_id_y 0
		.amdhsa_system_sgpr_workgroup_id_z 0
		.amdhsa_system_sgpr_workgroup_info 0
		.amdhsa_system_vgpr_workitem_id 0
		.amdhsa_next_free_vgpr 16
		.amdhsa_next_free_sgpr 47
		.amdhsa_accum_offset 16
		.amdhsa_reserve_vcc 1
		.amdhsa_float_round_mode_32 0
		.amdhsa_float_round_mode_16_64 0
		.amdhsa_float_denorm_mode_32 3
		.amdhsa_float_denorm_mode_16_64 3
		.amdhsa_dx10_clamp 1
		.amdhsa_ieee_mode 1
		.amdhsa_fp16_overflow 0
		.amdhsa_tg_split 0
		.amdhsa_exception_fp_ieee_invalid_op 0
		.amdhsa_exception_fp_denorm_src 0
		.amdhsa_exception_fp_ieee_div_zero 0
		.amdhsa_exception_fp_ieee_overflow 0
		.amdhsa_exception_fp_ieee_underflow 0
		.amdhsa_exception_fp_ieee_inexact 0
		.amdhsa_exception_int_div_zero 0
	.end_amdhsa_kernel
	.section	.text._ZN2at6native32elementwise_kernel_manual_unrollILi128ELi4EZNS0_15gpu_kernel_implIZZZNS0_22nan_to_num_kernel_cudaERNS_18TensorIteratorBaseESt8optionalIdES6_S6_ENKUlvE0_clEvENKUlvE0_clEvEUlfE_EEvS4_RKT_EUlibE_EEviT1_,"axG",@progbits,_ZN2at6native32elementwise_kernel_manual_unrollILi128ELi4EZNS0_15gpu_kernel_implIZZZNS0_22nan_to_num_kernel_cudaERNS_18TensorIteratorBaseESt8optionalIdES6_S6_ENKUlvE0_clEvENKUlvE0_clEvEUlfE_EEvS4_RKT_EUlibE_EEviT1_,comdat
.Lfunc_end520:
	.size	_ZN2at6native32elementwise_kernel_manual_unrollILi128ELi4EZNS0_15gpu_kernel_implIZZZNS0_22nan_to_num_kernel_cudaERNS_18TensorIteratorBaseESt8optionalIdES6_S6_ENKUlvE0_clEvENKUlvE0_clEvEUlfE_EEvS4_RKT_EUlibE_EEviT1_, .Lfunc_end520-_ZN2at6native32elementwise_kernel_manual_unrollILi128ELi4EZNS0_15gpu_kernel_implIZZZNS0_22nan_to_num_kernel_cudaERNS_18TensorIteratorBaseESt8optionalIdES6_S6_ENKUlvE0_clEvENKUlvE0_clEvEUlfE_EEvS4_RKT_EUlibE_EEviT1_
                                        ; -- End function
	.set _ZN2at6native32elementwise_kernel_manual_unrollILi128ELi4EZNS0_15gpu_kernel_implIZZZNS0_22nan_to_num_kernel_cudaERNS_18TensorIteratorBaseESt8optionalIdES6_S6_ENKUlvE0_clEvENKUlvE0_clEvEUlfE_EEvS4_RKT_EUlibE_EEviT1_.num_vgpr, 16
	.set _ZN2at6native32elementwise_kernel_manual_unrollILi128ELi4EZNS0_15gpu_kernel_implIZZZNS0_22nan_to_num_kernel_cudaERNS_18TensorIteratorBaseESt8optionalIdES6_S6_ENKUlvE0_clEvENKUlvE0_clEvEUlfE_EEvS4_RKT_EUlibE_EEviT1_.num_agpr, 0
	.set _ZN2at6native32elementwise_kernel_manual_unrollILi128ELi4EZNS0_15gpu_kernel_implIZZZNS0_22nan_to_num_kernel_cudaERNS_18TensorIteratorBaseESt8optionalIdES6_S6_ENKUlvE0_clEvENKUlvE0_clEvEUlfE_EEvS4_RKT_EUlibE_EEviT1_.numbered_sgpr, 47
	.set _ZN2at6native32elementwise_kernel_manual_unrollILi128ELi4EZNS0_15gpu_kernel_implIZZZNS0_22nan_to_num_kernel_cudaERNS_18TensorIteratorBaseESt8optionalIdES6_S6_ENKUlvE0_clEvENKUlvE0_clEvEUlfE_EEvS4_RKT_EUlibE_EEviT1_.num_named_barrier, 0
	.set _ZN2at6native32elementwise_kernel_manual_unrollILi128ELi4EZNS0_15gpu_kernel_implIZZZNS0_22nan_to_num_kernel_cudaERNS_18TensorIteratorBaseESt8optionalIdES6_S6_ENKUlvE0_clEvENKUlvE0_clEvEUlfE_EEvS4_RKT_EUlibE_EEviT1_.private_seg_size, 0
	.set _ZN2at6native32elementwise_kernel_manual_unrollILi128ELi4EZNS0_15gpu_kernel_implIZZZNS0_22nan_to_num_kernel_cudaERNS_18TensorIteratorBaseESt8optionalIdES6_S6_ENKUlvE0_clEvENKUlvE0_clEvEUlfE_EEvS4_RKT_EUlibE_EEviT1_.uses_vcc, 1
	.set _ZN2at6native32elementwise_kernel_manual_unrollILi128ELi4EZNS0_15gpu_kernel_implIZZZNS0_22nan_to_num_kernel_cudaERNS_18TensorIteratorBaseESt8optionalIdES6_S6_ENKUlvE0_clEvENKUlvE0_clEvEUlfE_EEvS4_RKT_EUlibE_EEviT1_.uses_flat_scratch, 0
	.set _ZN2at6native32elementwise_kernel_manual_unrollILi128ELi4EZNS0_15gpu_kernel_implIZZZNS0_22nan_to_num_kernel_cudaERNS_18TensorIteratorBaseESt8optionalIdES6_S6_ENKUlvE0_clEvENKUlvE0_clEvEUlfE_EEvS4_RKT_EUlibE_EEviT1_.has_dyn_sized_stack, 0
	.set _ZN2at6native32elementwise_kernel_manual_unrollILi128ELi4EZNS0_15gpu_kernel_implIZZZNS0_22nan_to_num_kernel_cudaERNS_18TensorIteratorBaseESt8optionalIdES6_S6_ENKUlvE0_clEvENKUlvE0_clEvEUlfE_EEvS4_RKT_EUlibE_EEviT1_.has_recursion, 0
	.set _ZN2at6native32elementwise_kernel_manual_unrollILi128ELi4EZNS0_15gpu_kernel_implIZZZNS0_22nan_to_num_kernel_cudaERNS_18TensorIteratorBaseESt8optionalIdES6_S6_ENKUlvE0_clEvENKUlvE0_clEvEUlfE_EEvS4_RKT_EUlibE_EEviT1_.has_indirect_call, 0
	.section	.AMDGPU.csdata,"",@progbits
; Kernel info:
; codeLenInByte = 32996
; TotalNumSgprs: 53
; NumVgprs: 16
; NumAgprs: 0
; TotalNumVgprs: 16
; ScratchSize: 0
; MemoryBound: 1
; FloatMode: 240
; IeeeMode: 1
; LDSByteSize: 0 bytes/workgroup (compile time only)
; SGPRBlocks: 6
; VGPRBlocks: 1
; NumSGPRsForWavesPerEU: 53
; NumVGPRsForWavesPerEU: 16
; AccumOffset: 16
; Occupancy: 8
; WaveLimiterHint : 0
; COMPUTE_PGM_RSRC2:SCRATCH_EN: 0
; COMPUTE_PGM_RSRC2:USER_SGPR: 2
; COMPUTE_PGM_RSRC2:TRAP_HANDLER: 0
; COMPUTE_PGM_RSRC2:TGID_X_EN: 1
; COMPUTE_PGM_RSRC2:TGID_Y_EN: 0
; COMPUTE_PGM_RSRC2:TGID_Z_EN: 0
; COMPUTE_PGM_RSRC2:TIDIG_COMP_CNT: 0
; COMPUTE_PGM_RSRC3_GFX90A:ACCUM_OFFSET: 3
; COMPUTE_PGM_RSRC3_GFX90A:TG_SPLIT: 0
	.section	.text._ZN2at6native32elementwise_kernel_manual_unrollILi128ELi4EZNS0_15gpu_kernel_implIZZZNS0_22nan_to_num_kernel_cudaERNS_18TensorIteratorBaseESt8optionalIdES6_S6_ENKUlvE0_clEvENKUlvE0_clEvEUlfE_EEvS4_RKT_EUlibE0_EEviT1_,"axG",@progbits,_ZN2at6native32elementwise_kernel_manual_unrollILi128ELi4EZNS0_15gpu_kernel_implIZZZNS0_22nan_to_num_kernel_cudaERNS_18TensorIteratorBaseESt8optionalIdES6_S6_ENKUlvE0_clEvENKUlvE0_clEvEUlfE_EEvS4_RKT_EUlibE0_EEviT1_,comdat
	.globl	_ZN2at6native32elementwise_kernel_manual_unrollILi128ELi4EZNS0_15gpu_kernel_implIZZZNS0_22nan_to_num_kernel_cudaERNS_18TensorIteratorBaseESt8optionalIdES6_S6_ENKUlvE0_clEvENKUlvE0_clEvEUlfE_EEvS4_RKT_EUlibE0_EEviT1_ ; -- Begin function _ZN2at6native32elementwise_kernel_manual_unrollILi128ELi4EZNS0_15gpu_kernel_implIZZZNS0_22nan_to_num_kernel_cudaERNS_18TensorIteratorBaseESt8optionalIdES6_S6_ENKUlvE0_clEvENKUlvE0_clEvEUlfE_EEvS4_RKT_EUlibE0_EEviT1_
	.p2align	8
	.type	_ZN2at6native32elementwise_kernel_manual_unrollILi128ELi4EZNS0_15gpu_kernel_implIZZZNS0_22nan_to_num_kernel_cudaERNS_18TensorIteratorBaseESt8optionalIdES6_S6_ENKUlvE0_clEvENKUlvE0_clEvEUlfE_EEvS4_RKT_EUlibE0_EEviT1_,@function
_ZN2at6native32elementwise_kernel_manual_unrollILi128ELi4EZNS0_15gpu_kernel_implIZZZNS0_22nan_to_num_kernel_cudaERNS_18TensorIteratorBaseESt8optionalIdES6_S6_ENKUlvE0_clEvENKUlvE0_clEvEUlfE_EEvS4_RKT_EUlibE0_EEviT1_: ; @_ZN2at6native32elementwise_kernel_manual_unrollILi128ELi4EZNS0_15gpu_kernel_implIZZZNS0_22nan_to_num_kernel_cudaERNS_18TensorIteratorBaseESt8optionalIdES6_S6_ENKUlvE0_clEvENKUlvE0_clEvEUlfE_EEvS4_RKT_EUlibE0_EEviT1_
; %bb.0:
	s_load_dword s74, s[0:1], 0x0
	s_load_dword s33, s[0:1], 0x8
	s_add_u32 s34, s0, 8
	s_addc_u32 s35, s1, 0
	v_lshl_or_b32 v9, s2, 9, v0
	v_or_b32_e32 v16, 0x180, v9
	s_waitcnt lgkmcnt(0)
	s_add_i32 s76, s33, -1
	s_cmp_gt_u32 s76, 1
	v_cmp_le_i32_e32 vcc, s74, v16
	s_cselect_b64 s[46:47], -1, 0
	s_mov_b64 s[44:45], 0
	s_mov_b64 s[24:25], 0
	s_and_saveexec_b64 s[2:3], vcc
	s_xor_b64 s[48:49], exec, s[2:3]
	s_cbranch_execz .LBB521_1106
; %bb.1:
	s_load_dwordx4 s[28:31], s[34:35], 0x4
	s_load_dwordx2 s[50:51], s[34:35], 0x14
	s_load_dword s77, s[34:35], 0x164
	s_cmp_lg_u32 s33, 0
	s_load_dwordx4 s[36:39], s[34:35], 0xc4
	s_load_dwordx8 s[4:11], s[34:35], 0x148
	s_cselect_b64 s[56:57], -1, 0
	s_add_u32 s54, s34, 0xc4
	s_addc_u32 s55, s35, 0
	s_min_u32 s78, s76, 15
	s_cmp_gt_u32 s33, 1
	s_cselect_b64 s[52:53], -1, 0
	s_waitcnt lgkmcnt(0)
	s_bfe_u32 s11, s77, 0x80008
	v_cmp_gt_i32_e32 vcc, s74, v9
	s_mov_b64 s[12:13], -1
	s_mov_b64 s[66:67], 0
	s_mov_b64 s[60:61], 0
	;; [unrolled: 1-line block ×3, first 2 shown]
	s_and_saveexec_b64 s[62:63], vcc
	s_cbranch_execz .LBB521_271
; %bb.2:
	s_andn2_b64 vcc, exec, s[46:47]
	s_cbranch_vccnz .LBB521_8
; %bb.3:
	s_andn2_b64 vcc, exec, s[56:57]
	s_cbranch_vccnz .LBB521_9
; %bb.4:
	s_add_i32 s61, s78, 1
	s_cmp_eq_u32 s76, 2
	s_cbranch_scc1 .LBB521_10
; %bb.5:
	s_and_b32 s60, s61, 28
	s_mov_b32 s64, 0
	v_mov_b32_e32 v0, 0
	v_mov_b32_e32 v2, 0
	s_mov_b64 s[2:3], s[34:35]
	s_mov_b64 s[58:59], s[54:55]
	v_mov_b32_e32 v4, v9
.LBB521_6:                              ; =>This Inner Loop Header: Depth=1
	s_load_dwordx8 s[20:27], s[2:3], 0x4
	s_load_dwordx4 s[40:43], s[2:3], 0x24
	s_load_dwordx8 s[12:19], s[58:59], 0x0
	s_add_u32 s2, s2, 48
	s_addc_u32 s3, s3, 0
	s_waitcnt lgkmcnt(0)
	v_mul_hi_u32 v1, s21, v4
	v_add_u32_e32 v1, v4, v1
	v_lshrrev_b32_e32 v1, s22, v1
	v_mul_lo_u32 v3, v1, s20
	v_mul_hi_u32 v5, s24, v1
	v_sub_u32_e32 v3, v4, v3
	v_add_u32_e32 v4, v1, v5
	v_lshrrev_b32_e32 v4, s25, v4
	v_mul_lo_u32 v6, v4, s23
	v_mul_hi_u32 v7, s27, v4
	v_sub_u32_e32 v1, v1, v6
	v_add_u32_e32 v6, v4, v7
	v_mul_lo_u32 v5, v3, s13
	v_mul_lo_u32 v3, v3, s12
	;; [unrolled: 1-line block ×4, first 2 shown]
	v_lshrrev_b32_e32 v6, s40, v6
	v_add3_u32 v0, v3, v0, v1
	v_mul_hi_u32 v3, s42, v6
	v_add3_u32 v1, v5, v2, v7
	v_mul_lo_u32 v2, v6, s26
	v_add_u32_e32 v3, v6, v3
	v_sub_u32_e32 v2, v4, v2
	v_lshrrev_b32_e32 v4, s43, v3
	s_add_i32 s64, s64, 4
	v_mul_lo_u32 v3, v4, s41
	s_add_u32 s58, s58, 32
	v_sub_u32_e32 v3, v6, v3
	s_addc_u32 s59, s59, 0
	v_mul_lo_u32 v5, v2, s16
	v_mul_lo_u32 v2, v2, s17
	v_mul_lo_u32 v6, v3, s18
	v_mul_lo_u32 v3, v3, s19
	s_cmp_lg_u32 s60, s64
	v_add3_u32 v2, v2, v1, v3
	v_add3_u32 v0, v5, v0, v6
	s_cbranch_scc1 .LBB521_6
; %bb.7:
	v_mov_b32_e32 v1, v2
	s_branch .LBB521_11
.LBB521_8:
                                        ; implicit-def: $vgpr2
                                        ; implicit-def: $vgpr0
	s_branch .LBB521_15
.LBB521_9:
	v_mov_b32_e32 v2, 0
	v_mov_b32_e32 v0, 0
	s_branch .LBB521_14
.LBB521_10:
	v_mov_b32_e32 v0, 0
	s_mov_b32 s60, 0
	v_mov_b32_e32 v1, v0
                                        ; implicit-def: $vgpr2
	v_mov_b32_e32 v4, v9
.LBB521_11:
	s_and_b32 s14, s61, 3
	s_cmp_eq_u32 s14, 0
	s_cbranch_scc1 .LBB521_14
; %bb.12:
	s_lshl_b32 s2, s60, 3
	s_add_u32 s2, s34, s2
	s_addc_u32 s3, s35, 0
	s_add_u32 s2, s2, 0xc4
	s_addc_u32 s3, s3, 0
	s_mul_i32 s12, s60, 12
	s_add_u32 s12, s34, s12
	s_addc_u32 s13, s35, 0
.LBB521_13:                             ; =>This Inner Loop Header: Depth=1
	s_load_dwordx2 s[16:17], s[12:13], 0x4
	s_load_dword s15, s[12:13], 0xc
	s_load_dwordx2 s[18:19], s[2:3], 0x0
	v_mov_b32_e32 v2, v1
	s_add_u32 s12, s12, 12
	s_waitcnt lgkmcnt(0)
	v_mul_hi_u32 v1, s17, v4
	v_add_u32_e32 v1, v4, v1
	v_lshrrev_b32_e32 v1, s15, v1
	s_addc_u32 s13, s13, 0
	v_mul_lo_u32 v3, v1, s16
	s_add_u32 s2, s2, 8
	v_sub_u32_e32 v5, v4, v3
	s_addc_u32 s3, s3, 0
	s_add_i32 s14, s14, -1
	v_mov_b32_e32 v4, v1
	v_mad_u64_u32 v[2:3], s[16:17], v5, s19, v[2:3]
	v_mad_u64_u32 v[0:1], s[16:17], v5, s18, v[0:1]
	s_cmp_lg_u32 s14, 0
	v_mov_b32_e32 v1, v2
	s_cbranch_scc1 .LBB521_13
.LBB521_14:
	s_cbranch_execnz .LBB521_17
.LBB521_15:
	v_mul_hi_u32 v0, s29, v9
	v_add_u32_e32 v0, v9, v0
	v_lshrrev_b32_e32 v1, s30, v0
	v_mul_lo_u32 v0, v1, s28
	v_sub_u32_e32 v0, v9, v0
	v_mul_lo_u32 v2, v0, s37
	s_andn2_b64 vcc, exec, s[52:53]
	v_mul_lo_u32 v0, v0, s36
	s_cbranch_vccnz .LBB521_17
; %bb.16:
	v_mul_hi_u32 v3, s50, v1
	v_add_u32_e32 v3, v1, v3
	v_lshrrev_b32_e32 v3, s51, v3
	v_mul_lo_u32 v3, v3, s31
	v_sub_u32_e32 v3, v1, v3
	v_mad_u64_u32 v[0:1], s[2:3], v3, s38, v[0:1]
	v_mad_u64_u32 v[2:3], s[2:3], v3, s39, v[2:3]
.LBB521_17:
	v_mov_b32_e32 v3, 0
	s_and_b32 s18, 0xffff, s11
	s_cmp_lt_i32 s18, 11
	v_lshl_add_u64 v[2:3], s[6:7], 0, v[2:3]
	s_cbranch_scc1 .LBB521_24
; %bb.18:
	s_cmp_gt_i32 s18, 25
	s_cbranch_scc0 .LBB521_37
; %bb.19:
	s_cmp_gt_i32 s18, 28
	s_cbranch_scc0 .LBB521_40
	;; [unrolled: 3-line block ×4, first 2 shown]
; %bb.22:
	s_cmp_eq_u32 s18, 46
	s_mov_b64 s[14:15], 0
	s_cbranch_scc0 .LBB521_46
; %bb.23:
	global_load_dword v1, v[2:3], off
	s_mov_b64 s[2:3], -1
	s_mov_b64 s[12:13], 0
	s_waitcnt vmcnt(0)
	v_lshlrev_b32_e32 v1, 16, v1
	s_branch .LBB521_48
.LBB521_24:
	s_mov_b64 s[12:13], 0
                                        ; implicit-def: $vgpr1
	s_mov_b64 s[2:3], 0
	s_cbranch_execnz .LBB521_221
.LBB521_25:
	s_andn2_b64 vcc, exec, s[2:3]
	s_cbranch_vccnz .LBB521_268
.LBB521_26:
	s_waitcnt vmcnt(0)
	v_cmp_o_f32_e32 vcc, v1, v1
	v_mov_b32_e32 v2, s8
	s_and_saveexec_b64 s[2:3], vcc
	s_cbranch_execz .LBB521_30
; %bb.27:
	s_mov_b32 s14, 0x7f800000
	v_cmp_neq_f32_e32 vcc, s14, v1
	v_mov_b32_e32 v2, s9
	s_and_saveexec_b64 s[14:15], vcc
; %bb.28:
	s_mov_b32 s16, 0xff800000
	v_mov_b32_e32 v2, s10
	v_cmp_eq_f32_e32 vcc, s16, v1
	s_nop 1
	v_cndmask_b32_e32 v2, v1, v2, vcc
; %bb.29:
	s_or_b64 exec, exec, s[14:15]
.LBB521_30:
	s_or_b64 exec, exec, s[2:3]
	v_mov_b32_e32 v1, 0
	s_and_b32 s20, s77, 0xff
	s_cmp_lt_i32 s20, 11
	v_lshl_add_u64 v[0:1], s[4:5], 0, v[0:1]
	s_cbranch_scc1 .LBB521_38
; %bb.31:
	s_and_b32 s21, 0xffff, s20
	s_cmp_gt_i32 s21, 25
	s_cbranch_scc0 .LBB521_41
; %bb.32:
	s_cmp_gt_i32 s21, 28
	s_cbranch_scc0 .LBB521_43
; %bb.33:
	;; [unrolled: 3-line block ×4, first 2 shown]
	s_mov_b64 s[16:17], 0
	s_mov_b64 s[2:3], -1
	s_cmp_eq_u32 s21, 46
	s_mov_b64 s[14:15], 0
	s_cbranch_scc0 .LBB521_52
; %bb.36:
	v_bfe_u32 v3, v2, 16, 1
	s_movk_i32 s2, 0x7fff
	v_add3_u32 v3, v2, v3, s2
	v_cmp_o_f32_e32 vcc, v2, v2
	v_mov_b32_e32 v4, 0x7fc0
	s_mov_b64 s[14:15], -1
	v_cndmask_b32_sdwa v3, v4, v3, vcc dst_sel:DWORD dst_unused:UNUSED_PAD src0_sel:DWORD src1_sel:WORD_1
	global_store_dword v[0:1], v3, off
	s_mov_b64 s[2:3], 0
	s_branch .LBB521_52
.LBB521_37:
	s_mov_b64 s[12:13], 0
	s_mov_b64 s[2:3], 0
                                        ; implicit-def: $vgpr1
	s_cbranch_execnz .LBB521_186
	s_branch .LBB521_220
.LBB521_38:
	s_mov_b64 s[2:3], 0
	s_mov_b64 s[14:15], 0
	s_cbranch_execnz .LBB521_121
.LBB521_39:
	s_andn2_b64 vcc, exec, s[14:15]
	s_cbranch_vccnz .LBB521_269
	s_branch .LBB521_159
.LBB521_40:
	s_mov_b64 s[14:15], -1
	s_mov_b64 s[12:13], 0
	s_mov_b64 s[2:3], 0
                                        ; implicit-def: $vgpr1
	s_branch .LBB521_167
.LBB521_41:
	s_mov_b64 s[16:17], -1
	s_mov_b64 s[2:3], 0
	s_mov_b64 s[14:15], 0
	s_branch .LBB521_79
.LBB521_42:
	s_mov_b64 s[14:15], -1
	s_mov_b64 s[12:13], 0
	s_mov_b64 s[2:3], 0
                                        ; implicit-def: $vgpr1
	s_branch .LBB521_162
.LBB521_43:
	s_mov_b64 s[16:17], -1
	s_mov_b64 s[2:3], 0
	s_mov_b64 s[14:15], 0
	s_branch .LBB521_62
.LBB521_44:
	s_mov_b64 s[14:15], -1
	s_mov_b64 s[12:13], 0
	s_branch .LBB521_47
.LBB521_45:
	s_mov_b64 s[16:17], -1
	s_mov_b64 s[2:3], 0
	s_mov_b64 s[14:15], 0
	s_branch .LBB521_58
.LBB521_46:
	s_mov_b64 s[12:13], -1
.LBB521_47:
	s_mov_b64 s[2:3], 0
                                        ; implicit-def: $vgpr1
.LBB521_48:
	s_and_b64 vcc, exec, s[14:15]
	s_cbranch_vccz .LBB521_161
; %bb.49:
	s_cmp_eq_u32 s18, 44
	s_cbranch_scc0 .LBB521_160
; %bb.50:
	global_load_ubyte v1, v[2:3], off
	s_movk_i32 s12, 0xff
	v_mov_b32_e32 v4, 0x7f800001
	v_mov_b32_e32 v5, 0x400000
	s_mov_b64 s[2:3], -1
	s_waitcnt vmcnt(0)
	v_lshlrev_b32_e32 v6, 23, v1
	v_cmp_ne_u32_e32 vcc, s12, v1
	s_mov_b64 s[12:13], 0
	s_nop 0
	v_cndmask_b32_e32 v4, v4, v6, vcc
	v_cmp_ne_u32_e32 vcc, 0, v1
	s_nop 1
	v_cndmask_b32_e32 v1, v5, v4, vcc
	s_branch .LBB521_161
.LBB521_51:
	s_mov_b64 s[16:17], -1
	s_mov_b64 s[2:3], 0
	s_mov_b64 s[14:15], 0
.LBB521_52:
	s_and_b64 vcc, exec, s[16:17]
	s_cbranch_vccz .LBB521_57
; %bb.53:
	s_cmp_eq_u32 s21, 44
	s_mov_b64 s[2:3], -1
	s_cbranch_scc0 .LBB521_57
; %bb.54:
	v_bfe_u32 v3, v2, 23, 8
	s_movk_i32 s2, 0xff
	v_cmp_ne_u32_e32 vcc, s2, v3
	v_mov_b32_e32 v4, 0xff
	s_and_saveexec_b64 s[14:15], vcc
; %bb.55:
	s_mov_b32 s2, 0x3fffff
	v_and_b32_e32 v5, 0x400000, v2
	v_and_or_b32 v3, v2, s2, v3
	v_cmp_ne_u32_e32 vcc, 0, v5
	v_cmp_ne_u32_e64 s[2:3], 0, v3
	s_and_b64 s[2:3], vcc, s[2:3]
	v_lshrrev_b32_e32 v4, 23, v2
	v_cndmask_b32_e64 v3, 0, 1, s[2:3]
	v_add_u32_e32 v4, v4, v3
; %bb.56:
	s_or_b64 exec, exec, s[14:15]
	s_mov_b64 s[14:15], -1
	s_mov_b64 s[2:3], 0
	global_store_byte v[0:1], v4, off
.LBB521_57:
	s_mov_b64 s[16:17], 0
.LBB521_58:
	s_and_b64 vcc, exec, s[16:17]
	s_cbranch_vccz .LBB521_61
; %bb.59:
	s_cmp_eq_u32 s21, 29
	s_mov_b64 s[2:3], -1
	s_cbranch_scc0 .LBB521_61
; %bb.60:
	v_trunc_f32_e32 v3, v2
	v_mul_f32_e32 v4, 0x2f800000, v3
	v_floor_f32_e32 v4, v4
	v_fmamk_f32 v3, v4, 0xcf800000, v3
	v_cvt_u32_f32_e32 v5, v4
	v_cvt_u32_f32_e32 v4, v3
	s_mov_b64 s[14:15], -1
	s_mov_b64 s[2:3], 0
	s_mov_b64 s[16:17], 0
	global_store_dwordx2 v[0:1], v[4:5], off
	s_branch .LBB521_62
.LBB521_61:
	s_mov_b64 s[16:17], 0
.LBB521_62:
	s_and_b64 vcc, exec, s[16:17]
	s_cbranch_vccz .LBB521_78
; %bb.63:
	s_cmp_lt_i32 s21, 27
	s_mov_b64 s[14:15], -1
	s_cbranch_scc1 .LBB521_69
; %bb.64:
	v_cvt_u32_f32_e32 v3, v2
	s_cmp_gt_i32 s21, 27
	s_cbranch_scc0 .LBB521_66
; %bb.65:
	s_mov_b64 s[14:15], 0
	global_store_dword v[0:1], v3, off
.LBB521_66:
	s_andn2_b64 vcc, exec, s[14:15]
	s_cbranch_vccnz .LBB521_68
; %bb.67:
	global_store_short v[0:1], v3, off
.LBB521_68:
	s_mov_b64 s[14:15], 0
.LBB521_69:
	s_andn2_b64 vcc, exec, s[14:15]
	s_cbranch_vccnz .LBB521_77
; %bb.70:
	v_and_b32_e32 v3, 0x7fffffff, v2
	s_mov_b32 s14, 0x43800000
	v_cmp_gt_u32_e32 vcc, s14, v3
	v_mov_b32_e32 v4, 0x80
	s_and_saveexec_b64 s[14:15], vcc
	s_cbranch_execz .LBB521_76
; %bb.71:
	s_mov_b32 s16, 0x3bffffff
	v_cmp_lt_u32_e32 vcc, s16, v3
	s_mov_b64 s[16:17], 0
                                        ; implicit-def: $vgpr3
	s_and_saveexec_b64 s[18:19], vcc
	s_xor_b64 s[18:19], exec, s[18:19]
	s_cbranch_execz .LBB521_317
; %bb.72:
	v_bfe_u32 v3, v2, 20, 1
	s_mov_b32 s22, 0x487ffff
	v_add3_u32 v3, v2, v3, s22
	s_mov_b64 s[16:17], exec
	v_lshrrev_b32_e32 v3, 20, v3
	s_andn2_saveexec_b64 s[18:19], s[18:19]
	s_cbranch_execnz .LBB521_318
.LBB521_73:
	s_or_b64 exec, exec, s[18:19]
	v_mov_b32_e32 v4, 0
	s_and_saveexec_b64 s[18:19], s[16:17]
.LBB521_74:
	v_lshrrev_b32_e32 v4, 24, v2
	s_movk_i32 s16, 0x80
	v_and_or_b32 v4, v4, s16, v3
.LBB521_75:
	s_or_b64 exec, exec, s[18:19]
.LBB521_76:
	s_or_b64 exec, exec, s[14:15]
	global_store_byte v[0:1], v4, off
.LBB521_77:
	s_mov_b64 s[14:15], -1
.LBB521_78:
	s_mov_b64 s[16:17], 0
.LBB521_79:
	s_and_b64 vcc, exec, s[16:17]
	s_cbranch_vccz .LBB521_120
; %bb.80:
	s_cmp_gt_i32 s21, 22
	s_mov_b64 s[16:17], -1
	s_cbranch_scc0 .LBB521_112
; %bb.81:
	s_cmp_lt_i32 s21, 24
	s_mov_b64 s[14:15], -1
	s_cbranch_scc1 .LBB521_101
; %bb.82:
	s_cmp_gt_i32 s21, 24
	s_cbranch_scc0 .LBB521_90
; %bb.83:
	v_and_b32_e32 v3, 0x7fffffff, v2
	s_mov_b32 s14, 0x47800000
	v_cmp_gt_u32_e32 vcc, s14, v3
	v_mov_b32_e32 v4, 0x80
	s_and_saveexec_b64 s[14:15], vcc
	s_cbranch_execz .LBB521_89
; %bb.84:
	s_mov_b32 s16, 0x37ffffff
	v_cmp_lt_u32_e32 vcc, s16, v3
	s_mov_b64 s[16:17], 0
                                        ; implicit-def: $vgpr3
	s_and_saveexec_b64 s[18:19], vcc
	s_xor_b64 s[18:19], exec, s[18:19]
	s_cbranch_execz .LBB521_321
; %bb.85:
	v_bfe_u32 v3, v2, 21, 1
	s_mov_b32 s22, 0x88fffff
	v_add3_u32 v3, v2, v3, s22
	s_mov_b64 s[16:17], exec
	v_lshrrev_b32_e32 v3, 21, v3
	s_andn2_saveexec_b64 s[18:19], s[18:19]
	s_cbranch_execnz .LBB521_322
.LBB521_86:
	s_or_b64 exec, exec, s[18:19]
	v_mov_b32_e32 v4, 0
	s_and_saveexec_b64 s[18:19], s[16:17]
.LBB521_87:
	v_lshrrev_b32_e32 v4, 24, v2
	s_movk_i32 s16, 0x80
	v_and_or_b32 v4, v4, s16, v3
.LBB521_88:
	s_or_b64 exec, exec, s[18:19]
.LBB521_89:
	s_or_b64 exec, exec, s[14:15]
	s_mov_b64 s[14:15], 0
	global_store_byte v[0:1], v4, off
.LBB521_90:
	s_and_b64 vcc, exec, s[14:15]
	s_cbranch_vccz .LBB521_100
; %bb.91:
	v_and_b32_e32 v4, 0x7fffffff, v2
	s_mov_b32 s14, 0x43f00000
	v_cmp_gt_u32_e32 vcc, s14, v4
                                        ; implicit-def: $vgpr3
	s_and_saveexec_b64 s[14:15], vcc
	s_xor_b64 s[14:15], exec, s[14:15]
	s_cbranch_execz .LBB521_97
; %bb.92:
	s_mov_b32 s16, 0x3c7fffff
	v_cmp_lt_u32_e32 vcc, s16, v4
                                        ; implicit-def: $vgpr3
	s_and_saveexec_b64 s[16:17], vcc
	s_xor_b64 s[16:17], exec, s[16:17]
; %bb.93:
	v_bfe_u32 v3, v2, 20, 1
	s_mov_b32 s18, 0x407ffff
	v_add3_u32 v3, v2, v3, s18
	v_lshrrev_b32_e32 v4, 20, v3
	v_and_b32_e32 v3, 0xff00000, v3
	s_mov_b32 s18, 0x7f00000
	v_mov_b32_e32 v5, 0x7e
	v_cmp_ne_u32_e32 vcc, s18, v3
	s_nop 1
	v_cndmask_b32_e32 v3, v5, v4, vcc
; %bb.94:
	s_andn2_saveexec_b64 s[16:17], s[16:17]
; %bb.95:
	s_mov_b32 s18, 0x46800000
	v_add_f32_e64 v3, |v2|, s18
; %bb.96:
	s_or_b64 exec, exec, s[16:17]
                                        ; implicit-def: $vgpr4
.LBB521_97:
	s_andn2_saveexec_b64 s[14:15], s[14:15]
; %bb.98:
	s_mov_b32 s16, 0x7f800000
	v_mov_b32_e32 v3, 0x7e
	v_mov_b32_e32 v5, 0x7f
	v_cmp_lt_u32_e32 vcc, s16, v4
	s_nop 1
	v_cndmask_b32_e32 v3, v3, v5, vcc
; %bb.99:
	s_or_b64 exec, exec, s[14:15]
	v_lshrrev_b32_e32 v4, 24, v2
	s_movk_i32 s14, 0x80
	v_and_or_b32 v3, v4, s14, v3
	global_store_byte v[0:1], v3, off
.LBB521_100:
	s_mov_b64 s[14:15], 0
.LBB521_101:
	s_andn2_b64 vcc, exec, s[14:15]
	s_cbranch_vccnz .LBB521_111
; %bb.102:
	v_and_b32_e32 v4, 0x7fffffff, v2
	s_mov_b32 s14, 0x47800000
	v_cmp_gt_u32_e32 vcc, s14, v4
                                        ; implicit-def: $vgpr3
	s_and_saveexec_b64 s[14:15], vcc
	s_xor_b64 s[14:15], exec, s[14:15]
	s_cbranch_execz .LBB521_108
; %bb.103:
	s_mov_b32 s16, 0x387fffff
	v_cmp_lt_u32_e32 vcc, s16, v4
                                        ; implicit-def: $vgpr3
	s_and_saveexec_b64 s[16:17], vcc
	s_xor_b64 s[16:17], exec, s[16:17]
; %bb.104:
	v_bfe_u32 v3, v2, 21, 1
	s_mov_b32 s18, 0x80fffff
	v_add3_u32 v3, v2, v3, s18
	v_lshrrev_b32_e32 v3, 21, v3
; %bb.105:
	s_andn2_saveexec_b64 s[16:17], s[16:17]
; %bb.106:
	s_mov_b32 s18, 0x43000000
	v_add_f32_e64 v3, |v2|, s18
; %bb.107:
	s_or_b64 exec, exec, s[16:17]
                                        ; implicit-def: $vgpr4
.LBB521_108:
	s_andn2_saveexec_b64 s[14:15], s[14:15]
; %bb.109:
	s_mov_b32 s16, 0x7f800000
	v_mov_b32_e32 v3, 0x7c
	v_mov_b32_e32 v5, 0x7f
	v_cmp_lt_u32_e32 vcc, s16, v4
	s_nop 1
	v_cndmask_b32_e32 v3, v3, v5, vcc
; %bb.110:
	s_or_b64 exec, exec, s[14:15]
	v_lshrrev_b32_e32 v4, 24, v2
	s_movk_i32 s14, 0x80
	v_and_or_b32 v3, v4, s14, v3
	global_store_byte v[0:1], v3, off
.LBB521_111:
	s_mov_b64 s[16:17], 0
	s_mov_b64 s[14:15], -1
.LBB521_112:
	s_andn2_b64 vcc, exec, s[16:17]
	s_cbranch_vccnz .LBB521_120
; %bb.113:
	s_cmp_gt_i32 s21, 14
	s_mov_b64 s[16:17], -1
	s_cbranch_scc0 .LBB521_117
; %bb.114:
	s_cmp_eq_u32 s21, 15
	s_mov_b64 s[2:3], -1
	s_cbranch_scc0 .LBB521_116
; %bb.115:
	v_bfe_u32 v3, v2, 16, 1
	s_movk_i32 s2, 0x7fff
	v_add3_u32 v3, v2, v3, s2
	v_cmp_o_f32_e32 vcc, v2, v2
	v_mov_b32_e32 v4, 0x7fc0
	s_mov_b64 s[14:15], -1
	v_cndmask_b32_sdwa v3, v4, v3, vcc dst_sel:DWORD dst_unused:UNUSED_PAD src0_sel:DWORD src1_sel:WORD_1
	global_store_short v[0:1], v3, off
	s_mov_b64 s[2:3], 0
.LBB521_116:
	s_mov_b64 s[16:17], 0
.LBB521_117:
	s_and_b64 vcc, exec, s[16:17]
	s_cbranch_vccz .LBB521_120
; %bb.118:
	s_cmp_eq_u32 s21, 11
	s_mov_b64 s[2:3], -1
	s_cbranch_scc0 .LBB521_120
; %bb.119:
	v_cmp_neq_f32_e32 vcc, 0, v2
	s_mov_b64 s[14:15], -1
	s_mov_b64 s[2:3], 0
	v_cndmask_b32_e64 v3, 0, 1, vcc
	global_store_byte v[0:1], v3, off
.LBB521_120:
	s_branch .LBB521_39
.LBB521_121:
	s_and_b32 s16, 0xffff, s20
	s_cmp_lt_i32 s16, 5
	s_mov_b64 s[14:15], -1
	s_cbranch_scc1 .LBB521_142
; %bb.122:
	s_cmp_lt_i32 s16, 8
	s_cbranch_scc1 .LBB521_132
; %bb.123:
	s_cmp_lt_i32 s16, 9
	s_cbranch_scc1 .LBB521_129
; %bb.124:
	s_cmp_gt_i32 s16, 9
	s_cbranch_scc0 .LBB521_126
; %bb.125:
	v_mov_b32_e32 v6, 0
	v_cvt_f64_f32_e32 v[4:5], v2
	v_mov_b32_e32 v7, v6
	global_store_dwordx4 v[0:1], v[4:7], off
	s_mov_b64 s[14:15], 0
.LBB521_126:
	s_andn2_b64 vcc, exec, s[14:15]
	s_cbranch_vccnz .LBB521_128
; %bb.127:
	v_mov_b32_e32 v3, 0
	global_store_dwordx2 v[0:1], v[2:3], off
.LBB521_128:
	s_mov_b64 s[14:15], 0
.LBB521_129:
	s_andn2_b64 vcc, exec, s[14:15]
	s_cbranch_vccnz .LBB521_131
; %bb.130:
	v_cvt_f16_f32_e32 v3, v2
	global_store_dword v[0:1], v3, off
.LBB521_131:
	s_mov_b64 s[14:15], 0
.LBB521_132:
	s_andn2_b64 vcc, exec, s[14:15]
	s_cbranch_vccnz .LBB521_141
; %bb.133:
	s_cmp_lt_i32 s16, 6
	s_mov_b64 s[14:15], -1
	s_cbranch_scc1 .LBB521_139
; %bb.134:
	s_cmp_gt_i32 s16, 6
	s_cbranch_scc0 .LBB521_136
; %bb.135:
	v_cvt_f64_f32_e32 v[4:5], v2
	global_store_dwordx2 v[0:1], v[4:5], off
	s_mov_b64 s[14:15], 0
.LBB521_136:
	s_andn2_b64 vcc, exec, s[14:15]
	s_cbranch_vccnz .LBB521_138
; %bb.137:
	global_store_dword v[0:1], v2, off
.LBB521_138:
	s_mov_b64 s[14:15], 0
.LBB521_139:
	s_andn2_b64 vcc, exec, s[14:15]
	s_cbranch_vccnz .LBB521_141
; %bb.140:
	v_cvt_f16_f32_e32 v3, v2
	global_store_short v[0:1], v3, off
.LBB521_141:
	s_mov_b64 s[14:15], 0
.LBB521_142:
	s_andn2_b64 vcc, exec, s[14:15]
	s_cbranch_vccnz .LBB521_158
; %bb.143:
	s_cmp_lt_i32 s16, 2
	s_mov_b64 s[14:15], -1
	s_cbranch_scc1 .LBB521_153
; %bb.144:
	s_cmp_lt_i32 s16, 3
	s_cbranch_scc1 .LBB521_150
; %bb.145:
	s_cmp_gt_i32 s16, 3
	s_cbranch_scc0 .LBB521_147
; %bb.146:
	v_trunc_f32_e32 v3, v2
	s_mov_b32 s14, 0x2f800000
	v_mul_f32_e64 v4, |v3|, s14
	v_floor_f32_e32 v4, v4
	s_mov_b32 s14, 0xcf800000
	v_cvt_u32_f32_e32 v5, v4
	v_fma_f32 v4, v4, s14, |v3|
	v_cvt_u32_f32_e32 v4, v4
	v_ashrrev_i32_e32 v3, 31, v3
	v_xor_b32_e32 v5, v5, v3
	s_mov_b64 s[14:15], 0
	v_xor_b32_e32 v4, v4, v3
	v_sub_co_u32_e32 v4, vcc, v4, v3
	s_nop 1
	v_subb_co_u32_e32 v5, vcc, v5, v3, vcc
	global_store_dwordx2 v[0:1], v[4:5], off
.LBB521_147:
	s_andn2_b64 vcc, exec, s[14:15]
	s_cbranch_vccnz .LBB521_149
; %bb.148:
	v_cvt_i32_f32_e32 v3, v2
	global_store_dword v[0:1], v3, off
.LBB521_149:
	s_mov_b64 s[14:15], 0
.LBB521_150:
	s_andn2_b64 vcc, exec, s[14:15]
	s_cbranch_vccnz .LBB521_152
; %bb.151:
	v_cvt_i32_f32_e32 v3, v2
	global_store_short v[0:1], v3, off
.LBB521_152:
	s_mov_b64 s[14:15], 0
.LBB521_153:
	s_andn2_b64 vcc, exec, s[14:15]
	s_cbranch_vccnz .LBB521_158
; %bb.154:
	s_cmp_gt_i32 s16, 0
	s_mov_b64 s[14:15], -1
	s_cbranch_scc0 .LBB521_156
; %bb.155:
	v_cvt_i32_f32_e32 v3, v2
	s_mov_b64 s[14:15], 0
	global_store_byte v[0:1], v3, off
.LBB521_156:
	s_andn2_b64 vcc, exec, s[14:15]
	s_cbranch_vccnz .LBB521_158
; %bb.157:
	v_trunc_f32_e32 v2, v2
	s_mov_b32 s14, 0x2f800000
	v_mul_f32_e64 v3, |v2|, s14
	v_floor_f32_e32 v3, v3
	s_mov_b32 s14, 0xcf800000
	v_fma_f32 v3, v3, s14, |v2|
	v_cvt_u32_f32_e32 v3, v3
	v_ashrrev_i32_e32 v2, 31, v2
	v_xor_b32_e32 v3, v3, v2
	v_sub_u32_e32 v2, v3, v2
	global_store_byte v[0:1], v2, off
.LBB521_158:
.LBB521_159:
	v_add_u32_e32 v9, 0x80, v9
	s_mov_b64 s[14:15], -1
	s_branch .LBB521_270
.LBB521_160:
	s_mov_b64 s[12:13], -1
                                        ; implicit-def: $vgpr1
.LBB521_161:
	s_mov_b64 s[14:15], 0
.LBB521_162:
	s_and_b64 vcc, exec, s[14:15]
	s_cbranch_vccz .LBB521_166
; %bb.163:
	s_cmp_eq_u32 s18, 29
	s_cbranch_scc0 .LBB521_165
; %bb.164:
	global_load_dwordx2 v[4:5], v[2:3], off
	s_mov_b64 s[2:3], -1
	s_mov_b64 s[12:13], 0
	s_mov_b64 s[14:15], 0
	s_waitcnt vmcnt(0)
	v_ffbh_u32_e32 v1, v5
	v_min_u32_e32 v1, 32, v1
	v_lshlrev_b64 v[4:5], v1, v[4:5]
	v_min_u32_e32 v4, 1, v4
	v_or_b32_e32 v4, v5, v4
	v_cvt_f32_u32_e32 v4, v4
	v_sub_u32_e32 v1, 32, v1
	v_ldexp_f32 v1, v4, v1
	s_branch .LBB521_167
.LBB521_165:
	s_mov_b64 s[12:13], -1
                                        ; implicit-def: $vgpr1
.LBB521_166:
	s_mov_b64 s[14:15], 0
.LBB521_167:
	s_and_b64 vcc, exec, s[14:15]
	s_cbranch_vccz .LBB521_185
; %bb.168:
	s_cmp_lt_i32 s18, 27
	s_cbranch_scc1 .LBB521_171
; %bb.169:
	s_cmp_gt_i32 s18, 27
	s_cbranch_scc0 .LBB521_172
; %bb.170:
	global_load_dword v1, v[2:3], off
	s_mov_b64 s[2:3], 0
	s_waitcnt vmcnt(0)
	v_cvt_f32_u32_e32 v1, v1
	s_branch .LBB521_173
.LBB521_171:
	s_mov_b64 s[2:3], -1
                                        ; implicit-def: $vgpr1
	s_branch .LBB521_176
.LBB521_172:
	s_mov_b64 s[2:3], -1
                                        ; implicit-def: $vgpr1
.LBB521_173:
	s_andn2_b64 vcc, exec, s[2:3]
	s_cbranch_vccnz .LBB521_175
; %bb.174:
	global_load_ushort v1, v[2:3], off
	s_waitcnt vmcnt(0)
	v_cvt_f32_u32_e32 v1, v1
.LBB521_175:
	s_mov_b64 s[2:3], 0
.LBB521_176:
	s_andn2_b64 vcc, exec, s[2:3]
	s_cbranch_vccnz .LBB521_184
; %bb.177:
	global_load_ubyte v4, v[2:3], off
	s_movk_i32 s2, 0x7f
	s_waitcnt vmcnt(0)
	v_cmp_lt_i16_e32 vcc, s2, v4
	s_mov_b64 s[2:3], 0
	s_and_saveexec_b64 s[14:15], vcc
	s_xor_b64 s[14:15], exec, s[14:15]
	s_cbranch_execz .LBB521_197
; %bb.178:
	s_movk_i32 s2, 0x80
	v_cmp_eq_u16_e32 vcc, s2, v4
	s_mov_b64 s[2:3], -1
	s_and_saveexec_b64 s[16:17], vcc
; %bb.179:
	s_xor_b64 s[2:3], exec, -1
; %bb.180:
	s_or_b64 exec, exec, s[16:17]
	s_and_b64 s[2:3], s[2:3], exec
	s_or_saveexec_b64 s[14:15], s[14:15]
	v_mov_b32_e32 v1, 0x7f800001
	s_xor_b64 exec, exec, s[14:15]
	s_cbranch_execnz .LBB521_198
.LBB521_181:
	s_or_b64 exec, exec, s[14:15]
	s_and_saveexec_b64 s[14:15], s[2:3]
	s_cbranch_execz .LBB521_183
.LBB521_182:
	v_lshlrev_b32_e32 v1, 24, v4
	v_and_b32_e32 v4, 0xffff, v4
	v_and_b32_e32 v5, 7, v4
	v_ffbh_u32_e32 v7, v5
	v_min_u32_e32 v7, 32, v7
	v_subrev_u32_e32 v8, 28, v7
	v_bfe_u32 v6, v4, 3, 4
	v_lshlrev_b32_e32 v4, v8, v4
	v_sub_u32_e32 v7, 29, v7
	v_and_b32_e32 v4, 7, v4
	v_cmp_eq_u32_e32 vcc, 0, v6
	v_and_b32_e32 v1, 0x80000000, v1
	s_nop 0
	v_cndmask_b32_e32 v6, v6, v7, vcc
	v_cndmask_b32_e32 v4, v5, v4, vcc
	v_mov_b32_e32 v5, 0x3b800000
	v_lshlrev_b32_e32 v4, 20, v4
	v_lshl_add_u32 v5, v6, 23, v5
	v_or3_b32 v1, v1, v5, v4
.LBB521_183:
	s_or_b64 exec, exec, s[14:15]
.LBB521_184:
	s_mov_b64 s[2:3], -1
.LBB521_185:
	s_branch .LBB521_220
.LBB521_186:
	s_cmp_gt_i32 s18, 22
	s_cbranch_scc0 .LBB521_196
; %bb.187:
	s_cmp_lt_i32 s18, 24
	s_cbranch_scc1 .LBB521_199
; %bb.188:
	s_cmp_gt_i32 s18, 24
	s_cbranch_scc0 .LBB521_200
; %bb.189:
	global_load_ubyte v4, v[2:3], off
	s_movk_i32 s2, 0x7f
	s_waitcnt vmcnt(0)
	v_cmp_lt_i16_e32 vcc, s2, v4
	s_mov_b64 s[2:3], 0
	s_and_saveexec_b64 s[14:15], vcc
	s_xor_b64 s[14:15], exec, s[14:15]
	s_cbranch_execz .LBB521_212
; %bb.190:
	s_movk_i32 s2, 0x80
	v_cmp_eq_u16_e32 vcc, s2, v4
	s_mov_b64 s[2:3], -1
	s_and_saveexec_b64 s[16:17], vcc
; %bb.191:
	s_xor_b64 s[2:3], exec, -1
; %bb.192:
	s_or_b64 exec, exec, s[16:17]
	s_and_b64 s[2:3], s[2:3], exec
	s_or_saveexec_b64 s[14:15], s[14:15]
	v_mov_b32_e32 v1, 0x7f800001
	s_xor_b64 exec, exec, s[14:15]
	s_cbranch_execnz .LBB521_213
.LBB521_193:
	s_or_b64 exec, exec, s[14:15]
	s_and_saveexec_b64 s[14:15], s[2:3]
	s_cbranch_execz .LBB521_195
.LBB521_194:
	v_lshlrev_b32_e32 v1, 24, v4
	v_and_b32_e32 v4, 0xffff, v4
	v_and_b32_e32 v5, 3, v4
	v_ffbh_u32_e32 v7, v5
	v_min_u32_e32 v7, 32, v7
	v_subrev_u32_e32 v8, 29, v7
	v_bfe_u32 v6, v4, 2, 5
	v_lshlrev_b32_e32 v4, v8, v4
	v_sub_u32_e32 v7, 30, v7
	v_and_b32_e32 v4, 3, v4
	v_cmp_eq_u32_e32 vcc, 0, v6
	v_and_b32_e32 v1, 0x80000000, v1
	s_nop 0
	v_cndmask_b32_e32 v6, v6, v7, vcc
	v_cndmask_b32_e32 v4, v5, v4, vcc
	v_mov_b32_e32 v5, 0x37800000
	v_lshlrev_b32_e32 v4, 21, v4
	v_lshl_add_u32 v5, v6, 23, v5
	v_or3_b32 v1, v1, v5, v4
.LBB521_195:
	s_or_b64 exec, exec, s[14:15]
	s_mov_b64 s[2:3], 0
	s_branch .LBB521_201
.LBB521_196:
	s_mov_b64 s[14:15], -1
                                        ; implicit-def: $vgpr1
	s_branch .LBB521_207
.LBB521_197:
	s_or_saveexec_b64 s[14:15], s[14:15]
	v_mov_b32_e32 v1, 0x7f800001
	s_xor_b64 exec, exec, s[14:15]
	s_cbranch_execz .LBB521_181
.LBB521_198:
	v_cmp_ne_u16_e32 vcc, 0, v4
	s_andn2_b64 s[2:3], s[2:3], exec
	s_and_b64 s[16:17], vcc, exec
	v_mov_b32_e32 v1, 0
	s_or_b64 s[2:3], s[2:3], s[16:17]
	s_or_b64 exec, exec, s[14:15]
	s_and_saveexec_b64 s[14:15], s[2:3]
	s_cbranch_execnz .LBB521_182
	s_branch .LBB521_183
.LBB521_199:
	s_mov_b64 s[2:3], -1
                                        ; implicit-def: $vgpr1
	s_branch .LBB521_204
.LBB521_200:
	s_mov_b64 s[2:3], -1
                                        ; implicit-def: $vgpr1
.LBB521_201:
	s_and_b64 vcc, exec, s[2:3]
	s_cbranch_vccz .LBB521_203
; %bb.202:
	global_load_ubyte v1, v[2:3], off
	s_mov_b32 s2, 0x7f800000
	s_waitcnt vmcnt(0)
	v_lshlrev_b32_e32 v1, 24, v1
	v_and_b32_e32 v4, 0x7f000000, v1
	v_ffbh_u32_e32 v5, v4
	v_min_u32_e32 v5, 32, v5
	v_sub_u32_e64 v5, v5, 4 clamp
	v_lshlrev_b32_e32 v7, v5, v4
	v_lshlrev_b32_e32 v5, 23, v5
	v_lshrrev_b32_e32 v7, 4, v7
	v_add_u32_e32 v6, 0x1000000, v4
	v_sub_u32_e32 v5, v7, v5
	v_ashrrev_i32_e32 v6, 8, v6
	v_add_u32_e32 v5, 0x3c000000, v5
	v_and_or_b32 v5, v6, s2, v5
	v_cmp_ne_u32_e32 vcc, 0, v4
	s_brev_b32 s2, 1
	s_nop 0
	v_cndmask_b32_e32 v4, 0, v5, vcc
	v_and_or_b32 v1, v1, s2, v4
.LBB521_203:
	s_mov_b64 s[2:3], 0
.LBB521_204:
	s_andn2_b64 vcc, exec, s[2:3]
	s_cbranch_vccnz .LBB521_206
; %bb.205:
	global_load_ubyte v1, v[2:3], off
	s_movk_i32 s2, 0x7f00
	s_brev_b32 s3, 16
	s_waitcnt vmcnt(0)
	v_lshlrev_b16_e32 v4, 8, v1
	v_lshlrev_b32_e32 v1, 25, v1
	v_lshrrev_b32_e32 v5, 4, v1
	v_and_or_b32 v6, v4, s2, 0.5
	v_or_b32_e32 v5, 0x70000000, v5
	v_add_f32_e32 v6, -0.5, v6
	v_mul_f32_e32 v5, 0x7800000, v5
	v_cmp_gt_u32_e32 vcc, s3, v1
	v_bfe_i32 v4, v4, 0, 16
	s_brev_b32 s2, 1
	v_cndmask_b32_e32 v1, v5, v6, vcc
	v_and_or_b32 v1, v4, s2, v1
.LBB521_206:
	s_mov_b64 s[14:15], 0
	s_mov_b64 s[2:3], -1
.LBB521_207:
	s_andn2_b64 vcc, exec, s[14:15]
	s_cbranch_vccnz .LBB521_220
; %bb.208:
	s_cmp_gt_i32 s18, 14
	s_cbranch_scc0 .LBB521_211
; %bb.209:
	s_cmp_eq_u32 s18, 15
	s_cbranch_scc0 .LBB521_214
; %bb.210:
	global_load_ushort v1, v[2:3], off
	s_mov_b64 s[2:3], -1
	s_mov_b64 s[12:13], 0
	s_waitcnt vmcnt(0)
	v_lshlrev_b32_e32 v1, 16, v1
	s_branch .LBB521_215
.LBB521_211:
	s_mov_b64 s[14:15], -1
                                        ; implicit-def: $vgpr1
	s_branch .LBB521_216
.LBB521_212:
	s_or_saveexec_b64 s[14:15], s[14:15]
	v_mov_b32_e32 v1, 0x7f800001
	s_xor_b64 exec, exec, s[14:15]
	s_cbranch_execz .LBB521_193
.LBB521_213:
	v_cmp_ne_u16_e32 vcc, 0, v4
	s_andn2_b64 s[2:3], s[2:3], exec
	s_and_b64 s[16:17], vcc, exec
	v_mov_b32_e32 v1, 0
	s_or_b64 s[2:3], s[2:3], s[16:17]
	s_or_b64 exec, exec, s[14:15]
	s_and_saveexec_b64 s[14:15], s[2:3]
	s_cbranch_execnz .LBB521_194
	s_branch .LBB521_195
.LBB521_214:
	s_mov_b64 s[12:13], -1
                                        ; implicit-def: $vgpr1
.LBB521_215:
	s_mov_b64 s[14:15], 0
.LBB521_216:
	s_and_b64 vcc, exec, s[14:15]
	s_cbranch_vccz .LBB521_220
; %bb.217:
	s_cmp_eq_u32 s18, 11
	s_cbranch_scc0 .LBB521_219
; %bb.218:
	global_load_ubyte v1, v[2:3], off
	s_mov_b64 s[2:3], -1
	s_mov_b64 s[12:13], 0
	s_waitcnt vmcnt(0)
	v_cmp_ne_u16_e32 vcc, 0, v1
	s_nop 1
	v_cndmask_b32_e64 v1, 0, 1.0, vcc
	s_branch .LBB521_220
.LBB521_219:
	s_mov_b64 s[12:13], -1
                                        ; implicit-def: $vgpr1
.LBB521_220:
	s_branch .LBB521_25
.LBB521_221:
	s_cmp_lt_i32 s18, 5
	s_cbranch_scc1 .LBB521_226
; %bb.222:
	s_cmp_lt_i32 s18, 8
	s_cbranch_scc1 .LBB521_227
; %bb.223:
	s_cmp_lt_i32 s18, 9
	s_cbranch_scc1 .LBB521_228
; %bb.224:
	s_cmp_gt_i32 s18, 9
	s_cbranch_scc0 .LBB521_229
; %bb.225:
	global_load_dwordx2 v[4:5], v[2:3], off
	s_mov_b64 s[2:3], 0
	s_waitcnt vmcnt(0)
	v_cvt_f32_f64_e32 v1, v[4:5]
	s_branch .LBB521_230
.LBB521_226:
                                        ; implicit-def: $vgpr1
	s_branch .LBB521_248
.LBB521_227:
	s_mov_b64 s[2:3], -1
                                        ; implicit-def: $vgpr1
	s_branch .LBB521_236
.LBB521_228:
	s_mov_b64 s[2:3], -1
                                        ; implicit-def: $vgpr1
	s_branch .LBB521_233
.LBB521_229:
	s_mov_b64 s[2:3], -1
                                        ; implicit-def: $vgpr1
.LBB521_230:
	s_andn2_b64 vcc, exec, s[2:3]
	s_cbranch_vccnz .LBB521_232
; %bb.231:
	global_load_dword v1, v[2:3], off
.LBB521_232:
	s_mov_b64 s[2:3], 0
.LBB521_233:
	s_andn2_b64 vcc, exec, s[2:3]
	s_cbranch_vccnz .LBB521_235
; %bb.234:
	global_load_dword v1, v[2:3], off
	s_waitcnt vmcnt(0)
	v_cvt_f32_f16_e32 v1, v1
.LBB521_235:
	s_mov_b64 s[2:3], 0
.LBB521_236:
	s_andn2_b64 vcc, exec, s[2:3]
	s_cbranch_vccnz .LBB521_247
; %bb.237:
	s_cmp_lt_i32 s18, 6
	s_cbranch_scc1 .LBB521_240
; %bb.238:
	s_cmp_gt_i32 s18, 6
	s_cbranch_scc0 .LBB521_241
; %bb.239:
	global_load_dwordx2 v[4:5], v[2:3], off
	s_mov_b64 s[2:3], 0
	s_waitcnt vmcnt(0)
	v_cvt_f32_f64_e32 v1, v[4:5]
	s_branch .LBB521_242
.LBB521_240:
	s_mov_b64 s[2:3], -1
                                        ; implicit-def: $vgpr1
	s_branch .LBB521_245
.LBB521_241:
	s_mov_b64 s[2:3], -1
                                        ; implicit-def: $vgpr1
.LBB521_242:
	s_andn2_b64 vcc, exec, s[2:3]
	s_cbranch_vccnz .LBB521_244
; %bb.243:
	global_load_dword v1, v[2:3], off
.LBB521_244:
	s_mov_b64 s[2:3], 0
.LBB521_245:
	s_andn2_b64 vcc, exec, s[2:3]
	s_cbranch_vccnz .LBB521_247
; %bb.246:
	global_load_ushort v1, v[2:3], off
	s_waitcnt vmcnt(0)
	v_cvt_f32_f16_e32 v1, v1
.LBB521_247:
	s_cbranch_execnz .LBB521_267
.LBB521_248:
	s_cmp_lt_i32 s18, 2
	s_cbranch_scc1 .LBB521_252
; %bb.249:
	s_cmp_lt_i32 s18, 3
	s_cbranch_scc1 .LBB521_253
; %bb.250:
	s_cmp_gt_i32 s18, 3
	s_cbranch_scc0 .LBB521_254
; %bb.251:
	global_load_dwordx2 v[4:5], v[2:3], off
	s_mov_b64 s[2:3], 0
	s_waitcnt vmcnt(0)
	v_xor_b32_e32 v6, v4, v5
	v_ffbh_i32_e32 v1, v5
	v_ashrrev_i32_e32 v6, 31, v6
	v_add_u32_e32 v1, -1, v1
	v_add_u32_e32 v6, 32, v6
	v_min_u32_e32 v1, v1, v6
	v_lshlrev_b64 v[4:5], v1, v[4:5]
	v_min_u32_e32 v4, 1, v4
	v_or_b32_e32 v4, v5, v4
	v_cvt_f32_i32_e32 v4, v4
	v_sub_u32_e32 v1, 32, v1
	v_ldexp_f32 v1, v4, v1
	s_branch .LBB521_255
.LBB521_252:
	s_mov_b64 s[2:3], -1
                                        ; implicit-def: $vgpr1
	s_branch .LBB521_261
.LBB521_253:
	s_mov_b64 s[2:3], -1
                                        ; implicit-def: $vgpr1
	s_branch .LBB521_258
.LBB521_254:
	s_mov_b64 s[2:3], -1
                                        ; implicit-def: $vgpr1
.LBB521_255:
	s_andn2_b64 vcc, exec, s[2:3]
	s_cbranch_vccnz .LBB521_257
; %bb.256:
	global_load_dword v1, v[2:3], off
	s_waitcnt vmcnt(0)
	v_cvt_f32_i32_e32 v1, v1
.LBB521_257:
	s_mov_b64 s[2:3], 0
.LBB521_258:
	s_andn2_b64 vcc, exec, s[2:3]
	s_cbranch_vccnz .LBB521_260
; %bb.259:
	global_load_sshort v1, v[2:3], off
	s_waitcnt vmcnt(0)
	v_cvt_f32_i32_e32 v1, v1
.LBB521_260:
	s_mov_b64 s[2:3], 0
.LBB521_261:
	s_andn2_b64 vcc, exec, s[2:3]
	s_cbranch_vccnz .LBB521_267
; %bb.262:
	s_cmp_gt_i32 s18, 0
	s_cbranch_scc0 .LBB521_264
; %bb.263:
	global_load_sbyte v1, v[2:3], off
	s_mov_b64 s[2:3], 0
	s_waitcnt vmcnt(0)
	v_cvt_f32_i32_e32 v1, v1
	s_branch .LBB521_265
.LBB521_264:
	s_mov_b64 s[2:3], -1
                                        ; implicit-def: $vgpr1
.LBB521_265:
	s_andn2_b64 vcc, exec, s[2:3]
	s_cbranch_vccnz .LBB521_267
; %bb.266:
	global_load_ubyte v1, v[2:3], off
	s_waitcnt vmcnt(0)
	v_cvt_f32_ubyte0_e32 v1, v1
.LBB521_267:
	s_branch .LBB521_26
.LBB521_268:
	s_mov_b64 s[2:3], 0
.LBB521_269:
	s_mov_b64 s[14:15], 0
                                        ; implicit-def: $vgpr9
.LBB521_270:
	s_and_b64 s[58:59], s[2:3], exec
	s_and_b64 s[60:61], s[12:13], exec
	s_orn2_b64 s[12:13], s[14:15], exec
.LBB521_271:
	s_or_b64 exec, exec, s[62:63]
	s_mov_b64 s[14:15], 0
	s_mov_b64 s[2:3], 0
                                        ; implicit-def: $vgpr2_vgpr3
                                        ; implicit-def: $vgpr0
                                        ; implicit-def: $vgpr1
	s_and_saveexec_b64 s[62:63], s[12:13]
	s_cbranch_execz .LBB521_279
; %bb.272:
	v_cmp_gt_i32_e32 vcc, s74, v9
	s_mov_b64 s[2:3], -1
	s_mov_b64 s[64:65], s[60:61]
	s_mov_b64 s[66:67], s[58:59]
	s_and_saveexec_b64 s[68:69], vcc
	s_cbranch_execz .LBB521_552
; %bb.273:
	s_andn2_b64 vcc, exec, s[46:47]
	s_cbranch_vccnz .LBB521_282
; %bb.274:
	s_andn2_b64 vcc, exec, s[56:57]
	s_cbranch_vccnz .LBB521_283
; %bb.275:
	s_add_i32 s67, s78, 1
	s_cmp_eq_u32 s76, 2
	s_cbranch_scc1 .LBB521_284
; %bb.276:
	s_and_b32 s66, s67, 28
	s_mov_b32 s70, 0
	v_mov_b32_e32 v0, 0
	v_mov_b32_e32 v2, 0
	s_mov_b64 s[2:3], s[34:35]
	s_mov_b64 s[64:65], s[54:55]
	v_mov_b32_e32 v4, v9
.LBB521_277:                            ; =>This Inner Loop Header: Depth=1
	s_load_dwordx8 s[20:27], s[2:3], 0x4
	s_load_dwordx4 s[40:43], s[2:3], 0x24
	s_load_dwordx8 s[12:19], s[64:65], 0x0
	s_add_u32 s2, s2, 48
	s_addc_u32 s3, s3, 0
	s_waitcnt vmcnt(0) lgkmcnt(0)
	v_mul_hi_u32 v1, s21, v4
	v_add_u32_e32 v1, v4, v1
	v_lshrrev_b32_e32 v1, s22, v1
	v_mul_lo_u32 v3, v1, s20
	v_mul_hi_u32 v5, s24, v1
	v_sub_u32_e32 v3, v4, v3
	v_add_u32_e32 v4, v1, v5
	v_lshrrev_b32_e32 v4, s25, v4
	v_mul_lo_u32 v6, v4, s23
	v_mul_hi_u32 v7, s27, v4
	v_sub_u32_e32 v1, v1, v6
	v_add_u32_e32 v6, v4, v7
	v_mul_lo_u32 v5, v3, s13
	v_mul_lo_u32 v3, v3, s12
	v_mul_lo_u32 v7, v1, s15
	v_mul_lo_u32 v1, v1, s14
	v_lshrrev_b32_e32 v6, s40, v6
	v_add3_u32 v0, v3, v0, v1
	v_mul_hi_u32 v3, s42, v6
	v_add3_u32 v1, v5, v2, v7
	v_mul_lo_u32 v2, v6, s26
	v_add_u32_e32 v3, v6, v3
	v_sub_u32_e32 v2, v4, v2
	v_lshrrev_b32_e32 v4, s43, v3
	s_add_i32 s70, s70, 4
	v_mul_lo_u32 v3, v4, s41
	s_add_u32 s64, s64, 32
	v_sub_u32_e32 v3, v6, v3
	s_addc_u32 s65, s65, 0
	v_mul_lo_u32 v5, v2, s16
	v_mul_lo_u32 v2, v2, s17
	;; [unrolled: 1-line block ×4, first 2 shown]
	s_cmp_eq_u32 s66, s70
	v_add3_u32 v2, v2, v1, v3
	v_add3_u32 v0, v5, v0, v6
	s_cbranch_scc0 .LBB521_277
; %bb.278:
	v_mov_b32_e32 v1, v2
	s_branch .LBB521_285
.LBB521_279:
	s_or_b64 exec, exec, s[62:63]
	s_mov_b64 s[6:7], 0
	s_and_saveexec_b64 s[12:13], s[60:61]
	s_cbranch_execnz .LBB521_934
.LBB521_280:
	s_or_b64 exec, exec, s[12:13]
	s_and_saveexec_b64 s[12:13], s[66:67]
	s_xor_b64 s[12:13], exec, s[12:13]
	s_cbranch_execz .LBB521_935
.LBB521_281:
	global_load_ubyte v1, v[2:3], off
	s_or_b64 s[2:3], s[2:3], exec
	s_waitcnt vmcnt(0)
	v_cmp_ne_u16_e32 vcc, 0, v1
	s_nop 1
	v_cndmask_b32_e64 v1, 0, 1.0, vcc
	s_or_b64 exec, exec, s[12:13]
	s_and_saveexec_b64 s[12:13], s[14:15]
	s_cbranch_execz .LBB521_981
	s_branch .LBB521_936
.LBB521_282:
                                        ; implicit-def: $vgpr2
                                        ; implicit-def: $vgpr0
	s_andn2_b64 vcc, exec, s[2:3]
	s_cbranch_vccz .LBB521_289
	s_branch .LBB521_291
.LBB521_283:
	v_mov_b32_e32 v2, 0
	v_mov_b32_e32 v0, 0
	s_branch .LBB521_288
.LBB521_284:
	v_mov_b32_e32 v0, 0
	s_mov_b32 s66, 0
	s_waitcnt vmcnt(0)
	v_mov_b32_e32 v1, v0
                                        ; implicit-def: $vgpr2
	v_mov_b32_e32 v4, v9
.LBB521_285:
	s_and_b32 s14, s67, 3
	s_cmp_eq_u32 s14, 0
	s_cbranch_scc1 .LBB521_288
; %bb.286:
	s_lshl_b32 s2, s66, 3
	s_add_u32 s2, s34, s2
	s_addc_u32 s3, s35, 0
	s_add_u32 s2, s2, 0xc4
	s_addc_u32 s3, s3, 0
	s_mul_i32 s12, s66, 12
	s_add_u32 s12, s34, s12
	s_addc_u32 s13, s35, 0
.LBB521_287:                            ; =>This Inner Loop Header: Depth=1
	s_load_dwordx2 s[16:17], s[12:13], 0x4
	s_load_dword s15, s[12:13], 0xc
	s_load_dwordx2 s[18:19], s[2:3], 0x0
	v_mov_b32_e32 v2, v1
	s_add_u32 s12, s12, 12
	s_waitcnt lgkmcnt(0)
	v_mul_hi_u32 v1, s17, v4
	v_add_u32_e32 v1, v4, v1
	v_lshrrev_b32_e32 v1, s15, v1
	s_addc_u32 s13, s13, 0
	v_mul_lo_u32 v3, v1, s16
	s_add_u32 s2, s2, 8
	v_sub_u32_e32 v5, v4, v3
	s_addc_u32 s3, s3, 0
	s_add_i32 s14, s14, -1
	v_mov_b32_e32 v4, v1
	v_mad_u64_u32 v[2:3], s[16:17], v5, s19, v[2:3]
	v_mad_u64_u32 v[0:1], s[16:17], v5, s18, v[0:1]
	s_cmp_lg_u32 s14, 0
	v_mov_b32_e32 v1, v2
	s_cbranch_scc1 .LBB521_287
.LBB521_288:
	s_cbranch_execnz .LBB521_291
.LBB521_289:
	v_mul_hi_u32 v0, s29, v9
	v_add_u32_e32 v0, v9, v0
	s_waitcnt vmcnt(0)
	v_lshrrev_b32_e32 v1, s30, v0
	v_mul_lo_u32 v0, v1, s28
	v_sub_u32_e32 v0, v9, v0
	v_mul_lo_u32 v2, v0, s37
	s_andn2_b64 vcc, exec, s[52:53]
	v_mul_lo_u32 v0, v0, s36
	s_cbranch_vccnz .LBB521_291
; %bb.290:
	v_mul_hi_u32 v3, s50, v1
	v_add_u32_e32 v3, v1, v3
	v_lshrrev_b32_e32 v3, s51, v3
	v_mul_lo_u32 v3, v3, s31
	v_sub_u32_e32 v3, v1, v3
	v_mad_u64_u32 v[0:1], s[2:3], v3, s38, v[0:1]
	v_mad_u64_u32 v[2:3], s[2:3], v3, s39, v[2:3]
.LBB521_291:
	v_mov_b32_e32 v3, 0
	s_and_b32 s18, 0xffff, s11
	s_cmp_lt_i32 s18, 11
	v_lshl_add_u64 v[2:3], s[6:7], 0, v[2:3]
	s_cbranch_scc1 .LBB521_298
; %bb.292:
	s_cmp_gt_i32 s18, 25
	s_cbranch_scc0 .LBB521_311
; %bb.293:
	s_cmp_gt_i32 s18, 28
	s_cbranch_scc0 .LBB521_313
	;; [unrolled: 3-line block ×4, first 2 shown]
; %bb.296:
	s_cmp_eq_u32 s18, 46
	s_mov_b64 s[14:15], 0
	s_cbranch_scc0 .LBB521_323
; %bb.297:
	global_load_dword v1, v[2:3], off
	s_mov_b64 s[2:3], -1
	s_mov_b64 s[12:13], 0
	s_waitcnt vmcnt(0)
	v_lshlrev_b32_e32 v1, 16, v1
	s_branch .LBB521_324
.LBB521_298:
	s_mov_b64 s[2:3], 0
                                        ; implicit-def: $vgpr1
	s_mov_b64 s[12:13], s[60:61]
	s_cbranch_execnz .LBB521_501
.LBB521_299:
	s_andn2_b64 vcc, exec, s[2:3]
	s_cbranch_vccnz .LBB521_549
.LBB521_300:
	s_waitcnt vmcnt(0)
	v_cmp_o_f32_e32 vcc, v1, v1
	v_mov_b32_e32 v2, s8
	s_and_saveexec_b64 s[2:3], vcc
	s_cbranch_execz .LBB521_304
; %bb.301:
	s_mov_b32 s14, 0x7f800000
	v_cmp_neq_f32_e32 vcc, s14, v1
	v_mov_b32_e32 v2, s9
	s_and_saveexec_b64 s[14:15], vcc
; %bb.302:
	s_mov_b32 s16, 0xff800000
	v_mov_b32_e32 v2, s10
	v_cmp_eq_f32_e32 vcc, s16, v1
	s_nop 1
	v_cndmask_b32_e32 v2, v1, v2, vcc
; %bb.303:
	s_or_b64 exec, exec, s[14:15]
.LBB521_304:
	s_or_b64 exec, exec, s[2:3]
	v_mov_b32_e32 v1, 0
	s_and_b32 s20, s77, 0xff
	s_cmp_lt_i32 s20, 11
	v_lshl_add_u64 v[0:1], s[4:5], 0, v[0:1]
	s_cbranch_scc1 .LBB521_312
; %bb.305:
	s_and_b32 s21, 0xffff, s20
	s_cmp_gt_i32 s21, 25
	s_cbranch_scc0 .LBB521_314
; %bb.306:
	s_cmp_gt_i32 s21, 28
	s_cbranch_scc0 .LBB521_316
; %bb.307:
	;; [unrolled: 3-line block ×4, first 2 shown]
	s_mov_b64 s[16:17], 0
	s_mov_b64 s[2:3], -1
	s_cmp_eq_u32 s21, 46
	s_mov_b64 s[14:15], 0
	s_cbranch_scc0 .LBB521_328
; %bb.310:
	v_bfe_u32 v3, v2, 16, 1
	s_movk_i32 s2, 0x7fff
	v_add3_u32 v3, v2, v3, s2
	v_cmp_o_f32_e32 vcc, v2, v2
	v_mov_b32_e32 v4, 0x7fc0
	s_mov_b64 s[14:15], -1
	v_cndmask_b32_sdwa v3, v4, v3, vcc dst_sel:DWORD dst_unused:UNUSED_PAD src0_sel:DWORD src1_sel:WORD_1
	global_store_dword v[0:1], v3, off
	s_mov_b64 s[2:3], 0
	s_branch .LBB521_328
.LBB521_311:
	s_mov_b64 s[14:15], -1
	s_mov_b64 s[2:3], 0
	s_mov_b64 s[12:13], s[60:61]
                                        ; implicit-def: $vgpr1
	s_branch .LBB521_465
.LBB521_312:
	s_mov_b64 s[16:17], -1
	s_mov_b64 s[14:15], 0
	s_mov_b64 s[2:3], s[58:59]
	s_branch .LBB521_397
.LBB521_313:
	s_mov_b64 s[14:15], -1
	s_mov_b64 s[2:3], 0
	s_mov_b64 s[12:13], s[60:61]
                                        ; implicit-def: $vgpr1
	s_branch .LBB521_446
.LBB521_314:
	s_mov_b64 s[16:17], -1
	s_mov_b64 s[14:15], 0
	s_mov_b64 s[2:3], s[58:59]
	s_branch .LBB521_355
.LBB521_315:
	s_mov_b64 s[14:15], -1
	s_mov_b64 s[2:3], 0
	s_mov_b64 s[12:13], s[60:61]
                                        ; implicit-def: $vgpr1
	s_branch .LBB521_441
.LBB521_316:
	s_mov_b64 s[16:17], -1
	s_mov_b64 s[14:15], 0
	s_mov_b64 s[2:3], s[58:59]
	s_branch .LBB521_338
.LBB521_317:
	s_andn2_saveexec_b64 s[18:19], s[18:19]
	s_cbranch_execz .LBB521_73
.LBB521_318:
	s_mov_b32 s22, 0x46000000
	v_add_f32_e64 v3, |v2|, s22
	v_and_b32_e32 v3, 0xff, v3
	v_cmp_ne_u32_e32 vcc, 0, v3
	s_andn2_b64 s[16:17], s[16:17], exec
	s_and_b64 s[22:23], vcc, exec
	s_or_b64 s[16:17], s[16:17], s[22:23]
	s_or_b64 exec, exec, s[18:19]
	v_mov_b32_e32 v4, 0
	s_and_saveexec_b64 s[18:19], s[16:17]
	s_cbranch_execnz .LBB521_74
	s_branch .LBB521_75
.LBB521_319:
	s_mov_b64 s[14:15], -1
	s_mov_b64 s[2:3], 0
	s_mov_b64 s[12:13], s[60:61]
                                        ; implicit-def: $vgpr1
	s_branch .LBB521_324
.LBB521_320:
	s_mov_b64 s[16:17], -1
	s_mov_b64 s[14:15], 0
	s_mov_b64 s[2:3], s[58:59]
	s_branch .LBB521_334
.LBB521_321:
	s_andn2_saveexec_b64 s[18:19], s[18:19]
	s_cbranch_execz .LBB521_86
.LBB521_322:
	s_mov_b32 s22, 0x42800000
	v_add_f32_e64 v3, |v2|, s22
	v_and_b32_e32 v3, 0xff, v3
	v_cmp_ne_u32_e32 vcc, 0, v3
	s_andn2_b64 s[16:17], s[16:17], exec
	s_and_b64 s[22:23], vcc, exec
	s_or_b64 s[16:17], s[16:17], s[22:23]
	s_or_b64 exec, exec, s[18:19]
	v_mov_b32_e32 v4, 0
	s_and_saveexec_b64 s[18:19], s[16:17]
	s_cbranch_execnz .LBB521_87
	s_branch .LBB521_88
.LBB521_323:
	s_mov_b64 s[12:13], -1
                                        ; implicit-def: $vgpr1
	s_mov_b64 s[2:3], 0
.LBB521_324:
	s_and_b64 vcc, exec, s[14:15]
	s_cbranch_vccz .LBB521_440
; %bb.325:
	s_cmp_eq_u32 s18, 44
	s_cbranch_scc0 .LBB521_439
; %bb.326:
	global_load_ubyte v1, v[2:3], off
	s_movk_i32 s12, 0xff
	v_mov_b32_e32 v4, 0x7f800001
	v_mov_b32_e32 v5, 0x400000
	s_mov_b64 s[2:3], -1
	s_waitcnt vmcnt(0)
	v_lshlrev_b32_e32 v6, 23, v1
	v_cmp_ne_u32_e32 vcc, s12, v1
	s_mov_b64 s[12:13], 0
	s_nop 0
	v_cndmask_b32_e32 v4, v4, v6, vcc
	v_cmp_ne_u32_e32 vcc, 0, v1
	s_nop 1
	v_cndmask_b32_e32 v1, v5, v4, vcc
	s_branch .LBB521_440
.LBB521_327:
	s_mov_b64 s[16:17], -1
	s_mov_b64 s[14:15], 0
	s_mov_b64 s[2:3], s[58:59]
.LBB521_328:
	s_and_b64 vcc, exec, s[16:17]
	s_cbranch_vccz .LBB521_333
; %bb.329:
	s_cmp_eq_u32 s21, 44
	s_mov_b64 s[2:3], -1
	s_cbranch_scc0 .LBB521_333
; %bb.330:
	v_bfe_u32 v3, v2, 23, 8
	s_movk_i32 s2, 0xff
	v_cmp_ne_u32_e32 vcc, s2, v3
	v_mov_b32_e32 v4, 0xff
	s_and_saveexec_b64 s[14:15], vcc
; %bb.331:
	s_mov_b32 s2, 0x3fffff
	v_and_b32_e32 v5, 0x400000, v2
	v_and_or_b32 v3, v2, s2, v3
	v_cmp_ne_u32_e32 vcc, 0, v5
	v_cmp_ne_u32_e64 s[2:3], 0, v3
	s_and_b64 s[2:3], vcc, s[2:3]
	v_lshrrev_b32_e32 v4, 23, v2
	v_cndmask_b32_e64 v3, 0, 1, s[2:3]
	v_add_u32_e32 v4, v4, v3
; %bb.332:
	s_or_b64 exec, exec, s[14:15]
	s_mov_b64 s[14:15], -1
	s_mov_b64 s[2:3], 0
	global_store_byte v[0:1], v4, off
.LBB521_333:
	s_mov_b64 s[16:17], 0
.LBB521_334:
	s_and_b64 vcc, exec, s[16:17]
	s_cbranch_vccz .LBB521_337
; %bb.335:
	s_cmp_eq_u32 s21, 29
	s_mov_b64 s[2:3], -1
	s_cbranch_scc0 .LBB521_337
; %bb.336:
	v_trunc_f32_e32 v3, v2
	v_mul_f32_e32 v4, 0x2f800000, v3
	v_floor_f32_e32 v4, v4
	v_fmamk_f32 v3, v4, 0xcf800000, v3
	v_cvt_u32_f32_e32 v5, v4
	v_cvt_u32_f32_e32 v4, v3
	s_mov_b64 s[14:15], -1
	s_mov_b64 s[2:3], 0
	s_mov_b64 s[16:17], 0
	global_store_dwordx2 v[0:1], v[4:5], off
	s_branch .LBB521_338
.LBB521_337:
	s_mov_b64 s[16:17], 0
.LBB521_338:
	s_and_b64 vcc, exec, s[16:17]
	s_cbranch_vccz .LBB521_354
; %bb.339:
	s_cmp_lt_i32 s21, 27
	s_mov_b64 s[14:15], -1
	s_cbranch_scc1 .LBB521_345
; %bb.340:
	v_cvt_u32_f32_e32 v3, v2
	s_cmp_gt_i32 s21, 27
	s_cbranch_scc0 .LBB521_342
; %bb.341:
	s_mov_b64 s[14:15], 0
	global_store_dword v[0:1], v3, off
.LBB521_342:
	s_andn2_b64 vcc, exec, s[14:15]
	s_cbranch_vccnz .LBB521_344
; %bb.343:
	global_store_short v[0:1], v3, off
.LBB521_344:
	s_mov_b64 s[14:15], 0
.LBB521_345:
	s_andn2_b64 vcc, exec, s[14:15]
	s_cbranch_vccnz .LBB521_353
; %bb.346:
	v_and_b32_e32 v3, 0x7fffffff, v2
	s_mov_b32 s14, 0x43800000
	v_cmp_gt_u32_e32 vcc, s14, v3
	v_mov_b32_e32 v4, 0x80
	s_and_saveexec_b64 s[14:15], vcc
	s_cbranch_execz .LBB521_352
; %bb.347:
	s_mov_b32 s16, 0x3bffffff
	v_cmp_lt_u32_e32 vcc, s16, v3
	s_mov_b64 s[16:17], 0
                                        ; implicit-def: $vgpr3
	s_and_saveexec_b64 s[18:19], vcc
	s_xor_b64 s[18:19], exec, s[18:19]
	s_cbranch_execz .LBB521_581
; %bb.348:
	v_bfe_u32 v3, v2, 20, 1
	s_mov_b32 s22, 0x487ffff
	v_add3_u32 v3, v2, v3, s22
	s_mov_b64 s[16:17], exec
	v_lshrrev_b32_e32 v3, 20, v3
	s_andn2_saveexec_b64 s[18:19], s[18:19]
	s_cbranch_execnz .LBB521_582
.LBB521_349:
	s_or_b64 exec, exec, s[18:19]
	v_mov_b32_e32 v4, 0
	s_and_saveexec_b64 s[18:19], s[16:17]
.LBB521_350:
	v_lshrrev_b32_e32 v4, 24, v2
	s_movk_i32 s16, 0x80
	v_and_or_b32 v4, v4, s16, v3
.LBB521_351:
	s_or_b64 exec, exec, s[18:19]
.LBB521_352:
	s_or_b64 exec, exec, s[14:15]
	global_store_byte v[0:1], v4, off
.LBB521_353:
	s_mov_b64 s[14:15], -1
.LBB521_354:
	s_mov_b64 s[16:17], 0
.LBB521_355:
	s_and_b64 vcc, exec, s[16:17]
	s_cbranch_vccz .LBB521_396
; %bb.356:
	s_cmp_gt_i32 s21, 22
	s_mov_b64 s[16:17], -1
	s_cbranch_scc0 .LBB521_388
; %bb.357:
	s_cmp_lt_i32 s21, 24
	s_mov_b64 s[14:15], -1
	s_cbranch_scc1 .LBB521_377
; %bb.358:
	s_cmp_gt_i32 s21, 24
	s_cbranch_scc0 .LBB521_366
; %bb.359:
	v_and_b32_e32 v3, 0x7fffffff, v2
	s_mov_b32 s14, 0x47800000
	v_cmp_gt_u32_e32 vcc, s14, v3
	v_mov_b32_e32 v4, 0x80
	s_and_saveexec_b64 s[14:15], vcc
	s_cbranch_execz .LBB521_365
; %bb.360:
	s_mov_b32 s16, 0x37ffffff
	v_cmp_lt_u32_e32 vcc, s16, v3
	s_mov_b64 s[16:17], 0
                                        ; implicit-def: $vgpr3
	s_and_saveexec_b64 s[18:19], vcc
	s_xor_b64 s[18:19], exec, s[18:19]
	s_cbranch_execz .LBB521_584
; %bb.361:
	v_bfe_u32 v3, v2, 21, 1
	s_mov_b32 s22, 0x88fffff
	v_add3_u32 v3, v2, v3, s22
	s_mov_b64 s[16:17], exec
	v_lshrrev_b32_e32 v3, 21, v3
	s_andn2_saveexec_b64 s[18:19], s[18:19]
	s_cbranch_execnz .LBB521_585
.LBB521_362:
	s_or_b64 exec, exec, s[18:19]
	v_mov_b32_e32 v4, 0
	s_and_saveexec_b64 s[18:19], s[16:17]
.LBB521_363:
	v_lshrrev_b32_e32 v4, 24, v2
	s_movk_i32 s16, 0x80
	v_and_or_b32 v4, v4, s16, v3
.LBB521_364:
	s_or_b64 exec, exec, s[18:19]
.LBB521_365:
	s_or_b64 exec, exec, s[14:15]
	s_mov_b64 s[14:15], 0
	global_store_byte v[0:1], v4, off
.LBB521_366:
	s_and_b64 vcc, exec, s[14:15]
	s_cbranch_vccz .LBB521_376
; %bb.367:
	v_and_b32_e32 v4, 0x7fffffff, v2
	s_mov_b32 s14, 0x43f00000
	v_cmp_gt_u32_e32 vcc, s14, v4
                                        ; implicit-def: $vgpr3
	s_and_saveexec_b64 s[14:15], vcc
	s_xor_b64 s[14:15], exec, s[14:15]
	s_cbranch_execz .LBB521_373
; %bb.368:
	s_mov_b32 s16, 0x3c7fffff
	v_cmp_lt_u32_e32 vcc, s16, v4
                                        ; implicit-def: $vgpr3
	s_and_saveexec_b64 s[16:17], vcc
	s_xor_b64 s[16:17], exec, s[16:17]
; %bb.369:
	v_bfe_u32 v3, v2, 20, 1
	s_mov_b32 s18, 0x407ffff
	v_add3_u32 v3, v2, v3, s18
	v_lshrrev_b32_e32 v4, 20, v3
	v_and_b32_e32 v3, 0xff00000, v3
	s_mov_b32 s18, 0x7f00000
	v_mov_b32_e32 v5, 0x7e
	v_cmp_ne_u32_e32 vcc, s18, v3
	s_nop 1
	v_cndmask_b32_e32 v3, v5, v4, vcc
; %bb.370:
	s_andn2_saveexec_b64 s[16:17], s[16:17]
; %bb.371:
	s_mov_b32 s18, 0x46800000
	v_add_f32_e64 v3, |v2|, s18
; %bb.372:
	s_or_b64 exec, exec, s[16:17]
                                        ; implicit-def: $vgpr4
.LBB521_373:
	s_andn2_saveexec_b64 s[14:15], s[14:15]
; %bb.374:
	s_mov_b32 s16, 0x7f800000
	v_mov_b32_e32 v3, 0x7e
	v_mov_b32_e32 v5, 0x7f
	v_cmp_lt_u32_e32 vcc, s16, v4
	s_nop 1
	v_cndmask_b32_e32 v3, v3, v5, vcc
; %bb.375:
	s_or_b64 exec, exec, s[14:15]
	v_lshrrev_b32_e32 v4, 24, v2
	s_movk_i32 s14, 0x80
	v_and_or_b32 v3, v4, s14, v3
	global_store_byte v[0:1], v3, off
.LBB521_376:
	s_mov_b64 s[14:15], 0
.LBB521_377:
	s_andn2_b64 vcc, exec, s[14:15]
	s_cbranch_vccnz .LBB521_387
; %bb.378:
	v_and_b32_e32 v4, 0x7fffffff, v2
	s_mov_b32 s14, 0x47800000
	v_cmp_gt_u32_e32 vcc, s14, v4
                                        ; implicit-def: $vgpr3
	s_and_saveexec_b64 s[14:15], vcc
	s_xor_b64 s[14:15], exec, s[14:15]
	s_cbranch_execz .LBB521_384
; %bb.379:
	s_mov_b32 s16, 0x387fffff
	v_cmp_lt_u32_e32 vcc, s16, v4
                                        ; implicit-def: $vgpr3
	s_and_saveexec_b64 s[16:17], vcc
	s_xor_b64 s[16:17], exec, s[16:17]
; %bb.380:
	v_bfe_u32 v3, v2, 21, 1
	s_mov_b32 s18, 0x80fffff
	v_add3_u32 v3, v2, v3, s18
	v_lshrrev_b32_e32 v3, 21, v3
; %bb.381:
	s_andn2_saveexec_b64 s[16:17], s[16:17]
; %bb.382:
	s_mov_b32 s18, 0x43000000
	v_add_f32_e64 v3, |v2|, s18
; %bb.383:
	s_or_b64 exec, exec, s[16:17]
                                        ; implicit-def: $vgpr4
.LBB521_384:
	s_andn2_saveexec_b64 s[14:15], s[14:15]
; %bb.385:
	s_mov_b32 s16, 0x7f800000
	v_mov_b32_e32 v3, 0x7c
	v_mov_b32_e32 v5, 0x7f
	v_cmp_lt_u32_e32 vcc, s16, v4
	s_nop 1
	v_cndmask_b32_e32 v3, v3, v5, vcc
; %bb.386:
	s_or_b64 exec, exec, s[14:15]
	v_lshrrev_b32_e32 v4, 24, v2
	s_movk_i32 s14, 0x80
	v_and_or_b32 v3, v4, s14, v3
	global_store_byte v[0:1], v3, off
.LBB521_387:
	s_mov_b64 s[16:17], 0
	s_mov_b64 s[14:15], -1
.LBB521_388:
	s_andn2_b64 vcc, exec, s[16:17]
	s_cbranch_vccnz .LBB521_396
; %bb.389:
	s_cmp_gt_i32 s21, 14
	s_mov_b64 s[16:17], -1
	s_cbranch_scc0 .LBB521_393
; %bb.390:
	s_cmp_eq_u32 s21, 15
	s_mov_b64 s[2:3], -1
	s_cbranch_scc0 .LBB521_392
; %bb.391:
	v_bfe_u32 v3, v2, 16, 1
	s_movk_i32 s2, 0x7fff
	v_add3_u32 v3, v2, v3, s2
	v_cmp_o_f32_e32 vcc, v2, v2
	v_mov_b32_e32 v4, 0x7fc0
	s_mov_b64 s[14:15], -1
	v_cndmask_b32_sdwa v3, v4, v3, vcc dst_sel:DWORD dst_unused:UNUSED_PAD src0_sel:DWORD src1_sel:WORD_1
	global_store_short v[0:1], v3, off
	s_mov_b64 s[2:3], 0
.LBB521_392:
	s_mov_b64 s[16:17], 0
.LBB521_393:
	s_and_b64 vcc, exec, s[16:17]
	s_cbranch_vccz .LBB521_396
; %bb.394:
	s_cmp_eq_u32 s21, 11
	s_mov_b64 s[2:3], -1
	s_cbranch_scc0 .LBB521_396
; %bb.395:
	v_cmp_neq_f32_e32 vcc, 0, v2
	s_mov_b64 s[14:15], -1
	s_mov_b64 s[2:3], 0
	v_cndmask_b32_e64 v3, 0, 1, vcc
	global_store_byte v[0:1], v3, off
.LBB521_396:
	s_mov_b64 s[16:17], 0
.LBB521_397:
	s_and_b64 vcc, exec, s[16:17]
	s_cbranch_vccz .LBB521_436
; %bb.398:
	s_and_b32 s16, 0xffff, s20
	s_cmp_lt_i32 s16, 5
	s_mov_b64 s[14:15], -1
	s_cbranch_scc1 .LBB521_419
; %bb.399:
	s_cmp_lt_i32 s16, 8
	s_cbranch_scc1 .LBB521_409
; %bb.400:
	s_cmp_lt_i32 s16, 9
	s_cbranch_scc1 .LBB521_406
; %bb.401:
	s_cmp_gt_i32 s16, 9
	s_cbranch_scc0 .LBB521_403
; %bb.402:
	v_mov_b32_e32 v6, 0
	v_cvt_f64_f32_e32 v[4:5], v2
	v_mov_b32_e32 v7, v6
	s_mov_b64 s[14:15], 0
	global_store_dwordx4 v[0:1], v[4:7], off
.LBB521_403:
	s_andn2_b64 vcc, exec, s[14:15]
	s_cbranch_vccnz .LBB521_405
; %bb.404:
	v_mov_b32_e32 v3, 0
	global_store_dwordx2 v[0:1], v[2:3], off
.LBB521_405:
	s_mov_b64 s[14:15], 0
.LBB521_406:
	s_andn2_b64 vcc, exec, s[14:15]
	s_cbranch_vccnz .LBB521_408
; %bb.407:
	v_cvt_f16_f32_e32 v3, v2
	global_store_dword v[0:1], v3, off
.LBB521_408:
	s_mov_b64 s[14:15], 0
.LBB521_409:
	s_andn2_b64 vcc, exec, s[14:15]
	s_cbranch_vccnz .LBB521_418
; %bb.410:
	s_cmp_lt_i32 s16, 6
	s_mov_b64 s[14:15], -1
	s_cbranch_scc1 .LBB521_416
; %bb.411:
	s_cmp_gt_i32 s16, 6
	s_cbranch_scc0 .LBB521_413
; %bb.412:
	v_cvt_f64_f32_e32 v[4:5], v2
	s_mov_b64 s[14:15], 0
	global_store_dwordx2 v[0:1], v[4:5], off
.LBB521_413:
	s_andn2_b64 vcc, exec, s[14:15]
	s_cbranch_vccnz .LBB521_415
; %bb.414:
	global_store_dword v[0:1], v2, off
.LBB521_415:
	s_mov_b64 s[14:15], 0
.LBB521_416:
	s_andn2_b64 vcc, exec, s[14:15]
	s_cbranch_vccnz .LBB521_418
; %bb.417:
	v_cvt_f16_f32_e32 v3, v2
	global_store_short v[0:1], v3, off
.LBB521_418:
	s_mov_b64 s[14:15], 0
.LBB521_419:
	s_andn2_b64 vcc, exec, s[14:15]
	s_cbranch_vccnz .LBB521_435
; %bb.420:
	s_cmp_lt_i32 s16, 2
	s_mov_b64 s[14:15], -1
	s_cbranch_scc1 .LBB521_430
; %bb.421:
	s_cmp_lt_i32 s16, 3
	s_cbranch_scc1 .LBB521_427
; %bb.422:
	s_cmp_gt_i32 s16, 3
	s_cbranch_scc0 .LBB521_424
; %bb.423:
	v_trunc_f32_e32 v3, v2
	s_mov_b32 s14, 0x2f800000
	v_mul_f32_e64 v4, |v3|, s14
	v_floor_f32_e32 v4, v4
	s_mov_b32 s14, 0xcf800000
	v_cvt_u32_f32_e32 v5, v4
	v_fma_f32 v4, v4, s14, |v3|
	v_cvt_u32_f32_e32 v4, v4
	v_ashrrev_i32_e32 v3, 31, v3
	v_xor_b32_e32 v5, v5, v3
	s_mov_b64 s[14:15], 0
	v_xor_b32_e32 v4, v4, v3
	v_sub_co_u32_e32 v4, vcc, v4, v3
	s_nop 1
	v_subb_co_u32_e32 v5, vcc, v5, v3, vcc
	global_store_dwordx2 v[0:1], v[4:5], off
.LBB521_424:
	s_andn2_b64 vcc, exec, s[14:15]
	s_cbranch_vccnz .LBB521_426
; %bb.425:
	v_cvt_i32_f32_e32 v3, v2
	global_store_dword v[0:1], v3, off
.LBB521_426:
	s_mov_b64 s[14:15], 0
.LBB521_427:
	s_andn2_b64 vcc, exec, s[14:15]
	s_cbranch_vccnz .LBB521_429
; %bb.428:
	v_cvt_i32_f32_e32 v3, v2
	global_store_short v[0:1], v3, off
.LBB521_429:
	s_mov_b64 s[14:15], 0
.LBB521_430:
	s_andn2_b64 vcc, exec, s[14:15]
	s_cbranch_vccnz .LBB521_435
; %bb.431:
	s_cmp_gt_i32 s16, 0
	s_mov_b64 s[14:15], -1
	s_cbranch_scc0 .LBB521_433
; %bb.432:
	v_cvt_i32_f32_e32 v3, v2
	s_mov_b64 s[14:15], 0
	global_store_byte v[0:1], v3, off
.LBB521_433:
	s_andn2_b64 vcc, exec, s[14:15]
	s_cbranch_vccnz .LBB521_435
; %bb.434:
	v_trunc_f32_e32 v2, v2
	s_mov_b32 s14, 0x2f800000
	v_mul_f32_e64 v3, |v2|, s14
	v_floor_f32_e32 v3, v3
	s_mov_b32 s14, 0xcf800000
	v_fma_f32 v3, v3, s14, |v2|
	v_cvt_u32_f32_e32 v3, v3
	v_ashrrev_i32_e32 v2, 31, v2
	v_xor_b32_e32 v3, v3, v2
	v_sub_u32_e32 v2, v3, v2
	global_store_byte v[0:1], v2, off
.LBB521_435:
	s_mov_b64 s[14:15], -1
.LBB521_436:
	s_andn2_b64 vcc, exec, s[14:15]
	s_cbranch_vccnz .LBB521_438
; %bb.437:
	v_add_u32_e32 v9, 0x80, v9
	s_mov_b64 s[14:15], -1
	s_branch .LBB521_551
.LBB521_438:
	s_mov_b64 s[14:15], 0
	s_branch .LBB521_550
.LBB521_439:
	s_mov_b64 s[12:13], -1
                                        ; implicit-def: $vgpr1
.LBB521_440:
	s_mov_b64 s[14:15], 0
.LBB521_441:
	s_and_b64 vcc, exec, s[14:15]
	s_cbranch_vccz .LBB521_445
; %bb.442:
	s_cmp_eq_u32 s18, 29
	s_cbranch_scc0 .LBB521_444
; %bb.443:
	global_load_dwordx2 v[4:5], v[2:3], off
	s_mov_b64 s[2:3], -1
	s_mov_b64 s[12:13], 0
	s_mov_b64 s[14:15], 0
	s_waitcnt vmcnt(0)
	v_ffbh_u32_e32 v1, v5
	v_min_u32_e32 v1, 32, v1
	v_lshlrev_b64 v[4:5], v1, v[4:5]
	v_min_u32_e32 v4, 1, v4
	v_or_b32_e32 v4, v5, v4
	v_cvt_f32_u32_e32 v4, v4
	v_sub_u32_e32 v1, 32, v1
	v_ldexp_f32 v1, v4, v1
	s_branch .LBB521_446
.LBB521_444:
	s_mov_b64 s[12:13], -1
                                        ; implicit-def: $vgpr1
.LBB521_445:
	s_mov_b64 s[14:15], 0
.LBB521_446:
	s_and_b64 vcc, exec, s[14:15]
	s_cbranch_vccz .LBB521_464
; %bb.447:
	s_cmp_lt_i32 s18, 27
	s_cbranch_scc1 .LBB521_450
; %bb.448:
	s_cmp_gt_i32 s18, 27
	s_cbranch_scc0 .LBB521_451
; %bb.449:
	global_load_dword v1, v[2:3], off
	s_mov_b64 s[2:3], 0
	s_waitcnt vmcnt(0)
	v_cvt_f32_u32_e32 v1, v1
	s_branch .LBB521_452
.LBB521_450:
	s_mov_b64 s[2:3], -1
                                        ; implicit-def: $vgpr1
	s_branch .LBB521_455
.LBB521_451:
	s_mov_b64 s[2:3], -1
                                        ; implicit-def: $vgpr1
.LBB521_452:
	s_andn2_b64 vcc, exec, s[2:3]
	s_cbranch_vccnz .LBB521_454
; %bb.453:
	global_load_ushort v1, v[2:3], off
	s_waitcnt vmcnt(0)
	v_cvt_f32_u32_e32 v1, v1
.LBB521_454:
	s_mov_b64 s[2:3], 0
.LBB521_455:
	s_andn2_b64 vcc, exec, s[2:3]
	s_cbranch_vccnz .LBB521_463
; %bb.456:
	global_load_ubyte v4, v[2:3], off
	s_movk_i32 s2, 0x7f
	s_waitcnt vmcnt(0)
	v_cmp_lt_i16_e32 vcc, s2, v4
	s_mov_b64 s[2:3], 0
	s_and_saveexec_b64 s[14:15], vcc
	s_xor_b64 s[14:15], exec, s[14:15]
	s_cbranch_execz .LBB521_477
; %bb.457:
	s_movk_i32 s2, 0x80
	v_cmp_eq_u16_e32 vcc, s2, v4
	s_mov_b64 s[2:3], -1
	s_and_saveexec_b64 s[16:17], vcc
; %bb.458:
	s_xor_b64 s[2:3], exec, -1
; %bb.459:
	s_or_b64 exec, exec, s[16:17]
	s_and_b64 s[2:3], s[2:3], exec
	s_or_saveexec_b64 s[14:15], s[14:15]
	v_mov_b32_e32 v1, 0x7f800001
	s_xor_b64 exec, exec, s[14:15]
	s_cbranch_execnz .LBB521_478
.LBB521_460:
	s_or_b64 exec, exec, s[14:15]
	s_and_saveexec_b64 s[14:15], s[2:3]
	s_cbranch_execz .LBB521_462
.LBB521_461:
	v_lshlrev_b32_e32 v1, 24, v4
	v_and_b32_e32 v4, 0xffff, v4
	v_and_b32_e32 v5, 7, v4
	v_ffbh_u32_e32 v7, v5
	v_min_u32_e32 v7, 32, v7
	v_subrev_u32_e32 v8, 28, v7
	v_bfe_u32 v6, v4, 3, 4
	v_lshlrev_b32_e32 v4, v8, v4
	v_sub_u32_e32 v7, 29, v7
	v_and_b32_e32 v4, 7, v4
	v_cmp_eq_u32_e32 vcc, 0, v6
	v_and_b32_e32 v1, 0x80000000, v1
	s_nop 0
	v_cndmask_b32_e32 v6, v6, v7, vcc
	v_cndmask_b32_e32 v4, v5, v4, vcc
	v_mov_b32_e32 v5, 0x3b800000
	v_lshlrev_b32_e32 v4, 20, v4
	v_lshl_add_u32 v5, v6, 23, v5
	v_or3_b32 v1, v1, v5, v4
.LBB521_462:
	s_or_b64 exec, exec, s[14:15]
.LBB521_463:
	s_mov_b64 s[2:3], -1
.LBB521_464:
	s_mov_b64 s[14:15], 0
.LBB521_465:
	s_and_b64 vcc, exec, s[14:15]
	s_cbranch_vccz .LBB521_500
; %bb.466:
	s_cmp_gt_i32 s18, 22
	s_cbranch_scc0 .LBB521_476
; %bb.467:
	s_cmp_lt_i32 s18, 24
	s_cbranch_scc1 .LBB521_479
; %bb.468:
	s_cmp_gt_i32 s18, 24
	s_cbranch_scc0 .LBB521_480
; %bb.469:
	global_load_ubyte v4, v[2:3], off
	s_movk_i32 s2, 0x7f
	s_waitcnt vmcnt(0)
	v_cmp_lt_i16_e32 vcc, s2, v4
	s_mov_b64 s[2:3], 0
	s_and_saveexec_b64 s[14:15], vcc
	s_xor_b64 s[14:15], exec, s[14:15]
	s_cbranch_execz .LBB521_492
; %bb.470:
	s_movk_i32 s2, 0x80
	v_cmp_eq_u16_e32 vcc, s2, v4
	s_mov_b64 s[2:3], -1
	s_and_saveexec_b64 s[16:17], vcc
; %bb.471:
	s_xor_b64 s[2:3], exec, -1
; %bb.472:
	s_or_b64 exec, exec, s[16:17]
	s_and_b64 s[2:3], s[2:3], exec
	s_or_saveexec_b64 s[14:15], s[14:15]
	v_mov_b32_e32 v1, 0x7f800001
	s_xor_b64 exec, exec, s[14:15]
	s_cbranch_execnz .LBB521_493
.LBB521_473:
	s_or_b64 exec, exec, s[14:15]
	s_and_saveexec_b64 s[14:15], s[2:3]
	s_cbranch_execz .LBB521_475
.LBB521_474:
	v_lshlrev_b32_e32 v1, 24, v4
	v_and_b32_e32 v4, 0xffff, v4
	v_and_b32_e32 v5, 3, v4
	v_ffbh_u32_e32 v7, v5
	v_min_u32_e32 v7, 32, v7
	v_subrev_u32_e32 v8, 29, v7
	v_bfe_u32 v6, v4, 2, 5
	v_lshlrev_b32_e32 v4, v8, v4
	v_sub_u32_e32 v7, 30, v7
	v_and_b32_e32 v4, 3, v4
	v_cmp_eq_u32_e32 vcc, 0, v6
	v_and_b32_e32 v1, 0x80000000, v1
	s_nop 0
	v_cndmask_b32_e32 v6, v6, v7, vcc
	v_cndmask_b32_e32 v4, v5, v4, vcc
	v_mov_b32_e32 v5, 0x37800000
	v_lshlrev_b32_e32 v4, 21, v4
	v_lshl_add_u32 v5, v6, 23, v5
	v_or3_b32 v1, v1, v5, v4
.LBB521_475:
	s_or_b64 exec, exec, s[14:15]
	s_mov_b64 s[2:3], 0
	s_branch .LBB521_481
.LBB521_476:
	s_mov_b64 s[14:15], -1
                                        ; implicit-def: $vgpr1
	s_branch .LBB521_487
.LBB521_477:
	s_or_saveexec_b64 s[14:15], s[14:15]
	v_mov_b32_e32 v1, 0x7f800001
	s_xor_b64 exec, exec, s[14:15]
	s_cbranch_execz .LBB521_460
.LBB521_478:
	v_cmp_ne_u16_e32 vcc, 0, v4
	s_andn2_b64 s[2:3], s[2:3], exec
	s_and_b64 s[16:17], vcc, exec
	v_mov_b32_e32 v1, 0
	s_or_b64 s[2:3], s[2:3], s[16:17]
	s_or_b64 exec, exec, s[14:15]
	s_and_saveexec_b64 s[14:15], s[2:3]
	s_cbranch_execnz .LBB521_461
	s_branch .LBB521_462
.LBB521_479:
	s_mov_b64 s[2:3], -1
                                        ; implicit-def: $vgpr1
	s_branch .LBB521_484
.LBB521_480:
	s_mov_b64 s[2:3], -1
                                        ; implicit-def: $vgpr1
.LBB521_481:
	s_and_b64 vcc, exec, s[2:3]
	s_cbranch_vccz .LBB521_483
; %bb.482:
	global_load_ubyte v1, v[2:3], off
	s_mov_b32 s2, 0x7f800000
	s_waitcnt vmcnt(0)
	v_lshlrev_b32_e32 v1, 24, v1
	v_and_b32_e32 v4, 0x7f000000, v1
	v_ffbh_u32_e32 v5, v4
	v_min_u32_e32 v5, 32, v5
	v_sub_u32_e64 v5, v5, 4 clamp
	v_lshlrev_b32_e32 v7, v5, v4
	v_lshlrev_b32_e32 v5, 23, v5
	v_lshrrev_b32_e32 v7, 4, v7
	v_add_u32_e32 v6, 0x1000000, v4
	v_sub_u32_e32 v5, v7, v5
	v_ashrrev_i32_e32 v6, 8, v6
	v_add_u32_e32 v5, 0x3c000000, v5
	v_and_or_b32 v5, v6, s2, v5
	v_cmp_ne_u32_e32 vcc, 0, v4
	s_brev_b32 s2, 1
	s_nop 0
	v_cndmask_b32_e32 v4, 0, v5, vcc
	v_and_or_b32 v1, v1, s2, v4
.LBB521_483:
	s_mov_b64 s[2:3], 0
.LBB521_484:
	s_andn2_b64 vcc, exec, s[2:3]
	s_cbranch_vccnz .LBB521_486
; %bb.485:
	global_load_ubyte v1, v[2:3], off
	s_movk_i32 s2, 0x7f00
	s_brev_b32 s3, 16
	s_waitcnt vmcnt(0)
	v_lshlrev_b16_e32 v4, 8, v1
	v_lshlrev_b32_e32 v1, 25, v1
	v_lshrrev_b32_e32 v5, 4, v1
	v_and_or_b32 v6, v4, s2, 0.5
	v_or_b32_e32 v5, 0x70000000, v5
	v_add_f32_e32 v6, -0.5, v6
	v_mul_f32_e32 v5, 0x7800000, v5
	v_cmp_gt_u32_e32 vcc, s3, v1
	v_bfe_i32 v4, v4, 0, 16
	s_brev_b32 s2, 1
	v_cndmask_b32_e32 v1, v5, v6, vcc
	v_and_or_b32 v1, v4, s2, v1
.LBB521_486:
	s_mov_b64 s[14:15], 0
	s_mov_b64 s[2:3], -1
.LBB521_487:
	s_andn2_b64 vcc, exec, s[14:15]
	s_cbranch_vccnz .LBB521_500
; %bb.488:
	s_cmp_gt_i32 s18, 14
	s_cbranch_scc0 .LBB521_491
; %bb.489:
	s_cmp_eq_u32 s18, 15
	s_cbranch_scc0 .LBB521_494
; %bb.490:
	global_load_ushort v1, v[2:3], off
	s_mov_b64 s[2:3], -1
	s_mov_b64 s[12:13], 0
	s_waitcnt vmcnt(0)
	v_lshlrev_b32_e32 v1, 16, v1
	s_branch .LBB521_495
.LBB521_491:
	s_mov_b64 s[14:15], -1
                                        ; implicit-def: $vgpr1
	s_branch .LBB521_496
.LBB521_492:
	s_or_saveexec_b64 s[14:15], s[14:15]
	v_mov_b32_e32 v1, 0x7f800001
	s_xor_b64 exec, exec, s[14:15]
	s_cbranch_execz .LBB521_473
.LBB521_493:
	v_cmp_ne_u16_e32 vcc, 0, v4
	s_andn2_b64 s[2:3], s[2:3], exec
	s_and_b64 s[16:17], vcc, exec
	v_mov_b32_e32 v1, 0
	s_or_b64 s[2:3], s[2:3], s[16:17]
	s_or_b64 exec, exec, s[14:15]
	s_and_saveexec_b64 s[14:15], s[2:3]
	s_cbranch_execnz .LBB521_474
	s_branch .LBB521_475
.LBB521_494:
	s_mov_b64 s[12:13], -1
                                        ; implicit-def: $vgpr1
.LBB521_495:
	s_mov_b64 s[14:15], 0
.LBB521_496:
	s_and_b64 vcc, exec, s[14:15]
	s_cbranch_vccz .LBB521_500
; %bb.497:
	s_cmp_eq_u32 s18, 11
	s_cbranch_scc0 .LBB521_499
; %bb.498:
	global_load_ubyte v1, v[2:3], off
	s_mov_b64 s[2:3], -1
	s_mov_b64 s[12:13], 0
	s_waitcnt vmcnt(0)
	v_cmp_ne_u16_e32 vcc, 0, v1
	s_nop 1
	v_cndmask_b32_e64 v1, 0, 1.0, vcc
	s_branch .LBB521_500
.LBB521_499:
	s_mov_b64 s[12:13], -1
                                        ; implicit-def: $vgpr1
.LBB521_500:
	s_branch .LBB521_299
.LBB521_501:
	s_cmp_lt_i32 s18, 5
	s_cbranch_scc1 .LBB521_506
; %bb.502:
	s_cmp_lt_i32 s18, 8
	s_cbranch_scc1 .LBB521_507
; %bb.503:
	;; [unrolled: 3-line block ×3, first 2 shown]
	s_cmp_gt_i32 s18, 9
	s_cbranch_scc0 .LBB521_509
; %bb.505:
	global_load_dwordx2 v[4:5], v[2:3], off
	s_mov_b64 s[2:3], 0
	s_waitcnt vmcnt(0)
	v_cvt_f32_f64_e32 v1, v[4:5]
	s_branch .LBB521_510
.LBB521_506:
	s_mov_b64 s[2:3], -1
                                        ; implicit-def: $vgpr1
	s_branch .LBB521_528
.LBB521_507:
	s_mov_b64 s[2:3], -1
                                        ; implicit-def: $vgpr1
	s_branch .LBB521_516
.LBB521_508:
	s_mov_b64 s[2:3], -1
                                        ; implicit-def: $vgpr1
	s_branch .LBB521_513
.LBB521_509:
	s_mov_b64 s[2:3], -1
                                        ; implicit-def: $vgpr1
.LBB521_510:
	s_andn2_b64 vcc, exec, s[2:3]
	s_cbranch_vccnz .LBB521_512
; %bb.511:
	global_load_dword v1, v[2:3], off
.LBB521_512:
	s_mov_b64 s[2:3], 0
.LBB521_513:
	s_andn2_b64 vcc, exec, s[2:3]
	s_cbranch_vccnz .LBB521_515
; %bb.514:
	global_load_dword v1, v[2:3], off
	s_waitcnt vmcnt(0)
	v_cvt_f32_f16_e32 v1, v1
.LBB521_515:
	s_mov_b64 s[2:3], 0
.LBB521_516:
	s_andn2_b64 vcc, exec, s[2:3]
	s_cbranch_vccnz .LBB521_527
; %bb.517:
	s_cmp_lt_i32 s18, 6
	s_cbranch_scc1 .LBB521_520
; %bb.518:
	s_cmp_gt_i32 s18, 6
	s_cbranch_scc0 .LBB521_521
; %bb.519:
	global_load_dwordx2 v[4:5], v[2:3], off
	s_mov_b64 s[2:3], 0
	s_waitcnt vmcnt(0)
	v_cvt_f32_f64_e32 v1, v[4:5]
	s_branch .LBB521_522
.LBB521_520:
	s_mov_b64 s[2:3], -1
                                        ; implicit-def: $vgpr1
	s_branch .LBB521_525
.LBB521_521:
	s_mov_b64 s[2:3], -1
                                        ; implicit-def: $vgpr1
.LBB521_522:
	s_andn2_b64 vcc, exec, s[2:3]
	s_cbranch_vccnz .LBB521_524
; %bb.523:
	global_load_dword v1, v[2:3], off
.LBB521_524:
	s_mov_b64 s[2:3], 0
.LBB521_525:
	s_andn2_b64 vcc, exec, s[2:3]
	s_cbranch_vccnz .LBB521_527
; %bb.526:
	global_load_ushort v1, v[2:3], off
	s_waitcnt vmcnt(0)
	v_cvt_f32_f16_e32 v1, v1
.LBB521_527:
	s_mov_b64 s[2:3], 0
.LBB521_528:
	s_andn2_b64 vcc, exec, s[2:3]
	s_cbranch_vccnz .LBB521_548
; %bb.529:
	s_cmp_lt_i32 s18, 2
	s_cbranch_scc1 .LBB521_533
; %bb.530:
	s_cmp_lt_i32 s18, 3
	s_cbranch_scc1 .LBB521_534
; %bb.531:
	s_cmp_gt_i32 s18, 3
	s_cbranch_scc0 .LBB521_535
; %bb.532:
	global_load_dwordx2 v[4:5], v[2:3], off
	s_mov_b64 s[2:3], 0
	s_waitcnt vmcnt(0)
	v_xor_b32_e32 v6, v4, v5
	v_ffbh_i32_e32 v1, v5
	v_ashrrev_i32_e32 v6, 31, v6
	v_add_u32_e32 v1, -1, v1
	v_add_u32_e32 v6, 32, v6
	v_min_u32_e32 v1, v1, v6
	v_lshlrev_b64 v[4:5], v1, v[4:5]
	v_min_u32_e32 v4, 1, v4
	v_or_b32_e32 v4, v5, v4
	v_cvt_f32_i32_e32 v4, v4
	v_sub_u32_e32 v1, 32, v1
	v_ldexp_f32 v1, v4, v1
	s_branch .LBB521_536
.LBB521_533:
	s_mov_b64 s[2:3], -1
                                        ; implicit-def: $vgpr1
	s_branch .LBB521_542
.LBB521_534:
	s_mov_b64 s[2:3], -1
                                        ; implicit-def: $vgpr1
	s_branch .LBB521_539
.LBB521_535:
	s_mov_b64 s[2:3], -1
                                        ; implicit-def: $vgpr1
.LBB521_536:
	s_andn2_b64 vcc, exec, s[2:3]
	s_cbranch_vccnz .LBB521_538
; %bb.537:
	global_load_dword v1, v[2:3], off
	s_waitcnt vmcnt(0)
	v_cvt_f32_i32_e32 v1, v1
.LBB521_538:
	s_mov_b64 s[2:3], 0
.LBB521_539:
	s_andn2_b64 vcc, exec, s[2:3]
	s_cbranch_vccnz .LBB521_541
; %bb.540:
	global_load_sshort v1, v[2:3], off
	s_waitcnt vmcnt(0)
	v_cvt_f32_i32_e32 v1, v1
.LBB521_541:
	s_mov_b64 s[2:3], 0
.LBB521_542:
	s_andn2_b64 vcc, exec, s[2:3]
	s_cbranch_vccnz .LBB521_548
; %bb.543:
	s_cmp_gt_i32 s18, 0
	s_cbranch_scc0 .LBB521_545
; %bb.544:
	global_load_sbyte v1, v[2:3], off
	s_mov_b64 s[2:3], 0
	s_waitcnt vmcnt(0)
	v_cvt_f32_i32_e32 v1, v1
	s_branch .LBB521_546
.LBB521_545:
	s_mov_b64 s[2:3], -1
                                        ; implicit-def: $vgpr1
.LBB521_546:
	s_andn2_b64 vcc, exec, s[2:3]
	s_cbranch_vccnz .LBB521_548
; %bb.547:
	global_load_ubyte v1, v[2:3], off
	s_waitcnt vmcnt(0)
	v_cvt_f32_ubyte0_e32 v1, v1
.LBB521_548:
	s_branch .LBB521_300
.LBB521_549:
	s_mov_b64 s[14:15], 0
	s_mov_b64 s[2:3], s[58:59]
.LBB521_550:
                                        ; implicit-def: $vgpr9
.LBB521_551:
	s_andn2_b64 s[16:17], s[58:59], exec
	s_and_b64 s[2:3], s[2:3], exec
	s_or_b64 s[66:67], s[16:17], s[2:3]
	s_andn2_b64 s[2:3], s[60:61], exec
	s_and_b64 s[12:13], s[12:13], exec
	s_or_b64 s[64:65], s[2:3], s[12:13]
	s_orn2_b64 s[2:3], s[14:15], exec
.LBB521_552:
	s_or_b64 exec, exec, s[68:69]
	s_mov_b64 s[12:13], 0
	s_mov_b64 s[14:15], 0
	;; [unrolled: 1-line block ×3, first 2 shown]
                                        ; implicit-def: $vgpr2_vgpr3
                                        ; implicit-def: $vgpr0
                                        ; implicit-def: $vgpr1
	s_and_saveexec_b64 s[68:69], s[2:3]
	s_cbranch_execz .LBB521_933
; %bb.553:
	v_cmp_gt_i32_e32 vcc, s74, v9
	s_mov_b64 s[18:19], -1
	s_mov_b64 s[2:3], s[64:65]
	s_mov_b64 s[72:73], s[66:67]
	s_and_saveexec_b64 s[70:71], vcc
	s_cbranch_execz .LBB521_832
; %bb.554:
	s_andn2_b64 vcc, exec, s[46:47]
	s_cbranch_vccnz .LBB521_560
; %bb.555:
	s_andn2_b64 vcc, exec, s[56:57]
	s_cbranch_vccnz .LBB521_561
; %bb.556:
	s_add_i32 s79, s78, 1
	s_cmp_eq_u32 s76, 2
	s_cbranch_scc1 .LBB521_562
; %bb.557:
	s_and_b32 s75, s79, 28
	s_mov_b32 s80, 0
	v_mov_b32_e32 v0, 0
	v_mov_b32_e32 v2, 0
	s_mov_b64 s[2:3], s[34:35]
	s_mov_b64 s[72:73], s[54:55]
	v_mov_b32_e32 v4, v9
.LBB521_558:                            ; =>This Inner Loop Header: Depth=1
	s_load_dwordx8 s[20:27], s[2:3], 0x4
	s_load_dwordx4 s[40:43], s[2:3], 0x24
	s_load_dwordx8 s[12:19], s[72:73], 0x0
	s_add_u32 s2, s2, 48
	s_addc_u32 s3, s3, 0
	s_waitcnt vmcnt(0) lgkmcnt(0)
	v_mul_hi_u32 v1, s21, v4
	v_add_u32_e32 v1, v4, v1
	v_lshrrev_b32_e32 v1, s22, v1
	v_mul_lo_u32 v3, v1, s20
	v_mul_hi_u32 v5, s24, v1
	v_sub_u32_e32 v3, v4, v3
	v_add_u32_e32 v4, v1, v5
	v_lshrrev_b32_e32 v4, s25, v4
	v_mul_lo_u32 v6, v4, s23
	v_mul_hi_u32 v7, s27, v4
	v_sub_u32_e32 v1, v1, v6
	v_add_u32_e32 v6, v4, v7
	v_mul_lo_u32 v5, v3, s13
	v_mul_lo_u32 v3, v3, s12
	;; [unrolled: 1-line block ×4, first 2 shown]
	v_lshrrev_b32_e32 v6, s40, v6
	v_add3_u32 v0, v3, v0, v1
	v_mul_hi_u32 v3, s42, v6
	v_add3_u32 v1, v5, v2, v7
	v_mul_lo_u32 v2, v6, s26
	v_add_u32_e32 v3, v6, v3
	v_sub_u32_e32 v2, v4, v2
	v_lshrrev_b32_e32 v4, s43, v3
	s_add_i32 s80, s80, 4
	v_mul_lo_u32 v3, v4, s41
	s_add_u32 s72, s72, 32
	v_sub_u32_e32 v3, v6, v3
	s_addc_u32 s73, s73, 0
	v_mul_lo_u32 v5, v2, s16
	v_mul_lo_u32 v2, v2, s17
	;; [unrolled: 1-line block ×4, first 2 shown]
	s_cmp_eq_u32 s75, s80
	v_add3_u32 v2, v2, v1, v3
	v_add3_u32 v0, v5, v0, v6
	s_cbranch_scc0 .LBB521_558
; %bb.559:
	v_mov_b32_e32 v1, v2
	s_branch .LBB521_563
.LBB521_560:
	s_mov_b64 s[2:3], -1
                                        ; implicit-def: $vgpr2
                                        ; implicit-def: $vgpr0
	s_branch .LBB521_567
.LBB521_561:
	v_mov_b32_e32 v2, 0
	v_mov_b32_e32 v0, 0
	s_branch .LBB521_566
.LBB521_562:
	v_mov_b32_e32 v0, 0
	s_mov_b32 s75, 0
	s_waitcnt vmcnt(0)
	v_mov_b32_e32 v1, v0
                                        ; implicit-def: $vgpr2
	v_mov_b32_e32 v4, v9
.LBB521_563:
	s_and_b32 s14, s79, 3
	s_cmp_eq_u32 s14, 0
	s_cbranch_scc1 .LBB521_566
; %bb.564:
	s_lshl_b32 s2, s75, 3
	s_add_u32 s2, s34, s2
	s_addc_u32 s3, s35, 0
	s_add_u32 s2, s2, 0xc4
	s_addc_u32 s3, s3, 0
	s_mul_i32 s12, s75, 12
	s_add_u32 s12, s34, s12
	s_addc_u32 s13, s35, 0
.LBB521_565:                            ; =>This Inner Loop Header: Depth=1
	s_load_dwordx2 s[16:17], s[12:13], 0x4
	s_load_dword s15, s[12:13], 0xc
	s_load_dwordx2 s[18:19], s[2:3], 0x0
	v_mov_b32_e32 v2, v1
	s_add_u32 s12, s12, 12
	s_waitcnt lgkmcnt(0)
	v_mul_hi_u32 v1, s17, v4
	v_add_u32_e32 v1, v4, v1
	v_lshrrev_b32_e32 v1, s15, v1
	s_addc_u32 s13, s13, 0
	v_mul_lo_u32 v3, v1, s16
	s_add_u32 s2, s2, 8
	v_sub_u32_e32 v5, v4, v3
	s_addc_u32 s3, s3, 0
	s_add_i32 s14, s14, -1
	v_mov_b32_e32 v4, v1
	v_mad_u64_u32 v[2:3], s[16:17], v5, s19, v[2:3]
	v_mad_u64_u32 v[0:1], s[16:17], v5, s18, v[0:1]
	s_cmp_lg_u32 s14, 0
	v_mov_b32_e32 v1, v2
	s_cbranch_scc1 .LBB521_565
.LBB521_566:
	s_mov_b64 s[2:3], 0
.LBB521_567:
	s_andn2_b64 vcc, exec, s[2:3]
	s_cbranch_vccnz .LBB521_570
; %bb.568:
	v_mul_hi_u32 v0, s29, v9
	v_add_u32_e32 v0, v9, v0
	s_waitcnt vmcnt(0)
	v_lshrrev_b32_e32 v1, s30, v0
	v_mul_lo_u32 v0, v1, s28
	v_sub_u32_e32 v0, v9, v0
	v_mul_lo_u32 v2, v0, s37
	s_andn2_b64 vcc, exec, s[52:53]
	v_mul_lo_u32 v0, v0, s36
	s_cbranch_vccnz .LBB521_570
; %bb.569:
	v_mul_hi_u32 v3, s50, v1
	v_add_u32_e32 v3, v1, v3
	v_lshrrev_b32_e32 v3, s51, v3
	v_mul_lo_u32 v3, v3, s31
	v_sub_u32_e32 v3, v1, v3
	v_mad_u64_u32 v[0:1], s[2:3], v3, s38, v[0:1]
	v_mad_u64_u32 v[2:3], s[2:3], v3, s39, v[2:3]
.LBB521_570:
	v_mov_b32_e32 v3, 0
	s_and_b32 s18, 0xffff, s11
	s_cmp_lt_i32 s18, 11
	v_lshl_add_u64 v[2:3], s[6:7], 0, v[2:3]
	s_cbranch_scc1 .LBB521_577
; %bb.571:
	s_cmp_gt_i32 s18, 25
	s_cbranch_scc0 .LBB521_578
; %bb.572:
	s_cmp_gt_i32 s18, 28
	s_cbranch_scc0 .LBB521_579
	;; [unrolled: 3-line block ×4, first 2 shown]
; %bb.575:
	s_cmp_eq_u32 s18, 46
	s_mov_b64 s[14:15], 0
	s_cbranch_scc0 .LBB521_586
; %bb.576:
	global_load_dword v1, v[2:3], off
	s_mov_b64 s[2:3], -1
	s_mov_b64 s[12:13], 0
	s_waitcnt vmcnt(0)
	v_lshlrev_b32_e32 v1, 16, v1
	s_branch .LBB521_587
.LBB521_577:
	s_mov_b64 s[14:15], -1
	s_mov_b64 s[2:3], 0
                                        ; implicit-def: $vgpr1
	s_mov_b64 s[12:13], s[64:65]
	s_branch .LBB521_652
.LBB521_578:
	s_mov_b64 s[14:15], -1
	s_mov_b64 s[2:3], 0
	s_mov_b64 s[12:13], s[64:65]
                                        ; implicit-def: $vgpr1
	s_branch .LBB521_616
.LBB521_579:
	s_mov_b64 s[14:15], -1
	s_mov_b64 s[2:3], 0
	s_mov_b64 s[12:13], s[64:65]
                                        ; implicit-def: $vgpr1
	s_branch .LBB521_597
.LBB521_580:
	s_mov_b64 s[14:15], -1
	s_mov_b64 s[2:3], 0
	s_mov_b64 s[12:13], s[64:65]
                                        ; implicit-def: $vgpr1
	s_branch .LBB521_592
.LBB521_581:
	s_andn2_saveexec_b64 s[18:19], s[18:19]
	s_cbranch_execz .LBB521_349
.LBB521_582:
	s_mov_b32 s22, 0x46000000
	v_add_f32_e64 v3, |v2|, s22
	v_and_b32_e32 v3, 0xff, v3
	v_cmp_ne_u32_e32 vcc, 0, v3
	s_andn2_b64 s[16:17], s[16:17], exec
	s_and_b64 s[22:23], vcc, exec
	s_or_b64 s[16:17], s[16:17], s[22:23]
	s_or_b64 exec, exec, s[18:19]
	v_mov_b32_e32 v4, 0
	s_and_saveexec_b64 s[18:19], s[16:17]
	s_cbranch_execnz .LBB521_350
	s_branch .LBB521_351
.LBB521_583:
	s_mov_b64 s[14:15], -1
	s_mov_b64 s[2:3], 0
	s_mov_b64 s[12:13], s[64:65]
                                        ; implicit-def: $vgpr1
	s_branch .LBB521_587
.LBB521_584:
	s_andn2_saveexec_b64 s[18:19], s[18:19]
	s_cbranch_execz .LBB521_362
.LBB521_585:
	s_mov_b32 s22, 0x42800000
	v_add_f32_e64 v3, |v2|, s22
	v_and_b32_e32 v3, 0xff, v3
	v_cmp_ne_u32_e32 vcc, 0, v3
	s_andn2_b64 s[16:17], s[16:17], exec
	s_and_b64 s[22:23], vcc, exec
	s_or_b64 s[16:17], s[16:17], s[22:23]
	s_or_b64 exec, exec, s[18:19]
	v_mov_b32_e32 v4, 0
	s_and_saveexec_b64 s[18:19], s[16:17]
	s_cbranch_execnz .LBB521_363
	s_branch .LBB521_364
.LBB521_586:
	s_mov_b64 s[12:13], -1
                                        ; implicit-def: $vgpr1
	s_mov_b64 s[2:3], 0
.LBB521_587:
	s_and_b64 vcc, exec, s[14:15]
	s_cbranch_vccz .LBB521_591
; %bb.588:
	s_cmp_eq_u32 s18, 44
	s_cbranch_scc0 .LBB521_590
; %bb.589:
	global_load_ubyte v1, v[2:3], off
	s_movk_i32 s12, 0xff
	v_mov_b32_e32 v4, 0x7f800001
	v_mov_b32_e32 v5, 0x400000
	s_mov_b64 s[2:3], -1
	s_waitcnt vmcnt(0)
	v_lshlrev_b32_e32 v6, 23, v1
	v_cmp_ne_u32_e32 vcc, s12, v1
	s_mov_b64 s[12:13], 0
	s_nop 0
	v_cndmask_b32_e32 v4, v4, v6, vcc
	v_cmp_ne_u32_e32 vcc, 0, v1
	s_nop 1
	v_cndmask_b32_e32 v1, v5, v4, vcc
	s_branch .LBB521_591
.LBB521_590:
	s_mov_b64 s[12:13], -1
                                        ; implicit-def: $vgpr1
.LBB521_591:
	s_mov_b64 s[14:15], 0
.LBB521_592:
	s_and_b64 vcc, exec, s[14:15]
	s_cbranch_vccz .LBB521_596
; %bb.593:
	s_cmp_eq_u32 s18, 29
	s_cbranch_scc0 .LBB521_595
; %bb.594:
	global_load_dwordx2 v[4:5], v[2:3], off
	s_mov_b64 s[2:3], -1
	s_mov_b64 s[12:13], 0
	s_mov_b64 s[14:15], 0
	s_waitcnt vmcnt(0)
	v_ffbh_u32_e32 v1, v5
	v_min_u32_e32 v1, 32, v1
	v_lshlrev_b64 v[4:5], v1, v[4:5]
	v_min_u32_e32 v4, 1, v4
	v_or_b32_e32 v4, v5, v4
	v_cvt_f32_u32_e32 v4, v4
	v_sub_u32_e32 v1, 32, v1
	v_ldexp_f32 v1, v4, v1
	s_branch .LBB521_597
.LBB521_595:
	s_mov_b64 s[12:13], -1
                                        ; implicit-def: $vgpr1
.LBB521_596:
	s_mov_b64 s[14:15], 0
.LBB521_597:
	s_and_b64 vcc, exec, s[14:15]
	s_cbranch_vccz .LBB521_615
; %bb.598:
	s_cmp_lt_i32 s18, 27
	s_cbranch_scc1 .LBB521_601
; %bb.599:
	s_cmp_gt_i32 s18, 27
	s_cbranch_scc0 .LBB521_602
; %bb.600:
	global_load_dword v1, v[2:3], off
	s_mov_b64 s[2:3], 0
	s_waitcnt vmcnt(0)
	v_cvt_f32_u32_e32 v1, v1
	s_branch .LBB521_603
.LBB521_601:
	s_mov_b64 s[2:3], -1
                                        ; implicit-def: $vgpr1
	s_branch .LBB521_606
.LBB521_602:
	s_mov_b64 s[2:3], -1
                                        ; implicit-def: $vgpr1
.LBB521_603:
	s_andn2_b64 vcc, exec, s[2:3]
	s_cbranch_vccnz .LBB521_605
; %bb.604:
	global_load_ushort v1, v[2:3], off
	s_waitcnt vmcnt(0)
	v_cvt_f32_u32_e32 v1, v1
.LBB521_605:
	s_mov_b64 s[2:3], 0
.LBB521_606:
	s_andn2_b64 vcc, exec, s[2:3]
	s_cbranch_vccnz .LBB521_614
; %bb.607:
	global_load_ubyte v4, v[2:3], off
	s_movk_i32 s2, 0x7f
	s_waitcnt vmcnt(0)
	v_cmp_lt_i16_e32 vcc, s2, v4
	s_mov_b64 s[2:3], 0
	s_and_saveexec_b64 s[14:15], vcc
	s_xor_b64 s[14:15], exec, s[14:15]
	s_cbranch_execz .LBB521_628
; %bb.608:
	s_movk_i32 s2, 0x80
	v_cmp_eq_u16_e32 vcc, s2, v4
	s_mov_b64 s[2:3], -1
	s_and_saveexec_b64 s[16:17], vcc
; %bb.609:
	s_xor_b64 s[2:3], exec, -1
; %bb.610:
	s_or_b64 exec, exec, s[16:17]
	s_and_b64 s[2:3], s[2:3], exec
	s_or_saveexec_b64 s[14:15], s[14:15]
	v_mov_b32_e32 v1, 0x7f800001
	s_xor_b64 exec, exec, s[14:15]
	s_cbranch_execnz .LBB521_629
.LBB521_611:
	s_or_b64 exec, exec, s[14:15]
	s_and_saveexec_b64 s[14:15], s[2:3]
	s_cbranch_execz .LBB521_613
.LBB521_612:
	v_lshlrev_b32_e32 v1, 24, v4
	v_and_b32_e32 v4, 0xffff, v4
	v_and_b32_e32 v5, 7, v4
	v_ffbh_u32_e32 v7, v5
	v_min_u32_e32 v7, 32, v7
	v_subrev_u32_e32 v8, 28, v7
	v_bfe_u32 v6, v4, 3, 4
	v_lshlrev_b32_e32 v4, v8, v4
	v_sub_u32_e32 v7, 29, v7
	v_and_b32_e32 v4, 7, v4
	v_cmp_eq_u32_e32 vcc, 0, v6
	v_and_b32_e32 v1, 0x80000000, v1
	s_nop 0
	v_cndmask_b32_e32 v6, v6, v7, vcc
	v_cndmask_b32_e32 v4, v5, v4, vcc
	v_mov_b32_e32 v5, 0x3b800000
	v_lshlrev_b32_e32 v4, 20, v4
	v_lshl_add_u32 v5, v6, 23, v5
	v_or3_b32 v1, v1, v5, v4
.LBB521_613:
	s_or_b64 exec, exec, s[14:15]
.LBB521_614:
	s_mov_b64 s[2:3], -1
.LBB521_615:
	s_mov_b64 s[14:15], 0
.LBB521_616:
	s_and_b64 vcc, exec, s[14:15]
	s_cbranch_vccz .LBB521_651
; %bb.617:
	s_cmp_gt_i32 s18, 22
	s_cbranch_scc0 .LBB521_627
; %bb.618:
	s_cmp_lt_i32 s18, 24
	s_cbranch_scc1 .LBB521_630
; %bb.619:
	s_cmp_gt_i32 s18, 24
	s_cbranch_scc0 .LBB521_631
; %bb.620:
	global_load_ubyte v4, v[2:3], off
	s_movk_i32 s2, 0x7f
	s_waitcnt vmcnt(0)
	v_cmp_lt_i16_e32 vcc, s2, v4
	s_mov_b64 s[2:3], 0
	s_and_saveexec_b64 s[14:15], vcc
	s_xor_b64 s[14:15], exec, s[14:15]
	s_cbranch_execz .LBB521_643
; %bb.621:
	s_movk_i32 s2, 0x80
	v_cmp_eq_u16_e32 vcc, s2, v4
	s_mov_b64 s[2:3], -1
	s_and_saveexec_b64 s[16:17], vcc
; %bb.622:
	s_xor_b64 s[2:3], exec, -1
; %bb.623:
	s_or_b64 exec, exec, s[16:17]
	s_and_b64 s[2:3], s[2:3], exec
	s_or_saveexec_b64 s[14:15], s[14:15]
	v_mov_b32_e32 v1, 0x7f800001
	s_xor_b64 exec, exec, s[14:15]
	s_cbranch_execnz .LBB521_644
.LBB521_624:
	s_or_b64 exec, exec, s[14:15]
	s_and_saveexec_b64 s[14:15], s[2:3]
	s_cbranch_execz .LBB521_626
.LBB521_625:
	v_lshlrev_b32_e32 v1, 24, v4
	v_and_b32_e32 v4, 0xffff, v4
	v_and_b32_e32 v5, 3, v4
	v_ffbh_u32_e32 v7, v5
	v_min_u32_e32 v7, 32, v7
	v_subrev_u32_e32 v8, 29, v7
	v_bfe_u32 v6, v4, 2, 5
	v_lshlrev_b32_e32 v4, v8, v4
	v_sub_u32_e32 v7, 30, v7
	v_and_b32_e32 v4, 3, v4
	v_cmp_eq_u32_e32 vcc, 0, v6
	v_and_b32_e32 v1, 0x80000000, v1
	s_nop 0
	v_cndmask_b32_e32 v6, v6, v7, vcc
	v_cndmask_b32_e32 v4, v5, v4, vcc
	v_mov_b32_e32 v5, 0x37800000
	v_lshlrev_b32_e32 v4, 21, v4
	v_lshl_add_u32 v5, v6, 23, v5
	v_or3_b32 v1, v1, v5, v4
.LBB521_626:
	s_or_b64 exec, exec, s[14:15]
	s_mov_b64 s[2:3], 0
	s_branch .LBB521_632
.LBB521_627:
	s_mov_b64 s[14:15], -1
                                        ; implicit-def: $vgpr1
	s_branch .LBB521_638
.LBB521_628:
	s_or_saveexec_b64 s[14:15], s[14:15]
	v_mov_b32_e32 v1, 0x7f800001
	s_xor_b64 exec, exec, s[14:15]
	s_cbranch_execz .LBB521_611
.LBB521_629:
	v_cmp_ne_u16_e32 vcc, 0, v4
	s_andn2_b64 s[2:3], s[2:3], exec
	s_and_b64 s[16:17], vcc, exec
	v_mov_b32_e32 v1, 0
	s_or_b64 s[2:3], s[2:3], s[16:17]
	s_or_b64 exec, exec, s[14:15]
	s_and_saveexec_b64 s[14:15], s[2:3]
	s_cbranch_execnz .LBB521_612
	s_branch .LBB521_613
.LBB521_630:
	s_mov_b64 s[2:3], -1
                                        ; implicit-def: $vgpr1
	s_branch .LBB521_635
.LBB521_631:
	s_mov_b64 s[2:3], -1
                                        ; implicit-def: $vgpr1
.LBB521_632:
	s_and_b64 vcc, exec, s[2:3]
	s_cbranch_vccz .LBB521_634
; %bb.633:
	global_load_ubyte v1, v[2:3], off
	s_mov_b32 s2, 0x7f800000
	s_waitcnt vmcnt(0)
	v_lshlrev_b32_e32 v1, 24, v1
	v_and_b32_e32 v4, 0x7f000000, v1
	v_ffbh_u32_e32 v5, v4
	v_min_u32_e32 v5, 32, v5
	v_sub_u32_e64 v5, v5, 4 clamp
	v_lshlrev_b32_e32 v7, v5, v4
	v_lshlrev_b32_e32 v5, 23, v5
	v_lshrrev_b32_e32 v7, 4, v7
	v_add_u32_e32 v6, 0x1000000, v4
	v_sub_u32_e32 v5, v7, v5
	v_ashrrev_i32_e32 v6, 8, v6
	v_add_u32_e32 v5, 0x3c000000, v5
	v_and_or_b32 v5, v6, s2, v5
	v_cmp_ne_u32_e32 vcc, 0, v4
	s_brev_b32 s2, 1
	s_nop 0
	v_cndmask_b32_e32 v4, 0, v5, vcc
	v_and_or_b32 v1, v1, s2, v4
.LBB521_634:
	s_mov_b64 s[2:3], 0
.LBB521_635:
	s_andn2_b64 vcc, exec, s[2:3]
	s_cbranch_vccnz .LBB521_637
; %bb.636:
	global_load_ubyte v1, v[2:3], off
	s_movk_i32 s2, 0x7f00
	s_brev_b32 s3, 16
	s_waitcnt vmcnt(0)
	v_lshlrev_b16_e32 v4, 8, v1
	v_lshlrev_b32_e32 v1, 25, v1
	v_lshrrev_b32_e32 v5, 4, v1
	v_and_or_b32 v6, v4, s2, 0.5
	v_or_b32_e32 v5, 0x70000000, v5
	v_add_f32_e32 v6, -0.5, v6
	v_mul_f32_e32 v5, 0x7800000, v5
	v_cmp_gt_u32_e32 vcc, s3, v1
	v_bfe_i32 v4, v4, 0, 16
	s_brev_b32 s2, 1
	v_cndmask_b32_e32 v1, v5, v6, vcc
	v_and_or_b32 v1, v4, s2, v1
.LBB521_637:
	s_mov_b64 s[14:15], 0
	s_mov_b64 s[2:3], -1
.LBB521_638:
	s_andn2_b64 vcc, exec, s[14:15]
	s_cbranch_vccnz .LBB521_651
; %bb.639:
	s_cmp_gt_i32 s18, 14
	s_cbranch_scc0 .LBB521_642
; %bb.640:
	s_cmp_eq_u32 s18, 15
	s_cbranch_scc0 .LBB521_645
; %bb.641:
	global_load_ushort v1, v[2:3], off
	s_mov_b64 s[2:3], -1
	s_mov_b64 s[12:13], 0
	s_waitcnt vmcnt(0)
	v_lshlrev_b32_e32 v1, 16, v1
	s_branch .LBB521_646
.LBB521_642:
	s_mov_b64 s[14:15], -1
                                        ; implicit-def: $vgpr1
	s_branch .LBB521_647
.LBB521_643:
	s_or_saveexec_b64 s[14:15], s[14:15]
	v_mov_b32_e32 v1, 0x7f800001
	s_xor_b64 exec, exec, s[14:15]
	s_cbranch_execz .LBB521_624
.LBB521_644:
	v_cmp_ne_u16_e32 vcc, 0, v4
	s_andn2_b64 s[2:3], s[2:3], exec
	s_and_b64 s[16:17], vcc, exec
	v_mov_b32_e32 v1, 0
	s_or_b64 s[2:3], s[2:3], s[16:17]
	s_or_b64 exec, exec, s[14:15]
	s_and_saveexec_b64 s[14:15], s[2:3]
	s_cbranch_execnz .LBB521_625
	s_branch .LBB521_626
.LBB521_645:
	s_mov_b64 s[12:13], -1
                                        ; implicit-def: $vgpr1
.LBB521_646:
	s_mov_b64 s[14:15], 0
.LBB521_647:
	s_and_b64 vcc, exec, s[14:15]
	s_cbranch_vccz .LBB521_651
; %bb.648:
	s_cmp_eq_u32 s18, 11
	s_cbranch_scc0 .LBB521_650
; %bb.649:
	global_load_ubyte v1, v[2:3], off
	s_mov_b64 s[2:3], -1
	s_mov_b64 s[12:13], 0
	s_waitcnt vmcnt(0)
	v_cmp_ne_u16_e32 vcc, 0, v1
	s_nop 1
	v_cndmask_b32_e64 v1, 0, 1.0, vcc
	s_branch .LBB521_651
.LBB521_650:
	s_mov_b64 s[12:13], -1
                                        ; implicit-def: $vgpr1
.LBB521_651:
	s_mov_b64 s[14:15], 0
.LBB521_652:
	s_and_b64 vcc, exec, s[14:15]
	s_cbranch_vccz .LBB521_701
; %bb.653:
	s_cmp_lt_i32 s18, 5
	s_cbranch_scc1 .LBB521_658
; %bb.654:
	s_cmp_lt_i32 s18, 8
	s_cbranch_scc1 .LBB521_659
	;; [unrolled: 3-line block ×3, first 2 shown]
; %bb.656:
	s_cmp_gt_i32 s18, 9
	s_cbranch_scc0 .LBB521_661
; %bb.657:
	global_load_dwordx2 v[4:5], v[2:3], off
	s_mov_b64 s[2:3], 0
	s_waitcnt vmcnt(0)
	v_cvt_f32_f64_e32 v1, v[4:5]
	s_branch .LBB521_662
.LBB521_658:
	s_mov_b64 s[2:3], -1
                                        ; implicit-def: $vgpr1
	s_branch .LBB521_680
.LBB521_659:
	s_mov_b64 s[2:3], -1
                                        ; implicit-def: $vgpr1
	s_branch .LBB521_668
.LBB521_660:
	s_mov_b64 s[2:3], -1
                                        ; implicit-def: $vgpr1
	s_branch .LBB521_665
.LBB521_661:
	s_mov_b64 s[2:3], -1
                                        ; implicit-def: $vgpr1
.LBB521_662:
	s_andn2_b64 vcc, exec, s[2:3]
	s_cbranch_vccnz .LBB521_664
; %bb.663:
	global_load_dword v1, v[2:3], off
.LBB521_664:
	s_mov_b64 s[2:3], 0
.LBB521_665:
	s_andn2_b64 vcc, exec, s[2:3]
	s_cbranch_vccnz .LBB521_667
; %bb.666:
	global_load_dword v1, v[2:3], off
	s_waitcnt vmcnt(0)
	v_cvt_f32_f16_e32 v1, v1
.LBB521_667:
	s_mov_b64 s[2:3], 0
.LBB521_668:
	s_andn2_b64 vcc, exec, s[2:3]
	s_cbranch_vccnz .LBB521_679
; %bb.669:
	s_cmp_lt_i32 s18, 6
	s_cbranch_scc1 .LBB521_672
; %bb.670:
	s_cmp_gt_i32 s18, 6
	s_cbranch_scc0 .LBB521_673
; %bb.671:
	global_load_dwordx2 v[4:5], v[2:3], off
	s_mov_b64 s[2:3], 0
	s_waitcnt vmcnt(0)
	v_cvt_f32_f64_e32 v1, v[4:5]
	s_branch .LBB521_674
.LBB521_672:
	s_mov_b64 s[2:3], -1
                                        ; implicit-def: $vgpr1
	s_branch .LBB521_677
.LBB521_673:
	s_mov_b64 s[2:3], -1
                                        ; implicit-def: $vgpr1
.LBB521_674:
	s_andn2_b64 vcc, exec, s[2:3]
	s_cbranch_vccnz .LBB521_676
; %bb.675:
	global_load_dword v1, v[2:3], off
.LBB521_676:
	s_mov_b64 s[2:3], 0
.LBB521_677:
	s_andn2_b64 vcc, exec, s[2:3]
	s_cbranch_vccnz .LBB521_679
; %bb.678:
	global_load_ushort v1, v[2:3], off
	s_waitcnt vmcnt(0)
	v_cvt_f32_f16_e32 v1, v1
.LBB521_679:
	s_mov_b64 s[2:3], 0
.LBB521_680:
	s_andn2_b64 vcc, exec, s[2:3]
	s_cbranch_vccnz .LBB521_700
; %bb.681:
	s_cmp_lt_i32 s18, 2
	s_cbranch_scc1 .LBB521_685
; %bb.682:
	s_cmp_lt_i32 s18, 3
	s_cbranch_scc1 .LBB521_686
; %bb.683:
	s_cmp_gt_i32 s18, 3
	s_cbranch_scc0 .LBB521_687
; %bb.684:
	global_load_dwordx2 v[4:5], v[2:3], off
	s_mov_b64 s[2:3], 0
	s_waitcnt vmcnt(0)
	v_xor_b32_e32 v6, v4, v5
	v_ffbh_i32_e32 v1, v5
	v_ashrrev_i32_e32 v6, 31, v6
	v_add_u32_e32 v1, -1, v1
	v_add_u32_e32 v6, 32, v6
	v_min_u32_e32 v1, v1, v6
	v_lshlrev_b64 v[4:5], v1, v[4:5]
	v_min_u32_e32 v4, 1, v4
	v_or_b32_e32 v4, v5, v4
	v_cvt_f32_i32_e32 v4, v4
	v_sub_u32_e32 v1, 32, v1
	v_ldexp_f32 v1, v4, v1
	s_branch .LBB521_688
.LBB521_685:
	s_mov_b64 s[2:3], -1
                                        ; implicit-def: $vgpr1
	s_branch .LBB521_694
.LBB521_686:
	s_mov_b64 s[2:3], -1
                                        ; implicit-def: $vgpr1
	s_branch .LBB521_691
.LBB521_687:
	s_mov_b64 s[2:3], -1
                                        ; implicit-def: $vgpr1
.LBB521_688:
	s_andn2_b64 vcc, exec, s[2:3]
	s_cbranch_vccnz .LBB521_690
; %bb.689:
	global_load_dword v1, v[2:3], off
	s_waitcnt vmcnt(0)
	v_cvt_f32_i32_e32 v1, v1
.LBB521_690:
	s_mov_b64 s[2:3], 0
.LBB521_691:
	s_andn2_b64 vcc, exec, s[2:3]
	s_cbranch_vccnz .LBB521_693
; %bb.692:
	global_load_sshort v1, v[2:3], off
	s_waitcnt vmcnt(0)
	v_cvt_f32_i32_e32 v1, v1
.LBB521_693:
	s_mov_b64 s[2:3], 0
.LBB521_694:
	s_andn2_b64 vcc, exec, s[2:3]
	s_cbranch_vccnz .LBB521_700
; %bb.695:
	s_cmp_gt_i32 s18, 0
	s_cbranch_scc0 .LBB521_697
; %bb.696:
	global_load_sbyte v1, v[2:3], off
	s_mov_b64 s[2:3], 0
	s_waitcnt vmcnt(0)
	v_cvt_f32_i32_e32 v1, v1
	s_branch .LBB521_698
.LBB521_697:
	s_mov_b64 s[2:3], -1
                                        ; implicit-def: $vgpr1
.LBB521_698:
	s_andn2_b64 vcc, exec, s[2:3]
	s_cbranch_vccnz .LBB521_700
; %bb.699:
	global_load_ubyte v1, v[2:3], off
	s_waitcnt vmcnt(0)
	v_cvt_f32_ubyte0_e32 v1, v1
.LBB521_700:
	s_mov_b64 s[2:3], -1
.LBB521_701:
	s_andn2_b64 vcc, exec, s[2:3]
	s_cbranch_vccnz .LBB521_713
; %bb.702:
	s_waitcnt vmcnt(0)
	v_cmp_o_f32_e32 vcc, v1, v1
	v_mov_b32_e32 v2, s8
	s_and_saveexec_b64 s[2:3], vcc
	s_cbranch_execz .LBB521_706
; %bb.703:
	s_mov_b32 s14, 0x7f800000
	v_cmp_neq_f32_e32 vcc, s14, v1
	v_mov_b32_e32 v2, s9
	s_and_saveexec_b64 s[14:15], vcc
; %bb.704:
	s_mov_b32 s16, 0xff800000
	v_mov_b32_e32 v2, s10
	v_cmp_eq_f32_e32 vcc, s16, v1
	s_nop 1
	v_cndmask_b32_e32 v2, v1, v2, vcc
; %bb.705:
	s_or_b64 exec, exec, s[14:15]
.LBB521_706:
	s_or_b64 exec, exec, s[2:3]
	v_mov_b32_e32 v1, 0
	s_and_b32 s20, s77, 0xff
	s_cmp_lt_i32 s20, 11
	v_lshl_add_u64 v[0:1], s[4:5], 0, v[0:1]
	s_cbranch_scc1 .LBB521_714
; %bb.707:
	s_and_b32 s21, 0xffff, s20
	s_cmp_gt_i32 s21, 25
	s_cbranch_scc0 .LBB521_715
; %bb.708:
	s_cmp_gt_i32 s21, 28
	s_cbranch_scc0 .LBB521_716
; %bb.709:
	;; [unrolled: 3-line block ×4, first 2 shown]
	s_mov_b64 s[16:17], 0
	s_mov_b64 s[2:3], -1
	s_cmp_eq_u32 s21, 46
	s_mov_b64 s[14:15], 0
	s_cbranch_scc0 .LBB521_719
; %bb.712:
	v_bfe_u32 v3, v2, 16, 1
	s_movk_i32 s2, 0x7fff
	v_add3_u32 v3, v2, v3, s2
	v_cmp_o_f32_e32 vcc, v2, v2
	v_mov_b32_e32 v4, 0x7fc0
	s_mov_b64 s[14:15], -1
	v_cndmask_b32_sdwa v3, v4, v3, vcc dst_sel:DWORD dst_unused:UNUSED_PAD src0_sel:DWORD src1_sel:WORD_1
	global_store_dword v[0:1], v3, off
	s_mov_b64 s[2:3], 0
	s_branch .LBB521_719
.LBB521_713:
	s_mov_b64 s[14:15], 0
	s_mov_b64 s[2:3], s[66:67]
	s_branch .LBB521_830
.LBB521_714:
	s_mov_b64 s[16:17], -1
	s_mov_b64 s[14:15], 0
	s_mov_b64 s[2:3], s[66:67]
	s_branch .LBB521_788
.LBB521_715:
	s_mov_b64 s[16:17], -1
	s_mov_b64 s[14:15], 0
	s_mov_b64 s[2:3], s[66:67]
	s_branch .LBB521_746
.LBB521_716:
	s_mov_b64 s[16:17], -1
	s_mov_b64 s[14:15], 0
	s_mov_b64 s[2:3], s[66:67]
	s_branch .LBB521_729
.LBB521_717:
	s_mov_b64 s[16:17], -1
	s_mov_b64 s[14:15], 0
	s_mov_b64 s[2:3], s[66:67]
	s_branch .LBB521_725
.LBB521_718:
	s_mov_b64 s[16:17], -1
	s_mov_b64 s[14:15], 0
	s_mov_b64 s[2:3], s[66:67]
.LBB521_719:
	s_and_b64 vcc, exec, s[16:17]
	s_cbranch_vccz .LBB521_724
; %bb.720:
	s_cmp_eq_u32 s21, 44
	s_mov_b64 s[2:3], -1
	s_cbranch_scc0 .LBB521_724
; %bb.721:
	v_bfe_u32 v3, v2, 23, 8
	s_movk_i32 s2, 0xff
	v_cmp_ne_u32_e32 vcc, s2, v3
	v_mov_b32_e32 v4, 0xff
	s_and_saveexec_b64 s[14:15], vcc
; %bb.722:
	s_mov_b32 s2, 0x3fffff
	v_and_b32_e32 v5, 0x400000, v2
	v_and_or_b32 v3, v2, s2, v3
	v_cmp_ne_u32_e32 vcc, 0, v5
	v_cmp_ne_u32_e64 s[2:3], 0, v3
	s_and_b64 s[2:3], vcc, s[2:3]
	v_lshrrev_b32_e32 v4, 23, v2
	v_cndmask_b32_e64 v3, 0, 1, s[2:3]
	v_add_u32_e32 v4, v4, v3
; %bb.723:
	s_or_b64 exec, exec, s[14:15]
	s_mov_b64 s[14:15], -1
	s_mov_b64 s[2:3], 0
	global_store_byte v[0:1], v4, off
.LBB521_724:
	s_mov_b64 s[16:17], 0
.LBB521_725:
	s_and_b64 vcc, exec, s[16:17]
	s_cbranch_vccz .LBB521_728
; %bb.726:
	s_cmp_eq_u32 s21, 29
	s_mov_b64 s[2:3], -1
	s_cbranch_scc0 .LBB521_728
; %bb.727:
	v_trunc_f32_e32 v3, v2
	v_mul_f32_e32 v4, 0x2f800000, v3
	v_floor_f32_e32 v4, v4
	v_fmamk_f32 v3, v4, 0xcf800000, v3
	v_cvt_u32_f32_e32 v5, v4
	v_cvt_u32_f32_e32 v4, v3
	s_mov_b64 s[14:15], -1
	s_mov_b64 s[2:3], 0
	s_mov_b64 s[16:17], 0
	global_store_dwordx2 v[0:1], v[4:5], off
	s_branch .LBB521_729
.LBB521_728:
	s_mov_b64 s[16:17], 0
.LBB521_729:
	s_and_b64 vcc, exec, s[16:17]
	s_cbranch_vccz .LBB521_745
; %bb.730:
	s_cmp_lt_i32 s21, 27
	s_mov_b64 s[14:15], -1
	s_cbranch_scc1 .LBB521_736
; %bb.731:
	v_cvt_u32_f32_e32 v3, v2
	s_cmp_gt_i32 s21, 27
	s_cbranch_scc0 .LBB521_733
; %bb.732:
	s_mov_b64 s[14:15], 0
	global_store_dword v[0:1], v3, off
.LBB521_733:
	s_andn2_b64 vcc, exec, s[14:15]
	s_cbranch_vccnz .LBB521_735
; %bb.734:
	global_store_short v[0:1], v3, off
.LBB521_735:
	s_mov_b64 s[14:15], 0
.LBB521_736:
	s_andn2_b64 vcc, exec, s[14:15]
	s_cbranch_vccnz .LBB521_744
; %bb.737:
	v_and_b32_e32 v3, 0x7fffffff, v2
	s_mov_b32 s14, 0x43800000
	v_cmp_gt_u32_e32 vcc, s14, v3
	v_mov_b32_e32 v4, 0x80
	s_and_saveexec_b64 s[14:15], vcc
	s_cbranch_execz .LBB521_743
; %bb.738:
	s_mov_b32 s16, 0x3bffffff
	v_cmp_lt_u32_e32 vcc, s16, v3
	s_mov_b64 s[16:17], 0
                                        ; implicit-def: $vgpr3
	s_and_saveexec_b64 s[18:19], vcc
	s_xor_b64 s[18:19], exec, s[18:19]
	s_cbranch_execz .LBB521_861
; %bb.739:
	v_bfe_u32 v3, v2, 20, 1
	s_mov_b32 s22, 0x487ffff
	v_add3_u32 v3, v2, v3, s22
	s_mov_b64 s[16:17], exec
	v_lshrrev_b32_e32 v3, 20, v3
	s_andn2_saveexec_b64 s[18:19], s[18:19]
	s_cbranch_execnz .LBB521_862
.LBB521_740:
	s_or_b64 exec, exec, s[18:19]
	v_mov_b32_e32 v4, 0
	s_and_saveexec_b64 s[18:19], s[16:17]
.LBB521_741:
	v_lshrrev_b32_e32 v4, 24, v2
	s_movk_i32 s16, 0x80
	v_and_or_b32 v4, v4, s16, v3
.LBB521_742:
	s_or_b64 exec, exec, s[18:19]
.LBB521_743:
	s_or_b64 exec, exec, s[14:15]
	global_store_byte v[0:1], v4, off
.LBB521_744:
	s_mov_b64 s[14:15], -1
.LBB521_745:
	s_mov_b64 s[16:17], 0
.LBB521_746:
	s_and_b64 vcc, exec, s[16:17]
	s_cbranch_vccz .LBB521_787
; %bb.747:
	s_cmp_gt_i32 s21, 22
	s_mov_b64 s[16:17], -1
	s_cbranch_scc0 .LBB521_779
; %bb.748:
	s_cmp_lt_i32 s21, 24
	s_mov_b64 s[14:15], -1
	s_cbranch_scc1 .LBB521_768
; %bb.749:
	s_cmp_gt_i32 s21, 24
	s_cbranch_scc0 .LBB521_757
; %bb.750:
	v_and_b32_e32 v3, 0x7fffffff, v2
	s_mov_b32 s14, 0x47800000
	v_cmp_gt_u32_e32 vcc, s14, v3
	v_mov_b32_e32 v4, 0x80
	s_and_saveexec_b64 s[14:15], vcc
	s_cbranch_execz .LBB521_756
; %bb.751:
	s_mov_b32 s16, 0x37ffffff
	v_cmp_lt_u32_e32 vcc, s16, v3
	s_mov_b64 s[16:17], 0
                                        ; implicit-def: $vgpr3
	s_and_saveexec_b64 s[18:19], vcc
	s_xor_b64 s[18:19], exec, s[18:19]
	s_cbranch_execz .LBB521_864
; %bb.752:
	v_bfe_u32 v3, v2, 21, 1
	s_mov_b32 s22, 0x88fffff
	v_add3_u32 v3, v2, v3, s22
	s_mov_b64 s[16:17], exec
	v_lshrrev_b32_e32 v3, 21, v3
	s_andn2_saveexec_b64 s[18:19], s[18:19]
	s_cbranch_execnz .LBB521_865
.LBB521_753:
	s_or_b64 exec, exec, s[18:19]
	v_mov_b32_e32 v4, 0
	s_and_saveexec_b64 s[18:19], s[16:17]
.LBB521_754:
	v_lshrrev_b32_e32 v4, 24, v2
	s_movk_i32 s16, 0x80
	v_and_or_b32 v4, v4, s16, v3
.LBB521_755:
	s_or_b64 exec, exec, s[18:19]
.LBB521_756:
	s_or_b64 exec, exec, s[14:15]
	s_mov_b64 s[14:15], 0
	global_store_byte v[0:1], v4, off
.LBB521_757:
	s_and_b64 vcc, exec, s[14:15]
	s_cbranch_vccz .LBB521_767
; %bb.758:
	v_and_b32_e32 v4, 0x7fffffff, v2
	s_mov_b32 s14, 0x43f00000
	v_cmp_gt_u32_e32 vcc, s14, v4
                                        ; implicit-def: $vgpr3
	s_and_saveexec_b64 s[14:15], vcc
	s_xor_b64 s[14:15], exec, s[14:15]
	s_cbranch_execz .LBB521_764
; %bb.759:
	s_mov_b32 s16, 0x3c7fffff
	v_cmp_lt_u32_e32 vcc, s16, v4
                                        ; implicit-def: $vgpr3
	s_and_saveexec_b64 s[16:17], vcc
	s_xor_b64 s[16:17], exec, s[16:17]
; %bb.760:
	v_bfe_u32 v3, v2, 20, 1
	s_mov_b32 s18, 0x407ffff
	v_add3_u32 v3, v2, v3, s18
	v_lshrrev_b32_e32 v4, 20, v3
	v_and_b32_e32 v3, 0xff00000, v3
	s_mov_b32 s18, 0x7f00000
	v_mov_b32_e32 v5, 0x7e
	v_cmp_ne_u32_e32 vcc, s18, v3
	s_nop 1
	v_cndmask_b32_e32 v3, v5, v4, vcc
; %bb.761:
	s_andn2_saveexec_b64 s[16:17], s[16:17]
; %bb.762:
	s_mov_b32 s18, 0x46800000
	v_add_f32_e64 v3, |v2|, s18
; %bb.763:
	s_or_b64 exec, exec, s[16:17]
                                        ; implicit-def: $vgpr4
.LBB521_764:
	s_andn2_saveexec_b64 s[14:15], s[14:15]
; %bb.765:
	s_mov_b32 s16, 0x7f800000
	v_mov_b32_e32 v3, 0x7e
	v_mov_b32_e32 v5, 0x7f
	v_cmp_lt_u32_e32 vcc, s16, v4
	s_nop 1
	v_cndmask_b32_e32 v3, v3, v5, vcc
; %bb.766:
	s_or_b64 exec, exec, s[14:15]
	v_lshrrev_b32_e32 v4, 24, v2
	s_movk_i32 s14, 0x80
	v_and_or_b32 v3, v4, s14, v3
	global_store_byte v[0:1], v3, off
.LBB521_767:
	s_mov_b64 s[14:15], 0
.LBB521_768:
	s_andn2_b64 vcc, exec, s[14:15]
	s_cbranch_vccnz .LBB521_778
; %bb.769:
	v_and_b32_e32 v4, 0x7fffffff, v2
	s_mov_b32 s14, 0x47800000
	v_cmp_gt_u32_e32 vcc, s14, v4
                                        ; implicit-def: $vgpr3
	s_and_saveexec_b64 s[14:15], vcc
	s_xor_b64 s[14:15], exec, s[14:15]
	s_cbranch_execz .LBB521_775
; %bb.770:
	s_mov_b32 s16, 0x387fffff
	v_cmp_lt_u32_e32 vcc, s16, v4
                                        ; implicit-def: $vgpr3
	s_and_saveexec_b64 s[16:17], vcc
	s_xor_b64 s[16:17], exec, s[16:17]
; %bb.771:
	v_bfe_u32 v3, v2, 21, 1
	s_mov_b32 s18, 0x80fffff
	v_add3_u32 v3, v2, v3, s18
	v_lshrrev_b32_e32 v3, 21, v3
; %bb.772:
	s_andn2_saveexec_b64 s[16:17], s[16:17]
; %bb.773:
	s_mov_b32 s18, 0x43000000
	v_add_f32_e64 v3, |v2|, s18
; %bb.774:
	s_or_b64 exec, exec, s[16:17]
                                        ; implicit-def: $vgpr4
.LBB521_775:
	s_andn2_saveexec_b64 s[14:15], s[14:15]
; %bb.776:
	s_mov_b32 s16, 0x7f800000
	v_mov_b32_e32 v3, 0x7c
	v_mov_b32_e32 v5, 0x7f
	v_cmp_lt_u32_e32 vcc, s16, v4
	s_nop 1
	v_cndmask_b32_e32 v3, v3, v5, vcc
; %bb.777:
	s_or_b64 exec, exec, s[14:15]
	v_lshrrev_b32_e32 v4, 24, v2
	s_movk_i32 s14, 0x80
	v_and_or_b32 v3, v4, s14, v3
	global_store_byte v[0:1], v3, off
.LBB521_778:
	s_mov_b64 s[16:17], 0
	s_mov_b64 s[14:15], -1
.LBB521_779:
	s_andn2_b64 vcc, exec, s[16:17]
	s_cbranch_vccnz .LBB521_787
; %bb.780:
	s_cmp_gt_i32 s21, 14
	s_mov_b64 s[16:17], -1
	s_cbranch_scc0 .LBB521_784
; %bb.781:
	s_cmp_eq_u32 s21, 15
	s_mov_b64 s[2:3], -1
	s_cbranch_scc0 .LBB521_783
; %bb.782:
	v_bfe_u32 v3, v2, 16, 1
	s_movk_i32 s2, 0x7fff
	v_add3_u32 v3, v2, v3, s2
	v_cmp_o_f32_e32 vcc, v2, v2
	v_mov_b32_e32 v4, 0x7fc0
	s_mov_b64 s[14:15], -1
	v_cndmask_b32_sdwa v3, v4, v3, vcc dst_sel:DWORD dst_unused:UNUSED_PAD src0_sel:DWORD src1_sel:WORD_1
	global_store_short v[0:1], v3, off
	s_mov_b64 s[2:3], 0
.LBB521_783:
	s_mov_b64 s[16:17], 0
.LBB521_784:
	s_and_b64 vcc, exec, s[16:17]
	s_cbranch_vccz .LBB521_787
; %bb.785:
	s_cmp_eq_u32 s21, 11
	s_mov_b64 s[2:3], -1
	s_cbranch_scc0 .LBB521_787
; %bb.786:
	v_cmp_neq_f32_e32 vcc, 0, v2
	s_mov_b64 s[14:15], -1
	s_mov_b64 s[2:3], 0
	v_cndmask_b32_e64 v3, 0, 1, vcc
	global_store_byte v[0:1], v3, off
.LBB521_787:
	s_mov_b64 s[16:17], 0
.LBB521_788:
	s_and_b64 vcc, exec, s[16:17]
	s_cbranch_vccz .LBB521_827
; %bb.789:
	s_and_b32 s16, 0xffff, s20
	s_cmp_lt_i32 s16, 5
	s_mov_b64 s[14:15], -1
	s_cbranch_scc1 .LBB521_810
; %bb.790:
	s_cmp_lt_i32 s16, 8
	s_cbranch_scc1 .LBB521_800
; %bb.791:
	s_cmp_lt_i32 s16, 9
	s_cbranch_scc1 .LBB521_797
; %bb.792:
	s_cmp_gt_i32 s16, 9
	s_cbranch_scc0 .LBB521_794
; %bb.793:
	v_mov_b32_e32 v6, 0
	v_cvt_f64_f32_e32 v[4:5], v2
	v_mov_b32_e32 v7, v6
	s_mov_b64 s[14:15], 0
	global_store_dwordx4 v[0:1], v[4:7], off
.LBB521_794:
	s_andn2_b64 vcc, exec, s[14:15]
	s_cbranch_vccnz .LBB521_796
; %bb.795:
	v_mov_b32_e32 v3, 0
	global_store_dwordx2 v[0:1], v[2:3], off
.LBB521_796:
	s_mov_b64 s[14:15], 0
.LBB521_797:
	s_andn2_b64 vcc, exec, s[14:15]
	s_cbranch_vccnz .LBB521_799
; %bb.798:
	v_cvt_f16_f32_e32 v3, v2
	global_store_dword v[0:1], v3, off
.LBB521_799:
	s_mov_b64 s[14:15], 0
.LBB521_800:
	s_andn2_b64 vcc, exec, s[14:15]
	s_cbranch_vccnz .LBB521_809
; %bb.801:
	s_cmp_lt_i32 s16, 6
	s_mov_b64 s[14:15], -1
	s_cbranch_scc1 .LBB521_807
; %bb.802:
	s_cmp_gt_i32 s16, 6
	s_cbranch_scc0 .LBB521_804
; %bb.803:
	v_cvt_f64_f32_e32 v[4:5], v2
	s_mov_b64 s[14:15], 0
	global_store_dwordx2 v[0:1], v[4:5], off
.LBB521_804:
	s_andn2_b64 vcc, exec, s[14:15]
	s_cbranch_vccnz .LBB521_806
; %bb.805:
	global_store_dword v[0:1], v2, off
.LBB521_806:
	s_mov_b64 s[14:15], 0
.LBB521_807:
	s_andn2_b64 vcc, exec, s[14:15]
	s_cbranch_vccnz .LBB521_809
; %bb.808:
	v_cvt_f16_f32_e32 v3, v2
	global_store_short v[0:1], v3, off
.LBB521_809:
	s_mov_b64 s[14:15], 0
.LBB521_810:
	s_andn2_b64 vcc, exec, s[14:15]
	s_cbranch_vccnz .LBB521_826
; %bb.811:
	s_cmp_lt_i32 s16, 2
	s_mov_b64 s[14:15], -1
	s_cbranch_scc1 .LBB521_821
; %bb.812:
	s_cmp_lt_i32 s16, 3
	s_cbranch_scc1 .LBB521_818
; %bb.813:
	s_cmp_gt_i32 s16, 3
	s_cbranch_scc0 .LBB521_815
; %bb.814:
	v_trunc_f32_e32 v3, v2
	s_mov_b32 s14, 0x2f800000
	v_mul_f32_e64 v4, |v3|, s14
	v_floor_f32_e32 v4, v4
	s_mov_b32 s14, 0xcf800000
	v_cvt_u32_f32_e32 v5, v4
	v_fma_f32 v4, v4, s14, |v3|
	v_cvt_u32_f32_e32 v4, v4
	v_ashrrev_i32_e32 v3, 31, v3
	v_xor_b32_e32 v5, v5, v3
	s_mov_b64 s[14:15], 0
	v_xor_b32_e32 v4, v4, v3
	v_sub_co_u32_e32 v4, vcc, v4, v3
	s_nop 1
	v_subb_co_u32_e32 v5, vcc, v5, v3, vcc
	global_store_dwordx2 v[0:1], v[4:5], off
.LBB521_815:
	s_andn2_b64 vcc, exec, s[14:15]
	s_cbranch_vccnz .LBB521_817
; %bb.816:
	v_cvt_i32_f32_e32 v3, v2
	global_store_dword v[0:1], v3, off
.LBB521_817:
	s_mov_b64 s[14:15], 0
.LBB521_818:
	s_andn2_b64 vcc, exec, s[14:15]
	s_cbranch_vccnz .LBB521_820
; %bb.819:
	v_cvt_i32_f32_e32 v3, v2
	global_store_short v[0:1], v3, off
.LBB521_820:
	s_mov_b64 s[14:15], 0
.LBB521_821:
	s_andn2_b64 vcc, exec, s[14:15]
	s_cbranch_vccnz .LBB521_826
; %bb.822:
	s_cmp_gt_i32 s16, 0
	s_mov_b64 s[14:15], -1
	s_cbranch_scc0 .LBB521_824
; %bb.823:
	v_cvt_i32_f32_e32 v3, v2
	s_mov_b64 s[14:15], 0
	global_store_byte v[0:1], v3, off
.LBB521_824:
	s_andn2_b64 vcc, exec, s[14:15]
	s_cbranch_vccnz .LBB521_826
; %bb.825:
	v_trunc_f32_e32 v2, v2
	s_mov_b32 s14, 0x2f800000
	v_mul_f32_e64 v3, |v2|, s14
	v_floor_f32_e32 v3, v3
	s_mov_b32 s14, 0xcf800000
	v_fma_f32 v3, v3, s14, |v2|
	v_cvt_u32_f32_e32 v3, v3
	v_ashrrev_i32_e32 v2, 31, v2
	v_xor_b32_e32 v3, v3, v2
	v_sub_u32_e32 v2, v3, v2
	global_store_byte v[0:1], v2, off
.LBB521_826:
	s_mov_b64 s[14:15], -1
.LBB521_827:
	s_andn2_b64 vcc, exec, s[14:15]
	s_cbranch_vccnz .LBB521_829
; %bb.828:
	v_add_u32_e32 v9, 0x80, v9
	s_mov_b64 s[14:15], -1
	s_branch .LBB521_831
.LBB521_829:
	s_mov_b64 s[14:15], 0
.LBB521_830:
                                        ; implicit-def: $vgpr9
.LBB521_831:
	s_andn2_b64 s[16:17], s[66:67], exec
	s_and_b64 s[2:3], s[2:3], exec
	s_or_b64 s[72:73], s[16:17], s[2:3]
	s_andn2_b64 s[2:3], s[64:65], exec
	s_and_b64 s[12:13], s[12:13], exec
	s_or_b64 s[2:3], s[2:3], s[12:13]
	s_orn2_b64 s[18:19], s[14:15], exec
.LBB521_832:
	s_or_b64 exec, exec, s[70:71]
	s_mov_b64 s[12:13], 0
	s_mov_b64 s[14:15], 0
	;; [unrolled: 1-line block ×3, first 2 shown]
                                        ; implicit-def: $vgpr2_vgpr3
                                        ; implicit-def: $vgpr0
                                        ; implicit-def: $vgpr1
	s_and_saveexec_b64 s[70:71], s[18:19]
	s_cbranch_execz .LBB521_932
; %bb.833:
	v_cmp_gt_i32_e32 vcc, s74, v9
	s_mov_b64 s[18:19], s[2:3]
                                        ; implicit-def: $vgpr2_vgpr3
                                        ; implicit-def: $vgpr0
                                        ; implicit-def: $vgpr1
	s_and_saveexec_b64 s[74:75], vcc
	s_cbranch_execz .LBB521_931
; %bb.834:
	s_andn2_b64 vcc, exec, s[46:47]
	s_cbranch_vccnz .LBB521_840
; %bb.835:
	s_andn2_b64 vcc, exec, s[56:57]
	s_cbranch_vccnz .LBB521_841
; %bb.836:
	s_add_i32 s79, s78, 1
	s_cmp_eq_u32 s76, 2
	s_cbranch_scc1 .LBB521_842
; %bb.837:
	s_and_b32 s78, s79, 28
	s_mov_b32 s80, 0
	v_mov_b32_e32 v0, 0
	v_mov_b32_e32 v2, 0
	s_mov_b64 s[56:57], s[34:35]
	v_mov_b32_e32 v4, v9
.LBB521_838:                            ; =>This Inner Loop Header: Depth=1
	s_load_dwordx8 s[20:27], s[56:57], 0x4
	s_load_dwordx4 s[40:43], s[56:57], 0x24
	s_load_dwordx8 s[12:19], s[54:55], 0x0
	s_add_u32 s56, s56, 48
	s_addc_u32 s57, s57, 0
	s_waitcnt vmcnt(0) lgkmcnt(0)
	v_mul_hi_u32 v1, s21, v4
	v_add_u32_e32 v1, v4, v1
	v_lshrrev_b32_e32 v1, s22, v1
	v_mul_lo_u32 v3, v1, s20
	v_mul_hi_u32 v5, s24, v1
	v_sub_u32_e32 v3, v4, v3
	v_add_u32_e32 v4, v1, v5
	v_lshrrev_b32_e32 v4, s25, v4
	v_mul_lo_u32 v6, v4, s23
	v_mul_hi_u32 v7, s27, v4
	v_sub_u32_e32 v1, v1, v6
	v_add_u32_e32 v6, v4, v7
	v_mul_lo_u32 v5, v3, s13
	v_mul_lo_u32 v3, v3, s12
	;; [unrolled: 1-line block ×4, first 2 shown]
	v_lshrrev_b32_e32 v6, s40, v6
	v_add3_u32 v0, v3, v0, v1
	v_mul_hi_u32 v3, s42, v6
	v_add3_u32 v1, v5, v2, v7
	v_mul_lo_u32 v2, v6, s26
	v_add_u32_e32 v3, v6, v3
	v_sub_u32_e32 v2, v4, v2
	v_lshrrev_b32_e32 v4, s43, v3
	s_add_i32 s80, s80, 4
	v_mul_lo_u32 v3, v4, s41
	s_add_u32 s54, s54, 32
	v_sub_u32_e32 v3, v6, v3
	s_addc_u32 s55, s55, 0
	v_mul_lo_u32 v5, v2, s16
	v_mul_lo_u32 v2, v2, s17
	;; [unrolled: 1-line block ×4, first 2 shown]
	s_cmp_eq_u32 s78, s80
	v_add3_u32 v2, v2, v1, v3
	v_add3_u32 v0, v5, v0, v6
	s_cbranch_scc0 .LBB521_838
; %bb.839:
	v_mov_b32_e32 v1, v2
	s_branch .LBB521_843
.LBB521_840:
	s_mov_b64 s[12:13], -1
                                        ; implicit-def: $vgpr2
                                        ; implicit-def: $vgpr0
	s_branch .LBB521_847
.LBB521_841:
	v_mov_b32_e32 v2, 0
	v_mov_b32_e32 v0, 0
	s_branch .LBB521_846
.LBB521_842:
	v_mov_b32_e32 v0, 0
	s_mov_b32 s78, 0
	s_waitcnt vmcnt(0)
	v_mov_b32_e32 v1, v0
                                        ; implicit-def: $vgpr2
	v_mov_b32_e32 v4, v9
.LBB521_843:
	s_and_b32 s16, s79, 3
	s_cmp_eq_u32 s16, 0
	s_cbranch_scc1 .LBB521_846
; %bb.844:
	s_lshl_b32 s12, s78, 3
	s_add_u32 s12, s34, s12
	s_addc_u32 s13, s35, 0
	s_add_u32 s12, s12, 0xc4
	s_addc_u32 s13, s13, 0
	s_mul_i32 s14, s78, 12
	s_add_u32 s14, s34, s14
	s_addc_u32 s15, s35, 0
.LBB521_845:                            ; =>This Inner Loop Header: Depth=1
	s_load_dwordx2 s[18:19], s[14:15], 0x4
	s_load_dword s17, s[14:15], 0xc
	s_load_dwordx2 s[20:21], s[12:13], 0x0
	v_mov_b32_e32 v2, v1
	s_add_u32 s14, s14, 12
	s_waitcnt lgkmcnt(0)
	v_mul_hi_u32 v1, s19, v4
	v_add_u32_e32 v1, v4, v1
	v_lshrrev_b32_e32 v1, s17, v1
	s_addc_u32 s15, s15, 0
	v_mul_lo_u32 v3, v1, s18
	s_add_u32 s12, s12, 8
	v_sub_u32_e32 v5, v4, v3
	s_addc_u32 s13, s13, 0
	s_add_i32 s16, s16, -1
	v_mov_b32_e32 v4, v1
	v_mad_u64_u32 v[2:3], s[18:19], v5, s21, v[2:3]
	v_mad_u64_u32 v[0:1], s[18:19], v5, s20, v[0:1]
	s_cmp_lg_u32 s16, 0
	v_mov_b32_e32 v1, v2
	s_cbranch_scc1 .LBB521_845
.LBB521_846:
	s_mov_b64 s[12:13], 0
.LBB521_847:
	s_andn2_b64 vcc, exec, s[12:13]
	s_cbranch_vccnz .LBB521_850
; %bb.848:
	v_mul_hi_u32 v0, s29, v9
	v_add_u32_e32 v0, v9, v0
	s_waitcnt vmcnt(0)
	v_lshrrev_b32_e32 v1, s30, v0
	v_mul_lo_u32 v0, v1, s28
	v_sub_u32_e32 v0, v9, v0
	v_mul_lo_u32 v2, v0, s37
	s_andn2_b64 vcc, exec, s[52:53]
	v_mul_lo_u32 v0, v0, s36
	s_cbranch_vccnz .LBB521_850
; %bb.849:
	v_mul_hi_u32 v3, s50, v1
	v_add_u32_e32 v3, v1, v3
	v_lshrrev_b32_e32 v3, s51, v3
	v_mul_lo_u32 v3, v3, s31
	v_sub_u32_e32 v3, v1, v3
	v_mad_u64_u32 v[0:1], s[12:13], v3, s38, v[0:1]
	v_mad_u64_u32 v[2:3], s[12:13], v3, s39, v[2:3]
.LBB521_850:
	v_mov_b32_e32 v3, 0
	s_and_b32 s20, 0xffff, s11
	s_cmp_lt_i32 s20, 11
	v_lshl_add_u64 v[2:3], s[6:7], 0, v[2:3]
	s_cbranch_scc1 .LBB521_857
; %bb.851:
	s_cmp_gt_i32 s20, 25
	s_mov_b64 s[12:13], 0
	s_cbranch_scc0 .LBB521_858
; %bb.852:
	s_cmp_gt_i32 s20, 28
	s_cbranch_scc0 .LBB521_859
; %bb.853:
	s_cmp_gt_i32 s20, 43
	;; [unrolled: 3-line block ×3, first 2 shown]
	s_cbranch_scc0 .LBB521_863
; %bb.855:
	s_cmp_eq_u32 s20, 46
	s_mov_b64 s[16:17], 0
	s_cbranch_scc0 .LBB521_866
; %bb.856:
	global_load_dword v1, v[2:3], off
	s_mov_b64 s[6:7], 0
	s_mov_b64 s[14:15], -1
	s_waitcnt vmcnt(0)
	v_lshlrev_b32_e32 v1, 16, v1
	s_branch .LBB521_867
.LBB521_857:
	s_mov_b64 s[18:19], -1
	s_mov_b64 s[14:15], 0
	s_mov_b64 s[12:13], 0
	;; [unrolled: 1-line block ×3, first 2 shown]
                                        ; implicit-def: $vgpr1
	s_branch .LBB521_930
.LBB521_858:
	s_mov_b64 s[16:17], -1
	s_mov_b64 s[14:15], 0
	s_mov_b64 s[6:7], s[2:3]
                                        ; implicit-def: $vgpr1
	s_branch .LBB521_896
.LBB521_859:
	s_mov_b64 s[16:17], -1
	s_mov_b64 s[14:15], 0
	s_mov_b64 s[6:7], s[2:3]
                                        ; implicit-def: $vgpr1
	s_branch .LBB521_877
.LBB521_860:
	s_mov_b64 s[16:17], -1
	s_mov_b64 s[14:15], 0
	s_mov_b64 s[6:7], s[2:3]
                                        ; implicit-def: $vgpr1
	s_branch .LBB521_872
.LBB521_861:
	s_andn2_saveexec_b64 s[18:19], s[18:19]
	s_cbranch_execz .LBB521_740
.LBB521_862:
	s_mov_b32 s22, 0x46000000
	v_add_f32_e64 v3, |v2|, s22
	v_and_b32_e32 v3, 0xff, v3
	v_cmp_ne_u32_e32 vcc, 0, v3
	s_andn2_b64 s[16:17], s[16:17], exec
	s_and_b64 s[22:23], vcc, exec
	s_or_b64 s[16:17], s[16:17], s[22:23]
	s_or_b64 exec, exec, s[18:19]
	v_mov_b32_e32 v4, 0
	s_and_saveexec_b64 s[18:19], s[16:17]
	s_cbranch_execnz .LBB521_741
	s_branch .LBB521_742
.LBB521_863:
	s_mov_b64 s[16:17], -1
	s_mov_b64 s[14:15], 0
	s_mov_b64 s[6:7], s[2:3]
                                        ; implicit-def: $vgpr1
	s_branch .LBB521_867
.LBB521_864:
	s_andn2_saveexec_b64 s[18:19], s[18:19]
	s_cbranch_execz .LBB521_753
.LBB521_865:
	s_mov_b32 s22, 0x42800000
	v_add_f32_e64 v3, |v2|, s22
	v_and_b32_e32 v3, 0xff, v3
	v_cmp_ne_u32_e32 vcc, 0, v3
	s_andn2_b64 s[16:17], s[16:17], exec
	s_and_b64 s[22:23], vcc, exec
	s_or_b64 s[16:17], s[16:17], s[22:23]
	s_or_b64 exec, exec, s[18:19]
	v_mov_b32_e32 v4, 0
	s_and_saveexec_b64 s[18:19], s[16:17]
	s_cbranch_execnz .LBB521_754
	s_branch .LBB521_755
.LBB521_866:
	s_mov_b64 s[6:7], -1
                                        ; implicit-def: $vgpr1
	s_mov_b64 s[14:15], 0
.LBB521_867:
	s_and_b64 vcc, exec, s[16:17]
	s_cbranch_vccz .LBB521_871
; %bb.868:
	s_cmp_eq_u32 s20, 44
	s_cbranch_scc0 .LBB521_870
; %bb.869:
	global_load_ubyte v1, v[2:3], off
	s_movk_i32 s14, 0xff
	v_mov_b32_e32 v4, 0x7f800001
	v_mov_b32_e32 v5, 0x400000
	s_mov_b64 s[6:7], 0
	s_waitcnt vmcnt(0)
	v_lshlrev_b32_e32 v6, 23, v1
	v_cmp_ne_u32_e32 vcc, s14, v1
	s_mov_b64 s[14:15], -1
	s_nop 0
	v_cndmask_b32_e32 v4, v4, v6, vcc
	v_cmp_ne_u32_e32 vcc, 0, v1
	s_nop 1
	v_cndmask_b32_e32 v1, v5, v4, vcc
	s_branch .LBB521_871
.LBB521_870:
	s_mov_b64 s[6:7], -1
                                        ; implicit-def: $vgpr1
.LBB521_871:
	s_mov_b64 s[16:17], 0
.LBB521_872:
	s_and_b64 vcc, exec, s[16:17]
	s_cbranch_vccz .LBB521_876
; %bb.873:
	s_cmp_eq_u32 s20, 29
	s_cbranch_scc0 .LBB521_875
; %bb.874:
	global_load_dwordx2 v[4:5], v[2:3], off
	s_mov_b64 s[6:7], 0
	s_mov_b64 s[14:15], -1
	s_mov_b64 s[16:17], 0
	s_waitcnt vmcnt(0)
	v_ffbh_u32_e32 v1, v5
	v_min_u32_e32 v1, 32, v1
	v_lshlrev_b64 v[4:5], v1, v[4:5]
	v_min_u32_e32 v4, 1, v4
	v_or_b32_e32 v4, v5, v4
	v_cvt_f32_u32_e32 v4, v4
	v_sub_u32_e32 v1, 32, v1
	v_ldexp_f32 v1, v4, v1
	s_branch .LBB521_877
.LBB521_875:
	s_mov_b64 s[6:7], -1
                                        ; implicit-def: $vgpr1
.LBB521_876:
	s_mov_b64 s[16:17], 0
.LBB521_877:
	s_and_b64 vcc, exec, s[16:17]
	s_cbranch_vccz .LBB521_895
; %bb.878:
	s_cmp_lt_i32 s20, 27
	s_cbranch_scc1 .LBB521_881
; %bb.879:
	s_cmp_gt_i32 s20, 27
	s_cbranch_scc0 .LBB521_882
; %bb.880:
	global_load_dword v1, v[2:3], off
	s_mov_b64 s[14:15], 0
	s_waitcnt vmcnt(0)
	v_cvt_f32_u32_e32 v1, v1
	s_branch .LBB521_883
.LBB521_881:
	s_mov_b64 s[14:15], -1
                                        ; implicit-def: $vgpr1
	s_branch .LBB521_886
.LBB521_882:
	s_mov_b64 s[14:15], -1
                                        ; implicit-def: $vgpr1
.LBB521_883:
	s_andn2_b64 vcc, exec, s[14:15]
	s_cbranch_vccnz .LBB521_885
; %bb.884:
	global_load_ushort v1, v[2:3], off
	s_waitcnt vmcnt(0)
	v_cvt_f32_u32_e32 v1, v1
.LBB521_885:
	s_mov_b64 s[14:15], 0
.LBB521_886:
	s_andn2_b64 vcc, exec, s[14:15]
	s_cbranch_vccnz .LBB521_894
; %bb.887:
	global_load_ubyte v4, v[2:3], off
	s_movk_i32 s14, 0x7f
	s_waitcnt vmcnt(0)
	v_cmp_lt_i16_e32 vcc, s14, v4
	s_mov_b64 s[14:15], 0
	s_and_saveexec_b64 s[16:17], vcc
	s_xor_b64 s[16:17], exec, s[16:17]
	s_cbranch_execz .LBB521_908
; %bb.888:
	s_movk_i32 s14, 0x80
	v_cmp_eq_u16_e32 vcc, s14, v4
	s_mov_b64 s[14:15], -1
	s_and_saveexec_b64 s[18:19], vcc
; %bb.889:
	s_xor_b64 s[14:15], exec, -1
; %bb.890:
	s_or_b64 exec, exec, s[18:19]
	s_and_b64 s[14:15], s[14:15], exec
	s_or_saveexec_b64 s[16:17], s[16:17]
	v_mov_b32_e32 v1, 0x7f800001
	s_xor_b64 exec, exec, s[16:17]
	s_cbranch_execnz .LBB521_909
.LBB521_891:
	s_or_b64 exec, exec, s[16:17]
	s_and_saveexec_b64 s[16:17], s[14:15]
	s_cbranch_execz .LBB521_893
.LBB521_892:
	v_lshlrev_b32_e32 v1, 24, v4
	v_and_b32_e32 v4, 0xffff, v4
	v_and_b32_e32 v5, 7, v4
	v_ffbh_u32_e32 v7, v5
	v_min_u32_e32 v7, 32, v7
	v_subrev_u32_e32 v8, 28, v7
	v_bfe_u32 v6, v4, 3, 4
	v_lshlrev_b32_e32 v4, v8, v4
	v_sub_u32_e32 v7, 29, v7
	v_and_b32_e32 v4, 7, v4
	v_cmp_eq_u32_e32 vcc, 0, v6
	v_and_b32_e32 v1, 0x80000000, v1
	s_nop 0
	v_cndmask_b32_e32 v6, v6, v7, vcc
	v_cndmask_b32_e32 v4, v5, v4, vcc
	v_mov_b32_e32 v5, 0x3b800000
	v_lshlrev_b32_e32 v4, 20, v4
	v_lshl_add_u32 v5, v6, 23, v5
	v_or3_b32 v1, v1, v5, v4
.LBB521_893:
	s_or_b64 exec, exec, s[16:17]
.LBB521_894:
	s_mov_b64 s[14:15], -1
.LBB521_895:
	s_mov_b64 s[16:17], 0
.LBB521_896:
	s_and_b64 vcc, exec, s[16:17]
	s_cbranch_vccz .LBB521_929
; %bb.897:
	s_cmp_gt_i32 s20, 22
	s_cbranch_scc0 .LBB521_907
; %bb.898:
	s_cmp_lt_i32 s20, 24
	s_cbranch_scc1 .LBB521_910
; %bb.899:
	s_cmp_gt_i32 s20, 24
	s_cbranch_scc0 .LBB521_911
; %bb.900:
	global_load_ubyte v4, v[2:3], off
	s_movk_i32 s12, 0x7f
	s_waitcnt vmcnt(0)
	v_cmp_lt_i16_e32 vcc, s12, v4
	s_mov_b64 s[12:13], 0
	s_and_saveexec_b64 s[14:15], vcc
	s_xor_b64 s[14:15], exec, s[14:15]
	s_cbranch_execz .LBB521_923
; %bb.901:
	s_movk_i32 s12, 0x80
	v_cmp_eq_u16_e32 vcc, s12, v4
	s_mov_b64 s[12:13], -1
	s_and_saveexec_b64 s[16:17], vcc
; %bb.902:
	s_xor_b64 s[12:13], exec, -1
; %bb.903:
	s_or_b64 exec, exec, s[16:17]
	s_and_b64 s[12:13], s[12:13], exec
	s_or_saveexec_b64 s[14:15], s[14:15]
	v_mov_b32_e32 v1, 0x7f800001
	s_xor_b64 exec, exec, s[14:15]
	s_cbranch_execnz .LBB521_924
.LBB521_904:
	s_or_b64 exec, exec, s[14:15]
	s_and_saveexec_b64 s[14:15], s[12:13]
	s_cbranch_execz .LBB521_906
.LBB521_905:
	v_lshlrev_b32_e32 v1, 24, v4
	v_and_b32_e32 v4, 0xffff, v4
	v_and_b32_e32 v5, 3, v4
	v_ffbh_u32_e32 v7, v5
	v_min_u32_e32 v7, 32, v7
	v_subrev_u32_e32 v8, 29, v7
	v_bfe_u32 v6, v4, 2, 5
	v_lshlrev_b32_e32 v4, v8, v4
	v_sub_u32_e32 v7, 30, v7
	v_and_b32_e32 v4, 3, v4
	v_cmp_eq_u32_e32 vcc, 0, v6
	v_and_b32_e32 v1, 0x80000000, v1
	s_nop 0
	v_cndmask_b32_e32 v6, v6, v7, vcc
	v_cndmask_b32_e32 v4, v5, v4, vcc
	v_mov_b32_e32 v5, 0x37800000
	v_lshlrev_b32_e32 v4, 21, v4
	v_lshl_add_u32 v5, v6, 23, v5
	v_or3_b32 v1, v1, v5, v4
.LBB521_906:
	s_or_b64 exec, exec, s[14:15]
	s_mov_b64 s[12:13], 0
	s_branch .LBB521_912
.LBB521_907:
	s_mov_b64 s[12:13], -1
                                        ; implicit-def: $vgpr1
	s_branch .LBB521_918
.LBB521_908:
	s_or_saveexec_b64 s[16:17], s[16:17]
	v_mov_b32_e32 v1, 0x7f800001
	s_xor_b64 exec, exec, s[16:17]
	s_cbranch_execz .LBB521_891
.LBB521_909:
	v_cmp_ne_u16_e32 vcc, 0, v4
	s_andn2_b64 s[14:15], s[14:15], exec
	s_and_b64 s[18:19], vcc, exec
	v_mov_b32_e32 v1, 0
	s_or_b64 s[14:15], s[14:15], s[18:19]
	s_or_b64 exec, exec, s[16:17]
	s_and_saveexec_b64 s[16:17], s[14:15]
	s_cbranch_execnz .LBB521_892
	s_branch .LBB521_893
.LBB521_910:
	s_mov_b64 s[12:13], -1
                                        ; implicit-def: $vgpr1
	s_branch .LBB521_915
.LBB521_911:
	s_mov_b64 s[12:13], -1
                                        ; implicit-def: $vgpr1
.LBB521_912:
	s_and_b64 vcc, exec, s[12:13]
	s_cbranch_vccz .LBB521_914
; %bb.913:
	global_load_ubyte v1, v[2:3], off
	s_mov_b32 s12, 0x7f800000
	s_waitcnt vmcnt(0)
	v_lshlrev_b32_e32 v1, 24, v1
	v_and_b32_e32 v4, 0x7f000000, v1
	v_ffbh_u32_e32 v5, v4
	v_min_u32_e32 v5, 32, v5
	v_sub_u32_e64 v5, v5, 4 clamp
	v_lshlrev_b32_e32 v7, v5, v4
	v_lshlrev_b32_e32 v5, 23, v5
	v_lshrrev_b32_e32 v7, 4, v7
	v_add_u32_e32 v6, 0x1000000, v4
	v_sub_u32_e32 v5, v7, v5
	v_ashrrev_i32_e32 v6, 8, v6
	v_add_u32_e32 v5, 0x3c000000, v5
	v_and_or_b32 v5, v6, s12, v5
	v_cmp_ne_u32_e32 vcc, 0, v4
	s_brev_b32 s12, 1
	s_nop 0
	v_cndmask_b32_e32 v4, 0, v5, vcc
	v_and_or_b32 v1, v1, s12, v4
.LBB521_914:
	s_mov_b64 s[12:13], 0
.LBB521_915:
	s_andn2_b64 vcc, exec, s[12:13]
	s_cbranch_vccnz .LBB521_917
; %bb.916:
	global_load_ubyte v1, v[2:3], off
	s_movk_i32 s12, 0x7f00
	s_brev_b32 s13, 16
	s_waitcnt vmcnt(0)
	v_lshlrev_b16_e32 v4, 8, v1
	v_lshlrev_b32_e32 v1, 25, v1
	v_lshrrev_b32_e32 v5, 4, v1
	v_and_or_b32 v6, v4, s12, 0.5
	v_or_b32_e32 v5, 0x70000000, v5
	v_add_f32_e32 v6, -0.5, v6
	v_mul_f32_e32 v5, 0x7800000, v5
	v_cmp_gt_u32_e32 vcc, s13, v1
	v_bfe_i32 v4, v4, 0, 16
	s_brev_b32 s12, 1
	v_cndmask_b32_e32 v1, v5, v6, vcc
	v_and_or_b32 v1, v4, s12, v1
.LBB521_917:
	s_mov_b64 s[12:13], 0
	s_mov_b64 s[14:15], -1
.LBB521_918:
	s_andn2_b64 vcc, exec, s[12:13]
	s_mov_b64 s[12:13], 0
	s_cbranch_vccnz .LBB521_929
; %bb.919:
	s_cmp_gt_i32 s20, 14
	s_cbranch_scc0 .LBB521_922
; %bb.920:
	s_cmp_eq_u32 s20, 15
	s_cbranch_scc0 .LBB521_925
; %bb.921:
	global_load_ushort v1, v[2:3], off
	s_mov_b64 s[6:7], 0
	s_mov_b64 s[14:15], -1
	s_waitcnt vmcnt(0)
	v_lshlrev_b32_e32 v1, 16, v1
	s_branch .LBB521_926
.LBB521_922:
	s_mov_b64 s[16:17], -1
                                        ; implicit-def: $vgpr1
	s_branch .LBB521_927
.LBB521_923:
	s_or_saveexec_b64 s[14:15], s[14:15]
	v_mov_b32_e32 v1, 0x7f800001
	s_xor_b64 exec, exec, s[14:15]
	s_cbranch_execz .LBB521_904
.LBB521_924:
	v_cmp_ne_u16_e32 vcc, 0, v4
	s_andn2_b64 s[12:13], s[12:13], exec
	s_and_b64 s[16:17], vcc, exec
	v_mov_b32_e32 v1, 0
	s_or_b64 s[12:13], s[12:13], s[16:17]
	s_or_b64 exec, exec, s[14:15]
	s_and_saveexec_b64 s[14:15], s[12:13]
	s_cbranch_execnz .LBB521_905
	s_branch .LBB521_906
.LBB521_925:
	s_mov_b64 s[6:7], -1
                                        ; implicit-def: $vgpr1
.LBB521_926:
	s_mov_b64 s[16:17], 0
.LBB521_927:
	s_and_b64 vcc, exec, s[16:17]
	s_cbranch_vccz .LBB521_929
; %bb.928:
	s_cmp_lg_u32 s20, 11
	s_cselect_b64 s[16:17], -1, 0
	s_andn2_b64 s[6:7], s[6:7], exec
	s_and_b64 s[16:17], s[16:17], exec
	s_mov_b64 s[12:13], -1
	s_or_b64 s[6:7], s[6:7], s[16:17]
.LBB521_929:
	s_mov_b64 s[18:19], 0
.LBB521_930:
	s_and_b64 s[16:17], s[14:15], exec
	s_and_b64 s[14:15], s[18:19], exec
	s_andn2_b64 s[18:19], s[2:3], exec
	s_and_b64 s[6:7], s[6:7], exec
	s_and_b64 s[12:13], s[12:13], exec
	s_or_b64 s[18:19], s[18:19], s[6:7]
.LBB521_931:
	s_or_b64 exec, exec, s[74:75]
	s_andn2_b64 s[2:3], s[2:3], exec
	s_and_b64 s[6:7], s[18:19], exec
	s_and_b64 s[16:17], s[16:17], exec
	;; [unrolled: 1-line block ×4, first 2 shown]
	s_or_b64 s[2:3], s[2:3], s[6:7]
.LBB521_932:
	s_or_b64 exec, exec, s[70:71]
	s_andn2_b64 s[6:7], s[66:67], exec
	s_and_b64 s[18:19], s[72:73], exec
	s_or_b64 s[66:67], s[6:7], s[18:19]
	s_andn2_b64 s[6:7], s[64:65], exec
	s_and_b64 s[2:3], s[2:3], exec
	s_and_b64 s[16:17], s[16:17], exec
	;; [unrolled: 1-line block ×4, first 2 shown]
	s_or_b64 s[64:65], s[6:7], s[2:3]
.LBB521_933:
	s_or_b64 exec, exec, s[68:69]
	s_andn2_b64 s[2:3], s[58:59], exec
	s_and_b64 s[6:7], s[66:67], exec
	s_or_b64 s[58:59], s[2:3], s[6:7]
	s_and_b64 s[66:67], s[12:13], exec
	s_andn2_b64 s[6:7], s[60:61], exec
	s_and_b64 s[12:13], s[64:65], exec
	s_and_b64 s[2:3], s[16:17], exec
	;; [unrolled: 1-line block ×3, first 2 shown]
	s_or_b64 s[60:61], s[6:7], s[12:13]
	s_or_b64 exec, exec, s[62:63]
	s_mov_b64 s[6:7], 0
	s_and_saveexec_b64 s[12:13], s[60:61]
	s_cbranch_execz .LBB521_280
.LBB521_934:
	s_mov_b64 s[6:7], exec
	s_andn2_b64 s[66:67], s[66:67], exec
	s_trap 2
	s_or_b64 exec, exec, s[12:13]
	s_and_saveexec_b64 s[12:13], s[66:67]
	s_xor_b64 s[12:13], exec, s[12:13]
	s_cbranch_execnz .LBB521_281
.LBB521_935:
	s_or_b64 exec, exec, s[12:13]
	s_and_saveexec_b64 s[12:13], s[14:15]
	s_cbranch_execz .LBB521_981
.LBB521_936:
	s_sext_i32_i16 s14, s11
	s_cmp_lt_i32 s14, 5
	s_cbranch_scc1 .LBB521_941
; %bb.937:
	s_cmp_lt_i32 s14, 8
	s_cbranch_scc1 .LBB521_942
; %bb.938:
	;; [unrolled: 3-line block ×3, first 2 shown]
	s_cmp_gt_i32 s14, 9
	s_cbranch_scc0 .LBB521_944
; %bb.940:
	global_load_dwordx2 v[4:5], v[2:3], off
	s_mov_b64 s[14:15], 0
	s_waitcnt vmcnt(0)
	v_cvt_f32_f64_e32 v1, v[4:5]
	s_branch .LBB521_945
.LBB521_941:
                                        ; implicit-def: $vgpr1
	s_branch .LBB521_962
.LBB521_942:
                                        ; implicit-def: $vgpr1
	s_branch .LBB521_951
.LBB521_943:
	s_mov_b64 s[14:15], -1
                                        ; implicit-def: $vgpr1
	s_branch .LBB521_948
.LBB521_944:
	s_mov_b64 s[14:15], -1
                                        ; implicit-def: $vgpr1
.LBB521_945:
	s_andn2_b64 vcc, exec, s[14:15]
	s_cbranch_vccnz .LBB521_947
; %bb.946:
	global_load_dword v1, v[2:3], off
.LBB521_947:
	s_mov_b64 s[14:15], 0
.LBB521_948:
	s_andn2_b64 vcc, exec, s[14:15]
	s_cbranch_vccnz .LBB521_950
; %bb.949:
	global_load_dword v1, v[2:3], off
	s_waitcnt vmcnt(0)
	v_cvt_f32_f16_e32 v1, v1
.LBB521_950:
	s_cbranch_execnz .LBB521_961
.LBB521_951:
	s_sext_i32_i16 s14, s11
	s_cmp_lt_i32 s14, 6
	s_cbranch_scc1 .LBB521_954
; %bb.952:
	s_cmp_gt_i32 s14, 6
	s_cbranch_scc0 .LBB521_955
; %bb.953:
	global_load_dwordx2 v[4:5], v[2:3], off
	s_mov_b64 s[14:15], 0
	s_waitcnt vmcnt(0)
	v_cvt_f32_f64_e32 v1, v[4:5]
	s_branch .LBB521_956
.LBB521_954:
	s_mov_b64 s[14:15], -1
                                        ; implicit-def: $vgpr1
	s_branch .LBB521_959
.LBB521_955:
	s_mov_b64 s[14:15], -1
                                        ; implicit-def: $vgpr1
.LBB521_956:
	s_andn2_b64 vcc, exec, s[14:15]
	s_cbranch_vccnz .LBB521_958
; %bb.957:
	global_load_dword v1, v[2:3], off
.LBB521_958:
	s_mov_b64 s[14:15], 0
.LBB521_959:
	s_andn2_b64 vcc, exec, s[14:15]
	s_cbranch_vccnz .LBB521_961
; %bb.960:
	global_load_ushort v1, v[2:3], off
	s_waitcnt vmcnt(0)
	v_cvt_f32_f16_e32 v1, v1
.LBB521_961:
	s_cbranch_execnz .LBB521_980
.LBB521_962:
	s_sext_i32_i16 s14, s11
	s_cmp_lt_i32 s14, 2
	s_cbranch_scc1 .LBB521_966
; %bb.963:
	s_cmp_lt_i32 s14, 3
	s_cbranch_scc1 .LBB521_967
; %bb.964:
	s_cmp_gt_i32 s14, 3
	s_cbranch_scc0 .LBB521_968
; %bb.965:
	global_load_dwordx2 v[4:5], v[2:3], off
	s_mov_b64 s[14:15], 0
	s_waitcnt vmcnt(0)
	v_xor_b32_e32 v6, v4, v5
	v_ffbh_i32_e32 v1, v5
	v_ashrrev_i32_e32 v6, 31, v6
	v_add_u32_e32 v1, -1, v1
	v_add_u32_e32 v6, 32, v6
	v_min_u32_e32 v1, v1, v6
	v_lshlrev_b64 v[4:5], v1, v[4:5]
	v_min_u32_e32 v4, 1, v4
	v_or_b32_e32 v4, v5, v4
	v_cvt_f32_i32_e32 v4, v4
	v_sub_u32_e32 v1, 32, v1
	v_ldexp_f32 v1, v4, v1
	s_branch .LBB521_969
.LBB521_966:
                                        ; implicit-def: $vgpr1
	s_branch .LBB521_975
.LBB521_967:
	s_mov_b64 s[14:15], -1
                                        ; implicit-def: $vgpr1
	s_branch .LBB521_972
.LBB521_968:
	s_mov_b64 s[14:15], -1
                                        ; implicit-def: $vgpr1
.LBB521_969:
	s_andn2_b64 vcc, exec, s[14:15]
	s_cbranch_vccnz .LBB521_971
; %bb.970:
	global_load_dword v1, v[2:3], off
	s_waitcnt vmcnt(0)
	v_cvt_f32_i32_e32 v1, v1
.LBB521_971:
	s_mov_b64 s[14:15], 0
.LBB521_972:
	s_andn2_b64 vcc, exec, s[14:15]
	s_cbranch_vccnz .LBB521_974
; %bb.973:
	global_load_sshort v1, v[2:3], off
	s_waitcnt vmcnt(0)
	v_cvt_f32_i32_e32 v1, v1
.LBB521_974:
	s_cbranch_execnz .LBB521_980
.LBB521_975:
	s_sext_i32_i16 s11, s11
	s_cmp_gt_i32 s11, 0
	s_cbranch_scc0 .LBB521_977
; %bb.976:
	global_load_sbyte v1, v[2:3], off
	s_mov_b64 s[14:15], 0
	s_waitcnt vmcnt(0)
	v_cvt_f32_i32_e32 v1, v1
	s_branch .LBB521_978
.LBB521_977:
	s_mov_b64 s[14:15], -1
                                        ; implicit-def: $vgpr1
.LBB521_978:
	s_andn2_b64 vcc, exec, s[14:15]
	s_cbranch_vccnz .LBB521_980
; %bb.979:
	global_load_ubyte v1, v[2:3], off
	s_waitcnt vmcnt(0)
	v_cvt_f32_ubyte0_e32 v1, v1
.LBB521_980:
	s_or_b64 s[2:3], s[2:3], exec
.LBB521_981:
	s_or_b64 exec, exec, s[12:13]
	s_mov_b64 s[16:17], 0
	s_mov_b64 s[14:15], 0
                                        ; implicit-def: $sgpr18
                                        ; implicit-def: $vgpr4_vgpr5
                                        ; implicit-def: $vgpr2
	s_and_saveexec_b64 s[12:13], s[2:3]
	s_cbranch_execz .LBB521_1003
; %bb.982:
	s_waitcnt vmcnt(0)
	v_cmp_o_f32_e32 vcc, v1, v1
	v_mov_b32_e32 v2, s8
	s_and_saveexec_b64 s[2:3], vcc
	s_cbranch_execz .LBB521_986
; %bb.983:
	s_mov_b32 s8, 0x7f800000
	v_cmp_neq_f32_e32 vcc, s8, v1
	v_mov_b32_e32 v2, s9
	s_and_saveexec_b64 s[8:9], vcc
; %bb.984:
	s_mov_b32 s11, 0xff800000
	v_mov_b32_e32 v2, s10
	v_cmp_eq_f32_e32 vcc, s11, v1
	s_nop 1
	v_cndmask_b32_e32 v2, v1, v2, vcc
; %bb.985:
	s_or_b64 exec, exec, s[8:9]
.LBB521_986:
	s_or_b64 exec, exec, s[2:3]
	v_mov_b32_e32 v1, 0
	s_and_b32 s18, s77, 0xff
	s_cmp_lt_i32 s18, 11
	v_lshl_add_u64 v[4:5], s[4:5], 0, v[0:1]
	s_cbranch_scc1 .LBB521_1006
; %bb.987:
	s_and_b32 s16, 0xffff, s18
	s_mov_b64 s[8:9], -1
	s_cmp_gt_i32 s16, 25
	s_mov_b64 s[2:3], s[58:59]
	s_cbranch_scc0 .LBB521_1024
; %bb.988:
	s_mov_b64 s[4:5], -1
	s_cmp_gt_i32 s16, 28
	s_mov_b64 s[2:3], s[58:59]
	s_cbranch_scc0 .LBB521_1008
; %bb.989:
	s_cmp_gt_i32 s16, 43
	s_mov_b64 s[2:3], s[58:59]
	s_cbranch_scc0 .LBB521_1000
; %bb.990:
	;; [unrolled: 4-line block ×3, first 2 shown]
	s_cmp_eq_u32 s16, 46
	s_mov_b64 s[2:3], -1
	s_cbranch_scc0 .LBB521_993
; %bb.992:
	v_bfe_u32 v0, v2, 16, 1
	s_movk_i32 s2, 0x7fff
	v_add3_u32 v0, v2, v0, s2
	v_cmp_o_f32_e32 vcc, v2, v2
	v_mov_b32_e32 v1, 0x7fc0
	s_mov_b64 s[2:3], 0
	v_cndmask_b32_sdwa v0, v1, v0, vcc dst_sel:DWORD dst_unused:UNUSED_PAD src0_sel:DWORD src1_sel:WORD_1
	global_store_dword v[4:5], v0, off
.LBB521_993:
	s_mov_b64 s[4:5], 0
.LBB521_994:
	s_and_b64 vcc, exec, s[4:5]
	s_cbranch_vccz .LBB521_999
; %bb.995:
	s_cmp_eq_u32 s16, 44
	s_mov_b64 s[2:3], -1
	s_cbranch_scc0 .LBB521_999
; %bb.996:
	v_bfe_u32 v0, v2, 23, 8
	s_movk_i32 s2, 0xff
	v_cmp_ne_u32_e32 vcc, s2, v0
	v_mov_b32_e32 v1, 0xff
	s_and_saveexec_b64 s[4:5], vcc
; %bb.997:
	s_mov_b32 s2, 0x3fffff
	v_and_b32_e32 v3, 0x400000, v2
	v_and_or_b32 v0, v2, s2, v0
	v_cmp_ne_u32_e32 vcc, 0, v3
	v_cmp_ne_u32_e64 s[2:3], 0, v0
	s_and_b64 s[2:3], vcc, s[2:3]
	v_lshrrev_b32_e32 v1, 23, v2
	v_cndmask_b32_e64 v0, 0, 1, s[2:3]
	v_add_u32_e32 v1, v1, v0
; %bb.998:
	s_or_b64 exec, exec, s[4:5]
	s_mov_b64 s[2:3], 0
	global_store_byte v[4:5], v1, off
.LBB521_999:
	s_mov_b64 s[4:5], 0
.LBB521_1000:
	s_and_b64 vcc, exec, s[4:5]
	s_cbranch_vccz .LBB521_1007
; %bb.1001:
	s_cmp_eq_u32 s16, 29
	s_mov_b64 s[2:3], -1
	s_cbranch_scc0 .LBB521_1007
; %bb.1002:
	v_trunc_f32_e32 v0, v2
	v_mul_f32_e32 v1, 0x2f800000, v0
	v_floor_f32_e32 v3, v1
	v_fmamk_f32 v0, v3, 0xcf800000, v0
	v_cvt_u32_f32_e32 v1, v3
	v_cvt_u32_f32_e32 v0, v0
	s_mov_b64 s[2:3], 0
	s_mov_b64 s[4:5], 0
	global_store_dwordx2 v[4:5], v[0:1], off
	s_branch .LBB521_1008
.LBB521_1003:
	s_or_b64 exec, exec, s[12:13]
	s_and_saveexec_b64 s[2:3], s[58:59]
	s_cbranch_execnz .LBB521_1066
.LBB521_1004:
	s_or_b64 exec, exec, s[2:3]
	s_and_saveexec_b64 s[2:3], s[16:17]
	s_xor_b64 s[2:3], exec, s[2:3]
	s_cbranch_execz .LBB521_1067
.LBB521_1005:
	v_cmp_neq_f32_e32 vcc, 0, v2
	s_nop 1
	v_cndmask_b32_e64 v0, 0, 1, vcc
	global_store_byte v[4:5], v0, off
	s_or_b64 exec, exec, s[2:3]
	s_and_saveexec_b64 s[2:3], s[14:15]
	s_xor_b64 s[2:3], exec, s[2:3]
	s_cbranch_execz .LBB521_1105
	s_branch .LBB521_1068
.LBB521_1006:
	s_mov_b64 s[8:9], 0
	s_mov_b64 s[4:5], -1
	s_mov_b64 s[2:3], s[58:59]
	s_branch .LBB521_1065
.LBB521_1007:
	s_mov_b64 s[4:5], 0
.LBB521_1008:
	s_and_b64 vcc, exec, s[4:5]
	s_cbranch_vccz .LBB521_1023
; %bb.1009:
	s_cmp_lt_i32 s16, 27
	s_mov_b64 s[4:5], -1
	s_cbranch_scc1 .LBB521_1015
; %bb.1010:
	s_cmp_gt_i32 s16, 27
	s_cbranch_scc0 .LBB521_1012
; %bb.1011:
	v_cvt_u32_f32_e32 v0, v2
	s_mov_b64 s[4:5], 0
	global_store_dword v[4:5], v0, off
.LBB521_1012:
	s_andn2_b64 vcc, exec, s[4:5]
	s_cbranch_vccnz .LBB521_1014
; %bb.1013:
	v_cvt_u32_f32_e32 v0, v2
	global_store_short v[4:5], v0, off
.LBB521_1014:
	s_mov_b64 s[4:5], 0
.LBB521_1015:
	s_andn2_b64 vcc, exec, s[4:5]
	s_cbranch_vccnz .LBB521_1023
; %bb.1016:
	v_and_b32_e32 v0, 0x7fffffff, v2
	s_mov_b32 s4, 0x43800000
	v_cmp_gt_u32_e32 vcc, s4, v0
	v_mov_b32_e32 v1, 0x80
	s_and_saveexec_b64 s[4:5], vcc
	s_cbranch_execz .LBB521_1022
; %bb.1017:
	s_mov_b32 s8, 0x3bffffff
	v_cmp_lt_u32_e32 vcc, s8, v0
	s_mov_b64 s[8:9], 0
                                        ; implicit-def: $vgpr0
	s_and_saveexec_b64 s[10:11], vcc
	s_xor_b64 s[10:11], exec, s[10:11]
	s_cbranch_execz .LBB521_1176
; %bb.1018:
	v_bfe_u32 v0, v2, 20, 1
	s_mov_b32 s14, 0x487ffff
	v_add3_u32 v0, v2, v0, s14
	s_mov_b64 s[8:9], exec
	v_lshrrev_b32_e32 v0, 20, v0
	s_andn2_saveexec_b64 s[10:11], s[10:11]
	s_cbranch_execnz .LBB521_1177
.LBB521_1019:
	s_or_b64 exec, exec, s[10:11]
	v_mov_b32_e32 v1, 0
	s_and_saveexec_b64 s[10:11], s[8:9]
.LBB521_1020:
	v_lshrrev_b32_e32 v1, 24, v2
	s_movk_i32 s8, 0x80
	v_and_or_b32 v1, v1, s8, v0
.LBB521_1021:
	s_or_b64 exec, exec, s[10:11]
.LBB521_1022:
	s_or_b64 exec, exec, s[4:5]
	global_store_byte v[4:5], v1, off
.LBB521_1023:
	s_mov_b64 s[8:9], 0
.LBB521_1024:
	s_mov_b64 s[4:5], 0
	s_and_b64 vcc, exec, s[8:9]
	s_cbranch_vccz .LBB521_1064
; %bb.1025:
	s_cmp_gt_i32 s16, 22
	s_mov_b64 s[8:9], -1
	s_cbranch_scc0 .LBB521_1057
; %bb.1026:
	s_cmp_lt_i32 s16, 24
	s_cbranch_scc1 .LBB521_1046
; %bb.1027:
	s_cmp_gt_i32 s16, 24
	s_cbranch_scc0 .LBB521_1035
; %bb.1028:
	v_and_b32_e32 v0, 0x7fffffff, v2
	s_mov_b32 s8, 0x47800000
	v_cmp_gt_u32_e32 vcc, s8, v0
	v_mov_b32_e32 v1, 0x80
	s_and_saveexec_b64 s[8:9], vcc
	s_cbranch_execz .LBB521_1034
; %bb.1029:
	s_mov_b32 s10, 0x37ffffff
	v_cmp_lt_u32_e32 vcc, s10, v0
	s_mov_b64 s[10:11], 0
                                        ; implicit-def: $vgpr0
	s_and_saveexec_b64 s[14:15], vcc
	s_xor_b64 s[14:15], exec, s[14:15]
	s_cbranch_execz .LBB521_1305
; %bb.1030:
	v_bfe_u32 v0, v2, 21, 1
	s_mov_b32 s17, 0x88fffff
	v_add3_u32 v0, v2, v0, s17
	s_mov_b64 s[10:11], exec
	v_lshrrev_b32_e32 v0, 21, v0
	s_andn2_saveexec_b64 s[14:15], s[14:15]
	s_cbranch_execnz .LBB521_1306
.LBB521_1031:
	s_or_b64 exec, exec, s[14:15]
	v_mov_b32_e32 v1, 0
	s_and_saveexec_b64 s[14:15], s[10:11]
.LBB521_1032:
	v_lshrrev_b32_e32 v1, 24, v2
	s_movk_i32 s10, 0x80
	v_and_or_b32 v1, v1, s10, v0
.LBB521_1033:
	s_or_b64 exec, exec, s[14:15]
.LBB521_1034:
	s_or_b64 exec, exec, s[8:9]
	s_mov_b64 s[8:9], 0
	global_store_byte v[4:5], v1, off
.LBB521_1035:
	s_and_b64 vcc, exec, s[8:9]
	s_cbranch_vccz .LBB521_1045
; %bb.1036:
	v_and_b32_e32 v1, 0x7fffffff, v2
	s_mov_b32 s8, 0x43f00000
	v_cmp_gt_u32_e32 vcc, s8, v1
                                        ; implicit-def: $vgpr0
	s_and_saveexec_b64 s[8:9], vcc
	s_xor_b64 s[8:9], exec, s[8:9]
	s_cbranch_execz .LBB521_1042
; %bb.1037:
	s_mov_b32 s10, 0x3c7fffff
	v_cmp_lt_u32_e32 vcc, s10, v1
                                        ; implicit-def: $vgpr0
	s_and_saveexec_b64 s[10:11], vcc
	s_xor_b64 s[10:11], exec, s[10:11]
; %bb.1038:
	v_bfe_u32 v0, v2, 20, 1
	s_mov_b32 s14, 0x407ffff
	v_add3_u32 v0, v2, v0, s14
	v_lshrrev_b32_e32 v1, 20, v0
	v_and_b32_e32 v0, 0xff00000, v0
	s_mov_b32 s14, 0x7f00000
	v_mov_b32_e32 v3, 0x7e
	v_cmp_ne_u32_e32 vcc, s14, v0
	s_nop 1
	v_cndmask_b32_e32 v0, v3, v1, vcc
; %bb.1039:
	s_andn2_saveexec_b64 s[10:11], s[10:11]
; %bb.1040:
	s_mov_b32 s14, 0x46800000
	v_add_f32_e64 v0, |v2|, s14
; %bb.1041:
	s_or_b64 exec, exec, s[10:11]
                                        ; implicit-def: $vgpr1
.LBB521_1042:
	s_andn2_saveexec_b64 s[8:9], s[8:9]
; %bb.1043:
	s_mov_b32 s10, 0x7f800000
	v_mov_b32_e32 v0, 0x7e
	v_mov_b32_e32 v3, 0x7f
	v_cmp_lt_u32_e32 vcc, s10, v1
	s_nop 1
	v_cndmask_b32_e32 v0, v0, v3, vcc
; %bb.1044:
	s_or_b64 exec, exec, s[8:9]
	v_lshrrev_b32_e32 v1, 24, v2
	s_movk_i32 s8, 0x80
	v_and_or_b32 v0, v1, s8, v0
	global_store_byte v[4:5], v0, off
.LBB521_1045:
	s_mov_b64 s[8:9], 0
.LBB521_1046:
	s_andn2_b64 vcc, exec, s[8:9]
	s_cbranch_vccnz .LBB521_1056
; %bb.1047:
	v_and_b32_e32 v1, 0x7fffffff, v2
	s_mov_b32 s8, 0x47800000
	v_cmp_gt_u32_e32 vcc, s8, v1
                                        ; implicit-def: $vgpr0
	s_and_saveexec_b64 s[8:9], vcc
	s_xor_b64 s[8:9], exec, s[8:9]
	s_cbranch_execz .LBB521_1053
; %bb.1048:
	s_mov_b32 s10, 0x387fffff
	v_cmp_lt_u32_e32 vcc, s10, v1
                                        ; implicit-def: $vgpr0
	s_and_saveexec_b64 s[10:11], vcc
	s_xor_b64 s[10:11], exec, s[10:11]
; %bb.1049:
	v_bfe_u32 v0, v2, 21, 1
	s_mov_b32 s14, 0x80fffff
	v_add3_u32 v0, v2, v0, s14
	v_lshrrev_b32_e32 v0, 21, v0
; %bb.1050:
	s_andn2_saveexec_b64 s[10:11], s[10:11]
; %bb.1051:
	s_mov_b32 s14, 0x43000000
	v_add_f32_e64 v0, |v2|, s14
; %bb.1052:
	s_or_b64 exec, exec, s[10:11]
                                        ; implicit-def: $vgpr1
.LBB521_1053:
	s_andn2_saveexec_b64 s[8:9], s[8:9]
; %bb.1054:
	s_mov_b32 s10, 0x7f800000
	v_mov_b32_e32 v0, 0x7c
	v_mov_b32_e32 v3, 0x7f
	v_cmp_lt_u32_e32 vcc, s10, v1
	s_nop 1
	v_cndmask_b32_e32 v0, v0, v3, vcc
; %bb.1055:
	s_or_b64 exec, exec, s[8:9]
	v_lshrrev_b32_e32 v1, 24, v2
	s_movk_i32 s8, 0x80
	v_and_or_b32 v0, v1, s8, v0
	global_store_byte v[4:5], v0, off
.LBB521_1056:
	s_mov_b64 s[8:9], 0
.LBB521_1057:
	s_andn2_b64 vcc, exec, s[8:9]
	s_mov_b64 s[8:9], 0
	s_cbranch_vccnz .LBB521_1065
; %bb.1058:
	s_cmp_gt_i32 s16, 14
	s_mov_b64 s[10:11], -1
	s_cbranch_scc0 .LBB521_1062
; %bb.1059:
	s_cmp_eq_u32 s16, 15
	s_mov_b64 s[2:3], -1
	s_cbranch_scc0 .LBB521_1061
; %bb.1060:
	v_bfe_u32 v0, v2, 16, 1
	s_movk_i32 s2, 0x7fff
	v_add3_u32 v0, v2, v0, s2
	v_cmp_o_f32_e32 vcc, v2, v2
	v_mov_b32_e32 v1, 0x7fc0
	s_mov_b64 s[2:3], 0
	v_cndmask_b32_sdwa v0, v1, v0, vcc dst_sel:DWORD dst_unused:UNUSED_PAD src0_sel:DWORD src1_sel:WORD_1
	global_store_short v[4:5], v0, off
.LBB521_1061:
	s_mov_b64 s[10:11], 0
.LBB521_1062:
	s_and_b64 vcc, exec, s[10:11]
	s_cbranch_vccz .LBB521_1065
; %bb.1063:
	s_cmp_lg_u32 s16, 11
	s_cselect_b64 s[10:11], -1, 0
	s_andn2_b64 s[2:3], s[2:3], exec
	s_and_b64 s[10:11], s[10:11], exec
	s_mov_b64 s[8:9], -1
	s_or_b64 s[2:3], s[2:3], s[10:11]
	s_branch .LBB521_1065
.LBB521_1064:
	s_mov_b64 s[8:9], 0
.LBB521_1065:
	s_and_b64 s[14:15], s[4:5], exec
	s_andn2_b64 s[4:5], s[58:59], exec
	s_and_b64 s[2:3], s[2:3], exec
	s_and_b64 s[16:17], s[8:9], exec
	s_or_b64 s[58:59], s[4:5], s[2:3]
	s_or_b64 exec, exec, s[12:13]
	s_and_saveexec_b64 s[2:3], s[58:59]
	s_cbranch_execz .LBB521_1004
.LBB521_1066:
	s_or_b64 s[6:7], s[6:7], exec
	s_andn2_b64 s[16:17], s[16:17], exec
	s_trap 2
	s_or_b64 exec, exec, s[2:3]
	s_and_saveexec_b64 s[2:3], s[16:17]
	s_xor_b64 s[2:3], exec, s[2:3]
	s_cbranch_execnz .LBB521_1005
.LBB521_1067:
	s_or_b64 exec, exec, s[2:3]
	s_and_saveexec_b64 s[2:3], s[14:15]
	s_xor_b64 s[2:3], exec, s[2:3]
	s_cbranch_execz .LBB521_1105
.LBB521_1068:
	s_sext_i32_i16 s8, s18
	s_cmp_lt_i32 s8, 5
	s_mov_b64 s[4:5], -1
	s_cbranch_scc1 .LBB521_1089
; %bb.1069:
	s_cmp_lt_i32 s8, 8
	s_cbranch_scc1 .LBB521_1079
; %bb.1070:
	s_cmp_lt_i32 s8, 9
	s_cbranch_scc1 .LBB521_1076
; %bb.1071:
	s_cmp_gt_i32 s8, 9
	s_cbranch_scc0 .LBB521_1073
; %bb.1072:
	v_mov_b32_e32 v8, 0
	v_cvt_f64_f32_e32 v[6:7], v2
	v_mov_b32_e32 v9, v8
	s_mov_b64 s[4:5], 0
	global_store_dwordx4 v[4:5], v[6:9], off
.LBB521_1073:
	s_andn2_b64 vcc, exec, s[4:5]
	s_cbranch_vccnz .LBB521_1075
; %bb.1074:
	v_mov_b32_e32 v3, 0
	global_store_dwordx2 v[4:5], v[2:3], off
.LBB521_1075:
	s_mov_b64 s[4:5], 0
.LBB521_1076:
	s_andn2_b64 vcc, exec, s[4:5]
	s_cbranch_vccnz .LBB521_1078
; %bb.1077:
	v_cvt_f16_f32_e32 v0, v2
	global_store_dword v[4:5], v0, off
.LBB521_1078:
	s_mov_b64 s[4:5], 0
.LBB521_1079:
	s_andn2_b64 vcc, exec, s[4:5]
	s_cbranch_vccnz .LBB521_1088
; %bb.1080:
	s_sext_i32_i16 s8, s18
	s_cmp_lt_i32 s8, 6
	s_mov_b64 s[4:5], -1
	s_cbranch_scc1 .LBB521_1086
; %bb.1081:
	s_cmp_gt_i32 s8, 6
	s_cbranch_scc0 .LBB521_1083
; %bb.1082:
	s_waitcnt vmcnt(0)
	v_cvt_f64_f32_e32 v[0:1], v2
	s_mov_b64 s[4:5], 0
	global_store_dwordx2 v[4:5], v[0:1], off
.LBB521_1083:
	s_andn2_b64 vcc, exec, s[4:5]
	s_cbranch_vccnz .LBB521_1085
; %bb.1084:
	global_store_dword v[4:5], v2, off
.LBB521_1085:
	s_mov_b64 s[4:5], 0
.LBB521_1086:
	s_andn2_b64 vcc, exec, s[4:5]
	s_cbranch_vccnz .LBB521_1088
; %bb.1087:
	v_cvt_f16_f32_e32 v0, v2
	global_store_short v[4:5], v0, off
.LBB521_1088:
	s_mov_b64 s[4:5], 0
.LBB521_1089:
	s_andn2_b64 vcc, exec, s[4:5]
	s_cbranch_vccnz .LBB521_1105
; %bb.1090:
	s_sext_i32_i16 s8, s18
	s_cmp_lt_i32 s8, 2
	s_mov_b64 s[4:5], -1
	s_cbranch_scc1 .LBB521_1100
; %bb.1091:
	s_cmp_lt_i32 s8, 3
	s_cbranch_scc1 .LBB521_1097
; %bb.1092:
	s_cmp_gt_i32 s8, 3
	s_cbranch_scc0 .LBB521_1094
; %bb.1093:
	v_trunc_f32_e32 v0, v2
	s_mov_b32 s4, 0x2f800000
	s_waitcnt vmcnt(0)
	v_mul_f32_e64 v1, |v0|, s4
	v_floor_f32_e32 v1, v1
	s_mov_b32 s4, 0xcf800000
	v_cvt_u32_f32_e32 v3, v1
	v_fma_f32 v1, v1, s4, |v0|
	v_cvt_u32_f32_e32 v1, v1
	v_ashrrev_i32_e32 v6, 31, v0
	v_xor_b32_e32 v3, v3, v6
	s_mov_b64 s[4:5], 0
	v_xor_b32_e32 v0, v1, v6
	v_sub_co_u32_e32 v0, vcc, v0, v6
	s_nop 1
	v_subb_co_u32_e32 v1, vcc, v3, v6, vcc
	global_store_dwordx2 v[4:5], v[0:1], off
.LBB521_1094:
	s_andn2_b64 vcc, exec, s[4:5]
	s_cbranch_vccnz .LBB521_1096
; %bb.1095:
	v_cvt_i32_f32_e32 v0, v2
	global_store_dword v[4:5], v0, off
.LBB521_1096:
	s_mov_b64 s[4:5], 0
.LBB521_1097:
	s_andn2_b64 vcc, exec, s[4:5]
	s_cbranch_vccnz .LBB521_1099
; %bb.1098:
	v_cvt_i32_f32_e32 v0, v2
	global_store_short v[4:5], v0, off
.LBB521_1099:
	s_mov_b64 s[4:5], 0
.LBB521_1100:
	s_andn2_b64 vcc, exec, s[4:5]
	s_cbranch_vccnz .LBB521_1105
; %bb.1101:
	s_sext_i32_i16 s4, s18
	s_cmp_gt_i32 s4, 0
	s_mov_b64 s[4:5], -1
	s_cbranch_scc0 .LBB521_1103
; %bb.1102:
	v_cvt_i32_f32_e32 v0, v2
	s_mov_b64 s[4:5], 0
	global_store_byte v[4:5], v0, off
.LBB521_1103:
	s_andn2_b64 vcc, exec, s[4:5]
	s_cbranch_vccnz .LBB521_1105
; %bb.1104:
	v_trunc_f32_e32 v0, v2
	s_mov_b32 s4, 0x2f800000
	s_waitcnt vmcnt(0)
	v_mul_f32_e64 v1, |v0|, s4
	v_floor_f32_e32 v1, v1
	s_mov_b32 s4, 0xcf800000
	v_fma_f32 v1, v1, s4, |v0|
	v_cvt_u32_f32_e32 v1, v1
	v_ashrrev_i32_e32 v0, 31, v0
	v_xor_b32_e32 v1, v1, v0
	v_sub_u32_e32 v0, v1, v0
	global_store_byte v[4:5], v0, off
.LBB521_1105:
	s_or_b64 exec, exec, s[2:3]
	s_and_b64 s[24:25], s[6:7], exec
                                        ; implicit-def: $vgpr16
                                        ; implicit-def: $vgpr9
.LBB521_1106:
	s_or_saveexec_b64 s[26:27], s[48:49]
	s_mov_b64 s[6:7], 0
                                        ; implicit-def: $vgpr0_vgpr1
                                        ; implicit-def: $sgpr14
                                        ; implicit-def: $vgpr8
	s_xor_b64 exec, exec, s[26:27]
	s_cbranch_execz .LBB521_1772
; %bb.1107:
	v_cndmask_b32_e64 v0, 0, 1, s[46:47]
	v_cmp_ne_u32_e64 s[2:3], 1, v0
	s_andn2_b64 vcc, exec, s[46:47]
	s_cbranch_vccnz .LBB521_1113
; %bb.1108:
	s_cmp_lg_u32 s33, 0
	s_mov_b32 s36, 0
	s_cbranch_scc0 .LBB521_1114
; %bb.1109:
	s_min_u32 s37, s76, 15
	s_add_i32 s37, s37, 1
	s_cmp_eq_u32 s76, 2
	s_cbranch_scc1 .LBB521_1115
; %bb.1110:
	s_and_b32 s36, s37, 28
	s_add_u32 s28, s34, 0xc4
	s_addc_u32 s29, s35, 0
	s_mov_b32 s38, 0
	v_mov_b32_e32 v6, 0
	v_mov_b32_e32 v10, 0
	s_mov_b64 s[30:31], s[34:35]
	v_mov_b32_e32 v0, v9
.LBB521_1111:                           ; =>This Inner Loop Header: Depth=1
	s_load_dwordx8 s[12:19], s[30:31], 0x4
	s_load_dwordx4 s[20:23], s[30:31], 0x24
	s_load_dwordx8 s[4:11], s[28:29], 0x0
	s_add_u32 s30, s30, 48
	s_addc_u32 s31, s31, 0
	s_waitcnt vmcnt(0) lgkmcnt(0)
	v_mul_hi_u32 v1, s13, v0
	v_add_u32_e32 v1, v0, v1
	v_lshrrev_b32_e32 v1, s14, v1
	v_mul_lo_u32 v2, v1, s12
	v_mul_hi_u32 v3, s16, v1
	v_sub_u32_e32 v0, v0, v2
	v_add_u32_e32 v2, v1, v3
	v_lshrrev_b32_e32 v2, s17, v2
	v_mul_lo_u32 v4, v2, s15
	v_mul_hi_u32 v5, s19, v2
	v_sub_u32_e32 v1, v1, v4
	v_add_u32_e32 v4, v2, v5
	v_mul_lo_u32 v3, v0, s5
	v_mul_lo_u32 v0, v0, s4
	v_mul_lo_u32 v5, v1, s7
	v_mul_lo_u32 v1, v1, s6
	v_lshrrev_b32_e32 v4, s20, v4
	v_add3_u32 v1, v0, v6, v1
	v_add3_u32 v3, v3, v10, v5
	v_mul_lo_u32 v0, v4, s18
	v_mul_hi_u32 v5, s22, v4
	v_sub_u32_e32 v0, v2, v0
	v_add_u32_e32 v2, v4, v5
	v_mul_lo_u32 v5, v0, s8
	v_mul_lo_u32 v6, v0, s9
	v_lshrrev_b32_e32 v0, s23, v2
	s_add_i32 s38, s38, 4
	v_mul_lo_u32 v2, v0, s21
	s_add_u32 s28, s28, 32
	v_sub_u32_e32 v2, v4, v2
	s_addc_u32 s29, s29, 0
	v_mul_lo_u32 v4, v2, s10
	v_mul_lo_u32 v2, v2, s11
	s_cmp_lg_u32 s36, s38
	v_add3_u32 v10, v6, v3, v2
	v_add3_u32 v6, v5, v1, v4
	s_cbranch_scc1 .LBB521_1111
; %bb.1112:
	v_mov_b32_e32 v1, v10
	s_and_b32 s8, s37, 3
	s_cmp_eq_u32 s8, 0
	s_cbranch_scc0 .LBB521_1116
	s_branch .LBB521_1118
.LBB521_1113:
                                        ; implicit-def: $vgpr10
                                        ; implicit-def: $vgpr6
	s_branch .LBB521_1119
.LBB521_1114:
	v_mov_b32_e32 v10, 0
	v_mov_b32_e32 v6, 0
	s_branch .LBB521_1118
.LBB521_1115:
	v_mov_b32_e32 v6, 0
                                        ; implicit-def: $vgpr10
	s_waitcnt vmcnt(0)
	v_mov_b32_e32 v1, v6
	v_mov_b32_e32 v0, v9
	s_and_b32 s8, s37, 3
	s_cmp_eq_u32 s8, 0
	s_cbranch_scc1 .LBB521_1118
.LBB521_1116:
	s_lshl_b32 s4, s36, 3
	s_add_u32 s4, s34, s4
	s_addc_u32 s5, s35, 0
	s_add_u32 s4, s4, 0xc4
	s_addc_u32 s5, s5, 0
	s_mul_i32 s6, s36, 12
	s_add_u32 s6, s34, s6
	s_addc_u32 s7, s35, 0
.LBB521_1117:                           ; =>This Inner Loop Header: Depth=1
	s_load_dwordx2 s[10:11], s[6:7], 0x4
	s_load_dword s9, s[6:7], 0xc
	s_load_dwordx2 s[12:13], s[4:5], 0x0
	v_mov_b32_e32 v2, v1
	s_add_u32 s6, s6, 12
	s_waitcnt lgkmcnt(0)
	v_mul_hi_u32 v1, s11, v0
	v_add_u32_e32 v1, v0, v1
	v_lshrrev_b32_e32 v1, s9, v1
	s_addc_u32 s7, s7, 0
	v_mul_lo_u32 v3, v1, s10
	s_add_u32 s4, s4, 8
	v_sub_u32_e32 v3, v0, v3
	s_addc_u32 s5, s5, 0
	s_add_i32 s8, s8, -1
	v_mad_u64_u32 v[10:11], s[10:11], v3, s13, v[2:3]
	s_cmp_lg_u32 s8, 0
	v_mov_b32_e32 v0, v1
	v_mad_u64_u32 v[6:7], s[10:11], v3, s12, v[6:7]
	v_mov_b32_e32 v1, v10
	s_cbranch_scc1 .LBB521_1117
.LBB521_1118:
	s_cbranch_execnz .LBB521_1121
.LBB521_1119:
	s_load_dwordx4 s[4:7], s[34:35], 0x4
	s_load_dwordx2 s[8:9], s[34:35], 0xc4
	s_cmp_lt_u32 s33, 2
	s_waitcnt lgkmcnt(0)
	v_mul_hi_u32 v0, s5, v9
	v_add_u32_e32 v0, v9, v0
	v_lshrrev_b32_e32 v0, s6, v0
	s_waitcnt vmcnt(0)
	v_mul_lo_u32 v1, v0, s4
	v_sub_u32_e32 v1, v9, v1
	v_mul_lo_u32 v10, v1, s9
	v_mul_lo_u32 v6, v1, s8
	s_cbranch_scc1 .LBB521_1121
; %bb.1120:
	s_load_dwordx4 s[4:7], s[34:35], 0x10
	s_load_dwordx2 s[8:9], s[34:35], 0xcc
	s_waitcnt lgkmcnt(0)
	v_mul_hi_u32 v1, s5, v0
	v_add_u32_e32 v1, v0, v1
	v_lshrrev_b32_e32 v1, s6, v1
	v_mul_lo_u32 v1, v1, s4
	v_sub_u32_e32 v0, v0, v1
	v_mad_u64_u32 v[6:7], s[4:5], v0, s8, v[6:7]
	v_mad_u64_u32 v[10:11], s[4:5], v0, s9, v[10:11]
.LBB521_1121:
	s_and_b64 vcc, exec, s[2:3]
	v_add_u32_e32 v0, 0x80, v9
	s_cbranch_vccnz .LBB521_1127
; %bb.1122:
	s_cmp_lg_u32 s33, 0
	s_mov_b32 s36, 0
	s_cbranch_scc0 .LBB521_1128
; %bb.1123:
	s_min_u32 s37, s76, 15
	s_add_i32 s37, s37, 1
	s_cmp_eq_u32 s76, 2
	s_cbranch_scc1 .LBB521_1129
; %bb.1124:
	s_and_b32 s36, s37, 28
	s_add_u32 s28, s34, 0xc4
	s_addc_u32 s29, s35, 0
	s_mov_b32 s38, 0
	v_mov_b32_e32 v4, 0
	v_mov_b32_e32 v12, 0
	s_mov_b64 s[30:31], s[34:35]
	v_mov_b32_e32 v2, v0
.LBB521_1125:                           ; =>This Inner Loop Header: Depth=1
	s_load_dwordx8 s[12:19], s[30:31], 0x4
	s_load_dwordx4 s[20:23], s[30:31], 0x24
	s_load_dwordx8 s[4:11], s[28:29], 0x0
	s_add_u32 s30, s30, 48
	s_addc_u32 s31, s31, 0
	s_waitcnt vmcnt(0) lgkmcnt(0)
	v_mul_hi_u32 v1, s13, v2
	v_add_u32_e32 v1, v2, v1
	v_lshrrev_b32_e32 v1, s14, v1
	v_mul_lo_u32 v3, v1, s12
	v_mul_hi_u32 v5, s16, v1
	v_sub_u32_e32 v2, v2, v3
	v_add_u32_e32 v3, v1, v5
	v_lshrrev_b32_e32 v3, s17, v3
	v_mul_lo_u32 v7, v3, s15
	v_mul_hi_u32 v8, s19, v3
	v_sub_u32_e32 v1, v1, v7
	v_add_u32_e32 v7, v3, v8
	v_mul_lo_u32 v5, v2, s5
	v_mul_lo_u32 v2, v2, s4
	;; [unrolled: 1-line block ×4, first 2 shown]
	v_lshrrev_b32_e32 v7, s20, v7
	v_add3_u32 v1, v2, v4, v1
	v_add3_u32 v4, v5, v12, v8
	v_mul_lo_u32 v2, v7, s18
	v_mul_hi_u32 v5, s22, v7
	v_sub_u32_e32 v2, v3, v2
	v_add_u32_e32 v3, v7, v5
	v_mul_lo_u32 v5, v2, s8
	v_mul_lo_u32 v8, v2, s9
	v_lshrrev_b32_e32 v2, s23, v3
	s_add_i32 s38, s38, 4
	v_mul_lo_u32 v3, v2, s21
	s_add_u32 s28, s28, 32
	v_sub_u32_e32 v3, v7, v3
	s_addc_u32 s29, s29, 0
	v_mul_lo_u32 v7, v3, s10
	v_mul_lo_u32 v3, v3, s11
	s_cmp_lg_u32 s36, s38
	v_add3_u32 v12, v8, v4, v3
	v_add3_u32 v4, v5, v1, v7
	s_cbranch_scc1 .LBB521_1125
; %bb.1126:
	v_mov_b32_e32 v1, v12
	s_and_b32 s8, s37, 3
	s_cmp_eq_u32 s8, 0
	s_cbranch_scc0 .LBB521_1130
	s_branch .LBB521_1132
.LBB521_1127:
                                        ; implicit-def: $vgpr12
                                        ; implicit-def: $vgpr4
	s_branch .LBB521_1133
.LBB521_1128:
	v_mov_b32_e32 v12, 0
	v_mov_b32_e32 v4, 0
	s_branch .LBB521_1132
.LBB521_1129:
	v_mov_b32_e32 v4, 0
                                        ; implicit-def: $vgpr12
	s_waitcnt vmcnt(0)
	v_mov_b32_e32 v1, v4
	v_mov_b32_e32 v2, v0
	s_and_b32 s8, s37, 3
	s_cmp_eq_u32 s8, 0
	s_cbranch_scc1 .LBB521_1132
.LBB521_1130:
	s_lshl_b32 s4, s36, 3
	s_add_u32 s4, s34, s4
	s_addc_u32 s5, s35, 0
	s_add_u32 s4, s4, 0xc4
	s_addc_u32 s5, s5, 0
	s_mul_i32 s6, s36, 12
	s_add_u32 s6, s34, s6
	s_addc_u32 s7, s35, 0
.LBB521_1131:                           ; =>This Inner Loop Header: Depth=1
	s_load_dwordx2 s[10:11], s[6:7], 0x4
	s_load_dword s9, s[6:7], 0xc
	s_load_dwordx2 s[12:13], s[4:5], 0x0
	v_mov_b32_e32 v8, v1
	s_add_u32 s6, s6, 12
	s_waitcnt lgkmcnt(0)
	v_mul_hi_u32 v1, s11, v2
	v_add_u32_e32 v1, v2, v1
	v_lshrrev_b32_e32 v1, s9, v1
	s_addc_u32 s7, s7, 0
	v_mul_lo_u32 v3, v1, s10
	s_add_u32 s4, s4, 8
	v_sub_u32_e32 v3, v2, v3
	s_addc_u32 s5, s5, 0
	s_add_i32 s8, s8, -1
	v_mad_u64_u32 v[12:13], s[10:11], v3, s13, v[8:9]
	s_cmp_lg_u32 s8, 0
	v_mov_b32_e32 v2, v1
	v_mad_u64_u32 v[4:5], s[10:11], v3, s12, v[4:5]
	v_mov_b32_e32 v1, v12
	s_cbranch_scc1 .LBB521_1131
.LBB521_1132:
	s_cbranch_execnz .LBB521_1135
.LBB521_1133:
	s_load_dwordx4 s[4:7], s[34:35], 0x4
	s_load_dwordx2 s[8:9], s[34:35], 0xc4
	s_cmp_lt_u32 s33, 2
	s_waitcnt vmcnt(0) lgkmcnt(0)
	v_mul_hi_u32 v1, s5, v0
	v_add_u32_e32 v1, v0, v1
	v_lshrrev_b32_e32 v1, s6, v1
	v_mul_lo_u32 v2, v1, s4
	v_sub_u32_e32 v0, v0, v2
	v_mul_lo_u32 v12, v0, s9
	v_mul_lo_u32 v4, v0, s8
	s_cbranch_scc1 .LBB521_1135
; %bb.1134:
	s_load_dwordx4 s[4:7], s[34:35], 0x10
	s_load_dwordx2 s[8:9], s[34:35], 0xcc
	s_waitcnt lgkmcnt(0)
	v_mul_hi_u32 v0, s5, v1
	v_add_u32_e32 v0, v1, v0
	v_lshrrev_b32_e32 v0, s6, v0
	v_mul_lo_u32 v0, v0, s4
	v_sub_u32_e32 v0, v1, v0
	v_mad_u64_u32 v[4:5], s[4:5], v0, s8, v[4:5]
	v_mad_u64_u32 v[12:13], s[4:5], v0, s9, v[12:13]
.LBB521_1135:
	s_and_b64 vcc, exec, s[2:3]
	v_add_u32_e32 v0, 0x100, v9
	s_cbranch_vccnz .LBB521_1141
; %bb.1136:
	s_cmp_lg_u32 s33, 0
	s_mov_b32 s36, 0
	s_cbranch_scc0 .LBB521_1142
; %bb.1137:
	s_min_u32 s37, s76, 15
	s_add_i32 s37, s37, 1
	s_cmp_eq_u32 s76, 2
	s_cbranch_scc1 .LBB521_1143
; %bb.1138:
	s_and_b32 s36, s37, 28
	s_add_u32 s28, s34, 0xc4
	s_addc_u32 s29, s35, 0
	s_mov_b32 s38, 0
	v_mov_b32_e32 v2, 0
	v_mov_b32_e32 v14, 0
	s_mov_b64 s[30:31], s[34:35]
	v_mov_b32_e32 v5, v0
.LBB521_1139:                           ; =>This Inner Loop Header: Depth=1
	s_load_dwordx8 s[12:19], s[30:31], 0x4
	s_load_dwordx4 s[20:23], s[30:31], 0x24
	s_load_dwordx8 s[4:11], s[28:29], 0x0
	s_add_u32 s30, s30, 48
	s_addc_u32 s31, s31, 0
	s_waitcnt vmcnt(0) lgkmcnt(0)
	v_mul_hi_u32 v1, s13, v5
	v_add_u32_e32 v1, v5, v1
	v_lshrrev_b32_e32 v1, s14, v1
	v_mul_lo_u32 v3, v1, s12
	v_mul_hi_u32 v7, s16, v1
	v_sub_u32_e32 v3, v5, v3
	v_add_u32_e32 v5, v1, v7
	v_lshrrev_b32_e32 v5, s17, v5
	v_mul_lo_u32 v8, v5, s15
	v_mul_hi_u32 v9, s19, v5
	v_sub_u32_e32 v1, v1, v8
	v_add_u32_e32 v8, v5, v9
	v_mul_lo_u32 v7, v3, s5
	v_mul_lo_u32 v3, v3, s4
	;; [unrolled: 1-line block ×4, first 2 shown]
	v_lshrrev_b32_e32 v8, s20, v8
	v_add3_u32 v1, v3, v2, v1
	v_add3_u32 v2, v7, v14, v9
	v_mul_lo_u32 v3, v8, s18
	v_mul_hi_u32 v7, s22, v8
	v_sub_u32_e32 v3, v5, v3
	v_add_u32_e32 v5, v8, v7
	v_lshrrev_b32_e32 v5, s23, v5
	s_add_i32 s38, s38, 4
	v_mul_lo_u32 v9, v5, s21
	s_add_u32 s28, s28, 32
	v_sub_u32_e32 v8, v8, v9
	s_addc_u32 s29, s29, 0
	v_mul_lo_u32 v7, v3, s8
	v_mul_lo_u32 v3, v3, s9
	;; [unrolled: 1-line block ×4, first 2 shown]
	s_cmp_lg_u32 s36, s38
	v_add3_u32 v14, v3, v2, v8
	v_add3_u32 v2, v7, v1, v9
	s_cbranch_scc1 .LBB521_1139
; %bb.1140:
	v_mov_b32_e32 v1, v14
	s_and_b32 s8, s37, 3
	s_cmp_eq_u32 s8, 0
	s_cbranch_scc0 .LBB521_1144
	s_branch .LBB521_1146
.LBB521_1141:
                                        ; implicit-def: $vgpr14
                                        ; implicit-def: $vgpr2
	s_branch .LBB521_1147
.LBB521_1142:
	v_mov_b32_e32 v14, 0
	v_mov_b32_e32 v2, 0
	s_branch .LBB521_1146
.LBB521_1143:
	v_mov_b32_e32 v2, 0
                                        ; implicit-def: $vgpr14
	s_waitcnt vmcnt(0)
	v_mov_b32_e32 v1, v2
	v_mov_b32_e32 v5, v0
	s_and_b32 s8, s37, 3
	s_cmp_eq_u32 s8, 0
	s_cbranch_scc1 .LBB521_1146
.LBB521_1144:
	s_lshl_b32 s4, s36, 3
	s_add_u32 s4, s34, s4
	s_addc_u32 s5, s35, 0
	s_add_u32 s4, s4, 0xc4
	s_addc_u32 s5, s5, 0
	s_mul_i32 s6, s36, 12
	s_add_u32 s6, s34, s6
	s_addc_u32 s7, s35, 0
.LBB521_1145:                           ; =>This Inner Loop Header: Depth=1
	s_load_dwordx2 s[10:11], s[6:7], 0x4
	s_load_dword s9, s[6:7], 0xc
	s_load_dwordx2 s[12:13], s[4:5], 0x0
	v_mov_b32_e32 v8, v1
	s_add_u32 s6, s6, 12
	s_waitcnt lgkmcnt(0)
	v_mul_hi_u32 v1, s11, v5
	v_add_u32_e32 v1, v5, v1
	v_lshrrev_b32_e32 v1, s9, v1
	s_addc_u32 s7, s7, 0
	v_mul_lo_u32 v3, v1, s10
	s_add_u32 s4, s4, 8
	v_sub_u32_e32 v3, v5, v3
	s_addc_u32 s5, s5, 0
	s_add_i32 s8, s8, -1
	v_mad_u64_u32 v[14:15], s[10:11], v3, s13, v[8:9]
	s_cmp_lg_u32 s8, 0
	v_mov_b32_e32 v5, v1
	v_mad_u64_u32 v[2:3], s[10:11], v3, s12, v[2:3]
	v_mov_b32_e32 v1, v14
	s_cbranch_scc1 .LBB521_1145
.LBB521_1146:
	s_cbranch_execnz .LBB521_1149
.LBB521_1147:
	s_load_dwordx4 s[4:7], s[34:35], 0x4
	s_load_dwordx2 s[8:9], s[34:35], 0xc4
	s_cmp_lt_u32 s33, 2
	s_waitcnt vmcnt(0) lgkmcnt(0)
	v_mul_hi_u32 v1, s5, v0
	v_add_u32_e32 v1, v0, v1
	v_lshrrev_b32_e32 v1, s6, v1
	v_mul_lo_u32 v2, v1, s4
	v_sub_u32_e32 v0, v0, v2
	v_mul_lo_u32 v14, v0, s9
	v_mul_lo_u32 v2, v0, s8
	s_cbranch_scc1 .LBB521_1149
; %bb.1148:
	s_load_dwordx4 s[4:7], s[34:35], 0x10
	s_load_dwordx2 s[8:9], s[34:35], 0xcc
	s_waitcnt lgkmcnt(0)
	v_mul_hi_u32 v0, s5, v1
	v_add_u32_e32 v0, v1, v0
	v_lshrrev_b32_e32 v0, s6, v0
	v_mul_lo_u32 v0, v0, s4
	v_sub_u32_e32 v0, v1, v0
	v_mad_u64_u32 v[2:3], s[4:5], v0, s8, v[2:3]
	v_mad_u64_u32 v[14:15], s[4:5], v0, s9, v[14:15]
.LBB521_1149:
	s_and_b64 vcc, exec, s[2:3]
	s_cbranch_vccnz .LBB521_1155
; %bb.1150:
	s_cmp_lg_u32 s33, 0
	s_mov_b32 s30, 0
	s_cbranch_scc0 .LBB521_1156
; %bb.1151:
	s_min_u32 s31, s76, 15
	s_add_i32 s31, s31, 1
	s_cmp_eq_u32 s76, 2
	s_cbranch_scc1 .LBB521_1157
; %bb.1152:
	s_and_b32 s30, s31, 28
	s_add_u32 s2, s34, 0xc4
	s_addc_u32 s3, s35, 0
	s_mov_b32 s36, 0
	v_mov_b32_e32 v0, 0
	v_mov_b32_e32 v8, 0
	s_mov_b64 s[28:29], s[34:35]
	v_mov_b32_e32 v3, v16
.LBB521_1153:                           ; =>This Inner Loop Header: Depth=1
	s_load_dwordx8 s[12:19], s[28:29], 0x4
	s_load_dwordx4 s[20:23], s[28:29], 0x24
	s_load_dwordx8 s[4:11], s[2:3], 0x0
	s_add_u32 s28, s28, 48
	s_addc_u32 s29, s29, 0
	s_waitcnt vmcnt(0) lgkmcnt(0)
	v_mul_hi_u32 v1, s13, v3
	v_add_u32_e32 v1, v3, v1
	v_lshrrev_b32_e32 v1, s14, v1
	v_mul_lo_u32 v5, v1, s12
	v_mul_hi_u32 v7, s16, v1
	v_sub_u32_e32 v3, v3, v5
	v_add_u32_e32 v5, v1, v7
	v_lshrrev_b32_e32 v5, s17, v5
	v_mul_lo_u32 v9, v5, s15
	v_mul_hi_u32 v11, s19, v5
	v_sub_u32_e32 v1, v1, v9
	v_add_u32_e32 v9, v5, v11
	v_mul_lo_u32 v7, v3, s5
	v_mul_lo_u32 v3, v3, s4
	;; [unrolled: 1-line block ×4, first 2 shown]
	v_lshrrev_b32_e32 v9, s20, v9
	v_add3_u32 v0, v3, v0, v1
	v_add3_u32 v1, v7, v8, v11
	v_mul_lo_u32 v3, v9, s18
	v_mul_hi_u32 v7, s22, v9
	v_sub_u32_e32 v3, v5, v3
	v_add_u32_e32 v5, v9, v7
	v_mul_lo_u32 v7, v3, s8
	v_mul_lo_u32 v8, v3, s9
	v_lshrrev_b32_e32 v3, s23, v5
	s_add_i32 s36, s36, 4
	v_mul_lo_u32 v5, v3, s21
	s_add_u32 s2, s2, 32
	v_sub_u32_e32 v5, v9, v5
	s_addc_u32 s3, s3, 0
	v_mul_lo_u32 v9, v5, s10
	v_mul_lo_u32 v5, v5, s11
	s_cmp_lg_u32 s30, s36
	v_add3_u32 v8, v8, v1, v5
	v_add3_u32 v0, v7, v0, v9
	s_cbranch_scc1 .LBB521_1153
; %bb.1154:
	v_mov_b32_e32 v1, v8
	s_and_b32 s6, s31, 3
	s_cmp_eq_u32 s6, 0
	s_cbranch_scc0 .LBB521_1158
	s_branch .LBB521_1160
.LBB521_1155:
                                        ; implicit-def: $vgpr8
                                        ; implicit-def: $vgpr0
	s_branch .LBB521_1161
.LBB521_1156:
	v_mov_b32_e32 v8, 0
	v_mov_b32_e32 v0, 0
	s_branch .LBB521_1160
.LBB521_1157:
	v_mov_b32_e32 v0, 0
                                        ; implicit-def: $vgpr8
	s_waitcnt vmcnt(0)
	v_mov_b32_e32 v1, v0
	v_mov_b32_e32 v3, v16
	s_and_b32 s6, s31, 3
	s_cmp_eq_u32 s6, 0
	s_cbranch_scc1 .LBB521_1160
.LBB521_1158:
	s_lshl_b32 s2, s30, 3
	s_add_u32 s2, s34, s2
	s_addc_u32 s3, s35, 0
	s_add_u32 s2, s2, 0xc4
	s_addc_u32 s3, s3, 0
	s_mul_i32 s4, s30, 12
	s_add_u32 s4, s34, s4
	s_addc_u32 s5, s35, 0
.LBB521_1159:                           ; =>This Inner Loop Header: Depth=1
	s_load_dwordx2 s[8:9], s[4:5], 0x4
	s_load_dword s7, s[4:5], 0xc
	s_load_dwordx2 s[10:11], s[2:3], 0x0
	v_mov_b32_e32 v8, v1
	s_add_u32 s4, s4, 12
	s_waitcnt lgkmcnt(0)
	v_mul_hi_u32 v1, s9, v3
	v_add_u32_e32 v1, v3, v1
	v_lshrrev_b32_e32 v1, s7, v1
	s_addc_u32 s5, s5, 0
	v_mul_lo_u32 v5, v1, s8
	s_add_u32 s2, s2, 8
	v_sub_u32_e32 v5, v3, v5
	s_addc_u32 s3, s3, 0
	s_add_i32 s6, s6, -1
	v_mov_b32_e32 v3, v1
	v_mad_u64_u32 v[8:9], s[8:9], v5, s11, v[8:9]
	v_mad_u64_u32 v[0:1], s[8:9], v5, s10, v[0:1]
	s_cmp_lg_u32 s6, 0
	v_mov_b32_e32 v1, v8
	s_cbranch_scc1 .LBB521_1159
.LBB521_1160:
	s_cbranch_execnz .LBB521_1163
.LBB521_1161:
	s_load_dwordx4 s[4:7], s[34:35], 0x4
	s_load_dwordx2 s[2:3], s[34:35], 0xc4
	s_cmp_lt_u32 s33, 2
	s_waitcnt lgkmcnt(0)
	v_mul_hi_u32 v0, s5, v16
	v_add_u32_e32 v0, v16, v0
	s_waitcnt vmcnt(0)
	v_lshrrev_b32_e32 v1, s6, v0
	v_mul_lo_u32 v0, v1, s4
	v_sub_u32_e32 v0, v16, v0
	v_mul_lo_u32 v8, v0, s3
	v_mul_lo_u32 v0, v0, s2
	s_cbranch_scc1 .LBB521_1163
; %bb.1162:
	s_load_dwordx4 s[4:7], s[34:35], 0x10
	s_load_dwordx2 s[2:3], s[34:35], 0xcc
	s_waitcnt lgkmcnt(0)
	v_mul_hi_u32 v3, s5, v1
	v_add_u32_e32 v3, v1, v3
	v_lshrrev_b32_e32 v3, s6, v3
	v_mul_lo_u32 v3, v3, s4
	v_sub_u32_e32 v3, v1, v3
	v_mad_u64_u32 v[0:1], s[4:5], v3, s2, v[0:1]
	v_mad_u64_u32 v[8:9], s[2:3], v3, s3, v[8:9]
.LBB521_1163:
	s_load_dword s14, s[0:1], 0x16c
	s_load_dwordx4 s[4:7], s[34:35], 0x148
	v_mov_b32_e32 v11, 0
	s_waitcnt lgkmcnt(0)
	s_bfe_u32 s15, s14, 0x80008
	s_cmp_lt_i32 s15, 11
	v_lshl_add_u64 v[10:11], s[6:7], 0, v[10:11]
	s_cbranch_scc1 .LBB521_1170
; %bb.1164:
	s_and_b32 s16, 0xffff, s15
	s_cmp_gt_i32 s16, 25
	s_mov_b64 s[8:9], 0
	s_cbranch_scc0 .LBB521_1172
; %bb.1165:
	s_cmp_gt_i32 s16, 28
	s_cbranch_scc0 .LBB521_1173
; %bb.1166:
	s_cmp_gt_i32 s16, 43
	;; [unrolled: 3-line block ×3, first 2 shown]
	s_cbranch_scc0 .LBB521_1175
; %bb.1168:
	s_cmp_eq_u32 s16, 46
	s_mov_b64 s[2:3], 0
	s_cbranch_scc0 .LBB521_1178
; %bb.1169:
	global_load_dword v1, v[10:11], off
	s_mov_b64 s[0:1], 0
	s_mov_b64 s[10:11], -1
	s_waitcnt vmcnt(0)
	v_lshlrev_b32_e32 v1, 16, v1
	s_branch .LBB521_1179
.LBB521_1170:
	s_mov_b64 s[10:11], 0
                                        ; implicit-def: $vgpr1
	s_mov_b64 s[2:3], s[24:25]
	s_cbranch_execnz .LBB521_1242
.LBB521_1171:
	s_andn2_b64 vcc, exec, s[10:11]
	s_cbranch_vccz .LBB521_1287
	s_branch .LBB521_1769
.LBB521_1172:
	s_mov_b64 s[10:11], 0
	s_mov_b64 s[0:1], 0
                                        ; implicit-def: $vgpr1
	s_cbranch_execnz .LBB521_1207
	s_branch .LBB521_1238
.LBB521_1173:
	s_mov_b64 s[2:3], -1
	s_mov_b64 s[10:11], 0
	s_mov_b64 s[0:1], 0
                                        ; implicit-def: $vgpr1
	s_branch .LBB521_1188
.LBB521_1174:
	s_mov_b64 s[10:11], 0
	s_mov_b64 s[0:1], 0
                                        ; implicit-def: $vgpr1
	s_cbranch_execnz .LBB521_1184
	s_branch .LBB521_1187
.LBB521_1175:
	s_mov_b64 s[2:3], -1
	s_mov_b64 s[10:11], 0
	s_mov_b64 s[0:1], 0
                                        ; implicit-def: $vgpr1
	s_branch .LBB521_1179
.LBB521_1176:
	s_andn2_saveexec_b64 s[10:11], s[10:11]
	s_cbranch_execz .LBB521_1019
.LBB521_1177:
	s_mov_b32 s14, 0x46000000
	v_add_f32_e64 v0, |v2|, s14
	v_and_b32_e32 v0, 0xff, v0
	v_cmp_ne_u32_e32 vcc, 0, v0
	s_andn2_b64 s[8:9], s[8:9], exec
	s_and_b64 s[14:15], vcc, exec
	s_or_b64 s[8:9], s[8:9], s[14:15]
	s_or_b64 exec, exec, s[10:11]
	v_mov_b32_e32 v1, 0
	s_and_saveexec_b64 s[10:11], s[8:9]
	s_cbranch_execnz .LBB521_1020
	s_branch .LBB521_1021
.LBB521_1178:
	s_mov_b64 s[0:1], -1
                                        ; implicit-def: $vgpr1
	s_mov_b64 s[10:11], 0
.LBB521_1179:
	s_and_b64 vcc, exec, s[2:3]
	s_cbranch_vccz .LBB521_1182
; %bb.1180:
	s_cmp_eq_u32 s16, 44
	s_cbranch_scc0 .LBB521_1183
; %bb.1181:
	global_load_ubyte v1, v[10:11], off
	s_movk_i32 s2, 0xff
	v_mov_b32_e32 v3, 0x7f800001
	v_mov_b32_e32 v5, 0x400000
	s_mov_b64 s[0:1], 0
	s_mov_b64 s[10:11], -1
	s_waitcnt vmcnt(0)
	v_lshlrev_b32_e32 v7, 23, v1
	v_cmp_ne_u32_e32 vcc, s2, v1
	s_nop 1
	v_cndmask_b32_e32 v3, v3, v7, vcc
	v_cmp_ne_u32_e32 vcc, 0, v1
	s_nop 1
	v_cndmask_b32_e32 v1, v5, v3, vcc
.LBB521_1182:
	s_branch .LBB521_1187
.LBB521_1183:
	s_mov_b64 s[0:1], -1
                                        ; implicit-def: $vgpr1
	s_branch .LBB521_1187
.LBB521_1184:
	s_cmp_eq_u32 s16, 29
	s_cbranch_scc0 .LBB521_1186
; %bb.1185:
	global_load_dwordx2 v[16:17], v[10:11], off
	s_mov_b64 s[0:1], 0
	s_mov_b64 s[10:11], -1
	s_mov_b64 s[2:3], 0
	s_waitcnt vmcnt(0)
	v_ffbh_u32_e32 v1, v17
	v_min_u32_e32 v1, 32, v1
	v_lshlrev_b64 v[16:17], v1, v[16:17]
	v_min_u32_e32 v3, 1, v16
	v_or_b32_e32 v3, v17, v3
	v_cvt_f32_u32_e32 v3, v3
	v_sub_u32_e32 v1, 32, v1
	v_ldexp_f32 v1, v3, v1
	s_branch .LBB521_1188
.LBB521_1186:
	s_mov_b64 s[0:1], -1
                                        ; implicit-def: $vgpr1
.LBB521_1187:
	s_mov_b64 s[2:3], 0
.LBB521_1188:
	s_and_b64 vcc, exec, s[2:3]
	s_cbranch_vccz .LBB521_1206
; %bb.1189:
	s_cmp_lt_i32 s16, 27
	s_cbranch_scc1 .LBB521_1192
; %bb.1190:
	s_cmp_gt_i32 s16, 27
	s_cbranch_scc0 .LBB521_1193
; %bb.1191:
	global_load_dword v1, v[10:11], off
	s_mov_b64 s[2:3], 0
	s_waitcnt vmcnt(0)
	v_cvt_f32_u32_e32 v1, v1
	s_branch .LBB521_1194
.LBB521_1192:
	s_mov_b64 s[2:3], -1
                                        ; implicit-def: $vgpr1
	s_branch .LBB521_1197
.LBB521_1193:
	s_mov_b64 s[2:3], -1
                                        ; implicit-def: $vgpr1
.LBB521_1194:
	s_andn2_b64 vcc, exec, s[2:3]
	s_cbranch_vccnz .LBB521_1196
; %bb.1195:
	global_load_ushort v1, v[10:11], off
	s_waitcnt vmcnt(0)
	v_cvt_f32_u32_e32 v1, v1
.LBB521_1196:
	s_mov_b64 s[2:3], 0
.LBB521_1197:
	s_andn2_b64 vcc, exec, s[2:3]
	s_cbranch_vccnz .LBB521_1205
; %bb.1198:
	global_load_ubyte v3, v[10:11], off
	s_movk_i32 s2, 0x7f
	s_waitcnt vmcnt(0)
	v_cmp_lt_i16_e32 vcc, s2, v3
	s_mov_b64 s[2:3], 0
	s_and_saveexec_b64 s[10:11], vcc
	s_xor_b64 s[10:11], exec, s[10:11]
	s_cbranch_execz .LBB521_1218
; %bb.1199:
	s_movk_i32 s2, 0x80
	v_cmp_eq_u16_e32 vcc, s2, v3
	s_mov_b64 s[2:3], -1
	s_and_saveexec_b64 s[12:13], vcc
; %bb.1200:
	s_xor_b64 s[2:3], exec, -1
; %bb.1201:
	s_or_b64 exec, exec, s[12:13]
	s_and_b64 s[2:3], s[2:3], exec
	s_or_saveexec_b64 s[10:11], s[10:11]
	v_mov_b32_e32 v1, 0x7f800001
	s_xor_b64 exec, exec, s[10:11]
	s_cbranch_execnz .LBB521_1219
.LBB521_1202:
	s_or_b64 exec, exec, s[10:11]
	s_and_saveexec_b64 s[10:11], s[2:3]
	s_cbranch_execz .LBB521_1204
.LBB521_1203:
	v_lshlrev_b32_e32 v1, 24, v3
	v_and_b32_e32 v3, 0xffff, v3
	v_and_b32_e32 v5, 7, v3
	v_ffbh_u32_e32 v9, v5
	v_min_u32_e32 v9, 32, v9
	v_subrev_u32_e32 v13, 28, v9
	v_bfe_u32 v7, v3, 3, 4
	v_lshlrev_b32_e32 v3, v13, v3
	v_sub_u32_e32 v9, 29, v9
	v_and_b32_e32 v3, 7, v3
	v_cmp_eq_u32_e32 vcc, 0, v7
	v_and_b32_e32 v1, 0x80000000, v1
	s_nop 0
	v_cndmask_b32_e32 v7, v7, v9, vcc
	v_cndmask_b32_e32 v3, v5, v3, vcc
	v_mov_b32_e32 v5, 0x3b800000
	v_lshlrev_b32_e32 v3, 20, v3
	v_lshl_add_u32 v5, v7, 23, v5
	v_or3_b32 v1, v1, v5, v3
.LBB521_1204:
	s_or_b64 exec, exec, s[10:11]
.LBB521_1205:
	s_mov_b64 s[10:11], -1
.LBB521_1206:
	s_branch .LBB521_1238
.LBB521_1207:
	s_cmp_gt_i32 s16, 22
	s_cbranch_scc0 .LBB521_1217
; %bb.1208:
	s_cmp_lt_i32 s16, 24
	s_cbranch_scc1 .LBB521_1220
; %bb.1209:
	s_cmp_gt_i32 s16, 24
	s_cbranch_scc0 .LBB521_1221
; %bb.1210:
	global_load_ubyte v3, v[10:11], off
	s_movk_i32 s2, 0x7f
	s_waitcnt vmcnt(0)
	v_cmp_lt_i16_e32 vcc, s2, v3
	s_mov_b64 s[2:3], 0
	s_and_saveexec_b64 s[8:9], vcc
	s_xor_b64 s[8:9], exec, s[8:9]
	s_cbranch_execz .LBB521_1232
; %bb.1211:
	s_movk_i32 s2, 0x80
	v_cmp_eq_u16_e32 vcc, s2, v3
	s_mov_b64 s[2:3], -1
	s_and_saveexec_b64 s[10:11], vcc
; %bb.1212:
	s_xor_b64 s[2:3], exec, -1
; %bb.1213:
	s_or_b64 exec, exec, s[10:11]
	s_and_b64 s[2:3], s[2:3], exec
	s_or_saveexec_b64 s[8:9], s[8:9]
	v_mov_b32_e32 v1, 0x7f800001
	s_xor_b64 exec, exec, s[8:9]
	s_cbranch_execnz .LBB521_1233
.LBB521_1214:
	s_or_b64 exec, exec, s[8:9]
	s_and_saveexec_b64 s[8:9], s[2:3]
	s_cbranch_execz .LBB521_1216
.LBB521_1215:
	v_lshlrev_b32_e32 v1, 24, v3
	v_and_b32_e32 v3, 0xffff, v3
	v_and_b32_e32 v5, 3, v3
	v_ffbh_u32_e32 v9, v5
	v_min_u32_e32 v9, 32, v9
	v_subrev_u32_e32 v13, 29, v9
	v_bfe_u32 v7, v3, 2, 5
	v_lshlrev_b32_e32 v3, v13, v3
	v_sub_u32_e32 v9, 30, v9
	v_and_b32_e32 v3, 3, v3
	v_cmp_eq_u32_e32 vcc, 0, v7
	v_and_b32_e32 v1, 0x80000000, v1
	s_nop 0
	v_cndmask_b32_e32 v7, v7, v9, vcc
	v_cndmask_b32_e32 v3, v5, v3, vcc
	v_mov_b32_e32 v5, 0x37800000
	v_lshlrev_b32_e32 v3, 21, v3
	v_lshl_add_u32 v5, v7, 23, v5
	v_or3_b32 v1, v1, v5, v3
.LBB521_1216:
	s_or_b64 exec, exec, s[8:9]
	s_mov_b64 s[2:3], 0
	s_branch .LBB521_1222
.LBB521_1217:
                                        ; implicit-def: $vgpr1
	s_mov_b64 s[8:9], 0
	s_branch .LBB521_1228
.LBB521_1218:
	s_or_saveexec_b64 s[10:11], s[10:11]
	v_mov_b32_e32 v1, 0x7f800001
	s_xor_b64 exec, exec, s[10:11]
	s_cbranch_execz .LBB521_1202
.LBB521_1219:
	v_cmp_ne_u16_e32 vcc, 0, v3
	s_andn2_b64 s[2:3], s[2:3], exec
	s_and_b64 s[12:13], vcc, exec
	v_mov_b32_e32 v1, 0
	s_or_b64 s[2:3], s[2:3], s[12:13]
	s_or_b64 exec, exec, s[10:11]
	s_and_saveexec_b64 s[10:11], s[2:3]
	s_cbranch_execnz .LBB521_1203
	s_branch .LBB521_1204
.LBB521_1220:
	s_mov_b64 s[2:3], -1
                                        ; implicit-def: $vgpr1
	s_branch .LBB521_1225
.LBB521_1221:
	s_mov_b64 s[2:3], -1
                                        ; implicit-def: $vgpr1
.LBB521_1222:
	s_and_b64 vcc, exec, s[2:3]
	s_cbranch_vccz .LBB521_1224
; %bb.1223:
	global_load_ubyte v1, v[10:11], off
	s_mov_b32 s2, 0x7f800000
	s_waitcnt vmcnt(0)
	v_lshlrev_b32_e32 v1, 24, v1
	v_and_b32_e32 v3, 0x7f000000, v1
	v_ffbh_u32_e32 v5, v3
	v_min_u32_e32 v5, 32, v5
	v_sub_u32_e64 v5, v5, 4 clamp
	v_lshlrev_b32_e32 v9, v5, v3
	v_lshlrev_b32_e32 v5, 23, v5
	v_lshrrev_b32_e32 v9, 4, v9
	v_add_u32_e32 v7, 0x1000000, v3
	v_sub_u32_e32 v5, v9, v5
	v_ashrrev_i32_e32 v7, 8, v7
	v_add_u32_e32 v5, 0x3c000000, v5
	v_and_or_b32 v5, v7, s2, v5
	v_cmp_ne_u32_e32 vcc, 0, v3
	s_brev_b32 s2, 1
	s_nop 0
	v_cndmask_b32_e32 v3, 0, v5, vcc
	v_and_or_b32 v1, v1, s2, v3
.LBB521_1224:
	s_mov_b64 s[2:3], 0
.LBB521_1225:
	s_andn2_b64 vcc, exec, s[2:3]
	s_cbranch_vccnz .LBB521_1227
; %bb.1226:
	global_load_ubyte v1, v[10:11], off
	s_movk_i32 s2, 0x7f00
	s_brev_b32 s3, 16
	s_waitcnt vmcnt(0)
	v_lshlrev_b16_e32 v3, 8, v1
	v_lshlrev_b32_e32 v1, 25, v1
	v_lshrrev_b32_e32 v5, 4, v1
	v_and_or_b32 v7, v3, s2, 0.5
	v_or_b32_e32 v5, 0x70000000, v5
	v_add_f32_e32 v7, -0.5, v7
	v_mul_f32_e32 v5, 0x7800000, v5
	v_cmp_gt_u32_e32 vcc, s3, v1
	v_bfe_i32 v3, v3, 0, 16
	s_brev_b32 s2, 1
	v_cndmask_b32_e32 v1, v5, v7, vcc
	v_and_or_b32 v1, v3, s2, v1
.LBB521_1227:
	s_mov_b64 s[10:11], -1
	s_mov_b64 s[8:9], 0
	s_cbranch_execnz .LBB521_1238
.LBB521_1228:
	s_cmp_gt_i32 s16, 14
	s_cbranch_scc0 .LBB521_1231
; %bb.1229:
	s_cmp_eq_u32 s16, 15
	s_cbranch_scc0 .LBB521_1234
; %bb.1230:
	global_load_ushort v1, v[10:11], off
	s_mov_b64 s[0:1], 0
	s_mov_b64 s[10:11], -1
	s_waitcnt vmcnt(0)
	v_lshlrev_b32_e32 v1, 16, v1
	s_branch .LBB521_1235
.LBB521_1231:
	s_mov_b64 s[2:3], -1
                                        ; implicit-def: $vgpr1
	s_branch .LBB521_1236
.LBB521_1232:
	s_or_saveexec_b64 s[8:9], s[8:9]
	v_mov_b32_e32 v1, 0x7f800001
	s_xor_b64 exec, exec, s[8:9]
	s_cbranch_execz .LBB521_1214
.LBB521_1233:
	v_cmp_ne_u16_e32 vcc, 0, v3
	s_andn2_b64 s[2:3], s[2:3], exec
	s_and_b64 s[10:11], vcc, exec
	v_mov_b32_e32 v1, 0
	s_or_b64 s[2:3], s[2:3], s[10:11]
	s_or_b64 exec, exec, s[8:9]
	s_and_saveexec_b64 s[8:9], s[2:3]
	s_cbranch_execnz .LBB521_1215
	s_branch .LBB521_1216
.LBB521_1234:
	s_mov_b64 s[0:1], -1
                                        ; implicit-def: $vgpr1
.LBB521_1235:
	s_mov_b64 s[2:3], 0
.LBB521_1236:
	s_and_b64 vcc, exec, s[2:3]
	s_cbranch_vccz .LBB521_1238
; %bb.1237:
	s_cmp_lg_u32 s16, 11
	s_mov_b64 s[8:9], -1
	s_cselect_b64 s[0:1], -1, 0
.LBB521_1238:
	s_and_b64 vcc, exec, s[0:1]
	s_mov_b64 s[2:3], s[24:25]
	s_cbranch_vccnz .LBB521_1303
; %bb.1239:
	s_andn2_b64 vcc, exec, s[8:9]
	s_cbranch_vccnz .LBB521_1241
.LBB521_1240:
	global_load_ubyte v1, v[10:11], off
	s_mov_b64 s[10:11], -1
	s_waitcnt vmcnt(0)
	v_cmp_ne_u16_e32 vcc, 0, v1
	s_nop 1
	v_cndmask_b32_e64 v1, 0, 1.0, vcc
.LBB521_1241:
	s_branch .LBB521_1171
.LBB521_1242:
	s_and_b32 s8, 0xffff, s15
	s_cmp_lt_i32 s8, 5
	s_cbranch_scc1 .LBB521_1247
; %bb.1243:
	s_cmp_lt_i32 s8, 8
	s_cbranch_scc1 .LBB521_1248
; %bb.1244:
	;; [unrolled: 3-line block ×3, first 2 shown]
	s_cmp_gt_i32 s8, 9
	s_cbranch_scc0 .LBB521_1250
; %bb.1246:
	global_load_dwordx2 v[16:17], v[10:11], off
	s_mov_b64 s[0:1], 0
	s_waitcnt vmcnt(0)
	v_cvt_f32_f64_e32 v1, v[16:17]
	s_branch .LBB521_1251
.LBB521_1247:
                                        ; implicit-def: $vgpr1
	s_branch .LBB521_1268
.LBB521_1248:
                                        ; implicit-def: $vgpr1
	s_branch .LBB521_1257
.LBB521_1249:
	s_mov_b64 s[0:1], -1
                                        ; implicit-def: $vgpr1
	s_branch .LBB521_1254
.LBB521_1250:
	s_mov_b64 s[0:1], -1
                                        ; implicit-def: $vgpr1
.LBB521_1251:
	s_andn2_b64 vcc, exec, s[0:1]
	s_cbranch_vccnz .LBB521_1253
; %bb.1252:
	global_load_dword v1, v[10:11], off
.LBB521_1253:
	s_mov_b64 s[0:1], 0
.LBB521_1254:
	s_andn2_b64 vcc, exec, s[0:1]
	s_cbranch_vccnz .LBB521_1256
; %bb.1255:
	global_load_dword v1, v[10:11], off
	s_waitcnt vmcnt(0)
	v_cvt_f32_f16_e32 v1, v1
.LBB521_1256:
	s_cbranch_execnz .LBB521_1267
.LBB521_1257:
	s_cmp_lt_i32 s8, 6
	s_cbranch_scc1 .LBB521_1260
; %bb.1258:
	s_cmp_gt_i32 s8, 6
	s_cbranch_scc0 .LBB521_1261
; %bb.1259:
	global_load_dwordx2 v[16:17], v[10:11], off
	s_mov_b64 s[0:1], 0
	s_waitcnt vmcnt(0)
	v_cvt_f32_f64_e32 v1, v[16:17]
	s_branch .LBB521_1262
.LBB521_1260:
	s_mov_b64 s[0:1], -1
                                        ; implicit-def: $vgpr1
	s_branch .LBB521_1265
.LBB521_1261:
	s_mov_b64 s[0:1], -1
                                        ; implicit-def: $vgpr1
.LBB521_1262:
	s_andn2_b64 vcc, exec, s[0:1]
	s_cbranch_vccnz .LBB521_1264
; %bb.1263:
	global_load_dword v1, v[10:11], off
.LBB521_1264:
	s_mov_b64 s[0:1], 0
.LBB521_1265:
	s_andn2_b64 vcc, exec, s[0:1]
	s_cbranch_vccnz .LBB521_1267
; %bb.1266:
	global_load_ushort v1, v[10:11], off
	s_waitcnt vmcnt(0)
	v_cvt_f32_f16_e32 v1, v1
.LBB521_1267:
	s_cbranch_execnz .LBB521_1286
.LBB521_1268:
	s_cmp_lt_i32 s8, 2
	s_cbranch_scc1 .LBB521_1272
; %bb.1269:
	s_cmp_lt_i32 s8, 3
	s_cbranch_scc1 .LBB521_1273
; %bb.1270:
	s_cmp_gt_i32 s8, 3
	s_cbranch_scc0 .LBB521_1274
; %bb.1271:
	global_load_dwordx2 v[16:17], v[10:11], off
	s_mov_b64 s[0:1], 0
	s_waitcnt vmcnt(0)
	v_xor_b32_e32 v3, v16, v17
	v_ffbh_i32_e32 v1, v17
	v_ashrrev_i32_e32 v3, 31, v3
	v_add_u32_e32 v1, -1, v1
	v_add_u32_e32 v3, 32, v3
	v_min_u32_e32 v1, v1, v3
	v_lshlrev_b64 v[16:17], v1, v[16:17]
	v_min_u32_e32 v3, 1, v16
	v_or_b32_e32 v3, v17, v3
	v_cvt_f32_i32_e32 v3, v3
	v_sub_u32_e32 v1, 32, v1
	v_ldexp_f32 v1, v3, v1
	s_branch .LBB521_1275
.LBB521_1272:
                                        ; implicit-def: $vgpr1
	s_branch .LBB521_1281
.LBB521_1273:
	s_mov_b64 s[0:1], -1
                                        ; implicit-def: $vgpr1
	s_branch .LBB521_1278
.LBB521_1274:
	s_mov_b64 s[0:1], -1
                                        ; implicit-def: $vgpr1
.LBB521_1275:
	s_andn2_b64 vcc, exec, s[0:1]
	s_cbranch_vccnz .LBB521_1277
; %bb.1276:
	global_load_dword v1, v[10:11], off
	s_waitcnt vmcnt(0)
	v_cvt_f32_i32_e32 v1, v1
.LBB521_1277:
	s_mov_b64 s[0:1], 0
.LBB521_1278:
	s_andn2_b64 vcc, exec, s[0:1]
	s_cbranch_vccnz .LBB521_1280
; %bb.1279:
	global_load_sshort v1, v[10:11], off
	s_waitcnt vmcnt(0)
	v_cvt_f32_i32_e32 v1, v1
.LBB521_1280:
	s_cbranch_execnz .LBB521_1286
.LBB521_1281:
	s_cmp_gt_i32 s8, 0
	s_cbranch_scc0 .LBB521_1283
; %bb.1282:
	global_load_sbyte v1, v[10:11], off
	s_mov_b64 s[0:1], 0
	s_waitcnt vmcnt(0)
	v_cvt_f32_i32_e32 v1, v1
	s_branch .LBB521_1284
.LBB521_1283:
	s_mov_b64 s[0:1], -1
                                        ; implicit-def: $vgpr1
.LBB521_1284:
	s_andn2_b64 vcc, exec, s[0:1]
	s_cbranch_vccnz .LBB521_1286
; %bb.1285:
	global_load_ubyte v1, v[10:11], off
	s_waitcnt vmcnt(0)
	v_cvt_f32_ubyte0_e32 v1, v1
.LBB521_1286:
.LBB521_1287:
	s_load_dword s16, s[34:35], 0x158
	s_waitcnt vmcnt(0)
	v_cmp_o_f32_e32 vcc, v1, v1
	s_waitcnt lgkmcnt(0)
	v_mov_b32_e32 v10, s16
	s_and_saveexec_b64 s[0:1], vcc
	s_cbranch_execz .LBB521_1291
; %bb.1288:
	s_load_dword s8, s[34:35], 0x15c
	s_mov_b32 s9, 0x7f800000
	v_cmp_neq_f32_e32 vcc, s9, v1
	s_waitcnt lgkmcnt(0)
	v_mov_b32_e32 v10, s8
	s_and_saveexec_b64 s[8:9], vcc
	s_cbranch_execz .LBB521_1290
; %bb.1289:
	s_load_dword s10, s[34:35], 0x160
	s_mov_b32 s11, 0xff800000
	v_cmp_eq_f32_e32 vcc, s11, v1
	s_waitcnt lgkmcnt(0)
	v_mov_b32_e32 v3, s10
	v_cndmask_b32_e32 v10, v1, v3, vcc
.LBB521_1290:
	s_or_b64 exec, exec, s[8:9]
.LBB521_1291:
	s_or_b64 exec, exec, s[0:1]
	s_lshr_b32 s0, s14, 8
	v_mov_b32_e32 v13, 0
	s_and_b32 s17, s0, 0xff
	s_cmp_lt_i32 s17, 11
	v_lshl_add_u64 v[12:13], s[6:7], 0, v[12:13]
	s_cbranch_scc1 .LBB521_1298
; %bb.1292:
	s_and_b32 s18, 0xffff, s17
	s_cmp_gt_i32 s18, 25
	s_mov_b64 s[8:9], 0
	s_cbranch_scc0 .LBB521_1300
; %bb.1293:
	s_cmp_gt_i32 s18, 28
	s_cbranch_scc0 .LBB521_1301
; %bb.1294:
	s_cmp_gt_i32 s18, 43
	;; [unrolled: 3-line block ×3, first 2 shown]
	s_cbranch_scc0 .LBB521_1304
; %bb.1296:
	s_cmp_eq_u32 s18, 46
	s_mov_b64 s[12:13], 0
	s_cbranch_scc0 .LBB521_1307
; %bb.1297:
	global_load_dword v1, v[12:13], off
	s_mov_b64 s[0:1], 0
	s_mov_b64 s[10:11], -1
	s_waitcnt vmcnt(0)
	v_lshlrev_b32_e32 v1, 16, v1
	s_branch .LBB521_1308
.LBB521_1298:
	s_mov_b64 s[10:11], 0
                                        ; implicit-def: $vgpr1
	s_cbranch_execnz .LBB521_1373
.LBB521_1299:
	s_andn2_b64 vcc, exec, s[10:11]
	s_cbranch_vccnz .LBB521_1769
	s_branch .LBB521_1420
.LBB521_1300:
	s_mov_b64 s[10:11], 0
	s_mov_b64 s[0:1], 0
                                        ; implicit-def: $vgpr1
	s_cbranch_execnz .LBB521_1337
	s_branch .LBB521_1369
.LBB521_1301:
	s_mov_b64 s[12:13], -1
	s_mov_b64 s[10:11], 0
	s_mov_b64 s[0:1], 0
                                        ; implicit-def: $vgpr1
	s_branch .LBB521_1318
.LBB521_1302:
	s_mov_b64 s[12:13], -1
	s_mov_b64 s[10:11], 0
	s_mov_b64 s[0:1], 0
                                        ; implicit-def: $vgpr1
	s_branch .LBB521_1313
.LBB521_1303:
	s_or_b64 s[2:3], s[24:25], exec
	s_trap 2
	s_cbranch_execz .LBB521_1240
	s_branch .LBB521_1241
.LBB521_1304:
	s_mov_b64 s[12:13], -1
	s_mov_b64 s[10:11], 0
	s_mov_b64 s[0:1], 0
                                        ; implicit-def: $vgpr1
	s_branch .LBB521_1308
.LBB521_1305:
	s_andn2_saveexec_b64 s[14:15], s[14:15]
	s_cbranch_execz .LBB521_1031
.LBB521_1306:
	s_mov_b32 s17, 0x42800000
	v_add_f32_e64 v0, |v2|, s17
	v_and_b32_e32 v0, 0xff, v0
	v_cmp_ne_u32_e32 vcc, 0, v0
	s_andn2_b64 s[10:11], s[10:11], exec
	s_and_b64 s[20:21], vcc, exec
	s_or_b64 s[10:11], s[10:11], s[20:21]
	s_or_b64 exec, exec, s[14:15]
	v_mov_b32_e32 v1, 0
	s_and_saveexec_b64 s[14:15], s[10:11]
	s_cbranch_execnz .LBB521_1032
	s_branch .LBB521_1033
.LBB521_1307:
	s_mov_b64 s[0:1], -1
                                        ; implicit-def: $vgpr1
	s_mov_b64 s[10:11], 0
.LBB521_1308:
	s_and_b64 vcc, exec, s[12:13]
	s_cbranch_vccz .LBB521_1312
; %bb.1309:
	s_cmp_eq_u32 s18, 44
	s_cbranch_scc0 .LBB521_1311
; %bb.1310:
	global_load_ubyte v1, v[12:13], off
	s_movk_i32 s10, 0xff
	v_mov_b32_e32 v3, 0x7f800001
	v_mov_b32_e32 v5, 0x400000
	s_mov_b64 s[0:1], 0
	s_waitcnt vmcnt(0)
	v_lshlrev_b32_e32 v7, 23, v1
	v_cmp_ne_u32_e32 vcc, s10, v1
	s_mov_b64 s[10:11], -1
	s_nop 0
	v_cndmask_b32_e32 v3, v3, v7, vcc
	v_cmp_ne_u32_e32 vcc, 0, v1
	s_nop 1
	v_cndmask_b32_e32 v1, v5, v3, vcc
	s_branch .LBB521_1312
.LBB521_1311:
	s_mov_b64 s[0:1], -1
                                        ; implicit-def: $vgpr1
.LBB521_1312:
	s_mov_b64 s[12:13], 0
.LBB521_1313:
	s_and_b64 vcc, exec, s[12:13]
	s_cbranch_vccz .LBB521_1317
; %bb.1314:
	s_cmp_eq_u32 s18, 29
	s_cbranch_scc0 .LBB521_1316
; %bb.1315:
	global_load_dwordx2 v[16:17], v[12:13], off
	s_mov_b64 s[0:1], 0
	s_mov_b64 s[10:11], -1
	s_mov_b64 s[12:13], 0
	s_waitcnt vmcnt(0)
	v_ffbh_u32_e32 v1, v17
	v_min_u32_e32 v1, 32, v1
	v_lshlrev_b64 v[16:17], v1, v[16:17]
	v_min_u32_e32 v3, 1, v16
	v_or_b32_e32 v3, v17, v3
	v_cvt_f32_u32_e32 v3, v3
	v_sub_u32_e32 v1, 32, v1
	v_ldexp_f32 v1, v3, v1
	s_branch .LBB521_1318
.LBB521_1316:
	s_mov_b64 s[0:1], -1
                                        ; implicit-def: $vgpr1
.LBB521_1317:
	s_mov_b64 s[12:13], 0
.LBB521_1318:
	s_and_b64 vcc, exec, s[12:13]
	s_cbranch_vccz .LBB521_1336
; %bb.1319:
	s_cmp_lt_i32 s18, 27
	s_cbranch_scc1 .LBB521_1322
; %bb.1320:
	s_cmp_gt_i32 s18, 27
	s_cbranch_scc0 .LBB521_1323
; %bb.1321:
	global_load_dword v1, v[12:13], off
	s_mov_b64 s[10:11], 0
	s_waitcnt vmcnt(0)
	v_cvt_f32_u32_e32 v1, v1
	s_branch .LBB521_1324
.LBB521_1322:
	s_mov_b64 s[10:11], -1
                                        ; implicit-def: $vgpr1
	s_branch .LBB521_1327
.LBB521_1323:
	s_mov_b64 s[10:11], -1
                                        ; implicit-def: $vgpr1
.LBB521_1324:
	s_andn2_b64 vcc, exec, s[10:11]
	s_cbranch_vccnz .LBB521_1326
; %bb.1325:
	global_load_ushort v1, v[12:13], off
	s_waitcnt vmcnt(0)
	v_cvt_f32_u32_e32 v1, v1
.LBB521_1326:
	s_mov_b64 s[10:11], 0
.LBB521_1327:
	s_andn2_b64 vcc, exec, s[10:11]
	s_cbranch_vccnz .LBB521_1335
; %bb.1328:
	global_load_ubyte v3, v[12:13], off
	s_movk_i32 s10, 0x7f
	s_waitcnt vmcnt(0)
	v_cmp_lt_i16_e32 vcc, s10, v3
	s_mov_b64 s[10:11], 0
	s_and_saveexec_b64 s[12:13], vcc
	s_xor_b64 s[12:13], exec, s[12:13]
	s_cbranch_execz .LBB521_1348
; %bb.1329:
	s_movk_i32 s10, 0x80
	v_cmp_eq_u16_e32 vcc, s10, v3
	s_mov_b64 s[10:11], -1
	s_and_saveexec_b64 s[14:15], vcc
; %bb.1330:
	s_xor_b64 s[10:11], exec, -1
; %bb.1331:
	s_or_b64 exec, exec, s[14:15]
	s_and_b64 s[10:11], s[10:11], exec
	s_or_saveexec_b64 s[12:13], s[12:13]
	v_mov_b32_e32 v1, 0x7f800001
	s_xor_b64 exec, exec, s[12:13]
	s_cbranch_execnz .LBB521_1349
.LBB521_1332:
	s_or_b64 exec, exec, s[12:13]
	s_and_saveexec_b64 s[12:13], s[10:11]
	s_cbranch_execz .LBB521_1334
.LBB521_1333:
	v_lshlrev_b32_e32 v1, 24, v3
	v_and_b32_e32 v3, 0xffff, v3
	v_and_b32_e32 v5, 7, v3
	v_ffbh_u32_e32 v9, v5
	v_min_u32_e32 v9, 32, v9
	v_subrev_u32_e32 v11, 28, v9
	v_bfe_u32 v7, v3, 3, 4
	v_lshlrev_b32_e32 v3, v11, v3
	v_sub_u32_e32 v9, 29, v9
	v_and_b32_e32 v3, 7, v3
	v_cmp_eq_u32_e32 vcc, 0, v7
	v_and_b32_e32 v1, 0x80000000, v1
	s_nop 0
	v_cndmask_b32_e32 v7, v7, v9, vcc
	v_cndmask_b32_e32 v3, v5, v3, vcc
	v_mov_b32_e32 v5, 0x3b800000
	v_lshlrev_b32_e32 v3, 20, v3
	v_lshl_add_u32 v5, v7, 23, v5
	v_or3_b32 v1, v1, v5, v3
.LBB521_1334:
	s_or_b64 exec, exec, s[12:13]
.LBB521_1335:
	s_mov_b64 s[10:11], -1
.LBB521_1336:
	s_branch .LBB521_1369
.LBB521_1337:
	s_cmp_gt_i32 s18, 22
	s_cbranch_scc0 .LBB521_1347
; %bb.1338:
	s_cmp_lt_i32 s18, 24
	s_cbranch_scc1 .LBB521_1350
; %bb.1339:
	s_cmp_gt_i32 s18, 24
	s_cbranch_scc0 .LBB521_1351
; %bb.1340:
	global_load_ubyte v3, v[12:13], off
	s_movk_i32 s8, 0x7f
	s_waitcnt vmcnt(0)
	v_cmp_lt_i16_e32 vcc, s8, v3
	s_mov_b64 s[8:9], 0
	s_and_saveexec_b64 s[10:11], vcc
	s_xor_b64 s[10:11], exec, s[10:11]
	s_cbranch_execz .LBB521_1363
; %bb.1341:
	s_movk_i32 s8, 0x80
	v_cmp_eq_u16_e32 vcc, s8, v3
	s_mov_b64 s[8:9], -1
	s_and_saveexec_b64 s[12:13], vcc
; %bb.1342:
	s_xor_b64 s[8:9], exec, -1
; %bb.1343:
	s_or_b64 exec, exec, s[12:13]
	s_and_b64 s[8:9], s[8:9], exec
	s_or_saveexec_b64 s[10:11], s[10:11]
	v_mov_b32_e32 v1, 0x7f800001
	s_xor_b64 exec, exec, s[10:11]
	s_cbranch_execnz .LBB521_1364
.LBB521_1344:
	s_or_b64 exec, exec, s[10:11]
	s_and_saveexec_b64 s[10:11], s[8:9]
	s_cbranch_execz .LBB521_1346
.LBB521_1345:
	v_lshlrev_b32_e32 v1, 24, v3
	v_and_b32_e32 v3, 0xffff, v3
	v_and_b32_e32 v5, 3, v3
	v_ffbh_u32_e32 v9, v5
	v_min_u32_e32 v9, 32, v9
	v_subrev_u32_e32 v11, 29, v9
	v_bfe_u32 v7, v3, 2, 5
	v_lshlrev_b32_e32 v3, v11, v3
	v_sub_u32_e32 v9, 30, v9
	v_and_b32_e32 v3, 3, v3
	v_cmp_eq_u32_e32 vcc, 0, v7
	v_and_b32_e32 v1, 0x80000000, v1
	s_nop 0
	v_cndmask_b32_e32 v7, v7, v9, vcc
	v_cndmask_b32_e32 v3, v5, v3, vcc
	v_mov_b32_e32 v5, 0x37800000
	v_lshlrev_b32_e32 v3, 21, v3
	v_lshl_add_u32 v5, v7, 23, v5
	v_or3_b32 v1, v1, v5, v3
.LBB521_1346:
	s_or_b64 exec, exec, s[10:11]
	s_mov_b64 s[8:9], 0
	s_branch .LBB521_1352
.LBB521_1347:
	s_mov_b64 s[8:9], -1
                                        ; implicit-def: $vgpr1
	s_branch .LBB521_1358
.LBB521_1348:
	s_or_saveexec_b64 s[12:13], s[12:13]
	v_mov_b32_e32 v1, 0x7f800001
	s_xor_b64 exec, exec, s[12:13]
	s_cbranch_execz .LBB521_1332
.LBB521_1349:
	v_cmp_ne_u16_e32 vcc, 0, v3
	s_andn2_b64 s[10:11], s[10:11], exec
	s_and_b64 s[14:15], vcc, exec
	v_mov_b32_e32 v1, 0
	s_or_b64 s[10:11], s[10:11], s[14:15]
	s_or_b64 exec, exec, s[12:13]
	s_and_saveexec_b64 s[12:13], s[10:11]
	s_cbranch_execnz .LBB521_1333
	s_branch .LBB521_1334
.LBB521_1350:
	s_mov_b64 s[8:9], -1
                                        ; implicit-def: $vgpr1
	s_branch .LBB521_1355
.LBB521_1351:
	s_mov_b64 s[8:9], -1
                                        ; implicit-def: $vgpr1
.LBB521_1352:
	s_and_b64 vcc, exec, s[8:9]
	s_cbranch_vccz .LBB521_1354
; %bb.1353:
	global_load_ubyte v1, v[12:13], off
	s_mov_b32 s8, 0x7f800000
	s_waitcnt vmcnt(0)
	v_lshlrev_b32_e32 v1, 24, v1
	v_and_b32_e32 v3, 0x7f000000, v1
	v_ffbh_u32_e32 v5, v3
	v_min_u32_e32 v5, 32, v5
	v_sub_u32_e64 v5, v5, 4 clamp
	v_lshlrev_b32_e32 v9, v5, v3
	v_lshlrev_b32_e32 v5, 23, v5
	v_lshrrev_b32_e32 v9, 4, v9
	v_add_u32_e32 v7, 0x1000000, v3
	v_sub_u32_e32 v5, v9, v5
	v_ashrrev_i32_e32 v7, 8, v7
	v_add_u32_e32 v5, 0x3c000000, v5
	v_and_or_b32 v5, v7, s8, v5
	v_cmp_ne_u32_e32 vcc, 0, v3
	s_brev_b32 s8, 1
	s_nop 0
	v_cndmask_b32_e32 v3, 0, v5, vcc
	v_and_or_b32 v1, v1, s8, v3
.LBB521_1354:
	s_mov_b64 s[8:9], 0
.LBB521_1355:
	s_andn2_b64 vcc, exec, s[8:9]
	s_cbranch_vccnz .LBB521_1357
; %bb.1356:
	global_load_ubyte v1, v[12:13], off
	s_movk_i32 s8, 0x7f00
	s_brev_b32 s9, 16
	s_waitcnt vmcnt(0)
	v_lshlrev_b16_e32 v3, 8, v1
	v_lshlrev_b32_e32 v1, 25, v1
	v_lshrrev_b32_e32 v5, 4, v1
	v_and_or_b32 v7, v3, s8, 0.5
	v_or_b32_e32 v5, 0x70000000, v5
	v_add_f32_e32 v7, -0.5, v7
	v_mul_f32_e32 v5, 0x7800000, v5
	v_cmp_gt_u32_e32 vcc, s9, v1
	v_bfe_i32 v3, v3, 0, 16
	s_brev_b32 s8, 1
	v_cndmask_b32_e32 v1, v5, v7, vcc
	v_and_or_b32 v1, v3, s8, v1
.LBB521_1357:
	s_mov_b64 s[8:9], 0
	s_mov_b64 s[10:11], -1
.LBB521_1358:
	s_andn2_b64 vcc, exec, s[8:9]
	s_mov_b64 s[8:9], 0
	s_cbranch_vccnz .LBB521_1369
; %bb.1359:
	s_cmp_gt_i32 s18, 14
	s_cbranch_scc0 .LBB521_1362
; %bb.1360:
	s_cmp_eq_u32 s18, 15
	s_cbranch_scc0 .LBB521_1365
; %bb.1361:
	global_load_ushort v1, v[12:13], off
	s_mov_b64 s[0:1], 0
	s_mov_b64 s[10:11], -1
	s_waitcnt vmcnt(0)
	v_lshlrev_b32_e32 v1, 16, v1
	s_branch .LBB521_1366
.LBB521_1362:
	s_mov_b64 s[12:13], -1
                                        ; implicit-def: $vgpr1
	s_branch .LBB521_1367
.LBB521_1363:
	s_or_saveexec_b64 s[10:11], s[10:11]
	v_mov_b32_e32 v1, 0x7f800001
	s_xor_b64 exec, exec, s[10:11]
	s_cbranch_execz .LBB521_1344
.LBB521_1364:
	v_cmp_ne_u16_e32 vcc, 0, v3
	s_andn2_b64 s[8:9], s[8:9], exec
	s_and_b64 s[12:13], vcc, exec
	v_mov_b32_e32 v1, 0
	s_or_b64 s[8:9], s[8:9], s[12:13]
	s_or_b64 exec, exec, s[10:11]
	s_and_saveexec_b64 s[10:11], s[8:9]
	s_cbranch_execnz .LBB521_1345
	s_branch .LBB521_1346
.LBB521_1365:
	s_mov_b64 s[0:1], -1
                                        ; implicit-def: $vgpr1
.LBB521_1366:
	s_mov_b64 s[12:13], 0
.LBB521_1367:
	s_and_b64 vcc, exec, s[12:13]
	s_cbranch_vccz .LBB521_1369
; %bb.1368:
	s_cmp_lg_u32 s18, 11
	s_mov_b64 s[8:9], -1
	s_cselect_b64 s[0:1], -1, 0
.LBB521_1369:
	s_and_b64 vcc, exec, s[0:1]
	s_cbranch_vccnz .LBB521_1436
; %bb.1370:
	s_andn2_b64 vcc, exec, s[8:9]
	s_cbranch_vccnz .LBB521_1372
.LBB521_1371:
	global_load_ubyte v1, v[12:13], off
	s_mov_b64 s[10:11], -1
	s_waitcnt vmcnt(0)
	v_cmp_ne_u16_e32 vcc, 0, v1
	s_nop 1
	v_cndmask_b32_e64 v1, 0, 1.0, vcc
.LBB521_1372:
	s_branch .LBB521_1299
.LBB521_1373:
	s_and_b32 s8, 0xffff, s17
	s_cmp_lt_i32 s8, 5
	s_cbranch_scc1 .LBB521_1378
; %bb.1374:
	s_cmp_lt_i32 s8, 8
	s_cbranch_scc1 .LBB521_1379
; %bb.1375:
	;; [unrolled: 3-line block ×3, first 2 shown]
	s_cmp_gt_i32 s8, 9
	s_cbranch_scc0 .LBB521_1381
; %bb.1377:
	global_load_dwordx2 v[16:17], v[12:13], off
	s_mov_b64 s[0:1], 0
	s_waitcnt vmcnt(0)
	v_cvt_f32_f64_e32 v1, v[16:17]
	s_branch .LBB521_1382
.LBB521_1378:
                                        ; implicit-def: $vgpr1
	s_branch .LBB521_1400
.LBB521_1379:
	s_mov_b64 s[0:1], -1
                                        ; implicit-def: $vgpr1
	s_branch .LBB521_1388
.LBB521_1380:
	s_mov_b64 s[0:1], -1
                                        ; implicit-def: $vgpr1
	s_branch .LBB521_1385
.LBB521_1381:
	s_mov_b64 s[0:1], -1
                                        ; implicit-def: $vgpr1
.LBB521_1382:
	s_andn2_b64 vcc, exec, s[0:1]
	s_cbranch_vccnz .LBB521_1384
; %bb.1383:
	global_load_dword v1, v[12:13], off
.LBB521_1384:
	s_mov_b64 s[0:1], 0
.LBB521_1385:
	s_andn2_b64 vcc, exec, s[0:1]
	s_cbranch_vccnz .LBB521_1387
; %bb.1386:
	global_load_dword v1, v[12:13], off
	s_waitcnt vmcnt(0)
	v_cvt_f32_f16_e32 v1, v1
.LBB521_1387:
	s_mov_b64 s[0:1], 0
.LBB521_1388:
	s_andn2_b64 vcc, exec, s[0:1]
	s_cbranch_vccnz .LBB521_1399
; %bb.1389:
	s_cmp_lt_i32 s8, 6
	s_cbranch_scc1 .LBB521_1392
; %bb.1390:
	s_cmp_gt_i32 s8, 6
	s_cbranch_scc0 .LBB521_1393
; %bb.1391:
	global_load_dwordx2 v[16:17], v[12:13], off
	s_mov_b64 s[0:1], 0
	s_waitcnt vmcnt(0)
	v_cvt_f32_f64_e32 v1, v[16:17]
	s_branch .LBB521_1394
.LBB521_1392:
	s_mov_b64 s[0:1], -1
                                        ; implicit-def: $vgpr1
	s_branch .LBB521_1397
.LBB521_1393:
	s_mov_b64 s[0:1], -1
                                        ; implicit-def: $vgpr1
.LBB521_1394:
	s_andn2_b64 vcc, exec, s[0:1]
	s_cbranch_vccnz .LBB521_1396
; %bb.1395:
	global_load_dword v1, v[12:13], off
.LBB521_1396:
	s_mov_b64 s[0:1], 0
.LBB521_1397:
	s_andn2_b64 vcc, exec, s[0:1]
	s_cbranch_vccnz .LBB521_1399
; %bb.1398:
	global_load_ushort v1, v[12:13], off
	s_waitcnt vmcnt(0)
	v_cvt_f32_f16_e32 v1, v1
.LBB521_1399:
	s_cbranch_execnz .LBB521_1419
.LBB521_1400:
	s_cmp_lt_i32 s8, 2
	s_cbranch_scc1 .LBB521_1404
; %bb.1401:
	s_cmp_lt_i32 s8, 3
	s_cbranch_scc1 .LBB521_1405
; %bb.1402:
	s_cmp_gt_i32 s8, 3
	s_cbranch_scc0 .LBB521_1406
; %bb.1403:
	global_load_dwordx2 v[16:17], v[12:13], off
	s_mov_b64 s[0:1], 0
	s_waitcnt vmcnt(0)
	v_xor_b32_e32 v3, v16, v17
	v_ffbh_i32_e32 v1, v17
	v_ashrrev_i32_e32 v3, 31, v3
	v_add_u32_e32 v1, -1, v1
	v_add_u32_e32 v3, 32, v3
	v_min_u32_e32 v1, v1, v3
	v_lshlrev_b64 v[16:17], v1, v[16:17]
	v_min_u32_e32 v3, 1, v16
	v_or_b32_e32 v3, v17, v3
	v_cvt_f32_i32_e32 v3, v3
	v_sub_u32_e32 v1, 32, v1
	v_ldexp_f32 v1, v3, v1
	s_branch .LBB521_1407
.LBB521_1404:
	s_mov_b64 s[0:1], -1
                                        ; implicit-def: $vgpr1
	s_branch .LBB521_1413
.LBB521_1405:
	s_mov_b64 s[0:1], -1
                                        ; implicit-def: $vgpr1
	s_branch .LBB521_1410
.LBB521_1406:
	s_mov_b64 s[0:1], -1
                                        ; implicit-def: $vgpr1
.LBB521_1407:
	s_andn2_b64 vcc, exec, s[0:1]
	s_cbranch_vccnz .LBB521_1409
; %bb.1408:
	global_load_dword v1, v[12:13], off
	s_waitcnt vmcnt(0)
	v_cvt_f32_i32_e32 v1, v1
.LBB521_1409:
	s_mov_b64 s[0:1], 0
.LBB521_1410:
	s_andn2_b64 vcc, exec, s[0:1]
	s_cbranch_vccnz .LBB521_1412
; %bb.1411:
	global_load_sshort v1, v[12:13], off
	s_waitcnt vmcnt(0)
	v_cvt_f32_i32_e32 v1, v1
.LBB521_1412:
	s_mov_b64 s[0:1], 0
.LBB521_1413:
	s_andn2_b64 vcc, exec, s[0:1]
	s_cbranch_vccnz .LBB521_1419
; %bb.1414:
	s_cmp_gt_i32 s8, 0
	s_cbranch_scc0 .LBB521_1416
; %bb.1415:
	global_load_sbyte v1, v[12:13], off
	s_mov_b64 s[0:1], 0
	s_waitcnt vmcnt(0)
	v_cvt_f32_i32_e32 v1, v1
	s_branch .LBB521_1417
.LBB521_1416:
	s_mov_b64 s[0:1], -1
                                        ; implicit-def: $vgpr1
.LBB521_1417:
	s_andn2_b64 vcc, exec, s[0:1]
	s_cbranch_vccnz .LBB521_1419
; %bb.1418:
	global_load_ubyte v1, v[12:13], off
	s_waitcnt vmcnt(0)
	v_cvt_f32_ubyte0_e32 v1, v1
.LBB521_1419:
.LBB521_1420:
	s_waitcnt vmcnt(0)
	v_cmp_o_f32_e32 vcc, v1, v1
	v_mov_b32_e32 v12, s16
	s_and_saveexec_b64 s[0:1], vcc
	s_cbranch_execz .LBB521_1424
; %bb.1421:
	s_load_dword s8, s[34:35], 0x15c
	s_mov_b32 s9, 0x7f800000
	v_cmp_neq_f32_e32 vcc, s9, v1
	s_waitcnt lgkmcnt(0)
	v_mov_b32_e32 v12, s8
	s_and_saveexec_b64 s[8:9], vcc
	s_cbranch_execz .LBB521_1423
; %bb.1422:
	s_load_dword s10, s[34:35], 0x160
	s_mov_b32 s11, 0xff800000
	v_cmp_eq_f32_e32 vcc, s11, v1
	s_waitcnt lgkmcnt(0)
	v_mov_b32_e32 v3, s10
	v_cndmask_b32_e32 v12, v1, v3, vcc
.LBB521_1423:
	s_or_b64 exec, exec, s[8:9]
.LBB521_1424:
	s_or_b64 exec, exec, s[0:1]
	v_mov_b32_e32 v15, 0
	s_cmp_lt_i32 s17, 11
	v_lshl_add_u64 v[14:15], s[6:7], 0, v[14:15]
	s_cbranch_scc1 .LBB521_1431
; %bb.1425:
	s_and_b32 s18, 0xffff, s17
	s_cmp_gt_i32 s18, 25
	s_mov_b64 s[8:9], 0
	s_cbranch_scc0 .LBB521_1433
; %bb.1426:
	s_cmp_gt_i32 s18, 28
	s_cbranch_scc0 .LBB521_1434
; %bb.1427:
	s_cmp_gt_i32 s18, 43
	;; [unrolled: 3-line block ×3, first 2 shown]
	s_cbranch_scc0 .LBB521_1437
; %bb.1429:
	s_cmp_eq_u32 s18, 46
	s_mov_b64 s[12:13], 0
	s_cbranch_scc0 .LBB521_1438
; %bb.1430:
	global_load_dword v1, v[14:15], off
	s_mov_b64 s[0:1], 0
	s_mov_b64 s[10:11], -1
	s_waitcnt vmcnt(0)
	v_lshlrev_b32_e32 v1, 16, v1
	s_branch .LBB521_1439
.LBB521_1431:
	s_mov_b64 s[10:11], 0
                                        ; implicit-def: $vgpr1
	s_cbranch_execnz .LBB521_1505
.LBB521_1432:
	s_andn2_b64 vcc, exec, s[10:11]
	s_cbranch_vccnz .LBB521_1769
	s_branch .LBB521_1553
.LBB521_1433:
	s_mov_b64 s[12:13], -1
	s_mov_b64 s[10:11], 0
	s_mov_b64 s[0:1], 0
                                        ; implicit-def: $vgpr1
	s_branch .LBB521_1468
.LBB521_1434:
	s_mov_b64 s[12:13], -1
	s_mov_b64 s[10:11], 0
	s_mov_b64 s[0:1], 0
                                        ; implicit-def: $vgpr1
	s_branch .LBB521_1449
.LBB521_1435:
	s_mov_b64 s[12:13], -1
	s_mov_b64 s[10:11], 0
	s_mov_b64 s[0:1], 0
                                        ; implicit-def: $vgpr1
	s_branch .LBB521_1444
.LBB521_1436:
	s_trap 2
	s_or_b64 s[2:3], s[2:3], exec
	s_cbranch_execz .LBB521_1371
	s_branch .LBB521_1372
.LBB521_1437:
	s_mov_b64 s[12:13], -1
	s_mov_b64 s[10:11], 0
	s_mov_b64 s[0:1], 0
                                        ; implicit-def: $vgpr1
	s_branch .LBB521_1439
.LBB521_1438:
	s_mov_b64 s[0:1], -1
                                        ; implicit-def: $vgpr1
	s_mov_b64 s[10:11], 0
.LBB521_1439:
	s_and_b64 vcc, exec, s[12:13]
	s_cbranch_vccz .LBB521_1443
; %bb.1440:
	s_cmp_eq_u32 s18, 44
	s_cbranch_scc0 .LBB521_1442
; %bb.1441:
	global_load_ubyte v1, v[14:15], off
	s_movk_i32 s10, 0xff
	v_mov_b32_e32 v3, 0x7f800001
	v_mov_b32_e32 v5, 0x400000
	s_mov_b64 s[0:1], 0
	s_waitcnt vmcnt(0)
	v_lshlrev_b32_e32 v7, 23, v1
	v_cmp_ne_u32_e32 vcc, s10, v1
	s_mov_b64 s[10:11], -1
	s_nop 0
	v_cndmask_b32_e32 v3, v3, v7, vcc
	v_cmp_ne_u32_e32 vcc, 0, v1
	s_nop 1
	v_cndmask_b32_e32 v1, v5, v3, vcc
	s_branch .LBB521_1443
.LBB521_1442:
	s_mov_b64 s[0:1], -1
                                        ; implicit-def: $vgpr1
.LBB521_1443:
	s_mov_b64 s[12:13], 0
.LBB521_1444:
	s_and_b64 vcc, exec, s[12:13]
	s_cbranch_vccz .LBB521_1448
; %bb.1445:
	s_cmp_eq_u32 s18, 29
	s_cbranch_scc0 .LBB521_1447
; %bb.1446:
	global_load_dwordx2 v[16:17], v[14:15], off
	s_mov_b64 s[0:1], 0
	s_mov_b64 s[10:11], -1
	s_mov_b64 s[12:13], 0
	s_waitcnt vmcnt(0)
	v_ffbh_u32_e32 v1, v17
	v_min_u32_e32 v1, 32, v1
	v_lshlrev_b64 v[16:17], v1, v[16:17]
	v_min_u32_e32 v3, 1, v16
	v_or_b32_e32 v3, v17, v3
	v_cvt_f32_u32_e32 v3, v3
	v_sub_u32_e32 v1, 32, v1
	v_ldexp_f32 v1, v3, v1
	s_branch .LBB521_1449
.LBB521_1447:
	s_mov_b64 s[0:1], -1
                                        ; implicit-def: $vgpr1
.LBB521_1448:
	s_mov_b64 s[12:13], 0
.LBB521_1449:
	s_and_b64 vcc, exec, s[12:13]
	s_cbranch_vccz .LBB521_1467
; %bb.1450:
	s_cmp_lt_i32 s18, 27
	s_cbranch_scc1 .LBB521_1453
; %bb.1451:
	s_cmp_gt_i32 s18, 27
	s_cbranch_scc0 .LBB521_1454
; %bb.1452:
	global_load_dword v1, v[14:15], off
	s_mov_b64 s[10:11], 0
	s_waitcnt vmcnt(0)
	v_cvt_f32_u32_e32 v1, v1
	s_branch .LBB521_1455
.LBB521_1453:
	s_mov_b64 s[10:11], -1
                                        ; implicit-def: $vgpr1
	s_branch .LBB521_1458
.LBB521_1454:
	s_mov_b64 s[10:11], -1
                                        ; implicit-def: $vgpr1
.LBB521_1455:
	s_andn2_b64 vcc, exec, s[10:11]
	s_cbranch_vccnz .LBB521_1457
; %bb.1456:
	global_load_ushort v1, v[14:15], off
	s_waitcnt vmcnt(0)
	v_cvt_f32_u32_e32 v1, v1
.LBB521_1457:
	s_mov_b64 s[10:11], 0
.LBB521_1458:
	s_andn2_b64 vcc, exec, s[10:11]
	s_cbranch_vccnz .LBB521_1466
; %bb.1459:
	global_load_ubyte v3, v[14:15], off
	s_movk_i32 s10, 0x7f
	s_waitcnt vmcnt(0)
	v_cmp_lt_i16_e32 vcc, s10, v3
	s_mov_b64 s[10:11], 0
	s_and_saveexec_b64 s[12:13], vcc
	s_xor_b64 s[12:13], exec, s[12:13]
	s_cbranch_execz .LBB521_1480
; %bb.1460:
	s_movk_i32 s10, 0x80
	v_cmp_eq_u16_e32 vcc, s10, v3
	s_mov_b64 s[10:11], -1
	s_and_saveexec_b64 s[14:15], vcc
; %bb.1461:
	s_xor_b64 s[10:11], exec, -1
; %bb.1462:
	s_or_b64 exec, exec, s[14:15]
	s_and_b64 s[10:11], s[10:11], exec
	s_or_saveexec_b64 s[12:13], s[12:13]
	v_mov_b32_e32 v1, 0x7f800001
	s_xor_b64 exec, exec, s[12:13]
	s_cbranch_execnz .LBB521_1481
.LBB521_1463:
	s_or_b64 exec, exec, s[12:13]
	s_and_saveexec_b64 s[12:13], s[10:11]
	s_cbranch_execz .LBB521_1465
.LBB521_1464:
	v_lshlrev_b32_e32 v1, 24, v3
	v_and_b32_e32 v3, 0xffff, v3
	v_and_b32_e32 v5, 7, v3
	v_ffbh_u32_e32 v9, v5
	v_min_u32_e32 v9, 32, v9
	v_subrev_u32_e32 v11, 28, v9
	v_bfe_u32 v7, v3, 3, 4
	v_lshlrev_b32_e32 v3, v11, v3
	v_sub_u32_e32 v9, 29, v9
	v_and_b32_e32 v3, 7, v3
	v_cmp_eq_u32_e32 vcc, 0, v7
	v_and_b32_e32 v1, 0x80000000, v1
	s_nop 0
	v_cndmask_b32_e32 v7, v7, v9, vcc
	v_cndmask_b32_e32 v3, v5, v3, vcc
	v_mov_b32_e32 v5, 0x3b800000
	v_lshlrev_b32_e32 v3, 20, v3
	v_lshl_add_u32 v5, v7, 23, v5
	v_or3_b32 v1, v1, v5, v3
.LBB521_1465:
	s_or_b64 exec, exec, s[12:13]
.LBB521_1466:
	s_mov_b64 s[10:11], -1
.LBB521_1467:
	s_mov_b64 s[12:13], 0
.LBB521_1468:
	s_and_b64 vcc, exec, s[12:13]
	s_cbranch_vccz .LBB521_1501
; %bb.1469:
	s_cmp_gt_i32 s18, 22
	s_cbranch_scc0 .LBB521_1479
; %bb.1470:
	s_cmp_lt_i32 s18, 24
	s_cbranch_scc1 .LBB521_1482
; %bb.1471:
	s_cmp_gt_i32 s18, 24
	s_cbranch_scc0 .LBB521_1483
; %bb.1472:
	global_load_ubyte v3, v[14:15], off
	s_movk_i32 s8, 0x7f
	s_waitcnt vmcnt(0)
	v_cmp_lt_i16_e32 vcc, s8, v3
	s_mov_b64 s[8:9], 0
	s_and_saveexec_b64 s[10:11], vcc
	s_xor_b64 s[10:11], exec, s[10:11]
	s_cbranch_execz .LBB521_1495
; %bb.1473:
	s_movk_i32 s8, 0x80
	v_cmp_eq_u16_e32 vcc, s8, v3
	s_mov_b64 s[8:9], -1
	s_and_saveexec_b64 s[12:13], vcc
; %bb.1474:
	s_xor_b64 s[8:9], exec, -1
; %bb.1475:
	s_or_b64 exec, exec, s[12:13]
	s_and_b64 s[8:9], s[8:9], exec
	s_or_saveexec_b64 s[10:11], s[10:11]
	v_mov_b32_e32 v1, 0x7f800001
	s_xor_b64 exec, exec, s[10:11]
	s_cbranch_execnz .LBB521_1496
.LBB521_1476:
	s_or_b64 exec, exec, s[10:11]
	s_and_saveexec_b64 s[10:11], s[8:9]
	s_cbranch_execz .LBB521_1478
.LBB521_1477:
	v_lshlrev_b32_e32 v1, 24, v3
	v_and_b32_e32 v3, 0xffff, v3
	v_and_b32_e32 v5, 3, v3
	v_ffbh_u32_e32 v9, v5
	v_min_u32_e32 v9, 32, v9
	v_subrev_u32_e32 v11, 29, v9
	v_bfe_u32 v7, v3, 2, 5
	v_lshlrev_b32_e32 v3, v11, v3
	v_sub_u32_e32 v9, 30, v9
	v_and_b32_e32 v3, 3, v3
	v_cmp_eq_u32_e32 vcc, 0, v7
	v_and_b32_e32 v1, 0x80000000, v1
	s_nop 0
	v_cndmask_b32_e32 v7, v7, v9, vcc
	v_cndmask_b32_e32 v3, v5, v3, vcc
	v_mov_b32_e32 v5, 0x37800000
	v_lshlrev_b32_e32 v3, 21, v3
	v_lshl_add_u32 v5, v7, 23, v5
	v_or3_b32 v1, v1, v5, v3
.LBB521_1478:
	s_or_b64 exec, exec, s[10:11]
	s_mov_b64 s[8:9], 0
	s_branch .LBB521_1484
.LBB521_1479:
	s_mov_b64 s[8:9], -1
                                        ; implicit-def: $vgpr1
	s_branch .LBB521_1490
.LBB521_1480:
	s_or_saveexec_b64 s[12:13], s[12:13]
	v_mov_b32_e32 v1, 0x7f800001
	s_xor_b64 exec, exec, s[12:13]
	s_cbranch_execz .LBB521_1463
.LBB521_1481:
	v_cmp_ne_u16_e32 vcc, 0, v3
	s_andn2_b64 s[10:11], s[10:11], exec
	s_and_b64 s[14:15], vcc, exec
	v_mov_b32_e32 v1, 0
	s_or_b64 s[10:11], s[10:11], s[14:15]
	s_or_b64 exec, exec, s[12:13]
	s_and_saveexec_b64 s[12:13], s[10:11]
	s_cbranch_execnz .LBB521_1464
	s_branch .LBB521_1465
.LBB521_1482:
	s_mov_b64 s[8:9], -1
                                        ; implicit-def: $vgpr1
	s_branch .LBB521_1487
.LBB521_1483:
	s_mov_b64 s[8:9], -1
                                        ; implicit-def: $vgpr1
.LBB521_1484:
	s_and_b64 vcc, exec, s[8:9]
	s_cbranch_vccz .LBB521_1486
; %bb.1485:
	global_load_ubyte v1, v[14:15], off
	s_mov_b32 s8, 0x7f800000
	s_waitcnt vmcnt(0)
	v_lshlrev_b32_e32 v1, 24, v1
	v_and_b32_e32 v3, 0x7f000000, v1
	v_ffbh_u32_e32 v5, v3
	v_min_u32_e32 v5, 32, v5
	v_sub_u32_e64 v5, v5, 4 clamp
	v_lshlrev_b32_e32 v9, v5, v3
	v_lshlrev_b32_e32 v5, 23, v5
	v_lshrrev_b32_e32 v9, 4, v9
	v_add_u32_e32 v7, 0x1000000, v3
	v_sub_u32_e32 v5, v9, v5
	v_ashrrev_i32_e32 v7, 8, v7
	v_add_u32_e32 v5, 0x3c000000, v5
	v_and_or_b32 v5, v7, s8, v5
	v_cmp_ne_u32_e32 vcc, 0, v3
	s_brev_b32 s8, 1
	s_nop 0
	v_cndmask_b32_e32 v3, 0, v5, vcc
	v_and_or_b32 v1, v1, s8, v3
.LBB521_1486:
	s_mov_b64 s[8:9], 0
.LBB521_1487:
	s_andn2_b64 vcc, exec, s[8:9]
	s_cbranch_vccnz .LBB521_1489
; %bb.1488:
	global_load_ubyte v1, v[14:15], off
	s_movk_i32 s8, 0x7f00
	s_brev_b32 s9, 16
	s_waitcnt vmcnt(0)
	v_lshlrev_b16_e32 v3, 8, v1
	v_lshlrev_b32_e32 v1, 25, v1
	v_lshrrev_b32_e32 v5, 4, v1
	v_and_or_b32 v7, v3, s8, 0.5
	v_or_b32_e32 v5, 0x70000000, v5
	v_add_f32_e32 v7, -0.5, v7
	v_mul_f32_e32 v5, 0x7800000, v5
	v_cmp_gt_u32_e32 vcc, s9, v1
	v_bfe_i32 v3, v3, 0, 16
	s_brev_b32 s8, 1
	v_cndmask_b32_e32 v1, v5, v7, vcc
	v_and_or_b32 v1, v3, s8, v1
.LBB521_1489:
	s_mov_b64 s[8:9], 0
	s_mov_b64 s[10:11], -1
.LBB521_1490:
	s_andn2_b64 vcc, exec, s[8:9]
	s_mov_b64 s[8:9], 0
	s_cbranch_vccnz .LBB521_1501
; %bb.1491:
	s_cmp_gt_i32 s18, 14
	s_cbranch_scc0 .LBB521_1494
; %bb.1492:
	s_cmp_eq_u32 s18, 15
	s_cbranch_scc0 .LBB521_1497
; %bb.1493:
	global_load_ushort v1, v[14:15], off
	s_mov_b64 s[0:1], 0
	s_mov_b64 s[10:11], -1
	s_waitcnt vmcnt(0)
	v_lshlrev_b32_e32 v1, 16, v1
	s_branch .LBB521_1498
.LBB521_1494:
	s_mov_b64 s[12:13], -1
                                        ; implicit-def: $vgpr1
	s_branch .LBB521_1499
.LBB521_1495:
	s_or_saveexec_b64 s[10:11], s[10:11]
	v_mov_b32_e32 v1, 0x7f800001
	s_xor_b64 exec, exec, s[10:11]
	s_cbranch_execz .LBB521_1476
.LBB521_1496:
	v_cmp_ne_u16_e32 vcc, 0, v3
	s_andn2_b64 s[8:9], s[8:9], exec
	s_and_b64 s[12:13], vcc, exec
	v_mov_b32_e32 v1, 0
	s_or_b64 s[8:9], s[8:9], s[12:13]
	s_or_b64 exec, exec, s[10:11]
	s_and_saveexec_b64 s[10:11], s[8:9]
	s_cbranch_execnz .LBB521_1477
	s_branch .LBB521_1478
.LBB521_1497:
	s_mov_b64 s[0:1], -1
                                        ; implicit-def: $vgpr1
.LBB521_1498:
	s_mov_b64 s[12:13], 0
.LBB521_1499:
	s_and_b64 vcc, exec, s[12:13]
	s_cbranch_vccz .LBB521_1501
; %bb.1500:
	s_cmp_lg_u32 s18, 11
	s_mov_b64 s[8:9], -1
	s_cselect_b64 s[0:1], -1, 0
.LBB521_1501:
	s_and_b64 vcc, exec, s[0:1]
	s_cbranch_vccnz .LBB521_1568
; %bb.1502:
	s_andn2_b64 vcc, exec, s[8:9]
	s_cbranch_vccnz .LBB521_1504
.LBB521_1503:
	global_load_ubyte v1, v[14:15], off
	s_mov_b64 s[10:11], -1
	s_waitcnt vmcnt(0)
	v_cmp_ne_u16_e32 vcc, 0, v1
	s_nop 1
	v_cndmask_b32_e64 v1, 0, 1.0, vcc
.LBB521_1504:
	s_branch .LBB521_1432
.LBB521_1505:
	s_and_b32 s8, 0xffff, s17
	s_cmp_lt_i32 s8, 5
	s_cbranch_scc1 .LBB521_1510
; %bb.1506:
	s_cmp_lt_i32 s8, 8
	s_cbranch_scc1 .LBB521_1511
; %bb.1507:
	s_cmp_lt_i32 s8, 9
	s_cbranch_scc1 .LBB521_1512
; %bb.1508:
	s_cmp_gt_i32 s8, 9
	s_cbranch_scc0 .LBB521_1513
; %bb.1509:
	global_load_dwordx2 v[16:17], v[14:15], off
	s_mov_b64 s[0:1], 0
	s_waitcnt vmcnt(0)
	v_cvt_f32_f64_e32 v1, v[16:17]
	s_branch .LBB521_1514
.LBB521_1510:
	s_mov_b64 s[0:1], -1
                                        ; implicit-def: $vgpr1
	s_branch .LBB521_1532
.LBB521_1511:
	s_mov_b64 s[0:1], -1
                                        ; implicit-def: $vgpr1
	s_branch .LBB521_1520
.LBB521_1512:
	s_mov_b64 s[0:1], -1
                                        ; implicit-def: $vgpr1
	s_branch .LBB521_1517
.LBB521_1513:
	s_mov_b64 s[0:1], -1
                                        ; implicit-def: $vgpr1
.LBB521_1514:
	s_andn2_b64 vcc, exec, s[0:1]
	s_cbranch_vccnz .LBB521_1516
; %bb.1515:
	global_load_dword v1, v[14:15], off
.LBB521_1516:
	s_mov_b64 s[0:1], 0
.LBB521_1517:
	s_andn2_b64 vcc, exec, s[0:1]
	s_cbranch_vccnz .LBB521_1519
; %bb.1518:
	global_load_dword v1, v[14:15], off
	s_waitcnt vmcnt(0)
	v_cvt_f32_f16_e32 v1, v1
.LBB521_1519:
	s_mov_b64 s[0:1], 0
.LBB521_1520:
	s_andn2_b64 vcc, exec, s[0:1]
	s_cbranch_vccnz .LBB521_1531
; %bb.1521:
	s_cmp_lt_i32 s8, 6
	s_cbranch_scc1 .LBB521_1524
; %bb.1522:
	s_cmp_gt_i32 s8, 6
	s_cbranch_scc0 .LBB521_1525
; %bb.1523:
	global_load_dwordx2 v[16:17], v[14:15], off
	s_mov_b64 s[0:1], 0
	s_waitcnt vmcnt(0)
	v_cvt_f32_f64_e32 v1, v[16:17]
	s_branch .LBB521_1526
.LBB521_1524:
	s_mov_b64 s[0:1], -1
                                        ; implicit-def: $vgpr1
	s_branch .LBB521_1529
.LBB521_1525:
	s_mov_b64 s[0:1], -1
                                        ; implicit-def: $vgpr1
.LBB521_1526:
	s_andn2_b64 vcc, exec, s[0:1]
	s_cbranch_vccnz .LBB521_1528
; %bb.1527:
	global_load_dword v1, v[14:15], off
.LBB521_1528:
	s_mov_b64 s[0:1], 0
.LBB521_1529:
	s_andn2_b64 vcc, exec, s[0:1]
	s_cbranch_vccnz .LBB521_1531
; %bb.1530:
	global_load_ushort v1, v[14:15], off
	s_waitcnt vmcnt(0)
	v_cvt_f32_f16_e32 v1, v1
.LBB521_1531:
	s_mov_b64 s[0:1], 0
.LBB521_1532:
	s_andn2_b64 vcc, exec, s[0:1]
	s_cbranch_vccnz .LBB521_1552
; %bb.1533:
	s_cmp_lt_i32 s8, 2
	s_cbranch_scc1 .LBB521_1537
; %bb.1534:
	s_cmp_lt_i32 s8, 3
	s_cbranch_scc1 .LBB521_1538
; %bb.1535:
	s_cmp_gt_i32 s8, 3
	s_cbranch_scc0 .LBB521_1539
; %bb.1536:
	global_load_dwordx2 v[16:17], v[14:15], off
	s_mov_b64 s[0:1], 0
	s_waitcnt vmcnt(0)
	v_xor_b32_e32 v3, v16, v17
	v_ffbh_i32_e32 v1, v17
	v_ashrrev_i32_e32 v3, 31, v3
	v_add_u32_e32 v1, -1, v1
	v_add_u32_e32 v3, 32, v3
	v_min_u32_e32 v1, v1, v3
	v_lshlrev_b64 v[16:17], v1, v[16:17]
	v_min_u32_e32 v3, 1, v16
	v_or_b32_e32 v3, v17, v3
	v_cvt_f32_i32_e32 v3, v3
	v_sub_u32_e32 v1, 32, v1
	v_ldexp_f32 v1, v3, v1
	s_branch .LBB521_1540
.LBB521_1537:
	s_mov_b64 s[0:1], -1
                                        ; implicit-def: $vgpr1
	s_branch .LBB521_1546
.LBB521_1538:
	s_mov_b64 s[0:1], -1
                                        ; implicit-def: $vgpr1
	s_branch .LBB521_1543
.LBB521_1539:
	s_mov_b64 s[0:1], -1
                                        ; implicit-def: $vgpr1
.LBB521_1540:
	s_andn2_b64 vcc, exec, s[0:1]
	s_cbranch_vccnz .LBB521_1542
; %bb.1541:
	global_load_dword v1, v[14:15], off
	s_waitcnt vmcnt(0)
	v_cvt_f32_i32_e32 v1, v1
.LBB521_1542:
	s_mov_b64 s[0:1], 0
.LBB521_1543:
	s_andn2_b64 vcc, exec, s[0:1]
	s_cbranch_vccnz .LBB521_1545
; %bb.1544:
	global_load_sshort v1, v[14:15], off
	s_waitcnt vmcnt(0)
	v_cvt_f32_i32_e32 v1, v1
.LBB521_1545:
	s_mov_b64 s[0:1], 0
.LBB521_1546:
	s_andn2_b64 vcc, exec, s[0:1]
	s_cbranch_vccnz .LBB521_1552
; %bb.1547:
	s_cmp_gt_i32 s8, 0
	s_cbranch_scc0 .LBB521_1549
; %bb.1548:
	global_load_sbyte v1, v[14:15], off
	s_mov_b64 s[0:1], 0
	s_waitcnt vmcnt(0)
	v_cvt_f32_i32_e32 v1, v1
	s_branch .LBB521_1550
.LBB521_1549:
	s_mov_b64 s[0:1], -1
                                        ; implicit-def: $vgpr1
.LBB521_1550:
	s_andn2_b64 vcc, exec, s[0:1]
	s_cbranch_vccnz .LBB521_1552
; %bb.1551:
	global_load_ubyte v1, v[14:15], off
	s_waitcnt vmcnt(0)
	v_cvt_f32_ubyte0_e32 v1, v1
.LBB521_1552:
.LBB521_1553:
	s_waitcnt vmcnt(0)
	v_cmp_o_f32_e32 vcc, v1, v1
	v_mov_b32_e32 v14, s16
	s_and_saveexec_b64 s[0:1], vcc
	s_cbranch_execz .LBB521_1557
; %bb.1554:
	s_load_dword s8, s[34:35], 0x15c
	s_mov_b32 s9, 0x7f800000
	v_cmp_neq_f32_e32 vcc, s9, v1
	s_waitcnt lgkmcnt(0)
	v_mov_b32_e32 v14, s8
	s_and_saveexec_b64 s[8:9], vcc
	s_cbranch_execz .LBB521_1556
; %bb.1555:
	s_load_dword s10, s[34:35], 0x160
	s_mov_b32 s11, 0xff800000
	v_cmp_eq_f32_e32 vcc, s11, v1
	s_waitcnt lgkmcnt(0)
	v_mov_b32_e32 v3, s10
	v_cndmask_b32_e32 v14, v1, v3, vcc
.LBB521_1556:
	s_or_b64 exec, exec, s[8:9]
.LBB521_1557:
	s_or_b64 exec, exec, s[0:1]
	v_mov_b32_e32 v9, 0
	s_cmp_lt_i32 s17, 11
	v_lshl_add_u64 v[8:9], s[6:7], 0, v[8:9]
	s_cbranch_scc1 .LBB521_1564
; %bb.1558:
	s_and_b32 s14, 0xffff, s17
	s_cmp_gt_i32 s14, 25
	s_mov_b64 s[6:7], 0
	s_cbranch_scc0 .LBB521_1565
; %bb.1559:
	s_cmp_gt_i32 s14, 28
	s_cbranch_scc0 .LBB521_1566
; %bb.1560:
	s_cmp_gt_i32 s14, 43
	;; [unrolled: 3-line block ×3, first 2 shown]
	s_cbranch_scc0 .LBB521_1569
; %bb.1562:
	s_cmp_eq_u32 s14, 46
	s_mov_b64 s[10:11], 0
	s_cbranch_scc0 .LBB521_1570
; %bb.1563:
	global_load_dword v1, v[8:9], off
	s_mov_b64 s[0:1], 0
	s_mov_b64 s[8:9], -1
	s_waitcnt vmcnt(0)
	v_lshlrev_b32_e32 v1, 16, v1
	s_branch .LBB521_1571
.LBB521_1564:
	s_mov_b64 s[0:1], -1
	s_mov_b64 s[8:9], 0
                                        ; implicit-def: $vgpr1
	s_branch .LBB521_1637
.LBB521_1565:
	s_mov_b64 s[10:11], -1
	s_mov_b64 s[8:9], 0
	s_mov_b64 s[0:1], 0
                                        ; implicit-def: $vgpr1
	s_branch .LBB521_1600
.LBB521_1566:
	s_mov_b64 s[10:11], -1
	s_mov_b64 s[8:9], 0
	s_mov_b64 s[0:1], 0
                                        ; implicit-def: $vgpr1
	s_branch .LBB521_1581
.LBB521_1567:
	s_mov_b64 s[10:11], -1
	s_mov_b64 s[8:9], 0
	s_mov_b64 s[0:1], 0
                                        ; implicit-def: $vgpr1
	s_branch .LBB521_1576
.LBB521_1568:
	s_trap 2
	s_or_b64 s[2:3], s[2:3], exec
	s_cbranch_execz .LBB521_1503
	s_branch .LBB521_1504
.LBB521_1569:
	s_mov_b64 s[10:11], -1
	s_mov_b64 s[8:9], 0
	s_mov_b64 s[0:1], 0
                                        ; implicit-def: $vgpr1
	s_branch .LBB521_1571
.LBB521_1570:
	s_mov_b64 s[0:1], -1
                                        ; implicit-def: $vgpr1
	s_mov_b64 s[8:9], 0
.LBB521_1571:
	s_and_b64 vcc, exec, s[10:11]
	s_cbranch_vccz .LBB521_1575
; %bb.1572:
	s_cmp_eq_u32 s14, 44
	s_cbranch_scc0 .LBB521_1574
; %bb.1573:
	global_load_ubyte v1, v[8:9], off
	s_movk_i32 s8, 0xff
	v_mov_b32_e32 v3, 0x7f800001
	v_mov_b32_e32 v5, 0x400000
	s_mov_b64 s[0:1], 0
	s_waitcnt vmcnt(0)
	v_lshlrev_b32_e32 v7, 23, v1
	v_cmp_ne_u32_e32 vcc, s8, v1
	s_mov_b64 s[8:9], -1
	s_nop 0
	v_cndmask_b32_e32 v3, v3, v7, vcc
	v_cmp_ne_u32_e32 vcc, 0, v1
	s_nop 1
	v_cndmask_b32_e32 v1, v5, v3, vcc
	s_branch .LBB521_1575
.LBB521_1574:
	s_mov_b64 s[0:1], -1
                                        ; implicit-def: $vgpr1
.LBB521_1575:
	s_mov_b64 s[10:11], 0
.LBB521_1576:
	s_and_b64 vcc, exec, s[10:11]
	s_cbranch_vccz .LBB521_1580
; %bb.1577:
	s_cmp_eq_u32 s14, 29
	s_cbranch_scc0 .LBB521_1579
; %bb.1578:
	global_load_dwordx2 v[16:17], v[8:9], off
	s_mov_b64 s[0:1], 0
	s_mov_b64 s[8:9], -1
	s_mov_b64 s[10:11], 0
	s_waitcnt vmcnt(0)
	v_ffbh_u32_e32 v1, v17
	v_min_u32_e32 v1, 32, v1
	v_lshlrev_b64 v[16:17], v1, v[16:17]
	v_min_u32_e32 v3, 1, v16
	v_or_b32_e32 v3, v17, v3
	v_cvt_f32_u32_e32 v3, v3
	v_sub_u32_e32 v1, 32, v1
	v_ldexp_f32 v1, v3, v1
	s_branch .LBB521_1581
.LBB521_1579:
	s_mov_b64 s[0:1], -1
                                        ; implicit-def: $vgpr1
.LBB521_1580:
	s_mov_b64 s[10:11], 0
.LBB521_1581:
	s_and_b64 vcc, exec, s[10:11]
	s_cbranch_vccz .LBB521_1599
; %bb.1582:
	s_cmp_lt_i32 s14, 27
	s_cbranch_scc1 .LBB521_1585
; %bb.1583:
	s_cmp_gt_i32 s14, 27
	s_cbranch_scc0 .LBB521_1586
; %bb.1584:
	global_load_dword v1, v[8:9], off
	s_mov_b64 s[8:9], 0
	s_waitcnt vmcnt(0)
	v_cvt_f32_u32_e32 v1, v1
	s_branch .LBB521_1587
.LBB521_1585:
	s_mov_b64 s[8:9], -1
                                        ; implicit-def: $vgpr1
	s_branch .LBB521_1590
.LBB521_1586:
	s_mov_b64 s[8:9], -1
                                        ; implicit-def: $vgpr1
.LBB521_1587:
	s_andn2_b64 vcc, exec, s[8:9]
	s_cbranch_vccnz .LBB521_1589
; %bb.1588:
	global_load_ushort v1, v[8:9], off
	s_waitcnt vmcnt(0)
	v_cvt_f32_u32_e32 v1, v1
.LBB521_1589:
	s_mov_b64 s[8:9], 0
.LBB521_1590:
	s_andn2_b64 vcc, exec, s[8:9]
	s_cbranch_vccnz .LBB521_1598
; %bb.1591:
	global_load_ubyte v3, v[8:9], off
	s_movk_i32 s8, 0x7f
	s_waitcnt vmcnt(0)
	v_cmp_lt_i16_e32 vcc, s8, v3
	s_mov_b64 s[8:9], 0
	s_and_saveexec_b64 s[10:11], vcc
	s_xor_b64 s[10:11], exec, s[10:11]
	s_cbranch_execz .LBB521_1612
; %bb.1592:
	s_movk_i32 s8, 0x80
	v_cmp_eq_u16_e32 vcc, s8, v3
	s_mov_b64 s[8:9], -1
	s_and_saveexec_b64 s[12:13], vcc
; %bb.1593:
	s_xor_b64 s[8:9], exec, -1
; %bb.1594:
	s_or_b64 exec, exec, s[12:13]
	s_and_b64 s[8:9], s[8:9], exec
	s_or_saveexec_b64 s[10:11], s[10:11]
	v_mov_b32_e32 v1, 0x7f800001
	s_xor_b64 exec, exec, s[10:11]
	s_cbranch_execnz .LBB521_1613
.LBB521_1595:
	s_or_b64 exec, exec, s[10:11]
	s_and_saveexec_b64 s[10:11], s[8:9]
	s_cbranch_execz .LBB521_1597
.LBB521_1596:
	v_lshlrev_b32_e32 v1, 24, v3
	v_and_b32_e32 v3, 0xffff, v3
	v_and_b32_e32 v5, 7, v3
	v_ffbh_u32_e32 v11, v5
	v_min_u32_e32 v11, 32, v11
	v_subrev_u32_e32 v13, 28, v11
	v_bfe_u32 v7, v3, 3, 4
	v_lshlrev_b32_e32 v3, v13, v3
	v_sub_u32_e32 v11, 29, v11
	v_and_b32_e32 v3, 7, v3
	v_cmp_eq_u32_e32 vcc, 0, v7
	v_and_b32_e32 v1, 0x80000000, v1
	s_nop 0
	v_cndmask_b32_e32 v7, v7, v11, vcc
	v_cndmask_b32_e32 v3, v5, v3, vcc
	v_mov_b32_e32 v5, 0x3b800000
	v_lshlrev_b32_e32 v3, 20, v3
	v_lshl_add_u32 v5, v7, 23, v5
	v_or3_b32 v1, v1, v5, v3
.LBB521_1597:
	s_or_b64 exec, exec, s[10:11]
.LBB521_1598:
	s_mov_b64 s[8:9], -1
.LBB521_1599:
	s_mov_b64 s[10:11], 0
.LBB521_1600:
	s_and_b64 vcc, exec, s[10:11]
	s_cbranch_vccz .LBB521_1633
; %bb.1601:
	s_cmp_gt_i32 s14, 22
	s_cbranch_scc0 .LBB521_1611
; %bb.1602:
	s_cmp_lt_i32 s14, 24
	s_cbranch_scc1 .LBB521_1614
; %bb.1603:
	s_cmp_gt_i32 s14, 24
	s_cbranch_scc0 .LBB521_1615
; %bb.1604:
	global_load_ubyte v3, v[8:9], off
	s_movk_i32 s6, 0x7f
	s_waitcnt vmcnt(0)
	v_cmp_lt_i16_e32 vcc, s6, v3
	s_mov_b64 s[6:7], 0
	s_and_saveexec_b64 s[8:9], vcc
	s_xor_b64 s[8:9], exec, s[8:9]
	s_cbranch_execz .LBB521_1627
; %bb.1605:
	s_movk_i32 s6, 0x80
	v_cmp_eq_u16_e32 vcc, s6, v3
	s_mov_b64 s[6:7], -1
	s_and_saveexec_b64 s[10:11], vcc
; %bb.1606:
	s_xor_b64 s[6:7], exec, -1
; %bb.1607:
	s_or_b64 exec, exec, s[10:11]
	s_and_b64 s[6:7], s[6:7], exec
	s_or_saveexec_b64 s[8:9], s[8:9]
	v_mov_b32_e32 v1, 0x7f800001
	s_xor_b64 exec, exec, s[8:9]
	s_cbranch_execnz .LBB521_1628
.LBB521_1608:
	s_or_b64 exec, exec, s[8:9]
	s_and_saveexec_b64 s[8:9], s[6:7]
	s_cbranch_execz .LBB521_1610
.LBB521_1609:
	v_lshlrev_b32_e32 v1, 24, v3
	v_and_b32_e32 v3, 0xffff, v3
	v_and_b32_e32 v5, 3, v3
	v_ffbh_u32_e32 v11, v5
	v_min_u32_e32 v11, 32, v11
	v_subrev_u32_e32 v13, 29, v11
	v_bfe_u32 v7, v3, 2, 5
	v_lshlrev_b32_e32 v3, v13, v3
	v_sub_u32_e32 v11, 30, v11
	v_and_b32_e32 v3, 3, v3
	v_cmp_eq_u32_e32 vcc, 0, v7
	v_and_b32_e32 v1, 0x80000000, v1
	s_nop 0
	v_cndmask_b32_e32 v7, v7, v11, vcc
	v_cndmask_b32_e32 v3, v5, v3, vcc
	v_mov_b32_e32 v5, 0x37800000
	v_lshlrev_b32_e32 v3, 21, v3
	v_lshl_add_u32 v5, v7, 23, v5
	v_or3_b32 v1, v1, v5, v3
.LBB521_1610:
	s_or_b64 exec, exec, s[8:9]
	s_mov_b64 s[6:7], 0
	s_branch .LBB521_1616
.LBB521_1611:
	s_mov_b64 s[6:7], -1
                                        ; implicit-def: $vgpr1
	s_branch .LBB521_1622
.LBB521_1612:
	s_or_saveexec_b64 s[10:11], s[10:11]
	v_mov_b32_e32 v1, 0x7f800001
	s_xor_b64 exec, exec, s[10:11]
	s_cbranch_execz .LBB521_1595
.LBB521_1613:
	v_cmp_ne_u16_e32 vcc, 0, v3
	s_andn2_b64 s[8:9], s[8:9], exec
	s_and_b64 s[12:13], vcc, exec
	v_mov_b32_e32 v1, 0
	s_or_b64 s[8:9], s[8:9], s[12:13]
	s_or_b64 exec, exec, s[10:11]
	s_and_saveexec_b64 s[10:11], s[8:9]
	s_cbranch_execnz .LBB521_1596
	s_branch .LBB521_1597
.LBB521_1614:
	s_mov_b64 s[6:7], -1
                                        ; implicit-def: $vgpr1
	s_branch .LBB521_1619
.LBB521_1615:
	s_mov_b64 s[6:7], -1
                                        ; implicit-def: $vgpr1
.LBB521_1616:
	s_and_b64 vcc, exec, s[6:7]
	s_cbranch_vccz .LBB521_1618
; %bb.1617:
	global_load_ubyte v1, v[8:9], off
	s_mov_b32 s6, 0x7f800000
	s_waitcnt vmcnt(0)
	v_lshlrev_b32_e32 v1, 24, v1
	v_and_b32_e32 v3, 0x7f000000, v1
	v_ffbh_u32_e32 v5, v3
	v_min_u32_e32 v5, 32, v5
	v_sub_u32_e64 v5, v5, 4 clamp
	v_lshlrev_b32_e32 v11, v5, v3
	v_lshlrev_b32_e32 v5, 23, v5
	v_lshrrev_b32_e32 v11, 4, v11
	v_add_u32_e32 v7, 0x1000000, v3
	v_sub_u32_e32 v5, v11, v5
	v_ashrrev_i32_e32 v7, 8, v7
	v_add_u32_e32 v5, 0x3c000000, v5
	v_and_or_b32 v5, v7, s6, v5
	v_cmp_ne_u32_e32 vcc, 0, v3
	s_brev_b32 s6, 1
	s_nop 0
	v_cndmask_b32_e32 v3, 0, v5, vcc
	v_and_or_b32 v1, v1, s6, v3
.LBB521_1618:
	s_mov_b64 s[6:7], 0
.LBB521_1619:
	s_andn2_b64 vcc, exec, s[6:7]
	s_cbranch_vccnz .LBB521_1621
; %bb.1620:
	global_load_ubyte v1, v[8:9], off
	s_movk_i32 s6, 0x7f00
	s_brev_b32 s7, 16
	s_waitcnt vmcnt(0)
	v_lshlrev_b16_e32 v3, 8, v1
	v_lshlrev_b32_e32 v1, 25, v1
	v_lshrrev_b32_e32 v5, 4, v1
	v_and_or_b32 v7, v3, s6, 0.5
	v_or_b32_e32 v5, 0x70000000, v5
	v_add_f32_e32 v7, -0.5, v7
	v_mul_f32_e32 v5, 0x7800000, v5
	v_cmp_gt_u32_e32 vcc, s7, v1
	v_bfe_i32 v3, v3, 0, 16
	s_brev_b32 s6, 1
	v_cndmask_b32_e32 v1, v5, v7, vcc
	v_and_or_b32 v1, v3, s6, v1
.LBB521_1621:
	s_mov_b64 s[6:7], 0
	s_mov_b64 s[8:9], -1
.LBB521_1622:
	s_andn2_b64 vcc, exec, s[6:7]
	s_mov_b64 s[6:7], 0
	s_cbranch_vccnz .LBB521_1633
; %bb.1623:
	s_cmp_gt_i32 s14, 14
	s_cbranch_scc0 .LBB521_1626
; %bb.1624:
	s_cmp_eq_u32 s14, 15
	s_cbranch_scc0 .LBB521_1629
; %bb.1625:
	global_load_ushort v1, v[8:9], off
	s_mov_b64 s[0:1], 0
	s_mov_b64 s[8:9], -1
	s_waitcnt vmcnt(0)
	v_lshlrev_b32_e32 v1, 16, v1
	s_branch .LBB521_1630
.LBB521_1626:
	s_mov_b64 s[10:11], -1
                                        ; implicit-def: $vgpr1
	s_branch .LBB521_1631
.LBB521_1627:
	s_or_saveexec_b64 s[8:9], s[8:9]
	v_mov_b32_e32 v1, 0x7f800001
	s_xor_b64 exec, exec, s[8:9]
	s_cbranch_execz .LBB521_1608
.LBB521_1628:
	v_cmp_ne_u16_e32 vcc, 0, v3
	s_andn2_b64 s[6:7], s[6:7], exec
	s_and_b64 s[10:11], vcc, exec
	v_mov_b32_e32 v1, 0
	s_or_b64 s[6:7], s[6:7], s[10:11]
	s_or_b64 exec, exec, s[8:9]
	s_and_saveexec_b64 s[8:9], s[6:7]
	s_cbranch_execnz .LBB521_1609
	s_branch .LBB521_1610
.LBB521_1629:
	s_mov_b64 s[0:1], -1
                                        ; implicit-def: $vgpr1
.LBB521_1630:
	s_mov_b64 s[10:11], 0
.LBB521_1631:
	s_and_b64 vcc, exec, s[10:11]
	s_cbranch_vccz .LBB521_1633
; %bb.1632:
	s_cmp_lg_u32 s14, 11
	s_mov_b64 s[6:7], -1
	s_cselect_b64 s[0:1], -1, 0
.LBB521_1633:
	s_and_b64 vcc, exec, s[0:1]
	s_cbranch_vccnz .LBB521_2172
; %bb.1634:
	s_andn2_b64 vcc, exec, s[6:7]
	s_cbranch_vccnz .LBB521_1636
.LBB521_1635:
	global_load_ubyte v1, v[8:9], off
	s_mov_b64 s[8:9], -1
	s_waitcnt vmcnt(0)
	v_cmp_ne_u16_e32 vcc, 0, v1
	s_nop 1
	v_cndmask_b32_e64 v1, 0, 1.0, vcc
.LBB521_1636:
	s_mov_b64 s[0:1], 0
.LBB521_1637:
	s_and_b64 vcc, exec, s[0:1]
	s_cbranch_vccz .LBB521_1686
; %bb.1638:
	s_and_b32 s6, 0xffff, s17
	s_cmp_lt_i32 s6, 5
	s_cbranch_scc1 .LBB521_1643
; %bb.1639:
	s_cmp_lt_i32 s6, 8
	s_cbranch_scc1 .LBB521_1644
; %bb.1640:
	;; [unrolled: 3-line block ×3, first 2 shown]
	s_cmp_gt_i32 s6, 9
	s_cbranch_scc0 .LBB521_1646
; %bb.1642:
	global_load_dwordx2 v[16:17], v[8:9], off
	s_mov_b64 s[0:1], 0
	s_waitcnt vmcnt(0)
	v_cvt_f32_f64_e32 v1, v[16:17]
	s_branch .LBB521_1647
.LBB521_1643:
	s_mov_b64 s[0:1], -1
                                        ; implicit-def: $vgpr1
	s_branch .LBB521_1665
.LBB521_1644:
	s_mov_b64 s[0:1], -1
                                        ; implicit-def: $vgpr1
	s_branch .LBB521_1653
.LBB521_1645:
	s_mov_b64 s[0:1], -1
                                        ; implicit-def: $vgpr1
	s_branch .LBB521_1650
.LBB521_1646:
	s_mov_b64 s[0:1], -1
                                        ; implicit-def: $vgpr1
.LBB521_1647:
	s_andn2_b64 vcc, exec, s[0:1]
	s_cbranch_vccnz .LBB521_1649
; %bb.1648:
	global_load_dword v1, v[8:9], off
.LBB521_1649:
	s_mov_b64 s[0:1], 0
.LBB521_1650:
	s_andn2_b64 vcc, exec, s[0:1]
	s_cbranch_vccnz .LBB521_1652
; %bb.1651:
	global_load_dword v1, v[8:9], off
	s_waitcnt vmcnt(0)
	v_cvt_f32_f16_e32 v1, v1
.LBB521_1652:
	s_mov_b64 s[0:1], 0
.LBB521_1653:
	s_andn2_b64 vcc, exec, s[0:1]
	s_cbranch_vccnz .LBB521_1664
; %bb.1654:
	s_cmp_lt_i32 s6, 6
	s_cbranch_scc1 .LBB521_1657
; %bb.1655:
	s_cmp_gt_i32 s6, 6
	s_cbranch_scc0 .LBB521_1658
; %bb.1656:
	global_load_dwordx2 v[16:17], v[8:9], off
	s_mov_b64 s[0:1], 0
	s_waitcnt vmcnt(0)
	v_cvt_f32_f64_e32 v1, v[16:17]
	s_branch .LBB521_1659
.LBB521_1657:
	s_mov_b64 s[0:1], -1
                                        ; implicit-def: $vgpr1
	s_branch .LBB521_1662
.LBB521_1658:
	s_mov_b64 s[0:1], -1
                                        ; implicit-def: $vgpr1
.LBB521_1659:
	s_andn2_b64 vcc, exec, s[0:1]
	s_cbranch_vccnz .LBB521_1661
; %bb.1660:
	global_load_dword v1, v[8:9], off
.LBB521_1661:
	s_mov_b64 s[0:1], 0
.LBB521_1662:
	s_andn2_b64 vcc, exec, s[0:1]
	s_cbranch_vccnz .LBB521_1664
; %bb.1663:
	global_load_ushort v1, v[8:9], off
	s_waitcnt vmcnt(0)
	v_cvt_f32_f16_e32 v1, v1
.LBB521_1664:
	s_mov_b64 s[0:1], 0
.LBB521_1665:
	s_andn2_b64 vcc, exec, s[0:1]
	s_cbranch_vccnz .LBB521_1685
; %bb.1666:
	s_cmp_lt_i32 s6, 2
	s_cbranch_scc1 .LBB521_1670
; %bb.1667:
	s_cmp_lt_i32 s6, 3
	s_cbranch_scc1 .LBB521_1671
; %bb.1668:
	s_cmp_gt_i32 s6, 3
	s_cbranch_scc0 .LBB521_1672
; %bb.1669:
	global_load_dwordx2 v[16:17], v[8:9], off
	s_mov_b64 s[0:1], 0
	s_waitcnt vmcnt(0)
	v_xor_b32_e32 v3, v16, v17
	v_ffbh_i32_e32 v1, v17
	v_ashrrev_i32_e32 v3, 31, v3
	v_add_u32_e32 v1, -1, v1
	v_add_u32_e32 v3, 32, v3
	v_min_u32_e32 v1, v1, v3
	v_lshlrev_b64 v[16:17], v1, v[16:17]
	v_min_u32_e32 v3, 1, v16
	v_or_b32_e32 v3, v17, v3
	v_cvt_f32_i32_e32 v3, v3
	v_sub_u32_e32 v1, 32, v1
	v_ldexp_f32 v1, v3, v1
	s_branch .LBB521_1673
.LBB521_1670:
	s_mov_b64 s[0:1], -1
                                        ; implicit-def: $vgpr1
	s_branch .LBB521_1679
.LBB521_1671:
	s_mov_b64 s[0:1], -1
                                        ; implicit-def: $vgpr1
	s_branch .LBB521_1676
.LBB521_1672:
	s_mov_b64 s[0:1], -1
                                        ; implicit-def: $vgpr1
.LBB521_1673:
	s_andn2_b64 vcc, exec, s[0:1]
	s_cbranch_vccnz .LBB521_1675
; %bb.1674:
	global_load_dword v1, v[8:9], off
	s_waitcnt vmcnt(0)
	v_cvt_f32_i32_e32 v1, v1
.LBB521_1675:
	s_mov_b64 s[0:1], 0
.LBB521_1676:
	s_andn2_b64 vcc, exec, s[0:1]
	s_cbranch_vccnz .LBB521_1678
; %bb.1677:
	global_load_sshort v1, v[8:9], off
	s_waitcnt vmcnt(0)
	v_cvt_f32_i32_e32 v1, v1
.LBB521_1678:
	s_mov_b64 s[0:1], 0
.LBB521_1679:
	s_andn2_b64 vcc, exec, s[0:1]
	s_cbranch_vccnz .LBB521_1685
; %bb.1680:
	s_cmp_gt_i32 s6, 0
	s_cbranch_scc0 .LBB521_1682
; %bb.1681:
	global_load_sbyte v1, v[8:9], off
	s_mov_b64 s[0:1], 0
	s_waitcnt vmcnt(0)
	v_cvt_f32_i32_e32 v1, v1
	s_branch .LBB521_1683
.LBB521_1682:
	s_mov_b64 s[0:1], -1
                                        ; implicit-def: $vgpr1
.LBB521_1683:
	s_andn2_b64 vcc, exec, s[0:1]
	s_cbranch_vccnz .LBB521_1685
; %bb.1684:
	global_load_ubyte v1, v[8:9], off
	s_waitcnt vmcnt(0)
	v_cvt_f32_ubyte0_e32 v1, v1
.LBB521_1685:
	s_mov_b64 s[8:9], -1
.LBB521_1686:
	s_andn2_b64 vcc, exec, s[8:9]
	s_cbranch_vccnz .LBB521_1769
; %bb.1687:
	s_waitcnt vmcnt(0)
	v_cmp_o_f32_e32 vcc, v1, v1
	v_mov_b32_e32 v8, s16
	s_and_saveexec_b64 s[0:1], vcc
	s_cbranch_execz .LBB521_1691
; %bb.1688:
	s_load_dword s6, s[34:35], 0x15c
	s_mov_b32 s7, 0x7f800000
	v_cmp_neq_f32_e32 vcc, s7, v1
	s_waitcnt lgkmcnt(0)
	v_mov_b32_e32 v8, s6
	s_and_saveexec_b64 s[6:7], vcc
	s_cbranch_execz .LBB521_1690
; %bb.1689:
	s_load_dword s8, s[34:35], 0x160
	s_mov_b32 s9, 0xff800000
	v_cmp_eq_f32_e32 vcc, s9, v1
	s_waitcnt lgkmcnt(0)
	v_mov_b32_e32 v3, s8
	v_cndmask_b32_e32 v8, v1, v3, vcc
.LBB521_1690:
	s_or_b64 exec, exec, s[6:7]
.LBB521_1691:
	s_or_b64 exec, exec, s[0:1]
	s_load_dword s0, s[34:35], 0x164
	v_mov_b32_e32 v7, 0
	v_lshl_add_u64 v[6:7], s[4:5], 0, v[6:7]
	s_waitcnt lgkmcnt(0)
	s_and_b32 s14, s0, 0xff
	s_cmp_lt_i32 s14, 11
	s_cbranch_scc1 .LBB521_1815
; %bb.1692:
	s_and_b32 s15, 0xffff, s14
	s_mov_b64 s[10:11], -1
	s_mov_b64 s[6:7], 0
	s_cmp_gt_i32 s15, 25
	s_mov_b64 s[8:9], 0
	s_mov_b64 s[0:1], 0
	s_cbranch_scc0 .LBB521_1725
; %bb.1693:
	s_cmp_gt_i32 s15, 28
	s_cbranch_scc0 .LBB521_1708
; %bb.1694:
	s_cmp_gt_i32 s15, 43
	;; [unrolled: 3-line block ×3, first 2 shown]
	s_cbranch_scc0 .LBB521_1698
; %bb.1696:
	s_mov_b64 s[0:1], -1
	s_mov_b64 s[10:11], 0
	s_cmp_eq_u32 s15, 46
	s_cbranch_scc0 .LBB521_1698
; %bb.1697:
	v_bfe_u32 v1, v10, 16, 1
	s_movk_i32 s0, 0x7fff
	v_add3_u32 v1, v10, v1, s0
	v_cmp_o_f32_e32 vcc, v10, v10
	v_mov_b32_e32 v3, 0x7fc0
	s_mov_b64 s[0:1], 0
	v_cndmask_b32_sdwa v1, v3, v1, vcc dst_sel:DWORD dst_unused:UNUSED_PAD src0_sel:DWORD src1_sel:WORD_1
	global_store_dword v[6:7], v1, off
	s_mov_b64 s[8:9], -1
.LBB521_1698:
	s_and_b64 vcc, exec, s[10:11]
	s_cbranch_vccz .LBB521_1703
; %bb.1699:
	s_cmp_eq_u32 s15, 44
	s_mov_b64 s[0:1], -1
	s_cbranch_scc0 .LBB521_1703
; %bb.1700:
	v_bfe_u32 v1, v10, 23, 8
	s_movk_i32 s0, 0xff
	v_cmp_ne_u32_e32 vcc, s0, v1
	v_mov_b32_e32 v3, 0xff
	s_and_saveexec_b64 s[8:9], vcc
; %bb.1701:
	s_mov_b32 s0, 0x3fffff
	v_and_b32_e32 v5, 0x400000, v10
	v_and_or_b32 v1, v10, s0, v1
	v_cmp_ne_u32_e32 vcc, 0, v5
	v_cmp_ne_u32_e64 s[0:1], 0, v1
	s_and_b64 s[0:1], vcc, s[0:1]
	v_lshrrev_b32_e32 v3, 23, v10
	v_cndmask_b32_e64 v1, 0, 1, s[0:1]
	v_add_u32_e32 v3, v3, v1
; %bb.1702:
	s_or_b64 exec, exec, s[8:9]
	s_mov_b64 s[0:1], 0
	s_mov_b64 s[8:9], -1
	global_store_byte v[6:7], v3, off
.LBB521_1703:
	s_mov_b64 s[10:11], 0
.LBB521_1704:
	s_and_b64 vcc, exec, s[10:11]
	s_cbranch_vccz .LBB521_1707
; %bb.1705:
	s_cmp_eq_u32 s15, 29
	s_mov_b64 s[0:1], -1
	s_cbranch_scc0 .LBB521_1707
; %bb.1706:
	v_trunc_f32_e32 v1, v10
	v_mul_f32_e32 v3, 0x2f800000, v1
	v_floor_f32_e32 v3, v3
	v_fmamk_f32 v1, v3, 0xcf800000, v1
	v_cvt_u32_f32_e32 v17, v3
	v_cvt_u32_f32_e32 v16, v1
	s_mov_b64 s[0:1], 0
	s_mov_b64 s[8:9], -1
	global_store_dwordx2 v[6:7], v[16:17], off
.LBB521_1707:
	s_mov_b64 s[10:11], 0
.LBB521_1708:
	s_and_b64 vcc, exec, s[10:11]
	s_cbranch_vccz .LBB521_1724
; %bb.1709:
	s_cmp_lt_i32 s15, 27
	s_mov_b64 s[8:9], -1
	s_cbranch_scc1 .LBB521_1715
; %bb.1710:
	v_cvt_u32_f32_e32 v1, v10
	s_cmp_gt_i32 s15, 27
	s_cbranch_scc0 .LBB521_1712
; %bb.1711:
	s_mov_b64 s[8:9], 0
	global_store_dword v[6:7], v1, off
.LBB521_1712:
	s_andn2_b64 vcc, exec, s[8:9]
	s_cbranch_vccnz .LBB521_1714
; %bb.1713:
	global_store_short v[6:7], v1, off
.LBB521_1714:
	s_mov_b64 s[8:9], 0
.LBB521_1715:
	s_andn2_b64 vcc, exec, s[8:9]
	s_cbranch_vccnz .LBB521_1723
; %bb.1716:
	v_and_b32_e32 v1, 0x7fffffff, v10
	s_mov_b32 s8, 0x43800000
	v_cmp_gt_u32_e32 vcc, s8, v1
	v_mov_b32_e32 v3, 0x80
	s_and_saveexec_b64 s[8:9], vcc
	s_cbranch_execz .LBB521_1722
; %bb.1717:
	s_mov_b32 s10, 0x3bffffff
	v_cmp_lt_u32_e32 vcc, s10, v1
	s_mov_b64 s[10:11], 0
                                        ; implicit-def: $vgpr1
	s_and_saveexec_b64 s[12:13], vcc
	s_xor_b64 s[12:13], exec, s[12:13]
	s_cbranch_execz .LBB521_2173
; %bb.1718:
	v_bfe_u32 v1, v10, 20, 1
	s_mov_b32 s16, 0x487ffff
	v_add3_u32 v1, v10, v1, s16
	s_mov_b64 s[10:11], exec
	v_lshrrev_b32_e32 v1, 20, v1
	s_andn2_saveexec_b64 s[12:13], s[12:13]
	s_cbranch_execnz .LBB521_2174
.LBB521_1719:
	s_or_b64 exec, exec, s[12:13]
	v_mov_b32_e32 v3, 0
	s_and_saveexec_b64 s[12:13], s[10:11]
.LBB521_1720:
	v_lshrrev_b32_e32 v3, 24, v10
	s_movk_i32 s10, 0x80
	v_and_or_b32 v3, v3, s10, v1
.LBB521_1721:
	s_or_b64 exec, exec, s[12:13]
.LBB521_1722:
	s_or_b64 exec, exec, s[8:9]
	global_store_byte v[6:7], v3, off
.LBB521_1723:
	s_mov_b64 s[8:9], -1
.LBB521_1724:
	s_mov_b64 s[10:11], 0
.LBB521_1725:
	s_and_b64 vcc, exec, s[10:11]
	s_cbranch_vccz .LBB521_1765
; %bb.1726:
	s_cmp_gt_i32 s15, 22
	s_mov_b64 s[6:7], -1
	s_cbranch_scc0 .LBB521_1758
; %bb.1727:
	s_cmp_lt_i32 s15, 24
	s_cbranch_scc1 .LBB521_1747
; %bb.1728:
	s_cmp_gt_i32 s15, 24
	s_cbranch_scc0 .LBB521_1736
; %bb.1729:
	v_and_b32_e32 v1, 0x7fffffff, v10
	s_mov_b32 s6, 0x47800000
	v_cmp_gt_u32_e32 vcc, s6, v1
	v_mov_b32_e32 v3, 0x80
	s_and_saveexec_b64 s[6:7], vcc
	s_cbranch_execz .LBB521_1735
; %bb.1730:
	s_mov_b32 s8, 0x37ffffff
	v_cmp_lt_u32_e32 vcc, s8, v1
	s_mov_b64 s[8:9], 0
                                        ; implicit-def: $vgpr1
	s_and_saveexec_b64 s[10:11], vcc
	s_xor_b64 s[10:11], exec, s[10:11]
	s_cbranch_execz .LBB521_2176
; %bb.1731:
	v_bfe_u32 v1, v10, 21, 1
	s_mov_b32 s12, 0x88fffff
	v_add3_u32 v1, v10, v1, s12
	s_mov_b64 s[8:9], exec
	v_lshrrev_b32_e32 v1, 21, v1
	s_andn2_saveexec_b64 s[10:11], s[10:11]
	s_cbranch_execnz .LBB521_2177
.LBB521_1732:
	s_or_b64 exec, exec, s[10:11]
	v_mov_b32_e32 v3, 0
	s_and_saveexec_b64 s[10:11], s[8:9]
.LBB521_1733:
	v_lshrrev_b32_e32 v3, 24, v10
	s_movk_i32 s8, 0x80
	v_and_or_b32 v3, v3, s8, v1
.LBB521_1734:
	s_or_b64 exec, exec, s[10:11]
.LBB521_1735:
	s_or_b64 exec, exec, s[6:7]
	s_mov_b64 s[6:7], 0
	global_store_byte v[6:7], v3, off
.LBB521_1736:
	s_and_b64 vcc, exec, s[6:7]
	s_cbranch_vccz .LBB521_1746
; %bb.1737:
	v_and_b32_e32 v3, 0x7fffffff, v10
	s_mov_b32 s6, 0x43f00000
	v_cmp_gt_u32_e32 vcc, s6, v3
                                        ; implicit-def: $vgpr1
	s_and_saveexec_b64 s[6:7], vcc
	s_xor_b64 s[6:7], exec, s[6:7]
	s_cbranch_execz .LBB521_1743
; %bb.1738:
	s_mov_b32 s8, 0x3c7fffff
	v_cmp_lt_u32_e32 vcc, s8, v3
                                        ; implicit-def: $vgpr1
	s_and_saveexec_b64 s[8:9], vcc
	s_xor_b64 s[8:9], exec, s[8:9]
; %bb.1739:
	v_bfe_u32 v1, v10, 20, 1
	s_mov_b32 s10, 0x407ffff
	v_add3_u32 v1, v10, v1, s10
	v_lshrrev_b32_e32 v3, 20, v1
	v_and_b32_e32 v1, 0xff00000, v1
	s_mov_b32 s10, 0x7f00000
	v_mov_b32_e32 v5, 0x7e
	v_cmp_ne_u32_e32 vcc, s10, v1
	s_nop 1
	v_cndmask_b32_e32 v1, v5, v3, vcc
; %bb.1740:
	s_andn2_saveexec_b64 s[8:9], s[8:9]
; %bb.1741:
	s_mov_b32 s10, 0x46800000
	v_add_f32_e64 v1, |v10|, s10
; %bb.1742:
	s_or_b64 exec, exec, s[8:9]
                                        ; implicit-def: $vgpr3
.LBB521_1743:
	s_andn2_saveexec_b64 s[6:7], s[6:7]
; %bb.1744:
	s_mov_b32 s8, 0x7f800000
	v_mov_b32_e32 v1, 0x7e
	v_mov_b32_e32 v5, 0x7f
	v_cmp_lt_u32_e32 vcc, s8, v3
	s_nop 1
	v_cndmask_b32_e32 v1, v1, v5, vcc
; %bb.1745:
	s_or_b64 exec, exec, s[6:7]
	v_lshrrev_b32_e32 v3, 24, v10
	s_movk_i32 s6, 0x80
	v_and_or_b32 v1, v3, s6, v1
	global_store_byte v[6:7], v1, off
.LBB521_1746:
	s_mov_b64 s[6:7], 0
.LBB521_1747:
	s_andn2_b64 vcc, exec, s[6:7]
	s_cbranch_vccnz .LBB521_1757
; %bb.1748:
	v_and_b32_e32 v3, 0x7fffffff, v10
	s_mov_b32 s6, 0x47800000
	v_cmp_gt_u32_e32 vcc, s6, v3
                                        ; implicit-def: $vgpr1
	s_and_saveexec_b64 s[6:7], vcc
	s_xor_b64 s[6:7], exec, s[6:7]
	s_cbranch_execz .LBB521_1754
; %bb.1749:
	s_mov_b32 s8, 0x387fffff
	v_cmp_lt_u32_e32 vcc, s8, v3
                                        ; implicit-def: $vgpr1
	s_and_saveexec_b64 s[8:9], vcc
	s_xor_b64 s[8:9], exec, s[8:9]
; %bb.1750:
	v_bfe_u32 v1, v10, 21, 1
	s_mov_b32 s10, 0x80fffff
	v_add3_u32 v1, v10, v1, s10
	v_lshrrev_b32_e32 v1, 21, v1
; %bb.1751:
	s_andn2_saveexec_b64 s[8:9], s[8:9]
; %bb.1752:
	s_mov_b32 s10, 0x43000000
	v_add_f32_e64 v1, |v10|, s10
; %bb.1753:
	s_or_b64 exec, exec, s[8:9]
                                        ; implicit-def: $vgpr3
.LBB521_1754:
	s_andn2_saveexec_b64 s[6:7], s[6:7]
; %bb.1755:
	s_mov_b32 s8, 0x7f800000
	v_mov_b32_e32 v1, 0x7c
	v_mov_b32_e32 v5, 0x7f
	v_cmp_lt_u32_e32 vcc, s8, v3
	s_nop 1
	v_cndmask_b32_e32 v1, v1, v5, vcc
; %bb.1756:
	s_or_b64 exec, exec, s[6:7]
	v_lshrrev_b32_e32 v3, 24, v10
	s_movk_i32 s6, 0x80
	v_and_or_b32 v1, v3, s6, v1
	global_store_byte v[6:7], v1, off
.LBB521_1757:
	s_mov_b64 s[6:7], 0
	s_mov_b64 s[8:9], -1
.LBB521_1758:
	s_andn2_b64 vcc, exec, s[6:7]
	s_mov_b64 s[6:7], 0
	s_cbranch_vccnz .LBB521_1765
; %bb.1759:
	s_cmp_gt_i32 s15, 14
	s_mov_b64 s[10:11], -1
	s_cbranch_scc0 .LBB521_1763
; %bb.1760:
	s_cmp_eq_u32 s15, 15
	s_mov_b64 s[0:1], -1
	s_cbranch_scc0 .LBB521_1762
; %bb.1761:
	v_bfe_u32 v1, v10, 16, 1
	s_movk_i32 s0, 0x7fff
	v_add3_u32 v1, v10, v1, s0
	v_cmp_o_f32_e32 vcc, v10, v10
	v_mov_b32_e32 v3, 0x7fc0
	s_mov_b64 s[0:1], 0
	v_cndmask_b32_sdwa v1, v3, v1, vcc dst_sel:DWORD dst_unused:UNUSED_PAD src0_sel:DWORD src1_sel:WORD_1
	global_store_short v[6:7], v1, off
	s_mov_b64 s[8:9], -1
.LBB521_1762:
	s_mov_b64 s[10:11], 0
.LBB521_1763:
	s_and_b64 vcc, exec, s[10:11]
	s_cbranch_vccz .LBB521_1765
; %bb.1764:
	s_cmp_lg_u32 s15, 11
	s_mov_b64 s[6:7], -1
	s_cselect_b64 s[0:1], -1, 0
.LBB521_1765:
	s_and_b64 vcc, exec, s[0:1]
	s_cbranch_vccnz .LBB521_2175
; %bb.1766:
	s_andn2_b64 vcc, exec, s[6:7]
	s_cbranch_vccnz .LBB521_1768
.LBB521_1767:
	v_cmp_neq_f32_e32 vcc, 0, v10
	s_mov_b64 s[8:9], -1
	s_nop 0
	v_cndmask_b32_e64 v1, 0, 1, vcc
	global_store_byte v[6:7], v1, off
.LBB521_1768:
	s_mov_b64 s[0:1], 0
	s_branch .LBB521_1816
.LBB521_1769:
	s_mov_b64 s[0:1], 0
                                        ; implicit-def: $vgpr0_vgpr1
                                        ; implicit-def: $sgpr14
                                        ; implicit-def: $vgpr8
.LBB521_1770:
	s_mov_b64 s[4:5], 0
.LBB521_1771:
	s_and_b64 s[6:7], s[0:1], exec
	s_andn2_b64 s[0:1], s[24:25], exec
	s_and_b64 s[2:3], s[2:3], exec
	s_and_b64 s[44:45], s[4:5], exec
	s_or_b64 s[24:25], s[0:1], s[2:3]
.LBB521_1772:
	s_or_b64 exec, exec, s[26:27]
	s_and_saveexec_b64 s[0:1], s[24:25]
	s_cbranch_execz .LBB521_1775
; %bb.1773:
	; divergent unreachable
	s_or_b64 exec, exec, s[0:1]
	s_and_saveexec_b64 s[0:1], s[44:45]
	s_xor_b64 s[0:1], exec, s[0:1]
	s_cbranch_execnz .LBB521_1776
.LBB521_1774:
	s_or_b64 exec, exec, s[0:1]
	s_and_saveexec_b64 s[0:1], s[6:7]
	s_cbranch_execnz .LBB521_1777
	s_branch .LBB521_1814
.LBB521_1775:
	s_or_b64 exec, exec, s[0:1]
	s_and_saveexec_b64 s[0:1], s[44:45]
	s_xor_b64 s[0:1], exec, s[0:1]
	s_cbranch_execz .LBB521_1774
.LBB521_1776:
	v_cmp_neq_f32_e32 vcc, 0, v8
	s_nop 1
	v_cndmask_b32_e64 v2, 0, 1, vcc
	s_waitcnt vmcnt(0)
	global_store_byte v[0:1], v2, off
	s_or_b64 exec, exec, s[0:1]
	s_and_saveexec_b64 s[0:1], s[6:7]
	s_cbranch_execz .LBB521_1814
.LBB521_1777:
	s_sext_i32_i16 s2, s14
	s_cmp_lt_i32 s2, 5
	s_mov_b64 s[0:1], -1
	s_cbranch_scc1 .LBB521_1798
; %bb.1778:
	s_cmp_lt_i32 s2, 8
	s_cbranch_scc1 .LBB521_1788
; %bb.1779:
	s_cmp_lt_i32 s2, 9
	s_cbranch_scc1 .LBB521_1785
; %bb.1780:
	s_cmp_gt_i32 s2, 9
	s_cbranch_scc0 .LBB521_1782
; %bb.1781:
	v_mov_b32_e32 v4, 0
	v_cvt_f64_f32_e32 v[2:3], v8
	v_mov_b32_e32 v5, v4
	s_waitcnt vmcnt(0)
	global_store_dwordx4 v[0:1], v[2:5], off
	s_mov_b64 s[0:1], 0
.LBB521_1782:
	s_andn2_b64 vcc, exec, s[0:1]
	s_cbranch_vccnz .LBB521_1784
; %bb.1783:
	v_mov_b32_e32 v9, 0
	s_waitcnt vmcnt(0)
	global_store_dwordx2 v[0:1], v[8:9], off
.LBB521_1784:
	s_mov_b64 s[0:1], 0
.LBB521_1785:
	s_andn2_b64 vcc, exec, s[0:1]
	s_cbranch_vccnz .LBB521_1787
; %bb.1786:
	v_cvt_f16_f32_e32 v2, v8
	s_waitcnt vmcnt(0)
	global_store_dword v[0:1], v2, off
.LBB521_1787:
	s_mov_b64 s[0:1], 0
.LBB521_1788:
	s_andn2_b64 vcc, exec, s[0:1]
	s_cbranch_vccnz .LBB521_1797
; %bb.1789:
	s_sext_i32_i16 s2, s14
	s_cmp_lt_i32 s2, 6
	s_mov_b64 s[0:1], -1
	s_cbranch_scc1 .LBB521_1795
; %bb.1790:
	s_cmp_gt_i32 s2, 6
	s_cbranch_scc0 .LBB521_1792
; %bb.1791:
	v_cvt_f64_f32_e32 v[2:3], v8
	s_waitcnt vmcnt(0)
	global_store_dwordx2 v[0:1], v[2:3], off
	s_mov_b64 s[0:1], 0
.LBB521_1792:
	s_andn2_b64 vcc, exec, s[0:1]
	s_cbranch_vccnz .LBB521_1794
; %bb.1793:
	s_waitcnt vmcnt(0)
	global_store_dword v[0:1], v8, off
.LBB521_1794:
	s_mov_b64 s[0:1], 0
.LBB521_1795:
	s_andn2_b64 vcc, exec, s[0:1]
	s_cbranch_vccnz .LBB521_1797
; %bb.1796:
	v_cvt_f16_f32_e32 v2, v8
	s_waitcnt vmcnt(0)
	global_store_short v[0:1], v2, off
.LBB521_1797:
	s_mov_b64 s[0:1], 0
.LBB521_1798:
	s_andn2_b64 vcc, exec, s[0:1]
	s_cbranch_vccnz .LBB521_1814
; %bb.1799:
	s_sext_i32_i16 s2, s14
	s_cmp_lt_i32 s2, 2
	s_mov_b64 s[0:1], -1
	s_cbranch_scc1 .LBB521_1809
; %bb.1800:
	s_cmp_lt_i32 s2, 3
	s_cbranch_scc1 .LBB521_1806
; %bb.1801:
	s_cmp_gt_i32 s2, 3
	s_cbranch_scc0 .LBB521_1803
; %bb.1802:
	v_trunc_f32_e32 v2, v8
	s_mov_b32 s0, 0x2f800000
	v_mul_f32_e64 v3, |v2|, s0
	v_floor_f32_e32 v3, v3
	s_mov_b32 s0, 0xcf800000
	v_cvt_u32_f32_e32 v4, v3
	v_fma_f32 v3, v3, s0, |v2|
	v_cvt_u32_f32_e32 v3, v3
	v_ashrrev_i32_e32 v5, 31, v2
	v_xor_b32_e32 v4, v4, v5
	s_mov_b64 s[0:1], 0
	v_xor_b32_e32 v2, v3, v5
	v_sub_co_u32_e32 v2, vcc, v2, v5
	s_nop 1
	v_subb_co_u32_e32 v3, vcc, v4, v5, vcc
	s_waitcnt vmcnt(0)
	global_store_dwordx2 v[0:1], v[2:3], off
.LBB521_1803:
	s_andn2_b64 vcc, exec, s[0:1]
	s_cbranch_vccnz .LBB521_1805
; %bb.1804:
	v_cvt_i32_f32_e32 v2, v8
	s_waitcnt vmcnt(0)
	global_store_dword v[0:1], v2, off
.LBB521_1805:
	s_mov_b64 s[0:1], 0
.LBB521_1806:
	s_andn2_b64 vcc, exec, s[0:1]
	s_cbranch_vccnz .LBB521_1808
; %bb.1807:
	v_cvt_i32_f32_e32 v2, v8
	s_waitcnt vmcnt(0)
	global_store_short v[0:1], v2, off
.LBB521_1808:
	s_mov_b64 s[0:1], 0
.LBB521_1809:
	s_andn2_b64 vcc, exec, s[0:1]
	s_cbranch_vccnz .LBB521_1814
; %bb.1810:
	s_sext_i32_i16 s0, s14
	s_cmp_gt_i32 s0, 0
	s_mov_b64 s[0:1], -1
	s_cbranch_scc0 .LBB521_1812
; %bb.1811:
	v_cvt_i32_f32_e32 v2, v8
	s_mov_b64 s[0:1], 0
	s_waitcnt vmcnt(0)
	global_store_byte v[0:1], v2, off
.LBB521_1812:
	s_andn2_b64 vcc, exec, s[0:1]
	s_cbranch_vccnz .LBB521_1814
; %bb.1813:
	v_trunc_f32_e32 v2, v8
	s_mov_b32 s0, 0x2f800000
	v_mul_f32_e64 v3, |v2|, s0
	v_floor_f32_e32 v3, v3
	s_mov_b32 s0, 0xcf800000
	v_fma_f32 v3, v3, s0, |v2|
	v_cvt_u32_f32_e32 v3, v3
	v_ashrrev_i32_e32 v2, 31, v2
	v_xor_b32_e32 v3, v3, v2
	v_sub_u32_e32 v2, v3, v2
	s_waitcnt vmcnt(0)
	global_store_byte v[0:1], v2, off
	s_endpgm
.LBB521_1814:
	s_endpgm
.LBB521_1815:
	s_mov_b64 s[0:1], -1
	s_mov_b64 s[8:9], 0
.LBB521_1816:
	s_and_b64 vcc, exec, s[0:1]
	s_cbranch_vccz .LBB521_1855
; %bb.1817:
	s_and_b32 s6, 0xffff, s14
	s_cmp_lt_i32 s6, 5
	s_mov_b64 s[0:1], -1
	s_cbranch_scc1 .LBB521_1838
; %bb.1818:
	s_cmp_lt_i32 s6, 8
	s_cbranch_scc1 .LBB521_1828
; %bb.1819:
	s_cmp_lt_i32 s6, 9
	s_cbranch_scc1 .LBB521_1825
; %bb.1820:
	s_cmp_gt_i32 s6, 9
	s_cbranch_scc0 .LBB521_1822
; %bb.1821:
	v_mov_b32_e32 v18, 0
	v_cvt_f64_f32_e32 v[16:17], v10
	v_mov_b32_e32 v19, v18
	global_store_dwordx4 v[6:7], v[16:19], off
	s_mov_b64 s[0:1], 0
.LBB521_1822:
	s_andn2_b64 vcc, exec, s[0:1]
	s_cbranch_vccnz .LBB521_1824
; %bb.1823:
	v_mov_b32_e32 v11, 0
	global_store_dwordx2 v[6:7], v[10:11], off
.LBB521_1824:
	s_mov_b64 s[0:1], 0
.LBB521_1825:
	s_andn2_b64 vcc, exec, s[0:1]
	s_cbranch_vccnz .LBB521_1827
; %bb.1826:
	v_cvt_f16_f32_e32 v1, v10
	global_store_dword v[6:7], v1, off
.LBB521_1827:
	s_mov_b64 s[0:1], 0
.LBB521_1828:
	s_andn2_b64 vcc, exec, s[0:1]
	s_cbranch_vccnz .LBB521_1837
; %bb.1829:
	s_cmp_lt_i32 s6, 6
	s_mov_b64 s[0:1], -1
	s_cbranch_scc1 .LBB521_1835
; %bb.1830:
	s_cmp_gt_i32 s6, 6
	s_cbranch_scc0 .LBB521_1832
; %bb.1831:
	v_cvt_f64_f32_e32 v[16:17], v10
	global_store_dwordx2 v[6:7], v[16:17], off
	s_mov_b64 s[0:1], 0
.LBB521_1832:
	s_andn2_b64 vcc, exec, s[0:1]
	s_cbranch_vccnz .LBB521_1834
; %bb.1833:
	global_store_dword v[6:7], v10, off
.LBB521_1834:
	s_mov_b64 s[0:1], 0
.LBB521_1835:
	s_andn2_b64 vcc, exec, s[0:1]
	s_cbranch_vccnz .LBB521_1837
; %bb.1836:
	v_cvt_f16_f32_e32 v1, v10
	global_store_short v[6:7], v1, off
.LBB521_1837:
	s_mov_b64 s[0:1], 0
.LBB521_1838:
	s_andn2_b64 vcc, exec, s[0:1]
	s_cbranch_vccnz .LBB521_1854
; %bb.1839:
	s_cmp_lt_i32 s6, 2
	s_mov_b64 s[0:1], -1
	s_cbranch_scc1 .LBB521_1849
; %bb.1840:
	s_cmp_lt_i32 s6, 3
	s_cbranch_scc1 .LBB521_1846
; %bb.1841:
	s_cmp_gt_i32 s6, 3
	s_cbranch_scc0 .LBB521_1843
; %bb.1842:
	v_trunc_f32_e32 v1, v10
	s_mov_b32 s0, 0x2f800000
	v_mul_f32_e64 v3, |v1|, s0
	v_floor_f32_e32 v3, v3
	s_mov_b32 s0, 0xcf800000
	v_cvt_u32_f32_e32 v5, v3
	v_fma_f32 v3, v3, s0, |v1|
	v_cvt_u32_f32_e32 v3, v3
	v_ashrrev_i32_e32 v1, 31, v1
	v_xor_b32_e32 v5, v5, v1
	s_mov_b64 s[0:1], 0
	v_xor_b32_e32 v3, v3, v1
	v_sub_co_u32_e32 v16, vcc, v3, v1
	s_nop 1
	v_subb_co_u32_e32 v17, vcc, v5, v1, vcc
	global_store_dwordx2 v[6:7], v[16:17], off
.LBB521_1843:
	s_andn2_b64 vcc, exec, s[0:1]
	s_cbranch_vccnz .LBB521_1845
; %bb.1844:
	v_cvt_i32_f32_e32 v1, v10
	global_store_dword v[6:7], v1, off
.LBB521_1845:
	s_mov_b64 s[0:1], 0
.LBB521_1846:
	s_andn2_b64 vcc, exec, s[0:1]
	s_cbranch_vccnz .LBB521_1848
; %bb.1847:
	v_cvt_i32_f32_e32 v1, v10
	global_store_short v[6:7], v1, off
.LBB521_1848:
	s_mov_b64 s[0:1], 0
.LBB521_1849:
	s_andn2_b64 vcc, exec, s[0:1]
	s_cbranch_vccnz .LBB521_1854
; %bb.1850:
	s_cmp_gt_i32 s6, 0
	s_mov_b64 s[0:1], -1
	s_cbranch_scc0 .LBB521_1852
; %bb.1851:
	v_cvt_i32_f32_e32 v1, v10
	s_mov_b64 s[0:1], 0
	global_store_byte v[6:7], v1, off
.LBB521_1852:
	s_andn2_b64 vcc, exec, s[0:1]
	s_cbranch_vccnz .LBB521_1854
; %bb.1853:
	v_trunc_f32_e32 v1, v10
	s_mov_b32 s0, 0x2f800000
	v_mul_f32_e64 v3, |v1|, s0
	v_floor_f32_e32 v3, v3
	s_mov_b32 s0, 0xcf800000
	v_fma_f32 v3, v3, s0, |v1|
	v_cvt_u32_f32_e32 v3, v3
	v_ashrrev_i32_e32 v1, 31, v1
	v_xor_b32_e32 v3, v3, v1
	v_sub_u32_e32 v1, v3, v1
	global_store_byte v[6:7], v1, off
.LBB521_1854:
	s_mov_b64 s[8:9], -1
.LBB521_1855:
	s_andn2_b64 vcc, exec, s[8:9]
	s_cbranch_vccnz .LBB521_2170
; %bb.1856:
	v_mov_b32_e32 v5, 0
	s_and_b32 s15, 0xffff, s14
	s_cmp_lt_i32 s15, 11
	v_lshl_add_u64 v[4:5], s[4:5], 0, v[4:5]
	s_cbranch_scc1 .LBB521_1934
; %bb.1857:
	s_mov_b64 s[10:11], -1
	s_mov_b64 s[6:7], 0
	s_cmp_gt_i32 s15, 25
	s_mov_b64 s[8:9], 0
	s_mov_b64 s[0:1], 0
	s_cbranch_scc0 .LBB521_1890
; %bb.1858:
	s_cmp_gt_i32 s15, 28
	s_cbranch_scc0 .LBB521_1873
; %bb.1859:
	s_cmp_gt_i32 s15, 43
	;; [unrolled: 3-line block ×3, first 2 shown]
	s_cbranch_scc0 .LBB521_1863
; %bb.1861:
	s_mov_b64 s[0:1], -1
	s_mov_b64 s[10:11], 0
	s_cmp_eq_u32 s15, 46
	s_cbranch_scc0 .LBB521_1863
; %bb.1862:
	v_bfe_u32 v1, v12, 16, 1
	s_movk_i32 s0, 0x7fff
	v_add3_u32 v1, v12, v1, s0
	v_cmp_o_f32_e32 vcc, v12, v12
	v_mov_b32_e32 v3, 0x7fc0
	s_mov_b64 s[0:1], 0
	v_cndmask_b32_sdwa v1, v3, v1, vcc dst_sel:DWORD dst_unused:UNUSED_PAD src0_sel:DWORD src1_sel:WORD_1
	global_store_dword v[4:5], v1, off
	s_mov_b64 s[8:9], -1
.LBB521_1863:
	s_and_b64 vcc, exec, s[10:11]
	s_cbranch_vccz .LBB521_1868
; %bb.1864:
	s_cmp_eq_u32 s15, 44
	s_mov_b64 s[0:1], -1
	s_cbranch_scc0 .LBB521_1868
; %bb.1865:
	v_bfe_u32 v1, v12, 23, 8
	s_movk_i32 s0, 0xff
	v_cmp_ne_u32_e32 vcc, s0, v1
	v_mov_b32_e32 v3, 0xff
	s_and_saveexec_b64 s[8:9], vcc
; %bb.1866:
	s_mov_b32 s0, 0x3fffff
	v_and_b32_e32 v6, 0x400000, v12
	v_and_or_b32 v1, v12, s0, v1
	v_cmp_ne_u32_e32 vcc, 0, v6
	v_cmp_ne_u32_e64 s[0:1], 0, v1
	s_and_b64 s[0:1], vcc, s[0:1]
	v_lshrrev_b32_e32 v3, 23, v12
	v_cndmask_b32_e64 v1, 0, 1, s[0:1]
	v_add_u32_e32 v3, v3, v1
; %bb.1867:
	s_or_b64 exec, exec, s[8:9]
	s_mov_b64 s[0:1], 0
	s_mov_b64 s[8:9], -1
	global_store_byte v[4:5], v3, off
.LBB521_1868:
	s_mov_b64 s[10:11], 0
.LBB521_1869:
	s_and_b64 vcc, exec, s[10:11]
	s_cbranch_vccz .LBB521_1872
; %bb.1870:
	s_cmp_eq_u32 s15, 29
	s_mov_b64 s[0:1], -1
	s_cbranch_scc0 .LBB521_1872
; %bb.1871:
	v_trunc_f32_e32 v1, v12
	v_mul_f32_e32 v3, 0x2f800000, v1
	v_floor_f32_e32 v3, v3
	v_fmamk_f32 v1, v3, 0xcf800000, v1
	v_cvt_u32_f32_e32 v7, v3
	v_cvt_u32_f32_e32 v6, v1
	s_mov_b64 s[0:1], 0
	s_mov_b64 s[8:9], -1
	global_store_dwordx2 v[4:5], v[6:7], off
.LBB521_1872:
	s_mov_b64 s[10:11], 0
.LBB521_1873:
	s_and_b64 vcc, exec, s[10:11]
	s_cbranch_vccz .LBB521_1889
; %bb.1874:
	s_cmp_lt_i32 s15, 27
	s_mov_b64 s[8:9], -1
	s_cbranch_scc1 .LBB521_1880
; %bb.1875:
	s_cmp_gt_i32 s15, 27
	s_cbranch_scc0 .LBB521_1877
; %bb.1876:
	v_cvt_u32_f32_e32 v1, v12
	s_mov_b64 s[8:9], 0
	global_store_dword v[4:5], v1, off
.LBB521_1877:
	s_andn2_b64 vcc, exec, s[8:9]
	s_cbranch_vccnz .LBB521_1879
; %bb.1878:
	v_cvt_u32_f32_e32 v1, v12
	global_store_short v[4:5], v1, off
.LBB521_1879:
	s_mov_b64 s[8:9], 0
.LBB521_1880:
	s_andn2_b64 vcc, exec, s[8:9]
	s_cbranch_vccnz .LBB521_1888
; %bb.1881:
	v_and_b32_e32 v1, 0x7fffffff, v12
	s_mov_b32 s8, 0x43800000
	v_cmp_gt_u32_e32 vcc, s8, v1
	v_mov_b32_e32 v3, 0x80
	s_and_saveexec_b64 s[8:9], vcc
	s_cbranch_execz .LBB521_1887
; %bb.1882:
	s_mov_b32 s10, 0x3bffffff
	v_cmp_lt_u32_e32 vcc, s10, v1
	s_mov_b64 s[10:11], 0
                                        ; implicit-def: $vgpr1
	s_and_saveexec_b64 s[12:13], vcc
	s_xor_b64 s[12:13], exec, s[12:13]
	s_cbranch_execz .LBB521_2178
; %bb.1883:
	v_bfe_u32 v1, v12, 20, 1
	s_mov_b32 s16, 0x487ffff
	v_add3_u32 v1, v12, v1, s16
	s_mov_b64 s[10:11], exec
	v_lshrrev_b32_e32 v1, 20, v1
	s_andn2_saveexec_b64 s[12:13], s[12:13]
	s_cbranch_execnz .LBB521_2179
.LBB521_1884:
	s_or_b64 exec, exec, s[12:13]
	v_mov_b32_e32 v3, 0
	s_and_saveexec_b64 s[12:13], s[10:11]
.LBB521_1885:
	v_lshrrev_b32_e32 v3, 24, v12
	s_movk_i32 s10, 0x80
	v_and_or_b32 v3, v3, s10, v1
.LBB521_1886:
	s_or_b64 exec, exec, s[12:13]
.LBB521_1887:
	s_or_b64 exec, exec, s[8:9]
	global_store_byte v[4:5], v3, off
.LBB521_1888:
	s_mov_b64 s[8:9], -1
.LBB521_1889:
	s_mov_b64 s[10:11], 0
.LBB521_1890:
	s_and_b64 vcc, exec, s[10:11]
	s_cbranch_vccz .LBB521_1930
; %bb.1891:
	s_cmp_gt_i32 s15, 22
	s_mov_b64 s[6:7], -1
	s_cbranch_scc0 .LBB521_1923
; %bb.1892:
	s_cmp_lt_i32 s15, 24
	s_cbranch_scc1 .LBB521_1912
; %bb.1893:
	s_cmp_gt_i32 s15, 24
	s_cbranch_scc0 .LBB521_1901
; %bb.1894:
	v_and_b32_e32 v1, 0x7fffffff, v12
	s_mov_b32 s6, 0x47800000
	v_cmp_gt_u32_e32 vcc, s6, v1
	v_mov_b32_e32 v3, 0x80
	s_and_saveexec_b64 s[6:7], vcc
	s_cbranch_execz .LBB521_1900
; %bb.1895:
	s_mov_b32 s8, 0x37ffffff
	v_cmp_lt_u32_e32 vcc, s8, v1
	s_mov_b64 s[8:9], 0
                                        ; implicit-def: $vgpr1
	s_and_saveexec_b64 s[10:11], vcc
	s_xor_b64 s[10:11], exec, s[10:11]
	s_cbranch_execz .LBB521_2181
; %bb.1896:
	v_bfe_u32 v1, v12, 21, 1
	s_mov_b32 s12, 0x88fffff
	v_add3_u32 v1, v12, v1, s12
	s_mov_b64 s[8:9], exec
	v_lshrrev_b32_e32 v1, 21, v1
	s_andn2_saveexec_b64 s[10:11], s[10:11]
	s_cbranch_execnz .LBB521_2182
.LBB521_1897:
	s_or_b64 exec, exec, s[10:11]
	v_mov_b32_e32 v3, 0
	s_and_saveexec_b64 s[10:11], s[8:9]
.LBB521_1898:
	v_lshrrev_b32_e32 v3, 24, v12
	s_movk_i32 s8, 0x80
	v_and_or_b32 v3, v3, s8, v1
.LBB521_1899:
	s_or_b64 exec, exec, s[10:11]
.LBB521_1900:
	s_or_b64 exec, exec, s[6:7]
	s_mov_b64 s[6:7], 0
	global_store_byte v[4:5], v3, off
.LBB521_1901:
	s_and_b64 vcc, exec, s[6:7]
	s_cbranch_vccz .LBB521_1911
; %bb.1902:
	v_and_b32_e32 v3, 0x7fffffff, v12
	s_mov_b32 s6, 0x43f00000
	v_cmp_gt_u32_e32 vcc, s6, v3
                                        ; implicit-def: $vgpr1
	s_and_saveexec_b64 s[6:7], vcc
	s_xor_b64 s[6:7], exec, s[6:7]
	s_cbranch_execz .LBB521_1908
; %bb.1903:
	s_mov_b32 s8, 0x3c7fffff
	v_cmp_lt_u32_e32 vcc, s8, v3
                                        ; implicit-def: $vgpr1
	s_and_saveexec_b64 s[8:9], vcc
	s_xor_b64 s[8:9], exec, s[8:9]
; %bb.1904:
	v_bfe_u32 v1, v12, 20, 1
	s_mov_b32 s10, 0x407ffff
	v_add3_u32 v1, v12, v1, s10
	v_lshrrev_b32_e32 v3, 20, v1
	v_and_b32_e32 v1, 0xff00000, v1
	s_mov_b32 s10, 0x7f00000
	v_mov_b32_e32 v6, 0x7e
	v_cmp_ne_u32_e32 vcc, s10, v1
	s_nop 1
	v_cndmask_b32_e32 v1, v6, v3, vcc
; %bb.1905:
	s_andn2_saveexec_b64 s[8:9], s[8:9]
; %bb.1906:
	s_mov_b32 s10, 0x46800000
	v_add_f32_e64 v1, |v12|, s10
; %bb.1907:
	s_or_b64 exec, exec, s[8:9]
                                        ; implicit-def: $vgpr3
.LBB521_1908:
	s_andn2_saveexec_b64 s[6:7], s[6:7]
; %bb.1909:
	s_mov_b32 s8, 0x7f800000
	v_mov_b32_e32 v1, 0x7e
	v_mov_b32_e32 v6, 0x7f
	v_cmp_lt_u32_e32 vcc, s8, v3
	s_nop 1
	v_cndmask_b32_e32 v1, v1, v6, vcc
; %bb.1910:
	s_or_b64 exec, exec, s[6:7]
	v_lshrrev_b32_e32 v3, 24, v12
	s_movk_i32 s6, 0x80
	v_and_or_b32 v1, v3, s6, v1
	global_store_byte v[4:5], v1, off
.LBB521_1911:
	s_mov_b64 s[6:7], 0
.LBB521_1912:
	s_andn2_b64 vcc, exec, s[6:7]
	s_cbranch_vccnz .LBB521_1922
; %bb.1913:
	v_and_b32_e32 v3, 0x7fffffff, v12
	s_mov_b32 s6, 0x47800000
	v_cmp_gt_u32_e32 vcc, s6, v3
                                        ; implicit-def: $vgpr1
	s_and_saveexec_b64 s[6:7], vcc
	s_xor_b64 s[6:7], exec, s[6:7]
	s_cbranch_execz .LBB521_1919
; %bb.1914:
	s_mov_b32 s8, 0x387fffff
	v_cmp_lt_u32_e32 vcc, s8, v3
                                        ; implicit-def: $vgpr1
	s_and_saveexec_b64 s[8:9], vcc
	s_xor_b64 s[8:9], exec, s[8:9]
; %bb.1915:
	v_bfe_u32 v1, v12, 21, 1
	s_mov_b32 s10, 0x80fffff
	v_add3_u32 v1, v12, v1, s10
	v_lshrrev_b32_e32 v1, 21, v1
; %bb.1916:
	s_andn2_saveexec_b64 s[8:9], s[8:9]
; %bb.1917:
	s_mov_b32 s10, 0x43000000
	v_add_f32_e64 v1, |v12|, s10
; %bb.1918:
	s_or_b64 exec, exec, s[8:9]
                                        ; implicit-def: $vgpr3
.LBB521_1919:
	s_andn2_saveexec_b64 s[6:7], s[6:7]
; %bb.1920:
	s_mov_b32 s8, 0x7f800000
	v_mov_b32_e32 v1, 0x7c
	v_mov_b32_e32 v6, 0x7f
	v_cmp_lt_u32_e32 vcc, s8, v3
	s_nop 1
	v_cndmask_b32_e32 v1, v1, v6, vcc
; %bb.1921:
	s_or_b64 exec, exec, s[6:7]
	v_lshrrev_b32_e32 v3, 24, v12
	s_movk_i32 s6, 0x80
	v_and_or_b32 v1, v3, s6, v1
	global_store_byte v[4:5], v1, off
.LBB521_1922:
	s_mov_b64 s[6:7], 0
	s_mov_b64 s[8:9], -1
.LBB521_1923:
	s_andn2_b64 vcc, exec, s[6:7]
	s_mov_b64 s[6:7], 0
	s_cbranch_vccnz .LBB521_1930
; %bb.1924:
	s_cmp_gt_i32 s15, 14
	s_mov_b64 s[10:11], -1
	s_cbranch_scc0 .LBB521_1928
; %bb.1925:
	s_cmp_eq_u32 s15, 15
	s_mov_b64 s[0:1], -1
	s_cbranch_scc0 .LBB521_1927
; %bb.1926:
	v_bfe_u32 v1, v12, 16, 1
	s_movk_i32 s0, 0x7fff
	v_add3_u32 v1, v12, v1, s0
	v_cmp_o_f32_e32 vcc, v12, v12
	v_mov_b32_e32 v3, 0x7fc0
	s_mov_b64 s[0:1], 0
	v_cndmask_b32_sdwa v1, v3, v1, vcc dst_sel:DWORD dst_unused:UNUSED_PAD src0_sel:DWORD src1_sel:WORD_1
	global_store_short v[4:5], v1, off
	s_mov_b64 s[8:9], -1
.LBB521_1927:
	s_mov_b64 s[10:11], 0
.LBB521_1928:
	s_and_b64 vcc, exec, s[10:11]
	s_cbranch_vccz .LBB521_1930
; %bb.1929:
	s_cmp_lg_u32 s15, 11
	s_mov_b64 s[6:7], -1
	s_cselect_b64 s[0:1], -1, 0
.LBB521_1930:
	s_and_b64 vcc, exec, s[0:1]
	s_cbranch_vccnz .LBB521_2180
; %bb.1931:
	s_andn2_b64 vcc, exec, s[6:7]
	s_cbranch_vccnz .LBB521_1933
.LBB521_1932:
	v_cmp_neq_f32_e32 vcc, 0, v12
	s_mov_b64 s[8:9], -1
	s_nop 0
	v_cndmask_b32_e64 v1, 0, 1, vcc
	global_store_byte v[4:5], v1, off
.LBB521_1933:
	s_mov_b64 s[0:1], 0
	s_branch .LBB521_1935
.LBB521_1934:
	s_mov_b64 s[0:1], -1
	s_mov_b64 s[8:9], 0
.LBB521_1935:
	s_and_b64 vcc, exec, s[0:1]
	s_cbranch_vccz .LBB521_1974
; %bb.1936:
	s_cmp_lt_i32 s15, 5
	s_mov_b64 s[0:1], -1
	s_cbranch_scc1 .LBB521_1957
; %bb.1937:
	s_cmp_lt_i32 s15, 8
	s_cbranch_scc1 .LBB521_1947
; %bb.1938:
	s_cmp_lt_i32 s15, 9
	s_cbranch_scc1 .LBB521_1944
; %bb.1939:
	s_cmp_gt_i32 s15, 9
	s_cbranch_scc0 .LBB521_1941
; %bb.1940:
	v_mov_b32_e32 v18, 0
	v_cvt_f64_f32_e32 v[16:17], v12
	v_mov_b32_e32 v19, v18
	global_store_dwordx4 v[4:5], v[16:19], off
	s_mov_b64 s[0:1], 0
.LBB521_1941:
	s_andn2_b64 vcc, exec, s[0:1]
	s_cbranch_vccnz .LBB521_1943
; %bb.1942:
	v_mov_b32_e32 v13, 0
	global_store_dwordx2 v[4:5], v[12:13], off
.LBB521_1943:
	s_mov_b64 s[0:1], 0
.LBB521_1944:
	s_andn2_b64 vcc, exec, s[0:1]
	s_cbranch_vccnz .LBB521_1946
; %bb.1945:
	v_cvt_f16_f32_e32 v1, v12
	global_store_dword v[4:5], v1, off
.LBB521_1946:
	s_mov_b64 s[0:1], 0
.LBB521_1947:
	s_andn2_b64 vcc, exec, s[0:1]
	s_cbranch_vccnz .LBB521_1956
; %bb.1948:
	s_cmp_lt_i32 s15, 6
	s_mov_b64 s[0:1], -1
	s_cbranch_scc1 .LBB521_1954
; %bb.1949:
	s_cmp_gt_i32 s15, 6
	s_cbranch_scc0 .LBB521_1951
; %bb.1950:
	v_cvt_f64_f32_e32 v[6:7], v12
	global_store_dwordx2 v[4:5], v[6:7], off
	s_mov_b64 s[0:1], 0
.LBB521_1951:
	s_andn2_b64 vcc, exec, s[0:1]
	s_cbranch_vccnz .LBB521_1953
; %bb.1952:
	global_store_dword v[4:5], v12, off
.LBB521_1953:
	s_mov_b64 s[0:1], 0
.LBB521_1954:
	s_andn2_b64 vcc, exec, s[0:1]
	s_cbranch_vccnz .LBB521_1956
; %bb.1955:
	v_cvt_f16_f32_e32 v1, v12
	global_store_short v[4:5], v1, off
.LBB521_1956:
	s_mov_b64 s[0:1], 0
.LBB521_1957:
	s_andn2_b64 vcc, exec, s[0:1]
	s_cbranch_vccnz .LBB521_1973
; %bb.1958:
	s_cmp_lt_i32 s15, 2
	s_mov_b64 s[0:1], -1
	s_cbranch_scc1 .LBB521_1968
; %bb.1959:
	s_cmp_lt_i32 s15, 3
	s_cbranch_scc1 .LBB521_1965
; %bb.1960:
	s_cmp_gt_i32 s15, 3
	s_cbranch_scc0 .LBB521_1962
; %bb.1961:
	v_trunc_f32_e32 v1, v12
	s_mov_b32 s0, 0x2f800000
	v_mul_f32_e64 v3, |v1|, s0
	v_floor_f32_e32 v3, v3
	s_mov_b32 s0, 0xcf800000
	v_cvt_u32_f32_e32 v6, v3
	v_fma_f32 v3, v3, s0, |v1|
	v_cvt_u32_f32_e32 v3, v3
	v_ashrrev_i32_e32 v1, 31, v1
	v_xor_b32_e32 v7, v6, v1
	s_mov_b64 s[0:1], 0
	v_xor_b32_e32 v3, v3, v1
	v_sub_co_u32_e32 v6, vcc, v3, v1
	s_nop 1
	v_subb_co_u32_e32 v7, vcc, v7, v1, vcc
	global_store_dwordx2 v[4:5], v[6:7], off
.LBB521_1962:
	s_andn2_b64 vcc, exec, s[0:1]
	s_cbranch_vccnz .LBB521_1964
; %bb.1963:
	v_cvt_i32_f32_e32 v1, v12
	global_store_dword v[4:5], v1, off
.LBB521_1964:
	s_mov_b64 s[0:1], 0
.LBB521_1965:
	s_andn2_b64 vcc, exec, s[0:1]
	s_cbranch_vccnz .LBB521_1967
; %bb.1966:
	v_cvt_i32_f32_e32 v1, v12
	global_store_short v[4:5], v1, off
.LBB521_1967:
	s_mov_b64 s[0:1], 0
.LBB521_1968:
	s_andn2_b64 vcc, exec, s[0:1]
	s_cbranch_vccnz .LBB521_1973
; %bb.1969:
	s_cmp_gt_i32 s15, 0
	s_mov_b64 s[0:1], -1
	s_cbranch_scc0 .LBB521_1971
; %bb.1970:
	v_cvt_i32_f32_e32 v1, v12
	s_mov_b64 s[0:1], 0
	global_store_byte v[4:5], v1, off
.LBB521_1971:
	s_andn2_b64 vcc, exec, s[0:1]
	s_cbranch_vccnz .LBB521_1973
; %bb.1972:
	v_trunc_f32_e32 v1, v12
	s_mov_b32 s0, 0x2f800000
	v_mul_f32_e64 v3, |v1|, s0
	v_floor_f32_e32 v3, v3
	s_mov_b32 s0, 0xcf800000
	v_fma_f32 v3, v3, s0, |v1|
	v_cvt_u32_f32_e32 v3, v3
	v_ashrrev_i32_e32 v1, 31, v1
	v_xor_b32_e32 v3, v3, v1
	v_sub_u32_e32 v1, v3, v1
	global_store_byte v[4:5], v1, off
.LBB521_1973:
	s_mov_b64 s[8:9], -1
.LBB521_1974:
	s_andn2_b64 vcc, exec, s[8:9]
	s_cbranch_vccnz .LBB521_2170
; %bb.1975:
	v_mov_b32_e32 v3, 0
	s_cmp_lt_i32 s15, 11
	v_lshl_add_u64 v[2:3], s[4:5], 0, v[2:3]
	s_cbranch_scc1 .LBB521_2053
; %bb.1976:
	s_mov_b64 s[10:11], -1
	s_mov_b64 s[6:7], 0
	s_cmp_gt_i32 s15, 25
	s_mov_b64 s[8:9], 0
	s_mov_b64 s[0:1], 0
	s_cbranch_scc0 .LBB521_2009
; %bb.1977:
	s_cmp_gt_i32 s15, 28
	s_cbranch_scc0 .LBB521_1992
; %bb.1978:
	s_cmp_gt_i32 s15, 43
	;; [unrolled: 3-line block ×3, first 2 shown]
	s_cbranch_scc0 .LBB521_1982
; %bb.1980:
	s_mov_b64 s[0:1], -1
	s_mov_b64 s[10:11], 0
	s_cmp_eq_u32 s15, 46
	s_cbranch_scc0 .LBB521_1982
; %bb.1981:
	v_bfe_u32 v1, v14, 16, 1
	s_movk_i32 s0, 0x7fff
	v_add3_u32 v1, v14, v1, s0
	v_cmp_o_f32_e32 vcc, v14, v14
	v_mov_b32_e32 v4, 0x7fc0
	s_mov_b64 s[0:1], 0
	v_cndmask_b32_sdwa v1, v4, v1, vcc dst_sel:DWORD dst_unused:UNUSED_PAD src0_sel:DWORD src1_sel:WORD_1
	global_store_dword v[2:3], v1, off
	s_mov_b64 s[8:9], -1
.LBB521_1982:
	s_and_b64 vcc, exec, s[10:11]
	s_cbranch_vccz .LBB521_1987
; %bb.1983:
	s_cmp_eq_u32 s15, 44
	s_mov_b64 s[0:1], -1
	s_cbranch_scc0 .LBB521_1987
; %bb.1984:
	v_bfe_u32 v1, v14, 23, 8
	s_movk_i32 s0, 0xff
	v_cmp_ne_u32_e32 vcc, s0, v1
	v_mov_b32_e32 v4, 0xff
	s_and_saveexec_b64 s[8:9], vcc
; %bb.1985:
	s_mov_b32 s0, 0x3fffff
	v_and_b32_e32 v5, 0x400000, v14
	v_and_or_b32 v1, v14, s0, v1
	v_cmp_ne_u32_e32 vcc, 0, v5
	v_cmp_ne_u32_e64 s[0:1], 0, v1
	s_and_b64 s[0:1], vcc, s[0:1]
	v_lshrrev_b32_e32 v4, 23, v14
	v_cndmask_b32_e64 v1, 0, 1, s[0:1]
	v_add_u32_e32 v4, v4, v1
; %bb.1986:
	s_or_b64 exec, exec, s[8:9]
	s_mov_b64 s[0:1], 0
	s_mov_b64 s[8:9], -1
	global_store_byte v[2:3], v4, off
.LBB521_1987:
	s_mov_b64 s[10:11], 0
.LBB521_1988:
	s_and_b64 vcc, exec, s[10:11]
	s_cbranch_vccz .LBB521_1991
; %bb.1989:
	s_cmp_eq_u32 s15, 29
	s_mov_b64 s[0:1], -1
	s_cbranch_scc0 .LBB521_1991
; %bb.1990:
	v_trunc_f32_e32 v1, v14
	v_mul_f32_e32 v4, 0x2f800000, v1
	v_floor_f32_e32 v4, v4
	v_fmamk_f32 v1, v4, 0xcf800000, v1
	v_cvt_u32_f32_e32 v5, v4
	v_cvt_u32_f32_e32 v4, v1
	s_mov_b64 s[0:1], 0
	s_mov_b64 s[8:9], -1
	global_store_dwordx2 v[2:3], v[4:5], off
.LBB521_1991:
	s_mov_b64 s[10:11], 0
.LBB521_1992:
	s_and_b64 vcc, exec, s[10:11]
	s_cbranch_vccz .LBB521_2008
; %bb.1993:
	s_cmp_lt_i32 s15, 27
	s_mov_b64 s[8:9], -1
	s_cbranch_scc1 .LBB521_1999
; %bb.1994:
	v_cvt_u32_f32_e32 v1, v14
	s_cmp_gt_i32 s15, 27
	s_cbranch_scc0 .LBB521_1996
; %bb.1995:
	s_mov_b64 s[8:9], 0
	global_store_dword v[2:3], v1, off
.LBB521_1996:
	s_andn2_b64 vcc, exec, s[8:9]
	s_cbranch_vccnz .LBB521_1998
; %bb.1997:
	global_store_short v[2:3], v1, off
.LBB521_1998:
	s_mov_b64 s[8:9], 0
.LBB521_1999:
	s_andn2_b64 vcc, exec, s[8:9]
	s_cbranch_vccnz .LBB521_2007
; %bb.2000:
	v_and_b32_e32 v1, 0x7fffffff, v14
	s_mov_b32 s8, 0x43800000
	v_cmp_gt_u32_e32 vcc, s8, v1
	v_mov_b32_e32 v4, 0x80
	s_and_saveexec_b64 s[8:9], vcc
	s_cbranch_execz .LBB521_2006
; %bb.2001:
	s_mov_b32 s10, 0x3bffffff
	v_cmp_lt_u32_e32 vcc, s10, v1
	s_mov_b64 s[10:11], 0
                                        ; implicit-def: $vgpr1
	s_and_saveexec_b64 s[12:13], vcc
	s_xor_b64 s[12:13], exec, s[12:13]
	s_cbranch_execz .LBB521_2183
; %bb.2002:
	v_bfe_u32 v1, v14, 20, 1
	s_mov_b32 s16, 0x487ffff
	v_add3_u32 v1, v14, v1, s16
	s_mov_b64 s[10:11], exec
	v_lshrrev_b32_e32 v1, 20, v1
	s_andn2_saveexec_b64 s[12:13], s[12:13]
	s_cbranch_execnz .LBB521_2184
.LBB521_2003:
	s_or_b64 exec, exec, s[12:13]
	v_mov_b32_e32 v4, 0
	s_and_saveexec_b64 s[12:13], s[10:11]
.LBB521_2004:
	v_lshrrev_b32_e32 v4, 24, v14
	s_movk_i32 s10, 0x80
	v_and_or_b32 v4, v4, s10, v1
.LBB521_2005:
	s_or_b64 exec, exec, s[12:13]
.LBB521_2006:
	s_or_b64 exec, exec, s[8:9]
	global_store_byte v[2:3], v4, off
.LBB521_2007:
	s_mov_b64 s[8:9], -1
.LBB521_2008:
	s_mov_b64 s[10:11], 0
.LBB521_2009:
	s_and_b64 vcc, exec, s[10:11]
	s_cbranch_vccz .LBB521_2049
; %bb.2010:
	s_cmp_gt_i32 s15, 22
	s_mov_b64 s[6:7], -1
	s_cbranch_scc0 .LBB521_2042
; %bb.2011:
	s_cmp_lt_i32 s15, 24
	s_cbranch_scc1 .LBB521_2031
; %bb.2012:
	s_cmp_gt_i32 s15, 24
	s_cbranch_scc0 .LBB521_2020
; %bb.2013:
	v_and_b32_e32 v1, 0x7fffffff, v14
	s_mov_b32 s6, 0x47800000
	v_cmp_gt_u32_e32 vcc, s6, v1
	v_mov_b32_e32 v4, 0x80
	s_and_saveexec_b64 s[6:7], vcc
	s_cbranch_execz .LBB521_2019
; %bb.2014:
	s_mov_b32 s8, 0x37ffffff
	v_cmp_lt_u32_e32 vcc, s8, v1
	s_mov_b64 s[8:9], 0
                                        ; implicit-def: $vgpr1
	s_and_saveexec_b64 s[10:11], vcc
	s_xor_b64 s[10:11], exec, s[10:11]
	s_cbranch_execz .LBB521_2186
; %bb.2015:
	v_bfe_u32 v1, v14, 21, 1
	s_mov_b32 s12, 0x88fffff
	v_add3_u32 v1, v14, v1, s12
	s_mov_b64 s[8:9], exec
	v_lshrrev_b32_e32 v1, 21, v1
	s_andn2_saveexec_b64 s[10:11], s[10:11]
	s_cbranch_execnz .LBB521_2187
.LBB521_2016:
	s_or_b64 exec, exec, s[10:11]
	v_mov_b32_e32 v4, 0
	s_and_saveexec_b64 s[10:11], s[8:9]
.LBB521_2017:
	v_lshrrev_b32_e32 v4, 24, v14
	s_movk_i32 s8, 0x80
	v_and_or_b32 v4, v4, s8, v1
.LBB521_2018:
	s_or_b64 exec, exec, s[10:11]
.LBB521_2019:
	s_or_b64 exec, exec, s[6:7]
	s_mov_b64 s[6:7], 0
	global_store_byte v[2:3], v4, off
.LBB521_2020:
	s_and_b64 vcc, exec, s[6:7]
	s_cbranch_vccz .LBB521_2030
; %bb.2021:
	v_and_b32_e32 v4, 0x7fffffff, v14
	s_mov_b32 s6, 0x43f00000
	v_cmp_gt_u32_e32 vcc, s6, v4
                                        ; implicit-def: $vgpr1
	s_and_saveexec_b64 s[6:7], vcc
	s_xor_b64 s[6:7], exec, s[6:7]
	s_cbranch_execz .LBB521_2027
; %bb.2022:
	s_mov_b32 s8, 0x3c7fffff
	v_cmp_lt_u32_e32 vcc, s8, v4
                                        ; implicit-def: $vgpr1
	s_and_saveexec_b64 s[8:9], vcc
	s_xor_b64 s[8:9], exec, s[8:9]
; %bb.2023:
	v_bfe_u32 v1, v14, 20, 1
	s_mov_b32 s10, 0x407ffff
	v_add3_u32 v1, v14, v1, s10
	v_lshrrev_b32_e32 v4, 20, v1
	v_and_b32_e32 v1, 0xff00000, v1
	s_mov_b32 s10, 0x7f00000
	v_mov_b32_e32 v5, 0x7e
	v_cmp_ne_u32_e32 vcc, s10, v1
	s_nop 1
	v_cndmask_b32_e32 v1, v5, v4, vcc
; %bb.2024:
	s_andn2_saveexec_b64 s[8:9], s[8:9]
; %bb.2025:
	s_mov_b32 s10, 0x46800000
	v_add_f32_e64 v1, |v14|, s10
; %bb.2026:
	s_or_b64 exec, exec, s[8:9]
                                        ; implicit-def: $vgpr4
.LBB521_2027:
	s_andn2_saveexec_b64 s[6:7], s[6:7]
; %bb.2028:
	s_mov_b32 s8, 0x7f800000
	v_mov_b32_e32 v1, 0x7e
	v_mov_b32_e32 v5, 0x7f
	v_cmp_lt_u32_e32 vcc, s8, v4
	s_nop 1
	v_cndmask_b32_e32 v1, v1, v5, vcc
; %bb.2029:
	s_or_b64 exec, exec, s[6:7]
	v_lshrrev_b32_e32 v4, 24, v14
	s_movk_i32 s6, 0x80
	v_and_or_b32 v1, v4, s6, v1
	global_store_byte v[2:3], v1, off
.LBB521_2030:
	s_mov_b64 s[6:7], 0
.LBB521_2031:
	s_andn2_b64 vcc, exec, s[6:7]
	s_cbranch_vccnz .LBB521_2041
; %bb.2032:
	v_and_b32_e32 v4, 0x7fffffff, v14
	s_mov_b32 s6, 0x47800000
	v_cmp_gt_u32_e32 vcc, s6, v4
                                        ; implicit-def: $vgpr1
	s_and_saveexec_b64 s[6:7], vcc
	s_xor_b64 s[6:7], exec, s[6:7]
	s_cbranch_execz .LBB521_2038
; %bb.2033:
	s_mov_b32 s8, 0x387fffff
	v_cmp_lt_u32_e32 vcc, s8, v4
                                        ; implicit-def: $vgpr1
	s_and_saveexec_b64 s[8:9], vcc
	s_xor_b64 s[8:9], exec, s[8:9]
; %bb.2034:
	v_bfe_u32 v1, v14, 21, 1
	s_mov_b32 s10, 0x80fffff
	v_add3_u32 v1, v14, v1, s10
	v_lshrrev_b32_e32 v1, 21, v1
; %bb.2035:
	s_andn2_saveexec_b64 s[8:9], s[8:9]
; %bb.2036:
	s_mov_b32 s10, 0x43000000
	v_add_f32_e64 v1, |v14|, s10
; %bb.2037:
	s_or_b64 exec, exec, s[8:9]
                                        ; implicit-def: $vgpr4
.LBB521_2038:
	s_andn2_saveexec_b64 s[6:7], s[6:7]
; %bb.2039:
	s_mov_b32 s8, 0x7f800000
	v_mov_b32_e32 v1, 0x7c
	v_mov_b32_e32 v5, 0x7f
	v_cmp_lt_u32_e32 vcc, s8, v4
	s_nop 1
	v_cndmask_b32_e32 v1, v1, v5, vcc
; %bb.2040:
	s_or_b64 exec, exec, s[6:7]
	v_lshrrev_b32_e32 v4, 24, v14
	s_movk_i32 s6, 0x80
	v_and_or_b32 v1, v4, s6, v1
	global_store_byte v[2:3], v1, off
.LBB521_2041:
	s_mov_b64 s[6:7], 0
	s_mov_b64 s[8:9], -1
.LBB521_2042:
	s_andn2_b64 vcc, exec, s[6:7]
	s_mov_b64 s[6:7], 0
	s_cbranch_vccnz .LBB521_2049
; %bb.2043:
	s_cmp_gt_i32 s15, 14
	s_mov_b64 s[10:11], -1
	s_cbranch_scc0 .LBB521_2047
; %bb.2044:
	s_cmp_eq_u32 s15, 15
	s_mov_b64 s[0:1], -1
	s_cbranch_scc0 .LBB521_2046
; %bb.2045:
	v_bfe_u32 v1, v14, 16, 1
	s_movk_i32 s0, 0x7fff
	v_add3_u32 v1, v14, v1, s0
	v_cmp_o_f32_e32 vcc, v14, v14
	v_mov_b32_e32 v4, 0x7fc0
	s_mov_b64 s[0:1], 0
	v_cndmask_b32_sdwa v1, v4, v1, vcc dst_sel:DWORD dst_unused:UNUSED_PAD src0_sel:DWORD src1_sel:WORD_1
	global_store_short v[2:3], v1, off
	s_mov_b64 s[8:9], -1
.LBB521_2046:
	s_mov_b64 s[10:11], 0
.LBB521_2047:
	s_and_b64 vcc, exec, s[10:11]
	s_cbranch_vccz .LBB521_2049
; %bb.2048:
	s_cmp_lg_u32 s15, 11
	s_mov_b64 s[6:7], -1
	s_cselect_b64 s[0:1], -1, 0
.LBB521_2049:
	s_and_b64 vcc, exec, s[0:1]
	s_cbranch_vccnz .LBB521_2185
; %bb.2050:
	s_andn2_b64 vcc, exec, s[6:7]
	s_cbranch_vccnz .LBB521_2052
.LBB521_2051:
	v_cmp_neq_f32_e32 vcc, 0, v14
	s_mov_b64 s[8:9], -1
	s_nop 0
	v_cndmask_b32_e64 v1, 0, 1, vcc
	global_store_byte v[2:3], v1, off
.LBB521_2052:
	s_mov_b64 s[0:1], 0
	s_branch .LBB521_2054
.LBB521_2053:
	s_mov_b64 s[0:1], -1
	s_mov_b64 s[8:9], 0
.LBB521_2054:
	s_and_b64 vcc, exec, s[0:1]
	s_cbranch_vccz .LBB521_2093
; %bb.2055:
	s_cmp_lt_i32 s15, 5
	s_mov_b64 s[0:1], -1
	s_cbranch_scc1 .LBB521_2076
; %bb.2056:
	s_cmp_lt_i32 s15, 8
	s_cbranch_scc1 .LBB521_2066
; %bb.2057:
	s_cmp_lt_i32 s15, 9
	s_cbranch_scc1 .LBB521_2063
; %bb.2058:
	s_cmp_gt_i32 s15, 9
	s_cbranch_scc0 .LBB521_2060
; %bb.2059:
	v_mov_b32_e32 v6, 0
	v_cvt_f64_f32_e32 v[4:5], v14
	v_mov_b32_e32 v7, v6
	global_store_dwordx4 v[2:3], v[4:7], off
	s_mov_b64 s[0:1], 0
.LBB521_2060:
	s_andn2_b64 vcc, exec, s[0:1]
	s_cbranch_vccnz .LBB521_2062
; %bb.2061:
	v_mov_b32_e32 v15, 0
	global_store_dwordx2 v[2:3], v[14:15], off
.LBB521_2062:
	s_mov_b64 s[0:1], 0
.LBB521_2063:
	s_andn2_b64 vcc, exec, s[0:1]
	s_cbranch_vccnz .LBB521_2065
; %bb.2064:
	v_cvt_f16_f32_e32 v1, v14
	global_store_dword v[2:3], v1, off
.LBB521_2065:
	s_mov_b64 s[0:1], 0
.LBB521_2066:
	s_andn2_b64 vcc, exec, s[0:1]
	s_cbranch_vccnz .LBB521_2075
; %bb.2067:
	s_cmp_lt_i32 s15, 6
	s_mov_b64 s[0:1], -1
	s_cbranch_scc1 .LBB521_2073
; %bb.2068:
	s_cmp_gt_i32 s15, 6
	s_cbranch_scc0 .LBB521_2070
; %bb.2069:
	v_cvt_f64_f32_e32 v[4:5], v14
	global_store_dwordx2 v[2:3], v[4:5], off
	s_mov_b64 s[0:1], 0
.LBB521_2070:
	s_andn2_b64 vcc, exec, s[0:1]
	s_cbranch_vccnz .LBB521_2072
; %bb.2071:
	global_store_dword v[2:3], v14, off
.LBB521_2072:
	s_mov_b64 s[0:1], 0
.LBB521_2073:
	s_andn2_b64 vcc, exec, s[0:1]
	s_cbranch_vccnz .LBB521_2075
; %bb.2074:
	v_cvt_f16_f32_e32 v1, v14
	global_store_short v[2:3], v1, off
.LBB521_2075:
	s_mov_b64 s[0:1], 0
.LBB521_2076:
	s_andn2_b64 vcc, exec, s[0:1]
	s_cbranch_vccnz .LBB521_2092
; %bb.2077:
	s_cmp_lt_i32 s15, 2
	s_mov_b64 s[0:1], -1
	s_cbranch_scc1 .LBB521_2087
; %bb.2078:
	s_cmp_lt_i32 s15, 3
	s_cbranch_scc1 .LBB521_2084
; %bb.2079:
	s_cmp_gt_i32 s15, 3
	s_cbranch_scc0 .LBB521_2081
; %bb.2080:
	v_trunc_f32_e32 v1, v14
	s_mov_b32 s0, 0x2f800000
	v_mul_f32_e64 v4, |v1|, s0
	v_floor_f32_e32 v4, v4
	s_mov_b32 s0, 0xcf800000
	v_cvt_u32_f32_e32 v5, v4
	v_fma_f32 v4, v4, s0, |v1|
	v_cvt_u32_f32_e32 v4, v4
	v_ashrrev_i32_e32 v1, 31, v1
	v_xor_b32_e32 v5, v5, v1
	s_mov_b64 s[0:1], 0
	v_xor_b32_e32 v4, v4, v1
	v_sub_co_u32_e32 v4, vcc, v4, v1
	s_nop 1
	v_subb_co_u32_e32 v5, vcc, v5, v1, vcc
	global_store_dwordx2 v[2:3], v[4:5], off
.LBB521_2081:
	s_andn2_b64 vcc, exec, s[0:1]
	s_cbranch_vccnz .LBB521_2083
; %bb.2082:
	v_cvt_i32_f32_e32 v1, v14
	global_store_dword v[2:3], v1, off
.LBB521_2083:
	s_mov_b64 s[0:1], 0
.LBB521_2084:
	s_andn2_b64 vcc, exec, s[0:1]
	s_cbranch_vccnz .LBB521_2086
; %bb.2085:
	v_cvt_i32_f32_e32 v1, v14
	global_store_short v[2:3], v1, off
.LBB521_2086:
	s_mov_b64 s[0:1], 0
.LBB521_2087:
	s_andn2_b64 vcc, exec, s[0:1]
	s_cbranch_vccnz .LBB521_2092
; %bb.2088:
	s_cmp_gt_i32 s15, 0
	s_mov_b64 s[0:1], -1
	s_cbranch_scc0 .LBB521_2090
; %bb.2089:
	v_cvt_i32_f32_e32 v1, v14
	s_mov_b64 s[0:1], 0
	global_store_byte v[2:3], v1, off
.LBB521_2090:
	s_andn2_b64 vcc, exec, s[0:1]
	s_cbranch_vccnz .LBB521_2092
; %bb.2091:
	v_trunc_f32_e32 v1, v14
	s_mov_b32 s0, 0x2f800000
	v_mul_f32_e64 v4, |v1|, s0
	v_floor_f32_e32 v4, v4
	s_mov_b32 s0, 0xcf800000
	v_fma_f32 v4, v4, s0, |v1|
	v_cvt_u32_f32_e32 v4, v4
	v_ashrrev_i32_e32 v1, 31, v1
	v_xor_b32_e32 v4, v4, v1
	v_sub_u32_e32 v1, v4, v1
	global_store_byte v[2:3], v1, off
.LBB521_2092:
	s_mov_b64 s[8:9], -1
.LBB521_2093:
	s_andn2_b64 vcc, exec, s[8:9]
	s_cbranch_vccnz .LBB521_2170
; %bb.2094:
	v_mov_b32_e32 v1, 0
	s_cmp_lt_i32 s15, 11
	v_lshl_add_u64 v[0:1], s[4:5], 0, v[0:1]
	s_cbranch_scc1 .LBB521_2171
; %bb.2095:
	s_mov_b64 s[6:7], -1
	s_mov_b64 s[4:5], 0
	s_cmp_gt_i32 s15, 25
	s_mov_b64 s[0:1], 0
	s_cbranch_scc0 .LBB521_2128
; %bb.2096:
	s_cmp_gt_i32 s15, 28
	s_cbranch_scc0 .LBB521_2112
; %bb.2097:
	s_cmp_gt_i32 s15, 43
	;; [unrolled: 3-line block ×3, first 2 shown]
	s_cbranch_scc0 .LBB521_2102
; %bb.2099:
	s_cmp_eq_u32 s15, 46
	s_mov_b64 s[0:1], -1
	s_cbranch_scc0 .LBB521_2101
; %bb.2100:
	v_bfe_u32 v2, v8, 16, 1
	s_movk_i32 s0, 0x7fff
	v_add3_u32 v2, v8, v2, s0
	v_cmp_o_f32_e32 vcc, v8, v8
	v_mov_b32_e32 v3, 0x7fc0
	s_mov_b64 s[0:1], 0
	v_cndmask_b32_sdwa v2, v3, v2, vcc dst_sel:DWORD dst_unused:UNUSED_PAD src0_sel:DWORD src1_sel:WORD_1
	global_store_dword v[0:1], v2, off
.LBB521_2101:
	s_mov_b64 s[6:7], 0
.LBB521_2102:
	s_and_b64 vcc, exec, s[6:7]
	s_cbranch_vccz .LBB521_2107
; %bb.2103:
	s_cmp_eq_u32 s15, 44
	s_mov_b64 s[0:1], -1
	s_cbranch_scc0 .LBB521_2107
; %bb.2104:
	v_bfe_u32 v2, v8, 23, 8
	s_movk_i32 s0, 0xff
	v_cmp_ne_u32_e32 vcc, s0, v2
	v_mov_b32_e32 v3, 0xff
	s_and_saveexec_b64 s[6:7], vcc
; %bb.2105:
	s_mov_b32 s0, 0x3fffff
	v_and_b32_e32 v4, 0x400000, v8
	v_and_or_b32 v2, v8, s0, v2
	v_cmp_ne_u32_e32 vcc, 0, v4
	v_cmp_ne_u32_e64 s[0:1], 0, v2
	s_and_b64 s[0:1], vcc, s[0:1]
	v_lshrrev_b32_e32 v3, 23, v8
	v_cndmask_b32_e64 v2, 0, 1, s[0:1]
	v_add_u32_e32 v3, v3, v2
; %bb.2106:
	s_or_b64 exec, exec, s[6:7]
	s_mov_b64 s[0:1], 0
	global_store_byte v[0:1], v3, off
.LBB521_2107:
	s_mov_b64 s[6:7], 0
.LBB521_2108:
	s_and_b64 vcc, exec, s[6:7]
	s_cbranch_vccz .LBB521_2111
; %bb.2109:
	s_cmp_eq_u32 s15, 29
	s_mov_b64 s[0:1], -1
	s_cbranch_scc0 .LBB521_2111
; %bb.2110:
	v_trunc_f32_e32 v2, v8
	v_mul_f32_e32 v3, 0x2f800000, v2
	v_floor_f32_e32 v4, v3
	v_fmamk_f32 v2, v4, 0xcf800000, v2
	v_cvt_u32_f32_e32 v3, v4
	v_cvt_u32_f32_e32 v2, v2
	s_mov_b64 s[0:1], 0
	global_store_dwordx2 v[0:1], v[2:3], off
.LBB521_2111:
	s_mov_b64 s[6:7], 0
.LBB521_2112:
	s_and_b64 vcc, exec, s[6:7]
	s_cbranch_vccz .LBB521_2127
; %bb.2113:
	s_cmp_lt_i32 s15, 27
	s_mov_b64 s[6:7], -1
	s_cbranch_scc1 .LBB521_2119
; %bb.2114:
	s_cmp_gt_i32 s15, 27
	s_cbranch_scc0 .LBB521_2116
; %bb.2115:
	v_cvt_u32_f32_e32 v2, v8
	s_mov_b64 s[6:7], 0
	global_store_dword v[0:1], v2, off
.LBB521_2116:
	s_andn2_b64 vcc, exec, s[6:7]
	s_cbranch_vccnz .LBB521_2118
; %bb.2117:
	v_cvt_u32_f32_e32 v2, v8
	global_store_short v[0:1], v2, off
.LBB521_2118:
	s_mov_b64 s[6:7], 0
.LBB521_2119:
	s_andn2_b64 vcc, exec, s[6:7]
	s_cbranch_vccnz .LBB521_2127
; %bb.2120:
	v_and_b32_e32 v2, 0x7fffffff, v8
	s_mov_b32 s6, 0x43800000
	v_cmp_gt_u32_e32 vcc, s6, v2
	v_mov_b32_e32 v3, 0x80
	s_and_saveexec_b64 s[6:7], vcc
	s_cbranch_execz .LBB521_2126
; %bb.2121:
	s_mov_b32 s8, 0x3bffffff
	v_cmp_lt_u32_e32 vcc, s8, v2
	s_mov_b64 s[8:9], 0
                                        ; implicit-def: $vgpr2
	s_and_saveexec_b64 s[10:11], vcc
	s_xor_b64 s[10:11], exec, s[10:11]
	s_cbranch_execz .LBB521_2188
; %bb.2122:
	v_bfe_u32 v2, v8, 20, 1
	s_mov_b32 s12, 0x487ffff
	v_add3_u32 v2, v8, v2, s12
	s_mov_b64 s[8:9], exec
	v_lshrrev_b32_e32 v2, 20, v2
	s_andn2_saveexec_b64 s[10:11], s[10:11]
	s_cbranch_execnz .LBB521_2189
.LBB521_2123:
	s_or_b64 exec, exec, s[10:11]
	v_mov_b32_e32 v3, 0
	s_and_saveexec_b64 s[10:11], s[8:9]
.LBB521_2124:
	v_lshrrev_b32_e32 v3, 24, v8
	s_movk_i32 s8, 0x80
	v_and_or_b32 v3, v3, s8, v2
.LBB521_2125:
	s_or_b64 exec, exec, s[10:11]
.LBB521_2126:
	s_or_b64 exec, exec, s[6:7]
	global_store_byte v[0:1], v3, off
.LBB521_2127:
	s_mov_b64 s[6:7], 0
.LBB521_2128:
	s_and_b64 vcc, exec, s[6:7]
	s_cbranch_vccz .LBB521_2168
; %bb.2129:
	s_cmp_gt_i32 s15, 22
	s_mov_b64 s[4:5], -1
	s_cbranch_scc0 .LBB521_2161
; %bb.2130:
	s_cmp_lt_i32 s15, 24
	s_cbranch_scc1 .LBB521_2150
; %bb.2131:
	s_cmp_gt_i32 s15, 24
	s_cbranch_scc0 .LBB521_2139
; %bb.2132:
	v_and_b32_e32 v2, 0x7fffffff, v8
	s_mov_b32 s4, 0x47800000
	v_cmp_gt_u32_e32 vcc, s4, v2
	v_mov_b32_e32 v3, 0x80
	s_and_saveexec_b64 s[4:5], vcc
	s_cbranch_execz .LBB521_2138
; %bb.2133:
	s_mov_b32 s6, 0x37ffffff
	v_cmp_lt_u32_e32 vcc, s6, v2
	s_mov_b64 s[6:7], 0
                                        ; implicit-def: $vgpr2
	s_and_saveexec_b64 s[8:9], vcc
	s_xor_b64 s[8:9], exec, s[8:9]
	s_cbranch_execz .LBB521_2191
; %bb.2134:
	v_bfe_u32 v2, v8, 21, 1
	s_mov_b32 s10, 0x88fffff
	v_add3_u32 v2, v8, v2, s10
	s_mov_b64 s[6:7], exec
	v_lshrrev_b32_e32 v2, 21, v2
	s_andn2_saveexec_b64 s[8:9], s[8:9]
	s_cbranch_execnz .LBB521_2192
.LBB521_2135:
	s_or_b64 exec, exec, s[8:9]
	v_mov_b32_e32 v3, 0
	s_and_saveexec_b64 s[8:9], s[6:7]
.LBB521_2136:
	v_lshrrev_b32_e32 v3, 24, v8
	s_movk_i32 s6, 0x80
	v_and_or_b32 v3, v3, s6, v2
.LBB521_2137:
	s_or_b64 exec, exec, s[8:9]
.LBB521_2138:
	s_or_b64 exec, exec, s[4:5]
	s_mov_b64 s[4:5], 0
	global_store_byte v[0:1], v3, off
.LBB521_2139:
	s_and_b64 vcc, exec, s[4:5]
	s_cbranch_vccz .LBB521_2149
; %bb.2140:
	v_and_b32_e32 v3, 0x7fffffff, v8
	s_mov_b32 s4, 0x43f00000
	v_cmp_gt_u32_e32 vcc, s4, v3
                                        ; implicit-def: $vgpr2
	s_and_saveexec_b64 s[4:5], vcc
	s_xor_b64 s[4:5], exec, s[4:5]
	s_cbranch_execz .LBB521_2146
; %bb.2141:
	s_mov_b32 s6, 0x3c7fffff
	v_cmp_lt_u32_e32 vcc, s6, v3
                                        ; implicit-def: $vgpr2
	s_and_saveexec_b64 s[6:7], vcc
	s_xor_b64 s[6:7], exec, s[6:7]
; %bb.2142:
	v_bfe_u32 v2, v8, 20, 1
	s_mov_b32 s8, 0x407ffff
	v_add3_u32 v2, v8, v2, s8
	v_lshrrev_b32_e32 v3, 20, v2
	v_and_b32_e32 v2, 0xff00000, v2
	s_mov_b32 s8, 0x7f00000
	v_mov_b32_e32 v4, 0x7e
	v_cmp_ne_u32_e32 vcc, s8, v2
	s_nop 1
	v_cndmask_b32_e32 v2, v4, v3, vcc
; %bb.2143:
	s_andn2_saveexec_b64 s[6:7], s[6:7]
; %bb.2144:
	s_mov_b32 s8, 0x46800000
	v_add_f32_e64 v2, |v8|, s8
; %bb.2145:
	s_or_b64 exec, exec, s[6:7]
                                        ; implicit-def: $vgpr3
.LBB521_2146:
	s_andn2_saveexec_b64 s[4:5], s[4:5]
; %bb.2147:
	s_mov_b32 s6, 0x7f800000
	v_mov_b32_e32 v2, 0x7e
	v_mov_b32_e32 v4, 0x7f
	v_cmp_lt_u32_e32 vcc, s6, v3
	s_nop 1
	v_cndmask_b32_e32 v2, v2, v4, vcc
; %bb.2148:
	s_or_b64 exec, exec, s[4:5]
	v_lshrrev_b32_e32 v3, 24, v8
	s_movk_i32 s4, 0x80
	v_and_or_b32 v2, v3, s4, v2
	global_store_byte v[0:1], v2, off
.LBB521_2149:
	s_mov_b64 s[4:5], 0
.LBB521_2150:
	s_andn2_b64 vcc, exec, s[4:5]
	s_cbranch_vccnz .LBB521_2160
; %bb.2151:
	v_and_b32_e32 v3, 0x7fffffff, v8
	s_mov_b32 s4, 0x47800000
	v_cmp_gt_u32_e32 vcc, s4, v3
                                        ; implicit-def: $vgpr2
	s_and_saveexec_b64 s[4:5], vcc
	s_xor_b64 s[4:5], exec, s[4:5]
	s_cbranch_execz .LBB521_2157
; %bb.2152:
	s_mov_b32 s6, 0x387fffff
	v_cmp_lt_u32_e32 vcc, s6, v3
                                        ; implicit-def: $vgpr2
	s_and_saveexec_b64 s[6:7], vcc
	s_xor_b64 s[6:7], exec, s[6:7]
; %bb.2153:
	v_bfe_u32 v2, v8, 21, 1
	s_mov_b32 s8, 0x80fffff
	v_add3_u32 v2, v8, v2, s8
	v_lshrrev_b32_e32 v2, 21, v2
; %bb.2154:
	s_andn2_saveexec_b64 s[6:7], s[6:7]
; %bb.2155:
	s_mov_b32 s8, 0x43000000
	v_add_f32_e64 v2, |v8|, s8
; %bb.2156:
	s_or_b64 exec, exec, s[6:7]
                                        ; implicit-def: $vgpr3
.LBB521_2157:
	s_andn2_saveexec_b64 s[4:5], s[4:5]
; %bb.2158:
	s_mov_b32 s6, 0x7f800000
	v_mov_b32_e32 v2, 0x7c
	v_mov_b32_e32 v4, 0x7f
	v_cmp_lt_u32_e32 vcc, s6, v3
	s_nop 1
	v_cndmask_b32_e32 v2, v2, v4, vcc
; %bb.2159:
	s_or_b64 exec, exec, s[4:5]
	v_lshrrev_b32_e32 v3, 24, v8
	s_movk_i32 s4, 0x80
	v_and_or_b32 v2, v3, s4, v2
	global_store_byte v[0:1], v2, off
.LBB521_2160:
	s_mov_b64 s[4:5], 0
.LBB521_2161:
	s_andn2_b64 vcc, exec, s[4:5]
	s_mov_b64 s[4:5], 0
	s_cbranch_vccnz .LBB521_2168
; %bb.2162:
	s_cmp_gt_i32 s15, 14
	s_mov_b64 s[6:7], -1
	s_cbranch_scc0 .LBB521_2166
; %bb.2163:
	s_cmp_eq_u32 s15, 15
	s_mov_b64 s[0:1], -1
	s_cbranch_scc0 .LBB521_2165
; %bb.2164:
	v_bfe_u32 v2, v8, 16, 1
	s_movk_i32 s0, 0x7fff
	v_add3_u32 v2, v8, v2, s0
	v_cmp_o_f32_e32 vcc, v8, v8
	v_mov_b32_e32 v3, 0x7fc0
	s_mov_b64 s[0:1], 0
	v_cndmask_b32_sdwa v2, v3, v2, vcc dst_sel:DWORD dst_unused:UNUSED_PAD src0_sel:DWORD src1_sel:WORD_1
	global_store_short v[0:1], v2, off
.LBB521_2165:
	s_mov_b64 s[6:7], 0
.LBB521_2166:
	s_and_b64 vcc, exec, s[6:7]
	s_cbranch_vccz .LBB521_2168
; %bb.2167:
	s_cmp_lg_u32 s15, 11
	s_mov_b64 s[4:5], -1
	s_cselect_b64 s[0:1], -1, 0
.LBB521_2168:
	s_and_b64 vcc, exec, s[0:1]
	s_cbranch_vccnz .LBB521_2190
.LBB521_2169:
	s_mov_b64 s[0:1], 0
	s_branch .LBB521_1771
.LBB521_2170:
	s_mov_b64 s[0:1], 0
                                        ; implicit-def: $vgpr0_vgpr1
                                        ; implicit-def: $sgpr14
	s_branch .LBB521_1770
.LBB521_2171:
	s_mov_b64 s[4:5], 0
	s_mov_b64 s[0:1], -1
	s_branch .LBB521_1771
.LBB521_2172:
	s_trap 2
	s_or_b64 s[2:3], s[2:3], exec
	s_cbranch_execz .LBB521_1635
	s_branch .LBB521_1636
.LBB521_2173:
	s_andn2_saveexec_b64 s[12:13], s[12:13]
	s_cbranch_execz .LBB521_1719
.LBB521_2174:
	s_mov_b32 s16, 0x46000000
	v_add_f32_e64 v1, |v10|, s16
	v_and_b32_e32 v1, 0xff, v1
	v_cmp_ne_u32_e32 vcc, 0, v1
	s_andn2_b64 s[10:11], s[10:11], exec
	s_and_b64 s[16:17], vcc, exec
	s_or_b64 s[10:11], s[10:11], s[16:17]
	s_or_b64 exec, exec, s[12:13]
	v_mov_b32_e32 v3, 0
	s_and_saveexec_b64 s[12:13], s[10:11]
	s_cbranch_execnz .LBB521_1720
	s_branch .LBB521_1721
.LBB521_2175:
	s_trap 2
	s_or_b64 s[2:3], s[2:3], exec
	s_cbranch_execz .LBB521_1767
	s_branch .LBB521_1768
.LBB521_2176:
	s_andn2_saveexec_b64 s[10:11], s[10:11]
	s_cbranch_execz .LBB521_1732
.LBB521_2177:
	s_mov_b32 s12, 0x42800000
	v_add_f32_e64 v1, |v10|, s12
	v_and_b32_e32 v1, 0xff, v1
	v_cmp_ne_u32_e32 vcc, 0, v1
	s_andn2_b64 s[8:9], s[8:9], exec
	s_and_b64 s[12:13], vcc, exec
	s_or_b64 s[8:9], s[8:9], s[12:13]
	s_or_b64 exec, exec, s[10:11]
	v_mov_b32_e32 v3, 0
	s_and_saveexec_b64 s[10:11], s[8:9]
	s_cbranch_execnz .LBB521_1733
	s_branch .LBB521_1734
.LBB521_2178:
	s_andn2_saveexec_b64 s[12:13], s[12:13]
	s_cbranch_execz .LBB521_1884
.LBB521_2179:
	s_mov_b32 s16, 0x46000000
	v_add_f32_e64 v1, |v12|, s16
	v_and_b32_e32 v1, 0xff, v1
	v_cmp_ne_u32_e32 vcc, 0, v1
	s_andn2_b64 s[10:11], s[10:11], exec
	s_and_b64 s[16:17], vcc, exec
	s_or_b64 s[10:11], s[10:11], s[16:17]
	s_or_b64 exec, exec, s[12:13]
	v_mov_b32_e32 v3, 0
	s_and_saveexec_b64 s[12:13], s[10:11]
	s_cbranch_execnz .LBB521_1885
	s_branch .LBB521_1886
.LBB521_2180:
	s_trap 2
	s_or_b64 s[2:3], s[2:3], exec
	s_cbranch_execz .LBB521_1932
	s_branch .LBB521_1933
.LBB521_2181:
	s_andn2_saveexec_b64 s[10:11], s[10:11]
	s_cbranch_execz .LBB521_1897
.LBB521_2182:
	s_mov_b32 s12, 0x42800000
	v_add_f32_e64 v1, |v12|, s12
	v_and_b32_e32 v1, 0xff, v1
	v_cmp_ne_u32_e32 vcc, 0, v1
	s_andn2_b64 s[8:9], s[8:9], exec
	s_and_b64 s[12:13], vcc, exec
	s_or_b64 s[8:9], s[8:9], s[12:13]
	s_or_b64 exec, exec, s[10:11]
	v_mov_b32_e32 v3, 0
	s_and_saveexec_b64 s[10:11], s[8:9]
	s_cbranch_execnz .LBB521_1898
	s_branch .LBB521_1899
.LBB521_2183:
	s_andn2_saveexec_b64 s[12:13], s[12:13]
	s_cbranch_execz .LBB521_2003
.LBB521_2184:
	s_mov_b32 s16, 0x46000000
	v_add_f32_e64 v1, |v14|, s16
	v_and_b32_e32 v1, 0xff, v1
	v_cmp_ne_u32_e32 vcc, 0, v1
	s_andn2_b64 s[10:11], s[10:11], exec
	s_and_b64 s[16:17], vcc, exec
	s_or_b64 s[10:11], s[10:11], s[16:17]
	s_or_b64 exec, exec, s[12:13]
	v_mov_b32_e32 v4, 0
	s_and_saveexec_b64 s[12:13], s[10:11]
	s_cbranch_execnz .LBB521_2004
	s_branch .LBB521_2005
.LBB521_2185:
	s_trap 2
	s_or_b64 s[2:3], s[2:3], exec
	s_cbranch_execz .LBB521_2051
	s_branch .LBB521_2052
.LBB521_2186:
	s_andn2_saveexec_b64 s[10:11], s[10:11]
	s_cbranch_execz .LBB521_2016
.LBB521_2187:
	s_mov_b32 s12, 0x42800000
	v_add_f32_e64 v1, |v14|, s12
	v_and_b32_e32 v1, 0xff, v1
	v_cmp_ne_u32_e32 vcc, 0, v1
	s_andn2_b64 s[8:9], s[8:9], exec
	s_and_b64 s[12:13], vcc, exec
	s_or_b64 s[8:9], s[8:9], s[12:13]
	s_or_b64 exec, exec, s[10:11]
	v_mov_b32_e32 v4, 0
	s_and_saveexec_b64 s[10:11], s[8:9]
	s_cbranch_execnz .LBB521_2017
	s_branch .LBB521_2018
.LBB521_2188:
	s_andn2_saveexec_b64 s[10:11], s[10:11]
	s_cbranch_execz .LBB521_2123
.LBB521_2189:
	s_mov_b32 s12, 0x46000000
	v_add_f32_e64 v2, |v8|, s12
	v_and_b32_e32 v2, 0xff, v2
	v_cmp_ne_u32_e32 vcc, 0, v2
	s_andn2_b64 s[8:9], s[8:9], exec
	s_and_b64 s[12:13], vcc, exec
	s_or_b64 s[8:9], s[8:9], s[12:13]
	s_or_b64 exec, exec, s[10:11]
	v_mov_b32_e32 v3, 0
	s_and_saveexec_b64 s[10:11], s[8:9]
	s_cbranch_execnz .LBB521_2124
	s_branch .LBB521_2125
.LBB521_2190:
	s_mov_b64 s[4:5], 0
	s_or_b64 s[2:3], s[2:3], exec
	s_trap 2
	s_branch .LBB521_2169
.LBB521_2191:
	s_andn2_saveexec_b64 s[8:9], s[8:9]
	s_cbranch_execz .LBB521_2135
.LBB521_2192:
	s_mov_b32 s10, 0x42800000
	v_add_f32_e64 v2, |v8|, s10
	v_and_b32_e32 v2, 0xff, v2
	v_cmp_ne_u32_e32 vcc, 0, v2
	s_andn2_b64 s[6:7], s[6:7], exec
	s_and_b64 s[10:11], vcc, exec
	s_or_b64 s[6:7], s[6:7], s[10:11]
	s_or_b64 exec, exec, s[8:9]
	v_mov_b32_e32 v3, 0
	s_and_saveexec_b64 s[8:9], s[6:7]
	s_cbranch_execnz .LBB521_2136
	s_branch .LBB521_2137
	.section	.rodata,"a",@progbits
	.p2align	6, 0x0
	.amdhsa_kernel _ZN2at6native32elementwise_kernel_manual_unrollILi128ELi4EZNS0_15gpu_kernel_implIZZZNS0_22nan_to_num_kernel_cudaERNS_18TensorIteratorBaseESt8optionalIdES6_S6_ENKUlvE0_clEvENKUlvE0_clEvEUlfE_EEvS4_RKT_EUlibE0_EEviT1_
		.amdhsa_group_segment_fixed_size 0
		.amdhsa_private_segment_fixed_size 0
		.amdhsa_kernarg_size 368
		.amdhsa_user_sgpr_count 2
		.amdhsa_user_sgpr_dispatch_ptr 0
		.amdhsa_user_sgpr_queue_ptr 0
		.amdhsa_user_sgpr_kernarg_segment_ptr 1
		.amdhsa_user_sgpr_dispatch_id 0
		.amdhsa_user_sgpr_kernarg_preload_length 0
		.amdhsa_user_sgpr_kernarg_preload_offset 0
		.amdhsa_user_sgpr_private_segment_size 0
		.amdhsa_uses_dynamic_stack 0
		.amdhsa_enable_private_segment 0
		.amdhsa_system_sgpr_workgroup_id_x 1
		.amdhsa_system_sgpr_workgroup_id_y 0
		.amdhsa_system_sgpr_workgroup_id_z 0
		.amdhsa_system_sgpr_workgroup_info 0
		.amdhsa_system_vgpr_workitem_id 0
		.amdhsa_next_free_vgpr 20
		.amdhsa_next_free_sgpr 81
		.amdhsa_accum_offset 20
		.amdhsa_reserve_vcc 1
		.amdhsa_float_round_mode_32 0
		.amdhsa_float_round_mode_16_64 0
		.amdhsa_float_denorm_mode_32 3
		.amdhsa_float_denorm_mode_16_64 3
		.amdhsa_dx10_clamp 1
		.amdhsa_ieee_mode 1
		.amdhsa_fp16_overflow 0
		.amdhsa_tg_split 0
		.amdhsa_exception_fp_ieee_invalid_op 0
		.amdhsa_exception_fp_denorm_src 0
		.amdhsa_exception_fp_ieee_div_zero 0
		.amdhsa_exception_fp_ieee_overflow 0
		.amdhsa_exception_fp_ieee_underflow 0
		.amdhsa_exception_fp_ieee_inexact 0
		.amdhsa_exception_int_div_zero 0
	.end_amdhsa_kernel
	.section	.text._ZN2at6native32elementwise_kernel_manual_unrollILi128ELi4EZNS0_15gpu_kernel_implIZZZNS0_22nan_to_num_kernel_cudaERNS_18TensorIteratorBaseESt8optionalIdES6_S6_ENKUlvE0_clEvENKUlvE0_clEvEUlfE_EEvS4_RKT_EUlibE0_EEviT1_,"axG",@progbits,_ZN2at6native32elementwise_kernel_manual_unrollILi128ELi4EZNS0_15gpu_kernel_implIZZZNS0_22nan_to_num_kernel_cudaERNS_18TensorIteratorBaseESt8optionalIdES6_S6_ENKUlvE0_clEvENKUlvE0_clEvEUlfE_EEvS4_RKT_EUlibE0_EEviT1_,comdat
.Lfunc_end521:
	.size	_ZN2at6native32elementwise_kernel_manual_unrollILi128ELi4EZNS0_15gpu_kernel_implIZZZNS0_22nan_to_num_kernel_cudaERNS_18TensorIteratorBaseESt8optionalIdES6_S6_ENKUlvE0_clEvENKUlvE0_clEvEUlfE_EEvS4_RKT_EUlibE0_EEviT1_, .Lfunc_end521-_ZN2at6native32elementwise_kernel_manual_unrollILi128ELi4EZNS0_15gpu_kernel_implIZZZNS0_22nan_to_num_kernel_cudaERNS_18TensorIteratorBaseESt8optionalIdES6_S6_ENKUlvE0_clEvENKUlvE0_clEvEUlfE_EEvS4_RKT_EUlibE0_EEviT1_
                                        ; -- End function
	.set _ZN2at6native32elementwise_kernel_manual_unrollILi128ELi4EZNS0_15gpu_kernel_implIZZZNS0_22nan_to_num_kernel_cudaERNS_18TensorIteratorBaseESt8optionalIdES6_S6_ENKUlvE0_clEvENKUlvE0_clEvEUlfE_EEvS4_RKT_EUlibE0_EEviT1_.num_vgpr, 20
	.set _ZN2at6native32elementwise_kernel_manual_unrollILi128ELi4EZNS0_15gpu_kernel_implIZZZNS0_22nan_to_num_kernel_cudaERNS_18TensorIteratorBaseESt8optionalIdES6_S6_ENKUlvE0_clEvENKUlvE0_clEvEUlfE_EEvS4_RKT_EUlibE0_EEviT1_.num_agpr, 0
	.set _ZN2at6native32elementwise_kernel_manual_unrollILi128ELi4EZNS0_15gpu_kernel_implIZZZNS0_22nan_to_num_kernel_cudaERNS_18TensorIteratorBaseESt8optionalIdES6_S6_ENKUlvE0_clEvENKUlvE0_clEvEUlfE_EEvS4_RKT_EUlibE0_EEviT1_.numbered_sgpr, 81
	.set _ZN2at6native32elementwise_kernel_manual_unrollILi128ELi4EZNS0_15gpu_kernel_implIZZZNS0_22nan_to_num_kernel_cudaERNS_18TensorIteratorBaseESt8optionalIdES6_S6_ENKUlvE0_clEvENKUlvE0_clEvEUlfE_EEvS4_RKT_EUlibE0_EEviT1_.num_named_barrier, 0
	.set _ZN2at6native32elementwise_kernel_manual_unrollILi128ELi4EZNS0_15gpu_kernel_implIZZZNS0_22nan_to_num_kernel_cudaERNS_18TensorIteratorBaseESt8optionalIdES6_S6_ENKUlvE0_clEvENKUlvE0_clEvEUlfE_EEvS4_RKT_EUlibE0_EEviT1_.private_seg_size, 0
	.set _ZN2at6native32elementwise_kernel_manual_unrollILi128ELi4EZNS0_15gpu_kernel_implIZZZNS0_22nan_to_num_kernel_cudaERNS_18TensorIteratorBaseESt8optionalIdES6_S6_ENKUlvE0_clEvENKUlvE0_clEvEUlfE_EEvS4_RKT_EUlibE0_EEviT1_.uses_vcc, 1
	.set _ZN2at6native32elementwise_kernel_manual_unrollILi128ELi4EZNS0_15gpu_kernel_implIZZZNS0_22nan_to_num_kernel_cudaERNS_18TensorIteratorBaseESt8optionalIdES6_S6_ENKUlvE0_clEvENKUlvE0_clEvEUlfE_EEvS4_RKT_EUlibE0_EEviT1_.uses_flat_scratch, 0
	.set _ZN2at6native32elementwise_kernel_manual_unrollILi128ELi4EZNS0_15gpu_kernel_implIZZZNS0_22nan_to_num_kernel_cudaERNS_18TensorIteratorBaseESt8optionalIdES6_S6_ENKUlvE0_clEvENKUlvE0_clEvEUlfE_EEvS4_RKT_EUlibE0_EEviT1_.has_dyn_sized_stack, 0
	.set _ZN2at6native32elementwise_kernel_manual_unrollILi128ELi4EZNS0_15gpu_kernel_implIZZZNS0_22nan_to_num_kernel_cudaERNS_18TensorIteratorBaseESt8optionalIdES6_S6_ENKUlvE0_clEvENKUlvE0_clEvEUlfE_EEvS4_RKT_EUlibE0_EEviT1_.has_recursion, 0
	.set _ZN2at6native32elementwise_kernel_manual_unrollILi128ELi4EZNS0_15gpu_kernel_implIZZZNS0_22nan_to_num_kernel_cudaERNS_18TensorIteratorBaseESt8optionalIdES6_S6_ENKUlvE0_clEvENKUlvE0_clEvEUlfE_EEvS4_RKT_EUlibE0_EEviT1_.has_indirect_call, 0
	.section	.AMDGPU.csdata,"",@progbits
; Kernel info:
; codeLenInByte = 38536
; TotalNumSgprs: 87
; NumVgprs: 20
; NumAgprs: 0
; TotalNumVgprs: 20
; ScratchSize: 0
; MemoryBound: 1
; FloatMode: 240
; IeeeMode: 1
; LDSByteSize: 0 bytes/workgroup (compile time only)
; SGPRBlocks: 10
; VGPRBlocks: 2
; NumSGPRsForWavesPerEU: 87
; NumVGPRsForWavesPerEU: 20
; AccumOffset: 20
; Occupancy: 8
; WaveLimiterHint : 1
; COMPUTE_PGM_RSRC2:SCRATCH_EN: 0
; COMPUTE_PGM_RSRC2:USER_SGPR: 2
; COMPUTE_PGM_RSRC2:TRAP_HANDLER: 0
; COMPUTE_PGM_RSRC2:TGID_X_EN: 1
; COMPUTE_PGM_RSRC2:TGID_Y_EN: 0
; COMPUTE_PGM_RSRC2:TGID_Z_EN: 0
; COMPUTE_PGM_RSRC2:TIDIG_COMP_CNT: 0
; COMPUTE_PGM_RSRC3_GFX90A:ACCUM_OFFSET: 4
; COMPUTE_PGM_RSRC3_GFX90A:TG_SPLIT: 0
	.section	.text._ZN2at6native29vectorized_elementwise_kernelILi16EZZZNS0_22nan_to_num_kernel_cudaERNS_18TensorIteratorBaseESt8optionalIdES5_S5_ENKUlvE0_clEvENKUlvE1_clEvEUlN3c104HalfEE_St5arrayIPcLm2EEEEviT0_T1_,"axG",@progbits,_ZN2at6native29vectorized_elementwise_kernelILi16EZZZNS0_22nan_to_num_kernel_cudaERNS_18TensorIteratorBaseESt8optionalIdES5_S5_ENKUlvE0_clEvENKUlvE1_clEvEUlN3c104HalfEE_St5arrayIPcLm2EEEEviT0_T1_,comdat
	.globl	_ZN2at6native29vectorized_elementwise_kernelILi16EZZZNS0_22nan_to_num_kernel_cudaERNS_18TensorIteratorBaseESt8optionalIdES5_S5_ENKUlvE0_clEvENKUlvE1_clEvEUlN3c104HalfEE_St5arrayIPcLm2EEEEviT0_T1_ ; -- Begin function _ZN2at6native29vectorized_elementwise_kernelILi16EZZZNS0_22nan_to_num_kernel_cudaERNS_18TensorIteratorBaseESt8optionalIdES5_S5_ENKUlvE0_clEvENKUlvE1_clEvEUlN3c104HalfEE_St5arrayIPcLm2EEEEviT0_T1_
	.p2align	8
	.type	_ZN2at6native29vectorized_elementwise_kernelILi16EZZZNS0_22nan_to_num_kernel_cudaERNS_18TensorIteratorBaseESt8optionalIdES5_S5_ENKUlvE0_clEvENKUlvE1_clEvEUlN3c104HalfEE_St5arrayIPcLm2EEEEviT0_T1_,@function
_ZN2at6native29vectorized_elementwise_kernelILi16EZZZNS0_22nan_to_num_kernel_cudaERNS_18TensorIteratorBaseESt8optionalIdES5_S5_ENKUlvE0_clEvENKUlvE1_clEvEUlN3c104HalfEE_St5arrayIPcLm2EEEEviT0_T1_: ; @_ZN2at6native29vectorized_elementwise_kernelILi16EZZZNS0_22nan_to_num_kernel_cudaERNS_18TensorIteratorBaseESt8optionalIdES5_S5_ENKUlvE0_clEvENKUlvE1_clEvEUlN3c104HalfEE_St5arrayIPcLm2EEEEviT0_T1_
; %bb.0:
	s_load_dwordx2 s[8:9], s[0:1], 0x0
	s_load_dword s15, s[0:1], 0x8
	s_load_dwordx4 s[4:7], s[0:1], 0x10
	s_lshl_b32 s2, s2, 11
	s_mov_b64 s[0:1], -1
	s_waitcnt lgkmcnt(0)
	s_sub_i32 s14, s8, s2
	s_cmpk_gt_i32 s14, 0x7ff
	s_cbranch_scc0 .LBB522_34
; %bb.1:
	s_ashr_i32 s3, s2, 31
	s_lshr_b32 s8, s9, 16
	s_lshl_b64 s[0:1], s[2:3], 1
	s_add_u32 s10, s6, s0
	s_addc_u32 s11, s7, s1
	v_lshlrev_b32_e32 v1, 4, v0
	global_load_dwordx4 v[2:5], v1, s[10:11]
	v_mov_b32_e32 v6, s9
	s_waitcnt vmcnt(0)
	v_cmp_o_f16_e32 vcc, v2, v2
	s_and_saveexec_b64 s[10:11], vcc
	s_cbranch_execz .LBB522_5
; %bb.2:
	s_movk_i32 s3, 0x7c00
	v_cmp_neq_f16_e32 vcc, s3, v2
	v_mov_b32_e32 v6, s8
	s_and_saveexec_b64 s[12:13], vcc
; %bb.3:
	s_mov_b32 s3, 0xfc00
	v_mov_b32_e32 v6, s15
	v_cmp_eq_f16_e32 vcc, s3, v2
	s_nop 1
	v_cndmask_b32_e32 v6, v2, v6, vcc
; %bb.4:
	s_or_b64 exec, exec, s[12:13]
.LBB522_5:
	s_or_b64 exec, exec, s[10:11]
	v_lshrrev_b32_e32 v7, 16, v2
	v_cmp_o_f16_e32 vcc, v7, v7
	v_mov_b32_e32 v2, s9
	s_and_saveexec_b64 s[10:11], vcc
	s_cbranch_execz .LBB522_9
; %bb.6:
	s_movk_i32 s3, 0x7c00
	v_cmp_neq_f16_e32 vcc, s3, v7
	v_mov_b32_e32 v2, s8
	s_and_saveexec_b64 s[12:13], vcc
; %bb.7:
	s_mov_b32 s3, 0xfc00
	v_mov_b32_e32 v2, s15
	v_cmp_eq_f16_e32 vcc, s3, v7
	s_nop 1
	v_cndmask_b32_e32 v2, v7, v2, vcc
; %bb.8:
	s_or_b64 exec, exec, s[12:13]
.LBB522_9:
	s_or_b64 exec, exec, s[10:11]
	v_cmp_o_f16_e32 vcc, v3, v3
	v_mov_b32_e32 v7, s9
	s_and_saveexec_b64 s[10:11], vcc
	s_cbranch_execz .LBB522_13
; %bb.10:
	s_movk_i32 s3, 0x7c00
	v_cmp_neq_f16_e32 vcc, s3, v3
	v_mov_b32_e32 v7, s8
	s_and_saveexec_b64 s[12:13], vcc
; %bb.11:
	s_mov_b32 s3, 0xfc00
	v_mov_b32_e32 v7, s15
	v_cmp_eq_f16_e32 vcc, s3, v3
	s_nop 1
	v_cndmask_b32_e32 v7, v3, v7, vcc
; %bb.12:
	s_or_b64 exec, exec, s[12:13]
.LBB522_13:
	s_or_b64 exec, exec, s[10:11]
	v_lshrrev_b32_e32 v8, 16, v3
	v_cmp_o_f16_e32 vcc, v8, v8
	v_mov_b32_e32 v3, s9
	s_and_saveexec_b64 s[10:11], vcc
	s_cbranch_execz .LBB522_17
; %bb.14:
	s_movk_i32 s3, 0x7c00
	v_cmp_neq_f16_e32 vcc, s3, v8
	v_mov_b32_e32 v3, s8
	s_and_saveexec_b64 s[12:13], vcc
; %bb.15:
	s_mov_b32 s3, 0xfc00
	v_mov_b32_e32 v3, s15
	v_cmp_eq_f16_e32 vcc, s3, v8
	s_nop 1
	v_cndmask_b32_e32 v3, v8, v3, vcc
; %bb.16:
	s_or_b64 exec, exec, s[12:13]
.LBB522_17:
	s_or_b64 exec, exec, s[10:11]
	v_cmp_o_f16_e32 vcc, v4, v4
	v_mov_b32_e32 v8, s9
	;; [unrolled: 39-line block ×3, first 2 shown]
	s_and_saveexec_b64 s[10:11], vcc
	s_cbranch_execz .LBB522_29
; %bb.26:
	s_movk_i32 s3, 0x7c00
	v_cmp_neq_f16_e32 vcc, s3, v5
	v_mov_b32_e32 v9, s8
	s_and_saveexec_b64 s[12:13], vcc
; %bb.27:
	s_mov_b32 s3, 0xfc00
	v_mov_b32_e32 v9, s15
	v_cmp_eq_f16_e32 vcc, s3, v5
	s_nop 1
	v_cndmask_b32_e32 v9, v5, v9, vcc
; %bb.28:
	s_or_b64 exec, exec, s[12:13]
.LBB522_29:
	s_or_b64 exec, exec, s[10:11]
	v_lshrrev_b32_e32 v10, 16, v5
	v_cmp_o_f16_e32 vcc, v10, v10
	v_mov_b32_e32 v5, s9
	s_and_saveexec_b64 s[10:11], vcc
	s_cbranch_execz .LBB522_33
; %bb.30:
	s_movk_i32 s3, 0x7c00
	v_cmp_neq_f16_e32 vcc, s3, v10
	v_mov_b32_e32 v5, s8
	s_and_saveexec_b64 s[12:13], vcc
; %bb.31:
	s_mov_b32 s3, 0xfc00
	v_mov_b32_e32 v5, s15
	v_cmp_eq_f16_e32 vcc, s3, v10
	s_nop 1
	v_cndmask_b32_e32 v5, v10, v5, vcc
; %bb.32:
	s_or_b64 exec, exec, s[12:13]
.LBB522_33:
	s_or_b64 exec, exec, s[10:11]
	s_add_u32 s0, s4, s0
	s_mov_b32 s3, 0x5040100
	s_addc_u32 s1, s5, s1
	v_perm_b32 v5, v5, v9, s3
	v_perm_b32 v4, v4, v8, s3
	;; [unrolled: 1-line block ×4, first 2 shown]
	global_store_dwordx4 v1, v[2:5], s[0:1]
	s_mov_b64 s[0:1], 0
.LBB522_34:
	s_and_b64 vcc, exec, s[0:1]
	s_cbranch_vccz .LBB522_107
; %bb.35:
	v_cmp_gt_i32_e32 vcc, s14, v0
	v_mov_b32_e32 v8, 0
	v_or_b32_e32 v2, s2, v0
	v_mov_b32_e32 v6, 0
	v_mov_b32_e32 v4, v0
	s_and_saveexec_b64 s[0:1], vcc
	s_cbranch_execz .LBB522_37
; %bb.36:
	v_mov_b32_e32 v3, 0
	v_lshl_add_u64 v[4:5], v[2:3], 1, s[6:7]
	global_load_ushort v6, v[4:5], off
	v_or_b32_e32 v4, 0x100, v0
.LBB522_37:
	s_or_b64 exec, exec, s[0:1]
	v_cmp_gt_i32_e64 s[0:1], s14, v4
	s_and_saveexec_b64 s[10:11], s[0:1]
	s_cbranch_execz .LBB522_39
; %bb.38:
	v_add_u32_e32 v8, s2, v4
	v_mov_b32_e32 v9, 0
	v_lshl_add_u64 v[8:9], v[8:9], 1, s[6:7]
	global_load_ushort v8, v[8:9], off
	v_add_u32_e32 v4, 0x100, v4
.LBB522_39:
	s_or_b64 exec, exec, s[10:11]
	v_cmp_gt_i32_e64 s[0:1], s14, v4
	v_mov_b32_e32 v9, 0
	v_mov_b32_e32 v11, 0
	s_and_saveexec_b64 s[10:11], s[0:1]
	s_cbranch_execz .LBB522_41
; %bb.40:
	v_add_u32_e32 v10, s2, v4
	v_mov_b32_e32 v11, 0
	v_lshl_add_u64 v[10:11], v[10:11], 1, s[6:7]
	global_load_ushort v11, v[10:11], off
	v_add_u32_e32 v4, 0x100, v4
.LBB522_41:
	s_or_b64 exec, exec, s[10:11]
	v_cmp_gt_i32_e64 s[0:1], s14, v4
	s_and_saveexec_b64 s[10:11], s[0:1]
	s_cbranch_execz .LBB522_43
; %bb.42:
	v_add_u32_e32 v12, s2, v4
	v_mov_b32_e32 v13, 0
	v_lshl_add_u64 v[12:13], v[12:13], 1, s[6:7]
	global_load_ushort v9, v[12:13], off
	v_add_u32_e32 v4, 0x100, v4
.LBB522_43:
	s_or_b64 exec, exec, s[10:11]
	v_cmp_gt_i32_e64 s[0:1], s14, v4
	v_mov_b32_e32 v3, 0
	v_mov_b32_e32 v10, 0
	s_and_saveexec_b64 s[10:11], s[0:1]
	s_cbranch_execz .LBB522_45
; %bb.44:
	v_add_u32_e32 v12, s2, v4
	v_mov_b32_e32 v13, 0
	v_lshl_add_u64 v[12:13], v[12:13], 1, s[6:7]
	global_load_ushort v10, v[12:13], off
	v_add_u32_e32 v4, 0x100, v4
.LBB522_45:
	s_or_b64 exec, exec, s[10:11]
	v_cmp_gt_i32_e64 s[0:1], s14, v4
	s_and_saveexec_b64 s[10:11], s[0:1]
	s_cbranch_execz .LBB522_47
; %bb.46:
	v_add_u32_e32 v12, s2, v4
	v_mov_b32_e32 v13, 0
	v_lshl_add_u64 v[12:13], v[12:13], 1, s[6:7]
	global_load_ushort v3, v[12:13], off
	v_add_u32_e32 v4, 0x100, v4
.LBB522_47:
	s_or_b64 exec, exec, s[10:11]
	v_cmp_gt_i32_e64 s[0:1], s14, v4
	v_mov_b32_e32 v1, 0
	v_mov_b32_e32 v5, 0
	s_and_saveexec_b64 s[10:11], s[0:1]
	s_cbranch_execz .LBB522_49
; %bb.48:
	v_add_u32_e32 v12, s2, v4
	v_mov_b32_e32 v13, 0
	v_lshl_add_u64 v[12:13], v[12:13], 1, s[6:7]
	global_load_ushort v5, v[12:13], off
	v_add_u32_e32 v4, 0x100, v4
	s_or_b64 exec, exec, s[10:11]
	v_cmp_gt_i32_e64 s[0:1], s14, v4
	s_and_saveexec_b64 s[10:11], s[0:1]
	s_cbranch_execz .LBB522_51
	s_branch .LBB522_50
.LBB522_49:
	s_or_b64 exec, exec, s[10:11]
	v_cmp_gt_i32_e64 s[0:1], s14, v4
	s_and_saveexec_b64 s[10:11], s[0:1]
	s_cbranch_execz .LBB522_51
.LBB522_50:
	v_add_u32_e32 v12, s2, v4
	v_mov_b32_e32 v13, 0
	v_lshl_add_u64 v[12:13], v[12:13], 1, s[6:7]
	global_load_ushort v1, v[12:13], off
.LBB522_51:
	s_or_b64 exec, exec, s[10:11]
	s_lshr_b32 s3, s9, 16
                                        ; implicit-def: $vgpr4
	s_and_saveexec_b64 s[6:7], vcc
	s_cbranch_execz .LBB522_57
; %bb.52:
	s_waitcnt vmcnt(0)
	v_cmp_o_f16_e64 s[0:1], v6, v6
	v_mov_b32_e32 v4, s9
	s_and_saveexec_b64 s[10:11], s[0:1]
	s_cbranch_execz .LBB522_56
; %bb.53:
	s_movk_i32 s0, 0x7c00
	v_cmp_neq_f16_e64 s[0:1], s0, v6
	v_mov_b32_e32 v4, s3
	s_and_saveexec_b64 s[12:13], s[0:1]
; %bb.54:
	s_mov_b32 s0, 0xfc00
	v_mov_b32_e32 v4, s15
	v_cmp_eq_f16_e64 s[0:1], s0, v6
	s_nop 1
	v_cndmask_b32_e64 v4, v6, v4, s[0:1]
; %bb.55:
	s_or_b64 exec, exec, s[12:13]
.LBB522_56:
	s_or_b64 exec, exec, s[10:11]
.LBB522_57:
	s_or_b64 exec, exec, s[6:7]
	v_or_b32_e32 v7, 0x100, v0
	v_cmp_gt_i32_e64 s[0:1], s14, v7
                                        ; implicit-def: $vgpr6
	s_and_saveexec_b64 s[6:7], s[0:1]
	s_cbranch_execz .LBB522_63
; %bb.58:
	s_waitcnt vmcnt(0)
	v_cmp_o_f16_e64 s[0:1], v8, v8
	v_mov_b32_e32 v6, s9
	s_and_saveexec_b64 s[10:11], s[0:1]
	s_cbranch_execz .LBB522_62
; %bb.59:
	s_movk_i32 s0, 0x7c00
	v_cmp_neq_f16_e64 s[0:1], s0, v8
	v_mov_b32_e32 v6, s3
	s_and_saveexec_b64 s[12:13], s[0:1]
; %bb.60:
	s_mov_b32 s0, 0xfc00
	v_mov_b32_e32 v6, s15
	v_cmp_eq_f16_e64 s[0:1], s0, v8
	s_nop 1
	v_cndmask_b32_e64 v6, v8, v6, s[0:1]
; %bb.61:
	s_or_b64 exec, exec, s[12:13]
.LBB522_62:
	s_or_b64 exec, exec, s[10:11]
.LBB522_63:
	s_or_b64 exec, exec, s[6:7]
	s_waitcnt vmcnt(0)
	v_or_b32_e32 v8, 0x200, v0
	v_cmp_gt_i32_e64 s[0:1], s14, v8
                                        ; implicit-def: $vgpr8
	s_and_saveexec_b64 s[6:7], s[0:1]
	s_cbranch_execz .LBB522_69
; %bb.64:
	v_cmp_o_f16_e64 s[0:1], v11, v11
	v_mov_b32_e32 v8, s9
	s_and_saveexec_b64 s[10:11], s[0:1]
	s_cbranch_execz .LBB522_68
; %bb.65:
	s_movk_i32 s0, 0x7c00
	v_cmp_neq_f16_e64 s[0:1], s0, v11
	v_mov_b32_e32 v8, s3
	s_and_saveexec_b64 s[12:13], s[0:1]
; %bb.66:
	s_mov_b32 s0, 0xfc00
	v_mov_b32_e32 v8, s15
	v_cmp_eq_f16_e64 s[0:1], s0, v11
	s_nop 1
	v_cndmask_b32_e64 v8, v11, v8, s[0:1]
; %bb.67:
	s_or_b64 exec, exec, s[12:13]
.LBB522_68:
	s_or_b64 exec, exec, s[10:11]
.LBB522_69:
	s_or_b64 exec, exec, s[6:7]
	v_or_b32_e32 v11, 0x300, v0
	v_cmp_gt_i32_e64 s[0:1], s14, v11
                                        ; implicit-def: $vgpr11
	s_and_saveexec_b64 s[6:7], s[0:1]
	s_cbranch_execz .LBB522_75
; %bb.70:
	v_cmp_o_f16_e64 s[0:1], v9, v9
	v_mov_b32_e32 v11, s9
	s_and_saveexec_b64 s[10:11], s[0:1]
	s_cbranch_execz .LBB522_74
; %bb.71:
	s_movk_i32 s0, 0x7c00
	v_cmp_neq_f16_e64 s[0:1], s0, v9
	v_mov_b32_e32 v11, s3
	s_and_saveexec_b64 s[12:13], s[0:1]
; %bb.72:
	s_mov_b32 s0, 0xfc00
	v_mov_b32_e32 v11, s15
	v_cmp_eq_f16_e64 s[0:1], s0, v9
	s_nop 1
	v_cndmask_b32_e64 v11, v9, v11, s[0:1]
; %bb.73:
	s_or_b64 exec, exec, s[12:13]
.LBB522_74:
	s_or_b64 exec, exec, s[10:11]
.LBB522_75:
	s_or_b64 exec, exec, s[6:7]
	v_or_b32_e32 v9, 0x400, v0
	v_cmp_gt_i32_e64 s[0:1], s14, v9
                                        ; implicit-def: $vgpr9
	s_and_saveexec_b64 s[6:7], s[0:1]
	s_cbranch_execz .LBB522_81
; %bb.76:
	v_cmp_o_f16_e64 s[0:1], v10, v10
	v_mov_b32_e32 v9, s9
	s_and_saveexec_b64 s[10:11], s[0:1]
	s_cbranch_execz .LBB522_80
; %bb.77:
	s_movk_i32 s0, 0x7c00
	v_cmp_neq_f16_e64 s[0:1], s0, v10
	v_mov_b32_e32 v9, s3
	s_and_saveexec_b64 s[12:13], s[0:1]
; %bb.78:
	s_mov_b32 s0, 0xfc00
	v_mov_b32_e32 v9, s15
	v_cmp_eq_f16_e64 s[0:1], s0, v10
	s_nop 1
	v_cndmask_b32_e64 v9, v10, v9, s[0:1]
; %bb.79:
	s_or_b64 exec, exec, s[12:13]
.LBB522_80:
	s_or_b64 exec, exec, s[10:11]
.LBB522_81:
	s_or_b64 exec, exec, s[6:7]
	v_or_b32_e32 v10, 0x500, v0
	v_cmp_gt_i32_e64 s[0:1], s14, v10
                                        ; implicit-def: $vgpr10
	s_and_saveexec_b64 s[6:7], s[0:1]
	s_cbranch_execz .LBB522_87
; %bb.82:
	v_cmp_o_f16_e64 s[0:1], v3, v3
	v_mov_b32_e32 v10, s9
	s_and_saveexec_b64 s[10:11], s[0:1]
	s_cbranch_execz .LBB522_86
; %bb.83:
	s_movk_i32 s0, 0x7c00
	v_cmp_neq_f16_e64 s[0:1], s0, v3
	v_mov_b32_e32 v10, s3
	s_and_saveexec_b64 s[12:13], s[0:1]
; %bb.84:
	s_mov_b32 s0, 0xfc00
	v_mov_b32_e32 v10, s15
	v_cmp_eq_f16_e64 s[0:1], s0, v3
	s_nop 1
	v_cndmask_b32_e64 v10, v3, v10, s[0:1]
; %bb.85:
	s_or_b64 exec, exec, s[12:13]
.LBB522_86:
	s_or_b64 exec, exec, s[10:11]
.LBB522_87:
	s_or_b64 exec, exec, s[6:7]
	v_or_b32_e32 v3, 0x600, v0
	v_cmp_gt_i32_e64 s[0:1], s14, v3
                                        ; implicit-def: $vgpr12
	s_and_saveexec_b64 s[6:7], s[0:1]
	s_cbranch_execz .LBB522_93
; %bb.88:
	v_cmp_o_f16_e64 s[0:1], v5, v5
	v_mov_b32_e32 v12, s9
	s_and_saveexec_b64 s[10:11], s[0:1]
	s_cbranch_execz .LBB522_92
; %bb.89:
	s_movk_i32 s0, 0x7c00
	v_cmp_neq_f16_e64 s[0:1], s0, v5
	v_mov_b32_e32 v12, s3
	s_and_saveexec_b64 s[12:13], s[0:1]
; %bb.90:
	s_mov_b32 s0, 0xfc00
	v_mov_b32_e32 v3, s15
	v_cmp_eq_f16_e64 s[0:1], s0, v5
	s_nop 1
	v_cndmask_b32_e64 v12, v5, v3, s[0:1]
; %bb.91:
	s_or_b64 exec, exec, s[12:13]
.LBB522_92:
	s_or_b64 exec, exec, s[10:11]
.LBB522_93:
	s_or_b64 exec, exec, s[6:7]
	v_or_b32_e32 v3, 0x700, v0
	v_cmp_gt_i32_e64 s[0:1], s14, v3
                                        ; implicit-def: $vgpr5
	s_and_saveexec_b64 s[6:7], s[0:1]
	s_cbranch_execz .LBB522_108
; %bb.94:
	v_cmp_o_f16_e64 s[0:1], v1, v1
	v_mov_b32_e32 v5, s9
	s_and_saveexec_b64 s[8:9], s[0:1]
	s_cbranch_execz .LBB522_98
; %bb.95:
	s_movk_i32 s0, 0x7c00
	v_cmp_neq_f16_e64 s[0:1], s0, v1
	v_mov_b32_e32 v5, s3
	s_and_saveexec_b64 s[10:11], s[0:1]
; %bb.96:
	s_mov_b32 s0, 0xfc00
	v_mov_b32_e32 v3, s15
	v_cmp_eq_f16_e64 s[0:1], s0, v1
	s_nop 1
	v_cndmask_b32_e64 v5, v1, v3, s[0:1]
; %bb.97:
	s_or_b64 exec, exec, s[10:11]
.LBB522_98:
	s_or_b64 exec, exec, s[8:9]
	s_or_b64 exec, exec, s[6:7]
	s_and_saveexec_b64 s[0:1], vcc
	s_xor_b64 s[0:1], exec, s[0:1]
	s_cbranch_execnz .LBB522_109
.LBB522_99:
	s_or_b64 exec, exec, s[0:1]
	v_cmp_gt_i32_e32 vcc, s14, v0
	s_and_saveexec_b64 s[0:1], vcc
	s_cbranch_execz .LBB522_110
.LBB522_100:
	v_add_u32_e32 v2, s2, v0
	v_mov_b32_e32 v3, 0
	v_lshl_add_u64 v[2:3], v[2:3], 1, s[4:5]
	v_add_u32_e32 v0, 0x100, v0
	global_store_short v[2:3], v6, off
	s_or_b64 exec, exec, s[0:1]
	v_cmp_gt_i32_e32 vcc, s14, v0
	s_and_saveexec_b64 s[0:1], vcc
	s_cbranch_execnz .LBB522_111
.LBB522_101:
	s_or_b64 exec, exec, s[0:1]
	v_cmp_gt_i32_e32 vcc, s14, v0
	s_and_saveexec_b64 s[0:1], vcc
	s_cbranch_execz .LBB522_112
.LBB522_102:
	v_add_u32_e32 v2, s2, v0
	v_mov_b32_e32 v3, 0
	v_lshl_add_u64 v[2:3], v[2:3], 1, s[4:5]
	v_add_u32_e32 v0, 0x100, v0
	global_store_short v[2:3], v11, off
	s_or_b64 exec, exec, s[0:1]
	v_cmp_gt_i32_e32 vcc, s14, v0
	s_and_saveexec_b64 s[0:1], vcc
	s_cbranch_execnz .LBB522_113
.LBB522_103:
	s_or_b64 exec, exec, s[0:1]
	v_cmp_gt_i32_e32 vcc, s14, v0
	s_and_saveexec_b64 s[0:1], vcc
	s_cbranch_execz .LBB522_114
.LBB522_104:
	v_add_u32_e32 v2, s2, v0
	v_mov_b32_e32 v3, 0
	v_lshl_add_u64 v[2:3], v[2:3], 1, s[4:5]
	v_add_u32_e32 v0, 0x100, v0
	global_store_short v[2:3], v10, off
	s_or_b64 exec, exec, s[0:1]
	v_cmp_gt_i32_e32 vcc, s14, v0
	s_and_saveexec_b64 s[0:1], vcc
	s_cbranch_execnz .LBB522_115
.LBB522_105:
	s_or_b64 exec, exec, s[0:1]
	v_cmp_gt_i32_e32 vcc, s14, v0
	s_and_saveexec_b64 s[0:1], vcc
	s_cbranch_execz .LBB522_107
.LBB522_106:
	v_add_u32_e32 v0, s2, v0
	v_mov_b32_e32 v1, 0
	v_lshl_add_u64 v[0:1], v[0:1], 1, s[4:5]
	global_store_short v[0:1], v5, off
.LBB522_107:
	s_endpgm
.LBB522_108:
	s_or_b64 exec, exec, s[6:7]
	s_and_saveexec_b64 s[0:1], vcc
	s_xor_b64 s[0:1], exec, s[0:1]
	s_cbranch_execz .LBB522_99
.LBB522_109:
	v_mov_b32_e32 v3, 0
	v_lshl_add_u64 v[0:1], v[2:3], 1, s[4:5]
	global_store_short v[0:1], v4, off
	v_mov_b32_e32 v0, v7
	s_or_b64 exec, exec, s[0:1]
	v_cmp_gt_i32_e32 vcc, s14, v0
	s_and_saveexec_b64 s[0:1], vcc
	s_cbranch_execnz .LBB522_100
.LBB522_110:
	s_or_b64 exec, exec, s[0:1]
	v_cmp_gt_i32_e32 vcc, s14, v0
	s_and_saveexec_b64 s[0:1], vcc
	s_cbranch_execz .LBB522_101
.LBB522_111:
	v_add_u32_e32 v2, s2, v0
	v_mov_b32_e32 v3, 0
	v_lshl_add_u64 v[2:3], v[2:3], 1, s[4:5]
	v_add_u32_e32 v0, 0x100, v0
	global_store_short v[2:3], v8, off
	s_or_b64 exec, exec, s[0:1]
	v_cmp_gt_i32_e32 vcc, s14, v0
	s_and_saveexec_b64 s[0:1], vcc
	s_cbranch_execnz .LBB522_102
.LBB522_112:
	s_or_b64 exec, exec, s[0:1]
	v_cmp_gt_i32_e32 vcc, s14, v0
	s_and_saveexec_b64 s[0:1], vcc
	s_cbranch_execz .LBB522_103
.LBB522_113:
	v_add_u32_e32 v2, s2, v0
	v_mov_b32_e32 v3, 0
	v_lshl_add_u64 v[2:3], v[2:3], 1, s[4:5]
	v_add_u32_e32 v0, 0x100, v0
	global_store_short v[2:3], v9, off
	s_or_b64 exec, exec, s[0:1]
	v_cmp_gt_i32_e32 vcc, s14, v0
	s_and_saveexec_b64 s[0:1], vcc
	s_cbranch_execnz .LBB522_104
.LBB522_114:
	s_or_b64 exec, exec, s[0:1]
	v_cmp_gt_i32_e32 vcc, s14, v0
	s_and_saveexec_b64 s[0:1], vcc
	s_cbranch_execz .LBB522_105
.LBB522_115:
	v_add_u32_e32 v2, s2, v0
	v_mov_b32_e32 v3, 0
	v_lshl_add_u64 v[2:3], v[2:3], 1, s[4:5]
	v_add_u32_e32 v0, 0x100, v0
	global_store_short v[2:3], v12, off
	s_or_b64 exec, exec, s[0:1]
	v_cmp_gt_i32_e32 vcc, s14, v0
	s_and_saveexec_b64 s[0:1], vcc
	s_cbranch_execnz .LBB522_106
	s_branch .LBB522_107
	.section	.rodata,"a",@progbits
	.p2align	6, 0x0
	.amdhsa_kernel _ZN2at6native29vectorized_elementwise_kernelILi16EZZZNS0_22nan_to_num_kernel_cudaERNS_18TensorIteratorBaseESt8optionalIdES5_S5_ENKUlvE0_clEvENKUlvE1_clEvEUlN3c104HalfEE_St5arrayIPcLm2EEEEviT0_T1_
		.amdhsa_group_segment_fixed_size 0
		.amdhsa_private_segment_fixed_size 0
		.amdhsa_kernarg_size 32
		.amdhsa_user_sgpr_count 2
		.amdhsa_user_sgpr_dispatch_ptr 0
		.amdhsa_user_sgpr_queue_ptr 0
		.amdhsa_user_sgpr_kernarg_segment_ptr 1
		.amdhsa_user_sgpr_dispatch_id 0
		.amdhsa_user_sgpr_kernarg_preload_length 0
		.amdhsa_user_sgpr_kernarg_preload_offset 0
		.amdhsa_user_sgpr_private_segment_size 0
		.amdhsa_uses_dynamic_stack 0
		.amdhsa_enable_private_segment 0
		.amdhsa_system_sgpr_workgroup_id_x 1
		.amdhsa_system_sgpr_workgroup_id_y 0
		.amdhsa_system_sgpr_workgroup_id_z 0
		.amdhsa_system_sgpr_workgroup_info 0
		.amdhsa_system_vgpr_workitem_id 0
		.amdhsa_next_free_vgpr 14
		.amdhsa_next_free_sgpr 16
		.amdhsa_accum_offset 16
		.amdhsa_reserve_vcc 1
		.amdhsa_float_round_mode_32 0
		.amdhsa_float_round_mode_16_64 0
		.amdhsa_float_denorm_mode_32 3
		.amdhsa_float_denorm_mode_16_64 3
		.amdhsa_dx10_clamp 1
		.amdhsa_ieee_mode 1
		.amdhsa_fp16_overflow 0
		.amdhsa_tg_split 0
		.amdhsa_exception_fp_ieee_invalid_op 0
		.amdhsa_exception_fp_denorm_src 0
		.amdhsa_exception_fp_ieee_div_zero 0
		.amdhsa_exception_fp_ieee_overflow 0
		.amdhsa_exception_fp_ieee_underflow 0
		.amdhsa_exception_fp_ieee_inexact 0
		.amdhsa_exception_int_div_zero 0
	.end_amdhsa_kernel
	.section	.text._ZN2at6native29vectorized_elementwise_kernelILi16EZZZNS0_22nan_to_num_kernel_cudaERNS_18TensorIteratorBaseESt8optionalIdES5_S5_ENKUlvE0_clEvENKUlvE1_clEvEUlN3c104HalfEE_St5arrayIPcLm2EEEEviT0_T1_,"axG",@progbits,_ZN2at6native29vectorized_elementwise_kernelILi16EZZZNS0_22nan_to_num_kernel_cudaERNS_18TensorIteratorBaseESt8optionalIdES5_S5_ENKUlvE0_clEvENKUlvE1_clEvEUlN3c104HalfEE_St5arrayIPcLm2EEEEviT0_T1_,comdat
.Lfunc_end522:
	.size	_ZN2at6native29vectorized_elementwise_kernelILi16EZZZNS0_22nan_to_num_kernel_cudaERNS_18TensorIteratorBaseESt8optionalIdES5_S5_ENKUlvE0_clEvENKUlvE1_clEvEUlN3c104HalfEE_St5arrayIPcLm2EEEEviT0_T1_, .Lfunc_end522-_ZN2at6native29vectorized_elementwise_kernelILi16EZZZNS0_22nan_to_num_kernel_cudaERNS_18TensorIteratorBaseESt8optionalIdES5_S5_ENKUlvE0_clEvENKUlvE1_clEvEUlN3c104HalfEE_St5arrayIPcLm2EEEEviT0_T1_
                                        ; -- End function
	.set _ZN2at6native29vectorized_elementwise_kernelILi16EZZZNS0_22nan_to_num_kernel_cudaERNS_18TensorIteratorBaseESt8optionalIdES5_S5_ENKUlvE0_clEvENKUlvE1_clEvEUlN3c104HalfEE_St5arrayIPcLm2EEEEviT0_T1_.num_vgpr, 14
	.set _ZN2at6native29vectorized_elementwise_kernelILi16EZZZNS0_22nan_to_num_kernel_cudaERNS_18TensorIteratorBaseESt8optionalIdES5_S5_ENKUlvE0_clEvENKUlvE1_clEvEUlN3c104HalfEE_St5arrayIPcLm2EEEEviT0_T1_.num_agpr, 0
	.set _ZN2at6native29vectorized_elementwise_kernelILi16EZZZNS0_22nan_to_num_kernel_cudaERNS_18TensorIteratorBaseESt8optionalIdES5_S5_ENKUlvE0_clEvENKUlvE1_clEvEUlN3c104HalfEE_St5arrayIPcLm2EEEEviT0_T1_.numbered_sgpr, 16
	.set _ZN2at6native29vectorized_elementwise_kernelILi16EZZZNS0_22nan_to_num_kernel_cudaERNS_18TensorIteratorBaseESt8optionalIdES5_S5_ENKUlvE0_clEvENKUlvE1_clEvEUlN3c104HalfEE_St5arrayIPcLm2EEEEviT0_T1_.num_named_barrier, 0
	.set _ZN2at6native29vectorized_elementwise_kernelILi16EZZZNS0_22nan_to_num_kernel_cudaERNS_18TensorIteratorBaseESt8optionalIdES5_S5_ENKUlvE0_clEvENKUlvE1_clEvEUlN3c104HalfEE_St5arrayIPcLm2EEEEviT0_T1_.private_seg_size, 0
	.set _ZN2at6native29vectorized_elementwise_kernelILi16EZZZNS0_22nan_to_num_kernel_cudaERNS_18TensorIteratorBaseESt8optionalIdES5_S5_ENKUlvE0_clEvENKUlvE1_clEvEUlN3c104HalfEE_St5arrayIPcLm2EEEEviT0_T1_.uses_vcc, 1
	.set _ZN2at6native29vectorized_elementwise_kernelILi16EZZZNS0_22nan_to_num_kernel_cudaERNS_18TensorIteratorBaseESt8optionalIdES5_S5_ENKUlvE0_clEvENKUlvE1_clEvEUlN3c104HalfEE_St5arrayIPcLm2EEEEviT0_T1_.uses_flat_scratch, 0
	.set _ZN2at6native29vectorized_elementwise_kernelILi16EZZZNS0_22nan_to_num_kernel_cudaERNS_18TensorIteratorBaseESt8optionalIdES5_S5_ENKUlvE0_clEvENKUlvE1_clEvEUlN3c104HalfEE_St5arrayIPcLm2EEEEviT0_T1_.has_dyn_sized_stack, 0
	.set _ZN2at6native29vectorized_elementwise_kernelILi16EZZZNS0_22nan_to_num_kernel_cudaERNS_18TensorIteratorBaseESt8optionalIdES5_S5_ENKUlvE0_clEvENKUlvE1_clEvEUlN3c104HalfEE_St5arrayIPcLm2EEEEviT0_T1_.has_recursion, 0
	.set _ZN2at6native29vectorized_elementwise_kernelILi16EZZZNS0_22nan_to_num_kernel_cudaERNS_18TensorIteratorBaseESt8optionalIdES5_S5_ENKUlvE0_clEvENKUlvE1_clEvEUlN3c104HalfEE_St5arrayIPcLm2EEEEviT0_T1_.has_indirect_call, 0
	.section	.AMDGPU.csdata,"",@progbits
; Kernel info:
; codeLenInByte = 2508
; TotalNumSgprs: 22
; NumVgprs: 14
; NumAgprs: 0
; TotalNumVgprs: 14
; ScratchSize: 0
; MemoryBound: 0
; FloatMode: 240
; IeeeMode: 1
; LDSByteSize: 0 bytes/workgroup (compile time only)
; SGPRBlocks: 2
; VGPRBlocks: 1
; NumSGPRsForWavesPerEU: 22
; NumVGPRsForWavesPerEU: 14
; AccumOffset: 16
; Occupancy: 8
; WaveLimiterHint : 0
; COMPUTE_PGM_RSRC2:SCRATCH_EN: 0
; COMPUTE_PGM_RSRC2:USER_SGPR: 2
; COMPUTE_PGM_RSRC2:TRAP_HANDLER: 0
; COMPUTE_PGM_RSRC2:TGID_X_EN: 1
; COMPUTE_PGM_RSRC2:TGID_Y_EN: 0
; COMPUTE_PGM_RSRC2:TGID_Z_EN: 0
; COMPUTE_PGM_RSRC2:TIDIG_COMP_CNT: 0
; COMPUTE_PGM_RSRC3_GFX90A:ACCUM_OFFSET: 3
; COMPUTE_PGM_RSRC3_GFX90A:TG_SPLIT: 0
	.section	.text._ZN2at6native29vectorized_elementwise_kernelILi8EZZZNS0_22nan_to_num_kernel_cudaERNS_18TensorIteratorBaseESt8optionalIdES5_S5_ENKUlvE0_clEvENKUlvE1_clEvEUlN3c104HalfEE_St5arrayIPcLm2EEEEviT0_T1_,"axG",@progbits,_ZN2at6native29vectorized_elementwise_kernelILi8EZZZNS0_22nan_to_num_kernel_cudaERNS_18TensorIteratorBaseESt8optionalIdES5_S5_ENKUlvE0_clEvENKUlvE1_clEvEUlN3c104HalfEE_St5arrayIPcLm2EEEEviT0_T1_,comdat
	.globl	_ZN2at6native29vectorized_elementwise_kernelILi8EZZZNS0_22nan_to_num_kernel_cudaERNS_18TensorIteratorBaseESt8optionalIdES5_S5_ENKUlvE0_clEvENKUlvE1_clEvEUlN3c104HalfEE_St5arrayIPcLm2EEEEviT0_T1_ ; -- Begin function _ZN2at6native29vectorized_elementwise_kernelILi8EZZZNS0_22nan_to_num_kernel_cudaERNS_18TensorIteratorBaseESt8optionalIdES5_S5_ENKUlvE0_clEvENKUlvE1_clEvEUlN3c104HalfEE_St5arrayIPcLm2EEEEviT0_T1_
	.p2align	8
	.type	_ZN2at6native29vectorized_elementwise_kernelILi8EZZZNS0_22nan_to_num_kernel_cudaERNS_18TensorIteratorBaseESt8optionalIdES5_S5_ENKUlvE0_clEvENKUlvE1_clEvEUlN3c104HalfEE_St5arrayIPcLm2EEEEviT0_T1_,@function
_ZN2at6native29vectorized_elementwise_kernelILi8EZZZNS0_22nan_to_num_kernel_cudaERNS_18TensorIteratorBaseESt8optionalIdES5_S5_ENKUlvE0_clEvENKUlvE1_clEvEUlN3c104HalfEE_St5arrayIPcLm2EEEEviT0_T1_: ; @_ZN2at6native29vectorized_elementwise_kernelILi8EZZZNS0_22nan_to_num_kernel_cudaERNS_18TensorIteratorBaseESt8optionalIdES5_S5_ENKUlvE0_clEvENKUlvE1_clEvEUlN3c104HalfEE_St5arrayIPcLm2EEEEviT0_T1_
; %bb.0:
	s_load_dwordx2 s[8:9], s[0:1], 0x0
	s_load_dword s15, s[0:1], 0x8
	s_load_dwordx4 s[4:7], s[0:1], 0x10
	s_lshl_b32 s2, s2, 11
	s_mov_b64 s[0:1], -1
	s_waitcnt lgkmcnt(0)
	s_sub_i32 s14, s8, s2
	s_cmpk_gt_i32 s14, 0x7ff
	s_cbranch_scc0 .LBB523_34
; %bb.1:
	s_ashr_i32 s3, s2, 31
	s_lshr_b32 s8, s9, 16
	s_lshl_b64 s[0:1], s[2:3], 1
	s_add_u32 s10, s6, s0
	s_addc_u32 s11, s7, s1
	v_lshlrev_b32_e32 v1, 4, v0
	global_load_dwordx4 v[2:5], v1, s[10:11]
	v_mov_b32_e32 v6, s9
	s_waitcnt vmcnt(0)
	v_cmp_o_f16_e32 vcc, v2, v2
	s_and_saveexec_b64 s[10:11], vcc
	s_cbranch_execz .LBB523_5
; %bb.2:
	s_movk_i32 s3, 0x7c00
	v_cmp_neq_f16_e32 vcc, s3, v2
	v_mov_b32_e32 v6, s8
	s_and_saveexec_b64 s[12:13], vcc
; %bb.3:
	s_mov_b32 s3, 0xfc00
	v_mov_b32_e32 v6, s15
	v_cmp_eq_f16_e32 vcc, s3, v2
	s_nop 1
	v_cndmask_b32_e32 v6, v2, v6, vcc
; %bb.4:
	s_or_b64 exec, exec, s[12:13]
.LBB523_5:
	s_or_b64 exec, exec, s[10:11]
	v_lshrrev_b32_e32 v7, 16, v2
	v_cmp_o_f16_e32 vcc, v7, v7
	v_mov_b32_e32 v2, s9
	s_and_saveexec_b64 s[10:11], vcc
	s_cbranch_execz .LBB523_9
; %bb.6:
	s_movk_i32 s3, 0x7c00
	v_cmp_neq_f16_e32 vcc, s3, v7
	v_mov_b32_e32 v2, s8
	s_and_saveexec_b64 s[12:13], vcc
; %bb.7:
	s_mov_b32 s3, 0xfc00
	v_mov_b32_e32 v2, s15
	v_cmp_eq_f16_e32 vcc, s3, v7
	s_nop 1
	v_cndmask_b32_e32 v2, v7, v2, vcc
; %bb.8:
	s_or_b64 exec, exec, s[12:13]
.LBB523_9:
	s_or_b64 exec, exec, s[10:11]
	v_cmp_o_f16_e32 vcc, v3, v3
	v_mov_b32_e32 v7, s9
	s_and_saveexec_b64 s[10:11], vcc
	s_cbranch_execz .LBB523_13
; %bb.10:
	s_movk_i32 s3, 0x7c00
	v_cmp_neq_f16_e32 vcc, s3, v3
	v_mov_b32_e32 v7, s8
	s_and_saveexec_b64 s[12:13], vcc
; %bb.11:
	s_mov_b32 s3, 0xfc00
	v_mov_b32_e32 v7, s15
	v_cmp_eq_f16_e32 vcc, s3, v3
	s_nop 1
	v_cndmask_b32_e32 v7, v3, v7, vcc
; %bb.12:
	s_or_b64 exec, exec, s[12:13]
.LBB523_13:
	s_or_b64 exec, exec, s[10:11]
	v_lshrrev_b32_e32 v8, 16, v3
	v_cmp_o_f16_e32 vcc, v8, v8
	v_mov_b32_e32 v3, s9
	s_and_saveexec_b64 s[10:11], vcc
	s_cbranch_execz .LBB523_17
; %bb.14:
	s_movk_i32 s3, 0x7c00
	v_cmp_neq_f16_e32 vcc, s3, v8
	v_mov_b32_e32 v3, s8
	s_and_saveexec_b64 s[12:13], vcc
; %bb.15:
	s_mov_b32 s3, 0xfc00
	v_mov_b32_e32 v3, s15
	v_cmp_eq_f16_e32 vcc, s3, v8
	s_nop 1
	v_cndmask_b32_e32 v3, v8, v3, vcc
; %bb.16:
	s_or_b64 exec, exec, s[12:13]
.LBB523_17:
	s_or_b64 exec, exec, s[10:11]
	v_cmp_o_f16_e32 vcc, v4, v4
	v_mov_b32_e32 v8, s9
	;; [unrolled: 39-line block ×3, first 2 shown]
	s_and_saveexec_b64 s[10:11], vcc
	s_cbranch_execz .LBB523_29
; %bb.26:
	s_movk_i32 s3, 0x7c00
	v_cmp_neq_f16_e32 vcc, s3, v5
	v_mov_b32_e32 v9, s8
	s_and_saveexec_b64 s[12:13], vcc
; %bb.27:
	s_mov_b32 s3, 0xfc00
	v_mov_b32_e32 v9, s15
	v_cmp_eq_f16_e32 vcc, s3, v5
	s_nop 1
	v_cndmask_b32_e32 v9, v5, v9, vcc
; %bb.28:
	s_or_b64 exec, exec, s[12:13]
.LBB523_29:
	s_or_b64 exec, exec, s[10:11]
	v_lshrrev_b32_e32 v10, 16, v5
	v_cmp_o_f16_e32 vcc, v10, v10
	v_mov_b32_e32 v5, s9
	s_and_saveexec_b64 s[10:11], vcc
	s_cbranch_execz .LBB523_33
; %bb.30:
	s_movk_i32 s3, 0x7c00
	v_cmp_neq_f16_e32 vcc, s3, v10
	v_mov_b32_e32 v5, s8
	s_and_saveexec_b64 s[12:13], vcc
; %bb.31:
	s_mov_b32 s3, 0xfc00
	v_mov_b32_e32 v5, s15
	v_cmp_eq_f16_e32 vcc, s3, v10
	s_nop 1
	v_cndmask_b32_e32 v5, v10, v5, vcc
; %bb.32:
	s_or_b64 exec, exec, s[12:13]
.LBB523_33:
	s_or_b64 exec, exec, s[10:11]
	s_add_u32 s0, s4, s0
	s_mov_b32 s3, 0x5040100
	s_addc_u32 s1, s5, s1
	v_perm_b32 v5, v5, v9, s3
	v_perm_b32 v4, v4, v8, s3
	;; [unrolled: 1-line block ×4, first 2 shown]
	global_store_dwordx4 v1, v[2:5], s[0:1]
	s_mov_b64 s[0:1], 0
.LBB523_34:
	s_and_b64 vcc, exec, s[0:1]
	s_cbranch_vccz .LBB523_107
; %bb.35:
	v_cmp_gt_i32_e32 vcc, s14, v0
	v_mov_b32_e32 v8, 0
	v_or_b32_e32 v2, s2, v0
	v_mov_b32_e32 v6, 0
	v_mov_b32_e32 v4, v0
	s_and_saveexec_b64 s[0:1], vcc
	s_cbranch_execz .LBB523_37
; %bb.36:
	v_mov_b32_e32 v3, 0
	v_lshl_add_u64 v[4:5], v[2:3], 1, s[6:7]
	global_load_ushort v6, v[4:5], off
	v_or_b32_e32 v4, 0x100, v0
.LBB523_37:
	s_or_b64 exec, exec, s[0:1]
	v_cmp_gt_i32_e64 s[0:1], s14, v4
	s_and_saveexec_b64 s[10:11], s[0:1]
	s_cbranch_execz .LBB523_39
; %bb.38:
	v_add_u32_e32 v8, s2, v4
	v_mov_b32_e32 v9, 0
	v_lshl_add_u64 v[8:9], v[8:9], 1, s[6:7]
	global_load_ushort v8, v[8:9], off
	v_add_u32_e32 v4, 0x100, v4
.LBB523_39:
	s_or_b64 exec, exec, s[10:11]
	v_cmp_gt_i32_e64 s[0:1], s14, v4
	v_mov_b32_e32 v9, 0
	v_mov_b32_e32 v11, 0
	s_and_saveexec_b64 s[10:11], s[0:1]
	s_cbranch_execz .LBB523_41
; %bb.40:
	v_add_u32_e32 v10, s2, v4
	v_mov_b32_e32 v11, 0
	v_lshl_add_u64 v[10:11], v[10:11], 1, s[6:7]
	global_load_ushort v11, v[10:11], off
	v_add_u32_e32 v4, 0x100, v4
.LBB523_41:
	s_or_b64 exec, exec, s[10:11]
	v_cmp_gt_i32_e64 s[0:1], s14, v4
	s_and_saveexec_b64 s[10:11], s[0:1]
	s_cbranch_execz .LBB523_43
; %bb.42:
	v_add_u32_e32 v12, s2, v4
	v_mov_b32_e32 v13, 0
	v_lshl_add_u64 v[12:13], v[12:13], 1, s[6:7]
	global_load_ushort v9, v[12:13], off
	v_add_u32_e32 v4, 0x100, v4
.LBB523_43:
	s_or_b64 exec, exec, s[10:11]
	v_cmp_gt_i32_e64 s[0:1], s14, v4
	v_mov_b32_e32 v3, 0
	v_mov_b32_e32 v10, 0
	s_and_saveexec_b64 s[10:11], s[0:1]
	s_cbranch_execz .LBB523_45
; %bb.44:
	v_add_u32_e32 v12, s2, v4
	v_mov_b32_e32 v13, 0
	v_lshl_add_u64 v[12:13], v[12:13], 1, s[6:7]
	global_load_ushort v10, v[12:13], off
	v_add_u32_e32 v4, 0x100, v4
.LBB523_45:
	s_or_b64 exec, exec, s[10:11]
	v_cmp_gt_i32_e64 s[0:1], s14, v4
	s_and_saveexec_b64 s[10:11], s[0:1]
	s_cbranch_execz .LBB523_47
; %bb.46:
	v_add_u32_e32 v12, s2, v4
	v_mov_b32_e32 v13, 0
	v_lshl_add_u64 v[12:13], v[12:13], 1, s[6:7]
	global_load_ushort v3, v[12:13], off
	v_add_u32_e32 v4, 0x100, v4
.LBB523_47:
	s_or_b64 exec, exec, s[10:11]
	v_cmp_gt_i32_e64 s[0:1], s14, v4
	v_mov_b32_e32 v1, 0
	v_mov_b32_e32 v5, 0
	s_and_saveexec_b64 s[10:11], s[0:1]
	s_cbranch_execz .LBB523_49
; %bb.48:
	v_add_u32_e32 v12, s2, v4
	v_mov_b32_e32 v13, 0
	v_lshl_add_u64 v[12:13], v[12:13], 1, s[6:7]
	global_load_ushort v5, v[12:13], off
	v_add_u32_e32 v4, 0x100, v4
	s_or_b64 exec, exec, s[10:11]
	v_cmp_gt_i32_e64 s[0:1], s14, v4
	s_and_saveexec_b64 s[10:11], s[0:1]
	s_cbranch_execz .LBB523_51
	s_branch .LBB523_50
.LBB523_49:
	s_or_b64 exec, exec, s[10:11]
	v_cmp_gt_i32_e64 s[0:1], s14, v4
	s_and_saveexec_b64 s[10:11], s[0:1]
	s_cbranch_execz .LBB523_51
.LBB523_50:
	v_add_u32_e32 v12, s2, v4
	v_mov_b32_e32 v13, 0
	v_lshl_add_u64 v[12:13], v[12:13], 1, s[6:7]
	global_load_ushort v1, v[12:13], off
.LBB523_51:
	s_or_b64 exec, exec, s[10:11]
	s_lshr_b32 s3, s9, 16
                                        ; implicit-def: $vgpr4
	s_and_saveexec_b64 s[6:7], vcc
	s_cbranch_execz .LBB523_57
; %bb.52:
	s_waitcnt vmcnt(0)
	v_cmp_o_f16_e64 s[0:1], v6, v6
	v_mov_b32_e32 v4, s9
	s_and_saveexec_b64 s[10:11], s[0:1]
	s_cbranch_execz .LBB523_56
; %bb.53:
	s_movk_i32 s0, 0x7c00
	v_cmp_neq_f16_e64 s[0:1], s0, v6
	v_mov_b32_e32 v4, s3
	s_and_saveexec_b64 s[12:13], s[0:1]
; %bb.54:
	s_mov_b32 s0, 0xfc00
	v_mov_b32_e32 v4, s15
	v_cmp_eq_f16_e64 s[0:1], s0, v6
	s_nop 1
	v_cndmask_b32_e64 v4, v6, v4, s[0:1]
; %bb.55:
	s_or_b64 exec, exec, s[12:13]
.LBB523_56:
	s_or_b64 exec, exec, s[10:11]
.LBB523_57:
	s_or_b64 exec, exec, s[6:7]
	v_or_b32_e32 v7, 0x100, v0
	v_cmp_gt_i32_e64 s[0:1], s14, v7
                                        ; implicit-def: $vgpr6
	s_and_saveexec_b64 s[6:7], s[0:1]
	s_cbranch_execz .LBB523_63
; %bb.58:
	s_waitcnt vmcnt(0)
	v_cmp_o_f16_e64 s[0:1], v8, v8
	v_mov_b32_e32 v6, s9
	s_and_saveexec_b64 s[10:11], s[0:1]
	s_cbranch_execz .LBB523_62
; %bb.59:
	s_movk_i32 s0, 0x7c00
	v_cmp_neq_f16_e64 s[0:1], s0, v8
	v_mov_b32_e32 v6, s3
	s_and_saveexec_b64 s[12:13], s[0:1]
; %bb.60:
	s_mov_b32 s0, 0xfc00
	v_mov_b32_e32 v6, s15
	v_cmp_eq_f16_e64 s[0:1], s0, v8
	s_nop 1
	v_cndmask_b32_e64 v6, v8, v6, s[0:1]
; %bb.61:
	s_or_b64 exec, exec, s[12:13]
.LBB523_62:
	s_or_b64 exec, exec, s[10:11]
.LBB523_63:
	s_or_b64 exec, exec, s[6:7]
	s_waitcnt vmcnt(0)
	v_or_b32_e32 v8, 0x200, v0
	v_cmp_gt_i32_e64 s[0:1], s14, v8
                                        ; implicit-def: $vgpr8
	s_and_saveexec_b64 s[6:7], s[0:1]
	s_cbranch_execz .LBB523_69
; %bb.64:
	v_cmp_o_f16_e64 s[0:1], v11, v11
	v_mov_b32_e32 v8, s9
	s_and_saveexec_b64 s[10:11], s[0:1]
	s_cbranch_execz .LBB523_68
; %bb.65:
	s_movk_i32 s0, 0x7c00
	v_cmp_neq_f16_e64 s[0:1], s0, v11
	v_mov_b32_e32 v8, s3
	s_and_saveexec_b64 s[12:13], s[0:1]
; %bb.66:
	s_mov_b32 s0, 0xfc00
	v_mov_b32_e32 v8, s15
	v_cmp_eq_f16_e64 s[0:1], s0, v11
	s_nop 1
	v_cndmask_b32_e64 v8, v11, v8, s[0:1]
; %bb.67:
	s_or_b64 exec, exec, s[12:13]
.LBB523_68:
	s_or_b64 exec, exec, s[10:11]
.LBB523_69:
	s_or_b64 exec, exec, s[6:7]
	v_or_b32_e32 v11, 0x300, v0
	v_cmp_gt_i32_e64 s[0:1], s14, v11
                                        ; implicit-def: $vgpr11
	s_and_saveexec_b64 s[6:7], s[0:1]
	s_cbranch_execz .LBB523_75
; %bb.70:
	v_cmp_o_f16_e64 s[0:1], v9, v9
	v_mov_b32_e32 v11, s9
	s_and_saveexec_b64 s[10:11], s[0:1]
	s_cbranch_execz .LBB523_74
; %bb.71:
	s_movk_i32 s0, 0x7c00
	v_cmp_neq_f16_e64 s[0:1], s0, v9
	v_mov_b32_e32 v11, s3
	s_and_saveexec_b64 s[12:13], s[0:1]
; %bb.72:
	s_mov_b32 s0, 0xfc00
	v_mov_b32_e32 v11, s15
	v_cmp_eq_f16_e64 s[0:1], s0, v9
	s_nop 1
	v_cndmask_b32_e64 v11, v9, v11, s[0:1]
; %bb.73:
	s_or_b64 exec, exec, s[12:13]
.LBB523_74:
	s_or_b64 exec, exec, s[10:11]
.LBB523_75:
	s_or_b64 exec, exec, s[6:7]
	v_or_b32_e32 v9, 0x400, v0
	v_cmp_gt_i32_e64 s[0:1], s14, v9
                                        ; implicit-def: $vgpr9
	s_and_saveexec_b64 s[6:7], s[0:1]
	s_cbranch_execz .LBB523_81
; %bb.76:
	v_cmp_o_f16_e64 s[0:1], v10, v10
	v_mov_b32_e32 v9, s9
	s_and_saveexec_b64 s[10:11], s[0:1]
	s_cbranch_execz .LBB523_80
; %bb.77:
	s_movk_i32 s0, 0x7c00
	v_cmp_neq_f16_e64 s[0:1], s0, v10
	v_mov_b32_e32 v9, s3
	s_and_saveexec_b64 s[12:13], s[0:1]
; %bb.78:
	s_mov_b32 s0, 0xfc00
	v_mov_b32_e32 v9, s15
	v_cmp_eq_f16_e64 s[0:1], s0, v10
	s_nop 1
	v_cndmask_b32_e64 v9, v10, v9, s[0:1]
; %bb.79:
	s_or_b64 exec, exec, s[12:13]
.LBB523_80:
	s_or_b64 exec, exec, s[10:11]
.LBB523_81:
	s_or_b64 exec, exec, s[6:7]
	v_or_b32_e32 v10, 0x500, v0
	v_cmp_gt_i32_e64 s[0:1], s14, v10
                                        ; implicit-def: $vgpr10
	s_and_saveexec_b64 s[6:7], s[0:1]
	s_cbranch_execz .LBB523_87
; %bb.82:
	v_cmp_o_f16_e64 s[0:1], v3, v3
	v_mov_b32_e32 v10, s9
	s_and_saveexec_b64 s[10:11], s[0:1]
	s_cbranch_execz .LBB523_86
; %bb.83:
	s_movk_i32 s0, 0x7c00
	v_cmp_neq_f16_e64 s[0:1], s0, v3
	v_mov_b32_e32 v10, s3
	s_and_saveexec_b64 s[12:13], s[0:1]
; %bb.84:
	s_mov_b32 s0, 0xfc00
	v_mov_b32_e32 v10, s15
	v_cmp_eq_f16_e64 s[0:1], s0, v3
	s_nop 1
	v_cndmask_b32_e64 v10, v3, v10, s[0:1]
; %bb.85:
	s_or_b64 exec, exec, s[12:13]
.LBB523_86:
	s_or_b64 exec, exec, s[10:11]
.LBB523_87:
	s_or_b64 exec, exec, s[6:7]
	v_or_b32_e32 v3, 0x600, v0
	v_cmp_gt_i32_e64 s[0:1], s14, v3
                                        ; implicit-def: $vgpr12
	s_and_saveexec_b64 s[6:7], s[0:1]
	s_cbranch_execz .LBB523_93
; %bb.88:
	v_cmp_o_f16_e64 s[0:1], v5, v5
	v_mov_b32_e32 v12, s9
	s_and_saveexec_b64 s[10:11], s[0:1]
	s_cbranch_execz .LBB523_92
; %bb.89:
	s_movk_i32 s0, 0x7c00
	v_cmp_neq_f16_e64 s[0:1], s0, v5
	v_mov_b32_e32 v12, s3
	s_and_saveexec_b64 s[12:13], s[0:1]
; %bb.90:
	s_mov_b32 s0, 0xfc00
	v_mov_b32_e32 v3, s15
	v_cmp_eq_f16_e64 s[0:1], s0, v5
	s_nop 1
	v_cndmask_b32_e64 v12, v5, v3, s[0:1]
; %bb.91:
	s_or_b64 exec, exec, s[12:13]
.LBB523_92:
	s_or_b64 exec, exec, s[10:11]
.LBB523_93:
	s_or_b64 exec, exec, s[6:7]
	v_or_b32_e32 v3, 0x700, v0
	v_cmp_gt_i32_e64 s[0:1], s14, v3
                                        ; implicit-def: $vgpr5
	s_and_saveexec_b64 s[6:7], s[0:1]
	s_cbranch_execz .LBB523_108
; %bb.94:
	v_cmp_o_f16_e64 s[0:1], v1, v1
	v_mov_b32_e32 v5, s9
	s_and_saveexec_b64 s[8:9], s[0:1]
	s_cbranch_execz .LBB523_98
; %bb.95:
	s_movk_i32 s0, 0x7c00
	v_cmp_neq_f16_e64 s[0:1], s0, v1
	v_mov_b32_e32 v5, s3
	s_and_saveexec_b64 s[10:11], s[0:1]
; %bb.96:
	s_mov_b32 s0, 0xfc00
	v_mov_b32_e32 v3, s15
	v_cmp_eq_f16_e64 s[0:1], s0, v1
	s_nop 1
	v_cndmask_b32_e64 v5, v1, v3, s[0:1]
; %bb.97:
	s_or_b64 exec, exec, s[10:11]
.LBB523_98:
	s_or_b64 exec, exec, s[8:9]
	s_or_b64 exec, exec, s[6:7]
	s_and_saveexec_b64 s[0:1], vcc
	s_xor_b64 s[0:1], exec, s[0:1]
	s_cbranch_execnz .LBB523_109
.LBB523_99:
	s_or_b64 exec, exec, s[0:1]
	v_cmp_gt_i32_e32 vcc, s14, v0
	s_and_saveexec_b64 s[0:1], vcc
	s_cbranch_execz .LBB523_110
.LBB523_100:
	v_add_u32_e32 v2, s2, v0
	v_mov_b32_e32 v3, 0
	v_lshl_add_u64 v[2:3], v[2:3], 1, s[4:5]
	v_add_u32_e32 v0, 0x100, v0
	global_store_short v[2:3], v6, off
	s_or_b64 exec, exec, s[0:1]
	v_cmp_gt_i32_e32 vcc, s14, v0
	s_and_saveexec_b64 s[0:1], vcc
	s_cbranch_execnz .LBB523_111
.LBB523_101:
	s_or_b64 exec, exec, s[0:1]
	v_cmp_gt_i32_e32 vcc, s14, v0
	s_and_saveexec_b64 s[0:1], vcc
	s_cbranch_execz .LBB523_112
.LBB523_102:
	v_add_u32_e32 v2, s2, v0
	v_mov_b32_e32 v3, 0
	v_lshl_add_u64 v[2:3], v[2:3], 1, s[4:5]
	v_add_u32_e32 v0, 0x100, v0
	global_store_short v[2:3], v11, off
	s_or_b64 exec, exec, s[0:1]
	v_cmp_gt_i32_e32 vcc, s14, v0
	s_and_saveexec_b64 s[0:1], vcc
	s_cbranch_execnz .LBB523_113
.LBB523_103:
	s_or_b64 exec, exec, s[0:1]
	v_cmp_gt_i32_e32 vcc, s14, v0
	s_and_saveexec_b64 s[0:1], vcc
	s_cbranch_execz .LBB523_114
.LBB523_104:
	v_add_u32_e32 v2, s2, v0
	v_mov_b32_e32 v3, 0
	v_lshl_add_u64 v[2:3], v[2:3], 1, s[4:5]
	v_add_u32_e32 v0, 0x100, v0
	global_store_short v[2:3], v10, off
	s_or_b64 exec, exec, s[0:1]
	v_cmp_gt_i32_e32 vcc, s14, v0
	s_and_saveexec_b64 s[0:1], vcc
	s_cbranch_execnz .LBB523_115
.LBB523_105:
	s_or_b64 exec, exec, s[0:1]
	v_cmp_gt_i32_e32 vcc, s14, v0
	s_and_saveexec_b64 s[0:1], vcc
	s_cbranch_execz .LBB523_107
.LBB523_106:
	v_add_u32_e32 v0, s2, v0
	v_mov_b32_e32 v1, 0
	v_lshl_add_u64 v[0:1], v[0:1], 1, s[4:5]
	global_store_short v[0:1], v5, off
.LBB523_107:
	s_endpgm
.LBB523_108:
	s_or_b64 exec, exec, s[6:7]
	s_and_saveexec_b64 s[0:1], vcc
	s_xor_b64 s[0:1], exec, s[0:1]
	s_cbranch_execz .LBB523_99
.LBB523_109:
	v_mov_b32_e32 v3, 0
	v_lshl_add_u64 v[0:1], v[2:3], 1, s[4:5]
	global_store_short v[0:1], v4, off
	v_mov_b32_e32 v0, v7
	s_or_b64 exec, exec, s[0:1]
	v_cmp_gt_i32_e32 vcc, s14, v0
	s_and_saveexec_b64 s[0:1], vcc
	s_cbranch_execnz .LBB523_100
.LBB523_110:
	s_or_b64 exec, exec, s[0:1]
	v_cmp_gt_i32_e32 vcc, s14, v0
	s_and_saveexec_b64 s[0:1], vcc
	s_cbranch_execz .LBB523_101
.LBB523_111:
	v_add_u32_e32 v2, s2, v0
	v_mov_b32_e32 v3, 0
	v_lshl_add_u64 v[2:3], v[2:3], 1, s[4:5]
	v_add_u32_e32 v0, 0x100, v0
	global_store_short v[2:3], v8, off
	s_or_b64 exec, exec, s[0:1]
	v_cmp_gt_i32_e32 vcc, s14, v0
	s_and_saveexec_b64 s[0:1], vcc
	s_cbranch_execnz .LBB523_102
.LBB523_112:
	s_or_b64 exec, exec, s[0:1]
	v_cmp_gt_i32_e32 vcc, s14, v0
	s_and_saveexec_b64 s[0:1], vcc
	s_cbranch_execz .LBB523_103
.LBB523_113:
	v_add_u32_e32 v2, s2, v0
	v_mov_b32_e32 v3, 0
	v_lshl_add_u64 v[2:3], v[2:3], 1, s[4:5]
	v_add_u32_e32 v0, 0x100, v0
	global_store_short v[2:3], v9, off
	s_or_b64 exec, exec, s[0:1]
	v_cmp_gt_i32_e32 vcc, s14, v0
	s_and_saveexec_b64 s[0:1], vcc
	s_cbranch_execnz .LBB523_104
.LBB523_114:
	s_or_b64 exec, exec, s[0:1]
	v_cmp_gt_i32_e32 vcc, s14, v0
	s_and_saveexec_b64 s[0:1], vcc
	s_cbranch_execz .LBB523_105
.LBB523_115:
	v_add_u32_e32 v2, s2, v0
	v_mov_b32_e32 v3, 0
	v_lshl_add_u64 v[2:3], v[2:3], 1, s[4:5]
	v_add_u32_e32 v0, 0x100, v0
	global_store_short v[2:3], v12, off
	s_or_b64 exec, exec, s[0:1]
	v_cmp_gt_i32_e32 vcc, s14, v0
	s_and_saveexec_b64 s[0:1], vcc
	s_cbranch_execnz .LBB523_106
	s_branch .LBB523_107
	.section	.rodata,"a",@progbits
	.p2align	6, 0x0
	.amdhsa_kernel _ZN2at6native29vectorized_elementwise_kernelILi8EZZZNS0_22nan_to_num_kernel_cudaERNS_18TensorIteratorBaseESt8optionalIdES5_S5_ENKUlvE0_clEvENKUlvE1_clEvEUlN3c104HalfEE_St5arrayIPcLm2EEEEviT0_T1_
		.amdhsa_group_segment_fixed_size 0
		.amdhsa_private_segment_fixed_size 0
		.amdhsa_kernarg_size 32
		.amdhsa_user_sgpr_count 2
		.amdhsa_user_sgpr_dispatch_ptr 0
		.amdhsa_user_sgpr_queue_ptr 0
		.amdhsa_user_sgpr_kernarg_segment_ptr 1
		.amdhsa_user_sgpr_dispatch_id 0
		.amdhsa_user_sgpr_kernarg_preload_length 0
		.amdhsa_user_sgpr_kernarg_preload_offset 0
		.amdhsa_user_sgpr_private_segment_size 0
		.amdhsa_uses_dynamic_stack 0
		.amdhsa_enable_private_segment 0
		.amdhsa_system_sgpr_workgroup_id_x 1
		.amdhsa_system_sgpr_workgroup_id_y 0
		.amdhsa_system_sgpr_workgroup_id_z 0
		.amdhsa_system_sgpr_workgroup_info 0
		.amdhsa_system_vgpr_workitem_id 0
		.amdhsa_next_free_vgpr 14
		.amdhsa_next_free_sgpr 16
		.amdhsa_accum_offset 16
		.amdhsa_reserve_vcc 1
		.amdhsa_float_round_mode_32 0
		.amdhsa_float_round_mode_16_64 0
		.amdhsa_float_denorm_mode_32 3
		.amdhsa_float_denorm_mode_16_64 3
		.amdhsa_dx10_clamp 1
		.amdhsa_ieee_mode 1
		.amdhsa_fp16_overflow 0
		.amdhsa_tg_split 0
		.amdhsa_exception_fp_ieee_invalid_op 0
		.amdhsa_exception_fp_denorm_src 0
		.amdhsa_exception_fp_ieee_div_zero 0
		.amdhsa_exception_fp_ieee_overflow 0
		.amdhsa_exception_fp_ieee_underflow 0
		.amdhsa_exception_fp_ieee_inexact 0
		.amdhsa_exception_int_div_zero 0
	.end_amdhsa_kernel
	.section	.text._ZN2at6native29vectorized_elementwise_kernelILi8EZZZNS0_22nan_to_num_kernel_cudaERNS_18TensorIteratorBaseESt8optionalIdES5_S5_ENKUlvE0_clEvENKUlvE1_clEvEUlN3c104HalfEE_St5arrayIPcLm2EEEEviT0_T1_,"axG",@progbits,_ZN2at6native29vectorized_elementwise_kernelILi8EZZZNS0_22nan_to_num_kernel_cudaERNS_18TensorIteratorBaseESt8optionalIdES5_S5_ENKUlvE0_clEvENKUlvE1_clEvEUlN3c104HalfEE_St5arrayIPcLm2EEEEviT0_T1_,comdat
.Lfunc_end523:
	.size	_ZN2at6native29vectorized_elementwise_kernelILi8EZZZNS0_22nan_to_num_kernel_cudaERNS_18TensorIteratorBaseESt8optionalIdES5_S5_ENKUlvE0_clEvENKUlvE1_clEvEUlN3c104HalfEE_St5arrayIPcLm2EEEEviT0_T1_, .Lfunc_end523-_ZN2at6native29vectorized_elementwise_kernelILi8EZZZNS0_22nan_to_num_kernel_cudaERNS_18TensorIteratorBaseESt8optionalIdES5_S5_ENKUlvE0_clEvENKUlvE1_clEvEUlN3c104HalfEE_St5arrayIPcLm2EEEEviT0_T1_
                                        ; -- End function
	.set _ZN2at6native29vectorized_elementwise_kernelILi8EZZZNS0_22nan_to_num_kernel_cudaERNS_18TensorIteratorBaseESt8optionalIdES5_S5_ENKUlvE0_clEvENKUlvE1_clEvEUlN3c104HalfEE_St5arrayIPcLm2EEEEviT0_T1_.num_vgpr, 14
	.set _ZN2at6native29vectorized_elementwise_kernelILi8EZZZNS0_22nan_to_num_kernel_cudaERNS_18TensorIteratorBaseESt8optionalIdES5_S5_ENKUlvE0_clEvENKUlvE1_clEvEUlN3c104HalfEE_St5arrayIPcLm2EEEEviT0_T1_.num_agpr, 0
	.set _ZN2at6native29vectorized_elementwise_kernelILi8EZZZNS0_22nan_to_num_kernel_cudaERNS_18TensorIteratorBaseESt8optionalIdES5_S5_ENKUlvE0_clEvENKUlvE1_clEvEUlN3c104HalfEE_St5arrayIPcLm2EEEEviT0_T1_.numbered_sgpr, 16
	.set _ZN2at6native29vectorized_elementwise_kernelILi8EZZZNS0_22nan_to_num_kernel_cudaERNS_18TensorIteratorBaseESt8optionalIdES5_S5_ENKUlvE0_clEvENKUlvE1_clEvEUlN3c104HalfEE_St5arrayIPcLm2EEEEviT0_T1_.num_named_barrier, 0
	.set _ZN2at6native29vectorized_elementwise_kernelILi8EZZZNS0_22nan_to_num_kernel_cudaERNS_18TensorIteratorBaseESt8optionalIdES5_S5_ENKUlvE0_clEvENKUlvE1_clEvEUlN3c104HalfEE_St5arrayIPcLm2EEEEviT0_T1_.private_seg_size, 0
	.set _ZN2at6native29vectorized_elementwise_kernelILi8EZZZNS0_22nan_to_num_kernel_cudaERNS_18TensorIteratorBaseESt8optionalIdES5_S5_ENKUlvE0_clEvENKUlvE1_clEvEUlN3c104HalfEE_St5arrayIPcLm2EEEEviT0_T1_.uses_vcc, 1
	.set _ZN2at6native29vectorized_elementwise_kernelILi8EZZZNS0_22nan_to_num_kernel_cudaERNS_18TensorIteratorBaseESt8optionalIdES5_S5_ENKUlvE0_clEvENKUlvE1_clEvEUlN3c104HalfEE_St5arrayIPcLm2EEEEviT0_T1_.uses_flat_scratch, 0
	.set _ZN2at6native29vectorized_elementwise_kernelILi8EZZZNS0_22nan_to_num_kernel_cudaERNS_18TensorIteratorBaseESt8optionalIdES5_S5_ENKUlvE0_clEvENKUlvE1_clEvEUlN3c104HalfEE_St5arrayIPcLm2EEEEviT0_T1_.has_dyn_sized_stack, 0
	.set _ZN2at6native29vectorized_elementwise_kernelILi8EZZZNS0_22nan_to_num_kernel_cudaERNS_18TensorIteratorBaseESt8optionalIdES5_S5_ENKUlvE0_clEvENKUlvE1_clEvEUlN3c104HalfEE_St5arrayIPcLm2EEEEviT0_T1_.has_recursion, 0
	.set _ZN2at6native29vectorized_elementwise_kernelILi8EZZZNS0_22nan_to_num_kernel_cudaERNS_18TensorIteratorBaseESt8optionalIdES5_S5_ENKUlvE0_clEvENKUlvE1_clEvEUlN3c104HalfEE_St5arrayIPcLm2EEEEviT0_T1_.has_indirect_call, 0
	.section	.AMDGPU.csdata,"",@progbits
; Kernel info:
; codeLenInByte = 2508
; TotalNumSgprs: 22
; NumVgprs: 14
; NumAgprs: 0
; TotalNumVgprs: 14
; ScratchSize: 0
; MemoryBound: 0
; FloatMode: 240
; IeeeMode: 1
; LDSByteSize: 0 bytes/workgroup (compile time only)
; SGPRBlocks: 2
; VGPRBlocks: 1
; NumSGPRsForWavesPerEU: 22
; NumVGPRsForWavesPerEU: 14
; AccumOffset: 16
; Occupancy: 8
; WaveLimiterHint : 0
; COMPUTE_PGM_RSRC2:SCRATCH_EN: 0
; COMPUTE_PGM_RSRC2:USER_SGPR: 2
; COMPUTE_PGM_RSRC2:TRAP_HANDLER: 0
; COMPUTE_PGM_RSRC2:TGID_X_EN: 1
; COMPUTE_PGM_RSRC2:TGID_Y_EN: 0
; COMPUTE_PGM_RSRC2:TGID_Z_EN: 0
; COMPUTE_PGM_RSRC2:TIDIG_COMP_CNT: 0
; COMPUTE_PGM_RSRC3_GFX90A:ACCUM_OFFSET: 3
; COMPUTE_PGM_RSRC3_GFX90A:TG_SPLIT: 0
	.section	.text._ZN2at6native29vectorized_elementwise_kernelILi4EZZZNS0_22nan_to_num_kernel_cudaERNS_18TensorIteratorBaseESt8optionalIdES5_S5_ENKUlvE0_clEvENKUlvE1_clEvEUlN3c104HalfEE_St5arrayIPcLm2EEEEviT0_T1_,"axG",@progbits,_ZN2at6native29vectorized_elementwise_kernelILi4EZZZNS0_22nan_to_num_kernel_cudaERNS_18TensorIteratorBaseESt8optionalIdES5_S5_ENKUlvE0_clEvENKUlvE1_clEvEUlN3c104HalfEE_St5arrayIPcLm2EEEEviT0_T1_,comdat
	.globl	_ZN2at6native29vectorized_elementwise_kernelILi4EZZZNS0_22nan_to_num_kernel_cudaERNS_18TensorIteratorBaseESt8optionalIdES5_S5_ENKUlvE0_clEvENKUlvE1_clEvEUlN3c104HalfEE_St5arrayIPcLm2EEEEviT0_T1_ ; -- Begin function _ZN2at6native29vectorized_elementwise_kernelILi4EZZZNS0_22nan_to_num_kernel_cudaERNS_18TensorIteratorBaseESt8optionalIdES5_S5_ENKUlvE0_clEvENKUlvE1_clEvEUlN3c104HalfEE_St5arrayIPcLm2EEEEviT0_T1_
	.p2align	8
	.type	_ZN2at6native29vectorized_elementwise_kernelILi4EZZZNS0_22nan_to_num_kernel_cudaERNS_18TensorIteratorBaseESt8optionalIdES5_S5_ENKUlvE0_clEvENKUlvE1_clEvEUlN3c104HalfEE_St5arrayIPcLm2EEEEviT0_T1_,@function
_ZN2at6native29vectorized_elementwise_kernelILi4EZZZNS0_22nan_to_num_kernel_cudaERNS_18TensorIteratorBaseESt8optionalIdES5_S5_ENKUlvE0_clEvENKUlvE1_clEvEUlN3c104HalfEE_St5arrayIPcLm2EEEEviT0_T1_: ; @_ZN2at6native29vectorized_elementwise_kernelILi4EZZZNS0_22nan_to_num_kernel_cudaERNS_18TensorIteratorBaseESt8optionalIdES5_S5_ENKUlvE0_clEvENKUlvE1_clEvEUlN3c104HalfEE_St5arrayIPcLm2EEEEviT0_T1_
; %bb.0:
	s_load_dwordx2 s[8:9], s[0:1], 0x0
	s_load_dword s15, s[0:1], 0x8
	s_load_dwordx4 s[4:7], s[0:1], 0x10
	s_lshl_b32 s2, s2, 11
	s_mov_b64 s[0:1], -1
	s_waitcnt lgkmcnt(0)
	s_sub_i32 s14, s8, s2
	s_cmpk_gt_i32 s14, 0x7ff
	s_cbranch_scc0 .LBB524_34
; %bb.1:
	s_ashr_i32 s3, s2, 31
	s_lshr_b32 s8, s9, 16
	s_lshl_b64 s[0:1], s[2:3], 1
	s_add_u32 s10, s6, s0
	s_addc_u32 s11, s7, s1
	v_lshlrev_b32_e32 v1, 3, v0
	global_load_dwordx2 v[4:5], v1, s[10:11]
	global_load_dwordx2 v[2:3], v1, s[10:11] offset:2048
	v_mov_b32_e32 v6, s9
	s_waitcnt vmcnt(1)
	v_cmp_o_f16_e32 vcc, v4, v4
	s_and_saveexec_b64 s[10:11], vcc
	s_cbranch_execz .LBB524_5
; %bb.2:
	s_movk_i32 s3, 0x7c00
	v_cmp_neq_f16_e32 vcc, s3, v4
	v_mov_b32_e32 v6, s8
	s_and_saveexec_b64 s[12:13], vcc
; %bb.3:
	s_mov_b32 s3, 0xfc00
	v_mov_b32_e32 v6, s15
	v_cmp_eq_f16_e32 vcc, s3, v4
	s_nop 1
	v_cndmask_b32_e32 v6, v4, v6, vcc
; %bb.4:
	s_or_b64 exec, exec, s[12:13]
.LBB524_5:
	s_or_b64 exec, exec, s[10:11]
	v_lshrrev_b32_e32 v7, 16, v4
	v_cmp_o_f16_e32 vcc, v7, v7
	v_mov_b32_e32 v4, s9
	s_and_saveexec_b64 s[10:11], vcc
	s_cbranch_execz .LBB524_9
; %bb.6:
	s_movk_i32 s3, 0x7c00
	v_cmp_neq_f16_e32 vcc, s3, v7
	v_mov_b32_e32 v4, s8
	s_and_saveexec_b64 s[12:13], vcc
; %bb.7:
	s_mov_b32 s3, 0xfc00
	v_mov_b32_e32 v4, s15
	v_cmp_eq_f16_e32 vcc, s3, v7
	s_nop 1
	v_cndmask_b32_e32 v4, v7, v4, vcc
; %bb.8:
	s_or_b64 exec, exec, s[12:13]
.LBB524_9:
	s_or_b64 exec, exec, s[10:11]
	v_cmp_o_f16_e32 vcc, v5, v5
	v_mov_b32_e32 v7, s9
	s_and_saveexec_b64 s[10:11], vcc
	s_cbranch_execz .LBB524_13
; %bb.10:
	s_movk_i32 s3, 0x7c00
	v_cmp_neq_f16_e32 vcc, s3, v5
	v_mov_b32_e32 v7, s8
	s_and_saveexec_b64 s[12:13], vcc
; %bb.11:
	s_mov_b32 s3, 0xfc00
	v_mov_b32_e32 v7, s15
	v_cmp_eq_f16_e32 vcc, s3, v5
	s_nop 1
	v_cndmask_b32_e32 v7, v5, v7, vcc
; %bb.12:
	s_or_b64 exec, exec, s[12:13]
.LBB524_13:
	s_or_b64 exec, exec, s[10:11]
	v_lshrrev_b32_e32 v8, 16, v5
	v_cmp_o_f16_e32 vcc, v8, v8
	v_mov_b32_e32 v5, s9
	s_and_saveexec_b64 s[10:11], vcc
	s_cbranch_execz .LBB524_17
; %bb.14:
	s_movk_i32 s3, 0x7c00
	v_cmp_neq_f16_e32 vcc, s3, v8
	v_mov_b32_e32 v5, s8
	s_and_saveexec_b64 s[12:13], vcc
; %bb.15:
	s_mov_b32 s3, 0xfc00
	v_mov_b32_e32 v5, s15
	v_cmp_eq_f16_e32 vcc, s3, v8
	s_nop 1
	v_cndmask_b32_e32 v5, v8, v5, vcc
; %bb.16:
	s_or_b64 exec, exec, s[12:13]
.LBB524_17:
	s_or_b64 exec, exec, s[10:11]
	s_waitcnt vmcnt(0)
	v_cmp_o_f16_e32 vcc, v2, v2
	v_mov_b32_e32 v8, s9
	s_and_saveexec_b64 s[10:11], vcc
	s_cbranch_execz .LBB524_21
; %bb.18:
	s_movk_i32 s3, 0x7c00
	v_cmp_neq_f16_e32 vcc, s3, v2
	v_mov_b32_e32 v8, s8
	s_and_saveexec_b64 s[12:13], vcc
; %bb.19:
	s_mov_b32 s3, 0xfc00
	v_mov_b32_e32 v8, s15
	v_cmp_eq_f16_e32 vcc, s3, v2
	s_nop 1
	v_cndmask_b32_e32 v8, v2, v8, vcc
; %bb.20:
	s_or_b64 exec, exec, s[12:13]
.LBB524_21:
	s_or_b64 exec, exec, s[10:11]
	v_lshrrev_b32_e32 v9, 16, v2
	v_cmp_o_f16_e32 vcc, v9, v9
	v_mov_b32_e32 v2, s9
	s_and_saveexec_b64 s[10:11], vcc
	s_cbranch_execz .LBB524_25
; %bb.22:
	s_movk_i32 s3, 0x7c00
	v_cmp_neq_f16_e32 vcc, s3, v9
	v_mov_b32_e32 v2, s8
	s_and_saveexec_b64 s[12:13], vcc
; %bb.23:
	s_mov_b32 s3, 0xfc00
	v_mov_b32_e32 v2, s15
	v_cmp_eq_f16_e32 vcc, s3, v9
	s_nop 1
	v_cndmask_b32_e32 v2, v9, v2, vcc
; %bb.24:
	s_or_b64 exec, exec, s[12:13]
.LBB524_25:
	s_or_b64 exec, exec, s[10:11]
	v_cmp_o_f16_e32 vcc, v3, v3
	v_mov_b32_e32 v9, s9
	s_and_saveexec_b64 s[10:11], vcc
	s_cbranch_execz .LBB524_29
; %bb.26:
	s_movk_i32 s3, 0x7c00
	v_cmp_neq_f16_e32 vcc, s3, v3
	v_mov_b32_e32 v9, s8
	s_and_saveexec_b64 s[12:13], vcc
; %bb.27:
	s_mov_b32 s3, 0xfc00
	v_mov_b32_e32 v9, s15
	v_cmp_eq_f16_e32 vcc, s3, v3
	s_nop 1
	v_cndmask_b32_e32 v9, v3, v9, vcc
; %bb.28:
	s_or_b64 exec, exec, s[12:13]
.LBB524_29:
	s_or_b64 exec, exec, s[10:11]
	v_lshrrev_b32_e32 v10, 16, v3
	v_cmp_o_f16_e32 vcc, v10, v10
	v_mov_b32_e32 v3, s9
	s_and_saveexec_b64 s[10:11], vcc
	s_cbranch_execz .LBB524_33
; %bb.30:
	s_movk_i32 s3, 0x7c00
	v_cmp_neq_f16_e32 vcc, s3, v10
	v_mov_b32_e32 v3, s8
	s_and_saveexec_b64 s[12:13], vcc
; %bb.31:
	s_mov_b32 s3, 0xfc00
	v_mov_b32_e32 v3, s15
	v_cmp_eq_f16_e32 vcc, s3, v10
	s_nop 1
	v_cndmask_b32_e32 v3, v10, v3, vcc
; %bb.32:
	s_or_b64 exec, exec, s[12:13]
.LBB524_33:
	s_or_b64 exec, exec, s[10:11]
	v_lshlrev_b32_e32 v4, 16, v4
	v_and_b32_e32 v6, 0xffff, v6
	v_lshlrev_b32_e32 v2, 16, v2
	v_and_b32_e32 v8, 0xffff, v8
	v_or_b32_e32 v4, v4, v6
	v_and_b32_e32 v6, 0xffff, v7
	v_lshlrev_b32_e32 v5, 16, v5
	s_add_u32 s0, s4, s0
	v_or_b32_e32 v2, v2, v8
	v_and_b32_e32 v8, 0xffff, v9
	v_or3_b32 v5, v6, 0, v5
	v_or3_b32 v4, 0, v4, 0
	v_lshlrev_b32_e32 v3, 16, v3
	s_addc_u32 s1, s5, s1
	v_or3_b32 v3, v8, 0, v3
	v_or3_b32 v2, 0, v2, 0
	global_store_dwordx2 v1, v[4:5], s[0:1]
	global_store_dwordx2 v1, v[2:3], s[0:1] offset:2048
	s_mov_b64 s[0:1], 0
.LBB524_34:
	s_and_b64 vcc, exec, s[0:1]
	s_cbranch_vccz .LBB524_107
; %bb.35:
	v_cmp_gt_i32_e32 vcc, s14, v0
	v_mov_b32_e32 v8, 0
	v_or_b32_e32 v2, s2, v0
	v_mov_b32_e32 v6, 0
	v_mov_b32_e32 v4, v0
	s_and_saveexec_b64 s[0:1], vcc
	s_cbranch_execz .LBB524_37
; %bb.36:
	v_mov_b32_e32 v3, 0
	v_lshl_add_u64 v[4:5], v[2:3], 1, s[6:7]
	global_load_ushort v6, v[4:5], off
	v_or_b32_e32 v4, 0x100, v0
.LBB524_37:
	s_or_b64 exec, exec, s[0:1]
	v_cmp_gt_i32_e64 s[0:1], s14, v4
	s_and_saveexec_b64 s[10:11], s[0:1]
	s_cbranch_execz .LBB524_39
; %bb.38:
	v_add_u32_e32 v8, s2, v4
	v_mov_b32_e32 v9, 0
	v_lshl_add_u64 v[8:9], v[8:9], 1, s[6:7]
	global_load_ushort v8, v[8:9], off
	v_add_u32_e32 v4, 0x100, v4
.LBB524_39:
	s_or_b64 exec, exec, s[10:11]
	v_cmp_gt_i32_e64 s[0:1], s14, v4
	v_mov_b32_e32 v9, 0
	v_mov_b32_e32 v11, 0
	s_and_saveexec_b64 s[10:11], s[0:1]
	s_cbranch_execz .LBB524_41
; %bb.40:
	v_add_u32_e32 v10, s2, v4
	v_mov_b32_e32 v11, 0
	v_lshl_add_u64 v[10:11], v[10:11], 1, s[6:7]
	global_load_ushort v11, v[10:11], off
	v_add_u32_e32 v4, 0x100, v4
.LBB524_41:
	s_or_b64 exec, exec, s[10:11]
	v_cmp_gt_i32_e64 s[0:1], s14, v4
	s_and_saveexec_b64 s[10:11], s[0:1]
	s_cbranch_execz .LBB524_43
; %bb.42:
	v_add_u32_e32 v12, s2, v4
	v_mov_b32_e32 v13, 0
	v_lshl_add_u64 v[12:13], v[12:13], 1, s[6:7]
	global_load_ushort v9, v[12:13], off
	v_add_u32_e32 v4, 0x100, v4
.LBB524_43:
	s_or_b64 exec, exec, s[10:11]
	v_cmp_gt_i32_e64 s[0:1], s14, v4
	v_mov_b32_e32 v3, 0
	v_mov_b32_e32 v10, 0
	s_and_saveexec_b64 s[10:11], s[0:1]
	s_cbranch_execz .LBB524_45
; %bb.44:
	v_add_u32_e32 v12, s2, v4
	v_mov_b32_e32 v13, 0
	v_lshl_add_u64 v[12:13], v[12:13], 1, s[6:7]
	global_load_ushort v10, v[12:13], off
	v_add_u32_e32 v4, 0x100, v4
.LBB524_45:
	s_or_b64 exec, exec, s[10:11]
	v_cmp_gt_i32_e64 s[0:1], s14, v4
	s_and_saveexec_b64 s[10:11], s[0:1]
	s_cbranch_execz .LBB524_47
; %bb.46:
	v_add_u32_e32 v12, s2, v4
	v_mov_b32_e32 v13, 0
	v_lshl_add_u64 v[12:13], v[12:13], 1, s[6:7]
	global_load_ushort v3, v[12:13], off
	v_add_u32_e32 v4, 0x100, v4
.LBB524_47:
	s_or_b64 exec, exec, s[10:11]
	v_cmp_gt_i32_e64 s[0:1], s14, v4
	v_mov_b32_e32 v1, 0
	v_mov_b32_e32 v5, 0
	s_and_saveexec_b64 s[10:11], s[0:1]
	s_cbranch_execz .LBB524_49
; %bb.48:
	v_add_u32_e32 v12, s2, v4
	v_mov_b32_e32 v13, 0
	v_lshl_add_u64 v[12:13], v[12:13], 1, s[6:7]
	global_load_ushort v5, v[12:13], off
	v_add_u32_e32 v4, 0x100, v4
	s_or_b64 exec, exec, s[10:11]
	v_cmp_gt_i32_e64 s[0:1], s14, v4
	s_and_saveexec_b64 s[10:11], s[0:1]
	s_cbranch_execz .LBB524_51
	s_branch .LBB524_50
.LBB524_49:
	s_or_b64 exec, exec, s[10:11]
	v_cmp_gt_i32_e64 s[0:1], s14, v4
	s_and_saveexec_b64 s[10:11], s[0:1]
	s_cbranch_execz .LBB524_51
.LBB524_50:
	v_add_u32_e32 v12, s2, v4
	v_mov_b32_e32 v13, 0
	v_lshl_add_u64 v[12:13], v[12:13], 1, s[6:7]
	global_load_ushort v1, v[12:13], off
.LBB524_51:
	s_or_b64 exec, exec, s[10:11]
	s_lshr_b32 s3, s9, 16
                                        ; implicit-def: $vgpr4
	s_and_saveexec_b64 s[6:7], vcc
	s_cbranch_execz .LBB524_57
; %bb.52:
	s_waitcnt vmcnt(0)
	v_cmp_o_f16_e64 s[0:1], v6, v6
	v_mov_b32_e32 v4, s9
	s_and_saveexec_b64 s[10:11], s[0:1]
	s_cbranch_execz .LBB524_56
; %bb.53:
	s_movk_i32 s0, 0x7c00
	v_cmp_neq_f16_e64 s[0:1], s0, v6
	v_mov_b32_e32 v4, s3
	s_and_saveexec_b64 s[12:13], s[0:1]
; %bb.54:
	s_mov_b32 s0, 0xfc00
	v_mov_b32_e32 v4, s15
	v_cmp_eq_f16_e64 s[0:1], s0, v6
	s_nop 1
	v_cndmask_b32_e64 v4, v6, v4, s[0:1]
; %bb.55:
	s_or_b64 exec, exec, s[12:13]
.LBB524_56:
	s_or_b64 exec, exec, s[10:11]
.LBB524_57:
	s_or_b64 exec, exec, s[6:7]
	v_or_b32_e32 v7, 0x100, v0
	v_cmp_gt_i32_e64 s[0:1], s14, v7
                                        ; implicit-def: $vgpr6
	s_and_saveexec_b64 s[6:7], s[0:1]
	s_cbranch_execz .LBB524_63
; %bb.58:
	s_waitcnt vmcnt(0)
	v_cmp_o_f16_e64 s[0:1], v8, v8
	v_mov_b32_e32 v6, s9
	s_and_saveexec_b64 s[10:11], s[0:1]
	s_cbranch_execz .LBB524_62
; %bb.59:
	s_movk_i32 s0, 0x7c00
	v_cmp_neq_f16_e64 s[0:1], s0, v8
	v_mov_b32_e32 v6, s3
	s_and_saveexec_b64 s[12:13], s[0:1]
; %bb.60:
	s_mov_b32 s0, 0xfc00
	v_mov_b32_e32 v6, s15
	v_cmp_eq_f16_e64 s[0:1], s0, v8
	s_nop 1
	v_cndmask_b32_e64 v6, v8, v6, s[0:1]
; %bb.61:
	s_or_b64 exec, exec, s[12:13]
.LBB524_62:
	s_or_b64 exec, exec, s[10:11]
.LBB524_63:
	s_or_b64 exec, exec, s[6:7]
	s_waitcnt vmcnt(0)
	v_or_b32_e32 v8, 0x200, v0
	v_cmp_gt_i32_e64 s[0:1], s14, v8
                                        ; implicit-def: $vgpr8
	s_and_saveexec_b64 s[6:7], s[0:1]
	s_cbranch_execz .LBB524_69
; %bb.64:
	v_cmp_o_f16_e64 s[0:1], v11, v11
	v_mov_b32_e32 v8, s9
	s_and_saveexec_b64 s[10:11], s[0:1]
	s_cbranch_execz .LBB524_68
; %bb.65:
	s_movk_i32 s0, 0x7c00
	v_cmp_neq_f16_e64 s[0:1], s0, v11
	v_mov_b32_e32 v8, s3
	s_and_saveexec_b64 s[12:13], s[0:1]
; %bb.66:
	s_mov_b32 s0, 0xfc00
	v_mov_b32_e32 v8, s15
	v_cmp_eq_f16_e64 s[0:1], s0, v11
	s_nop 1
	v_cndmask_b32_e64 v8, v11, v8, s[0:1]
; %bb.67:
	s_or_b64 exec, exec, s[12:13]
.LBB524_68:
	s_or_b64 exec, exec, s[10:11]
.LBB524_69:
	s_or_b64 exec, exec, s[6:7]
	v_or_b32_e32 v11, 0x300, v0
	v_cmp_gt_i32_e64 s[0:1], s14, v11
                                        ; implicit-def: $vgpr11
	s_and_saveexec_b64 s[6:7], s[0:1]
	s_cbranch_execz .LBB524_75
; %bb.70:
	v_cmp_o_f16_e64 s[0:1], v9, v9
	v_mov_b32_e32 v11, s9
	s_and_saveexec_b64 s[10:11], s[0:1]
	s_cbranch_execz .LBB524_74
; %bb.71:
	s_movk_i32 s0, 0x7c00
	v_cmp_neq_f16_e64 s[0:1], s0, v9
	v_mov_b32_e32 v11, s3
	s_and_saveexec_b64 s[12:13], s[0:1]
; %bb.72:
	s_mov_b32 s0, 0xfc00
	v_mov_b32_e32 v11, s15
	v_cmp_eq_f16_e64 s[0:1], s0, v9
	s_nop 1
	v_cndmask_b32_e64 v11, v9, v11, s[0:1]
; %bb.73:
	s_or_b64 exec, exec, s[12:13]
.LBB524_74:
	s_or_b64 exec, exec, s[10:11]
.LBB524_75:
	s_or_b64 exec, exec, s[6:7]
	v_or_b32_e32 v9, 0x400, v0
	v_cmp_gt_i32_e64 s[0:1], s14, v9
                                        ; implicit-def: $vgpr9
	s_and_saveexec_b64 s[6:7], s[0:1]
	s_cbranch_execz .LBB524_81
; %bb.76:
	v_cmp_o_f16_e64 s[0:1], v10, v10
	v_mov_b32_e32 v9, s9
	s_and_saveexec_b64 s[10:11], s[0:1]
	s_cbranch_execz .LBB524_80
; %bb.77:
	s_movk_i32 s0, 0x7c00
	v_cmp_neq_f16_e64 s[0:1], s0, v10
	v_mov_b32_e32 v9, s3
	s_and_saveexec_b64 s[12:13], s[0:1]
; %bb.78:
	s_mov_b32 s0, 0xfc00
	v_mov_b32_e32 v9, s15
	v_cmp_eq_f16_e64 s[0:1], s0, v10
	s_nop 1
	v_cndmask_b32_e64 v9, v10, v9, s[0:1]
; %bb.79:
	s_or_b64 exec, exec, s[12:13]
.LBB524_80:
	s_or_b64 exec, exec, s[10:11]
.LBB524_81:
	s_or_b64 exec, exec, s[6:7]
	v_or_b32_e32 v10, 0x500, v0
	v_cmp_gt_i32_e64 s[0:1], s14, v10
                                        ; implicit-def: $vgpr10
	s_and_saveexec_b64 s[6:7], s[0:1]
	s_cbranch_execz .LBB524_87
; %bb.82:
	v_cmp_o_f16_e64 s[0:1], v3, v3
	v_mov_b32_e32 v10, s9
	s_and_saveexec_b64 s[10:11], s[0:1]
	s_cbranch_execz .LBB524_86
; %bb.83:
	s_movk_i32 s0, 0x7c00
	v_cmp_neq_f16_e64 s[0:1], s0, v3
	v_mov_b32_e32 v10, s3
	s_and_saveexec_b64 s[12:13], s[0:1]
; %bb.84:
	s_mov_b32 s0, 0xfc00
	v_mov_b32_e32 v10, s15
	v_cmp_eq_f16_e64 s[0:1], s0, v3
	s_nop 1
	v_cndmask_b32_e64 v10, v3, v10, s[0:1]
; %bb.85:
	s_or_b64 exec, exec, s[12:13]
.LBB524_86:
	s_or_b64 exec, exec, s[10:11]
.LBB524_87:
	s_or_b64 exec, exec, s[6:7]
	v_or_b32_e32 v3, 0x600, v0
	v_cmp_gt_i32_e64 s[0:1], s14, v3
                                        ; implicit-def: $vgpr12
	s_and_saveexec_b64 s[6:7], s[0:1]
	s_cbranch_execz .LBB524_93
; %bb.88:
	v_cmp_o_f16_e64 s[0:1], v5, v5
	v_mov_b32_e32 v12, s9
	s_and_saveexec_b64 s[10:11], s[0:1]
	s_cbranch_execz .LBB524_92
; %bb.89:
	s_movk_i32 s0, 0x7c00
	v_cmp_neq_f16_e64 s[0:1], s0, v5
	v_mov_b32_e32 v12, s3
	s_and_saveexec_b64 s[12:13], s[0:1]
; %bb.90:
	s_mov_b32 s0, 0xfc00
	v_mov_b32_e32 v3, s15
	v_cmp_eq_f16_e64 s[0:1], s0, v5
	s_nop 1
	v_cndmask_b32_e64 v12, v5, v3, s[0:1]
; %bb.91:
	s_or_b64 exec, exec, s[12:13]
.LBB524_92:
	s_or_b64 exec, exec, s[10:11]
.LBB524_93:
	s_or_b64 exec, exec, s[6:7]
	v_or_b32_e32 v3, 0x700, v0
	v_cmp_gt_i32_e64 s[0:1], s14, v3
                                        ; implicit-def: $vgpr5
	s_and_saveexec_b64 s[6:7], s[0:1]
	s_cbranch_execz .LBB524_108
; %bb.94:
	v_cmp_o_f16_e64 s[0:1], v1, v1
	v_mov_b32_e32 v5, s9
	s_and_saveexec_b64 s[8:9], s[0:1]
	s_cbranch_execz .LBB524_98
; %bb.95:
	s_movk_i32 s0, 0x7c00
	v_cmp_neq_f16_e64 s[0:1], s0, v1
	v_mov_b32_e32 v5, s3
	s_and_saveexec_b64 s[10:11], s[0:1]
; %bb.96:
	s_mov_b32 s0, 0xfc00
	v_mov_b32_e32 v3, s15
	v_cmp_eq_f16_e64 s[0:1], s0, v1
	s_nop 1
	v_cndmask_b32_e64 v5, v1, v3, s[0:1]
; %bb.97:
	s_or_b64 exec, exec, s[10:11]
.LBB524_98:
	s_or_b64 exec, exec, s[8:9]
	s_or_b64 exec, exec, s[6:7]
	s_and_saveexec_b64 s[0:1], vcc
	s_xor_b64 s[0:1], exec, s[0:1]
	s_cbranch_execnz .LBB524_109
.LBB524_99:
	s_or_b64 exec, exec, s[0:1]
	v_cmp_gt_i32_e32 vcc, s14, v0
	s_and_saveexec_b64 s[0:1], vcc
	s_cbranch_execz .LBB524_110
.LBB524_100:
	v_add_u32_e32 v2, s2, v0
	v_mov_b32_e32 v3, 0
	v_lshl_add_u64 v[2:3], v[2:3], 1, s[4:5]
	v_add_u32_e32 v0, 0x100, v0
	global_store_short v[2:3], v6, off
	s_or_b64 exec, exec, s[0:1]
	v_cmp_gt_i32_e32 vcc, s14, v0
	s_and_saveexec_b64 s[0:1], vcc
	s_cbranch_execnz .LBB524_111
.LBB524_101:
	s_or_b64 exec, exec, s[0:1]
	v_cmp_gt_i32_e32 vcc, s14, v0
	s_and_saveexec_b64 s[0:1], vcc
	s_cbranch_execz .LBB524_112
.LBB524_102:
	v_add_u32_e32 v2, s2, v0
	v_mov_b32_e32 v3, 0
	v_lshl_add_u64 v[2:3], v[2:3], 1, s[4:5]
	v_add_u32_e32 v0, 0x100, v0
	global_store_short v[2:3], v11, off
	s_or_b64 exec, exec, s[0:1]
	v_cmp_gt_i32_e32 vcc, s14, v0
	s_and_saveexec_b64 s[0:1], vcc
	s_cbranch_execnz .LBB524_113
.LBB524_103:
	s_or_b64 exec, exec, s[0:1]
	v_cmp_gt_i32_e32 vcc, s14, v0
	s_and_saveexec_b64 s[0:1], vcc
	s_cbranch_execz .LBB524_114
.LBB524_104:
	v_add_u32_e32 v2, s2, v0
	v_mov_b32_e32 v3, 0
	v_lshl_add_u64 v[2:3], v[2:3], 1, s[4:5]
	v_add_u32_e32 v0, 0x100, v0
	global_store_short v[2:3], v10, off
	s_or_b64 exec, exec, s[0:1]
	v_cmp_gt_i32_e32 vcc, s14, v0
	s_and_saveexec_b64 s[0:1], vcc
	s_cbranch_execnz .LBB524_115
.LBB524_105:
	s_or_b64 exec, exec, s[0:1]
	v_cmp_gt_i32_e32 vcc, s14, v0
	s_and_saveexec_b64 s[0:1], vcc
	s_cbranch_execz .LBB524_107
.LBB524_106:
	v_add_u32_e32 v0, s2, v0
	v_mov_b32_e32 v1, 0
	v_lshl_add_u64 v[0:1], v[0:1], 1, s[4:5]
	global_store_short v[0:1], v5, off
.LBB524_107:
	s_endpgm
.LBB524_108:
	s_or_b64 exec, exec, s[6:7]
	s_and_saveexec_b64 s[0:1], vcc
	s_xor_b64 s[0:1], exec, s[0:1]
	s_cbranch_execz .LBB524_99
.LBB524_109:
	v_mov_b32_e32 v3, 0
	v_lshl_add_u64 v[0:1], v[2:3], 1, s[4:5]
	global_store_short v[0:1], v4, off
	v_mov_b32_e32 v0, v7
	s_or_b64 exec, exec, s[0:1]
	v_cmp_gt_i32_e32 vcc, s14, v0
	s_and_saveexec_b64 s[0:1], vcc
	s_cbranch_execnz .LBB524_100
.LBB524_110:
	s_or_b64 exec, exec, s[0:1]
	v_cmp_gt_i32_e32 vcc, s14, v0
	s_and_saveexec_b64 s[0:1], vcc
	s_cbranch_execz .LBB524_101
.LBB524_111:
	v_add_u32_e32 v2, s2, v0
	v_mov_b32_e32 v3, 0
	v_lshl_add_u64 v[2:3], v[2:3], 1, s[4:5]
	v_add_u32_e32 v0, 0x100, v0
	global_store_short v[2:3], v8, off
	s_or_b64 exec, exec, s[0:1]
	v_cmp_gt_i32_e32 vcc, s14, v0
	s_and_saveexec_b64 s[0:1], vcc
	s_cbranch_execnz .LBB524_102
.LBB524_112:
	s_or_b64 exec, exec, s[0:1]
	v_cmp_gt_i32_e32 vcc, s14, v0
	s_and_saveexec_b64 s[0:1], vcc
	s_cbranch_execz .LBB524_103
.LBB524_113:
	v_add_u32_e32 v2, s2, v0
	v_mov_b32_e32 v3, 0
	v_lshl_add_u64 v[2:3], v[2:3], 1, s[4:5]
	v_add_u32_e32 v0, 0x100, v0
	global_store_short v[2:3], v9, off
	s_or_b64 exec, exec, s[0:1]
	v_cmp_gt_i32_e32 vcc, s14, v0
	s_and_saveexec_b64 s[0:1], vcc
	s_cbranch_execnz .LBB524_104
.LBB524_114:
	s_or_b64 exec, exec, s[0:1]
	v_cmp_gt_i32_e32 vcc, s14, v0
	s_and_saveexec_b64 s[0:1], vcc
	s_cbranch_execz .LBB524_105
.LBB524_115:
	v_add_u32_e32 v2, s2, v0
	v_mov_b32_e32 v3, 0
	v_lshl_add_u64 v[2:3], v[2:3], 1, s[4:5]
	v_add_u32_e32 v0, 0x100, v0
	global_store_short v[2:3], v12, off
	s_or_b64 exec, exec, s[0:1]
	v_cmp_gt_i32_e32 vcc, s14, v0
	s_and_saveexec_b64 s[0:1], vcc
	s_cbranch_execnz .LBB524_106
	s_branch .LBB524_107
	.section	.rodata,"a",@progbits
	.p2align	6, 0x0
	.amdhsa_kernel _ZN2at6native29vectorized_elementwise_kernelILi4EZZZNS0_22nan_to_num_kernel_cudaERNS_18TensorIteratorBaseESt8optionalIdES5_S5_ENKUlvE0_clEvENKUlvE1_clEvEUlN3c104HalfEE_St5arrayIPcLm2EEEEviT0_T1_
		.amdhsa_group_segment_fixed_size 0
		.amdhsa_private_segment_fixed_size 0
		.amdhsa_kernarg_size 32
		.amdhsa_user_sgpr_count 2
		.amdhsa_user_sgpr_dispatch_ptr 0
		.amdhsa_user_sgpr_queue_ptr 0
		.amdhsa_user_sgpr_kernarg_segment_ptr 1
		.amdhsa_user_sgpr_dispatch_id 0
		.amdhsa_user_sgpr_kernarg_preload_length 0
		.amdhsa_user_sgpr_kernarg_preload_offset 0
		.amdhsa_user_sgpr_private_segment_size 0
		.amdhsa_uses_dynamic_stack 0
		.amdhsa_enable_private_segment 0
		.amdhsa_system_sgpr_workgroup_id_x 1
		.amdhsa_system_sgpr_workgroup_id_y 0
		.amdhsa_system_sgpr_workgroup_id_z 0
		.amdhsa_system_sgpr_workgroup_info 0
		.amdhsa_system_vgpr_workitem_id 0
		.amdhsa_next_free_vgpr 14
		.amdhsa_next_free_sgpr 16
		.amdhsa_accum_offset 16
		.amdhsa_reserve_vcc 1
		.amdhsa_float_round_mode_32 0
		.amdhsa_float_round_mode_16_64 0
		.amdhsa_float_denorm_mode_32 3
		.amdhsa_float_denorm_mode_16_64 3
		.amdhsa_dx10_clamp 1
		.amdhsa_ieee_mode 1
		.amdhsa_fp16_overflow 0
		.amdhsa_tg_split 0
		.amdhsa_exception_fp_ieee_invalid_op 0
		.amdhsa_exception_fp_denorm_src 0
		.amdhsa_exception_fp_ieee_div_zero 0
		.amdhsa_exception_fp_ieee_overflow 0
		.amdhsa_exception_fp_ieee_underflow 0
		.amdhsa_exception_fp_ieee_inexact 0
		.amdhsa_exception_int_div_zero 0
	.end_amdhsa_kernel
	.section	.text._ZN2at6native29vectorized_elementwise_kernelILi4EZZZNS0_22nan_to_num_kernel_cudaERNS_18TensorIteratorBaseESt8optionalIdES5_S5_ENKUlvE0_clEvENKUlvE1_clEvEUlN3c104HalfEE_St5arrayIPcLm2EEEEviT0_T1_,"axG",@progbits,_ZN2at6native29vectorized_elementwise_kernelILi4EZZZNS0_22nan_to_num_kernel_cudaERNS_18TensorIteratorBaseESt8optionalIdES5_S5_ENKUlvE0_clEvENKUlvE1_clEvEUlN3c104HalfEE_St5arrayIPcLm2EEEEviT0_T1_,comdat
.Lfunc_end524:
	.size	_ZN2at6native29vectorized_elementwise_kernelILi4EZZZNS0_22nan_to_num_kernel_cudaERNS_18TensorIteratorBaseESt8optionalIdES5_S5_ENKUlvE0_clEvENKUlvE1_clEvEUlN3c104HalfEE_St5arrayIPcLm2EEEEviT0_T1_, .Lfunc_end524-_ZN2at6native29vectorized_elementwise_kernelILi4EZZZNS0_22nan_to_num_kernel_cudaERNS_18TensorIteratorBaseESt8optionalIdES5_S5_ENKUlvE0_clEvENKUlvE1_clEvEUlN3c104HalfEE_St5arrayIPcLm2EEEEviT0_T1_
                                        ; -- End function
	.set _ZN2at6native29vectorized_elementwise_kernelILi4EZZZNS0_22nan_to_num_kernel_cudaERNS_18TensorIteratorBaseESt8optionalIdES5_S5_ENKUlvE0_clEvENKUlvE1_clEvEUlN3c104HalfEE_St5arrayIPcLm2EEEEviT0_T1_.num_vgpr, 14
	.set _ZN2at6native29vectorized_elementwise_kernelILi4EZZZNS0_22nan_to_num_kernel_cudaERNS_18TensorIteratorBaseESt8optionalIdES5_S5_ENKUlvE0_clEvENKUlvE1_clEvEUlN3c104HalfEE_St5arrayIPcLm2EEEEviT0_T1_.num_agpr, 0
	.set _ZN2at6native29vectorized_elementwise_kernelILi4EZZZNS0_22nan_to_num_kernel_cudaERNS_18TensorIteratorBaseESt8optionalIdES5_S5_ENKUlvE0_clEvENKUlvE1_clEvEUlN3c104HalfEE_St5arrayIPcLm2EEEEviT0_T1_.numbered_sgpr, 16
	.set _ZN2at6native29vectorized_elementwise_kernelILi4EZZZNS0_22nan_to_num_kernel_cudaERNS_18TensorIteratorBaseESt8optionalIdES5_S5_ENKUlvE0_clEvENKUlvE1_clEvEUlN3c104HalfEE_St5arrayIPcLm2EEEEviT0_T1_.num_named_barrier, 0
	.set _ZN2at6native29vectorized_elementwise_kernelILi4EZZZNS0_22nan_to_num_kernel_cudaERNS_18TensorIteratorBaseESt8optionalIdES5_S5_ENKUlvE0_clEvENKUlvE1_clEvEUlN3c104HalfEE_St5arrayIPcLm2EEEEviT0_T1_.private_seg_size, 0
	.set _ZN2at6native29vectorized_elementwise_kernelILi4EZZZNS0_22nan_to_num_kernel_cudaERNS_18TensorIteratorBaseESt8optionalIdES5_S5_ENKUlvE0_clEvENKUlvE1_clEvEUlN3c104HalfEE_St5arrayIPcLm2EEEEviT0_T1_.uses_vcc, 1
	.set _ZN2at6native29vectorized_elementwise_kernelILi4EZZZNS0_22nan_to_num_kernel_cudaERNS_18TensorIteratorBaseESt8optionalIdES5_S5_ENKUlvE0_clEvENKUlvE1_clEvEUlN3c104HalfEE_St5arrayIPcLm2EEEEviT0_T1_.uses_flat_scratch, 0
	.set _ZN2at6native29vectorized_elementwise_kernelILi4EZZZNS0_22nan_to_num_kernel_cudaERNS_18TensorIteratorBaseESt8optionalIdES5_S5_ENKUlvE0_clEvENKUlvE1_clEvEUlN3c104HalfEE_St5arrayIPcLm2EEEEviT0_T1_.has_dyn_sized_stack, 0
	.set _ZN2at6native29vectorized_elementwise_kernelILi4EZZZNS0_22nan_to_num_kernel_cudaERNS_18TensorIteratorBaseESt8optionalIdES5_S5_ENKUlvE0_clEvENKUlvE1_clEvEUlN3c104HalfEE_St5arrayIPcLm2EEEEviT0_T1_.has_recursion, 0
	.set _ZN2at6native29vectorized_elementwise_kernelILi4EZZZNS0_22nan_to_num_kernel_cudaERNS_18TensorIteratorBaseESt8optionalIdES5_S5_ENKUlvE0_clEvENKUlvE1_clEvEUlN3c104HalfEE_St5arrayIPcLm2EEEEviT0_T1_.has_indirect_call, 0
	.section	.AMDGPU.csdata,"",@progbits
; Kernel info:
; codeLenInByte = 2576
; TotalNumSgprs: 22
; NumVgprs: 14
; NumAgprs: 0
; TotalNumVgprs: 14
; ScratchSize: 0
; MemoryBound: 0
; FloatMode: 240
; IeeeMode: 1
; LDSByteSize: 0 bytes/workgroup (compile time only)
; SGPRBlocks: 2
; VGPRBlocks: 1
; NumSGPRsForWavesPerEU: 22
; NumVGPRsForWavesPerEU: 14
; AccumOffset: 16
; Occupancy: 8
; WaveLimiterHint : 1
; COMPUTE_PGM_RSRC2:SCRATCH_EN: 0
; COMPUTE_PGM_RSRC2:USER_SGPR: 2
; COMPUTE_PGM_RSRC2:TRAP_HANDLER: 0
; COMPUTE_PGM_RSRC2:TGID_X_EN: 1
; COMPUTE_PGM_RSRC2:TGID_Y_EN: 0
; COMPUTE_PGM_RSRC2:TGID_Z_EN: 0
; COMPUTE_PGM_RSRC2:TIDIG_COMP_CNT: 0
; COMPUTE_PGM_RSRC3_GFX90A:ACCUM_OFFSET: 3
; COMPUTE_PGM_RSRC3_GFX90A:TG_SPLIT: 0
	.section	.text._ZN2at6native29vectorized_elementwise_kernelILi2EZZZNS0_22nan_to_num_kernel_cudaERNS_18TensorIteratorBaseESt8optionalIdES5_S5_ENKUlvE0_clEvENKUlvE1_clEvEUlN3c104HalfEE_St5arrayIPcLm2EEEEviT0_T1_,"axG",@progbits,_ZN2at6native29vectorized_elementwise_kernelILi2EZZZNS0_22nan_to_num_kernel_cudaERNS_18TensorIteratorBaseESt8optionalIdES5_S5_ENKUlvE0_clEvENKUlvE1_clEvEUlN3c104HalfEE_St5arrayIPcLm2EEEEviT0_T1_,comdat
	.globl	_ZN2at6native29vectorized_elementwise_kernelILi2EZZZNS0_22nan_to_num_kernel_cudaERNS_18TensorIteratorBaseESt8optionalIdES5_S5_ENKUlvE0_clEvENKUlvE1_clEvEUlN3c104HalfEE_St5arrayIPcLm2EEEEviT0_T1_ ; -- Begin function _ZN2at6native29vectorized_elementwise_kernelILi2EZZZNS0_22nan_to_num_kernel_cudaERNS_18TensorIteratorBaseESt8optionalIdES5_S5_ENKUlvE0_clEvENKUlvE1_clEvEUlN3c104HalfEE_St5arrayIPcLm2EEEEviT0_T1_
	.p2align	8
	.type	_ZN2at6native29vectorized_elementwise_kernelILi2EZZZNS0_22nan_to_num_kernel_cudaERNS_18TensorIteratorBaseESt8optionalIdES5_S5_ENKUlvE0_clEvENKUlvE1_clEvEUlN3c104HalfEE_St5arrayIPcLm2EEEEviT0_T1_,@function
_ZN2at6native29vectorized_elementwise_kernelILi2EZZZNS0_22nan_to_num_kernel_cudaERNS_18TensorIteratorBaseESt8optionalIdES5_S5_ENKUlvE0_clEvENKUlvE1_clEvEUlN3c104HalfEE_St5arrayIPcLm2EEEEviT0_T1_: ; @_ZN2at6native29vectorized_elementwise_kernelILi2EZZZNS0_22nan_to_num_kernel_cudaERNS_18TensorIteratorBaseESt8optionalIdES5_S5_ENKUlvE0_clEvENKUlvE1_clEvEUlN3c104HalfEE_St5arrayIPcLm2EEEEviT0_T1_
; %bb.0:
	s_load_dword s3, s[0:1], 0x8
	s_load_dwordx2 s[8:9], s[0:1], 0x0
	s_load_dwordx4 s[4:7], s[0:1], 0x10
	s_lshl_b32 s2, s2, 11
	s_mov_b64 s[0:1], -1
	s_waitcnt lgkmcnt(0)
	s_and_b32 s15, s3, 0xffff
	s_sub_i32 s14, s8, s2
	s_cmpk_gt_i32 s14, 0x7ff
	s_cbranch_scc0 .LBB525_34
; %bb.1:
	s_ashr_i32 s3, s2, 31
	s_lshr_b32 s8, s9, 16
	s_lshl_b64 s[0:1], s[2:3], 1
	s_add_u32 s10, s6, s0
	s_addc_u32 s11, s7, s1
	v_lshlrev_b32_e32 v1, 2, v0
	global_load_dword v4, v1, s[10:11]
	global_load_dword v7, v1, s[10:11] offset:1024
	global_load_dword v6, v1, s[10:11] offset:2048
	;; [unrolled: 1-line block ×3, first 2 shown]
	v_mov_b32_e32 v2, s9
	s_waitcnt vmcnt(3)
	v_cmp_o_f16_e32 vcc, v4, v4
	s_and_saveexec_b64 s[10:11], vcc
	s_cbranch_execz .LBB525_5
; %bb.2:
	s_movk_i32 s3, 0x7c00
	v_cmp_neq_f16_e32 vcc, s3, v4
	v_mov_b32_e32 v2, s8
	s_and_saveexec_b64 s[12:13], vcc
; %bb.3:
	s_mov_b32 s3, 0xfc00
	v_mov_b32_e32 v2, s15
	v_cmp_eq_f16_e32 vcc, s3, v4
	s_nop 1
	v_cndmask_b32_e32 v2, v4, v2, vcc
; %bb.4:
	s_or_b64 exec, exec, s[12:13]
.LBB525_5:
	s_or_b64 exec, exec, s[10:11]
	v_lshrrev_b32_e32 v5, 16, v4
	v_cmp_o_f16_e32 vcc, v5, v5
	v_mov_b32_e32 v4, s9
	s_and_saveexec_b64 s[10:11], vcc
	s_cbranch_execz .LBB525_9
; %bb.6:
	s_movk_i32 s3, 0x7c00
	v_cmp_neq_f16_e32 vcc, s3, v5
	v_mov_b32_e32 v4, s8
	s_and_saveexec_b64 s[12:13], vcc
; %bb.7:
	s_mov_b32 s3, 0xfc00
	v_mov_b32_e32 v4, s15
	v_cmp_eq_f16_e32 vcc, s3, v5
	s_nop 1
	v_cndmask_b32_e32 v4, v5, v4, vcc
; %bb.8:
	s_or_b64 exec, exec, s[12:13]
.LBB525_9:
	s_or_b64 exec, exec, s[10:11]
	s_waitcnt vmcnt(2)
	v_cmp_o_f16_e32 vcc, v7, v7
	v_mov_b32_e32 v5, s9
	s_and_saveexec_b64 s[10:11], vcc
	s_cbranch_execz .LBB525_13
; %bb.10:
	s_movk_i32 s3, 0x7c00
	v_cmp_neq_f16_e32 vcc, s3, v7
	v_mov_b32_e32 v5, s8
	s_and_saveexec_b64 s[12:13], vcc
; %bb.11:
	s_mov_b32 s3, 0xfc00
	v_mov_b32_e32 v5, s15
	v_cmp_eq_f16_e32 vcc, s3, v7
	s_nop 1
	v_cndmask_b32_e32 v5, v7, v5, vcc
; %bb.12:
	s_or_b64 exec, exec, s[12:13]
.LBB525_13:
	s_or_b64 exec, exec, s[10:11]
	v_lshrrev_b32_e32 v8, 16, v7
	v_cmp_o_f16_e32 vcc, v8, v8
	v_mov_b32_e32 v7, s9
	s_and_saveexec_b64 s[10:11], vcc
	s_cbranch_execz .LBB525_17
; %bb.14:
	s_movk_i32 s3, 0x7c00
	v_cmp_neq_f16_e32 vcc, s3, v8
	v_mov_b32_e32 v7, s8
	s_and_saveexec_b64 s[12:13], vcc
; %bb.15:
	s_mov_b32 s3, 0xfc00
	v_mov_b32_e32 v7, s15
	v_cmp_eq_f16_e32 vcc, s3, v8
	s_nop 1
	v_cndmask_b32_e32 v7, v8, v7, vcc
; %bb.16:
	s_or_b64 exec, exec, s[12:13]
.LBB525_17:
	s_or_b64 exec, exec, s[10:11]
	s_waitcnt vmcnt(1)
	v_cmp_o_f16_e32 vcc, v6, v6
	v_mov_b32_e32 v8, s9
	;; [unrolled: 40-line block ×3, first 2 shown]
	s_and_saveexec_b64 s[10:11], vcc
	s_cbranch_execz .LBB525_29
; %bb.26:
	s_movk_i32 s3, 0x7c00
	v_cmp_neq_f16_e32 vcc, s3, v3
	v_mov_b32_e32 v9, s8
	s_and_saveexec_b64 s[12:13], vcc
; %bb.27:
	s_mov_b32 s3, 0xfc00
	v_mov_b32_e32 v9, s15
	v_cmp_eq_f16_e32 vcc, s3, v3
	s_nop 1
	v_cndmask_b32_e32 v9, v3, v9, vcc
; %bb.28:
	s_or_b64 exec, exec, s[12:13]
.LBB525_29:
	s_or_b64 exec, exec, s[10:11]
	v_lshrrev_b32_e32 v10, 16, v3
	v_cmp_o_f16_e32 vcc, v10, v10
	v_mov_b32_e32 v3, s9
	s_and_saveexec_b64 s[10:11], vcc
	s_cbranch_execz .LBB525_33
; %bb.30:
	s_movk_i32 s3, 0x7c00
	v_cmp_neq_f16_e32 vcc, s3, v10
	v_mov_b32_e32 v3, s8
	s_and_saveexec_b64 s[12:13], vcc
; %bb.31:
	s_mov_b32 s3, 0xfc00
	v_mov_b32_e32 v3, s15
	v_cmp_eq_f16_e32 vcc, s3, v10
	s_nop 1
	v_cndmask_b32_e32 v3, v10, v3, vcc
; %bb.32:
	s_or_b64 exec, exec, s[12:13]
.LBB525_33:
	s_or_b64 exec, exec, s[10:11]
	v_and_b32_e32 v2, 0xffff, v2
	s_add_u32 s0, s4, s0
	v_and_b32_e32 v9, 0xffff, v9
	v_and_b32_e32 v8, 0xffff, v8
	;; [unrolled: 1-line block ×3, first 2 shown]
	v_lshl_or_b32 v2, v4, 16, v2
	s_addc_u32 s1, s5, s1
	v_lshl_or_b32 v6, v6, 16, v8
	v_lshl_or_b32 v5, v7, 16, v5
	;; [unrolled: 1-line block ×3, first 2 shown]
	global_store_dword v1, v2, s[0:1]
	global_store_dword v1, v5, s[0:1] offset:1024
	global_store_dword v1, v6, s[0:1] offset:2048
	;; [unrolled: 1-line block ×3, first 2 shown]
	s_mov_b64 s[0:1], 0
.LBB525_34:
	s_and_b64 vcc, exec, s[0:1]
	s_cbranch_vccz .LBB525_107
; %bb.35:
	v_cmp_gt_i32_e32 vcc, s14, v0
	v_mov_b32_e32 v8, 0
	v_or_b32_e32 v2, s2, v0
	v_mov_b32_e32 v6, 0
	v_mov_b32_e32 v4, v0
	s_and_saveexec_b64 s[0:1], vcc
	s_cbranch_execz .LBB525_37
; %bb.36:
	v_mov_b32_e32 v3, 0
	v_lshl_add_u64 v[4:5], v[2:3], 1, s[6:7]
	global_load_ushort v6, v[4:5], off
	v_or_b32_e32 v4, 0x100, v0
.LBB525_37:
	s_or_b64 exec, exec, s[0:1]
	v_cmp_gt_i32_e64 s[0:1], s14, v4
	s_and_saveexec_b64 s[10:11], s[0:1]
	s_cbranch_execz .LBB525_39
; %bb.38:
	v_add_u32_e32 v8, s2, v4
	v_mov_b32_e32 v9, 0
	v_lshl_add_u64 v[8:9], v[8:9], 1, s[6:7]
	global_load_ushort v8, v[8:9], off
	v_add_u32_e32 v4, 0x100, v4
.LBB525_39:
	s_or_b64 exec, exec, s[10:11]
	v_cmp_gt_i32_e64 s[0:1], s14, v4
	v_mov_b32_e32 v9, 0
	v_mov_b32_e32 v11, 0
	s_and_saveexec_b64 s[10:11], s[0:1]
	s_cbranch_execz .LBB525_41
; %bb.40:
	v_add_u32_e32 v10, s2, v4
	v_mov_b32_e32 v11, 0
	v_lshl_add_u64 v[10:11], v[10:11], 1, s[6:7]
	global_load_ushort v11, v[10:11], off
	v_add_u32_e32 v4, 0x100, v4
.LBB525_41:
	s_or_b64 exec, exec, s[10:11]
	v_cmp_gt_i32_e64 s[0:1], s14, v4
	s_and_saveexec_b64 s[10:11], s[0:1]
	s_cbranch_execz .LBB525_43
; %bb.42:
	v_add_u32_e32 v12, s2, v4
	v_mov_b32_e32 v13, 0
	v_lshl_add_u64 v[12:13], v[12:13], 1, s[6:7]
	global_load_ushort v9, v[12:13], off
	v_add_u32_e32 v4, 0x100, v4
.LBB525_43:
	s_or_b64 exec, exec, s[10:11]
	v_cmp_gt_i32_e64 s[0:1], s14, v4
	v_mov_b32_e32 v3, 0
	v_mov_b32_e32 v10, 0
	s_and_saveexec_b64 s[10:11], s[0:1]
	s_cbranch_execz .LBB525_45
; %bb.44:
	v_add_u32_e32 v12, s2, v4
	v_mov_b32_e32 v13, 0
	v_lshl_add_u64 v[12:13], v[12:13], 1, s[6:7]
	global_load_ushort v10, v[12:13], off
	v_add_u32_e32 v4, 0x100, v4
.LBB525_45:
	s_or_b64 exec, exec, s[10:11]
	v_cmp_gt_i32_e64 s[0:1], s14, v4
	s_and_saveexec_b64 s[10:11], s[0:1]
	s_cbranch_execz .LBB525_47
; %bb.46:
	v_add_u32_e32 v12, s2, v4
	v_mov_b32_e32 v13, 0
	v_lshl_add_u64 v[12:13], v[12:13], 1, s[6:7]
	global_load_ushort v3, v[12:13], off
	v_add_u32_e32 v4, 0x100, v4
.LBB525_47:
	s_or_b64 exec, exec, s[10:11]
	v_cmp_gt_i32_e64 s[0:1], s14, v4
	v_mov_b32_e32 v1, 0
	v_mov_b32_e32 v5, 0
	s_and_saveexec_b64 s[10:11], s[0:1]
	s_cbranch_execz .LBB525_49
; %bb.48:
	v_add_u32_e32 v12, s2, v4
	v_mov_b32_e32 v13, 0
	v_lshl_add_u64 v[12:13], v[12:13], 1, s[6:7]
	global_load_ushort v5, v[12:13], off
	v_add_u32_e32 v4, 0x100, v4
	s_or_b64 exec, exec, s[10:11]
	v_cmp_gt_i32_e64 s[0:1], s14, v4
	s_and_saveexec_b64 s[10:11], s[0:1]
	s_cbranch_execz .LBB525_51
	s_branch .LBB525_50
.LBB525_49:
	s_or_b64 exec, exec, s[10:11]
	v_cmp_gt_i32_e64 s[0:1], s14, v4
	s_and_saveexec_b64 s[10:11], s[0:1]
	s_cbranch_execz .LBB525_51
.LBB525_50:
	v_add_u32_e32 v12, s2, v4
	v_mov_b32_e32 v13, 0
	v_lshl_add_u64 v[12:13], v[12:13], 1, s[6:7]
	global_load_ushort v1, v[12:13], off
.LBB525_51:
	s_or_b64 exec, exec, s[10:11]
	s_lshr_b32 s3, s9, 16
                                        ; implicit-def: $vgpr4
	s_and_saveexec_b64 s[6:7], vcc
	s_cbranch_execz .LBB525_57
; %bb.52:
	s_waitcnt vmcnt(0)
	v_cmp_o_f16_e64 s[0:1], v6, v6
	v_mov_b32_e32 v4, s9
	s_and_saveexec_b64 s[10:11], s[0:1]
	s_cbranch_execz .LBB525_56
; %bb.53:
	s_movk_i32 s0, 0x7c00
	v_cmp_neq_f16_e64 s[0:1], s0, v6
	v_mov_b32_e32 v4, s3
	s_and_saveexec_b64 s[12:13], s[0:1]
; %bb.54:
	s_mov_b32 s0, 0xfc00
	v_mov_b32_e32 v4, s15
	v_cmp_eq_f16_e64 s[0:1], s0, v6
	s_nop 1
	v_cndmask_b32_e64 v4, v6, v4, s[0:1]
; %bb.55:
	s_or_b64 exec, exec, s[12:13]
.LBB525_56:
	s_or_b64 exec, exec, s[10:11]
.LBB525_57:
	s_or_b64 exec, exec, s[6:7]
	v_or_b32_e32 v7, 0x100, v0
	v_cmp_gt_i32_e64 s[0:1], s14, v7
                                        ; implicit-def: $vgpr6
	s_and_saveexec_b64 s[6:7], s[0:1]
	s_cbranch_execz .LBB525_63
; %bb.58:
	s_waitcnt vmcnt(0)
	v_cmp_o_f16_e64 s[0:1], v8, v8
	v_mov_b32_e32 v6, s9
	s_and_saveexec_b64 s[10:11], s[0:1]
	s_cbranch_execz .LBB525_62
; %bb.59:
	s_movk_i32 s0, 0x7c00
	v_cmp_neq_f16_e64 s[0:1], s0, v8
	v_mov_b32_e32 v6, s3
	s_and_saveexec_b64 s[12:13], s[0:1]
; %bb.60:
	s_mov_b32 s0, 0xfc00
	v_mov_b32_e32 v6, s15
	v_cmp_eq_f16_e64 s[0:1], s0, v8
	s_nop 1
	v_cndmask_b32_e64 v6, v8, v6, s[0:1]
; %bb.61:
	s_or_b64 exec, exec, s[12:13]
.LBB525_62:
	s_or_b64 exec, exec, s[10:11]
.LBB525_63:
	s_or_b64 exec, exec, s[6:7]
	s_waitcnt vmcnt(0)
	v_or_b32_e32 v8, 0x200, v0
	v_cmp_gt_i32_e64 s[0:1], s14, v8
                                        ; implicit-def: $vgpr8
	s_and_saveexec_b64 s[6:7], s[0:1]
	s_cbranch_execz .LBB525_69
; %bb.64:
	v_cmp_o_f16_e64 s[0:1], v11, v11
	v_mov_b32_e32 v8, s9
	s_and_saveexec_b64 s[10:11], s[0:1]
	s_cbranch_execz .LBB525_68
; %bb.65:
	s_movk_i32 s0, 0x7c00
	v_cmp_neq_f16_e64 s[0:1], s0, v11
	v_mov_b32_e32 v8, s3
	s_and_saveexec_b64 s[12:13], s[0:1]
; %bb.66:
	s_mov_b32 s0, 0xfc00
	v_mov_b32_e32 v8, s15
	v_cmp_eq_f16_e64 s[0:1], s0, v11
	s_nop 1
	v_cndmask_b32_e64 v8, v11, v8, s[0:1]
; %bb.67:
	s_or_b64 exec, exec, s[12:13]
.LBB525_68:
	s_or_b64 exec, exec, s[10:11]
.LBB525_69:
	s_or_b64 exec, exec, s[6:7]
	v_or_b32_e32 v11, 0x300, v0
	v_cmp_gt_i32_e64 s[0:1], s14, v11
                                        ; implicit-def: $vgpr11
	s_and_saveexec_b64 s[6:7], s[0:1]
	s_cbranch_execz .LBB525_75
; %bb.70:
	v_cmp_o_f16_e64 s[0:1], v9, v9
	v_mov_b32_e32 v11, s9
	s_and_saveexec_b64 s[10:11], s[0:1]
	s_cbranch_execz .LBB525_74
; %bb.71:
	s_movk_i32 s0, 0x7c00
	v_cmp_neq_f16_e64 s[0:1], s0, v9
	v_mov_b32_e32 v11, s3
	s_and_saveexec_b64 s[12:13], s[0:1]
; %bb.72:
	s_mov_b32 s0, 0xfc00
	v_mov_b32_e32 v11, s15
	v_cmp_eq_f16_e64 s[0:1], s0, v9
	s_nop 1
	v_cndmask_b32_e64 v11, v9, v11, s[0:1]
; %bb.73:
	s_or_b64 exec, exec, s[12:13]
.LBB525_74:
	s_or_b64 exec, exec, s[10:11]
.LBB525_75:
	s_or_b64 exec, exec, s[6:7]
	v_or_b32_e32 v9, 0x400, v0
	v_cmp_gt_i32_e64 s[0:1], s14, v9
                                        ; implicit-def: $vgpr9
	s_and_saveexec_b64 s[6:7], s[0:1]
	s_cbranch_execz .LBB525_81
; %bb.76:
	v_cmp_o_f16_e64 s[0:1], v10, v10
	v_mov_b32_e32 v9, s9
	s_and_saveexec_b64 s[10:11], s[0:1]
	s_cbranch_execz .LBB525_80
; %bb.77:
	s_movk_i32 s0, 0x7c00
	v_cmp_neq_f16_e64 s[0:1], s0, v10
	v_mov_b32_e32 v9, s3
	s_and_saveexec_b64 s[12:13], s[0:1]
; %bb.78:
	s_mov_b32 s0, 0xfc00
	v_mov_b32_e32 v9, s15
	v_cmp_eq_f16_e64 s[0:1], s0, v10
	s_nop 1
	v_cndmask_b32_e64 v9, v10, v9, s[0:1]
; %bb.79:
	s_or_b64 exec, exec, s[12:13]
.LBB525_80:
	s_or_b64 exec, exec, s[10:11]
.LBB525_81:
	s_or_b64 exec, exec, s[6:7]
	v_or_b32_e32 v10, 0x500, v0
	v_cmp_gt_i32_e64 s[0:1], s14, v10
                                        ; implicit-def: $vgpr10
	s_and_saveexec_b64 s[6:7], s[0:1]
	s_cbranch_execz .LBB525_87
; %bb.82:
	v_cmp_o_f16_e64 s[0:1], v3, v3
	v_mov_b32_e32 v10, s9
	s_and_saveexec_b64 s[10:11], s[0:1]
	s_cbranch_execz .LBB525_86
; %bb.83:
	s_movk_i32 s0, 0x7c00
	v_cmp_neq_f16_e64 s[0:1], s0, v3
	v_mov_b32_e32 v10, s3
	s_and_saveexec_b64 s[12:13], s[0:1]
; %bb.84:
	s_mov_b32 s0, 0xfc00
	v_mov_b32_e32 v10, s15
	v_cmp_eq_f16_e64 s[0:1], s0, v3
	s_nop 1
	v_cndmask_b32_e64 v10, v3, v10, s[0:1]
; %bb.85:
	s_or_b64 exec, exec, s[12:13]
.LBB525_86:
	s_or_b64 exec, exec, s[10:11]
.LBB525_87:
	s_or_b64 exec, exec, s[6:7]
	v_or_b32_e32 v3, 0x600, v0
	v_cmp_gt_i32_e64 s[0:1], s14, v3
                                        ; implicit-def: $vgpr12
	s_and_saveexec_b64 s[6:7], s[0:1]
	s_cbranch_execz .LBB525_93
; %bb.88:
	v_cmp_o_f16_e64 s[0:1], v5, v5
	v_mov_b32_e32 v12, s9
	s_and_saveexec_b64 s[10:11], s[0:1]
	s_cbranch_execz .LBB525_92
; %bb.89:
	s_movk_i32 s0, 0x7c00
	v_cmp_neq_f16_e64 s[0:1], s0, v5
	v_mov_b32_e32 v12, s3
	s_and_saveexec_b64 s[12:13], s[0:1]
; %bb.90:
	s_mov_b32 s0, 0xfc00
	v_mov_b32_e32 v3, s15
	v_cmp_eq_f16_e64 s[0:1], s0, v5
	s_nop 1
	v_cndmask_b32_e64 v12, v5, v3, s[0:1]
; %bb.91:
	s_or_b64 exec, exec, s[12:13]
.LBB525_92:
	s_or_b64 exec, exec, s[10:11]
.LBB525_93:
	s_or_b64 exec, exec, s[6:7]
	v_or_b32_e32 v3, 0x700, v0
	v_cmp_gt_i32_e64 s[0:1], s14, v3
                                        ; implicit-def: $vgpr5
	s_and_saveexec_b64 s[6:7], s[0:1]
	s_cbranch_execz .LBB525_108
; %bb.94:
	v_cmp_o_f16_e64 s[0:1], v1, v1
	v_mov_b32_e32 v5, s9
	s_and_saveexec_b64 s[8:9], s[0:1]
	s_cbranch_execz .LBB525_98
; %bb.95:
	s_movk_i32 s0, 0x7c00
	v_cmp_neq_f16_e64 s[0:1], s0, v1
	v_mov_b32_e32 v5, s3
	s_and_saveexec_b64 s[10:11], s[0:1]
; %bb.96:
	s_mov_b32 s0, 0xfc00
	v_mov_b32_e32 v3, s15
	v_cmp_eq_f16_e64 s[0:1], s0, v1
	s_nop 1
	v_cndmask_b32_e64 v5, v1, v3, s[0:1]
; %bb.97:
	s_or_b64 exec, exec, s[10:11]
.LBB525_98:
	s_or_b64 exec, exec, s[8:9]
	s_or_b64 exec, exec, s[6:7]
	s_and_saveexec_b64 s[0:1], vcc
	s_xor_b64 s[0:1], exec, s[0:1]
	s_cbranch_execnz .LBB525_109
.LBB525_99:
	s_or_b64 exec, exec, s[0:1]
	v_cmp_gt_i32_e32 vcc, s14, v0
	s_and_saveexec_b64 s[0:1], vcc
	s_cbranch_execz .LBB525_110
.LBB525_100:
	v_add_u32_e32 v2, s2, v0
	v_mov_b32_e32 v3, 0
	v_lshl_add_u64 v[2:3], v[2:3], 1, s[4:5]
	v_add_u32_e32 v0, 0x100, v0
	global_store_short v[2:3], v6, off
	s_or_b64 exec, exec, s[0:1]
	v_cmp_gt_i32_e32 vcc, s14, v0
	s_and_saveexec_b64 s[0:1], vcc
	s_cbranch_execnz .LBB525_111
.LBB525_101:
	s_or_b64 exec, exec, s[0:1]
	v_cmp_gt_i32_e32 vcc, s14, v0
	s_and_saveexec_b64 s[0:1], vcc
	s_cbranch_execz .LBB525_112
.LBB525_102:
	v_add_u32_e32 v2, s2, v0
	v_mov_b32_e32 v3, 0
	v_lshl_add_u64 v[2:3], v[2:3], 1, s[4:5]
	v_add_u32_e32 v0, 0x100, v0
	global_store_short v[2:3], v11, off
	s_or_b64 exec, exec, s[0:1]
	v_cmp_gt_i32_e32 vcc, s14, v0
	s_and_saveexec_b64 s[0:1], vcc
	s_cbranch_execnz .LBB525_113
.LBB525_103:
	s_or_b64 exec, exec, s[0:1]
	v_cmp_gt_i32_e32 vcc, s14, v0
	s_and_saveexec_b64 s[0:1], vcc
	s_cbranch_execz .LBB525_114
.LBB525_104:
	v_add_u32_e32 v2, s2, v0
	v_mov_b32_e32 v3, 0
	v_lshl_add_u64 v[2:3], v[2:3], 1, s[4:5]
	v_add_u32_e32 v0, 0x100, v0
	global_store_short v[2:3], v10, off
	s_or_b64 exec, exec, s[0:1]
	v_cmp_gt_i32_e32 vcc, s14, v0
	s_and_saveexec_b64 s[0:1], vcc
	s_cbranch_execnz .LBB525_115
.LBB525_105:
	s_or_b64 exec, exec, s[0:1]
	v_cmp_gt_i32_e32 vcc, s14, v0
	s_and_saveexec_b64 s[0:1], vcc
	s_cbranch_execz .LBB525_107
.LBB525_106:
	v_add_u32_e32 v0, s2, v0
	v_mov_b32_e32 v1, 0
	v_lshl_add_u64 v[0:1], v[0:1], 1, s[4:5]
	global_store_short v[0:1], v5, off
.LBB525_107:
	s_endpgm
.LBB525_108:
	s_or_b64 exec, exec, s[6:7]
	s_and_saveexec_b64 s[0:1], vcc
	s_xor_b64 s[0:1], exec, s[0:1]
	s_cbranch_execz .LBB525_99
.LBB525_109:
	v_mov_b32_e32 v3, 0
	v_lshl_add_u64 v[0:1], v[2:3], 1, s[4:5]
	global_store_short v[0:1], v4, off
	v_mov_b32_e32 v0, v7
	s_or_b64 exec, exec, s[0:1]
	v_cmp_gt_i32_e32 vcc, s14, v0
	s_and_saveexec_b64 s[0:1], vcc
	s_cbranch_execnz .LBB525_100
.LBB525_110:
	s_or_b64 exec, exec, s[0:1]
	v_cmp_gt_i32_e32 vcc, s14, v0
	s_and_saveexec_b64 s[0:1], vcc
	s_cbranch_execz .LBB525_101
.LBB525_111:
	v_add_u32_e32 v2, s2, v0
	v_mov_b32_e32 v3, 0
	v_lshl_add_u64 v[2:3], v[2:3], 1, s[4:5]
	v_add_u32_e32 v0, 0x100, v0
	global_store_short v[2:3], v8, off
	s_or_b64 exec, exec, s[0:1]
	v_cmp_gt_i32_e32 vcc, s14, v0
	s_and_saveexec_b64 s[0:1], vcc
	s_cbranch_execnz .LBB525_102
.LBB525_112:
	s_or_b64 exec, exec, s[0:1]
	v_cmp_gt_i32_e32 vcc, s14, v0
	s_and_saveexec_b64 s[0:1], vcc
	s_cbranch_execz .LBB525_103
.LBB525_113:
	v_add_u32_e32 v2, s2, v0
	v_mov_b32_e32 v3, 0
	v_lshl_add_u64 v[2:3], v[2:3], 1, s[4:5]
	v_add_u32_e32 v0, 0x100, v0
	global_store_short v[2:3], v9, off
	s_or_b64 exec, exec, s[0:1]
	v_cmp_gt_i32_e32 vcc, s14, v0
	s_and_saveexec_b64 s[0:1], vcc
	s_cbranch_execnz .LBB525_104
.LBB525_114:
	s_or_b64 exec, exec, s[0:1]
	v_cmp_gt_i32_e32 vcc, s14, v0
	s_and_saveexec_b64 s[0:1], vcc
	s_cbranch_execz .LBB525_105
.LBB525_115:
	v_add_u32_e32 v2, s2, v0
	v_mov_b32_e32 v3, 0
	v_lshl_add_u64 v[2:3], v[2:3], 1, s[4:5]
	v_add_u32_e32 v0, 0x100, v0
	global_store_short v[2:3], v12, off
	s_or_b64 exec, exec, s[0:1]
	v_cmp_gt_i32_e32 vcc, s14, v0
	s_and_saveexec_b64 s[0:1], vcc
	s_cbranch_execnz .LBB525_106
	s_branch .LBB525_107
	.section	.rodata,"a",@progbits
	.p2align	6, 0x0
	.amdhsa_kernel _ZN2at6native29vectorized_elementwise_kernelILi2EZZZNS0_22nan_to_num_kernel_cudaERNS_18TensorIteratorBaseESt8optionalIdES5_S5_ENKUlvE0_clEvENKUlvE1_clEvEUlN3c104HalfEE_St5arrayIPcLm2EEEEviT0_T1_
		.amdhsa_group_segment_fixed_size 0
		.amdhsa_private_segment_fixed_size 0
		.amdhsa_kernarg_size 32
		.amdhsa_user_sgpr_count 2
		.amdhsa_user_sgpr_dispatch_ptr 0
		.amdhsa_user_sgpr_queue_ptr 0
		.amdhsa_user_sgpr_kernarg_segment_ptr 1
		.amdhsa_user_sgpr_dispatch_id 0
		.amdhsa_user_sgpr_kernarg_preload_length 0
		.amdhsa_user_sgpr_kernarg_preload_offset 0
		.amdhsa_user_sgpr_private_segment_size 0
		.amdhsa_uses_dynamic_stack 0
		.amdhsa_enable_private_segment 0
		.amdhsa_system_sgpr_workgroup_id_x 1
		.amdhsa_system_sgpr_workgroup_id_y 0
		.amdhsa_system_sgpr_workgroup_id_z 0
		.amdhsa_system_sgpr_workgroup_info 0
		.amdhsa_system_vgpr_workitem_id 0
		.amdhsa_next_free_vgpr 14
		.amdhsa_next_free_sgpr 16
		.amdhsa_accum_offset 16
		.amdhsa_reserve_vcc 1
		.amdhsa_float_round_mode_32 0
		.amdhsa_float_round_mode_16_64 0
		.amdhsa_float_denorm_mode_32 3
		.amdhsa_float_denorm_mode_16_64 3
		.amdhsa_dx10_clamp 1
		.amdhsa_ieee_mode 1
		.amdhsa_fp16_overflow 0
		.amdhsa_tg_split 0
		.amdhsa_exception_fp_ieee_invalid_op 0
		.amdhsa_exception_fp_denorm_src 0
		.amdhsa_exception_fp_ieee_div_zero 0
		.amdhsa_exception_fp_ieee_overflow 0
		.amdhsa_exception_fp_ieee_underflow 0
		.amdhsa_exception_fp_ieee_inexact 0
		.amdhsa_exception_int_div_zero 0
	.end_amdhsa_kernel
	.section	.text._ZN2at6native29vectorized_elementwise_kernelILi2EZZZNS0_22nan_to_num_kernel_cudaERNS_18TensorIteratorBaseESt8optionalIdES5_S5_ENKUlvE0_clEvENKUlvE1_clEvEUlN3c104HalfEE_St5arrayIPcLm2EEEEviT0_T1_,"axG",@progbits,_ZN2at6native29vectorized_elementwise_kernelILi2EZZZNS0_22nan_to_num_kernel_cudaERNS_18TensorIteratorBaseESt8optionalIdES5_S5_ENKUlvE0_clEvENKUlvE1_clEvEUlN3c104HalfEE_St5arrayIPcLm2EEEEviT0_T1_,comdat
.Lfunc_end525:
	.size	_ZN2at6native29vectorized_elementwise_kernelILi2EZZZNS0_22nan_to_num_kernel_cudaERNS_18TensorIteratorBaseESt8optionalIdES5_S5_ENKUlvE0_clEvENKUlvE1_clEvEUlN3c104HalfEE_St5arrayIPcLm2EEEEviT0_T1_, .Lfunc_end525-_ZN2at6native29vectorized_elementwise_kernelILi2EZZZNS0_22nan_to_num_kernel_cudaERNS_18TensorIteratorBaseESt8optionalIdES5_S5_ENKUlvE0_clEvENKUlvE1_clEvEUlN3c104HalfEE_St5arrayIPcLm2EEEEviT0_T1_
                                        ; -- End function
	.set _ZN2at6native29vectorized_elementwise_kernelILi2EZZZNS0_22nan_to_num_kernel_cudaERNS_18TensorIteratorBaseESt8optionalIdES5_S5_ENKUlvE0_clEvENKUlvE1_clEvEUlN3c104HalfEE_St5arrayIPcLm2EEEEviT0_T1_.num_vgpr, 14
	.set _ZN2at6native29vectorized_elementwise_kernelILi2EZZZNS0_22nan_to_num_kernel_cudaERNS_18TensorIteratorBaseESt8optionalIdES5_S5_ENKUlvE0_clEvENKUlvE1_clEvEUlN3c104HalfEE_St5arrayIPcLm2EEEEviT0_T1_.num_agpr, 0
	.set _ZN2at6native29vectorized_elementwise_kernelILi2EZZZNS0_22nan_to_num_kernel_cudaERNS_18TensorIteratorBaseESt8optionalIdES5_S5_ENKUlvE0_clEvENKUlvE1_clEvEUlN3c104HalfEE_St5arrayIPcLm2EEEEviT0_T1_.numbered_sgpr, 16
	.set _ZN2at6native29vectorized_elementwise_kernelILi2EZZZNS0_22nan_to_num_kernel_cudaERNS_18TensorIteratorBaseESt8optionalIdES5_S5_ENKUlvE0_clEvENKUlvE1_clEvEUlN3c104HalfEE_St5arrayIPcLm2EEEEviT0_T1_.num_named_barrier, 0
	.set _ZN2at6native29vectorized_elementwise_kernelILi2EZZZNS0_22nan_to_num_kernel_cudaERNS_18TensorIteratorBaseESt8optionalIdES5_S5_ENKUlvE0_clEvENKUlvE1_clEvEUlN3c104HalfEE_St5arrayIPcLm2EEEEviT0_T1_.private_seg_size, 0
	.set _ZN2at6native29vectorized_elementwise_kernelILi2EZZZNS0_22nan_to_num_kernel_cudaERNS_18TensorIteratorBaseESt8optionalIdES5_S5_ENKUlvE0_clEvENKUlvE1_clEvEUlN3c104HalfEE_St5arrayIPcLm2EEEEviT0_T1_.uses_vcc, 1
	.set _ZN2at6native29vectorized_elementwise_kernelILi2EZZZNS0_22nan_to_num_kernel_cudaERNS_18TensorIteratorBaseESt8optionalIdES5_S5_ENKUlvE0_clEvENKUlvE1_clEvEUlN3c104HalfEE_St5arrayIPcLm2EEEEviT0_T1_.uses_flat_scratch, 0
	.set _ZN2at6native29vectorized_elementwise_kernelILi2EZZZNS0_22nan_to_num_kernel_cudaERNS_18TensorIteratorBaseESt8optionalIdES5_S5_ENKUlvE0_clEvENKUlvE1_clEvEUlN3c104HalfEE_St5arrayIPcLm2EEEEviT0_T1_.has_dyn_sized_stack, 0
	.set _ZN2at6native29vectorized_elementwise_kernelILi2EZZZNS0_22nan_to_num_kernel_cudaERNS_18TensorIteratorBaseESt8optionalIdES5_S5_ENKUlvE0_clEvENKUlvE1_clEvEUlN3c104HalfEE_St5arrayIPcLm2EEEEviT0_T1_.has_recursion, 0
	.set _ZN2at6native29vectorized_elementwise_kernelILi2EZZZNS0_22nan_to_num_kernel_cudaERNS_18TensorIteratorBaseESt8optionalIdES5_S5_ENKUlvE0_clEvENKUlvE1_clEvEUlN3c104HalfEE_St5arrayIPcLm2EEEEviT0_T1_.has_indirect_call, 0
	.section	.AMDGPU.csdata,"",@progbits
; Kernel info:
; codeLenInByte = 2600
; TotalNumSgprs: 22
; NumVgprs: 14
; NumAgprs: 0
; TotalNumVgprs: 14
; ScratchSize: 0
; MemoryBound: 0
; FloatMode: 240
; IeeeMode: 1
; LDSByteSize: 0 bytes/workgroup (compile time only)
; SGPRBlocks: 2
; VGPRBlocks: 1
; NumSGPRsForWavesPerEU: 22
; NumVGPRsForWavesPerEU: 14
; AccumOffset: 16
; Occupancy: 8
; WaveLimiterHint : 1
; COMPUTE_PGM_RSRC2:SCRATCH_EN: 0
; COMPUTE_PGM_RSRC2:USER_SGPR: 2
; COMPUTE_PGM_RSRC2:TRAP_HANDLER: 0
; COMPUTE_PGM_RSRC2:TGID_X_EN: 1
; COMPUTE_PGM_RSRC2:TGID_Y_EN: 0
; COMPUTE_PGM_RSRC2:TGID_Z_EN: 0
; COMPUTE_PGM_RSRC2:TIDIG_COMP_CNT: 0
; COMPUTE_PGM_RSRC3_GFX90A:ACCUM_OFFSET: 3
; COMPUTE_PGM_RSRC3_GFX90A:TG_SPLIT: 0
	.section	.text._ZN2at6native27unrolled_elementwise_kernelIZZZNS0_22nan_to_num_kernel_cudaERNS_18TensorIteratorBaseESt8optionalIdES5_S5_ENKUlvE0_clEvENKUlvE1_clEvEUlN3c104HalfEE_St5arrayIPcLm2EELi4E23TrivialOffsetCalculatorILi1EjESF_NS0_6memory15LoadWithoutCastENSG_16StoreWithoutCastEEEviT_T0_T2_T3_T4_T5_,"axG",@progbits,_ZN2at6native27unrolled_elementwise_kernelIZZZNS0_22nan_to_num_kernel_cudaERNS_18TensorIteratorBaseESt8optionalIdES5_S5_ENKUlvE0_clEvENKUlvE1_clEvEUlN3c104HalfEE_St5arrayIPcLm2EELi4E23TrivialOffsetCalculatorILi1EjESF_NS0_6memory15LoadWithoutCastENSG_16StoreWithoutCastEEEviT_T0_T2_T3_T4_T5_,comdat
	.globl	_ZN2at6native27unrolled_elementwise_kernelIZZZNS0_22nan_to_num_kernel_cudaERNS_18TensorIteratorBaseESt8optionalIdES5_S5_ENKUlvE0_clEvENKUlvE1_clEvEUlN3c104HalfEE_St5arrayIPcLm2EELi4E23TrivialOffsetCalculatorILi1EjESF_NS0_6memory15LoadWithoutCastENSG_16StoreWithoutCastEEEviT_T0_T2_T3_T4_T5_ ; -- Begin function _ZN2at6native27unrolled_elementwise_kernelIZZZNS0_22nan_to_num_kernel_cudaERNS_18TensorIteratorBaseESt8optionalIdES5_S5_ENKUlvE0_clEvENKUlvE1_clEvEUlN3c104HalfEE_St5arrayIPcLm2EELi4E23TrivialOffsetCalculatorILi1EjESF_NS0_6memory15LoadWithoutCastENSG_16StoreWithoutCastEEEviT_T0_T2_T3_T4_T5_
	.p2align	8
	.type	_ZN2at6native27unrolled_elementwise_kernelIZZZNS0_22nan_to_num_kernel_cudaERNS_18TensorIteratorBaseESt8optionalIdES5_S5_ENKUlvE0_clEvENKUlvE1_clEvEUlN3c104HalfEE_St5arrayIPcLm2EELi4E23TrivialOffsetCalculatorILi1EjESF_NS0_6memory15LoadWithoutCastENSG_16StoreWithoutCastEEEviT_T0_T2_T3_T4_T5_,@function
_ZN2at6native27unrolled_elementwise_kernelIZZZNS0_22nan_to_num_kernel_cudaERNS_18TensorIteratorBaseESt8optionalIdES5_S5_ENKUlvE0_clEvENKUlvE1_clEvEUlN3c104HalfEE_St5arrayIPcLm2EELi4E23TrivialOffsetCalculatorILi1EjESF_NS0_6memory15LoadWithoutCastENSG_16StoreWithoutCastEEEviT_T0_T2_T3_T4_T5_: ; @_ZN2at6native27unrolled_elementwise_kernelIZZZNS0_22nan_to_num_kernel_cudaERNS_18TensorIteratorBaseESt8optionalIdES5_S5_ENKUlvE0_clEvENKUlvE1_clEvEUlN3c104HalfEE_St5arrayIPcLm2EELi4E23TrivialOffsetCalculatorILi1EjESF_NS0_6memory15LoadWithoutCastENSG_16StoreWithoutCastEEEviT_T0_T2_T3_T4_T5_
; %bb.0:
	s_load_dwordx2 s[8:9], s[0:1], 0x0
	s_load_dwordx4 s[4:7], s[0:1], 0x10
	s_lshl_b32 s12, s2, 10
	v_mov_b32_e32 v5, 0
	v_or_b32_e32 v2, s12, v0
	s_waitcnt lgkmcnt(0)
	s_sub_i32 s13, s8, s12
	v_cmp_gt_i32_e32 vcc, s13, v0
	v_mov_b32_e32 v6, 0
	v_mov_b32_e32 v4, v0
	s_and_saveexec_b64 s[2:3], vcc
	s_cbranch_execz .LBB526_2
; %bb.1:
	v_mov_b32_e32 v3, 0
	v_lshl_add_u64 v[6:7], v[2:3], 1, s[6:7]
	global_load_ushort v6, v[6:7], off
	v_or_b32_e32 v4, 0x100, v0
.LBB526_2:
	s_or_b64 exec, exec, s[2:3]
	v_cmp_gt_i32_e64 s[2:3], s13, v4
	s_and_saveexec_b64 s[10:11], s[2:3]
	s_cbranch_execz .LBB526_4
; %bb.3:
	v_add_u32_e32 v8, s12, v4
	v_mov_b32_e32 v9, 0
	v_lshl_add_u64 v[8:9], v[8:9], 1, s[6:7]
	global_load_ushort v5, v[8:9], off
	v_add_u32_e32 v4, 0x100, v4
.LBB526_4:
	s_or_b64 exec, exec, s[10:11]
	v_cmp_gt_i32_e64 s[2:3], s13, v4
	v_mov_b32_e32 v1, 0
	v_mov_b32_e32 v3, 0
	s_and_saveexec_b64 s[10:11], s[2:3]
	s_cbranch_execz .LBB526_6
; %bb.5:
	v_add_u32_e32 v8, s12, v4
	v_mov_b32_e32 v9, 0
	v_lshl_add_u64 v[8:9], v[8:9], 1, s[6:7]
	global_load_ushort v3, v[8:9], off
	v_add_u32_e32 v4, 0x100, v4
.LBB526_6:
	s_or_b64 exec, exec, s[10:11]
	s_load_dword s14, s[0:1], 0x8
	v_cmp_gt_i32_e64 s[0:1], s13, v4
	s_and_saveexec_b64 s[2:3], s[0:1]
	s_cbranch_execz .LBB526_8
; %bb.7:
	v_add_u32_e32 v8, s12, v4
	v_mov_b32_e32 v9, 0
	v_lshl_add_u64 v[8:9], v[8:9], 1, s[6:7]
	global_load_ushort v1, v[8:9], off
.LBB526_8:
	s_or_b64 exec, exec, s[2:3]
	s_lshr_b32 s8, s9, 16
                                        ; implicit-def: $vgpr4
	s_and_saveexec_b64 s[2:3], vcc
	s_cbranch_execz .LBB526_14
; %bb.9:
	s_waitcnt vmcnt(0)
	v_cmp_o_f16_e64 s[0:1], v6, v6
	v_mov_b32_e32 v4, s9
	s_and_saveexec_b64 s[6:7], s[0:1]
	s_cbranch_execz .LBB526_13
; %bb.10:
	s_movk_i32 s0, 0x7c00
	v_cmp_neq_f16_e64 s[0:1], s0, v6
	v_mov_b32_e32 v4, s8
	s_and_saveexec_b64 s[10:11], s[0:1]
	s_cbranch_execz .LBB526_12
; %bb.11:
	s_mov_b32 s0, 0xfc00
	s_waitcnt lgkmcnt(0)
	v_mov_b32_e32 v4, s14
	v_cmp_eq_f16_e64 s[0:1], s0, v6
	s_nop 1
	v_cndmask_b32_e64 v4, v6, v4, s[0:1]
.LBB526_12:
	s_or_b64 exec, exec, s[10:11]
.LBB526_13:
	s_or_b64 exec, exec, s[6:7]
.LBB526_14:
	s_or_b64 exec, exec, s[2:3]
	v_or_b32_e32 v7, 0x100, v0
	v_cmp_gt_i32_e64 s[0:1], s13, v7
                                        ; implicit-def: $vgpr6
	s_and_saveexec_b64 s[2:3], s[0:1]
	s_cbranch_execz .LBB526_20
; %bb.15:
	s_waitcnt vmcnt(0)
	v_cmp_o_f16_e64 s[0:1], v5, v5
	v_mov_b32_e32 v6, s9
	s_and_saveexec_b64 s[6:7], s[0:1]
	s_cbranch_execz .LBB526_19
; %bb.16:
	s_movk_i32 s0, 0x7c00
	v_cmp_neq_f16_e64 s[0:1], s0, v5
	v_mov_b32_e32 v6, s8
	s_and_saveexec_b64 s[10:11], s[0:1]
	s_cbranch_execz .LBB526_18
; %bb.17:
	s_mov_b32 s0, 0xfc00
	s_waitcnt lgkmcnt(0)
	v_mov_b32_e32 v6, s14
	v_cmp_eq_f16_e64 s[0:1], s0, v5
	s_nop 1
	v_cndmask_b32_e64 v6, v5, v6, s[0:1]
.LBB526_18:
	s_or_b64 exec, exec, s[10:11]
.LBB526_19:
	s_or_b64 exec, exec, s[6:7]
.LBB526_20:
	s_or_b64 exec, exec, s[2:3]
	s_waitcnt vmcnt(0)
	v_or_b32_e32 v5, 0x200, v0
	v_cmp_gt_i32_e64 s[0:1], s13, v5
                                        ; implicit-def: $vgpr5
	s_and_saveexec_b64 s[2:3], s[0:1]
	s_cbranch_execz .LBB526_26
; %bb.21:
	v_cmp_o_f16_e64 s[0:1], v3, v3
	v_mov_b32_e32 v5, s9
	s_and_saveexec_b64 s[6:7], s[0:1]
	s_cbranch_execz .LBB526_25
; %bb.22:
	s_movk_i32 s0, 0x7c00
	v_cmp_neq_f16_e64 s[0:1], s0, v3
	v_mov_b32_e32 v5, s8
	s_and_saveexec_b64 s[10:11], s[0:1]
	s_cbranch_execz .LBB526_24
; %bb.23:
	s_mov_b32 s0, 0xfc00
	s_waitcnt lgkmcnt(0)
	v_mov_b32_e32 v5, s14
	v_cmp_eq_f16_e64 s[0:1], s0, v3
	s_nop 1
	v_cndmask_b32_e64 v5, v3, v5, s[0:1]
.LBB526_24:
	s_or_b64 exec, exec, s[10:11]
.LBB526_25:
	s_or_b64 exec, exec, s[6:7]
.LBB526_26:
	s_or_b64 exec, exec, s[2:3]
	v_or_b32_e32 v3, 0x300, v0
	v_cmp_gt_i32_e64 s[0:1], s13, v3
                                        ; implicit-def: $vgpr8
	s_and_saveexec_b64 s[2:3], s[0:1]
	s_cbranch_execnz .LBB526_32
; %bb.27:
	s_or_b64 exec, exec, s[2:3]
	s_and_saveexec_b64 s[0:1], vcc
	s_xor_b64 s[0:1], exec, s[0:1]
	s_cbranch_execnz .LBB526_37
.LBB526_28:
	s_or_b64 exec, exec, s[0:1]
	v_cmp_gt_i32_e32 vcc, s13, v0
	s_and_saveexec_b64 s[0:1], vcc
	s_cbranch_execnz .LBB526_38
.LBB526_29:
	s_or_b64 exec, exec, s[0:1]
	v_cmp_gt_i32_e32 vcc, s13, v0
	s_and_saveexec_b64 s[0:1], vcc
	s_cbranch_execnz .LBB526_39
.LBB526_30:
	s_or_b64 exec, exec, s[0:1]
	v_cmp_gt_i32_e32 vcc, s13, v0
	s_and_saveexec_b64 s[0:1], vcc
	s_cbranch_execnz .LBB526_40
.LBB526_31:
	s_endpgm
.LBB526_32:
	v_cmp_o_f16_e64 s[0:1], v1, v1
	v_mov_b32_e32 v8, s9
	s_and_saveexec_b64 s[6:7], s[0:1]
	s_cbranch_execz .LBB526_36
; %bb.33:
	s_movk_i32 s0, 0x7c00
	v_cmp_neq_f16_e64 s[0:1], s0, v1
	v_mov_b32_e32 v8, s8
	s_and_saveexec_b64 s[8:9], s[0:1]
	s_cbranch_execz .LBB526_35
; %bb.34:
	s_mov_b32 s0, 0xfc00
	s_waitcnt lgkmcnt(0)
	v_mov_b32_e32 v3, s14
	v_cmp_eq_f16_e64 s[0:1], s0, v1
	s_nop 1
	v_cndmask_b32_e64 v8, v1, v3, s[0:1]
.LBB526_35:
	s_or_b64 exec, exec, s[8:9]
.LBB526_36:
	s_or_b64 exec, exec, s[6:7]
	s_or_b64 exec, exec, s[2:3]
	s_and_saveexec_b64 s[0:1], vcc
	s_xor_b64 s[0:1], exec, s[0:1]
	s_cbranch_execz .LBB526_28
.LBB526_37:
	v_mov_b32_e32 v3, 0
	v_lshl_add_u64 v[0:1], v[2:3], 1, s[4:5]
	global_store_short v[0:1], v4, off
	v_mov_b32_e32 v0, v7
	s_or_b64 exec, exec, s[0:1]
	v_cmp_gt_i32_e32 vcc, s13, v0
	s_and_saveexec_b64 s[0:1], vcc
	s_cbranch_execz .LBB526_29
.LBB526_38:
	v_add_u32_e32 v2, 0x100, v0
	v_add_u32_e32 v0, s12, v0
	v_mov_b32_e32 v1, 0
	v_lshl_add_u64 v[0:1], v[0:1], 1, s[4:5]
	global_store_short v[0:1], v6, off
	v_mov_b32_e32 v0, v2
	s_or_b64 exec, exec, s[0:1]
	v_cmp_gt_i32_e32 vcc, s13, v0
	s_and_saveexec_b64 s[0:1], vcc
	s_cbranch_execz .LBB526_30
.LBB526_39:
	v_add_u32_e32 v2, 0x100, v0
	v_add_u32_e32 v0, s12, v0
	v_mov_b32_e32 v1, 0
	v_lshl_add_u64 v[0:1], v[0:1], 1, s[4:5]
	global_store_short v[0:1], v5, off
	v_mov_b32_e32 v0, v2
	s_or_b64 exec, exec, s[0:1]
	v_cmp_gt_i32_e32 vcc, s13, v0
	s_and_saveexec_b64 s[0:1], vcc
	s_cbranch_execz .LBB526_31
.LBB526_40:
	v_add_u32_e32 v0, s12, v0
	v_mov_b32_e32 v1, 0
	v_lshl_add_u64 v[0:1], v[0:1], 1, s[4:5]
	global_store_short v[0:1], v8, off
	s_endpgm
	.section	.rodata,"a",@progbits
	.p2align	6, 0x0
	.amdhsa_kernel _ZN2at6native27unrolled_elementwise_kernelIZZZNS0_22nan_to_num_kernel_cudaERNS_18TensorIteratorBaseESt8optionalIdES5_S5_ENKUlvE0_clEvENKUlvE1_clEvEUlN3c104HalfEE_St5arrayIPcLm2EELi4E23TrivialOffsetCalculatorILi1EjESF_NS0_6memory15LoadWithoutCastENSG_16StoreWithoutCastEEEviT_T0_T2_T3_T4_T5_
		.amdhsa_group_segment_fixed_size 0
		.amdhsa_private_segment_fixed_size 0
		.amdhsa_kernarg_size 36
		.amdhsa_user_sgpr_count 2
		.amdhsa_user_sgpr_dispatch_ptr 0
		.amdhsa_user_sgpr_queue_ptr 0
		.amdhsa_user_sgpr_kernarg_segment_ptr 1
		.amdhsa_user_sgpr_dispatch_id 0
		.amdhsa_user_sgpr_kernarg_preload_length 0
		.amdhsa_user_sgpr_kernarg_preload_offset 0
		.amdhsa_user_sgpr_private_segment_size 0
		.amdhsa_uses_dynamic_stack 0
		.amdhsa_enable_private_segment 0
		.amdhsa_system_sgpr_workgroup_id_x 1
		.amdhsa_system_sgpr_workgroup_id_y 0
		.amdhsa_system_sgpr_workgroup_id_z 0
		.amdhsa_system_sgpr_workgroup_info 0
		.amdhsa_system_vgpr_workitem_id 0
		.amdhsa_next_free_vgpr 10
		.amdhsa_next_free_sgpr 15
		.amdhsa_accum_offset 12
		.amdhsa_reserve_vcc 1
		.amdhsa_float_round_mode_32 0
		.amdhsa_float_round_mode_16_64 0
		.amdhsa_float_denorm_mode_32 3
		.amdhsa_float_denorm_mode_16_64 3
		.amdhsa_dx10_clamp 1
		.amdhsa_ieee_mode 1
		.amdhsa_fp16_overflow 0
		.amdhsa_tg_split 0
		.amdhsa_exception_fp_ieee_invalid_op 0
		.amdhsa_exception_fp_denorm_src 0
		.amdhsa_exception_fp_ieee_div_zero 0
		.amdhsa_exception_fp_ieee_overflow 0
		.amdhsa_exception_fp_ieee_underflow 0
		.amdhsa_exception_fp_ieee_inexact 0
		.amdhsa_exception_int_div_zero 0
	.end_amdhsa_kernel
	.section	.text._ZN2at6native27unrolled_elementwise_kernelIZZZNS0_22nan_to_num_kernel_cudaERNS_18TensorIteratorBaseESt8optionalIdES5_S5_ENKUlvE0_clEvENKUlvE1_clEvEUlN3c104HalfEE_St5arrayIPcLm2EELi4E23TrivialOffsetCalculatorILi1EjESF_NS0_6memory15LoadWithoutCastENSG_16StoreWithoutCastEEEviT_T0_T2_T3_T4_T5_,"axG",@progbits,_ZN2at6native27unrolled_elementwise_kernelIZZZNS0_22nan_to_num_kernel_cudaERNS_18TensorIteratorBaseESt8optionalIdES5_S5_ENKUlvE0_clEvENKUlvE1_clEvEUlN3c104HalfEE_St5arrayIPcLm2EELi4E23TrivialOffsetCalculatorILi1EjESF_NS0_6memory15LoadWithoutCastENSG_16StoreWithoutCastEEEviT_T0_T2_T3_T4_T5_,comdat
.Lfunc_end526:
	.size	_ZN2at6native27unrolled_elementwise_kernelIZZZNS0_22nan_to_num_kernel_cudaERNS_18TensorIteratorBaseESt8optionalIdES5_S5_ENKUlvE0_clEvENKUlvE1_clEvEUlN3c104HalfEE_St5arrayIPcLm2EELi4E23TrivialOffsetCalculatorILi1EjESF_NS0_6memory15LoadWithoutCastENSG_16StoreWithoutCastEEEviT_T0_T2_T3_T4_T5_, .Lfunc_end526-_ZN2at6native27unrolled_elementwise_kernelIZZZNS0_22nan_to_num_kernel_cudaERNS_18TensorIteratorBaseESt8optionalIdES5_S5_ENKUlvE0_clEvENKUlvE1_clEvEUlN3c104HalfEE_St5arrayIPcLm2EELi4E23TrivialOffsetCalculatorILi1EjESF_NS0_6memory15LoadWithoutCastENSG_16StoreWithoutCastEEEviT_T0_T2_T3_T4_T5_
                                        ; -- End function
	.set _ZN2at6native27unrolled_elementwise_kernelIZZZNS0_22nan_to_num_kernel_cudaERNS_18TensorIteratorBaseESt8optionalIdES5_S5_ENKUlvE0_clEvENKUlvE1_clEvEUlN3c104HalfEE_St5arrayIPcLm2EELi4E23TrivialOffsetCalculatorILi1EjESF_NS0_6memory15LoadWithoutCastENSG_16StoreWithoutCastEEEviT_T0_T2_T3_T4_T5_.num_vgpr, 10
	.set _ZN2at6native27unrolled_elementwise_kernelIZZZNS0_22nan_to_num_kernel_cudaERNS_18TensorIteratorBaseESt8optionalIdES5_S5_ENKUlvE0_clEvENKUlvE1_clEvEUlN3c104HalfEE_St5arrayIPcLm2EELi4E23TrivialOffsetCalculatorILi1EjESF_NS0_6memory15LoadWithoutCastENSG_16StoreWithoutCastEEEviT_T0_T2_T3_T4_T5_.num_agpr, 0
	.set _ZN2at6native27unrolled_elementwise_kernelIZZZNS0_22nan_to_num_kernel_cudaERNS_18TensorIteratorBaseESt8optionalIdES5_S5_ENKUlvE0_clEvENKUlvE1_clEvEUlN3c104HalfEE_St5arrayIPcLm2EELi4E23TrivialOffsetCalculatorILi1EjESF_NS0_6memory15LoadWithoutCastENSG_16StoreWithoutCastEEEviT_T0_T2_T3_T4_T5_.numbered_sgpr, 15
	.set _ZN2at6native27unrolled_elementwise_kernelIZZZNS0_22nan_to_num_kernel_cudaERNS_18TensorIteratorBaseESt8optionalIdES5_S5_ENKUlvE0_clEvENKUlvE1_clEvEUlN3c104HalfEE_St5arrayIPcLm2EELi4E23TrivialOffsetCalculatorILi1EjESF_NS0_6memory15LoadWithoutCastENSG_16StoreWithoutCastEEEviT_T0_T2_T3_T4_T5_.num_named_barrier, 0
	.set _ZN2at6native27unrolled_elementwise_kernelIZZZNS0_22nan_to_num_kernel_cudaERNS_18TensorIteratorBaseESt8optionalIdES5_S5_ENKUlvE0_clEvENKUlvE1_clEvEUlN3c104HalfEE_St5arrayIPcLm2EELi4E23TrivialOffsetCalculatorILi1EjESF_NS0_6memory15LoadWithoutCastENSG_16StoreWithoutCastEEEviT_T0_T2_T3_T4_T5_.private_seg_size, 0
	.set _ZN2at6native27unrolled_elementwise_kernelIZZZNS0_22nan_to_num_kernel_cudaERNS_18TensorIteratorBaseESt8optionalIdES5_S5_ENKUlvE0_clEvENKUlvE1_clEvEUlN3c104HalfEE_St5arrayIPcLm2EELi4E23TrivialOffsetCalculatorILi1EjESF_NS0_6memory15LoadWithoutCastENSG_16StoreWithoutCastEEEviT_T0_T2_T3_T4_T5_.uses_vcc, 1
	.set _ZN2at6native27unrolled_elementwise_kernelIZZZNS0_22nan_to_num_kernel_cudaERNS_18TensorIteratorBaseESt8optionalIdES5_S5_ENKUlvE0_clEvENKUlvE1_clEvEUlN3c104HalfEE_St5arrayIPcLm2EELi4E23TrivialOffsetCalculatorILi1EjESF_NS0_6memory15LoadWithoutCastENSG_16StoreWithoutCastEEEviT_T0_T2_T3_T4_T5_.uses_flat_scratch, 0
	.set _ZN2at6native27unrolled_elementwise_kernelIZZZNS0_22nan_to_num_kernel_cudaERNS_18TensorIteratorBaseESt8optionalIdES5_S5_ENKUlvE0_clEvENKUlvE1_clEvEUlN3c104HalfEE_St5arrayIPcLm2EELi4E23TrivialOffsetCalculatorILi1EjESF_NS0_6memory15LoadWithoutCastENSG_16StoreWithoutCastEEEviT_T0_T2_T3_T4_T5_.has_dyn_sized_stack, 0
	.set _ZN2at6native27unrolled_elementwise_kernelIZZZNS0_22nan_to_num_kernel_cudaERNS_18TensorIteratorBaseESt8optionalIdES5_S5_ENKUlvE0_clEvENKUlvE1_clEvEUlN3c104HalfEE_St5arrayIPcLm2EELi4E23TrivialOffsetCalculatorILi1EjESF_NS0_6memory15LoadWithoutCastENSG_16StoreWithoutCastEEEviT_T0_T2_T3_T4_T5_.has_recursion, 0
	.set _ZN2at6native27unrolled_elementwise_kernelIZZZNS0_22nan_to_num_kernel_cudaERNS_18TensorIteratorBaseESt8optionalIdES5_S5_ENKUlvE0_clEvENKUlvE1_clEvEUlN3c104HalfEE_St5arrayIPcLm2EELi4E23TrivialOffsetCalculatorILi1EjESF_NS0_6memory15LoadWithoutCastENSG_16StoreWithoutCastEEEviT_T0_T2_T3_T4_T5_.has_indirect_call, 0
	.section	.AMDGPU.csdata,"",@progbits
; Kernel info:
; codeLenInByte = 968
; TotalNumSgprs: 21
; NumVgprs: 10
; NumAgprs: 0
; TotalNumVgprs: 10
; ScratchSize: 0
; MemoryBound: 0
; FloatMode: 240
; IeeeMode: 1
; LDSByteSize: 0 bytes/workgroup (compile time only)
; SGPRBlocks: 2
; VGPRBlocks: 1
; NumSGPRsForWavesPerEU: 21
; NumVGPRsForWavesPerEU: 10
; AccumOffset: 12
; Occupancy: 8
; WaveLimiterHint : 0
; COMPUTE_PGM_RSRC2:SCRATCH_EN: 0
; COMPUTE_PGM_RSRC2:USER_SGPR: 2
; COMPUTE_PGM_RSRC2:TRAP_HANDLER: 0
; COMPUTE_PGM_RSRC2:TGID_X_EN: 1
; COMPUTE_PGM_RSRC2:TGID_Y_EN: 0
; COMPUTE_PGM_RSRC2:TGID_Z_EN: 0
; COMPUTE_PGM_RSRC2:TIDIG_COMP_CNT: 0
; COMPUTE_PGM_RSRC3_GFX90A:ACCUM_OFFSET: 2
; COMPUTE_PGM_RSRC3_GFX90A:TG_SPLIT: 0
	.section	.text._ZN2at6native32elementwise_kernel_manual_unrollILi128ELi8EZNS0_22gpu_kernel_impl_nocastIZZZNS0_22nan_to_num_kernel_cudaERNS_18TensorIteratorBaseESt8optionalIdES6_S6_ENKUlvE0_clEvENKUlvE1_clEvEUlN3c104HalfEE_EEvS4_RKT_EUlibE_EEviT1_,"axG",@progbits,_ZN2at6native32elementwise_kernel_manual_unrollILi128ELi8EZNS0_22gpu_kernel_impl_nocastIZZZNS0_22nan_to_num_kernel_cudaERNS_18TensorIteratorBaseESt8optionalIdES6_S6_ENKUlvE0_clEvENKUlvE1_clEvEUlN3c104HalfEE_EEvS4_RKT_EUlibE_EEviT1_,comdat
	.globl	_ZN2at6native32elementwise_kernel_manual_unrollILi128ELi8EZNS0_22gpu_kernel_impl_nocastIZZZNS0_22nan_to_num_kernel_cudaERNS_18TensorIteratorBaseESt8optionalIdES6_S6_ENKUlvE0_clEvENKUlvE1_clEvEUlN3c104HalfEE_EEvS4_RKT_EUlibE_EEviT1_ ; -- Begin function _ZN2at6native32elementwise_kernel_manual_unrollILi128ELi8EZNS0_22gpu_kernel_impl_nocastIZZZNS0_22nan_to_num_kernel_cudaERNS_18TensorIteratorBaseESt8optionalIdES6_S6_ENKUlvE0_clEvENKUlvE1_clEvEUlN3c104HalfEE_EEvS4_RKT_EUlibE_EEviT1_
	.p2align	8
	.type	_ZN2at6native32elementwise_kernel_manual_unrollILi128ELi8EZNS0_22gpu_kernel_impl_nocastIZZZNS0_22nan_to_num_kernel_cudaERNS_18TensorIteratorBaseESt8optionalIdES6_S6_ENKUlvE0_clEvENKUlvE1_clEvEUlN3c104HalfEE_EEvS4_RKT_EUlibE_EEviT1_,@function
_ZN2at6native32elementwise_kernel_manual_unrollILi128ELi8EZNS0_22gpu_kernel_impl_nocastIZZZNS0_22nan_to_num_kernel_cudaERNS_18TensorIteratorBaseESt8optionalIdES6_S6_ENKUlvE0_clEvENKUlvE1_clEvEUlN3c104HalfEE_EEvS4_RKT_EUlibE_EEviT1_: ; @_ZN2at6native32elementwise_kernel_manual_unrollILi128ELi8EZNS0_22gpu_kernel_impl_nocastIZZZNS0_22nan_to_num_kernel_cudaERNS_18TensorIteratorBaseESt8optionalIdES6_S6_ENKUlvE0_clEvENKUlvE1_clEvEUlN3c104HalfEE_EEvS4_RKT_EUlibE_EEviT1_
; %bb.0:
	s_load_dword s60, s[0:1], 0x0
	s_load_dword s33, s[0:1], 0x8
	s_add_u32 s34, s0, 8
	s_addc_u32 s35, s1, 0
	v_lshl_or_b32 v24, s2, 10, v0
	v_or_b32_e32 v32, 0x380, v24
	s_waitcnt lgkmcnt(0)
	s_add_i32 s58, s33, -1
	s_cmp_gt_u32 s58, 1
	v_cmp_le_i32_e32 vcc, s60, v32
	s_cselect_b64 s[40:41], -1, 0
	s_and_saveexec_b64 s[2:3], vcc
	s_xor_b64 s[2:3], exec, s[2:3]
	s_cbranch_execz .LBB527_8
; %bb.1:
	s_cmp_lg_u32 s33, 0
	s_cselect_b64 s[50:51], -1, 0
	s_add_u32 s48, s34, 0xc4
	s_load_dwordx4 s[24:27], s[34:35], 0x4
	s_load_dwordx2 s[44:45], s[34:35], 0x14
	s_load_dwordx2 s[42:43], s[34:35], 0x158
	s_load_dwordx4 s[28:31], s[34:35], 0xc4
	s_load_dwordx4 s[20:23], s[34:35], 0x148
	s_addc_u32 s49, s35, 0
	s_min_u32 s61, s58, 15
	s_cmp_gt_u32 s33, 1
	s_cselect_b64 s[46:47], -1, 0
	s_waitcnt lgkmcnt(0)
	s_lshr_b32 s59, s42, 16
	v_cmp_gt_i32_e32 vcc, s60, v24
	s_and_saveexec_b64 s[52:53], vcc
	s_cbranch_execz .LBB527_15
; %bb.2:
	s_andn2_b64 vcc, exec, s[40:41]
	s_cbranch_vccnz .LBB527_23
; %bb.3:
	s_andn2_b64 vcc, exec, s[50:51]
	s_cbranch_vccnz .LBB527_163
; %bb.4:
	s_add_i32 s63, s61, 1
	s_cmp_eq_u32 s58, 2
	s_cbranch_scc1 .LBB527_165
; %bb.5:
	s_and_b32 s62, s63, 28
	s_mov_b32 s64, 0
	v_mov_b32_e32 v0, 0
	v_mov_b32_e32 v2, 0
	s_mov_b64 s[54:55], s[34:35]
	s_mov_b64 s[56:57], s[48:49]
	v_mov_b32_e32 v4, v24
.LBB527_6:                              ; =>This Inner Loop Header: Depth=1
	s_load_dwordx8 s[12:19], s[54:55], 0x4
	s_load_dwordx4 s[36:39], s[54:55], 0x24
	s_load_dwordx8 s[4:11], s[56:57], 0x0
	s_add_u32 s54, s54, 48
	s_addc_u32 s55, s55, 0
	s_waitcnt lgkmcnt(0)
	v_mul_hi_u32 v1, s13, v4
	v_add_u32_e32 v1, v4, v1
	v_lshrrev_b32_e32 v1, s14, v1
	v_mul_lo_u32 v3, v1, s12
	v_mul_hi_u32 v5, s16, v1
	v_sub_u32_e32 v3, v4, v3
	v_add_u32_e32 v4, v1, v5
	v_lshrrev_b32_e32 v4, s17, v4
	v_mul_lo_u32 v6, v4, s15
	v_mul_hi_u32 v7, s19, v4
	v_sub_u32_e32 v1, v1, v6
	v_add_u32_e32 v6, v4, v7
	v_mul_lo_u32 v5, v3, s5
	v_mul_lo_u32 v3, v3, s4
	;; [unrolled: 1-line block ×4, first 2 shown]
	v_lshrrev_b32_e32 v6, s36, v6
	v_add3_u32 v0, v3, v0, v1
	v_mul_hi_u32 v3, s38, v6
	v_add3_u32 v1, v5, v2, v7
	v_mul_lo_u32 v2, v6, s18
	v_add_u32_e32 v3, v6, v3
	v_sub_u32_e32 v2, v4, v2
	v_lshrrev_b32_e32 v4, s39, v3
	s_add_i32 s64, s64, 4
	v_mul_lo_u32 v3, v4, s37
	s_add_u32 s56, s56, 32
	v_sub_u32_e32 v3, v6, v3
	s_addc_u32 s57, s57, 0
	v_mul_lo_u32 v5, v2, s8
	v_mul_lo_u32 v2, v2, s9
	;; [unrolled: 1-line block ×4, first 2 shown]
	s_cmp_lg_u32 s62, s64
	v_add3_u32 v2, v2, v1, v3
	v_add3_u32 v0, v5, v0, v6
	s_cbranch_scc1 .LBB527_6
; %bb.7:
	v_mov_b32_e32 v1, v2
	s_branch .LBB527_166
.LBB527_8:
	s_andn2_saveexec_b64 s[2:3], s[2:3]
	s_cbranch_execz .LBB527_284
.LBB527_9:
	v_cndmask_b32_e64 v0, 0, 1, s[40:41]
	v_cmp_ne_u32_e64 s[2:3], 1, v0
	s_andn2_b64 vcc, exec, s[40:41]
	s_cbranch_vccnz .LBB527_22
; %bb.10:
	s_cmp_lg_u32 s33, 0
	s_mov_b32 s28, 0
	s_cbranch_scc0 .LBB527_25
; %bb.11:
	s_min_u32 s29, s58, 15
	s_add_i32 s29, s29, 1
	s_cmp_eq_u32 s58, 2
	s_cbranch_scc1 .LBB527_26
; %bb.12:
	s_and_b32 s28, s29, 28
	s_add_u32 s24, s34, 0xc4
	s_addc_u32 s25, s35, 0
	s_mov_b32 s30, 0
	v_mov_b32_e32 v0, 0
	v_mov_b32_e32 v4, 0
	s_mov_b64 s[26:27], s[34:35]
	v_mov_b32_e32 v2, v24
.LBB527_13:                             ; =>This Inner Loop Header: Depth=1
	s_load_dwordx8 s[12:19], s[26:27], 0x4
	s_load_dwordx4 s[20:23], s[26:27], 0x24
	s_load_dwordx8 s[4:11], s[24:25], 0x0
	s_add_u32 s26, s26, 48
	s_addc_u32 s27, s27, 0
	s_waitcnt lgkmcnt(0)
	v_mul_hi_u32 v1, s13, v2
	v_add_u32_e32 v1, v2, v1
	v_lshrrev_b32_e32 v1, s14, v1
	v_mul_lo_u32 v3, v1, s12
	v_mul_hi_u32 v5, s16, v1
	v_sub_u32_e32 v2, v2, v3
	v_add_u32_e32 v3, v1, v5
	v_lshrrev_b32_e32 v3, s17, v3
	v_mul_lo_u32 v6, v3, s15
	v_mul_hi_u32 v7, s19, v3
	v_sub_u32_e32 v1, v1, v6
	v_add_u32_e32 v6, v3, v7
	v_mul_lo_u32 v5, v2, s5
	v_mul_lo_u32 v2, v2, s4
	;; [unrolled: 1-line block ×4, first 2 shown]
	v_lshrrev_b32_e32 v6, s20, v6
	v_add3_u32 v0, v2, v0, v1
	v_add3_u32 v1, v5, v4, v7
	v_mul_lo_u32 v2, v6, s18
	v_mul_hi_u32 v4, s22, v6
	v_sub_u32_e32 v2, v3, v2
	v_add_u32_e32 v3, v6, v4
	v_mul_lo_u32 v5, v2, s8
	v_mul_lo_u32 v4, v2, s9
	v_lshrrev_b32_e32 v2, s23, v3
	s_add_i32 s30, s30, 4
	v_mul_lo_u32 v3, v2, s21
	s_add_u32 s24, s24, 32
	v_sub_u32_e32 v3, v6, v3
	s_addc_u32 s25, s25, 0
	v_mul_lo_u32 v6, v3, s10
	v_mul_lo_u32 v3, v3, s11
	s_cmp_lg_u32 s28, s30
	v_add3_u32 v4, v4, v1, v3
	v_add3_u32 v0, v5, v0, v6
	s_cbranch_scc1 .LBB527_13
; %bb.14:
	v_mov_b32_e32 v1, v4
	s_and_b32 s8, s29, 3
	s_cmp_eq_u32 s8, 0
	s_cbranch_scc0 .LBB527_27
	s_branch .LBB527_29
.LBB527_15:
	s_or_b64 exec, exec, s[52:53]
	v_cmp_gt_i32_e32 vcc, s60, v24
	s_and_saveexec_b64 s[52:53], vcc
	s_cbranch_execz .LBB527_177
.LBB527_16:
	s_andn2_b64 vcc, exec, s[40:41]
	s_cbranch_vccnz .LBB527_24
; %bb.17:
	s_andn2_b64 vcc, exec, s[50:51]
	s_cbranch_vccnz .LBB527_164
; %bb.18:
	s_add_i32 s63, s61, 1
	s_cmp_eq_u32 s58, 2
	s_cbranch_scc1 .LBB527_186
; %bb.19:
	s_and_b32 s62, s63, 28
	s_mov_b32 s64, 0
	v_mov_b32_e32 v0, 0
	v_mov_b32_e32 v2, 0
	s_mov_b64 s[54:55], s[34:35]
	s_mov_b64 s[56:57], s[48:49]
	v_mov_b32_e32 v4, v24
.LBB527_20:                             ; =>This Inner Loop Header: Depth=1
	s_load_dwordx8 s[12:19], s[54:55], 0x4
	s_load_dwordx4 s[36:39], s[54:55], 0x24
	s_load_dwordx8 s[4:11], s[56:57], 0x0
	s_add_u32 s54, s54, 48
	s_addc_u32 s55, s55, 0
	s_waitcnt lgkmcnt(0)
	v_mul_hi_u32 v1, s13, v4
	v_add_u32_e32 v1, v4, v1
	v_lshrrev_b32_e32 v1, s14, v1
	v_mul_lo_u32 v3, v1, s12
	v_mul_hi_u32 v5, s16, v1
	v_sub_u32_e32 v3, v4, v3
	v_add_u32_e32 v4, v1, v5
	v_lshrrev_b32_e32 v4, s17, v4
	v_mul_lo_u32 v6, v4, s15
	v_mul_hi_u32 v7, s19, v4
	v_sub_u32_e32 v1, v1, v6
	v_add_u32_e32 v6, v4, v7
	v_mul_lo_u32 v5, v3, s5
	v_mul_lo_u32 v3, v3, s4
	;; [unrolled: 1-line block ×4, first 2 shown]
	v_lshrrev_b32_e32 v6, s36, v6
	v_add3_u32 v0, v3, v0, v1
	v_mul_hi_u32 v3, s38, v6
	v_add3_u32 v1, v5, v2, v7
	v_mul_lo_u32 v2, v6, s18
	v_add_u32_e32 v3, v6, v3
	v_sub_u32_e32 v2, v4, v2
	v_lshrrev_b32_e32 v4, s39, v3
	s_add_i32 s64, s64, 4
	v_mul_lo_u32 v3, v4, s37
	s_add_u32 s56, s56, 32
	v_sub_u32_e32 v3, v6, v3
	s_addc_u32 s57, s57, 0
	v_mul_lo_u32 v5, v2, s8
	v_mul_lo_u32 v2, v2, s9
	;; [unrolled: 1-line block ×4, first 2 shown]
	s_cmp_eq_u32 s62, s64
	v_add3_u32 v2, v2, v1, v3
	v_add3_u32 v0, v5, v0, v6
	s_cbranch_scc0 .LBB527_20
; %bb.21:
	v_mov_b32_e32 v1, v2
	s_branch .LBB527_187
.LBB527_22:
                                        ; implicit-def: $vgpr4
                                        ; implicit-def: $vgpr0
	s_branch .LBB527_30
.LBB527_23:
                                        ; implicit-def: $vgpr2
                                        ; implicit-def: $vgpr0
	s_branch .LBB527_170
.LBB527_24:
                                        ; implicit-def: $vgpr2
                                        ; implicit-def: $vgpr0
	s_branch .LBB527_191
.LBB527_25:
	v_mov_b32_e32 v4, 0
	v_mov_b32_e32 v0, 0
	s_branch .LBB527_29
.LBB527_26:
	v_mov_b32_e32 v0, 0
                                        ; implicit-def: $vgpr4
	v_mov_b32_e32 v1, v0
	v_mov_b32_e32 v2, v24
	s_and_b32 s8, s29, 3
	s_cmp_eq_u32 s8, 0
	s_cbranch_scc1 .LBB527_29
.LBB527_27:
	s_lshl_b32 s4, s28, 3
	s_add_u32 s4, s34, s4
	s_addc_u32 s5, s35, 0
	s_add_u32 s4, s4, 0xc4
	s_addc_u32 s5, s5, 0
	s_mul_i32 s6, s28, 12
	s_add_u32 s6, s34, s6
	s_addc_u32 s7, s35, 0
.LBB527_28:                             ; =>This Inner Loop Header: Depth=1
	s_load_dwordx2 s[10:11], s[6:7], 0x4
	s_load_dword s9, s[6:7], 0xc
	s_load_dwordx2 s[12:13], s[4:5], 0x0
	v_mov_b32_e32 v4, v1
	s_add_u32 s6, s6, 12
	s_waitcnt lgkmcnt(0)
	v_mul_hi_u32 v1, s11, v2
	v_add_u32_e32 v1, v2, v1
	v_lshrrev_b32_e32 v1, s9, v1
	s_addc_u32 s7, s7, 0
	v_mul_lo_u32 v3, v1, s10
	s_add_u32 s4, s4, 8
	v_sub_u32_e32 v3, v2, v3
	s_addc_u32 s5, s5, 0
	s_add_i32 s8, s8, -1
	v_mov_b32_e32 v2, v1
	v_mad_u64_u32 v[4:5], s[10:11], v3, s13, v[4:5]
	v_mad_u64_u32 v[0:1], s[10:11], v3, s12, v[0:1]
	s_cmp_lg_u32 s8, 0
	v_mov_b32_e32 v1, v4
	s_cbranch_scc1 .LBB527_28
.LBB527_29:
	s_cbranch_execnz .LBB527_32
.LBB527_30:
	s_load_dwordx4 s[4:7], s[34:35], 0x4
	s_load_dwordx2 s[8:9], s[34:35], 0xc4
	s_cmp_lt_u32 s33, 2
	s_waitcnt lgkmcnt(0)
	v_mul_hi_u32 v0, s5, v24
	v_add_u32_e32 v0, v24, v0
	v_lshrrev_b32_e32 v1, s6, v0
	v_mul_lo_u32 v0, v1, s4
	v_sub_u32_e32 v0, v24, v0
	v_mul_lo_u32 v4, v0, s9
	v_mul_lo_u32 v0, v0, s8
	s_cbranch_scc1 .LBB527_32
; %bb.31:
	s_load_dwordx4 s[4:7], s[34:35], 0x10
	s_load_dwordx2 s[8:9], s[34:35], 0xcc
	s_waitcnt lgkmcnt(0)
	v_mul_hi_u32 v2, s5, v1
	v_add_u32_e32 v2, v1, v2
	v_lshrrev_b32_e32 v2, s6, v2
	v_mul_lo_u32 v2, v2, s4
	v_sub_u32_e32 v2, v1, v2
	v_mad_u64_u32 v[0:1], s[4:5], v2, s8, v[0:1]
	v_mad_u64_u32 v[4:5], s[4:5], v2, s9, v[4:5]
.LBB527_32:
	s_and_b64 vcc, exec, s[2:3]
	v_add_u32_e32 v5, 0x80, v24
	s_cbranch_vccnz .LBB527_38
; %bb.33:
	s_cmp_lg_u32 s33, 0
	s_mov_b32 s28, 0
	s_cbranch_scc0 .LBB527_39
; %bb.34:
	s_min_u32 s29, s58, 15
	s_add_i32 s29, s29, 1
	s_cmp_eq_u32 s58, 2
	s_cbranch_scc1 .LBB527_40
; %bb.35:
	s_and_b32 s28, s29, 28
	s_add_u32 s24, s34, 0xc4
	s_addc_u32 s25, s35, 0
	s_mov_b32 s30, 0
	v_mov_b32_e32 v2, 0
	v_mov_b32_e32 v8, 0
	s_mov_b64 s[26:27], s[34:35]
	v_mov_b32_e32 v6, v5
.LBB527_36:                             ; =>This Inner Loop Header: Depth=1
	s_load_dwordx8 s[12:19], s[26:27], 0x4
	s_load_dwordx4 s[20:23], s[26:27], 0x24
	s_load_dwordx8 s[4:11], s[24:25], 0x0
	s_add_u32 s26, s26, 48
	s_addc_u32 s27, s27, 0
	s_waitcnt lgkmcnt(0)
	v_mul_hi_u32 v1, s13, v6
	v_add_u32_e32 v1, v6, v1
	v_lshrrev_b32_e32 v1, s14, v1
	v_mul_lo_u32 v3, v1, s12
	v_mul_hi_u32 v7, s16, v1
	v_sub_u32_e32 v3, v6, v3
	v_add_u32_e32 v6, v1, v7
	v_lshrrev_b32_e32 v6, s17, v6
	v_mul_lo_u32 v9, v6, s15
	v_mul_hi_u32 v10, s19, v6
	v_sub_u32_e32 v1, v1, v9
	v_add_u32_e32 v9, v6, v10
	v_mul_lo_u32 v7, v3, s5
	v_mul_lo_u32 v3, v3, s4
	;; [unrolled: 1-line block ×4, first 2 shown]
	v_lshrrev_b32_e32 v9, s20, v9
	v_add3_u32 v1, v3, v2, v1
	v_add3_u32 v2, v7, v8, v10
	v_mul_lo_u32 v3, v9, s18
	v_mul_hi_u32 v7, s22, v9
	v_sub_u32_e32 v3, v6, v3
	v_add_u32_e32 v6, v9, v7
	v_lshrrev_b32_e32 v6, s23, v6
	s_add_i32 s30, s30, 4
	v_mul_lo_u32 v8, v6, s21
	s_add_u32 s24, s24, 32
	v_sub_u32_e32 v8, v9, v8
	s_addc_u32 s25, s25, 0
	v_mul_lo_u32 v7, v3, s8
	v_mul_lo_u32 v3, v3, s9
	;; [unrolled: 1-line block ×4, first 2 shown]
	s_cmp_lg_u32 s28, s30
	v_add3_u32 v8, v3, v2, v8
	v_add3_u32 v2, v7, v1, v9
	s_cbranch_scc1 .LBB527_36
; %bb.37:
	v_mov_b32_e32 v1, v8
	s_and_b32 s8, s29, 3
	s_cmp_eq_u32 s8, 0
	s_cbranch_scc0 .LBB527_41
	s_branch .LBB527_43
.LBB527_38:
                                        ; implicit-def: $vgpr8
                                        ; implicit-def: $vgpr2
	s_branch .LBB527_44
.LBB527_39:
	v_mov_b32_e32 v8, 0
	v_mov_b32_e32 v2, 0
	s_branch .LBB527_43
.LBB527_40:
	v_mov_b32_e32 v2, 0
                                        ; implicit-def: $vgpr8
	v_mov_b32_e32 v1, v2
	v_mov_b32_e32 v6, v5
	s_and_b32 s8, s29, 3
	s_cmp_eq_u32 s8, 0
	s_cbranch_scc1 .LBB527_43
.LBB527_41:
	s_lshl_b32 s4, s28, 3
	s_add_u32 s4, s34, s4
	s_addc_u32 s5, s35, 0
	s_add_u32 s4, s4, 0xc4
	s_addc_u32 s5, s5, 0
	s_mul_i32 s6, s28, 12
	s_add_u32 s6, s34, s6
	s_addc_u32 s7, s35, 0
.LBB527_42:                             ; =>This Inner Loop Header: Depth=1
	s_load_dwordx2 s[10:11], s[6:7], 0x4
	s_load_dword s9, s[6:7], 0xc
	s_load_dwordx2 s[12:13], s[4:5], 0x0
	v_mov_b32_e32 v8, v1
	s_add_u32 s6, s6, 12
	s_waitcnt lgkmcnt(0)
	v_mul_hi_u32 v1, s11, v6
	v_add_u32_e32 v1, v6, v1
	v_lshrrev_b32_e32 v1, s9, v1
	s_addc_u32 s7, s7, 0
	v_mul_lo_u32 v3, v1, s10
	s_add_u32 s4, s4, 8
	v_sub_u32_e32 v3, v6, v3
	s_addc_u32 s5, s5, 0
	s_add_i32 s8, s8, -1
	v_mad_u64_u32 v[8:9], s[10:11], v3, s13, v[8:9]
	s_cmp_lg_u32 s8, 0
	v_mov_b32_e32 v6, v1
	v_mad_u64_u32 v[2:3], s[10:11], v3, s12, v[2:3]
	v_mov_b32_e32 v1, v8
	s_cbranch_scc1 .LBB527_42
.LBB527_43:
	s_cbranch_execnz .LBB527_46
.LBB527_44:
	s_load_dwordx4 s[4:7], s[34:35], 0x4
	s_load_dwordx2 s[8:9], s[34:35], 0xc4
	s_cmp_lt_u32 s33, 2
	s_waitcnt lgkmcnt(0)
	v_mul_hi_u32 v1, s5, v5
	v_add_u32_e32 v1, v5, v1
	v_lshrrev_b32_e32 v1, s6, v1
	v_mul_lo_u32 v2, v1, s4
	v_sub_u32_e32 v2, v5, v2
	v_mul_lo_u32 v8, v2, s9
	v_mul_lo_u32 v2, v2, s8
	s_cbranch_scc1 .LBB527_46
; %bb.45:
	s_load_dwordx4 s[4:7], s[34:35], 0x10
	s_load_dwordx2 s[8:9], s[34:35], 0xcc
	s_waitcnt lgkmcnt(0)
	v_mul_hi_u32 v3, s5, v1
	v_add_u32_e32 v3, v1, v3
	v_lshrrev_b32_e32 v3, s6, v3
	v_mul_lo_u32 v3, v3, s4
	v_sub_u32_e32 v1, v1, v3
	v_mad_u64_u32 v[2:3], s[4:5], v1, s8, v[2:3]
	v_mad_u64_u32 v[8:9], s[4:5], v1, s9, v[8:9]
.LBB527_46:
	s_and_b64 vcc, exec, s[2:3]
	v_add_u32_e32 v3, 0x100, v24
	s_cbranch_vccnz .LBB527_52
; %bb.47:
	s_cmp_lg_u32 s33, 0
	s_mov_b32 s28, 0
	s_cbranch_scc0 .LBB527_53
; %bb.48:
	s_min_u32 s29, s58, 15
	s_add_i32 s29, s29, 1
	s_cmp_eq_u32 s58, 2
	s_cbranch_scc1 .LBB527_54
; %bb.49:
	s_and_b32 s28, s29, 28
	s_add_u32 s24, s34, 0xc4
	s_addc_u32 s25, s35, 0
	s_mov_b32 s30, 0
	v_mov_b32_e32 v6, 0
	v_mov_b32_e32 v10, 0
	s_mov_b64 s[26:27], s[34:35]
	v_mov_b32_e32 v5, v3
.LBB527_50:                             ; =>This Inner Loop Header: Depth=1
	s_load_dwordx8 s[12:19], s[26:27], 0x4
	s_load_dwordx4 s[20:23], s[26:27], 0x24
	s_load_dwordx8 s[4:11], s[24:25], 0x0
	s_add_u32 s26, s26, 48
	s_addc_u32 s27, s27, 0
	s_waitcnt lgkmcnt(0)
	v_mul_hi_u32 v1, s13, v5
	v_add_u32_e32 v1, v5, v1
	v_lshrrev_b32_e32 v1, s14, v1
	v_mul_lo_u32 v7, v1, s12
	v_mul_hi_u32 v9, s16, v1
	v_sub_u32_e32 v5, v5, v7
	v_add_u32_e32 v7, v1, v9
	v_lshrrev_b32_e32 v7, s17, v7
	v_mul_lo_u32 v11, v7, s15
	v_mul_hi_u32 v12, s19, v7
	v_sub_u32_e32 v1, v1, v11
	v_add_u32_e32 v11, v7, v12
	v_mul_lo_u32 v9, v5, s5
	v_mul_lo_u32 v5, v5, s4
	;; [unrolled: 1-line block ×4, first 2 shown]
	v_lshrrev_b32_e32 v11, s20, v11
	v_add3_u32 v1, v5, v6, v1
	v_add3_u32 v6, v9, v10, v12
	v_mul_lo_u32 v5, v11, s18
	v_mul_hi_u32 v9, s22, v11
	v_sub_u32_e32 v5, v7, v5
	v_add_u32_e32 v7, v11, v9
	v_mul_lo_u32 v9, v5, s8
	v_mul_lo_u32 v10, v5, s9
	v_lshrrev_b32_e32 v5, s23, v7
	s_add_i32 s30, s30, 4
	v_mul_lo_u32 v7, v5, s21
	s_add_u32 s24, s24, 32
	v_sub_u32_e32 v7, v11, v7
	s_addc_u32 s25, s25, 0
	v_mul_lo_u32 v11, v7, s10
	v_mul_lo_u32 v7, v7, s11
	s_cmp_lg_u32 s28, s30
	v_add3_u32 v10, v10, v6, v7
	v_add3_u32 v6, v9, v1, v11
	s_cbranch_scc1 .LBB527_50
; %bb.51:
	v_mov_b32_e32 v1, v10
	s_and_b32 s8, s29, 3
	s_cmp_eq_u32 s8, 0
	s_cbranch_scc0 .LBB527_55
	s_branch .LBB527_57
.LBB527_52:
                                        ; implicit-def: $vgpr10
                                        ; implicit-def: $vgpr6
	s_branch .LBB527_58
.LBB527_53:
	v_mov_b32_e32 v10, 0
	v_mov_b32_e32 v6, 0
	s_branch .LBB527_57
.LBB527_54:
	v_mov_b32_e32 v6, 0
                                        ; implicit-def: $vgpr10
	v_mov_b32_e32 v1, v6
	v_mov_b32_e32 v5, v3
	s_and_b32 s8, s29, 3
	s_cmp_eq_u32 s8, 0
	s_cbranch_scc1 .LBB527_57
.LBB527_55:
	s_lshl_b32 s4, s28, 3
	s_add_u32 s4, s34, s4
	s_addc_u32 s5, s35, 0
	s_add_u32 s4, s4, 0xc4
	s_addc_u32 s5, s5, 0
	s_mul_i32 s6, s28, 12
	s_add_u32 s6, s34, s6
	s_addc_u32 s7, s35, 0
.LBB527_56:                             ; =>This Inner Loop Header: Depth=1
	s_load_dwordx2 s[10:11], s[6:7], 0x4
	s_load_dword s9, s[6:7], 0xc
	s_load_dwordx2 s[12:13], s[4:5], 0x0
	v_mov_b32_e32 v10, v1
	s_add_u32 s6, s6, 12
	s_waitcnt lgkmcnt(0)
	v_mul_hi_u32 v1, s11, v5
	v_add_u32_e32 v1, v5, v1
	v_lshrrev_b32_e32 v1, s9, v1
	s_addc_u32 s7, s7, 0
	v_mul_lo_u32 v7, v1, s10
	s_add_u32 s4, s4, 8
	v_sub_u32_e32 v7, v5, v7
	s_addc_u32 s5, s5, 0
	s_add_i32 s8, s8, -1
	v_mad_u64_u32 v[10:11], s[10:11], v7, s13, v[10:11]
	s_cmp_lg_u32 s8, 0
	v_mov_b32_e32 v5, v1
	v_mad_u64_u32 v[6:7], s[10:11], v7, s12, v[6:7]
	v_mov_b32_e32 v1, v10
	s_cbranch_scc1 .LBB527_56
.LBB527_57:
	s_cbranch_execnz .LBB527_60
.LBB527_58:
	s_load_dwordx4 s[4:7], s[34:35], 0x4
	s_load_dwordx2 s[8:9], s[34:35], 0xc4
	s_cmp_lt_u32 s33, 2
	s_waitcnt lgkmcnt(0)
	v_mul_hi_u32 v1, s5, v3
	v_add_u32_e32 v1, v3, v1
	v_lshrrev_b32_e32 v1, s6, v1
	v_mul_lo_u32 v5, v1, s4
	v_sub_u32_e32 v3, v3, v5
	v_mul_lo_u32 v10, v3, s9
	v_mul_lo_u32 v6, v3, s8
	s_cbranch_scc1 .LBB527_60
; %bb.59:
	s_load_dwordx4 s[4:7], s[34:35], 0x10
	s_load_dwordx2 s[8:9], s[34:35], 0xcc
	s_waitcnt lgkmcnt(0)
	v_mul_hi_u32 v3, s5, v1
	v_add_u32_e32 v3, v1, v3
	v_lshrrev_b32_e32 v3, s6, v3
	v_mul_lo_u32 v3, v3, s4
	v_sub_u32_e32 v1, v1, v3
	v_mad_u64_u32 v[6:7], s[4:5], v1, s8, v[6:7]
	v_mad_u64_u32 v[10:11], s[4:5], v1, s9, v[10:11]
.LBB527_60:
	s_and_b64 vcc, exec, s[2:3]
	v_add_u32_e32 v3, 0x180, v24
	s_cbranch_vccnz .LBB527_66
; %bb.61:
	s_cmp_lg_u32 s33, 0
	s_mov_b32 s28, 0
	s_cbranch_scc0 .LBB527_67
; %bb.62:
	s_min_u32 s29, s58, 15
	s_add_i32 s29, s29, 1
	s_cmp_eq_u32 s58, 2
	s_cbranch_scc1 .LBB527_68
; %bb.63:
	s_and_b32 s28, s29, 28
	s_add_u32 s24, s34, 0xc4
	s_addc_u32 s25, s35, 0
	s_mov_b32 s30, 0
	v_mov_b32_e32 v12, 0
	v_mov_b32_e32 v14, 0
	s_mov_b64 s[26:27], s[34:35]
	v_mov_b32_e32 v5, v3
.LBB527_64:                             ; =>This Inner Loop Header: Depth=1
	s_load_dwordx8 s[12:19], s[26:27], 0x4
	s_load_dwordx4 s[20:23], s[26:27], 0x24
	s_load_dwordx8 s[4:11], s[24:25], 0x0
	s_add_u32 s26, s26, 48
	s_addc_u32 s27, s27, 0
	s_waitcnt lgkmcnt(0)
	v_mul_hi_u32 v1, s13, v5
	v_add_u32_e32 v1, v5, v1
	v_lshrrev_b32_e32 v1, s14, v1
	v_mul_lo_u32 v7, v1, s12
	v_mul_hi_u32 v9, s16, v1
	v_sub_u32_e32 v5, v5, v7
	v_add_u32_e32 v7, v1, v9
	v_lshrrev_b32_e32 v7, s17, v7
	v_mul_lo_u32 v11, v7, s15
	v_mul_hi_u32 v13, s19, v7
	v_sub_u32_e32 v1, v1, v11
	v_add_u32_e32 v11, v7, v13
	v_mul_lo_u32 v9, v5, s5
	v_mul_lo_u32 v5, v5, s4
	;; [unrolled: 1-line block ×4, first 2 shown]
	v_lshrrev_b32_e32 v11, s20, v11
	v_add3_u32 v1, v5, v12, v1
	v_mul_lo_u32 v5, v11, s18
	v_mul_hi_u32 v12, s22, v11
	v_sub_u32_e32 v5, v7, v5
	v_add_u32_e32 v7, v11, v12
	v_add3_u32 v9, v9, v14, v13
	v_mul_lo_u32 v12, v5, s8
	v_mul_lo_u32 v13, v5, s9
	v_lshrrev_b32_e32 v5, s23, v7
	s_add_i32 s30, s30, 4
	v_mul_lo_u32 v7, v5, s21
	s_add_u32 s24, s24, 32
	v_sub_u32_e32 v7, v11, v7
	s_addc_u32 s25, s25, 0
	v_mul_lo_u32 v11, v7, s10
	v_mul_lo_u32 v7, v7, s11
	s_cmp_lg_u32 s28, s30
	v_add3_u32 v14, v13, v9, v7
	v_add3_u32 v12, v12, v1, v11
	s_cbranch_scc1 .LBB527_64
; %bb.65:
	v_mov_b32_e32 v1, v14
	s_and_b32 s8, s29, 3
	s_cmp_eq_u32 s8, 0
	s_cbranch_scc0 .LBB527_69
	s_branch .LBB527_71
.LBB527_66:
                                        ; implicit-def: $vgpr14
                                        ; implicit-def: $vgpr12
	s_branch .LBB527_72
.LBB527_67:
	v_mov_b32_e32 v14, 0
	v_mov_b32_e32 v12, 0
	s_branch .LBB527_71
.LBB527_68:
	v_mov_b32_e32 v12, 0
                                        ; implicit-def: $vgpr14
	v_mov_b32_e32 v1, v12
	v_mov_b32_e32 v5, v3
	s_and_b32 s8, s29, 3
	s_cmp_eq_u32 s8, 0
	s_cbranch_scc1 .LBB527_71
.LBB527_69:
	s_lshl_b32 s4, s28, 3
	s_add_u32 s4, s34, s4
	s_addc_u32 s5, s35, 0
	s_add_u32 s4, s4, 0xc4
	s_addc_u32 s5, s5, 0
	s_mul_i32 s6, s28, 12
	s_add_u32 s6, s34, s6
	s_addc_u32 s7, s35, 0
.LBB527_70:                             ; =>This Inner Loop Header: Depth=1
	s_load_dwordx2 s[10:11], s[6:7], 0x4
	s_load_dword s9, s[6:7], 0xc
	s_load_dwordx2 s[12:13], s[4:5], 0x0
	v_mov_b32_e32 v14, v1
	s_add_u32 s6, s6, 12
	s_waitcnt lgkmcnt(0)
	v_mul_hi_u32 v1, s11, v5
	v_add_u32_e32 v1, v5, v1
	v_lshrrev_b32_e32 v1, s9, v1
	s_addc_u32 s7, s7, 0
	v_mul_lo_u32 v7, v1, s10
	s_add_u32 s4, s4, 8
	v_sub_u32_e32 v7, v5, v7
	s_addc_u32 s5, s5, 0
	s_add_i32 s8, s8, -1
	v_mad_u64_u32 v[14:15], s[10:11], v7, s13, v[14:15]
	s_cmp_lg_u32 s8, 0
	v_mov_b32_e32 v5, v1
	v_mad_u64_u32 v[12:13], s[10:11], v7, s12, v[12:13]
	v_mov_b32_e32 v1, v14
	s_cbranch_scc1 .LBB527_70
.LBB527_71:
	s_cbranch_execnz .LBB527_74
.LBB527_72:
	s_load_dwordx4 s[4:7], s[34:35], 0x4
	s_load_dwordx2 s[8:9], s[34:35], 0xc4
	s_cmp_lt_u32 s33, 2
	s_waitcnt lgkmcnt(0)
	v_mul_hi_u32 v1, s5, v3
	v_add_u32_e32 v1, v3, v1
	v_lshrrev_b32_e32 v1, s6, v1
	v_mul_lo_u32 v5, v1, s4
	v_sub_u32_e32 v3, v3, v5
	v_mul_lo_u32 v14, v3, s9
	v_mul_lo_u32 v12, v3, s8
	s_cbranch_scc1 .LBB527_74
; %bb.73:
	s_load_dwordx4 s[4:7], s[34:35], 0x10
	s_load_dwordx2 s[8:9], s[34:35], 0xcc
	s_waitcnt lgkmcnt(0)
	v_mul_hi_u32 v3, s5, v1
	v_add_u32_e32 v3, v1, v3
	v_lshrrev_b32_e32 v3, s6, v3
	v_mul_lo_u32 v3, v3, s4
	v_sub_u32_e32 v1, v1, v3
	v_mad_u64_u32 v[12:13], s[4:5], v1, s8, v[12:13]
	v_mad_u64_u32 v[14:15], s[4:5], v1, s9, v[14:15]
.LBB527_74:
	s_and_b64 vcc, exec, s[2:3]
	v_add_u32_e32 v3, 0x200, v24
	s_cbranch_vccnz .LBB527_80
; %bb.75:
	s_cmp_lg_u32 s33, 0
	s_mov_b32 s28, 0
	s_cbranch_scc0 .LBB527_81
; %bb.76:
	s_min_u32 s29, s58, 15
	s_add_i32 s29, s29, 1
	s_cmp_eq_u32 s58, 2
	s_cbranch_scc1 .LBB527_82
; %bb.77:
	s_and_b32 s28, s29, 28
	s_add_u32 s24, s34, 0xc4
	s_addc_u32 s25, s35, 0
	s_mov_b32 s30, 0
	v_mov_b32_e32 v16, 0
	v_mov_b32_e32 v18, 0
	s_mov_b64 s[26:27], s[34:35]
	v_mov_b32_e32 v5, v3
.LBB527_78:                             ; =>This Inner Loop Header: Depth=1
	s_load_dwordx8 s[12:19], s[26:27], 0x4
	s_load_dwordx4 s[20:23], s[26:27], 0x24
	s_load_dwordx8 s[4:11], s[24:25], 0x0
	s_add_u32 s26, s26, 48
	s_addc_u32 s27, s27, 0
	s_waitcnt lgkmcnt(0)
	v_mul_hi_u32 v1, s13, v5
	v_add_u32_e32 v1, v5, v1
	v_lshrrev_b32_e32 v1, s14, v1
	v_mul_lo_u32 v7, v1, s12
	v_mul_hi_u32 v9, s16, v1
	v_sub_u32_e32 v5, v5, v7
	v_add_u32_e32 v7, v1, v9
	v_lshrrev_b32_e32 v7, s17, v7
	v_mul_lo_u32 v11, v7, s15
	v_mul_hi_u32 v13, s19, v7
	v_sub_u32_e32 v1, v1, v11
	v_add_u32_e32 v11, v7, v13
	v_mul_lo_u32 v9, v5, s5
	v_mul_lo_u32 v5, v5, s4
	v_mul_lo_u32 v13, v1, s7
	v_mul_lo_u32 v1, v1, s6
	v_lshrrev_b32_e32 v11, s20, v11
	v_add3_u32 v1, v5, v16, v1
	v_add3_u32 v9, v9, v18, v13
	v_mul_lo_u32 v5, v11, s18
	v_mul_hi_u32 v13, s22, v11
	v_sub_u32_e32 v5, v7, v5
	v_add_u32_e32 v7, v11, v13
	v_mul_lo_u32 v13, v5, s8
	v_mul_lo_u32 v15, v5, s9
	v_lshrrev_b32_e32 v5, s23, v7
	s_add_i32 s30, s30, 4
	v_mul_lo_u32 v7, v5, s21
	s_add_u32 s24, s24, 32
	v_sub_u32_e32 v7, v11, v7
	s_addc_u32 s25, s25, 0
	v_mul_lo_u32 v11, v7, s10
	v_mul_lo_u32 v7, v7, s11
	s_cmp_lg_u32 s28, s30
	v_add3_u32 v18, v15, v9, v7
	v_add3_u32 v16, v13, v1, v11
	s_cbranch_scc1 .LBB527_78
; %bb.79:
	v_mov_b32_e32 v1, v18
	s_and_b32 s8, s29, 3
	s_cmp_eq_u32 s8, 0
	s_cbranch_scc0 .LBB527_83
	s_branch .LBB527_85
.LBB527_80:
                                        ; implicit-def: $vgpr18
                                        ; implicit-def: $vgpr16
	s_branch .LBB527_86
.LBB527_81:
	v_mov_b32_e32 v18, 0
	v_mov_b32_e32 v16, 0
	s_branch .LBB527_85
.LBB527_82:
	v_mov_b32_e32 v16, 0
                                        ; implicit-def: $vgpr18
	v_mov_b32_e32 v1, v16
	v_mov_b32_e32 v5, v3
	s_and_b32 s8, s29, 3
	s_cmp_eq_u32 s8, 0
	s_cbranch_scc1 .LBB527_85
.LBB527_83:
	s_lshl_b32 s4, s28, 3
	s_add_u32 s4, s34, s4
	s_addc_u32 s5, s35, 0
	s_add_u32 s4, s4, 0xc4
	s_addc_u32 s5, s5, 0
	s_mul_i32 s6, s28, 12
	s_add_u32 s6, s34, s6
	s_addc_u32 s7, s35, 0
.LBB527_84:                             ; =>This Inner Loop Header: Depth=1
	s_load_dwordx2 s[10:11], s[6:7], 0x4
	s_load_dword s9, s[6:7], 0xc
	s_load_dwordx2 s[12:13], s[4:5], 0x0
	v_mov_b32_e32 v18, v1
	s_add_u32 s6, s6, 12
	s_waitcnt lgkmcnt(0)
	v_mul_hi_u32 v1, s11, v5
	v_add_u32_e32 v1, v5, v1
	v_lshrrev_b32_e32 v1, s9, v1
	s_addc_u32 s7, s7, 0
	v_mul_lo_u32 v7, v1, s10
	s_add_u32 s4, s4, 8
	v_sub_u32_e32 v7, v5, v7
	s_addc_u32 s5, s5, 0
	s_add_i32 s8, s8, -1
	v_mad_u64_u32 v[18:19], s[10:11], v7, s13, v[18:19]
	s_cmp_lg_u32 s8, 0
	v_mov_b32_e32 v5, v1
	v_mad_u64_u32 v[16:17], s[10:11], v7, s12, v[16:17]
	v_mov_b32_e32 v1, v18
	s_cbranch_scc1 .LBB527_84
.LBB527_85:
	s_cbranch_execnz .LBB527_88
.LBB527_86:
	s_load_dwordx4 s[4:7], s[34:35], 0x4
	s_load_dwordx2 s[8:9], s[34:35], 0xc4
	s_cmp_lt_u32 s33, 2
	s_waitcnt lgkmcnt(0)
	v_mul_hi_u32 v1, s5, v3
	v_add_u32_e32 v1, v3, v1
	v_lshrrev_b32_e32 v1, s6, v1
	v_mul_lo_u32 v5, v1, s4
	v_sub_u32_e32 v3, v3, v5
	v_mul_lo_u32 v18, v3, s9
	v_mul_lo_u32 v16, v3, s8
	s_cbranch_scc1 .LBB527_88
; %bb.87:
	s_load_dwordx4 s[4:7], s[34:35], 0x10
	s_load_dwordx2 s[8:9], s[34:35], 0xcc
	s_waitcnt lgkmcnt(0)
	v_mul_hi_u32 v3, s5, v1
	v_add_u32_e32 v3, v1, v3
	v_lshrrev_b32_e32 v3, s6, v3
	v_mul_lo_u32 v3, v3, s4
	v_sub_u32_e32 v1, v1, v3
	v_mad_u64_u32 v[16:17], s[4:5], v1, s8, v[16:17]
	v_mad_u64_u32 v[18:19], s[4:5], v1, s9, v[18:19]
.LBB527_88:
	s_and_b64 vcc, exec, s[2:3]
	v_add_u32_e32 v3, 0x280, v24
	s_cbranch_vccnz .LBB527_94
; %bb.89:
	s_cmp_lg_u32 s33, 0
	s_mov_b32 s28, 0
	s_cbranch_scc0 .LBB527_95
; %bb.90:
	s_min_u32 s29, s58, 15
	s_add_i32 s29, s29, 1
	s_cmp_eq_u32 s58, 2
	s_cbranch_scc1 .LBB527_96
; %bb.91:
	s_and_b32 s28, s29, 28
	s_add_u32 s24, s34, 0xc4
	s_addc_u32 s25, s35, 0
	s_mov_b32 s30, 0
	v_mov_b32_e32 v20, 0
	v_mov_b32_e32 v22, 0
	s_mov_b64 s[26:27], s[34:35]
	v_mov_b32_e32 v5, v3
.LBB527_92:                             ; =>This Inner Loop Header: Depth=1
	s_load_dwordx8 s[12:19], s[26:27], 0x4
	s_load_dwordx4 s[20:23], s[26:27], 0x24
	s_load_dwordx8 s[4:11], s[24:25], 0x0
	s_add_u32 s26, s26, 48
	s_addc_u32 s27, s27, 0
	s_waitcnt lgkmcnt(0)
	v_mul_hi_u32 v1, s13, v5
	v_add_u32_e32 v1, v5, v1
	v_lshrrev_b32_e32 v1, s14, v1
	v_mul_lo_u32 v7, v1, s12
	v_mul_hi_u32 v9, s16, v1
	v_sub_u32_e32 v5, v5, v7
	v_add_u32_e32 v7, v1, v9
	v_lshrrev_b32_e32 v7, s17, v7
	v_mul_lo_u32 v11, v7, s15
	v_mul_hi_u32 v13, s19, v7
	v_sub_u32_e32 v1, v1, v11
	v_add_u32_e32 v11, v7, v13
	v_mul_lo_u32 v9, v5, s5
	v_mul_lo_u32 v5, v5, s4
	;; [unrolled: 1-line block ×4, first 2 shown]
	v_lshrrev_b32_e32 v11, s20, v11
	v_add3_u32 v1, v5, v20, v1
	v_add3_u32 v9, v9, v22, v13
	v_mul_lo_u32 v5, v11, s18
	v_mul_hi_u32 v13, s22, v11
	v_sub_u32_e32 v5, v7, v5
	v_add_u32_e32 v7, v11, v13
	v_mul_lo_u32 v13, v5, s8
	v_mul_lo_u32 v15, v5, s9
	v_lshrrev_b32_e32 v5, s23, v7
	s_add_i32 s30, s30, 4
	v_mul_lo_u32 v7, v5, s21
	s_add_u32 s24, s24, 32
	v_sub_u32_e32 v7, v11, v7
	s_addc_u32 s25, s25, 0
	v_mul_lo_u32 v11, v7, s10
	v_mul_lo_u32 v7, v7, s11
	s_cmp_lg_u32 s28, s30
	v_add3_u32 v22, v15, v9, v7
	v_add3_u32 v20, v13, v1, v11
	s_cbranch_scc1 .LBB527_92
; %bb.93:
	v_mov_b32_e32 v1, v22
	s_and_b32 s8, s29, 3
	s_cmp_eq_u32 s8, 0
	s_cbranch_scc0 .LBB527_97
	s_branch .LBB527_99
.LBB527_94:
                                        ; implicit-def: $vgpr22
                                        ; implicit-def: $vgpr20
	s_branch .LBB527_100
.LBB527_95:
	v_mov_b32_e32 v22, 0
	v_mov_b32_e32 v20, 0
	s_branch .LBB527_99
.LBB527_96:
	v_mov_b32_e32 v20, 0
                                        ; implicit-def: $vgpr22
	v_mov_b32_e32 v1, v20
	v_mov_b32_e32 v5, v3
	s_and_b32 s8, s29, 3
	s_cmp_eq_u32 s8, 0
	s_cbranch_scc1 .LBB527_99
.LBB527_97:
	s_lshl_b32 s4, s28, 3
	s_add_u32 s4, s34, s4
	s_addc_u32 s5, s35, 0
	s_add_u32 s4, s4, 0xc4
	s_addc_u32 s5, s5, 0
	s_mul_i32 s6, s28, 12
	s_add_u32 s6, s34, s6
	s_addc_u32 s7, s35, 0
.LBB527_98:                             ; =>This Inner Loop Header: Depth=1
	s_load_dwordx2 s[10:11], s[6:7], 0x4
	s_load_dword s9, s[6:7], 0xc
	s_load_dwordx2 s[12:13], s[4:5], 0x0
	v_mov_b32_e32 v22, v1
	s_add_u32 s6, s6, 12
	s_waitcnt lgkmcnt(0)
	v_mul_hi_u32 v1, s11, v5
	v_add_u32_e32 v1, v5, v1
	v_lshrrev_b32_e32 v1, s9, v1
	s_addc_u32 s7, s7, 0
	v_mul_lo_u32 v7, v1, s10
	s_add_u32 s4, s4, 8
	v_sub_u32_e32 v7, v5, v7
	s_addc_u32 s5, s5, 0
	s_add_i32 s8, s8, -1
	v_mad_u64_u32 v[22:23], s[10:11], v7, s13, v[22:23]
	s_cmp_lg_u32 s8, 0
	v_mov_b32_e32 v5, v1
	v_mad_u64_u32 v[20:21], s[10:11], v7, s12, v[20:21]
	v_mov_b32_e32 v1, v22
	s_cbranch_scc1 .LBB527_98
.LBB527_99:
	s_cbranch_execnz .LBB527_102
.LBB527_100:
	s_load_dwordx4 s[4:7], s[34:35], 0x4
	s_load_dwordx2 s[8:9], s[34:35], 0xc4
	s_cmp_lt_u32 s33, 2
	s_waitcnt lgkmcnt(0)
	v_mul_hi_u32 v1, s5, v3
	v_add_u32_e32 v1, v3, v1
	v_lshrrev_b32_e32 v1, s6, v1
	v_mul_lo_u32 v5, v1, s4
	v_sub_u32_e32 v3, v3, v5
	v_mul_lo_u32 v22, v3, s9
	v_mul_lo_u32 v20, v3, s8
	s_cbranch_scc1 .LBB527_102
; %bb.101:
	s_load_dwordx4 s[4:7], s[34:35], 0x10
	s_load_dwordx2 s[8:9], s[34:35], 0xcc
	s_waitcnt lgkmcnt(0)
	v_mul_hi_u32 v3, s5, v1
	v_add_u32_e32 v3, v1, v3
	v_lshrrev_b32_e32 v3, s6, v3
	v_mul_lo_u32 v3, v3, s4
	v_sub_u32_e32 v1, v1, v3
	v_mad_u64_u32 v[20:21], s[4:5], v1, s8, v[20:21]
	v_mad_u64_u32 v[22:23], s[4:5], v1, s9, v[22:23]
.LBB527_102:
	s_and_b64 vcc, exec, s[2:3]
	v_add_u32_e32 v3, 0x300, v24
	s_cbranch_vccnz .LBB527_108
; %bb.103:
	s_cmp_lg_u32 s33, 0
	s_mov_b32 s28, 0
	s_cbranch_scc0 .LBB527_109
; %bb.104:
	s_min_u32 s29, s58, 15
	s_add_i32 s29, s29, 1
	s_cmp_eq_u32 s58, 2
	s_cbranch_scc1 .LBB527_110
; %bb.105:
	s_and_b32 s28, s29, 28
	s_add_u32 s24, s34, 0xc4
	s_addc_u32 s25, s35, 0
	s_mov_b32 s30, 0
	v_mov_b32_e32 v24, 0
	v_mov_b32_e32 v26, 0
	s_mov_b64 s[26:27], s[34:35]
	v_mov_b32_e32 v5, v3
.LBB527_106:                            ; =>This Inner Loop Header: Depth=1
	s_load_dwordx8 s[12:19], s[26:27], 0x4
	s_load_dwordx4 s[20:23], s[26:27], 0x24
	s_load_dwordx8 s[4:11], s[24:25], 0x0
	s_add_u32 s26, s26, 48
	s_addc_u32 s27, s27, 0
	s_waitcnt lgkmcnt(0)
	v_mul_hi_u32 v1, s13, v5
	v_add_u32_e32 v1, v5, v1
	v_lshrrev_b32_e32 v1, s14, v1
	v_mul_lo_u32 v7, v1, s12
	v_mul_hi_u32 v9, s16, v1
	v_sub_u32_e32 v5, v5, v7
	v_add_u32_e32 v7, v1, v9
	v_lshrrev_b32_e32 v7, s17, v7
	v_mul_lo_u32 v11, v7, s15
	v_mul_hi_u32 v13, s19, v7
	v_sub_u32_e32 v1, v1, v11
	v_add_u32_e32 v11, v7, v13
	v_mul_lo_u32 v9, v5, s5
	v_mul_lo_u32 v5, v5, s4
	;; [unrolled: 1-line block ×4, first 2 shown]
	v_lshrrev_b32_e32 v11, s20, v11
	v_add3_u32 v1, v5, v24, v1
	v_add3_u32 v9, v9, v26, v13
	v_mul_lo_u32 v5, v11, s18
	v_mul_hi_u32 v13, s22, v11
	v_sub_u32_e32 v5, v7, v5
	v_add_u32_e32 v7, v11, v13
	v_mul_lo_u32 v13, v5, s8
	v_mul_lo_u32 v15, v5, s9
	v_lshrrev_b32_e32 v5, s23, v7
	s_add_i32 s30, s30, 4
	v_mul_lo_u32 v7, v5, s21
	s_add_u32 s24, s24, 32
	v_sub_u32_e32 v7, v11, v7
	s_addc_u32 s25, s25, 0
	v_mul_lo_u32 v11, v7, s10
	v_mul_lo_u32 v7, v7, s11
	s_cmp_lg_u32 s28, s30
	v_add3_u32 v26, v15, v9, v7
	v_add3_u32 v24, v13, v1, v11
	s_cbranch_scc1 .LBB527_106
; %bb.107:
	v_mov_b32_e32 v1, v26
	s_and_b32 s8, s29, 3
	s_cmp_eq_u32 s8, 0
	s_cbranch_scc0 .LBB527_111
	s_branch .LBB527_113
.LBB527_108:
                                        ; implicit-def: $vgpr26
                                        ; implicit-def: $vgpr24
	s_branch .LBB527_114
.LBB527_109:
	v_mov_b32_e32 v26, 0
	v_mov_b32_e32 v24, 0
	s_branch .LBB527_113
.LBB527_110:
	v_mov_b32_e32 v24, 0
                                        ; implicit-def: $vgpr26
	v_mov_b32_e32 v1, v24
	v_mov_b32_e32 v5, v3
	s_and_b32 s8, s29, 3
	s_cmp_eq_u32 s8, 0
	s_cbranch_scc1 .LBB527_113
.LBB527_111:
	s_lshl_b32 s4, s28, 3
	s_add_u32 s4, s34, s4
	s_addc_u32 s5, s35, 0
	s_add_u32 s4, s4, 0xc4
	s_addc_u32 s5, s5, 0
	s_mul_i32 s6, s28, 12
	s_add_u32 s6, s34, s6
	s_addc_u32 s7, s35, 0
.LBB527_112:                            ; =>This Inner Loop Header: Depth=1
	s_load_dwordx2 s[10:11], s[6:7], 0x4
	s_load_dword s9, s[6:7], 0xc
	s_load_dwordx2 s[12:13], s[4:5], 0x0
	v_mov_b32_e32 v26, v1
	s_add_u32 s6, s6, 12
	s_waitcnt lgkmcnt(0)
	v_mul_hi_u32 v1, s11, v5
	v_add_u32_e32 v1, v5, v1
	v_lshrrev_b32_e32 v1, s9, v1
	s_addc_u32 s7, s7, 0
	v_mul_lo_u32 v7, v1, s10
	s_add_u32 s4, s4, 8
	v_sub_u32_e32 v7, v5, v7
	s_addc_u32 s5, s5, 0
	s_add_i32 s8, s8, -1
	v_mad_u64_u32 v[26:27], s[10:11], v7, s13, v[26:27]
	s_cmp_lg_u32 s8, 0
	v_mov_b32_e32 v5, v1
	v_mad_u64_u32 v[24:25], s[10:11], v7, s12, v[24:25]
	v_mov_b32_e32 v1, v26
	s_cbranch_scc1 .LBB527_112
.LBB527_113:
	s_cbranch_execnz .LBB527_116
.LBB527_114:
	s_load_dwordx4 s[4:7], s[34:35], 0x4
	s_load_dwordx2 s[8:9], s[34:35], 0xc4
	s_cmp_lt_u32 s33, 2
	s_waitcnt lgkmcnt(0)
	v_mul_hi_u32 v1, s5, v3
	v_add_u32_e32 v1, v3, v1
	v_lshrrev_b32_e32 v1, s6, v1
	v_mul_lo_u32 v5, v1, s4
	v_sub_u32_e32 v3, v3, v5
	v_mul_lo_u32 v26, v3, s9
	v_mul_lo_u32 v24, v3, s8
	s_cbranch_scc1 .LBB527_116
; %bb.115:
	s_load_dwordx4 s[4:7], s[34:35], 0x10
	s_load_dwordx2 s[8:9], s[34:35], 0xcc
	s_waitcnt lgkmcnt(0)
	v_mul_hi_u32 v3, s5, v1
	v_add_u32_e32 v3, v1, v3
	v_lshrrev_b32_e32 v3, s6, v3
	v_mul_lo_u32 v3, v3, s4
	v_sub_u32_e32 v1, v1, v3
	v_mad_u64_u32 v[24:25], s[4:5], v1, s8, v[24:25]
	v_mad_u64_u32 v[26:27], s[4:5], v1, s9, v[26:27]
.LBB527_116:
	s_and_b64 vcc, exec, s[2:3]
	s_cbranch_vccnz .LBB527_122
; %bb.117:
	s_cmp_lg_u32 s33, 0
	s_mov_b32 s26, 0
	s_cbranch_scc0 .LBB527_123
; %bb.118:
	s_min_u32 s27, s58, 15
	s_add_i32 s27, s27, 1
	s_cmp_eq_u32 s58, 2
	s_cbranch_scc1 .LBB527_124
; %bb.119:
	s_and_b32 s26, s27, 28
	s_add_u32 s2, s34, 0xc4
	s_addc_u32 s3, s35, 0
	s_mov_b32 s28, 0
	v_mov_b32_e32 v28, 0
	v_mov_b32_e32 v30, 0
	s_mov_b64 s[24:25], s[34:35]
	v_mov_b32_e32 v3, v32
.LBB527_120:                            ; =>This Inner Loop Header: Depth=1
	s_load_dwordx8 s[12:19], s[24:25], 0x4
	s_load_dwordx4 s[20:23], s[24:25], 0x24
	s_load_dwordx8 s[4:11], s[2:3], 0x0
	s_add_u32 s24, s24, 48
	s_addc_u32 s25, s25, 0
	s_waitcnt lgkmcnt(0)
	v_mul_hi_u32 v1, s13, v3
	v_add_u32_e32 v1, v3, v1
	v_lshrrev_b32_e32 v1, s14, v1
	v_mul_lo_u32 v5, v1, s12
	v_mul_hi_u32 v7, s16, v1
	v_sub_u32_e32 v3, v3, v5
	v_add_u32_e32 v5, v1, v7
	v_lshrrev_b32_e32 v5, s17, v5
	v_mul_lo_u32 v9, v5, s15
	v_mul_hi_u32 v11, s19, v5
	v_sub_u32_e32 v1, v1, v9
	v_add_u32_e32 v9, v5, v11
	v_mul_lo_u32 v7, v3, s5
	v_mul_lo_u32 v3, v3, s4
	;; [unrolled: 1-line block ×4, first 2 shown]
	v_lshrrev_b32_e32 v9, s20, v9
	v_add3_u32 v1, v3, v28, v1
	v_add3_u32 v7, v7, v30, v11
	v_mul_lo_u32 v3, v9, s18
	v_mul_hi_u32 v11, s22, v9
	v_sub_u32_e32 v3, v5, v3
	v_add_u32_e32 v5, v9, v11
	v_mul_lo_u32 v11, v3, s8
	v_mul_lo_u32 v13, v3, s9
	v_lshrrev_b32_e32 v3, s23, v5
	s_add_i32 s28, s28, 4
	v_mul_lo_u32 v5, v3, s21
	s_add_u32 s2, s2, 32
	v_sub_u32_e32 v5, v9, v5
	s_addc_u32 s3, s3, 0
	v_mul_lo_u32 v9, v5, s10
	v_mul_lo_u32 v5, v5, s11
	s_cmp_lg_u32 s26, s28
	v_add3_u32 v30, v13, v7, v5
	v_add3_u32 v28, v11, v1, v9
	s_cbranch_scc1 .LBB527_120
; %bb.121:
	v_mov_b32_e32 v1, v30
	s_and_b32 s6, s27, 3
	s_cmp_eq_u32 s6, 0
	s_cbranch_scc0 .LBB527_125
	s_branch .LBB527_127
.LBB527_122:
                                        ; implicit-def: $vgpr30
                                        ; implicit-def: $vgpr28
	s_branch .LBB527_128
.LBB527_123:
	v_mov_b32_e32 v30, 0
	v_mov_b32_e32 v28, 0
	s_branch .LBB527_127
.LBB527_124:
	v_mov_b32_e32 v28, 0
                                        ; implicit-def: $vgpr30
	v_mov_b32_e32 v1, v28
	v_mov_b32_e32 v3, v32
	s_and_b32 s6, s27, 3
	s_cmp_eq_u32 s6, 0
	s_cbranch_scc1 .LBB527_127
.LBB527_125:
	s_lshl_b32 s2, s26, 3
	s_add_u32 s2, s34, s2
	s_addc_u32 s3, s35, 0
	s_add_u32 s2, s2, 0xc4
	s_addc_u32 s3, s3, 0
	s_mul_i32 s4, s26, 12
	s_add_u32 s4, s34, s4
	s_addc_u32 s5, s35, 0
.LBB527_126:                            ; =>This Inner Loop Header: Depth=1
	s_load_dwordx2 s[8:9], s[4:5], 0x4
	s_load_dword s7, s[4:5], 0xc
	s_load_dwordx2 s[10:11], s[2:3], 0x0
	v_mov_b32_e32 v30, v1
	s_add_u32 s4, s4, 12
	s_waitcnt lgkmcnt(0)
	v_mul_hi_u32 v1, s9, v3
	v_add_u32_e32 v1, v3, v1
	v_lshrrev_b32_e32 v1, s7, v1
	s_addc_u32 s5, s5, 0
	v_mul_lo_u32 v5, v1, s8
	s_add_u32 s2, s2, 8
	v_sub_u32_e32 v5, v3, v5
	s_addc_u32 s3, s3, 0
	s_add_i32 s6, s6, -1
	v_mad_u64_u32 v[30:31], s[8:9], v5, s11, v[30:31]
	s_cmp_lg_u32 s6, 0
	v_mov_b32_e32 v3, v1
	v_mad_u64_u32 v[28:29], s[8:9], v5, s10, v[28:29]
	v_mov_b32_e32 v1, v30
	s_cbranch_scc1 .LBB527_126
.LBB527_127:
	s_cbranch_execnz .LBB527_130
.LBB527_128:
	s_load_dwordx4 s[4:7], s[34:35], 0x4
	s_load_dwordx2 s[2:3], s[34:35], 0xc4
	s_cmp_lt_u32 s33, 2
	s_waitcnt lgkmcnt(0)
	v_mul_hi_u32 v1, s5, v32
	v_add_u32_e32 v1, v32, v1
	v_lshrrev_b32_e32 v1, s6, v1
	v_mul_lo_u32 v3, v1, s4
	v_sub_u32_e32 v3, v32, v3
	v_mul_lo_u32 v30, v3, s3
	v_mul_lo_u32 v28, v3, s2
	s_cbranch_scc1 .LBB527_130
; %bb.129:
	s_load_dwordx4 s[4:7], s[34:35], 0x10
	s_load_dwordx2 s[2:3], s[34:35], 0xcc
	s_waitcnt lgkmcnt(0)
	v_mul_hi_u32 v3, s5, v1
	v_add_u32_e32 v3, v1, v3
	v_lshrrev_b32_e32 v3, s6, v3
	v_mul_lo_u32 v3, v3, s4
	v_sub_u32_e32 v1, v1, v3
	v_mad_u64_u32 v[28:29], s[4:5], v1, s2, v[28:29]
	v_mad_u64_u32 v[30:31], s[2:3], v1, s3, v[30:31]
.LBB527_130:
	s_load_dwordx4 s[4:7], s[34:35], 0x148
	s_load_dword s10, s[34:35], 0x158
	s_waitcnt lgkmcnt(0)
	global_load_ushort v3, v4, s[6:7]
	v_mov_b32_e32 v1, s10
	s_waitcnt vmcnt(0)
	v_cmp_o_f16_e32 vcc, v3, v3
	s_and_saveexec_b64 s[2:3], vcc
	s_cbranch_execz .LBB527_134
; %bb.131:
	s_load_dword s8, s[0:1], 0x160
	s_movk_i32 s9, 0x7c00
	v_cmp_neq_f16_e32 vcc, s9, v3
	s_waitcnt lgkmcnt(0)
	s_lshr_b32 s8, s8, 16
	v_mov_b32_e32 v1, s8
	s_and_saveexec_b64 s[8:9], vcc
	s_cbranch_execz .LBB527_133
; %bb.132:
	s_load_dword s11, s[34:35], 0x15c
	s_mov_b32 s12, 0xfc00
	v_cmp_eq_f16_e32 vcc, s12, v3
	s_waitcnt lgkmcnt(0)
	v_mov_b32_e32 v1, s11
	v_cndmask_b32_e32 v1, v3, v1, vcc
.LBB527_133:
	s_or_b64 exec, exec, s[8:9]
.LBB527_134:
	s_or_b64 exec, exec, s[2:3]
	global_load_ushort v4, v8, s[6:7]
	v_mov_b32_e32 v3, s10
	s_waitcnt vmcnt(0)
	v_cmp_o_f16_e32 vcc, v4, v4
	s_and_saveexec_b64 s[2:3], vcc
	s_cbranch_execz .LBB527_138
; %bb.135:
	s_load_dword s8, s[0:1], 0x160
	s_movk_i32 s9, 0x7c00
	v_cmp_neq_f16_e32 vcc, s9, v4
	s_waitcnt lgkmcnt(0)
	s_lshr_b32 s8, s8, 16
	v_mov_b32_e32 v3, s8
	s_and_saveexec_b64 s[8:9], vcc
	s_cbranch_execz .LBB527_137
; %bb.136:
	s_load_dword s11, s[34:35], 0x15c
	s_mov_b32 s12, 0xfc00
	v_cmp_eq_f16_e32 vcc, s12, v4
	s_waitcnt lgkmcnt(0)
	v_mov_b32_e32 v3, s11
	v_cndmask_b32_e32 v3, v4, v3, vcc
.LBB527_137:
	s_or_b64 exec, exec, s[8:9]
.LBB527_138:
	s_or_b64 exec, exec, s[2:3]
	;; [unrolled: 26-line block ×8, first 2 shown]
	global_store_short v0, v1, s[4:5]
	global_store_short v2, v3, s[4:5]
	;; [unrolled: 1-line block ×8, first 2 shown]
	s_endpgm
.LBB527_163:
	v_mov_b32_e32 v2, 0
	v_mov_b32_e32 v0, 0
	s_branch .LBB527_169
.LBB527_164:
	v_mov_b32_e32 v2, 0
	v_mov_b32_e32 v0, 0
	s_branch .LBB527_190
.LBB527_165:
	v_mov_b32_e32 v0, 0
	s_mov_b32 s62, 0
	v_mov_b32_e32 v1, v0
                                        ; implicit-def: $vgpr2
	v_mov_b32_e32 v4, v24
.LBB527_166:
	s_and_b32 s8, s63, 3
	s_cmp_eq_u32 s8, 0
	s_cbranch_scc1 .LBB527_169
; %bb.167:
	s_lshl_b32 s4, s62, 3
	s_add_u32 s4, s34, s4
	s_addc_u32 s5, s35, 0
	s_add_u32 s4, s4, 0xc4
	s_addc_u32 s5, s5, 0
	s_mul_i32 s6, s62, 12
	s_add_u32 s6, s34, s6
	s_addc_u32 s7, s35, 0
.LBB527_168:                            ; =>This Inner Loop Header: Depth=1
	s_load_dwordx2 s[10:11], s[6:7], 0x4
	s_load_dword s9, s[6:7], 0xc
	s_load_dwordx2 s[12:13], s[4:5], 0x0
	v_mov_b32_e32 v2, v1
	s_add_u32 s6, s6, 12
	s_waitcnt lgkmcnt(0)
	v_mul_hi_u32 v1, s11, v4
	v_add_u32_e32 v1, v4, v1
	v_lshrrev_b32_e32 v1, s9, v1
	s_addc_u32 s7, s7, 0
	v_mul_lo_u32 v3, v1, s10
	s_add_u32 s4, s4, 8
	v_sub_u32_e32 v5, v4, v3
	s_addc_u32 s5, s5, 0
	s_add_i32 s8, s8, -1
	v_mov_b32_e32 v4, v1
	v_mad_u64_u32 v[2:3], s[10:11], v5, s13, v[2:3]
	v_mad_u64_u32 v[0:1], s[10:11], v5, s12, v[0:1]
	s_cmp_lg_u32 s8, 0
	v_mov_b32_e32 v1, v2
	s_cbranch_scc1 .LBB527_168
.LBB527_169:
	s_cbranch_execnz .LBB527_172
.LBB527_170:
	v_mul_hi_u32 v0, s25, v24
	v_add_u32_e32 v0, v24, v0
	v_lshrrev_b32_e32 v1, s26, v0
	v_mul_lo_u32 v0, v1, s24
	v_sub_u32_e32 v0, v24, v0
	v_mul_lo_u32 v2, v0, s29
	s_andn2_b64 vcc, exec, s[46:47]
	v_mul_lo_u32 v0, v0, s28
	s_cbranch_vccnz .LBB527_172
; %bb.171:
	v_mul_hi_u32 v3, s44, v1
	v_add_u32_e32 v3, v1, v3
	v_lshrrev_b32_e32 v3, s45, v3
	v_mul_lo_u32 v3, v3, s27
	v_sub_u32_e32 v3, v1, v3
	v_mad_u64_u32 v[0:1], s[4:5], v3, s30, v[0:1]
	v_mad_u64_u32 v[2:3], s[4:5], v3, s31, v[2:3]
.LBB527_172:
	global_load_ushort v1, v2, s[22:23]
	v_mov_b32_e32 v2, s42
	s_waitcnt vmcnt(0)
	v_cmp_o_f16_e32 vcc, v1, v1
	s_and_saveexec_b64 s[4:5], vcc
	s_cbranch_execz .LBB527_176
; %bb.173:
	s_movk_i32 s6, 0x7c00
	v_cmp_neq_f16_e32 vcc, s6, v1
	v_mov_b32_e32 v2, s59
	s_and_saveexec_b64 s[6:7], vcc
; %bb.174:
	s_mov_b32 s8, 0xfc00
	v_mov_b32_e32 v2, s43
	v_cmp_eq_f16_e32 vcc, s8, v1
	s_nop 1
	v_cndmask_b32_e32 v2, v1, v2, vcc
; %bb.175:
	s_or_b64 exec, exec, s[6:7]
.LBB527_176:
	s_or_b64 exec, exec, s[4:5]
	v_add_u32_e32 v24, 0x80, v24
	global_store_short v0, v2, s[20:21]
	s_or_b64 exec, exec, s[52:53]
	v_cmp_gt_i32_e32 vcc, s60, v24
	s_and_saveexec_b64 s[52:53], vcc
	s_cbranch_execnz .LBB527_16
.LBB527_177:
	s_or_b64 exec, exec, s[52:53]
	v_cmp_gt_i32_e32 vcc, s60, v24
	s_and_saveexec_b64 s[52:53], vcc
	s_cbranch_execz .LBB527_198
.LBB527_178:
	s_andn2_b64 vcc, exec, s[40:41]
	s_cbranch_vccnz .LBB527_184
; %bb.179:
	s_andn2_b64 vcc, exec, s[50:51]
	s_cbranch_vccnz .LBB527_185
; %bb.180:
	s_add_i32 s63, s61, 1
	s_cmp_eq_u32 s58, 2
	s_cbranch_scc1 .LBB527_207
; %bb.181:
	s_and_b32 s62, s63, 28
	s_mov_b32 s64, 0
	v_mov_b32_e32 v0, 0
	v_mov_b32_e32 v2, 0
	s_mov_b64 s[54:55], s[34:35]
	s_mov_b64 s[56:57], s[48:49]
	v_mov_b32_e32 v4, v24
.LBB527_182:                            ; =>This Inner Loop Header: Depth=1
	s_load_dwordx8 s[12:19], s[54:55], 0x4
	s_load_dwordx4 s[36:39], s[54:55], 0x24
	s_load_dwordx8 s[4:11], s[56:57], 0x0
	s_add_u32 s54, s54, 48
	s_addc_u32 s55, s55, 0
	s_waitcnt lgkmcnt(0)
	v_mul_hi_u32 v1, s13, v4
	v_add_u32_e32 v1, v4, v1
	v_lshrrev_b32_e32 v1, s14, v1
	v_mul_lo_u32 v3, v1, s12
	v_mul_hi_u32 v5, s16, v1
	v_sub_u32_e32 v3, v4, v3
	v_add_u32_e32 v4, v1, v5
	v_lshrrev_b32_e32 v4, s17, v4
	v_mul_lo_u32 v6, v4, s15
	v_mul_hi_u32 v7, s19, v4
	v_sub_u32_e32 v1, v1, v6
	v_add_u32_e32 v6, v4, v7
	v_mul_lo_u32 v5, v3, s5
	v_mul_lo_u32 v3, v3, s4
	;; [unrolled: 1-line block ×4, first 2 shown]
	v_lshrrev_b32_e32 v6, s36, v6
	v_add3_u32 v0, v3, v0, v1
	v_mul_hi_u32 v3, s38, v6
	v_add3_u32 v1, v5, v2, v7
	v_mul_lo_u32 v2, v6, s18
	v_add_u32_e32 v3, v6, v3
	v_sub_u32_e32 v2, v4, v2
	v_lshrrev_b32_e32 v4, s39, v3
	s_add_i32 s64, s64, 4
	v_mul_lo_u32 v3, v4, s37
	s_add_u32 s56, s56, 32
	v_sub_u32_e32 v3, v6, v3
	s_addc_u32 s57, s57, 0
	v_mul_lo_u32 v5, v2, s8
	v_mul_lo_u32 v2, v2, s9
	;; [unrolled: 1-line block ×4, first 2 shown]
	s_cmp_eq_u32 s62, s64
	v_add3_u32 v2, v2, v1, v3
	v_add3_u32 v0, v5, v0, v6
	s_cbranch_scc0 .LBB527_182
; %bb.183:
	v_mov_b32_e32 v1, v2
	s_branch .LBB527_208
.LBB527_184:
                                        ; implicit-def: $vgpr2
                                        ; implicit-def: $vgpr0
	s_branch .LBB527_212
.LBB527_185:
	v_mov_b32_e32 v2, 0
	v_mov_b32_e32 v0, 0
	s_branch .LBB527_211
.LBB527_186:
	v_mov_b32_e32 v0, 0
	s_mov_b32 s62, 0
	v_mov_b32_e32 v1, v0
                                        ; implicit-def: $vgpr2
	v_mov_b32_e32 v4, v24
.LBB527_187:
	s_and_b32 s8, s63, 3
	s_cmp_eq_u32 s8, 0
	s_cbranch_scc1 .LBB527_190
; %bb.188:
	s_lshl_b32 s4, s62, 3
	s_add_u32 s4, s34, s4
	s_addc_u32 s5, s35, 0
	s_add_u32 s4, s4, 0xc4
	s_addc_u32 s5, s5, 0
	s_mul_i32 s6, s62, 12
	s_add_u32 s6, s34, s6
	s_addc_u32 s7, s35, 0
.LBB527_189:                            ; =>This Inner Loop Header: Depth=1
	s_load_dwordx2 s[10:11], s[6:7], 0x4
	s_load_dword s9, s[6:7], 0xc
	s_load_dwordx2 s[12:13], s[4:5], 0x0
	v_mov_b32_e32 v2, v1
	s_add_u32 s6, s6, 12
	s_waitcnt lgkmcnt(0)
	v_mul_hi_u32 v1, s11, v4
	v_add_u32_e32 v1, v4, v1
	v_lshrrev_b32_e32 v1, s9, v1
	s_addc_u32 s7, s7, 0
	v_mul_lo_u32 v3, v1, s10
	s_add_u32 s4, s4, 8
	v_sub_u32_e32 v5, v4, v3
	s_addc_u32 s5, s5, 0
	s_add_i32 s8, s8, -1
	v_mov_b32_e32 v4, v1
	v_mad_u64_u32 v[2:3], s[10:11], v5, s13, v[2:3]
	v_mad_u64_u32 v[0:1], s[10:11], v5, s12, v[0:1]
	s_cmp_lg_u32 s8, 0
	v_mov_b32_e32 v1, v2
	s_cbranch_scc1 .LBB527_189
.LBB527_190:
	s_cbranch_execnz .LBB527_193
.LBB527_191:
	v_mul_hi_u32 v0, s25, v24
	v_add_u32_e32 v0, v24, v0
	v_lshrrev_b32_e32 v1, s26, v0
	v_mul_lo_u32 v0, v1, s24
	v_sub_u32_e32 v0, v24, v0
	v_mul_lo_u32 v2, v0, s29
	s_andn2_b64 vcc, exec, s[46:47]
	v_mul_lo_u32 v0, v0, s28
	s_cbranch_vccnz .LBB527_193
; %bb.192:
	v_mul_hi_u32 v3, s44, v1
	v_add_u32_e32 v3, v1, v3
	v_lshrrev_b32_e32 v3, s45, v3
	v_mul_lo_u32 v3, v3, s27
	v_sub_u32_e32 v3, v1, v3
	v_mad_u64_u32 v[0:1], s[4:5], v3, s30, v[0:1]
	v_mad_u64_u32 v[2:3], s[4:5], v3, s31, v[2:3]
.LBB527_193:
	global_load_ushort v1, v2, s[22:23]
	v_mov_b32_e32 v2, s42
	s_waitcnt vmcnt(0)
	v_cmp_o_f16_e32 vcc, v1, v1
	s_and_saveexec_b64 s[4:5], vcc
	s_cbranch_execz .LBB527_197
; %bb.194:
	s_movk_i32 s6, 0x7c00
	v_cmp_neq_f16_e32 vcc, s6, v1
	v_mov_b32_e32 v2, s59
	s_and_saveexec_b64 s[6:7], vcc
; %bb.195:
	s_mov_b32 s8, 0xfc00
	v_mov_b32_e32 v2, s43
	v_cmp_eq_f16_e32 vcc, s8, v1
	s_nop 1
	v_cndmask_b32_e32 v2, v1, v2, vcc
; %bb.196:
	s_or_b64 exec, exec, s[6:7]
.LBB527_197:
	s_or_b64 exec, exec, s[4:5]
	v_add_u32_e32 v24, 0x80, v24
	global_store_short v0, v2, s[20:21]
	s_or_b64 exec, exec, s[52:53]
	v_cmp_gt_i32_e32 vcc, s60, v24
	s_and_saveexec_b64 s[52:53], vcc
	s_cbranch_execnz .LBB527_178
.LBB527_198:
	s_or_b64 exec, exec, s[52:53]
	v_cmp_gt_i32_e32 vcc, s60, v24
	s_and_saveexec_b64 s[52:53], vcc
	s_cbranch_execz .LBB527_219
.LBB527_199:
	s_andn2_b64 vcc, exec, s[40:41]
	s_cbranch_vccnz .LBB527_205
; %bb.200:
	s_andn2_b64 vcc, exec, s[50:51]
	s_cbranch_vccnz .LBB527_206
; %bb.201:
	s_add_i32 s63, s61, 1
	s_cmp_eq_u32 s58, 2
	s_cbranch_scc1 .LBB527_228
; %bb.202:
	s_and_b32 s62, s63, 28
	s_mov_b32 s64, 0
	v_mov_b32_e32 v0, 0
	v_mov_b32_e32 v2, 0
	s_mov_b64 s[54:55], s[34:35]
	s_mov_b64 s[56:57], s[48:49]
	v_mov_b32_e32 v4, v24
.LBB527_203:                            ; =>This Inner Loop Header: Depth=1
	s_load_dwordx8 s[12:19], s[54:55], 0x4
	s_load_dwordx4 s[36:39], s[54:55], 0x24
	s_load_dwordx8 s[4:11], s[56:57], 0x0
	s_add_u32 s54, s54, 48
	s_addc_u32 s55, s55, 0
	s_waitcnt lgkmcnt(0)
	v_mul_hi_u32 v1, s13, v4
	v_add_u32_e32 v1, v4, v1
	v_lshrrev_b32_e32 v1, s14, v1
	v_mul_lo_u32 v3, v1, s12
	v_mul_hi_u32 v5, s16, v1
	v_sub_u32_e32 v3, v4, v3
	v_add_u32_e32 v4, v1, v5
	v_lshrrev_b32_e32 v4, s17, v4
	v_mul_lo_u32 v6, v4, s15
	v_mul_hi_u32 v7, s19, v4
	v_sub_u32_e32 v1, v1, v6
	v_add_u32_e32 v6, v4, v7
	v_mul_lo_u32 v5, v3, s5
	v_mul_lo_u32 v3, v3, s4
	;; [unrolled: 1-line block ×4, first 2 shown]
	v_lshrrev_b32_e32 v6, s36, v6
	v_add3_u32 v0, v3, v0, v1
	v_mul_hi_u32 v3, s38, v6
	v_add3_u32 v1, v5, v2, v7
	v_mul_lo_u32 v2, v6, s18
	v_add_u32_e32 v3, v6, v3
	v_sub_u32_e32 v2, v4, v2
	v_lshrrev_b32_e32 v4, s39, v3
	s_add_i32 s64, s64, 4
	v_mul_lo_u32 v3, v4, s37
	s_add_u32 s56, s56, 32
	v_sub_u32_e32 v3, v6, v3
	s_addc_u32 s57, s57, 0
	v_mul_lo_u32 v5, v2, s8
	v_mul_lo_u32 v2, v2, s9
	;; [unrolled: 1-line block ×4, first 2 shown]
	s_cmp_eq_u32 s62, s64
	v_add3_u32 v2, v2, v1, v3
	v_add3_u32 v0, v5, v0, v6
	s_cbranch_scc0 .LBB527_203
; %bb.204:
	v_mov_b32_e32 v1, v2
	s_branch .LBB527_229
.LBB527_205:
                                        ; implicit-def: $vgpr2
                                        ; implicit-def: $vgpr0
	s_branch .LBB527_233
.LBB527_206:
	v_mov_b32_e32 v2, 0
	v_mov_b32_e32 v0, 0
	s_branch .LBB527_232
.LBB527_207:
	v_mov_b32_e32 v0, 0
	s_mov_b32 s62, 0
	v_mov_b32_e32 v1, v0
                                        ; implicit-def: $vgpr2
	v_mov_b32_e32 v4, v24
.LBB527_208:
	s_and_b32 s8, s63, 3
	s_cmp_eq_u32 s8, 0
	s_cbranch_scc1 .LBB527_211
; %bb.209:
	s_lshl_b32 s4, s62, 3
	s_add_u32 s4, s34, s4
	s_addc_u32 s5, s35, 0
	s_add_u32 s4, s4, 0xc4
	s_addc_u32 s5, s5, 0
	s_mul_i32 s6, s62, 12
	s_add_u32 s6, s34, s6
	s_addc_u32 s7, s35, 0
.LBB527_210:                            ; =>This Inner Loop Header: Depth=1
	s_load_dwordx2 s[10:11], s[6:7], 0x4
	s_load_dword s9, s[6:7], 0xc
	s_load_dwordx2 s[12:13], s[4:5], 0x0
	v_mov_b32_e32 v2, v1
	s_add_u32 s6, s6, 12
	s_waitcnt lgkmcnt(0)
	v_mul_hi_u32 v1, s11, v4
	v_add_u32_e32 v1, v4, v1
	v_lshrrev_b32_e32 v1, s9, v1
	s_addc_u32 s7, s7, 0
	v_mul_lo_u32 v3, v1, s10
	s_add_u32 s4, s4, 8
	v_sub_u32_e32 v5, v4, v3
	s_addc_u32 s5, s5, 0
	s_add_i32 s8, s8, -1
	v_mov_b32_e32 v4, v1
	v_mad_u64_u32 v[2:3], s[10:11], v5, s13, v[2:3]
	v_mad_u64_u32 v[0:1], s[10:11], v5, s12, v[0:1]
	s_cmp_lg_u32 s8, 0
	v_mov_b32_e32 v1, v2
	s_cbranch_scc1 .LBB527_210
.LBB527_211:
	s_cbranch_execnz .LBB527_214
.LBB527_212:
	v_mul_hi_u32 v0, s25, v24
	v_add_u32_e32 v0, v24, v0
	v_lshrrev_b32_e32 v1, s26, v0
	v_mul_lo_u32 v0, v1, s24
	v_sub_u32_e32 v0, v24, v0
	v_mul_lo_u32 v2, v0, s29
	s_andn2_b64 vcc, exec, s[46:47]
	v_mul_lo_u32 v0, v0, s28
	s_cbranch_vccnz .LBB527_214
; %bb.213:
	v_mul_hi_u32 v3, s44, v1
	v_add_u32_e32 v3, v1, v3
	v_lshrrev_b32_e32 v3, s45, v3
	v_mul_lo_u32 v3, v3, s27
	v_sub_u32_e32 v3, v1, v3
	v_mad_u64_u32 v[0:1], s[4:5], v3, s30, v[0:1]
	v_mad_u64_u32 v[2:3], s[4:5], v3, s31, v[2:3]
.LBB527_214:
	global_load_ushort v1, v2, s[22:23]
	v_mov_b32_e32 v2, s42
	s_waitcnt vmcnt(0)
	v_cmp_o_f16_e32 vcc, v1, v1
	s_and_saveexec_b64 s[4:5], vcc
	s_cbranch_execz .LBB527_218
; %bb.215:
	s_movk_i32 s6, 0x7c00
	v_cmp_neq_f16_e32 vcc, s6, v1
	v_mov_b32_e32 v2, s59
	s_and_saveexec_b64 s[6:7], vcc
; %bb.216:
	s_mov_b32 s8, 0xfc00
	v_mov_b32_e32 v2, s43
	v_cmp_eq_f16_e32 vcc, s8, v1
	s_nop 1
	v_cndmask_b32_e32 v2, v1, v2, vcc
; %bb.217:
	s_or_b64 exec, exec, s[6:7]
.LBB527_218:
	s_or_b64 exec, exec, s[4:5]
	v_add_u32_e32 v24, 0x80, v24
	global_store_short v0, v2, s[20:21]
	s_or_b64 exec, exec, s[52:53]
	v_cmp_gt_i32_e32 vcc, s60, v24
	s_and_saveexec_b64 s[52:53], vcc
	s_cbranch_execnz .LBB527_199
.LBB527_219:
	s_or_b64 exec, exec, s[52:53]
	v_cmp_gt_i32_e32 vcc, s60, v24
	s_and_saveexec_b64 s[52:53], vcc
	s_cbranch_execz .LBB527_240
.LBB527_220:
	s_andn2_b64 vcc, exec, s[40:41]
	s_cbranch_vccnz .LBB527_226
; %bb.221:
	s_andn2_b64 vcc, exec, s[50:51]
	s_cbranch_vccnz .LBB527_227
; %bb.222:
	s_add_i32 s63, s61, 1
	s_cmp_eq_u32 s58, 2
	s_cbranch_scc1 .LBB527_249
; %bb.223:
	s_and_b32 s62, s63, 28
	s_mov_b32 s64, 0
	v_mov_b32_e32 v0, 0
	v_mov_b32_e32 v2, 0
	s_mov_b64 s[54:55], s[34:35]
	s_mov_b64 s[56:57], s[48:49]
	v_mov_b32_e32 v4, v24
.LBB527_224:                            ; =>This Inner Loop Header: Depth=1
	s_load_dwordx8 s[12:19], s[54:55], 0x4
	s_load_dwordx4 s[36:39], s[54:55], 0x24
	s_load_dwordx8 s[4:11], s[56:57], 0x0
	s_add_u32 s54, s54, 48
	s_addc_u32 s55, s55, 0
	s_waitcnt lgkmcnt(0)
	v_mul_hi_u32 v1, s13, v4
	v_add_u32_e32 v1, v4, v1
	v_lshrrev_b32_e32 v1, s14, v1
	v_mul_lo_u32 v3, v1, s12
	v_mul_hi_u32 v5, s16, v1
	v_sub_u32_e32 v3, v4, v3
	v_add_u32_e32 v4, v1, v5
	v_lshrrev_b32_e32 v4, s17, v4
	v_mul_lo_u32 v6, v4, s15
	v_mul_hi_u32 v7, s19, v4
	v_sub_u32_e32 v1, v1, v6
	v_add_u32_e32 v6, v4, v7
	v_mul_lo_u32 v5, v3, s5
	v_mul_lo_u32 v3, v3, s4
	;; [unrolled: 1-line block ×4, first 2 shown]
	v_lshrrev_b32_e32 v6, s36, v6
	v_add3_u32 v0, v3, v0, v1
	v_mul_hi_u32 v3, s38, v6
	v_add3_u32 v1, v5, v2, v7
	v_mul_lo_u32 v2, v6, s18
	v_add_u32_e32 v3, v6, v3
	v_sub_u32_e32 v2, v4, v2
	v_lshrrev_b32_e32 v4, s39, v3
	s_add_i32 s64, s64, 4
	v_mul_lo_u32 v3, v4, s37
	s_add_u32 s56, s56, 32
	v_sub_u32_e32 v3, v6, v3
	s_addc_u32 s57, s57, 0
	v_mul_lo_u32 v5, v2, s8
	v_mul_lo_u32 v2, v2, s9
	;; [unrolled: 1-line block ×4, first 2 shown]
	s_cmp_eq_u32 s62, s64
	v_add3_u32 v2, v2, v1, v3
	v_add3_u32 v0, v5, v0, v6
	s_cbranch_scc0 .LBB527_224
; %bb.225:
	v_mov_b32_e32 v1, v2
	s_branch .LBB527_250
.LBB527_226:
                                        ; implicit-def: $vgpr2
                                        ; implicit-def: $vgpr0
	s_branch .LBB527_254
.LBB527_227:
	v_mov_b32_e32 v2, 0
	v_mov_b32_e32 v0, 0
	s_branch .LBB527_253
.LBB527_228:
	v_mov_b32_e32 v0, 0
	s_mov_b32 s62, 0
	v_mov_b32_e32 v1, v0
                                        ; implicit-def: $vgpr2
	v_mov_b32_e32 v4, v24
.LBB527_229:
	s_and_b32 s8, s63, 3
	s_cmp_eq_u32 s8, 0
	s_cbranch_scc1 .LBB527_232
; %bb.230:
	s_lshl_b32 s4, s62, 3
	s_add_u32 s4, s34, s4
	s_addc_u32 s5, s35, 0
	s_add_u32 s4, s4, 0xc4
	s_addc_u32 s5, s5, 0
	s_mul_i32 s6, s62, 12
	s_add_u32 s6, s34, s6
	s_addc_u32 s7, s35, 0
.LBB527_231:                            ; =>This Inner Loop Header: Depth=1
	s_load_dwordx2 s[10:11], s[6:7], 0x4
	s_load_dword s9, s[6:7], 0xc
	s_load_dwordx2 s[12:13], s[4:5], 0x0
	v_mov_b32_e32 v2, v1
	s_add_u32 s6, s6, 12
	s_waitcnt lgkmcnt(0)
	v_mul_hi_u32 v1, s11, v4
	v_add_u32_e32 v1, v4, v1
	v_lshrrev_b32_e32 v1, s9, v1
	s_addc_u32 s7, s7, 0
	v_mul_lo_u32 v3, v1, s10
	s_add_u32 s4, s4, 8
	v_sub_u32_e32 v5, v4, v3
	s_addc_u32 s5, s5, 0
	s_add_i32 s8, s8, -1
	v_mov_b32_e32 v4, v1
	v_mad_u64_u32 v[2:3], s[10:11], v5, s13, v[2:3]
	v_mad_u64_u32 v[0:1], s[10:11], v5, s12, v[0:1]
	s_cmp_lg_u32 s8, 0
	v_mov_b32_e32 v1, v2
	s_cbranch_scc1 .LBB527_231
.LBB527_232:
	s_cbranch_execnz .LBB527_235
.LBB527_233:
	v_mul_hi_u32 v0, s25, v24
	v_add_u32_e32 v0, v24, v0
	v_lshrrev_b32_e32 v1, s26, v0
	v_mul_lo_u32 v0, v1, s24
	v_sub_u32_e32 v0, v24, v0
	v_mul_lo_u32 v2, v0, s29
	s_andn2_b64 vcc, exec, s[46:47]
	v_mul_lo_u32 v0, v0, s28
	s_cbranch_vccnz .LBB527_235
; %bb.234:
	v_mul_hi_u32 v3, s44, v1
	v_add_u32_e32 v3, v1, v3
	v_lshrrev_b32_e32 v3, s45, v3
	v_mul_lo_u32 v3, v3, s27
	v_sub_u32_e32 v3, v1, v3
	v_mad_u64_u32 v[0:1], s[4:5], v3, s30, v[0:1]
	v_mad_u64_u32 v[2:3], s[4:5], v3, s31, v[2:3]
.LBB527_235:
	global_load_ushort v1, v2, s[22:23]
	v_mov_b32_e32 v2, s42
	s_waitcnt vmcnt(0)
	v_cmp_o_f16_e32 vcc, v1, v1
	s_and_saveexec_b64 s[4:5], vcc
	s_cbranch_execz .LBB527_239
; %bb.236:
	s_movk_i32 s6, 0x7c00
	v_cmp_neq_f16_e32 vcc, s6, v1
	v_mov_b32_e32 v2, s59
	s_and_saveexec_b64 s[6:7], vcc
; %bb.237:
	s_mov_b32 s8, 0xfc00
	v_mov_b32_e32 v2, s43
	v_cmp_eq_f16_e32 vcc, s8, v1
	s_nop 1
	v_cndmask_b32_e32 v2, v1, v2, vcc
; %bb.238:
	s_or_b64 exec, exec, s[6:7]
.LBB527_239:
	s_or_b64 exec, exec, s[4:5]
	v_add_u32_e32 v24, 0x80, v24
	global_store_short v0, v2, s[20:21]
	s_or_b64 exec, exec, s[52:53]
	v_cmp_gt_i32_e32 vcc, s60, v24
	s_and_saveexec_b64 s[52:53], vcc
	s_cbranch_execnz .LBB527_220
.LBB527_240:
	s_or_b64 exec, exec, s[52:53]
	v_cmp_gt_i32_e32 vcc, s60, v24
	s_and_saveexec_b64 s[52:53], vcc
	s_cbranch_execz .LBB527_261
.LBB527_241:
	s_andn2_b64 vcc, exec, s[40:41]
	s_cbranch_vccnz .LBB527_247
; %bb.242:
	s_andn2_b64 vcc, exec, s[50:51]
	s_cbranch_vccnz .LBB527_248
; %bb.243:
	s_add_i32 s63, s61, 1
	s_cmp_eq_u32 s58, 2
	s_cbranch_scc1 .LBB527_270
; %bb.244:
	s_and_b32 s62, s63, 28
	s_mov_b32 s64, 0
	v_mov_b32_e32 v0, 0
	v_mov_b32_e32 v2, 0
	s_mov_b64 s[54:55], s[34:35]
	s_mov_b64 s[56:57], s[48:49]
	v_mov_b32_e32 v4, v24
.LBB527_245:                            ; =>This Inner Loop Header: Depth=1
	s_load_dwordx8 s[12:19], s[54:55], 0x4
	s_load_dwordx4 s[36:39], s[54:55], 0x24
	s_load_dwordx8 s[4:11], s[56:57], 0x0
	s_add_u32 s54, s54, 48
	s_addc_u32 s55, s55, 0
	s_waitcnt lgkmcnt(0)
	v_mul_hi_u32 v1, s13, v4
	v_add_u32_e32 v1, v4, v1
	v_lshrrev_b32_e32 v1, s14, v1
	v_mul_lo_u32 v3, v1, s12
	v_mul_hi_u32 v5, s16, v1
	v_sub_u32_e32 v3, v4, v3
	v_add_u32_e32 v4, v1, v5
	v_lshrrev_b32_e32 v4, s17, v4
	v_mul_lo_u32 v6, v4, s15
	v_mul_hi_u32 v7, s19, v4
	v_sub_u32_e32 v1, v1, v6
	v_add_u32_e32 v6, v4, v7
	v_mul_lo_u32 v5, v3, s5
	v_mul_lo_u32 v3, v3, s4
	;; [unrolled: 1-line block ×4, first 2 shown]
	v_lshrrev_b32_e32 v6, s36, v6
	v_add3_u32 v0, v3, v0, v1
	v_mul_hi_u32 v3, s38, v6
	v_add3_u32 v1, v5, v2, v7
	v_mul_lo_u32 v2, v6, s18
	v_add_u32_e32 v3, v6, v3
	v_sub_u32_e32 v2, v4, v2
	v_lshrrev_b32_e32 v4, s39, v3
	s_add_i32 s64, s64, 4
	v_mul_lo_u32 v3, v4, s37
	s_add_u32 s56, s56, 32
	v_sub_u32_e32 v3, v6, v3
	s_addc_u32 s57, s57, 0
	v_mul_lo_u32 v5, v2, s8
	v_mul_lo_u32 v2, v2, s9
	;; [unrolled: 1-line block ×4, first 2 shown]
	s_cmp_eq_u32 s62, s64
	v_add3_u32 v2, v2, v1, v3
	v_add3_u32 v0, v5, v0, v6
	s_cbranch_scc0 .LBB527_245
; %bb.246:
	v_mov_b32_e32 v1, v2
	s_branch .LBB527_271
.LBB527_247:
                                        ; implicit-def: $vgpr2
                                        ; implicit-def: $vgpr0
	s_branch .LBB527_275
.LBB527_248:
	v_mov_b32_e32 v2, 0
	v_mov_b32_e32 v0, 0
	s_branch .LBB527_274
.LBB527_249:
	v_mov_b32_e32 v0, 0
	s_mov_b32 s62, 0
	v_mov_b32_e32 v1, v0
                                        ; implicit-def: $vgpr2
	v_mov_b32_e32 v4, v24
.LBB527_250:
	s_and_b32 s8, s63, 3
	s_cmp_eq_u32 s8, 0
	s_cbranch_scc1 .LBB527_253
; %bb.251:
	s_lshl_b32 s4, s62, 3
	s_add_u32 s4, s34, s4
	s_addc_u32 s5, s35, 0
	s_add_u32 s4, s4, 0xc4
	s_addc_u32 s5, s5, 0
	s_mul_i32 s6, s62, 12
	s_add_u32 s6, s34, s6
	s_addc_u32 s7, s35, 0
.LBB527_252:                            ; =>This Inner Loop Header: Depth=1
	s_load_dwordx2 s[10:11], s[6:7], 0x4
	s_load_dword s9, s[6:7], 0xc
	s_load_dwordx2 s[12:13], s[4:5], 0x0
	v_mov_b32_e32 v2, v1
	s_add_u32 s6, s6, 12
	s_waitcnt lgkmcnt(0)
	v_mul_hi_u32 v1, s11, v4
	v_add_u32_e32 v1, v4, v1
	v_lshrrev_b32_e32 v1, s9, v1
	s_addc_u32 s7, s7, 0
	v_mul_lo_u32 v3, v1, s10
	s_add_u32 s4, s4, 8
	v_sub_u32_e32 v5, v4, v3
	s_addc_u32 s5, s5, 0
	s_add_i32 s8, s8, -1
	v_mov_b32_e32 v4, v1
	v_mad_u64_u32 v[2:3], s[10:11], v5, s13, v[2:3]
	v_mad_u64_u32 v[0:1], s[10:11], v5, s12, v[0:1]
	s_cmp_lg_u32 s8, 0
	v_mov_b32_e32 v1, v2
	s_cbranch_scc1 .LBB527_252
.LBB527_253:
	s_cbranch_execnz .LBB527_256
.LBB527_254:
	v_mul_hi_u32 v0, s25, v24
	v_add_u32_e32 v0, v24, v0
	v_lshrrev_b32_e32 v1, s26, v0
	v_mul_lo_u32 v0, v1, s24
	v_sub_u32_e32 v0, v24, v0
	v_mul_lo_u32 v2, v0, s29
	s_andn2_b64 vcc, exec, s[46:47]
	v_mul_lo_u32 v0, v0, s28
	s_cbranch_vccnz .LBB527_256
; %bb.255:
	v_mul_hi_u32 v3, s44, v1
	v_add_u32_e32 v3, v1, v3
	v_lshrrev_b32_e32 v3, s45, v3
	v_mul_lo_u32 v3, v3, s27
	v_sub_u32_e32 v3, v1, v3
	v_mad_u64_u32 v[0:1], s[4:5], v3, s30, v[0:1]
	v_mad_u64_u32 v[2:3], s[4:5], v3, s31, v[2:3]
.LBB527_256:
	global_load_ushort v1, v2, s[22:23]
	v_mov_b32_e32 v2, s42
	s_waitcnt vmcnt(0)
	v_cmp_o_f16_e32 vcc, v1, v1
	s_and_saveexec_b64 s[4:5], vcc
	s_cbranch_execz .LBB527_260
; %bb.257:
	s_movk_i32 s6, 0x7c00
	v_cmp_neq_f16_e32 vcc, s6, v1
	v_mov_b32_e32 v2, s59
	s_and_saveexec_b64 s[6:7], vcc
; %bb.258:
	s_mov_b32 s8, 0xfc00
	v_mov_b32_e32 v2, s43
	v_cmp_eq_f16_e32 vcc, s8, v1
	s_nop 1
	v_cndmask_b32_e32 v2, v1, v2, vcc
; %bb.259:
	s_or_b64 exec, exec, s[6:7]
.LBB527_260:
	s_or_b64 exec, exec, s[4:5]
	v_add_u32_e32 v24, 0x80, v24
	global_store_short v0, v2, s[20:21]
	s_or_b64 exec, exec, s[52:53]
	v_cmp_gt_i32_e32 vcc, s60, v24
	s_and_saveexec_b64 s[52:53], vcc
	s_cbranch_execnz .LBB527_241
.LBB527_261:
	s_or_b64 exec, exec, s[52:53]
	v_cmp_gt_i32_e32 vcc, s60, v24
	s_and_saveexec_b64 s[52:53], vcc
	s_cbranch_execz .LBB527_282
.LBB527_262:
	s_andn2_b64 vcc, exec, s[40:41]
	s_cbranch_vccnz .LBB527_268
; %bb.263:
	s_andn2_b64 vcc, exec, s[50:51]
	s_cbranch_vccnz .LBB527_269
; %bb.264:
	s_add_i32 s63, s61, 1
	s_cmp_eq_u32 s58, 2
	s_cbranch_scc1 .LBB527_285
; %bb.265:
	s_and_b32 s62, s63, 28
	s_mov_b32 s64, 0
	v_mov_b32_e32 v0, 0
	v_mov_b32_e32 v2, 0
	s_mov_b64 s[54:55], s[34:35]
	s_mov_b64 s[56:57], s[48:49]
	v_mov_b32_e32 v4, v24
.LBB527_266:                            ; =>This Inner Loop Header: Depth=1
	s_load_dwordx8 s[12:19], s[54:55], 0x4
	s_load_dwordx4 s[36:39], s[54:55], 0x24
	s_load_dwordx8 s[4:11], s[56:57], 0x0
	s_add_u32 s54, s54, 48
	s_addc_u32 s55, s55, 0
	s_waitcnt lgkmcnt(0)
	v_mul_hi_u32 v1, s13, v4
	v_add_u32_e32 v1, v4, v1
	v_lshrrev_b32_e32 v1, s14, v1
	v_mul_lo_u32 v3, v1, s12
	v_mul_hi_u32 v5, s16, v1
	v_sub_u32_e32 v3, v4, v3
	v_add_u32_e32 v4, v1, v5
	v_lshrrev_b32_e32 v4, s17, v4
	v_mul_lo_u32 v6, v4, s15
	v_mul_hi_u32 v7, s19, v4
	v_sub_u32_e32 v1, v1, v6
	v_add_u32_e32 v6, v4, v7
	v_mul_lo_u32 v5, v3, s5
	v_mul_lo_u32 v3, v3, s4
	;; [unrolled: 1-line block ×4, first 2 shown]
	v_lshrrev_b32_e32 v6, s36, v6
	v_add3_u32 v0, v3, v0, v1
	v_mul_hi_u32 v3, s38, v6
	v_add3_u32 v1, v5, v2, v7
	v_mul_lo_u32 v2, v6, s18
	v_add_u32_e32 v3, v6, v3
	v_sub_u32_e32 v2, v4, v2
	v_lshrrev_b32_e32 v4, s39, v3
	s_add_i32 s64, s64, 4
	v_mul_lo_u32 v3, v4, s37
	s_add_u32 s56, s56, 32
	v_sub_u32_e32 v3, v6, v3
	s_addc_u32 s57, s57, 0
	v_mul_lo_u32 v5, v2, s8
	v_mul_lo_u32 v2, v2, s9
	;; [unrolled: 1-line block ×4, first 2 shown]
	s_cmp_eq_u32 s62, s64
	v_add3_u32 v2, v2, v1, v3
	v_add3_u32 v0, v5, v0, v6
	s_cbranch_scc0 .LBB527_266
; %bb.267:
	v_mov_b32_e32 v1, v2
	s_branch .LBB527_286
.LBB527_268:
                                        ; implicit-def: $vgpr2
                                        ; implicit-def: $vgpr0
	s_branch .LBB527_290
.LBB527_269:
	v_mov_b32_e32 v2, 0
	v_mov_b32_e32 v0, 0
	s_branch .LBB527_289
.LBB527_270:
	v_mov_b32_e32 v0, 0
	s_mov_b32 s62, 0
	v_mov_b32_e32 v1, v0
                                        ; implicit-def: $vgpr2
	v_mov_b32_e32 v4, v24
.LBB527_271:
	s_and_b32 s8, s63, 3
	s_cmp_eq_u32 s8, 0
	s_cbranch_scc1 .LBB527_274
; %bb.272:
	s_lshl_b32 s4, s62, 3
	s_add_u32 s4, s34, s4
	s_addc_u32 s5, s35, 0
	s_add_u32 s4, s4, 0xc4
	s_addc_u32 s5, s5, 0
	s_mul_i32 s6, s62, 12
	s_add_u32 s6, s34, s6
	s_addc_u32 s7, s35, 0
.LBB527_273:                            ; =>This Inner Loop Header: Depth=1
	s_load_dwordx2 s[10:11], s[6:7], 0x4
	s_load_dword s9, s[6:7], 0xc
	s_load_dwordx2 s[12:13], s[4:5], 0x0
	v_mov_b32_e32 v2, v1
	s_add_u32 s6, s6, 12
	s_waitcnt lgkmcnt(0)
	v_mul_hi_u32 v1, s11, v4
	v_add_u32_e32 v1, v4, v1
	v_lshrrev_b32_e32 v1, s9, v1
	s_addc_u32 s7, s7, 0
	v_mul_lo_u32 v3, v1, s10
	s_add_u32 s4, s4, 8
	v_sub_u32_e32 v5, v4, v3
	s_addc_u32 s5, s5, 0
	s_add_i32 s8, s8, -1
	v_mov_b32_e32 v4, v1
	v_mad_u64_u32 v[2:3], s[10:11], v5, s13, v[2:3]
	v_mad_u64_u32 v[0:1], s[10:11], v5, s12, v[0:1]
	s_cmp_lg_u32 s8, 0
	v_mov_b32_e32 v1, v2
	s_cbranch_scc1 .LBB527_273
.LBB527_274:
	s_cbranch_execnz .LBB527_277
.LBB527_275:
	v_mul_hi_u32 v0, s25, v24
	v_add_u32_e32 v0, v24, v0
	v_lshrrev_b32_e32 v1, s26, v0
	v_mul_lo_u32 v0, v1, s24
	v_sub_u32_e32 v0, v24, v0
	v_mul_lo_u32 v2, v0, s29
	s_andn2_b64 vcc, exec, s[46:47]
	v_mul_lo_u32 v0, v0, s28
	s_cbranch_vccnz .LBB527_277
; %bb.276:
	v_mul_hi_u32 v3, s44, v1
	v_add_u32_e32 v3, v1, v3
	v_lshrrev_b32_e32 v3, s45, v3
	v_mul_lo_u32 v3, v3, s27
	v_sub_u32_e32 v3, v1, v3
	v_mad_u64_u32 v[0:1], s[4:5], v3, s30, v[0:1]
	v_mad_u64_u32 v[2:3], s[4:5], v3, s31, v[2:3]
.LBB527_277:
	global_load_ushort v1, v2, s[22:23]
	v_mov_b32_e32 v2, s42
	s_waitcnt vmcnt(0)
	v_cmp_o_f16_e32 vcc, v1, v1
	s_and_saveexec_b64 s[4:5], vcc
	s_cbranch_execz .LBB527_281
; %bb.278:
	s_movk_i32 s6, 0x7c00
	v_cmp_neq_f16_e32 vcc, s6, v1
	v_mov_b32_e32 v2, s59
	s_and_saveexec_b64 s[6:7], vcc
; %bb.279:
	s_mov_b32 s8, 0xfc00
	v_mov_b32_e32 v2, s43
	v_cmp_eq_f16_e32 vcc, s8, v1
	s_nop 1
	v_cndmask_b32_e32 v2, v1, v2, vcc
; %bb.280:
	s_or_b64 exec, exec, s[6:7]
.LBB527_281:
	s_or_b64 exec, exec, s[4:5]
	v_add_u32_e32 v24, 0x80, v24
	global_store_short v0, v2, s[20:21]
	s_or_b64 exec, exec, s[52:53]
	v_cmp_gt_i32_e32 vcc, s60, v24
	s_and_saveexec_b64 s[52:53], vcc
	s_cbranch_execnz .LBB527_262
.LBB527_282:
	s_or_b64 exec, exec, s[52:53]
	v_cmp_gt_i32_e32 vcc, s60, v24
	s_and_saveexec_b64 s[52:53], vcc
	s_cbranch_execnz .LBB527_297
.LBB527_283:
	s_or_b64 exec, exec, s[52:53]
                                        ; implicit-def: $vgpr32
                                        ; implicit-def: $vgpr24
	s_andn2_saveexec_b64 s[2:3], s[2:3]
	s_cbranch_execnz .LBB527_9
.LBB527_284:
	s_endpgm
.LBB527_285:
	v_mov_b32_e32 v0, 0
	s_mov_b32 s62, 0
	v_mov_b32_e32 v1, v0
                                        ; implicit-def: $vgpr2
	v_mov_b32_e32 v4, v24
.LBB527_286:
	s_and_b32 s8, s63, 3
	s_cmp_eq_u32 s8, 0
	s_cbranch_scc1 .LBB527_289
; %bb.287:
	s_lshl_b32 s4, s62, 3
	s_add_u32 s4, s34, s4
	s_addc_u32 s5, s35, 0
	s_add_u32 s4, s4, 0xc4
	s_addc_u32 s5, s5, 0
	s_mul_i32 s6, s62, 12
	s_add_u32 s6, s34, s6
	s_addc_u32 s7, s35, 0
.LBB527_288:                            ; =>This Inner Loop Header: Depth=1
	s_load_dwordx2 s[10:11], s[6:7], 0x4
	s_load_dword s9, s[6:7], 0xc
	s_load_dwordx2 s[12:13], s[4:5], 0x0
	v_mov_b32_e32 v2, v1
	s_add_u32 s6, s6, 12
	s_waitcnt lgkmcnt(0)
	v_mul_hi_u32 v1, s11, v4
	v_add_u32_e32 v1, v4, v1
	v_lshrrev_b32_e32 v1, s9, v1
	s_addc_u32 s7, s7, 0
	v_mul_lo_u32 v3, v1, s10
	s_add_u32 s4, s4, 8
	v_sub_u32_e32 v5, v4, v3
	s_addc_u32 s5, s5, 0
	s_add_i32 s8, s8, -1
	v_mov_b32_e32 v4, v1
	v_mad_u64_u32 v[2:3], s[10:11], v5, s13, v[2:3]
	v_mad_u64_u32 v[0:1], s[10:11], v5, s12, v[0:1]
	s_cmp_lg_u32 s8, 0
	v_mov_b32_e32 v1, v2
	s_cbranch_scc1 .LBB527_288
.LBB527_289:
	s_cbranch_execnz .LBB527_292
.LBB527_290:
	v_mul_hi_u32 v0, s25, v24
	v_add_u32_e32 v0, v24, v0
	v_lshrrev_b32_e32 v1, s26, v0
	v_mul_lo_u32 v0, v1, s24
	v_sub_u32_e32 v0, v24, v0
	v_mul_lo_u32 v2, v0, s29
	s_andn2_b64 vcc, exec, s[46:47]
	v_mul_lo_u32 v0, v0, s28
	s_cbranch_vccnz .LBB527_292
; %bb.291:
	v_mul_hi_u32 v3, s44, v1
	v_add_u32_e32 v3, v1, v3
	v_lshrrev_b32_e32 v3, s45, v3
	v_mul_lo_u32 v3, v3, s27
	v_sub_u32_e32 v3, v1, v3
	v_mad_u64_u32 v[0:1], s[4:5], v3, s30, v[0:1]
	v_mad_u64_u32 v[2:3], s[4:5], v3, s31, v[2:3]
.LBB527_292:
	global_load_ushort v1, v2, s[22:23]
	v_mov_b32_e32 v2, s42
	s_waitcnt vmcnt(0)
	v_cmp_o_f16_e32 vcc, v1, v1
	s_and_saveexec_b64 s[4:5], vcc
	s_cbranch_execz .LBB527_296
; %bb.293:
	s_movk_i32 s6, 0x7c00
	v_cmp_neq_f16_e32 vcc, s6, v1
	v_mov_b32_e32 v2, s59
	s_and_saveexec_b64 s[6:7], vcc
; %bb.294:
	s_mov_b32 s8, 0xfc00
	v_mov_b32_e32 v2, s43
	v_cmp_eq_f16_e32 vcc, s8, v1
	s_nop 1
	v_cndmask_b32_e32 v2, v1, v2, vcc
; %bb.295:
	s_or_b64 exec, exec, s[6:7]
.LBB527_296:
	s_or_b64 exec, exec, s[4:5]
	v_add_u32_e32 v24, 0x80, v24
	global_store_short v0, v2, s[20:21]
	s_or_b64 exec, exec, s[52:53]
	v_cmp_gt_i32_e32 vcc, s60, v24
	s_and_saveexec_b64 s[52:53], vcc
	s_cbranch_execz .LBB527_283
.LBB527_297:
	s_andn2_b64 vcc, exec, s[40:41]
	s_cbranch_vccnz .LBB527_303
; %bb.298:
	s_andn2_b64 vcc, exec, s[50:51]
	s_cbranch_vccnz .LBB527_304
; %bb.299:
	s_add_i32 s61, s61, 1
	s_cmp_eq_u32 s58, 2
	s_cbranch_scc1 .LBB527_305
; %bb.300:
	s_and_b32 s54, s61, 28
	s_mov_b32 s55, 0
	v_mov_b32_e32 v0, 0
	v_mov_b32_e32 v2, 0
	s_mov_b64 s[50:51], s[34:35]
	v_mov_b32_e32 v4, v24
.LBB527_301:                            ; =>This Inner Loop Header: Depth=1
	s_load_dwordx8 s[12:19], s[50:51], 0x4
	s_load_dwordx4 s[36:39], s[50:51], 0x24
	s_load_dwordx8 s[4:11], s[48:49], 0x0
	s_add_u32 s50, s50, 48
	s_addc_u32 s51, s51, 0
	s_waitcnt lgkmcnt(0)
	v_mul_hi_u32 v1, s13, v4
	v_add_u32_e32 v1, v4, v1
	v_lshrrev_b32_e32 v1, s14, v1
	v_mul_lo_u32 v3, v1, s12
	v_mul_hi_u32 v5, s16, v1
	v_sub_u32_e32 v3, v4, v3
	v_add_u32_e32 v4, v1, v5
	v_lshrrev_b32_e32 v4, s17, v4
	v_mul_lo_u32 v6, v4, s15
	v_mul_hi_u32 v7, s19, v4
	v_sub_u32_e32 v1, v1, v6
	v_add_u32_e32 v6, v4, v7
	v_mul_lo_u32 v5, v3, s5
	v_mul_lo_u32 v3, v3, s4
	;; [unrolled: 1-line block ×4, first 2 shown]
	v_lshrrev_b32_e32 v6, s36, v6
	v_add3_u32 v0, v3, v0, v1
	v_mul_hi_u32 v3, s38, v6
	v_add3_u32 v1, v5, v2, v7
	v_mul_lo_u32 v2, v6, s18
	v_add_u32_e32 v3, v6, v3
	v_sub_u32_e32 v2, v4, v2
	v_lshrrev_b32_e32 v4, s39, v3
	s_add_i32 s55, s55, 4
	v_mul_lo_u32 v3, v4, s37
	s_add_u32 s48, s48, 32
	v_sub_u32_e32 v3, v6, v3
	s_addc_u32 s49, s49, 0
	v_mul_lo_u32 v5, v2, s8
	v_mul_lo_u32 v2, v2, s9
	;; [unrolled: 1-line block ×4, first 2 shown]
	s_cmp_eq_u32 s54, s55
	v_add3_u32 v2, v2, v1, v3
	v_add3_u32 v0, v5, v0, v6
	s_cbranch_scc0 .LBB527_301
; %bb.302:
	v_mov_b32_e32 v1, v2
	s_branch .LBB527_306
.LBB527_303:
                                        ; implicit-def: $vgpr2
                                        ; implicit-def: $vgpr0
	s_branch .LBB527_310
.LBB527_304:
	v_mov_b32_e32 v2, 0
	v_mov_b32_e32 v0, 0
	s_branch .LBB527_309
.LBB527_305:
	v_mov_b32_e32 v0, 0
	s_mov_b32 s54, 0
	v_mov_b32_e32 v1, v0
                                        ; implicit-def: $vgpr2
	v_mov_b32_e32 v4, v24
.LBB527_306:
	s_and_b32 s8, s61, 3
	s_cmp_eq_u32 s8, 0
	s_cbranch_scc1 .LBB527_309
; %bb.307:
	s_lshl_b32 s4, s54, 3
	s_add_u32 s4, s34, s4
	s_addc_u32 s5, s35, 0
	s_add_u32 s4, s4, 0xc4
	s_addc_u32 s5, s5, 0
	s_mul_i32 s6, s54, 12
	s_add_u32 s6, s34, s6
	s_addc_u32 s7, s35, 0
.LBB527_308:                            ; =>This Inner Loop Header: Depth=1
	s_load_dwordx2 s[10:11], s[6:7], 0x4
	s_load_dword s9, s[6:7], 0xc
	s_load_dwordx2 s[12:13], s[4:5], 0x0
	v_mov_b32_e32 v2, v1
	s_add_u32 s6, s6, 12
	s_waitcnt lgkmcnt(0)
	v_mul_hi_u32 v1, s11, v4
	v_add_u32_e32 v1, v4, v1
	v_lshrrev_b32_e32 v1, s9, v1
	s_addc_u32 s7, s7, 0
	v_mul_lo_u32 v3, v1, s10
	s_add_u32 s4, s4, 8
	v_sub_u32_e32 v5, v4, v3
	s_addc_u32 s5, s5, 0
	s_add_i32 s8, s8, -1
	v_mov_b32_e32 v4, v1
	v_mad_u64_u32 v[2:3], s[10:11], v5, s13, v[2:3]
	v_mad_u64_u32 v[0:1], s[10:11], v5, s12, v[0:1]
	s_cmp_lg_u32 s8, 0
	v_mov_b32_e32 v1, v2
	s_cbranch_scc1 .LBB527_308
.LBB527_309:
	s_cbranch_execnz .LBB527_312
.LBB527_310:
	v_mul_hi_u32 v0, s25, v24
	v_add_u32_e32 v0, v24, v0
	v_lshrrev_b32_e32 v1, s26, v0
	v_mul_lo_u32 v0, v1, s24
	v_sub_u32_e32 v0, v24, v0
	v_mul_lo_u32 v2, v0, s29
	s_andn2_b64 vcc, exec, s[46:47]
	v_mul_lo_u32 v0, v0, s28
	s_cbranch_vccnz .LBB527_312
; %bb.311:
	v_mul_hi_u32 v3, s44, v1
	v_add_u32_e32 v3, v1, v3
	v_lshrrev_b32_e32 v3, s45, v3
	v_mul_lo_u32 v3, v3, s27
	v_sub_u32_e32 v3, v1, v3
	v_mad_u64_u32 v[0:1], s[4:5], v3, s30, v[0:1]
	v_mad_u64_u32 v[2:3], s[4:5], v3, s31, v[2:3]
.LBB527_312:
	global_load_ushort v1, v2, s[22:23]
	v_mov_b32_e32 v2, s42
	s_waitcnt vmcnt(0)
	v_cmp_o_f16_e32 vcc, v1, v1
	s_and_saveexec_b64 s[4:5], vcc
	s_cbranch_execz .LBB527_316
; %bb.313:
	s_movk_i32 s6, 0x7c00
	v_cmp_neq_f16_e32 vcc, s6, v1
	v_mov_b32_e32 v2, s59
	s_and_saveexec_b64 s[6:7], vcc
; %bb.314:
	s_mov_b32 s8, 0xfc00
	v_mov_b32_e32 v2, s43
	v_cmp_eq_f16_e32 vcc, s8, v1
	s_nop 1
	v_cndmask_b32_e32 v2, v1, v2, vcc
; %bb.315:
	s_or_b64 exec, exec, s[6:7]
.LBB527_316:
	s_or_b64 exec, exec, s[4:5]
	global_store_short v0, v2, s[20:21]
	s_or_b64 exec, exec, s[52:53]
                                        ; implicit-def: $vgpr32
                                        ; implicit-def: $vgpr24
	s_andn2_saveexec_b64 s[2:3], s[2:3]
	s_cbranch_execz .LBB527_284
	s_branch .LBB527_9
	.section	.rodata,"a",@progbits
	.p2align	6, 0x0
	.amdhsa_kernel _ZN2at6native32elementwise_kernel_manual_unrollILi128ELi8EZNS0_22gpu_kernel_impl_nocastIZZZNS0_22nan_to_num_kernel_cudaERNS_18TensorIteratorBaseESt8optionalIdES6_S6_ENKUlvE0_clEvENKUlvE1_clEvEUlN3c104HalfEE_EEvS4_RKT_EUlibE_EEviT1_
		.amdhsa_group_segment_fixed_size 0
		.amdhsa_private_segment_fixed_size 0
		.amdhsa_kernarg_size 360
		.amdhsa_user_sgpr_count 2
		.amdhsa_user_sgpr_dispatch_ptr 0
		.amdhsa_user_sgpr_queue_ptr 0
		.amdhsa_user_sgpr_kernarg_segment_ptr 1
		.amdhsa_user_sgpr_dispatch_id 0
		.amdhsa_user_sgpr_kernarg_preload_length 0
		.amdhsa_user_sgpr_kernarg_preload_offset 0
		.amdhsa_user_sgpr_private_segment_size 0
		.amdhsa_uses_dynamic_stack 0
		.amdhsa_enable_private_segment 0
		.amdhsa_system_sgpr_workgroup_id_x 1
		.amdhsa_system_sgpr_workgroup_id_y 0
		.amdhsa_system_sgpr_workgroup_id_z 0
		.amdhsa_system_sgpr_workgroup_info 0
		.amdhsa_system_vgpr_workitem_id 0
		.amdhsa_next_free_vgpr 33
		.amdhsa_next_free_sgpr 65
		.amdhsa_accum_offset 36
		.amdhsa_reserve_vcc 1
		.amdhsa_float_round_mode_32 0
		.amdhsa_float_round_mode_16_64 0
		.amdhsa_float_denorm_mode_32 3
		.amdhsa_float_denorm_mode_16_64 3
		.amdhsa_dx10_clamp 1
		.amdhsa_ieee_mode 1
		.amdhsa_fp16_overflow 0
		.amdhsa_tg_split 0
		.amdhsa_exception_fp_ieee_invalid_op 0
		.amdhsa_exception_fp_denorm_src 0
		.amdhsa_exception_fp_ieee_div_zero 0
		.amdhsa_exception_fp_ieee_overflow 0
		.amdhsa_exception_fp_ieee_underflow 0
		.amdhsa_exception_fp_ieee_inexact 0
		.amdhsa_exception_int_div_zero 0
	.end_amdhsa_kernel
	.section	.text._ZN2at6native32elementwise_kernel_manual_unrollILi128ELi8EZNS0_22gpu_kernel_impl_nocastIZZZNS0_22nan_to_num_kernel_cudaERNS_18TensorIteratorBaseESt8optionalIdES6_S6_ENKUlvE0_clEvENKUlvE1_clEvEUlN3c104HalfEE_EEvS4_RKT_EUlibE_EEviT1_,"axG",@progbits,_ZN2at6native32elementwise_kernel_manual_unrollILi128ELi8EZNS0_22gpu_kernel_impl_nocastIZZZNS0_22nan_to_num_kernel_cudaERNS_18TensorIteratorBaseESt8optionalIdES6_S6_ENKUlvE0_clEvENKUlvE1_clEvEUlN3c104HalfEE_EEvS4_RKT_EUlibE_EEviT1_,comdat
.Lfunc_end527:
	.size	_ZN2at6native32elementwise_kernel_manual_unrollILi128ELi8EZNS0_22gpu_kernel_impl_nocastIZZZNS0_22nan_to_num_kernel_cudaERNS_18TensorIteratorBaseESt8optionalIdES6_S6_ENKUlvE0_clEvENKUlvE1_clEvEUlN3c104HalfEE_EEvS4_RKT_EUlibE_EEviT1_, .Lfunc_end527-_ZN2at6native32elementwise_kernel_manual_unrollILi128ELi8EZNS0_22gpu_kernel_impl_nocastIZZZNS0_22nan_to_num_kernel_cudaERNS_18TensorIteratorBaseESt8optionalIdES6_S6_ENKUlvE0_clEvENKUlvE1_clEvEUlN3c104HalfEE_EEvS4_RKT_EUlibE_EEviT1_
                                        ; -- End function
	.set _ZN2at6native32elementwise_kernel_manual_unrollILi128ELi8EZNS0_22gpu_kernel_impl_nocastIZZZNS0_22nan_to_num_kernel_cudaERNS_18TensorIteratorBaseESt8optionalIdES6_S6_ENKUlvE0_clEvENKUlvE1_clEvEUlN3c104HalfEE_EEvS4_RKT_EUlibE_EEviT1_.num_vgpr, 33
	.set _ZN2at6native32elementwise_kernel_manual_unrollILi128ELi8EZNS0_22gpu_kernel_impl_nocastIZZZNS0_22nan_to_num_kernel_cudaERNS_18TensorIteratorBaseESt8optionalIdES6_S6_ENKUlvE0_clEvENKUlvE1_clEvEUlN3c104HalfEE_EEvS4_RKT_EUlibE_EEviT1_.num_agpr, 0
	.set _ZN2at6native32elementwise_kernel_manual_unrollILi128ELi8EZNS0_22gpu_kernel_impl_nocastIZZZNS0_22nan_to_num_kernel_cudaERNS_18TensorIteratorBaseESt8optionalIdES6_S6_ENKUlvE0_clEvENKUlvE1_clEvEUlN3c104HalfEE_EEvS4_RKT_EUlibE_EEviT1_.numbered_sgpr, 65
	.set _ZN2at6native32elementwise_kernel_manual_unrollILi128ELi8EZNS0_22gpu_kernel_impl_nocastIZZZNS0_22nan_to_num_kernel_cudaERNS_18TensorIteratorBaseESt8optionalIdES6_S6_ENKUlvE0_clEvENKUlvE1_clEvEUlN3c104HalfEE_EEvS4_RKT_EUlibE_EEviT1_.num_named_barrier, 0
	.set _ZN2at6native32elementwise_kernel_manual_unrollILi128ELi8EZNS0_22gpu_kernel_impl_nocastIZZZNS0_22nan_to_num_kernel_cudaERNS_18TensorIteratorBaseESt8optionalIdES6_S6_ENKUlvE0_clEvENKUlvE1_clEvEUlN3c104HalfEE_EEvS4_RKT_EUlibE_EEviT1_.private_seg_size, 0
	.set _ZN2at6native32elementwise_kernel_manual_unrollILi128ELi8EZNS0_22gpu_kernel_impl_nocastIZZZNS0_22nan_to_num_kernel_cudaERNS_18TensorIteratorBaseESt8optionalIdES6_S6_ENKUlvE0_clEvENKUlvE1_clEvEUlN3c104HalfEE_EEvS4_RKT_EUlibE_EEviT1_.uses_vcc, 1
	.set _ZN2at6native32elementwise_kernel_manual_unrollILi128ELi8EZNS0_22gpu_kernel_impl_nocastIZZZNS0_22nan_to_num_kernel_cudaERNS_18TensorIteratorBaseESt8optionalIdES6_S6_ENKUlvE0_clEvENKUlvE1_clEvEUlN3c104HalfEE_EEvS4_RKT_EUlibE_EEviT1_.uses_flat_scratch, 0
	.set _ZN2at6native32elementwise_kernel_manual_unrollILi128ELi8EZNS0_22gpu_kernel_impl_nocastIZZZNS0_22nan_to_num_kernel_cudaERNS_18TensorIteratorBaseESt8optionalIdES6_S6_ENKUlvE0_clEvENKUlvE1_clEvEUlN3c104HalfEE_EEvS4_RKT_EUlibE_EEviT1_.has_dyn_sized_stack, 0
	.set _ZN2at6native32elementwise_kernel_manual_unrollILi128ELi8EZNS0_22gpu_kernel_impl_nocastIZZZNS0_22nan_to_num_kernel_cudaERNS_18TensorIteratorBaseESt8optionalIdES6_S6_ENKUlvE0_clEvENKUlvE1_clEvEUlN3c104HalfEE_EEvS4_RKT_EUlibE_EEviT1_.has_recursion, 0
	.set _ZN2at6native32elementwise_kernel_manual_unrollILi128ELi8EZNS0_22gpu_kernel_impl_nocastIZZZNS0_22nan_to_num_kernel_cudaERNS_18TensorIteratorBaseESt8optionalIdES6_S6_ENKUlvE0_clEvENKUlvE1_clEvEUlN3c104HalfEE_EEvS4_RKT_EUlibE_EEviT1_.has_indirect_call, 0
	.section	.AMDGPU.csdata,"",@progbits
; Kernel info:
; codeLenInByte = 12568
; TotalNumSgprs: 71
; NumVgprs: 33
; NumAgprs: 0
; TotalNumVgprs: 33
; ScratchSize: 0
; MemoryBound: 0
; FloatMode: 240
; IeeeMode: 1
; LDSByteSize: 0 bytes/workgroup (compile time only)
; SGPRBlocks: 8
; VGPRBlocks: 4
; NumSGPRsForWavesPerEU: 71
; NumVGPRsForWavesPerEU: 33
; AccumOffset: 36
; Occupancy: 8
; WaveLimiterHint : 1
; COMPUTE_PGM_RSRC2:SCRATCH_EN: 0
; COMPUTE_PGM_RSRC2:USER_SGPR: 2
; COMPUTE_PGM_RSRC2:TRAP_HANDLER: 0
; COMPUTE_PGM_RSRC2:TGID_X_EN: 1
; COMPUTE_PGM_RSRC2:TGID_Y_EN: 0
; COMPUTE_PGM_RSRC2:TGID_Z_EN: 0
; COMPUTE_PGM_RSRC2:TIDIG_COMP_CNT: 0
; COMPUTE_PGM_RSRC3_GFX90A:ACCUM_OFFSET: 8
; COMPUTE_PGM_RSRC3_GFX90A:TG_SPLIT: 0
	.section	.text._ZN2at6native32elementwise_kernel_manual_unrollILi128ELi4EZNS0_15gpu_kernel_implIZZZNS0_22nan_to_num_kernel_cudaERNS_18TensorIteratorBaseESt8optionalIdES6_S6_ENKUlvE0_clEvENKUlvE1_clEvEUlN3c104HalfEE_EEvS4_RKT_EUlibE_EEviT1_,"axG",@progbits,_ZN2at6native32elementwise_kernel_manual_unrollILi128ELi4EZNS0_15gpu_kernel_implIZZZNS0_22nan_to_num_kernel_cudaERNS_18TensorIteratorBaseESt8optionalIdES6_S6_ENKUlvE0_clEvENKUlvE1_clEvEUlN3c104HalfEE_EEvS4_RKT_EUlibE_EEviT1_,comdat
	.globl	_ZN2at6native32elementwise_kernel_manual_unrollILi128ELi4EZNS0_15gpu_kernel_implIZZZNS0_22nan_to_num_kernel_cudaERNS_18TensorIteratorBaseESt8optionalIdES6_S6_ENKUlvE0_clEvENKUlvE1_clEvEUlN3c104HalfEE_EEvS4_RKT_EUlibE_EEviT1_ ; -- Begin function _ZN2at6native32elementwise_kernel_manual_unrollILi128ELi4EZNS0_15gpu_kernel_implIZZZNS0_22nan_to_num_kernel_cudaERNS_18TensorIteratorBaseESt8optionalIdES6_S6_ENKUlvE0_clEvENKUlvE1_clEvEUlN3c104HalfEE_EEvS4_RKT_EUlibE_EEviT1_
	.p2align	8
	.type	_ZN2at6native32elementwise_kernel_manual_unrollILi128ELi4EZNS0_15gpu_kernel_implIZZZNS0_22nan_to_num_kernel_cudaERNS_18TensorIteratorBaseESt8optionalIdES6_S6_ENKUlvE0_clEvENKUlvE1_clEvEUlN3c104HalfEE_EEvS4_RKT_EUlibE_EEviT1_,@function
_ZN2at6native32elementwise_kernel_manual_unrollILi128ELi4EZNS0_15gpu_kernel_implIZZZNS0_22nan_to_num_kernel_cudaERNS_18TensorIteratorBaseESt8optionalIdES6_S6_ENKUlvE0_clEvENKUlvE1_clEvEUlN3c104HalfEE_EEvS4_RKT_EUlibE_EEviT1_: ; @_ZN2at6native32elementwise_kernel_manual_unrollILi128ELi4EZNS0_15gpu_kernel_implIZZZNS0_22nan_to_num_kernel_cudaERNS_18TensorIteratorBaseESt8optionalIdES6_S6_ENKUlvE0_clEvENKUlvE1_clEvEUlN3c104HalfEE_EEvS4_RKT_EUlibE_EEviT1_
; %bb.0:
	s_load_dwordx8 s[4:11], s[0:1], 0x8
	s_load_dword s3, s[0:1], 0x24
	s_load_dword s40, s[0:1], 0x0
	v_lshl_or_b32 v4, s2, 9, v0
	v_or_b32_e32 v0, 0x180, v4
	s_waitcnt lgkmcnt(0)
	s_lshr_b32 s44, s10, 16
	s_lshr_b32 s33, s3, 16
	;; [unrolled: 1-line block ×3, first 2 shown]
	v_cmp_le_i32_e32 vcc, s40, v0
	s_mov_b64 s[2:3], 0
	s_mov_b64 s[14:15], 0
	s_and_saveexec_b64 s[0:1], vcc
	s_xor_b64 s[12:13], exec, s[0:1]
	s_cbranch_execz .LBB528_1043
; %bb.1:
	v_cmp_gt_i32_e32 vcc, s40, v4
	s_mov_b64 s[20:21], -1
	s_mov_b64 s[22:23], 0
	s_mov_b64 s[16:17], 0
	s_and_saveexec_b64 s[18:19], vcc
	s_cbranch_execz .LBB528_256
; %bb.2:
	v_mul_lo_u32 v0, v4, s9
	v_ashrrev_i32_e32 v1, 31, v0
	s_and_b32 s24, 0xffff, s45
	s_cmp_lt_i32 s24, 11
	v_lshl_add_u64 v[0:1], s[6:7], 0, v[0:1]
	s_cbranch_scc1 .LBB528_9
; %bb.3:
	s_cmp_gt_i32 s24, 25
	s_cbranch_scc0 .LBB528_22
; %bb.4:
	s_cmp_gt_i32 s24, 28
	s_cbranch_scc0 .LBB528_26
; %bb.5:
	s_cmp_gt_i32 s24, 43
	s_cbranch_scc0 .LBB528_28
; %bb.6:
	s_cmp_gt_i32 s24, 45
	s_cbranch_scc0 .LBB528_30
; %bb.7:
	s_cmp_eq_u32 s24, 46
	s_cbranch_scc0 .LBB528_32
; %bb.8:
	global_load_dword v2, v[0:1], off
	s_mov_b64 s[0:1], -1
	s_waitcnt vmcnt(0)
	v_lshlrev_b32_e32 v2, 16, v2
	v_cvt_f16_f32_e32 v3, v2
	s_branch .LBB528_34
.LBB528_9:
                                        ; implicit-def: $vgpr3
	s_mov_b64 s[0:1], 0
	s_cbranch_execnz .LBB528_207
.LBB528_10:
	s_andn2_b64 vcc, exec, s[0:1]
	s_cbranch_vccnz .LBB528_254
.LBB528_11:
	s_waitcnt vmcnt(0)
	v_cmp_o_f16_e32 vcc, v3, v3
	v_mov_b32_e32 v2, s10
	s_and_saveexec_b64 s[0:1], vcc
	s_cbranch_execz .LBB528_15
; %bb.12:
	s_movk_i32 s14, 0x7c00
	v_cmp_neq_f16_e32 vcc, s14, v3
	v_mov_b32_e32 v2, s44
	s_and_saveexec_b64 s[14:15], vcc
; %bb.13:
	s_mov_b32 s20, 0xfc00
	v_mov_b32_e32 v0, s11
	v_cmp_eq_f16_e32 vcc, s20, v3
	s_nop 1
	v_cndmask_b32_e32 v2, v3, v0, vcc
; %bb.14:
	s_or_b64 exec, exec, s[14:15]
.LBB528_15:
	s_or_b64 exec, exec, s[0:1]
	v_mul_lo_u32 v0, v4, s8
	v_ashrrev_i32_e32 v1, 31, v0
	s_and_b32 s26, s33, 0xff
	s_cmp_lt_i32 s26, 11
	v_lshl_add_u64 v[0:1], s[4:5], 0, v[0:1]
	s_cbranch_scc1 .LBB528_23
; %bb.16:
	s_and_b32 s27, 0xffff, s26
	s_cmp_gt_i32 s27, 25
	s_cbranch_scc0 .LBB528_27
; %bb.17:
	s_cmp_gt_i32 s27, 28
	s_cbranch_scc0 .LBB528_29
; %bb.18:
	;; [unrolled: 3-line block ×4, first 2 shown]
	s_mov_b64 s[20:21], 0
	s_mov_b64 s[0:1], -1
	s_cmp_eq_u32 s27, 46
	s_mov_b64 s[14:15], 0
	s_cbranch_scc0 .LBB528_38
; %bb.21:
	v_cvt_f32_f16_e32 v3, v2
	s_movk_i32 s0, 0x7fff
	v_cmp_o_f16_e32 vcc, v2, v2
	v_mov_b32_e32 v5, 0x7fc0
	v_bfe_u32 v6, v3, 16, 1
	v_add3_u32 v3, v3, v6, s0
	v_cndmask_b32_sdwa v3, v5, v3, vcc dst_sel:DWORD dst_unused:UNUSED_PAD src0_sel:DWORD src1_sel:WORD_1
	global_store_dword v[0:1], v3, off
	s_mov_b64 s[14:15], -1
	s_mov_b64 s[0:1], 0
	s_branch .LBB528_38
.LBB528_22:
	s_mov_b64 s[0:1], 0
                                        ; implicit-def: $vgpr3
	s_cbranch_execnz .LBB528_172
	s_branch .LBB528_206
.LBB528_23:
	s_mov_b64 s[0:1], 0
	s_mov_b64 s[14:15], 0
	s_cbranch_execnz .LBB528_107
.LBB528_24:
	s_andn2_b64 vcc, exec, s[14:15]
	s_cbranch_vccnz .LBB528_145
.LBB528_25:
	v_add_u32_e32 v4, 0x80, v4
	s_mov_b64 s[20:21], -1
	s_branch .LBB528_255
.LBB528_26:
	s_mov_b64 s[14:15], -1
	s_mov_b64 s[0:1], 0
                                        ; implicit-def: $vgpr3
	s_branch .LBB528_153
.LBB528_27:
	s_mov_b64 s[20:21], -1
	s_mov_b64 s[0:1], 0
	s_mov_b64 s[14:15], 0
	s_branch .LBB528_65
.LBB528_28:
	s_mov_b64 s[14:15], -1
	s_mov_b64 s[0:1], 0
                                        ; implicit-def: $vgpr3
	s_branch .LBB528_148
.LBB528_29:
	s_mov_b64 s[20:21], -1
	s_mov_b64 s[0:1], 0
	s_mov_b64 s[14:15], 0
	s_branch .LBB528_48
.LBB528_30:
	s_mov_b64 s[14:15], -1
	s_branch .LBB528_33
.LBB528_31:
	s_mov_b64 s[20:21], -1
	s_mov_b64 s[0:1], 0
	s_mov_b64 s[14:15], 0
	s_branch .LBB528_44
.LBB528_32:
	s_mov_b64 s[16:17], -1
.LBB528_33:
	s_mov_b64 s[0:1], 0
                                        ; implicit-def: $vgpr3
.LBB528_34:
	s_and_b64 vcc, exec, s[14:15]
	s_cbranch_vccz .LBB528_147
; %bb.35:
	s_cmp_eq_u32 s24, 44
	s_cbranch_scc0 .LBB528_146
; %bb.36:
	global_load_ubyte v2, v[0:1], off
	s_movk_i32 s14, 0xff
	v_mov_b32_e32 v5, 0x7e00
	s_mov_b64 s[0:1], -1
	s_mov_b64 s[16:17], 0
	s_waitcnt vmcnt(0)
	v_lshlrev_b32_e32 v3, 23, v2
	v_cvt_f16_f32_e32 v3, v3
	v_cmp_ne_u32_e32 vcc, s14, v2
	s_nop 1
	v_cndmask_b32_e32 v3, v5, v3, vcc
	v_cmp_ne_u32_e32 vcc, 0, v2
	s_nop 1
	v_cndmask_b32_e32 v3, 0, v3, vcc
	s_branch .LBB528_147
.LBB528_37:
	s_mov_b64 s[20:21], -1
	s_mov_b64 s[0:1], 0
	s_mov_b64 s[14:15], 0
.LBB528_38:
	s_and_b64 vcc, exec, s[20:21]
	s_cbranch_vccz .LBB528_43
; %bb.39:
	s_cmp_eq_u32 s27, 44
	s_mov_b64 s[0:1], -1
	s_cbranch_scc0 .LBB528_43
; %bb.40:
	v_cvt_f32_f16_e32 v3, v2
	s_movk_i32 s0, 0xff
	v_mov_b32_e32 v6, 0xff
	v_bfe_u32 v5, v3, 23, 8
	v_cmp_ne_u32_e32 vcc, s0, v5
	s_and_saveexec_b64 s[14:15], vcc
; %bb.41:
	s_mov_b32 s0, 0x3fffff
	v_lshrrev_b32_e32 v6, 23, v3
	v_and_b32_e32 v7, 0x400000, v3
	v_and_or_b32 v3, v3, s0, v5
	v_cmp_ne_u32_e32 vcc, 0, v7
	v_cmp_ne_u32_e64 s[0:1], 0, v3
	s_and_b64 s[0:1], vcc, s[0:1]
	s_nop 0
	v_cndmask_b32_e64 v3, 0, 1, s[0:1]
	v_add_u32_e32 v6, v6, v3
; %bb.42:
	s_or_b64 exec, exec, s[14:15]
	s_mov_b64 s[14:15], -1
	s_mov_b64 s[0:1], 0
	global_store_byte v[0:1], v6, off
.LBB528_43:
	s_mov_b64 s[20:21], 0
.LBB528_44:
	s_and_b64 vcc, exec, s[20:21]
	s_cbranch_vccz .LBB528_47
; %bb.45:
	s_cmp_eq_u32 s27, 29
	s_mov_b64 s[0:1], -1
	s_cbranch_scc0 .LBB528_47
; %bb.46:
	v_cvt_f32_f16_e32 v3, v2
	v_mov_b32_e32 v7, 0
	s_mov_b64 s[14:15], -1
	s_mov_b64 s[0:1], 0
	v_cvt_u32_f32_e32 v6, v3
	s_mov_b64 s[20:21], 0
	global_store_dwordx2 v[0:1], v[6:7], off
	s_branch .LBB528_48
.LBB528_47:
	s_mov_b64 s[20:21], 0
.LBB528_48:
	s_and_b64 vcc, exec, s[20:21]
	s_cbranch_vccz .LBB528_64
; %bb.49:
	s_cmp_lt_i32 s27, 27
	s_mov_b64 s[14:15], -1
	s_cbranch_scc1 .LBB528_55
; %bb.50:
	s_cmp_gt_i32 s27, 27
	s_cbranch_scc0 .LBB528_52
; %bb.51:
	v_cvt_f32_f16_e32 v3, v2
	s_mov_b64 s[14:15], 0
	v_cvt_u32_f32_e32 v3, v3
	global_store_dword v[0:1], v3, off
.LBB528_52:
	s_andn2_b64 vcc, exec, s[14:15]
	s_cbranch_vccnz .LBB528_54
; %bb.53:
	v_cvt_u16_f16_e32 v3, v2
	global_store_short v[0:1], v3, off
.LBB528_54:
	s_mov_b64 s[14:15], 0
.LBB528_55:
	s_andn2_b64 vcc, exec, s[14:15]
	s_cbranch_vccnz .LBB528_63
; %bb.56:
	v_cvt_f32_f16_e32 v3, v2
	s_mov_b32 s14, 0x43800000
	v_mov_b32_e32 v6, 0x80
	v_and_b32_e32 v5, 0x7fffffff, v3
	v_cmp_gt_u32_e32 vcc, s14, v5
	s_and_saveexec_b64 s[14:15], vcc
	s_cbranch_execz .LBB528_62
; %bb.57:
	s_mov_b32 s20, 0x3bffffff
	v_cmp_lt_u32_e32 vcc, s20, v5
	s_mov_b64 s[20:21], 0
                                        ; implicit-def: $vgpr5
	s_and_saveexec_b64 s[24:25], vcc
	s_xor_b64 s[24:25], exec, s[24:25]
	s_cbranch_execz .LBB528_287
; %bb.58:
	v_bfe_u32 v5, v3, 20, 1
	s_mov_b32 s28, 0x487ffff
	v_add3_u32 v5, v3, v5, s28
	s_mov_b64 s[20:21], exec
	v_lshrrev_b32_e32 v5, 20, v5
	s_andn2_saveexec_b64 s[24:25], s[24:25]
	s_cbranch_execnz .LBB528_288
.LBB528_59:
	s_or_b64 exec, exec, s[24:25]
	v_mov_b32_e32 v6, 0
	s_and_saveexec_b64 s[24:25], s[20:21]
.LBB528_60:
	v_lshrrev_b32_e32 v3, 24, v3
	s_movk_i32 s20, 0x80
	v_and_or_b32 v6, v3, s20, v5
.LBB528_61:
	s_or_b64 exec, exec, s[24:25]
.LBB528_62:
	s_or_b64 exec, exec, s[14:15]
	global_store_byte v[0:1], v6, off
.LBB528_63:
	s_mov_b64 s[14:15], -1
.LBB528_64:
	s_mov_b64 s[20:21], 0
.LBB528_65:
	s_and_b64 vcc, exec, s[20:21]
	s_cbranch_vccz .LBB528_106
; %bb.66:
	s_cmp_gt_i32 s27, 22
	s_mov_b64 s[20:21], -1
	s_cbranch_scc0 .LBB528_98
; %bb.67:
	s_cmp_lt_i32 s27, 24
	s_mov_b64 s[14:15], -1
	s_cbranch_scc1 .LBB528_87
; %bb.68:
	s_cmp_gt_i32 s27, 24
	s_cbranch_scc0 .LBB528_76
; %bb.69:
	v_cvt_f32_f16_e32 v3, v2
	s_mov_b32 s14, 0x47800000
	v_mov_b32_e32 v6, 0x80
	v_and_b32_e32 v5, 0x7fffffff, v3
	v_cmp_gt_u32_e32 vcc, s14, v5
	s_and_saveexec_b64 s[14:15], vcc
	s_cbranch_execz .LBB528_75
; %bb.70:
	s_mov_b32 s20, 0x37ffffff
	v_cmp_lt_u32_e32 vcc, s20, v5
	s_mov_b64 s[20:21], 0
                                        ; implicit-def: $vgpr5
	s_and_saveexec_b64 s[24:25], vcc
	s_xor_b64 s[24:25], exec, s[24:25]
	s_cbranch_execz .LBB528_291
; %bb.71:
	v_bfe_u32 v5, v3, 21, 1
	s_mov_b32 s28, 0x88fffff
	v_add3_u32 v5, v3, v5, s28
	s_mov_b64 s[20:21], exec
	v_lshrrev_b32_e32 v5, 21, v5
	s_andn2_saveexec_b64 s[24:25], s[24:25]
	s_cbranch_execnz .LBB528_292
.LBB528_72:
	s_or_b64 exec, exec, s[24:25]
	v_mov_b32_e32 v6, 0
	s_and_saveexec_b64 s[24:25], s[20:21]
.LBB528_73:
	v_lshrrev_b32_e32 v3, 24, v3
	s_movk_i32 s20, 0x80
	v_and_or_b32 v6, v3, s20, v5
.LBB528_74:
	s_or_b64 exec, exec, s[24:25]
.LBB528_75:
	s_or_b64 exec, exec, s[14:15]
	s_mov_b64 s[14:15], 0
	global_store_byte v[0:1], v6, off
.LBB528_76:
	s_and_b64 vcc, exec, s[14:15]
	s_cbranch_vccz .LBB528_86
; %bb.77:
	v_cvt_f32_f16_e32 v3, v2
	s_mov_b32 s14, 0x43f00000
                                        ; implicit-def: $vgpr5
	v_and_b32_e32 v6, 0x7fffffff, v3
	v_cmp_gt_u32_e32 vcc, s14, v6
	s_and_saveexec_b64 s[14:15], vcc
	s_xor_b64 s[14:15], exec, s[14:15]
	s_cbranch_execz .LBB528_83
; %bb.78:
	s_mov_b32 s20, 0x3c7fffff
	v_cmp_lt_u32_e32 vcc, s20, v6
                                        ; implicit-def: $vgpr5
	s_and_saveexec_b64 s[20:21], vcc
	s_xor_b64 s[20:21], exec, s[20:21]
; %bb.79:
	v_bfe_u32 v5, v3, 20, 1
	s_mov_b32 s24, 0x407ffff
	v_add3_u32 v5, v3, v5, s24
	v_lshrrev_b32_e32 v6, 20, v5
	v_and_b32_e32 v5, 0xff00000, v5
	s_mov_b32 s24, 0x7f00000
	v_mov_b32_e32 v7, 0x7e
	v_cmp_ne_u32_e32 vcc, s24, v5
	s_nop 1
	v_cndmask_b32_e32 v5, v7, v6, vcc
; %bb.80:
	s_andn2_saveexec_b64 s[20:21], s[20:21]
; %bb.81:
	s_mov_b32 s24, 0x46800000
	v_add_f32_e64 v5, |v3|, s24
; %bb.82:
	s_or_b64 exec, exec, s[20:21]
                                        ; implicit-def: $vgpr6
.LBB528_83:
	s_andn2_saveexec_b64 s[14:15], s[14:15]
; %bb.84:
	s_mov_b32 s20, 0x7f800000
	v_mov_b32_e32 v5, 0x7e
	v_mov_b32_e32 v7, 0x7f
	v_cmp_lt_u32_e32 vcc, s20, v6
	s_nop 1
	v_cndmask_b32_e32 v5, v5, v7, vcc
; %bb.85:
	s_or_b64 exec, exec, s[14:15]
	v_lshrrev_b32_e32 v3, 24, v3
	s_movk_i32 s14, 0x80
	v_and_or_b32 v3, v3, s14, v5
	global_store_byte v[0:1], v3, off
.LBB528_86:
	s_mov_b64 s[14:15], 0
.LBB528_87:
	s_andn2_b64 vcc, exec, s[14:15]
	s_cbranch_vccnz .LBB528_97
; %bb.88:
	v_cvt_f32_f16_e32 v3, v2
	s_mov_b32 s14, 0x47800000
                                        ; implicit-def: $vgpr5
	v_and_b32_e32 v6, 0x7fffffff, v3
	v_cmp_gt_u32_e32 vcc, s14, v6
	s_and_saveexec_b64 s[14:15], vcc
	s_xor_b64 s[14:15], exec, s[14:15]
	s_cbranch_execz .LBB528_94
; %bb.89:
	s_mov_b32 s20, 0x387fffff
	v_cmp_lt_u32_e32 vcc, s20, v6
                                        ; implicit-def: $vgpr5
	s_and_saveexec_b64 s[20:21], vcc
	s_xor_b64 s[20:21], exec, s[20:21]
; %bb.90:
	v_bfe_u32 v5, v3, 21, 1
	s_mov_b32 s24, 0x80fffff
	v_add3_u32 v5, v3, v5, s24
	v_lshrrev_b32_e32 v5, 21, v5
; %bb.91:
	s_andn2_saveexec_b64 s[20:21], s[20:21]
; %bb.92:
	s_mov_b32 s24, 0x43000000
	v_add_f32_e64 v5, |v3|, s24
; %bb.93:
	s_or_b64 exec, exec, s[20:21]
                                        ; implicit-def: $vgpr6
.LBB528_94:
	s_andn2_saveexec_b64 s[14:15], s[14:15]
; %bb.95:
	s_mov_b32 s20, 0x7f800000
	v_mov_b32_e32 v5, 0x7c
	v_mov_b32_e32 v7, 0x7f
	v_cmp_lt_u32_e32 vcc, s20, v6
	s_nop 1
	v_cndmask_b32_e32 v5, v5, v7, vcc
; %bb.96:
	s_or_b64 exec, exec, s[14:15]
	v_lshrrev_b32_e32 v3, 24, v3
	s_movk_i32 s14, 0x80
	v_and_or_b32 v3, v3, s14, v5
	global_store_byte v[0:1], v3, off
.LBB528_97:
	s_mov_b64 s[20:21], 0
	s_mov_b64 s[14:15], -1
.LBB528_98:
	s_andn2_b64 vcc, exec, s[20:21]
	s_cbranch_vccnz .LBB528_106
; %bb.99:
	s_cmp_gt_i32 s27, 14
	s_mov_b64 s[20:21], -1
	s_cbranch_scc0 .LBB528_103
; %bb.100:
	s_cmp_eq_u32 s27, 15
	s_mov_b64 s[0:1], -1
	s_cbranch_scc0 .LBB528_102
; %bb.101:
	v_cvt_f32_f16_e32 v3, v2
	s_movk_i32 s0, 0x7fff
	v_cmp_o_f16_e32 vcc, v2, v2
	v_mov_b32_e32 v5, 0x7fc0
	v_bfe_u32 v6, v3, 16, 1
	v_add3_u32 v3, v3, v6, s0
	v_cndmask_b32_sdwa v3, v5, v3, vcc dst_sel:DWORD dst_unused:UNUSED_PAD src0_sel:DWORD src1_sel:WORD_1
	global_store_short v[0:1], v3, off
	s_mov_b64 s[14:15], -1
	s_mov_b64 s[0:1], 0
.LBB528_102:
	s_mov_b64 s[20:21], 0
.LBB528_103:
	s_and_b64 vcc, exec, s[20:21]
	s_cbranch_vccz .LBB528_106
; %bb.104:
	s_cmp_eq_u32 s27, 11
	s_mov_b64 s[0:1], -1
	s_cbranch_scc0 .LBB528_106
; %bb.105:
	v_and_b32_e32 v3, 0x7fff, v2
	v_cmp_ne_u16_e32 vcc, 0, v3
	s_mov_b64 s[14:15], -1
	s_mov_b64 s[0:1], 0
	v_cndmask_b32_e64 v3, 0, 1, vcc
	global_store_byte v[0:1], v3, off
.LBB528_106:
	s_branch .LBB528_24
.LBB528_107:
	s_and_b32 s20, 0xffff, s26
	s_cmp_lt_i32 s20, 5
	s_mov_b64 s[14:15], -1
	s_cbranch_scc1 .LBB528_128
; %bb.108:
	s_cmp_lt_i32 s20, 8
	s_cbranch_scc1 .LBB528_118
; %bb.109:
	s_cmp_lt_i32 s20, 9
	s_cbranch_scc1 .LBB528_115
; %bb.110:
	s_cmp_gt_i32 s20, 9
	s_cbranch_scc0 .LBB528_112
; %bb.111:
	v_cvt_f32_f16_e32 v3, v2
	v_mov_b32_e32 v8, 0
	v_mov_b32_e32 v9, v8
	s_mov_b64 s[14:15], 0
	v_cvt_f64_f32_e32 v[6:7], v3
	global_store_dwordx4 v[0:1], v[6:9], off
.LBB528_112:
	s_andn2_b64 vcc, exec, s[14:15]
	s_cbranch_vccnz .LBB528_114
; %bb.113:
	v_cvt_f32_f16_e32 v6, v2
	v_mov_b32_e32 v7, 0
	global_store_dwordx2 v[0:1], v[6:7], off
.LBB528_114:
	s_mov_b64 s[14:15], 0
.LBB528_115:
	s_andn2_b64 vcc, exec, s[14:15]
	s_cbranch_vccnz .LBB528_117
; %bb.116:
	v_and_b32_e32 v3, 0xffff, v2
	global_store_dword v[0:1], v3, off
.LBB528_117:
	s_mov_b64 s[14:15], 0
.LBB528_118:
	s_andn2_b64 vcc, exec, s[14:15]
	s_cbranch_vccnz .LBB528_127
; %bb.119:
	s_cmp_lt_i32 s20, 6
	s_mov_b64 s[14:15], -1
	s_cbranch_scc1 .LBB528_125
; %bb.120:
	s_cmp_gt_i32 s20, 6
	s_cbranch_scc0 .LBB528_122
; %bb.121:
	v_cvt_f32_f16_e32 v3, v2
	s_mov_b64 s[14:15], 0
	v_cvt_f64_f32_e32 v[6:7], v3
	global_store_dwordx2 v[0:1], v[6:7], off
.LBB528_122:
	s_andn2_b64 vcc, exec, s[14:15]
	s_cbranch_vccnz .LBB528_124
; %bb.123:
	v_cvt_f32_f16_e32 v3, v2
	global_store_dword v[0:1], v3, off
.LBB528_124:
	s_mov_b64 s[14:15], 0
.LBB528_125:
	s_andn2_b64 vcc, exec, s[14:15]
	s_cbranch_vccnz .LBB528_127
; %bb.126:
	global_store_short v[0:1], v2, off
.LBB528_127:
	s_mov_b64 s[14:15], 0
.LBB528_128:
	s_andn2_b64 vcc, exec, s[14:15]
	s_cbranch_vccnz .LBB528_144
; %bb.129:
	s_cmp_lt_i32 s20, 2
	s_mov_b64 s[14:15], -1
	s_cbranch_scc1 .LBB528_139
; %bb.130:
	s_cmp_lt_i32 s20, 3
	s_cbranch_scc1 .LBB528_136
; %bb.131:
	s_cmp_gt_i32 s20, 3
	s_cbranch_scc0 .LBB528_133
; %bb.132:
	v_cvt_f32_f16_e32 v3, v2
	s_mov_b64 s[14:15], 0
	v_cvt_i32_f32_e32 v6, v3
	v_ashrrev_i32_e32 v7, 31, v6
	global_store_dwordx2 v[0:1], v[6:7], off
.LBB528_133:
	s_andn2_b64 vcc, exec, s[14:15]
	s_cbranch_vccnz .LBB528_135
; %bb.134:
	v_cvt_f32_f16_e32 v3, v2
	v_cvt_i32_f32_e32 v3, v3
	global_store_dword v[0:1], v3, off
.LBB528_135:
	s_mov_b64 s[14:15], 0
.LBB528_136:
	s_andn2_b64 vcc, exec, s[14:15]
	s_cbranch_vccnz .LBB528_138
; %bb.137:
	v_cvt_i16_f16_e32 v3, v2
	global_store_short v[0:1], v3, off
.LBB528_138:
	s_mov_b64 s[14:15], 0
.LBB528_139:
	s_andn2_b64 vcc, exec, s[14:15]
	s_cbranch_vccnz .LBB528_144
; %bb.140:
	s_cmp_gt_i32 s20, 0
	s_mov_b64 s[14:15], -1
	s_cbranch_scc0 .LBB528_142
; %bb.141:
	v_cvt_i16_f16_e32 v3, v2
	global_store_byte v[0:1], v3, off
	s_mov_b64 s[14:15], 0
.LBB528_142:
	s_andn2_b64 vcc, exec, s[14:15]
	s_cbranch_vccnz .LBB528_144
; %bb.143:
	v_cvt_f32_f16_e32 v2, v2
	v_cvt_i32_f32_e32 v2, v2
	global_store_byte v[0:1], v2, off
.LBB528_144:
	s_branch .LBB528_25
.LBB528_145:
	s_mov_b64 s[20:21], 0
                                        ; implicit-def: $vgpr4
	s_branch .LBB528_255
.LBB528_146:
	s_mov_b64 s[16:17], -1
                                        ; implicit-def: $vgpr3
.LBB528_147:
	s_mov_b64 s[14:15], 0
.LBB528_148:
	s_and_b64 vcc, exec, s[14:15]
	s_cbranch_vccz .LBB528_152
; %bb.149:
	s_cmp_eq_u32 s24, 29
	s_cbranch_scc0 .LBB528_151
; %bb.150:
	global_load_dwordx2 v[2:3], v[0:1], off
	s_mov_b64 s[0:1], -1
	s_mov_b64 s[16:17], 0
	s_mov_b64 s[14:15], 0
	s_waitcnt vmcnt(0)
	v_ffbh_u32_e32 v5, v3
	v_min_u32_e32 v5, 32, v5
	v_lshlrev_b64 v[2:3], v5, v[2:3]
	v_min_u32_e32 v2, 1, v2
	v_or_b32_e32 v2, v3, v2
	v_cvt_f32_u32_e32 v2, v2
	v_sub_u32_e32 v3, 32, v5
	v_ldexp_f32 v2, v2, v3
	v_cvt_f16_f32_e32 v3, v2
	s_branch .LBB528_153
.LBB528_151:
	s_mov_b64 s[16:17], -1
                                        ; implicit-def: $vgpr3
.LBB528_152:
	s_mov_b64 s[14:15], 0
.LBB528_153:
	s_and_b64 vcc, exec, s[14:15]
	s_cbranch_vccz .LBB528_171
; %bb.154:
	s_cmp_lt_i32 s24, 27
	s_cbranch_scc1 .LBB528_157
; %bb.155:
	s_cmp_gt_i32 s24, 27
	s_cbranch_scc0 .LBB528_158
; %bb.156:
	global_load_dword v2, v[0:1], off
	s_mov_b64 s[0:1], 0
	s_waitcnt vmcnt(0)
	v_cvt_f32_u32_e32 v2, v2
	v_cvt_f16_f32_e32 v3, v2
	s_branch .LBB528_159
.LBB528_157:
	s_mov_b64 s[0:1], -1
                                        ; implicit-def: $vgpr3
	s_branch .LBB528_162
.LBB528_158:
	s_mov_b64 s[0:1], -1
                                        ; implicit-def: $vgpr3
.LBB528_159:
	s_andn2_b64 vcc, exec, s[0:1]
	s_cbranch_vccnz .LBB528_161
; %bb.160:
	global_load_ushort v2, v[0:1], off
	s_waitcnt vmcnt(0)
	v_cvt_f16_u16_e32 v3, v2
.LBB528_161:
	s_mov_b64 s[0:1], 0
.LBB528_162:
	s_andn2_b64 vcc, exec, s[0:1]
	s_cbranch_vccnz .LBB528_170
; %bb.163:
	global_load_ubyte v2, v[0:1], off
	s_movk_i32 s0, 0x7f
	s_waitcnt vmcnt(0)
	v_cmp_lt_i16_e32 vcc, s0, v2
	s_mov_b64 s[0:1], 0
	s_and_saveexec_b64 s[14:15], vcc
	s_xor_b64 s[14:15], exec, s[14:15]
	s_cbranch_execz .LBB528_183
; %bb.164:
	s_movk_i32 s0, 0x80
	v_cmp_eq_u16_e32 vcc, s0, v2
	s_mov_b64 s[0:1], -1
	s_and_saveexec_b64 s[20:21], vcc
; %bb.165:
	s_xor_b64 s[0:1], exec, -1
; %bb.166:
	s_or_b64 exec, exec, s[20:21]
	s_and_b64 s[0:1], s[0:1], exec
	s_or_saveexec_b64 s[14:15], s[14:15]
	v_mov_b32_e32 v3, 0x7e00
	s_xor_b64 exec, exec, s[14:15]
	s_cbranch_execnz .LBB528_184
.LBB528_167:
	s_or_b64 exec, exec, s[14:15]
	s_and_saveexec_b64 s[14:15], s[0:1]
	s_cbranch_execz .LBB528_169
.LBB528_168:
	v_lshlrev_b32_e32 v3, 24, v2
	v_and_b32_e32 v2, 0xffff, v2
	v_and_b32_e32 v5, 7, v2
	v_ffbh_u32_e32 v7, v5
	v_min_u32_e32 v7, 32, v7
	v_subrev_u32_e32 v8, 28, v7
	v_bfe_u32 v6, v2, 3, 4
	v_lshlrev_b32_e32 v2, v8, v2
	v_sub_u32_e32 v7, 29, v7
	v_and_b32_e32 v2, 7, v2
	v_cmp_eq_u32_e32 vcc, 0, v6
	v_and_b32_e32 v3, 0x80000000, v3
	s_nop 0
	v_cndmask_b32_e32 v6, v6, v7, vcc
	v_cndmask_b32_e32 v2, v5, v2, vcc
	v_mov_b32_e32 v5, 0x3b800000
	v_lshlrev_b32_e32 v2, 20, v2
	v_lshl_add_u32 v5, v6, 23, v5
	v_or3_b32 v2, v3, v5, v2
	v_cvt_f16_f32_e32 v3, v2
.LBB528_169:
	s_or_b64 exec, exec, s[14:15]
.LBB528_170:
	s_mov_b64 s[0:1], -1
.LBB528_171:
	s_branch .LBB528_206
.LBB528_172:
	s_cmp_gt_i32 s24, 22
	s_cbranch_scc0 .LBB528_182
; %bb.173:
	s_cmp_lt_i32 s24, 24
	s_cbranch_scc1 .LBB528_185
; %bb.174:
	s_cmp_gt_i32 s24, 24
	s_cbranch_scc0 .LBB528_186
; %bb.175:
	global_load_ubyte v2, v[0:1], off
	s_movk_i32 s0, 0x7f
	s_waitcnt vmcnt(0)
	v_cmp_lt_i16_e32 vcc, s0, v2
	s_mov_b64 s[0:1], 0
	s_and_saveexec_b64 s[14:15], vcc
	s_xor_b64 s[14:15], exec, s[14:15]
	s_cbranch_execz .LBB528_198
; %bb.176:
	s_movk_i32 s0, 0x80
	v_cmp_eq_u16_e32 vcc, s0, v2
	s_mov_b64 s[0:1], -1
	s_and_saveexec_b64 s[20:21], vcc
; %bb.177:
	s_xor_b64 s[0:1], exec, -1
; %bb.178:
	s_or_b64 exec, exec, s[20:21]
	s_and_b64 s[0:1], s[0:1], exec
	s_or_saveexec_b64 s[14:15], s[14:15]
	v_mov_b32_e32 v3, 0x7e00
	s_xor_b64 exec, exec, s[14:15]
	s_cbranch_execnz .LBB528_199
.LBB528_179:
	s_or_b64 exec, exec, s[14:15]
	s_and_saveexec_b64 s[14:15], s[0:1]
	s_cbranch_execz .LBB528_181
.LBB528_180:
	v_lshlrev_b32_e32 v3, 24, v2
	v_and_b32_e32 v2, 0xffff, v2
	v_and_b32_e32 v5, 3, v2
	v_ffbh_u32_e32 v7, v5
	v_min_u32_e32 v7, 32, v7
	v_subrev_u32_e32 v8, 29, v7
	v_bfe_u32 v6, v2, 2, 5
	v_lshlrev_b32_e32 v2, v8, v2
	v_sub_u32_e32 v7, 30, v7
	v_and_b32_e32 v2, 3, v2
	v_cmp_eq_u32_e32 vcc, 0, v6
	v_and_b32_e32 v3, 0x80000000, v3
	s_nop 0
	v_cndmask_b32_e32 v6, v6, v7, vcc
	v_cndmask_b32_e32 v2, v5, v2, vcc
	v_mov_b32_e32 v5, 0x37800000
	v_lshlrev_b32_e32 v2, 21, v2
	v_lshl_add_u32 v5, v6, 23, v5
	v_or3_b32 v2, v3, v5, v2
	v_cvt_f16_f32_e32 v3, v2
.LBB528_181:
	s_or_b64 exec, exec, s[14:15]
	s_mov_b64 s[0:1], 0
	s_branch .LBB528_187
.LBB528_182:
	s_mov_b64 s[14:15], -1
                                        ; implicit-def: $vgpr3
	s_branch .LBB528_193
.LBB528_183:
	s_or_saveexec_b64 s[14:15], s[14:15]
	v_mov_b32_e32 v3, 0x7e00
	s_xor_b64 exec, exec, s[14:15]
	s_cbranch_execz .LBB528_167
.LBB528_184:
	v_cmp_ne_u16_e32 vcc, 0, v2
	s_andn2_b64 s[0:1], s[0:1], exec
	s_and_b64 s[20:21], vcc, exec
	s_or_b64 s[0:1], s[0:1], s[20:21]
	v_mov_b32_e32 v3, v2
	s_or_b64 exec, exec, s[14:15]
	s_and_saveexec_b64 s[14:15], s[0:1]
	s_cbranch_execnz .LBB528_168
	s_branch .LBB528_169
.LBB528_185:
	s_mov_b64 s[0:1], -1
                                        ; implicit-def: $vgpr3
	s_branch .LBB528_190
.LBB528_186:
	s_mov_b64 s[0:1], -1
                                        ; implicit-def: $vgpr3
.LBB528_187:
	s_and_b64 vcc, exec, s[0:1]
	s_cbranch_vccz .LBB528_189
; %bb.188:
	global_load_ubyte v2, v[0:1], off
	s_mov_b32 s0, 0x7f800000
	s_waitcnt vmcnt(0)
	v_lshlrev_b32_e32 v2, 24, v2
	v_and_b32_e32 v3, 0x7f000000, v2
	v_ffbh_u32_e32 v5, v3
	v_min_u32_e32 v5, 32, v5
	v_sub_u32_e64 v5, v5, 4 clamp
	v_lshlrev_b32_e32 v7, v5, v3
	v_lshlrev_b32_e32 v5, 23, v5
	v_lshrrev_b32_e32 v7, 4, v7
	v_add_u32_e32 v6, 0x1000000, v3
	v_sub_u32_e32 v5, v7, v5
	v_ashrrev_i32_e32 v6, 8, v6
	v_add_u32_e32 v5, 0x3c000000, v5
	v_and_or_b32 v5, v6, s0, v5
	v_cmp_ne_u32_e32 vcc, 0, v3
	s_brev_b32 s0, 1
	s_nop 0
	v_cndmask_b32_e32 v3, 0, v5, vcc
	v_and_or_b32 v2, v2, s0, v3
	v_cvt_f16_f32_e32 v3, v2
.LBB528_189:
	s_mov_b64 s[0:1], 0
.LBB528_190:
	s_andn2_b64 vcc, exec, s[0:1]
	s_cbranch_vccnz .LBB528_192
; %bb.191:
	global_load_ubyte v2, v[0:1], off
	s_movk_i32 s0, 0x7f00
	s_brev_b32 s1, 16
	s_waitcnt vmcnt(0)
	v_lshlrev_b16_e32 v3, 8, v2
	v_lshlrev_b32_e32 v2, 25, v2
	v_lshrrev_b32_e32 v5, 4, v2
	v_and_or_b32 v6, v3, s0, 0.5
	v_or_b32_e32 v5, 0x70000000, v5
	v_add_f32_e32 v6, -0.5, v6
	v_mul_f32_e32 v5, 0x7800000, v5
	v_cmp_gt_u32_e32 vcc, s1, v2
	v_bfe_i32 v3, v3, 0, 16
	s_brev_b32 s0, 1
	v_cndmask_b32_e32 v2, v5, v6, vcc
	v_and_or_b32 v2, v3, s0, v2
	v_cvt_f16_f32_e32 v3, v2
.LBB528_192:
	s_mov_b64 s[14:15], 0
	s_mov_b64 s[0:1], -1
.LBB528_193:
	s_andn2_b64 vcc, exec, s[14:15]
	s_cbranch_vccnz .LBB528_206
; %bb.194:
	s_cmp_gt_i32 s24, 14
	s_cbranch_scc0 .LBB528_197
; %bb.195:
	s_cmp_eq_u32 s24, 15
	s_cbranch_scc0 .LBB528_200
; %bb.196:
	global_load_ushort v2, v[0:1], off
	s_mov_b64 s[0:1], -1
	s_mov_b64 s[16:17], 0
	s_waitcnt vmcnt(0)
	v_lshlrev_b32_e32 v2, 16, v2
	v_cvt_f16_f32_e32 v3, v2
	s_branch .LBB528_201
.LBB528_197:
	s_mov_b64 s[14:15], -1
                                        ; implicit-def: $vgpr3
	s_branch .LBB528_202
.LBB528_198:
	s_or_saveexec_b64 s[14:15], s[14:15]
	v_mov_b32_e32 v3, 0x7e00
	s_xor_b64 exec, exec, s[14:15]
	s_cbranch_execz .LBB528_179
.LBB528_199:
	v_cmp_ne_u16_e32 vcc, 0, v2
	s_andn2_b64 s[0:1], s[0:1], exec
	s_and_b64 s[20:21], vcc, exec
	s_or_b64 s[0:1], s[0:1], s[20:21]
	v_mov_b32_e32 v3, v2
	s_or_b64 exec, exec, s[14:15]
	s_and_saveexec_b64 s[14:15], s[0:1]
	s_cbranch_execnz .LBB528_180
	s_branch .LBB528_181
.LBB528_200:
	s_mov_b64 s[16:17], -1
                                        ; implicit-def: $vgpr3
.LBB528_201:
	s_mov_b64 s[14:15], 0
.LBB528_202:
	s_and_b64 vcc, exec, s[14:15]
	s_cbranch_vccz .LBB528_206
; %bb.203:
	s_cmp_eq_u32 s24, 11
	s_cbranch_scc0 .LBB528_205
; %bb.204:
	global_load_ubyte v2, v[0:1], off
	v_mov_b32_e32 v3, 0x3c00
	s_mov_b64 s[0:1], -1
	s_mov_b64 s[16:17], 0
	s_waitcnt vmcnt(0)
	v_cmp_ne_u16_e32 vcc, 0, v2
	s_nop 1
	v_cndmask_b32_e32 v3, 0, v3, vcc
	s_branch .LBB528_206
.LBB528_205:
	s_mov_b64 s[16:17], -1
                                        ; implicit-def: $vgpr3
.LBB528_206:
	s_branch .LBB528_10
.LBB528_207:
	s_cmp_lt_i32 s24, 5
	s_cbranch_scc1 .LBB528_212
; %bb.208:
	s_cmp_lt_i32 s24, 8
	s_cbranch_scc1 .LBB528_213
; %bb.209:
	;; [unrolled: 3-line block ×3, first 2 shown]
	s_cmp_gt_i32 s24, 9
	s_cbranch_scc0 .LBB528_215
; %bb.211:
	global_load_dwordx2 v[2:3], v[0:1], off
	s_movk_i32 s0, 0x1ff
	s_movk_i32 s1, 0xffe
	v_mov_b32_e32 v5, 0x7c00
	v_mov_b32_e32 v6, 0x7e00
	s_movk_i32 s14, 0x40f
	s_mov_b32 s15, 0x8000
	s_waitcnt vmcnt(0)
	v_and_or_b32 v2, v3, s0, v2
	v_cmp_ne_u32_e32 vcc, 0, v2
	v_lshrrev_b32_e32 v7, 8, v3
	v_bfe_u32 v8, v3, 20, 11
	v_cndmask_b32_e64 v2, 0, 1, vcc
	v_sub_u32_e32 v9, 0x3f1, v8
	v_and_or_b32 v2, v7, s1, v2
	v_add_u32_e32 v8, 0xfffffc10, v8
	v_med3_i32 v7, v9, 0, 13
	v_or_b32_e32 v9, 0x1000, v2
	v_cmp_ne_u32_e32 vcc, 0, v2
	v_lshl_or_b32 v10, v8, 12, v2
	v_lshrrev_b32_e32 v3, 16, v3
	v_cndmask_b32_e32 v2, v5, v6, vcc
	v_lshrrev_b32_e32 v6, v7, v9
	v_lshlrev_b32_e32 v7, v7, v6
	v_cmp_ne_u32_e32 vcc, v7, v9
	s_mov_b64 s[0:1], 0
	s_nop 0
	v_cndmask_b32_e64 v7, 0, 1, vcc
	v_or_b32_e32 v6, v6, v7
	v_cmp_gt_i32_e32 vcc, 1, v8
	s_nop 1
	v_cndmask_b32_e32 v6, v10, v6, vcc
	v_and_b32_e32 v7, 7, v6
	v_cmp_lt_i32_e32 vcc, 5, v7
	v_lshrrev_b32_e32 v6, 2, v6
	s_nop 0
	v_cndmask_b32_e64 v9, 0, 1, vcc
	v_cmp_eq_u32_e32 vcc, 3, v7
	s_nop 1
	v_cndmask_b32_e64 v7, 0, 1, vcc
	v_or_b32_e32 v7, v7, v9
	v_add_u32_e32 v6, v6, v7
	v_cmp_gt_i32_e32 vcc, 31, v8
	s_nop 1
	v_cndmask_b32_e32 v5, v5, v6, vcc
	v_cmp_eq_u32_e32 vcc, s14, v8
	s_nop 1
	v_cndmask_b32_e32 v2, v5, v2, vcc
	v_and_or_b32 v3, v3, s15, v2
	s_branch .LBB528_216
.LBB528_212:
                                        ; implicit-def: $vgpr3
	s_branch .LBB528_234
.LBB528_213:
	s_mov_b64 s[0:1], -1
                                        ; implicit-def: $vgpr3
	s_branch .LBB528_222
.LBB528_214:
	s_mov_b64 s[0:1], -1
                                        ; implicit-def: $vgpr3
	s_branch .LBB528_219
.LBB528_215:
	s_mov_b64 s[0:1], -1
                                        ; implicit-def: $vgpr3
.LBB528_216:
	s_andn2_b64 vcc, exec, s[0:1]
	s_cbranch_vccnz .LBB528_218
; %bb.217:
	global_load_dword v2, v[0:1], off
	s_waitcnt vmcnt(0)
	v_cvt_f16_f32_e32 v3, v2
.LBB528_218:
	s_mov_b64 s[0:1], 0
.LBB528_219:
	s_andn2_b64 vcc, exec, s[0:1]
	s_cbranch_vccnz .LBB528_221
; %bb.220:
	global_load_dword v3, v[0:1], off
.LBB528_221:
	s_mov_b64 s[0:1], 0
.LBB528_222:
	s_andn2_b64 vcc, exec, s[0:1]
	s_cbranch_vccnz .LBB528_233
; %bb.223:
	s_cmp_lt_i32 s24, 6
	s_cbranch_scc1 .LBB528_226
; %bb.224:
	s_cmp_gt_i32 s24, 6
	s_cbranch_scc0 .LBB528_227
; %bb.225:
	global_load_dwordx2 v[2:3], v[0:1], off
	s_movk_i32 s0, 0x1ff
	s_movk_i32 s1, 0xffe
	v_mov_b32_e32 v5, 0x7c00
	v_mov_b32_e32 v6, 0x7e00
	s_movk_i32 s14, 0x40f
	s_mov_b32 s15, 0x8000
	s_waitcnt vmcnt(0)
	v_and_or_b32 v2, v3, s0, v2
	v_cmp_ne_u32_e32 vcc, 0, v2
	v_lshrrev_b32_e32 v7, 8, v3
	v_bfe_u32 v8, v3, 20, 11
	v_cndmask_b32_e64 v2, 0, 1, vcc
	v_sub_u32_e32 v9, 0x3f1, v8
	v_and_or_b32 v2, v7, s1, v2
	v_add_u32_e32 v8, 0xfffffc10, v8
	v_med3_i32 v7, v9, 0, 13
	v_or_b32_e32 v9, 0x1000, v2
	v_cmp_ne_u32_e32 vcc, 0, v2
	v_lshl_or_b32 v10, v8, 12, v2
	v_lshrrev_b32_e32 v3, 16, v3
	v_cndmask_b32_e32 v2, v5, v6, vcc
	v_lshrrev_b32_e32 v6, v7, v9
	v_lshlrev_b32_e32 v7, v7, v6
	v_cmp_ne_u32_e32 vcc, v7, v9
	s_mov_b64 s[0:1], 0
	s_nop 0
	v_cndmask_b32_e64 v7, 0, 1, vcc
	v_or_b32_e32 v6, v6, v7
	v_cmp_gt_i32_e32 vcc, 1, v8
	s_nop 1
	v_cndmask_b32_e32 v6, v10, v6, vcc
	v_and_b32_e32 v7, 7, v6
	v_cmp_lt_i32_e32 vcc, 5, v7
	v_lshrrev_b32_e32 v6, 2, v6
	s_nop 0
	v_cndmask_b32_e64 v9, 0, 1, vcc
	v_cmp_eq_u32_e32 vcc, 3, v7
	s_nop 1
	v_cndmask_b32_e64 v7, 0, 1, vcc
	v_or_b32_e32 v7, v7, v9
	v_add_u32_e32 v6, v6, v7
	v_cmp_gt_i32_e32 vcc, 31, v8
	s_nop 1
	v_cndmask_b32_e32 v5, v5, v6, vcc
	v_cmp_eq_u32_e32 vcc, s14, v8
	s_nop 1
	v_cndmask_b32_e32 v2, v5, v2, vcc
	v_and_or_b32 v3, v3, s15, v2
	s_branch .LBB528_228
.LBB528_226:
	s_mov_b64 s[0:1], -1
                                        ; implicit-def: $vgpr3
	s_branch .LBB528_231
.LBB528_227:
	s_mov_b64 s[0:1], -1
                                        ; implicit-def: $vgpr3
.LBB528_228:
	s_andn2_b64 vcc, exec, s[0:1]
	s_cbranch_vccnz .LBB528_230
; %bb.229:
	global_load_dword v2, v[0:1], off
	s_waitcnt vmcnt(0)
	v_cvt_f16_f32_e32 v3, v2
.LBB528_230:
	s_mov_b64 s[0:1], 0
.LBB528_231:
	s_andn2_b64 vcc, exec, s[0:1]
	s_cbranch_vccnz .LBB528_233
; %bb.232:
	global_load_ushort v3, v[0:1], off
.LBB528_233:
	s_cbranch_execnz .LBB528_253
.LBB528_234:
	s_cmp_lt_i32 s24, 2
	s_cbranch_scc1 .LBB528_238
; %bb.235:
	s_cmp_lt_i32 s24, 3
	s_cbranch_scc1 .LBB528_239
; %bb.236:
	s_cmp_gt_i32 s24, 3
	s_cbranch_scc0 .LBB528_240
; %bb.237:
	global_load_dwordx2 v[2:3], v[0:1], off
	s_mov_b64 s[0:1], 0
	s_waitcnt vmcnt(0)
	v_xor_b32_e32 v6, v2, v3
	v_ffbh_i32_e32 v5, v3
	v_ashrrev_i32_e32 v6, 31, v6
	v_add_u32_e32 v5, -1, v5
	v_add_u32_e32 v6, 32, v6
	v_min_u32_e32 v5, v5, v6
	v_lshlrev_b64 v[2:3], v5, v[2:3]
	v_min_u32_e32 v2, 1, v2
	v_or_b32_e32 v2, v3, v2
	v_cvt_f32_i32_e32 v2, v2
	v_sub_u32_e32 v3, 32, v5
	v_ldexp_f32 v2, v2, v3
	v_cvt_f16_f32_e32 v3, v2
	s_branch .LBB528_241
.LBB528_238:
	s_mov_b64 s[0:1], -1
                                        ; implicit-def: $vgpr3
	s_branch .LBB528_247
.LBB528_239:
	s_mov_b64 s[0:1], -1
                                        ; implicit-def: $vgpr3
	s_branch .LBB528_244
.LBB528_240:
	s_mov_b64 s[0:1], -1
                                        ; implicit-def: $vgpr3
.LBB528_241:
	s_andn2_b64 vcc, exec, s[0:1]
	s_cbranch_vccnz .LBB528_243
; %bb.242:
	global_load_dword v2, v[0:1], off
	s_waitcnt vmcnt(0)
	v_cvt_f32_i32_e32 v2, v2
	v_cvt_f16_f32_e32 v3, v2
.LBB528_243:
	s_mov_b64 s[0:1], 0
.LBB528_244:
	s_andn2_b64 vcc, exec, s[0:1]
	s_cbranch_vccnz .LBB528_246
; %bb.245:
	global_load_ushort v2, v[0:1], off
	s_waitcnt vmcnt(0)
	v_cvt_f16_i16_e32 v3, v2
.LBB528_246:
	s_mov_b64 s[0:1], 0
.LBB528_247:
	s_andn2_b64 vcc, exec, s[0:1]
	s_cbranch_vccnz .LBB528_253
; %bb.248:
	s_cmp_gt_i32 s24, 0
	s_cbranch_scc0 .LBB528_250
; %bb.249:
	global_load_sbyte v2, v[0:1], off
	s_mov_b64 s[0:1], 0
	s_waitcnt vmcnt(0)
	v_cvt_f16_i16_e32 v3, v2
	s_branch .LBB528_251
.LBB528_250:
	s_mov_b64 s[0:1], -1
                                        ; implicit-def: $vgpr3
.LBB528_251:
	s_andn2_b64 vcc, exec, s[0:1]
	s_cbranch_vccnz .LBB528_253
; %bb.252:
	global_load_ubyte v0, v[0:1], off
	s_waitcnt vmcnt(0)
	v_cvt_f16_u16_e32 v3, v0
.LBB528_253:
	s_branch .LBB528_11
.LBB528_254:
	s_mov_b64 s[0:1], 0
                                        ; implicit-def: $vgpr4
	s_mov_b64 s[20:21], 0
.LBB528_255:
	s_and_b64 s[14:15], s[0:1], exec
	s_and_b64 s[16:17], s[16:17], exec
	s_orn2_b64 s[20:21], s[20:21], exec
.LBB528_256:
	s_or_b64 exec, exec, s[18:19]
	s_mov_b64 s[24:25], 0
	s_mov_b64 s[0:1], 0
                                        ; implicit-def: $vgpr0_vgpr1
                                        ; implicit-def: $vgpr3
	s_and_saveexec_b64 s[18:19], s[20:21]
	s_cbranch_execz .LBB528_265
; %bb.257:
	v_cmp_gt_i32_e32 vcc, s40, v4
	s_mov_b64 s[0:1], -1
	s_mov_b64 s[20:21], s[16:17]
	s_mov_b64 s[22:23], s[14:15]
	s_and_saveexec_b64 s[24:25], vcc
	s_cbranch_execz .LBB528_521
; %bb.258:
	v_mul_lo_u32 v0, v4, s9
	v_ashrrev_i32_e32 v1, 31, v0
	s_and_b32 s28, 0xffff, s45
	s_cmp_lt_i32 s28, 11
	v_lshl_add_u64 v[0:1], s[6:7], 0, v[0:1]
	s_cbranch_scc1 .LBB528_268
; %bb.259:
	s_cmp_gt_i32 s28, 25
	s_cbranch_scc0 .LBB528_281
; %bb.260:
	s_cmp_gt_i32 s28, 28
	s_cbranch_scc0 .LBB528_283
	;; [unrolled: 3-line block ×4, first 2 shown]
; %bb.263:
	s_cmp_eq_u32 s28, 46
	s_mov_b64 s[22:23], 0
	s_cbranch_scc0 .LBB528_293
; %bb.264:
	global_load_dword v2, v[0:1], off
	s_mov_b64 s[20:21], 0
	s_waitcnt vmcnt(0)
	v_lshlrev_b32_e32 v2, 16, v2
	v_cvt_f16_f32_e32 v3, v2
	s_branch .LBB528_294
.LBB528_265:
	s_or_b64 exec, exec, s[18:19]
	s_mov_b64 s[18:19], 0
	s_and_saveexec_b64 s[20:21], s[16:17]
	s_cbranch_execnz .LBB528_871
.LBB528_266:
	s_or_b64 exec, exec, s[20:21]
	s_and_saveexec_b64 s[16:17], s[22:23]
	s_xor_b64 s[16:17], exec, s[16:17]
	s_cbranch_execz .LBB528_872
.LBB528_267:
	global_load_ubyte v2, v[0:1], off
	s_waitcnt vmcnt(1)
	v_mov_b32_e32 v3, 0x3c00
	s_or_b64 s[0:1], s[0:1], exec
	s_waitcnt vmcnt(0)
	v_cmp_ne_u16_e32 vcc, 0, v2
	s_nop 1
	v_cndmask_b32_e32 v3, 0, v3, vcc
	s_or_b64 exec, exec, s[16:17]
	s_and_saveexec_b64 s[16:17], s[24:25]
	s_cbranch_execz .LBB528_918
	s_branch .LBB528_873
.LBB528_268:
	s_mov_b64 s[0:1], 0
                                        ; implicit-def: $vgpr3
	s_mov_b64 s[20:21], s[16:17]
	s_cbranch_execnz .LBB528_471
.LBB528_269:
	s_andn2_b64 vcc, exec, s[0:1]
	s_cbranch_vccnz .LBB528_519
.LBB528_270:
	s_waitcnt vmcnt(0)
	v_cmp_o_f16_e32 vcc, v3, v3
	v_mov_b32_e32 v2, s10
	s_and_saveexec_b64 s[0:1], vcc
	s_cbranch_execz .LBB528_274
; %bb.271:
	s_movk_i32 s22, 0x7c00
	v_cmp_neq_f16_e32 vcc, s22, v3
	v_mov_b32_e32 v2, s44
	s_and_saveexec_b64 s[22:23], vcc
; %bb.272:
	s_mov_b32 s26, 0xfc00
	v_mov_b32_e32 v0, s11
	v_cmp_eq_f16_e32 vcc, s26, v3
	s_nop 1
	v_cndmask_b32_e32 v2, v3, v0, vcc
; %bb.273:
	s_or_b64 exec, exec, s[22:23]
.LBB528_274:
	s_or_b64 exec, exec, s[0:1]
	v_mul_lo_u32 v0, v4, s8
	v_ashrrev_i32_e32 v1, 31, v0
	s_and_b32 s30, s33, 0xff
	s_cmp_lt_i32 s30, 11
	v_lshl_add_u64 v[0:1], s[4:5], 0, v[0:1]
	s_cbranch_scc1 .LBB528_282
; %bb.275:
	s_and_b32 s31, 0xffff, s30
	s_cmp_gt_i32 s31, 25
	s_cbranch_scc0 .LBB528_284
; %bb.276:
	s_cmp_gt_i32 s31, 28
	s_cbranch_scc0 .LBB528_286
; %bb.277:
	;; [unrolled: 3-line block ×4, first 2 shown]
	s_mov_b64 s[26:27], 0
	s_mov_b64 s[0:1], -1
	s_cmp_eq_u32 s31, 46
	s_mov_b64 s[22:23], 0
	s_cbranch_scc0 .LBB528_298
; %bb.280:
	v_cvt_f32_f16_e32 v3, v2
	s_movk_i32 s0, 0x7fff
	v_cmp_o_f16_e32 vcc, v2, v2
	v_mov_b32_e32 v5, 0x7fc0
	v_bfe_u32 v6, v3, 16, 1
	v_add3_u32 v3, v3, v6, s0
	v_cndmask_b32_sdwa v3, v5, v3, vcc dst_sel:DWORD dst_unused:UNUSED_PAD src0_sel:DWORD src1_sel:WORD_1
	global_store_dword v[0:1], v3, off
	s_mov_b64 s[22:23], -1
	s_mov_b64 s[0:1], 0
	s_branch .LBB528_298
.LBB528_281:
	s_mov_b64 s[22:23], -1
	s_mov_b64 s[0:1], 0
	s_mov_b64 s[20:21], s[16:17]
                                        ; implicit-def: $vgpr3
	s_branch .LBB528_435
.LBB528_282:
	s_mov_b64 s[26:27], -1
	s_mov_b64 s[22:23], 0
	s_mov_b64 s[0:1], s[14:15]
	s_branch .LBB528_367
.LBB528_283:
	s_mov_b64 s[22:23], -1
	s_mov_b64 s[0:1], 0
	s_mov_b64 s[20:21], s[16:17]
                                        ; implicit-def: $vgpr3
	s_branch .LBB528_416
.LBB528_284:
	s_mov_b64 s[26:27], -1
	s_mov_b64 s[22:23], 0
	s_mov_b64 s[0:1], s[14:15]
	s_branch .LBB528_325
.LBB528_285:
	s_mov_b64 s[22:23], -1
	s_mov_b64 s[0:1], 0
	s_mov_b64 s[20:21], s[16:17]
                                        ; implicit-def: $vgpr3
	s_branch .LBB528_411
.LBB528_286:
	s_mov_b64 s[26:27], -1
	s_mov_b64 s[22:23], 0
	s_mov_b64 s[0:1], s[14:15]
	s_branch .LBB528_308
.LBB528_287:
	s_andn2_saveexec_b64 s[24:25], s[24:25]
	s_cbranch_execz .LBB528_59
.LBB528_288:
	s_mov_b32 s28, 0x46000000
	v_add_f32_e64 v5, |v3|, s28
	v_and_b32_e32 v5, 0xff, v5
	v_cmp_ne_u32_e32 vcc, 0, v5
	s_andn2_b64 s[20:21], s[20:21], exec
	s_and_b64 s[28:29], vcc, exec
	s_or_b64 s[20:21], s[20:21], s[28:29]
	s_or_b64 exec, exec, s[24:25]
	v_mov_b32_e32 v6, 0
	s_and_saveexec_b64 s[24:25], s[20:21]
	s_cbranch_execnz .LBB528_60
	s_branch .LBB528_61
.LBB528_289:
	s_mov_b64 s[22:23], -1
	s_mov_b64 s[0:1], 0
	s_mov_b64 s[20:21], s[16:17]
                                        ; implicit-def: $vgpr3
	s_branch .LBB528_294
.LBB528_290:
	s_mov_b64 s[26:27], -1
	s_mov_b64 s[22:23], 0
	s_mov_b64 s[0:1], s[14:15]
	s_branch .LBB528_304
.LBB528_291:
	s_andn2_saveexec_b64 s[24:25], s[24:25]
	s_cbranch_execz .LBB528_72
.LBB528_292:
	s_mov_b32 s28, 0x42800000
	v_add_f32_e64 v5, |v3|, s28
	v_and_b32_e32 v5, 0xff, v5
	v_cmp_ne_u32_e32 vcc, 0, v5
	s_andn2_b64 s[20:21], s[20:21], exec
	s_and_b64 s[28:29], vcc, exec
	s_or_b64 s[20:21], s[20:21], s[28:29]
	s_or_b64 exec, exec, s[24:25]
	v_mov_b32_e32 v6, 0
	s_and_saveexec_b64 s[24:25], s[20:21]
	s_cbranch_execnz .LBB528_73
	s_branch .LBB528_74
.LBB528_293:
	s_mov_b64 s[20:21], -1
                                        ; implicit-def: $vgpr3
	s_mov_b64 s[0:1], 0
.LBB528_294:
	s_and_b64 vcc, exec, s[22:23]
	s_cbranch_vccz .LBB528_410
; %bb.295:
	s_cmp_eq_u32 s28, 44
	s_cbranch_scc0 .LBB528_409
; %bb.296:
	global_load_ubyte v2, v[0:1], off
	s_movk_i32 s20, 0xff
	v_mov_b32_e32 v5, 0x7e00
	s_mov_b64 s[0:1], -1
	s_waitcnt vmcnt(0)
	v_lshlrev_b32_e32 v3, 23, v2
	v_cvt_f16_f32_e32 v3, v3
	v_cmp_ne_u32_e32 vcc, s20, v2
	s_mov_b64 s[20:21], 0
	s_nop 0
	v_cndmask_b32_e32 v3, v5, v3, vcc
	v_cmp_ne_u32_e32 vcc, 0, v2
	s_nop 1
	v_cndmask_b32_e32 v3, 0, v3, vcc
	s_branch .LBB528_410
.LBB528_297:
	s_mov_b64 s[26:27], -1
	s_mov_b64 s[22:23], 0
	s_mov_b64 s[0:1], s[14:15]
.LBB528_298:
	s_and_b64 vcc, exec, s[26:27]
	s_cbranch_vccz .LBB528_303
; %bb.299:
	s_cmp_eq_u32 s31, 44
	s_mov_b64 s[0:1], -1
	s_cbranch_scc0 .LBB528_303
; %bb.300:
	v_cvt_f32_f16_e32 v3, v2
	s_movk_i32 s0, 0xff
	v_mov_b32_e32 v6, 0xff
	v_bfe_u32 v5, v3, 23, 8
	v_cmp_ne_u32_e32 vcc, s0, v5
	s_and_saveexec_b64 s[22:23], vcc
; %bb.301:
	s_mov_b32 s0, 0x3fffff
	v_lshrrev_b32_e32 v6, 23, v3
	v_and_b32_e32 v7, 0x400000, v3
	v_and_or_b32 v3, v3, s0, v5
	v_cmp_ne_u32_e32 vcc, 0, v7
	v_cmp_ne_u32_e64 s[0:1], 0, v3
	s_and_b64 s[0:1], vcc, s[0:1]
	s_nop 0
	v_cndmask_b32_e64 v3, 0, 1, s[0:1]
	v_add_u32_e32 v6, v6, v3
; %bb.302:
	s_or_b64 exec, exec, s[22:23]
	s_mov_b64 s[22:23], -1
	s_mov_b64 s[0:1], 0
	global_store_byte v[0:1], v6, off
.LBB528_303:
	s_mov_b64 s[26:27], 0
.LBB528_304:
	s_and_b64 vcc, exec, s[26:27]
	s_cbranch_vccz .LBB528_307
; %bb.305:
	s_cmp_eq_u32 s31, 29
	s_mov_b64 s[0:1], -1
	s_cbranch_scc0 .LBB528_307
; %bb.306:
	v_cvt_f32_f16_e32 v3, v2
	v_mov_b32_e32 v7, 0
	s_mov_b64 s[22:23], -1
	s_mov_b64 s[0:1], 0
	v_cvt_u32_f32_e32 v6, v3
	s_mov_b64 s[26:27], 0
	global_store_dwordx2 v[0:1], v[6:7], off
	s_branch .LBB528_308
.LBB528_307:
	s_mov_b64 s[26:27], 0
.LBB528_308:
	s_and_b64 vcc, exec, s[26:27]
	s_cbranch_vccz .LBB528_324
; %bb.309:
	s_cmp_lt_i32 s31, 27
	s_mov_b64 s[22:23], -1
	s_cbranch_scc1 .LBB528_315
; %bb.310:
	s_cmp_gt_i32 s31, 27
	s_cbranch_scc0 .LBB528_312
; %bb.311:
	v_cvt_f32_f16_e32 v3, v2
	s_mov_b64 s[22:23], 0
	v_cvt_u32_f32_e32 v3, v3
	global_store_dword v[0:1], v3, off
.LBB528_312:
	s_andn2_b64 vcc, exec, s[22:23]
	s_cbranch_vccnz .LBB528_314
; %bb.313:
	v_cvt_u16_f16_e32 v3, v2
	global_store_short v[0:1], v3, off
.LBB528_314:
	s_mov_b64 s[22:23], 0
.LBB528_315:
	s_andn2_b64 vcc, exec, s[22:23]
	s_cbranch_vccnz .LBB528_323
; %bb.316:
	v_cvt_f32_f16_e32 v3, v2
	s_mov_b32 s22, 0x43800000
	v_mov_b32_e32 v6, 0x80
	v_and_b32_e32 v5, 0x7fffffff, v3
	v_cmp_gt_u32_e32 vcc, s22, v5
	s_and_saveexec_b64 s[22:23], vcc
	s_cbranch_execz .LBB528_322
; %bb.317:
	s_mov_b32 s26, 0x3bffffff
	v_cmp_lt_u32_e32 vcc, s26, v5
	s_mov_b64 s[26:27], 0
                                        ; implicit-def: $vgpr5
	s_and_saveexec_b64 s[28:29], vcc
	s_xor_b64 s[28:29], exec, s[28:29]
	s_cbranch_execz .LBB528_534
; %bb.318:
	v_bfe_u32 v5, v3, 20, 1
	s_mov_b32 s34, 0x487ffff
	v_add3_u32 v5, v3, v5, s34
	s_mov_b64 s[26:27], exec
	v_lshrrev_b32_e32 v5, 20, v5
	s_andn2_saveexec_b64 s[28:29], s[28:29]
	s_cbranch_execnz .LBB528_535
.LBB528_319:
	s_or_b64 exec, exec, s[28:29]
	v_mov_b32_e32 v6, 0
	s_and_saveexec_b64 s[28:29], s[26:27]
.LBB528_320:
	v_lshrrev_b32_e32 v3, 24, v3
	s_movk_i32 s26, 0x80
	v_and_or_b32 v6, v3, s26, v5
.LBB528_321:
	s_or_b64 exec, exec, s[28:29]
.LBB528_322:
	s_or_b64 exec, exec, s[22:23]
	global_store_byte v[0:1], v6, off
.LBB528_323:
	s_mov_b64 s[22:23], -1
.LBB528_324:
	s_mov_b64 s[26:27], 0
.LBB528_325:
	s_and_b64 vcc, exec, s[26:27]
	s_cbranch_vccz .LBB528_366
; %bb.326:
	s_cmp_gt_i32 s31, 22
	s_mov_b64 s[26:27], -1
	s_cbranch_scc0 .LBB528_358
; %bb.327:
	s_cmp_lt_i32 s31, 24
	s_mov_b64 s[22:23], -1
	s_cbranch_scc1 .LBB528_347
; %bb.328:
	s_cmp_gt_i32 s31, 24
	s_cbranch_scc0 .LBB528_336
; %bb.329:
	v_cvt_f32_f16_e32 v3, v2
	s_mov_b32 s22, 0x47800000
	v_mov_b32_e32 v6, 0x80
	v_and_b32_e32 v5, 0x7fffffff, v3
	v_cmp_gt_u32_e32 vcc, s22, v5
	s_and_saveexec_b64 s[22:23], vcc
	s_cbranch_execz .LBB528_335
; %bb.330:
	s_mov_b32 s26, 0x37ffffff
	v_cmp_lt_u32_e32 vcc, s26, v5
	s_mov_b64 s[26:27], 0
                                        ; implicit-def: $vgpr5
	s_and_saveexec_b64 s[28:29], vcc
	s_xor_b64 s[28:29], exec, s[28:29]
	s_cbranch_execz .LBB528_537
; %bb.331:
	v_bfe_u32 v5, v3, 21, 1
	s_mov_b32 s34, 0x88fffff
	v_add3_u32 v5, v3, v5, s34
	s_mov_b64 s[26:27], exec
	v_lshrrev_b32_e32 v5, 21, v5
	s_andn2_saveexec_b64 s[28:29], s[28:29]
	s_cbranch_execnz .LBB528_538
.LBB528_332:
	s_or_b64 exec, exec, s[28:29]
	v_mov_b32_e32 v6, 0
	s_and_saveexec_b64 s[28:29], s[26:27]
.LBB528_333:
	v_lshrrev_b32_e32 v3, 24, v3
	s_movk_i32 s26, 0x80
	v_and_or_b32 v6, v3, s26, v5
.LBB528_334:
	s_or_b64 exec, exec, s[28:29]
.LBB528_335:
	s_or_b64 exec, exec, s[22:23]
	s_mov_b64 s[22:23], 0
	global_store_byte v[0:1], v6, off
.LBB528_336:
	s_and_b64 vcc, exec, s[22:23]
	s_cbranch_vccz .LBB528_346
; %bb.337:
	v_cvt_f32_f16_e32 v3, v2
	s_mov_b32 s22, 0x43f00000
                                        ; implicit-def: $vgpr5
	v_and_b32_e32 v6, 0x7fffffff, v3
	v_cmp_gt_u32_e32 vcc, s22, v6
	s_and_saveexec_b64 s[22:23], vcc
	s_xor_b64 s[22:23], exec, s[22:23]
	s_cbranch_execz .LBB528_343
; %bb.338:
	s_mov_b32 s26, 0x3c7fffff
	v_cmp_lt_u32_e32 vcc, s26, v6
                                        ; implicit-def: $vgpr5
	s_and_saveexec_b64 s[26:27], vcc
	s_xor_b64 s[26:27], exec, s[26:27]
; %bb.339:
	v_bfe_u32 v5, v3, 20, 1
	s_mov_b32 s28, 0x407ffff
	v_add3_u32 v5, v3, v5, s28
	v_lshrrev_b32_e32 v6, 20, v5
	v_and_b32_e32 v5, 0xff00000, v5
	s_mov_b32 s28, 0x7f00000
	v_mov_b32_e32 v7, 0x7e
	v_cmp_ne_u32_e32 vcc, s28, v5
	s_nop 1
	v_cndmask_b32_e32 v5, v7, v6, vcc
; %bb.340:
	s_andn2_saveexec_b64 s[26:27], s[26:27]
; %bb.341:
	s_mov_b32 s28, 0x46800000
	v_add_f32_e64 v5, |v3|, s28
; %bb.342:
	s_or_b64 exec, exec, s[26:27]
                                        ; implicit-def: $vgpr6
.LBB528_343:
	s_andn2_saveexec_b64 s[22:23], s[22:23]
; %bb.344:
	s_mov_b32 s26, 0x7f800000
	v_mov_b32_e32 v5, 0x7e
	v_mov_b32_e32 v7, 0x7f
	v_cmp_lt_u32_e32 vcc, s26, v6
	s_nop 1
	v_cndmask_b32_e32 v5, v5, v7, vcc
; %bb.345:
	s_or_b64 exec, exec, s[22:23]
	v_lshrrev_b32_e32 v3, 24, v3
	s_movk_i32 s22, 0x80
	v_and_or_b32 v3, v3, s22, v5
	global_store_byte v[0:1], v3, off
.LBB528_346:
	s_mov_b64 s[22:23], 0
.LBB528_347:
	s_andn2_b64 vcc, exec, s[22:23]
	s_cbranch_vccnz .LBB528_357
; %bb.348:
	v_cvt_f32_f16_e32 v3, v2
	s_mov_b32 s22, 0x47800000
                                        ; implicit-def: $vgpr5
	v_and_b32_e32 v6, 0x7fffffff, v3
	v_cmp_gt_u32_e32 vcc, s22, v6
	s_and_saveexec_b64 s[22:23], vcc
	s_xor_b64 s[22:23], exec, s[22:23]
	s_cbranch_execz .LBB528_354
; %bb.349:
	s_mov_b32 s26, 0x387fffff
	v_cmp_lt_u32_e32 vcc, s26, v6
                                        ; implicit-def: $vgpr5
	s_and_saveexec_b64 s[26:27], vcc
	s_xor_b64 s[26:27], exec, s[26:27]
; %bb.350:
	v_bfe_u32 v5, v3, 21, 1
	s_mov_b32 s28, 0x80fffff
	v_add3_u32 v5, v3, v5, s28
	v_lshrrev_b32_e32 v5, 21, v5
; %bb.351:
	s_andn2_saveexec_b64 s[26:27], s[26:27]
; %bb.352:
	s_mov_b32 s28, 0x43000000
	v_add_f32_e64 v5, |v3|, s28
; %bb.353:
	s_or_b64 exec, exec, s[26:27]
                                        ; implicit-def: $vgpr6
.LBB528_354:
	s_andn2_saveexec_b64 s[22:23], s[22:23]
; %bb.355:
	s_mov_b32 s26, 0x7f800000
	v_mov_b32_e32 v5, 0x7c
	v_mov_b32_e32 v7, 0x7f
	v_cmp_lt_u32_e32 vcc, s26, v6
	s_nop 1
	v_cndmask_b32_e32 v5, v5, v7, vcc
; %bb.356:
	s_or_b64 exec, exec, s[22:23]
	v_lshrrev_b32_e32 v3, 24, v3
	s_movk_i32 s22, 0x80
	v_and_or_b32 v3, v3, s22, v5
	global_store_byte v[0:1], v3, off
.LBB528_357:
	s_mov_b64 s[26:27], 0
	s_mov_b64 s[22:23], -1
.LBB528_358:
	s_andn2_b64 vcc, exec, s[26:27]
	s_cbranch_vccnz .LBB528_366
; %bb.359:
	s_cmp_gt_i32 s31, 14
	s_mov_b64 s[26:27], -1
	s_cbranch_scc0 .LBB528_363
; %bb.360:
	s_cmp_eq_u32 s31, 15
	s_mov_b64 s[0:1], -1
	s_cbranch_scc0 .LBB528_362
; %bb.361:
	v_cvt_f32_f16_e32 v3, v2
	s_movk_i32 s0, 0x7fff
	v_cmp_o_f16_e32 vcc, v2, v2
	v_mov_b32_e32 v5, 0x7fc0
	v_bfe_u32 v6, v3, 16, 1
	v_add3_u32 v3, v3, v6, s0
	v_cndmask_b32_sdwa v3, v5, v3, vcc dst_sel:DWORD dst_unused:UNUSED_PAD src0_sel:DWORD src1_sel:WORD_1
	global_store_short v[0:1], v3, off
	s_mov_b64 s[22:23], -1
	s_mov_b64 s[0:1], 0
.LBB528_362:
	s_mov_b64 s[26:27], 0
.LBB528_363:
	s_and_b64 vcc, exec, s[26:27]
	s_cbranch_vccz .LBB528_366
; %bb.364:
	s_cmp_eq_u32 s31, 11
	s_mov_b64 s[0:1], -1
	s_cbranch_scc0 .LBB528_366
; %bb.365:
	v_and_b32_e32 v3, 0x7fff, v2
	v_cmp_ne_u16_e32 vcc, 0, v3
	s_mov_b64 s[22:23], -1
	s_mov_b64 s[0:1], 0
	v_cndmask_b32_e64 v3, 0, 1, vcc
	global_store_byte v[0:1], v3, off
.LBB528_366:
	s_mov_b64 s[26:27], 0
.LBB528_367:
	s_and_b64 vcc, exec, s[26:27]
	s_cbranch_vccz .LBB528_406
; %bb.368:
	s_and_b32 s26, 0xffff, s30
	s_cmp_lt_i32 s26, 5
	s_mov_b64 s[22:23], -1
	s_cbranch_scc1 .LBB528_389
; %bb.369:
	s_cmp_lt_i32 s26, 8
	s_cbranch_scc1 .LBB528_379
; %bb.370:
	s_cmp_lt_i32 s26, 9
	s_cbranch_scc1 .LBB528_376
; %bb.371:
	s_cmp_gt_i32 s26, 9
	s_cbranch_scc0 .LBB528_373
; %bb.372:
	v_cvt_f32_f16_e32 v3, v2
	v_mov_b32_e32 v8, 0
	v_mov_b32_e32 v9, v8
	s_mov_b64 s[22:23], 0
	v_cvt_f64_f32_e32 v[6:7], v3
	global_store_dwordx4 v[0:1], v[6:9], off
.LBB528_373:
	s_andn2_b64 vcc, exec, s[22:23]
	s_cbranch_vccnz .LBB528_375
; %bb.374:
	v_cvt_f32_f16_e32 v6, v2
	v_mov_b32_e32 v7, 0
	global_store_dwordx2 v[0:1], v[6:7], off
.LBB528_375:
	s_mov_b64 s[22:23], 0
.LBB528_376:
	s_andn2_b64 vcc, exec, s[22:23]
	s_cbranch_vccnz .LBB528_378
; %bb.377:
	v_and_b32_e32 v3, 0xffff, v2
	global_store_dword v[0:1], v3, off
.LBB528_378:
	s_mov_b64 s[22:23], 0
.LBB528_379:
	s_andn2_b64 vcc, exec, s[22:23]
	s_cbranch_vccnz .LBB528_388
; %bb.380:
	s_cmp_lt_i32 s26, 6
	s_mov_b64 s[22:23], -1
	s_cbranch_scc1 .LBB528_386
; %bb.381:
	s_cmp_gt_i32 s26, 6
	s_cbranch_scc0 .LBB528_383
; %bb.382:
	v_cvt_f32_f16_e32 v3, v2
	s_mov_b64 s[22:23], 0
	v_cvt_f64_f32_e32 v[6:7], v3
	global_store_dwordx2 v[0:1], v[6:7], off
.LBB528_383:
	s_andn2_b64 vcc, exec, s[22:23]
	s_cbranch_vccnz .LBB528_385
; %bb.384:
	v_cvt_f32_f16_e32 v3, v2
	global_store_dword v[0:1], v3, off
.LBB528_385:
	s_mov_b64 s[22:23], 0
.LBB528_386:
	s_andn2_b64 vcc, exec, s[22:23]
	s_cbranch_vccnz .LBB528_388
; %bb.387:
	global_store_short v[0:1], v2, off
.LBB528_388:
	s_mov_b64 s[22:23], 0
.LBB528_389:
	s_andn2_b64 vcc, exec, s[22:23]
	s_cbranch_vccnz .LBB528_405
; %bb.390:
	s_cmp_lt_i32 s26, 2
	s_mov_b64 s[22:23], -1
	s_cbranch_scc1 .LBB528_400
; %bb.391:
	s_cmp_lt_i32 s26, 3
	s_cbranch_scc1 .LBB528_397
; %bb.392:
	s_cmp_gt_i32 s26, 3
	s_cbranch_scc0 .LBB528_394
; %bb.393:
	v_cvt_f32_f16_e32 v3, v2
	s_mov_b64 s[22:23], 0
	v_cvt_i32_f32_e32 v6, v3
	v_ashrrev_i32_e32 v7, 31, v6
	global_store_dwordx2 v[0:1], v[6:7], off
.LBB528_394:
	s_andn2_b64 vcc, exec, s[22:23]
	s_cbranch_vccnz .LBB528_396
; %bb.395:
	v_cvt_f32_f16_e32 v3, v2
	v_cvt_i32_f32_e32 v3, v3
	global_store_dword v[0:1], v3, off
.LBB528_396:
	s_mov_b64 s[22:23], 0
.LBB528_397:
	s_andn2_b64 vcc, exec, s[22:23]
	s_cbranch_vccnz .LBB528_399
; %bb.398:
	v_cvt_i16_f16_e32 v3, v2
	global_store_short v[0:1], v3, off
.LBB528_399:
	s_mov_b64 s[22:23], 0
.LBB528_400:
	s_andn2_b64 vcc, exec, s[22:23]
	s_cbranch_vccnz .LBB528_405
; %bb.401:
	s_cmp_gt_i32 s26, 0
	s_mov_b64 s[22:23], -1
	s_cbranch_scc0 .LBB528_403
; %bb.402:
	v_cvt_i16_f16_e32 v3, v2
	s_mov_b64 s[22:23], 0
	global_store_byte v[0:1], v3, off
.LBB528_403:
	s_andn2_b64 vcc, exec, s[22:23]
	s_cbranch_vccnz .LBB528_405
; %bb.404:
	v_cvt_f32_f16_e32 v2, v2
	v_cvt_i32_f32_e32 v2, v2
	global_store_byte v[0:1], v2, off
.LBB528_405:
	s_mov_b64 s[22:23], -1
.LBB528_406:
	s_andn2_b64 vcc, exec, s[22:23]
	s_cbranch_vccnz .LBB528_408
; %bb.407:
	v_add_u32_e32 v4, 0x80, v4
	s_mov_b64 s[26:27], -1
	s_branch .LBB528_520
.LBB528_408:
	s_mov_b64 s[26:27], 0
                                        ; implicit-def: $vgpr4
	s_branch .LBB528_520
.LBB528_409:
	s_mov_b64 s[20:21], -1
                                        ; implicit-def: $vgpr3
.LBB528_410:
	s_mov_b64 s[22:23], 0
.LBB528_411:
	s_and_b64 vcc, exec, s[22:23]
	s_cbranch_vccz .LBB528_415
; %bb.412:
	s_cmp_eq_u32 s28, 29
	s_cbranch_scc0 .LBB528_414
; %bb.413:
	global_load_dwordx2 v[2:3], v[0:1], off
	s_mov_b64 s[0:1], -1
	s_mov_b64 s[20:21], 0
	s_mov_b64 s[22:23], 0
	s_waitcnt vmcnt(0)
	v_ffbh_u32_e32 v5, v3
	v_min_u32_e32 v5, 32, v5
	v_lshlrev_b64 v[2:3], v5, v[2:3]
	v_min_u32_e32 v2, 1, v2
	v_or_b32_e32 v2, v3, v2
	v_cvt_f32_u32_e32 v2, v2
	v_sub_u32_e32 v3, 32, v5
	v_ldexp_f32 v2, v2, v3
	v_cvt_f16_f32_e32 v3, v2
	s_branch .LBB528_416
.LBB528_414:
	s_mov_b64 s[20:21], -1
                                        ; implicit-def: $vgpr3
.LBB528_415:
	s_mov_b64 s[22:23], 0
.LBB528_416:
	s_and_b64 vcc, exec, s[22:23]
	s_cbranch_vccz .LBB528_434
; %bb.417:
	s_cmp_lt_i32 s28, 27
	s_cbranch_scc1 .LBB528_420
; %bb.418:
	s_cmp_gt_i32 s28, 27
	s_cbranch_scc0 .LBB528_421
; %bb.419:
	global_load_dword v2, v[0:1], off
	s_mov_b64 s[0:1], 0
	s_waitcnt vmcnt(0)
	v_cvt_f32_u32_e32 v2, v2
	v_cvt_f16_f32_e32 v3, v2
	s_branch .LBB528_422
.LBB528_420:
	s_mov_b64 s[0:1], -1
                                        ; implicit-def: $vgpr3
	s_branch .LBB528_425
.LBB528_421:
	s_mov_b64 s[0:1], -1
                                        ; implicit-def: $vgpr3
.LBB528_422:
	s_andn2_b64 vcc, exec, s[0:1]
	s_cbranch_vccnz .LBB528_424
; %bb.423:
	global_load_ushort v2, v[0:1], off
	s_waitcnt vmcnt(0)
	v_cvt_f16_u16_e32 v3, v2
.LBB528_424:
	s_mov_b64 s[0:1], 0
.LBB528_425:
	s_andn2_b64 vcc, exec, s[0:1]
	s_cbranch_vccnz .LBB528_433
; %bb.426:
	global_load_ubyte v2, v[0:1], off
	s_movk_i32 s0, 0x7f
	s_waitcnt vmcnt(0)
	v_cmp_lt_i16_e32 vcc, s0, v2
	s_mov_b64 s[0:1], 0
	s_and_saveexec_b64 s[22:23], vcc
	s_xor_b64 s[22:23], exec, s[22:23]
	s_cbranch_execz .LBB528_447
; %bb.427:
	s_movk_i32 s0, 0x80
	v_cmp_eq_u16_e32 vcc, s0, v2
	s_mov_b64 s[0:1], -1
	s_and_saveexec_b64 s[26:27], vcc
; %bb.428:
	s_xor_b64 s[0:1], exec, -1
; %bb.429:
	s_or_b64 exec, exec, s[26:27]
	s_and_b64 s[0:1], s[0:1], exec
	s_or_saveexec_b64 s[22:23], s[22:23]
	v_mov_b32_e32 v3, 0x7e00
	s_xor_b64 exec, exec, s[22:23]
	s_cbranch_execnz .LBB528_448
.LBB528_430:
	s_or_b64 exec, exec, s[22:23]
	s_and_saveexec_b64 s[22:23], s[0:1]
	s_cbranch_execz .LBB528_432
.LBB528_431:
	v_lshlrev_b32_e32 v3, 24, v2
	v_and_b32_e32 v2, 0xffff, v2
	v_and_b32_e32 v5, 7, v2
	v_ffbh_u32_e32 v7, v5
	v_min_u32_e32 v7, 32, v7
	v_subrev_u32_e32 v8, 28, v7
	v_bfe_u32 v6, v2, 3, 4
	v_lshlrev_b32_e32 v2, v8, v2
	v_sub_u32_e32 v7, 29, v7
	v_and_b32_e32 v2, 7, v2
	v_cmp_eq_u32_e32 vcc, 0, v6
	v_and_b32_e32 v3, 0x80000000, v3
	s_nop 0
	v_cndmask_b32_e32 v6, v6, v7, vcc
	v_cndmask_b32_e32 v2, v5, v2, vcc
	v_mov_b32_e32 v5, 0x3b800000
	v_lshlrev_b32_e32 v2, 20, v2
	v_lshl_add_u32 v5, v6, 23, v5
	v_or3_b32 v2, v3, v5, v2
	v_cvt_f16_f32_e32 v3, v2
.LBB528_432:
	s_or_b64 exec, exec, s[22:23]
.LBB528_433:
	s_mov_b64 s[0:1], -1
.LBB528_434:
	s_mov_b64 s[22:23], 0
.LBB528_435:
	s_and_b64 vcc, exec, s[22:23]
	s_cbranch_vccz .LBB528_470
; %bb.436:
	s_cmp_gt_i32 s28, 22
	s_cbranch_scc0 .LBB528_446
; %bb.437:
	s_cmp_lt_i32 s28, 24
	s_cbranch_scc1 .LBB528_449
; %bb.438:
	s_cmp_gt_i32 s28, 24
	s_cbranch_scc0 .LBB528_450
; %bb.439:
	global_load_ubyte v2, v[0:1], off
	s_movk_i32 s0, 0x7f
	s_waitcnt vmcnt(0)
	v_cmp_lt_i16_e32 vcc, s0, v2
	s_mov_b64 s[0:1], 0
	s_and_saveexec_b64 s[22:23], vcc
	s_xor_b64 s[22:23], exec, s[22:23]
	s_cbranch_execz .LBB528_462
; %bb.440:
	s_movk_i32 s0, 0x80
	v_cmp_eq_u16_e32 vcc, s0, v2
	s_mov_b64 s[0:1], -1
	s_and_saveexec_b64 s[26:27], vcc
; %bb.441:
	s_xor_b64 s[0:1], exec, -1
; %bb.442:
	s_or_b64 exec, exec, s[26:27]
	s_and_b64 s[0:1], s[0:1], exec
	s_or_saveexec_b64 s[22:23], s[22:23]
	v_mov_b32_e32 v3, 0x7e00
	s_xor_b64 exec, exec, s[22:23]
	s_cbranch_execnz .LBB528_463
.LBB528_443:
	s_or_b64 exec, exec, s[22:23]
	s_and_saveexec_b64 s[22:23], s[0:1]
	s_cbranch_execz .LBB528_445
.LBB528_444:
	v_lshlrev_b32_e32 v3, 24, v2
	v_and_b32_e32 v2, 0xffff, v2
	v_and_b32_e32 v5, 3, v2
	v_ffbh_u32_e32 v7, v5
	v_min_u32_e32 v7, 32, v7
	v_subrev_u32_e32 v8, 29, v7
	v_bfe_u32 v6, v2, 2, 5
	v_lshlrev_b32_e32 v2, v8, v2
	v_sub_u32_e32 v7, 30, v7
	v_and_b32_e32 v2, 3, v2
	v_cmp_eq_u32_e32 vcc, 0, v6
	v_and_b32_e32 v3, 0x80000000, v3
	s_nop 0
	v_cndmask_b32_e32 v6, v6, v7, vcc
	v_cndmask_b32_e32 v2, v5, v2, vcc
	v_mov_b32_e32 v5, 0x37800000
	v_lshlrev_b32_e32 v2, 21, v2
	v_lshl_add_u32 v5, v6, 23, v5
	v_or3_b32 v2, v3, v5, v2
	v_cvt_f16_f32_e32 v3, v2
.LBB528_445:
	s_or_b64 exec, exec, s[22:23]
	s_mov_b64 s[0:1], 0
	s_branch .LBB528_451
.LBB528_446:
	s_mov_b64 s[22:23], -1
                                        ; implicit-def: $vgpr3
	s_branch .LBB528_457
.LBB528_447:
	s_or_saveexec_b64 s[22:23], s[22:23]
	v_mov_b32_e32 v3, 0x7e00
	s_xor_b64 exec, exec, s[22:23]
	s_cbranch_execz .LBB528_430
.LBB528_448:
	v_cmp_ne_u16_e32 vcc, 0, v2
	s_andn2_b64 s[0:1], s[0:1], exec
	s_and_b64 s[26:27], vcc, exec
	s_or_b64 s[0:1], s[0:1], s[26:27]
	v_mov_b32_e32 v3, v2
	s_or_b64 exec, exec, s[22:23]
	s_and_saveexec_b64 s[22:23], s[0:1]
	s_cbranch_execnz .LBB528_431
	s_branch .LBB528_432
.LBB528_449:
	s_mov_b64 s[0:1], -1
                                        ; implicit-def: $vgpr3
	s_branch .LBB528_454
.LBB528_450:
	s_mov_b64 s[0:1], -1
                                        ; implicit-def: $vgpr3
.LBB528_451:
	s_and_b64 vcc, exec, s[0:1]
	s_cbranch_vccz .LBB528_453
; %bb.452:
	global_load_ubyte v2, v[0:1], off
	s_mov_b32 s0, 0x7f800000
	s_waitcnt vmcnt(0)
	v_lshlrev_b32_e32 v2, 24, v2
	v_and_b32_e32 v3, 0x7f000000, v2
	v_ffbh_u32_e32 v5, v3
	v_min_u32_e32 v5, 32, v5
	v_sub_u32_e64 v5, v5, 4 clamp
	v_lshlrev_b32_e32 v7, v5, v3
	v_lshlrev_b32_e32 v5, 23, v5
	v_lshrrev_b32_e32 v7, 4, v7
	v_add_u32_e32 v6, 0x1000000, v3
	v_sub_u32_e32 v5, v7, v5
	v_ashrrev_i32_e32 v6, 8, v6
	v_add_u32_e32 v5, 0x3c000000, v5
	v_and_or_b32 v5, v6, s0, v5
	v_cmp_ne_u32_e32 vcc, 0, v3
	s_brev_b32 s0, 1
	s_nop 0
	v_cndmask_b32_e32 v3, 0, v5, vcc
	v_and_or_b32 v2, v2, s0, v3
	v_cvt_f16_f32_e32 v3, v2
.LBB528_453:
	s_mov_b64 s[0:1], 0
.LBB528_454:
	s_andn2_b64 vcc, exec, s[0:1]
	s_cbranch_vccnz .LBB528_456
; %bb.455:
	global_load_ubyte v2, v[0:1], off
	s_movk_i32 s0, 0x7f00
	s_brev_b32 s1, 16
	s_waitcnt vmcnt(0)
	v_lshlrev_b16_e32 v3, 8, v2
	v_lshlrev_b32_e32 v2, 25, v2
	v_lshrrev_b32_e32 v5, 4, v2
	v_and_or_b32 v6, v3, s0, 0.5
	v_or_b32_e32 v5, 0x70000000, v5
	v_add_f32_e32 v6, -0.5, v6
	v_mul_f32_e32 v5, 0x7800000, v5
	v_cmp_gt_u32_e32 vcc, s1, v2
	v_bfe_i32 v3, v3, 0, 16
	s_brev_b32 s0, 1
	v_cndmask_b32_e32 v2, v5, v6, vcc
	v_and_or_b32 v2, v3, s0, v2
	v_cvt_f16_f32_e32 v3, v2
.LBB528_456:
	s_mov_b64 s[22:23], 0
	s_mov_b64 s[0:1], -1
.LBB528_457:
	s_andn2_b64 vcc, exec, s[22:23]
	s_cbranch_vccnz .LBB528_470
; %bb.458:
	s_cmp_gt_i32 s28, 14
	s_cbranch_scc0 .LBB528_461
; %bb.459:
	s_cmp_eq_u32 s28, 15
	s_cbranch_scc0 .LBB528_464
; %bb.460:
	global_load_ushort v2, v[0:1], off
	s_mov_b64 s[0:1], -1
	s_mov_b64 s[20:21], 0
	s_waitcnt vmcnt(0)
	v_lshlrev_b32_e32 v2, 16, v2
	v_cvt_f16_f32_e32 v3, v2
	s_branch .LBB528_465
.LBB528_461:
	s_mov_b64 s[22:23], -1
                                        ; implicit-def: $vgpr3
	s_branch .LBB528_466
.LBB528_462:
	s_or_saveexec_b64 s[22:23], s[22:23]
	v_mov_b32_e32 v3, 0x7e00
	s_xor_b64 exec, exec, s[22:23]
	s_cbranch_execz .LBB528_443
.LBB528_463:
	v_cmp_ne_u16_e32 vcc, 0, v2
	s_andn2_b64 s[0:1], s[0:1], exec
	s_and_b64 s[26:27], vcc, exec
	s_or_b64 s[0:1], s[0:1], s[26:27]
	v_mov_b32_e32 v3, v2
	s_or_b64 exec, exec, s[22:23]
	s_and_saveexec_b64 s[22:23], s[0:1]
	s_cbranch_execnz .LBB528_444
	s_branch .LBB528_445
.LBB528_464:
	s_mov_b64 s[20:21], -1
                                        ; implicit-def: $vgpr3
.LBB528_465:
	s_mov_b64 s[22:23], 0
.LBB528_466:
	s_and_b64 vcc, exec, s[22:23]
	s_cbranch_vccz .LBB528_470
; %bb.467:
	s_cmp_eq_u32 s28, 11
	s_cbranch_scc0 .LBB528_469
; %bb.468:
	global_load_ubyte v2, v[0:1], off
	s_waitcnt vmcnt(1)
	v_mov_b32_e32 v3, 0x3c00
	s_mov_b64 s[0:1], -1
	s_mov_b64 s[20:21], 0
	s_waitcnt vmcnt(0)
	v_cmp_ne_u16_e32 vcc, 0, v2
	s_nop 1
	v_cndmask_b32_e32 v3, 0, v3, vcc
	s_branch .LBB528_470
.LBB528_469:
	s_mov_b64 s[20:21], -1
                                        ; implicit-def: $vgpr3
.LBB528_470:
	s_branch .LBB528_269
.LBB528_471:
	s_cmp_lt_i32 s28, 5
	s_cbranch_scc1 .LBB528_476
; %bb.472:
	s_cmp_lt_i32 s28, 8
	s_cbranch_scc1 .LBB528_477
; %bb.473:
	;; [unrolled: 3-line block ×3, first 2 shown]
	s_cmp_gt_i32 s28, 9
	s_cbranch_scc0 .LBB528_479
; %bb.475:
	global_load_dwordx2 v[2:3], v[0:1], off
	s_movk_i32 s0, 0x1ff
	s_movk_i32 s1, 0xffe
	v_mov_b32_e32 v5, 0x7c00
	v_mov_b32_e32 v6, 0x7e00
	s_movk_i32 s22, 0x40f
	s_mov_b32 s23, 0x8000
	s_waitcnt vmcnt(0)
	v_and_or_b32 v2, v3, s0, v2
	v_cmp_ne_u32_e32 vcc, 0, v2
	v_lshrrev_b32_e32 v7, 8, v3
	v_bfe_u32 v8, v3, 20, 11
	v_cndmask_b32_e64 v2, 0, 1, vcc
	v_sub_u32_e32 v9, 0x3f1, v8
	v_and_or_b32 v2, v7, s1, v2
	v_add_u32_e32 v8, 0xfffffc10, v8
	v_med3_i32 v7, v9, 0, 13
	v_or_b32_e32 v9, 0x1000, v2
	v_cmp_ne_u32_e32 vcc, 0, v2
	v_lshl_or_b32 v10, v8, 12, v2
	v_lshrrev_b32_e32 v3, 16, v3
	v_cndmask_b32_e32 v2, v5, v6, vcc
	v_lshrrev_b32_e32 v6, v7, v9
	v_lshlrev_b32_e32 v7, v7, v6
	v_cmp_ne_u32_e32 vcc, v7, v9
	s_mov_b64 s[0:1], 0
	s_nop 0
	v_cndmask_b32_e64 v7, 0, 1, vcc
	v_or_b32_e32 v6, v6, v7
	v_cmp_gt_i32_e32 vcc, 1, v8
	s_nop 1
	v_cndmask_b32_e32 v6, v10, v6, vcc
	v_and_b32_e32 v7, 7, v6
	v_cmp_lt_i32_e32 vcc, 5, v7
	v_lshrrev_b32_e32 v6, 2, v6
	s_nop 0
	v_cndmask_b32_e64 v9, 0, 1, vcc
	v_cmp_eq_u32_e32 vcc, 3, v7
	s_nop 1
	v_cndmask_b32_e64 v7, 0, 1, vcc
	v_or_b32_e32 v7, v7, v9
	v_add_u32_e32 v6, v6, v7
	v_cmp_gt_i32_e32 vcc, 31, v8
	s_nop 1
	v_cndmask_b32_e32 v5, v5, v6, vcc
	v_cmp_eq_u32_e32 vcc, s22, v8
	s_nop 1
	v_cndmask_b32_e32 v2, v5, v2, vcc
	v_and_or_b32 v3, v3, s23, v2
	s_branch .LBB528_480
.LBB528_476:
	s_mov_b64 s[0:1], -1
                                        ; implicit-def: $vgpr3
	s_branch .LBB528_498
.LBB528_477:
	s_mov_b64 s[0:1], -1
                                        ; implicit-def: $vgpr3
	s_branch .LBB528_486
.LBB528_478:
	s_mov_b64 s[0:1], -1
                                        ; implicit-def: $vgpr3
	s_branch .LBB528_483
.LBB528_479:
	s_mov_b64 s[0:1], -1
                                        ; implicit-def: $vgpr3
.LBB528_480:
	s_andn2_b64 vcc, exec, s[0:1]
	s_cbranch_vccnz .LBB528_482
; %bb.481:
	global_load_dword v2, v[0:1], off
	s_waitcnt vmcnt(0)
	v_cvt_f16_f32_e32 v3, v2
.LBB528_482:
	s_mov_b64 s[0:1], 0
.LBB528_483:
	s_andn2_b64 vcc, exec, s[0:1]
	s_cbranch_vccnz .LBB528_485
; %bb.484:
	global_load_dword v3, v[0:1], off
.LBB528_485:
	s_mov_b64 s[0:1], 0
.LBB528_486:
	s_andn2_b64 vcc, exec, s[0:1]
	s_cbranch_vccnz .LBB528_497
; %bb.487:
	s_cmp_lt_i32 s28, 6
	s_cbranch_scc1 .LBB528_490
; %bb.488:
	s_cmp_gt_i32 s28, 6
	s_cbranch_scc0 .LBB528_491
; %bb.489:
	global_load_dwordx2 v[2:3], v[0:1], off
	s_movk_i32 s0, 0x1ff
	s_movk_i32 s1, 0xffe
	v_mov_b32_e32 v5, 0x7c00
	v_mov_b32_e32 v6, 0x7e00
	s_movk_i32 s22, 0x40f
	s_mov_b32 s23, 0x8000
	s_waitcnt vmcnt(0)
	v_and_or_b32 v2, v3, s0, v2
	v_cmp_ne_u32_e32 vcc, 0, v2
	v_lshrrev_b32_e32 v7, 8, v3
	v_bfe_u32 v8, v3, 20, 11
	v_cndmask_b32_e64 v2, 0, 1, vcc
	v_sub_u32_e32 v9, 0x3f1, v8
	v_and_or_b32 v2, v7, s1, v2
	v_add_u32_e32 v8, 0xfffffc10, v8
	v_med3_i32 v7, v9, 0, 13
	v_or_b32_e32 v9, 0x1000, v2
	v_cmp_ne_u32_e32 vcc, 0, v2
	v_lshl_or_b32 v10, v8, 12, v2
	v_lshrrev_b32_e32 v3, 16, v3
	v_cndmask_b32_e32 v2, v5, v6, vcc
	v_lshrrev_b32_e32 v6, v7, v9
	v_lshlrev_b32_e32 v7, v7, v6
	v_cmp_ne_u32_e32 vcc, v7, v9
	s_mov_b64 s[0:1], 0
	s_nop 0
	v_cndmask_b32_e64 v7, 0, 1, vcc
	v_or_b32_e32 v6, v6, v7
	v_cmp_gt_i32_e32 vcc, 1, v8
	s_nop 1
	v_cndmask_b32_e32 v6, v10, v6, vcc
	v_and_b32_e32 v7, 7, v6
	v_cmp_lt_i32_e32 vcc, 5, v7
	v_lshrrev_b32_e32 v6, 2, v6
	s_nop 0
	v_cndmask_b32_e64 v9, 0, 1, vcc
	v_cmp_eq_u32_e32 vcc, 3, v7
	s_nop 1
	v_cndmask_b32_e64 v7, 0, 1, vcc
	v_or_b32_e32 v7, v7, v9
	v_add_u32_e32 v6, v6, v7
	v_cmp_gt_i32_e32 vcc, 31, v8
	s_nop 1
	v_cndmask_b32_e32 v5, v5, v6, vcc
	v_cmp_eq_u32_e32 vcc, s22, v8
	s_nop 1
	v_cndmask_b32_e32 v2, v5, v2, vcc
	v_and_or_b32 v3, v3, s23, v2
	s_branch .LBB528_492
.LBB528_490:
	s_mov_b64 s[0:1], -1
                                        ; implicit-def: $vgpr3
	s_branch .LBB528_495
.LBB528_491:
	s_mov_b64 s[0:1], -1
                                        ; implicit-def: $vgpr3
.LBB528_492:
	s_andn2_b64 vcc, exec, s[0:1]
	s_cbranch_vccnz .LBB528_494
; %bb.493:
	global_load_dword v2, v[0:1], off
	s_waitcnt vmcnt(0)
	v_cvt_f16_f32_e32 v3, v2
.LBB528_494:
	s_mov_b64 s[0:1], 0
.LBB528_495:
	s_andn2_b64 vcc, exec, s[0:1]
	s_cbranch_vccnz .LBB528_497
; %bb.496:
	global_load_ushort v3, v[0:1], off
.LBB528_497:
	s_mov_b64 s[0:1], 0
.LBB528_498:
	s_andn2_b64 vcc, exec, s[0:1]
	s_cbranch_vccnz .LBB528_518
; %bb.499:
	s_cmp_lt_i32 s28, 2
	s_cbranch_scc1 .LBB528_503
; %bb.500:
	s_cmp_lt_i32 s28, 3
	s_cbranch_scc1 .LBB528_504
; %bb.501:
	s_cmp_gt_i32 s28, 3
	s_cbranch_scc0 .LBB528_505
; %bb.502:
	global_load_dwordx2 v[2:3], v[0:1], off
	s_mov_b64 s[0:1], 0
	s_waitcnt vmcnt(0)
	v_xor_b32_e32 v6, v2, v3
	v_ffbh_i32_e32 v5, v3
	v_ashrrev_i32_e32 v6, 31, v6
	v_add_u32_e32 v5, -1, v5
	v_add_u32_e32 v6, 32, v6
	v_min_u32_e32 v5, v5, v6
	v_lshlrev_b64 v[2:3], v5, v[2:3]
	v_min_u32_e32 v2, 1, v2
	v_or_b32_e32 v2, v3, v2
	v_cvt_f32_i32_e32 v2, v2
	v_sub_u32_e32 v3, 32, v5
	v_ldexp_f32 v2, v2, v3
	v_cvt_f16_f32_e32 v3, v2
	s_branch .LBB528_506
.LBB528_503:
	s_mov_b64 s[0:1], -1
                                        ; implicit-def: $vgpr3
	s_branch .LBB528_512
.LBB528_504:
	s_mov_b64 s[0:1], -1
                                        ; implicit-def: $vgpr3
	s_branch .LBB528_509
.LBB528_505:
	s_mov_b64 s[0:1], -1
                                        ; implicit-def: $vgpr3
.LBB528_506:
	s_andn2_b64 vcc, exec, s[0:1]
	s_cbranch_vccnz .LBB528_508
; %bb.507:
	global_load_dword v2, v[0:1], off
	s_waitcnt vmcnt(0)
	v_cvt_f32_i32_e32 v2, v2
	v_cvt_f16_f32_e32 v3, v2
.LBB528_508:
	s_mov_b64 s[0:1], 0
.LBB528_509:
	s_andn2_b64 vcc, exec, s[0:1]
	s_cbranch_vccnz .LBB528_511
; %bb.510:
	global_load_ushort v2, v[0:1], off
	s_waitcnt vmcnt(0)
	v_cvt_f16_i16_e32 v3, v2
.LBB528_511:
	s_mov_b64 s[0:1], 0
.LBB528_512:
	s_andn2_b64 vcc, exec, s[0:1]
	s_cbranch_vccnz .LBB528_518
; %bb.513:
	s_cmp_gt_i32 s28, 0
	s_cbranch_scc0 .LBB528_515
; %bb.514:
	global_load_sbyte v2, v[0:1], off
	s_mov_b64 s[0:1], 0
	s_waitcnt vmcnt(0)
	v_cvt_f16_i16_e32 v3, v2
	s_branch .LBB528_516
.LBB528_515:
	s_mov_b64 s[0:1], -1
                                        ; implicit-def: $vgpr3
.LBB528_516:
	s_andn2_b64 vcc, exec, s[0:1]
	s_cbranch_vccnz .LBB528_518
; %bb.517:
	global_load_ubyte v0, v[0:1], off
	s_waitcnt vmcnt(0)
	v_cvt_f16_u16_e32 v3, v0
.LBB528_518:
	s_branch .LBB528_270
.LBB528_519:
	s_mov_b64 s[26:27], 0
                                        ; implicit-def: $vgpr4
	s_mov_b64 s[0:1], s[14:15]
.LBB528_520:
	s_andn2_b64 s[22:23], s[14:15], exec
	s_and_b64 s[0:1], s[0:1], exec
	s_or_b64 s[22:23], s[22:23], s[0:1]
	s_andn2_b64 s[0:1], s[16:17], exec
	s_and_b64 s[20:21], s[20:21], exec
	s_or_b64 s[20:21], s[0:1], s[20:21]
	s_orn2_b64 s[0:1], s[26:27], exec
.LBB528_521:
	s_or_b64 exec, exec, s[24:25]
	s_mov_b64 s[26:27], 0
	s_mov_b64 s[28:29], 0
	;; [unrolled: 1-line block ×3, first 2 shown]
                                        ; implicit-def: $vgpr0_vgpr1
                                        ; implicit-def: $vgpr3
	s_and_saveexec_b64 s[24:25], s[0:1]
	s_cbranch_execz .LBB528_870
; %bb.522:
	v_cmp_gt_i32_e32 vcc, s40, v4
	s_mov_b64 s[36:37], -1
	s_mov_b64 s[0:1], s[20:21]
	s_mov_b64 s[30:31], s[22:23]
	s_and_saveexec_b64 s[26:27], vcc
	s_cbranch_execz .LBB528_784
; %bb.523:
	v_mul_lo_u32 v0, v4, s9
	v_ashrrev_i32_e32 v1, 31, v0
	s_and_b32 s36, 0xffff, s45
	s_cmp_lt_i32 s36, 11
	v_lshl_add_u64 v[0:1], s[6:7], 0, v[0:1]
	s_cbranch_scc1 .LBB528_530
; %bb.524:
	s_cmp_gt_i32 s36, 25
	s_cbranch_scc0 .LBB528_531
; %bb.525:
	s_cmp_gt_i32 s36, 28
	s_cbranch_scc0 .LBB528_532
	;; [unrolled: 3-line block ×4, first 2 shown]
; %bb.528:
	s_cmp_eq_u32 s36, 46
	s_mov_b64 s[30:31], 0
	s_cbranch_scc0 .LBB528_539
; %bb.529:
	global_load_dword v2, v[0:1], off
	s_mov_b64 s[0:1], -1
	s_waitcnt vmcnt(0)
	v_lshlrev_b32_e32 v2, 16, v2
	v_cvt_f16_f32_e32 v3, v2
	s_branch .LBB528_540
.LBB528_530:
	s_mov_b64 s[30:31], -1
	s_mov_b64 s[0:1], 0
                                        ; implicit-def: $vgpr3
	s_mov_b64 s[28:29], s[20:21]
	s_branch .LBB528_605
.LBB528_531:
	s_mov_b64 s[30:31], -1
	s_mov_b64 s[0:1], 0
	s_mov_b64 s[28:29], s[20:21]
                                        ; implicit-def: $vgpr3
	s_branch .LBB528_569
.LBB528_532:
	s_mov_b64 s[30:31], -1
	s_mov_b64 s[0:1], 0
	s_mov_b64 s[28:29], s[20:21]
                                        ; implicit-def: $vgpr3
	s_branch .LBB528_550
.LBB528_533:
	s_mov_b64 s[30:31], -1
	s_mov_b64 s[0:1], 0
	s_mov_b64 s[28:29], s[20:21]
                                        ; implicit-def: $vgpr3
	s_branch .LBB528_545
.LBB528_534:
	s_andn2_saveexec_b64 s[28:29], s[28:29]
	s_cbranch_execz .LBB528_319
.LBB528_535:
	s_mov_b32 s34, 0x46000000
	v_add_f32_e64 v5, |v3|, s34
	v_and_b32_e32 v5, 0xff, v5
	v_cmp_ne_u32_e32 vcc, 0, v5
	s_andn2_b64 s[26:27], s[26:27], exec
	s_and_b64 s[34:35], vcc, exec
	s_or_b64 s[26:27], s[26:27], s[34:35]
	s_or_b64 exec, exec, s[28:29]
	v_mov_b32_e32 v6, 0
	s_and_saveexec_b64 s[28:29], s[26:27]
	s_cbranch_execnz .LBB528_320
	s_branch .LBB528_321
.LBB528_536:
	s_mov_b64 s[30:31], -1
	s_mov_b64 s[0:1], 0
	s_mov_b64 s[28:29], s[20:21]
                                        ; implicit-def: $vgpr3
	s_branch .LBB528_540
.LBB528_537:
	s_andn2_saveexec_b64 s[28:29], s[28:29]
	s_cbranch_execz .LBB528_332
.LBB528_538:
	s_mov_b32 s34, 0x42800000
	v_add_f32_e64 v5, |v3|, s34
	v_and_b32_e32 v5, 0xff, v5
	v_cmp_ne_u32_e32 vcc, 0, v5
	s_andn2_b64 s[26:27], s[26:27], exec
	s_and_b64 s[34:35], vcc, exec
	s_or_b64 s[26:27], s[26:27], s[34:35]
	s_or_b64 exec, exec, s[28:29]
	v_mov_b32_e32 v6, 0
	s_and_saveexec_b64 s[28:29], s[26:27]
	s_cbranch_execnz .LBB528_333
	s_branch .LBB528_334
.LBB528_539:
	s_mov_b64 s[28:29], -1
                                        ; implicit-def: $vgpr3
	s_mov_b64 s[0:1], 0
.LBB528_540:
	s_and_b64 vcc, exec, s[30:31]
	s_cbranch_vccz .LBB528_544
; %bb.541:
	s_cmp_eq_u32 s36, 44
	s_cbranch_scc0 .LBB528_543
; %bb.542:
	global_load_ubyte v2, v[0:1], off
	s_movk_i32 s28, 0xff
	v_mov_b32_e32 v5, 0x7e00
	s_mov_b64 s[0:1], -1
	s_waitcnt vmcnt(0)
	v_lshlrev_b32_e32 v3, 23, v2
	v_cvt_f16_f32_e32 v3, v3
	v_cmp_ne_u32_e32 vcc, s28, v2
	s_mov_b64 s[28:29], 0
	s_nop 0
	v_cndmask_b32_e32 v3, v5, v3, vcc
	v_cmp_ne_u32_e32 vcc, 0, v2
	s_nop 1
	v_cndmask_b32_e32 v3, 0, v3, vcc
	s_branch .LBB528_544
.LBB528_543:
	s_mov_b64 s[28:29], -1
                                        ; implicit-def: $vgpr3
.LBB528_544:
	s_mov_b64 s[30:31], 0
.LBB528_545:
	s_and_b64 vcc, exec, s[30:31]
	s_cbranch_vccz .LBB528_549
; %bb.546:
	s_cmp_eq_u32 s36, 29
	s_cbranch_scc0 .LBB528_548
; %bb.547:
	global_load_dwordx2 v[2:3], v[0:1], off
	s_mov_b64 s[0:1], -1
	s_mov_b64 s[28:29], 0
	s_mov_b64 s[30:31], 0
	s_waitcnt vmcnt(0)
	v_ffbh_u32_e32 v5, v3
	v_min_u32_e32 v5, 32, v5
	v_lshlrev_b64 v[2:3], v5, v[2:3]
	v_min_u32_e32 v2, 1, v2
	v_or_b32_e32 v2, v3, v2
	v_cvt_f32_u32_e32 v2, v2
	v_sub_u32_e32 v3, 32, v5
	v_ldexp_f32 v2, v2, v3
	v_cvt_f16_f32_e32 v3, v2
	s_branch .LBB528_550
.LBB528_548:
	s_mov_b64 s[28:29], -1
                                        ; implicit-def: $vgpr3
.LBB528_549:
	s_mov_b64 s[30:31], 0
.LBB528_550:
	s_and_b64 vcc, exec, s[30:31]
	s_cbranch_vccz .LBB528_568
; %bb.551:
	s_cmp_lt_i32 s36, 27
	s_cbranch_scc1 .LBB528_554
; %bb.552:
	s_cmp_gt_i32 s36, 27
	s_cbranch_scc0 .LBB528_555
; %bb.553:
	global_load_dword v2, v[0:1], off
	s_mov_b64 s[0:1], 0
	s_waitcnt vmcnt(0)
	v_cvt_f32_u32_e32 v2, v2
	v_cvt_f16_f32_e32 v3, v2
	s_branch .LBB528_556
.LBB528_554:
	s_mov_b64 s[0:1], -1
                                        ; implicit-def: $vgpr3
	s_branch .LBB528_559
.LBB528_555:
	s_mov_b64 s[0:1], -1
                                        ; implicit-def: $vgpr3
.LBB528_556:
	s_andn2_b64 vcc, exec, s[0:1]
	s_cbranch_vccnz .LBB528_558
; %bb.557:
	global_load_ushort v2, v[0:1], off
	s_waitcnt vmcnt(0)
	v_cvt_f16_u16_e32 v3, v2
.LBB528_558:
	s_mov_b64 s[0:1], 0
.LBB528_559:
	s_andn2_b64 vcc, exec, s[0:1]
	s_cbranch_vccnz .LBB528_567
; %bb.560:
	global_load_ubyte v2, v[0:1], off
	s_movk_i32 s0, 0x7f
	s_waitcnt vmcnt(0)
	v_cmp_lt_i16_e32 vcc, s0, v2
	s_mov_b64 s[0:1], 0
	s_and_saveexec_b64 s[30:31], vcc
	s_xor_b64 s[30:31], exec, s[30:31]
	s_cbranch_execz .LBB528_581
; %bb.561:
	s_movk_i32 s0, 0x80
	v_cmp_eq_u16_e32 vcc, s0, v2
	s_mov_b64 s[0:1], -1
	s_and_saveexec_b64 s[34:35], vcc
; %bb.562:
	s_xor_b64 s[0:1], exec, -1
; %bb.563:
	s_or_b64 exec, exec, s[34:35]
	s_and_b64 s[0:1], s[0:1], exec
	s_or_saveexec_b64 s[30:31], s[30:31]
	v_mov_b32_e32 v3, 0x7e00
	s_xor_b64 exec, exec, s[30:31]
	s_cbranch_execnz .LBB528_582
.LBB528_564:
	s_or_b64 exec, exec, s[30:31]
	s_and_saveexec_b64 s[30:31], s[0:1]
	s_cbranch_execz .LBB528_566
.LBB528_565:
	v_lshlrev_b32_e32 v3, 24, v2
	v_and_b32_e32 v2, 0xffff, v2
	v_and_b32_e32 v5, 7, v2
	v_ffbh_u32_e32 v7, v5
	v_min_u32_e32 v7, 32, v7
	v_subrev_u32_e32 v8, 28, v7
	v_bfe_u32 v6, v2, 3, 4
	v_lshlrev_b32_e32 v2, v8, v2
	v_sub_u32_e32 v7, 29, v7
	v_and_b32_e32 v2, 7, v2
	v_cmp_eq_u32_e32 vcc, 0, v6
	v_and_b32_e32 v3, 0x80000000, v3
	s_nop 0
	v_cndmask_b32_e32 v6, v6, v7, vcc
	v_cndmask_b32_e32 v2, v5, v2, vcc
	v_mov_b32_e32 v5, 0x3b800000
	v_lshlrev_b32_e32 v2, 20, v2
	v_lshl_add_u32 v5, v6, 23, v5
	v_or3_b32 v2, v3, v5, v2
	v_cvt_f16_f32_e32 v3, v2
.LBB528_566:
	s_or_b64 exec, exec, s[30:31]
.LBB528_567:
	s_mov_b64 s[0:1], -1
.LBB528_568:
	s_mov_b64 s[30:31], 0
.LBB528_569:
	s_and_b64 vcc, exec, s[30:31]
	s_cbranch_vccz .LBB528_604
; %bb.570:
	s_cmp_gt_i32 s36, 22
	s_cbranch_scc0 .LBB528_580
; %bb.571:
	s_cmp_lt_i32 s36, 24
	s_cbranch_scc1 .LBB528_583
; %bb.572:
	s_cmp_gt_i32 s36, 24
	s_cbranch_scc0 .LBB528_584
; %bb.573:
	global_load_ubyte v2, v[0:1], off
	s_movk_i32 s0, 0x7f
	s_waitcnt vmcnt(0)
	v_cmp_lt_i16_e32 vcc, s0, v2
	s_mov_b64 s[0:1], 0
	s_and_saveexec_b64 s[30:31], vcc
	s_xor_b64 s[30:31], exec, s[30:31]
	s_cbranch_execz .LBB528_596
; %bb.574:
	s_movk_i32 s0, 0x80
	v_cmp_eq_u16_e32 vcc, s0, v2
	s_mov_b64 s[0:1], -1
	s_and_saveexec_b64 s[34:35], vcc
; %bb.575:
	s_xor_b64 s[0:1], exec, -1
; %bb.576:
	s_or_b64 exec, exec, s[34:35]
	s_and_b64 s[0:1], s[0:1], exec
	s_or_saveexec_b64 s[30:31], s[30:31]
	v_mov_b32_e32 v3, 0x7e00
	s_xor_b64 exec, exec, s[30:31]
	s_cbranch_execnz .LBB528_597
.LBB528_577:
	s_or_b64 exec, exec, s[30:31]
	s_and_saveexec_b64 s[30:31], s[0:1]
	s_cbranch_execz .LBB528_579
.LBB528_578:
	v_lshlrev_b32_e32 v3, 24, v2
	v_and_b32_e32 v2, 0xffff, v2
	v_and_b32_e32 v5, 3, v2
	v_ffbh_u32_e32 v7, v5
	v_min_u32_e32 v7, 32, v7
	v_subrev_u32_e32 v8, 29, v7
	v_bfe_u32 v6, v2, 2, 5
	v_lshlrev_b32_e32 v2, v8, v2
	v_sub_u32_e32 v7, 30, v7
	v_and_b32_e32 v2, 3, v2
	v_cmp_eq_u32_e32 vcc, 0, v6
	v_and_b32_e32 v3, 0x80000000, v3
	s_nop 0
	v_cndmask_b32_e32 v6, v6, v7, vcc
	v_cndmask_b32_e32 v2, v5, v2, vcc
	v_mov_b32_e32 v5, 0x37800000
	v_lshlrev_b32_e32 v2, 21, v2
	v_lshl_add_u32 v5, v6, 23, v5
	v_or3_b32 v2, v3, v5, v2
	v_cvt_f16_f32_e32 v3, v2
.LBB528_579:
	s_or_b64 exec, exec, s[30:31]
	s_mov_b64 s[0:1], 0
	s_branch .LBB528_585
.LBB528_580:
	s_mov_b64 s[30:31], -1
                                        ; implicit-def: $vgpr3
	s_branch .LBB528_591
.LBB528_581:
	s_or_saveexec_b64 s[30:31], s[30:31]
	v_mov_b32_e32 v3, 0x7e00
	s_xor_b64 exec, exec, s[30:31]
	s_cbranch_execz .LBB528_564
.LBB528_582:
	v_cmp_ne_u16_e32 vcc, 0, v2
	s_andn2_b64 s[0:1], s[0:1], exec
	s_and_b64 s[34:35], vcc, exec
	s_or_b64 s[0:1], s[0:1], s[34:35]
	v_mov_b32_e32 v3, v2
	s_or_b64 exec, exec, s[30:31]
	s_and_saveexec_b64 s[30:31], s[0:1]
	s_cbranch_execnz .LBB528_565
	s_branch .LBB528_566
.LBB528_583:
	s_mov_b64 s[0:1], -1
                                        ; implicit-def: $vgpr3
	s_branch .LBB528_588
.LBB528_584:
	s_mov_b64 s[0:1], -1
                                        ; implicit-def: $vgpr3
.LBB528_585:
	s_and_b64 vcc, exec, s[0:1]
	s_cbranch_vccz .LBB528_587
; %bb.586:
	global_load_ubyte v2, v[0:1], off
	s_mov_b32 s0, 0x7f800000
	s_waitcnt vmcnt(0)
	v_lshlrev_b32_e32 v2, 24, v2
	v_and_b32_e32 v3, 0x7f000000, v2
	v_ffbh_u32_e32 v5, v3
	v_min_u32_e32 v5, 32, v5
	v_sub_u32_e64 v5, v5, 4 clamp
	v_lshlrev_b32_e32 v7, v5, v3
	v_lshlrev_b32_e32 v5, 23, v5
	v_lshrrev_b32_e32 v7, 4, v7
	v_add_u32_e32 v6, 0x1000000, v3
	v_sub_u32_e32 v5, v7, v5
	v_ashrrev_i32_e32 v6, 8, v6
	v_add_u32_e32 v5, 0x3c000000, v5
	v_and_or_b32 v5, v6, s0, v5
	v_cmp_ne_u32_e32 vcc, 0, v3
	s_brev_b32 s0, 1
	s_nop 0
	v_cndmask_b32_e32 v3, 0, v5, vcc
	v_and_or_b32 v2, v2, s0, v3
	v_cvt_f16_f32_e32 v3, v2
.LBB528_587:
	s_mov_b64 s[0:1], 0
.LBB528_588:
	s_andn2_b64 vcc, exec, s[0:1]
	s_cbranch_vccnz .LBB528_590
; %bb.589:
	global_load_ubyte v2, v[0:1], off
	s_movk_i32 s0, 0x7f00
	s_brev_b32 s1, 16
	s_waitcnt vmcnt(0)
	v_lshlrev_b16_e32 v3, 8, v2
	v_lshlrev_b32_e32 v2, 25, v2
	v_lshrrev_b32_e32 v5, 4, v2
	v_and_or_b32 v6, v3, s0, 0.5
	v_or_b32_e32 v5, 0x70000000, v5
	v_add_f32_e32 v6, -0.5, v6
	v_mul_f32_e32 v5, 0x7800000, v5
	v_cmp_gt_u32_e32 vcc, s1, v2
	v_bfe_i32 v3, v3, 0, 16
	s_brev_b32 s0, 1
	v_cndmask_b32_e32 v2, v5, v6, vcc
	v_and_or_b32 v2, v3, s0, v2
	v_cvt_f16_f32_e32 v3, v2
.LBB528_590:
	s_mov_b64 s[30:31], 0
	s_mov_b64 s[0:1], -1
.LBB528_591:
	s_andn2_b64 vcc, exec, s[30:31]
	s_cbranch_vccnz .LBB528_604
; %bb.592:
	s_cmp_gt_i32 s36, 14
	s_cbranch_scc0 .LBB528_595
; %bb.593:
	s_cmp_eq_u32 s36, 15
	s_cbranch_scc0 .LBB528_598
; %bb.594:
	global_load_ushort v2, v[0:1], off
	s_mov_b64 s[0:1], -1
	s_mov_b64 s[28:29], 0
	s_waitcnt vmcnt(0)
	v_lshlrev_b32_e32 v2, 16, v2
	v_cvt_f16_f32_e32 v3, v2
	s_branch .LBB528_599
.LBB528_595:
	s_mov_b64 s[30:31], -1
                                        ; implicit-def: $vgpr3
	s_branch .LBB528_600
.LBB528_596:
	s_or_saveexec_b64 s[30:31], s[30:31]
	v_mov_b32_e32 v3, 0x7e00
	s_xor_b64 exec, exec, s[30:31]
	s_cbranch_execz .LBB528_577
.LBB528_597:
	v_cmp_ne_u16_e32 vcc, 0, v2
	s_andn2_b64 s[0:1], s[0:1], exec
	s_and_b64 s[34:35], vcc, exec
	s_or_b64 s[0:1], s[0:1], s[34:35]
	v_mov_b32_e32 v3, v2
	s_or_b64 exec, exec, s[30:31]
	s_and_saveexec_b64 s[30:31], s[0:1]
	s_cbranch_execnz .LBB528_578
	s_branch .LBB528_579
.LBB528_598:
	s_mov_b64 s[28:29], -1
                                        ; implicit-def: $vgpr3
.LBB528_599:
	s_mov_b64 s[30:31], 0
.LBB528_600:
	s_and_b64 vcc, exec, s[30:31]
	s_cbranch_vccz .LBB528_604
; %bb.601:
	s_cmp_eq_u32 s36, 11
	s_cbranch_scc0 .LBB528_603
; %bb.602:
	global_load_ubyte v2, v[0:1], off
	s_waitcnt vmcnt(1)
	v_mov_b32_e32 v3, 0x3c00
	s_mov_b64 s[0:1], -1
	s_mov_b64 s[28:29], 0
	s_waitcnt vmcnt(0)
	v_cmp_ne_u16_e32 vcc, 0, v2
	s_nop 1
	v_cndmask_b32_e32 v3, 0, v3, vcc
	s_branch .LBB528_604
.LBB528_603:
	s_mov_b64 s[28:29], -1
                                        ; implicit-def: $vgpr3
.LBB528_604:
	s_mov_b64 s[30:31], 0
.LBB528_605:
	s_and_b64 vcc, exec, s[30:31]
	s_cbranch_vccz .LBB528_654
; %bb.606:
	s_cmp_lt_i32 s36, 5
	s_cbranch_scc1 .LBB528_611
; %bb.607:
	s_cmp_lt_i32 s36, 8
	s_cbranch_scc1 .LBB528_612
	;; [unrolled: 3-line block ×3, first 2 shown]
; %bb.609:
	s_cmp_gt_i32 s36, 9
	s_cbranch_scc0 .LBB528_614
; %bb.610:
	global_load_dwordx2 v[2:3], v[0:1], off
	s_movk_i32 s0, 0x1ff
	s_movk_i32 s1, 0xffe
	v_mov_b32_e32 v5, 0x7c00
	v_mov_b32_e32 v6, 0x7e00
	s_movk_i32 s30, 0x40f
	s_mov_b32 s31, 0x8000
	s_waitcnt vmcnt(0)
	v_and_or_b32 v2, v3, s0, v2
	v_cmp_ne_u32_e32 vcc, 0, v2
	v_lshrrev_b32_e32 v7, 8, v3
	v_bfe_u32 v8, v3, 20, 11
	v_cndmask_b32_e64 v2, 0, 1, vcc
	v_sub_u32_e32 v9, 0x3f1, v8
	v_and_or_b32 v2, v7, s1, v2
	v_add_u32_e32 v8, 0xfffffc10, v8
	v_med3_i32 v7, v9, 0, 13
	v_or_b32_e32 v9, 0x1000, v2
	v_cmp_ne_u32_e32 vcc, 0, v2
	v_lshl_or_b32 v10, v8, 12, v2
	v_lshrrev_b32_e32 v3, 16, v3
	v_cndmask_b32_e32 v2, v5, v6, vcc
	v_lshrrev_b32_e32 v6, v7, v9
	v_lshlrev_b32_e32 v7, v7, v6
	v_cmp_ne_u32_e32 vcc, v7, v9
	s_mov_b64 s[0:1], 0
	s_nop 0
	v_cndmask_b32_e64 v7, 0, 1, vcc
	v_or_b32_e32 v6, v6, v7
	v_cmp_gt_i32_e32 vcc, 1, v8
	s_nop 1
	v_cndmask_b32_e32 v6, v10, v6, vcc
	v_and_b32_e32 v7, 7, v6
	v_cmp_lt_i32_e32 vcc, 5, v7
	v_lshrrev_b32_e32 v6, 2, v6
	s_nop 0
	v_cndmask_b32_e64 v9, 0, 1, vcc
	v_cmp_eq_u32_e32 vcc, 3, v7
	s_nop 1
	v_cndmask_b32_e64 v7, 0, 1, vcc
	v_or_b32_e32 v7, v7, v9
	v_add_u32_e32 v6, v6, v7
	v_cmp_gt_i32_e32 vcc, 31, v8
	s_nop 1
	v_cndmask_b32_e32 v5, v5, v6, vcc
	v_cmp_eq_u32_e32 vcc, s30, v8
	s_nop 1
	v_cndmask_b32_e32 v2, v5, v2, vcc
	v_and_or_b32 v3, v3, s31, v2
	s_branch .LBB528_615
.LBB528_611:
	s_mov_b64 s[0:1], -1
                                        ; implicit-def: $vgpr3
	s_branch .LBB528_633
.LBB528_612:
	s_mov_b64 s[0:1], -1
                                        ; implicit-def: $vgpr3
	s_branch .LBB528_621
.LBB528_613:
	s_mov_b64 s[0:1], -1
                                        ; implicit-def: $vgpr3
	s_branch .LBB528_618
.LBB528_614:
	s_mov_b64 s[0:1], -1
                                        ; implicit-def: $vgpr3
.LBB528_615:
	s_andn2_b64 vcc, exec, s[0:1]
	s_cbranch_vccnz .LBB528_617
; %bb.616:
	global_load_dword v2, v[0:1], off
	s_waitcnt vmcnt(0)
	v_cvt_f16_f32_e32 v3, v2
.LBB528_617:
	s_mov_b64 s[0:1], 0
.LBB528_618:
	s_andn2_b64 vcc, exec, s[0:1]
	s_cbranch_vccnz .LBB528_620
; %bb.619:
	global_load_dword v3, v[0:1], off
.LBB528_620:
	s_mov_b64 s[0:1], 0
.LBB528_621:
	s_andn2_b64 vcc, exec, s[0:1]
	s_cbranch_vccnz .LBB528_632
; %bb.622:
	s_cmp_lt_i32 s36, 6
	s_cbranch_scc1 .LBB528_625
; %bb.623:
	s_cmp_gt_i32 s36, 6
	s_cbranch_scc0 .LBB528_626
; %bb.624:
	global_load_dwordx2 v[2:3], v[0:1], off
	s_movk_i32 s0, 0x1ff
	s_movk_i32 s1, 0xffe
	v_mov_b32_e32 v5, 0x7c00
	v_mov_b32_e32 v6, 0x7e00
	s_movk_i32 s30, 0x40f
	s_mov_b32 s31, 0x8000
	s_waitcnt vmcnt(0)
	v_and_or_b32 v2, v3, s0, v2
	v_cmp_ne_u32_e32 vcc, 0, v2
	v_lshrrev_b32_e32 v7, 8, v3
	v_bfe_u32 v8, v3, 20, 11
	v_cndmask_b32_e64 v2, 0, 1, vcc
	v_sub_u32_e32 v9, 0x3f1, v8
	v_and_or_b32 v2, v7, s1, v2
	v_add_u32_e32 v8, 0xfffffc10, v8
	v_med3_i32 v7, v9, 0, 13
	v_or_b32_e32 v9, 0x1000, v2
	v_cmp_ne_u32_e32 vcc, 0, v2
	v_lshl_or_b32 v10, v8, 12, v2
	v_lshrrev_b32_e32 v3, 16, v3
	v_cndmask_b32_e32 v2, v5, v6, vcc
	v_lshrrev_b32_e32 v6, v7, v9
	v_lshlrev_b32_e32 v7, v7, v6
	v_cmp_ne_u32_e32 vcc, v7, v9
	s_mov_b64 s[0:1], 0
	s_nop 0
	v_cndmask_b32_e64 v7, 0, 1, vcc
	v_or_b32_e32 v6, v6, v7
	v_cmp_gt_i32_e32 vcc, 1, v8
	s_nop 1
	v_cndmask_b32_e32 v6, v10, v6, vcc
	v_and_b32_e32 v7, 7, v6
	v_cmp_lt_i32_e32 vcc, 5, v7
	v_lshrrev_b32_e32 v6, 2, v6
	s_nop 0
	v_cndmask_b32_e64 v9, 0, 1, vcc
	v_cmp_eq_u32_e32 vcc, 3, v7
	s_nop 1
	v_cndmask_b32_e64 v7, 0, 1, vcc
	v_or_b32_e32 v7, v7, v9
	v_add_u32_e32 v6, v6, v7
	v_cmp_gt_i32_e32 vcc, 31, v8
	s_nop 1
	v_cndmask_b32_e32 v5, v5, v6, vcc
	v_cmp_eq_u32_e32 vcc, s30, v8
	s_nop 1
	v_cndmask_b32_e32 v2, v5, v2, vcc
	v_and_or_b32 v3, v3, s31, v2
	s_branch .LBB528_627
.LBB528_625:
	s_mov_b64 s[0:1], -1
                                        ; implicit-def: $vgpr3
	s_branch .LBB528_630
.LBB528_626:
	s_mov_b64 s[0:1], -1
                                        ; implicit-def: $vgpr3
.LBB528_627:
	s_andn2_b64 vcc, exec, s[0:1]
	s_cbranch_vccnz .LBB528_629
; %bb.628:
	global_load_dword v2, v[0:1], off
	s_waitcnt vmcnt(0)
	v_cvt_f16_f32_e32 v3, v2
.LBB528_629:
	s_mov_b64 s[0:1], 0
.LBB528_630:
	s_andn2_b64 vcc, exec, s[0:1]
	s_cbranch_vccnz .LBB528_632
; %bb.631:
	global_load_ushort v3, v[0:1], off
.LBB528_632:
	s_mov_b64 s[0:1], 0
.LBB528_633:
	s_andn2_b64 vcc, exec, s[0:1]
	s_cbranch_vccnz .LBB528_653
; %bb.634:
	s_cmp_lt_i32 s36, 2
	s_cbranch_scc1 .LBB528_638
; %bb.635:
	s_cmp_lt_i32 s36, 3
	s_cbranch_scc1 .LBB528_639
; %bb.636:
	s_cmp_gt_i32 s36, 3
	s_cbranch_scc0 .LBB528_640
; %bb.637:
	global_load_dwordx2 v[2:3], v[0:1], off
	s_mov_b64 s[0:1], 0
	s_waitcnt vmcnt(0)
	v_xor_b32_e32 v6, v2, v3
	v_ffbh_i32_e32 v5, v3
	v_ashrrev_i32_e32 v6, 31, v6
	v_add_u32_e32 v5, -1, v5
	v_add_u32_e32 v6, 32, v6
	v_min_u32_e32 v5, v5, v6
	v_lshlrev_b64 v[2:3], v5, v[2:3]
	v_min_u32_e32 v2, 1, v2
	v_or_b32_e32 v2, v3, v2
	v_cvt_f32_i32_e32 v2, v2
	v_sub_u32_e32 v3, 32, v5
	v_ldexp_f32 v2, v2, v3
	v_cvt_f16_f32_e32 v3, v2
	s_branch .LBB528_641
.LBB528_638:
	s_mov_b64 s[0:1], -1
                                        ; implicit-def: $vgpr3
	s_branch .LBB528_647
.LBB528_639:
	s_mov_b64 s[0:1], -1
                                        ; implicit-def: $vgpr3
	s_branch .LBB528_644
.LBB528_640:
	s_mov_b64 s[0:1], -1
                                        ; implicit-def: $vgpr3
.LBB528_641:
	s_andn2_b64 vcc, exec, s[0:1]
	s_cbranch_vccnz .LBB528_643
; %bb.642:
	global_load_dword v2, v[0:1], off
	s_waitcnt vmcnt(0)
	v_cvt_f32_i32_e32 v2, v2
	v_cvt_f16_f32_e32 v3, v2
.LBB528_643:
	s_mov_b64 s[0:1], 0
.LBB528_644:
	s_andn2_b64 vcc, exec, s[0:1]
	s_cbranch_vccnz .LBB528_646
; %bb.645:
	global_load_ushort v2, v[0:1], off
	s_waitcnt vmcnt(0)
	v_cvt_f16_i16_e32 v3, v2
.LBB528_646:
	s_mov_b64 s[0:1], 0
.LBB528_647:
	s_andn2_b64 vcc, exec, s[0:1]
	s_cbranch_vccnz .LBB528_653
; %bb.648:
	s_cmp_gt_i32 s36, 0
	s_cbranch_scc0 .LBB528_650
; %bb.649:
	global_load_sbyte v2, v[0:1], off
	s_mov_b64 s[0:1], 0
	s_waitcnt vmcnt(0)
	v_cvt_f16_i16_e32 v3, v2
	s_branch .LBB528_651
.LBB528_650:
	s_mov_b64 s[0:1], -1
                                        ; implicit-def: $vgpr3
.LBB528_651:
	s_andn2_b64 vcc, exec, s[0:1]
	s_cbranch_vccnz .LBB528_653
; %bb.652:
	global_load_ubyte v0, v[0:1], off
	s_waitcnt vmcnt(0)
	v_cvt_f16_u16_e32 v3, v0
.LBB528_653:
	s_mov_b64 s[0:1], -1
.LBB528_654:
	s_andn2_b64 vcc, exec, s[0:1]
	s_cbranch_vccnz .LBB528_666
; %bb.655:
	s_waitcnt vmcnt(0)
	v_cmp_o_f16_e32 vcc, v3, v3
	v_mov_b32_e32 v2, s10
	s_and_saveexec_b64 s[0:1], vcc
	s_cbranch_execz .LBB528_659
; %bb.656:
	s_movk_i32 s30, 0x7c00
	v_cmp_neq_f16_e32 vcc, s30, v3
	v_mov_b32_e32 v2, s44
	s_and_saveexec_b64 s[30:31], vcc
; %bb.657:
	s_mov_b32 s34, 0xfc00
	v_mov_b32_e32 v0, s11
	v_cmp_eq_f16_e32 vcc, s34, v3
	s_nop 1
	v_cndmask_b32_e32 v2, v3, v0, vcc
; %bb.658:
	s_or_b64 exec, exec, s[30:31]
.LBB528_659:
	s_or_b64 exec, exec, s[0:1]
	v_mul_lo_u32 v0, v4, s8
	v_ashrrev_i32_e32 v1, 31, v0
	s_and_b32 s38, s33, 0xff
	s_cmp_lt_i32 s38, 11
	v_lshl_add_u64 v[0:1], s[4:5], 0, v[0:1]
	s_cbranch_scc1 .LBB528_667
; %bb.660:
	s_and_b32 s39, 0xffff, s38
	s_cmp_gt_i32 s39, 25
	s_cbranch_scc0 .LBB528_668
; %bb.661:
	s_cmp_gt_i32 s39, 28
	s_cbranch_scc0 .LBB528_669
; %bb.662:
	;; [unrolled: 3-line block ×4, first 2 shown]
	s_mov_b64 s[34:35], 0
	s_mov_b64 s[0:1], -1
	s_cmp_eq_u32 s39, 46
	s_mov_b64 s[30:31], 0
	s_cbranch_scc0 .LBB528_672
; %bb.665:
	v_cvt_f32_f16_e32 v3, v2
	s_movk_i32 s0, 0x7fff
	v_cmp_o_f16_e32 vcc, v2, v2
	v_mov_b32_e32 v5, 0x7fc0
	v_bfe_u32 v6, v3, 16, 1
	v_add3_u32 v3, v3, v6, s0
	v_cndmask_b32_sdwa v3, v5, v3, vcc dst_sel:DWORD dst_unused:UNUSED_PAD src0_sel:DWORD src1_sel:WORD_1
	global_store_dword v[0:1], v3, off
	s_mov_b64 s[30:31], -1
	s_mov_b64 s[0:1], 0
	s_branch .LBB528_672
.LBB528_666:
	s_mov_b64 s[34:35], 0
                                        ; implicit-def: $vgpr4
	s_mov_b64 s[0:1], s[22:23]
	s_branch .LBB528_783
.LBB528_667:
	s_mov_b64 s[34:35], -1
	s_mov_b64 s[30:31], 0
	s_mov_b64 s[0:1], s[22:23]
	s_branch .LBB528_741
.LBB528_668:
	s_mov_b64 s[34:35], -1
	s_mov_b64 s[30:31], 0
	s_mov_b64 s[0:1], s[22:23]
	s_branch .LBB528_699
.LBB528_669:
	s_mov_b64 s[34:35], -1
	s_mov_b64 s[30:31], 0
	s_mov_b64 s[0:1], s[22:23]
	s_branch .LBB528_682
.LBB528_670:
	s_mov_b64 s[34:35], -1
	s_mov_b64 s[30:31], 0
	s_mov_b64 s[0:1], s[22:23]
	s_branch .LBB528_678
.LBB528_671:
	s_mov_b64 s[34:35], -1
	s_mov_b64 s[30:31], 0
	s_mov_b64 s[0:1], s[22:23]
.LBB528_672:
	s_and_b64 vcc, exec, s[34:35]
	s_cbranch_vccz .LBB528_677
; %bb.673:
	s_cmp_eq_u32 s39, 44
	s_mov_b64 s[0:1], -1
	s_cbranch_scc0 .LBB528_677
; %bb.674:
	v_cvt_f32_f16_e32 v3, v2
	s_movk_i32 s0, 0xff
	v_mov_b32_e32 v6, 0xff
	v_bfe_u32 v5, v3, 23, 8
	v_cmp_ne_u32_e32 vcc, s0, v5
	s_and_saveexec_b64 s[30:31], vcc
; %bb.675:
	s_mov_b32 s0, 0x3fffff
	v_lshrrev_b32_e32 v6, 23, v3
	v_and_b32_e32 v7, 0x400000, v3
	v_and_or_b32 v3, v3, s0, v5
	v_cmp_ne_u32_e32 vcc, 0, v7
	v_cmp_ne_u32_e64 s[0:1], 0, v3
	s_and_b64 s[0:1], vcc, s[0:1]
	s_nop 0
	v_cndmask_b32_e64 v3, 0, 1, s[0:1]
	v_add_u32_e32 v6, v6, v3
; %bb.676:
	s_or_b64 exec, exec, s[30:31]
	s_mov_b64 s[30:31], -1
	s_mov_b64 s[0:1], 0
	global_store_byte v[0:1], v6, off
.LBB528_677:
	s_mov_b64 s[34:35], 0
.LBB528_678:
	s_and_b64 vcc, exec, s[34:35]
	s_cbranch_vccz .LBB528_681
; %bb.679:
	s_cmp_eq_u32 s39, 29
	s_mov_b64 s[0:1], -1
	s_cbranch_scc0 .LBB528_681
; %bb.680:
	v_cvt_f32_f16_e32 v3, v2
	v_mov_b32_e32 v7, 0
	s_mov_b64 s[30:31], -1
	s_mov_b64 s[0:1], 0
	v_cvt_u32_f32_e32 v6, v3
	s_mov_b64 s[34:35], 0
	global_store_dwordx2 v[0:1], v[6:7], off
	s_branch .LBB528_682
.LBB528_681:
	s_mov_b64 s[34:35], 0
.LBB528_682:
	s_and_b64 vcc, exec, s[34:35]
	s_cbranch_vccz .LBB528_698
; %bb.683:
	s_cmp_lt_i32 s39, 27
	s_mov_b64 s[30:31], -1
	s_cbranch_scc1 .LBB528_689
; %bb.684:
	s_cmp_gt_i32 s39, 27
	s_cbranch_scc0 .LBB528_686
; %bb.685:
	v_cvt_f32_f16_e32 v3, v2
	s_mov_b64 s[30:31], 0
	v_cvt_u32_f32_e32 v3, v3
	global_store_dword v[0:1], v3, off
.LBB528_686:
	s_andn2_b64 vcc, exec, s[30:31]
	s_cbranch_vccnz .LBB528_688
; %bb.687:
	v_cvt_u16_f16_e32 v3, v2
	global_store_short v[0:1], v3, off
.LBB528_688:
	s_mov_b64 s[30:31], 0
.LBB528_689:
	s_andn2_b64 vcc, exec, s[30:31]
	s_cbranch_vccnz .LBB528_697
; %bb.690:
	v_cvt_f32_f16_e32 v3, v2
	s_mov_b32 s30, 0x43800000
	v_mov_b32_e32 v6, 0x80
	v_and_b32_e32 v5, 0x7fffffff, v3
	v_cmp_gt_u32_e32 vcc, s30, v5
	s_and_saveexec_b64 s[30:31], vcc
	s_cbranch_execz .LBB528_696
; %bb.691:
	s_mov_b32 s34, 0x3bffffff
	v_cmp_lt_u32_e32 vcc, s34, v5
	s_mov_b64 s[34:35], 0
                                        ; implicit-def: $vgpr5
	s_and_saveexec_b64 s[36:37], vcc
	s_xor_b64 s[36:37], exec, s[36:37]
	s_cbranch_execz .LBB528_797
; %bb.692:
	v_bfe_u32 v5, v3, 20, 1
	s_mov_b32 s41, 0x487ffff
	v_add3_u32 v5, v3, v5, s41
	s_mov_b64 s[34:35], exec
	v_lshrrev_b32_e32 v5, 20, v5
	s_andn2_saveexec_b64 s[36:37], s[36:37]
	s_cbranch_execnz .LBB528_798
.LBB528_693:
	s_or_b64 exec, exec, s[36:37]
	v_mov_b32_e32 v6, 0
	s_and_saveexec_b64 s[36:37], s[34:35]
.LBB528_694:
	v_lshrrev_b32_e32 v3, 24, v3
	s_movk_i32 s34, 0x80
	v_and_or_b32 v6, v3, s34, v5
.LBB528_695:
	s_or_b64 exec, exec, s[36:37]
.LBB528_696:
	s_or_b64 exec, exec, s[30:31]
	global_store_byte v[0:1], v6, off
.LBB528_697:
	s_mov_b64 s[30:31], -1
.LBB528_698:
	s_mov_b64 s[34:35], 0
.LBB528_699:
	s_and_b64 vcc, exec, s[34:35]
	s_cbranch_vccz .LBB528_740
; %bb.700:
	s_cmp_gt_i32 s39, 22
	s_mov_b64 s[34:35], -1
	s_cbranch_scc0 .LBB528_732
; %bb.701:
	s_cmp_lt_i32 s39, 24
	s_mov_b64 s[30:31], -1
	s_cbranch_scc1 .LBB528_721
; %bb.702:
	s_cmp_gt_i32 s39, 24
	s_cbranch_scc0 .LBB528_710
; %bb.703:
	v_cvt_f32_f16_e32 v3, v2
	s_mov_b32 s30, 0x47800000
	v_mov_b32_e32 v6, 0x80
	v_and_b32_e32 v5, 0x7fffffff, v3
	v_cmp_gt_u32_e32 vcc, s30, v5
	s_and_saveexec_b64 s[30:31], vcc
	s_cbranch_execz .LBB528_709
; %bb.704:
	s_mov_b32 s34, 0x37ffffff
	v_cmp_lt_u32_e32 vcc, s34, v5
	s_mov_b64 s[34:35], 0
                                        ; implicit-def: $vgpr5
	s_and_saveexec_b64 s[36:37], vcc
	s_xor_b64 s[36:37], exec, s[36:37]
	s_cbranch_execz .LBB528_800
; %bb.705:
	v_bfe_u32 v5, v3, 21, 1
	s_mov_b32 s41, 0x88fffff
	v_add3_u32 v5, v3, v5, s41
	s_mov_b64 s[34:35], exec
	v_lshrrev_b32_e32 v5, 21, v5
	s_andn2_saveexec_b64 s[36:37], s[36:37]
	s_cbranch_execnz .LBB528_801
.LBB528_706:
	s_or_b64 exec, exec, s[36:37]
	v_mov_b32_e32 v6, 0
	s_and_saveexec_b64 s[36:37], s[34:35]
.LBB528_707:
	v_lshrrev_b32_e32 v3, 24, v3
	s_movk_i32 s34, 0x80
	v_and_or_b32 v6, v3, s34, v5
.LBB528_708:
	s_or_b64 exec, exec, s[36:37]
.LBB528_709:
	s_or_b64 exec, exec, s[30:31]
	s_mov_b64 s[30:31], 0
	global_store_byte v[0:1], v6, off
.LBB528_710:
	s_and_b64 vcc, exec, s[30:31]
	s_cbranch_vccz .LBB528_720
; %bb.711:
	v_cvt_f32_f16_e32 v3, v2
	s_mov_b32 s30, 0x43f00000
                                        ; implicit-def: $vgpr5
	v_and_b32_e32 v6, 0x7fffffff, v3
	v_cmp_gt_u32_e32 vcc, s30, v6
	s_and_saveexec_b64 s[30:31], vcc
	s_xor_b64 s[30:31], exec, s[30:31]
	s_cbranch_execz .LBB528_717
; %bb.712:
	s_mov_b32 s34, 0x3c7fffff
	v_cmp_lt_u32_e32 vcc, s34, v6
                                        ; implicit-def: $vgpr5
	s_and_saveexec_b64 s[34:35], vcc
	s_xor_b64 s[34:35], exec, s[34:35]
; %bb.713:
	v_bfe_u32 v5, v3, 20, 1
	s_mov_b32 s36, 0x407ffff
	v_add3_u32 v5, v3, v5, s36
	v_lshrrev_b32_e32 v6, 20, v5
	v_and_b32_e32 v5, 0xff00000, v5
	s_mov_b32 s36, 0x7f00000
	v_mov_b32_e32 v7, 0x7e
	v_cmp_ne_u32_e32 vcc, s36, v5
	s_nop 1
	v_cndmask_b32_e32 v5, v7, v6, vcc
; %bb.714:
	s_andn2_saveexec_b64 s[34:35], s[34:35]
; %bb.715:
	s_mov_b32 s36, 0x46800000
	v_add_f32_e64 v5, |v3|, s36
; %bb.716:
	s_or_b64 exec, exec, s[34:35]
                                        ; implicit-def: $vgpr6
.LBB528_717:
	s_andn2_saveexec_b64 s[30:31], s[30:31]
; %bb.718:
	s_mov_b32 s34, 0x7f800000
	v_mov_b32_e32 v5, 0x7e
	v_mov_b32_e32 v7, 0x7f
	v_cmp_lt_u32_e32 vcc, s34, v6
	s_nop 1
	v_cndmask_b32_e32 v5, v5, v7, vcc
; %bb.719:
	s_or_b64 exec, exec, s[30:31]
	v_lshrrev_b32_e32 v3, 24, v3
	s_movk_i32 s30, 0x80
	v_and_or_b32 v3, v3, s30, v5
	global_store_byte v[0:1], v3, off
.LBB528_720:
	s_mov_b64 s[30:31], 0
.LBB528_721:
	s_andn2_b64 vcc, exec, s[30:31]
	s_cbranch_vccnz .LBB528_731
; %bb.722:
	v_cvt_f32_f16_e32 v3, v2
	s_mov_b32 s30, 0x47800000
                                        ; implicit-def: $vgpr5
	v_and_b32_e32 v6, 0x7fffffff, v3
	v_cmp_gt_u32_e32 vcc, s30, v6
	s_and_saveexec_b64 s[30:31], vcc
	s_xor_b64 s[30:31], exec, s[30:31]
	s_cbranch_execz .LBB528_728
; %bb.723:
	s_mov_b32 s34, 0x387fffff
	v_cmp_lt_u32_e32 vcc, s34, v6
                                        ; implicit-def: $vgpr5
	s_and_saveexec_b64 s[34:35], vcc
	s_xor_b64 s[34:35], exec, s[34:35]
; %bb.724:
	v_bfe_u32 v5, v3, 21, 1
	s_mov_b32 s36, 0x80fffff
	v_add3_u32 v5, v3, v5, s36
	v_lshrrev_b32_e32 v5, 21, v5
; %bb.725:
	s_andn2_saveexec_b64 s[34:35], s[34:35]
; %bb.726:
	s_mov_b32 s36, 0x43000000
	v_add_f32_e64 v5, |v3|, s36
; %bb.727:
	s_or_b64 exec, exec, s[34:35]
                                        ; implicit-def: $vgpr6
.LBB528_728:
	s_andn2_saveexec_b64 s[30:31], s[30:31]
; %bb.729:
	s_mov_b32 s34, 0x7f800000
	v_mov_b32_e32 v5, 0x7c
	v_mov_b32_e32 v7, 0x7f
	v_cmp_lt_u32_e32 vcc, s34, v6
	s_nop 1
	v_cndmask_b32_e32 v5, v5, v7, vcc
; %bb.730:
	s_or_b64 exec, exec, s[30:31]
	v_lshrrev_b32_e32 v3, 24, v3
	s_movk_i32 s30, 0x80
	v_and_or_b32 v3, v3, s30, v5
	global_store_byte v[0:1], v3, off
.LBB528_731:
	s_mov_b64 s[34:35], 0
	s_mov_b64 s[30:31], -1
.LBB528_732:
	s_andn2_b64 vcc, exec, s[34:35]
	s_cbranch_vccnz .LBB528_740
; %bb.733:
	s_cmp_gt_i32 s39, 14
	s_mov_b64 s[34:35], -1
	s_cbranch_scc0 .LBB528_737
; %bb.734:
	s_cmp_eq_u32 s39, 15
	s_mov_b64 s[0:1], -1
	s_cbranch_scc0 .LBB528_736
; %bb.735:
	v_cvt_f32_f16_e32 v3, v2
	s_movk_i32 s0, 0x7fff
	v_cmp_o_f16_e32 vcc, v2, v2
	v_mov_b32_e32 v5, 0x7fc0
	v_bfe_u32 v6, v3, 16, 1
	v_add3_u32 v3, v3, v6, s0
	v_cndmask_b32_sdwa v3, v5, v3, vcc dst_sel:DWORD dst_unused:UNUSED_PAD src0_sel:DWORD src1_sel:WORD_1
	global_store_short v[0:1], v3, off
	s_mov_b64 s[30:31], -1
	s_mov_b64 s[0:1], 0
.LBB528_736:
	s_mov_b64 s[34:35], 0
.LBB528_737:
	s_and_b64 vcc, exec, s[34:35]
	s_cbranch_vccz .LBB528_740
; %bb.738:
	s_cmp_eq_u32 s39, 11
	s_mov_b64 s[0:1], -1
	s_cbranch_scc0 .LBB528_740
; %bb.739:
	v_and_b32_e32 v3, 0x7fff, v2
	v_cmp_ne_u16_e32 vcc, 0, v3
	s_mov_b64 s[30:31], -1
	s_mov_b64 s[0:1], 0
	v_cndmask_b32_e64 v3, 0, 1, vcc
	global_store_byte v[0:1], v3, off
.LBB528_740:
	s_mov_b64 s[34:35], 0
.LBB528_741:
	s_and_b64 vcc, exec, s[34:35]
	s_cbranch_vccz .LBB528_780
; %bb.742:
	s_and_b32 s34, 0xffff, s38
	s_cmp_lt_i32 s34, 5
	s_mov_b64 s[30:31], -1
	s_cbranch_scc1 .LBB528_763
; %bb.743:
	s_cmp_lt_i32 s34, 8
	s_cbranch_scc1 .LBB528_753
; %bb.744:
	s_cmp_lt_i32 s34, 9
	s_cbranch_scc1 .LBB528_750
; %bb.745:
	s_cmp_gt_i32 s34, 9
	s_cbranch_scc0 .LBB528_747
; %bb.746:
	v_cvt_f32_f16_e32 v3, v2
	v_mov_b32_e32 v8, 0
	v_mov_b32_e32 v9, v8
	s_mov_b64 s[30:31], 0
	v_cvt_f64_f32_e32 v[6:7], v3
	global_store_dwordx4 v[0:1], v[6:9], off
.LBB528_747:
	s_andn2_b64 vcc, exec, s[30:31]
	s_cbranch_vccnz .LBB528_749
; %bb.748:
	v_cvt_f32_f16_e32 v6, v2
	v_mov_b32_e32 v7, 0
	global_store_dwordx2 v[0:1], v[6:7], off
.LBB528_749:
	s_mov_b64 s[30:31], 0
.LBB528_750:
	s_andn2_b64 vcc, exec, s[30:31]
	s_cbranch_vccnz .LBB528_752
; %bb.751:
	v_and_b32_e32 v3, 0xffff, v2
	global_store_dword v[0:1], v3, off
.LBB528_752:
	s_mov_b64 s[30:31], 0
.LBB528_753:
	s_andn2_b64 vcc, exec, s[30:31]
	s_cbranch_vccnz .LBB528_762
; %bb.754:
	s_cmp_lt_i32 s34, 6
	s_mov_b64 s[30:31], -1
	s_cbranch_scc1 .LBB528_760
; %bb.755:
	s_cmp_gt_i32 s34, 6
	s_cbranch_scc0 .LBB528_757
; %bb.756:
	v_cvt_f32_f16_e32 v3, v2
	s_mov_b64 s[30:31], 0
	v_cvt_f64_f32_e32 v[6:7], v3
	global_store_dwordx2 v[0:1], v[6:7], off
.LBB528_757:
	s_andn2_b64 vcc, exec, s[30:31]
	s_cbranch_vccnz .LBB528_759
; %bb.758:
	v_cvt_f32_f16_e32 v3, v2
	global_store_dword v[0:1], v3, off
.LBB528_759:
	s_mov_b64 s[30:31], 0
.LBB528_760:
	s_andn2_b64 vcc, exec, s[30:31]
	s_cbranch_vccnz .LBB528_762
; %bb.761:
	global_store_short v[0:1], v2, off
.LBB528_762:
	s_mov_b64 s[30:31], 0
.LBB528_763:
	s_andn2_b64 vcc, exec, s[30:31]
	s_cbranch_vccnz .LBB528_779
; %bb.764:
	s_cmp_lt_i32 s34, 2
	s_mov_b64 s[30:31], -1
	s_cbranch_scc1 .LBB528_774
; %bb.765:
	s_cmp_lt_i32 s34, 3
	s_cbranch_scc1 .LBB528_771
; %bb.766:
	s_cmp_gt_i32 s34, 3
	s_cbranch_scc0 .LBB528_768
; %bb.767:
	v_cvt_f32_f16_e32 v3, v2
	s_mov_b64 s[30:31], 0
	v_cvt_i32_f32_e32 v6, v3
	v_ashrrev_i32_e32 v7, 31, v6
	global_store_dwordx2 v[0:1], v[6:7], off
.LBB528_768:
	s_andn2_b64 vcc, exec, s[30:31]
	s_cbranch_vccnz .LBB528_770
; %bb.769:
	v_cvt_f32_f16_e32 v3, v2
	v_cvt_i32_f32_e32 v3, v3
	global_store_dword v[0:1], v3, off
.LBB528_770:
	s_mov_b64 s[30:31], 0
.LBB528_771:
	s_andn2_b64 vcc, exec, s[30:31]
	s_cbranch_vccnz .LBB528_773
; %bb.772:
	v_cvt_i16_f16_e32 v3, v2
	global_store_short v[0:1], v3, off
.LBB528_773:
	s_mov_b64 s[30:31], 0
.LBB528_774:
	s_andn2_b64 vcc, exec, s[30:31]
	s_cbranch_vccnz .LBB528_779
; %bb.775:
	s_cmp_gt_i32 s34, 0
	s_mov_b64 s[30:31], -1
	s_cbranch_scc0 .LBB528_777
; %bb.776:
	v_cvt_i16_f16_e32 v3, v2
	s_mov_b64 s[30:31], 0
	global_store_byte v[0:1], v3, off
.LBB528_777:
	s_andn2_b64 vcc, exec, s[30:31]
	s_cbranch_vccnz .LBB528_779
; %bb.778:
	v_cvt_f32_f16_e32 v2, v2
	v_cvt_i32_f32_e32 v2, v2
	global_store_byte v[0:1], v2, off
.LBB528_779:
	s_mov_b64 s[30:31], -1
.LBB528_780:
	s_andn2_b64 vcc, exec, s[30:31]
	s_cbranch_vccnz .LBB528_782
; %bb.781:
	v_add_u32_e32 v4, 0x80, v4
	s_mov_b64 s[34:35], -1
	s_branch .LBB528_783
.LBB528_782:
	s_mov_b64 s[34:35], 0
                                        ; implicit-def: $vgpr4
.LBB528_783:
	s_andn2_b64 s[30:31], s[22:23], exec
	s_and_b64 s[0:1], s[0:1], exec
	s_or_b64 s[30:31], s[30:31], s[0:1]
	s_andn2_b64 s[0:1], s[20:21], exec
	s_and_b64 s[28:29], s[28:29], exec
	s_or_b64 s[0:1], s[0:1], s[28:29]
	s_orn2_b64 s[36:37], s[34:35], exec
.LBB528_784:
	s_or_b64 exec, exec, s[26:27]
	s_mov_b64 s[34:35], 0
	s_mov_b64 s[28:29], 0
	s_mov_b64 s[38:39], 0
                                        ; implicit-def: $vgpr0_vgpr1
                                        ; implicit-def: $vgpr3
	s_and_saveexec_b64 s[26:27], s[36:37]
	s_cbranch_execz .LBB528_869
; %bb.785:
	v_cmp_gt_i32_e32 vcc, s40, v4
	s_mov_b64 s[36:37], 0
	s_mov_b64 s[40:41], s[0:1]
	;; [unrolled: 1-line block ×3, first 2 shown]
                                        ; implicit-def: $vgpr0_vgpr1
                                        ; implicit-def: $vgpr3
	s_and_saveexec_b64 s[28:29], vcc
	s_cbranch_execz .LBB528_868
; %bb.786:
	v_mul_lo_u32 v0, v4, s9
	v_ashrrev_i32_e32 v1, 31, v0
	s_and_b32 s46, 0xffff, s45
	s_cmp_lt_i32 s46, 11
	v_lshl_add_u64 v[0:1], s[6:7], 0, v[0:1]
	s_cbranch_scc1 .LBB528_793
; %bb.787:
	s_cmp_gt_i32 s46, 25
	s_cbranch_scc0 .LBB528_794
; %bb.788:
	s_cmp_gt_i32 s46, 28
	s_cbranch_scc0 .LBB528_795
	;; [unrolled: 3-line block ×4, first 2 shown]
; %bb.791:
	s_cmp_eq_u32 s46, 46
	s_mov_b64 s[40:41], 0
	s_cbranch_scc0 .LBB528_802
; %bb.792:
	global_load_dword v2, v[0:1], off
	s_mov_b64 s[38:39], -1
	s_waitcnt vmcnt(0)
	v_lshlrev_b32_e32 v2, 16, v2
	v_cvt_f16_f32_e32 v3, v2
	s_branch .LBB528_804
.LBB528_793:
	s_mov_b64 s[40:41], -1
                                        ; implicit-def: $vgpr3
	s_mov_b64 s[34:35], s[0:1]
	s_branch .LBB528_867
.LBB528_794:
	s_mov_b64 s[40:41], -1
	s_mov_b64 s[34:35], s[0:1]
                                        ; implicit-def: $vgpr3
	s_branch .LBB528_833
.LBB528_795:
	s_mov_b64 s[40:41], -1
	s_mov_b64 s[34:35], s[0:1]
                                        ; implicit-def: $vgpr3
	s_branch .LBB528_814
.LBB528_796:
	s_mov_b64 s[40:41], -1
	s_mov_b64 s[34:35], s[0:1]
                                        ; implicit-def: $vgpr3
	s_branch .LBB528_809
.LBB528_797:
	s_andn2_saveexec_b64 s[36:37], s[36:37]
	s_cbranch_execz .LBB528_693
.LBB528_798:
	s_mov_b32 s41, 0x46000000
	v_add_f32_e64 v5, |v3|, s41
	v_and_b32_e32 v5, 0xff, v5
	v_cmp_ne_u32_e32 vcc, 0, v5
	s_andn2_b64 s[34:35], s[34:35], exec
	s_and_b64 s[42:43], vcc, exec
	s_or_b64 s[34:35], s[34:35], s[42:43]
	s_or_b64 exec, exec, s[36:37]
	v_mov_b32_e32 v6, 0
	s_and_saveexec_b64 s[36:37], s[34:35]
	s_cbranch_execnz .LBB528_694
	s_branch .LBB528_695
.LBB528_799:
	s_mov_b64 s[40:41], -1
	s_mov_b64 s[34:35], s[0:1]
	s_branch .LBB528_803
.LBB528_800:
	s_andn2_saveexec_b64 s[36:37], s[36:37]
	s_cbranch_execz .LBB528_706
.LBB528_801:
	s_mov_b32 s41, 0x42800000
	v_add_f32_e64 v5, |v3|, s41
	v_and_b32_e32 v5, 0xff, v5
	v_cmp_ne_u32_e32 vcc, 0, v5
	s_andn2_b64 s[34:35], s[34:35], exec
	s_and_b64 s[42:43], vcc, exec
	s_or_b64 s[34:35], s[34:35], s[42:43]
	s_or_b64 exec, exec, s[36:37]
	v_mov_b32_e32 v6, 0
	s_and_saveexec_b64 s[36:37], s[34:35]
	s_cbranch_execnz .LBB528_707
	s_branch .LBB528_708
.LBB528_802:
	s_mov_b64 s[34:35], -1
.LBB528_803:
                                        ; implicit-def: $vgpr3
.LBB528_804:
	s_and_b64 vcc, exec, s[40:41]
	s_cbranch_vccz .LBB528_808
; %bb.805:
	s_cmp_eq_u32 s46, 44
	s_cbranch_scc0 .LBB528_807
; %bb.806:
	global_load_ubyte v2, v[0:1], off
	s_movk_i32 s38, 0xff
	v_mov_b32_e32 v5, 0x7e00
	s_mov_b64 s[34:35], 0
	s_waitcnt vmcnt(0)
	v_lshlrev_b32_e32 v3, 23, v2
	v_cvt_f16_f32_e32 v3, v3
	v_cmp_ne_u32_e32 vcc, s38, v2
	s_mov_b64 s[38:39], -1
	s_nop 0
	v_cndmask_b32_e32 v3, v5, v3, vcc
	v_cmp_ne_u32_e32 vcc, 0, v2
	s_nop 1
	v_cndmask_b32_e32 v3, 0, v3, vcc
	s_branch .LBB528_808
.LBB528_807:
	s_mov_b64 s[34:35], -1
                                        ; implicit-def: $vgpr3
.LBB528_808:
	s_mov_b64 s[40:41], 0
.LBB528_809:
	s_and_b64 vcc, exec, s[40:41]
	s_cbranch_vccz .LBB528_813
; %bb.810:
	s_cmp_eq_u32 s46, 29
	s_cbranch_scc0 .LBB528_812
; %bb.811:
	global_load_dwordx2 v[2:3], v[0:1], off
	s_mov_b64 s[34:35], 0
	s_mov_b64 s[38:39], -1
	s_mov_b64 s[40:41], 0
	s_waitcnt vmcnt(0)
	v_ffbh_u32_e32 v5, v3
	v_min_u32_e32 v5, 32, v5
	v_lshlrev_b64 v[2:3], v5, v[2:3]
	v_min_u32_e32 v2, 1, v2
	v_or_b32_e32 v2, v3, v2
	v_cvt_f32_u32_e32 v2, v2
	v_sub_u32_e32 v3, 32, v5
	v_ldexp_f32 v2, v2, v3
	v_cvt_f16_f32_e32 v3, v2
	s_branch .LBB528_814
.LBB528_812:
	s_mov_b64 s[34:35], -1
                                        ; implicit-def: $vgpr3
.LBB528_813:
	s_mov_b64 s[40:41], 0
.LBB528_814:
	s_and_b64 vcc, exec, s[40:41]
	s_cbranch_vccz .LBB528_832
; %bb.815:
	s_cmp_lt_i32 s46, 27
	s_cbranch_scc1 .LBB528_818
; %bb.816:
	s_cmp_gt_i32 s46, 27
	s_cbranch_scc0 .LBB528_819
; %bb.817:
	global_load_dword v2, v[0:1], off
	s_mov_b64 s[38:39], 0
	s_waitcnt vmcnt(0)
	v_cvt_f32_u32_e32 v2, v2
	v_cvt_f16_f32_e32 v3, v2
	s_branch .LBB528_820
.LBB528_818:
	s_mov_b64 s[38:39], -1
                                        ; implicit-def: $vgpr3
	s_branch .LBB528_823
.LBB528_819:
	s_mov_b64 s[38:39], -1
                                        ; implicit-def: $vgpr3
.LBB528_820:
	s_andn2_b64 vcc, exec, s[38:39]
	s_cbranch_vccnz .LBB528_822
; %bb.821:
	global_load_ushort v2, v[0:1], off
	s_waitcnt vmcnt(0)
	v_cvt_f16_u16_e32 v3, v2
.LBB528_822:
	s_mov_b64 s[38:39], 0
.LBB528_823:
	s_andn2_b64 vcc, exec, s[38:39]
	s_cbranch_vccnz .LBB528_831
; %bb.824:
	global_load_ubyte v2, v[0:1], off
	s_movk_i32 s38, 0x7f
	s_waitcnt vmcnt(0)
	v_cmp_lt_i16_e32 vcc, s38, v2
	s_mov_b64 s[38:39], 0
	s_and_saveexec_b64 s[40:41], vcc
	s_xor_b64 s[40:41], exec, s[40:41]
	s_cbranch_execz .LBB528_845
; %bb.825:
	s_movk_i32 s38, 0x80
	v_cmp_eq_u16_e32 vcc, s38, v2
	s_mov_b64 s[38:39], -1
	s_and_saveexec_b64 s[42:43], vcc
; %bb.826:
	s_xor_b64 s[38:39], exec, -1
; %bb.827:
	s_or_b64 exec, exec, s[42:43]
	s_and_b64 s[38:39], s[38:39], exec
	s_or_saveexec_b64 s[40:41], s[40:41]
	v_mov_b32_e32 v3, 0x7e00
	s_xor_b64 exec, exec, s[40:41]
	s_cbranch_execnz .LBB528_846
.LBB528_828:
	s_or_b64 exec, exec, s[40:41]
	s_and_saveexec_b64 s[40:41], s[38:39]
	s_cbranch_execz .LBB528_830
.LBB528_829:
	v_lshlrev_b32_e32 v3, 24, v2
	v_and_b32_e32 v2, 0xffff, v2
	v_and_b32_e32 v5, 7, v2
	v_ffbh_u32_e32 v7, v5
	v_min_u32_e32 v7, 32, v7
	v_subrev_u32_e32 v8, 28, v7
	v_bfe_u32 v6, v2, 3, 4
	v_lshlrev_b32_e32 v2, v8, v2
	v_sub_u32_e32 v7, 29, v7
	v_and_b32_e32 v2, 7, v2
	v_cmp_eq_u32_e32 vcc, 0, v6
	v_and_b32_e32 v3, 0x80000000, v3
	s_nop 0
	v_cndmask_b32_e32 v6, v6, v7, vcc
	v_cndmask_b32_e32 v2, v5, v2, vcc
	v_mov_b32_e32 v5, 0x3b800000
	v_lshlrev_b32_e32 v2, 20, v2
	v_lshl_add_u32 v5, v6, 23, v5
	v_or3_b32 v2, v3, v5, v2
	v_cvt_f16_f32_e32 v3, v2
.LBB528_830:
	s_or_b64 exec, exec, s[40:41]
.LBB528_831:
	s_mov_b64 s[38:39], -1
.LBB528_832:
	s_mov_b64 s[40:41], 0
.LBB528_833:
	s_and_b64 vcc, exec, s[40:41]
	s_cbranch_vccz .LBB528_866
; %bb.834:
	s_cmp_gt_i32 s46, 22
	s_cbranch_scc0 .LBB528_844
; %bb.835:
	s_cmp_lt_i32 s46, 24
	s_cbranch_scc1 .LBB528_847
; %bb.836:
	s_cmp_gt_i32 s46, 24
	s_cbranch_scc0 .LBB528_848
; %bb.837:
	global_load_ubyte v2, v[0:1], off
	s_movk_i32 s36, 0x7f
	s_waitcnt vmcnt(0)
	v_cmp_lt_i16_e32 vcc, s36, v2
	s_mov_b64 s[36:37], 0
	s_and_saveexec_b64 s[38:39], vcc
	s_xor_b64 s[38:39], exec, s[38:39]
	s_cbranch_execz .LBB528_860
; %bb.838:
	s_movk_i32 s36, 0x80
	v_cmp_eq_u16_e32 vcc, s36, v2
	s_mov_b64 s[36:37], -1
	s_and_saveexec_b64 s[40:41], vcc
; %bb.839:
	s_xor_b64 s[36:37], exec, -1
; %bb.840:
	s_or_b64 exec, exec, s[40:41]
	s_and_b64 s[36:37], s[36:37], exec
	s_or_saveexec_b64 s[38:39], s[38:39]
	v_mov_b32_e32 v3, 0x7e00
	s_xor_b64 exec, exec, s[38:39]
	s_cbranch_execnz .LBB528_861
.LBB528_841:
	s_or_b64 exec, exec, s[38:39]
	s_and_saveexec_b64 s[38:39], s[36:37]
	s_cbranch_execz .LBB528_843
.LBB528_842:
	v_lshlrev_b32_e32 v3, 24, v2
	v_and_b32_e32 v2, 0xffff, v2
	v_and_b32_e32 v5, 3, v2
	v_ffbh_u32_e32 v7, v5
	v_min_u32_e32 v7, 32, v7
	v_subrev_u32_e32 v8, 29, v7
	v_bfe_u32 v6, v2, 2, 5
	v_lshlrev_b32_e32 v2, v8, v2
	v_sub_u32_e32 v7, 30, v7
	v_and_b32_e32 v2, 3, v2
	v_cmp_eq_u32_e32 vcc, 0, v6
	v_and_b32_e32 v3, 0x80000000, v3
	s_nop 0
	v_cndmask_b32_e32 v6, v6, v7, vcc
	v_cndmask_b32_e32 v2, v5, v2, vcc
	v_mov_b32_e32 v5, 0x37800000
	v_lshlrev_b32_e32 v2, 21, v2
	v_lshl_add_u32 v5, v6, 23, v5
	v_or3_b32 v2, v3, v5, v2
	v_cvt_f16_f32_e32 v3, v2
.LBB528_843:
	s_or_b64 exec, exec, s[38:39]
	s_mov_b64 s[36:37], 0
	s_branch .LBB528_849
.LBB528_844:
	s_mov_b64 s[36:37], -1
                                        ; implicit-def: $vgpr3
	s_branch .LBB528_855
.LBB528_845:
	s_or_saveexec_b64 s[40:41], s[40:41]
	v_mov_b32_e32 v3, 0x7e00
	s_xor_b64 exec, exec, s[40:41]
	s_cbranch_execz .LBB528_828
.LBB528_846:
	v_cmp_ne_u16_e32 vcc, 0, v2
	s_andn2_b64 s[38:39], s[38:39], exec
	s_and_b64 s[42:43], vcc, exec
	s_or_b64 s[38:39], s[38:39], s[42:43]
	v_mov_b32_e32 v3, v2
	s_or_b64 exec, exec, s[40:41]
	s_and_saveexec_b64 s[40:41], s[38:39]
	s_cbranch_execnz .LBB528_829
	s_branch .LBB528_830
.LBB528_847:
	s_mov_b64 s[36:37], -1
                                        ; implicit-def: $vgpr3
	s_branch .LBB528_852
.LBB528_848:
	s_mov_b64 s[36:37], -1
                                        ; implicit-def: $vgpr3
.LBB528_849:
	s_and_b64 vcc, exec, s[36:37]
	s_cbranch_vccz .LBB528_851
; %bb.850:
	global_load_ubyte v2, v[0:1], off
	s_mov_b32 s36, 0x7f800000
	s_waitcnt vmcnt(0)
	v_lshlrev_b32_e32 v2, 24, v2
	v_and_b32_e32 v3, 0x7f000000, v2
	v_ffbh_u32_e32 v5, v3
	v_min_u32_e32 v5, 32, v5
	v_sub_u32_e64 v5, v5, 4 clamp
	v_lshlrev_b32_e32 v7, v5, v3
	v_lshlrev_b32_e32 v5, 23, v5
	v_lshrrev_b32_e32 v7, 4, v7
	v_add_u32_e32 v6, 0x1000000, v3
	v_sub_u32_e32 v5, v7, v5
	v_ashrrev_i32_e32 v6, 8, v6
	v_add_u32_e32 v5, 0x3c000000, v5
	v_and_or_b32 v5, v6, s36, v5
	v_cmp_ne_u32_e32 vcc, 0, v3
	s_brev_b32 s36, 1
	s_nop 0
	v_cndmask_b32_e32 v3, 0, v5, vcc
	v_and_or_b32 v2, v2, s36, v3
	v_cvt_f16_f32_e32 v3, v2
.LBB528_851:
	s_mov_b64 s[36:37], 0
.LBB528_852:
	s_andn2_b64 vcc, exec, s[36:37]
	s_cbranch_vccnz .LBB528_854
; %bb.853:
	global_load_ubyte v2, v[0:1], off
	s_movk_i32 s36, 0x7f00
	s_brev_b32 s37, 16
	s_waitcnt vmcnt(0)
	v_lshlrev_b16_e32 v3, 8, v2
	v_lshlrev_b32_e32 v2, 25, v2
	v_lshrrev_b32_e32 v5, 4, v2
	v_and_or_b32 v6, v3, s36, 0.5
	v_or_b32_e32 v5, 0x70000000, v5
	v_add_f32_e32 v6, -0.5, v6
	v_mul_f32_e32 v5, 0x7800000, v5
	v_cmp_gt_u32_e32 vcc, s37, v2
	v_bfe_i32 v3, v3, 0, 16
	s_brev_b32 s36, 1
	v_cndmask_b32_e32 v2, v5, v6, vcc
	v_and_or_b32 v2, v3, s36, v2
	v_cvt_f16_f32_e32 v3, v2
.LBB528_854:
	s_mov_b64 s[36:37], 0
	s_mov_b64 s[38:39], -1
.LBB528_855:
	s_andn2_b64 vcc, exec, s[36:37]
	s_mov_b64 s[36:37], 0
	s_cbranch_vccnz .LBB528_866
; %bb.856:
	s_cmp_gt_i32 s46, 14
	s_cbranch_scc0 .LBB528_859
; %bb.857:
	s_cmp_eq_u32 s46, 15
	s_cbranch_scc0 .LBB528_862
; %bb.858:
	global_load_ushort v2, v[0:1], off
	s_mov_b64 s[34:35], 0
	s_mov_b64 s[38:39], -1
	s_waitcnt vmcnt(0)
	v_lshlrev_b32_e32 v2, 16, v2
	v_cvt_f16_f32_e32 v3, v2
	s_branch .LBB528_863
.LBB528_859:
	s_mov_b64 s[40:41], -1
                                        ; implicit-def: $vgpr3
	s_branch .LBB528_864
.LBB528_860:
	s_or_saveexec_b64 s[38:39], s[38:39]
	v_mov_b32_e32 v3, 0x7e00
	s_xor_b64 exec, exec, s[38:39]
	s_cbranch_execz .LBB528_841
.LBB528_861:
	v_cmp_ne_u16_e32 vcc, 0, v2
	s_andn2_b64 s[36:37], s[36:37], exec
	s_and_b64 s[40:41], vcc, exec
	s_or_b64 s[36:37], s[36:37], s[40:41]
	v_mov_b32_e32 v3, v2
	s_or_b64 exec, exec, s[38:39]
	s_and_saveexec_b64 s[38:39], s[36:37]
	s_cbranch_execnz .LBB528_842
	s_branch .LBB528_843
.LBB528_862:
	s_mov_b64 s[34:35], -1
                                        ; implicit-def: $vgpr3
.LBB528_863:
	s_mov_b64 s[40:41], 0
.LBB528_864:
	s_and_b64 vcc, exec, s[40:41]
	s_cbranch_vccz .LBB528_866
; %bb.865:
	s_cmp_lg_u32 s46, 11
	s_cselect_b64 s[40:41], -1, 0
	s_andn2_b64 s[34:35], s[34:35], exec
	s_and_b64 s[40:41], s[40:41], exec
	s_mov_b64 s[36:37], -1
	s_or_b64 s[34:35], s[34:35], s[40:41]
.LBB528_866:
	s_mov_b64 s[40:41], 0
.LBB528_867:
	s_and_b64 s[42:43], s[40:41], exec
	s_andn2_b64 s[40:41], s[0:1], exec
	s_and_b64 s[34:35], s[34:35], exec
	s_and_b64 s[38:39], s[38:39], exec
	;; [unrolled: 1-line block ×3, first 2 shown]
	s_or_b64 s[40:41], s[40:41], s[34:35]
.LBB528_868:
	s_or_b64 exec, exec, s[28:29]
	s_and_b64 s[34:35], s[36:37], exec
	s_andn2_b64 s[0:1], s[0:1], exec
	s_and_b64 s[36:37], s[40:41], exec
	s_and_b64 s[38:39], s[38:39], exec
	;; [unrolled: 1-line block ×3, first 2 shown]
	s_or_b64 s[0:1], s[0:1], s[36:37]
.LBB528_869:
	s_or_b64 exec, exec, s[26:27]
	s_andn2_b64 s[22:23], s[22:23], exec
	s_and_b64 s[26:27], s[30:31], exec
	s_andn2_b64 s[20:21], s[20:21], exec
	s_and_b64 s[0:1], s[0:1], exec
	s_or_b64 s[22:23], s[22:23], s[26:27]
	s_and_b64 s[30:31], s[38:39], exec
	s_and_b64 s[28:29], s[28:29], exec
	;; [unrolled: 1-line block ×3, first 2 shown]
	s_or_b64 s[20:21], s[20:21], s[0:1]
.LBB528_870:
	s_or_b64 exec, exec, s[24:25]
	s_andn2_b64 s[0:1], s[14:15], exec
	s_and_b64 s[14:15], s[22:23], exec
	s_andn2_b64 s[16:17], s[16:17], exec
	s_and_b64 s[20:21], s[20:21], exec
	s_or_b64 s[14:15], s[0:1], s[14:15]
	s_and_b64 s[0:1], s[30:31], exec
	s_and_b64 s[24:25], s[28:29], exec
	;; [unrolled: 1-line block ×3, first 2 shown]
	s_or_b64 s[16:17], s[16:17], s[20:21]
	s_or_b64 exec, exec, s[18:19]
	s_mov_b64 s[18:19], 0
	s_and_saveexec_b64 s[20:21], s[16:17]
	s_cbranch_execz .LBB528_266
.LBB528_871:
	s_mov_b64 s[18:19], exec
	s_andn2_b64 s[22:23], s[22:23], exec
	s_trap 2
	s_or_b64 exec, exec, s[20:21]
	s_and_saveexec_b64 s[16:17], s[22:23]
	s_xor_b64 s[16:17], exec, s[16:17]
	s_cbranch_execnz .LBB528_267
.LBB528_872:
	s_or_b64 exec, exec, s[16:17]
	s_and_saveexec_b64 s[16:17], s[24:25]
	s_cbranch_execz .LBB528_918
.LBB528_873:
	s_sext_i32_i16 s20, s45
	s_cmp_lt_i32 s20, 5
	s_cbranch_scc1 .LBB528_878
; %bb.874:
	s_cmp_lt_i32 s20, 8
	s_cbranch_scc1 .LBB528_879
; %bb.875:
	;; [unrolled: 3-line block ×3, first 2 shown]
	s_cmp_gt_i32 s20, 9
	s_cbranch_scc0 .LBB528_881
; %bb.877:
	global_load_dwordx2 v[2:3], v[0:1], off
	s_movk_i32 s20, 0x1ff
	s_movk_i32 s21, 0xffe
	v_mov_b32_e32 v5, 0x7c00
	v_mov_b32_e32 v6, 0x7e00
	s_movk_i32 s22, 0x40f
	s_mov_b32 s23, 0x8000
	s_waitcnt vmcnt(0)
	v_and_or_b32 v2, v3, s20, v2
	v_cmp_ne_u32_e32 vcc, 0, v2
	v_lshrrev_b32_e32 v7, 8, v3
	v_bfe_u32 v8, v3, 20, 11
	v_cndmask_b32_e64 v2, 0, 1, vcc
	v_sub_u32_e32 v9, 0x3f1, v8
	v_and_or_b32 v2, v7, s21, v2
	v_add_u32_e32 v8, 0xfffffc10, v8
	v_med3_i32 v7, v9, 0, 13
	v_or_b32_e32 v9, 0x1000, v2
	v_cmp_ne_u32_e32 vcc, 0, v2
	v_lshl_or_b32 v10, v8, 12, v2
	v_lshrrev_b32_e32 v3, 16, v3
	v_cndmask_b32_e32 v2, v5, v6, vcc
	v_lshrrev_b32_e32 v6, v7, v9
	v_lshlrev_b32_e32 v7, v7, v6
	v_cmp_ne_u32_e32 vcc, v7, v9
	s_mov_b64 s[20:21], 0
	s_nop 0
	v_cndmask_b32_e64 v7, 0, 1, vcc
	v_or_b32_e32 v6, v6, v7
	v_cmp_gt_i32_e32 vcc, 1, v8
	s_nop 1
	v_cndmask_b32_e32 v6, v10, v6, vcc
	v_and_b32_e32 v7, 7, v6
	v_cmp_lt_i32_e32 vcc, 5, v7
	v_lshrrev_b32_e32 v6, 2, v6
	s_nop 0
	v_cndmask_b32_e64 v9, 0, 1, vcc
	v_cmp_eq_u32_e32 vcc, 3, v7
	s_nop 1
	v_cndmask_b32_e64 v7, 0, 1, vcc
	v_or_b32_e32 v7, v7, v9
	v_add_u32_e32 v6, v6, v7
	v_cmp_gt_i32_e32 vcc, 31, v8
	s_nop 1
	v_cndmask_b32_e32 v5, v5, v6, vcc
	v_cmp_eq_u32_e32 vcc, s22, v8
	s_nop 1
	v_cndmask_b32_e32 v2, v5, v2, vcc
	v_and_or_b32 v3, v3, s23, v2
	s_branch .LBB528_882
.LBB528_878:
                                        ; implicit-def: $vgpr3
	s_branch .LBB528_899
.LBB528_879:
                                        ; implicit-def: $vgpr3
	s_branch .LBB528_888
.LBB528_880:
	s_mov_b64 s[20:21], -1
                                        ; implicit-def: $vgpr3
	s_branch .LBB528_885
.LBB528_881:
	s_mov_b64 s[20:21], -1
                                        ; implicit-def: $vgpr3
.LBB528_882:
	s_andn2_b64 vcc, exec, s[20:21]
	s_cbranch_vccnz .LBB528_884
; %bb.883:
	global_load_dword v2, v[0:1], off
	s_waitcnt vmcnt(0)
	v_cvt_f16_f32_e32 v3, v2
.LBB528_884:
	s_mov_b64 s[20:21], 0
.LBB528_885:
	s_andn2_b64 vcc, exec, s[20:21]
	s_cbranch_vccnz .LBB528_887
; %bb.886:
	global_load_dword v3, v[0:1], off
.LBB528_887:
	s_cbranch_execnz .LBB528_898
.LBB528_888:
	s_sext_i32_i16 s20, s45
	s_cmp_lt_i32 s20, 6
	s_cbranch_scc1 .LBB528_891
; %bb.889:
	s_cmp_gt_i32 s20, 6
	s_cbranch_scc0 .LBB528_892
; %bb.890:
	global_load_dwordx2 v[2:3], v[0:1], off
	s_movk_i32 s20, 0x1ff
	s_movk_i32 s21, 0xffe
	v_mov_b32_e32 v5, 0x7c00
	v_mov_b32_e32 v6, 0x7e00
	s_movk_i32 s22, 0x40f
	s_mov_b32 s23, 0x8000
	s_waitcnt vmcnt(0)
	v_and_or_b32 v2, v3, s20, v2
	v_cmp_ne_u32_e32 vcc, 0, v2
	v_lshrrev_b32_e32 v7, 8, v3
	v_bfe_u32 v8, v3, 20, 11
	v_cndmask_b32_e64 v2, 0, 1, vcc
	v_sub_u32_e32 v9, 0x3f1, v8
	v_and_or_b32 v2, v7, s21, v2
	v_add_u32_e32 v8, 0xfffffc10, v8
	v_med3_i32 v7, v9, 0, 13
	v_or_b32_e32 v9, 0x1000, v2
	v_cmp_ne_u32_e32 vcc, 0, v2
	v_lshl_or_b32 v10, v8, 12, v2
	v_lshrrev_b32_e32 v3, 16, v3
	v_cndmask_b32_e32 v2, v5, v6, vcc
	v_lshrrev_b32_e32 v6, v7, v9
	v_lshlrev_b32_e32 v7, v7, v6
	v_cmp_ne_u32_e32 vcc, v7, v9
	s_mov_b64 s[20:21], 0
	s_nop 0
	v_cndmask_b32_e64 v7, 0, 1, vcc
	v_or_b32_e32 v6, v6, v7
	v_cmp_gt_i32_e32 vcc, 1, v8
	s_nop 1
	v_cndmask_b32_e32 v6, v10, v6, vcc
	v_and_b32_e32 v7, 7, v6
	v_cmp_lt_i32_e32 vcc, 5, v7
	v_lshrrev_b32_e32 v6, 2, v6
	s_nop 0
	v_cndmask_b32_e64 v9, 0, 1, vcc
	v_cmp_eq_u32_e32 vcc, 3, v7
	s_nop 1
	v_cndmask_b32_e64 v7, 0, 1, vcc
	v_or_b32_e32 v7, v7, v9
	v_add_u32_e32 v6, v6, v7
	v_cmp_gt_i32_e32 vcc, 31, v8
	s_nop 1
	v_cndmask_b32_e32 v5, v5, v6, vcc
	v_cmp_eq_u32_e32 vcc, s22, v8
	s_nop 1
	v_cndmask_b32_e32 v2, v5, v2, vcc
	v_and_or_b32 v3, v3, s23, v2
	s_branch .LBB528_893
.LBB528_891:
	s_mov_b64 s[20:21], -1
                                        ; implicit-def: $vgpr3
	s_branch .LBB528_896
.LBB528_892:
	s_mov_b64 s[20:21], -1
                                        ; implicit-def: $vgpr3
.LBB528_893:
	s_andn2_b64 vcc, exec, s[20:21]
	s_cbranch_vccnz .LBB528_895
; %bb.894:
	global_load_dword v2, v[0:1], off
	s_waitcnt vmcnt(0)
	v_cvt_f16_f32_e32 v3, v2
.LBB528_895:
	s_mov_b64 s[20:21], 0
.LBB528_896:
	s_andn2_b64 vcc, exec, s[20:21]
	s_cbranch_vccnz .LBB528_898
; %bb.897:
	global_load_ushort v3, v[0:1], off
.LBB528_898:
	s_cbranch_execnz .LBB528_917
.LBB528_899:
	s_sext_i32_i16 s20, s45
	s_cmp_lt_i32 s20, 2
	s_cbranch_scc1 .LBB528_903
; %bb.900:
	s_cmp_lt_i32 s20, 3
	s_cbranch_scc1 .LBB528_904
; %bb.901:
	s_cmp_gt_i32 s20, 3
	s_cbranch_scc0 .LBB528_905
; %bb.902:
	global_load_dwordx2 v[2:3], v[0:1], off
	s_mov_b64 s[20:21], 0
	s_waitcnt vmcnt(0)
	v_xor_b32_e32 v6, v2, v3
	v_ffbh_i32_e32 v5, v3
	v_ashrrev_i32_e32 v6, 31, v6
	v_add_u32_e32 v5, -1, v5
	v_add_u32_e32 v6, 32, v6
	v_min_u32_e32 v5, v5, v6
	v_lshlrev_b64 v[2:3], v5, v[2:3]
	v_min_u32_e32 v2, 1, v2
	v_or_b32_e32 v2, v3, v2
	v_cvt_f32_i32_e32 v2, v2
	v_sub_u32_e32 v3, 32, v5
	v_ldexp_f32 v2, v2, v3
	v_cvt_f16_f32_e32 v3, v2
	s_branch .LBB528_906
.LBB528_903:
                                        ; implicit-def: $vgpr3
	s_branch .LBB528_912
.LBB528_904:
	s_mov_b64 s[20:21], -1
                                        ; implicit-def: $vgpr3
	s_branch .LBB528_909
.LBB528_905:
	s_mov_b64 s[20:21], -1
                                        ; implicit-def: $vgpr3
.LBB528_906:
	s_andn2_b64 vcc, exec, s[20:21]
	s_cbranch_vccnz .LBB528_908
; %bb.907:
	global_load_dword v2, v[0:1], off
	s_waitcnt vmcnt(0)
	v_cvt_f32_i32_e32 v2, v2
	v_cvt_f16_f32_e32 v3, v2
.LBB528_908:
	s_mov_b64 s[20:21], 0
.LBB528_909:
	s_andn2_b64 vcc, exec, s[20:21]
	s_cbranch_vccnz .LBB528_911
; %bb.910:
	global_load_ushort v2, v[0:1], off
	s_waitcnt vmcnt(0)
	v_cvt_f16_i16_e32 v3, v2
.LBB528_911:
	s_cbranch_execnz .LBB528_917
.LBB528_912:
	s_sext_i32_i16 s20, s45
	s_cmp_gt_i32 s20, 0
	s_cbranch_scc0 .LBB528_914
; %bb.913:
	global_load_sbyte v2, v[0:1], off
	s_mov_b64 s[20:21], 0
	s_waitcnt vmcnt(0)
	v_cvt_f16_i16_e32 v3, v2
	s_branch .LBB528_915
.LBB528_914:
	s_mov_b64 s[20:21], -1
                                        ; implicit-def: $vgpr3
.LBB528_915:
	s_andn2_b64 vcc, exec, s[20:21]
	s_cbranch_vccnz .LBB528_917
; %bb.916:
	global_load_ubyte v0, v[0:1], off
	s_waitcnt vmcnt(0)
	v_cvt_f16_u16_e32 v3, v0
.LBB528_917:
	s_or_b64 s[0:1], s[0:1], exec
.LBB528_918:
	s_or_b64 exec, exec, s[16:17]
	s_mov_b64 s[22:23], 0
	s_mov_b64 s[20:21], 0
                                        ; implicit-def: $sgpr28
                                        ; implicit-def: $vgpr0_vgpr1
                                        ; implicit-def: $vgpr2
	s_and_saveexec_b64 s[16:17], s[0:1]
	s_cbranch_execz .LBB528_940
; %bb.919:
	s_waitcnt vmcnt(0)
	v_cmp_o_f16_e32 vcc, v3, v3
	v_mov_b32_e32 v2, s10
	s_and_saveexec_b64 s[0:1], vcc
	s_cbranch_execz .LBB528_923
; %bb.920:
	s_movk_i32 s20, 0x7c00
	v_cmp_neq_f16_e32 vcc, s20, v3
	v_mov_b32_e32 v2, s44
	s_and_saveexec_b64 s[20:21], vcc
; %bb.921:
	s_mov_b32 s22, 0xfc00
	v_mov_b32_e32 v0, s11
	v_cmp_eq_f16_e32 vcc, s22, v3
	s_nop 1
	v_cndmask_b32_e32 v2, v3, v0, vcc
; %bb.922:
	s_or_b64 exec, exec, s[20:21]
.LBB528_923:
	s_or_b64 exec, exec, s[0:1]
	v_mul_lo_u32 v0, v4, s8
	v_ashrrev_i32_e32 v1, 31, v0
	s_and_b32 s28, s33, 0xff
	s_cmp_lt_i32 s28, 11
	v_lshl_add_u64 v[0:1], s[4:5], 0, v[0:1]
	s_cbranch_scc1 .LBB528_943
; %bb.924:
	s_and_b32 s29, 0xffff, s28
	s_mov_b64 s[22:23], -1
	s_cmp_gt_i32 s29, 25
	s_mov_b64 s[0:1], s[14:15]
	s_cbranch_scc0 .LBB528_961
; %bb.925:
	s_mov_b64 s[20:21], -1
	s_cmp_gt_i32 s29, 28
	s_mov_b64 s[0:1], s[14:15]
	s_cbranch_scc0 .LBB528_945
; %bb.926:
	s_cmp_gt_i32 s29, 43
	s_mov_b64 s[0:1], s[14:15]
	s_cbranch_scc0 .LBB528_937
; %bb.927:
	;; [unrolled: 4-line block ×3, first 2 shown]
	s_cmp_eq_u32 s29, 46
	s_mov_b64 s[0:1], -1
	s_cbranch_scc0 .LBB528_930
; %bb.929:
	v_cvt_f32_f16_e32 v3, v2
	s_movk_i32 s0, 0x7fff
	v_cmp_o_f16_e32 vcc, v2, v2
	v_mov_b32_e32 v4, 0x7fc0
	v_bfe_u32 v5, v3, 16, 1
	v_add3_u32 v3, v3, v5, s0
	v_cndmask_b32_sdwa v3, v4, v3, vcc dst_sel:DWORD dst_unused:UNUSED_PAD src0_sel:DWORD src1_sel:WORD_1
	global_store_dword v[0:1], v3, off
	s_mov_b64 s[0:1], 0
.LBB528_930:
	s_mov_b64 s[20:21], 0
.LBB528_931:
	s_and_b64 vcc, exec, s[20:21]
	s_cbranch_vccz .LBB528_936
; %bb.932:
	s_cmp_eq_u32 s29, 44
	s_mov_b64 s[0:1], -1
	s_cbranch_scc0 .LBB528_936
; %bb.933:
	v_cvt_f32_f16_e32 v3, v2
	s_movk_i32 s0, 0xff
	v_mov_b32_e32 v5, 0xff
	v_bfe_u32 v4, v3, 23, 8
	v_cmp_ne_u32_e32 vcc, s0, v4
	s_and_saveexec_b64 s[20:21], vcc
; %bb.934:
	s_mov_b32 s0, 0x3fffff
	v_lshrrev_b32_e32 v5, 23, v3
	v_and_b32_e32 v6, 0x400000, v3
	v_and_or_b32 v3, v3, s0, v4
	v_cmp_ne_u32_e32 vcc, 0, v6
	v_cmp_ne_u32_e64 s[0:1], 0, v3
	s_and_b64 s[0:1], vcc, s[0:1]
	s_nop 0
	v_cndmask_b32_e64 v3, 0, 1, s[0:1]
	v_add_u32_e32 v5, v5, v3
; %bb.935:
	s_or_b64 exec, exec, s[20:21]
	s_mov_b64 s[0:1], 0
	global_store_byte v[0:1], v5, off
.LBB528_936:
	s_mov_b64 s[20:21], 0
.LBB528_937:
	s_and_b64 vcc, exec, s[20:21]
	s_cbranch_vccz .LBB528_944
; %bb.938:
	s_cmp_eq_u32 s29, 29
	s_mov_b64 s[0:1], -1
	s_cbranch_scc0 .LBB528_944
; %bb.939:
	v_cvt_f32_f16_e32 v3, v2
	v_mov_b32_e32 v5, 0
	s_mov_b64 s[0:1], 0
	s_mov_b64 s[20:21], 0
	v_cvt_u32_f32_e32 v4, v3
	global_store_dwordx2 v[0:1], v[4:5], off
	s_branch .LBB528_945
.LBB528_940:
	s_or_b64 exec, exec, s[16:17]
	s_and_saveexec_b64 s[0:1], s[14:15]
	s_cbranch_execnz .LBB528_1003
.LBB528_941:
	s_or_b64 exec, exec, s[0:1]
	s_and_saveexec_b64 s[0:1], s[22:23]
	s_xor_b64 s[0:1], exec, s[0:1]
	s_cbranch_execz .LBB528_1004
.LBB528_942:
	s_waitcnt vmcnt(0)
	v_and_b32_e32 v3, 0x7fff, v2
	v_cmp_ne_u16_e32 vcc, 0, v3
	s_nop 1
	v_cndmask_b32_e64 v3, 0, 1, vcc
	global_store_byte v[0:1], v3, off
	s_or_b64 exec, exec, s[0:1]
	s_and_saveexec_b64 s[0:1], s[20:21]
	s_xor_b64 s[0:1], exec, s[0:1]
	s_cbranch_execz .LBB528_1042
	s_branch .LBB528_1005
.LBB528_943:
	s_mov_b64 s[22:23], 0
	s_mov_b64 s[20:21], -1
	s_mov_b64 s[0:1], s[14:15]
	s_branch .LBB528_1002
.LBB528_944:
	s_mov_b64 s[20:21], 0
.LBB528_945:
	s_and_b64 vcc, exec, s[20:21]
	s_cbranch_vccz .LBB528_960
; %bb.946:
	s_cmp_lt_i32 s29, 27
	s_mov_b64 s[20:21], -1
	s_cbranch_scc1 .LBB528_952
; %bb.947:
	s_cmp_gt_i32 s29, 27
	s_cbranch_scc0 .LBB528_949
; %bb.948:
	v_cvt_f32_f16_e32 v3, v2
	s_mov_b64 s[20:21], 0
	v_cvt_u32_f32_e32 v3, v3
	global_store_dword v[0:1], v3, off
.LBB528_949:
	s_andn2_b64 vcc, exec, s[20:21]
	s_cbranch_vccnz .LBB528_951
; %bb.950:
	v_cvt_u16_f16_e32 v3, v2
	global_store_short v[0:1], v3, off
.LBB528_951:
	s_mov_b64 s[20:21], 0
.LBB528_952:
	s_andn2_b64 vcc, exec, s[20:21]
	s_cbranch_vccnz .LBB528_960
; %bb.953:
	v_cvt_f32_f16_e32 v3, v2
	s_mov_b32 s20, 0x43800000
	v_mov_b32_e32 v5, 0x80
	v_and_b32_e32 v4, 0x7fffffff, v3
	v_cmp_gt_u32_e32 vcc, s20, v4
	s_and_saveexec_b64 s[20:21], vcc
	s_cbranch_execz .LBB528_959
; %bb.954:
	s_mov_b32 s22, 0x3bffffff
	v_cmp_lt_u32_e32 vcc, s22, v4
	s_mov_b64 s[22:23], 0
                                        ; implicit-def: $vgpr4
	s_and_saveexec_b64 s[24:25], vcc
	s_xor_b64 s[24:25], exec, s[24:25]
	s_cbranch_execz .LBB528_1057
; %bb.955:
	v_bfe_u32 v4, v3, 20, 1
	s_mov_b32 s26, 0x487ffff
	v_add3_u32 v4, v3, v4, s26
	s_mov_b64 s[22:23], exec
	v_lshrrev_b32_e32 v4, 20, v4
	s_andn2_saveexec_b64 s[24:25], s[24:25]
	s_cbranch_execnz .LBB528_1058
.LBB528_956:
	s_or_b64 exec, exec, s[24:25]
	v_mov_b32_e32 v5, 0
	s_and_saveexec_b64 s[24:25], s[22:23]
.LBB528_957:
	v_lshrrev_b32_e32 v3, 24, v3
	s_movk_i32 s22, 0x80
	v_and_or_b32 v5, v3, s22, v4
.LBB528_958:
	s_or_b64 exec, exec, s[24:25]
.LBB528_959:
	s_or_b64 exec, exec, s[20:21]
	global_store_byte v[0:1], v5, off
.LBB528_960:
	s_mov_b64 s[22:23], 0
.LBB528_961:
	s_mov_b64 s[20:21], 0
	s_and_b64 vcc, exec, s[22:23]
	s_cbranch_vccz .LBB528_1001
; %bb.962:
	s_cmp_gt_i32 s29, 22
	s_mov_b64 s[22:23], -1
	s_cbranch_scc0 .LBB528_994
; %bb.963:
	s_cmp_lt_i32 s29, 24
	s_cbranch_scc1 .LBB528_983
; %bb.964:
	s_cmp_gt_i32 s29, 24
	s_cbranch_scc0 .LBB528_972
; %bb.965:
	v_cvt_f32_f16_e32 v3, v2
	s_mov_b32 s22, 0x47800000
	v_mov_b32_e32 v5, 0x80
	v_and_b32_e32 v4, 0x7fffffff, v3
	v_cmp_gt_u32_e32 vcc, s22, v4
	s_and_saveexec_b64 s[22:23], vcc
	s_cbranch_execz .LBB528_971
; %bb.966:
	s_mov_b32 s24, 0x37ffffff
	v_cmp_lt_u32_e32 vcc, s24, v4
	s_mov_b64 s[24:25], 0
                                        ; implicit-def: $vgpr4
	s_and_saveexec_b64 s[26:27], vcc
	s_xor_b64 s[26:27], exec, s[26:27]
	s_cbranch_execz .LBB528_1186
; %bb.967:
	v_bfe_u32 v4, v3, 21, 1
	s_mov_b32 s30, 0x88fffff
	v_add3_u32 v4, v3, v4, s30
	s_mov_b64 s[24:25], exec
	v_lshrrev_b32_e32 v4, 21, v4
	s_andn2_saveexec_b64 s[26:27], s[26:27]
	s_cbranch_execnz .LBB528_1187
.LBB528_968:
	s_or_b64 exec, exec, s[26:27]
	v_mov_b32_e32 v5, 0
	s_and_saveexec_b64 s[26:27], s[24:25]
.LBB528_969:
	v_lshrrev_b32_e32 v3, 24, v3
	s_movk_i32 s24, 0x80
	v_and_or_b32 v5, v3, s24, v4
.LBB528_970:
	s_or_b64 exec, exec, s[26:27]
.LBB528_971:
	s_or_b64 exec, exec, s[22:23]
	s_mov_b64 s[22:23], 0
	global_store_byte v[0:1], v5, off
.LBB528_972:
	s_and_b64 vcc, exec, s[22:23]
	s_cbranch_vccz .LBB528_982
; %bb.973:
	v_cvt_f32_f16_e32 v3, v2
	s_mov_b32 s22, 0x43f00000
                                        ; implicit-def: $vgpr4
	v_and_b32_e32 v5, 0x7fffffff, v3
	v_cmp_gt_u32_e32 vcc, s22, v5
	s_and_saveexec_b64 s[22:23], vcc
	s_xor_b64 s[22:23], exec, s[22:23]
	s_cbranch_execz .LBB528_979
; %bb.974:
	s_mov_b32 s24, 0x3c7fffff
	v_cmp_lt_u32_e32 vcc, s24, v5
                                        ; implicit-def: $vgpr4
	s_and_saveexec_b64 s[24:25], vcc
	s_xor_b64 s[24:25], exec, s[24:25]
; %bb.975:
	v_bfe_u32 v4, v3, 20, 1
	s_mov_b32 s26, 0x407ffff
	v_add3_u32 v4, v3, v4, s26
	v_lshrrev_b32_e32 v5, 20, v4
	v_and_b32_e32 v4, 0xff00000, v4
	s_mov_b32 s26, 0x7f00000
	v_mov_b32_e32 v6, 0x7e
	v_cmp_ne_u32_e32 vcc, s26, v4
	s_nop 1
	v_cndmask_b32_e32 v4, v6, v5, vcc
; %bb.976:
	s_andn2_saveexec_b64 s[24:25], s[24:25]
; %bb.977:
	s_mov_b32 s26, 0x46800000
	v_add_f32_e64 v4, |v3|, s26
; %bb.978:
	s_or_b64 exec, exec, s[24:25]
                                        ; implicit-def: $vgpr5
.LBB528_979:
	s_andn2_saveexec_b64 s[22:23], s[22:23]
; %bb.980:
	s_mov_b32 s24, 0x7f800000
	v_mov_b32_e32 v4, 0x7e
	v_mov_b32_e32 v6, 0x7f
	v_cmp_lt_u32_e32 vcc, s24, v5
	s_nop 1
	v_cndmask_b32_e32 v4, v4, v6, vcc
; %bb.981:
	s_or_b64 exec, exec, s[22:23]
	v_lshrrev_b32_e32 v3, 24, v3
	s_movk_i32 s22, 0x80
	v_and_or_b32 v3, v3, s22, v4
	global_store_byte v[0:1], v3, off
.LBB528_982:
	s_mov_b64 s[22:23], 0
.LBB528_983:
	s_andn2_b64 vcc, exec, s[22:23]
	s_cbranch_vccnz .LBB528_993
; %bb.984:
	v_cvt_f32_f16_e32 v3, v2
	s_mov_b32 s22, 0x47800000
                                        ; implicit-def: $vgpr4
	v_and_b32_e32 v5, 0x7fffffff, v3
	v_cmp_gt_u32_e32 vcc, s22, v5
	s_and_saveexec_b64 s[22:23], vcc
	s_xor_b64 s[22:23], exec, s[22:23]
	s_cbranch_execz .LBB528_990
; %bb.985:
	s_mov_b32 s24, 0x387fffff
	v_cmp_lt_u32_e32 vcc, s24, v5
                                        ; implicit-def: $vgpr4
	s_and_saveexec_b64 s[24:25], vcc
	s_xor_b64 s[24:25], exec, s[24:25]
; %bb.986:
	v_bfe_u32 v4, v3, 21, 1
	s_mov_b32 s26, 0x80fffff
	v_add3_u32 v4, v3, v4, s26
	v_lshrrev_b32_e32 v4, 21, v4
; %bb.987:
	s_andn2_saveexec_b64 s[24:25], s[24:25]
; %bb.988:
	s_mov_b32 s26, 0x43000000
	v_add_f32_e64 v4, |v3|, s26
; %bb.989:
	s_or_b64 exec, exec, s[24:25]
                                        ; implicit-def: $vgpr5
.LBB528_990:
	s_andn2_saveexec_b64 s[22:23], s[22:23]
; %bb.991:
	s_mov_b32 s24, 0x7f800000
	v_mov_b32_e32 v4, 0x7c
	v_mov_b32_e32 v6, 0x7f
	v_cmp_lt_u32_e32 vcc, s24, v5
	s_nop 1
	v_cndmask_b32_e32 v4, v4, v6, vcc
; %bb.992:
	s_or_b64 exec, exec, s[22:23]
	v_lshrrev_b32_e32 v3, 24, v3
	s_movk_i32 s22, 0x80
	v_and_or_b32 v3, v3, s22, v4
	global_store_byte v[0:1], v3, off
.LBB528_993:
	s_mov_b64 s[22:23], 0
.LBB528_994:
	s_andn2_b64 vcc, exec, s[22:23]
	s_mov_b64 s[22:23], 0
	s_cbranch_vccnz .LBB528_1002
; %bb.995:
	s_cmp_gt_i32 s29, 14
	s_mov_b64 s[24:25], -1
	s_cbranch_scc0 .LBB528_999
; %bb.996:
	s_cmp_eq_u32 s29, 15
	s_mov_b64 s[0:1], -1
	s_cbranch_scc0 .LBB528_998
; %bb.997:
	v_cvt_f32_f16_e32 v3, v2
	s_movk_i32 s0, 0x7fff
	v_cmp_o_f16_e32 vcc, v2, v2
	v_mov_b32_e32 v4, 0x7fc0
	v_bfe_u32 v5, v3, 16, 1
	v_add3_u32 v3, v3, v5, s0
	v_cndmask_b32_sdwa v3, v4, v3, vcc dst_sel:DWORD dst_unused:UNUSED_PAD src0_sel:DWORD src1_sel:WORD_1
	global_store_short v[0:1], v3, off
	s_mov_b64 s[0:1], 0
.LBB528_998:
	s_mov_b64 s[24:25], 0
.LBB528_999:
	s_and_b64 vcc, exec, s[24:25]
	s_cbranch_vccz .LBB528_1002
; %bb.1000:
	s_cmp_lg_u32 s29, 11
	s_cselect_b64 s[24:25], -1, 0
	s_andn2_b64 s[0:1], s[0:1], exec
	s_and_b64 s[24:25], s[24:25], exec
	s_mov_b64 s[22:23], -1
	s_or_b64 s[0:1], s[0:1], s[24:25]
	s_branch .LBB528_1002
.LBB528_1001:
	s_mov_b64 s[22:23], 0
.LBB528_1002:
	s_andn2_b64 s[14:15], s[14:15], exec
	s_and_b64 s[0:1], s[0:1], exec
	s_and_b64 s[20:21], s[20:21], exec
	;; [unrolled: 1-line block ×3, first 2 shown]
	s_or_b64 s[14:15], s[14:15], s[0:1]
	s_or_b64 exec, exec, s[16:17]
	s_and_saveexec_b64 s[0:1], s[14:15]
	s_cbranch_execz .LBB528_941
.LBB528_1003:
	s_or_b64 s[18:19], s[18:19], exec
	s_andn2_b64 s[22:23], s[22:23], exec
	s_trap 2
	s_or_b64 exec, exec, s[0:1]
	s_and_saveexec_b64 s[0:1], s[22:23]
	s_xor_b64 s[0:1], exec, s[0:1]
	s_cbranch_execnz .LBB528_942
.LBB528_1004:
	s_or_b64 exec, exec, s[0:1]
	s_and_saveexec_b64 s[0:1], s[20:21]
	s_xor_b64 s[0:1], exec, s[0:1]
	s_cbranch_execz .LBB528_1042
.LBB528_1005:
	s_sext_i32_i16 s16, s28
	s_cmp_lt_i32 s16, 5
	s_mov_b64 s[14:15], -1
	s_cbranch_scc1 .LBB528_1026
; %bb.1006:
	s_cmp_lt_i32 s16, 8
	s_cbranch_scc1 .LBB528_1016
; %bb.1007:
	s_cmp_lt_i32 s16, 9
	s_cbranch_scc1 .LBB528_1013
; %bb.1008:
	s_cmp_gt_i32 s16, 9
	s_cbranch_scc0 .LBB528_1010
; %bb.1009:
	s_waitcnt vmcnt(0)
	v_cvt_f32_f16_e32 v3, v2
	v_mov_b32_e32 v6, 0
	v_mov_b32_e32 v7, v6
	s_mov_b64 s[14:15], 0
	v_cvt_f64_f32_e32 v[4:5], v3
	global_store_dwordx4 v[0:1], v[4:7], off
.LBB528_1010:
	s_andn2_b64 vcc, exec, s[14:15]
	s_cbranch_vccnz .LBB528_1012
; %bb.1011:
	v_cvt_f32_f16_e32 v4, v2
	v_mov_b32_e32 v5, 0
	global_store_dwordx2 v[0:1], v[4:5], off
.LBB528_1012:
	s_mov_b64 s[14:15], 0
.LBB528_1013:
	s_andn2_b64 vcc, exec, s[14:15]
	s_cbranch_vccnz .LBB528_1015
; %bb.1014:
	s_waitcnt vmcnt(0)
	v_and_b32_e32 v3, 0xffff, v2
	global_store_dword v[0:1], v3, off
.LBB528_1015:
	s_mov_b64 s[14:15], 0
.LBB528_1016:
	s_andn2_b64 vcc, exec, s[14:15]
	s_cbranch_vccnz .LBB528_1025
; %bb.1017:
	s_sext_i32_i16 s16, s28
	s_cmp_lt_i32 s16, 6
	s_mov_b64 s[14:15], -1
	s_cbranch_scc1 .LBB528_1023
; %bb.1018:
	s_cmp_gt_i32 s16, 6
	s_cbranch_scc0 .LBB528_1020
; %bb.1019:
	s_waitcnt vmcnt(0)
	v_cvt_f32_f16_e32 v3, v2
	s_mov_b64 s[14:15], 0
	v_cvt_f64_f32_e32 v[4:5], v3
	global_store_dwordx2 v[0:1], v[4:5], off
.LBB528_1020:
	s_andn2_b64 vcc, exec, s[14:15]
	s_cbranch_vccnz .LBB528_1022
; %bb.1021:
	s_waitcnt vmcnt(0)
	v_cvt_f32_f16_e32 v3, v2
	global_store_dword v[0:1], v3, off
.LBB528_1022:
	s_mov_b64 s[14:15], 0
.LBB528_1023:
	s_andn2_b64 vcc, exec, s[14:15]
	s_cbranch_vccnz .LBB528_1025
; %bb.1024:
	global_store_short v[0:1], v2, off
.LBB528_1025:
	s_mov_b64 s[14:15], 0
.LBB528_1026:
	s_andn2_b64 vcc, exec, s[14:15]
	s_cbranch_vccnz .LBB528_1042
; %bb.1027:
	s_sext_i32_i16 s16, s28
	s_cmp_lt_i32 s16, 2
	s_mov_b64 s[14:15], -1
	s_cbranch_scc1 .LBB528_1037
; %bb.1028:
	s_cmp_lt_i32 s16, 3
	s_cbranch_scc1 .LBB528_1034
; %bb.1029:
	s_cmp_gt_i32 s16, 3
	s_cbranch_scc0 .LBB528_1031
; %bb.1030:
	s_waitcnt vmcnt(0)
	v_cvt_f32_f16_e32 v3, v2
	s_mov_b64 s[14:15], 0
	v_cvt_i32_f32_e32 v4, v3
	v_ashrrev_i32_e32 v5, 31, v4
	global_store_dwordx2 v[0:1], v[4:5], off
.LBB528_1031:
	s_andn2_b64 vcc, exec, s[14:15]
	s_cbranch_vccnz .LBB528_1033
; %bb.1032:
	s_waitcnt vmcnt(0)
	v_cvt_f32_f16_e32 v3, v2
	v_cvt_i32_f32_e32 v3, v3
	global_store_dword v[0:1], v3, off
.LBB528_1033:
	s_mov_b64 s[14:15], 0
.LBB528_1034:
	s_andn2_b64 vcc, exec, s[14:15]
	s_cbranch_vccnz .LBB528_1036
; %bb.1035:
	s_waitcnt vmcnt(0)
	v_cvt_i16_f16_e32 v3, v2
	global_store_short v[0:1], v3, off
.LBB528_1036:
	s_mov_b64 s[14:15], 0
.LBB528_1037:
	s_andn2_b64 vcc, exec, s[14:15]
	s_cbranch_vccnz .LBB528_1042
; %bb.1038:
	s_sext_i32_i16 s14, s28
	s_cmp_gt_i32 s14, 0
	s_mov_b64 s[14:15], -1
	s_cbranch_scc0 .LBB528_1040
; %bb.1039:
	s_waitcnt vmcnt(0)
	v_cvt_i16_f16_e32 v3, v2
	s_mov_b64 s[14:15], 0
	global_store_byte v[0:1], v3, off
.LBB528_1040:
	s_andn2_b64 vcc, exec, s[14:15]
	s_cbranch_vccnz .LBB528_1042
; %bb.1041:
	v_cvt_f32_f16_e32 v2, v2
	v_cvt_i32_f32_e32 v2, v2
	global_store_byte v[0:1], v2, off
.LBB528_1042:
	s_or_b64 exec, exec, s[0:1]
	s_and_b64 s[14:15], s[18:19], exec
                                        ; implicit-def: $vgpr4
.LBB528_1043:
	s_or_saveexec_b64 s[12:13], s[12:13]
	s_mov_b64 s[0:1], 0
                                        ; implicit-def: $sgpr20
                                        ; implicit-def: $vgpr0_vgpr1
                                        ; implicit-def: $vgpr8
	s_xor_b64 exec, exec, s[12:13]
	s_cbranch_execz .LBB528_1653
; %bb.1044:
	v_mul_lo_u32 v0, s9, v4
	v_ashrrev_i32_e32 v1, 31, v0
	s_and_b32 s24, 0xffff, s45
	s_cmp_lt_i32 s24, 11
	s_waitcnt vmcnt(0)
	v_lshl_add_u64 v[2:3], s[6:7], 0, v[0:1]
	s_cbranch_scc1 .LBB528_1051
; %bb.1045:
	s_cmp_gt_i32 s24, 25
	s_cbranch_scc0 .LBB528_1053
; %bb.1046:
	s_cmp_gt_i32 s24, 28
	s_cbranch_scc0 .LBB528_1054
	;; [unrolled: 3-line block ×4, first 2 shown]
; %bb.1049:
	s_cmp_eq_u32 s24, 46
	s_mov_b64 s[16:17], 0
	s_cbranch_scc0 .LBB528_1059
; %bb.1050:
	global_load_dword v1, v[2:3], off
	s_mov_b64 s[18:19], -1
	s_waitcnt vmcnt(0)
	v_lshlrev_b32_e32 v1, 16, v1
	v_cvt_f16_f32_e32 v1, v1
	s_branch .LBB528_1060
.LBB528_1051:
	s_mov_b64 s[18:19], 0
                                        ; implicit-def: $vgpr1
	s_mov_b64 s[16:17], s[14:15]
	s_cbranch_execnz .LBB528_1123
.LBB528_1052:
	s_andn2_b64 vcc, exec, s[18:19]
	s_cbranch_vccz .LBB528_1168
	s_branch .LBB528_1650
.LBB528_1053:
	s_mov_b64 s[18:19], 0
                                        ; implicit-def: $vgpr1
	s_cbranch_execnz .LBB528_1088
	s_branch .LBB528_1119
.LBB528_1054:
	s_mov_b64 s[16:17], -1
	s_mov_b64 s[18:19], 0
                                        ; implicit-def: $vgpr1
	s_branch .LBB528_1069
.LBB528_1055:
	s_mov_b64 s[18:19], 0
                                        ; implicit-def: $vgpr1
	s_cbranch_execnz .LBB528_1065
	s_branch .LBB528_1068
.LBB528_1056:
	s_mov_b64 s[16:17], -1
	s_mov_b64 s[18:19], 0
                                        ; implicit-def: $vgpr1
	s_branch .LBB528_1060
.LBB528_1057:
	s_andn2_saveexec_b64 s[24:25], s[24:25]
	s_cbranch_execz .LBB528_956
.LBB528_1058:
	s_mov_b32 s26, 0x46000000
	v_add_f32_e64 v4, |v3|, s26
	v_and_b32_e32 v4, 0xff, v4
	v_cmp_ne_u32_e32 vcc, 0, v4
	s_andn2_b64 s[22:23], s[22:23], exec
	s_and_b64 s[26:27], vcc, exec
	s_or_b64 s[22:23], s[22:23], s[26:27]
	s_or_b64 exec, exec, s[24:25]
	v_mov_b32_e32 v5, 0
	s_and_saveexec_b64 s[24:25], s[22:23]
	s_cbranch_execnz .LBB528_957
	s_branch .LBB528_958
.LBB528_1059:
	s_mov_b64 s[0:1], -1
                                        ; implicit-def: $vgpr1
	s_mov_b64 s[18:19], 0
.LBB528_1060:
	s_and_b64 vcc, exec, s[16:17]
	s_cbranch_vccz .LBB528_1063
; %bb.1061:
	s_cmp_eq_u32 s24, 44
	s_cbranch_scc0 .LBB528_1064
; %bb.1062:
	global_load_ubyte v1, v[2:3], off
	s_movk_i32 s16, 0xff
	v_mov_b32_e32 v6, 0x7e00
	s_mov_b64 s[0:1], 0
	s_mov_b64 s[18:19], -1
	s_waitcnt vmcnt(0)
	v_lshlrev_b32_e32 v5, 23, v1
	v_cvt_f16_f32_e32 v5, v5
	v_cmp_ne_u32_e32 vcc, s16, v1
	s_nop 1
	v_cndmask_b32_e32 v5, v6, v5, vcc
	v_cmp_ne_u32_e32 vcc, 0, v1
	s_nop 1
	v_cndmask_b32_e32 v1, 0, v5, vcc
.LBB528_1063:
	s_branch .LBB528_1068
.LBB528_1064:
	s_mov_b64 s[0:1], -1
                                        ; implicit-def: $vgpr1
	s_branch .LBB528_1068
.LBB528_1065:
	s_cmp_eq_u32 s24, 29
	s_cbranch_scc0 .LBB528_1067
; %bb.1066:
	global_load_dwordx2 v[6:7], v[2:3], off
	s_mov_b64 s[0:1], 0
	s_mov_b64 s[18:19], -1
	s_mov_b64 s[16:17], 0
	s_waitcnt vmcnt(0)
	v_ffbh_u32_e32 v1, v7
	v_min_u32_e32 v1, 32, v1
	v_lshlrev_b64 v[6:7], v1, v[6:7]
	v_min_u32_e32 v5, 1, v6
	v_or_b32_e32 v5, v7, v5
	v_cvt_f32_u32_e32 v5, v5
	v_sub_u32_e32 v1, 32, v1
	v_ldexp_f32 v1, v5, v1
	v_cvt_f16_f32_e32 v1, v1
	s_branch .LBB528_1069
.LBB528_1067:
	s_mov_b64 s[0:1], -1
                                        ; implicit-def: $vgpr1
.LBB528_1068:
	s_mov_b64 s[16:17], 0
.LBB528_1069:
	s_and_b64 vcc, exec, s[16:17]
	s_cbranch_vccz .LBB528_1087
; %bb.1070:
	s_cmp_lt_i32 s24, 27
	s_cbranch_scc1 .LBB528_1073
; %bb.1071:
	s_cmp_gt_i32 s24, 27
	s_cbranch_scc0 .LBB528_1074
; %bb.1072:
	global_load_dword v1, v[2:3], off
	s_mov_b64 s[16:17], 0
	s_waitcnt vmcnt(0)
	v_cvt_f32_u32_e32 v1, v1
	v_cvt_f16_f32_e32 v1, v1
	s_branch .LBB528_1075
.LBB528_1073:
	s_mov_b64 s[16:17], -1
                                        ; implicit-def: $vgpr1
	s_branch .LBB528_1078
.LBB528_1074:
	s_mov_b64 s[16:17], -1
                                        ; implicit-def: $vgpr1
.LBB528_1075:
	s_andn2_b64 vcc, exec, s[16:17]
	s_cbranch_vccnz .LBB528_1077
; %bb.1076:
	global_load_ushort v1, v[2:3], off
	s_waitcnt vmcnt(0)
	v_cvt_f16_u16_e32 v1, v1
.LBB528_1077:
	s_mov_b64 s[16:17], 0
.LBB528_1078:
	s_andn2_b64 vcc, exec, s[16:17]
	s_cbranch_vccnz .LBB528_1086
; %bb.1079:
	global_load_ubyte v5, v[2:3], off
	s_movk_i32 s16, 0x7f
	s_waitcnt vmcnt(0)
	v_cmp_lt_i16_e32 vcc, s16, v5
	s_mov_b64 s[16:17], 0
	s_and_saveexec_b64 s[18:19], vcc
	s_xor_b64 s[18:19], exec, s[18:19]
	s_cbranch_execz .LBB528_1099
; %bb.1080:
	s_movk_i32 s16, 0x80
	v_cmp_eq_u16_e32 vcc, s16, v5
	s_mov_b64 s[16:17], -1
	s_and_saveexec_b64 s[20:21], vcc
; %bb.1081:
	s_xor_b64 s[16:17], exec, -1
; %bb.1082:
	s_or_b64 exec, exec, s[20:21]
	s_and_b64 s[16:17], s[16:17], exec
	s_or_saveexec_b64 s[18:19], s[18:19]
	v_mov_b32_e32 v1, 0x7e00
	s_xor_b64 exec, exec, s[18:19]
	s_cbranch_execnz .LBB528_1100
.LBB528_1083:
	s_or_b64 exec, exec, s[18:19]
	s_and_saveexec_b64 s[18:19], s[16:17]
	s_cbranch_execz .LBB528_1085
.LBB528_1084:
	v_lshlrev_b32_e32 v1, 24, v5
	v_and_b32_e32 v5, 0xffff, v5
	v_and_b32_e32 v6, 7, v5
	v_ffbh_u32_e32 v8, v6
	v_min_u32_e32 v8, 32, v8
	v_subrev_u32_e32 v9, 28, v8
	v_bfe_u32 v7, v5, 3, 4
	v_lshlrev_b32_e32 v5, v9, v5
	v_sub_u32_e32 v8, 29, v8
	v_and_b32_e32 v5, 7, v5
	v_cmp_eq_u32_e32 vcc, 0, v7
	v_and_b32_e32 v1, 0x80000000, v1
	s_nop 0
	v_cndmask_b32_e32 v7, v7, v8, vcc
	v_cndmask_b32_e32 v5, v6, v5, vcc
	v_mov_b32_e32 v6, 0x3b800000
	v_lshlrev_b32_e32 v5, 20, v5
	v_lshl_add_u32 v6, v7, 23, v6
	v_or3_b32 v1, v1, v6, v5
	v_cvt_f16_f32_e32 v1, v1
.LBB528_1085:
	s_or_b64 exec, exec, s[18:19]
.LBB528_1086:
	s_mov_b64 s[18:19], -1
.LBB528_1087:
	s_branch .LBB528_1119
.LBB528_1088:
	s_cmp_gt_i32 s24, 22
	s_cbranch_scc0 .LBB528_1098
; %bb.1089:
	s_cmp_lt_i32 s24, 24
	s_cbranch_scc1 .LBB528_1101
; %bb.1090:
	s_cmp_gt_i32 s24, 24
	s_cbranch_scc0 .LBB528_1102
; %bb.1091:
	global_load_ubyte v5, v[2:3], off
	s_movk_i32 s2, 0x7f
	s_waitcnt vmcnt(0)
	v_cmp_lt_i16_e32 vcc, s2, v5
	s_mov_b64 s[2:3], 0
	s_and_saveexec_b64 s[16:17], vcc
	s_xor_b64 s[16:17], exec, s[16:17]
	s_cbranch_execz .LBB528_1113
; %bb.1092:
	s_movk_i32 s2, 0x80
	v_cmp_eq_u16_e32 vcc, s2, v5
	s_mov_b64 s[2:3], -1
	s_and_saveexec_b64 s[18:19], vcc
; %bb.1093:
	s_xor_b64 s[2:3], exec, -1
; %bb.1094:
	s_or_b64 exec, exec, s[18:19]
	s_and_b64 s[2:3], s[2:3], exec
	s_or_saveexec_b64 s[16:17], s[16:17]
	v_mov_b32_e32 v1, 0x7e00
	s_xor_b64 exec, exec, s[16:17]
	s_cbranch_execnz .LBB528_1114
.LBB528_1095:
	s_or_b64 exec, exec, s[16:17]
	s_and_saveexec_b64 s[16:17], s[2:3]
	s_cbranch_execz .LBB528_1097
.LBB528_1096:
	v_lshlrev_b32_e32 v1, 24, v5
	v_and_b32_e32 v5, 0xffff, v5
	v_and_b32_e32 v6, 3, v5
	v_ffbh_u32_e32 v8, v6
	v_min_u32_e32 v8, 32, v8
	v_subrev_u32_e32 v9, 29, v8
	v_bfe_u32 v7, v5, 2, 5
	v_lshlrev_b32_e32 v5, v9, v5
	v_sub_u32_e32 v8, 30, v8
	v_and_b32_e32 v5, 3, v5
	v_cmp_eq_u32_e32 vcc, 0, v7
	v_and_b32_e32 v1, 0x80000000, v1
	s_nop 0
	v_cndmask_b32_e32 v7, v7, v8, vcc
	v_cndmask_b32_e32 v5, v6, v5, vcc
	v_mov_b32_e32 v6, 0x37800000
	v_lshlrev_b32_e32 v5, 21, v5
	v_lshl_add_u32 v6, v7, 23, v6
	v_or3_b32 v1, v1, v6, v5
	v_cvt_f16_f32_e32 v1, v1
.LBB528_1097:
	s_or_b64 exec, exec, s[16:17]
	s_mov_b64 s[2:3], 0
	s_branch .LBB528_1103
.LBB528_1098:
                                        ; implicit-def: $vgpr1
	s_mov_b64 s[2:3], 0
	s_branch .LBB528_1109
.LBB528_1099:
	s_or_saveexec_b64 s[18:19], s[18:19]
	v_mov_b32_e32 v1, 0x7e00
	s_xor_b64 exec, exec, s[18:19]
	s_cbranch_execz .LBB528_1083
.LBB528_1100:
	v_cmp_ne_u16_e32 vcc, 0, v5
	s_andn2_b64 s[16:17], s[16:17], exec
	s_and_b64 s[20:21], vcc, exec
	s_or_b64 s[16:17], s[16:17], s[20:21]
	v_mov_b32_e32 v1, v5
	s_or_b64 exec, exec, s[18:19]
	s_and_saveexec_b64 s[18:19], s[16:17]
	s_cbranch_execnz .LBB528_1084
	s_branch .LBB528_1085
.LBB528_1101:
	s_mov_b64 s[2:3], -1
                                        ; implicit-def: $vgpr1
	s_branch .LBB528_1106
.LBB528_1102:
	s_mov_b64 s[2:3], -1
                                        ; implicit-def: $vgpr1
.LBB528_1103:
	s_and_b64 vcc, exec, s[2:3]
	s_cbranch_vccz .LBB528_1105
; %bb.1104:
	global_load_ubyte v1, v[2:3], off
	s_mov_b32 s2, 0x7f800000
	s_waitcnt vmcnt(0)
	v_lshlrev_b32_e32 v1, 24, v1
	v_and_b32_e32 v5, 0x7f000000, v1
	v_ffbh_u32_e32 v6, v5
	v_min_u32_e32 v6, 32, v6
	v_sub_u32_e64 v6, v6, 4 clamp
	v_lshlrev_b32_e32 v8, v6, v5
	v_lshlrev_b32_e32 v6, 23, v6
	v_lshrrev_b32_e32 v8, 4, v8
	v_add_u32_e32 v7, 0x1000000, v5
	v_sub_u32_e32 v6, v8, v6
	v_ashrrev_i32_e32 v7, 8, v7
	v_add_u32_e32 v6, 0x3c000000, v6
	v_and_or_b32 v6, v7, s2, v6
	v_cmp_ne_u32_e32 vcc, 0, v5
	s_brev_b32 s2, 1
	s_nop 0
	v_cndmask_b32_e32 v5, 0, v6, vcc
	v_and_or_b32 v1, v1, s2, v5
	v_cvt_f16_f32_e32 v1, v1
.LBB528_1105:
	s_mov_b64 s[2:3], 0
.LBB528_1106:
	s_andn2_b64 vcc, exec, s[2:3]
	s_cbranch_vccnz .LBB528_1108
; %bb.1107:
	global_load_ubyte v1, v[2:3], off
	s_movk_i32 s2, 0x7f00
	s_brev_b32 s3, 16
	s_waitcnt vmcnt(0)
	v_lshlrev_b16_e32 v5, 8, v1
	v_lshlrev_b32_e32 v1, 25, v1
	v_lshrrev_b32_e32 v6, 4, v1
	v_and_or_b32 v7, v5, s2, 0.5
	v_or_b32_e32 v6, 0x70000000, v6
	v_add_f32_e32 v7, -0.5, v7
	v_mul_f32_e32 v6, 0x7800000, v6
	v_cmp_gt_u32_e32 vcc, s3, v1
	v_bfe_i32 v5, v5, 0, 16
	s_brev_b32 s2, 1
	v_cndmask_b32_e32 v1, v6, v7, vcc
	v_and_or_b32 v1, v5, s2, v1
	v_cvt_f16_f32_e32 v1, v1
.LBB528_1108:
	s_mov_b64 s[18:19], -1
	s_mov_b64 s[2:3], 0
	s_cbranch_execnz .LBB528_1119
.LBB528_1109:
	s_cmp_gt_i32 s24, 14
	s_cbranch_scc0 .LBB528_1112
; %bb.1110:
	s_cmp_eq_u32 s24, 15
	s_cbranch_scc0 .LBB528_1115
; %bb.1111:
	global_load_ushort v1, v[2:3], off
	s_mov_b64 s[0:1], 0
	s_mov_b64 s[18:19], -1
	s_waitcnt vmcnt(0)
	v_lshlrev_b32_e32 v1, 16, v1
	v_cvt_f16_f32_e32 v1, v1
	s_branch .LBB528_1116
.LBB528_1112:
	s_mov_b64 s[16:17], -1
                                        ; implicit-def: $vgpr1
	s_branch .LBB528_1117
.LBB528_1113:
	s_or_saveexec_b64 s[16:17], s[16:17]
	v_mov_b32_e32 v1, 0x7e00
	s_xor_b64 exec, exec, s[16:17]
	s_cbranch_execz .LBB528_1095
.LBB528_1114:
	v_cmp_ne_u16_e32 vcc, 0, v5
	s_andn2_b64 s[2:3], s[2:3], exec
	s_and_b64 s[18:19], vcc, exec
	s_or_b64 s[2:3], s[2:3], s[18:19]
	v_mov_b32_e32 v1, v5
	s_or_b64 exec, exec, s[16:17]
	s_and_saveexec_b64 s[16:17], s[2:3]
	s_cbranch_execnz .LBB528_1096
	s_branch .LBB528_1097
.LBB528_1115:
	s_mov_b64 s[0:1], -1
                                        ; implicit-def: $vgpr1
.LBB528_1116:
	s_mov_b64 s[16:17], 0
.LBB528_1117:
	s_and_b64 vcc, exec, s[16:17]
	s_cbranch_vccz .LBB528_1119
; %bb.1118:
	s_cmp_lg_u32 s24, 11
	s_mov_b64 s[2:3], -1
	s_cselect_b64 s[0:1], -1, 0
.LBB528_1119:
	s_and_b64 vcc, exec, s[0:1]
	s_mov_b64 s[16:17], s[14:15]
	s_cbranch_vccnz .LBB528_1184
; %bb.1120:
	s_andn2_b64 vcc, exec, s[2:3]
	s_cbranch_vccnz .LBB528_1122
.LBB528_1121:
	global_load_ubyte v1, v[2:3], off
	v_mov_b32_e32 v5, 0x3c00
	s_mov_b64 s[18:19], -1
	s_waitcnt vmcnt(0)
	v_cmp_ne_u16_e32 vcc, 0, v1
	s_nop 1
	v_cndmask_b32_e32 v1, 0, v5, vcc
.LBB528_1122:
	s_branch .LBB528_1052
.LBB528_1123:
	s_cmp_lt_i32 s24, 5
	s_cbranch_scc1 .LBB528_1128
; %bb.1124:
	s_cmp_lt_i32 s24, 8
	s_cbranch_scc1 .LBB528_1129
; %bb.1125:
	;; [unrolled: 3-line block ×3, first 2 shown]
	s_cmp_gt_i32 s24, 9
	s_cbranch_scc0 .LBB528_1131
; %bb.1127:
	global_load_dwordx2 v[6:7], v[2:3], off
	s_movk_i32 s0, 0x1ff
	s_movk_i32 s1, 0xffe
	v_mov_b32_e32 v1, 0x7c00
	v_mov_b32_e32 v5, 0x7e00
	s_movk_i32 s2, 0x40f
	s_mov_b32 s3, 0x8000
	s_waitcnt vmcnt(0)
	v_and_or_b32 v6, v7, s0, v6
	v_cmp_ne_u32_e32 vcc, 0, v6
	v_lshrrev_b32_e32 v8, 8, v7
	v_bfe_u32 v9, v7, 20, 11
	v_cndmask_b32_e64 v6, 0, 1, vcc
	v_sub_u32_e32 v10, 0x3f1, v9
	v_and_or_b32 v6, v8, s1, v6
	v_add_u32_e32 v9, 0xfffffc10, v9
	v_med3_i32 v8, v10, 0, 13
	v_or_b32_e32 v10, 0x1000, v6
	v_lshl_or_b32 v11, v9, 12, v6
	v_cmp_ne_u32_e32 vcc, 0, v6
	v_lshrrev_b32_e32 v6, v8, v10
	v_lshlrev_b32_e32 v8, v8, v6
	v_cndmask_b32_e32 v5, v1, v5, vcc
	v_cmp_ne_u32_e32 vcc, v8, v10
	v_lshrrev_b32_e32 v7, 16, v7
	s_mov_b64 s[0:1], 0
	v_cndmask_b32_e64 v8, 0, 1, vcc
	v_or_b32_e32 v6, v6, v8
	v_cmp_gt_i32_e32 vcc, 1, v9
	s_nop 1
	v_cndmask_b32_e32 v6, v11, v6, vcc
	v_and_b32_e32 v8, 7, v6
	v_cmp_lt_i32_e32 vcc, 5, v8
	v_lshrrev_b32_e32 v6, 2, v6
	s_nop 0
	v_cndmask_b32_e64 v10, 0, 1, vcc
	v_cmp_eq_u32_e32 vcc, 3, v8
	s_nop 1
	v_cndmask_b32_e64 v8, 0, 1, vcc
	v_or_b32_e32 v8, v8, v10
	v_add_u32_e32 v6, v6, v8
	v_cmp_gt_i32_e32 vcc, 31, v9
	s_nop 1
	v_cndmask_b32_e32 v1, v1, v6, vcc
	v_cmp_eq_u32_e32 vcc, s2, v9
	s_nop 1
	v_cndmask_b32_e32 v1, v1, v5, vcc
	v_and_or_b32 v1, v7, s3, v1
	s_branch .LBB528_1132
.LBB528_1128:
                                        ; implicit-def: $vgpr1
	s_branch .LBB528_1149
.LBB528_1129:
                                        ; implicit-def: $vgpr1
	s_branch .LBB528_1138
.LBB528_1130:
	s_mov_b64 s[0:1], -1
                                        ; implicit-def: $vgpr1
	s_branch .LBB528_1135
.LBB528_1131:
	s_mov_b64 s[0:1], -1
                                        ; implicit-def: $vgpr1
.LBB528_1132:
	s_andn2_b64 vcc, exec, s[0:1]
	s_cbranch_vccnz .LBB528_1134
; %bb.1133:
	global_load_dword v1, v[2:3], off
	s_waitcnt vmcnt(0)
	v_cvt_f16_f32_e32 v1, v1
.LBB528_1134:
	s_mov_b64 s[0:1], 0
.LBB528_1135:
	s_andn2_b64 vcc, exec, s[0:1]
	s_cbranch_vccnz .LBB528_1137
; %bb.1136:
	global_load_dword v1, v[2:3], off
.LBB528_1137:
	s_cbranch_execnz .LBB528_1148
.LBB528_1138:
	s_cmp_lt_i32 s24, 6
	s_cbranch_scc1 .LBB528_1141
; %bb.1139:
	s_cmp_gt_i32 s24, 6
	s_cbranch_scc0 .LBB528_1142
; %bb.1140:
	global_load_dwordx2 v[6:7], v[2:3], off
	s_movk_i32 s0, 0x1ff
	s_movk_i32 s1, 0xffe
	s_waitcnt vmcnt(1)
	v_mov_b32_e32 v1, 0x7c00
	v_mov_b32_e32 v5, 0x7e00
	s_movk_i32 s2, 0x40f
	s_mov_b32 s3, 0x8000
	s_waitcnt vmcnt(0)
	v_and_or_b32 v6, v7, s0, v6
	v_cmp_ne_u32_e32 vcc, 0, v6
	v_lshrrev_b32_e32 v8, 8, v7
	v_bfe_u32 v9, v7, 20, 11
	v_cndmask_b32_e64 v6, 0, 1, vcc
	v_sub_u32_e32 v10, 0x3f1, v9
	v_and_or_b32 v6, v8, s1, v6
	v_add_u32_e32 v9, 0xfffffc10, v9
	v_med3_i32 v8, v10, 0, 13
	v_or_b32_e32 v10, 0x1000, v6
	v_lshl_or_b32 v11, v9, 12, v6
	v_cmp_ne_u32_e32 vcc, 0, v6
	v_lshrrev_b32_e32 v6, v8, v10
	v_lshlrev_b32_e32 v8, v8, v6
	v_cndmask_b32_e32 v5, v1, v5, vcc
	v_cmp_ne_u32_e32 vcc, v8, v10
	v_lshrrev_b32_e32 v7, 16, v7
	s_mov_b64 s[0:1], 0
	v_cndmask_b32_e64 v8, 0, 1, vcc
	v_or_b32_e32 v6, v6, v8
	v_cmp_gt_i32_e32 vcc, 1, v9
	s_nop 1
	v_cndmask_b32_e32 v6, v11, v6, vcc
	v_and_b32_e32 v8, 7, v6
	v_cmp_lt_i32_e32 vcc, 5, v8
	v_lshrrev_b32_e32 v6, 2, v6
	s_nop 0
	v_cndmask_b32_e64 v10, 0, 1, vcc
	v_cmp_eq_u32_e32 vcc, 3, v8
	s_nop 1
	v_cndmask_b32_e64 v8, 0, 1, vcc
	v_or_b32_e32 v8, v8, v10
	v_add_u32_e32 v6, v6, v8
	v_cmp_gt_i32_e32 vcc, 31, v9
	s_nop 1
	v_cndmask_b32_e32 v1, v1, v6, vcc
	v_cmp_eq_u32_e32 vcc, s2, v9
	s_nop 1
	v_cndmask_b32_e32 v1, v1, v5, vcc
	v_and_or_b32 v1, v7, s3, v1
	s_branch .LBB528_1143
.LBB528_1141:
	s_mov_b64 s[0:1], -1
                                        ; implicit-def: $vgpr1
	s_branch .LBB528_1146
.LBB528_1142:
	s_mov_b64 s[0:1], -1
                                        ; implicit-def: $vgpr1
.LBB528_1143:
	s_andn2_b64 vcc, exec, s[0:1]
	s_cbranch_vccnz .LBB528_1145
; %bb.1144:
	global_load_dword v1, v[2:3], off
	s_waitcnt vmcnt(0)
	v_cvt_f16_f32_e32 v1, v1
.LBB528_1145:
	s_mov_b64 s[0:1], 0
.LBB528_1146:
	s_andn2_b64 vcc, exec, s[0:1]
	s_cbranch_vccnz .LBB528_1148
; %bb.1147:
	global_load_ushort v1, v[2:3], off
.LBB528_1148:
	s_cbranch_execnz .LBB528_1167
.LBB528_1149:
	s_cmp_lt_i32 s24, 2
	s_cbranch_scc1 .LBB528_1153
; %bb.1150:
	s_cmp_lt_i32 s24, 3
	s_cbranch_scc1 .LBB528_1154
; %bb.1151:
	s_cmp_gt_i32 s24, 3
	s_cbranch_scc0 .LBB528_1155
; %bb.1152:
	global_load_dwordx2 v[6:7], v[2:3], off
	s_mov_b64 s[0:1], 0
	s_waitcnt vmcnt(0)
	v_xor_b32_e32 v5, v6, v7
	v_ffbh_i32_e32 v1, v7
	v_ashrrev_i32_e32 v5, 31, v5
	v_add_u32_e32 v1, -1, v1
	v_add_u32_e32 v5, 32, v5
	v_min_u32_e32 v1, v1, v5
	v_lshlrev_b64 v[6:7], v1, v[6:7]
	v_min_u32_e32 v5, 1, v6
	v_or_b32_e32 v5, v7, v5
	v_cvt_f32_i32_e32 v5, v5
	v_sub_u32_e32 v1, 32, v1
	v_ldexp_f32 v1, v5, v1
	v_cvt_f16_f32_e32 v1, v1
	s_branch .LBB528_1156
.LBB528_1153:
                                        ; implicit-def: $vgpr1
	s_branch .LBB528_1162
.LBB528_1154:
	s_mov_b64 s[0:1], -1
                                        ; implicit-def: $vgpr1
	s_branch .LBB528_1159
.LBB528_1155:
	s_mov_b64 s[0:1], -1
                                        ; implicit-def: $vgpr1
.LBB528_1156:
	s_andn2_b64 vcc, exec, s[0:1]
	s_cbranch_vccnz .LBB528_1158
; %bb.1157:
	global_load_dword v1, v[2:3], off
	s_waitcnt vmcnt(0)
	v_cvt_f32_i32_e32 v1, v1
	v_cvt_f16_f32_e32 v1, v1
.LBB528_1158:
	s_mov_b64 s[0:1], 0
.LBB528_1159:
	s_andn2_b64 vcc, exec, s[0:1]
	s_cbranch_vccnz .LBB528_1161
; %bb.1160:
	global_load_ushort v1, v[2:3], off
	s_waitcnt vmcnt(0)
	v_cvt_f16_i16_e32 v1, v1
.LBB528_1161:
	s_cbranch_execnz .LBB528_1167
.LBB528_1162:
	s_cmp_gt_i32 s24, 0
	s_cbranch_scc0 .LBB528_1164
; %bb.1163:
	global_load_sbyte v1, v[2:3], off
	s_mov_b64 s[0:1], 0
	s_waitcnt vmcnt(0)
	v_cvt_f16_i16_e32 v1, v1
	s_branch .LBB528_1165
.LBB528_1164:
	s_mov_b64 s[0:1], -1
                                        ; implicit-def: $vgpr1
.LBB528_1165:
	s_andn2_b64 vcc, exec, s[0:1]
	s_cbranch_vccnz .LBB528_1167
; %bb.1166:
	global_load_ubyte v1, v[2:3], off
	s_waitcnt vmcnt(0)
	v_cvt_f16_u16_e32 v1, v1
.LBB528_1167:
.LBB528_1168:
	s_waitcnt vmcnt(0)
	v_cmp_o_f16_e32 vcc, v1, v1
	v_mov_b32_e32 v5, s10
	s_and_saveexec_b64 s[0:1], vcc
	s_cbranch_execz .LBB528_1172
; %bb.1169:
	s_movk_i32 s2, 0x7c00
	v_cmp_neq_f16_e32 vcc, s2, v1
	v_mov_b32_e32 v5, s44
	s_and_saveexec_b64 s[2:3], vcc
; %bb.1170:
	s_mov_b32 s18, 0xfc00
	v_mov_b32_e32 v2, s11
	v_cmp_eq_f16_e32 vcc, s18, v1
	s_nop 1
	v_cndmask_b32_e32 v5, v1, v2, vcc
; %bb.1171:
	s_or_b64 exec, exec, s[2:3]
.LBB528_1172:
	s_or_b64 exec, exec, s[0:1]
	s_lshl_b32 s9, s9, 7
	v_add_u32_e32 v0, s9, v0
	v_ashrrev_i32_e32 v1, 31, v0
	s_cmp_lt_i32 s24, 11
	v_lshl_add_u64 v[2:3], s[6:7], 0, v[0:1]
	s_cbranch_scc1 .LBB528_1179
; %bb.1173:
	s_cmp_gt_i32 s24, 25
	s_mov_b64 s[2:3], 0
	s_cbranch_scc0 .LBB528_1181
; %bb.1174:
	s_cmp_gt_i32 s24, 28
	s_cbranch_scc0 .LBB528_1182
; %bb.1175:
	s_cmp_gt_i32 s24, 43
	;; [unrolled: 3-line block ×3, first 2 shown]
	s_cbranch_scc0 .LBB528_1185
; %bb.1177:
	s_cmp_eq_u32 s24, 46
	s_mov_b64 s[20:21], 0
	s_cbranch_scc0 .LBB528_1188
; %bb.1178:
	global_load_dword v1, v[2:3], off
	s_mov_b64 s[0:1], 0
	s_mov_b64 s[18:19], -1
	s_waitcnt vmcnt(0)
	v_lshlrev_b32_e32 v1, 16, v1
	v_cvt_f16_f32_e32 v1, v1
	s_branch .LBB528_1189
.LBB528_1179:
	s_mov_b64 s[18:19], 0
                                        ; implicit-def: $vgpr1
	s_cbranch_execnz .LBB528_1254
.LBB528_1180:
	s_andn2_b64 vcc, exec, s[18:19]
	s_cbranch_vccnz .LBB528_1650
	s_branch .LBB528_1301
.LBB528_1181:
	s_mov_b64 s[18:19], 0
	s_mov_b64 s[0:1], 0
                                        ; implicit-def: $vgpr1
	s_cbranch_execnz .LBB528_1218
	s_branch .LBB528_1250
.LBB528_1182:
	s_mov_b64 s[20:21], -1
	s_mov_b64 s[18:19], 0
	s_mov_b64 s[0:1], 0
                                        ; implicit-def: $vgpr1
	s_branch .LBB528_1199
.LBB528_1183:
	s_mov_b64 s[20:21], -1
	s_mov_b64 s[18:19], 0
	s_mov_b64 s[0:1], 0
                                        ; implicit-def: $vgpr1
	s_branch .LBB528_1194
.LBB528_1184:
	s_or_b64 s[16:17], s[14:15], exec
	s_trap 2
	s_cbranch_execz .LBB528_1121
	s_branch .LBB528_1122
.LBB528_1185:
	s_mov_b64 s[20:21], -1
	s_mov_b64 s[18:19], 0
	s_mov_b64 s[0:1], 0
                                        ; implicit-def: $vgpr1
	s_branch .LBB528_1189
.LBB528_1186:
	s_andn2_saveexec_b64 s[26:27], s[26:27]
	s_cbranch_execz .LBB528_968
.LBB528_1187:
	s_mov_b32 s30, 0x42800000
	v_add_f32_e64 v4, |v3|, s30
	v_and_b32_e32 v4, 0xff, v4
	v_cmp_ne_u32_e32 vcc, 0, v4
	s_andn2_b64 s[24:25], s[24:25], exec
	s_and_b64 s[30:31], vcc, exec
	s_or_b64 s[24:25], s[24:25], s[30:31]
	s_or_b64 exec, exec, s[26:27]
	v_mov_b32_e32 v5, 0
	s_and_saveexec_b64 s[26:27], s[24:25]
	s_cbranch_execnz .LBB528_969
	s_branch .LBB528_970
.LBB528_1188:
	s_mov_b64 s[0:1], -1
                                        ; implicit-def: $vgpr1
	s_mov_b64 s[18:19], 0
.LBB528_1189:
	s_and_b64 vcc, exec, s[20:21]
	s_cbranch_vccz .LBB528_1193
; %bb.1190:
	s_cmp_eq_u32 s24, 44
	s_cbranch_scc0 .LBB528_1192
; %bb.1191:
	global_load_ubyte v1, v[2:3], off
	s_movk_i32 s18, 0xff
	v_mov_b32_e32 v7, 0x7e00
	s_mov_b64 s[0:1], 0
	s_waitcnt vmcnt(0)
	v_lshlrev_b32_e32 v6, 23, v1
	v_cvt_f16_f32_e32 v6, v6
	v_cmp_ne_u32_e32 vcc, s18, v1
	s_mov_b64 s[18:19], -1
	s_nop 0
	v_cndmask_b32_e32 v6, v7, v6, vcc
	v_cmp_ne_u32_e32 vcc, 0, v1
	s_nop 1
	v_cndmask_b32_e32 v1, 0, v6, vcc
	s_branch .LBB528_1193
.LBB528_1192:
	s_mov_b64 s[0:1], -1
                                        ; implicit-def: $vgpr1
.LBB528_1193:
	s_mov_b64 s[20:21], 0
.LBB528_1194:
	s_and_b64 vcc, exec, s[20:21]
	s_cbranch_vccz .LBB528_1198
; %bb.1195:
	s_cmp_eq_u32 s24, 29
	s_cbranch_scc0 .LBB528_1197
; %bb.1196:
	global_load_dwordx2 v[6:7], v[2:3], off
	s_mov_b64 s[0:1], 0
	s_mov_b64 s[18:19], -1
	s_mov_b64 s[20:21], 0
	s_waitcnt vmcnt(0)
	v_ffbh_u32_e32 v1, v7
	v_min_u32_e32 v1, 32, v1
	v_lshlrev_b64 v[6:7], v1, v[6:7]
	v_min_u32_e32 v6, 1, v6
	v_or_b32_e32 v6, v7, v6
	v_cvt_f32_u32_e32 v6, v6
	v_sub_u32_e32 v1, 32, v1
	v_ldexp_f32 v1, v6, v1
	v_cvt_f16_f32_e32 v1, v1
	s_branch .LBB528_1199
.LBB528_1197:
	s_mov_b64 s[0:1], -1
                                        ; implicit-def: $vgpr1
.LBB528_1198:
	s_mov_b64 s[20:21], 0
.LBB528_1199:
	s_and_b64 vcc, exec, s[20:21]
	s_cbranch_vccz .LBB528_1217
; %bb.1200:
	s_cmp_lt_i32 s24, 27
	s_cbranch_scc1 .LBB528_1203
; %bb.1201:
	s_cmp_gt_i32 s24, 27
	s_cbranch_scc0 .LBB528_1204
; %bb.1202:
	global_load_dword v1, v[2:3], off
	s_mov_b64 s[18:19], 0
	s_waitcnt vmcnt(0)
	v_cvt_f32_u32_e32 v1, v1
	v_cvt_f16_f32_e32 v1, v1
	s_branch .LBB528_1205
.LBB528_1203:
	s_mov_b64 s[18:19], -1
                                        ; implicit-def: $vgpr1
	s_branch .LBB528_1208
.LBB528_1204:
	s_mov_b64 s[18:19], -1
                                        ; implicit-def: $vgpr1
.LBB528_1205:
	s_andn2_b64 vcc, exec, s[18:19]
	s_cbranch_vccnz .LBB528_1207
; %bb.1206:
	global_load_ushort v1, v[2:3], off
	s_waitcnt vmcnt(0)
	v_cvt_f16_u16_e32 v1, v1
.LBB528_1207:
	s_mov_b64 s[18:19], 0
.LBB528_1208:
	s_andn2_b64 vcc, exec, s[18:19]
	s_cbranch_vccnz .LBB528_1216
; %bb.1209:
	global_load_ubyte v6, v[2:3], off
	s_movk_i32 s18, 0x7f
	s_waitcnt vmcnt(0)
	v_cmp_lt_i16_e32 vcc, s18, v6
	s_mov_b64 s[18:19], 0
	s_and_saveexec_b64 s[20:21], vcc
	s_xor_b64 s[20:21], exec, s[20:21]
	s_cbranch_execz .LBB528_1229
; %bb.1210:
	s_movk_i32 s18, 0x80
	v_cmp_eq_u16_e32 vcc, s18, v6
	s_mov_b64 s[18:19], -1
	s_and_saveexec_b64 s[22:23], vcc
; %bb.1211:
	s_xor_b64 s[18:19], exec, -1
; %bb.1212:
	s_or_b64 exec, exec, s[22:23]
	s_and_b64 s[18:19], s[18:19], exec
	s_or_saveexec_b64 s[20:21], s[20:21]
	v_mov_b32_e32 v1, 0x7e00
	s_xor_b64 exec, exec, s[20:21]
	s_cbranch_execnz .LBB528_1230
.LBB528_1213:
	s_or_b64 exec, exec, s[20:21]
	s_and_saveexec_b64 s[20:21], s[18:19]
	s_cbranch_execz .LBB528_1215
.LBB528_1214:
	v_lshlrev_b32_e32 v1, 24, v6
	v_and_b32_e32 v6, 0xffff, v6
	v_and_b32_e32 v7, 7, v6
	v_ffbh_u32_e32 v9, v7
	v_min_u32_e32 v9, 32, v9
	v_subrev_u32_e32 v10, 28, v9
	v_bfe_u32 v8, v6, 3, 4
	v_lshlrev_b32_e32 v6, v10, v6
	v_sub_u32_e32 v9, 29, v9
	v_and_b32_e32 v6, 7, v6
	v_cmp_eq_u32_e32 vcc, 0, v8
	v_and_b32_e32 v1, 0x80000000, v1
	s_nop 0
	v_cndmask_b32_e32 v8, v8, v9, vcc
	v_cndmask_b32_e32 v6, v7, v6, vcc
	v_mov_b32_e32 v7, 0x3b800000
	v_lshlrev_b32_e32 v6, 20, v6
	v_lshl_add_u32 v7, v8, 23, v7
	v_or3_b32 v1, v1, v7, v6
	v_cvt_f16_f32_e32 v1, v1
.LBB528_1215:
	s_or_b64 exec, exec, s[20:21]
.LBB528_1216:
	s_mov_b64 s[18:19], -1
.LBB528_1217:
	s_branch .LBB528_1250
.LBB528_1218:
	s_cmp_gt_i32 s24, 22
	s_cbranch_scc0 .LBB528_1228
; %bb.1219:
	s_cmp_lt_i32 s24, 24
	s_cbranch_scc1 .LBB528_1231
; %bb.1220:
	s_cmp_gt_i32 s24, 24
	s_cbranch_scc0 .LBB528_1232
; %bb.1221:
	global_load_ubyte v6, v[2:3], off
	s_movk_i32 s2, 0x7f
	s_waitcnt vmcnt(0)
	v_cmp_lt_i16_e32 vcc, s2, v6
	s_mov_b64 s[2:3], 0
	s_and_saveexec_b64 s[18:19], vcc
	s_xor_b64 s[18:19], exec, s[18:19]
	s_cbranch_execz .LBB528_1244
; %bb.1222:
	s_movk_i32 s2, 0x80
	v_cmp_eq_u16_e32 vcc, s2, v6
	s_mov_b64 s[2:3], -1
	s_and_saveexec_b64 s[20:21], vcc
; %bb.1223:
	s_xor_b64 s[2:3], exec, -1
; %bb.1224:
	s_or_b64 exec, exec, s[20:21]
	s_and_b64 s[2:3], s[2:3], exec
	s_or_saveexec_b64 s[18:19], s[18:19]
	v_mov_b32_e32 v1, 0x7e00
	s_xor_b64 exec, exec, s[18:19]
	s_cbranch_execnz .LBB528_1245
.LBB528_1225:
	s_or_b64 exec, exec, s[18:19]
	s_and_saveexec_b64 s[18:19], s[2:3]
	s_cbranch_execz .LBB528_1227
.LBB528_1226:
	v_lshlrev_b32_e32 v1, 24, v6
	v_and_b32_e32 v6, 0xffff, v6
	v_and_b32_e32 v7, 3, v6
	v_ffbh_u32_e32 v9, v7
	v_min_u32_e32 v9, 32, v9
	v_subrev_u32_e32 v10, 29, v9
	v_bfe_u32 v8, v6, 2, 5
	v_lshlrev_b32_e32 v6, v10, v6
	v_sub_u32_e32 v9, 30, v9
	v_and_b32_e32 v6, 3, v6
	v_cmp_eq_u32_e32 vcc, 0, v8
	v_and_b32_e32 v1, 0x80000000, v1
	s_nop 0
	v_cndmask_b32_e32 v8, v8, v9, vcc
	v_cndmask_b32_e32 v6, v7, v6, vcc
	v_mov_b32_e32 v7, 0x37800000
	v_lshlrev_b32_e32 v6, 21, v6
	v_lshl_add_u32 v7, v8, 23, v7
	v_or3_b32 v1, v1, v7, v6
	v_cvt_f16_f32_e32 v1, v1
.LBB528_1227:
	s_or_b64 exec, exec, s[18:19]
	s_mov_b64 s[2:3], 0
	s_branch .LBB528_1233
.LBB528_1228:
	s_mov_b64 s[2:3], -1
                                        ; implicit-def: $vgpr1
	s_branch .LBB528_1239
.LBB528_1229:
	s_or_saveexec_b64 s[20:21], s[20:21]
	v_mov_b32_e32 v1, 0x7e00
	s_xor_b64 exec, exec, s[20:21]
	s_cbranch_execz .LBB528_1213
.LBB528_1230:
	v_cmp_ne_u16_e32 vcc, 0, v6
	s_andn2_b64 s[18:19], s[18:19], exec
	s_and_b64 s[22:23], vcc, exec
	s_or_b64 s[18:19], s[18:19], s[22:23]
	v_mov_b32_e32 v1, v6
	s_or_b64 exec, exec, s[20:21]
	s_and_saveexec_b64 s[20:21], s[18:19]
	s_cbranch_execnz .LBB528_1214
	s_branch .LBB528_1215
.LBB528_1231:
	s_mov_b64 s[2:3], -1
                                        ; implicit-def: $vgpr1
	s_branch .LBB528_1236
.LBB528_1232:
	s_mov_b64 s[2:3], -1
                                        ; implicit-def: $vgpr1
.LBB528_1233:
	s_and_b64 vcc, exec, s[2:3]
	s_cbranch_vccz .LBB528_1235
; %bb.1234:
	global_load_ubyte v1, v[2:3], off
	s_mov_b32 s2, 0x7f800000
	s_waitcnt vmcnt(0)
	v_lshlrev_b32_e32 v1, 24, v1
	v_and_b32_e32 v6, 0x7f000000, v1
	v_ffbh_u32_e32 v7, v6
	v_min_u32_e32 v7, 32, v7
	v_sub_u32_e64 v7, v7, 4 clamp
	v_lshlrev_b32_e32 v9, v7, v6
	v_lshlrev_b32_e32 v7, 23, v7
	v_lshrrev_b32_e32 v9, 4, v9
	v_add_u32_e32 v8, 0x1000000, v6
	v_sub_u32_e32 v7, v9, v7
	v_ashrrev_i32_e32 v8, 8, v8
	v_add_u32_e32 v7, 0x3c000000, v7
	v_and_or_b32 v7, v8, s2, v7
	v_cmp_ne_u32_e32 vcc, 0, v6
	s_brev_b32 s2, 1
	s_nop 0
	v_cndmask_b32_e32 v6, 0, v7, vcc
	v_and_or_b32 v1, v1, s2, v6
	v_cvt_f16_f32_e32 v1, v1
.LBB528_1235:
	s_mov_b64 s[2:3], 0
.LBB528_1236:
	s_andn2_b64 vcc, exec, s[2:3]
	s_cbranch_vccnz .LBB528_1238
; %bb.1237:
	global_load_ubyte v1, v[2:3], off
	s_movk_i32 s2, 0x7f00
	s_brev_b32 s3, 16
	s_waitcnt vmcnt(0)
	v_lshlrev_b16_e32 v6, 8, v1
	v_lshlrev_b32_e32 v1, 25, v1
	v_lshrrev_b32_e32 v7, 4, v1
	v_and_or_b32 v8, v6, s2, 0.5
	v_or_b32_e32 v7, 0x70000000, v7
	v_add_f32_e32 v8, -0.5, v8
	v_mul_f32_e32 v7, 0x7800000, v7
	v_cmp_gt_u32_e32 vcc, s3, v1
	v_bfe_i32 v6, v6, 0, 16
	s_brev_b32 s2, 1
	v_cndmask_b32_e32 v1, v7, v8, vcc
	v_and_or_b32 v1, v6, s2, v1
	v_cvt_f16_f32_e32 v1, v1
.LBB528_1238:
	s_mov_b64 s[2:3], 0
	s_mov_b64 s[18:19], -1
.LBB528_1239:
	s_andn2_b64 vcc, exec, s[2:3]
	s_mov_b64 s[2:3], 0
	s_cbranch_vccnz .LBB528_1250
; %bb.1240:
	s_cmp_gt_i32 s24, 14
	s_cbranch_scc0 .LBB528_1243
; %bb.1241:
	s_cmp_eq_u32 s24, 15
	s_cbranch_scc0 .LBB528_1246
; %bb.1242:
	global_load_ushort v1, v[2:3], off
	s_mov_b64 s[0:1], 0
	s_mov_b64 s[18:19], -1
	s_waitcnt vmcnt(0)
	v_lshlrev_b32_e32 v1, 16, v1
	v_cvt_f16_f32_e32 v1, v1
	s_branch .LBB528_1247
.LBB528_1243:
	s_mov_b64 s[20:21], -1
                                        ; implicit-def: $vgpr1
	s_branch .LBB528_1248
.LBB528_1244:
	s_or_saveexec_b64 s[18:19], s[18:19]
	v_mov_b32_e32 v1, 0x7e00
	s_xor_b64 exec, exec, s[18:19]
	s_cbranch_execz .LBB528_1225
.LBB528_1245:
	v_cmp_ne_u16_e32 vcc, 0, v6
	s_andn2_b64 s[2:3], s[2:3], exec
	s_and_b64 s[20:21], vcc, exec
	s_or_b64 s[2:3], s[2:3], s[20:21]
	v_mov_b32_e32 v1, v6
	s_or_b64 exec, exec, s[18:19]
	s_and_saveexec_b64 s[18:19], s[2:3]
	s_cbranch_execnz .LBB528_1226
	s_branch .LBB528_1227
.LBB528_1246:
	s_mov_b64 s[0:1], -1
                                        ; implicit-def: $vgpr1
.LBB528_1247:
	s_mov_b64 s[20:21], 0
.LBB528_1248:
	s_and_b64 vcc, exec, s[20:21]
	s_cbranch_vccz .LBB528_1250
; %bb.1249:
	s_cmp_lg_u32 s24, 11
	s_mov_b64 s[2:3], -1
	s_cselect_b64 s[0:1], -1, 0
.LBB528_1250:
	s_and_b64 vcc, exec, s[0:1]
	s_cbranch_vccnz .LBB528_1317
; %bb.1251:
	s_andn2_b64 vcc, exec, s[2:3]
	s_cbranch_vccnz .LBB528_1253
.LBB528_1252:
	global_load_ubyte v1, v[2:3], off
	v_mov_b32_e32 v6, 0x3c00
	s_mov_b64 s[18:19], -1
	s_waitcnt vmcnt(0)
	v_cmp_ne_u16_e32 vcc, 0, v1
	s_nop 1
	v_cndmask_b32_e32 v1, 0, v6, vcc
.LBB528_1253:
	s_branch .LBB528_1180
.LBB528_1254:
	s_cmp_lt_i32 s24, 5
	s_cbranch_scc1 .LBB528_1259
; %bb.1255:
	s_cmp_lt_i32 s24, 8
	s_cbranch_scc1 .LBB528_1260
; %bb.1256:
	;; [unrolled: 3-line block ×3, first 2 shown]
	s_cmp_gt_i32 s24, 9
	s_cbranch_scc0 .LBB528_1262
; %bb.1258:
	global_load_dwordx2 v[6:7], v[2:3], off
	s_movk_i32 s0, 0x1ff
	s_movk_i32 s1, 0xffe
	v_mov_b32_e32 v1, 0x7c00
	v_mov_b32_e32 v8, 0x7e00
	s_movk_i32 s2, 0x40f
	s_mov_b32 s3, 0x8000
	s_waitcnt vmcnt(0)
	v_and_or_b32 v6, v7, s0, v6
	v_cmp_ne_u32_e32 vcc, 0, v6
	v_lshrrev_b32_e32 v9, 8, v7
	v_bfe_u32 v10, v7, 20, 11
	v_cndmask_b32_e64 v6, 0, 1, vcc
	v_sub_u32_e32 v11, 0x3f1, v10
	v_and_or_b32 v6, v9, s1, v6
	v_add_u32_e32 v10, 0xfffffc10, v10
	v_med3_i32 v9, v11, 0, 13
	v_or_b32_e32 v11, 0x1000, v6
	v_cmp_ne_u32_e32 vcc, 0, v6
	v_lshl_or_b32 v12, v10, 12, v6
	v_lshrrev_b32_e32 v7, 16, v7
	v_cndmask_b32_e32 v6, v1, v8, vcc
	v_lshrrev_b32_e32 v8, v9, v11
	v_lshlrev_b32_e32 v9, v9, v8
	v_cmp_ne_u32_e32 vcc, v9, v11
	s_mov_b64 s[0:1], 0
	s_nop 0
	v_cndmask_b32_e64 v9, 0, 1, vcc
	v_or_b32_e32 v8, v8, v9
	v_cmp_gt_i32_e32 vcc, 1, v10
	s_nop 1
	v_cndmask_b32_e32 v8, v12, v8, vcc
	v_and_b32_e32 v9, 7, v8
	v_cmp_lt_i32_e32 vcc, 5, v9
	v_lshrrev_b32_e32 v8, 2, v8
	s_nop 0
	v_cndmask_b32_e64 v11, 0, 1, vcc
	v_cmp_eq_u32_e32 vcc, 3, v9
	s_nop 1
	v_cndmask_b32_e64 v9, 0, 1, vcc
	v_or_b32_e32 v9, v9, v11
	v_add_u32_e32 v8, v8, v9
	v_cmp_gt_i32_e32 vcc, 31, v10
	s_nop 1
	v_cndmask_b32_e32 v1, v1, v8, vcc
	v_cmp_eq_u32_e32 vcc, s2, v10
	s_nop 1
	v_cndmask_b32_e32 v1, v1, v6, vcc
	v_and_or_b32 v1, v7, s3, v1
	s_branch .LBB528_1263
.LBB528_1259:
                                        ; implicit-def: $vgpr1
	s_branch .LBB528_1281
.LBB528_1260:
	s_mov_b64 s[0:1], -1
                                        ; implicit-def: $vgpr1
	s_branch .LBB528_1269
.LBB528_1261:
	s_mov_b64 s[0:1], -1
                                        ; implicit-def: $vgpr1
	s_branch .LBB528_1266
.LBB528_1262:
	s_mov_b64 s[0:1], -1
                                        ; implicit-def: $vgpr1
.LBB528_1263:
	s_andn2_b64 vcc, exec, s[0:1]
	s_cbranch_vccnz .LBB528_1265
; %bb.1264:
	global_load_dword v1, v[2:3], off
	s_waitcnt vmcnt(0)
	v_cvt_f16_f32_e32 v1, v1
.LBB528_1265:
	s_mov_b64 s[0:1], 0
.LBB528_1266:
	s_andn2_b64 vcc, exec, s[0:1]
	s_cbranch_vccnz .LBB528_1268
; %bb.1267:
	global_load_dword v1, v[2:3], off
.LBB528_1268:
	s_mov_b64 s[0:1], 0
.LBB528_1269:
	s_andn2_b64 vcc, exec, s[0:1]
	s_cbranch_vccnz .LBB528_1280
; %bb.1270:
	s_cmp_lt_i32 s24, 6
	s_cbranch_scc1 .LBB528_1273
; %bb.1271:
	s_cmp_gt_i32 s24, 6
	s_cbranch_scc0 .LBB528_1274
; %bb.1272:
	global_load_dwordx2 v[6:7], v[2:3], off
	s_movk_i32 s0, 0x1ff
	s_movk_i32 s1, 0xffe
	s_waitcnt vmcnt(1)
	v_mov_b32_e32 v1, 0x7c00
	v_mov_b32_e32 v8, 0x7e00
	s_movk_i32 s2, 0x40f
	s_mov_b32 s3, 0x8000
	s_waitcnt vmcnt(0)
	v_and_or_b32 v6, v7, s0, v6
	v_cmp_ne_u32_e32 vcc, 0, v6
	v_lshrrev_b32_e32 v9, 8, v7
	v_bfe_u32 v10, v7, 20, 11
	v_cndmask_b32_e64 v6, 0, 1, vcc
	v_sub_u32_e32 v11, 0x3f1, v10
	v_and_or_b32 v6, v9, s1, v6
	v_add_u32_e32 v10, 0xfffffc10, v10
	v_med3_i32 v9, v11, 0, 13
	v_or_b32_e32 v11, 0x1000, v6
	v_cmp_ne_u32_e32 vcc, 0, v6
	v_lshl_or_b32 v12, v10, 12, v6
	v_lshrrev_b32_e32 v7, 16, v7
	v_cndmask_b32_e32 v6, v1, v8, vcc
	v_lshrrev_b32_e32 v8, v9, v11
	v_lshlrev_b32_e32 v9, v9, v8
	v_cmp_ne_u32_e32 vcc, v9, v11
	s_mov_b64 s[0:1], 0
	s_nop 0
	v_cndmask_b32_e64 v9, 0, 1, vcc
	v_or_b32_e32 v8, v8, v9
	v_cmp_gt_i32_e32 vcc, 1, v10
	s_nop 1
	v_cndmask_b32_e32 v8, v12, v8, vcc
	v_and_b32_e32 v9, 7, v8
	v_cmp_lt_i32_e32 vcc, 5, v9
	v_lshrrev_b32_e32 v8, 2, v8
	s_nop 0
	v_cndmask_b32_e64 v11, 0, 1, vcc
	v_cmp_eq_u32_e32 vcc, 3, v9
	s_nop 1
	v_cndmask_b32_e64 v9, 0, 1, vcc
	v_or_b32_e32 v9, v9, v11
	v_add_u32_e32 v8, v8, v9
	v_cmp_gt_i32_e32 vcc, 31, v10
	s_nop 1
	v_cndmask_b32_e32 v1, v1, v8, vcc
	v_cmp_eq_u32_e32 vcc, s2, v10
	s_nop 1
	v_cndmask_b32_e32 v1, v1, v6, vcc
	v_and_or_b32 v1, v7, s3, v1
	s_branch .LBB528_1275
.LBB528_1273:
	s_mov_b64 s[0:1], -1
                                        ; implicit-def: $vgpr1
	s_branch .LBB528_1278
.LBB528_1274:
	s_mov_b64 s[0:1], -1
                                        ; implicit-def: $vgpr1
.LBB528_1275:
	s_andn2_b64 vcc, exec, s[0:1]
	s_cbranch_vccnz .LBB528_1277
; %bb.1276:
	global_load_dword v1, v[2:3], off
	s_waitcnt vmcnt(0)
	v_cvt_f16_f32_e32 v1, v1
.LBB528_1277:
	s_mov_b64 s[0:1], 0
.LBB528_1278:
	s_andn2_b64 vcc, exec, s[0:1]
	s_cbranch_vccnz .LBB528_1280
; %bb.1279:
	global_load_ushort v1, v[2:3], off
.LBB528_1280:
	s_cbranch_execnz .LBB528_1300
.LBB528_1281:
	s_cmp_lt_i32 s24, 2
	s_cbranch_scc1 .LBB528_1285
; %bb.1282:
	s_cmp_lt_i32 s24, 3
	s_cbranch_scc1 .LBB528_1286
; %bb.1283:
	s_cmp_gt_i32 s24, 3
	s_cbranch_scc0 .LBB528_1287
; %bb.1284:
	global_load_dwordx2 v[6:7], v[2:3], off
	s_mov_b64 s[0:1], 0
	s_waitcnt vmcnt(0)
	v_xor_b32_e32 v8, v6, v7
	v_ffbh_i32_e32 v1, v7
	v_ashrrev_i32_e32 v8, 31, v8
	v_add_u32_e32 v1, -1, v1
	v_add_u32_e32 v8, 32, v8
	v_min_u32_e32 v1, v1, v8
	v_lshlrev_b64 v[6:7], v1, v[6:7]
	v_min_u32_e32 v6, 1, v6
	v_or_b32_e32 v6, v7, v6
	v_cvt_f32_i32_e32 v6, v6
	v_sub_u32_e32 v1, 32, v1
	v_ldexp_f32 v1, v6, v1
	v_cvt_f16_f32_e32 v1, v1
	s_branch .LBB528_1288
.LBB528_1285:
	s_mov_b64 s[0:1], -1
                                        ; implicit-def: $vgpr1
	s_branch .LBB528_1294
.LBB528_1286:
	s_mov_b64 s[0:1], -1
                                        ; implicit-def: $vgpr1
	s_branch .LBB528_1291
.LBB528_1287:
	s_mov_b64 s[0:1], -1
                                        ; implicit-def: $vgpr1
.LBB528_1288:
	s_andn2_b64 vcc, exec, s[0:1]
	s_cbranch_vccnz .LBB528_1290
; %bb.1289:
	global_load_dword v1, v[2:3], off
	s_waitcnt vmcnt(0)
	v_cvt_f32_i32_e32 v1, v1
	v_cvt_f16_f32_e32 v1, v1
.LBB528_1290:
	s_mov_b64 s[0:1], 0
.LBB528_1291:
	s_andn2_b64 vcc, exec, s[0:1]
	s_cbranch_vccnz .LBB528_1293
; %bb.1292:
	global_load_ushort v1, v[2:3], off
	s_waitcnt vmcnt(0)
	v_cvt_f16_i16_e32 v1, v1
.LBB528_1293:
	s_mov_b64 s[0:1], 0
.LBB528_1294:
	s_andn2_b64 vcc, exec, s[0:1]
	s_cbranch_vccnz .LBB528_1300
; %bb.1295:
	s_cmp_gt_i32 s24, 0
	s_cbranch_scc0 .LBB528_1297
; %bb.1296:
	global_load_sbyte v1, v[2:3], off
	s_mov_b64 s[0:1], 0
	s_waitcnt vmcnt(0)
	v_cvt_f16_i16_e32 v1, v1
	s_branch .LBB528_1298
.LBB528_1297:
	s_mov_b64 s[0:1], -1
                                        ; implicit-def: $vgpr1
.LBB528_1298:
	s_andn2_b64 vcc, exec, s[0:1]
	s_cbranch_vccnz .LBB528_1300
; %bb.1299:
	global_load_ubyte v1, v[2:3], off
	s_waitcnt vmcnt(0)
	v_cvt_f16_u16_e32 v1, v1
.LBB528_1300:
.LBB528_1301:
	s_waitcnt vmcnt(0)
	v_cmp_o_f16_e32 vcc, v1, v1
	v_mov_b32_e32 v6, s10
	s_and_saveexec_b64 s[0:1], vcc
	s_cbranch_execz .LBB528_1305
; %bb.1302:
	s_movk_i32 s2, 0x7c00
	v_cmp_neq_f16_e32 vcc, s2, v1
	v_mov_b32_e32 v6, s44
	s_and_saveexec_b64 s[2:3], vcc
; %bb.1303:
	s_mov_b32 s18, 0xfc00
	v_mov_b32_e32 v2, s11
	v_cmp_eq_f16_e32 vcc, s18, v1
	s_nop 1
	v_cndmask_b32_e32 v6, v1, v2, vcc
; %bb.1304:
	s_or_b64 exec, exec, s[2:3]
.LBB528_1305:
	s_or_b64 exec, exec, s[0:1]
	v_add_u32_e32 v0, s9, v0
	v_ashrrev_i32_e32 v1, 31, v0
	s_cmp_lt_i32 s24, 11
	v_lshl_add_u64 v[2:3], s[6:7], 0, v[0:1]
	s_cbranch_scc1 .LBB528_1312
; %bb.1306:
	s_cmp_gt_i32 s24, 25
	s_mov_b64 s[2:3], 0
	s_cbranch_scc0 .LBB528_1314
; %bb.1307:
	s_cmp_gt_i32 s24, 28
	s_cbranch_scc0 .LBB528_1315
; %bb.1308:
	s_cmp_gt_i32 s24, 43
	;; [unrolled: 3-line block ×3, first 2 shown]
	s_cbranch_scc0 .LBB528_1318
; %bb.1310:
	s_cmp_eq_u32 s24, 46
	s_mov_b64 s[20:21], 0
	s_cbranch_scc0 .LBB528_1319
; %bb.1311:
	global_load_dword v1, v[2:3], off
	s_mov_b64 s[0:1], 0
	s_mov_b64 s[18:19], -1
	s_waitcnt vmcnt(0)
	v_lshlrev_b32_e32 v1, 16, v1
	v_cvt_f16_f32_e32 v1, v1
	s_branch .LBB528_1320
.LBB528_1312:
	s_mov_b64 s[18:19], 0
                                        ; implicit-def: $vgpr1
	s_cbranch_execnz .LBB528_1386
.LBB528_1313:
	s_andn2_b64 vcc, exec, s[18:19]
	s_cbranch_vccnz .LBB528_1650
	s_branch .LBB528_1434
.LBB528_1314:
	s_mov_b64 s[20:21], -1
	s_mov_b64 s[18:19], 0
	s_mov_b64 s[0:1], 0
                                        ; implicit-def: $vgpr1
	s_branch .LBB528_1349
.LBB528_1315:
	s_mov_b64 s[20:21], -1
	s_mov_b64 s[18:19], 0
	s_mov_b64 s[0:1], 0
                                        ; implicit-def: $vgpr1
	s_branch .LBB528_1330
.LBB528_1316:
	s_mov_b64 s[20:21], -1
	s_mov_b64 s[18:19], 0
	s_mov_b64 s[0:1], 0
                                        ; implicit-def: $vgpr1
	s_branch .LBB528_1325
.LBB528_1317:
	s_trap 2
	s_or_b64 s[16:17], s[16:17], exec
	s_cbranch_execz .LBB528_1252
	s_branch .LBB528_1253
.LBB528_1318:
	s_mov_b64 s[20:21], -1
	s_mov_b64 s[18:19], 0
	s_mov_b64 s[0:1], 0
                                        ; implicit-def: $vgpr1
	s_branch .LBB528_1320
.LBB528_1319:
	s_mov_b64 s[0:1], -1
                                        ; implicit-def: $vgpr1
	s_mov_b64 s[18:19], 0
.LBB528_1320:
	s_and_b64 vcc, exec, s[20:21]
	s_cbranch_vccz .LBB528_1324
; %bb.1321:
	s_cmp_eq_u32 s24, 44
	s_cbranch_scc0 .LBB528_1323
; %bb.1322:
	global_load_ubyte v1, v[2:3], off
	s_movk_i32 s18, 0xff
	v_mov_b32_e32 v8, 0x7e00
	s_mov_b64 s[0:1], 0
	s_waitcnt vmcnt(0)
	v_lshlrev_b32_e32 v7, 23, v1
	v_cvt_f16_f32_e32 v7, v7
	v_cmp_ne_u32_e32 vcc, s18, v1
	s_mov_b64 s[18:19], -1
	s_nop 0
	v_cndmask_b32_e32 v7, v8, v7, vcc
	v_cmp_ne_u32_e32 vcc, 0, v1
	s_nop 1
	v_cndmask_b32_e32 v1, 0, v7, vcc
	s_branch .LBB528_1324
.LBB528_1323:
	s_mov_b64 s[0:1], -1
                                        ; implicit-def: $vgpr1
.LBB528_1324:
	s_mov_b64 s[20:21], 0
.LBB528_1325:
	s_and_b64 vcc, exec, s[20:21]
	s_cbranch_vccz .LBB528_1329
; %bb.1326:
	s_cmp_eq_u32 s24, 29
	s_cbranch_scc0 .LBB528_1328
; %bb.1327:
	global_load_dwordx2 v[8:9], v[2:3], off
	s_mov_b64 s[0:1], 0
	s_mov_b64 s[18:19], -1
	s_mov_b64 s[20:21], 0
	s_waitcnt vmcnt(0)
	v_ffbh_u32_e32 v1, v9
	v_min_u32_e32 v1, 32, v1
	v_lshlrev_b64 v[8:9], v1, v[8:9]
	v_min_u32_e32 v7, 1, v8
	v_or_b32_e32 v7, v9, v7
	v_cvt_f32_u32_e32 v7, v7
	v_sub_u32_e32 v1, 32, v1
	v_ldexp_f32 v1, v7, v1
	v_cvt_f16_f32_e32 v1, v1
	s_branch .LBB528_1330
.LBB528_1328:
	s_mov_b64 s[0:1], -1
                                        ; implicit-def: $vgpr1
.LBB528_1329:
	s_mov_b64 s[20:21], 0
.LBB528_1330:
	s_and_b64 vcc, exec, s[20:21]
	s_cbranch_vccz .LBB528_1348
; %bb.1331:
	s_cmp_lt_i32 s24, 27
	s_cbranch_scc1 .LBB528_1334
; %bb.1332:
	s_cmp_gt_i32 s24, 27
	s_cbranch_scc0 .LBB528_1335
; %bb.1333:
	global_load_dword v1, v[2:3], off
	s_mov_b64 s[18:19], 0
	s_waitcnt vmcnt(0)
	v_cvt_f32_u32_e32 v1, v1
	v_cvt_f16_f32_e32 v1, v1
	s_branch .LBB528_1336
.LBB528_1334:
	s_mov_b64 s[18:19], -1
                                        ; implicit-def: $vgpr1
	s_branch .LBB528_1339
.LBB528_1335:
	s_mov_b64 s[18:19], -1
                                        ; implicit-def: $vgpr1
.LBB528_1336:
	s_andn2_b64 vcc, exec, s[18:19]
	s_cbranch_vccnz .LBB528_1338
; %bb.1337:
	global_load_ushort v1, v[2:3], off
	s_waitcnt vmcnt(0)
	v_cvt_f16_u16_e32 v1, v1
.LBB528_1338:
	s_mov_b64 s[18:19], 0
.LBB528_1339:
	s_andn2_b64 vcc, exec, s[18:19]
	s_cbranch_vccnz .LBB528_1347
; %bb.1340:
	global_load_ubyte v7, v[2:3], off
	s_movk_i32 s18, 0x7f
	s_waitcnt vmcnt(0)
	v_cmp_lt_i16_e32 vcc, s18, v7
	s_mov_b64 s[18:19], 0
	s_and_saveexec_b64 s[20:21], vcc
	s_xor_b64 s[20:21], exec, s[20:21]
	s_cbranch_execz .LBB528_1361
; %bb.1341:
	s_movk_i32 s18, 0x80
	v_cmp_eq_u16_e32 vcc, s18, v7
	s_mov_b64 s[18:19], -1
	s_and_saveexec_b64 s[22:23], vcc
; %bb.1342:
	s_xor_b64 s[18:19], exec, -1
; %bb.1343:
	s_or_b64 exec, exec, s[22:23]
	s_and_b64 s[18:19], s[18:19], exec
	s_or_saveexec_b64 s[20:21], s[20:21]
	v_mov_b32_e32 v1, 0x7e00
	s_xor_b64 exec, exec, s[20:21]
	s_cbranch_execnz .LBB528_1362
.LBB528_1344:
	s_or_b64 exec, exec, s[20:21]
	s_and_saveexec_b64 s[20:21], s[18:19]
	s_cbranch_execz .LBB528_1346
.LBB528_1345:
	v_lshlrev_b32_e32 v1, 24, v7
	v_and_b32_e32 v7, 0xffff, v7
	v_and_b32_e32 v8, 7, v7
	v_ffbh_u32_e32 v10, v8
	v_min_u32_e32 v10, 32, v10
	v_subrev_u32_e32 v11, 28, v10
	v_bfe_u32 v9, v7, 3, 4
	v_lshlrev_b32_e32 v7, v11, v7
	v_sub_u32_e32 v10, 29, v10
	v_and_b32_e32 v7, 7, v7
	v_cmp_eq_u32_e32 vcc, 0, v9
	v_and_b32_e32 v1, 0x80000000, v1
	s_nop 0
	v_cndmask_b32_e32 v9, v9, v10, vcc
	v_cndmask_b32_e32 v7, v8, v7, vcc
	v_mov_b32_e32 v8, 0x3b800000
	v_lshlrev_b32_e32 v7, 20, v7
	v_lshl_add_u32 v8, v9, 23, v8
	v_or3_b32 v1, v1, v8, v7
	v_cvt_f16_f32_e32 v1, v1
.LBB528_1346:
	s_or_b64 exec, exec, s[20:21]
.LBB528_1347:
	s_mov_b64 s[18:19], -1
.LBB528_1348:
	s_mov_b64 s[20:21], 0
.LBB528_1349:
	s_and_b64 vcc, exec, s[20:21]
	s_cbranch_vccz .LBB528_1382
; %bb.1350:
	s_cmp_gt_i32 s24, 22
	s_cbranch_scc0 .LBB528_1360
; %bb.1351:
	s_cmp_lt_i32 s24, 24
	s_cbranch_scc1 .LBB528_1363
; %bb.1352:
	s_cmp_gt_i32 s24, 24
	s_cbranch_scc0 .LBB528_1364
; %bb.1353:
	global_load_ubyte v7, v[2:3], off
	s_movk_i32 s2, 0x7f
	s_waitcnt vmcnt(0)
	v_cmp_lt_i16_e32 vcc, s2, v7
	s_mov_b64 s[2:3], 0
	s_and_saveexec_b64 s[18:19], vcc
	s_xor_b64 s[18:19], exec, s[18:19]
	s_cbranch_execz .LBB528_1376
; %bb.1354:
	s_movk_i32 s2, 0x80
	v_cmp_eq_u16_e32 vcc, s2, v7
	s_mov_b64 s[2:3], -1
	s_and_saveexec_b64 s[20:21], vcc
; %bb.1355:
	s_xor_b64 s[2:3], exec, -1
; %bb.1356:
	s_or_b64 exec, exec, s[20:21]
	s_and_b64 s[2:3], s[2:3], exec
	s_or_saveexec_b64 s[18:19], s[18:19]
	v_mov_b32_e32 v1, 0x7e00
	s_xor_b64 exec, exec, s[18:19]
	s_cbranch_execnz .LBB528_1377
.LBB528_1357:
	s_or_b64 exec, exec, s[18:19]
	s_and_saveexec_b64 s[18:19], s[2:3]
	s_cbranch_execz .LBB528_1359
.LBB528_1358:
	v_lshlrev_b32_e32 v1, 24, v7
	v_and_b32_e32 v7, 0xffff, v7
	v_and_b32_e32 v8, 3, v7
	v_ffbh_u32_e32 v10, v8
	v_min_u32_e32 v10, 32, v10
	v_subrev_u32_e32 v11, 29, v10
	v_bfe_u32 v9, v7, 2, 5
	v_lshlrev_b32_e32 v7, v11, v7
	v_sub_u32_e32 v10, 30, v10
	v_and_b32_e32 v7, 3, v7
	v_cmp_eq_u32_e32 vcc, 0, v9
	v_and_b32_e32 v1, 0x80000000, v1
	s_nop 0
	v_cndmask_b32_e32 v9, v9, v10, vcc
	v_cndmask_b32_e32 v7, v8, v7, vcc
	v_mov_b32_e32 v8, 0x37800000
	v_lshlrev_b32_e32 v7, 21, v7
	v_lshl_add_u32 v8, v9, 23, v8
	v_or3_b32 v1, v1, v8, v7
	v_cvt_f16_f32_e32 v1, v1
.LBB528_1359:
	s_or_b64 exec, exec, s[18:19]
	s_mov_b64 s[2:3], 0
	s_branch .LBB528_1365
.LBB528_1360:
	s_mov_b64 s[2:3], -1
                                        ; implicit-def: $vgpr1
	s_branch .LBB528_1371
.LBB528_1361:
	s_or_saveexec_b64 s[20:21], s[20:21]
	v_mov_b32_e32 v1, 0x7e00
	s_xor_b64 exec, exec, s[20:21]
	s_cbranch_execz .LBB528_1344
.LBB528_1362:
	v_cmp_ne_u16_e32 vcc, 0, v7
	s_andn2_b64 s[18:19], s[18:19], exec
	s_and_b64 s[22:23], vcc, exec
	s_or_b64 s[18:19], s[18:19], s[22:23]
	v_mov_b32_e32 v1, v7
	s_or_b64 exec, exec, s[20:21]
	s_and_saveexec_b64 s[20:21], s[18:19]
	s_cbranch_execnz .LBB528_1345
	s_branch .LBB528_1346
.LBB528_1363:
	s_mov_b64 s[2:3], -1
                                        ; implicit-def: $vgpr1
	s_branch .LBB528_1368
.LBB528_1364:
	s_mov_b64 s[2:3], -1
                                        ; implicit-def: $vgpr1
.LBB528_1365:
	s_and_b64 vcc, exec, s[2:3]
	s_cbranch_vccz .LBB528_1367
; %bb.1366:
	global_load_ubyte v1, v[2:3], off
	s_mov_b32 s2, 0x7f800000
	s_waitcnt vmcnt(0)
	v_lshlrev_b32_e32 v1, 24, v1
	v_and_b32_e32 v7, 0x7f000000, v1
	v_ffbh_u32_e32 v8, v7
	v_min_u32_e32 v8, 32, v8
	v_sub_u32_e64 v8, v8, 4 clamp
	v_lshlrev_b32_e32 v10, v8, v7
	v_lshlrev_b32_e32 v8, 23, v8
	v_lshrrev_b32_e32 v10, 4, v10
	v_add_u32_e32 v9, 0x1000000, v7
	v_sub_u32_e32 v8, v10, v8
	v_ashrrev_i32_e32 v9, 8, v9
	v_add_u32_e32 v8, 0x3c000000, v8
	v_and_or_b32 v8, v9, s2, v8
	v_cmp_ne_u32_e32 vcc, 0, v7
	s_brev_b32 s2, 1
	s_nop 0
	v_cndmask_b32_e32 v7, 0, v8, vcc
	v_and_or_b32 v1, v1, s2, v7
	v_cvt_f16_f32_e32 v1, v1
.LBB528_1367:
	s_mov_b64 s[2:3], 0
.LBB528_1368:
	s_andn2_b64 vcc, exec, s[2:3]
	s_cbranch_vccnz .LBB528_1370
; %bb.1369:
	global_load_ubyte v1, v[2:3], off
	s_movk_i32 s2, 0x7f00
	s_brev_b32 s3, 16
	s_waitcnt vmcnt(0)
	v_lshlrev_b16_e32 v7, 8, v1
	v_lshlrev_b32_e32 v1, 25, v1
	v_lshrrev_b32_e32 v8, 4, v1
	v_and_or_b32 v9, v7, s2, 0.5
	v_or_b32_e32 v8, 0x70000000, v8
	v_add_f32_e32 v9, -0.5, v9
	v_mul_f32_e32 v8, 0x7800000, v8
	v_cmp_gt_u32_e32 vcc, s3, v1
	v_bfe_i32 v7, v7, 0, 16
	s_brev_b32 s2, 1
	v_cndmask_b32_e32 v1, v8, v9, vcc
	v_and_or_b32 v1, v7, s2, v1
	v_cvt_f16_f32_e32 v1, v1
.LBB528_1370:
	s_mov_b64 s[2:3], 0
	s_mov_b64 s[18:19], -1
.LBB528_1371:
	s_andn2_b64 vcc, exec, s[2:3]
	s_mov_b64 s[2:3], 0
	s_cbranch_vccnz .LBB528_1382
; %bb.1372:
	s_cmp_gt_i32 s24, 14
	s_cbranch_scc0 .LBB528_1375
; %bb.1373:
	s_cmp_eq_u32 s24, 15
	s_cbranch_scc0 .LBB528_1378
; %bb.1374:
	global_load_ushort v1, v[2:3], off
	s_mov_b64 s[0:1], 0
	s_mov_b64 s[18:19], -1
	s_waitcnt vmcnt(0)
	v_lshlrev_b32_e32 v1, 16, v1
	v_cvt_f16_f32_e32 v1, v1
	s_branch .LBB528_1379
.LBB528_1375:
	s_mov_b64 s[20:21], -1
                                        ; implicit-def: $vgpr1
	s_branch .LBB528_1380
.LBB528_1376:
	s_or_saveexec_b64 s[18:19], s[18:19]
	v_mov_b32_e32 v1, 0x7e00
	s_xor_b64 exec, exec, s[18:19]
	s_cbranch_execz .LBB528_1357
.LBB528_1377:
	v_cmp_ne_u16_e32 vcc, 0, v7
	s_andn2_b64 s[2:3], s[2:3], exec
	s_and_b64 s[20:21], vcc, exec
	s_or_b64 s[2:3], s[2:3], s[20:21]
	v_mov_b32_e32 v1, v7
	s_or_b64 exec, exec, s[18:19]
	s_and_saveexec_b64 s[18:19], s[2:3]
	s_cbranch_execnz .LBB528_1358
	s_branch .LBB528_1359
.LBB528_1378:
	s_mov_b64 s[0:1], -1
                                        ; implicit-def: $vgpr1
.LBB528_1379:
	s_mov_b64 s[20:21], 0
.LBB528_1380:
	s_and_b64 vcc, exec, s[20:21]
	s_cbranch_vccz .LBB528_1382
; %bb.1381:
	s_cmp_lg_u32 s24, 11
	s_mov_b64 s[2:3], -1
	s_cselect_b64 s[0:1], -1, 0
.LBB528_1382:
	s_and_b64 vcc, exec, s[0:1]
	s_cbranch_vccnz .LBB528_1449
; %bb.1383:
	s_andn2_b64 vcc, exec, s[2:3]
	s_cbranch_vccnz .LBB528_1385
.LBB528_1384:
	global_load_ubyte v1, v[2:3], off
	v_mov_b32_e32 v7, 0x3c00
	s_mov_b64 s[18:19], -1
	s_waitcnt vmcnt(0)
	v_cmp_ne_u16_e32 vcc, 0, v1
	s_nop 1
	v_cndmask_b32_e32 v1, 0, v7, vcc
.LBB528_1385:
	s_branch .LBB528_1313
.LBB528_1386:
	s_cmp_lt_i32 s24, 5
	s_cbranch_scc1 .LBB528_1391
; %bb.1387:
	s_cmp_lt_i32 s24, 8
	s_cbranch_scc1 .LBB528_1392
; %bb.1388:
	;; [unrolled: 3-line block ×3, first 2 shown]
	s_cmp_gt_i32 s24, 9
	s_cbranch_scc0 .LBB528_1394
; %bb.1390:
	global_load_dwordx2 v[8:9], v[2:3], off
	s_movk_i32 s0, 0x1ff
	s_movk_i32 s1, 0xffe
	v_mov_b32_e32 v1, 0x7c00
	v_mov_b32_e32 v7, 0x7e00
	s_movk_i32 s2, 0x40f
	s_mov_b32 s3, 0x8000
	s_waitcnt vmcnt(0)
	v_and_or_b32 v8, v9, s0, v8
	v_cmp_ne_u32_e32 vcc, 0, v8
	v_lshrrev_b32_e32 v10, 8, v9
	v_bfe_u32 v11, v9, 20, 11
	v_cndmask_b32_e64 v8, 0, 1, vcc
	v_sub_u32_e32 v12, 0x3f1, v11
	v_and_or_b32 v8, v10, s1, v8
	v_add_u32_e32 v11, 0xfffffc10, v11
	v_med3_i32 v10, v12, 0, 13
	v_or_b32_e32 v12, 0x1000, v8
	v_lshl_or_b32 v13, v11, 12, v8
	v_cmp_ne_u32_e32 vcc, 0, v8
	v_lshrrev_b32_e32 v8, v10, v12
	v_lshlrev_b32_e32 v10, v10, v8
	v_cndmask_b32_e32 v7, v1, v7, vcc
	v_cmp_ne_u32_e32 vcc, v10, v12
	v_lshrrev_b32_e32 v9, 16, v9
	s_mov_b64 s[0:1], 0
	v_cndmask_b32_e64 v10, 0, 1, vcc
	v_or_b32_e32 v8, v8, v10
	v_cmp_gt_i32_e32 vcc, 1, v11
	s_nop 1
	v_cndmask_b32_e32 v8, v13, v8, vcc
	v_and_b32_e32 v10, 7, v8
	v_cmp_lt_i32_e32 vcc, 5, v10
	v_lshrrev_b32_e32 v8, 2, v8
	s_nop 0
	v_cndmask_b32_e64 v12, 0, 1, vcc
	v_cmp_eq_u32_e32 vcc, 3, v10
	s_nop 1
	v_cndmask_b32_e64 v10, 0, 1, vcc
	v_or_b32_e32 v10, v10, v12
	v_add_u32_e32 v8, v8, v10
	v_cmp_gt_i32_e32 vcc, 31, v11
	s_nop 1
	v_cndmask_b32_e32 v1, v1, v8, vcc
	v_cmp_eq_u32_e32 vcc, s2, v11
	s_nop 1
	v_cndmask_b32_e32 v1, v1, v7, vcc
	v_and_or_b32 v1, v9, s3, v1
	s_branch .LBB528_1395
.LBB528_1391:
	s_mov_b64 s[0:1], -1
                                        ; implicit-def: $vgpr1
	s_branch .LBB528_1413
.LBB528_1392:
	s_mov_b64 s[0:1], -1
                                        ; implicit-def: $vgpr1
	s_branch .LBB528_1401
.LBB528_1393:
	s_mov_b64 s[0:1], -1
                                        ; implicit-def: $vgpr1
	s_branch .LBB528_1398
.LBB528_1394:
	s_mov_b64 s[0:1], -1
                                        ; implicit-def: $vgpr1
.LBB528_1395:
	s_andn2_b64 vcc, exec, s[0:1]
	s_cbranch_vccnz .LBB528_1397
; %bb.1396:
	global_load_dword v1, v[2:3], off
	s_waitcnt vmcnt(0)
	v_cvt_f16_f32_e32 v1, v1
.LBB528_1397:
	s_mov_b64 s[0:1], 0
.LBB528_1398:
	s_andn2_b64 vcc, exec, s[0:1]
	s_cbranch_vccnz .LBB528_1400
; %bb.1399:
	global_load_dword v1, v[2:3], off
.LBB528_1400:
	s_mov_b64 s[0:1], 0
.LBB528_1401:
	s_andn2_b64 vcc, exec, s[0:1]
	s_cbranch_vccnz .LBB528_1412
; %bb.1402:
	s_cmp_lt_i32 s24, 6
	s_cbranch_scc1 .LBB528_1405
; %bb.1403:
	s_cmp_gt_i32 s24, 6
	s_cbranch_scc0 .LBB528_1406
; %bb.1404:
	global_load_dwordx2 v[8:9], v[2:3], off
	s_movk_i32 s0, 0x1ff
	s_movk_i32 s1, 0xffe
	s_waitcnt vmcnt(1)
	v_mov_b32_e32 v1, 0x7c00
	v_mov_b32_e32 v7, 0x7e00
	s_movk_i32 s2, 0x40f
	s_mov_b32 s3, 0x8000
	s_waitcnt vmcnt(0)
	v_and_or_b32 v8, v9, s0, v8
	v_cmp_ne_u32_e32 vcc, 0, v8
	v_lshrrev_b32_e32 v10, 8, v9
	v_bfe_u32 v11, v9, 20, 11
	v_cndmask_b32_e64 v8, 0, 1, vcc
	v_sub_u32_e32 v12, 0x3f1, v11
	v_and_or_b32 v8, v10, s1, v8
	v_add_u32_e32 v11, 0xfffffc10, v11
	v_med3_i32 v10, v12, 0, 13
	v_or_b32_e32 v12, 0x1000, v8
	v_lshl_or_b32 v13, v11, 12, v8
	v_cmp_ne_u32_e32 vcc, 0, v8
	v_lshrrev_b32_e32 v8, v10, v12
	v_lshlrev_b32_e32 v10, v10, v8
	v_cndmask_b32_e32 v7, v1, v7, vcc
	v_cmp_ne_u32_e32 vcc, v10, v12
	v_lshrrev_b32_e32 v9, 16, v9
	s_mov_b64 s[0:1], 0
	v_cndmask_b32_e64 v10, 0, 1, vcc
	v_or_b32_e32 v8, v8, v10
	v_cmp_gt_i32_e32 vcc, 1, v11
	s_nop 1
	v_cndmask_b32_e32 v8, v13, v8, vcc
	v_and_b32_e32 v10, 7, v8
	v_cmp_lt_i32_e32 vcc, 5, v10
	v_lshrrev_b32_e32 v8, 2, v8
	s_nop 0
	v_cndmask_b32_e64 v12, 0, 1, vcc
	v_cmp_eq_u32_e32 vcc, 3, v10
	s_nop 1
	v_cndmask_b32_e64 v10, 0, 1, vcc
	v_or_b32_e32 v10, v10, v12
	v_add_u32_e32 v8, v8, v10
	v_cmp_gt_i32_e32 vcc, 31, v11
	s_nop 1
	v_cndmask_b32_e32 v1, v1, v8, vcc
	v_cmp_eq_u32_e32 vcc, s2, v11
	s_nop 1
	v_cndmask_b32_e32 v1, v1, v7, vcc
	v_and_or_b32 v1, v9, s3, v1
	s_branch .LBB528_1407
.LBB528_1405:
	s_mov_b64 s[0:1], -1
                                        ; implicit-def: $vgpr1
	s_branch .LBB528_1410
.LBB528_1406:
	s_mov_b64 s[0:1], -1
                                        ; implicit-def: $vgpr1
.LBB528_1407:
	s_andn2_b64 vcc, exec, s[0:1]
	s_cbranch_vccnz .LBB528_1409
; %bb.1408:
	global_load_dword v1, v[2:3], off
	s_waitcnt vmcnt(0)
	v_cvt_f16_f32_e32 v1, v1
.LBB528_1409:
	s_mov_b64 s[0:1], 0
.LBB528_1410:
	s_andn2_b64 vcc, exec, s[0:1]
	s_cbranch_vccnz .LBB528_1412
; %bb.1411:
	global_load_ushort v1, v[2:3], off
.LBB528_1412:
	s_mov_b64 s[0:1], 0
.LBB528_1413:
	s_andn2_b64 vcc, exec, s[0:1]
	s_cbranch_vccnz .LBB528_1433
; %bb.1414:
	s_cmp_lt_i32 s24, 2
	s_cbranch_scc1 .LBB528_1418
; %bb.1415:
	s_cmp_lt_i32 s24, 3
	s_cbranch_scc1 .LBB528_1419
; %bb.1416:
	s_cmp_gt_i32 s24, 3
	s_cbranch_scc0 .LBB528_1420
; %bb.1417:
	global_load_dwordx2 v[8:9], v[2:3], off
	s_mov_b64 s[0:1], 0
	s_waitcnt vmcnt(0)
	v_xor_b32_e32 v7, v8, v9
	v_ffbh_i32_e32 v1, v9
	v_ashrrev_i32_e32 v7, 31, v7
	v_add_u32_e32 v1, -1, v1
	v_add_u32_e32 v7, 32, v7
	v_min_u32_e32 v1, v1, v7
	v_lshlrev_b64 v[8:9], v1, v[8:9]
	v_min_u32_e32 v7, 1, v8
	v_or_b32_e32 v7, v9, v7
	v_cvt_f32_i32_e32 v7, v7
	v_sub_u32_e32 v1, 32, v1
	v_ldexp_f32 v1, v7, v1
	v_cvt_f16_f32_e32 v1, v1
	s_branch .LBB528_1421
.LBB528_1418:
	s_mov_b64 s[0:1], -1
                                        ; implicit-def: $vgpr1
	s_branch .LBB528_1427
.LBB528_1419:
	s_mov_b64 s[0:1], -1
                                        ; implicit-def: $vgpr1
	s_branch .LBB528_1424
.LBB528_1420:
	s_mov_b64 s[0:1], -1
                                        ; implicit-def: $vgpr1
.LBB528_1421:
	s_andn2_b64 vcc, exec, s[0:1]
	s_cbranch_vccnz .LBB528_1423
; %bb.1422:
	global_load_dword v1, v[2:3], off
	s_waitcnt vmcnt(0)
	v_cvt_f32_i32_e32 v1, v1
	v_cvt_f16_f32_e32 v1, v1
.LBB528_1423:
	s_mov_b64 s[0:1], 0
.LBB528_1424:
	s_andn2_b64 vcc, exec, s[0:1]
	s_cbranch_vccnz .LBB528_1426
; %bb.1425:
	global_load_ushort v1, v[2:3], off
	s_waitcnt vmcnt(0)
	v_cvt_f16_i16_e32 v1, v1
.LBB528_1426:
	s_mov_b64 s[0:1], 0
.LBB528_1427:
	s_andn2_b64 vcc, exec, s[0:1]
	s_cbranch_vccnz .LBB528_1433
; %bb.1428:
	s_cmp_gt_i32 s24, 0
	s_cbranch_scc0 .LBB528_1430
; %bb.1429:
	global_load_sbyte v1, v[2:3], off
	s_mov_b64 s[0:1], 0
	s_waitcnt vmcnt(0)
	v_cvt_f16_i16_e32 v1, v1
	s_branch .LBB528_1431
.LBB528_1430:
	s_mov_b64 s[0:1], -1
                                        ; implicit-def: $vgpr1
.LBB528_1431:
	s_andn2_b64 vcc, exec, s[0:1]
	s_cbranch_vccnz .LBB528_1433
; %bb.1432:
	global_load_ubyte v1, v[2:3], off
	s_waitcnt vmcnt(0)
	v_cvt_f16_u16_e32 v1, v1
.LBB528_1433:
.LBB528_1434:
	s_waitcnt vmcnt(0)
	v_cmp_o_f16_e32 vcc, v1, v1
	v_mov_b32_e32 v7, s10
	s_and_saveexec_b64 s[0:1], vcc
	s_cbranch_execz .LBB528_1438
; %bb.1435:
	s_movk_i32 s2, 0x7c00
	v_cmp_neq_f16_e32 vcc, s2, v1
	v_mov_b32_e32 v7, s44
	s_and_saveexec_b64 s[2:3], vcc
; %bb.1436:
	s_mov_b32 s18, 0xfc00
	v_mov_b32_e32 v2, s11
	v_cmp_eq_f16_e32 vcc, s18, v1
	s_nop 1
	v_cndmask_b32_e32 v7, v1, v2, vcc
; %bb.1437:
	s_or_b64 exec, exec, s[2:3]
.LBB528_1438:
	s_or_b64 exec, exec, s[0:1]
	v_add_u32_e32 v0, s9, v0
	v_ashrrev_i32_e32 v1, 31, v0
	s_cmp_lt_i32 s24, 11
	v_lshl_add_u64 v[0:1], s[6:7], 0, v[0:1]
	s_cbranch_scc1 .LBB528_1445
; %bb.1439:
	s_cmp_gt_i32 s24, 25
	s_mov_b64 s[2:3], 0
	s_cbranch_scc0 .LBB528_1446
; %bb.1440:
	s_cmp_gt_i32 s24, 28
	s_cbranch_scc0 .LBB528_1447
; %bb.1441:
	s_cmp_gt_i32 s24, 43
	;; [unrolled: 3-line block ×3, first 2 shown]
	s_cbranch_scc0 .LBB528_1450
; %bb.1443:
	s_cmp_eq_u32 s24, 46
	s_mov_b64 s[18:19], 0
	s_cbranch_scc0 .LBB528_1451
; %bb.1444:
	global_load_dword v2, v[0:1], off
	s_mov_b64 s[0:1], 0
	s_mov_b64 s[6:7], -1
	s_waitcnt vmcnt(0)
	v_lshlrev_b32_e32 v2, 16, v2
	v_cvt_f16_f32_e32 v2, v2
	s_branch .LBB528_1452
.LBB528_1445:
	s_mov_b64 s[0:1], -1
	s_mov_b64 s[6:7], 0
                                        ; implicit-def: $vgpr2
	s_branch .LBB528_1518
.LBB528_1446:
	s_mov_b64 s[18:19], -1
	s_mov_b64 s[6:7], 0
	s_mov_b64 s[0:1], 0
                                        ; implicit-def: $vgpr2
	s_branch .LBB528_1481
.LBB528_1447:
	s_mov_b64 s[18:19], -1
	s_mov_b64 s[6:7], 0
	s_mov_b64 s[0:1], 0
                                        ; implicit-def: $vgpr2
	s_branch .LBB528_1462
.LBB528_1448:
	s_mov_b64 s[18:19], -1
	s_mov_b64 s[6:7], 0
	s_mov_b64 s[0:1], 0
                                        ; implicit-def: $vgpr2
	s_branch .LBB528_1457
.LBB528_1449:
	s_trap 2
	s_or_b64 s[16:17], s[16:17], exec
	s_cbranch_execz .LBB528_1384
	s_branch .LBB528_1385
.LBB528_1450:
	s_mov_b64 s[18:19], -1
	s_mov_b64 s[6:7], 0
	s_mov_b64 s[0:1], 0
                                        ; implicit-def: $vgpr2
	s_branch .LBB528_1452
.LBB528_1451:
	s_mov_b64 s[0:1], -1
                                        ; implicit-def: $vgpr2
	s_mov_b64 s[6:7], 0
.LBB528_1452:
	s_and_b64 vcc, exec, s[18:19]
	s_cbranch_vccz .LBB528_1456
; %bb.1453:
	s_cmp_eq_u32 s24, 44
	s_cbranch_scc0 .LBB528_1455
; %bb.1454:
	global_load_ubyte v2, v[0:1], off
	s_movk_i32 s6, 0xff
	v_mov_b32_e32 v8, 0x7e00
	s_mov_b64 s[0:1], 0
	s_waitcnt vmcnt(0)
	v_lshlrev_b32_e32 v3, 23, v2
	v_cvt_f16_f32_e32 v3, v3
	v_cmp_ne_u32_e32 vcc, s6, v2
	s_mov_b64 s[6:7], -1
	s_nop 0
	v_cndmask_b32_e32 v3, v8, v3, vcc
	v_cmp_ne_u32_e32 vcc, 0, v2
	s_nop 1
	v_cndmask_b32_e32 v2, 0, v3, vcc
	s_branch .LBB528_1456
.LBB528_1455:
	s_mov_b64 s[0:1], -1
                                        ; implicit-def: $vgpr2
.LBB528_1456:
	s_mov_b64 s[18:19], 0
.LBB528_1457:
	s_and_b64 vcc, exec, s[18:19]
	s_cbranch_vccz .LBB528_1461
; %bb.1458:
	s_cmp_eq_u32 s24, 29
	s_cbranch_scc0 .LBB528_1460
; %bb.1459:
	global_load_dwordx2 v[2:3], v[0:1], off
	s_mov_b64 s[0:1], 0
	s_mov_b64 s[6:7], -1
	s_mov_b64 s[18:19], 0
	s_waitcnt vmcnt(0)
	v_ffbh_u32_e32 v8, v3
	v_min_u32_e32 v8, 32, v8
	v_lshlrev_b64 v[2:3], v8, v[2:3]
	v_min_u32_e32 v2, 1, v2
	v_or_b32_e32 v2, v3, v2
	v_cvt_f32_u32_e32 v2, v2
	v_sub_u32_e32 v3, 32, v8
	v_ldexp_f32 v2, v2, v3
	v_cvt_f16_f32_e32 v2, v2
	s_branch .LBB528_1462
.LBB528_1460:
	s_mov_b64 s[0:1], -1
                                        ; implicit-def: $vgpr2
.LBB528_1461:
	s_mov_b64 s[18:19], 0
.LBB528_1462:
	s_and_b64 vcc, exec, s[18:19]
	s_cbranch_vccz .LBB528_1480
; %bb.1463:
	s_cmp_lt_i32 s24, 27
	s_cbranch_scc1 .LBB528_1466
; %bb.1464:
	s_cmp_gt_i32 s24, 27
	s_cbranch_scc0 .LBB528_1467
; %bb.1465:
	global_load_dword v2, v[0:1], off
	s_mov_b64 s[6:7], 0
	s_waitcnt vmcnt(0)
	v_cvt_f32_u32_e32 v2, v2
	v_cvt_f16_f32_e32 v2, v2
	s_branch .LBB528_1468
.LBB528_1466:
	s_mov_b64 s[6:7], -1
                                        ; implicit-def: $vgpr2
	s_branch .LBB528_1471
.LBB528_1467:
	s_mov_b64 s[6:7], -1
                                        ; implicit-def: $vgpr2
.LBB528_1468:
	s_andn2_b64 vcc, exec, s[6:7]
	s_cbranch_vccnz .LBB528_1470
; %bb.1469:
	global_load_ushort v2, v[0:1], off
	s_waitcnt vmcnt(0)
	v_cvt_f16_u16_e32 v2, v2
.LBB528_1470:
	s_mov_b64 s[6:7], 0
.LBB528_1471:
	s_andn2_b64 vcc, exec, s[6:7]
	s_cbranch_vccnz .LBB528_1479
; %bb.1472:
	global_load_ubyte v3, v[0:1], off
	s_movk_i32 s6, 0x7f
	s_waitcnt vmcnt(0)
	v_cmp_lt_i16_e32 vcc, s6, v3
	s_mov_b64 s[6:7], 0
	s_and_saveexec_b64 s[18:19], vcc
	s_xor_b64 s[18:19], exec, s[18:19]
	s_cbranch_execz .LBB528_1493
; %bb.1473:
	s_movk_i32 s6, 0x80
	v_cmp_eq_u16_e32 vcc, s6, v3
	s_mov_b64 s[6:7], -1
	s_and_saveexec_b64 s[20:21], vcc
; %bb.1474:
	s_xor_b64 s[6:7], exec, -1
; %bb.1475:
	s_or_b64 exec, exec, s[20:21]
	s_and_b64 s[6:7], s[6:7], exec
	s_or_saveexec_b64 s[18:19], s[18:19]
	v_mov_b32_e32 v2, 0x7e00
	s_xor_b64 exec, exec, s[18:19]
	s_cbranch_execnz .LBB528_1494
.LBB528_1476:
	s_or_b64 exec, exec, s[18:19]
	s_and_saveexec_b64 s[18:19], s[6:7]
	s_cbranch_execz .LBB528_1478
.LBB528_1477:
	v_lshlrev_b32_e32 v2, 24, v3
	v_and_b32_e32 v3, 0xffff, v3
	v_and_b32_e32 v8, 7, v3
	v_ffbh_u32_e32 v10, v8
	v_min_u32_e32 v10, 32, v10
	v_subrev_u32_e32 v11, 28, v10
	v_bfe_u32 v9, v3, 3, 4
	v_lshlrev_b32_e32 v3, v11, v3
	v_sub_u32_e32 v10, 29, v10
	v_and_b32_e32 v3, 7, v3
	v_cmp_eq_u32_e32 vcc, 0, v9
	v_and_b32_e32 v2, 0x80000000, v2
	s_nop 0
	v_cndmask_b32_e32 v9, v9, v10, vcc
	v_cndmask_b32_e32 v3, v8, v3, vcc
	v_mov_b32_e32 v8, 0x3b800000
	v_lshlrev_b32_e32 v3, 20, v3
	v_lshl_add_u32 v8, v9, 23, v8
	v_or3_b32 v2, v2, v8, v3
	v_cvt_f16_f32_e32 v2, v2
.LBB528_1478:
	s_or_b64 exec, exec, s[18:19]
.LBB528_1479:
	s_mov_b64 s[6:7], -1
.LBB528_1480:
	s_mov_b64 s[18:19], 0
.LBB528_1481:
	s_and_b64 vcc, exec, s[18:19]
	s_cbranch_vccz .LBB528_1514
; %bb.1482:
	s_cmp_gt_i32 s24, 22
	s_cbranch_scc0 .LBB528_1492
; %bb.1483:
	s_cmp_lt_i32 s24, 24
	s_cbranch_scc1 .LBB528_1495
; %bb.1484:
	s_cmp_gt_i32 s24, 24
	s_cbranch_scc0 .LBB528_1496
; %bb.1485:
	global_load_ubyte v3, v[0:1], off
	s_movk_i32 s2, 0x7f
	s_waitcnt vmcnt(0)
	v_cmp_lt_i16_e32 vcc, s2, v3
	s_mov_b64 s[2:3], 0
	s_and_saveexec_b64 s[6:7], vcc
	s_xor_b64 s[6:7], exec, s[6:7]
	s_cbranch_execz .LBB528_1508
; %bb.1486:
	s_movk_i32 s2, 0x80
	v_cmp_eq_u16_e32 vcc, s2, v3
	s_mov_b64 s[2:3], -1
	s_and_saveexec_b64 s[18:19], vcc
; %bb.1487:
	s_xor_b64 s[2:3], exec, -1
; %bb.1488:
	s_or_b64 exec, exec, s[18:19]
	s_and_b64 s[2:3], s[2:3], exec
	s_or_saveexec_b64 s[6:7], s[6:7]
	v_mov_b32_e32 v2, 0x7e00
	s_xor_b64 exec, exec, s[6:7]
	s_cbranch_execnz .LBB528_1509
.LBB528_1489:
	s_or_b64 exec, exec, s[6:7]
	s_and_saveexec_b64 s[6:7], s[2:3]
	s_cbranch_execz .LBB528_1491
.LBB528_1490:
	v_lshlrev_b32_e32 v2, 24, v3
	v_and_b32_e32 v3, 0xffff, v3
	v_and_b32_e32 v8, 3, v3
	v_ffbh_u32_e32 v10, v8
	v_min_u32_e32 v10, 32, v10
	v_subrev_u32_e32 v11, 29, v10
	v_bfe_u32 v9, v3, 2, 5
	v_lshlrev_b32_e32 v3, v11, v3
	v_sub_u32_e32 v10, 30, v10
	v_and_b32_e32 v3, 3, v3
	v_cmp_eq_u32_e32 vcc, 0, v9
	v_and_b32_e32 v2, 0x80000000, v2
	s_nop 0
	v_cndmask_b32_e32 v9, v9, v10, vcc
	v_cndmask_b32_e32 v3, v8, v3, vcc
	v_mov_b32_e32 v8, 0x37800000
	v_lshlrev_b32_e32 v3, 21, v3
	v_lshl_add_u32 v8, v9, 23, v8
	v_or3_b32 v2, v2, v8, v3
	v_cvt_f16_f32_e32 v2, v2
.LBB528_1491:
	s_or_b64 exec, exec, s[6:7]
	s_mov_b64 s[2:3], 0
	s_branch .LBB528_1497
.LBB528_1492:
	s_mov_b64 s[2:3], -1
                                        ; implicit-def: $vgpr2
	s_branch .LBB528_1503
.LBB528_1493:
	s_or_saveexec_b64 s[18:19], s[18:19]
	v_mov_b32_e32 v2, 0x7e00
	s_xor_b64 exec, exec, s[18:19]
	s_cbranch_execz .LBB528_1476
.LBB528_1494:
	v_cmp_ne_u16_e32 vcc, 0, v3
	s_andn2_b64 s[6:7], s[6:7], exec
	s_and_b64 s[20:21], vcc, exec
	s_or_b64 s[6:7], s[6:7], s[20:21]
	v_mov_b32_e32 v2, v3
	s_or_b64 exec, exec, s[18:19]
	s_and_saveexec_b64 s[18:19], s[6:7]
	s_cbranch_execnz .LBB528_1477
	s_branch .LBB528_1478
.LBB528_1495:
	s_mov_b64 s[2:3], -1
                                        ; implicit-def: $vgpr2
	s_branch .LBB528_1500
.LBB528_1496:
	s_mov_b64 s[2:3], -1
                                        ; implicit-def: $vgpr2
.LBB528_1497:
	s_and_b64 vcc, exec, s[2:3]
	s_cbranch_vccz .LBB528_1499
; %bb.1498:
	global_load_ubyte v2, v[0:1], off
	s_mov_b32 s2, 0x7f800000
	s_waitcnt vmcnt(0)
	v_lshlrev_b32_e32 v2, 24, v2
	v_and_b32_e32 v3, 0x7f000000, v2
	v_ffbh_u32_e32 v8, v3
	v_min_u32_e32 v8, 32, v8
	v_sub_u32_e64 v8, v8, 4 clamp
	v_lshlrev_b32_e32 v10, v8, v3
	v_lshlrev_b32_e32 v8, 23, v8
	v_lshrrev_b32_e32 v10, 4, v10
	v_add_u32_e32 v9, 0x1000000, v3
	v_sub_u32_e32 v8, v10, v8
	v_ashrrev_i32_e32 v9, 8, v9
	v_add_u32_e32 v8, 0x3c000000, v8
	v_and_or_b32 v8, v9, s2, v8
	v_cmp_ne_u32_e32 vcc, 0, v3
	s_brev_b32 s2, 1
	s_nop 0
	v_cndmask_b32_e32 v3, 0, v8, vcc
	v_and_or_b32 v2, v2, s2, v3
	v_cvt_f16_f32_e32 v2, v2
.LBB528_1499:
	s_mov_b64 s[2:3], 0
.LBB528_1500:
	s_andn2_b64 vcc, exec, s[2:3]
	s_cbranch_vccnz .LBB528_1502
; %bb.1501:
	global_load_ubyte v2, v[0:1], off
	s_movk_i32 s2, 0x7f00
	s_brev_b32 s3, 16
	s_waitcnt vmcnt(0)
	v_lshlrev_b16_e32 v3, 8, v2
	v_lshlrev_b32_e32 v2, 25, v2
	v_lshrrev_b32_e32 v8, 4, v2
	v_and_or_b32 v9, v3, s2, 0.5
	v_or_b32_e32 v8, 0x70000000, v8
	v_add_f32_e32 v9, -0.5, v9
	v_mul_f32_e32 v8, 0x7800000, v8
	v_cmp_gt_u32_e32 vcc, s3, v2
	v_bfe_i32 v3, v3, 0, 16
	s_brev_b32 s2, 1
	v_cndmask_b32_e32 v2, v8, v9, vcc
	v_and_or_b32 v2, v3, s2, v2
	v_cvt_f16_f32_e32 v2, v2
.LBB528_1502:
	s_mov_b64 s[2:3], 0
	s_mov_b64 s[6:7], -1
.LBB528_1503:
	s_andn2_b64 vcc, exec, s[2:3]
	s_mov_b64 s[2:3], 0
	s_cbranch_vccnz .LBB528_1514
; %bb.1504:
	s_cmp_gt_i32 s24, 14
	s_cbranch_scc0 .LBB528_1507
; %bb.1505:
	s_cmp_eq_u32 s24, 15
	s_cbranch_scc0 .LBB528_1510
; %bb.1506:
	global_load_ushort v2, v[0:1], off
	s_mov_b64 s[0:1], 0
	s_mov_b64 s[6:7], -1
	s_waitcnt vmcnt(0)
	v_lshlrev_b32_e32 v2, 16, v2
	v_cvt_f16_f32_e32 v2, v2
	s_branch .LBB528_1511
.LBB528_1507:
	s_mov_b64 s[18:19], -1
                                        ; implicit-def: $vgpr2
	s_branch .LBB528_1512
.LBB528_1508:
	s_or_saveexec_b64 s[6:7], s[6:7]
	v_mov_b32_e32 v2, 0x7e00
	s_xor_b64 exec, exec, s[6:7]
	s_cbranch_execz .LBB528_1489
.LBB528_1509:
	v_cmp_ne_u16_e32 vcc, 0, v3
	s_andn2_b64 s[2:3], s[2:3], exec
	s_and_b64 s[18:19], vcc, exec
	s_or_b64 s[2:3], s[2:3], s[18:19]
	v_mov_b32_e32 v2, v3
	s_or_b64 exec, exec, s[6:7]
	s_and_saveexec_b64 s[6:7], s[2:3]
	s_cbranch_execnz .LBB528_1490
	s_branch .LBB528_1491
.LBB528_1510:
	s_mov_b64 s[0:1], -1
                                        ; implicit-def: $vgpr2
.LBB528_1511:
	s_mov_b64 s[18:19], 0
.LBB528_1512:
	s_and_b64 vcc, exec, s[18:19]
	s_cbranch_vccz .LBB528_1514
; %bb.1513:
	s_cmp_lg_u32 s24, 11
	s_mov_b64 s[2:3], -1
	s_cselect_b64 s[0:1], -1, 0
.LBB528_1514:
	s_and_b64 vcc, exec, s[0:1]
	s_cbranch_vccnz .LBB528_2053
; %bb.1515:
	s_andn2_b64 vcc, exec, s[2:3]
	s_cbranch_vccnz .LBB528_1517
.LBB528_1516:
	global_load_ubyte v2, v[0:1], off
	v_mov_b32_e32 v3, 0x3c00
	s_mov_b64 s[6:7], -1
	s_waitcnt vmcnt(0)
	v_cmp_ne_u16_e32 vcc, 0, v2
	s_nop 1
	v_cndmask_b32_e32 v2, 0, v3, vcc
.LBB528_1517:
	s_mov_b64 s[0:1], 0
.LBB528_1518:
	s_and_b64 vcc, exec, s[0:1]
	s_cbranch_vccz .LBB528_1567
; %bb.1519:
	s_cmp_lt_i32 s24, 5
	s_cbranch_scc1 .LBB528_1524
; %bb.1520:
	s_cmp_lt_i32 s24, 8
	s_cbranch_scc1 .LBB528_1525
; %bb.1521:
	s_cmp_lt_i32 s24, 9
	s_cbranch_scc1 .LBB528_1526
; %bb.1522:
	s_cmp_gt_i32 s24, 9
	s_cbranch_scc0 .LBB528_1527
; %bb.1523:
	global_load_dwordx2 v[2:3], v[0:1], off
	s_movk_i32 s0, 0x1ff
	s_movk_i32 s1, 0xffe
	v_mov_b32_e32 v8, 0x7c00
	v_mov_b32_e32 v9, 0x7e00
	s_movk_i32 s2, 0x40f
	s_mov_b32 s3, 0x8000
	s_waitcnt vmcnt(0)
	v_and_or_b32 v2, v3, s0, v2
	v_cmp_ne_u32_e32 vcc, 0, v2
	v_lshrrev_b32_e32 v10, 8, v3
	v_bfe_u32 v11, v3, 20, 11
	v_cndmask_b32_e64 v2, 0, 1, vcc
	v_sub_u32_e32 v12, 0x3f1, v11
	v_and_or_b32 v2, v10, s1, v2
	v_add_u32_e32 v11, 0xfffffc10, v11
	v_med3_i32 v10, v12, 0, 13
	v_or_b32_e32 v12, 0x1000, v2
	v_cmp_ne_u32_e32 vcc, 0, v2
	v_lshl_or_b32 v13, v11, 12, v2
	v_lshrrev_b32_e32 v3, 16, v3
	v_cndmask_b32_e32 v2, v8, v9, vcc
	v_lshrrev_b32_e32 v9, v10, v12
	v_lshlrev_b32_e32 v10, v10, v9
	v_cmp_ne_u32_e32 vcc, v10, v12
	s_mov_b64 s[0:1], 0
	s_nop 0
	v_cndmask_b32_e64 v10, 0, 1, vcc
	v_or_b32_e32 v9, v9, v10
	v_cmp_gt_i32_e32 vcc, 1, v11
	s_nop 1
	v_cndmask_b32_e32 v9, v13, v9, vcc
	v_and_b32_e32 v10, 7, v9
	v_cmp_lt_i32_e32 vcc, 5, v10
	v_lshrrev_b32_e32 v9, 2, v9
	s_nop 0
	v_cndmask_b32_e64 v12, 0, 1, vcc
	v_cmp_eq_u32_e32 vcc, 3, v10
	s_nop 1
	v_cndmask_b32_e64 v10, 0, 1, vcc
	v_or_b32_e32 v10, v10, v12
	v_add_u32_e32 v9, v9, v10
	v_cmp_gt_i32_e32 vcc, 31, v11
	s_nop 1
	v_cndmask_b32_e32 v8, v8, v9, vcc
	v_cmp_eq_u32_e32 vcc, s2, v11
	s_nop 1
	v_cndmask_b32_e32 v2, v8, v2, vcc
	v_and_or_b32 v2, v3, s3, v2
	s_branch .LBB528_1528
.LBB528_1524:
	s_mov_b64 s[0:1], -1
                                        ; implicit-def: $vgpr2
	s_branch .LBB528_1546
.LBB528_1525:
	s_mov_b64 s[0:1], -1
                                        ; implicit-def: $vgpr2
	s_branch .LBB528_1534
.LBB528_1526:
	s_mov_b64 s[0:1], -1
                                        ; implicit-def: $vgpr2
	s_branch .LBB528_1531
.LBB528_1527:
	s_mov_b64 s[0:1], -1
                                        ; implicit-def: $vgpr2
.LBB528_1528:
	s_andn2_b64 vcc, exec, s[0:1]
	s_cbranch_vccnz .LBB528_1530
; %bb.1529:
	global_load_dword v2, v[0:1], off
	s_waitcnt vmcnt(0)
	v_cvt_f16_f32_e32 v2, v2
.LBB528_1530:
	s_mov_b64 s[0:1], 0
.LBB528_1531:
	s_andn2_b64 vcc, exec, s[0:1]
	s_cbranch_vccnz .LBB528_1533
; %bb.1532:
	global_load_dword v2, v[0:1], off
.LBB528_1533:
	s_mov_b64 s[0:1], 0
.LBB528_1534:
	s_andn2_b64 vcc, exec, s[0:1]
	s_cbranch_vccnz .LBB528_1545
; %bb.1535:
	s_cmp_lt_i32 s24, 6
	s_cbranch_scc1 .LBB528_1538
; %bb.1536:
	s_cmp_gt_i32 s24, 6
	s_cbranch_scc0 .LBB528_1539
; %bb.1537:
	global_load_dwordx2 v[2:3], v[0:1], off
	s_movk_i32 s0, 0x1ff
	s_movk_i32 s1, 0xffe
	v_mov_b32_e32 v8, 0x7c00
	v_mov_b32_e32 v9, 0x7e00
	s_movk_i32 s2, 0x40f
	s_mov_b32 s3, 0x8000
	s_waitcnt vmcnt(0)
	v_and_or_b32 v2, v3, s0, v2
	v_cmp_ne_u32_e32 vcc, 0, v2
	v_lshrrev_b32_e32 v10, 8, v3
	v_bfe_u32 v11, v3, 20, 11
	v_cndmask_b32_e64 v2, 0, 1, vcc
	v_sub_u32_e32 v12, 0x3f1, v11
	v_and_or_b32 v2, v10, s1, v2
	v_add_u32_e32 v11, 0xfffffc10, v11
	v_med3_i32 v10, v12, 0, 13
	v_or_b32_e32 v12, 0x1000, v2
	v_cmp_ne_u32_e32 vcc, 0, v2
	v_lshl_or_b32 v13, v11, 12, v2
	v_lshrrev_b32_e32 v3, 16, v3
	v_cndmask_b32_e32 v2, v8, v9, vcc
	v_lshrrev_b32_e32 v9, v10, v12
	v_lshlrev_b32_e32 v10, v10, v9
	v_cmp_ne_u32_e32 vcc, v10, v12
	s_mov_b64 s[0:1], 0
	s_nop 0
	v_cndmask_b32_e64 v10, 0, 1, vcc
	v_or_b32_e32 v9, v9, v10
	v_cmp_gt_i32_e32 vcc, 1, v11
	s_nop 1
	v_cndmask_b32_e32 v9, v13, v9, vcc
	v_and_b32_e32 v10, 7, v9
	v_cmp_lt_i32_e32 vcc, 5, v10
	v_lshrrev_b32_e32 v9, 2, v9
	s_nop 0
	v_cndmask_b32_e64 v12, 0, 1, vcc
	v_cmp_eq_u32_e32 vcc, 3, v10
	s_nop 1
	v_cndmask_b32_e64 v10, 0, 1, vcc
	v_or_b32_e32 v10, v10, v12
	v_add_u32_e32 v9, v9, v10
	v_cmp_gt_i32_e32 vcc, 31, v11
	s_nop 1
	v_cndmask_b32_e32 v8, v8, v9, vcc
	v_cmp_eq_u32_e32 vcc, s2, v11
	s_nop 1
	v_cndmask_b32_e32 v2, v8, v2, vcc
	v_and_or_b32 v2, v3, s3, v2
	s_branch .LBB528_1540
.LBB528_1538:
	s_mov_b64 s[0:1], -1
                                        ; implicit-def: $vgpr2
	s_branch .LBB528_1543
.LBB528_1539:
	s_mov_b64 s[0:1], -1
                                        ; implicit-def: $vgpr2
.LBB528_1540:
	s_andn2_b64 vcc, exec, s[0:1]
	s_cbranch_vccnz .LBB528_1542
; %bb.1541:
	global_load_dword v2, v[0:1], off
	s_waitcnt vmcnt(0)
	v_cvt_f16_f32_e32 v2, v2
.LBB528_1542:
	s_mov_b64 s[0:1], 0
.LBB528_1543:
	s_andn2_b64 vcc, exec, s[0:1]
	s_cbranch_vccnz .LBB528_1545
; %bb.1544:
	global_load_ushort v2, v[0:1], off
.LBB528_1545:
	s_mov_b64 s[0:1], 0
.LBB528_1546:
	s_andn2_b64 vcc, exec, s[0:1]
	s_cbranch_vccnz .LBB528_1566
; %bb.1547:
	s_cmp_lt_i32 s24, 2
	s_cbranch_scc1 .LBB528_1551
; %bb.1548:
	s_cmp_lt_i32 s24, 3
	s_cbranch_scc1 .LBB528_1552
; %bb.1549:
	s_cmp_gt_i32 s24, 3
	s_cbranch_scc0 .LBB528_1553
; %bb.1550:
	global_load_dwordx2 v[2:3], v[0:1], off
	s_mov_b64 s[0:1], 0
	s_waitcnt vmcnt(0)
	v_xor_b32_e32 v9, v2, v3
	v_ffbh_i32_e32 v8, v3
	v_ashrrev_i32_e32 v9, 31, v9
	v_add_u32_e32 v8, -1, v8
	v_add_u32_e32 v9, 32, v9
	v_min_u32_e32 v8, v8, v9
	v_lshlrev_b64 v[2:3], v8, v[2:3]
	v_min_u32_e32 v2, 1, v2
	v_or_b32_e32 v2, v3, v2
	v_cvt_f32_i32_e32 v2, v2
	v_sub_u32_e32 v3, 32, v8
	v_ldexp_f32 v2, v2, v3
	v_cvt_f16_f32_e32 v2, v2
	s_branch .LBB528_1554
.LBB528_1551:
	s_mov_b64 s[0:1], -1
                                        ; implicit-def: $vgpr2
	s_branch .LBB528_1560
.LBB528_1552:
	s_mov_b64 s[0:1], -1
                                        ; implicit-def: $vgpr2
	s_branch .LBB528_1557
.LBB528_1553:
	s_mov_b64 s[0:1], -1
                                        ; implicit-def: $vgpr2
.LBB528_1554:
	s_andn2_b64 vcc, exec, s[0:1]
	s_cbranch_vccnz .LBB528_1556
; %bb.1555:
	global_load_dword v2, v[0:1], off
	s_waitcnt vmcnt(0)
	v_cvt_f32_i32_e32 v2, v2
	v_cvt_f16_f32_e32 v2, v2
.LBB528_1556:
	s_mov_b64 s[0:1], 0
.LBB528_1557:
	s_andn2_b64 vcc, exec, s[0:1]
	s_cbranch_vccnz .LBB528_1559
; %bb.1558:
	global_load_ushort v2, v[0:1], off
	s_waitcnt vmcnt(0)
	v_cvt_f16_i16_e32 v2, v2
.LBB528_1559:
	s_mov_b64 s[0:1], 0
.LBB528_1560:
	s_andn2_b64 vcc, exec, s[0:1]
	s_cbranch_vccnz .LBB528_1566
; %bb.1561:
	s_cmp_gt_i32 s24, 0
	s_cbranch_scc0 .LBB528_1563
; %bb.1562:
	global_load_sbyte v2, v[0:1], off
	s_mov_b64 s[0:1], 0
	s_waitcnt vmcnt(0)
	v_cvt_f16_i16_e32 v2, v2
	s_branch .LBB528_1564
.LBB528_1563:
	s_mov_b64 s[0:1], -1
                                        ; implicit-def: $vgpr2
.LBB528_1564:
	s_andn2_b64 vcc, exec, s[0:1]
	s_cbranch_vccnz .LBB528_1566
; %bb.1565:
	global_load_ubyte v0, v[0:1], off
	s_waitcnt vmcnt(0)
	v_cvt_f16_u16_e32 v2, v0
.LBB528_1566:
	s_mov_b64 s[6:7], -1
.LBB528_1567:
	s_andn2_b64 vcc, exec, s[6:7]
	s_cbranch_vccnz .LBB528_1650
; %bb.1568:
	s_waitcnt vmcnt(0)
	v_cmp_o_f16_e32 vcc, v2, v2
	v_mov_b32_e32 v8, s10
	s_and_saveexec_b64 s[0:1], vcc
	s_cbranch_execz .LBB528_1572
; %bb.1569:
	s_movk_i32 s2, 0x7c00
	v_cmp_neq_f16_e32 vcc, s2, v2
	v_mov_b32_e32 v8, s44
	s_and_saveexec_b64 s[2:3], vcc
; %bb.1570:
	s_mov_b32 s6, 0xfc00
	v_mov_b32_e32 v0, s11
	v_cmp_eq_f16_e32 vcc, s6, v2
	s_nop 1
	v_cndmask_b32_e32 v8, v2, v0, vcc
; %bb.1571:
	s_or_b64 exec, exec, s[2:3]
.LBB528_1572:
	s_or_b64 exec, exec, s[0:1]
	v_mul_lo_u32 v0, s8, v4
	v_ashrrev_i32_e32 v1, 31, v0
	s_and_b32 s20, s33, 0xff
	s_cmp_lt_i32 s20, 11
	v_lshl_add_u64 v[2:3], s[4:5], 0, v[0:1]
	s_cbranch_scc1 .LBB528_1696
; %bb.1573:
	s_and_b32 s9, 0xffff, s20
	s_mov_b64 s[10:11], -1
	s_mov_b64 s[2:3], 0
	s_cmp_gt_i32 s9, 25
	s_mov_b64 s[6:7], 0
	s_mov_b64 s[0:1], 0
	s_cbranch_scc0 .LBB528_1606
; %bb.1574:
	s_cmp_gt_i32 s9, 28
	s_cbranch_scc0 .LBB528_1589
; %bb.1575:
	s_cmp_gt_i32 s9, 43
	;; [unrolled: 3-line block ×3, first 2 shown]
	s_cbranch_scc0 .LBB528_1579
; %bb.1577:
	s_mov_b64 s[0:1], -1
	s_mov_b64 s[10:11], 0
	s_cmp_eq_u32 s9, 46
	s_cbranch_scc0 .LBB528_1579
; %bb.1578:
	v_cvt_f32_f16_e32 v1, v5
	s_movk_i32 s0, 0x7fff
	v_cmp_o_f16_e32 vcc, v5, v5
	v_mov_b32_e32 v4, 0x7fc0
	v_bfe_u32 v9, v1, 16, 1
	v_add3_u32 v1, v1, v9, s0
	v_cndmask_b32_sdwa v1, v4, v1, vcc dst_sel:DWORD dst_unused:UNUSED_PAD src0_sel:DWORD src1_sel:WORD_1
	global_store_dword v[2:3], v1, off
	s_mov_b64 s[0:1], 0
	s_mov_b64 s[6:7], -1
.LBB528_1579:
	s_and_b64 vcc, exec, s[10:11]
	s_cbranch_vccz .LBB528_1584
; %bb.1580:
	s_cmp_eq_u32 s9, 44
	s_mov_b64 s[0:1], -1
	s_cbranch_scc0 .LBB528_1584
; %bb.1581:
	v_cvt_f32_f16_e32 v1, v5
	s_movk_i32 s0, 0xff
	v_mov_b32_e32 v9, 0xff
	v_bfe_u32 v4, v1, 23, 8
	v_cmp_ne_u32_e32 vcc, s0, v4
	s_and_saveexec_b64 s[6:7], vcc
; %bb.1582:
	s_mov_b32 s0, 0x3fffff
	v_lshrrev_b32_e32 v9, 23, v1
	v_and_b32_e32 v10, 0x400000, v1
	v_and_or_b32 v1, v1, s0, v4
	v_cmp_ne_u32_e32 vcc, 0, v10
	v_cmp_ne_u32_e64 s[0:1], 0, v1
	s_and_b64 s[0:1], vcc, s[0:1]
	s_nop 0
	v_cndmask_b32_e64 v1, 0, 1, s[0:1]
	v_add_u32_e32 v9, v9, v1
; %bb.1583:
	s_or_b64 exec, exec, s[6:7]
	s_mov_b64 s[0:1], 0
	s_mov_b64 s[6:7], -1
	global_store_byte v[2:3], v9, off
.LBB528_1584:
	s_mov_b64 s[10:11], 0
.LBB528_1585:
	s_and_b64 vcc, exec, s[10:11]
	s_cbranch_vccz .LBB528_1588
; %bb.1586:
	s_cmp_eq_u32 s9, 29
	s_mov_b64 s[0:1], -1
	s_cbranch_scc0 .LBB528_1588
; %bb.1587:
	v_cvt_f32_f16_e32 v1, v5
	v_mov_b32_e32 v11, 0
	s_mov_b64 s[0:1], 0
	s_mov_b64 s[6:7], -1
	v_cvt_u32_f32_e32 v10, v1
	global_store_dwordx2 v[2:3], v[10:11], off
.LBB528_1588:
	s_mov_b64 s[10:11], 0
.LBB528_1589:
	s_and_b64 vcc, exec, s[10:11]
	s_cbranch_vccz .LBB528_1605
; %bb.1590:
	s_cmp_lt_i32 s9, 27
	s_mov_b64 s[6:7], -1
	s_cbranch_scc1 .LBB528_1596
; %bb.1591:
	s_cmp_gt_i32 s9, 27
	s_cbranch_scc0 .LBB528_1593
; %bb.1592:
	v_cvt_f32_f16_e32 v1, v5
	s_mov_b64 s[6:7], 0
	v_cvt_u32_f32_e32 v1, v1
	global_store_dword v[2:3], v1, off
.LBB528_1593:
	s_andn2_b64 vcc, exec, s[6:7]
	s_cbranch_vccnz .LBB528_1595
; %bb.1594:
	v_cvt_u16_f16_e32 v1, v5
	global_store_short v[2:3], v1, off
.LBB528_1595:
	s_mov_b64 s[6:7], 0
.LBB528_1596:
	s_andn2_b64 vcc, exec, s[6:7]
	s_cbranch_vccnz .LBB528_1604
; %bb.1597:
	v_cvt_f32_f16_e32 v1, v5
	s_mov_b32 s6, 0x43800000
	v_mov_b32_e32 v9, 0x80
	v_and_b32_e32 v4, 0x7fffffff, v1
	v_cmp_gt_u32_e32 vcc, s6, v4
	s_and_saveexec_b64 s[6:7], vcc
	s_cbranch_execz .LBB528_1603
; %bb.1598:
	s_mov_b32 s10, 0x3bffffff
	v_cmp_lt_u32_e32 vcc, s10, v4
	s_mov_b64 s[10:11], 0
                                        ; implicit-def: $vgpr4
	s_and_saveexec_b64 s[18:19], vcc
	s_xor_b64 s[18:19], exec, s[18:19]
	s_cbranch_execz .LBB528_2054
; %bb.1599:
	v_bfe_u32 v4, v1, 20, 1
	s_mov_b32 s21, 0x487ffff
	v_add3_u32 v4, v1, v4, s21
	s_mov_b64 s[10:11], exec
	v_lshrrev_b32_e32 v4, 20, v4
	s_andn2_saveexec_b64 s[18:19], s[18:19]
	s_cbranch_execnz .LBB528_2055
.LBB528_1600:
	s_or_b64 exec, exec, s[18:19]
	v_mov_b32_e32 v9, 0
	s_and_saveexec_b64 s[18:19], s[10:11]
.LBB528_1601:
	v_lshrrev_b32_e32 v1, 24, v1
	s_movk_i32 s10, 0x80
	v_and_or_b32 v9, v1, s10, v4
.LBB528_1602:
	s_or_b64 exec, exec, s[18:19]
.LBB528_1603:
	s_or_b64 exec, exec, s[6:7]
	global_store_byte v[2:3], v9, off
.LBB528_1604:
	s_mov_b64 s[6:7], -1
.LBB528_1605:
	s_mov_b64 s[10:11], 0
.LBB528_1606:
	s_and_b64 vcc, exec, s[10:11]
	s_cbranch_vccz .LBB528_1646
; %bb.1607:
	s_cmp_gt_i32 s9, 22
	s_mov_b64 s[2:3], -1
	s_cbranch_scc0 .LBB528_1639
; %bb.1608:
	s_cmp_lt_i32 s9, 24
	s_cbranch_scc1 .LBB528_1628
; %bb.1609:
	s_cmp_gt_i32 s9, 24
	s_cbranch_scc0 .LBB528_1617
; %bb.1610:
	v_cvt_f32_f16_e32 v1, v5
	s_mov_b32 s2, 0x47800000
	v_mov_b32_e32 v9, 0x80
	v_and_b32_e32 v4, 0x7fffffff, v1
	v_cmp_gt_u32_e32 vcc, s2, v4
	s_and_saveexec_b64 s[2:3], vcc
	s_cbranch_execz .LBB528_1616
; %bb.1611:
	s_mov_b32 s6, 0x37ffffff
	v_cmp_lt_u32_e32 vcc, s6, v4
	s_mov_b64 s[6:7], 0
                                        ; implicit-def: $vgpr4
	s_and_saveexec_b64 s[10:11], vcc
	s_xor_b64 s[10:11], exec, s[10:11]
	s_cbranch_execz .LBB528_2057
; %bb.1612:
	v_bfe_u32 v4, v1, 21, 1
	s_mov_b32 s18, 0x88fffff
	v_add3_u32 v4, v1, v4, s18
	s_mov_b64 s[6:7], exec
	v_lshrrev_b32_e32 v4, 21, v4
	s_andn2_saveexec_b64 s[10:11], s[10:11]
	s_cbranch_execnz .LBB528_2058
.LBB528_1613:
	s_or_b64 exec, exec, s[10:11]
	v_mov_b32_e32 v9, 0
	s_and_saveexec_b64 s[10:11], s[6:7]
.LBB528_1614:
	v_lshrrev_b32_e32 v1, 24, v1
	s_movk_i32 s6, 0x80
	v_and_or_b32 v9, v1, s6, v4
.LBB528_1615:
	s_or_b64 exec, exec, s[10:11]
.LBB528_1616:
	s_or_b64 exec, exec, s[2:3]
	s_mov_b64 s[2:3], 0
	global_store_byte v[2:3], v9, off
.LBB528_1617:
	s_and_b64 vcc, exec, s[2:3]
	s_cbranch_vccz .LBB528_1627
; %bb.1618:
	v_cvt_f32_f16_e32 v1, v5
	s_mov_b32 s2, 0x43f00000
                                        ; implicit-def: $vgpr4
	v_and_b32_e32 v9, 0x7fffffff, v1
	v_cmp_gt_u32_e32 vcc, s2, v9
	s_and_saveexec_b64 s[2:3], vcc
	s_xor_b64 s[2:3], exec, s[2:3]
	s_cbranch_execz .LBB528_1624
; %bb.1619:
	s_mov_b32 s6, 0x3c7fffff
	v_cmp_lt_u32_e32 vcc, s6, v9
                                        ; implicit-def: $vgpr4
	s_and_saveexec_b64 s[6:7], vcc
	s_xor_b64 s[6:7], exec, s[6:7]
; %bb.1620:
	v_bfe_u32 v4, v1, 20, 1
	s_mov_b32 s10, 0x407ffff
	v_add3_u32 v4, v1, v4, s10
	v_lshrrev_b32_e32 v9, 20, v4
	v_and_b32_e32 v4, 0xff00000, v4
	s_mov_b32 s10, 0x7f00000
	v_mov_b32_e32 v10, 0x7e
	v_cmp_ne_u32_e32 vcc, s10, v4
	s_nop 1
	v_cndmask_b32_e32 v4, v10, v9, vcc
; %bb.1621:
	s_andn2_saveexec_b64 s[6:7], s[6:7]
; %bb.1622:
	s_mov_b32 s10, 0x46800000
	v_add_f32_e64 v4, |v1|, s10
; %bb.1623:
	s_or_b64 exec, exec, s[6:7]
                                        ; implicit-def: $vgpr9
.LBB528_1624:
	s_andn2_saveexec_b64 s[2:3], s[2:3]
; %bb.1625:
	s_mov_b32 s6, 0x7f800000
	v_mov_b32_e32 v4, 0x7e
	v_mov_b32_e32 v10, 0x7f
	v_cmp_lt_u32_e32 vcc, s6, v9
	s_nop 1
	v_cndmask_b32_e32 v4, v4, v10, vcc
; %bb.1626:
	s_or_b64 exec, exec, s[2:3]
	v_lshrrev_b32_e32 v1, 24, v1
	s_movk_i32 s2, 0x80
	v_and_or_b32 v1, v1, s2, v4
	global_store_byte v[2:3], v1, off
.LBB528_1627:
	s_mov_b64 s[2:3], 0
.LBB528_1628:
	s_andn2_b64 vcc, exec, s[2:3]
	s_cbranch_vccnz .LBB528_1638
; %bb.1629:
	v_cvt_f32_f16_e32 v1, v5
	s_mov_b32 s2, 0x47800000
                                        ; implicit-def: $vgpr4
	v_and_b32_e32 v9, 0x7fffffff, v1
	v_cmp_gt_u32_e32 vcc, s2, v9
	s_and_saveexec_b64 s[2:3], vcc
	s_xor_b64 s[2:3], exec, s[2:3]
	s_cbranch_execz .LBB528_1635
; %bb.1630:
	s_mov_b32 s6, 0x387fffff
	v_cmp_lt_u32_e32 vcc, s6, v9
                                        ; implicit-def: $vgpr4
	s_and_saveexec_b64 s[6:7], vcc
	s_xor_b64 s[6:7], exec, s[6:7]
; %bb.1631:
	v_bfe_u32 v4, v1, 21, 1
	s_mov_b32 s10, 0x80fffff
	v_add3_u32 v4, v1, v4, s10
	v_lshrrev_b32_e32 v4, 21, v4
; %bb.1632:
	s_andn2_saveexec_b64 s[6:7], s[6:7]
; %bb.1633:
	s_mov_b32 s10, 0x43000000
	v_add_f32_e64 v4, |v1|, s10
; %bb.1634:
	s_or_b64 exec, exec, s[6:7]
                                        ; implicit-def: $vgpr9
.LBB528_1635:
	s_andn2_saveexec_b64 s[2:3], s[2:3]
; %bb.1636:
	s_mov_b32 s6, 0x7f800000
	v_mov_b32_e32 v4, 0x7c
	v_mov_b32_e32 v10, 0x7f
	v_cmp_lt_u32_e32 vcc, s6, v9
	s_nop 1
	v_cndmask_b32_e32 v4, v4, v10, vcc
; %bb.1637:
	s_or_b64 exec, exec, s[2:3]
	v_lshrrev_b32_e32 v1, 24, v1
	s_movk_i32 s2, 0x80
	v_and_or_b32 v1, v1, s2, v4
	global_store_byte v[2:3], v1, off
.LBB528_1638:
	s_mov_b64 s[2:3], 0
	s_mov_b64 s[6:7], -1
.LBB528_1639:
	s_andn2_b64 vcc, exec, s[2:3]
	s_mov_b64 s[2:3], 0
	s_cbranch_vccnz .LBB528_1646
; %bb.1640:
	s_cmp_gt_i32 s9, 14
	s_mov_b64 s[10:11], -1
	s_cbranch_scc0 .LBB528_1644
; %bb.1641:
	s_cmp_eq_u32 s9, 15
	s_mov_b64 s[0:1], -1
	s_cbranch_scc0 .LBB528_1643
; %bb.1642:
	v_cvt_f32_f16_e32 v1, v5
	s_movk_i32 s0, 0x7fff
	v_cmp_o_f16_e32 vcc, v5, v5
	v_mov_b32_e32 v4, 0x7fc0
	v_bfe_u32 v9, v1, 16, 1
	v_add3_u32 v1, v1, v9, s0
	v_cndmask_b32_sdwa v1, v4, v1, vcc dst_sel:DWORD dst_unused:UNUSED_PAD src0_sel:DWORD src1_sel:WORD_1
	global_store_short v[2:3], v1, off
	s_mov_b64 s[0:1], 0
	s_mov_b64 s[6:7], -1
.LBB528_1643:
	s_mov_b64 s[10:11], 0
.LBB528_1644:
	s_and_b64 vcc, exec, s[10:11]
	s_cbranch_vccz .LBB528_1646
; %bb.1645:
	s_cmp_lg_u32 s9, 11
	s_mov_b64 s[2:3], -1
	s_cselect_b64 s[0:1], -1, 0
.LBB528_1646:
	s_and_b64 vcc, exec, s[0:1]
	s_cbranch_vccnz .LBB528_2056
; %bb.1647:
	s_andn2_b64 vcc, exec, s[2:3]
	s_cbranch_vccnz .LBB528_1649
.LBB528_1648:
	v_and_b32_e32 v1, 0x7fff, v5
	v_cmp_ne_u16_e32 vcc, 0, v1
	s_mov_b64 s[6:7], -1
	s_nop 0
	v_cndmask_b32_e64 v1, 0, 1, vcc
	global_store_byte v[2:3], v1, off
.LBB528_1649:
	s_mov_b64 s[0:1], 0
	s_branch .LBB528_1697
.LBB528_1650:
	s_mov_b64 s[0:1], 0
                                        ; implicit-def: $sgpr20
                                        ; implicit-def: $vgpr0_vgpr1
                                        ; implicit-def: $vgpr8
.LBB528_1651:
	s_mov_b64 s[2:3], 0
.LBB528_1652:
	s_andn2_b64 s[4:5], s[14:15], exec
	s_and_b64 s[6:7], s[16:17], exec
	s_and_b64 s[0:1], s[0:1], exec
	;; [unrolled: 1-line block ×3, first 2 shown]
	s_or_b64 s[14:15], s[4:5], s[6:7]
.LBB528_1653:
	s_or_b64 exec, exec, s[12:13]
	s_and_saveexec_b64 s[4:5], s[14:15]
	s_cbranch_execz .LBB528_1656
; %bb.1654:
	; divergent unreachable
	s_or_b64 exec, exec, s[4:5]
	s_and_saveexec_b64 s[4:5], s[2:3]
	s_xor_b64 s[2:3], exec, s[4:5]
	s_cbranch_execnz .LBB528_1657
.LBB528_1655:
	s_or_b64 exec, exec, s[2:3]
	s_and_saveexec_b64 s[2:3], s[0:1]
	s_cbranch_execnz .LBB528_1658
	s_branch .LBB528_1695
.LBB528_1656:
	s_or_b64 exec, exec, s[4:5]
	s_and_saveexec_b64 s[4:5], s[2:3]
	s_xor_b64 s[2:3], exec, s[4:5]
	s_cbranch_execz .LBB528_1655
.LBB528_1657:
	s_waitcnt vmcnt(0)
	v_and_b32_e32 v2, 0x7fff, v8
	v_cmp_ne_u16_e32 vcc, 0, v2
	s_nop 1
	v_cndmask_b32_e64 v2, 0, 1, vcc
	global_store_byte v[0:1], v2, off
	s_or_b64 exec, exec, s[2:3]
	s_and_saveexec_b64 s[2:3], s[0:1]
	s_cbranch_execz .LBB528_1695
.LBB528_1658:
	s_sext_i32_i16 s2, s20
	s_cmp_lt_i32 s2, 5
	s_mov_b64 s[0:1], -1
	s_cbranch_scc1 .LBB528_1679
; %bb.1659:
	s_cmp_lt_i32 s2, 8
	s_cbranch_scc1 .LBB528_1669
; %bb.1660:
	s_cmp_lt_i32 s2, 9
	s_cbranch_scc1 .LBB528_1666
; %bb.1661:
	s_cmp_gt_i32 s2, 9
	s_cbranch_scc0 .LBB528_1663
; %bb.1662:
	s_waitcnt vmcnt(0)
	v_cvt_f32_f16_e32 v2, v8
	v_mov_b32_e32 v4, 0
	v_mov_b32_e32 v5, v4
	s_mov_b64 s[0:1], 0
	v_cvt_f64_f32_e32 v[2:3], v2
	global_store_dwordx4 v[0:1], v[2:5], off
.LBB528_1663:
	s_andn2_b64 vcc, exec, s[0:1]
	s_cbranch_vccnz .LBB528_1665
; %bb.1664:
	s_waitcnt vmcnt(0)
	v_cvt_f32_f16_e32 v2, v8
	v_mov_b32_e32 v3, 0
	global_store_dwordx2 v[0:1], v[2:3], off
.LBB528_1665:
	s_mov_b64 s[0:1], 0
.LBB528_1666:
	s_andn2_b64 vcc, exec, s[0:1]
	s_cbranch_vccnz .LBB528_1668
; %bb.1667:
	s_waitcnt vmcnt(0)
	v_and_b32_e32 v2, 0xffff, v8
	global_store_dword v[0:1], v2, off
.LBB528_1668:
	s_mov_b64 s[0:1], 0
.LBB528_1669:
	s_andn2_b64 vcc, exec, s[0:1]
	s_cbranch_vccnz .LBB528_1678
; %bb.1670:
	s_sext_i32_i16 s2, s20
	s_cmp_lt_i32 s2, 6
	s_mov_b64 s[0:1], -1
	s_cbranch_scc1 .LBB528_1676
; %bb.1671:
	s_cmp_gt_i32 s2, 6
	s_cbranch_scc0 .LBB528_1673
; %bb.1672:
	s_waitcnt vmcnt(0)
	v_cvt_f32_f16_e32 v2, v8
	s_mov_b64 s[0:1], 0
	v_cvt_f64_f32_e32 v[2:3], v2
	global_store_dwordx2 v[0:1], v[2:3], off
.LBB528_1673:
	s_andn2_b64 vcc, exec, s[0:1]
	s_cbranch_vccnz .LBB528_1675
; %bb.1674:
	s_waitcnt vmcnt(0)
	v_cvt_f32_f16_e32 v2, v8
	global_store_dword v[0:1], v2, off
.LBB528_1675:
	s_mov_b64 s[0:1], 0
.LBB528_1676:
	s_andn2_b64 vcc, exec, s[0:1]
	s_cbranch_vccnz .LBB528_1678
; %bb.1677:
	s_waitcnt vmcnt(0)
	global_store_short v[0:1], v8, off
.LBB528_1678:
	s_mov_b64 s[0:1], 0
.LBB528_1679:
	s_andn2_b64 vcc, exec, s[0:1]
	s_cbranch_vccnz .LBB528_1695
; %bb.1680:
	s_sext_i32_i16 s2, s20
	s_cmp_lt_i32 s2, 2
	s_mov_b64 s[0:1], -1
	s_cbranch_scc1 .LBB528_1690
; %bb.1681:
	s_cmp_lt_i32 s2, 3
	s_cbranch_scc1 .LBB528_1687
; %bb.1682:
	s_cmp_gt_i32 s2, 3
	s_cbranch_scc0 .LBB528_1684
; %bb.1683:
	s_waitcnt vmcnt(0)
	v_cvt_f32_f16_e32 v2, v8
	s_mov_b64 s[0:1], 0
	v_cvt_i32_f32_e32 v2, v2
	v_ashrrev_i32_e32 v3, 31, v2
	global_store_dwordx2 v[0:1], v[2:3], off
.LBB528_1684:
	s_andn2_b64 vcc, exec, s[0:1]
	s_cbranch_vccnz .LBB528_1686
; %bb.1685:
	s_waitcnt vmcnt(0)
	v_cvt_f32_f16_e32 v2, v8
	v_cvt_i32_f32_e32 v2, v2
	global_store_dword v[0:1], v2, off
.LBB528_1686:
	s_mov_b64 s[0:1], 0
.LBB528_1687:
	s_andn2_b64 vcc, exec, s[0:1]
	s_cbranch_vccnz .LBB528_1689
; %bb.1688:
	s_waitcnt vmcnt(0)
	v_cvt_i16_f16_e32 v2, v8
	global_store_short v[0:1], v2, off
.LBB528_1689:
	s_mov_b64 s[0:1], 0
.LBB528_1690:
	s_andn2_b64 vcc, exec, s[0:1]
	s_cbranch_vccnz .LBB528_1695
; %bb.1691:
	s_sext_i32_i16 s0, s20
	s_cmp_gt_i32 s0, 0
	s_mov_b64 s[0:1], -1
	s_cbranch_scc0 .LBB528_1693
; %bb.1692:
	s_waitcnt vmcnt(0)
	v_cvt_i16_f16_e32 v2, v8
	global_store_byte v[0:1], v2, off
	s_mov_b64 s[0:1], 0
.LBB528_1693:
	s_andn2_b64 vcc, exec, s[0:1]
	s_cbranch_vccnz .LBB528_1695
; %bb.1694:
	s_waitcnt vmcnt(0)
	v_cvt_f32_f16_e32 v2, v8
	v_cvt_i32_f32_e32 v2, v2
	global_store_byte v[0:1], v2, off
	s_endpgm
.LBB528_1695:
	s_endpgm
.LBB528_1696:
	s_mov_b64 s[0:1], -1
	s_mov_b64 s[6:7], 0
.LBB528_1697:
	s_and_b64 vcc, exec, s[0:1]
	s_cbranch_vccz .LBB528_1736
; %bb.1698:
	s_and_b32 s2, 0xffff, s20
	s_cmp_lt_i32 s2, 5
	s_mov_b64 s[0:1], -1
	s_cbranch_scc1 .LBB528_1719
; %bb.1699:
	s_cmp_lt_i32 s2, 8
	s_cbranch_scc1 .LBB528_1709
; %bb.1700:
	s_cmp_lt_i32 s2, 9
	s_cbranch_scc1 .LBB528_1706
; %bb.1701:
	s_cmp_gt_i32 s2, 9
	s_cbranch_scc0 .LBB528_1703
; %bb.1702:
	v_cvt_f32_f16_e32 v1, v5
	v_mov_b32_e32 v12, 0
	v_mov_b32_e32 v13, v12
	s_mov_b64 s[0:1], 0
	v_cvt_f64_f32_e32 v[10:11], v1
	global_store_dwordx4 v[2:3], v[10:13], off
.LBB528_1703:
	s_andn2_b64 vcc, exec, s[0:1]
	s_cbranch_vccnz .LBB528_1705
; %bb.1704:
	v_cvt_f32_f16_e32 v10, v5
	v_mov_b32_e32 v11, 0
	global_store_dwordx2 v[2:3], v[10:11], off
.LBB528_1705:
	s_mov_b64 s[0:1], 0
.LBB528_1706:
	s_andn2_b64 vcc, exec, s[0:1]
	s_cbranch_vccnz .LBB528_1708
; %bb.1707:
	v_and_b32_e32 v1, 0xffff, v5
	global_store_dword v[2:3], v1, off
.LBB528_1708:
	s_mov_b64 s[0:1], 0
.LBB528_1709:
	s_andn2_b64 vcc, exec, s[0:1]
	s_cbranch_vccnz .LBB528_1718
; %bb.1710:
	s_cmp_lt_i32 s2, 6
	s_mov_b64 s[0:1], -1
	s_cbranch_scc1 .LBB528_1716
; %bb.1711:
	s_cmp_gt_i32 s2, 6
	s_cbranch_scc0 .LBB528_1713
; %bb.1712:
	v_cvt_f32_f16_e32 v1, v5
	s_mov_b64 s[0:1], 0
	v_cvt_f64_f32_e32 v[10:11], v1
	global_store_dwordx2 v[2:3], v[10:11], off
.LBB528_1713:
	s_andn2_b64 vcc, exec, s[0:1]
	s_cbranch_vccnz .LBB528_1715
; %bb.1714:
	v_cvt_f32_f16_e32 v1, v5
	global_store_dword v[2:3], v1, off
.LBB528_1715:
	s_mov_b64 s[0:1], 0
.LBB528_1716:
	s_andn2_b64 vcc, exec, s[0:1]
	s_cbranch_vccnz .LBB528_1718
; %bb.1717:
	global_store_short v[2:3], v5, off
.LBB528_1718:
	s_mov_b64 s[0:1], 0
.LBB528_1719:
	s_andn2_b64 vcc, exec, s[0:1]
	s_cbranch_vccnz .LBB528_1735
; %bb.1720:
	s_cmp_lt_i32 s2, 2
	s_mov_b64 s[0:1], -1
	s_cbranch_scc1 .LBB528_1730
; %bb.1721:
	s_cmp_lt_i32 s2, 3
	s_cbranch_scc1 .LBB528_1727
; %bb.1722:
	s_cmp_gt_i32 s2, 3
	s_cbranch_scc0 .LBB528_1724
; %bb.1723:
	v_cvt_f32_f16_e32 v1, v5
	s_mov_b64 s[0:1], 0
	v_cvt_i32_f32_e32 v10, v1
	v_ashrrev_i32_e32 v11, 31, v10
	global_store_dwordx2 v[2:3], v[10:11], off
.LBB528_1724:
	s_andn2_b64 vcc, exec, s[0:1]
	s_cbranch_vccnz .LBB528_1726
; %bb.1725:
	v_cvt_f32_f16_e32 v1, v5
	v_cvt_i32_f32_e32 v1, v1
	global_store_dword v[2:3], v1, off
.LBB528_1726:
	s_mov_b64 s[0:1], 0
.LBB528_1727:
	s_andn2_b64 vcc, exec, s[0:1]
	s_cbranch_vccnz .LBB528_1729
; %bb.1728:
	v_cvt_i16_f16_e32 v1, v5
	global_store_short v[2:3], v1, off
.LBB528_1729:
	s_mov_b64 s[0:1], 0
.LBB528_1730:
	s_andn2_b64 vcc, exec, s[0:1]
	s_cbranch_vccnz .LBB528_1735
; %bb.1731:
	s_cmp_gt_i32 s2, 0
	s_mov_b64 s[0:1], -1
	s_cbranch_scc0 .LBB528_1733
; %bb.1732:
	v_cvt_i16_f16_e32 v1, v5
	global_store_byte v[2:3], v1, off
	s_mov_b64 s[0:1], 0
.LBB528_1733:
	s_andn2_b64 vcc, exec, s[0:1]
	s_cbranch_vccnz .LBB528_1735
; %bb.1734:
	v_cvt_f32_f16_e32 v1, v5
	v_cvt_i32_f32_e32 v1, v1
	global_store_byte v[2:3], v1, off
.LBB528_1735:
	s_mov_b64 s[6:7], -1
.LBB528_1736:
	s_andn2_b64 vcc, exec, s[6:7]
	s_cbranch_vccnz .LBB528_2051
; %bb.1737:
	s_lshl_b32 s18, s8, 7
	v_add_u32_e32 v0, s18, v0
	v_ashrrev_i32_e32 v1, 31, v0
	s_cmp_lt_i32 s20, 11
	v_lshl_add_u64 v[2:3], s[4:5], 0, v[0:1]
	s_cbranch_scc1 .LBB528_1815
; %bb.1738:
	s_and_b32 s19, 0xffff, s20
	s_mov_b64 s[8:9], -1
	s_mov_b64 s[2:3], 0
	s_cmp_gt_i32 s19, 25
	s_mov_b64 s[6:7], 0
	s_mov_b64 s[0:1], 0
	s_cbranch_scc0 .LBB528_1771
; %bb.1739:
	s_cmp_gt_i32 s19, 28
	s_cbranch_scc0 .LBB528_1754
; %bb.1740:
	s_cmp_gt_i32 s19, 43
	s_cbranch_scc0 .LBB528_1750
; %bb.1741:
	s_cmp_gt_i32 s19, 45
	s_cbranch_scc0 .LBB528_1744
; %bb.1742:
	s_mov_b64 s[0:1], -1
	s_mov_b64 s[8:9], 0
	s_cmp_eq_u32 s19, 46
	s_cbranch_scc0 .LBB528_1744
; %bb.1743:
	v_cvt_f32_f16_e32 v1, v6
	s_movk_i32 s0, 0x7fff
	v_cmp_o_f16_e32 vcc, v6, v6
	v_mov_b32_e32 v4, 0x7fc0
	v_bfe_u32 v5, v1, 16, 1
	v_add3_u32 v1, v1, v5, s0
	v_cndmask_b32_sdwa v1, v4, v1, vcc dst_sel:DWORD dst_unused:UNUSED_PAD src0_sel:DWORD src1_sel:WORD_1
	global_store_dword v[2:3], v1, off
	s_mov_b64 s[0:1], 0
	s_mov_b64 s[6:7], -1
.LBB528_1744:
	s_and_b64 vcc, exec, s[8:9]
	s_cbranch_vccz .LBB528_1749
; %bb.1745:
	s_cmp_eq_u32 s19, 44
	s_mov_b64 s[0:1], -1
	s_cbranch_scc0 .LBB528_1749
; %bb.1746:
	v_cvt_f32_f16_e32 v1, v6
	s_movk_i32 s0, 0xff
	v_mov_b32_e32 v5, 0xff
	v_bfe_u32 v4, v1, 23, 8
	v_cmp_ne_u32_e32 vcc, s0, v4
	s_and_saveexec_b64 s[6:7], vcc
; %bb.1747:
	s_mov_b32 s0, 0x3fffff
	v_lshrrev_b32_e32 v5, 23, v1
	v_and_b32_e32 v9, 0x400000, v1
	v_and_or_b32 v1, v1, s0, v4
	v_cmp_ne_u32_e32 vcc, 0, v9
	v_cmp_ne_u32_e64 s[0:1], 0, v1
	s_and_b64 s[0:1], vcc, s[0:1]
	s_nop 0
	v_cndmask_b32_e64 v1, 0, 1, s[0:1]
	v_add_u32_e32 v5, v5, v1
; %bb.1748:
	s_or_b64 exec, exec, s[6:7]
	s_mov_b64 s[0:1], 0
	s_mov_b64 s[6:7], -1
	global_store_byte v[2:3], v5, off
.LBB528_1749:
	s_mov_b64 s[8:9], 0
.LBB528_1750:
	s_and_b64 vcc, exec, s[8:9]
	s_cbranch_vccz .LBB528_1753
; %bb.1751:
	s_cmp_eq_u32 s19, 29
	s_mov_b64 s[0:1], -1
	s_cbranch_scc0 .LBB528_1753
; %bb.1752:
	v_cvt_f32_f16_e32 v1, v6
	v_mov_b32_e32 v5, 0
	s_mov_b64 s[0:1], 0
	s_mov_b64 s[6:7], -1
	v_cvt_u32_f32_e32 v4, v1
	global_store_dwordx2 v[2:3], v[4:5], off
.LBB528_1753:
	s_mov_b64 s[8:9], 0
.LBB528_1754:
	s_and_b64 vcc, exec, s[8:9]
	s_cbranch_vccz .LBB528_1770
; %bb.1755:
	s_cmp_lt_i32 s19, 27
	s_mov_b64 s[6:7], -1
	s_cbranch_scc1 .LBB528_1761
; %bb.1756:
	s_cmp_gt_i32 s19, 27
	s_cbranch_scc0 .LBB528_1758
; %bb.1757:
	v_cvt_f32_f16_e32 v1, v6
	s_mov_b64 s[6:7], 0
	v_cvt_u32_f32_e32 v1, v1
	global_store_dword v[2:3], v1, off
.LBB528_1758:
	s_andn2_b64 vcc, exec, s[6:7]
	s_cbranch_vccnz .LBB528_1760
; %bb.1759:
	v_cvt_u16_f16_e32 v1, v6
	global_store_short v[2:3], v1, off
.LBB528_1760:
	s_mov_b64 s[6:7], 0
.LBB528_1761:
	s_andn2_b64 vcc, exec, s[6:7]
	s_cbranch_vccnz .LBB528_1769
; %bb.1762:
	v_cvt_f32_f16_e32 v1, v6
	s_mov_b32 s6, 0x43800000
	v_mov_b32_e32 v5, 0x80
	v_and_b32_e32 v4, 0x7fffffff, v1
	v_cmp_gt_u32_e32 vcc, s6, v4
	s_and_saveexec_b64 s[6:7], vcc
	s_cbranch_execz .LBB528_1768
; %bb.1763:
	s_mov_b32 s8, 0x3bffffff
	v_cmp_lt_u32_e32 vcc, s8, v4
	s_mov_b64 s[8:9], 0
                                        ; implicit-def: $vgpr4
	s_and_saveexec_b64 s[10:11], vcc
	s_xor_b64 s[10:11], exec, s[10:11]
	s_cbranch_execz .LBB528_2059
; %bb.1764:
	v_bfe_u32 v4, v1, 20, 1
	s_mov_b32 s21, 0x487ffff
	v_add3_u32 v4, v1, v4, s21
	s_mov_b64 s[8:9], exec
	v_lshrrev_b32_e32 v4, 20, v4
	s_andn2_saveexec_b64 s[10:11], s[10:11]
	s_cbranch_execnz .LBB528_2060
.LBB528_1765:
	s_or_b64 exec, exec, s[10:11]
	v_mov_b32_e32 v5, 0
	s_and_saveexec_b64 s[10:11], s[8:9]
.LBB528_1766:
	v_lshrrev_b32_e32 v1, 24, v1
	s_movk_i32 s8, 0x80
	v_and_or_b32 v5, v1, s8, v4
.LBB528_1767:
	s_or_b64 exec, exec, s[10:11]
.LBB528_1768:
	s_or_b64 exec, exec, s[6:7]
	global_store_byte v[2:3], v5, off
.LBB528_1769:
	s_mov_b64 s[6:7], -1
.LBB528_1770:
	s_mov_b64 s[8:9], 0
.LBB528_1771:
	s_and_b64 vcc, exec, s[8:9]
	s_cbranch_vccz .LBB528_1811
; %bb.1772:
	s_cmp_gt_i32 s19, 22
	s_mov_b64 s[2:3], -1
	s_cbranch_scc0 .LBB528_1804
; %bb.1773:
	s_cmp_lt_i32 s19, 24
	s_cbranch_scc1 .LBB528_1793
; %bb.1774:
	s_cmp_gt_i32 s19, 24
	s_cbranch_scc0 .LBB528_1782
; %bb.1775:
	v_cvt_f32_f16_e32 v1, v6
	s_mov_b32 s2, 0x47800000
	v_mov_b32_e32 v5, 0x80
	v_and_b32_e32 v4, 0x7fffffff, v1
	v_cmp_gt_u32_e32 vcc, s2, v4
	s_and_saveexec_b64 s[2:3], vcc
	s_cbranch_execz .LBB528_1781
; %bb.1776:
	s_mov_b32 s6, 0x37ffffff
	v_cmp_lt_u32_e32 vcc, s6, v4
	s_mov_b64 s[6:7], 0
                                        ; implicit-def: $vgpr4
	s_and_saveexec_b64 s[8:9], vcc
	s_xor_b64 s[8:9], exec, s[8:9]
	s_cbranch_execz .LBB528_2062
; %bb.1777:
	v_bfe_u32 v4, v1, 21, 1
	s_mov_b32 s10, 0x88fffff
	v_add3_u32 v4, v1, v4, s10
	s_mov_b64 s[6:7], exec
	v_lshrrev_b32_e32 v4, 21, v4
	s_andn2_saveexec_b64 s[8:9], s[8:9]
	s_cbranch_execnz .LBB528_2063
.LBB528_1778:
	s_or_b64 exec, exec, s[8:9]
	v_mov_b32_e32 v5, 0
	s_and_saveexec_b64 s[8:9], s[6:7]
.LBB528_1779:
	v_lshrrev_b32_e32 v1, 24, v1
	s_movk_i32 s6, 0x80
	v_and_or_b32 v5, v1, s6, v4
.LBB528_1780:
	s_or_b64 exec, exec, s[8:9]
.LBB528_1781:
	s_or_b64 exec, exec, s[2:3]
	s_mov_b64 s[2:3], 0
	global_store_byte v[2:3], v5, off
.LBB528_1782:
	s_and_b64 vcc, exec, s[2:3]
	s_cbranch_vccz .LBB528_1792
; %bb.1783:
	v_cvt_f32_f16_e32 v1, v6
	s_mov_b32 s2, 0x43f00000
                                        ; implicit-def: $vgpr4
	v_and_b32_e32 v5, 0x7fffffff, v1
	v_cmp_gt_u32_e32 vcc, s2, v5
	s_and_saveexec_b64 s[2:3], vcc
	s_xor_b64 s[2:3], exec, s[2:3]
	s_cbranch_execz .LBB528_1789
; %bb.1784:
	s_mov_b32 s6, 0x3c7fffff
	v_cmp_lt_u32_e32 vcc, s6, v5
                                        ; implicit-def: $vgpr4
	s_and_saveexec_b64 s[6:7], vcc
	s_xor_b64 s[6:7], exec, s[6:7]
; %bb.1785:
	v_bfe_u32 v4, v1, 20, 1
	s_mov_b32 s8, 0x407ffff
	v_add3_u32 v4, v1, v4, s8
	v_lshrrev_b32_e32 v5, 20, v4
	v_and_b32_e32 v4, 0xff00000, v4
	s_mov_b32 s8, 0x7f00000
	v_mov_b32_e32 v9, 0x7e
	v_cmp_ne_u32_e32 vcc, s8, v4
	s_nop 1
	v_cndmask_b32_e32 v4, v9, v5, vcc
; %bb.1786:
	s_andn2_saveexec_b64 s[6:7], s[6:7]
; %bb.1787:
	s_mov_b32 s8, 0x46800000
	v_add_f32_e64 v4, |v1|, s8
; %bb.1788:
	s_or_b64 exec, exec, s[6:7]
                                        ; implicit-def: $vgpr5
.LBB528_1789:
	s_andn2_saveexec_b64 s[2:3], s[2:3]
; %bb.1790:
	s_mov_b32 s6, 0x7f800000
	v_mov_b32_e32 v4, 0x7e
	v_mov_b32_e32 v9, 0x7f
	v_cmp_lt_u32_e32 vcc, s6, v5
	s_nop 1
	v_cndmask_b32_e32 v4, v4, v9, vcc
; %bb.1791:
	s_or_b64 exec, exec, s[2:3]
	v_lshrrev_b32_e32 v1, 24, v1
	s_movk_i32 s2, 0x80
	v_and_or_b32 v1, v1, s2, v4
	global_store_byte v[2:3], v1, off
.LBB528_1792:
	s_mov_b64 s[2:3], 0
.LBB528_1793:
	s_andn2_b64 vcc, exec, s[2:3]
	s_cbranch_vccnz .LBB528_1803
; %bb.1794:
	v_cvt_f32_f16_e32 v1, v6
	s_mov_b32 s2, 0x47800000
                                        ; implicit-def: $vgpr4
	v_and_b32_e32 v5, 0x7fffffff, v1
	v_cmp_gt_u32_e32 vcc, s2, v5
	s_and_saveexec_b64 s[2:3], vcc
	s_xor_b64 s[2:3], exec, s[2:3]
	s_cbranch_execz .LBB528_1800
; %bb.1795:
	s_mov_b32 s6, 0x387fffff
	v_cmp_lt_u32_e32 vcc, s6, v5
                                        ; implicit-def: $vgpr4
	s_and_saveexec_b64 s[6:7], vcc
	s_xor_b64 s[6:7], exec, s[6:7]
; %bb.1796:
	v_bfe_u32 v4, v1, 21, 1
	s_mov_b32 s8, 0x80fffff
	v_add3_u32 v4, v1, v4, s8
	v_lshrrev_b32_e32 v4, 21, v4
; %bb.1797:
	s_andn2_saveexec_b64 s[6:7], s[6:7]
; %bb.1798:
	s_mov_b32 s8, 0x43000000
	v_add_f32_e64 v4, |v1|, s8
; %bb.1799:
	s_or_b64 exec, exec, s[6:7]
                                        ; implicit-def: $vgpr5
.LBB528_1800:
	s_andn2_saveexec_b64 s[2:3], s[2:3]
; %bb.1801:
	s_mov_b32 s6, 0x7f800000
	v_mov_b32_e32 v4, 0x7c
	v_mov_b32_e32 v9, 0x7f
	v_cmp_lt_u32_e32 vcc, s6, v5
	s_nop 1
	v_cndmask_b32_e32 v4, v4, v9, vcc
; %bb.1802:
	s_or_b64 exec, exec, s[2:3]
	v_lshrrev_b32_e32 v1, 24, v1
	s_movk_i32 s2, 0x80
	v_and_or_b32 v1, v1, s2, v4
	global_store_byte v[2:3], v1, off
.LBB528_1803:
	s_mov_b64 s[2:3], 0
	s_mov_b64 s[6:7], -1
.LBB528_1804:
	s_andn2_b64 vcc, exec, s[2:3]
	s_mov_b64 s[2:3], 0
	s_cbranch_vccnz .LBB528_1811
; %bb.1805:
	s_cmp_gt_i32 s19, 14
	s_mov_b64 s[8:9], -1
	s_cbranch_scc0 .LBB528_1809
; %bb.1806:
	s_cmp_eq_u32 s19, 15
	s_mov_b64 s[0:1], -1
	s_cbranch_scc0 .LBB528_1808
; %bb.1807:
	v_cvt_f32_f16_e32 v1, v6
	s_movk_i32 s0, 0x7fff
	v_cmp_o_f16_e32 vcc, v6, v6
	v_mov_b32_e32 v4, 0x7fc0
	v_bfe_u32 v5, v1, 16, 1
	v_add3_u32 v1, v1, v5, s0
	v_cndmask_b32_sdwa v1, v4, v1, vcc dst_sel:DWORD dst_unused:UNUSED_PAD src0_sel:DWORD src1_sel:WORD_1
	global_store_short v[2:3], v1, off
	s_mov_b64 s[0:1], 0
	s_mov_b64 s[6:7], -1
.LBB528_1808:
	s_mov_b64 s[8:9], 0
.LBB528_1809:
	s_and_b64 vcc, exec, s[8:9]
	s_cbranch_vccz .LBB528_1811
; %bb.1810:
	s_cmp_lg_u32 s19, 11
	s_mov_b64 s[2:3], -1
	s_cselect_b64 s[0:1], -1, 0
.LBB528_1811:
	s_and_b64 vcc, exec, s[0:1]
	s_cbranch_vccnz .LBB528_2061
; %bb.1812:
	s_andn2_b64 vcc, exec, s[2:3]
	s_cbranch_vccnz .LBB528_1814
.LBB528_1813:
	v_and_b32_e32 v1, 0x7fff, v6
	v_cmp_ne_u16_e32 vcc, 0, v1
	s_mov_b64 s[6:7], -1
	s_nop 0
	v_cndmask_b32_e64 v1, 0, 1, vcc
	global_store_byte v[2:3], v1, off
.LBB528_1814:
	s_mov_b64 s[0:1], 0
	s_branch .LBB528_1816
.LBB528_1815:
	s_mov_b64 s[0:1], -1
	s_mov_b64 s[6:7], 0
.LBB528_1816:
	s_and_b64 vcc, exec, s[0:1]
	s_cbranch_vccz .LBB528_1855
; %bb.1817:
	s_and_b32 s2, 0xffff, s20
	s_cmp_lt_i32 s2, 5
	s_mov_b64 s[0:1], -1
	s_cbranch_scc1 .LBB528_1838
; %bb.1818:
	s_cmp_lt_i32 s2, 8
	s_cbranch_scc1 .LBB528_1828
; %bb.1819:
	s_cmp_lt_i32 s2, 9
	s_cbranch_scc1 .LBB528_1825
; %bb.1820:
	s_cmp_gt_i32 s2, 9
	s_cbranch_scc0 .LBB528_1822
; %bb.1821:
	v_cvt_f32_f16_e32 v1, v6
	v_mov_b32_e32 v12, 0
	v_mov_b32_e32 v13, v12
	s_mov_b64 s[0:1], 0
	v_cvt_f64_f32_e32 v[10:11], v1
	global_store_dwordx4 v[2:3], v[10:13], off
.LBB528_1822:
	s_andn2_b64 vcc, exec, s[0:1]
	s_cbranch_vccnz .LBB528_1824
; %bb.1823:
	v_cvt_f32_f16_e32 v4, v6
	v_mov_b32_e32 v5, 0
	global_store_dwordx2 v[2:3], v[4:5], off
.LBB528_1824:
	s_mov_b64 s[0:1], 0
.LBB528_1825:
	s_andn2_b64 vcc, exec, s[0:1]
	s_cbranch_vccnz .LBB528_1827
; %bb.1826:
	v_and_b32_e32 v1, 0xffff, v6
	global_store_dword v[2:3], v1, off
.LBB528_1827:
	s_mov_b64 s[0:1], 0
.LBB528_1828:
	s_andn2_b64 vcc, exec, s[0:1]
	s_cbranch_vccnz .LBB528_1837
; %bb.1829:
	s_cmp_lt_i32 s2, 6
	s_mov_b64 s[0:1], -1
	s_cbranch_scc1 .LBB528_1835
; %bb.1830:
	s_cmp_gt_i32 s2, 6
	s_cbranch_scc0 .LBB528_1832
; %bb.1831:
	v_cvt_f32_f16_e32 v1, v6
	s_mov_b64 s[0:1], 0
	v_cvt_f64_f32_e32 v[4:5], v1
	global_store_dwordx2 v[2:3], v[4:5], off
.LBB528_1832:
	s_andn2_b64 vcc, exec, s[0:1]
	s_cbranch_vccnz .LBB528_1834
; %bb.1833:
	v_cvt_f32_f16_e32 v1, v6
	global_store_dword v[2:3], v1, off
.LBB528_1834:
	s_mov_b64 s[0:1], 0
.LBB528_1835:
	s_andn2_b64 vcc, exec, s[0:1]
	s_cbranch_vccnz .LBB528_1837
; %bb.1836:
	global_store_short v[2:3], v6, off
.LBB528_1837:
	s_mov_b64 s[0:1], 0
.LBB528_1838:
	s_andn2_b64 vcc, exec, s[0:1]
	s_cbranch_vccnz .LBB528_1854
; %bb.1839:
	s_cmp_lt_i32 s2, 2
	s_mov_b64 s[0:1], -1
	s_cbranch_scc1 .LBB528_1849
; %bb.1840:
	s_cmp_lt_i32 s2, 3
	s_cbranch_scc1 .LBB528_1846
; %bb.1841:
	s_cmp_gt_i32 s2, 3
	s_cbranch_scc0 .LBB528_1843
; %bb.1842:
	v_cvt_f32_f16_e32 v1, v6
	s_mov_b64 s[0:1], 0
	v_cvt_i32_f32_e32 v4, v1
	v_ashrrev_i32_e32 v5, 31, v4
	global_store_dwordx2 v[2:3], v[4:5], off
.LBB528_1843:
	s_andn2_b64 vcc, exec, s[0:1]
	s_cbranch_vccnz .LBB528_1845
; %bb.1844:
	v_cvt_f32_f16_e32 v1, v6
	v_cvt_i32_f32_e32 v1, v1
	global_store_dword v[2:3], v1, off
.LBB528_1845:
	s_mov_b64 s[0:1], 0
.LBB528_1846:
	s_andn2_b64 vcc, exec, s[0:1]
	s_cbranch_vccnz .LBB528_1848
; %bb.1847:
	v_cvt_i16_f16_e32 v1, v6
	global_store_short v[2:3], v1, off
.LBB528_1848:
	s_mov_b64 s[0:1], 0
.LBB528_1849:
	s_andn2_b64 vcc, exec, s[0:1]
	s_cbranch_vccnz .LBB528_1854
; %bb.1850:
	s_cmp_gt_i32 s2, 0
	s_mov_b64 s[0:1], -1
	s_cbranch_scc0 .LBB528_1852
; %bb.1851:
	v_cvt_i16_f16_e32 v1, v6
	global_store_byte v[2:3], v1, off
	s_mov_b64 s[0:1], 0
.LBB528_1852:
	s_andn2_b64 vcc, exec, s[0:1]
	s_cbranch_vccnz .LBB528_1854
; %bb.1853:
	v_cvt_f32_f16_e32 v1, v6
	v_cvt_i32_f32_e32 v1, v1
	global_store_byte v[2:3], v1, off
.LBB528_1854:
	s_mov_b64 s[6:7], -1
.LBB528_1855:
	s_andn2_b64 vcc, exec, s[6:7]
	s_cbranch_vccnz .LBB528_2051
; %bb.1856:
	v_add_u32_e32 v0, s18, v0
	v_ashrrev_i32_e32 v1, 31, v0
	s_cmp_lt_i32 s20, 11
	v_lshl_add_u64 v[2:3], s[4:5], 0, v[0:1]
	s_cbranch_scc1 .LBB528_1934
; %bb.1857:
	s_and_b32 s19, 0xffff, s20
	s_mov_b64 s[8:9], -1
	s_mov_b64 s[2:3], 0
	s_cmp_gt_i32 s19, 25
	s_mov_b64 s[6:7], 0
	s_mov_b64 s[0:1], 0
	s_cbranch_scc0 .LBB528_1890
; %bb.1858:
	s_cmp_gt_i32 s19, 28
	s_cbranch_scc0 .LBB528_1873
; %bb.1859:
	s_cmp_gt_i32 s19, 43
	s_cbranch_scc0 .LBB528_1869
; %bb.1860:
	s_cmp_gt_i32 s19, 45
	s_cbranch_scc0 .LBB528_1863
; %bb.1861:
	s_mov_b64 s[0:1], -1
	s_mov_b64 s[8:9], 0
	s_cmp_eq_u32 s19, 46
	s_cbranch_scc0 .LBB528_1863
; %bb.1862:
	v_cvt_f32_f16_e32 v1, v7
	s_movk_i32 s0, 0x7fff
	v_cmp_o_f16_e32 vcc, v7, v7
	v_mov_b32_e32 v4, 0x7fc0
	v_bfe_u32 v5, v1, 16, 1
	v_add3_u32 v1, v1, v5, s0
	v_cndmask_b32_sdwa v1, v4, v1, vcc dst_sel:DWORD dst_unused:UNUSED_PAD src0_sel:DWORD src1_sel:WORD_1
	global_store_dword v[2:3], v1, off
	s_mov_b64 s[0:1], 0
	s_mov_b64 s[6:7], -1
.LBB528_1863:
	s_and_b64 vcc, exec, s[8:9]
	s_cbranch_vccz .LBB528_1868
; %bb.1864:
	s_cmp_eq_u32 s19, 44
	s_mov_b64 s[0:1], -1
	s_cbranch_scc0 .LBB528_1868
; %bb.1865:
	v_cvt_f32_f16_e32 v1, v7
	s_movk_i32 s0, 0xff
	v_mov_b32_e32 v5, 0xff
	v_bfe_u32 v4, v1, 23, 8
	v_cmp_ne_u32_e32 vcc, s0, v4
	s_and_saveexec_b64 s[6:7], vcc
; %bb.1866:
	s_mov_b32 s0, 0x3fffff
	v_lshrrev_b32_e32 v5, 23, v1
	v_and_b32_e32 v6, 0x400000, v1
	v_and_or_b32 v1, v1, s0, v4
	v_cmp_ne_u32_e32 vcc, 0, v6
	v_cmp_ne_u32_e64 s[0:1], 0, v1
	s_and_b64 s[0:1], vcc, s[0:1]
	s_nop 0
	v_cndmask_b32_e64 v1, 0, 1, s[0:1]
	v_add_u32_e32 v5, v5, v1
; %bb.1867:
	s_or_b64 exec, exec, s[6:7]
	s_mov_b64 s[0:1], 0
	s_mov_b64 s[6:7], -1
	global_store_byte v[2:3], v5, off
.LBB528_1868:
	s_mov_b64 s[8:9], 0
.LBB528_1869:
	s_and_b64 vcc, exec, s[8:9]
	s_cbranch_vccz .LBB528_1872
; %bb.1870:
	s_cmp_eq_u32 s19, 29
	s_mov_b64 s[0:1], -1
	s_cbranch_scc0 .LBB528_1872
; %bb.1871:
	v_cvt_f32_f16_e32 v1, v7
	v_mov_b32_e32 v5, 0
	s_mov_b64 s[0:1], 0
	s_mov_b64 s[6:7], -1
	v_cvt_u32_f32_e32 v4, v1
	global_store_dwordx2 v[2:3], v[4:5], off
.LBB528_1872:
	s_mov_b64 s[8:9], 0
.LBB528_1873:
	s_and_b64 vcc, exec, s[8:9]
	s_cbranch_vccz .LBB528_1889
; %bb.1874:
	s_cmp_lt_i32 s19, 27
	s_mov_b64 s[6:7], -1
	s_cbranch_scc1 .LBB528_1880
; %bb.1875:
	s_cmp_gt_i32 s19, 27
	s_cbranch_scc0 .LBB528_1877
; %bb.1876:
	v_cvt_f32_f16_e32 v1, v7
	s_mov_b64 s[6:7], 0
	v_cvt_u32_f32_e32 v1, v1
	global_store_dword v[2:3], v1, off
.LBB528_1877:
	s_andn2_b64 vcc, exec, s[6:7]
	s_cbranch_vccnz .LBB528_1879
; %bb.1878:
	v_cvt_u16_f16_e32 v1, v7
	global_store_short v[2:3], v1, off
.LBB528_1879:
	s_mov_b64 s[6:7], 0
.LBB528_1880:
	s_andn2_b64 vcc, exec, s[6:7]
	s_cbranch_vccnz .LBB528_1888
; %bb.1881:
	v_cvt_f32_f16_e32 v1, v7
	s_mov_b32 s6, 0x43800000
	v_mov_b32_e32 v5, 0x80
	v_and_b32_e32 v4, 0x7fffffff, v1
	v_cmp_gt_u32_e32 vcc, s6, v4
	s_and_saveexec_b64 s[6:7], vcc
	s_cbranch_execz .LBB528_1887
; %bb.1882:
	s_mov_b32 s8, 0x3bffffff
	v_cmp_lt_u32_e32 vcc, s8, v4
	s_mov_b64 s[8:9], 0
                                        ; implicit-def: $vgpr4
	s_and_saveexec_b64 s[10:11], vcc
	s_xor_b64 s[10:11], exec, s[10:11]
	s_cbranch_execz .LBB528_2064
; %bb.1883:
	v_bfe_u32 v4, v1, 20, 1
	s_mov_b32 s21, 0x487ffff
	v_add3_u32 v4, v1, v4, s21
	s_mov_b64 s[8:9], exec
	v_lshrrev_b32_e32 v4, 20, v4
	s_andn2_saveexec_b64 s[10:11], s[10:11]
	s_cbranch_execnz .LBB528_2065
.LBB528_1884:
	s_or_b64 exec, exec, s[10:11]
	v_mov_b32_e32 v5, 0
	s_and_saveexec_b64 s[10:11], s[8:9]
.LBB528_1885:
	v_lshrrev_b32_e32 v1, 24, v1
	s_movk_i32 s8, 0x80
	v_and_or_b32 v5, v1, s8, v4
.LBB528_1886:
	s_or_b64 exec, exec, s[10:11]
.LBB528_1887:
	s_or_b64 exec, exec, s[6:7]
	global_store_byte v[2:3], v5, off
.LBB528_1888:
	s_mov_b64 s[6:7], -1
.LBB528_1889:
	s_mov_b64 s[8:9], 0
.LBB528_1890:
	s_and_b64 vcc, exec, s[8:9]
	s_cbranch_vccz .LBB528_1930
; %bb.1891:
	s_cmp_gt_i32 s19, 22
	s_mov_b64 s[2:3], -1
	s_cbranch_scc0 .LBB528_1923
; %bb.1892:
	s_cmp_lt_i32 s19, 24
	s_cbranch_scc1 .LBB528_1912
; %bb.1893:
	s_cmp_gt_i32 s19, 24
	s_cbranch_scc0 .LBB528_1901
; %bb.1894:
	v_cvt_f32_f16_e32 v1, v7
	s_mov_b32 s2, 0x47800000
	v_mov_b32_e32 v5, 0x80
	v_and_b32_e32 v4, 0x7fffffff, v1
	v_cmp_gt_u32_e32 vcc, s2, v4
	s_and_saveexec_b64 s[2:3], vcc
	s_cbranch_execz .LBB528_1900
; %bb.1895:
	s_mov_b32 s6, 0x37ffffff
	v_cmp_lt_u32_e32 vcc, s6, v4
	s_mov_b64 s[6:7], 0
                                        ; implicit-def: $vgpr4
	s_and_saveexec_b64 s[8:9], vcc
	s_xor_b64 s[8:9], exec, s[8:9]
	s_cbranch_execz .LBB528_2067
; %bb.1896:
	v_bfe_u32 v4, v1, 21, 1
	s_mov_b32 s10, 0x88fffff
	v_add3_u32 v4, v1, v4, s10
	s_mov_b64 s[6:7], exec
	v_lshrrev_b32_e32 v4, 21, v4
	s_andn2_saveexec_b64 s[8:9], s[8:9]
	s_cbranch_execnz .LBB528_2068
.LBB528_1897:
	s_or_b64 exec, exec, s[8:9]
	v_mov_b32_e32 v5, 0
	s_and_saveexec_b64 s[8:9], s[6:7]
.LBB528_1898:
	v_lshrrev_b32_e32 v1, 24, v1
	s_movk_i32 s6, 0x80
	v_and_or_b32 v5, v1, s6, v4
.LBB528_1899:
	s_or_b64 exec, exec, s[8:9]
.LBB528_1900:
	s_or_b64 exec, exec, s[2:3]
	s_mov_b64 s[2:3], 0
	global_store_byte v[2:3], v5, off
.LBB528_1901:
	s_and_b64 vcc, exec, s[2:3]
	s_cbranch_vccz .LBB528_1911
; %bb.1902:
	v_cvt_f32_f16_e32 v1, v7
	s_mov_b32 s2, 0x43f00000
                                        ; implicit-def: $vgpr4
	v_and_b32_e32 v5, 0x7fffffff, v1
	v_cmp_gt_u32_e32 vcc, s2, v5
	s_and_saveexec_b64 s[2:3], vcc
	s_xor_b64 s[2:3], exec, s[2:3]
	s_cbranch_execz .LBB528_1908
; %bb.1903:
	s_mov_b32 s6, 0x3c7fffff
	v_cmp_lt_u32_e32 vcc, s6, v5
                                        ; implicit-def: $vgpr4
	s_and_saveexec_b64 s[6:7], vcc
	s_xor_b64 s[6:7], exec, s[6:7]
; %bb.1904:
	v_bfe_u32 v4, v1, 20, 1
	s_mov_b32 s8, 0x407ffff
	v_add3_u32 v4, v1, v4, s8
	v_lshrrev_b32_e32 v5, 20, v4
	v_and_b32_e32 v4, 0xff00000, v4
	s_mov_b32 s8, 0x7f00000
	v_mov_b32_e32 v6, 0x7e
	v_cmp_ne_u32_e32 vcc, s8, v4
	s_nop 1
	v_cndmask_b32_e32 v4, v6, v5, vcc
; %bb.1905:
	s_andn2_saveexec_b64 s[6:7], s[6:7]
; %bb.1906:
	s_mov_b32 s8, 0x46800000
	v_add_f32_e64 v4, |v1|, s8
; %bb.1907:
	s_or_b64 exec, exec, s[6:7]
                                        ; implicit-def: $vgpr5
.LBB528_1908:
	s_andn2_saveexec_b64 s[2:3], s[2:3]
; %bb.1909:
	s_mov_b32 s6, 0x7f800000
	v_mov_b32_e32 v4, 0x7e
	v_mov_b32_e32 v6, 0x7f
	v_cmp_lt_u32_e32 vcc, s6, v5
	s_nop 1
	v_cndmask_b32_e32 v4, v4, v6, vcc
; %bb.1910:
	s_or_b64 exec, exec, s[2:3]
	v_lshrrev_b32_e32 v1, 24, v1
	s_movk_i32 s2, 0x80
	v_and_or_b32 v1, v1, s2, v4
	global_store_byte v[2:3], v1, off
.LBB528_1911:
	s_mov_b64 s[2:3], 0
.LBB528_1912:
	s_andn2_b64 vcc, exec, s[2:3]
	s_cbranch_vccnz .LBB528_1922
; %bb.1913:
	v_cvt_f32_f16_e32 v1, v7
	s_mov_b32 s2, 0x47800000
                                        ; implicit-def: $vgpr4
	v_and_b32_e32 v5, 0x7fffffff, v1
	v_cmp_gt_u32_e32 vcc, s2, v5
	s_and_saveexec_b64 s[2:3], vcc
	s_xor_b64 s[2:3], exec, s[2:3]
	s_cbranch_execz .LBB528_1919
; %bb.1914:
	s_mov_b32 s6, 0x387fffff
	v_cmp_lt_u32_e32 vcc, s6, v5
                                        ; implicit-def: $vgpr4
	s_and_saveexec_b64 s[6:7], vcc
	s_xor_b64 s[6:7], exec, s[6:7]
; %bb.1915:
	v_bfe_u32 v4, v1, 21, 1
	s_mov_b32 s8, 0x80fffff
	v_add3_u32 v4, v1, v4, s8
	v_lshrrev_b32_e32 v4, 21, v4
; %bb.1916:
	s_andn2_saveexec_b64 s[6:7], s[6:7]
; %bb.1917:
	s_mov_b32 s8, 0x43000000
	v_add_f32_e64 v4, |v1|, s8
; %bb.1918:
	s_or_b64 exec, exec, s[6:7]
                                        ; implicit-def: $vgpr5
.LBB528_1919:
	s_andn2_saveexec_b64 s[2:3], s[2:3]
; %bb.1920:
	s_mov_b32 s6, 0x7f800000
	v_mov_b32_e32 v4, 0x7c
	v_mov_b32_e32 v6, 0x7f
	v_cmp_lt_u32_e32 vcc, s6, v5
	s_nop 1
	v_cndmask_b32_e32 v4, v4, v6, vcc
; %bb.1921:
	s_or_b64 exec, exec, s[2:3]
	v_lshrrev_b32_e32 v1, 24, v1
	s_movk_i32 s2, 0x80
	v_and_or_b32 v1, v1, s2, v4
	global_store_byte v[2:3], v1, off
.LBB528_1922:
	s_mov_b64 s[2:3], 0
	s_mov_b64 s[6:7], -1
.LBB528_1923:
	s_andn2_b64 vcc, exec, s[2:3]
	s_mov_b64 s[2:3], 0
	s_cbranch_vccnz .LBB528_1930
; %bb.1924:
	s_cmp_gt_i32 s19, 14
	s_mov_b64 s[8:9], -1
	s_cbranch_scc0 .LBB528_1928
; %bb.1925:
	s_cmp_eq_u32 s19, 15
	s_mov_b64 s[0:1], -1
	s_cbranch_scc0 .LBB528_1927
; %bb.1926:
	v_cvt_f32_f16_e32 v1, v7
	s_movk_i32 s0, 0x7fff
	v_cmp_o_f16_e32 vcc, v7, v7
	v_mov_b32_e32 v4, 0x7fc0
	v_bfe_u32 v5, v1, 16, 1
	v_add3_u32 v1, v1, v5, s0
	v_cndmask_b32_sdwa v1, v4, v1, vcc dst_sel:DWORD dst_unused:UNUSED_PAD src0_sel:DWORD src1_sel:WORD_1
	global_store_short v[2:3], v1, off
	s_mov_b64 s[0:1], 0
	s_mov_b64 s[6:7], -1
.LBB528_1927:
	s_mov_b64 s[8:9], 0
.LBB528_1928:
	s_and_b64 vcc, exec, s[8:9]
	s_cbranch_vccz .LBB528_1930
; %bb.1929:
	s_cmp_lg_u32 s19, 11
	s_mov_b64 s[2:3], -1
	s_cselect_b64 s[0:1], -1, 0
.LBB528_1930:
	s_and_b64 vcc, exec, s[0:1]
	s_cbranch_vccnz .LBB528_2066
; %bb.1931:
	s_andn2_b64 vcc, exec, s[2:3]
	s_cbranch_vccnz .LBB528_1933
.LBB528_1932:
	v_and_b32_e32 v1, 0x7fff, v7
	v_cmp_ne_u16_e32 vcc, 0, v1
	s_mov_b64 s[6:7], -1
	s_nop 0
	v_cndmask_b32_e64 v1, 0, 1, vcc
	global_store_byte v[2:3], v1, off
.LBB528_1933:
	s_mov_b64 s[0:1], 0
	s_branch .LBB528_1935
.LBB528_1934:
	s_mov_b64 s[0:1], -1
	s_mov_b64 s[6:7], 0
.LBB528_1935:
	s_and_b64 vcc, exec, s[0:1]
	s_cbranch_vccz .LBB528_1974
; %bb.1936:
	s_and_b32 s2, 0xffff, s20
	s_cmp_lt_i32 s2, 5
	s_mov_b64 s[0:1], -1
	s_cbranch_scc1 .LBB528_1957
; %bb.1937:
	s_cmp_lt_i32 s2, 8
	s_cbranch_scc1 .LBB528_1947
; %bb.1938:
	s_cmp_lt_i32 s2, 9
	s_cbranch_scc1 .LBB528_1944
; %bb.1939:
	s_cmp_gt_i32 s2, 9
	s_cbranch_scc0 .LBB528_1941
; %bb.1940:
	v_cvt_f32_f16_e32 v1, v7
	v_mov_b32_e32 v12, 0
	v_mov_b32_e32 v13, v12
	s_mov_b64 s[0:1], 0
	v_cvt_f64_f32_e32 v[10:11], v1
	global_store_dwordx4 v[2:3], v[10:13], off
.LBB528_1941:
	s_andn2_b64 vcc, exec, s[0:1]
	s_cbranch_vccnz .LBB528_1943
; %bb.1942:
	v_cvt_f32_f16_e32 v4, v7
	v_mov_b32_e32 v5, 0
	global_store_dwordx2 v[2:3], v[4:5], off
.LBB528_1943:
	s_mov_b64 s[0:1], 0
.LBB528_1944:
	s_andn2_b64 vcc, exec, s[0:1]
	s_cbranch_vccnz .LBB528_1946
; %bb.1945:
	v_and_b32_e32 v1, 0xffff, v7
	global_store_dword v[2:3], v1, off
.LBB528_1946:
	s_mov_b64 s[0:1], 0
.LBB528_1947:
	s_andn2_b64 vcc, exec, s[0:1]
	s_cbranch_vccnz .LBB528_1956
; %bb.1948:
	s_cmp_lt_i32 s2, 6
	s_mov_b64 s[0:1], -1
	s_cbranch_scc1 .LBB528_1954
; %bb.1949:
	s_cmp_gt_i32 s2, 6
	s_cbranch_scc0 .LBB528_1951
; %bb.1950:
	v_cvt_f32_f16_e32 v1, v7
	s_mov_b64 s[0:1], 0
	v_cvt_f64_f32_e32 v[4:5], v1
	global_store_dwordx2 v[2:3], v[4:5], off
.LBB528_1951:
	s_andn2_b64 vcc, exec, s[0:1]
	s_cbranch_vccnz .LBB528_1953
; %bb.1952:
	v_cvt_f32_f16_e32 v1, v7
	global_store_dword v[2:3], v1, off
.LBB528_1953:
	s_mov_b64 s[0:1], 0
.LBB528_1954:
	s_andn2_b64 vcc, exec, s[0:1]
	s_cbranch_vccnz .LBB528_1956
; %bb.1955:
	global_store_short v[2:3], v7, off
.LBB528_1956:
	s_mov_b64 s[0:1], 0
.LBB528_1957:
	s_andn2_b64 vcc, exec, s[0:1]
	s_cbranch_vccnz .LBB528_1973
; %bb.1958:
	s_cmp_lt_i32 s2, 2
	s_mov_b64 s[0:1], -1
	s_cbranch_scc1 .LBB528_1968
; %bb.1959:
	s_cmp_lt_i32 s2, 3
	s_cbranch_scc1 .LBB528_1965
; %bb.1960:
	s_cmp_gt_i32 s2, 3
	s_cbranch_scc0 .LBB528_1962
; %bb.1961:
	v_cvt_f32_f16_e32 v1, v7
	s_mov_b64 s[0:1], 0
	v_cvt_i32_f32_e32 v4, v1
	v_ashrrev_i32_e32 v5, 31, v4
	global_store_dwordx2 v[2:3], v[4:5], off
.LBB528_1962:
	s_andn2_b64 vcc, exec, s[0:1]
	s_cbranch_vccnz .LBB528_1964
; %bb.1963:
	v_cvt_f32_f16_e32 v1, v7
	v_cvt_i32_f32_e32 v1, v1
	global_store_dword v[2:3], v1, off
.LBB528_1964:
	s_mov_b64 s[0:1], 0
.LBB528_1965:
	s_andn2_b64 vcc, exec, s[0:1]
	s_cbranch_vccnz .LBB528_1967
; %bb.1966:
	v_cvt_i16_f16_e32 v1, v7
	global_store_short v[2:3], v1, off
.LBB528_1967:
	s_mov_b64 s[0:1], 0
.LBB528_1968:
	s_andn2_b64 vcc, exec, s[0:1]
	s_cbranch_vccnz .LBB528_1973
; %bb.1969:
	s_cmp_gt_i32 s2, 0
	s_mov_b64 s[0:1], -1
	s_cbranch_scc0 .LBB528_1971
; %bb.1970:
	v_cvt_i16_f16_e32 v1, v7
	global_store_byte v[2:3], v1, off
	s_mov_b64 s[0:1], 0
.LBB528_1971:
	s_andn2_b64 vcc, exec, s[0:1]
	s_cbranch_vccnz .LBB528_1973
; %bb.1972:
	v_cvt_f32_f16_e32 v1, v7
	v_cvt_i32_f32_e32 v1, v1
	global_store_byte v[2:3], v1, off
.LBB528_1973:
	s_mov_b64 s[6:7], -1
.LBB528_1974:
	s_andn2_b64 vcc, exec, s[6:7]
	s_cbranch_vccnz .LBB528_2051
; %bb.1975:
	v_add_u32_e32 v0, s18, v0
	v_ashrrev_i32_e32 v1, 31, v0
	s_cmp_lt_i32 s20, 11
	v_lshl_add_u64 v[0:1], s[4:5], 0, v[0:1]
	s_cbranch_scc1 .LBB528_2052
; %bb.1976:
	s_and_b32 s10, 0xffff, s20
	s_mov_b64 s[4:5], -1
	s_mov_b64 s[2:3], 0
	s_cmp_gt_i32 s10, 25
	s_mov_b64 s[0:1], 0
	s_cbranch_scc0 .LBB528_2009
; %bb.1977:
	s_cmp_gt_i32 s10, 28
	s_cbranch_scc0 .LBB528_1993
; %bb.1978:
	s_cmp_gt_i32 s10, 43
	;; [unrolled: 3-line block ×3, first 2 shown]
	s_cbranch_scc0 .LBB528_1983
; %bb.1980:
	s_cmp_eq_u32 s10, 46
	s_mov_b64 s[0:1], -1
	s_cbranch_scc0 .LBB528_1982
; %bb.1981:
	v_cvt_f32_f16_e32 v2, v8
	s_movk_i32 s0, 0x7fff
	v_cmp_o_f16_e32 vcc, v8, v8
	v_mov_b32_e32 v3, 0x7fc0
	v_bfe_u32 v4, v2, 16, 1
	v_add3_u32 v2, v2, v4, s0
	v_cndmask_b32_sdwa v2, v3, v2, vcc dst_sel:DWORD dst_unused:UNUSED_PAD src0_sel:DWORD src1_sel:WORD_1
	global_store_dword v[0:1], v2, off
	s_mov_b64 s[0:1], 0
.LBB528_1982:
	s_mov_b64 s[4:5], 0
.LBB528_1983:
	s_and_b64 vcc, exec, s[4:5]
	s_cbranch_vccz .LBB528_1988
; %bb.1984:
	s_cmp_eq_u32 s10, 44
	s_mov_b64 s[0:1], -1
	s_cbranch_scc0 .LBB528_1988
; %bb.1985:
	v_cvt_f32_f16_e32 v2, v8
	s_movk_i32 s0, 0xff
	v_mov_b32_e32 v4, 0xff
	v_bfe_u32 v3, v2, 23, 8
	v_cmp_ne_u32_e32 vcc, s0, v3
	s_and_saveexec_b64 s[4:5], vcc
; %bb.1986:
	s_mov_b32 s0, 0x3fffff
	v_lshrrev_b32_e32 v4, 23, v2
	v_and_b32_e32 v5, 0x400000, v2
	v_and_or_b32 v2, v2, s0, v3
	v_cmp_ne_u32_e32 vcc, 0, v5
	v_cmp_ne_u32_e64 s[0:1], 0, v2
	s_and_b64 s[0:1], vcc, s[0:1]
	s_nop 0
	v_cndmask_b32_e64 v2, 0, 1, s[0:1]
	v_add_u32_e32 v4, v4, v2
; %bb.1987:
	s_or_b64 exec, exec, s[4:5]
	s_mov_b64 s[0:1], 0
	global_store_byte v[0:1], v4, off
.LBB528_1988:
	s_mov_b64 s[4:5], 0
.LBB528_1989:
	s_and_b64 vcc, exec, s[4:5]
	s_cbranch_vccz .LBB528_1992
; %bb.1990:
	s_cmp_eq_u32 s10, 29
	s_mov_b64 s[0:1], -1
	s_cbranch_scc0 .LBB528_1992
; %bb.1991:
	v_cvt_f32_f16_e32 v2, v8
	v_mov_b32_e32 v3, 0
	s_mov_b64 s[0:1], 0
	v_cvt_u32_f32_e32 v2, v2
	global_store_dwordx2 v[0:1], v[2:3], off
.LBB528_1992:
	s_mov_b64 s[4:5], 0
.LBB528_1993:
	s_and_b64 vcc, exec, s[4:5]
	s_cbranch_vccz .LBB528_2008
; %bb.1994:
	s_cmp_lt_i32 s10, 27
	s_mov_b64 s[4:5], -1
	s_cbranch_scc1 .LBB528_2000
; %bb.1995:
	s_cmp_gt_i32 s10, 27
	s_cbranch_scc0 .LBB528_1997
; %bb.1996:
	v_cvt_f32_f16_e32 v2, v8
	s_mov_b64 s[4:5], 0
	v_cvt_u32_f32_e32 v2, v2
	global_store_dword v[0:1], v2, off
.LBB528_1997:
	s_andn2_b64 vcc, exec, s[4:5]
	s_cbranch_vccnz .LBB528_1999
; %bb.1998:
	v_cvt_u16_f16_e32 v2, v8
	global_store_short v[0:1], v2, off
.LBB528_1999:
	s_mov_b64 s[4:5], 0
.LBB528_2000:
	s_andn2_b64 vcc, exec, s[4:5]
	s_cbranch_vccnz .LBB528_2008
; %bb.2001:
	v_cvt_f32_f16_e32 v2, v8
	s_mov_b32 s4, 0x43800000
	v_mov_b32_e32 v4, 0x80
	v_and_b32_e32 v3, 0x7fffffff, v2
	v_cmp_gt_u32_e32 vcc, s4, v3
	s_and_saveexec_b64 s[4:5], vcc
	s_cbranch_execz .LBB528_2007
; %bb.2002:
	s_mov_b32 s6, 0x3bffffff
	v_cmp_lt_u32_e32 vcc, s6, v3
	s_mov_b64 s[6:7], 0
                                        ; implicit-def: $vgpr3
	s_and_saveexec_b64 s[8:9], vcc
	s_xor_b64 s[8:9], exec, s[8:9]
	s_cbranch_execz .LBB528_2069
; %bb.2003:
	v_bfe_u32 v3, v2, 20, 1
	s_mov_b32 s11, 0x487ffff
	v_add3_u32 v3, v2, v3, s11
	s_mov_b64 s[6:7], exec
	v_lshrrev_b32_e32 v3, 20, v3
	s_andn2_saveexec_b64 s[8:9], s[8:9]
	s_cbranch_execnz .LBB528_2070
.LBB528_2004:
	s_or_b64 exec, exec, s[8:9]
	v_mov_b32_e32 v4, 0
	s_and_saveexec_b64 s[8:9], s[6:7]
.LBB528_2005:
	v_lshrrev_b32_e32 v2, 24, v2
	s_movk_i32 s6, 0x80
	v_and_or_b32 v4, v2, s6, v3
.LBB528_2006:
	s_or_b64 exec, exec, s[8:9]
.LBB528_2007:
	s_or_b64 exec, exec, s[4:5]
	global_store_byte v[0:1], v4, off
.LBB528_2008:
	s_mov_b64 s[4:5], 0
.LBB528_2009:
	s_and_b64 vcc, exec, s[4:5]
	s_cbranch_vccz .LBB528_2049
; %bb.2010:
	s_cmp_gt_i32 s10, 22
	s_mov_b64 s[2:3], -1
	s_cbranch_scc0 .LBB528_2042
; %bb.2011:
	s_cmp_lt_i32 s10, 24
	s_cbranch_scc1 .LBB528_2031
; %bb.2012:
	s_cmp_gt_i32 s10, 24
	s_cbranch_scc0 .LBB528_2020
; %bb.2013:
	v_cvt_f32_f16_e32 v2, v8
	s_mov_b32 s2, 0x47800000
	v_mov_b32_e32 v4, 0x80
	v_and_b32_e32 v3, 0x7fffffff, v2
	v_cmp_gt_u32_e32 vcc, s2, v3
	s_and_saveexec_b64 s[2:3], vcc
	s_cbranch_execz .LBB528_2019
; %bb.2014:
	s_mov_b32 s4, 0x37ffffff
	v_cmp_lt_u32_e32 vcc, s4, v3
	s_mov_b64 s[4:5], 0
                                        ; implicit-def: $vgpr3
	s_and_saveexec_b64 s[6:7], vcc
	s_xor_b64 s[6:7], exec, s[6:7]
	s_cbranch_execz .LBB528_2072
; %bb.2015:
	v_bfe_u32 v3, v2, 21, 1
	s_mov_b32 s8, 0x88fffff
	v_add3_u32 v3, v2, v3, s8
	s_mov_b64 s[4:5], exec
	v_lshrrev_b32_e32 v3, 21, v3
	s_andn2_saveexec_b64 s[6:7], s[6:7]
	s_cbranch_execnz .LBB528_2073
.LBB528_2016:
	s_or_b64 exec, exec, s[6:7]
	v_mov_b32_e32 v4, 0
	s_and_saveexec_b64 s[6:7], s[4:5]
.LBB528_2017:
	v_lshrrev_b32_e32 v2, 24, v2
	s_movk_i32 s4, 0x80
	v_and_or_b32 v4, v2, s4, v3
.LBB528_2018:
	s_or_b64 exec, exec, s[6:7]
.LBB528_2019:
	s_or_b64 exec, exec, s[2:3]
	s_mov_b64 s[2:3], 0
	global_store_byte v[0:1], v4, off
.LBB528_2020:
	s_and_b64 vcc, exec, s[2:3]
	s_cbranch_vccz .LBB528_2030
; %bb.2021:
	v_cvt_f32_f16_e32 v2, v8
	s_mov_b32 s2, 0x43f00000
                                        ; implicit-def: $vgpr3
	v_and_b32_e32 v4, 0x7fffffff, v2
	v_cmp_gt_u32_e32 vcc, s2, v4
	s_and_saveexec_b64 s[2:3], vcc
	s_xor_b64 s[2:3], exec, s[2:3]
	s_cbranch_execz .LBB528_2027
; %bb.2022:
	s_mov_b32 s4, 0x3c7fffff
	v_cmp_lt_u32_e32 vcc, s4, v4
                                        ; implicit-def: $vgpr3
	s_and_saveexec_b64 s[4:5], vcc
	s_xor_b64 s[4:5], exec, s[4:5]
; %bb.2023:
	v_bfe_u32 v3, v2, 20, 1
	s_mov_b32 s6, 0x407ffff
	v_add3_u32 v3, v2, v3, s6
	v_lshrrev_b32_e32 v4, 20, v3
	v_and_b32_e32 v3, 0xff00000, v3
	s_mov_b32 s6, 0x7f00000
	v_mov_b32_e32 v5, 0x7e
	v_cmp_ne_u32_e32 vcc, s6, v3
	s_nop 1
	v_cndmask_b32_e32 v3, v5, v4, vcc
; %bb.2024:
	s_andn2_saveexec_b64 s[4:5], s[4:5]
; %bb.2025:
	s_mov_b32 s6, 0x46800000
	v_add_f32_e64 v3, |v2|, s6
; %bb.2026:
	s_or_b64 exec, exec, s[4:5]
                                        ; implicit-def: $vgpr4
.LBB528_2027:
	s_andn2_saveexec_b64 s[2:3], s[2:3]
; %bb.2028:
	s_mov_b32 s4, 0x7f800000
	v_mov_b32_e32 v3, 0x7e
	v_mov_b32_e32 v5, 0x7f
	v_cmp_lt_u32_e32 vcc, s4, v4
	s_nop 1
	v_cndmask_b32_e32 v3, v3, v5, vcc
; %bb.2029:
	s_or_b64 exec, exec, s[2:3]
	v_lshrrev_b32_e32 v2, 24, v2
	s_movk_i32 s2, 0x80
	v_and_or_b32 v2, v2, s2, v3
	global_store_byte v[0:1], v2, off
.LBB528_2030:
	s_mov_b64 s[2:3], 0
.LBB528_2031:
	s_andn2_b64 vcc, exec, s[2:3]
	s_cbranch_vccnz .LBB528_2041
; %bb.2032:
	v_cvt_f32_f16_e32 v2, v8
	s_mov_b32 s2, 0x47800000
                                        ; implicit-def: $vgpr3
	v_and_b32_e32 v4, 0x7fffffff, v2
	v_cmp_gt_u32_e32 vcc, s2, v4
	s_and_saveexec_b64 s[2:3], vcc
	s_xor_b64 s[2:3], exec, s[2:3]
	s_cbranch_execz .LBB528_2038
; %bb.2033:
	s_mov_b32 s4, 0x387fffff
	v_cmp_lt_u32_e32 vcc, s4, v4
                                        ; implicit-def: $vgpr3
	s_and_saveexec_b64 s[4:5], vcc
	s_xor_b64 s[4:5], exec, s[4:5]
; %bb.2034:
	v_bfe_u32 v3, v2, 21, 1
	s_mov_b32 s6, 0x80fffff
	v_add3_u32 v3, v2, v3, s6
	v_lshrrev_b32_e32 v3, 21, v3
; %bb.2035:
	s_andn2_saveexec_b64 s[4:5], s[4:5]
; %bb.2036:
	s_mov_b32 s6, 0x43000000
	v_add_f32_e64 v3, |v2|, s6
; %bb.2037:
	s_or_b64 exec, exec, s[4:5]
                                        ; implicit-def: $vgpr4
.LBB528_2038:
	s_andn2_saveexec_b64 s[2:3], s[2:3]
; %bb.2039:
	s_mov_b32 s4, 0x7f800000
	v_mov_b32_e32 v3, 0x7c
	v_mov_b32_e32 v5, 0x7f
	v_cmp_lt_u32_e32 vcc, s4, v4
	s_nop 1
	v_cndmask_b32_e32 v3, v3, v5, vcc
; %bb.2040:
	s_or_b64 exec, exec, s[2:3]
	v_lshrrev_b32_e32 v2, 24, v2
	s_movk_i32 s2, 0x80
	v_and_or_b32 v2, v2, s2, v3
	global_store_byte v[0:1], v2, off
.LBB528_2041:
	s_mov_b64 s[2:3], 0
.LBB528_2042:
	s_andn2_b64 vcc, exec, s[2:3]
	s_mov_b64 s[2:3], 0
	s_cbranch_vccnz .LBB528_2049
; %bb.2043:
	s_cmp_gt_i32 s10, 14
	s_mov_b64 s[4:5], -1
	s_cbranch_scc0 .LBB528_2047
; %bb.2044:
	s_cmp_eq_u32 s10, 15
	s_mov_b64 s[0:1], -1
	s_cbranch_scc0 .LBB528_2046
; %bb.2045:
	v_cvt_f32_f16_e32 v2, v8
	s_movk_i32 s0, 0x7fff
	v_cmp_o_f16_e32 vcc, v8, v8
	v_mov_b32_e32 v3, 0x7fc0
	v_bfe_u32 v4, v2, 16, 1
	v_add3_u32 v2, v2, v4, s0
	v_cndmask_b32_sdwa v2, v3, v2, vcc dst_sel:DWORD dst_unused:UNUSED_PAD src0_sel:DWORD src1_sel:WORD_1
	global_store_short v[0:1], v2, off
	s_mov_b64 s[0:1], 0
.LBB528_2046:
	s_mov_b64 s[4:5], 0
.LBB528_2047:
	s_and_b64 vcc, exec, s[4:5]
	s_cbranch_vccz .LBB528_2049
; %bb.2048:
	s_cmp_lg_u32 s10, 11
	s_mov_b64 s[2:3], -1
	s_cselect_b64 s[0:1], -1, 0
.LBB528_2049:
	s_and_b64 vcc, exec, s[0:1]
	s_cbranch_vccnz .LBB528_2071
.LBB528_2050:
	s_mov_b64 s[0:1], 0
	s_branch .LBB528_1652
.LBB528_2051:
	s_mov_b64 s[0:1], 0
                                        ; implicit-def: $sgpr20
                                        ; implicit-def: $vgpr0_vgpr1
	s_branch .LBB528_1651
.LBB528_2052:
	s_mov_b64 s[2:3], 0
	s_mov_b64 s[0:1], -1
	s_branch .LBB528_1652
.LBB528_2053:
	s_trap 2
	s_or_b64 s[16:17], s[16:17], exec
	s_cbranch_execz .LBB528_1516
	s_branch .LBB528_1517
.LBB528_2054:
	s_andn2_saveexec_b64 s[18:19], s[18:19]
	s_cbranch_execz .LBB528_1600
.LBB528_2055:
	s_mov_b32 s21, 0x46000000
	v_add_f32_e64 v4, |v1|, s21
	v_and_b32_e32 v4, 0xff, v4
	v_cmp_ne_u32_e32 vcc, 0, v4
	s_andn2_b64 s[10:11], s[10:11], exec
	s_and_b64 s[22:23], vcc, exec
	s_or_b64 s[10:11], s[10:11], s[22:23]
	s_or_b64 exec, exec, s[18:19]
	v_mov_b32_e32 v9, 0
	s_and_saveexec_b64 s[18:19], s[10:11]
	s_cbranch_execnz .LBB528_1601
	s_branch .LBB528_1602
.LBB528_2056:
	s_trap 2
	s_or_b64 s[16:17], s[16:17], exec
	s_cbranch_execz .LBB528_1648
	s_branch .LBB528_1649
.LBB528_2057:
	s_andn2_saveexec_b64 s[10:11], s[10:11]
	s_cbranch_execz .LBB528_1613
.LBB528_2058:
	s_mov_b32 s18, 0x42800000
	v_add_f32_e64 v4, |v1|, s18
	v_and_b32_e32 v4, 0xff, v4
	v_cmp_ne_u32_e32 vcc, 0, v4
	s_andn2_b64 s[6:7], s[6:7], exec
	s_and_b64 s[18:19], vcc, exec
	s_or_b64 s[6:7], s[6:7], s[18:19]
	s_or_b64 exec, exec, s[10:11]
	v_mov_b32_e32 v9, 0
	s_and_saveexec_b64 s[10:11], s[6:7]
	s_cbranch_execnz .LBB528_1614
	s_branch .LBB528_1615
.LBB528_2059:
	s_andn2_saveexec_b64 s[10:11], s[10:11]
	s_cbranch_execz .LBB528_1765
.LBB528_2060:
	s_mov_b32 s21, 0x46000000
	v_add_f32_e64 v4, |v1|, s21
	v_and_b32_e32 v4, 0xff, v4
	v_cmp_ne_u32_e32 vcc, 0, v4
	s_andn2_b64 s[8:9], s[8:9], exec
	s_and_b64 s[22:23], vcc, exec
	s_or_b64 s[8:9], s[8:9], s[22:23]
	s_or_b64 exec, exec, s[10:11]
	v_mov_b32_e32 v5, 0
	s_and_saveexec_b64 s[10:11], s[8:9]
	s_cbranch_execnz .LBB528_1766
	s_branch .LBB528_1767
.LBB528_2061:
	s_trap 2
	s_or_b64 s[16:17], s[16:17], exec
	s_cbranch_execz .LBB528_1813
	s_branch .LBB528_1814
.LBB528_2062:
	s_andn2_saveexec_b64 s[8:9], s[8:9]
	s_cbranch_execz .LBB528_1778
.LBB528_2063:
	s_mov_b32 s10, 0x42800000
	v_add_f32_e64 v4, |v1|, s10
	v_and_b32_e32 v4, 0xff, v4
	v_cmp_ne_u32_e32 vcc, 0, v4
	s_andn2_b64 s[6:7], s[6:7], exec
	s_and_b64 s[10:11], vcc, exec
	s_or_b64 s[6:7], s[6:7], s[10:11]
	s_or_b64 exec, exec, s[8:9]
	v_mov_b32_e32 v5, 0
	s_and_saveexec_b64 s[8:9], s[6:7]
	s_cbranch_execnz .LBB528_1779
	s_branch .LBB528_1780
.LBB528_2064:
	s_andn2_saveexec_b64 s[10:11], s[10:11]
	s_cbranch_execz .LBB528_1884
.LBB528_2065:
	s_mov_b32 s21, 0x46000000
	v_add_f32_e64 v4, |v1|, s21
	v_and_b32_e32 v4, 0xff, v4
	v_cmp_ne_u32_e32 vcc, 0, v4
	s_andn2_b64 s[8:9], s[8:9], exec
	s_and_b64 s[22:23], vcc, exec
	s_or_b64 s[8:9], s[8:9], s[22:23]
	s_or_b64 exec, exec, s[10:11]
	v_mov_b32_e32 v5, 0
	s_and_saveexec_b64 s[10:11], s[8:9]
	s_cbranch_execnz .LBB528_1885
	s_branch .LBB528_1886
.LBB528_2066:
	s_trap 2
	s_or_b64 s[16:17], s[16:17], exec
	s_cbranch_execz .LBB528_1932
	s_branch .LBB528_1933
.LBB528_2067:
	s_andn2_saveexec_b64 s[8:9], s[8:9]
	s_cbranch_execz .LBB528_1897
.LBB528_2068:
	s_mov_b32 s10, 0x42800000
	v_add_f32_e64 v4, |v1|, s10
	v_and_b32_e32 v4, 0xff, v4
	v_cmp_ne_u32_e32 vcc, 0, v4
	s_andn2_b64 s[6:7], s[6:7], exec
	s_and_b64 s[10:11], vcc, exec
	s_or_b64 s[6:7], s[6:7], s[10:11]
	s_or_b64 exec, exec, s[8:9]
	v_mov_b32_e32 v5, 0
	s_and_saveexec_b64 s[8:9], s[6:7]
	s_cbranch_execnz .LBB528_1898
	s_branch .LBB528_1899
.LBB528_2069:
	s_andn2_saveexec_b64 s[8:9], s[8:9]
	s_cbranch_execz .LBB528_2004
.LBB528_2070:
	s_mov_b32 s11, 0x46000000
	v_add_f32_e64 v3, |v2|, s11
	v_and_b32_e32 v3, 0xff, v3
	v_cmp_ne_u32_e32 vcc, 0, v3
	s_andn2_b64 s[6:7], s[6:7], exec
	s_and_b64 s[18:19], vcc, exec
	s_or_b64 s[6:7], s[6:7], s[18:19]
	s_or_b64 exec, exec, s[8:9]
	v_mov_b32_e32 v4, 0
	s_and_saveexec_b64 s[8:9], s[6:7]
	s_cbranch_execnz .LBB528_2005
	s_branch .LBB528_2006
.LBB528_2071:
	s_mov_b64 s[2:3], 0
	s_or_b64 s[16:17], s[16:17], exec
	s_trap 2
	s_branch .LBB528_2050
.LBB528_2072:
	s_andn2_saveexec_b64 s[6:7], s[6:7]
	s_cbranch_execz .LBB528_2016
.LBB528_2073:
	s_mov_b32 s8, 0x42800000
	v_add_f32_e64 v3, |v2|, s8
	v_and_b32_e32 v3, 0xff, v3
	v_cmp_ne_u32_e32 vcc, 0, v3
	s_andn2_b64 s[4:5], s[4:5], exec
	s_and_b64 s[8:9], vcc, exec
	s_or_b64 s[4:5], s[4:5], s[8:9]
	s_or_b64 exec, exec, s[6:7]
	v_mov_b32_e32 v4, 0
	s_and_saveexec_b64 s[6:7], s[4:5]
	s_cbranch_execnz .LBB528_2017
	s_branch .LBB528_2018
	.section	.rodata,"a",@progbits
	.p2align	6, 0x0
	.amdhsa_kernel _ZN2at6native32elementwise_kernel_manual_unrollILi128ELi4EZNS0_15gpu_kernel_implIZZZNS0_22nan_to_num_kernel_cudaERNS_18TensorIteratorBaseESt8optionalIdES6_S6_ENKUlvE0_clEvENKUlvE1_clEvEUlN3c104HalfEE_EEvS4_RKT_EUlibE_EEviT1_
		.amdhsa_group_segment_fixed_size 0
		.amdhsa_private_segment_fixed_size 0
		.amdhsa_kernarg_size 40
		.amdhsa_user_sgpr_count 2
		.amdhsa_user_sgpr_dispatch_ptr 0
		.amdhsa_user_sgpr_queue_ptr 0
		.amdhsa_user_sgpr_kernarg_segment_ptr 1
		.amdhsa_user_sgpr_dispatch_id 0
		.amdhsa_user_sgpr_kernarg_preload_length 0
		.amdhsa_user_sgpr_kernarg_preload_offset 0
		.amdhsa_user_sgpr_private_segment_size 0
		.amdhsa_uses_dynamic_stack 0
		.amdhsa_enable_private_segment 0
		.amdhsa_system_sgpr_workgroup_id_x 1
		.amdhsa_system_sgpr_workgroup_id_y 0
		.amdhsa_system_sgpr_workgroup_id_z 0
		.amdhsa_system_sgpr_workgroup_info 0
		.amdhsa_system_vgpr_workitem_id 0
		.amdhsa_next_free_vgpr 14
		.amdhsa_next_free_sgpr 47
		.amdhsa_accum_offset 16
		.amdhsa_reserve_vcc 1
		.amdhsa_float_round_mode_32 0
		.amdhsa_float_round_mode_16_64 0
		.amdhsa_float_denorm_mode_32 3
		.amdhsa_float_denorm_mode_16_64 3
		.amdhsa_dx10_clamp 1
		.amdhsa_ieee_mode 1
		.amdhsa_fp16_overflow 0
		.amdhsa_tg_split 0
		.amdhsa_exception_fp_ieee_invalid_op 0
		.amdhsa_exception_fp_denorm_src 0
		.amdhsa_exception_fp_ieee_div_zero 0
		.amdhsa_exception_fp_ieee_overflow 0
		.amdhsa_exception_fp_ieee_underflow 0
		.amdhsa_exception_fp_ieee_inexact 0
		.amdhsa_exception_int_div_zero 0
	.end_amdhsa_kernel
	.section	.text._ZN2at6native32elementwise_kernel_manual_unrollILi128ELi4EZNS0_15gpu_kernel_implIZZZNS0_22nan_to_num_kernel_cudaERNS_18TensorIteratorBaseESt8optionalIdES6_S6_ENKUlvE0_clEvENKUlvE1_clEvEUlN3c104HalfEE_EEvS4_RKT_EUlibE_EEviT1_,"axG",@progbits,_ZN2at6native32elementwise_kernel_manual_unrollILi128ELi4EZNS0_15gpu_kernel_implIZZZNS0_22nan_to_num_kernel_cudaERNS_18TensorIteratorBaseESt8optionalIdES6_S6_ENKUlvE0_clEvENKUlvE1_clEvEUlN3c104HalfEE_EEvS4_RKT_EUlibE_EEviT1_,comdat
.Lfunc_end528:
	.size	_ZN2at6native32elementwise_kernel_manual_unrollILi128ELi4EZNS0_15gpu_kernel_implIZZZNS0_22nan_to_num_kernel_cudaERNS_18TensorIteratorBaseESt8optionalIdES6_S6_ENKUlvE0_clEvENKUlvE1_clEvEUlN3c104HalfEE_EEvS4_RKT_EUlibE_EEviT1_, .Lfunc_end528-_ZN2at6native32elementwise_kernel_manual_unrollILi128ELi4EZNS0_15gpu_kernel_implIZZZNS0_22nan_to_num_kernel_cudaERNS_18TensorIteratorBaseESt8optionalIdES6_S6_ENKUlvE0_clEvENKUlvE1_clEvEUlN3c104HalfEE_EEvS4_RKT_EUlibE_EEviT1_
                                        ; -- End function
	.set _ZN2at6native32elementwise_kernel_manual_unrollILi128ELi4EZNS0_15gpu_kernel_implIZZZNS0_22nan_to_num_kernel_cudaERNS_18TensorIteratorBaseESt8optionalIdES6_S6_ENKUlvE0_clEvENKUlvE1_clEvEUlN3c104HalfEE_EEvS4_RKT_EUlibE_EEviT1_.num_vgpr, 14
	.set _ZN2at6native32elementwise_kernel_manual_unrollILi128ELi4EZNS0_15gpu_kernel_implIZZZNS0_22nan_to_num_kernel_cudaERNS_18TensorIteratorBaseESt8optionalIdES6_S6_ENKUlvE0_clEvENKUlvE1_clEvEUlN3c104HalfEE_EEvS4_RKT_EUlibE_EEviT1_.num_agpr, 0
	.set _ZN2at6native32elementwise_kernel_manual_unrollILi128ELi4EZNS0_15gpu_kernel_implIZZZNS0_22nan_to_num_kernel_cudaERNS_18TensorIteratorBaseESt8optionalIdES6_S6_ENKUlvE0_clEvENKUlvE1_clEvEUlN3c104HalfEE_EEvS4_RKT_EUlibE_EEviT1_.numbered_sgpr, 47
	.set _ZN2at6native32elementwise_kernel_manual_unrollILi128ELi4EZNS0_15gpu_kernel_implIZZZNS0_22nan_to_num_kernel_cudaERNS_18TensorIteratorBaseESt8optionalIdES6_S6_ENKUlvE0_clEvENKUlvE1_clEvEUlN3c104HalfEE_EEvS4_RKT_EUlibE_EEviT1_.num_named_barrier, 0
	.set _ZN2at6native32elementwise_kernel_manual_unrollILi128ELi4EZNS0_15gpu_kernel_implIZZZNS0_22nan_to_num_kernel_cudaERNS_18TensorIteratorBaseESt8optionalIdES6_S6_ENKUlvE0_clEvENKUlvE1_clEvEUlN3c104HalfEE_EEvS4_RKT_EUlibE_EEviT1_.private_seg_size, 0
	.set _ZN2at6native32elementwise_kernel_manual_unrollILi128ELi4EZNS0_15gpu_kernel_implIZZZNS0_22nan_to_num_kernel_cudaERNS_18TensorIteratorBaseESt8optionalIdES6_S6_ENKUlvE0_clEvENKUlvE1_clEvEUlN3c104HalfEE_EEvS4_RKT_EUlibE_EEviT1_.uses_vcc, 1
	.set _ZN2at6native32elementwise_kernel_manual_unrollILi128ELi4EZNS0_15gpu_kernel_implIZZZNS0_22nan_to_num_kernel_cudaERNS_18TensorIteratorBaseESt8optionalIdES6_S6_ENKUlvE0_clEvENKUlvE1_clEvEUlN3c104HalfEE_EEvS4_RKT_EUlibE_EEviT1_.uses_flat_scratch, 0
	.set _ZN2at6native32elementwise_kernel_manual_unrollILi128ELi4EZNS0_15gpu_kernel_implIZZZNS0_22nan_to_num_kernel_cudaERNS_18TensorIteratorBaseESt8optionalIdES6_S6_ENKUlvE0_clEvENKUlvE1_clEvEUlN3c104HalfEE_EEvS4_RKT_EUlibE_EEviT1_.has_dyn_sized_stack, 0
	.set _ZN2at6native32elementwise_kernel_manual_unrollILi128ELi4EZNS0_15gpu_kernel_implIZZZNS0_22nan_to_num_kernel_cudaERNS_18TensorIteratorBaseESt8optionalIdES6_S6_ENKUlvE0_clEvENKUlvE1_clEvEUlN3c104HalfEE_EEvS4_RKT_EUlibE_EEviT1_.has_recursion, 0
	.set _ZN2at6native32elementwise_kernel_manual_unrollILi128ELi4EZNS0_15gpu_kernel_implIZZZNS0_22nan_to_num_kernel_cudaERNS_18TensorIteratorBaseESt8optionalIdES6_S6_ENKUlvE0_clEvENKUlvE1_clEvEUlN3c104HalfEE_EEvS4_RKT_EUlibE_EEviT1_.has_indirect_call, 0
	.section	.AMDGPU.csdata,"",@progbits
; Kernel info:
; codeLenInByte = 36708
; TotalNumSgprs: 53
; NumVgprs: 14
; NumAgprs: 0
; TotalNumVgprs: 14
; ScratchSize: 0
; MemoryBound: 0
; FloatMode: 240
; IeeeMode: 1
; LDSByteSize: 0 bytes/workgroup (compile time only)
; SGPRBlocks: 6
; VGPRBlocks: 1
; NumSGPRsForWavesPerEU: 53
; NumVGPRsForWavesPerEU: 14
; AccumOffset: 16
; Occupancy: 8
; WaveLimiterHint : 0
; COMPUTE_PGM_RSRC2:SCRATCH_EN: 0
; COMPUTE_PGM_RSRC2:USER_SGPR: 2
; COMPUTE_PGM_RSRC2:TRAP_HANDLER: 0
; COMPUTE_PGM_RSRC2:TGID_X_EN: 1
; COMPUTE_PGM_RSRC2:TGID_Y_EN: 0
; COMPUTE_PGM_RSRC2:TGID_Z_EN: 0
; COMPUTE_PGM_RSRC2:TIDIG_COMP_CNT: 0
; COMPUTE_PGM_RSRC3_GFX90A:ACCUM_OFFSET: 3
; COMPUTE_PGM_RSRC3_GFX90A:TG_SPLIT: 0
	.section	.text._ZN2at6native32elementwise_kernel_manual_unrollILi128ELi4EZNS0_15gpu_kernel_implIZZZNS0_22nan_to_num_kernel_cudaERNS_18TensorIteratorBaseESt8optionalIdES6_S6_ENKUlvE0_clEvENKUlvE1_clEvEUlN3c104HalfEE_EEvS4_RKT_EUlibE0_EEviT1_,"axG",@progbits,_ZN2at6native32elementwise_kernel_manual_unrollILi128ELi4EZNS0_15gpu_kernel_implIZZZNS0_22nan_to_num_kernel_cudaERNS_18TensorIteratorBaseESt8optionalIdES6_S6_ENKUlvE0_clEvENKUlvE1_clEvEUlN3c104HalfEE_EEvS4_RKT_EUlibE0_EEviT1_,comdat
	.globl	_ZN2at6native32elementwise_kernel_manual_unrollILi128ELi4EZNS0_15gpu_kernel_implIZZZNS0_22nan_to_num_kernel_cudaERNS_18TensorIteratorBaseESt8optionalIdES6_S6_ENKUlvE0_clEvENKUlvE1_clEvEUlN3c104HalfEE_EEvS4_RKT_EUlibE0_EEviT1_ ; -- Begin function _ZN2at6native32elementwise_kernel_manual_unrollILi128ELi4EZNS0_15gpu_kernel_implIZZZNS0_22nan_to_num_kernel_cudaERNS_18TensorIteratorBaseESt8optionalIdES6_S6_ENKUlvE0_clEvENKUlvE1_clEvEUlN3c104HalfEE_EEvS4_RKT_EUlibE0_EEviT1_
	.p2align	8
	.type	_ZN2at6native32elementwise_kernel_manual_unrollILi128ELi4EZNS0_15gpu_kernel_implIZZZNS0_22nan_to_num_kernel_cudaERNS_18TensorIteratorBaseESt8optionalIdES6_S6_ENKUlvE0_clEvENKUlvE1_clEvEUlN3c104HalfEE_EEvS4_RKT_EUlibE0_EEviT1_,@function
_ZN2at6native32elementwise_kernel_manual_unrollILi128ELi4EZNS0_15gpu_kernel_implIZZZNS0_22nan_to_num_kernel_cudaERNS_18TensorIteratorBaseESt8optionalIdES6_S6_ENKUlvE0_clEvENKUlvE1_clEvEUlN3c104HalfEE_EEvS4_RKT_EUlibE0_EEviT1_: ; @_ZN2at6native32elementwise_kernel_manual_unrollILi128ELi4EZNS0_15gpu_kernel_implIZZZNS0_22nan_to_num_kernel_cudaERNS_18TensorIteratorBaseESt8optionalIdES6_S6_ENKUlvE0_clEvENKUlvE1_clEvEUlN3c104HalfEE_EEvS4_RKT_EUlibE0_EEviT1_
; %bb.0:
	s_load_dword s72, s[0:1], 0x0
	s_load_dword s33, s[0:1], 0x8
	s_add_u32 s34, s0, 8
	s_addc_u32 s35, s1, 0
	v_lshl_or_b32 v8, s2, 9, v0
	v_or_b32_e32 v16, 0x180, v8
	s_waitcnt lgkmcnt(0)
	s_add_i32 s74, s33, -1
	s_cmp_gt_u32 s74, 1
	v_cmp_le_i32_e32 vcc, s72, v16
	s_cselect_b64 s[42:43], -1, 0
	s_mov_b64 s[40:41], 0
	s_mov_b64 s[24:25], 0
	s_and_saveexec_b64 s[2:3], vcc
	s_xor_b64 s[44:45], exec, s[2:3]
	s_cbranch_execz .LBB529_1106
; %bb.1:
	s_load_dword s2, s[0:1], 0x164
	s_cmp_lg_u32 s33, 0
	s_load_dwordx4 s[24:27], s[34:35], 0x4
	s_load_dwordx2 s[48:49], s[34:35], 0x14
	s_cselect_b64 s[54:55], -1, 0
	s_add_u32 s52, s34, 0xc4
	s_load_dwordx2 s[46:47], s[34:35], 0x158
	s_load_dwordx4 s[28:31], s[34:35], 0xc4
	s_load_dwordx4 s[20:23], s[34:35], 0x148
	s_addc_u32 s53, s35, 0
	s_min_u32 s78, s74, 15
	s_cmp_gt_u32 s33, 1
	s_cselect_b64 s[50:51], -1, 0
	s_waitcnt lgkmcnt(0)
	s_lshr_b32 s75, s2, 16
	s_lshr_b32 s77, s2, 24
	s_lshr_b32 s76, s46, 16
	v_cmp_gt_i32_e32 vcc, s72, v8
	s_mov_b64 s[4:5], -1
	s_mov_b64 s[64:65], 0
	s_mov_b64 s[58:59], 0
	;; [unrolled: 1-line block ×3, first 2 shown]
	s_and_saveexec_b64 s[60:61], vcc
	s_cbranch_execz .LBB529_271
; %bb.2:
	s_andn2_b64 vcc, exec, s[42:43]
	s_cbranch_vccnz .LBB529_8
; %bb.3:
	s_andn2_b64 vcc, exec, s[54:55]
	s_cbranch_vccnz .LBB529_9
; %bb.4:
	s_add_i32 s59, s78, 1
	s_cmp_eq_u32 s74, 2
	s_cbranch_scc1 .LBB529_10
; %bb.5:
	s_and_b32 s58, s59, 28
	s_mov_b32 s62, 0
	v_mov_b32_e32 v0, 0
	v_mov_b32_e32 v2, 0
	s_mov_b64 s[2:3], s[34:35]
	s_mov_b64 s[56:57], s[52:53]
	v_mov_b32_e32 v4, v8
.LBB529_6:                              ; =>This Inner Loop Header: Depth=1
	s_load_dwordx8 s[12:19], s[2:3], 0x4
	s_load_dwordx4 s[36:39], s[2:3], 0x24
	s_load_dwordx8 s[4:11], s[56:57], 0x0
	s_add_u32 s2, s2, 48
	s_addc_u32 s3, s3, 0
	s_waitcnt lgkmcnt(0)
	v_mul_hi_u32 v1, s13, v4
	v_add_u32_e32 v1, v4, v1
	v_lshrrev_b32_e32 v1, s14, v1
	v_mul_lo_u32 v3, v1, s12
	v_mul_hi_u32 v5, s16, v1
	v_sub_u32_e32 v3, v4, v3
	v_add_u32_e32 v4, v1, v5
	v_lshrrev_b32_e32 v4, s17, v4
	v_mul_lo_u32 v6, v4, s15
	v_mul_hi_u32 v7, s19, v4
	v_sub_u32_e32 v1, v1, v6
	v_add_u32_e32 v6, v4, v7
	v_mul_lo_u32 v5, v3, s5
	v_mul_lo_u32 v3, v3, s4
	;; [unrolled: 1-line block ×4, first 2 shown]
	v_lshrrev_b32_e32 v6, s36, v6
	v_add3_u32 v0, v3, v0, v1
	v_mul_hi_u32 v3, s38, v6
	v_add3_u32 v1, v5, v2, v7
	v_mul_lo_u32 v2, v6, s18
	v_add_u32_e32 v3, v6, v3
	v_sub_u32_e32 v2, v4, v2
	v_lshrrev_b32_e32 v4, s39, v3
	s_add_i32 s62, s62, 4
	v_mul_lo_u32 v3, v4, s37
	s_add_u32 s56, s56, 32
	v_sub_u32_e32 v3, v6, v3
	s_addc_u32 s57, s57, 0
	v_mul_lo_u32 v5, v2, s8
	v_mul_lo_u32 v2, v2, s9
	;; [unrolled: 1-line block ×4, first 2 shown]
	s_cmp_lg_u32 s58, s62
	v_add3_u32 v2, v2, v1, v3
	v_add3_u32 v0, v5, v0, v6
	s_cbranch_scc1 .LBB529_6
; %bb.7:
	v_mov_b32_e32 v1, v2
	s_branch .LBB529_11
.LBB529_8:
                                        ; implicit-def: $vgpr2
                                        ; implicit-def: $vgpr0
	s_branch .LBB529_15
.LBB529_9:
	v_mov_b32_e32 v2, 0
	v_mov_b32_e32 v0, 0
	s_branch .LBB529_14
.LBB529_10:
	v_mov_b32_e32 v0, 0
	s_mov_b32 s58, 0
	v_mov_b32_e32 v1, v0
                                        ; implicit-def: $vgpr2
	v_mov_b32_e32 v4, v8
.LBB529_11:
	s_and_b32 s6, s59, 3
	s_cmp_eq_u32 s6, 0
	s_cbranch_scc1 .LBB529_14
; %bb.12:
	s_lshl_b32 s2, s58, 3
	s_add_u32 s2, s34, s2
	s_addc_u32 s3, s35, 0
	s_add_u32 s2, s2, 0xc4
	s_addc_u32 s3, s3, 0
	s_mul_i32 s4, s58, 12
	s_add_u32 s4, s34, s4
	s_addc_u32 s5, s35, 0
.LBB529_13:                             ; =>This Inner Loop Header: Depth=1
	s_load_dwordx2 s[8:9], s[4:5], 0x4
	s_load_dword s7, s[4:5], 0xc
	s_load_dwordx2 s[10:11], s[2:3], 0x0
	v_mov_b32_e32 v2, v1
	s_add_u32 s4, s4, 12
	s_waitcnt lgkmcnt(0)
	v_mul_hi_u32 v1, s9, v4
	v_add_u32_e32 v1, v4, v1
	v_lshrrev_b32_e32 v1, s7, v1
	s_addc_u32 s5, s5, 0
	v_mul_lo_u32 v3, v1, s8
	s_add_u32 s2, s2, 8
	v_sub_u32_e32 v5, v4, v3
	s_addc_u32 s3, s3, 0
	s_add_i32 s6, s6, -1
	v_mov_b32_e32 v4, v1
	v_mad_u64_u32 v[2:3], s[8:9], v5, s11, v[2:3]
	v_mad_u64_u32 v[0:1], s[8:9], v5, s10, v[0:1]
	s_cmp_lg_u32 s6, 0
	v_mov_b32_e32 v1, v2
	s_cbranch_scc1 .LBB529_13
.LBB529_14:
	s_cbranch_execnz .LBB529_17
.LBB529_15:
	v_mul_hi_u32 v0, s25, v8
	v_add_u32_e32 v0, v8, v0
	v_lshrrev_b32_e32 v1, s26, v0
	v_mul_lo_u32 v0, v1, s24
	v_sub_u32_e32 v0, v8, v0
	v_mul_lo_u32 v2, v0, s29
	s_andn2_b64 vcc, exec, s[50:51]
	v_mul_lo_u32 v0, v0, s28
	s_cbranch_vccnz .LBB529_17
; %bb.16:
	v_mul_hi_u32 v3, s48, v1
	v_add_u32_e32 v3, v1, v3
	v_lshrrev_b32_e32 v3, s49, v3
	v_mul_lo_u32 v3, v3, s27
	v_sub_u32_e32 v3, v1, v3
	v_mad_u64_u32 v[0:1], s[2:3], v3, s30, v[0:1]
	v_mad_u64_u32 v[2:3], s[2:3], v3, s31, v[2:3]
.LBB529_17:
	v_mov_b32_e32 v3, 0
	s_and_b32 s10, 0xffff, s77
	s_cmp_lt_i32 s10, 11
	v_lshl_add_u64 v[2:3], s[22:23], 0, v[2:3]
	s_cbranch_scc1 .LBB529_24
; %bb.18:
	s_cmp_gt_i32 s10, 25
	s_cbranch_scc0 .LBB529_37
; %bb.19:
	s_cmp_gt_i32 s10, 28
	s_cbranch_scc0 .LBB529_40
	;; [unrolled: 3-line block ×4, first 2 shown]
; %bb.22:
	s_cmp_eq_u32 s10, 46
	s_mov_b64 s[6:7], 0
	s_cbranch_scc0 .LBB529_46
; %bb.23:
	global_load_dword v1, v[2:3], off
	s_mov_b64 s[2:3], -1
	s_mov_b64 s[4:5], 0
	s_waitcnt vmcnt(0)
	v_lshlrev_b32_e32 v1, 16, v1
	v_cvt_f16_f32_e32 v1, v1
	s_branch .LBB529_48
.LBB529_24:
	s_mov_b64 s[4:5], 0
                                        ; implicit-def: $vgpr1
	s_mov_b64 s[2:3], 0
	s_cbranch_execnz .LBB529_221
.LBB529_25:
	s_andn2_b64 vcc, exec, s[2:3]
	s_cbranch_vccnz .LBB529_268
.LBB529_26:
	s_waitcnt vmcnt(0)
	v_cmp_o_f16_e32 vcc, v1, v1
	v_mov_b32_e32 v2, s46
	s_and_saveexec_b64 s[2:3], vcc
	s_cbranch_execz .LBB529_30
; %bb.27:
	s_movk_i32 s6, 0x7c00
	v_cmp_neq_f16_e32 vcc, s6, v1
	v_mov_b32_e32 v2, s76
	s_and_saveexec_b64 s[6:7], vcc
; %bb.28:
	s_mov_b32 s8, 0xfc00
	v_mov_b32_e32 v2, s47
	v_cmp_eq_f16_e32 vcc, s8, v1
	s_nop 1
	v_cndmask_b32_e32 v2, v1, v2, vcc
; %bb.29:
	s_or_b64 exec, exec, s[6:7]
.LBB529_30:
	s_or_b64 exec, exec, s[2:3]
	v_mov_b32_e32 v1, 0
	s_and_b32 s12, s75, 0xff
	s_cmp_lt_i32 s12, 11
	v_lshl_add_u64 v[0:1], s[20:21], 0, v[0:1]
	s_cbranch_scc1 .LBB529_38
; %bb.31:
	s_and_b32 s13, 0xffff, s12
	s_cmp_gt_i32 s13, 25
	s_cbranch_scc0 .LBB529_41
; %bb.32:
	s_cmp_gt_i32 s13, 28
	s_cbranch_scc0 .LBB529_43
; %bb.33:
	;; [unrolled: 3-line block ×4, first 2 shown]
	s_mov_b64 s[8:9], 0
	s_mov_b64 s[2:3], -1
	s_cmp_eq_u32 s13, 46
	s_mov_b64 s[6:7], 0
	s_cbranch_scc0 .LBB529_52
; %bb.36:
	v_cvt_f32_f16_e32 v3, v2
	s_movk_i32 s2, 0x7fff
	v_cmp_o_f16_e32 vcc, v2, v2
	v_mov_b32_e32 v4, 0x7fc0
	v_bfe_u32 v5, v3, 16, 1
	v_add3_u32 v3, v3, v5, s2
	v_cndmask_b32_sdwa v3, v4, v3, vcc dst_sel:DWORD dst_unused:UNUSED_PAD src0_sel:DWORD src1_sel:WORD_1
	global_store_dword v[0:1], v3, off
	s_mov_b64 s[6:7], -1
	s_mov_b64 s[2:3], 0
	s_branch .LBB529_52
.LBB529_37:
	s_mov_b64 s[4:5], 0
	s_mov_b64 s[2:3], 0
                                        ; implicit-def: $vgpr1
	s_cbranch_execnz .LBB529_186
	s_branch .LBB529_220
.LBB529_38:
	s_mov_b64 s[2:3], 0
	s_mov_b64 s[6:7], 0
	s_cbranch_execnz .LBB529_121
.LBB529_39:
	s_andn2_b64 vcc, exec, s[6:7]
	s_cbranch_vccnz .LBB529_269
	s_branch .LBB529_159
.LBB529_40:
	s_mov_b64 s[6:7], -1
	s_mov_b64 s[4:5], 0
	s_mov_b64 s[2:3], 0
                                        ; implicit-def: $vgpr1
	s_branch .LBB529_167
.LBB529_41:
	s_mov_b64 s[8:9], -1
	s_mov_b64 s[2:3], 0
	s_mov_b64 s[6:7], 0
	s_branch .LBB529_79
.LBB529_42:
	s_mov_b64 s[6:7], -1
	s_mov_b64 s[4:5], 0
	s_mov_b64 s[2:3], 0
                                        ; implicit-def: $vgpr1
	s_branch .LBB529_162
.LBB529_43:
	s_mov_b64 s[8:9], -1
	s_mov_b64 s[2:3], 0
	s_mov_b64 s[6:7], 0
	s_branch .LBB529_62
.LBB529_44:
	s_mov_b64 s[6:7], -1
	s_mov_b64 s[4:5], 0
	s_branch .LBB529_47
.LBB529_45:
	s_mov_b64 s[8:9], -1
	s_mov_b64 s[2:3], 0
	s_mov_b64 s[6:7], 0
	s_branch .LBB529_58
.LBB529_46:
	s_mov_b64 s[4:5], -1
.LBB529_47:
	s_mov_b64 s[2:3], 0
                                        ; implicit-def: $vgpr1
.LBB529_48:
	s_and_b64 vcc, exec, s[6:7]
	s_cbranch_vccz .LBB529_161
; %bb.49:
	s_cmp_eq_u32 s10, 44
	s_cbranch_scc0 .LBB529_160
; %bb.50:
	global_load_ubyte v1, v[2:3], off
	s_movk_i32 s4, 0xff
	v_mov_b32_e32 v5, 0x7e00
	s_mov_b64 s[2:3], -1
	s_waitcnt vmcnt(0)
	v_lshlrev_b32_e32 v4, 23, v1
	v_cvt_f16_f32_e32 v4, v4
	v_cmp_ne_u32_e32 vcc, s4, v1
	s_mov_b64 s[4:5], 0
	s_nop 0
	v_cndmask_b32_e32 v4, v5, v4, vcc
	v_cmp_ne_u32_e32 vcc, 0, v1
	s_nop 1
	v_cndmask_b32_e32 v1, 0, v4, vcc
	s_branch .LBB529_161
.LBB529_51:
	s_mov_b64 s[8:9], -1
	s_mov_b64 s[2:3], 0
	s_mov_b64 s[6:7], 0
.LBB529_52:
	s_and_b64 vcc, exec, s[8:9]
	s_cbranch_vccz .LBB529_57
; %bb.53:
	s_cmp_eq_u32 s13, 44
	s_mov_b64 s[2:3], -1
	s_cbranch_scc0 .LBB529_57
; %bb.54:
	v_cvt_f32_f16_e32 v3, v2
	s_movk_i32 s2, 0xff
	v_mov_b32_e32 v5, 0xff
	v_bfe_u32 v4, v3, 23, 8
	v_cmp_ne_u32_e32 vcc, s2, v4
	s_and_saveexec_b64 s[6:7], vcc
; %bb.55:
	s_mov_b32 s2, 0x3fffff
	v_lshrrev_b32_e32 v5, 23, v3
	v_and_b32_e32 v6, 0x400000, v3
	v_and_or_b32 v3, v3, s2, v4
	v_cmp_ne_u32_e32 vcc, 0, v6
	v_cmp_ne_u32_e64 s[2:3], 0, v3
	s_and_b64 s[2:3], vcc, s[2:3]
	s_nop 0
	v_cndmask_b32_e64 v3, 0, 1, s[2:3]
	v_add_u32_e32 v5, v5, v3
; %bb.56:
	s_or_b64 exec, exec, s[6:7]
	s_mov_b64 s[6:7], -1
	s_mov_b64 s[2:3], 0
	global_store_byte v[0:1], v5, off
.LBB529_57:
	s_mov_b64 s[8:9], 0
.LBB529_58:
	s_and_b64 vcc, exec, s[8:9]
	s_cbranch_vccz .LBB529_61
; %bb.59:
	s_cmp_eq_u32 s13, 29
	s_mov_b64 s[2:3], -1
	s_cbranch_scc0 .LBB529_61
; %bb.60:
	v_cvt_f32_f16_e32 v3, v2
	v_mov_b32_e32 v5, 0
	s_mov_b64 s[6:7], -1
	s_mov_b64 s[2:3], 0
	v_cvt_u32_f32_e32 v4, v3
	s_mov_b64 s[8:9], 0
	global_store_dwordx2 v[0:1], v[4:5], off
	s_branch .LBB529_62
.LBB529_61:
	s_mov_b64 s[8:9], 0
.LBB529_62:
	s_and_b64 vcc, exec, s[8:9]
	s_cbranch_vccz .LBB529_78
; %bb.63:
	s_cmp_lt_i32 s13, 27
	s_mov_b64 s[6:7], -1
	s_cbranch_scc1 .LBB529_69
; %bb.64:
	s_cmp_gt_i32 s13, 27
	s_cbranch_scc0 .LBB529_66
; %bb.65:
	v_cvt_f32_f16_e32 v3, v2
	s_mov_b64 s[6:7], 0
	v_cvt_u32_f32_e32 v3, v3
	global_store_dword v[0:1], v3, off
.LBB529_66:
	s_andn2_b64 vcc, exec, s[6:7]
	s_cbranch_vccnz .LBB529_68
; %bb.67:
	v_cvt_u16_f16_e32 v3, v2
	global_store_short v[0:1], v3, off
.LBB529_68:
	s_mov_b64 s[6:7], 0
.LBB529_69:
	s_andn2_b64 vcc, exec, s[6:7]
	s_cbranch_vccnz .LBB529_77
; %bb.70:
	v_cvt_f32_f16_e32 v3, v2
	s_mov_b32 s6, 0x43800000
	v_mov_b32_e32 v5, 0x80
	v_and_b32_e32 v4, 0x7fffffff, v3
	v_cmp_gt_u32_e32 vcc, s6, v4
	s_and_saveexec_b64 s[6:7], vcc
	s_cbranch_execz .LBB529_76
; %bb.71:
	s_mov_b32 s8, 0x3bffffff
	v_cmp_lt_u32_e32 vcc, s8, v4
	s_mov_b64 s[8:9], 0
                                        ; implicit-def: $vgpr4
	s_and_saveexec_b64 s[10:11], vcc
	s_xor_b64 s[10:11], exec, s[10:11]
	s_cbranch_execz .LBB529_317
; %bb.72:
	v_bfe_u32 v4, v3, 20, 1
	s_mov_b32 s14, 0x487ffff
	v_add3_u32 v4, v3, v4, s14
	s_mov_b64 s[8:9], exec
	v_lshrrev_b32_e32 v4, 20, v4
	s_andn2_saveexec_b64 s[10:11], s[10:11]
	s_cbranch_execnz .LBB529_318
.LBB529_73:
	s_or_b64 exec, exec, s[10:11]
	v_mov_b32_e32 v5, 0
	s_and_saveexec_b64 s[10:11], s[8:9]
.LBB529_74:
	v_lshrrev_b32_e32 v3, 24, v3
	s_movk_i32 s8, 0x80
	v_and_or_b32 v5, v3, s8, v4
.LBB529_75:
	s_or_b64 exec, exec, s[10:11]
.LBB529_76:
	s_or_b64 exec, exec, s[6:7]
	global_store_byte v[0:1], v5, off
.LBB529_77:
	s_mov_b64 s[6:7], -1
.LBB529_78:
	s_mov_b64 s[8:9], 0
.LBB529_79:
	s_and_b64 vcc, exec, s[8:9]
	s_cbranch_vccz .LBB529_120
; %bb.80:
	s_cmp_gt_i32 s13, 22
	s_mov_b64 s[8:9], -1
	s_cbranch_scc0 .LBB529_112
; %bb.81:
	s_cmp_lt_i32 s13, 24
	s_mov_b64 s[6:7], -1
	s_cbranch_scc1 .LBB529_101
; %bb.82:
	s_cmp_gt_i32 s13, 24
	s_cbranch_scc0 .LBB529_90
; %bb.83:
	v_cvt_f32_f16_e32 v3, v2
	s_mov_b32 s6, 0x47800000
	v_mov_b32_e32 v5, 0x80
	v_and_b32_e32 v4, 0x7fffffff, v3
	v_cmp_gt_u32_e32 vcc, s6, v4
	s_and_saveexec_b64 s[6:7], vcc
	s_cbranch_execz .LBB529_89
; %bb.84:
	s_mov_b32 s8, 0x37ffffff
	v_cmp_lt_u32_e32 vcc, s8, v4
	s_mov_b64 s[8:9], 0
                                        ; implicit-def: $vgpr4
	s_and_saveexec_b64 s[10:11], vcc
	s_xor_b64 s[10:11], exec, s[10:11]
	s_cbranch_execz .LBB529_321
; %bb.85:
	v_bfe_u32 v4, v3, 21, 1
	s_mov_b32 s14, 0x88fffff
	v_add3_u32 v4, v3, v4, s14
	s_mov_b64 s[8:9], exec
	v_lshrrev_b32_e32 v4, 21, v4
	s_andn2_saveexec_b64 s[10:11], s[10:11]
	s_cbranch_execnz .LBB529_322
.LBB529_86:
	s_or_b64 exec, exec, s[10:11]
	v_mov_b32_e32 v5, 0
	s_and_saveexec_b64 s[10:11], s[8:9]
.LBB529_87:
	v_lshrrev_b32_e32 v3, 24, v3
	s_movk_i32 s8, 0x80
	v_and_or_b32 v5, v3, s8, v4
.LBB529_88:
	s_or_b64 exec, exec, s[10:11]
.LBB529_89:
	s_or_b64 exec, exec, s[6:7]
	s_mov_b64 s[6:7], 0
	global_store_byte v[0:1], v5, off
.LBB529_90:
	s_and_b64 vcc, exec, s[6:7]
	s_cbranch_vccz .LBB529_100
; %bb.91:
	v_cvt_f32_f16_e32 v3, v2
	s_mov_b32 s6, 0x43f00000
                                        ; implicit-def: $vgpr4
	v_and_b32_e32 v5, 0x7fffffff, v3
	v_cmp_gt_u32_e32 vcc, s6, v5
	s_and_saveexec_b64 s[6:7], vcc
	s_xor_b64 s[6:7], exec, s[6:7]
	s_cbranch_execz .LBB529_97
; %bb.92:
	s_mov_b32 s8, 0x3c7fffff
	v_cmp_lt_u32_e32 vcc, s8, v5
                                        ; implicit-def: $vgpr4
	s_and_saveexec_b64 s[8:9], vcc
	s_xor_b64 s[8:9], exec, s[8:9]
; %bb.93:
	v_bfe_u32 v4, v3, 20, 1
	s_mov_b32 s10, 0x407ffff
	v_add3_u32 v4, v3, v4, s10
	v_lshrrev_b32_e32 v5, 20, v4
	v_and_b32_e32 v4, 0xff00000, v4
	s_mov_b32 s10, 0x7f00000
	v_mov_b32_e32 v6, 0x7e
	v_cmp_ne_u32_e32 vcc, s10, v4
	s_nop 1
	v_cndmask_b32_e32 v4, v6, v5, vcc
; %bb.94:
	s_andn2_saveexec_b64 s[8:9], s[8:9]
; %bb.95:
	s_mov_b32 s10, 0x46800000
	v_add_f32_e64 v4, |v3|, s10
; %bb.96:
	s_or_b64 exec, exec, s[8:9]
                                        ; implicit-def: $vgpr5
.LBB529_97:
	s_andn2_saveexec_b64 s[6:7], s[6:7]
; %bb.98:
	s_mov_b32 s8, 0x7f800000
	v_mov_b32_e32 v4, 0x7e
	v_mov_b32_e32 v6, 0x7f
	v_cmp_lt_u32_e32 vcc, s8, v5
	s_nop 1
	v_cndmask_b32_e32 v4, v4, v6, vcc
; %bb.99:
	s_or_b64 exec, exec, s[6:7]
	v_lshrrev_b32_e32 v3, 24, v3
	s_movk_i32 s6, 0x80
	v_and_or_b32 v3, v3, s6, v4
	global_store_byte v[0:1], v3, off
.LBB529_100:
	s_mov_b64 s[6:7], 0
.LBB529_101:
	s_andn2_b64 vcc, exec, s[6:7]
	s_cbranch_vccnz .LBB529_111
; %bb.102:
	v_cvt_f32_f16_e32 v3, v2
	s_mov_b32 s6, 0x47800000
                                        ; implicit-def: $vgpr4
	v_and_b32_e32 v5, 0x7fffffff, v3
	v_cmp_gt_u32_e32 vcc, s6, v5
	s_and_saveexec_b64 s[6:7], vcc
	s_xor_b64 s[6:7], exec, s[6:7]
	s_cbranch_execz .LBB529_108
; %bb.103:
	s_mov_b32 s8, 0x387fffff
	v_cmp_lt_u32_e32 vcc, s8, v5
                                        ; implicit-def: $vgpr4
	s_and_saveexec_b64 s[8:9], vcc
	s_xor_b64 s[8:9], exec, s[8:9]
; %bb.104:
	v_bfe_u32 v4, v3, 21, 1
	s_mov_b32 s10, 0x80fffff
	v_add3_u32 v4, v3, v4, s10
	v_lshrrev_b32_e32 v4, 21, v4
; %bb.105:
	s_andn2_saveexec_b64 s[8:9], s[8:9]
; %bb.106:
	s_mov_b32 s10, 0x43000000
	v_add_f32_e64 v4, |v3|, s10
; %bb.107:
	s_or_b64 exec, exec, s[8:9]
                                        ; implicit-def: $vgpr5
.LBB529_108:
	s_andn2_saveexec_b64 s[6:7], s[6:7]
; %bb.109:
	s_mov_b32 s8, 0x7f800000
	v_mov_b32_e32 v4, 0x7c
	v_mov_b32_e32 v6, 0x7f
	v_cmp_lt_u32_e32 vcc, s8, v5
	s_nop 1
	v_cndmask_b32_e32 v4, v4, v6, vcc
; %bb.110:
	s_or_b64 exec, exec, s[6:7]
	v_lshrrev_b32_e32 v3, 24, v3
	s_movk_i32 s6, 0x80
	v_and_or_b32 v3, v3, s6, v4
	global_store_byte v[0:1], v3, off
.LBB529_111:
	s_mov_b64 s[8:9], 0
	s_mov_b64 s[6:7], -1
.LBB529_112:
	s_andn2_b64 vcc, exec, s[8:9]
	s_cbranch_vccnz .LBB529_120
; %bb.113:
	s_cmp_gt_i32 s13, 14
	s_mov_b64 s[8:9], -1
	s_cbranch_scc0 .LBB529_117
; %bb.114:
	s_cmp_eq_u32 s13, 15
	s_mov_b64 s[2:3], -1
	s_cbranch_scc0 .LBB529_116
; %bb.115:
	v_cvt_f32_f16_e32 v3, v2
	s_movk_i32 s2, 0x7fff
	v_cmp_o_f16_e32 vcc, v2, v2
	v_mov_b32_e32 v4, 0x7fc0
	v_bfe_u32 v5, v3, 16, 1
	v_add3_u32 v3, v3, v5, s2
	v_cndmask_b32_sdwa v3, v4, v3, vcc dst_sel:DWORD dst_unused:UNUSED_PAD src0_sel:DWORD src1_sel:WORD_1
	global_store_short v[0:1], v3, off
	s_mov_b64 s[6:7], -1
	s_mov_b64 s[2:3], 0
.LBB529_116:
	s_mov_b64 s[8:9], 0
.LBB529_117:
	s_and_b64 vcc, exec, s[8:9]
	s_cbranch_vccz .LBB529_120
; %bb.118:
	s_cmp_eq_u32 s13, 11
	s_mov_b64 s[2:3], -1
	s_cbranch_scc0 .LBB529_120
; %bb.119:
	v_and_b32_e32 v3, 0x7fff, v2
	v_cmp_ne_u16_e32 vcc, 0, v3
	s_mov_b64 s[6:7], -1
	s_mov_b64 s[2:3], 0
	v_cndmask_b32_e64 v3, 0, 1, vcc
	global_store_byte v[0:1], v3, off
.LBB529_120:
	s_branch .LBB529_39
.LBB529_121:
	s_and_b32 s8, 0xffff, s12
	s_cmp_lt_i32 s8, 5
	s_mov_b64 s[6:7], -1
	s_cbranch_scc1 .LBB529_142
; %bb.122:
	s_cmp_lt_i32 s8, 8
	s_cbranch_scc1 .LBB529_132
; %bb.123:
	s_cmp_lt_i32 s8, 9
	s_cbranch_scc1 .LBB529_129
; %bb.124:
	s_cmp_gt_i32 s8, 9
	s_cbranch_scc0 .LBB529_126
; %bb.125:
	v_cvt_f32_f16_e32 v3, v2
	v_mov_b32_e32 v6, 0
	v_mov_b32_e32 v7, v6
	s_mov_b64 s[6:7], 0
	v_cvt_f64_f32_e32 v[4:5], v3
	global_store_dwordx4 v[0:1], v[4:7], off
.LBB529_126:
	s_andn2_b64 vcc, exec, s[6:7]
	s_cbranch_vccnz .LBB529_128
; %bb.127:
	v_cvt_f32_f16_e32 v4, v2
	v_mov_b32_e32 v5, 0
	global_store_dwordx2 v[0:1], v[4:5], off
.LBB529_128:
	s_mov_b64 s[6:7], 0
.LBB529_129:
	s_andn2_b64 vcc, exec, s[6:7]
	s_cbranch_vccnz .LBB529_131
; %bb.130:
	v_and_b32_e32 v3, 0xffff, v2
	global_store_dword v[0:1], v3, off
.LBB529_131:
	s_mov_b64 s[6:7], 0
.LBB529_132:
	s_andn2_b64 vcc, exec, s[6:7]
	s_cbranch_vccnz .LBB529_141
; %bb.133:
	s_cmp_lt_i32 s8, 6
	s_mov_b64 s[6:7], -1
	s_cbranch_scc1 .LBB529_139
; %bb.134:
	s_cmp_gt_i32 s8, 6
	s_cbranch_scc0 .LBB529_136
; %bb.135:
	v_cvt_f32_f16_e32 v3, v2
	s_mov_b64 s[6:7], 0
	v_cvt_f64_f32_e32 v[4:5], v3
	global_store_dwordx2 v[0:1], v[4:5], off
.LBB529_136:
	s_andn2_b64 vcc, exec, s[6:7]
	s_cbranch_vccnz .LBB529_138
; %bb.137:
	v_cvt_f32_f16_e32 v3, v2
	global_store_dword v[0:1], v3, off
.LBB529_138:
	s_mov_b64 s[6:7], 0
.LBB529_139:
	s_andn2_b64 vcc, exec, s[6:7]
	s_cbranch_vccnz .LBB529_141
; %bb.140:
	global_store_short v[0:1], v2, off
.LBB529_141:
	s_mov_b64 s[6:7], 0
.LBB529_142:
	s_andn2_b64 vcc, exec, s[6:7]
	s_cbranch_vccnz .LBB529_158
; %bb.143:
	s_cmp_lt_i32 s8, 2
	s_mov_b64 s[6:7], -1
	s_cbranch_scc1 .LBB529_153
; %bb.144:
	s_cmp_lt_i32 s8, 3
	s_cbranch_scc1 .LBB529_150
; %bb.145:
	s_cmp_gt_i32 s8, 3
	s_cbranch_scc0 .LBB529_147
; %bb.146:
	v_cvt_f32_f16_e32 v3, v2
	s_mov_b64 s[6:7], 0
	v_cvt_i32_f32_e32 v4, v3
	v_ashrrev_i32_e32 v5, 31, v4
	global_store_dwordx2 v[0:1], v[4:5], off
.LBB529_147:
	s_andn2_b64 vcc, exec, s[6:7]
	s_cbranch_vccnz .LBB529_149
; %bb.148:
	v_cvt_f32_f16_e32 v3, v2
	v_cvt_i32_f32_e32 v3, v3
	global_store_dword v[0:1], v3, off
.LBB529_149:
	s_mov_b64 s[6:7], 0
.LBB529_150:
	s_andn2_b64 vcc, exec, s[6:7]
	s_cbranch_vccnz .LBB529_152
; %bb.151:
	v_cvt_i16_f16_e32 v3, v2
	global_store_short v[0:1], v3, off
.LBB529_152:
	s_mov_b64 s[6:7], 0
.LBB529_153:
	s_andn2_b64 vcc, exec, s[6:7]
	s_cbranch_vccnz .LBB529_158
; %bb.154:
	s_cmp_gt_i32 s8, 0
	s_mov_b64 s[6:7], -1
	s_cbranch_scc0 .LBB529_156
; %bb.155:
	v_cvt_i16_f16_e32 v3, v2
	global_store_byte v[0:1], v3, off
	s_mov_b64 s[6:7], 0
.LBB529_156:
	s_andn2_b64 vcc, exec, s[6:7]
	s_cbranch_vccnz .LBB529_158
; %bb.157:
	v_cvt_f32_f16_e32 v2, v2
	v_cvt_i32_f32_e32 v2, v2
	global_store_byte v[0:1], v2, off
.LBB529_158:
.LBB529_159:
	v_add_u32_e32 v8, 0x80, v8
	s_mov_b64 s[6:7], -1
	s_branch .LBB529_270
.LBB529_160:
	s_mov_b64 s[4:5], -1
                                        ; implicit-def: $vgpr1
.LBB529_161:
	s_mov_b64 s[6:7], 0
.LBB529_162:
	s_and_b64 vcc, exec, s[6:7]
	s_cbranch_vccz .LBB529_166
; %bb.163:
	s_cmp_eq_u32 s10, 29
	s_cbranch_scc0 .LBB529_165
; %bb.164:
	global_load_dwordx2 v[4:5], v[2:3], off
	s_mov_b64 s[2:3], -1
	s_mov_b64 s[4:5], 0
	s_mov_b64 s[6:7], 0
	s_waitcnt vmcnt(0)
	v_ffbh_u32_e32 v1, v5
	v_min_u32_e32 v1, 32, v1
	v_lshlrev_b64 v[4:5], v1, v[4:5]
	v_min_u32_e32 v4, 1, v4
	v_or_b32_e32 v4, v5, v4
	v_cvt_f32_u32_e32 v4, v4
	v_sub_u32_e32 v1, 32, v1
	v_ldexp_f32 v1, v4, v1
	v_cvt_f16_f32_e32 v1, v1
	s_branch .LBB529_167
.LBB529_165:
	s_mov_b64 s[4:5], -1
                                        ; implicit-def: $vgpr1
.LBB529_166:
	s_mov_b64 s[6:7], 0
.LBB529_167:
	s_and_b64 vcc, exec, s[6:7]
	s_cbranch_vccz .LBB529_185
; %bb.168:
	s_cmp_lt_i32 s10, 27
	s_cbranch_scc1 .LBB529_171
; %bb.169:
	s_cmp_gt_i32 s10, 27
	s_cbranch_scc0 .LBB529_172
; %bb.170:
	global_load_dword v1, v[2:3], off
	s_mov_b64 s[2:3], 0
	s_waitcnt vmcnt(0)
	v_cvt_f32_u32_e32 v1, v1
	v_cvt_f16_f32_e32 v1, v1
	s_branch .LBB529_173
.LBB529_171:
	s_mov_b64 s[2:3], -1
                                        ; implicit-def: $vgpr1
	s_branch .LBB529_176
.LBB529_172:
	s_mov_b64 s[2:3], -1
                                        ; implicit-def: $vgpr1
.LBB529_173:
	s_andn2_b64 vcc, exec, s[2:3]
	s_cbranch_vccnz .LBB529_175
; %bb.174:
	global_load_ushort v1, v[2:3], off
	s_waitcnt vmcnt(0)
	v_cvt_f16_u16_e32 v1, v1
.LBB529_175:
	s_mov_b64 s[2:3], 0
.LBB529_176:
	s_andn2_b64 vcc, exec, s[2:3]
	s_cbranch_vccnz .LBB529_184
; %bb.177:
	global_load_ubyte v4, v[2:3], off
	s_movk_i32 s2, 0x7f
	s_waitcnt vmcnt(0)
	v_cmp_lt_i16_e32 vcc, s2, v4
	s_mov_b64 s[2:3], 0
	s_and_saveexec_b64 s[6:7], vcc
	s_xor_b64 s[6:7], exec, s[6:7]
	s_cbranch_execz .LBB529_197
; %bb.178:
	s_movk_i32 s2, 0x80
	v_cmp_eq_u16_e32 vcc, s2, v4
	s_mov_b64 s[2:3], -1
	s_and_saveexec_b64 s[8:9], vcc
; %bb.179:
	s_xor_b64 s[2:3], exec, -1
; %bb.180:
	s_or_b64 exec, exec, s[8:9]
	s_and_b64 s[2:3], s[2:3], exec
	s_or_saveexec_b64 s[6:7], s[6:7]
	v_mov_b32_e32 v1, 0x7e00
	s_xor_b64 exec, exec, s[6:7]
	s_cbranch_execnz .LBB529_198
.LBB529_181:
	s_or_b64 exec, exec, s[6:7]
	s_and_saveexec_b64 s[6:7], s[2:3]
	s_cbranch_execz .LBB529_183
.LBB529_182:
	v_lshlrev_b32_e32 v1, 24, v4
	v_and_b32_e32 v4, 0xffff, v4
	v_and_b32_e32 v5, 7, v4
	v_ffbh_u32_e32 v7, v5
	v_min_u32_e32 v7, 32, v7
	v_subrev_u32_e32 v9, 28, v7
	v_bfe_u32 v6, v4, 3, 4
	v_lshlrev_b32_e32 v4, v9, v4
	v_sub_u32_e32 v7, 29, v7
	v_and_b32_e32 v4, 7, v4
	v_cmp_eq_u32_e32 vcc, 0, v6
	v_and_b32_e32 v1, 0x80000000, v1
	s_nop 0
	v_cndmask_b32_e32 v6, v6, v7, vcc
	v_cndmask_b32_e32 v4, v5, v4, vcc
	v_mov_b32_e32 v5, 0x3b800000
	v_lshlrev_b32_e32 v4, 20, v4
	v_lshl_add_u32 v5, v6, 23, v5
	v_or3_b32 v1, v1, v5, v4
	v_cvt_f16_f32_e32 v1, v1
.LBB529_183:
	s_or_b64 exec, exec, s[6:7]
.LBB529_184:
	s_mov_b64 s[2:3], -1
.LBB529_185:
	s_branch .LBB529_220
.LBB529_186:
	s_cmp_gt_i32 s10, 22
	s_cbranch_scc0 .LBB529_196
; %bb.187:
	s_cmp_lt_i32 s10, 24
	s_cbranch_scc1 .LBB529_199
; %bb.188:
	s_cmp_gt_i32 s10, 24
	s_cbranch_scc0 .LBB529_200
; %bb.189:
	global_load_ubyte v4, v[2:3], off
	s_movk_i32 s2, 0x7f
	s_waitcnt vmcnt(0)
	v_cmp_lt_i16_e32 vcc, s2, v4
	s_mov_b64 s[2:3], 0
	s_and_saveexec_b64 s[6:7], vcc
	s_xor_b64 s[6:7], exec, s[6:7]
	s_cbranch_execz .LBB529_212
; %bb.190:
	s_movk_i32 s2, 0x80
	v_cmp_eq_u16_e32 vcc, s2, v4
	s_mov_b64 s[2:3], -1
	s_and_saveexec_b64 s[8:9], vcc
; %bb.191:
	s_xor_b64 s[2:3], exec, -1
; %bb.192:
	s_or_b64 exec, exec, s[8:9]
	s_and_b64 s[2:3], s[2:3], exec
	s_or_saveexec_b64 s[6:7], s[6:7]
	v_mov_b32_e32 v1, 0x7e00
	s_xor_b64 exec, exec, s[6:7]
	s_cbranch_execnz .LBB529_213
.LBB529_193:
	s_or_b64 exec, exec, s[6:7]
	s_and_saveexec_b64 s[6:7], s[2:3]
	s_cbranch_execz .LBB529_195
.LBB529_194:
	v_lshlrev_b32_e32 v1, 24, v4
	v_and_b32_e32 v4, 0xffff, v4
	v_and_b32_e32 v5, 3, v4
	v_ffbh_u32_e32 v7, v5
	v_min_u32_e32 v7, 32, v7
	v_subrev_u32_e32 v9, 29, v7
	v_bfe_u32 v6, v4, 2, 5
	v_lshlrev_b32_e32 v4, v9, v4
	v_sub_u32_e32 v7, 30, v7
	v_and_b32_e32 v4, 3, v4
	v_cmp_eq_u32_e32 vcc, 0, v6
	v_and_b32_e32 v1, 0x80000000, v1
	s_nop 0
	v_cndmask_b32_e32 v6, v6, v7, vcc
	v_cndmask_b32_e32 v4, v5, v4, vcc
	v_mov_b32_e32 v5, 0x37800000
	v_lshlrev_b32_e32 v4, 21, v4
	v_lshl_add_u32 v5, v6, 23, v5
	v_or3_b32 v1, v1, v5, v4
	v_cvt_f16_f32_e32 v1, v1
.LBB529_195:
	s_or_b64 exec, exec, s[6:7]
	s_mov_b64 s[2:3], 0
	s_branch .LBB529_201
.LBB529_196:
	s_mov_b64 s[6:7], -1
                                        ; implicit-def: $vgpr1
	s_branch .LBB529_207
.LBB529_197:
	s_or_saveexec_b64 s[6:7], s[6:7]
	v_mov_b32_e32 v1, 0x7e00
	s_xor_b64 exec, exec, s[6:7]
	s_cbranch_execz .LBB529_181
.LBB529_198:
	v_cmp_ne_u16_e32 vcc, 0, v4
	s_andn2_b64 s[2:3], s[2:3], exec
	s_and_b64 s[8:9], vcc, exec
	s_or_b64 s[2:3], s[2:3], s[8:9]
	v_mov_b32_e32 v1, v4
	s_or_b64 exec, exec, s[6:7]
	s_and_saveexec_b64 s[6:7], s[2:3]
	s_cbranch_execnz .LBB529_182
	s_branch .LBB529_183
.LBB529_199:
	s_mov_b64 s[2:3], -1
                                        ; implicit-def: $vgpr1
	s_branch .LBB529_204
.LBB529_200:
	s_mov_b64 s[2:3], -1
                                        ; implicit-def: $vgpr1
.LBB529_201:
	s_and_b64 vcc, exec, s[2:3]
	s_cbranch_vccz .LBB529_203
; %bb.202:
	global_load_ubyte v1, v[2:3], off
	s_mov_b32 s2, 0x7f800000
	s_waitcnt vmcnt(0)
	v_lshlrev_b32_e32 v1, 24, v1
	v_and_b32_e32 v4, 0x7f000000, v1
	v_ffbh_u32_e32 v5, v4
	v_min_u32_e32 v5, 32, v5
	v_sub_u32_e64 v5, v5, 4 clamp
	v_lshlrev_b32_e32 v7, v5, v4
	v_lshlrev_b32_e32 v5, 23, v5
	v_lshrrev_b32_e32 v7, 4, v7
	v_add_u32_e32 v6, 0x1000000, v4
	v_sub_u32_e32 v5, v7, v5
	v_ashrrev_i32_e32 v6, 8, v6
	v_add_u32_e32 v5, 0x3c000000, v5
	v_and_or_b32 v5, v6, s2, v5
	v_cmp_ne_u32_e32 vcc, 0, v4
	s_brev_b32 s2, 1
	s_nop 0
	v_cndmask_b32_e32 v4, 0, v5, vcc
	v_and_or_b32 v1, v1, s2, v4
	v_cvt_f16_f32_e32 v1, v1
.LBB529_203:
	s_mov_b64 s[2:3], 0
.LBB529_204:
	s_andn2_b64 vcc, exec, s[2:3]
	s_cbranch_vccnz .LBB529_206
; %bb.205:
	global_load_ubyte v1, v[2:3], off
	s_movk_i32 s2, 0x7f00
	s_brev_b32 s3, 16
	s_waitcnt vmcnt(0)
	v_lshlrev_b16_e32 v4, 8, v1
	v_lshlrev_b32_e32 v1, 25, v1
	v_lshrrev_b32_e32 v5, 4, v1
	v_and_or_b32 v6, v4, s2, 0.5
	v_or_b32_e32 v5, 0x70000000, v5
	v_add_f32_e32 v6, -0.5, v6
	v_mul_f32_e32 v5, 0x7800000, v5
	v_cmp_gt_u32_e32 vcc, s3, v1
	v_bfe_i32 v4, v4, 0, 16
	s_brev_b32 s2, 1
	v_cndmask_b32_e32 v1, v5, v6, vcc
	v_and_or_b32 v1, v4, s2, v1
	v_cvt_f16_f32_e32 v1, v1
.LBB529_206:
	s_mov_b64 s[6:7], 0
	s_mov_b64 s[2:3], -1
.LBB529_207:
	s_andn2_b64 vcc, exec, s[6:7]
	s_cbranch_vccnz .LBB529_220
; %bb.208:
	s_cmp_gt_i32 s10, 14
	s_cbranch_scc0 .LBB529_211
; %bb.209:
	s_cmp_eq_u32 s10, 15
	s_cbranch_scc0 .LBB529_214
; %bb.210:
	global_load_ushort v1, v[2:3], off
	s_mov_b64 s[2:3], -1
	s_mov_b64 s[4:5], 0
	s_waitcnt vmcnt(0)
	v_lshlrev_b32_e32 v1, 16, v1
	v_cvt_f16_f32_e32 v1, v1
	s_branch .LBB529_215
.LBB529_211:
	s_mov_b64 s[6:7], -1
                                        ; implicit-def: $vgpr1
	s_branch .LBB529_216
.LBB529_212:
	s_or_saveexec_b64 s[6:7], s[6:7]
	v_mov_b32_e32 v1, 0x7e00
	s_xor_b64 exec, exec, s[6:7]
	s_cbranch_execz .LBB529_193
.LBB529_213:
	v_cmp_ne_u16_e32 vcc, 0, v4
	s_andn2_b64 s[2:3], s[2:3], exec
	s_and_b64 s[8:9], vcc, exec
	s_or_b64 s[2:3], s[2:3], s[8:9]
	v_mov_b32_e32 v1, v4
	s_or_b64 exec, exec, s[6:7]
	s_and_saveexec_b64 s[6:7], s[2:3]
	s_cbranch_execnz .LBB529_194
	s_branch .LBB529_195
.LBB529_214:
	s_mov_b64 s[4:5], -1
                                        ; implicit-def: $vgpr1
.LBB529_215:
	s_mov_b64 s[6:7], 0
.LBB529_216:
	s_and_b64 vcc, exec, s[6:7]
	s_cbranch_vccz .LBB529_220
; %bb.217:
	s_cmp_eq_u32 s10, 11
	s_cbranch_scc0 .LBB529_219
; %bb.218:
	global_load_ubyte v1, v[2:3], off
	v_mov_b32_e32 v4, 0x3c00
	s_mov_b64 s[2:3], -1
	s_mov_b64 s[4:5], 0
	s_waitcnt vmcnt(0)
	v_cmp_ne_u16_e32 vcc, 0, v1
	s_nop 1
	v_cndmask_b32_e32 v1, 0, v4, vcc
	s_branch .LBB529_220
.LBB529_219:
	s_mov_b64 s[4:5], -1
                                        ; implicit-def: $vgpr1
.LBB529_220:
	s_branch .LBB529_25
.LBB529_221:
	s_cmp_lt_i32 s10, 5
	s_cbranch_scc1 .LBB529_226
; %bb.222:
	s_cmp_lt_i32 s10, 8
	s_cbranch_scc1 .LBB529_227
; %bb.223:
	;; [unrolled: 3-line block ×3, first 2 shown]
	s_cmp_gt_i32 s10, 9
	s_cbranch_scc0 .LBB529_229
; %bb.225:
	global_load_dwordx2 v[4:5], v[2:3], off
	s_movk_i32 s2, 0x1ff
	s_movk_i32 s3, 0xffe
	v_mov_b32_e32 v1, 0x7c00
	v_mov_b32_e32 v6, 0x7e00
	s_movk_i32 s6, 0x40f
	s_mov_b32 s7, 0x8000
	s_waitcnt vmcnt(0)
	v_and_or_b32 v4, v5, s2, v4
	v_cmp_ne_u32_e32 vcc, 0, v4
	v_lshrrev_b32_e32 v7, 8, v5
	v_bfe_u32 v9, v5, 20, 11
	v_cndmask_b32_e64 v4, 0, 1, vcc
	v_sub_u32_e32 v10, 0x3f1, v9
	v_and_or_b32 v4, v7, s3, v4
	v_add_u32_e32 v9, 0xfffffc10, v9
	v_med3_i32 v7, v10, 0, 13
	v_or_b32_e32 v10, 0x1000, v4
	v_cmp_ne_u32_e32 vcc, 0, v4
	v_lshl_or_b32 v11, v9, 12, v4
	v_lshrrev_b32_e32 v5, 16, v5
	v_cndmask_b32_e32 v4, v1, v6, vcc
	v_lshrrev_b32_e32 v6, v7, v10
	v_lshlrev_b32_e32 v7, v7, v6
	v_cmp_ne_u32_e32 vcc, v7, v10
	s_mov_b64 s[2:3], 0
	s_nop 0
	v_cndmask_b32_e64 v7, 0, 1, vcc
	v_or_b32_e32 v6, v6, v7
	v_cmp_gt_i32_e32 vcc, 1, v9
	s_nop 1
	v_cndmask_b32_e32 v6, v11, v6, vcc
	v_and_b32_e32 v7, 7, v6
	v_cmp_lt_i32_e32 vcc, 5, v7
	v_lshrrev_b32_e32 v6, 2, v6
	s_nop 0
	v_cndmask_b32_e64 v10, 0, 1, vcc
	v_cmp_eq_u32_e32 vcc, 3, v7
	s_nop 1
	v_cndmask_b32_e64 v7, 0, 1, vcc
	v_or_b32_e32 v7, v7, v10
	v_add_u32_e32 v6, v6, v7
	v_cmp_gt_i32_e32 vcc, 31, v9
	s_nop 1
	v_cndmask_b32_e32 v1, v1, v6, vcc
	v_cmp_eq_u32_e32 vcc, s6, v9
	s_nop 1
	v_cndmask_b32_e32 v1, v1, v4, vcc
	v_and_or_b32 v1, v5, s7, v1
	s_branch .LBB529_230
.LBB529_226:
                                        ; implicit-def: $vgpr1
	s_branch .LBB529_248
.LBB529_227:
	s_mov_b64 s[2:3], -1
                                        ; implicit-def: $vgpr1
	s_branch .LBB529_236
.LBB529_228:
	s_mov_b64 s[2:3], -1
                                        ; implicit-def: $vgpr1
	s_branch .LBB529_233
.LBB529_229:
	s_mov_b64 s[2:3], -1
                                        ; implicit-def: $vgpr1
.LBB529_230:
	s_andn2_b64 vcc, exec, s[2:3]
	s_cbranch_vccnz .LBB529_232
; %bb.231:
	global_load_dword v1, v[2:3], off
	s_waitcnt vmcnt(0)
	v_cvt_f16_f32_e32 v1, v1
.LBB529_232:
	s_mov_b64 s[2:3], 0
.LBB529_233:
	s_andn2_b64 vcc, exec, s[2:3]
	s_cbranch_vccnz .LBB529_235
; %bb.234:
	global_load_dword v1, v[2:3], off
.LBB529_235:
	s_mov_b64 s[2:3], 0
.LBB529_236:
	s_andn2_b64 vcc, exec, s[2:3]
	s_cbranch_vccnz .LBB529_247
; %bb.237:
	s_cmp_lt_i32 s10, 6
	s_cbranch_scc1 .LBB529_240
; %bb.238:
	s_cmp_gt_i32 s10, 6
	s_cbranch_scc0 .LBB529_241
; %bb.239:
	global_load_dwordx2 v[4:5], v[2:3], off
	s_movk_i32 s2, 0x1ff
	s_movk_i32 s3, 0xffe
	s_waitcnt vmcnt(1)
	v_mov_b32_e32 v1, 0x7c00
	v_mov_b32_e32 v6, 0x7e00
	s_movk_i32 s6, 0x40f
	s_mov_b32 s7, 0x8000
	s_waitcnt vmcnt(0)
	v_and_or_b32 v4, v5, s2, v4
	v_cmp_ne_u32_e32 vcc, 0, v4
	v_lshrrev_b32_e32 v7, 8, v5
	v_bfe_u32 v9, v5, 20, 11
	v_cndmask_b32_e64 v4, 0, 1, vcc
	v_sub_u32_e32 v10, 0x3f1, v9
	v_and_or_b32 v4, v7, s3, v4
	v_add_u32_e32 v9, 0xfffffc10, v9
	v_med3_i32 v7, v10, 0, 13
	v_or_b32_e32 v10, 0x1000, v4
	v_cmp_ne_u32_e32 vcc, 0, v4
	v_lshl_or_b32 v11, v9, 12, v4
	v_lshrrev_b32_e32 v5, 16, v5
	v_cndmask_b32_e32 v4, v1, v6, vcc
	v_lshrrev_b32_e32 v6, v7, v10
	v_lshlrev_b32_e32 v7, v7, v6
	v_cmp_ne_u32_e32 vcc, v7, v10
	s_mov_b64 s[2:3], 0
	s_nop 0
	v_cndmask_b32_e64 v7, 0, 1, vcc
	v_or_b32_e32 v6, v6, v7
	v_cmp_gt_i32_e32 vcc, 1, v9
	s_nop 1
	v_cndmask_b32_e32 v6, v11, v6, vcc
	v_and_b32_e32 v7, 7, v6
	v_cmp_lt_i32_e32 vcc, 5, v7
	v_lshrrev_b32_e32 v6, 2, v6
	s_nop 0
	v_cndmask_b32_e64 v10, 0, 1, vcc
	v_cmp_eq_u32_e32 vcc, 3, v7
	s_nop 1
	v_cndmask_b32_e64 v7, 0, 1, vcc
	v_or_b32_e32 v7, v7, v10
	v_add_u32_e32 v6, v6, v7
	v_cmp_gt_i32_e32 vcc, 31, v9
	s_nop 1
	v_cndmask_b32_e32 v1, v1, v6, vcc
	v_cmp_eq_u32_e32 vcc, s6, v9
	s_nop 1
	v_cndmask_b32_e32 v1, v1, v4, vcc
	v_and_or_b32 v1, v5, s7, v1
	s_branch .LBB529_242
.LBB529_240:
	s_mov_b64 s[2:3], -1
                                        ; implicit-def: $vgpr1
	s_branch .LBB529_245
.LBB529_241:
	s_mov_b64 s[2:3], -1
                                        ; implicit-def: $vgpr1
.LBB529_242:
	s_andn2_b64 vcc, exec, s[2:3]
	s_cbranch_vccnz .LBB529_244
; %bb.243:
	global_load_dword v1, v[2:3], off
	s_waitcnt vmcnt(0)
	v_cvt_f16_f32_e32 v1, v1
.LBB529_244:
	s_mov_b64 s[2:3], 0
.LBB529_245:
	s_andn2_b64 vcc, exec, s[2:3]
	s_cbranch_vccnz .LBB529_247
; %bb.246:
	global_load_ushort v1, v[2:3], off
.LBB529_247:
	s_cbranch_execnz .LBB529_267
.LBB529_248:
	s_cmp_lt_i32 s10, 2
	s_cbranch_scc1 .LBB529_252
; %bb.249:
	s_cmp_lt_i32 s10, 3
	s_cbranch_scc1 .LBB529_253
; %bb.250:
	s_cmp_gt_i32 s10, 3
	s_cbranch_scc0 .LBB529_254
; %bb.251:
	global_load_dwordx2 v[4:5], v[2:3], off
	s_mov_b64 s[2:3], 0
	s_waitcnt vmcnt(0)
	v_xor_b32_e32 v6, v4, v5
	v_ffbh_i32_e32 v1, v5
	v_ashrrev_i32_e32 v6, 31, v6
	v_add_u32_e32 v1, -1, v1
	v_add_u32_e32 v6, 32, v6
	v_min_u32_e32 v1, v1, v6
	v_lshlrev_b64 v[4:5], v1, v[4:5]
	v_min_u32_e32 v4, 1, v4
	v_or_b32_e32 v4, v5, v4
	v_cvt_f32_i32_e32 v4, v4
	v_sub_u32_e32 v1, 32, v1
	v_ldexp_f32 v1, v4, v1
	v_cvt_f16_f32_e32 v1, v1
	s_branch .LBB529_255
.LBB529_252:
	s_mov_b64 s[2:3], -1
                                        ; implicit-def: $vgpr1
	s_branch .LBB529_261
.LBB529_253:
	s_mov_b64 s[2:3], -1
                                        ; implicit-def: $vgpr1
	s_branch .LBB529_258
.LBB529_254:
	s_mov_b64 s[2:3], -1
                                        ; implicit-def: $vgpr1
.LBB529_255:
	s_andn2_b64 vcc, exec, s[2:3]
	s_cbranch_vccnz .LBB529_257
; %bb.256:
	global_load_dword v1, v[2:3], off
	s_waitcnt vmcnt(0)
	v_cvt_f32_i32_e32 v1, v1
	v_cvt_f16_f32_e32 v1, v1
.LBB529_257:
	s_mov_b64 s[2:3], 0
.LBB529_258:
	s_andn2_b64 vcc, exec, s[2:3]
	s_cbranch_vccnz .LBB529_260
; %bb.259:
	global_load_ushort v1, v[2:3], off
	s_waitcnt vmcnt(0)
	v_cvt_f16_i16_e32 v1, v1
.LBB529_260:
	s_mov_b64 s[2:3], 0
.LBB529_261:
	s_andn2_b64 vcc, exec, s[2:3]
	s_cbranch_vccnz .LBB529_267
; %bb.262:
	s_cmp_gt_i32 s10, 0
	s_cbranch_scc0 .LBB529_264
; %bb.263:
	global_load_sbyte v1, v[2:3], off
	s_mov_b64 s[2:3], 0
	s_waitcnt vmcnt(0)
	v_cvt_f16_i16_e32 v1, v1
	s_branch .LBB529_265
.LBB529_264:
	s_mov_b64 s[2:3], -1
                                        ; implicit-def: $vgpr1
.LBB529_265:
	s_andn2_b64 vcc, exec, s[2:3]
	s_cbranch_vccnz .LBB529_267
; %bb.266:
	global_load_ubyte v1, v[2:3], off
	s_waitcnt vmcnt(0)
	v_cvt_f16_u16_e32 v1, v1
.LBB529_267:
	s_branch .LBB529_26
.LBB529_268:
	s_mov_b64 s[2:3], 0
.LBB529_269:
	s_mov_b64 s[6:7], 0
                                        ; implicit-def: $vgpr8
.LBB529_270:
	s_and_b64 s[56:57], s[2:3], exec
	s_and_b64 s[58:59], s[4:5], exec
	s_orn2_b64 s[4:5], s[6:7], exec
.LBB529_271:
	s_or_b64 exec, exec, s[60:61]
	s_mov_b64 s[8:9], 0
	s_mov_b64 s[2:3], 0
                                        ; implicit-def: $vgpr2_vgpr3
                                        ; implicit-def: $vgpr0
                                        ; implicit-def: $vgpr1
	s_and_saveexec_b64 s[60:61], s[4:5]
	s_cbranch_execz .LBB529_279
; %bb.272:
	v_cmp_gt_i32_e32 vcc, s72, v8
	s_mov_b64 s[2:3], -1
	s_mov_b64 s[62:63], s[58:59]
	s_mov_b64 s[64:65], s[56:57]
	s_and_saveexec_b64 s[66:67], vcc
	s_cbranch_execz .LBB529_552
; %bb.273:
	s_andn2_b64 vcc, exec, s[42:43]
	s_cbranch_vccnz .LBB529_282
; %bb.274:
	s_andn2_b64 vcc, exec, s[54:55]
	s_cbranch_vccnz .LBB529_283
; %bb.275:
	s_add_i32 s65, s78, 1
	s_cmp_eq_u32 s74, 2
	s_cbranch_scc1 .LBB529_284
; %bb.276:
	s_and_b32 s64, s65, 28
	s_mov_b32 s68, 0
	v_mov_b32_e32 v0, 0
	v_mov_b32_e32 v2, 0
	s_mov_b64 s[2:3], s[34:35]
	s_mov_b64 s[62:63], s[52:53]
	v_mov_b32_e32 v4, v8
.LBB529_277:                            ; =>This Inner Loop Header: Depth=1
	s_load_dwordx8 s[12:19], s[2:3], 0x4
	s_load_dwordx4 s[36:39], s[2:3], 0x24
	s_load_dwordx8 s[4:11], s[62:63], 0x0
	s_add_u32 s2, s2, 48
	s_addc_u32 s3, s3, 0
	s_waitcnt vmcnt(0) lgkmcnt(0)
	v_mul_hi_u32 v1, s13, v4
	v_add_u32_e32 v1, v4, v1
	v_lshrrev_b32_e32 v1, s14, v1
	v_mul_lo_u32 v3, v1, s12
	v_mul_hi_u32 v5, s16, v1
	v_sub_u32_e32 v3, v4, v3
	v_add_u32_e32 v4, v1, v5
	v_lshrrev_b32_e32 v4, s17, v4
	v_mul_lo_u32 v6, v4, s15
	v_mul_hi_u32 v7, s19, v4
	v_sub_u32_e32 v1, v1, v6
	v_add_u32_e32 v6, v4, v7
	v_mul_lo_u32 v5, v3, s5
	v_mul_lo_u32 v3, v3, s4
	v_mul_lo_u32 v7, v1, s7
	v_mul_lo_u32 v1, v1, s6
	v_lshrrev_b32_e32 v6, s36, v6
	v_add3_u32 v0, v3, v0, v1
	v_mul_hi_u32 v3, s38, v6
	v_add3_u32 v1, v5, v2, v7
	v_mul_lo_u32 v2, v6, s18
	v_add_u32_e32 v3, v6, v3
	v_sub_u32_e32 v2, v4, v2
	v_lshrrev_b32_e32 v4, s39, v3
	s_add_i32 s68, s68, 4
	v_mul_lo_u32 v3, v4, s37
	s_add_u32 s62, s62, 32
	v_sub_u32_e32 v3, v6, v3
	s_addc_u32 s63, s63, 0
	v_mul_lo_u32 v5, v2, s8
	v_mul_lo_u32 v2, v2, s9
	;; [unrolled: 1-line block ×4, first 2 shown]
	s_cmp_eq_u32 s64, s68
	v_add3_u32 v2, v2, v1, v3
	v_add3_u32 v0, v5, v0, v6
	s_cbranch_scc0 .LBB529_277
; %bb.278:
	v_mov_b32_e32 v1, v2
	s_branch .LBB529_285
.LBB529_279:
	s_or_b64 exec, exec, s[60:61]
	s_mov_b64 s[4:5], 0
	s_and_saveexec_b64 s[6:7], s[58:59]
	s_cbranch_execnz .LBB529_934
.LBB529_280:
	s_or_b64 exec, exec, s[6:7]
	s_and_saveexec_b64 s[6:7], s[64:65]
	s_xor_b64 s[6:7], exec, s[6:7]
	s_cbranch_execz .LBB529_935
.LBB529_281:
	global_load_ubyte v1, v[2:3], off
	v_mov_b32_e32 v4, 0x3c00
	s_or_b64 s[2:3], s[2:3], exec
	s_waitcnt vmcnt(0)
	v_cmp_ne_u16_e32 vcc, 0, v1
	s_nop 1
	v_cndmask_b32_e32 v1, 0, v4, vcc
	s_or_b64 exec, exec, s[6:7]
	s_and_saveexec_b64 s[6:7], s[8:9]
	s_cbranch_execz .LBB529_981
	s_branch .LBB529_936
.LBB529_282:
                                        ; implicit-def: $vgpr2
                                        ; implicit-def: $vgpr0
	s_andn2_b64 vcc, exec, s[2:3]
	s_cbranch_vccz .LBB529_289
	s_branch .LBB529_291
.LBB529_283:
	v_mov_b32_e32 v2, 0
	v_mov_b32_e32 v0, 0
	s_branch .LBB529_288
.LBB529_284:
	v_mov_b32_e32 v0, 0
	s_mov_b32 s64, 0
	s_waitcnt vmcnt(0)
	v_mov_b32_e32 v1, v0
                                        ; implicit-def: $vgpr2
	v_mov_b32_e32 v4, v8
.LBB529_285:
	s_and_b32 s6, s65, 3
	s_cmp_eq_u32 s6, 0
	s_cbranch_scc1 .LBB529_288
; %bb.286:
	s_lshl_b32 s2, s64, 3
	s_add_u32 s2, s34, s2
	s_addc_u32 s3, s35, 0
	s_add_u32 s2, s2, 0xc4
	s_addc_u32 s3, s3, 0
	s_mul_i32 s4, s64, 12
	s_add_u32 s4, s34, s4
	s_addc_u32 s5, s35, 0
.LBB529_287:                            ; =>This Inner Loop Header: Depth=1
	s_load_dwordx2 s[8:9], s[4:5], 0x4
	s_load_dword s7, s[4:5], 0xc
	s_load_dwordx2 s[10:11], s[2:3], 0x0
	v_mov_b32_e32 v2, v1
	s_add_u32 s4, s4, 12
	s_waitcnt lgkmcnt(0)
	v_mul_hi_u32 v1, s9, v4
	v_add_u32_e32 v1, v4, v1
	v_lshrrev_b32_e32 v1, s7, v1
	s_addc_u32 s5, s5, 0
	v_mul_lo_u32 v3, v1, s8
	s_add_u32 s2, s2, 8
	v_sub_u32_e32 v5, v4, v3
	s_addc_u32 s3, s3, 0
	s_add_i32 s6, s6, -1
	v_mov_b32_e32 v4, v1
	v_mad_u64_u32 v[2:3], s[8:9], v5, s11, v[2:3]
	v_mad_u64_u32 v[0:1], s[8:9], v5, s10, v[0:1]
	s_cmp_lg_u32 s6, 0
	v_mov_b32_e32 v1, v2
	s_cbranch_scc1 .LBB529_287
.LBB529_288:
	s_cbranch_execnz .LBB529_291
.LBB529_289:
	v_mul_hi_u32 v0, s25, v8
	v_add_u32_e32 v0, v8, v0
	s_waitcnt vmcnt(0)
	v_lshrrev_b32_e32 v1, s26, v0
	v_mul_lo_u32 v0, v1, s24
	v_sub_u32_e32 v0, v8, v0
	v_mul_lo_u32 v2, v0, s29
	s_andn2_b64 vcc, exec, s[50:51]
	v_mul_lo_u32 v0, v0, s28
	s_cbranch_vccnz .LBB529_291
; %bb.290:
	v_mul_hi_u32 v3, s48, v1
	v_add_u32_e32 v3, v1, v3
	v_lshrrev_b32_e32 v3, s49, v3
	v_mul_lo_u32 v3, v3, s27
	v_sub_u32_e32 v3, v1, v3
	v_mad_u64_u32 v[0:1], s[2:3], v3, s30, v[0:1]
	v_mad_u64_u32 v[2:3], s[2:3], v3, s31, v[2:3]
.LBB529_291:
	v_mov_b32_e32 v3, 0
	s_and_b32 s10, 0xffff, s77
	s_cmp_lt_i32 s10, 11
	v_lshl_add_u64 v[2:3], s[22:23], 0, v[2:3]
	s_cbranch_scc1 .LBB529_298
; %bb.292:
	s_cmp_gt_i32 s10, 25
	s_cbranch_scc0 .LBB529_311
; %bb.293:
	s_cmp_gt_i32 s10, 28
	s_cbranch_scc0 .LBB529_313
	;; [unrolled: 3-line block ×4, first 2 shown]
; %bb.296:
	s_cmp_eq_u32 s10, 46
	s_mov_b64 s[6:7], 0
	s_cbranch_scc0 .LBB529_323
; %bb.297:
	global_load_dword v1, v[2:3], off
	s_mov_b64 s[2:3], -1
	s_mov_b64 s[4:5], 0
	s_waitcnt vmcnt(0)
	v_lshlrev_b32_e32 v1, 16, v1
	v_cvt_f16_f32_e32 v1, v1
	s_branch .LBB529_324
.LBB529_298:
	s_mov_b64 s[2:3], 0
                                        ; implicit-def: $vgpr1
	s_mov_b64 s[4:5], s[58:59]
	s_cbranch_execnz .LBB529_501
.LBB529_299:
	s_andn2_b64 vcc, exec, s[2:3]
	s_cbranch_vccnz .LBB529_549
.LBB529_300:
	s_waitcnt vmcnt(0)
	v_cmp_o_f16_e32 vcc, v1, v1
	v_mov_b32_e32 v2, s46
	s_and_saveexec_b64 s[2:3], vcc
	s_cbranch_execz .LBB529_304
; %bb.301:
	s_movk_i32 s6, 0x7c00
	v_cmp_neq_f16_e32 vcc, s6, v1
	v_mov_b32_e32 v2, s76
	s_and_saveexec_b64 s[6:7], vcc
; %bb.302:
	s_mov_b32 s8, 0xfc00
	v_mov_b32_e32 v2, s47
	v_cmp_eq_f16_e32 vcc, s8, v1
	s_nop 1
	v_cndmask_b32_e32 v2, v1, v2, vcc
; %bb.303:
	s_or_b64 exec, exec, s[6:7]
.LBB529_304:
	s_or_b64 exec, exec, s[2:3]
	v_mov_b32_e32 v1, 0
	s_and_b32 s12, s75, 0xff
	s_cmp_lt_i32 s12, 11
	v_lshl_add_u64 v[0:1], s[20:21], 0, v[0:1]
	s_cbranch_scc1 .LBB529_312
; %bb.305:
	s_and_b32 s13, 0xffff, s12
	s_cmp_gt_i32 s13, 25
	s_cbranch_scc0 .LBB529_314
; %bb.306:
	s_cmp_gt_i32 s13, 28
	s_cbranch_scc0 .LBB529_316
; %bb.307:
	;; [unrolled: 3-line block ×4, first 2 shown]
	s_mov_b64 s[8:9], 0
	s_mov_b64 s[2:3], -1
	s_cmp_eq_u32 s13, 46
	s_mov_b64 s[6:7], 0
	s_cbranch_scc0 .LBB529_328
; %bb.310:
	v_cvt_f32_f16_e32 v3, v2
	s_movk_i32 s2, 0x7fff
	v_cmp_o_f16_e32 vcc, v2, v2
	v_mov_b32_e32 v4, 0x7fc0
	v_bfe_u32 v5, v3, 16, 1
	v_add3_u32 v3, v3, v5, s2
	v_cndmask_b32_sdwa v3, v4, v3, vcc dst_sel:DWORD dst_unused:UNUSED_PAD src0_sel:DWORD src1_sel:WORD_1
	global_store_dword v[0:1], v3, off
	s_mov_b64 s[6:7], -1
	s_mov_b64 s[2:3], 0
	s_branch .LBB529_328
.LBB529_311:
	s_mov_b64 s[6:7], -1
	s_mov_b64 s[2:3], 0
	s_mov_b64 s[4:5], s[58:59]
                                        ; implicit-def: $vgpr1
	s_branch .LBB529_465
.LBB529_312:
	s_mov_b64 s[8:9], -1
	s_mov_b64 s[6:7], 0
	s_mov_b64 s[2:3], s[56:57]
	s_branch .LBB529_397
.LBB529_313:
	s_mov_b64 s[6:7], -1
	s_mov_b64 s[2:3], 0
	s_mov_b64 s[4:5], s[58:59]
                                        ; implicit-def: $vgpr1
	s_branch .LBB529_446
.LBB529_314:
	s_mov_b64 s[8:9], -1
	s_mov_b64 s[6:7], 0
	s_mov_b64 s[2:3], s[56:57]
	s_branch .LBB529_355
.LBB529_315:
	s_mov_b64 s[6:7], -1
	s_mov_b64 s[2:3], 0
	s_mov_b64 s[4:5], s[58:59]
                                        ; implicit-def: $vgpr1
	s_branch .LBB529_441
.LBB529_316:
	s_mov_b64 s[8:9], -1
	s_mov_b64 s[6:7], 0
	s_mov_b64 s[2:3], s[56:57]
	s_branch .LBB529_338
.LBB529_317:
	s_andn2_saveexec_b64 s[10:11], s[10:11]
	s_cbranch_execz .LBB529_73
.LBB529_318:
	s_mov_b32 s14, 0x46000000
	v_add_f32_e64 v4, |v3|, s14
	v_and_b32_e32 v4, 0xff, v4
	v_cmp_ne_u32_e32 vcc, 0, v4
	s_andn2_b64 s[8:9], s[8:9], exec
	s_and_b64 s[14:15], vcc, exec
	s_or_b64 s[8:9], s[8:9], s[14:15]
	s_or_b64 exec, exec, s[10:11]
	v_mov_b32_e32 v5, 0
	s_and_saveexec_b64 s[10:11], s[8:9]
	s_cbranch_execnz .LBB529_74
	s_branch .LBB529_75
.LBB529_319:
	s_mov_b64 s[6:7], -1
	s_mov_b64 s[2:3], 0
	s_mov_b64 s[4:5], s[58:59]
                                        ; implicit-def: $vgpr1
	s_branch .LBB529_324
.LBB529_320:
	s_mov_b64 s[8:9], -1
	s_mov_b64 s[6:7], 0
	s_mov_b64 s[2:3], s[56:57]
	s_branch .LBB529_334
.LBB529_321:
	s_andn2_saveexec_b64 s[10:11], s[10:11]
	s_cbranch_execz .LBB529_86
.LBB529_322:
	s_mov_b32 s14, 0x42800000
	v_add_f32_e64 v4, |v3|, s14
	v_and_b32_e32 v4, 0xff, v4
	v_cmp_ne_u32_e32 vcc, 0, v4
	s_andn2_b64 s[8:9], s[8:9], exec
	s_and_b64 s[14:15], vcc, exec
	s_or_b64 s[8:9], s[8:9], s[14:15]
	s_or_b64 exec, exec, s[10:11]
	v_mov_b32_e32 v5, 0
	s_and_saveexec_b64 s[10:11], s[8:9]
	s_cbranch_execnz .LBB529_87
	s_branch .LBB529_88
.LBB529_323:
	s_mov_b64 s[4:5], -1
                                        ; implicit-def: $vgpr1
	s_mov_b64 s[2:3], 0
.LBB529_324:
	s_and_b64 vcc, exec, s[6:7]
	s_cbranch_vccz .LBB529_440
; %bb.325:
	s_cmp_eq_u32 s10, 44
	s_cbranch_scc0 .LBB529_439
; %bb.326:
	global_load_ubyte v1, v[2:3], off
	s_movk_i32 s4, 0xff
	v_mov_b32_e32 v5, 0x7e00
	s_mov_b64 s[2:3], -1
	s_waitcnt vmcnt(0)
	v_lshlrev_b32_e32 v4, 23, v1
	v_cvt_f16_f32_e32 v4, v4
	v_cmp_ne_u32_e32 vcc, s4, v1
	s_mov_b64 s[4:5], 0
	s_nop 0
	v_cndmask_b32_e32 v4, v5, v4, vcc
	v_cmp_ne_u32_e32 vcc, 0, v1
	s_nop 1
	v_cndmask_b32_e32 v1, 0, v4, vcc
	s_branch .LBB529_440
.LBB529_327:
	s_mov_b64 s[8:9], -1
	s_mov_b64 s[6:7], 0
	s_mov_b64 s[2:3], s[56:57]
.LBB529_328:
	s_and_b64 vcc, exec, s[8:9]
	s_cbranch_vccz .LBB529_333
; %bb.329:
	s_cmp_eq_u32 s13, 44
	s_mov_b64 s[2:3], -1
	s_cbranch_scc0 .LBB529_333
; %bb.330:
	v_cvt_f32_f16_e32 v3, v2
	s_movk_i32 s2, 0xff
	v_mov_b32_e32 v5, 0xff
	v_bfe_u32 v4, v3, 23, 8
	v_cmp_ne_u32_e32 vcc, s2, v4
	s_and_saveexec_b64 s[6:7], vcc
; %bb.331:
	s_mov_b32 s2, 0x3fffff
	v_lshrrev_b32_e32 v5, 23, v3
	v_and_b32_e32 v6, 0x400000, v3
	v_and_or_b32 v3, v3, s2, v4
	v_cmp_ne_u32_e32 vcc, 0, v6
	v_cmp_ne_u32_e64 s[2:3], 0, v3
	s_and_b64 s[2:3], vcc, s[2:3]
	s_nop 0
	v_cndmask_b32_e64 v3, 0, 1, s[2:3]
	v_add_u32_e32 v5, v5, v3
; %bb.332:
	s_or_b64 exec, exec, s[6:7]
	s_mov_b64 s[6:7], -1
	s_mov_b64 s[2:3], 0
	global_store_byte v[0:1], v5, off
.LBB529_333:
	s_mov_b64 s[8:9], 0
.LBB529_334:
	s_and_b64 vcc, exec, s[8:9]
	s_cbranch_vccz .LBB529_337
; %bb.335:
	s_cmp_eq_u32 s13, 29
	s_mov_b64 s[2:3], -1
	s_cbranch_scc0 .LBB529_337
; %bb.336:
	v_cvt_f32_f16_e32 v3, v2
	v_mov_b32_e32 v5, 0
	s_mov_b64 s[6:7], -1
	s_mov_b64 s[2:3], 0
	v_cvt_u32_f32_e32 v4, v3
	s_mov_b64 s[8:9], 0
	global_store_dwordx2 v[0:1], v[4:5], off
	s_branch .LBB529_338
.LBB529_337:
	s_mov_b64 s[8:9], 0
.LBB529_338:
	s_and_b64 vcc, exec, s[8:9]
	s_cbranch_vccz .LBB529_354
; %bb.339:
	s_cmp_lt_i32 s13, 27
	s_mov_b64 s[6:7], -1
	s_cbranch_scc1 .LBB529_345
; %bb.340:
	s_cmp_gt_i32 s13, 27
	s_cbranch_scc0 .LBB529_342
; %bb.341:
	v_cvt_f32_f16_e32 v3, v2
	s_mov_b64 s[6:7], 0
	v_cvt_u32_f32_e32 v3, v3
	global_store_dword v[0:1], v3, off
.LBB529_342:
	s_andn2_b64 vcc, exec, s[6:7]
	s_cbranch_vccnz .LBB529_344
; %bb.343:
	v_cvt_u16_f16_e32 v3, v2
	global_store_short v[0:1], v3, off
.LBB529_344:
	s_mov_b64 s[6:7], 0
.LBB529_345:
	s_andn2_b64 vcc, exec, s[6:7]
	s_cbranch_vccnz .LBB529_353
; %bb.346:
	v_cvt_f32_f16_e32 v3, v2
	s_mov_b32 s6, 0x43800000
	v_mov_b32_e32 v5, 0x80
	v_and_b32_e32 v4, 0x7fffffff, v3
	v_cmp_gt_u32_e32 vcc, s6, v4
	s_and_saveexec_b64 s[6:7], vcc
	s_cbranch_execz .LBB529_352
; %bb.347:
	s_mov_b32 s8, 0x3bffffff
	v_cmp_lt_u32_e32 vcc, s8, v4
	s_mov_b64 s[8:9], 0
                                        ; implicit-def: $vgpr4
	s_and_saveexec_b64 s[10:11], vcc
	s_xor_b64 s[10:11], exec, s[10:11]
	s_cbranch_execz .LBB529_581
; %bb.348:
	v_bfe_u32 v4, v3, 20, 1
	s_mov_b32 s14, 0x487ffff
	v_add3_u32 v4, v3, v4, s14
	s_mov_b64 s[8:9], exec
	v_lshrrev_b32_e32 v4, 20, v4
	s_andn2_saveexec_b64 s[10:11], s[10:11]
	s_cbranch_execnz .LBB529_582
.LBB529_349:
	s_or_b64 exec, exec, s[10:11]
	v_mov_b32_e32 v5, 0
	s_and_saveexec_b64 s[10:11], s[8:9]
.LBB529_350:
	v_lshrrev_b32_e32 v3, 24, v3
	s_movk_i32 s8, 0x80
	v_and_or_b32 v5, v3, s8, v4
.LBB529_351:
	s_or_b64 exec, exec, s[10:11]
.LBB529_352:
	s_or_b64 exec, exec, s[6:7]
	global_store_byte v[0:1], v5, off
.LBB529_353:
	s_mov_b64 s[6:7], -1
.LBB529_354:
	s_mov_b64 s[8:9], 0
.LBB529_355:
	s_and_b64 vcc, exec, s[8:9]
	s_cbranch_vccz .LBB529_396
; %bb.356:
	s_cmp_gt_i32 s13, 22
	s_mov_b64 s[8:9], -1
	s_cbranch_scc0 .LBB529_388
; %bb.357:
	s_cmp_lt_i32 s13, 24
	s_mov_b64 s[6:7], -1
	s_cbranch_scc1 .LBB529_377
; %bb.358:
	s_cmp_gt_i32 s13, 24
	s_cbranch_scc0 .LBB529_366
; %bb.359:
	v_cvt_f32_f16_e32 v3, v2
	s_mov_b32 s6, 0x47800000
	v_mov_b32_e32 v5, 0x80
	v_and_b32_e32 v4, 0x7fffffff, v3
	v_cmp_gt_u32_e32 vcc, s6, v4
	s_and_saveexec_b64 s[6:7], vcc
	s_cbranch_execz .LBB529_365
; %bb.360:
	s_mov_b32 s8, 0x37ffffff
	v_cmp_lt_u32_e32 vcc, s8, v4
	s_mov_b64 s[8:9], 0
                                        ; implicit-def: $vgpr4
	s_and_saveexec_b64 s[10:11], vcc
	s_xor_b64 s[10:11], exec, s[10:11]
	s_cbranch_execz .LBB529_584
; %bb.361:
	v_bfe_u32 v4, v3, 21, 1
	s_mov_b32 s14, 0x88fffff
	v_add3_u32 v4, v3, v4, s14
	s_mov_b64 s[8:9], exec
	v_lshrrev_b32_e32 v4, 21, v4
	s_andn2_saveexec_b64 s[10:11], s[10:11]
	s_cbranch_execnz .LBB529_585
.LBB529_362:
	s_or_b64 exec, exec, s[10:11]
	v_mov_b32_e32 v5, 0
	s_and_saveexec_b64 s[10:11], s[8:9]
.LBB529_363:
	v_lshrrev_b32_e32 v3, 24, v3
	s_movk_i32 s8, 0x80
	v_and_or_b32 v5, v3, s8, v4
.LBB529_364:
	s_or_b64 exec, exec, s[10:11]
.LBB529_365:
	s_or_b64 exec, exec, s[6:7]
	s_mov_b64 s[6:7], 0
	global_store_byte v[0:1], v5, off
.LBB529_366:
	s_and_b64 vcc, exec, s[6:7]
	s_cbranch_vccz .LBB529_376
; %bb.367:
	v_cvt_f32_f16_e32 v3, v2
	s_mov_b32 s6, 0x43f00000
                                        ; implicit-def: $vgpr4
	v_and_b32_e32 v5, 0x7fffffff, v3
	v_cmp_gt_u32_e32 vcc, s6, v5
	s_and_saveexec_b64 s[6:7], vcc
	s_xor_b64 s[6:7], exec, s[6:7]
	s_cbranch_execz .LBB529_373
; %bb.368:
	s_mov_b32 s8, 0x3c7fffff
	v_cmp_lt_u32_e32 vcc, s8, v5
                                        ; implicit-def: $vgpr4
	s_and_saveexec_b64 s[8:9], vcc
	s_xor_b64 s[8:9], exec, s[8:9]
; %bb.369:
	v_bfe_u32 v4, v3, 20, 1
	s_mov_b32 s10, 0x407ffff
	v_add3_u32 v4, v3, v4, s10
	v_lshrrev_b32_e32 v5, 20, v4
	v_and_b32_e32 v4, 0xff00000, v4
	s_mov_b32 s10, 0x7f00000
	v_mov_b32_e32 v6, 0x7e
	v_cmp_ne_u32_e32 vcc, s10, v4
	s_nop 1
	v_cndmask_b32_e32 v4, v6, v5, vcc
; %bb.370:
	s_andn2_saveexec_b64 s[8:9], s[8:9]
; %bb.371:
	s_mov_b32 s10, 0x46800000
	v_add_f32_e64 v4, |v3|, s10
; %bb.372:
	s_or_b64 exec, exec, s[8:9]
                                        ; implicit-def: $vgpr5
.LBB529_373:
	s_andn2_saveexec_b64 s[6:7], s[6:7]
; %bb.374:
	s_mov_b32 s8, 0x7f800000
	v_mov_b32_e32 v4, 0x7e
	v_mov_b32_e32 v6, 0x7f
	v_cmp_lt_u32_e32 vcc, s8, v5
	s_nop 1
	v_cndmask_b32_e32 v4, v4, v6, vcc
; %bb.375:
	s_or_b64 exec, exec, s[6:7]
	v_lshrrev_b32_e32 v3, 24, v3
	s_movk_i32 s6, 0x80
	v_and_or_b32 v3, v3, s6, v4
	global_store_byte v[0:1], v3, off
.LBB529_376:
	s_mov_b64 s[6:7], 0
.LBB529_377:
	s_andn2_b64 vcc, exec, s[6:7]
	s_cbranch_vccnz .LBB529_387
; %bb.378:
	v_cvt_f32_f16_e32 v3, v2
	s_mov_b32 s6, 0x47800000
                                        ; implicit-def: $vgpr4
	v_and_b32_e32 v5, 0x7fffffff, v3
	v_cmp_gt_u32_e32 vcc, s6, v5
	s_and_saveexec_b64 s[6:7], vcc
	s_xor_b64 s[6:7], exec, s[6:7]
	s_cbranch_execz .LBB529_384
; %bb.379:
	s_mov_b32 s8, 0x387fffff
	v_cmp_lt_u32_e32 vcc, s8, v5
                                        ; implicit-def: $vgpr4
	s_and_saveexec_b64 s[8:9], vcc
	s_xor_b64 s[8:9], exec, s[8:9]
; %bb.380:
	v_bfe_u32 v4, v3, 21, 1
	s_mov_b32 s10, 0x80fffff
	v_add3_u32 v4, v3, v4, s10
	v_lshrrev_b32_e32 v4, 21, v4
; %bb.381:
	s_andn2_saveexec_b64 s[8:9], s[8:9]
; %bb.382:
	s_mov_b32 s10, 0x43000000
	v_add_f32_e64 v4, |v3|, s10
; %bb.383:
	s_or_b64 exec, exec, s[8:9]
                                        ; implicit-def: $vgpr5
.LBB529_384:
	s_andn2_saveexec_b64 s[6:7], s[6:7]
; %bb.385:
	s_mov_b32 s8, 0x7f800000
	v_mov_b32_e32 v4, 0x7c
	v_mov_b32_e32 v6, 0x7f
	v_cmp_lt_u32_e32 vcc, s8, v5
	s_nop 1
	v_cndmask_b32_e32 v4, v4, v6, vcc
; %bb.386:
	s_or_b64 exec, exec, s[6:7]
	v_lshrrev_b32_e32 v3, 24, v3
	s_movk_i32 s6, 0x80
	v_and_or_b32 v3, v3, s6, v4
	global_store_byte v[0:1], v3, off
.LBB529_387:
	s_mov_b64 s[8:9], 0
	s_mov_b64 s[6:7], -1
.LBB529_388:
	s_andn2_b64 vcc, exec, s[8:9]
	s_cbranch_vccnz .LBB529_396
; %bb.389:
	s_cmp_gt_i32 s13, 14
	s_mov_b64 s[8:9], -1
	s_cbranch_scc0 .LBB529_393
; %bb.390:
	s_cmp_eq_u32 s13, 15
	s_mov_b64 s[2:3], -1
	s_cbranch_scc0 .LBB529_392
; %bb.391:
	v_cvt_f32_f16_e32 v3, v2
	s_movk_i32 s2, 0x7fff
	v_cmp_o_f16_e32 vcc, v2, v2
	v_mov_b32_e32 v4, 0x7fc0
	v_bfe_u32 v5, v3, 16, 1
	v_add3_u32 v3, v3, v5, s2
	v_cndmask_b32_sdwa v3, v4, v3, vcc dst_sel:DWORD dst_unused:UNUSED_PAD src0_sel:DWORD src1_sel:WORD_1
	global_store_short v[0:1], v3, off
	s_mov_b64 s[6:7], -1
	s_mov_b64 s[2:3], 0
.LBB529_392:
	s_mov_b64 s[8:9], 0
.LBB529_393:
	s_and_b64 vcc, exec, s[8:9]
	s_cbranch_vccz .LBB529_396
; %bb.394:
	s_cmp_eq_u32 s13, 11
	s_mov_b64 s[2:3], -1
	s_cbranch_scc0 .LBB529_396
; %bb.395:
	v_and_b32_e32 v3, 0x7fff, v2
	v_cmp_ne_u16_e32 vcc, 0, v3
	s_mov_b64 s[6:7], -1
	s_mov_b64 s[2:3], 0
	v_cndmask_b32_e64 v3, 0, 1, vcc
	global_store_byte v[0:1], v3, off
.LBB529_396:
	s_mov_b64 s[8:9], 0
.LBB529_397:
	s_and_b64 vcc, exec, s[8:9]
	s_cbranch_vccz .LBB529_436
; %bb.398:
	s_and_b32 s8, 0xffff, s12
	s_cmp_lt_i32 s8, 5
	s_mov_b64 s[6:7], -1
	s_cbranch_scc1 .LBB529_419
; %bb.399:
	s_cmp_lt_i32 s8, 8
	s_cbranch_scc1 .LBB529_409
; %bb.400:
	s_cmp_lt_i32 s8, 9
	s_cbranch_scc1 .LBB529_406
; %bb.401:
	s_cmp_gt_i32 s8, 9
	s_cbranch_scc0 .LBB529_403
; %bb.402:
	v_cvt_f32_f16_e32 v3, v2
	v_mov_b32_e32 v6, 0
	v_mov_b32_e32 v7, v6
	s_mov_b64 s[6:7], 0
	v_cvt_f64_f32_e32 v[4:5], v3
	global_store_dwordx4 v[0:1], v[4:7], off
.LBB529_403:
	s_andn2_b64 vcc, exec, s[6:7]
	s_cbranch_vccnz .LBB529_405
; %bb.404:
	v_cvt_f32_f16_e32 v4, v2
	v_mov_b32_e32 v5, 0
	global_store_dwordx2 v[0:1], v[4:5], off
.LBB529_405:
	s_mov_b64 s[6:7], 0
.LBB529_406:
	s_andn2_b64 vcc, exec, s[6:7]
	s_cbranch_vccnz .LBB529_408
; %bb.407:
	v_and_b32_e32 v3, 0xffff, v2
	global_store_dword v[0:1], v3, off
.LBB529_408:
	s_mov_b64 s[6:7], 0
.LBB529_409:
	s_andn2_b64 vcc, exec, s[6:7]
	s_cbranch_vccnz .LBB529_418
; %bb.410:
	s_cmp_lt_i32 s8, 6
	s_mov_b64 s[6:7], -1
	s_cbranch_scc1 .LBB529_416
; %bb.411:
	s_cmp_gt_i32 s8, 6
	s_cbranch_scc0 .LBB529_413
; %bb.412:
	v_cvt_f32_f16_e32 v3, v2
	s_mov_b64 s[6:7], 0
	v_cvt_f64_f32_e32 v[4:5], v3
	global_store_dwordx2 v[0:1], v[4:5], off
.LBB529_413:
	s_andn2_b64 vcc, exec, s[6:7]
	s_cbranch_vccnz .LBB529_415
; %bb.414:
	v_cvt_f32_f16_e32 v3, v2
	global_store_dword v[0:1], v3, off
.LBB529_415:
	s_mov_b64 s[6:7], 0
.LBB529_416:
	s_andn2_b64 vcc, exec, s[6:7]
	s_cbranch_vccnz .LBB529_418
; %bb.417:
	global_store_short v[0:1], v2, off
.LBB529_418:
	s_mov_b64 s[6:7], 0
.LBB529_419:
	s_andn2_b64 vcc, exec, s[6:7]
	s_cbranch_vccnz .LBB529_435
; %bb.420:
	s_cmp_lt_i32 s8, 2
	s_mov_b64 s[6:7], -1
	s_cbranch_scc1 .LBB529_430
; %bb.421:
	s_cmp_lt_i32 s8, 3
	s_cbranch_scc1 .LBB529_427
; %bb.422:
	s_cmp_gt_i32 s8, 3
	s_cbranch_scc0 .LBB529_424
; %bb.423:
	v_cvt_f32_f16_e32 v3, v2
	s_mov_b64 s[6:7], 0
	v_cvt_i32_f32_e32 v4, v3
	v_ashrrev_i32_e32 v5, 31, v4
	global_store_dwordx2 v[0:1], v[4:5], off
.LBB529_424:
	s_andn2_b64 vcc, exec, s[6:7]
	s_cbranch_vccnz .LBB529_426
; %bb.425:
	v_cvt_f32_f16_e32 v3, v2
	v_cvt_i32_f32_e32 v3, v3
	global_store_dword v[0:1], v3, off
.LBB529_426:
	s_mov_b64 s[6:7], 0
.LBB529_427:
	s_andn2_b64 vcc, exec, s[6:7]
	s_cbranch_vccnz .LBB529_429
; %bb.428:
	v_cvt_i16_f16_e32 v3, v2
	global_store_short v[0:1], v3, off
.LBB529_429:
	s_mov_b64 s[6:7], 0
.LBB529_430:
	s_andn2_b64 vcc, exec, s[6:7]
	s_cbranch_vccnz .LBB529_435
; %bb.431:
	s_cmp_gt_i32 s8, 0
	s_mov_b64 s[6:7], -1
	s_cbranch_scc0 .LBB529_433
; %bb.432:
	v_cvt_i16_f16_e32 v3, v2
	s_mov_b64 s[6:7], 0
	global_store_byte v[0:1], v3, off
.LBB529_433:
	s_andn2_b64 vcc, exec, s[6:7]
	s_cbranch_vccnz .LBB529_435
; %bb.434:
	v_cvt_f32_f16_e32 v2, v2
	v_cvt_i32_f32_e32 v2, v2
	global_store_byte v[0:1], v2, off
.LBB529_435:
	s_mov_b64 s[6:7], -1
.LBB529_436:
	s_andn2_b64 vcc, exec, s[6:7]
	s_cbranch_vccnz .LBB529_438
; %bb.437:
	v_add_u32_e32 v8, 0x80, v8
	s_mov_b64 s[6:7], -1
	s_branch .LBB529_551
.LBB529_438:
	s_mov_b64 s[6:7], 0
	s_branch .LBB529_550
.LBB529_439:
	s_mov_b64 s[4:5], -1
                                        ; implicit-def: $vgpr1
.LBB529_440:
	s_mov_b64 s[6:7], 0
.LBB529_441:
	s_and_b64 vcc, exec, s[6:7]
	s_cbranch_vccz .LBB529_445
; %bb.442:
	s_cmp_eq_u32 s10, 29
	s_cbranch_scc0 .LBB529_444
; %bb.443:
	global_load_dwordx2 v[4:5], v[2:3], off
	s_mov_b64 s[2:3], -1
	s_mov_b64 s[4:5], 0
	s_mov_b64 s[6:7], 0
	s_waitcnt vmcnt(0)
	v_ffbh_u32_e32 v1, v5
	v_min_u32_e32 v1, 32, v1
	v_lshlrev_b64 v[4:5], v1, v[4:5]
	v_min_u32_e32 v4, 1, v4
	v_or_b32_e32 v4, v5, v4
	v_cvt_f32_u32_e32 v4, v4
	v_sub_u32_e32 v1, 32, v1
	v_ldexp_f32 v1, v4, v1
	v_cvt_f16_f32_e32 v1, v1
	s_branch .LBB529_446
.LBB529_444:
	s_mov_b64 s[4:5], -1
                                        ; implicit-def: $vgpr1
.LBB529_445:
	s_mov_b64 s[6:7], 0
.LBB529_446:
	s_and_b64 vcc, exec, s[6:7]
	s_cbranch_vccz .LBB529_464
; %bb.447:
	s_cmp_lt_i32 s10, 27
	s_cbranch_scc1 .LBB529_450
; %bb.448:
	s_cmp_gt_i32 s10, 27
	s_cbranch_scc0 .LBB529_451
; %bb.449:
	global_load_dword v1, v[2:3], off
	s_mov_b64 s[2:3], 0
	s_waitcnt vmcnt(0)
	v_cvt_f32_u32_e32 v1, v1
	v_cvt_f16_f32_e32 v1, v1
	s_branch .LBB529_452
.LBB529_450:
	s_mov_b64 s[2:3], -1
                                        ; implicit-def: $vgpr1
	s_branch .LBB529_455
.LBB529_451:
	s_mov_b64 s[2:3], -1
                                        ; implicit-def: $vgpr1
.LBB529_452:
	s_andn2_b64 vcc, exec, s[2:3]
	s_cbranch_vccnz .LBB529_454
; %bb.453:
	global_load_ushort v1, v[2:3], off
	s_waitcnt vmcnt(0)
	v_cvt_f16_u16_e32 v1, v1
.LBB529_454:
	s_mov_b64 s[2:3], 0
.LBB529_455:
	s_andn2_b64 vcc, exec, s[2:3]
	s_cbranch_vccnz .LBB529_463
; %bb.456:
	global_load_ubyte v4, v[2:3], off
	s_movk_i32 s2, 0x7f
	s_waitcnt vmcnt(0)
	v_cmp_lt_i16_e32 vcc, s2, v4
	s_mov_b64 s[2:3], 0
	s_and_saveexec_b64 s[6:7], vcc
	s_xor_b64 s[6:7], exec, s[6:7]
	s_cbranch_execz .LBB529_477
; %bb.457:
	s_movk_i32 s2, 0x80
	v_cmp_eq_u16_e32 vcc, s2, v4
	s_mov_b64 s[2:3], -1
	s_and_saveexec_b64 s[8:9], vcc
; %bb.458:
	s_xor_b64 s[2:3], exec, -1
; %bb.459:
	s_or_b64 exec, exec, s[8:9]
	s_and_b64 s[2:3], s[2:3], exec
	s_or_saveexec_b64 s[6:7], s[6:7]
	v_mov_b32_e32 v1, 0x7e00
	s_xor_b64 exec, exec, s[6:7]
	s_cbranch_execnz .LBB529_478
.LBB529_460:
	s_or_b64 exec, exec, s[6:7]
	s_and_saveexec_b64 s[6:7], s[2:3]
	s_cbranch_execz .LBB529_462
.LBB529_461:
	v_lshlrev_b32_e32 v1, 24, v4
	v_and_b32_e32 v4, 0xffff, v4
	v_and_b32_e32 v5, 7, v4
	v_ffbh_u32_e32 v7, v5
	v_min_u32_e32 v7, 32, v7
	v_subrev_u32_e32 v9, 28, v7
	v_bfe_u32 v6, v4, 3, 4
	v_lshlrev_b32_e32 v4, v9, v4
	v_sub_u32_e32 v7, 29, v7
	v_and_b32_e32 v4, 7, v4
	v_cmp_eq_u32_e32 vcc, 0, v6
	v_and_b32_e32 v1, 0x80000000, v1
	s_nop 0
	v_cndmask_b32_e32 v6, v6, v7, vcc
	v_cndmask_b32_e32 v4, v5, v4, vcc
	v_mov_b32_e32 v5, 0x3b800000
	v_lshlrev_b32_e32 v4, 20, v4
	v_lshl_add_u32 v5, v6, 23, v5
	v_or3_b32 v1, v1, v5, v4
	v_cvt_f16_f32_e32 v1, v1
.LBB529_462:
	s_or_b64 exec, exec, s[6:7]
.LBB529_463:
	s_mov_b64 s[2:3], -1
.LBB529_464:
	s_mov_b64 s[6:7], 0
.LBB529_465:
	s_and_b64 vcc, exec, s[6:7]
	s_cbranch_vccz .LBB529_500
; %bb.466:
	s_cmp_gt_i32 s10, 22
	s_cbranch_scc0 .LBB529_476
; %bb.467:
	s_cmp_lt_i32 s10, 24
	s_cbranch_scc1 .LBB529_479
; %bb.468:
	s_cmp_gt_i32 s10, 24
	s_cbranch_scc0 .LBB529_480
; %bb.469:
	global_load_ubyte v4, v[2:3], off
	s_movk_i32 s2, 0x7f
	s_waitcnt vmcnt(0)
	v_cmp_lt_i16_e32 vcc, s2, v4
	s_mov_b64 s[2:3], 0
	s_and_saveexec_b64 s[6:7], vcc
	s_xor_b64 s[6:7], exec, s[6:7]
	s_cbranch_execz .LBB529_492
; %bb.470:
	s_movk_i32 s2, 0x80
	v_cmp_eq_u16_e32 vcc, s2, v4
	s_mov_b64 s[2:3], -1
	s_and_saveexec_b64 s[8:9], vcc
; %bb.471:
	s_xor_b64 s[2:3], exec, -1
; %bb.472:
	s_or_b64 exec, exec, s[8:9]
	s_and_b64 s[2:3], s[2:3], exec
	s_or_saveexec_b64 s[6:7], s[6:7]
	v_mov_b32_e32 v1, 0x7e00
	s_xor_b64 exec, exec, s[6:7]
	s_cbranch_execnz .LBB529_493
.LBB529_473:
	s_or_b64 exec, exec, s[6:7]
	s_and_saveexec_b64 s[6:7], s[2:3]
	s_cbranch_execz .LBB529_475
.LBB529_474:
	v_lshlrev_b32_e32 v1, 24, v4
	v_and_b32_e32 v4, 0xffff, v4
	v_and_b32_e32 v5, 3, v4
	v_ffbh_u32_e32 v7, v5
	v_min_u32_e32 v7, 32, v7
	v_subrev_u32_e32 v9, 29, v7
	v_bfe_u32 v6, v4, 2, 5
	v_lshlrev_b32_e32 v4, v9, v4
	v_sub_u32_e32 v7, 30, v7
	v_and_b32_e32 v4, 3, v4
	v_cmp_eq_u32_e32 vcc, 0, v6
	v_and_b32_e32 v1, 0x80000000, v1
	s_nop 0
	v_cndmask_b32_e32 v6, v6, v7, vcc
	v_cndmask_b32_e32 v4, v5, v4, vcc
	v_mov_b32_e32 v5, 0x37800000
	v_lshlrev_b32_e32 v4, 21, v4
	v_lshl_add_u32 v5, v6, 23, v5
	v_or3_b32 v1, v1, v5, v4
	v_cvt_f16_f32_e32 v1, v1
.LBB529_475:
	s_or_b64 exec, exec, s[6:7]
	s_mov_b64 s[2:3], 0
	s_branch .LBB529_481
.LBB529_476:
	s_mov_b64 s[6:7], -1
                                        ; implicit-def: $vgpr1
	s_branch .LBB529_487
.LBB529_477:
	s_or_saveexec_b64 s[6:7], s[6:7]
	v_mov_b32_e32 v1, 0x7e00
	s_xor_b64 exec, exec, s[6:7]
	s_cbranch_execz .LBB529_460
.LBB529_478:
	v_cmp_ne_u16_e32 vcc, 0, v4
	s_andn2_b64 s[2:3], s[2:3], exec
	s_and_b64 s[8:9], vcc, exec
	s_or_b64 s[2:3], s[2:3], s[8:9]
	v_mov_b32_e32 v1, v4
	s_or_b64 exec, exec, s[6:7]
	s_and_saveexec_b64 s[6:7], s[2:3]
	s_cbranch_execnz .LBB529_461
	s_branch .LBB529_462
.LBB529_479:
	s_mov_b64 s[2:3], -1
                                        ; implicit-def: $vgpr1
	s_branch .LBB529_484
.LBB529_480:
	s_mov_b64 s[2:3], -1
                                        ; implicit-def: $vgpr1
.LBB529_481:
	s_and_b64 vcc, exec, s[2:3]
	s_cbranch_vccz .LBB529_483
; %bb.482:
	global_load_ubyte v1, v[2:3], off
	s_mov_b32 s2, 0x7f800000
	s_waitcnt vmcnt(0)
	v_lshlrev_b32_e32 v1, 24, v1
	v_and_b32_e32 v4, 0x7f000000, v1
	v_ffbh_u32_e32 v5, v4
	v_min_u32_e32 v5, 32, v5
	v_sub_u32_e64 v5, v5, 4 clamp
	v_lshlrev_b32_e32 v7, v5, v4
	v_lshlrev_b32_e32 v5, 23, v5
	v_lshrrev_b32_e32 v7, 4, v7
	v_add_u32_e32 v6, 0x1000000, v4
	v_sub_u32_e32 v5, v7, v5
	v_ashrrev_i32_e32 v6, 8, v6
	v_add_u32_e32 v5, 0x3c000000, v5
	v_and_or_b32 v5, v6, s2, v5
	v_cmp_ne_u32_e32 vcc, 0, v4
	s_brev_b32 s2, 1
	s_nop 0
	v_cndmask_b32_e32 v4, 0, v5, vcc
	v_and_or_b32 v1, v1, s2, v4
	v_cvt_f16_f32_e32 v1, v1
.LBB529_483:
	s_mov_b64 s[2:3], 0
.LBB529_484:
	s_andn2_b64 vcc, exec, s[2:3]
	s_cbranch_vccnz .LBB529_486
; %bb.485:
	global_load_ubyte v1, v[2:3], off
	s_movk_i32 s2, 0x7f00
	s_brev_b32 s3, 16
	s_waitcnt vmcnt(0)
	v_lshlrev_b16_e32 v4, 8, v1
	v_lshlrev_b32_e32 v1, 25, v1
	v_lshrrev_b32_e32 v5, 4, v1
	v_and_or_b32 v6, v4, s2, 0.5
	v_or_b32_e32 v5, 0x70000000, v5
	v_add_f32_e32 v6, -0.5, v6
	v_mul_f32_e32 v5, 0x7800000, v5
	v_cmp_gt_u32_e32 vcc, s3, v1
	v_bfe_i32 v4, v4, 0, 16
	s_brev_b32 s2, 1
	v_cndmask_b32_e32 v1, v5, v6, vcc
	v_and_or_b32 v1, v4, s2, v1
	v_cvt_f16_f32_e32 v1, v1
.LBB529_486:
	s_mov_b64 s[6:7], 0
	s_mov_b64 s[2:3], -1
.LBB529_487:
	s_andn2_b64 vcc, exec, s[6:7]
	s_cbranch_vccnz .LBB529_500
; %bb.488:
	s_cmp_gt_i32 s10, 14
	s_cbranch_scc0 .LBB529_491
; %bb.489:
	s_cmp_eq_u32 s10, 15
	s_cbranch_scc0 .LBB529_494
; %bb.490:
	global_load_ushort v1, v[2:3], off
	s_mov_b64 s[2:3], -1
	s_mov_b64 s[4:5], 0
	s_waitcnt vmcnt(0)
	v_lshlrev_b32_e32 v1, 16, v1
	v_cvt_f16_f32_e32 v1, v1
	s_branch .LBB529_495
.LBB529_491:
	s_mov_b64 s[6:7], -1
                                        ; implicit-def: $vgpr1
	s_branch .LBB529_496
.LBB529_492:
	s_or_saveexec_b64 s[6:7], s[6:7]
	v_mov_b32_e32 v1, 0x7e00
	s_xor_b64 exec, exec, s[6:7]
	s_cbranch_execz .LBB529_473
.LBB529_493:
	v_cmp_ne_u16_e32 vcc, 0, v4
	s_andn2_b64 s[2:3], s[2:3], exec
	s_and_b64 s[8:9], vcc, exec
	s_or_b64 s[2:3], s[2:3], s[8:9]
	v_mov_b32_e32 v1, v4
	s_or_b64 exec, exec, s[6:7]
	s_and_saveexec_b64 s[6:7], s[2:3]
	s_cbranch_execnz .LBB529_474
	s_branch .LBB529_475
.LBB529_494:
	s_mov_b64 s[4:5], -1
                                        ; implicit-def: $vgpr1
.LBB529_495:
	s_mov_b64 s[6:7], 0
.LBB529_496:
	s_and_b64 vcc, exec, s[6:7]
	s_cbranch_vccz .LBB529_500
; %bb.497:
	s_cmp_eq_u32 s10, 11
	s_cbranch_scc0 .LBB529_499
; %bb.498:
	global_load_ubyte v1, v[2:3], off
	v_mov_b32_e32 v4, 0x3c00
	s_mov_b64 s[2:3], -1
	s_mov_b64 s[4:5], 0
	s_waitcnt vmcnt(0)
	v_cmp_ne_u16_e32 vcc, 0, v1
	s_nop 1
	v_cndmask_b32_e32 v1, 0, v4, vcc
	s_branch .LBB529_500
.LBB529_499:
	s_mov_b64 s[4:5], -1
                                        ; implicit-def: $vgpr1
.LBB529_500:
	s_branch .LBB529_299
.LBB529_501:
	s_cmp_lt_i32 s10, 5
	s_cbranch_scc1 .LBB529_506
; %bb.502:
	s_cmp_lt_i32 s10, 8
	s_cbranch_scc1 .LBB529_507
; %bb.503:
	;; [unrolled: 3-line block ×3, first 2 shown]
	s_cmp_gt_i32 s10, 9
	s_cbranch_scc0 .LBB529_509
; %bb.505:
	global_load_dwordx2 v[4:5], v[2:3], off
	s_movk_i32 s2, 0x1ff
	s_movk_i32 s3, 0xffe
	s_waitcnt vmcnt(1)
	v_mov_b32_e32 v1, 0x7c00
	v_mov_b32_e32 v6, 0x7e00
	s_movk_i32 s6, 0x40f
	s_mov_b32 s7, 0x8000
	s_waitcnt vmcnt(0)
	v_and_or_b32 v4, v5, s2, v4
	v_cmp_ne_u32_e32 vcc, 0, v4
	v_lshrrev_b32_e32 v7, 8, v5
	v_bfe_u32 v9, v5, 20, 11
	v_cndmask_b32_e64 v4, 0, 1, vcc
	v_sub_u32_e32 v10, 0x3f1, v9
	v_and_or_b32 v4, v7, s3, v4
	v_add_u32_e32 v9, 0xfffffc10, v9
	v_med3_i32 v7, v10, 0, 13
	v_or_b32_e32 v10, 0x1000, v4
	v_cmp_ne_u32_e32 vcc, 0, v4
	v_lshl_or_b32 v11, v9, 12, v4
	v_lshrrev_b32_e32 v5, 16, v5
	v_cndmask_b32_e32 v4, v1, v6, vcc
	v_lshrrev_b32_e32 v6, v7, v10
	v_lshlrev_b32_e32 v7, v7, v6
	v_cmp_ne_u32_e32 vcc, v7, v10
	s_mov_b64 s[2:3], 0
	s_nop 0
	v_cndmask_b32_e64 v7, 0, 1, vcc
	v_or_b32_e32 v6, v6, v7
	v_cmp_gt_i32_e32 vcc, 1, v9
	s_nop 1
	v_cndmask_b32_e32 v6, v11, v6, vcc
	v_and_b32_e32 v7, 7, v6
	v_cmp_lt_i32_e32 vcc, 5, v7
	v_lshrrev_b32_e32 v6, 2, v6
	s_nop 0
	v_cndmask_b32_e64 v10, 0, 1, vcc
	v_cmp_eq_u32_e32 vcc, 3, v7
	s_nop 1
	v_cndmask_b32_e64 v7, 0, 1, vcc
	v_or_b32_e32 v7, v7, v10
	v_add_u32_e32 v6, v6, v7
	v_cmp_gt_i32_e32 vcc, 31, v9
	s_nop 1
	v_cndmask_b32_e32 v1, v1, v6, vcc
	v_cmp_eq_u32_e32 vcc, s6, v9
	s_nop 1
	v_cndmask_b32_e32 v1, v1, v4, vcc
	v_and_or_b32 v1, v5, s7, v1
	s_branch .LBB529_510
.LBB529_506:
	s_mov_b64 s[2:3], -1
                                        ; implicit-def: $vgpr1
	s_branch .LBB529_528
.LBB529_507:
	s_mov_b64 s[2:3], -1
                                        ; implicit-def: $vgpr1
	s_branch .LBB529_516
.LBB529_508:
	s_mov_b64 s[2:3], -1
                                        ; implicit-def: $vgpr1
	s_branch .LBB529_513
.LBB529_509:
	s_mov_b64 s[2:3], -1
                                        ; implicit-def: $vgpr1
.LBB529_510:
	s_andn2_b64 vcc, exec, s[2:3]
	s_cbranch_vccnz .LBB529_512
; %bb.511:
	global_load_dword v1, v[2:3], off
	s_waitcnt vmcnt(0)
	v_cvt_f16_f32_e32 v1, v1
.LBB529_512:
	s_mov_b64 s[2:3], 0
.LBB529_513:
	s_andn2_b64 vcc, exec, s[2:3]
	s_cbranch_vccnz .LBB529_515
; %bb.514:
	global_load_dword v1, v[2:3], off
.LBB529_515:
	s_mov_b64 s[2:3], 0
.LBB529_516:
	s_andn2_b64 vcc, exec, s[2:3]
	s_cbranch_vccnz .LBB529_527
; %bb.517:
	s_cmp_lt_i32 s10, 6
	s_cbranch_scc1 .LBB529_520
; %bb.518:
	s_cmp_gt_i32 s10, 6
	s_cbranch_scc0 .LBB529_521
; %bb.519:
	global_load_dwordx2 v[4:5], v[2:3], off
	s_movk_i32 s2, 0x1ff
	s_movk_i32 s3, 0xffe
	s_waitcnt vmcnt(1)
	v_mov_b32_e32 v1, 0x7c00
	v_mov_b32_e32 v6, 0x7e00
	s_movk_i32 s6, 0x40f
	s_mov_b32 s7, 0x8000
	s_waitcnt vmcnt(0)
	v_and_or_b32 v4, v5, s2, v4
	v_cmp_ne_u32_e32 vcc, 0, v4
	v_lshrrev_b32_e32 v7, 8, v5
	v_bfe_u32 v9, v5, 20, 11
	v_cndmask_b32_e64 v4, 0, 1, vcc
	v_sub_u32_e32 v10, 0x3f1, v9
	v_and_or_b32 v4, v7, s3, v4
	v_add_u32_e32 v9, 0xfffffc10, v9
	v_med3_i32 v7, v10, 0, 13
	v_or_b32_e32 v10, 0x1000, v4
	v_cmp_ne_u32_e32 vcc, 0, v4
	v_lshl_or_b32 v11, v9, 12, v4
	v_lshrrev_b32_e32 v5, 16, v5
	v_cndmask_b32_e32 v4, v1, v6, vcc
	v_lshrrev_b32_e32 v6, v7, v10
	v_lshlrev_b32_e32 v7, v7, v6
	v_cmp_ne_u32_e32 vcc, v7, v10
	s_mov_b64 s[2:3], 0
	s_nop 0
	v_cndmask_b32_e64 v7, 0, 1, vcc
	v_or_b32_e32 v6, v6, v7
	v_cmp_gt_i32_e32 vcc, 1, v9
	s_nop 1
	v_cndmask_b32_e32 v6, v11, v6, vcc
	v_and_b32_e32 v7, 7, v6
	v_cmp_lt_i32_e32 vcc, 5, v7
	v_lshrrev_b32_e32 v6, 2, v6
	s_nop 0
	v_cndmask_b32_e64 v10, 0, 1, vcc
	v_cmp_eq_u32_e32 vcc, 3, v7
	s_nop 1
	v_cndmask_b32_e64 v7, 0, 1, vcc
	v_or_b32_e32 v7, v7, v10
	v_add_u32_e32 v6, v6, v7
	v_cmp_gt_i32_e32 vcc, 31, v9
	s_nop 1
	v_cndmask_b32_e32 v1, v1, v6, vcc
	v_cmp_eq_u32_e32 vcc, s6, v9
	s_nop 1
	v_cndmask_b32_e32 v1, v1, v4, vcc
	v_and_or_b32 v1, v5, s7, v1
	s_branch .LBB529_522
.LBB529_520:
	s_mov_b64 s[2:3], -1
                                        ; implicit-def: $vgpr1
	s_branch .LBB529_525
.LBB529_521:
	s_mov_b64 s[2:3], -1
                                        ; implicit-def: $vgpr1
.LBB529_522:
	s_andn2_b64 vcc, exec, s[2:3]
	s_cbranch_vccnz .LBB529_524
; %bb.523:
	global_load_dword v1, v[2:3], off
	s_waitcnt vmcnt(0)
	v_cvt_f16_f32_e32 v1, v1
.LBB529_524:
	s_mov_b64 s[2:3], 0
.LBB529_525:
	s_andn2_b64 vcc, exec, s[2:3]
	s_cbranch_vccnz .LBB529_527
; %bb.526:
	global_load_ushort v1, v[2:3], off
.LBB529_527:
	s_mov_b64 s[2:3], 0
.LBB529_528:
	s_andn2_b64 vcc, exec, s[2:3]
	s_cbranch_vccnz .LBB529_548
; %bb.529:
	s_cmp_lt_i32 s10, 2
	s_cbranch_scc1 .LBB529_533
; %bb.530:
	s_cmp_lt_i32 s10, 3
	s_cbranch_scc1 .LBB529_534
; %bb.531:
	s_cmp_gt_i32 s10, 3
	s_cbranch_scc0 .LBB529_535
; %bb.532:
	global_load_dwordx2 v[4:5], v[2:3], off
	s_mov_b64 s[2:3], 0
	s_waitcnt vmcnt(0)
	v_xor_b32_e32 v6, v4, v5
	v_ffbh_i32_e32 v1, v5
	v_ashrrev_i32_e32 v6, 31, v6
	v_add_u32_e32 v1, -1, v1
	v_add_u32_e32 v6, 32, v6
	v_min_u32_e32 v1, v1, v6
	v_lshlrev_b64 v[4:5], v1, v[4:5]
	v_min_u32_e32 v4, 1, v4
	v_or_b32_e32 v4, v5, v4
	v_cvt_f32_i32_e32 v4, v4
	v_sub_u32_e32 v1, 32, v1
	v_ldexp_f32 v1, v4, v1
	v_cvt_f16_f32_e32 v1, v1
	s_branch .LBB529_536
.LBB529_533:
	s_mov_b64 s[2:3], -1
                                        ; implicit-def: $vgpr1
	s_branch .LBB529_542
.LBB529_534:
	s_mov_b64 s[2:3], -1
                                        ; implicit-def: $vgpr1
	s_branch .LBB529_539
.LBB529_535:
	s_mov_b64 s[2:3], -1
                                        ; implicit-def: $vgpr1
.LBB529_536:
	s_andn2_b64 vcc, exec, s[2:3]
	s_cbranch_vccnz .LBB529_538
; %bb.537:
	global_load_dword v1, v[2:3], off
	s_waitcnt vmcnt(0)
	v_cvt_f32_i32_e32 v1, v1
	v_cvt_f16_f32_e32 v1, v1
.LBB529_538:
	s_mov_b64 s[2:3], 0
.LBB529_539:
	s_andn2_b64 vcc, exec, s[2:3]
	s_cbranch_vccnz .LBB529_541
; %bb.540:
	global_load_ushort v1, v[2:3], off
	s_waitcnt vmcnt(0)
	v_cvt_f16_i16_e32 v1, v1
.LBB529_541:
	s_mov_b64 s[2:3], 0
.LBB529_542:
	s_andn2_b64 vcc, exec, s[2:3]
	s_cbranch_vccnz .LBB529_548
; %bb.543:
	s_cmp_gt_i32 s10, 0
	s_cbranch_scc0 .LBB529_545
; %bb.544:
	global_load_sbyte v1, v[2:3], off
	s_mov_b64 s[2:3], 0
	s_waitcnt vmcnt(0)
	v_cvt_f16_i16_e32 v1, v1
	s_branch .LBB529_546
.LBB529_545:
	s_mov_b64 s[2:3], -1
                                        ; implicit-def: $vgpr1
.LBB529_546:
	s_andn2_b64 vcc, exec, s[2:3]
	s_cbranch_vccnz .LBB529_548
; %bb.547:
	global_load_ubyte v1, v[2:3], off
	s_waitcnt vmcnt(0)
	v_cvt_f16_u16_e32 v1, v1
.LBB529_548:
	s_branch .LBB529_300
.LBB529_549:
	s_mov_b64 s[6:7], 0
	s_mov_b64 s[2:3], s[56:57]
.LBB529_550:
                                        ; implicit-def: $vgpr8
.LBB529_551:
	s_andn2_b64 s[8:9], s[56:57], exec
	s_and_b64 s[2:3], s[2:3], exec
	s_or_b64 s[64:65], s[8:9], s[2:3]
	s_andn2_b64 s[2:3], s[58:59], exec
	s_and_b64 s[4:5], s[4:5], exec
	s_or_b64 s[62:63], s[2:3], s[4:5]
	s_orn2_b64 s[2:3], s[6:7], exec
.LBB529_552:
	s_or_b64 exec, exec, s[66:67]
	s_mov_b64 s[4:5], 0
	s_mov_b64 s[6:7], 0
	;; [unrolled: 1-line block ×3, first 2 shown]
                                        ; implicit-def: $vgpr2_vgpr3
                                        ; implicit-def: $vgpr0
                                        ; implicit-def: $vgpr1
	s_and_saveexec_b64 s[66:67], s[2:3]
	s_cbranch_execz .LBB529_933
; %bb.553:
	v_cmp_gt_i32_e32 vcc, s72, v8
	s_mov_b64 s[6:7], -1
	s_mov_b64 s[2:3], s[62:63]
	s_mov_b64 s[70:71], s[64:65]
	s_and_saveexec_b64 s[68:69], vcc
	s_cbranch_execz .LBB529_832
; %bb.554:
	s_andn2_b64 vcc, exec, s[42:43]
	s_cbranch_vccnz .LBB529_560
; %bb.555:
	s_andn2_b64 vcc, exec, s[54:55]
	s_cbranch_vccnz .LBB529_561
; %bb.556:
	s_add_i32 s79, s78, 1
	s_cmp_eq_u32 s74, 2
	s_cbranch_scc1 .LBB529_562
; %bb.557:
	s_and_b32 s73, s79, 28
	s_mov_b32 s80, 0
	v_mov_b32_e32 v0, 0
	v_mov_b32_e32 v2, 0
	s_mov_b64 s[2:3], s[34:35]
	s_mov_b64 s[70:71], s[52:53]
	v_mov_b32_e32 v4, v8
.LBB529_558:                            ; =>This Inner Loop Header: Depth=1
	s_load_dwordx8 s[12:19], s[2:3], 0x4
	s_load_dwordx4 s[36:39], s[2:3], 0x24
	s_load_dwordx8 s[4:11], s[70:71], 0x0
	s_add_u32 s2, s2, 48
	s_addc_u32 s3, s3, 0
	s_waitcnt vmcnt(0) lgkmcnt(0)
	v_mul_hi_u32 v1, s13, v4
	v_add_u32_e32 v1, v4, v1
	v_lshrrev_b32_e32 v1, s14, v1
	v_mul_lo_u32 v3, v1, s12
	v_mul_hi_u32 v5, s16, v1
	v_sub_u32_e32 v3, v4, v3
	v_add_u32_e32 v4, v1, v5
	v_lshrrev_b32_e32 v4, s17, v4
	v_mul_lo_u32 v6, v4, s15
	v_mul_hi_u32 v7, s19, v4
	v_sub_u32_e32 v1, v1, v6
	v_add_u32_e32 v6, v4, v7
	v_mul_lo_u32 v5, v3, s5
	v_mul_lo_u32 v3, v3, s4
	;; [unrolled: 1-line block ×4, first 2 shown]
	v_lshrrev_b32_e32 v6, s36, v6
	v_add3_u32 v0, v3, v0, v1
	v_mul_hi_u32 v3, s38, v6
	v_add3_u32 v1, v5, v2, v7
	v_mul_lo_u32 v2, v6, s18
	v_add_u32_e32 v3, v6, v3
	v_sub_u32_e32 v2, v4, v2
	v_lshrrev_b32_e32 v4, s39, v3
	s_add_i32 s80, s80, 4
	v_mul_lo_u32 v3, v4, s37
	s_add_u32 s70, s70, 32
	v_sub_u32_e32 v3, v6, v3
	s_addc_u32 s71, s71, 0
	v_mul_lo_u32 v5, v2, s8
	v_mul_lo_u32 v2, v2, s9
	;; [unrolled: 1-line block ×4, first 2 shown]
	s_cmp_eq_u32 s73, s80
	v_add3_u32 v2, v2, v1, v3
	v_add3_u32 v0, v5, v0, v6
	s_cbranch_scc0 .LBB529_558
; %bb.559:
	v_mov_b32_e32 v1, v2
	s_branch .LBB529_563
.LBB529_560:
	s_mov_b64 s[2:3], -1
                                        ; implicit-def: $vgpr2
                                        ; implicit-def: $vgpr0
	s_branch .LBB529_567
.LBB529_561:
	v_mov_b32_e32 v2, 0
	v_mov_b32_e32 v0, 0
	s_branch .LBB529_566
.LBB529_562:
	v_mov_b32_e32 v0, 0
	s_mov_b32 s73, 0
	s_waitcnt vmcnt(0)
	v_mov_b32_e32 v1, v0
                                        ; implicit-def: $vgpr2
	v_mov_b32_e32 v4, v8
.LBB529_563:
	s_and_b32 s6, s79, 3
	s_cmp_eq_u32 s6, 0
	s_cbranch_scc1 .LBB529_566
; %bb.564:
	s_lshl_b32 s2, s73, 3
	s_add_u32 s2, s34, s2
	s_addc_u32 s3, s35, 0
	s_add_u32 s2, s2, 0xc4
	s_addc_u32 s3, s3, 0
	s_mul_i32 s4, s73, 12
	s_add_u32 s4, s34, s4
	s_addc_u32 s5, s35, 0
.LBB529_565:                            ; =>This Inner Loop Header: Depth=1
	s_load_dwordx2 s[8:9], s[4:5], 0x4
	s_load_dword s7, s[4:5], 0xc
	s_load_dwordx2 s[10:11], s[2:3], 0x0
	v_mov_b32_e32 v2, v1
	s_add_u32 s4, s4, 12
	s_waitcnt lgkmcnt(0)
	v_mul_hi_u32 v1, s9, v4
	v_add_u32_e32 v1, v4, v1
	v_lshrrev_b32_e32 v1, s7, v1
	s_addc_u32 s5, s5, 0
	v_mul_lo_u32 v3, v1, s8
	s_add_u32 s2, s2, 8
	v_sub_u32_e32 v5, v4, v3
	s_addc_u32 s3, s3, 0
	s_add_i32 s6, s6, -1
	v_mov_b32_e32 v4, v1
	v_mad_u64_u32 v[2:3], s[8:9], v5, s11, v[2:3]
	v_mad_u64_u32 v[0:1], s[8:9], v5, s10, v[0:1]
	s_cmp_lg_u32 s6, 0
	v_mov_b32_e32 v1, v2
	s_cbranch_scc1 .LBB529_565
.LBB529_566:
	s_mov_b64 s[2:3], 0
.LBB529_567:
	s_andn2_b64 vcc, exec, s[2:3]
	s_cbranch_vccnz .LBB529_570
; %bb.568:
	v_mul_hi_u32 v0, s25, v8
	v_add_u32_e32 v0, v8, v0
	s_waitcnt vmcnt(0)
	v_lshrrev_b32_e32 v1, s26, v0
	v_mul_lo_u32 v0, v1, s24
	v_sub_u32_e32 v0, v8, v0
	v_mul_lo_u32 v2, v0, s29
	s_andn2_b64 vcc, exec, s[50:51]
	v_mul_lo_u32 v0, v0, s28
	s_cbranch_vccnz .LBB529_570
; %bb.569:
	v_mul_hi_u32 v3, s48, v1
	v_add_u32_e32 v3, v1, v3
	v_lshrrev_b32_e32 v3, s49, v3
	v_mul_lo_u32 v3, v3, s27
	v_sub_u32_e32 v3, v1, v3
	v_mad_u64_u32 v[0:1], s[2:3], v3, s30, v[0:1]
	v_mad_u64_u32 v[2:3], s[2:3], v3, s31, v[2:3]
.LBB529_570:
	v_mov_b32_e32 v3, 0
	s_and_b32 s10, 0xffff, s77
	s_cmp_lt_i32 s10, 11
	v_lshl_add_u64 v[2:3], s[22:23], 0, v[2:3]
	s_cbranch_scc1 .LBB529_577
; %bb.571:
	s_cmp_gt_i32 s10, 25
	s_cbranch_scc0 .LBB529_578
; %bb.572:
	s_cmp_gt_i32 s10, 28
	s_cbranch_scc0 .LBB529_579
	;; [unrolled: 3-line block ×4, first 2 shown]
; %bb.575:
	s_cmp_eq_u32 s10, 46
	s_mov_b64 s[6:7], 0
	s_cbranch_scc0 .LBB529_586
; %bb.576:
	global_load_dword v1, v[2:3], off
	s_mov_b64 s[2:3], -1
	s_mov_b64 s[4:5], 0
	s_waitcnt vmcnt(0)
	v_lshlrev_b32_e32 v1, 16, v1
	v_cvt_f16_f32_e32 v1, v1
	s_branch .LBB529_587
.LBB529_577:
	s_mov_b64 s[6:7], -1
	s_mov_b64 s[2:3], 0
                                        ; implicit-def: $vgpr1
	s_mov_b64 s[4:5], s[62:63]
	s_branch .LBB529_652
.LBB529_578:
	s_mov_b64 s[6:7], -1
	s_mov_b64 s[2:3], 0
	s_mov_b64 s[4:5], s[62:63]
                                        ; implicit-def: $vgpr1
	s_branch .LBB529_616
.LBB529_579:
	s_mov_b64 s[6:7], -1
	s_mov_b64 s[2:3], 0
	s_mov_b64 s[4:5], s[62:63]
                                        ; implicit-def: $vgpr1
	s_branch .LBB529_597
.LBB529_580:
	s_mov_b64 s[6:7], -1
	s_mov_b64 s[2:3], 0
	s_mov_b64 s[4:5], s[62:63]
                                        ; implicit-def: $vgpr1
	s_branch .LBB529_592
.LBB529_581:
	s_andn2_saveexec_b64 s[10:11], s[10:11]
	s_cbranch_execz .LBB529_349
.LBB529_582:
	s_mov_b32 s14, 0x46000000
	v_add_f32_e64 v4, |v3|, s14
	v_and_b32_e32 v4, 0xff, v4
	v_cmp_ne_u32_e32 vcc, 0, v4
	s_andn2_b64 s[8:9], s[8:9], exec
	s_and_b64 s[14:15], vcc, exec
	s_or_b64 s[8:9], s[8:9], s[14:15]
	s_or_b64 exec, exec, s[10:11]
	v_mov_b32_e32 v5, 0
	s_and_saveexec_b64 s[10:11], s[8:9]
	s_cbranch_execnz .LBB529_350
	s_branch .LBB529_351
.LBB529_583:
	s_mov_b64 s[6:7], -1
	s_mov_b64 s[2:3], 0
	s_mov_b64 s[4:5], s[62:63]
                                        ; implicit-def: $vgpr1
	s_branch .LBB529_587
.LBB529_584:
	s_andn2_saveexec_b64 s[10:11], s[10:11]
	s_cbranch_execz .LBB529_362
.LBB529_585:
	s_mov_b32 s14, 0x42800000
	v_add_f32_e64 v4, |v3|, s14
	v_and_b32_e32 v4, 0xff, v4
	v_cmp_ne_u32_e32 vcc, 0, v4
	s_andn2_b64 s[8:9], s[8:9], exec
	s_and_b64 s[14:15], vcc, exec
	s_or_b64 s[8:9], s[8:9], s[14:15]
	s_or_b64 exec, exec, s[10:11]
	v_mov_b32_e32 v5, 0
	s_and_saveexec_b64 s[10:11], s[8:9]
	s_cbranch_execnz .LBB529_363
	s_branch .LBB529_364
.LBB529_586:
	s_mov_b64 s[4:5], -1
                                        ; implicit-def: $vgpr1
	s_mov_b64 s[2:3], 0
.LBB529_587:
	s_and_b64 vcc, exec, s[6:7]
	s_cbranch_vccz .LBB529_591
; %bb.588:
	s_cmp_eq_u32 s10, 44
	s_cbranch_scc0 .LBB529_590
; %bb.589:
	global_load_ubyte v1, v[2:3], off
	s_movk_i32 s4, 0xff
	v_mov_b32_e32 v5, 0x7e00
	s_mov_b64 s[2:3], -1
	s_waitcnt vmcnt(0)
	v_lshlrev_b32_e32 v4, 23, v1
	v_cvt_f16_f32_e32 v4, v4
	v_cmp_ne_u32_e32 vcc, s4, v1
	s_mov_b64 s[4:5], 0
	s_nop 0
	v_cndmask_b32_e32 v4, v5, v4, vcc
	v_cmp_ne_u32_e32 vcc, 0, v1
	s_nop 1
	v_cndmask_b32_e32 v1, 0, v4, vcc
	s_branch .LBB529_591
.LBB529_590:
	s_mov_b64 s[4:5], -1
                                        ; implicit-def: $vgpr1
.LBB529_591:
	s_mov_b64 s[6:7], 0
.LBB529_592:
	s_and_b64 vcc, exec, s[6:7]
	s_cbranch_vccz .LBB529_596
; %bb.593:
	s_cmp_eq_u32 s10, 29
	s_cbranch_scc0 .LBB529_595
; %bb.594:
	global_load_dwordx2 v[4:5], v[2:3], off
	s_mov_b64 s[2:3], -1
	s_mov_b64 s[4:5], 0
	s_mov_b64 s[6:7], 0
	s_waitcnt vmcnt(0)
	v_ffbh_u32_e32 v1, v5
	v_min_u32_e32 v1, 32, v1
	v_lshlrev_b64 v[4:5], v1, v[4:5]
	v_min_u32_e32 v4, 1, v4
	v_or_b32_e32 v4, v5, v4
	v_cvt_f32_u32_e32 v4, v4
	v_sub_u32_e32 v1, 32, v1
	v_ldexp_f32 v1, v4, v1
	v_cvt_f16_f32_e32 v1, v1
	s_branch .LBB529_597
.LBB529_595:
	s_mov_b64 s[4:5], -1
                                        ; implicit-def: $vgpr1
.LBB529_596:
	s_mov_b64 s[6:7], 0
.LBB529_597:
	s_and_b64 vcc, exec, s[6:7]
	s_cbranch_vccz .LBB529_615
; %bb.598:
	s_cmp_lt_i32 s10, 27
	s_cbranch_scc1 .LBB529_601
; %bb.599:
	s_cmp_gt_i32 s10, 27
	s_cbranch_scc0 .LBB529_602
; %bb.600:
	global_load_dword v1, v[2:3], off
	s_mov_b64 s[2:3], 0
	s_waitcnt vmcnt(0)
	v_cvt_f32_u32_e32 v1, v1
	v_cvt_f16_f32_e32 v1, v1
	s_branch .LBB529_603
.LBB529_601:
	s_mov_b64 s[2:3], -1
                                        ; implicit-def: $vgpr1
	s_branch .LBB529_606
.LBB529_602:
	s_mov_b64 s[2:3], -1
                                        ; implicit-def: $vgpr1
.LBB529_603:
	s_andn2_b64 vcc, exec, s[2:3]
	s_cbranch_vccnz .LBB529_605
; %bb.604:
	global_load_ushort v1, v[2:3], off
	s_waitcnt vmcnt(0)
	v_cvt_f16_u16_e32 v1, v1
.LBB529_605:
	s_mov_b64 s[2:3], 0
.LBB529_606:
	s_andn2_b64 vcc, exec, s[2:3]
	s_cbranch_vccnz .LBB529_614
; %bb.607:
	global_load_ubyte v4, v[2:3], off
	s_movk_i32 s2, 0x7f
	s_waitcnt vmcnt(0)
	v_cmp_lt_i16_e32 vcc, s2, v4
	s_mov_b64 s[2:3], 0
	s_and_saveexec_b64 s[6:7], vcc
	s_xor_b64 s[6:7], exec, s[6:7]
	s_cbranch_execz .LBB529_628
; %bb.608:
	s_movk_i32 s2, 0x80
	v_cmp_eq_u16_e32 vcc, s2, v4
	s_mov_b64 s[2:3], -1
	s_and_saveexec_b64 s[8:9], vcc
; %bb.609:
	s_xor_b64 s[2:3], exec, -1
; %bb.610:
	s_or_b64 exec, exec, s[8:9]
	s_and_b64 s[2:3], s[2:3], exec
	s_or_saveexec_b64 s[6:7], s[6:7]
	v_mov_b32_e32 v1, 0x7e00
	s_xor_b64 exec, exec, s[6:7]
	s_cbranch_execnz .LBB529_629
.LBB529_611:
	s_or_b64 exec, exec, s[6:7]
	s_and_saveexec_b64 s[6:7], s[2:3]
	s_cbranch_execz .LBB529_613
.LBB529_612:
	v_lshlrev_b32_e32 v1, 24, v4
	v_and_b32_e32 v4, 0xffff, v4
	v_and_b32_e32 v5, 7, v4
	v_ffbh_u32_e32 v7, v5
	v_min_u32_e32 v7, 32, v7
	v_subrev_u32_e32 v9, 28, v7
	v_bfe_u32 v6, v4, 3, 4
	v_lshlrev_b32_e32 v4, v9, v4
	v_sub_u32_e32 v7, 29, v7
	v_and_b32_e32 v4, 7, v4
	v_cmp_eq_u32_e32 vcc, 0, v6
	v_and_b32_e32 v1, 0x80000000, v1
	s_nop 0
	v_cndmask_b32_e32 v6, v6, v7, vcc
	v_cndmask_b32_e32 v4, v5, v4, vcc
	v_mov_b32_e32 v5, 0x3b800000
	v_lshlrev_b32_e32 v4, 20, v4
	v_lshl_add_u32 v5, v6, 23, v5
	v_or3_b32 v1, v1, v5, v4
	v_cvt_f16_f32_e32 v1, v1
.LBB529_613:
	s_or_b64 exec, exec, s[6:7]
.LBB529_614:
	s_mov_b64 s[2:3], -1
.LBB529_615:
	s_mov_b64 s[6:7], 0
.LBB529_616:
	s_and_b64 vcc, exec, s[6:7]
	s_cbranch_vccz .LBB529_651
; %bb.617:
	s_cmp_gt_i32 s10, 22
	s_cbranch_scc0 .LBB529_627
; %bb.618:
	s_cmp_lt_i32 s10, 24
	s_cbranch_scc1 .LBB529_630
; %bb.619:
	s_cmp_gt_i32 s10, 24
	s_cbranch_scc0 .LBB529_631
; %bb.620:
	global_load_ubyte v4, v[2:3], off
	s_movk_i32 s2, 0x7f
	s_waitcnt vmcnt(0)
	v_cmp_lt_i16_e32 vcc, s2, v4
	s_mov_b64 s[2:3], 0
	s_and_saveexec_b64 s[6:7], vcc
	s_xor_b64 s[6:7], exec, s[6:7]
	s_cbranch_execz .LBB529_643
; %bb.621:
	s_movk_i32 s2, 0x80
	v_cmp_eq_u16_e32 vcc, s2, v4
	s_mov_b64 s[2:3], -1
	s_and_saveexec_b64 s[8:9], vcc
; %bb.622:
	s_xor_b64 s[2:3], exec, -1
; %bb.623:
	s_or_b64 exec, exec, s[8:9]
	s_and_b64 s[2:3], s[2:3], exec
	s_or_saveexec_b64 s[6:7], s[6:7]
	v_mov_b32_e32 v1, 0x7e00
	s_xor_b64 exec, exec, s[6:7]
	s_cbranch_execnz .LBB529_644
.LBB529_624:
	s_or_b64 exec, exec, s[6:7]
	s_and_saveexec_b64 s[6:7], s[2:3]
	s_cbranch_execz .LBB529_626
.LBB529_625:
	v_lshlrev_b32_e32 v1, 24, v4
	v_and_b32_e32 v4, 0xffff, v4
	v_and_b32_e32 v5, 3, v4
	v_ffbh_u32_e32 v7, v5
	v_min_u32_e32 v7, 32, v7
	v_subrev_u32_e32 v9, 29, v7
	v_bfe_u32 v6, v4, 2, 5
	v_lshlrev_b32_e32 v4, v9, v4
	v_sub_u32_e32 v7, 30, v7
	v_and_b32_e32 v4, 3, v4
	v_cmp_eq_u32_e32 vcc, 0, v6
	v_and_b32_e32 v1, 0x80000000, v1
	s_nop 0
	v_cndmask_b32_e32 v6, v6, v7, vcc
	v_cndmask_b32_e32 v4, v5, v4, vcc
	v_mov_b32_e32 v5, 0x37800000
	v_lshlrev_b32_e32 v4, 21, v4
	v_lshl_add_u32 v5, v6, 23, v5
	v_or3_b32 v1, v1, v5, v4
	v_cvt_f16_f32_e32 v1, v1
.LBB529_626:
	s_or_b64 exec, exec, s[6:7]
	s_mov_b64 s[2:3], 0
	s_branch .LBB529_632
.LBB529_627:
	s_mov_b64 s[6:7], -1
                                        ; implicit-def: $vgpr1
	s_branch .LBB529_638
.LBB529_628:
	s_or_saveexec_b64 s[6:7], s[6:7]
	v_mov_b32_e32 v1, 0x7e00
	s_xor_b64 exec, exec, s[6:7]
	s_cbranch_execz .LBB529_611
.LBB529_629:
	v_cmp_ne_u16_e32 vcc, 0, v4
	s_andn2_b64 s[2:3], s[2:3], exec
	s_and_b64 s[8:9], vcc, exec
	s_or_b64 s[2:3], s[2:3], s[8:9]
	v_mov_b32_e32 v1, v4
	s_or_b64 exec, exec, s[6:7]
	s_and_saveexec_b64 s[6:7], s[2:3]
	s_cbranch_execnz .LBB529_612
	s_branch .LBB529_613
.LBB529_630:
	s_mov_b64 s[2:3], -1
                                        ; implicit-def: $vgpr1
	s_branch .LBB529_635
.LBB529_631:
	s_mov_b64 s[2:3], -1
                                        ; implicit-def: $vgpr1
.LBB529_632:
	s_and_b64 vcc, exec, s[2:3]
	s_cbranch_vccz .LBB529_634
; %bb.633:
	global_load_ubyte v1, v[2:3], off
	s_mov_b32 s2, 0x7f800000
	s_waitcnt vmcnt(0)
	v_lshlrev_b32_e32 v1, 24, v1
	v_and_b32_e32 v4, 0x7f000000, v1
	v_ffbh_u32_e32 v5, v4
	v_min_u32_e32 v5, 32, v5
	v_sub_u32_e64 v5, v5, 4 clamp
	v_lshlrev_b32_e32 v7, v5, v4
	v_lshlrev_b32_e32 v5, 23, v5
	v_lshrrev_b32_e32 v7, 4, v7
	v_add_u32_e32 v6, 0x1000000, v4
	v_sub_u32_e32 v5, v7, v5
	v_ashrrev_i32_e32 v6, 8, v6
	v_add_u32_e32 v5, 0x3c000000, v5
	v_and_or_b32 v5, v6, s2, v5
	v_cmp_ne_u32_e32 vcc, 0, v4
	s_brev_b32 s2, 1
	s_nop 0
	v_cndmask_b32_e32 v4, 0, v5, vcc
	v_and_or_b32 v1, v1, s2, v4
	v_cvt_f16_f32_e32 v1, v1
.LBB529_634:
	s_mov_b64 s[2:3], 0
.LBB529_635:
	s_andn2_b64 vcc, exec, s[2:3]
	s_cbranch_vccnz .LBB529_637
; %bb.636:
	global_load_ubyte v1, v[2:3], off
	s_movk_i32 s2, 0x7f00
	s_brev_b32 s3, 16
	s_waitcnt vmcnt(0)
	v_lshlrev_b16_e32 v4, 8, v1
	v_lshlrev_b32_e32 v1, 25, v1
	v_lshrrev_b32_e32 v5, 4, v1
	v_and_or_b32 v6, v4, s2, 0.5
	v_or_b32_e32 v5, 0x70000000, v5
	v_add_f32_e32 v6, -0.5, v6
	v_mul_f32_e32 v5, 0x7800000, v5
	v_cmp_gt_u32_e32 vcc, s3, v1
	v_bfe_i32 v4, v4, 0, 16
	s_brev_b32 s2, 1
	v_cndmask_b32_e32 v1, v5, v6, vcc
	v_and_or_b32 v1, v4, s2, v1
	v_cvt_f16_f32_e32 v1, v1
.LBB529_637:
	s_mov_b64 s[6:7], 0
	s_mov_b64 s[2:3], -1
.LBB529_638:
	s_andn2_b64 vcc, exec, s[6:7]
	s_cbranch_vccnz .LBB529_651
; %bb.639:
	s_cmp_gt_i32 s10, 14
	s_cbranch_scc0 .LBB529_642
; %bb.640:
	s_cmp_eq_u32 s10, 15
	s_cbranch_scc0 .LBB529_645
; %bb.641:
	global_load_ushort v1, v[2:3], off
	s_mov_b64 s[2:3], -1
	s_mov_b64 s[4:5], 0
	s_waitcnt vmcnt(0)
	v_lshlrev_b32_e32 v1, 16, v1
	v_cvt_f16_f32_e32 v1, v1
	s_branch .LBB529_646
.LBB529_642:
	s_mov_b64 s[6:7], -1
                                        ; implicit-def: $vgpr1
	s_branch .LBB529_647
.LBB529_643:
	s_or_saveexec_b64 s[6:7], s[6:7]
	v_mov_b32_e32 v1, 0x7e00
	s_xor_b64 exec, exec, s[6:7]
	s_cbranch_execz .LBB529_624
.LBB529_644:
	v_cmp_ne_u16_e32 vcc, 0, v4
	s_andn2_b64 s[2:3], s[2:3], exec
	s_and_b64 s[8:9], vcc, exec
	s_or_b64 s[2:3], s[2:3], s[8:9]
	v_mov_b32_e32 v1, v4
	s_or_b64 exec, exec, s[6:7]
	s_and_saveexec_b64 s[6:7], s[2:3]
	s_cbranch_execnz .LBB529_625
	s_branch .LBB529_626
.LBB529_645:
	s_mov_b64 s[4:5], -1
                                        ; implicit-def: $vgpr1
.LBB529_646:
	s_mov_b64 s[6:7], 0
.LBB529_647:
	s_and_b64 vcc, exec, s[6:7]
	s_cbranch_vccz .LBB529_651
; %bb.648:
	s_cmp_eq_u32 s10, 11
	s_cbranch_scc0 .LBB529_650
; %bb.649:
	global_load_ubyte v1, v[2:3], off
	v_mov_b32_e32 v4, 0x3c00
	s_mov_b64 s[2:3], -1
	s_mov_b64 s[4:5], 0
	s_waitcnt vmcnt(0)
	v_cmp_ne_u16_e32 vcc, 0, v1
	s_nop 1
	v_cndmask_b32_e32 v1, 0, v4, vcc
	s_branch .LBB529_651
.LBB529_650:
	s_mov_b64 s[4:5], -1
                                        ; implicit-def: $vgpr1
.LBB529_651:
	s_mov_b64 s[6:7], 0
.LBB529_652:
	s_and_b64 vcc, exec, s[6:7]
	s_cbranch_vccz .LBB529_701
; %bb.653:
	s_cmp_lt_i32 s10, 5
	s_cbranch_scc1 .LBB529_658
; %bb.654:
	s_cmp_lt_i32 s10, 8
	s_cbranch_scc1 .LBB529_659
	;; [unrolled: 3-line block ×3, first 2 shown]
; %bb.656:
	s_cmp_gt_i32 s10, 9
	s_cbranch_scc0 .LBB529_661
; %bb.657:
	global_load_dwordx2 v[4:5], v[2:3], off
	s_movk_i32 s2, 0x1ff
	s_movk_i32 s3, 0xffe
	s_waitcnt vmcnt(1)
	v_mov_b32_e32 v1, 0x7c00
	v_mov_b32_e32 v6, 0x7e00
	s_movk_i32 s6, 0x40f
	s_mov_b32 s7, 0x8000
	s_waitcnt vmcnt(0)
	v_and_or_b32 v4, v5, s2, v4
	v_cmp_ne_u32_e32 vcc, 0, v4
	v_lshrrev_b32_e32 v7, 8, v5
	v_bfe_u32 v9, v5, 20, 11
	v_cndmask_b32_e64 v4, 0, 1, vcc
	v_sub_u32_e32 v10, 0x3f1, v9
	v_and_or_b32 v4, v7, s3, v4
	v_add_u32_e32 v9, 0xfffffc10, v9
	v_med3_i32 v7, v10, 0, 13
	v_or_b32_e32 v10, 0x1000, v4
	v_cmp_ne_u32_e32 vcc, 0, v4
	v_lshl_or_b32 v11, v9, 12, v4
	v_lshrrev_b32_e32 v5, 16, v5
	v_cndmask_b32_e32 v4, v1, v6, vcc
	v_lshrrev_b32_e32 v6, v7, v10
	v_lshlrev_b32_e32 v7, v7, v6
	v_cmp_ne_u32_e32 vcc, v7, v10
	s_mov_b64 s[2:3], 0
	s_nop 0
	v_cndmask_b32_e64 v7, 0, 1, vcc
	v_or_b32_e32 v6, v6, v7
	v_cmp_gt_i32_e32 vcc, 1, v9
	s_nop 1
	v_cndmask_b32_e32 v6, v11, v6, vcc
	v_and_b32_e32 v7, 7, v6
	v_cmp_lt_i32_e32 vcc, 5, v7
	v_lshrrev_b32_e32 v6, 2, v6
	s_nop 0
	v_cndmask_b32_e64 v10, 0, 1, vcc
	v_cmp_eq_u32_e32 vcc, 3, v7
	s_nop 1
	v_cndmask_b32_e64 v7, 0, 1, vcc
	v_or_b32_e32 v7, v7, v10
	v_add_u32_e32 v6, v6, v7
	v_cmp_gt_i32_e32 vcc, 31, v9
	s_nop 1
	v_cndmask_b32_e32 v1, v1, v6, vcc
	v_cmp_eq_u32_e32 vcc, s6, v9
	s_nop 1
	v_cndmask_b32_e32 v1, v1, v4, vcc
	v_and_or_b32 v1, v5, s7, v1
	s_branch .LBB529_662
.LBB529_658:
	s_mov_b64 s[2:3], -1
                                        ; implicit-def: $vgpr1
	s_branch .LBB529_680
.LBB529_659:
	s_mov_b64 s[2:3], -1
                                        ; implicit-def: $vgpr1
	s_branch .LBB529_668
.LBB529_660:
	s_mov_b64 s[2:3], -1
                                        ; implicit-def: $vgpr1
	s_branch .LBB529_665
.LBB529_661:
	s_mov_b64 s[2:3], -1
                                        ; implicit-def: $vgpr1
.LBB529_662:
	s_andn2_b64 vcc, exec, s[2:3]
	s_cbranch_vccnz .LBB529_664
; %bb.663:
	global_load_dword v1, v[2:3], off
	s_waitcnt vmcnt(0)
	v_cvt_f16_f32_e32 v1, v1
.LBB529_664:
	s_mov_b64 s[2:3], 0
.LBB529_665:
	s_andn2_b64 vcc, exec, s[2:3]
	s_cbranch_vccnz .LBB529_667
; %bb.666:
	global_load_dword v1, v[2:3], off
.LBB529_667:
	s_mov_b64 s[2:3], 0
.LBB529_668:
	s_andn2_b64 vcc, exec, s[2:3]
	s_cbranch_vccnz .LBB529_679
; %bb.669:
	s_cmp_lt_i32 s10, 6
	s_cbranch_scc1 .LBB529_672
; %bb.670:
	s_cmp_gt_i32 s10, 6
	s_cbranch_scc0 .LBB529_673
; %bb.671:
	global_load_dwordx2 v[4:5], v[2:3], off
	s_movk_i32 s2, 0x1ff
	s_movk_i32 s3, 0xffe
	s_waitcnt vmcnt(1)
	v_mov_b32_e32 v1, 0x7c00
	v_mov_b32_e32 v6, 0x7e00
	s_movk_i32 s6, 0x40f
	s_mov_b32 s7, 0x8000
	s_waitcnt vmcnt(0)
	v_and_or_b32 v4, v5, s2, v4
	v_cmp_ne_u32_e32 vcc, 0, v4
	v_lshrrev_b32_e32 v7, 8, v5
	v_bfe_u32 v9, v5, 20, 11
	v_cndmask_b32_e64 v4, 0, 1, vcc
	v_sub_u32_e32 v10, 0x3f1, v9
	v_and_or_b32 v4, v7, s3, v4
	v_add_u32_e32 v9, 0xfffffc10, v9
	v_med3_i32 v7, v10, 0, 13
	v_or_b32_e32 v10, 0x1000, v4
	v_cmp_ne_u32_e32 vcc, 0, v4
	v_lshl_or_b32 v11, v9, 12, v4
	v_lshrrev_b32_e32 v5, 16, v5
	v_cndmask_b32_e32 v4, v1, v6, vcc
	v_lshrrev_b32_e32 v6, v7, v10
	v_lshlrev_b32_e32 v7, v7, v6
	v_cmp_ne_u32_e32 vcc, v7, v10
	s_mov_b64 s[2:3], 0
	s_nop 0
	v_cndmask_b32_e64 v7, 0, 1, vcc
	v_or_b32_e32 v6, v6, v7
	v_cmp_gt_i32_e32 vcc, 1, v9
	s_nop 1
	v_cndmask_b32_e32 v6, v11, v6, vcc
	v_and_b32_e32 v7, 7, v6
	v_cmp_lt_i32_e32 vcc, 5, v7
	v_lshrrev_b32_e32 v6, 2, v6
	s_nop 0
	v_cndmask_b32_e64 v10, 0, 1, vcc
	v_cmp_eq_u32_e32 vcc, 3, v7
	s_nop 1
	v_cndmask_b32_e64 v7, 0, 1, vcc
	v_or_b32_e32 v7, v7, v10
	v_add_u32_e32 v6, v6, v7
	v_cmp_gt_i32_e32 vcc, 31, v9
	s_nop 1
	v_cndmask_b32_e32 v1, v1, v6, vcc
	v_cmp_eq_u32_e32 vcc, s6, v9
	s_nop 1
	v_cndmask_b32_e32 v1, v1, v4, vcc
	v_and_or_b32 v1, v5, s7, v1
	s_branch .LBB529_674
.LBB529_672:
	s_mov_b64 s[2:3], -1
                                        ; implicit-def: $vgpr1
	s_branch .LBB529_677
.LBB529_673:
	s_mov_b64 s[2:3], -1
                                        ; implicit-def: $vgpr1
.LBB529_674:
	s_andn2_b64 vcc, exec, s[2:3]
	s_cbranch_vccnz .LBB529_676
; %bb.675:
	global_load_dword v1, v[2:3], off
	s_waitcnt vmcnt(0)
	v_cvt_f16_f32_e32 v1, v1
.LBB529_676:
	s_mov_b64 s[2:3], 0
.LBB529_677:
	s_andn2_b64 vcc, exec, s[2:3]
	s_cbranch_vccnz .LBB529_679
; %bb.678:
	global_load_ushort v1, v[2:3], off
.LBB529_679:
	s_mov_b64 s[2:3], 0
.LBB529_680:
	s_andn2_b64 vcc, exec, s[2:3]
	s_cbranch_vccnz .LBB529_700
; %bb.681:
	s_cmp_lt_i32 s10, 2
	s_cbranch_scc1 .LBB529_685
; %bb.682:
	s_cmp_lt_i32 s10, 3
	s_cbranch_scc1 .LBB529_686
; %bb.683:
	s_cmp_gt_i32 s10, 3
	s_cbranch_scc0 .LBB529_687
; %bb.684:
	global_load_dwordx2 v[4:5], v[2:3], off
	s_mov_b64 s[2:3], 0
	s_waitcnt vmcnt(0)
	v_xor_b32_e32 v6, v4, v5
	v_ffbh_i32_e32 v1, v5
	v_ashrrev_i32_e32 v6, 31, v6
	v_add_u32_e32 v1, -1, v1
	v_add_u32_e32 v6, 32, v6
	v_min_u32_e32 v1, v1, v6
	v_lshlrev_b64 v[4:5], v1, v[4:5]
	v_min_u32_e32 v4, 1, v4
	v_or_b32_e32 v4, v5, v4
	v_cvt_f32_i32_e32 v4, v4
	v_sub_u32_e32 v1, 32, v1
	v_ldexp_f32 v1, v4, v1
	v_cvt_f16_f32_e32 v1, v1
	s_branch .LBB529_688
.LBB529_685:
	s_mov_b64 s[2:3], -1
                                        ; implicit-def: $vgpr1
	s_branch .LBB529_694
.LBB529_686:
	s_mov_b64 s[2:3], -1
                                        ; implicit-def: $vgpr1
	s_branch .LBB529_691
.LBB529_687:
	s_mov_b64 s[2:3], -1
                                        ; implicit-def: $vgpr1
.LBB529_688:
	s_andn2_b64 vcc, exec, s[2:3]
	s_cbranch_vccnz .LBB529_690
; %bb.689:
	global_load_dword v1, v[2:3], off
	s_waitcnt vmcnt(0)
	v_cvt_f32_i32_e32 v1, v1
	v_cvt_f16_f32_e32 v1, v1
.LBB529_690:
	s_mov_b64 s[2:3], 0
.LBB529_691:
	s_andn2_b64 vcc, exec, s[2:3]
	s_cbranch_vccnz .LBB529_693
; %bb.692:
	global_load_ushort v1, v[2:3], off
	s_waitcnt vmcnt(0)
	v_cvt_f16_i16_e32 v1, v1
.LBB529_693:
	s_mov_b64 s[2:3], 0
.LBB529_694:
	s_andn2_b64 vcc, exec, s[2:3]
	s_cbranch_vccnz .LBB529_700
; %bb.695:
	s_cmp_gt_i32 s10, 0
	s_cbranch_scc0 .LBB529_697
; %bb.696:
	global_load_sbyte v1, v[2:3], off
	s_mov_b64 s[2:3], 0
	s_waitcnt vmcnt(0)
	v_cvt_f16_i16_e32 v1, v1
	s_branch .LBB529_698
.LBB529_697:
	s_mov_b64 s[2:3], -1
                                        ; implicit-def: $vgpr1
.LBB529_698:
	s_andn2_b64 vcc, exec, s[2:3]
	s_cbranch_vccnz .LBB529_700
; %bb.699:
	global_load_ubyte v1, v[2:3], off
	s_waitcnt vmcnt(0)
	v_cvt_f16_u16_e32 v1, v1
.LBB529_700:
	s_mov_b64 s[2:3], -1
.LBB529_701:
	s_andn2_b64 vcc, exec, s[2:3]
	s_cbranch_vccnz .LBB529_713
; %bb.702:
	s_waitcnt vmcnt(0)
	v_cmp_o_f16_e32 vcc, v1, v1
	v_mov_b32_e32 v2, s46
	s_and_saveexec_b64 s[2:3], vcc
	s_cbranch_execz .LBB529_706
; %bb.703:
	s_movk_i32 s6, 0x7c00
	v_cmp_neq_f16_e32 vcc, s6, v1
	v_mov_b32_e32 v2, s76
	s_and_saveexec_b64 s[6:7], vcc
; %bb.704:
	s_mov_b32 s8, 0xfc00
	v_mov_b32_e32 v2, s47
	v_cmp_eq_f16_e32 vcc, s8, v1
	s_nop 1
	v_cndmask_b32_e32 v2, v1, v2, vcc
; %bb.705:
	s_or_b64 exec, exec, s[6:7]
.LBB529_706:
	s_or_b64 exec, exec, s[2:3]
	v_mov_b32_e32 v1, 0
	s_and_b32 s12, s75, 0xff
	s_cmp_lt_i32 s12, 11
	v_lshl_add_u64 v[0:1], s[20:21], 0, v[0:1]
	s_cbranch_scc1 .LBB529_714
; %bb.707:
	s_and_b32 s13, 0xffff, s12
	s_cmp_gt_i32 s13, 25
	s_cbranch_scc0 .LBB529_715
; %bb.708:
	s_cmp_gt_i32 s13, 28
	s_cbranch_scc0 .LBB529_716
; %bb.709:
	;; [unrolled: 3-line block ×4, first 2 shown]
	s_mov_b64 s[8:9], 0
	s_mov_b64 s[2:3], -1
	s_cmp_eq_u32 s13, 46
	s_mov_b64 s[6:7], 0
	s_cbranch_scc0 .LBB529_719
; %bb.712:
	v_cvt_f32_f16_e32 v3, v2
	s_movk_i32 s2, 0x7fff
	v_cmp_o_f16_e32 vcc, v2, v2
	v_mov_b32_e32 v4, 0x7fc0
	v_bfe_u32 v5, v3, 16, 1
	v_add3_u32 v3, v3, v5, s2
	v_cndmask_b32_sdwa v3, v4, v3, vcc dst_sel:DWORD dst_unused:UNUSED_PAD src0_sel:DWORD src1_sel:WORD_1
	global_store_dword v[0:1], v3, off
	s_mov_b64 s[6:7], -1
	s_mov_b64 s[2:3], 0
	s_branch .LBB529_719
.LBB529_713:
	s_mov_b64 s[6:7], 0
	s_mov_b64 s[2:3], s[64:65]
	s_branch .LBB529_830
.LBB529_714:
	s_mov_b64 s[8:9], -1
	s_mov_b64 s[6:7], 0
	s_mov_b64 s[2:3], s[64:65]
	s_branch .LBB529_788
.LBB529_715:
	s_mov_b64 s[8:9], -1
	s_mov_b64 s[6:7], 0
	s_mov_b64 s[2:3], s[64:65]
	s_branch .LBB529_746
.LBB529_716:
	s_mov_b64 s[8:9], -1
	s_mov_b64 s[6:7], 0
	s_mov_b64 s[2:3], s[64:65]
	s_branch .LBB529_729
.LBB529_717:
	s_mov_b64 s[8:9], -1
	s_mov_b64 s[6:7], 0
	s_mov_b64 s[2:3], s[64:65]
	s_branch .LBB529_725
.LBB529_718:
	s_mov_b64 s[8:9], -1
	s_mov_b64 s[6:7], 0
	s_mov_b64 s[2:3], s[64:65]
.LBB529_719:
	s_and_b64 vcc, exec, s[8:9]
	s_cbranch_vccz .LBB529_724
; %bb.720:
	s_cmp_eq_u32 s13, 44
	s_mov_b64 s[2:3], -1
	s_cbranch_scc0 .LBB529_724
; %bb.721:
	v_cvt_f32_f16_e32 v3, v2
	s_movk_i32 s2, 0xff
	v_mov_b32_e32 v5, 0xff
	v_bfe_u32 v4, v3, 23, 8
	v_cmp_ne_u32_e32 vcc, s2, v4
	s_and_saveexec_b64 s[6:7], vcc
; %bb.722:
	s_mov_b32 s2, 0x3fffff
	v_lshrrev_b32_e32 v5, 23, v3
	v_and_b32_e32 v6, 0x400000, v3
	v_and_or_b32 v3, v3, s2, v4
	v_cmp_ne_u32_e32 vcc, 0, v6
	v_cmp_ne_u32_e64 s[2:3], 0, v3
	s_and_b64 s[2:3], vcc, s[2:3]
	s_nop 0
	v_cndmask_b32_e64 v3, 0, 1, s[2:3]
	v_add_u32_e32 v5, v5, v3
; %bb.723:
	s_or_b64 exec, exec, s[6:7]
	s_mov_b64 s[6:7], -1
	s_mov_b64 s[2:3], 0
	global_store_byte v[0:1], v5, off
.LBB529_724:
	s_mov_b64 s[8:9], 0
.LBB529_725:
	s_and_b64 vcc, exec, s[8:9]
	s_cbranch_vccz .LBB529_728
; %bb.726:
	s_cmp_eq_u32 s13, 29
	s_mov_b64 s[2:3], -1
	s_cbranch_scc0 .LBB529_728
; %bb.727:
	v_cvt_f32_f16_e32 v3, v2
	v_mov_b32_e32 v5, 0
	s_mov_b64 s[6:7], -1
	s_mov_b64 s[2:3], 0
	v_cvt_u32_f32_e32 v4, v3
	s_mov_b64 s[8:9], 0
	global_store_dwordx2 v[0:1], v[4:5], off
	s_branch .LBB529_729
.LBB529_728:
	s_mov_b64 s[8:9], 0
.LBB529_729:
	s_and_b64 vcc, exec, s[8:9]
	s_cbranch_vccz .LBB529_745
; %bb.730:
	s_cmp_lt_i32 s13, 27
	s_mov_b64 s[6:7], -1
	s_cbranch_scc1 .LBB529_736
; %bb.731:
	s_cmp_gt_i32 s13, 27
	s_cbranch_scc0 .LBB529_733
; %bb.732:
	v_cvt_f32_f16_e32 v3, v2
	s_mov_b64 s[6:7], 0
	v_cvt_u32_f32_e32 v3, v3
	global_store_dword v[0:1], v3, off
.LBB529_733:
	s_andn2_b64 vcc, exec, s[6:7]
	s_cbranch_vccnz .LBB529_735
; %bb.734:
	v_cvt_u16_f16_e32 v3, v2
	global_store_short v[0:1], v3, off
.LBB529_735:
	s_mov_b64 s[6:7], 0
.LBB529_736:
	s_andn2_b64 vcc, exec, s[6:7]
	s_cbranch_vccnz .LBB529_744
; %bb.737:
	v_cvt_f32_f16_e32 v3, v2
	s_mov_b32 s6, 0x43800000
	v_mov_b32_e32 v5, 0x80
	v_and_b32_e32 v4, 0x7fffffff, v3
	v_cmp_gt_u32_e32 vcc, s6, v4
	s_and_saveexec_b64 s[6:7], vcc
	s_cbranch_execz .LBB529_743
; %bb.738:
	s_mov_b32 s8, 0x3bffffff
	v_cmp_lt_u32_e32 vcc, s8, v4
	s_mov_b64 s[8:9], 0
                                        ; implicit-def: $vgpr4
	s_and_saveexec_b64 s[10:11], vcc
	s_xor_b64 s[10:11], exec, s[10:11]
	s_cbranch_execz .LBB529_861
; %bb.739:
	v_bfe_u32 v4, v3, 20, 1
	s_mov_b32 s14, 0x487ffff
	v_add3_u32 v4, v3, v4, s14
	s_mov_b64 s[8:9], exec
	v_lshrrev_b32_e32 v4, 20, v4
	s_andn2_saveexec_b64 s[10:11], s[10:11]
	s_cbranch_execnz .LBB529_862
.LBB529_740:
	s_or_b64 exec, exec, s[10:11]
	v_mov_b32_e32 v5, 0
	s_and_saveexec_b64 s[10:11], s[8:9]
.LBB529_741:
	v_lshrrev_b32_e32 v3, 24, v3
	s_movk_i32 s8, 0x80
	v_and_or_b32 v5, v3, s8, v4
.LBB529_742:
	s_or_b64 exec, exec, s[10:11]
.LBB529_743:
	s_or_b64 exec, exec, s[6:7]
	global_store_byte v[0:1], v5, off
.LBB529_744:
	s_mov_b64 s[6:7], -1
.LBB529_745:
	s_mov_b64 s[8:9], 0
.LBB529_746:
	s_and_b64 vcc, exec, s[8:9]
	s_cbranch_vccz .LBB529_787
; %bb.747:
	s_cmp_gt_i32 s13, 22
	s_mov_b64 s[8:9], -1
	s_cbranch_scc0 .LBB529_779
; %bb.748:
	s_cmp_lt_i32 s13, 24
	s_mov_b64 s[6:7], -1
	s_cbranch_scc1 .LBB529_768
; %bb.749:
	s_cmp_gt_i32 s13, 24
	s_cbranch_scc0 .LBB529_757
; %bb.750:
	v_cvt_f32_f16_e32 v3, v2
	s_mov_b32 s6, 0x47800000
	v_mov_b32_e32 v5, 0x80
	v_and_b32_e32 v4, 0x7fffffff, v3
	v_cmp_gt_u32_e32 vcc, s6, v4
	s_and_saveexec_b64 s[6:7], vcc
	s_cbranch_execz .LBB529_756
; %bb.751:
	s_mov_b32 s8, 0x37ffffff
	v_cmp_lt_u32_e32 vcc, s8, v4
	s_mov_b64 s[8:9], 0
                                        ; implicit-def: $vgpr4
	s_and_saveexec_b64 s[10:11], vcc
	s_xor_b64 s[10:11], exec, s[10:11]
	s_cbranch_execz .LBB529_864
; %bb.752:
	v_bfe_u32 v4, v3, 21, 1
	s_mov_b32 s14, 0x88fffff
	v_add3_u32 v4, v3, v4, s14
	s_mov_b64 s[8:9], exec
	v_lshrrev_b32_e32 v4, 21, v4
	s_andn2_saveexec_b64 s[10:11], s[10:11]
	s_cbranch_execnz .LBB529_865
.LBB529_753:
	s_or_b64 exec, exec, s[10:11]
	v_mov_b32_e32 v5, 0
	s_and_saveexec_b64 s[10:11], s[8:9]
.LBB529_754:
	v_lshrrev_b32_e32 v3, 24, v3
	s_movk_i32 s8, 0x80
	v_and_or_b32 v5, v3, s8, v4
.LBB529_755:
	s_or_b64 exec, exec, s[10:11]
.LBB529_756:
	s_or_b64 exec, exec, s[6:7]
	s_mov_b64 s[6:7], 0
	global_store_byte v[0:1], v5, off
.LBB529_757:
	s_and_b64 vcc, exec, s[6:7]
	s_cbranch_vccz .LBB529_767
; %bb.758:
	v_cvt_f32_f16_e32 v3, v2
	s_mov_b32 s6, 0x43f00000
                                        ; implicit-def: $vgpr4
	v_and_b32_e32 v5, 0x7fffffff, v3
	v_cmp_gt_u32_e32 vcc, s6, v5
	s_and_saveexec_b64 s[6:7], vcc
	s_xor_b64 s[6:7], exec, s[6:7]
	s_cbranch_execz .LBB529_764
; %bb.759:
	s_mov_b32 s8, 0x3c7fffff
	v_cmp_lt_u32_e32 vcc, s8, v5
                                        ; implicit-def: $vgpr4
	s_and_saveexec_b64 s[8:9], vcc
	s_xor_b64 s[8:9], exec, s[8:9]
; %bb.760:
	v_bfe_u32 v4, v3, 20, 1
	s_mov_b32 s10, 0x407ffff
	v_add3_u32 v4, v3, v4, s10
	v_lshrrev_b32_e32 v5, 20, v4
	v_and_b32_e32 v4, 0xff00000, v4
	s_mov_b32 s10, 0x7f00000
	v_mov_b32_e32 v6, 0x7e
	v_cmp_ne_u32_e32 vcc, s10, v4
	s_nop 1
	v_cndmask_b32_e32 v4, v6, v5, vcc
; %bb.761:
	s_andn2_saveexec_b64 s[8:9], s[8:9]
; %bb.762:
	s_mov_b32 s10, 0x46800000
	v_add_f32_e64 v4, |v3|, s10
; %bb.763:
	s_or_b64 exec, exec, s[8:9]
                                        ; implicit-def: $vgpr5
.LBB529_764:
	s_andn2_saveexec_b64 s[6:7], s[6:7]
; %bb.765:
	s_mov_b32 s8, 0x7f800000
	v_mov_b32_e32 v4, 0x7e
	v_mov_b32_e32 v6, 0x7f
	v_cmp_lt_u32_e32 vcc, s8, v5
	s_nop 1
	v_cndmask_b32_e32 v4, v4, v6, vcc
; %bb.766:
	s_or_b64 exec, exec, s[6:7]
	v_lshrrev_b32_e32 v3, 24, v3
	s_movk_i32 s6, 0x80
	v_and_or_b32 v3, v3, s6, v4
	global_store_byte v[0:1], v3, off
.LBB529_767:
	s_mov_b64 s[6:7], 0
.LBB529_768:
	s_andn2_b64 vcc, exec, s[6:7]
	s_cbranch_vccnz .LBB529_778
; %bb.769:
	v_cvt_f32_f16_e32 v3, v2
	s_mov_b32 s6, 0x47800000
                                        ; implicit-def: $vgpr4
	v_and_b32_e32 v5, 0x7fffffff, v3
	v_cmp_gt_u32_e32 vcc, s6, v5
	s_and_saveexec_b64 s[6:7], vcc
	s_xor_b64 s[6:7], exec, s[6:7]
	s_cbranch_execz .LBB529_775
; %bb.770:
	s_mov_b32 s8, 0x387fffff
	v_cmp_lt_u32_e32 vcc, s8, v5
                                        ; implicit-def: $vgpr4
	s_and_saveexec_b64 s[8:9], vcc
	s_xor_b64 s[8:9], exec, s[8:9]
; %bb.771:
	v_bfe_u32 v4, v3, 21, 1
	s_mov_b32 s10, 0x80fffff
	v_add3_u32 v4, v3, v4, s10
	v_lshrrev_b32_e32 v4, 21, v4
; %bb.772:
	s_andn2_saveexec_b64 s[8:9], s[8:9]
; %bb.773:
	s_mov_b32 s10, 0x43000000
	v_add_f32_e64 v4, |v3|, s10
; %bb.774:
	s_or_b64 exec, exec, s[8:9]
                                        ; implicit-def: $vgpr5
.LBB529_775:
	s_andn2_saveexec_b64 s[6:7], s[6:7]
; %bb.776:
	s_mov_b32 s8, 0x7f800000
	v_mov_b32_e32 v4, 0x7c
	v_mov_b32_e32 v6, 0x7f
	v_cmp_lt_u32_e32 vcc, s8, v5
	s_nop 1
	v_cndmask_b32_e32 v4, v4, v6, vcc
; %bb.777:
	s_or_b64 exec, exec, s[6:7]
	v_lshrrev_b32_e32 v3, 24, v3
	s_movk_i32 s6, 0x80
	v_and_or_b32 v3, v3, s6, v4
	global_store_byte v[0:1], v3, off
.LBB529_778:
	s_mov_b64 s[8:9], 0
	s_mov_b64 s[6:7], -1
.LBB529_779:
	s_andn2_b64 vcc, exec, s[8:9]
	s_cbranch_vccnz .LBB529_787
; %bb.780:
	s_cmp_gt_i32 s13, 14
	s_mov_b64 s[8:9], -1
	s_cbranch_scc0 .LBB529_784
; %bb.781:
	s_cmp_eq_u32 s13, 15
	s_mov_b64 s[2:3], -1
	s_cbranch_scc0 .LBB529_783
; %bb.782:
	v_cvt_f32_f16_e32 v3, v2
	s_movk_i32 s2, 0x7fff
	v_cmp_o_f16_e32 vcc, v2, v2
	v_mov_b32_e32 v4, 0x7fc0
	v_bfe_u32 v5, v3, 16, 1
	v_add3_u32 v3, v3, v5, s2
	v_cndmask_b32_sdwa v3, v4, v3, vcc dst_sel:DWORD dst_unused:UNUSED_PAD src0_sel:DWORD src1_sel:WORD_1
	global_store_short v[0:1], v3, off
	s_mov_b64 s[6:7], -1
	s_mov_b64 s[2:3], 0
.LBB529_783:
	s_mov_b64 s[8:9], 0
.LBB529_784:
	s_and_b64 vcc, exec, s[8:9]
	s_cbranch_vccz .LBB529_787
; %bb.785:
	s_cmp_eq_u32 s13, 11
	s_mov_b64 s[2:3], -1
	s_cbranch_scc0 .LBB529_787
; %bb.786:
	v_and_b32_e32 v3, 0x7fff, v2
	v_cmp_ne_u16_e32 vcc, 0, v3
	s_mov_b64 s[6:7], -1
	s_mov_b64 s[2:3], 0
	v_cndmask_b32_e64 v3, 0, 1, vcc
	global_store_byte v[0:1], v3, off
.LBB529_787:
	s_mov_b64 s[8:9], 0
.LBB529_788:
	s_and_b64 vcc, exec, s[8:9]
	s_cbranch_vccz .LBB529_827
; %bb.789:
	s_and_b32 s8, 0xffff, s12
	s_cmp_lt_i32 s8, 5
	s_mov_b64 s[6:7], -1
	s_cbranch_scc1 .LBB529_810
; %bb.790:
	s_cmp_lt_i32 s8, 8
	s_cbranch_scc1 .LBB529_800
; %bb.791:
	s_cmp_lt_i32 s8, 9
	s_cbranch_scc1 .LBB529_797
; %bb.792:
	s_cmp_gt_i32 s8, 9
	s_cbranch_scc0 .LBB529_794
; %bb.793:
	v_cvt_f32_f16_e32 v3, v2
	v_mov_b32_e32 v6, 0
	v_mov_b32_e32 v7, v6
	s_mov_b64 s[6:7], 0
	v_cvt_f64_f32_e32 v[4:5], v3
	global_store_dwordx4 v[0:1], v[4:7], off
.LBB529_794:
	s_andn2_b64 vcc, exec, s[6:7]
	s_cbranch_vccnz .LBB529_796
; %bb.795:
	v_cvt_f32_f16_e32 v4, v2
	v_mov_b32_e32 v5, 0
	global_store_dwordx2 v[0:1], v[4:5], off
.LBB529_796:
	s_mov_b64 s[6:7], 0
.LBB529_797:
	s_andn2_b64 vcc, exec, s[6:7]
	s_cbranch_vccnz .LBB529_799
; %bb.798:
	v_and_b32_e32 v3, 0xffff, v2
	global_store_dword v[0:1], v3, off
.LBB529_799:
	s_mov_b64 s[6:7], 0
.LBB529_800:
	s_andn2_b64 vcc, exec, s[6:7]
	s_cbranch_vccnz .LBB529_809
; %bb.801:
	s_cmp_lt_i32 s8, 6
	s_mov_b64 s[6:7], -1
	s_cbranch_scc1 .LBB529_807
; %bb.802:
	s_cmp_gt_i32 s8, 6
	s_cbranch_scc0 .LBB529_804
; %bb.803:
	v_cvt_f32_f16_e32 v3, v2
	s_mov_b64 s[6:7], 0
	v_cvt_f64_f32_e32 v[4:5], v3
	global_store_dwordx2 v[0:1], v[4:5], off
.LBB529_804:
	s_andn2_b64 vcc, exec, s[6:7]
	s_cbranch_vccnz .LBB529_806
; %bb.805:
	v_cvt_f32_f16_e32 v3, v2
	global_store_dword v[0:1], v3, off
.LBB529_806:
	s_mov_b64 s[6:7], 0
.LBB529_807:
	s_andn2_b64 vcc, exec, s[6:7]
	s_cbranch_vccnz .LBB529_809
; %bb.808:
	global_store_short v[0:1], v2, off
.LBB529_809:
	s_mov_b64 s[6:7], 0
.LBB529_810:
	s_andn2_b64 vcc, exec, s[6:7]
	s_cbranch_vccnz .LBB529_826
; %bb.811:
	s_cmp_lt_i32 s8, 2
	s_mov_b64 s[6:7], -1
	s_cbranch_scc1 .LBB529_821
; %bb.812:
	s_cmp_lt_i32 s8, 3
	s_cbranch_scc1 .LBB529_818
; %bb.813:
	s_cmp_gt_i32 s8, 3
	s_cbranch_scc0 .LBB529_815
; %bb.814:
	v_cvt_f32_f16_e32 v3, v2
	s_mov_b64 s[6:7], 0
	v_cvt_i32_f32_e32 v4, v3
	v_ashrrev_i32_e32 v5, 31, v4
	global_store_dwordx2 v[0:1], v[4:5], off
.LBB529_815:
	s_andn2_b64 vcc, exec, s[6:7]
	s_cbranch_vccnz .LBB529_817
; %bb.816:
	v_cvt_f32_f16_e32 v3, v2
	v_cvt_i32_f32_e32 v3, v3
	global_store_dword v[0:1], v3, off
.LBB529_817:
	s_mov_b64 s[6:7], 0
.LBB529_818:
	s_andn2_b64 vcc, exec, s[6:7]
	s_cbranch_vccnz .LBB529_820
; %bb.819:
	v_cvt_i16_f16_e32 v3, v2
	global_store_short v[0:1], v3, off
.LBB529_820:
	s_mov_b64 s[6:7], 0
.LBB529_821:
	s_andn2_b64 vcc, exec, s[6:7]
	s_cbranch_vccnz .LBB529_826
; %bb.822:
	s_cmp_gt_i32 s8, 0
	s_mov_b64 s[6:7], -1
	s_cbranch_scc0 .LBB529_824
; %bb.823:
	v_cvt_i16_f16_e32 v3, v2
	s_mov_b64 s[6:7], 0
	global_store_byte v[0:1], v3, off
.LBB529_824:
	s_andn2_b64 vcc, exec, s[6:7]
	s_cbranch_vccnz .LBB529_826
; %bb.825:
	v_cvt_f32_f16_e32 v2, v2
	v_cvt_i32_f32_e32 v2, v2
	global_store_byte v[0:1], v2, off
.LBB529_826:
	s_mov_b64 s[6:7], -1
.LBB529_827:
	s_andn2_b64 vcc, exec, s[6:7]
	s_cbranch_vccnz .LBB529_829
; %bb.828:
	v_add_u32_e32 v8, 0x80, v8
	s_mov_b64 s[6:7], -1
	s_branch .LBB529_831
.LBB529_829:
	s_mov_b64 s[6:7], 0
.LBB529_830:
                                        ; implicit-def: $vgpr8
.LBB529_831:
	s_andn2_b64 s[8:9], s[64:65], exec
	s_and_b64 s[2:3], s[2:3], exec
	s_or_b64 s[70:71], s[8:9], s[2:3]
	s_andn2_b64 s[2:3], s[62:63], exec
	s_and_b64 s[4:5], s[4:5], exec
	s_or_b64 s[2:3], s[2:3], s[4:5]
	s_orn2_b64 s[6:7], s[6:7], exec
.LBB529_832:
	s_or_b64 exec, exec, s[68:69]
	s_mov_b64 s[4:5], 0
	s_mov_b64 s[10:11], 0
	;; [unrolled: 1-line block ×3, first 2 shown]
                                        ; implicit-def: $vgpr2_vgpr3
                                        ; implicit-def: $vgpr0
                                        ; implicit-def: $vgpr1
	s_and_saveexec_b64 s[68:69], s[6:7]
	s_cbranch_execz .LBB529_932
; %bb.833:
	v_cmp_gt_i32_e32 vcc, s72, v8
	s_mov_b64 s[6:7], 0
	s_mov_b64 s[12:13], s[2:3]
                                        ; implicit-def: $vgpr2_vgpr3
                                        ; implicit-def: $vgpr0
                                        ; implicit-def: $vgpr1
	s_and_saveexec_b64 s[72:73], vcc
	s_cbranch_execz .LBB529_931
; %bb.834:
	s_andn2_b64 vcc, exec, s[42:43]
	s_cbranch_vccnz .LBB529_840
; %bb.835:
	s_andn2_b64 vcc, exec, s[54:55]
	s_cbranch_vccnz .LBB529_841
; %bb.836:
	s_add_i32 s79, s78, 1
	s_cmp_eq_u32 s74, 2
	s_cbranch_scc1 .LBB529_842
; %bb.837:
	s_and_b32 s78, s79, 28
	s_mov_b32 s80, 0
	v_mov_b32_e32 v0, 0
	v_mov_b32_e32 v2, 0
	s_mov_b64 s[54:55], s[34:35]
	v_mov_b32_e32 v4, v8
.LBB529_838:                            ; =>This Inner Loop Header: Depth=1
	s_load_dwordx8 s[12:19], s[54:55], 0x4
	s_load_dwordx4 s[36:39], s[54:55], 0x24
	s_load_dwordx8 s[4:11], s[52:53], 0x0
	s_add_u32 s54, s54, 48
	s_addc_u32 s55, s55, 0
	s_waitcnt vmcnt(0) lgkmcnt(0)
	v_mul_hi_u32 v1, s13, v4
	v_add_u32_e32 v1, v4, v1
	v_lshrrev_b32_e32 v1, s14, v1
	v_mul_lo_u32 v3, v1, s12
	v_mul_hi_u32 v5, s16, v1
	v_sub_u32_e32 v3, v4, v3
	v_add_u32_e32 v4, v1, v5
	v_lshrrev_b32_e32 v4, s17, v4
	v_mul_lo_u32 v6, v4, s15
	v_mul_hi_u32 v7, s19, v4
	v_sub_u32_e32 v1, v1, v6
	v_add_u32_e32 v6, v4, v7
	v_mul_lo_u32 v5, v3, s5
	v_mul_lo_u32 v3, v3, s4
	;; [unrolled: 1-line block ×4, first 2 shown]
	v_lshrrev_b32_e32 v6, s36, v6
	v_add3_u32 v0, v3, v0, v1
	v_mul_hi_u32 v3, s38, v6
	v_add3_u32 v1, v5, v2, v7
	v_mul_lo_u32 v2, v6, s18
	v_add_u32_e32 v3, v6, v3
	v_sub_u32_e32 v2, v4, v2
	v_lshrrev_b32_e32 v4, s39, v3
	s_add_i32 s80, s80, 4
	v_mul_lo_u32 v3, v4, s37
	s_add_u32 s52, s52, 32
	v_sub_u32_e32 v3, v6, v3
	s_addc_u32 s53, s53, 0
	v_mul_lo_u32 v5, v2, s8
	v_mul_lo_u32 v2, v2, s9
	;; [unrolled: 1-line block ×4, first 2 shown]
	s_cmp_eq_u32 s78, s80
	v_add3_u32 v2, v2, v1, v3
	v_add3_u32 v0, v5, v0, v6
	s_cbranch_scc0 .LBB529_838
; %bb.839:
	v_mov_b32_e32 v1, v2
	s_branch .LBB529_843
.LBB529_840:
	s_mov_b64 s[4:5], -1
                                        ; implicit-def: $vgpr2
                                        ; implicit-def: $vgpr0
	s_branch .LBB529_847
.LBB529_841:
	v_mov_b32_e32 v2, 0
	v_mov_b32_e32 v0, 0
	s_branch .LBB529_846
.LBB529_842:
	v_mov_b32_e32 v0, 0
	s_mov_b32 s78, 0
	s_waitcnt vmcnt(0)
	v_mov_b32_e32 v1, v0
                                        ; implicit-def: $vgpr2
	v_mov_b32_e32 v4, v8
.LBB529_843:
	s_and_b32 s8, s79, 3
	s_cmp_eq_u32 s8, 0
	s_cbranch_scc1 .LBB529_846
; %bb.844:
	s_lshl_b32 s4, s78, 3
	s_add_u32 s4, s34, s4
	s_addc_u32 s5, s35, 0
	s_add_u32 s4, s4, 0xc4
	s_addc_u32 s5, s5, 0
	s_mul_i32 s6, s78, 12
	s_add_u32 s6, s34, s6
	s_addc_u32 s7, s35, 0
.LBB529_845:                            ; =>This Inner Loop Header: Depth=1
	s_load_dwordx2 s[10:11], s[6:7], 0x4
	s_load_dword s9, s[6:7], 0xc
	s_load_dwordx2 s[12:13], s[4:5], 0x0
	v_mov_b32_e32 v2, v1
	s_add_u32 s6, s6, 12
	s_waitcnt lgkmcnt(0)
	v_mul_hi_u32 v1, s11, v4
	v_add_u32_e32 v1, v4, v1
	v_lshrrev_b32_e32 v1, s9, v1
	s_addc_u32 s7, s7, 0
	v_mul_lo_u32 v3, v1, s10
	s_add_u32 s4, s4, 8
	v_sub_u32_e32 v5, v4, v3
	s_addc_u32 s5, s5, 0
	s_add_i32 s8, s8, -1
	v_mov_b32_e32 v4, v1
	v_mad_u64_u32 v[2:3], s[10:11], v5, s13, v[2:3]
	v_mad_u64_u32 v[0:1], s[10:11], v5, s12, v[0:1]
	s_cmp_lg_u32 s8, 0
	v_mov_b32_e32 v1, v2
	s_cbranch_scc1 .LBB529_845
.LBB529_846:
	s_mov_b64 s[4:5], 0
.LBB529_847:
	s_andn2_b64 vcc, exec, s[4:5]
	s_cbranch_vccnz .LBB529_850
; %bb.848:
	v_mul_hi_u32 v0, s25, v8
	v_add_u32_e32 v0, v8, v0
	s_waitcnt vmcnt(0)
	v_lshrrev_b32_e32 v1, s26, v0
	v_mul_lo_u32 v0, v1, s24
	v_sub_u32_e32 v0, v8, v0
	v_mul_lo_u32 v2, v0, s29
	s_andn2_b64 vcc, exec, s[50:51]
	v_mul_lo_u32 v0, v0, s28
	s_cbranch_vccnz .LBB529_850
; %bb.849:
	v_mul_hi_u32 v3, s48, v1
	v_add_u32_e32 v3, v1, v3
	v_lshrrev_b32_e32 v3, s49, v3
	v_mul_lo_u32 v3, v3, s27
	v_sub_u32_e32 v3, v1, v3
	v_mad_u64_u32 v[0:1], s[4:5], v3, s30, v[0:1]
	v_mad_u64_u32 v[2:3], s[4:5], v3, s31, v[2:3]
.LBB529_850:
	v_mov_b32_e32 v3, 0
	s_and_b32 s14, 0xffff, s77
	s_cmp_lt_i32 s14, 11
	v_lshl_add_u64 v[2:3], s[22:23], 0, v[2:3]
	s_cbranch_scc1 .LBB529_857
; %bb.851:
	s_cmp_gt_i32 s14, 25
	s_mov_b64 s[6:7], 0
	s_cbranch_scc0 .LBB529_858
; %bb.852:
	s_cmp_gt_i32 s14, 28
	s_cbranch_scc0 .LBB529_859
; %bb.853:
	s_cmp_gt_i32 s14, 43
	;; [unrolled: 3-line block ×3, first 2 shown]
	s_cbranch_scc0 .LBB529_863
; %bb.855:
	s_cmp_eq_u32 s14, 46
	s_mov_b64 s[10:11], 0
	s_cbranch_scc0 .LBB529_866
; %bb.856:
	global_load_dword v1, v[2:3], off
	s_mov_b64 s[4:5], 0
	s_mov_b64 s[8:9], -1
	s_waitcnt vmcnt(0)
	v_lshlrev_b32_e32 v1, 16, v1
	v_cvt_f16_f32_e32 v1, v1
	s_branch .LBB529_867
.LBB529_857:
	s_mov_b64 s[10:11], -1
	s_mov_b64 s[8:9], 0
	s_mov_b64 s[6:7], 0
	s_mov_b64 s[4:5], s[2:3]
                                        ; implicit-def: $vgpr1
	s_branch .LBB529_930
.LBB529_858:
	s_mov_b64 s[10:11], -1
	s_mov_b64 s[8:9], 0
	s_mov_b64 s[4:5], s[2:3]
                                        ; implicit-def: $vgpr1
	s_branch .LBB529_896
.LBB529_859:
	s_mov_b64 s[10:11], -1
	s_mov_b64 s[8:9], 0
	s_mov_b64 s[4:5], s[2:3]
                                        ; implicit-def: $vgpr1
	s_branch .LBB529_877
.LBB529_860:
	s_mov_b64 s[10:11], -1
	s_mov_b64 s[8:9], 0
	s_mov_b64 s[4:5], s[2:3]
                                        ; implicit-def: $vgpr1
	s_branch .LBB529_872
.LBB529_861:
	s_andn2_saveexec_b64 s[10:11], s[10:11]
	s_cbranch_execz .LBB529_740
.LBB529_862:
	s_mov_b32 s14, 0x46000000
	v_add_f32_e64 v4, |v3|, s14
	v_and_b32_e32 v4, 0xff, v4
	v_cmp_ne_u32_e32 vcc, 0, v4
	s_andn2_b64 s[8:9], s[8:9], exec
	s_and_b64 s[14:15], vcc, exec
	s_or_b64 s[8:9], s[8:9], s[14:15]
	s_or_b64 exec, exec, s[10:11]
	v_mov_b32_e32 v5, 0
	s_and_saveexec_b64 s[10:11], s[8:9]
	s_cbranch_execnz .LBB529_741
	s_branch .LBB529_742
.LBB529_863:
	s_mov_b64 s[10:11], -1
	s_mov_b64 s[8:9], 0
	s_mov_b64 s[4:5], s[2:3]
                                        ; implicit-def: $vgpr1
	s_branch .LBB529_867
.LBB529_864:
	s_andn2_saveexec_b64 s[10:11], s[10:11]
	s_cbranch_execz .LBB529_753
.LBB529_865:
	s_mov_b32 s14, 0x42800000
	v_add_f32_e64 v4, |v3|, s14
	v_and_b32_e32 v4, 0xff, v4
	v_cmp_ne_u32_e32 vcc, 0, v4
	s_andn2_b64 s[8:9], s[8:9], exec
	s_and_b64 s[14:15], vcc, exec
	s_or_b64 s[8:9], s[8:9], s[14:15]
	s_or_b64 exec, exec, s[10:11]
	v_mov_b32_e32 v5, 0
	s_and_saveexec_b64 s[10:11], s[8:9]
	s_cbranch_execnz .LBB529_754
	s_branch .LBB529_755
.LBB529_866:
	s_mov_b64 s[4:5], -1
                                        ; implicit-def: $vgpr1
	s_mov_b64 s[8:9], 0
.LBB529_867:
	s_and_b64 vcc, exec, s[10:11]
	s_cbranch_vccz .LBB529_871
; %bb.868:
	s_cmp_eq_u32 s14, 44
	s_cbranch_scc0 .LBB529_870
; %bb.869:
	global_load_ubyte v1, v[2:3], off
	s_movk_i32 s8, 0xff
	v_mov_b32_e32 v5, 0x7e00
	s_mov_b64 s[4:5], 0
	s_waitcnt vmcnt(0)
	v_lshlrev_b32_e32 v4, 23, v1
	v_cvt_f16_f32_e32 v4, v4
	v_cmp_ne_u32_e32 vcc, s8, v1
	s_mov_b64 s[8:9], -1
	s_nop 0
	v_cndmask_b32_e32 v4, v5, v4, vcc
	v_cmp_ne_u32_e32 vcc, 0, v1
	s_nop 1
	v_cndmask_b32_e32 v1, 0, v4, vcc
	s_branch .LBB529_871
.LBB529_870:
	s_mov_b64 s[4:5], -1
                                        ; implicit-def: $vgpr1
.LBB529_871:
	s_mov_b64 s[10:11], 0
.LBB529_872:
	s_and_b64 vcc, exec, s[10:11]
	s_cbranch_vccz .LBB529_876
; %bb.873:
	s_cmp_eq_u32 s14, 29
	s_cbranch_scc0 .LBB529_875
; %bb.874:
	global_load_dwordx2 v[4:5], v[2:3], off
	s_mov_b64 s[4:5], 0
	s_mov_b64 s[8:9], -1
	s_mov_b64 s[10:11], 0
	s_waitcnt vmcnt(0)
	v_ffbh_u32_e32 v1, v5
	v_min_u32_e32 v1, 32, v1
	v_lshlrev_b64 v[4:5], v1, v[4:5]
	v_min_u32_e32 v4, 1, v4
	v_or_b32_e32 v4, v5, v4
	v_cvt_f32_u32_e32 v4, v4
	v_sub_u32_e32 v1, 32, v1
	v_ldexp_f32 v1, v4, v1
	v_cvt_f16_f32_e32 v1, v1
	s_branch .LBB529_877
.LBB529_875:
	s_mov_b64 s[4:5], -1
                                        ; implicit-def: $vgpr1
.LBB529_876:
	s_mov_b64 s[10:11], 0
.LBB529_877:
	s_and_b64 vcc, exec, s[10:11]
	s_cbranch_vccz .LBB529_895
; %bb.878:
	s_cmp_lt_i32 s14, 27
	s_cbranch_scc1 .LBB529_881
; %bb.879:
	s_cmp_gt_i32 s14, 27
	s_cbranch_scc0 .LBB529_882
; %bb.880:
	global_load_dword v1, v[2:3], off
	s_mov_b64 s[8:9], 0
	s_waitcnt vmcnt(0)
	v_cvt_f32_u32_e32 v1, v1
	v_cvt_f16_f32_e32 v1, v1
	s_branch .LBB529_883
.LBB529_881:
	s_mov_b64 s[8:9], -1
                                        ; implicit-def: $vgpr1
	s_branch .LBB529_886
.LBB529_882:
	s_mov_b64 s[8:9], -1
                                        ; implicit-def: $vgpr1
.LBB529_883:
	s_andn2_b64 vcc, exec, s[8:9]
	s_cbranch_vccnz .LBB529_885
; %bb.884:
	global_load_ushort v1, v[2:3], off
	s_waitcnt vmcnt(0)
	v_cvt_f16_u16_e32 v1, v1
.LBB529_885:
	s_mov_b64 s[8:9], 0
.LBB529_886:
	s_andn2_b64 vcc, exec, s[8:9]
	s_cbranch_vccnz .LBB529_894
; %bb.887:
	global_load_ubyte v4, v[2:3], off
	s_movk_i32 s8, 0x7f
	s_waitcnt vmcnt(0)
	v_cmp_lt_i16_e32 vcc, s8, v4
	s_mov_b64 s[8:9], 0
	s_and_saveexec_b64 s[10:11], vcc
	s_xor_b64 s[10:11], exec, s[10:11]
	s_cbranch_execz .LBB529_908
; %bb.888:
	s_movk_i32 s8, 0x80
	v_cmp_eq_u16_e32 vcc, s8, v4
	s_mov_b64 s[8:9], -1
	s_and_saveexec_b64 s[12:13], vcc
; %bb.889:
	s_xor_b64 s[8:9], exec, -1
; %bb.890:
	s_or_b64 exec, exec, s[12:13]
	s_and_b64 s[8:9], s[8:9], exec
	s_or_saveexec_b64 s[10:11], s[10:11]
	v_mov_b32_e32 v1, 0x7e00
	s_xor_b64 exec, exec, s[10:11]
	s_cbranch_execnz .LBB529_909
.LBB529_891:
	s_or_b64 exec, exec, s[10:11]
	s_and_saveexec_b64 s[10:11], s[8:9]
	s_cbranch_execz .LBB529_893
.LBB529_892:
	v_lshlrev_b32_e32 v1, 24, v4
	v_and_b32_e32 v4, 0xffff, v4
	v_and_b32_e32 v5, 7, v4
	v_ffbh_u32_e32 v7, v5
	v_min_u32_e32 v7, 32, v7
	v_subrev_u32_e32 v8, 28, v7
	v_bfe_u32 v6, v4, 3, 4
	v_lshlrev_b32_e32 v4, v8, v4
	v_sub_u32_e32 v7, 29, v7
	v_and_b32_e32 v4, 7, v4
	v_cmp_eq_u32_e32 vcc, 0, v6
	v_and_b32_e32 v1, 0x80000000, v1
	s_nop 0
	v_cndmask_b32_e32 v6, v6, v7, vcc
	v_cndmask_b32_e32 v4, v5, v4, vcc
	v_mov_b32_e32 v5, 0x3b800000
	v_lshlrev_b32_e32 v4, 20, v4
	v_lshl_add_u32 v5, v6, 23, v5
	v_or3_b32 v1, v1, v5, v4
	v_cvt_f16_f32_e32 v1, v1
.LBB529_893:
	s_or_b64 exec, exec, s[10:11]
.LBB529_894:
	s_mov_b64 s[8:9], -1
.LBB529_895:
	s_mov_b64 s[10:11], 0
.LBB529_896:
	s_and_b64 vcc, exec, s[10:11]
	s_cbranch_vccz .LBB529_929
; %bb.897:
	s_cmp_gt_i32 s14, 22
	s_cbranch_scc0 .LBB529_907
; %bb.898:
	s_cmp_lt_i32 s14, 24
	s_cbranch_scc1 .LBB529_910
; %bb.899:
	s_cmp_gt_i32 s14, 24
	s_cbranch_scc0 .LBB529_911
; %bb.900:
	global_load_ubyte v4, v[2:3], off
	s_movk_i32 s6, 0x7f
	s_waitcnt vmcnt(0)
	v_cmp_lt_i16_e32 vcc, s6, v4
	s_mov_b64 s[6:7], 0
	s_and_saveexec_b64 s[8:9], vcc
	s_xor_b64 s[8:9], exec, s[8:9]
	s_cbranch_execz .LBB529_923
; %bb.901:
	s_movk_i32 s6, 0x80
	v_cmp_eq_u16_e32 vcc, s6, v4
	s_mov_b64 s[6:7], -1
	s_and_saveexec_b64 s[10:11], vcc
; %bb.902:
	s_xor_b64 s[6:7], exec, -1
; %bb.903:
	s_or_b64 exec, exec, s[10:11]
	s_and_b64 s[6:7], s[6:7], exec
	s_or_saveexec_b64 s[8:9], s[8:9]
	v_mov_b32_e32 v1, 0x7e00
	s_xor_b64 exec, exec, s[8:9]
	s_cbranch_execnz .LBB529_924
.LBB529_904:
	s_or_b64 exec, exec, s[8:9]
	s_and_saveexec_b64 s[8:9], s[6:7]
	s_cbranch_execz .LBB529_906
.LBB529_905:
	v_lshlrev_b32_e32 v1, 24, v4
	v_and_b32_e32 v4, 0xffff, v4
	v_and_b32_e32 v5, 3, v4
	v_ffbh_u32_e32 v7, v5
	v_min_u32_e32 v7, 32, v7
	v_subrev_u32_e32 v8, 29, v7
	v_bfe_u32 v6, v4, 2, 5
	v_lshlrev_b32_e32 v4, v8, v4
	v_sub_u32_e32 v7, 30, v7
	v_and_b32_e32 v4, 3, v4
	v_cmp_eq_u32_e32 vcc, 0, v6
	v_and_b32_e32 v1, 0x80000000, v1
	s_nop 0
	v_cndmask_b32_e32 v6, v6, v7, vcc
	v_cndmask_b32_e32 v4, v5, v4, vcc
	v_mov_b32_e32 v5, 0x37800000
	v_lshlrev_b32_e32 v4, 21, v4
	v_lshl_add_u32 v5, v6, 23, v5
	v_or3_b32 v1, v1, v5, v4
	v_cvt_f16_f32_e32 v1, v1
.LBB529_906:
	s_or_b64 exec, exec, s[8:9]
	s_mov_b64 s[6:7], 0
	s_branch .LBB529_912
.LBB529_907:
	s_mov_b64 s[6:7], -1
                                        ; implicit-def: $vgpr1
	s_branch .LBB529_918
.LBB529_908:
	s_or_saveexec_b64 s[10:11], s[10:11]
	v_mov_b32_e32 v1, 0x7e00
	s_xor_b64 exec, exec, s[10:11]
	s_cbranch_execz .LBB529_891
.LBB529_909:
	v_cmp_ne_u16_e32 vcc, 0, v4
	s_andn2_b64 s[8:9], s[8:9], exec
	s_and_b64 s[12:13], vcc, exec
	s_or_b64 s[8:9], s[8:9], s[12:13]
	v_mov_b32_e32 v1, v4
	s_or_b64 exec, exec, s[10:11]
	s_and_saveexec_b64 s[10:11], s[8:9]
	s_cbranch_execnz .LBB529_892
	s_branch .LBB529_893
.LBB529_910:
	s_mov_b64 s[6:7], -1
                                        ; implicit-def: $vgpr1
	s_branch .LBB529_915
.LBB529_911:
	s_mov_b64 s[6:7], -1
                                        ; implicit-def: $vgpr1
.LBB529_912:
	s_and_b64 vcc, exec, s[6:7]
	s_cbranch_vccz .LBB529_914
; %bb.913:
	global_load_ubyte v1, v[2:3], off
	s_mov_b32 s6, 0x7f800000
	s_waitcnt vmcnt(0)
	v_lshlrev_b32_e32 v1, 24, v1
	v_and_b32_e32 v4, 0x7f000000, v1
	v_ffbh_u32_e32 v5, v4
	v_min_u32_e32 v5, 32, v5
	v_sub_u32_e64 v5, v5, 4 clamp
	v_lshlrev_b32_e32 v7, v5, v4
	v_lshlrev_b32_e32 v5, 23, v5
	v_lshrrev_b32_e32 v7, 4, v7
	v_add_u32_e32 v6, 0x1000000, v4
	v_sub_u32_e32 v5, v7, v5
	v_ashrrev_i32_e32 v6, 8, v6
	v_add_u32_e32 v5, 0x3c000000, v5
	v_and_or_b32 v5, v6, s6, v5
	v_cmp_ne_u32_e32 vcc, 0, v4
	s_brev_b32 s6, 1
	s_nop 0
	v_cndmask_b32_e32 v4, 0, v5, vcc
	v_and_or_b32 v1, v1, s6, v4
	v_cvt_f16_f32_e32 v1, v1
.LBB529_914:
	s_mov_b64 s[6:7], 0
.LBB529_915:
	s_andn2_b64 vcc, exec, s[6:7]
	s_cbranch_vccnz .LBB529_917
; %bb.916:
	global_load_ubyte v1, v[2:3], off
	s_movk_i32 s6, 0x7f00
	s_brev_b32 s7, 16
	s_waitcnt vmcnt(0)
	v_lshlrev_b16_e32 v4, 8, v1
	v_lshlrev_b32_e32 v1, 25, v1
	v_lshrrev_b32_e32 v5, 4, v1
	v_and_or_b32 v6, v4, s6, 0.5
	v_or_b32_e32 v5, 0x70000000, v5
	v_add_f32_e32 v6, -0.5, v6
	v_mul_f32_e32 v5, 0x7800000, v5
	v_cmp_gt_u32_e32 vcc, s7, v1
	v_bfe_i32 v4, v4, 0, 16
	s_brev_b32 s6, 1
	v_cndmask_b32_e32 v1, v5, v6, vcc
	v_and_or_b32 v1, v4, s6, v1
	v_cvt_f16_f32_e32 v1, v1
.LBB529_917:
	s_mov_b64 s[6:7], 0
	s_mov_b64 s[8:9], -1
.LBB529_918:
	s_andn2_b64 vcc, exec, s[6:7]
	s_mov_b64 s[6:7], 0
	s_cbranch_vccnz .LBB529_929
; %bb.919:
	s_cmp_gt_i32 s14, 14
	s_cbranch_scc0 .LBB529_922
; %bb.920:
	s_cmp_eq_u32 s14, 15
	s_cbranch_scc0 .LBB529_925
; %bb.921:
	global_load_ushort v1, v[2:3], off
	s_mov_b64 s[4:5], 0
	s_mov_b64 s[8:9], -1
	s_waitcnt vmcnt(0)
	v_lshlrev_b32_e32 v1, 16, v1
	v_cvt_f16_f32_e32 v1, v1
	s_branch .LBB529_926
.LBB529_922:
	s_mov_b64 s[10:11], -1
                                        ; implicit-def: $vgpr1
	s_branch .LBB529_927
.LBB529_923:
	s_or_saveexec_b64 s[8:9], s[8:9]
	v_mov_b32_e32 v1, 0x7e00
	s_xor_b64 exec, exec, s[8:9]
	s_cbranch_execz .LBB529_904
.LBB529_924:
	v_cmp_ne_u16_e32 vcc, 0, v4
	s_andn2_b64 s[6:7], s[6:7], exec
	s_and_b64 s[10:11], vcc, exec
	s_or_b64 s[6:7], s[6:7], s[10:11]
	v_mov_b32_e32 v1, v4
	s_or_b64 exec, exec, s[8:9]
	s_and_saveexec_b64 s[8:9], s[6:7]
	s_cbranch_execnz .LBB529_905
	s_branch .LBB529_906
.LBB529_925:
	s_mov_b64 s[4:5], -1
                                        ; implicit-def: $vgpr1
.LBB529_926:
	s_mov_b64 s[10:11], 0
.LBB529_927:
	s_and_b64 vcc, exec, s[10:11]
	s_cbranch_vccz .LBB529_929
; %bb.928:
	s_cmp_lg_u32 s14, 11
	s_cselect_b64 s[10:11], -1, 0
	s_andn2_b64 s[4:5], s[4:5], exec
	s_and_b64 s[10:11], s[10:11], exec
	s_mov_b64 s[6:7], -1
	s_or_b64 s[4:5], s[4:5], s[10:11]
.LBB529_929:
	s_mov_b64 s[10:11], 0
.LBB529_930:
	s_andn2_b64 s[12:13], s[2:3], exec
	s_and_b64 s[4:5], s[4:5], exec
	s_and_b64 s[8:9], s[8:9], exec
	;; [unrolled: 1-line block ×4, first 2 shown]
	s_or_b64 s[12:13], s[12:13], s[4:5]
.LBB529_931:
	s_or_b64 exec, exec, s[72:73]
	s_and_b64 s[4:5], s[6:7], exec
	s_andn2_b64 s[2:3], s[2:3], exec
	s_and_b64 s[6:7], s[12:13], exec
	s_and_b64 s[8:9], s[8:9], exec
	;; [unrolled: 1-line block ×3, first 2 shown]
	s_or_b64 s[2:3], s[2:3], s[6:7]
.LBB529_932:
	s_or_b64 exec, exec, s[68:69]
	s_andn2_b64 s[6:7], s[64:65], exec
	s_and_b64 s[12:13], s[70:71], exec
	s_or_b64 s[64:65], s[6:7], s[12:13]
	s_and_b64 s[6:7], s[10:11], exec
	s_andn2_b64 s[10:11], s[62:63], exec
	s_and_b64 s[2:3], s[2:3], exec
	s_and_b64 s[8:9], s[8:9], exec
	;; [unrolled: 1-line block ×3, first 2 shown]
	s_or_b64 s[62:63], s[10:11], s[2:3]
.LBB529_933:
	s_or_b64 exec, exec, s[66:67]
	s_andn2_b64 s[2:3], s[56:57], exec
	s_and_b64 s[10:11], s[64:65], exec
	s_or_b64 s[56:57], s[2:3], s[10:11]
	s_and_b64 s[2:3], s[8:9], exec
	s_and_b64 s[8:9], s[6:7], exec
	;; [unrolled: 1-line block ×3, first 2 shown]
	s_andn2_b64 s[4:5], s[58:59], exec
	s_and_b64 s[6:7], s[62:63], exec
	s_or_b64 s[58:59], s[4:5], s[6:7]
	s_or_b64 exec, exec, s[60:61]
	s_mov_b64 s[4:5], 0
	s_and_saveexec_b64 s[6:7], s[58:59]
	s_cbranch_execz .LBB529_280
.LBB529_934:
	s_mov_b64 s[4:5], exec
	s_andn2_b64 s[64:65], s[64:65], exec
	s_trap 2
	s_or_b64 exec, exec, s[6:7]
	s_and_saveexec_b64 s[6:7], s[64:65]
	s_xor_b64 s[6:7], exec, s[6:7]
	s_cbranch_execnz .LBB529_281
.LBB529_935:
	s_or_b64 exec, exec, s[6:7]
	s_and_saveexec_b64 s[6:7], s[8:9]
	s_cbranch_execz .LBB529_981
.LBB529_936:
	s_sext_i32_i16 s8, s77
	s_cmp_lt_i32 s8, 5
	s_cbranch_scc1 .LBB529_941
; %bb.937:
	s_cmp_lt_i32 s8, 8
	s_cbranch_scc1 .LBB529_942
; %bb.938:
	;; [unrolled: 3-line block ×3, first 2 shown]
	s_cmp_gt_i32 s8, 9
	s_cbranch_scc0 .LBB529_944
; %bb.940:
	global_load_dwordx2 v[4:5], v[2:3], off
	s_movk_i32 s8, 0x1ff
	s_movk_i32 s9, 0xffe
	s_waitcnt vmcnt(1)
	v_mov_b32_e32 v1, 0x7c00
	v_mov_b32_e32 v6, 0x7e00
	s_movk_i32 s10, 0x40f
	s_mov_b32 s11, 0x8000
	s_waitcnt vmcnt(0)
	v_and_or_b32 v4, v5, s8, v4
	v_cmp_ne_u32_e32 vcc, 0, v4
	v_lshrrev_b32_e32 v7, 8, v5
	v_bfe_u32 v8, v5, 20, 11
	v_cndmask_b32_e64 v4, 0, 1, vcc
	v_sub_u32_e32 v9, 0x3f1, v8
	v_and_or_b32 v4, v7, s9, v4
	v_add_u32_e32 v8, 0xfffffc10, v8
	v_med3_i32 v7, v9, 0, 13
	v_or_b32_e32 v9, 0x1000, v4
	v_cmp_ne_u32_e32 vcc, 0, v4
	v_lshl_or_b32 v10, v8, 12, v4
	v_lshrrev_b32_e32 v5, 16, v5
	v_cndmask_b32_e32 v4, v1, v6, vcc
	v_lshrrev_b32_e32 v6, v7, v9
	v_lshlrev_b32_e32 v7, v7, v6
	v_cmp_ne_u32_e32 vcc, v7, v9
	s_mov_b64 s[8:9], 0
	s_nop 0
	v_cndmask_b32_e64 v7, 0, 1, vcc
	v_or_b32_e32 v6, v6, v7
	v_cmp_gt_i32_e32 vcc, 1, v8
	s_nop 1
	v_cndmask_b32_e32 v6, v10, v6, vcc
	v_and_b32_e32 v7, 7, v6
	v_cmp_lt_i32_e32 vcc, 5, v7
	v_lshrrev_b32_e32 v6, 2, v6
	s_nop 0
	v_cndmask_b32_e64 v9, 0, 1, vcc
	v_cmp_eq_u32_e32 vcc, 3, v7
	s_nop 1
	v_cndmask_b32_e64 v7, 0, 1, vcc
	v_or_b32_e32 v7, v7, v9
	v_add_u32_e32 v6, v6, v7
	v_cmp_gt_i32_e32 vcc, 31, v8
	s_nop 1
	v_cndmask_b32_e32 v1, v1, v6, vcc
	v_cmp_eq_u32_e32 vcc, s10, v8
	s_nop 1
	v_cndmask_b32_e32 v1, v1, v4, vcc
	v_and_or_b32 v1, v5, s11, v1
	s_branch .LBB529_945
.LBB529_941:
                                        ; implicit-def: $vgpr1
	s_branch .LBB529_962
.LBB529_942:
                                        ; implicit-def: $vgpr1
	s_branch .LBB529_951
.LBB529_943:
	s_mov_b64 s[8:9], -1
                                        ; implicit-def: $vgpr1
	s_branch .LBB529_948
.LBB529_944:
	s_mov_b64 s[8:9], -1
                                        ; implicit-def: $vgpr1
.LBB529_945:
	s_andn2_b64 vcc, exec, s[8:9]
	s_cbranch_vccnz .LBB529_947
; %bb.946:
	global_load_dword v1, v[2:3], off
	s_waitcnt vmcnt(0)
	v_cvt_f16_f32_e32 v1, v1
.LBB529_947:
	s_mov_b64 s[8:9], 0
.LBB529_948:
	s_andn2_b64 vcc, exec, s[8:9]
	s_cbranch_vccnz .LBB529_950
; %bb.949:
	global_load_dword v1, v[2:3], off
.LBB529_950:
	s_cbranch_execnz .LBB529_961
.LBB529_951:
	s_sext_i32_i16 s8, s77
	s_cmp_lt_i32 s8, 6
	s_cbranch_scc1 .LBB529_954
; %bb.952:
	s_cmp_gt_i32 s8, 6
	s_cbranch_scc0 .LBB529_955
; %bb.953:
	global_load_dwordx2 v[4:5], v[2:3], off
	s_movk_i32 s8, 0x1ff
	s_movk_i32 s9, 0xffe
	s_waitcnt vmcnt(1)
	v_mov_b32_e32 v1, 0x7c00
	v_mov_b32_e32 v6, 0x7e00
	s_movk_i32 s10, 0x40f
	s_mov_b32 s11, 0x8000
	s_waitcnt vmcnt(0)
	v_and_or_b32 v4, v5, s8, v4
	v_cmp_ne_u32_e32 vcc, 0, v4
	v_lshrrev_b32_e32 v7, 8, v5
	v_bfe_u32 v8, v5, 20, 11
	v_cndmask_b32_e64 v4, 0, 1, vcc
	v_sub_u32_e32 v9, 0x3f1, v8
	v_and_or_b32 v4, v7, s9, v4
	v_add_u32_e32 v8, 0xfffffc10, v8
	v_med3_i32 v7, v9, 0, 13
	v_or_b32_e32 v9, 0x1000, v4
	v_cmp_ne_u32_e32 vcc, 0, v4
	v_lshl_or_b32 v10, v8, 12, v4
	v_lshrrev_b32_e32 v5, 16, v5
	v_cndmask_b32_e32 v4, v1, v6, vcc
	v_lshrrev_b32_e32 v6, v7, v9
	v_lshlrev_b32_e32 v7, v7, v6
	v_cmp_ne_u32_e32 vcc, v7, v9
	s_mov_b64 s[8:9], 0
	s_nop 0
	v_cndmask_b32_e64 v7, 0, 1, vcc
	v_or_b32_e32 v6, v6, v7
	v_cmp_gt_i32_e32 vcc, 1, v8
	s_nop 1
	v_cndmask_b32_e32 v6, v10, v6, vcc
	v_and_b32_e32 v7, 7, v6
	v_cmp_lt_i32_e32 vcc, 5, v7
	v_lshrrev_b32_e32 v6, 2, v6
	s_nop 0
	v_cndmask_b32_e64 v9, 0, 1, vcc
	v_cmp_eq_u32_e32 vcc, 3, v7
	s_nop 1
	v_cndmask_b32_e64 v7, 0, 1, vcc
	v_or_b32_e32 v7, v7, v9
	v_add_u32_e32 v6, v6, v7
	v_cmp_gt_i32_e32 vcc, 31, v8
	s_nop 1
	v_cndmask_b32_e32 v1, v1, v6, vcc
	v_cmp_eq_u32_e32 vcc, s10, v8
	s_nop 1
	v_cndmask_b32_e32 v1, v1, v4, vcc
	v_and_or_b32 v1, v5, s11, v1
	s_branch .LBB529_956
.LBB529_954:
	s_mov_b64 s[8:9], -1
                                        ; implicit-def: $vgpr1
	s_branch .LBB529_959
.LBB529_955:
	s_mov_b64 s[8:9], -1
                                        ; implicit-def: $vgpr1
.LBB529_956:
	s_andn2_b64 vcc, exec, s[8:9]
	s_cbranch_vccnz .LBB529_958
; %bb.957:
	global_load_dword v1, v[2:3], off
	s_waitcnt vmcnt(0)
	v_cvt_f16_f32_e32 v1, v1
.LBB529_958:
	s_mov_b64 s[8:9], 0
.LBB529_959:
	s_andn2_b64 vcc, exec, s[8:9]
	s_cbranch_vccnz .LBB529_961
; %bb.960:
	global_load_ushort v1, v[2:3], off
.LBB529_961:
	s_cbranch_execnz .LBB529_980
.LBB529_962:
	s_sext_i32_i16 s8, s77
	s_cmp_lt_i32 s8, 2
	s_cbranch_scc1 .LBB529_966
; %bb.963:
	s_cmp_lt_i32 s8, 3
	s_cbranch_scc1 .LBB529_967
; %bb.964:
	s_cmp_gt_i32 s8, 3
	s_cbranch_scc0 .LBB529_968
; %bb.965:
	global_load_dwordx2 v[4:5], v[2:3], off
	s_mov_b64 s[8:9], 0
	s_waitcnt vmcnt(0)
	v_xor_b32_e32 v6, v4, v5
	v_ffbh_i32_e32 v1, v5
	v_ashrrev_i32_e32 v6, 31, v6
	v_add_u32_e32 v1, -1, v1
	v_add_u32_e32 v6, 32, v6
	v_min_u32_e32 v1, v1, v6
	v_lshlrev_b64 v[4:5], v1, v[4:5]
	v_min_u32_e32 v4, 1, v4
	v_or_b32_e32 v4, v5, v4
	v_cvt_f32_i32_e32 v4, v4
	v_sub_u32_e32 v1, 32, v1
	v_ldexp_f32 v1, v4, v1
	v_cvt_f16_f32_e32 v1, v1
	s_branch .LBB529_969
.LBB529_966:
                                        ; implicit-def: $vgpr1
	s_branch .LBB529_975
.LBB529_967:
	s_mov_b64 s[8:9], -1
                                        ; implicit-def: $vgpr1
	s_branch .LBB529_972
.LBB529_968:
	s_mov_b64 s[8:9], -1
                                        ; implicit-def: $vgpr1
.LBB529_969:
	s_andn2_b64 vcc, exec, s[8:9]
	s_cbranch_vccnz .LBB529_971
; %bb.970:
	global_load_dword v1, v[2:3], off
	s_waitcnt vmcnt(0)
	v_cvt_f32_i32_e32 v1, v1
	v_cvt_f16_f32_e32 v1, v1
.LBB529_971:
	s_mov_b64 s[8:9], 0
.LBB529_972:
	s_andn2_b64 vcc, exec, s[8:9]
	s_cbranch_vccnz .LBB529_974
; %bb.973:
	global_load_ushort v1, v[2:3], off
	s_waitcnt vmcnt(0)
	v_cvt_f16_i16_e32 v1, v1
.LBB529_974:
	s_cbranch_execnz .LBB529_980
.LBB529_975:
	s_sext_i32_i16 s8, s77
	s_cmp_gt_i32 s8, 0
	s_cbranch_scc0 .LBB529_977
; %bb.976:
	global_load_sbyte v1, v[2:3], off
	s_mov_b64 s[8:9], 0
	s_waitcnt vmcnt(0)
	v_cvt_f16_i16_e32 v1, v1
	s_branch .LBB529_978
.LBB529_977:
	s_mov_b64 s[8:9], -1
                                        ; implicit-def: $vgpr1
.LBB529_978:
	s_andn2_b64 vcc, exec, s[8:9]
	s_cbranch_vccnz .LBB529_980
; %bb.979:
	global_load_ubyte v1, v[2:3], off
	s_waitcnt vmcnt(0)
	v_cvt_f16_u16_e32 v1, v1
.LBB529_980:
	s_or_b64 s[2:3], s[2:3], exec
.LBB529_981:
	s_or_b64 exec, exec, s[6:7]
	s_mov_b64 s[10:11], 0
	s_mov_b64 s[8:9], 0
                                        ; implicit-def: $sgpr16
                                        ; implicit-def: $vgpr2_vgpr3
                                        ; implicit-def: $vgpr4
	s_and_saveexec_b64 s[6:7], s[2:3]
	s_cbranch_execz .LBB529_1003
; %bb.982:
	s_waitcnt vmcnt(0)
	v_cmp_o_f16_e32 vcc, v1, v1
	v_mov_b32_e32 v4, s46
	s_and_saveexec_b64 s[2:3], vcc
	s_cbranch_execz .LBB529_986
; %bb.983:
	s_movk_i32 s8, 0x7c00
	v_cmp_neq_f16_e32 vcc, s8, v1
	v_mov_b32_e32 v4, s76
	s_and_saveexec_b64 s[8:9], vcc
; %bb.984:
	s_mov_b32 s10, 0xfc00
	v_mov_b32_e32 v2, s47
	v_cmp_eq_f16_e32 vcc, s10, v1
	s_nop 1
	v_cndmask_b32_e32 v4, v1, v2, vcc
; %bb.985:
	s_or_b64 exec, exec, s[8:9]
.LBB529_986:
	s_or_b64 exec, exec, s[2:3]
	v_mov_b32_e32 v1, 0
	s_and_b32 s16, s75, 0xff
	s_cmp_lt_i32 s16, 11
	v_lshl_add_u64 v[2:3], s[20:21], 0, v[0:1]
	s_cbranch_scc1 .LBB529_1006
; %bb.987:
	s_and_b32 s17, 0xffff, s16
	s_mov_b64 s[10:11], -1
	s_cmp_gt_i32 s17, 25
	s_mov_b64 s[2:3], s[56:57]
	s_cbranch_scc0 .LBB529_1024
; %bb.988:
	s_mov_b64 s[8:9], -1
	s_cmp_gt_i32 s17, 28
	s_mov_b64 s[2:3], s[56:57]
	s_cbranch_scc0 .LBB529_1008
; %bb.989:
	s_cmp_gt_i32 s17, 43
	s_mov_b64 s[2:3], s[56:57]
	s_cbranch_scc0 .LBB529_1000
; %bb.990:
	;; [unrolled: 4-line block ×3, first 2 shown]
	s_cmp_eq_u32 s17, 46
	s_mov_b64 s[2:3], -1
	s_cbranch_scc0 .LBB529_993
; %bb.992:
	v_cvt_f32_f16_e32 v0, v4
	s_movk_i32 s2, 0x7fff
	v_cmp_o_f16_e32 vcc, v4, v4
	v_mov_b32_e32 v1, 0x7fc0
	v_bfe_u32 v5, v0, 16, 1
	v_add3_u32 v0, v0, v5, s2
	v_cndmask_b32_sdwa v0, v1, v0, vcc dst_sel:DWORD dst_unused:UNUSED_PAD src0_sel:DWORD src1_sel:WORD_1
	global_store_dword v[2:3], v0, off
	s_mov_b64 s[2:3], 0
.LBB529_993:
	s_mov_b64 s[8:9], 0
.LBB529_994:
	s_and_b64 vcc, exec, s[8:9]
	s_cbranch_vccz .LBB529_999
; %bb.995:
	s_cmp_eq_u32 s17, 44
	s_mov_b64 s[2:3], -1
	s_cbranch_scc0 .LBB529_999
; %bb.996:
	v_cvt_f32_f16_e32 v0, v4
	s_movk_i32 s2, 0xff
	v_mov_b32_e32 v5, 0xff
	v_bfe_u32 v1, v0, 23, 8
	v_cmp_ne_u32_e32 vcc, s2, v1
	s_and_saveexec_b64 s[8:9], vcc
; %bb.997:
	s_mov_b32 s2, 0x3fffff
	v_lshrrev_b32_e32 v5, 23, v0
	v_and_b32_e32 v6, 0x400000, v0
	v_and_or_b32 v0, v0, s2, v1
	v_cmp_ne_u32_e32 vcc, 0, v6
	v_cmp_ne_u32_e64 s[2:3], 0, v0
	s_and_b64 s[2:3], vcc, s[2:3]
	s_nop 0
	v_cndmask_b32_e64 v0, 0, 1, s[2:3]
	v_add_u32_e32 v5, v5, v0
; %bb.998:
	s_or_b64 exec, exec, s[8:9]
	s_mov_b64 s[2:3], 0
	global_store_byte v[2:3], v5, off
.LBB529_999:
	s_mov_b64 s[8:9], 0
.LBB529_1000:
	s_and_b64 vcc, exec, s[8:9]
	s_cbranch_vccz .LBB529_1007
; %bb.1001:
	s_cmp_eq_u32 s17, 29
	s_mov_b64 s[2:3], -1
	s_cbranch_scc0 .LBB529_1007
; %bb.1002:
	v_cvt_f32_f16_e32 v0, v4
	v_mov_b32_e32 v1, 0
	s_mov_b64 s[2:3], 0
	s_mov_b64 s[8:9], 0
	v_cvt_u32_f32_e32 v0, v0
	global_store_dwordx2 v[2:3], v[0:1], off
	s_branch .LBB529_1008
.LBB529_1003:
	s_or_b64 exec, exec, s[6:7]
	s_and_saveexec_b64 s[2:3], s[56:57]
	s_cbranch_execnz .LBB529_1066
.LBB529_1004:
	s_or_b64 exec, exec, s[2:3]
	s_and_saveexec_b64 s[2:3], s[10:11]
	s_xor_b64 s[2:3], exec, s[2:3]
	s_cbranch_execz .LBB529_1067
.LBB529_1005:
	v_and_b32_e32 v0, 0x7fff, v4
	v_cmp_ne_u16_e32 vcc, 0, v0
	s_nop 1
	v_cndmask_b32_e64 v0, 0, 1, vcc
	global_store_byte v[2:3], v0, off
	s_or_b64 exec, exec, s[2:3]
	s_and_saveexec_b64 s[2:3], s[8:9]
	s_xor_b64 s[2:3], exec, s[2:3]
	s_cbranch_execz .LBB529_1105
	s_branch .LBB529_1068
.LBB529_1006:
	s_mov_b64 s[10:11], 0
	s_mov_b64 s[8:9], -1
	s_mov_b64 s[2:3], s[56:57]
	s_branch .LBB529_1065
.LBB529_1007:
	s_mov_b64 s[8:9], 0
.LBB529_1008:
	s_and_b64 vcc, exec, s[8:9]
	s_cbranch_vccz .LBB529_1023
; %bb.1009:
	s_cmp_lt_i32 s17, 27
	s_mov_b64 s[8:9], -1
	s_cbranch_scc1 .LBB529_1015
; %bb.1010:
	s_cmp_gt_i32 s17, 27
	s_cbranch_scc0 .LBB529_1012
; %bb.1011:
	v_cvt_f32_f16_e32 v0, v4
	s_mov_b64 s[8:9], 0
	v_cvt_u32_f32_e32 v0, v0
	global_store_dword v[2:3], v0, off
.LBB529_1012:
	s_andn2_b64 vcc, exec, s[8:9]
	s_cbranch_vccnz .LBB529_1014
; %bb.1013:
	v_cvt_u16_f16_e32 v0, v4
	global_store_short v[2:3], v0, off
.LBB529_1014:
	s_mov_b64 s[8:9], 0
.LBB529_1015:
	s_andn2_b64 vcc, exec, s[8:9]
	s_cbranch_vccnz .LBB529_1023
; %bb.1016:
	v_cvt_f32_f16_e32 v0, v4
	s_mov_b32 s8, 0x43800000
	v_mov_b32_e32 v5, 0x80
	v_and_b32_e32 v1, 0x7fffffff, v0
	v_cmp_gt_u32_e32 vcc, s8, v1
	s_and_saveexec_b64 s[8:9], vcc
	s_cbranch_execz .LBB529_1022
; %bb.1017:
	s_mov_b32 s10, 0x3bffffff
	v_cmp_lt_u32_e32 vcc, s10, v1
	s_mov_b64 s[10:11], 0
                                        ; implicit-def: $vgpr1
	s_and_saveexec_b64 s[12:13], vcc
	s_xor_b64 s[12:13], exec, s[12:13]
	s_cbranch_execz .LBB529_1176
; %bb.1018:
	v_bfe_u32 v1, v0, 20, 1
	s_mov_b32 s14, 0x487ffff
	v_add3_u32 v1, v0, v1, s14
	s_mov_b64 s[10:11], exec
	v_lshrrev_b32_e32 v1, 20, v1
	s_andn2_saveexec_b64 s[12:13], s[12:13]
	s_cbranch_execnz .LBB529_1177
.LBB529_1019:
	s_or_b64 exec, exec, s[12:13]
	v_mov_b32_e32 v5, 0
	s_and_saveexec_b64 s[12:13], s[10:11]
.LBB529_1020:
	v_lshrrev_b32_e32 v0, 24, v0
	s_movk_i32 s10, 0x80
	v_and_or_b32 v5, v0, s10, v1
.LBB529_1021:
	s_or_b64 exec, exec, s[12:13]
.LBB529_1022:
	s_or_b64 exec, exec, s[8:9]
	global_store_byte v[2:3], v5, off
.LBB529_1023:
	s_mov_b64 s[10:11], 0
.LBB529_1024:
	s_mov_b64 s[8:9], 0
	s_and_b64 vcc, exec, s[10:11]
	s_cbranch_vccz .LBB529_1064
; %bb.1025:
	s_cmp_gt_i32 s17, 22
	s_mov_b64 s[10:11], -1
	s_cbranch_scc0 .LBB529_1057
; %bb.1026:
	s_cmp_lt_i32 s17, 24
	s_cbranch_scc1 .LBB529_1046
; %bb.1027:
	s_cmp_gt_i32 s17, 24
	s_cbranch_scc0 .LBB529_1035
; %bb.1028:
	v_cvt_f32_f16_e32 v0, v4
	s_mov_b32 s10, 0x47800000
	v_mov_b32_e32 v5, 0x80
	v_and_b32_e32 v1, 0x7fffffff, v0
	v_cmp_gt_u32_e32 vcc, s10, v1
	s_and_saveexec_b64 s[10:11], vcc
	s_cbranch_execz .LBB529_1034
; %bb.1029:
	s_mov_b32 s12, 0x37ffffff
	v_cmp_lt_u32_e32 vcc, s12, v1
	s_mov_b64 s[12:13], 0
                                        ; implicit-def: $vgpr1
	s_and_saveexec_b64 s[14:15], vcc
	s_xor_b64 s[14:15], exec, s[14:15]
	s_cbranch_execz .LBB529_1305
; %bb.1030:
	v_bfe_u32 v1, v0, 21, 1
	s_mov_b32 s18, 0x88fffff
	v_add3_u32 v1, v0, v1, s18
	s_mov_b64 s[12:13], exec
	v_lshrrev_b32_e32 v1, 21, v1
	s_andn2_saveexec_b64 s[14:15], s[14:15]
	s_cbranch_execnz .LBB529_1306
.LBB529_1031:
	s_or_b64 exec, exec, s[14:15]
	v_mov_b32_e32 v5, 0
	s_and_saveexec_b64 s[14:15], s[12:13]
.LBB529_1032:
	v_lshrrev_b32_e32 v0, 24, v0
	s_movk_i32 s12, 0x80
	v_and_or_b32 v5, v0, s12, v1
.LBB529_1033:
	s_or_b64 exec, exec, s[14:15]
.LBB529_1034:
	s_or_b64 exec, exec, s[10:11]
	s_mov_b64 s[10:11], 0
	global_store_byte v[2:3], v5, off
.LBB529_1035:
	s_and_b64 vcc, exec, s[10:11]
	s_cbranch_vccz .LBB529_1045
; %bb.1036:
	v_cvt_f32_f16_e32 v0, v4
	s_mov_b32 s10, 0x43f00000
                                        ; implicit-def: $vgpr1
	v_and_b32_e32 v5, 0x7fffffff, v0
	v_cmp_gt_u32_e32 vcc, s10, v5
	s_and_saveexec_b64 s[10:11], vcc
	s_xor_b64 s[10:11], exec, s[10:11]
	s_cbranch_execz .LBB529_1042
; %bb.1037:
	s_mov_b32 s12, 0x3c7fffff
	v_cmp_lt_u32_e32 vcc, s12, v5
                                        ; implicit-def: $vgpr1
	s_and_saveexec_b64 s[12:13], vcc
	s_xor_b64 s[12:13], exec, s[12:13]
; %bb.1038:
	v_bfe_u32 v1, v0, 20, 1
	s_mov_b32 s14, 0x407ffff
	v_add3_u32 v1, v0, v1, s14
	v_lshrrev_b32_e32 v5, 20, v1
	v_and_b32_e32 v1, 0xff00000, v1
	s_mov_b32 s14, 0x7f00000
	v_mov_b32_e32 v6, 0x7e
	v_cmp_ne_u32_e32 vcc, s14, v1
	s_nop 1
	v_cndmask_b32_e32 v1, v6, v5, vcc
; %bb.1039:
	s_andn2_saveexec_b64 s[12:13], s[12:13]
; %bb.1040:
	s_mov_b32 s14, 0x46800000
	v_add_f32_e64 v1, |v0|, s14
; %bb.1041:
	s_or_b64 exec, exec, s[12:13]
                                        ; implicit-def: $vgpr5
.LBB529_1042:
	s_andn2_saveexec_b64 s[10:11], s[10:11]
; %bb.1043:
	s_mov_b32 s12, 0x7f800000
	v_mov_b32_e32 v1, 0x7e
	v_mov_b32_e32 v6, 0x7f
	v_cmp_lt_u32_e32 vcc, s12, v5
	s_nop 1
	v_cndmask_b32_e32 v1, v1, v6, vcc
; %bb.1044:
	s_or_b64 exec, exec, s[10:11]
	v_lshrrev_b32_e32 v0, 24, v0
	s_movk_i32 s10, 0x80
	v_and_or_b32 v0, v0, s10, v1
	global_store_byte v[2:3], v0, off
.LBB529_1045:
	s_mov_b64 s[10:11], 0
.LBB529_1046:
	s_andn2_b64 vcc, exec, s[10:11]
	s_cbranch_vccnz .LBB529_1056
; %bb.1047:
	v_cvt_f32_f16_e32 v0, v4
	s_mov_b32 s10, 0x47800000
                                        ; implicit-def: $vgpr1
	v_and_b32_e32 v5, 0x7fffffff, v0
	v_cmp_gt_u32_e32 vcc, s10, v5
	s_and_saveexec_b64 s[10:11], vcc
	s_xor_b64 s[10:11], exec, s[10:11]
	s_cbranch_execz .LBB529_1053
; %bb.1048:
	s_mov_b32 s12, 0x387fffff
	v_cmp_lt_u32_e32 vcc, s12, v5
                                        ; implicit-def: $vgpr1
	s_and_saveexec_b64 s[12:13], vcc
	s_xor_b64 s[12:13], exec, s[12:13]
; %bb.1049:
	v_bfe_u32 v1, v0, 21, 1
	s_mov_b32 s14, 0x80fffff
	v_add3_u32 v1, v0, v1, s14
	v_lshrrev_b32_e32 v1, 21, v1
; %bb.1050:
	s_andn2_saveexec_b64 s[12:13], s[12:13]
; %bb.1051:
	s_mov_b32 s14, 0x43000000
	v_add_f32_e64 v1, |v0|, s14
; %bb.1052:
	s_or_b64 exec, exec, s[12:13]
                                        ; implicit-def: $vgpr5
.LBB529_1053:
	s_andn2_saveexec_b64 s[10:11], s[10:11]
; %bb.1054:
	s_mov_b32 s12, 0x7f800000
	v_mov_b32_e32 v1, 0x7c
	v_mov_b32_e32 v6, 0x7f
	v_cmp_lt_u32_e32 vcc, s12, v5
	s_nop 1
	v_cndmask_b32_e32 v1, v1, v6, vcc
; %bb.1055:
	s_or_b64 exec, exec, s[10:11]
	v_lshrrev_b32_e32 v0, 24, v0
	s_movk_i32 s10, 0x80
	v_and_or_b32 v0, v0, s10, v1
	global_store_byte v[2:3], v0, off
.LBB529_1056:
	s_mov_b64 s[10:11], 0
.LBB529_1057:
	s_andn2_b64 vcc, exec, s[10:11]
	s_mov_b64 s[10:11], 0
	s_cbranch_vccnz .LBB529_1065
; %bb.1058:
	s_cmp_gt_i32 s17, 14
	s_mov_b64 s[12:13], -1
	s_cbranch_scc0 .LBB529_1062
; %bb.1059:
	s_cmp_eq_u32 s17, 15
	s_mov_b64 s[2:3], -1
	s_cbranch_scc0 .LBB529_1061
; %bb.1060:
	v_cvt_f32_f16_e32 v0, v4
	s_movk_i32 s2, 0x7fff
	v_cmp_o_f16_e32 vcc, v4, v4
	v_mov_b32_e32 v1, 0x7fc0
	v_bfe_u32 v5, v0, 16, 1
	v_add3_u32 v0, v0, v5, s2
	v_cndmask_b32_sdwa v0, v1, v0, vcc dst_sel:DWORD dst_unused:UNUSED_PAD src0_sel:DWORD src1_sel:WORD_1
	global_store_short v[2:3], v0, off
	s_mov_b64 s[2:3], 0
.LBB529_1061:
	s_mov_b64 s[12:13], 0
.LBB529_1062:
	s_and_b64 vcc, exec, s[12:13]
	s_cbranch_vccz .LBB529_1065
; %bb.1063:
	s_cmp_lg_u32 s17, 11
	s_cselect_b64 s[12:13], -1, 0
	s_andn2_b64 s[2:3], s[2:3], exec
	s_and_b64 s[12:13], s[12:13], exec
	s_mov_b64 s[10:11], -1
	s_or_b64 s[2:3], s[2:3], s[12:13]
	s_branch .LBB529_1065
.LBB529_1064:
	s_mov_b64 s[10:11], 0
.LBB529_1065:
	s_andn2_b64 s[12:13], s[56:57], exec
	s_and_b64 s[2:3], s[2:3], exec
	s_and_b64 s[8:9], s[8:9], exec
	s_and_b64 s[10:11], s[10:11], exec
	s_or_b64 s[56:57], s[12:13], s[2:3]
	s_or_b64 exec, exec, s[6:7]
	s_and_saveexec_b64 s[2:3], s[56:57]
	s_cbranch_execz .LBB529_1004
.LBB529_1066:
	s_or_b64 s[4:5], s[4:5], exec
	s_andn2_b64 s[10:11], s[10:11], exec
	s_trap 2
	s_or_b64 exec, exec, s[2:3]
	s_and_saveexec_b64 s[2:3], s[10:11]
	s_xor_b64 s[2:3], exec, s[2:3]
	s_cbranch_execnz .LBB529_1005
.LBB529_1067:
	s_or_b64 exec, exec, s[2:3]
	s_and_saveexec_b64 s[2:3], s[8:9]
	s_xor_b64 s[2:3], exec, s[2:3]
	s_cbranch_execz .LBB529_1105
.LBB529_1068:
	s_sext_i32_i16 s8, s16
	s_cmp_lt_i32 s8, 5
	s_mov_b64 s[6:7], -1
	s_cbranch_scc1 .LBB529_1089
; %bb.1069:
	s_cmp_lt_i32 s8, 8
	s_cbranch_scc1 .LBB529_1079
; %bb.1070:
	s_cmp_lt_i32 s8, 9
	s_cbranch_scc1 .LBB529_1076
; %bb.1071:
	s_cmp_gt_i32 s8, 9
	s_cbranch_scc0 .LBB529_1073
; %bb.1072:
	v_cvt_f32_f16_e32 v0, v4
	v_mov_b32_e32 v8, 0
	v_mov_b32_e32 v9, v8
	s_mov_b64 s[6:7], 0
	v_cvt_f64_f32_e32 v[6:7], v0
	global_store_dwordx4 v[2:3], v[6:9], off
.LBB529_1073:
	s_andn2_b64 vcc, exec, s[6:7]
	s_cbranch_vccnz .LBB529_1075
; %bb.1074:
	v_cvt_f32_f16_e32 v0, v4
	s_waitcnt vmcnt(0)
	v_mov_b32_e32 v1, 0
	global_store_dwordx2 v[2:3], v[0:1], off
.LBB529_1075:
	s_mov_b64 s[6:7], 0
.LBB529_1076:
	s_andn2_b64 vcc, exec, s[6:7]
	s_cbranch_vccnz .LBB529_1078
; %bb.1077:
	v_and_b32_e32 v0, 0xffff, v4
	global_store_dword v[2:3], v0, off
.LBB529_1078:
	s_mov_b64 s[6:7], 0
.LBB529_1079:
	s_andn2_b64 vcc, exec, s[6:7]
	s_cbranch_vccnz .LBB529_1088
; %bb.1080:
	s_sext_i32_i16 s8, s16
	s_cmp_lt_i32 s8, 6
	s_mov_b64 s[6:7], -1
	s_cbranch_scc1 .LBB529_1086
; %bb.1081:
	s_cmp_gt_i32 s8, 6
	s_cbranch_scc0 .LBB529_1083
; %bb.1082:
	v_cvt_f32_f16_e32 v0, v4
	s_mov_b64 s[6:7], 0
	s_waitcnt vmcnt(0)
	v_cvt_f64_f32_e32 v[0:1], v0
	global_store_dwordx2 v[2:3], v[0:1], off
.LBB529_1083:
	s_andn2_b64 vcc, exec, s[6:7]
	s_cbranch_vccnz .LBB529_1085
; %bb.1084:
	v_cvt_f32_f16_e32 v0, v4
	global_store_dword v[2:3], v0, off
.LBB529_1085:
	s_mov_b64 s[6:7], 0
.LBB529_1086:
	s_andn2_b64 vcc, exec, s[6:7]
	s_cbranch_vccnz .LBB529_1088
; %bb.1087:
	global_store_short v[2:3], v4, off
.LBB529_1088:
	s_mov_b64 s[6:7], 0
.LBB529_1089:
	s_andn2_b64 vcc, exec, s[6:7]
	s_cbranch_vccnz .LBB529_1105
; %bb.1090:
	s_sext_i32_i16 s8, s16
	s_cmp_lt_i32 s8, 2
	s_mov_b64 s[6:7], -1
	s_cbranch_scc1 .LBB529_1100
; %bb.1091:
	s_cmp_lt_i32 s8, 3
	s_cbranch_scc1 .LBB529_1097
; %bb.1092:
	s_cmp_gt_i32 s8, 3
	s_cbranch_scc0 .LBB529_1094
; %bb.1093:
	v_cvt_f32_f16_e32 v0, v4
	s_mov_b64 s[6:7], 0
	v_cvt_i32_f32_e32 v0, v0
	s_waitcnt vmcnt(0)
	v_ashrrev_i32_e32 v1, 31, v0
	global_store_dwordx2 v[2:3], v[0:1], off
.LBB529_1094:
	s_andn2_b64 vcc, exec, s[6:7]
	s_cbranch_vccnz .LBB529_1096
; %bb.1095:
	v_cvt_f32_f16_e32 v0, v4
	v_cvt_i32_f32_e32 v0, v0
	global_store_dword v[2:3], v0, off
.LBB529_1096:
	s_mov_b64 s[6:7], 0
.LBB529_1097:
	s_andn2_b64 vcc, exec, s[6:7]
	s_cbranch_vccnz .LBB529_1099
; %bb.1098:
	v_cvt_i16_f16_e32 v0, v4
	global_store_short v[2:3], v0, off
.LBB529_1099:
	s_mov_b64 s[6:7], 0
.LBB529_1100:
	s_andn2_b64 vcc, exec, s[6:7]
	s_cbranch_vccnz .LBB529_1105
; %bb.1101:
	s_sext_i32_i16 s6, s16
	s_cmp_gt_i32 s6, 0
	s_mov_b64 s[6:7], -1
	s_cbranch_scc0 .LBB529_1103
; %bb.1102:
	v_cvt_i16_f16_e32 v0, v4
	s_mov_b64 s[6:7], 0
	global_store_byte v[2:3], v0, off
.LBB529_1103:
	s_andn2_b64 vcc, exec, s[6:7]
	s_cbranch_vccnz .LBB529_1105
; %bb.1104:
	v_cvt_f32_f16_e32 v0, v4
	v_cvt_i32_f32_e32 v0, v0
	global_store_byte v[2:3], v0, off
.LBB529_1105:
	s_or_b64 exec, exec, s[2:3]
	s_and_b64 s[24:25], s[4:5], exec
                                        ; implicit-def: $vgpr16
                                        ; implicit-def: $vgpr8
.LBB529_1106:
	s_or_saveexec_b64 s[26:27], s[44:45]
	s_mov_b64 s[6:7], 0
                                        ; implicit-def: $vgpr0_vgpr1
                                        ; implicit-def: $sgpr14
                                        ; implicit-def: $vgpr9
	s_xor_b64 exec, exec, s[26:27]
	s_cbranch_execz .LBB529_1772
; %bb.1107:
	v_cndmask_b32_e64 v0, 0, 1, s[42:43]
	v_cmp_ne_u32_e64 s[2:3], 1, v0
	s_andn2_b64 vcc, exec, s[42:43]
	s_cbranch_vccnz .LBB529_1113
; %bb.1108:
	s_cmp_lg_u32 s33, 0
	s_mov_b32 s36, 0
	s_cbranch_scc0 .LBB529_1114
; %bb.1109:
	s_min_u32 s37, s74, 15
	s_add_i32 s37, s37, 1
	s_cmp_eq_u32 s74, 2
	s_cbranch_scc1 .LBB529_1115
; %bb.1110:
	s_and_b32 s36, s37, 28
	s_add_u32 s28, s34, 0xc4
	s_addc_u32 s29, s35, 0
	s_mov_b32 s38, 0
	v_mov_b32_e32 v6, 0
	v_mov_b32_e32 v14, 0
	s_mov_b64 s[30:31], s[34:35]
	v_mov_b32_e32 v0, v8
.LBB529_1111:                           ; =>This Inner Loop Header: Depth=1
	s_load_dwordx8 s[12:19], s[30:31], 0x4
	s_load_dwordx4 s[20:23], s[30:31], 0x24
	s_load_dwordx8 s[4:11], s[28:29], 0x0
	s_add_u32 s30, s30, 48
	s_addc_u32 s31, s31, 0
	s_waitcnt vmcnt(0) lgkmcnt(0)
	v_mul_hi_u32 v1, s13, v0
	v_add_u32_e32 v1, v0, v1
	v_lshrrev_b32_e32 v1, s14, v1
	v_mul_lo_u32 v2, v1, s12
	v_mul_hi_u32 v3, s16, v1
	v_sub_u32_e32 v0, v0, v2
	v_add_u32_e32 v2, v1, v3
	v_lshrrev_b32_e32 v2, s17, v2
	v_mul_lo_u32 v4, v2, s15
	v_mul_hi_u32 v5, s19, v2
	v_sub_u32_e32 v1, v1, v4
	v_add_u32_e32 v4, v2, v5
	v_mul_lo_u32 v3, v0, s5
	v_mul_lo_u32 v0, v0, s4
	;; [unrolled: 1-line block ×4, first 2 shown]
	v_lshrrev_b32_e32 v4, s20, v4
	v_add3_u32 v1, v0, v6, v1
	v_add3_u32 v3, v3, v14, v5
	v_mul_lo_u32 v0, v4, s18
	v_mul_hi_u32 v5, s22, v4
	v_sub_u32_e32 v0, v2, v0
	v_add_u32_e32 v2, v4, v5
	v_mul_lo_u32 v5, v0, s8
	v_mul_lo_u32 v6, v0, s9
	v_lshrrev_b32_e32 v0, s23, v2
	s_add_i32 s38, s38, 4
	v_mul_lo_u32 v2, v0, s21
	s_add_u32 s28, s28, 32
	v_sub_u32_e32 v2, v4, v2
	s_addc_u32 s29, s29, 0
	v_mul_lo_u32 v4, v2, s10
	v_mul_lo_u32 v2, v2, s11
	s_cmp_lg_u32 s36, s38
	v_add3_u32 v14, v6, v3, v2
	v_add3_u32 v6, v5, v1, v4
	s_cbranch_scc1 .LBB529_1111
; %bb.1112:
	v_mov_b32_e32 v1, v14
	s_and_b32 s8, s37, 3
	s_cmp_eq_u32 s8, 0
	s_cbranch_scc0 .LBB529_1116
	s_branch .LBB529_1118
.LBB529_1113:
                                        ; implicit-def: $vgpr14
                                        ; implicit-def: $vgpr6
	s_branch .LBB529_1119
.LBB529_1114:
	v_mov_b32_e32 v14, 0
	v_mov_b32_e32 v6, 0
	s_branch .LBB529_1118
.LBB529_1115:
	v_mov_b32_e32 v6, 0
                                        ; implicit-def: $vgpr14
	s_waitcnt vmcnt(0)
	v_mov_b32_e32 v1, v6
	v_mov_b32_e32 v0, v8
	s_and_b32 s8, s37, 3
	s_cmp_eq_u32 s8, 0
	s_cbranch_scc1 .LBB529_1118
.LBB529_1116:
	s_lshl_b32 s4, s36, 3
	s_add_u32 s4, s34, s4
	s_addc_u32 s5, s35, 0
	s_add_u32 s4, s4, 0xc4
	s_addc_u32 s5, s5, 0
	s_mul_i32 s6, s36, 12
	s_add_u32 s6, s34, s6
	s_addc_u32 s7, s35, 0
.LBB529_1117:                           ; =>This Inner Loop Header: Depth=1
	s_load_dwordx2 s[10:11], s[6:7], 0x4
	s_load_dword s9, s[6:7], 0xc
	s_load_dwordx2 s[12:13], s[4:5], 0x0
	v_mov_b32_e32 v2, v1
	s_add_u32 s6, s6, 12
	s_waitcnt lgkmcnt(0)
	v_mul_hi_u32 v1, s11, v0
	v_add_u32_e32 v1, v0, v1
	v_lshrrev_b32_e32 v1, s9, v1
	s_addc_u32 s7, s7, 0
	v_mul_lo_u32 v3, v1, s10
	s_add_u32 s4, s4, 8
	v_sub_u32_e32 v3, v0, v3
	s_addc_u32 s5, s5, 0
	s_add_i32 s8, s8, -1
	v_mad_u64_u32 v[14:15], s[10:11], v3, s13, v[2:3]
	s_cmp_lg_u32 s8, 0
	v_mov_b32_e32 v0, v1
	v_mad_u64_u32 v[6:7], s[10:11], v3, s12, v[6:7]
	v_mov_b32_e32 v1, v14
	s_cbranch_scc1 .LBB529_1117
.LBB529_1118:
	s_cbranch_execnz .LBB529_1121
.LBB529_1119:
	s_load_dwordx4 s[4:7], s[34:35], 0x4
	s_load_dwordx2 s[8:9], s[34:35], 0xc4
	s_cmp_lt_u32 s33, 2
	s_waitcnt lgkmcnt(0)
	v_mul_hi_u32 v0, s5, v8
	v_add_u32_e32 v0, v8, v0
	v_lshrrev_b32_e32 v0, s6, v0
	s_waitcnt vmcnt(0)
	v_mul_lo_u32 v1, v0, s4
	v_sub_u32_e32 v1, v8, v1
	v_mul_lo_u32 v14, v1, s9
	v_mul_lo_u32 v6, v1, s8
	s_cbranch_scc1 .LBB529_1121
; %bb.1120:
	s_load_dwordx4 s[4:7], s[34:35], 0x10
	s_load_dwordx2 s[8:9], s[34:35], 0xcc
	s_waitcnt lgkmcnt(0)
	v_mul_hi_u32 v1, s5, v0
	v_add_u32_e32 v1, v0, v1
	v_lshrrev_b32_e32 v1, s6, v1
	v_mul_lo_u32 v1, v1, s4
	v_sub_u32_e32 v0, v0, v1
	v_mad_u64_u32 v[6:7], s[4:5], v0, s8, v[6:7]
	v_mad_u64_u32 v[14:15], s[4:5], v0, s9, v[14:15]
.LBB529_1121:
	s_and_b64 vcc, exec, s[2:3]
	v_add_u32_e32 v0, 0x80, v8
	s_cbranch_vccnz .LBB529_1127
; %bb.1122:
	s_cmp_lg_u32 s33, 0
	s_mov_b32 s36, 0
	s_cbranch_scc0 .LBB529_1128
; %bb.1123:
	s_min_u32 s37, s74, 15
	s_add_i32 s37, s37, 1
	s_cmp_eq_u32 s74, 2
	s_cbranch_scc1 .LBB529_1129
; %bb.1124:
	s_and_b32 s36, s37, 28
	s_add_u32 s28, s34, 0xc4
	s_addc_u32 s29, s35, 0
	s_mov_b32 s38, 0
	v_mov_b32_e32 v4, 0
	v_mov_b32_e32 v12, 0
	s_mov_b64 s[30:31], s[34:35]
	v_mov_b32_e32 v2, v0
.LBB529_1125:                           ; =>This Inner Loop Header: Depth=1
	s_load_dwordx8 s[12:19], s[30:31], 0x4
	s_load_dwordx4 s[20:23], s[30:31], 0x24
	s_load_dwordx8 s[4:11], s[28:29], 0x0
	s_add_u32 s30, s30, 48
	s_addc_u32 s31, s31, 0
	s_waitcnt vmcnt(0) lgkmcnt(0)
	v_mul_hi_u32 v1, s13, v2
	v_add_u32_e32 v1, v2, v1
	v_lshrrev_b32_e32 v1, s14, v1
	v_mul_lo_u32 v3, v1, s12
	v_mul_hi_u32 v5, s16, v1
	v_sub_u32_e32 v2, v2, v3
	v_add_u32_e32 v3, v1, v5
	v_lshrrev_b32_e32 v3, s17, v3
	v_mul_lo_u32 v7, v3, s15
	v_mul_hi_u32 v9, s19, v3
	v_sub_u32_e32 v1, v1, v7
	v_add_u32_e32 v7, v3, v9
	v_mul_lo_u32 v5, v2, s5
	v_mul_lo_u32 v2, v2, s4
	;; [unrolled: 1-line block ×4, first 2 shown]
	v_lshrrev_b32_e32 v7, s20, v7
	v_add3_u32 v1, v2, v4, v1
	v_add3_u32 v4, v5, v12, v9
	v_mul_lo_u32 v2, v7, s18
	v_mul_hi_u32 v5, s22, v7
	v_sub_u32_e32 v2, v3, v2
	v_add_u32_e32 v3, v7, v5
	v_mul_lo_u32 v5, v2, s8
	v_mul_lo_u32 v9, v2, s9
	v_lshrrev_b32_e32 v2, s23, v3
	s_add_i32 s38, s38, 4
	v_mul_lo_u32 v3, v2, s21
	s_add_u32 s28, s28, 32
	v_sub_u32_e32 v3, v7, v3
	s_addc_u32 s29, s29, 0
	v_mul_lo_u32 v7, v3, s10
	v_mul_lo_u32 v3, v3, s11
	s_cmp_lg_u32 s36, s38
	v_add3_u32 v12, v9, v4, v3
	v_add3_u32 v4, v5, v1, v7
	s_cbranch_scc1 .LBB529_1125
; %bb.1126:
	v_mov_b32_e32 v1, v12
	s_and_b32 s8, s37, 3
	s_cmp_eq_u32 s8, 0
	s_cbranch_scc0 .LBB529_1130
	s_branch .LBB529_1132
.LBB529_1127:
                                        ; implicit-def: $vgpr12
                                        ; implicit-def: $vgpr4
	s_branch .LBB529_1133
.LBB529_1128:
	v_mov_b32_e32 v12, 0
	v_mov_b32_e32 v4, 0
	s_branch .LBB529_1132
.LBB529_1129:
	v_mov_b32_e32 v4, 0
                                        ; implicit-def: $vgpr12
	s_waitcnt vmcnt(0)
	v_mov_b32_e32 v1, v4
	v_mov_b32_e32 v2, v0
	s_and_b32 s8, s37, 3
	s_cmp_eq_u32 s8, 0
	s_cbranch_scc1 .LBB529_1132
.LBB529_1130:
	s_lshl_b32 s4, s36, 3
	s_add_u32 s4, s34, s4
	s_addc_u32 s5, s35, 0
	s_add_u32 s4, s4, 0xc4
	s_addc_u32 s5, s5, 0
	s_mul_i32 s6, s36, 12
	s_add_u32 s6, s34, s6
	s_addc_u32 s7, s35, 0
.LBB529_1131:                           ; =>This Inner Loop Header: Depth=1
	s_load_dwordx2 s[10:11], s[6:7], 0x4
	s_load_dword s9, s[6:7], 0xc
	s_load_dwordx2 s[12:13], s[4:5], 0x0
	v_mov_b32_e32 v10, v1
	s_add_u32 s6, s6, 12
	s_waitcnt lgkmcnt(0)
	v_mul_hi_u32 v1, s11, v2
	v_add_u32_e32 v1, v2, v1
	v_lshrrev_b32_e32 v1, s9, v1
	s_addc_u32 s7, s7, 0
	v_mul_lo_u32 v3, v1, s10
	s_add_u32 s4, s4, 8
	v_sub_u32_e32 v3, v2, v3
	s_addc_u32 s5, s5, 0
	s_add_i32 s8, s8, -1
	v_mad_u64_u32 v[12:13], s[10:11], v3, s13, v[10:11]
	s_cmp_lg_u32 s8, 0
	v_mov_b32_e32 v2, v1
	v_mad_u64_u32 v[4:5], s[10:11], v3, s12, v[4:5]
	v_mov_b32_e32 v1, v12
	s_cbranch_scc1 .LBB529_1131
.LBB529_1132:
	s_cbranch_execnz .LBB529_1135
.LBB529_1133:
	s_load_dwordx4 s[4:7], s[34:35], 0x4
	s_load_dwordx2 s[8:9], s[34:35], 0xc4
	s_cmp_lt_u32 s33, 2
	s_waitcnt vmcnt(0) lgkmcnt(0)
	v_mul_hi_u32 v1, s5, v0
	v_add_u32_e32 v1, v0, v1
	v_lshrrev_b32_e32 v1, s6, v1
	v_mul_lo_u32 v2, v1, s4
	v_sub_u32_e32 v0, v0, v2
	v_mul_lo_u32 v12, v0, s9
	v_mul_lo_u32 v4, v0, s8
	s_cbranch_scc1 .LBB529_1135
; %bb.1134:
	s_load_dwordx4 s[4:7], s[34:35], 0x10
	s_load_dwordx2 s[8:9], s[34:35], 0xcc
	s_waitcnt lgkmcnt(0)
	v_mul_hi_u32 v0, s5, v1
	v_add_u32_e32 v0, v1, v0
	v_lshrrev_b32_e32 v0, s6, v0
	v_mul_lo_u32 v0, v0, s4
	v_sub_u32_e32 v0, v1, v0
	v_mad_u64_u32 v[4:5], s[4:5], v0, s8, v[4:5]
	v_mad_u64_u32 v[12:13], s[4:5], v0, s9, v[12:13]
.LBB529_1135:
	s_and_b64 vcc, exec, s[2:3]
	v_add_u32_e32 v0, 0x100, v8
	s_cbranch_vccnz .LBB529_1141
; %bb.1136:
	s_cmp_lg_u32 s33, 0
	s_mov_b32 s36, 0
	s_cbranch_scc0 .LBB529_1142
; %bb.1137:
	s_min_u32 s37, s74, 15
	s_add_i32 s37, s37, 1
	s_cmp_eq_u32 s74, 2
	s_cbranch_scc1 .LBB529_1143
; %bb.1138:
	s_and_b32 s36, s37, 28
	s_add_u32 s28, s34, 0xc4
	s_addc_u32 s29, s35, 0
	s_mov_b32 s38, 0
	v_mov_b32_e32 v2, 0
	v_mov_b32_e32 v10, 0
	s_mov_b64 s[30:31], s[34:35]
	v_mov_b32_e32 v5, v0
.LBB529_1139:                           ; =>This Inner Loop Header: Depth=1
	s_load_dwordx8 s[12:19], s[30:31], 0x4
	s_load_dwordx4 s[20:23], s[30:31], 0x24
	s_load_dwordx8 s[4:11], s[28:29], 0x0
	s_add_u32 s30, s30, 48
	s_addc_u32 s31, s31, 0
	s_waitcnt vmcnt(0) lgkmcnt(0)
	v_mul_hi_u32 v1, s13, v5
	v_add_u32_e32 v1, v5, v1
	v_lshrrev_b32_e32 v1, s14, v1
	v_mul_lo_u32 v3, v1, s12
	v_mul_hi_u32 v7, s16, v1
	v_sub_u32_e32 v3, v5, v3
	v_add_u32_e32 v5, v1, v7
	v_lshrrev_b32_e32 v5, s17, v5
	v_mul_lo_u32 v8, v5, s15
	v_mul_hi_u32 v9, s19, v5
	v_sub_u32_e32 v1, v1, v8
	v_add_u32_e32 v8, v5, v9
	v_mul_lo_u32 v7, v3, s5
	v_mul_lo_u32 v3, v3, s4
	;; [unrolled: 1-line block ×4, first 2 shown]
	v_lshrrev_b32_e32 v8, s20, v8
	v_add3_u32 v1, v3, v2, v1
	v_add3_u32 v2, v7, v10, v9
	v_mul_lo_u32 v3, v8, s18
	v_mul_hi_u32 v7, s22, v8
	v_sub_u32_e32 v3, v5, v3
	v_add_u32_e32 v5, v8, v7
	v_lshrrev_b32_e32 v5, s23, v5
	s_add_i32 s38, s38, 4
	v_mul_lo_u32 v9, v5, s21
	s_add_u32 s28, s28, 32
	v_sub_u32_e32 v8, v8, v9
	s_addc_u32 s29, s29, 0
	v_mul_lo_u32 v7, v3, s8
	v_mul_lo_u32 v3, v3, s9
	;; [unrolled: 1-line block ×4, first 2 shown]
	s_cmp_lg_u32 s36, s38
	v_add3_u32 v10, v3, v2, v8
	v_add3_u32 v2, v7, v1, v9
	s_cbranch_scc1 .LBB529_1139
; %bb.1140:
	v_mov_b32_e32 v1, v10
	s_and_b32 s8, s37, 3
	s_cmp_eq_u32 s8, 0
	s_cbranch_scc0 .LBB529_1144
	s_branch .LBB529_1146
.LBB529_1141:
                                        ; implicit-def: $vgpr10
                                        ; implicit-def: $vgpr2
	s_branch .LBB529_1147
.LBB529_1142:
	v_mov_b32_e32 v10, 0
	v_mov_b32_e32 v2, 0
	s_branch .LBB529_1146
.LBB529_1143:
	v_mov_b32_e32 v2, 0
                                        ; implicit-def: $vgpr10
	s_waitcnt vmcnt(0)
	v_mov_b32_e32 v1, v2
	v_mov_b32_e32 v5, v0
	s_and_b32 s8, s37, 3
	s_cmp_eq_u32 s8, 0
	s_cbranch_scc1 .LBB529_1146
.LBB529_1144:
	s_lshl_b32 s4, s36, 3
	s_add_u32 s4, s34, s4
	s_addc_u32 s5, s35, 0
	s_add_u32 s4, s4, 0xc4
	s_addc_u32 s5, s5, 0
	s_mul_i32 s6, s36, 12
	s_add_u32 s6, s34, s6
	s_addc_u32 s7, s35, 0
.LBB529_1145:                           ; =>This Inner Loop Header: Depth=1
	s_load_dwordx2 s[10:11], s[6:7], 0x4
	s_load_dword s9, s[6:7], 0xc
	s_load_dwordx2 s[12:13], s[4:5], 0x0
	v_mov_b32_e32 v8, v1
	s_add_u32 s6, s6, 12
	s_waitcnt lgkmcnt(0)
	v_mul_hi_u32 v1, s11, v5
	v_add_u32_e32 v1, v5, v1
	v_lshrrev_b32_e32 v1, s9, v1
	s_addc_u32 s7, s7, 0
	v_mul_lo_u32 v3, v1, s10
	s_add_u32 s4, s4, 8
	v_sub_u32_e32 v3, v5, v3
	s_addc_u32 s5, s5, 0
	s_add_i32 s8, s8, -1
	v_mad_u64_u32 v[10:11], s[10:11], v3, s13, v[8:9]
	s_cmp_lg_u32 s8, 0
	v_mov_b32_e32 v5, v1
	v_mad_u64_u32 v[2:3], s[10:11], v3, s12, v[2:3]
	v_mov_b32_e32 v1, v10
	s_cbranch_scc1 .LBB529_1145
.LBB529_1146:
	s_cbranch_execnz .LBB529_1149
.LBB529_1147:
	s_load_dwordx4 s[4:7], s[34:35], 0x4
	s_load_dwordx2 s[8:9], s[34:35], 0xc4
	s_cmp_lt_u32 s33, 2
	s_waitcnt vmcnt(0) lgkmcnt(0)
	v_mul_hi_u32 v1, s5, v0
	v_add_u32_e32 v1, v0, v1
	v_lshrrev_b32_e32 v1, s6, v1
	v_mul_lo_u32 v2, v1, s4
	v_sub_u32_e32 v0, v0, v2
	v_mul_lo_u32 v10, v0, s9
	v_mul_lo_u32 v2, v0, s8
	s_cbranch_scc1 .LBB529_1149
; %bb.1148:
	s_load_dwordx4 s[4:7], s[34:35], 0x10
	s_load_dwordx2 s[8:9], s[34:35], 0xcc
	s_waitcnt lgkmcnt(0)
	v_mul_hi_u32 v0, s5, v1
	v_add_u32_e32 v0, v1, v0
	v_lshrrev_b32_e32 v0, s6, v0
	v_mul_lo_u32 v0, v0, s4
	v_sub_u32_e32 v0, v1, v0
	v_mad_u64_u32 v[2:3], s[4:5], v0, s8, v[2:3]
	v_mad_u64_u32 v[10:11], s[4:5], v0, s9, v[10:11]
.LBB529_1149:
	s_and_b64 vcc, exec, s[2:3]
	s_cbranch_vccnz .LBB529_1155
; %bb.1150:
	s_cmp_lg_u32 s33, 0
	s_mov_b32 s30, 0
	s_cbranch_scc0 .LBB529_1156
; %bb.1151:
	s_min_u32 s31, s74, 15
	s_add_i32 s31, s31, 1
	s_cmp_eq_u32 s74, 2
	s_cbranch_scc1 .LBB529_1157
; %bb.1152:
	s_and_b32 s30, s31, 28
	s_add_u32 s2, s34, 0xc4
	s_addc_u32 s3, s35, 0
	s_mov_b32 s36, 0
	v_mov_b32_e32 v0, 0
	v_mov_b32_e32 v8, 0
	s_mov_b64 s[28:29], s[34:35]
	v_mov_b32_e32 v3, v16
.LBB529_1153:                           ; =>This Inner Loop Header: Depth=1
	s_load_dwordx8 s[12:19], s[28:29], 0x4
	s_load_dwordx4 s[20:23], s[28:29], 0x24
	s_load_dwordx8 s[4:11], s[2:3], 0x0
	s_add_u32 s28, s28, 48
	s_addc_u32 s29, s29, 0
	s_waitcnt vmcnt(0) lgkmcnt(0)
	v_mul_hi_u32 v1, s13, v3
	v_add_u32_e32 v1, v3, v1
	v_lshrrev_b32_e32 v1, s14, v1
	v_mul_lo_u32 v5, v1, s12
	v_mul_hi_u32 v7, s16, v1
	v_sub_u32_e32 v3, v3, v5
	v_add_u32_e32 v5, v1, v7
	v_lshrrev_b32_e32 v5, s17, v5
	v_mul_lo_u32 v9, v5, s15
	v_mul_hi_u32 v11, s19, v5
	v_sub_u32_e32 v1, v1, v9
	v_add_u32_e32 v9, v5, v11
	v_mul_lo_u32 v7, v3, s5
	v_mul_lo_u32 v3, v3, s4
	;; [unrolled: 1-line block ×4, first 2 shown]
	v_lshrrev_b32_e32 v9, s20, v9
	v_add3_u32 v0, v3, v0, v1
	v_add3_u32 v1, v7, v8, v11
	v_mul_lo_u32 v3, v9, s18
	v_mul_hi_u32 v7, s22, v9
	v_sub_u32_e32 v3, v5, v3
	v_add_u32_e32 v5, v9, v7
	v_mul_lo_u32 v7, v3, s8
	v_mul_lo_u32 v8, v3, s9
	v_lshrrev_b32_e32 v3, s23, v5
	s_add_i32 s36, s36, 4
	v_mul_lo_u32 v5, v3, s21
	s_add_u32 s2, s2, 32
	v_sub_u32_e32 v5, v9, v5
	s_addc_u32 s3, s3, 0
	v_mul_lo_u32 v9, v5, s10
	v_mul_lo_u32 v5, v5, s11
	s_cmp_lg_u32 s30, s36
	v_add3_u32 v8, v8, v1, v5
	v_add3_u32 v0, v7, v0, v9
	s_cbranch_scc1 .LBB529_1153
; %bb.1154:
	v_mov_b32_e32 v1, v8
	s_and_b32 s6, s31, 3
	s_cmp_eq_u32 s6, 0
	s_cbranch_scc0 .LBB529_1158
	s_branch .LBB529_1160
.LBB529_1155:
                                        ; implicit-def: $vgpr8
                                        ; implicit-def: $vgpr0
	s_branch .LBB529_1161
.LBB529_1156:
	v_mov_b32_e32 v8, 0
	v_mov_b32_e32 v0, 0
	s_branch .LBB529_1160
.LBB529_1157:
	v_mov_b32_e32 v0, 0
                                        ; implicit-def: $vgpr8
	s_waitcnt vmcnt(0)
	v_mov_b32_e32 v1, v0
	v_mov_b32_e32 v3, v16
	s_and_b32 s6, s31, 3
	s_cmp_eq_u32 s6, 0
	s_cbranch_scc1 .LBB529_1160
.LBB529_1158:
	s_lshl_b32 s2, s30, 3
	s_add_u32 s2, s34, s2
	s_addc_u32 s3, s35, 0
	s_add_u32 s2, s2, 0xc4
	s_addc_u32 s3, s3, 0
	s_mul_i32 s4, s30, 12
	s_add_u32 s4, s34, s4
	s_addc_u32 s5, s35, 0
.LBB529_1159:                           ; =>This Inner Loop Header: Depth=1
	s_load_dwordx2 s[8:9], s[4:5], 0x4
	s_load_dword s7, s[4:5], 0xc
	s_load_dwordx2 s[10:11], s[2:3], 0x0
	v_mov_b32_e32 v8, v1
	s_add_u32 s4, s4, 12
	s_waitcnt lgkmcnt(0)
	v_mul_hi_u32 v1, s9, v3
	v_add_u32_e32 v1, v3, v1
	v_lshrrev_b32_e32 v1, s7, v1
	s_addc_u32 s5, s5, 0
	v_mul_lo_u32 v5, v1, s8
	s_add_u32 s2, s2, 8
	v_sub_u32_e32 v5, v3, v5
	s_addc_u32 s3, s3, 0
	s_add_i32 s6, s6, -1
	v_mov_b32_e32 v3, v1
	v_mad_u64_u32 v[8:9], s[8:9], v5, s11, v[8:9]
	v_mad_u64_u32 v[0:1], s[8:9], v5, s10, v[0:1]
	s_cmp_lg_u32 s6, 0
	v_mov_b32_e32 v1, v8
	s_cbranch_scc1 .LBB529_1159
.LBB529_1160:
	s_cbranch_execnz .LBB529_1163
.LBB529_1161:
	s_load_dwordx4 s[4:7], s[34:35], 0x4
	s_load_dwordx2 s[2:3], s[34:35], 0xc4
	s_cmp_lt_u32 s33, 2
	s_waitcnt lgkmcnt(0)
	v_mul_hi_u32 v0, s5, v16
	v_add_u32_e32 v0, v16, v0
	s_waitcnt vmcnt(0)
	v_lshrrev_b32_e32 v1, s6, v0
	v_mul_lo_u32 v0, v1, s4
	v_sub_u32_e32 v0, v16, v0
	v_mul_lo_u32 v8, v0, s3
	v_mul_lo_u32 v0, v0, s2
	s_cbranch_scc1 .LBB529_1163
; %bb.1162:
	s_load_dwordx4 s[4:7], s[34:35], 0x10
	s_load_dwordx2 s[2:3], s[34:35], 0xcc
	s_waitcnt lgkmcnt(0)
	v_mul_hi_u32 v3, s5, v1
	v_add_u32_e32 v3, v1, v3
	v_lshrrev_b32_e32 v3, s6, v3
	v_mul_lo_u32 v3, v3, s4
	v_sub_u32_e32 v3, v1, v3
	v_mad_u64_u32 v[0:1], s[4:5], v3, s2, v[0:1]
	v_mad_u64_u32 v[8:9], s[2:3], v3, s3, v[8:9]
.LBB529_1163:
	s_load_dword s18, s[0:1], 0x164
	s_load_dwordx4 s[4:7], s[34:35], 0x148
	v_mov_b32_e32 v15, 0
	s_waitcnt lgkmcnt(0)
	s_lshr_b32 s16, s18, 24
	s_cmp_lt_i32 s16, 11
	v_lshl_add_u64 v[14:15], s[6:7], 0, v[14:15]
	s_cbranch_scc1 .LBB529_1170
; %bb.1164:
	s_and_b32 s17, 0xffff, s16
	s_cmp_gt_i32 s17, 25
	s_mov_b64 s[8:9], 0
	s_cbranch_scc0 .LBB529_1172
; %bb.1165:
	s_cmp_gt_i32 s17, 28
	s_cbranch_scc0 .LBB529_1173
; %bb.1166:
	s_cmp_gt_i32 s17, 43
	;; [unrolled: 3-line block ×3, first 2 shown]
	s_cbranch_scc0 .LBB529_1175
; %bb.1168:
	s_cmp_eq_u32 s17, 46
	s_mov_b64 s[12:13], 0
	s_cbranch_scc0 .LBB529_1178
; %bb.1169:
	global_load_dword v1, v[14:15], off
	s_mov_b64 s[2:3], 0
	s_mov_b64 s[10:11], -1
	s_waitcnt vmcnt(0)
	v_lshlrev_b32_e32 v1, 16, v1
	v_cvt_f16_f32_e32 v3, v1
	s_branch .LBB529_1179
.LBB529_1170:
	s_mov_b64 s[10:11], 0
                                        ; implicit-def: $vgpr3
	s_mov_b64 s[2:3], s[24:25]
	s_cbranch_execnz .LBB529_1242
.LBB529_1171:
	s_andn2_b64 vcc, exec, s[10:11]
	s_cbranch_vccz .LBB529_1287
	s_branch .LBB529_1769
.LBB529_1172:
	s_mov_b64 s[10:11], 0
	s_mov_b64 s[2:3], 0
                                        ; implicit-def: $vgpr3
	s_cbranch_execnz .LBB529_1207
	s_branch .LBB529_1238
.LBB529_1173:
	s_mov_b64 s[12:13], -1
	s_mov_b64 s[10:11], 0
	s_mov_b64 s[2:3], 0
                                        ; implicit-def: $vgpr3
	s_branch .LBB529_1188
.LBB529_1174:
	s_mov_b64 s[10:11], 0
	s_mov_b64 s[2:3], 0
                                        ; implicit-def: $vgpr3
	s_cbranch_execnz .LBB529_1184
	s_branch .LBB529_1187
.LBB529_1175:
	s_mov_b64 s[12:13], -1
	s_mov_b64 s[10:11], 0
	s_mov_b64 s[2:3], 0
                                        ; implicit-def: $vgpr3
	s_branch .LBB529_1179
.LBB529_1176:
	s_andn2_saveexec_b64 s[12:13], s[12:13]
	s_cbranch_execz .LBB529_1019
.LBB529_1177:
	s_mov_b32 s14, 0x46000000
	v_add_f32_e64 v1, |v0|, s14
	v_and_b32_e32 v1, 0xff, v1
	v_cmp_ne_u32_e32 vcc, 0, v1
	s_andn2_b64 s[10:11], s[10:11], exec
	s_and_b64 s[14:15], vcc, exec
	s_or_b64 s[10:11], s[10:11], s[14:15]
	s_or_b64 exec, exec, s[12:13]
	v_mov_b32_e32 v5, 0
	s_and_saveexec_b64 s[12:13], s[10:11]
	s_cbranch_execnz .LBB529_1020
	s_branch .LBB529_1021
.LBB529_1178:
	s_mov_b64 s[2:3], -1
                                        ; implicit-def: $vgpr3
	s_mov_b64 s[10:11], 0
.LBB529_1179:
	s_and_b64 vcc, exec, s[12:13]
	s_cbranch_vccz .LBB529_1182
; %bb.1180:
	s_cmp_eq_u32 s17, 44
	s_cbranch_scc0 .LBB529_1183
; %bb.1181:
	global_load_ubyte v1, v[14:15], off
	s_movk_i32 s10, 0xff
	v_mov_b32_e32 v5, 0x7e00
	s_mov_b64 s[2:3], 0
	s_waitcnt vmcnt(0)
	v_lshlrev_b32_e32 v3, 23, v1
	v_cvt_f16_f32_e32 v3, v3
	v_cmp_ne_u32_e32 vcc, s10, v1
	s_mov_b64 s[10:11], -1
	s_nop 0
	v_cndmask_b32_e32 v3, v5, v3, vcc
	v_cmp_ne_u32_e32 vcc, 0, v1
	s_nop 1
	v_cndmask_b32_e32 v3, 0, v3, vcc
.LBB529_1182:
	s_branch .LBB529_1187
.LBB529_1183:
	s_mov_b64 s[2:3], -1
                                        ; implicit-def: $vgpr3
	s_branch .LBB529_1187
.LBB529_1184:
	s_cmp_eq_u32 s17, 29
	s_cbranch_scc0 .LBB529_1186
; %bb.1185:
	global_load_dwordx2 v[16:17], v[14:15], off
	s_mov_b64 s[2:3], 0
	s_mov_b64 s[10:11], -1
	s_mov_b64 s[12:13], 0
	s_waitcnt vmcnt(0)
	v_ffbh_u32_e32 v1, v17
	v_min_u32_e32 v1, 32, v1
	v_lshlrev_b64 v[16:17], v1, v[16:17]
	v_min_u32_e32 v3, 1, v16
	v_or_b32_e32 v3, v17, v3
	v_cvt_f32_u32_e32 v3, v3
	v_sub_u32_e32 v1, 32, v1
	v_ldexp_f32 v1, v3, v1
	v_cvt_f16_f32_e32 v3, v1
	s_branch .LBB529_1188
.LBB529_1186:
	s_mov_b64 s[2:3], -1
                                        ; implicit-def: $vgpr3
.LBB529_1187:
	s_mov_b64 s[12:13], 0
.LBB529_1188:
	s_and_b64 vcc, exec, s[12:13]
	s_cbranch_vccz .LBB529_1206
; %bb.1189:
	s_cmp_lt_i32 s17, 27
	s_cbranch_scc1 .LBB529_1192
; %bb.1190:
	s_cmp_gt_i32 s17, 27
	s_cbranch_scc0 .LBB529_1193
; %bb.1191:
	global_load_dword v1, v[14:15], off
	s_mov_b64 s[10:11], 0
	s_waitcnt vmcnt(0)
	v_cvt_f32_u32_e32 v1, v1
	v_cvt_f16_f32_e32 v3, v1
	s_branch .LBB529_1194
.LBB529_1192:
	s_mov_b64 s[10:11], -1
                                        ; implicit-def: $vgpr3
	s_branch .LBB529_1197
.LBB529_1193:
	s_mov_b64 s[10:11], -1
                                        ; implicit-def: $vgpr3
.LBB529_1194:
	s_andn2_b64 vcc, exec, s[10:11]
	s_cbranch_vccnz .LBB529_1196
; %bb.1195:
	global_load_ushort v1, v[14:15], off
	s_waitcnt vmcnt(0)
	v_cvt_f16_u16_e32 v3, v1
.LBB529_1196:
	s_mov_b64 s[10:11], 0
.LBB529_1197:
	s_andn2_b64 vcc, exec, s[10:11]
	s_cbranch_vccnz .LBB529_1205
; %bb.1198:
	global_load_ubyte v1, v[14:15], off
	s_movk_i32 s10, 0x7f
	s_waitcnt vmcnt(0)
	v_cmp_lt_i16_e32 vcc, s10, v1
	s_mov_b64 s[10:11], 0
	s_and_saveexec_b64 s[12:13], vcc
	s_xor_b64 s[12:13], exec, s[12:13]
	s_cbranch_execz .LBB529_1218
; %bb.1199:
	s_movk_i32 s10, 0x80
	v_cmp_eq_u16_e32 vcc, s10, v1
	s_mov_b64 s[10:11], -1
	s_and_saveexec_b64 s[14:15], vcc
; %bb.1200:
	s_xor_b64 s[10:11], exec, -1
; %bb.1201:
	s_or_b64 exec, exec, s[14:15]
	s_and_b64 s[10:11], s[10:11], exec
	s_or_saveexec_b64 s[12:13], s[12:13]
	v_mov_b32_e32 v3, 0x7e00
	s_xor_b64 exec, exec, s[12:13]
	s_cbranch_execnz .LBB529_1219
.LBB529_1202:
	s_or_b64 exec, exec, s[12:13]
	s_and_saveexec_b64 s[12:13], s[10:11]
	s_cbranch_execz .LBB529_1204
.LBB529_1203:
	v_lshlrev_b32_e32 v3, 24, v1
	v_and_b32_e32 v1, 0xffff, v1
	v_and_b32_e32 v5, 7, v1
	v_ffbh_u32_e32 v9, v5
	v_min_u32_e32 v9, 32, v9
	v_subrev_u32_e32 v11, 28, v9
	v_bfe_u32 v7, v1, 3, 4
	v_lshlrev_b32_e32 v1, v11, v1
	v_sub_u32_e32 v9, 29, v9
	v_and_b32_e32 v1, 7, v1
	v_cmp_eq_u32_e32 vcc, 0, v7
	v_and_b32_e32 v3, 0x80000000, v3
	s_nop 0
	v_cndmask_b32_e32 v7, v7, v9, vcc
	v_cndmask_b32_e32 v1, v5, v1, vcc
	v_mov_b32_e32 v5, 0x3b800000
	v_lshlrev_b32_e32 v1, 20, v1
	v_lshl_add_u32 v5, v7, 23, v5
	v_or3_b32 v1, v3, v5, v1
	v_cvt_f16_f32_e32 v3, v1
.LBB529_1204:
	s_or_b64 exec, exec, s[12:13]
.LBB529_1205:
	s_mov_b64 s[10:11], -1
.LBB529_1206:
	s_branch .LBB529_1238
.LBB529_1207:
	s_cmp_gt_i32 s17, 22
	s_cbranch_scc0 .LBB529_1217
; %bb.1208:
	s_cmp_lt_i32 s17, 24
	s_cbranch_scc1 .LBB529_1220
; %bb.1209:
	s_cmp_gt_i32 s17, 24
	s_cbranch_scc0 .LBB529_1221
; %bb.1210:
	global_load_ubyte v1, v[14:15], off
	s_movk_i32 s8, 0x7f
	s_waitcnt vmcnt(0)
	v_cmp_lt_i16_e32 vcc, s8, v1
	s_mov_b64 s[8:9], 0
	s_and_saveexec_b64 s[10:11], vcc
	s_xor_b64 s[10:11], exec, s[10:11]
	s_cbranch_execz .LBB529_1232
; %bb.1211:
	s_movk_i32 s8, 0x80
	v_cmp_eq_u16_e32 vcc, s8, v1
	s_mov_b64 s[8:9], -1
	s_and_saveexec_b64 s[12:13], vcc
; %bb.1212:
	s_xor_b64 s[8:9], exec, -1
; %bb.1213:
	s_or_b64 exec, exec, s[12:13]
	s_and_b64 s[8:9], s[8:9], exec
	s_or_saveexec_b64 s[10:11], s[10:11]
	v_mov_b32_e32 v3, 0x7e00
	s_xor_b64 exec, exec, s[10:11]
	s_cbranch_execnz .LBB529_1233
.LBB529_1214:
	s_or_b64 exec, exec, s[10:11]
	s_and_saveexec_b64 s[10:11], s[8:9]
	s_cbranch_execz .LBB529_1216
.LBB529_1215:
	v_lshlrev_b32_e32 v3, 24, v1
	v_and_b32_e32 v1, 0xffff, v1
	v_and_b32_e32 v5, 3, v1
	v_ffbh_u32_e32 v9, v5
	v_min_u32_e32 v9, 32, v9
	v_subrev_u32_e32 v11, 29, v9
	v_bfe_u32 v7, v1, 2, 5
	v_lshlrev_b32_e32 v1, v11, v1
	v_sub_u32_e32 v9, 30, v9
	v_and_b32_e32 v1, 3, v1
	v_cmp_eq_u32_e32 vcc, 0, v7
	v_and_b32_e32 v3, 0x80000000, v3
	s_nop 0
	v_cndmask_b32_e32 v7, v7, v9, vcc
	v_cndmask_b32_e32 v1, v5, v1, vcc
	v_mov_b32_e32 v5, 0x37800000
	v_lshlrev_b32_e32 v1, 21, v1
	v_lshl_add_u32 v5, v7, 23, v5
	v_or3_b32 v1, v3, v5, v1
	v_cvt_f16_f32_e32 v3, v1
.LBB529_1216:
	s_or_b64 exec, exec, s[10:11]
	s_mov_b64 s[8:9], 0
	s_branch .LBB529_1222
.LBB529_1217:
                                        ; implicit-def: $vgpr3
	s_mov_b64 s[8:9], 0
	s_branch .LBB529_1228
.LBB529_1218:
	s_or_saveexec_b64 s[12:13], s[12:13]
	v_mov_b32_e32 v3, 0x7e00
	s_xor_b64 exec, exec, s[12:13]
	s_cbranch_execz .LBB529_1202
.LBB529_1219:
	v_cmp_ne_u16_e32 vcc, 0, v1
	s_andn2_b64 s[10:11], s[10:11], exec
	s_and_b64 s[14:15], vcc, exec
	s_or_b64 s[10:11], s[10:11], s[14:15]
	v_mov_b32_e32 v3, v1
	s_or_b64 exec, exec, s[12:13]
	s_and_saveexec_b64 s[12:13], s[10:11]
	s_cbranch_execnz .LBB529_1203
	s_branch .LBB529_1204
.LBB529_1220:
	s_mov_b64 s[8:9], -1
                                        ; implicit-def: $vgpr3
	s_branch .LBB529_1225
.LBB529_1221:
	s_mov_b64 s[8:9], -1
                                        ; implicit-def: $vgpr3
.LBB529_1222:
	s_and_b64 vcc, exec, s[8:9]
	s_cbranch_vccz .LBB529_1224
; %bb.1223:
	global_load_ubyte v1, v[14:15], off
	s_mov_b32 s8, 0x7f800000
	s_waitcnt vmcnt(0)
	v_lshlrev_b32_e32 v1, 24, v1
	v_and_b32_e32 v3, 0x7f000000, v1
	v_ffbh_u32_e32 v5, v3
	v_min_u32_e32 v5, 32, v5
	v_sub_u32_e64 v5, v5, 4 clamp
	v_lshlrev_b32_e32 v9, v5, v3
	v_lshlrev_b32_e32 v5, 23, v5
	v_lshrrev_b32_e32 v9, 4, v9
	v_add_u32_e32 v7, 0x1000000, v3
	v_sub_u32_e32 v5, v9, v5
	v_ashrrev_i32_e32 v7, 8, v7
	v_add_u32_e32 v5, 0x3c000000, v5
	v_and_or_b32 v5, v7, s8, v5
	v_cmp_ne_u32_e32 vcc, 0, v3
	s_brev_b32 s8, 1
	s_nop 0
	v_cndmask_b32_e32 v3, 0, v5, vcc
	v_and_or_b32 v1, v1, s8, v3
	v_cvt_f16_f32_e32 v3, v1
.LBB529_1224:
	s_mov_b64 s[8:9], 0
.LBB529_1225:
	s_andn2_b64 vcc, exec, s[8:9]
	s_cbranch_vccnz .LBB529_1227
; %bb.1226:
	global_load_ubyte v1, v[14:15], off
	s_movk_i32 s8, 0x7f00
	s_brev_b32 s9, 16
	s_waitcnt vmcnt(0)
	v_lshlrev_b16_e32 v3, 8, v1
	v_lshlrev_b32_e32 v1, 25, v1
	v_lshrrev_b32_e32 v5, 4, v1
	v_and_or_b32 v7, v3, s8, 0.5
	v_or_b32_e32 v5, 0x70000000, v5
	v_add_f32_e32 v7, -0.5, v7
	v_mul_f32_e32 v5, 0x7800000, v5
	v_cmp_gt_u32_e32 vcc, s9, v1
	v_bfe_i32 v3, v3, 0, 16
	s_brev_b32 s8, 1
	v_cndmask_b32_e32 v1, v5, v7, vcc
	v_and_or_b32 v1, v3, s8, v1
	v_cvt_f16_f32_e32 v3, v1
.LBB529_1227:
	s_mov_b64 s[10:11], -1
	s_mov_b64 s[8:9], 0
	s_cbranch_execnz .LBB529_1238
.LBB529_1228:
	s_cmp_gt_i32 s17, 14
	s_cbranch_scc0 .LBB529_1231
; %bb.1229:
	s_cmp_eq_u32 s17, 15
	s_cbranch_scc0 .LBB529_1234
; %bb.1230:
	global_load_ushort v1, v[14:15], off
	s_mov_b64 s[2:3], 0
	s_mov_b64 s[10:11], -1
	s_waitcnt vmcnt(0)
	v_lshlrev_b32_e32 v1, 16, v1
	v_cvt_f16_f32_e32 v3, v1
	s_branch .LBB529_1235
.LBB529_1231:
	s_mov_b64 s[12:13], -1
                                        ; implicit-def: $vgpr3
	s_branch .LBB529_1236
.LBB529_1232:
	s_or_saveexec_b64 s[10:11], s[10:11]
	v_mov_b32_e32 v3, 0x7e00
	s_xor_b64 exec, exec, s[10:11]
	s_cbranch_execz .LBB529_1214
.LBB529_1233:
	v_cmp_ne_u16_e32 vcc, 0, v1
	s_andn2_b64 s[8:9], s[8:9], exec
	s_and_b64 s[12:13], vcc, exec
	s_or_b64 s[8:9], s[8:9], s[12:13]
	v_mov_b32_e32 v3, v1
	s_or_b64 exec, exec, s[10:11]
	s_and_saveexec_b64 s[10:11], s[8:9]
	s_cbranch_execnz .LBB529_1215
	s_branch .LBB529_1216
.LBB529_1234:
	s_mov_b64 s[2:3], -1
                                        ; implicit-def: $vgpr3
.LBB529_1235:
	s_mov_b64 s[12:13], 0
.LBB529_1236:
	s_and_b64 vcc, exec, s[12:13]
	s_cbranch_vccz .LBB529_1238
; %bb.1237:
	s_cmp_lg_u32 s17, 11
	s_mov_b64 s[8:9], -1
	s_cselect_b64 s[2:3], -1, 0
.LBB529_1238:
	s_and_b64 vcc, exec, s[2:3]
	s_mov_b64 s[2:3], s[24:25]
	s_cbranch_vccnz .LBB529_1303
; %bb.1239:
	s_andn2_b64 vcc, exec, s[8:9]
	s_cbranch_vccnz .LBB529_1241
.LBB529_1240:
	global_load_ubyte v1, v[14:15], off
	v_mov_b32_e32 v3, 0x3c00
	s_mov_b64 s[10:11], -1
	s_waitcnt vmcnt(0)
	v_cmp_ne_u16_e32 vcc, 0, v1
	s_nop 1
	v_cndmask_b32_e32 v3, 0, v3, vcc
.LBB529_1241:
	s_branch .LBB529_1171
.LBB529_1242:
	s_and_b32 s10, 0xffff, s16
	s_cmp_lt_i32 s10, 5
	s_cbranch_scc1 .LBB529_1247
; %bb.1243:
	s_cmp_lt_i32 s10, 8
	s_cbranch_scc1 .LBB529_1248
; %bb.1244:
	s_cmp_lt_i32 s10, 9
	s_cbranch_scc1 .LBB529_1249
; %bb.1245:
	s_cmp_gt_i32 s10, 9
	s_cbranch_scc0 .LBB529_1250
; %bb.1246:
	global_load_dwordx2 v[16:17], v[14:15], off
	s_movk_i32 s8, 0x1ff
	s_movk_i32 s9, 0xffe
	s_waitcnt vmcnt(1)
	v_mov_b32_e32 v1, 0x7c00
	v_mov_b32_e32 v3, 0x7e00
	s_movk_i32 s11, 0x40f
	s_mov_b32 s12, 0x8000
	s_waitcnt vmcnt(0)
	v_and_or_b32 v5, v17, s8, v16
	v_cmp_ne_u32_e32 vcc, 0, v5
	v_lshrrev_b32_e32 v7, 8, v17
	v_bfe_u32 v9, v17, 20, 11
	v_cndmask_b32_e64 v5, 0, 1, vcc
	v_sub_u32_e32 v13, 0x3f1, v9
	v_and_or_b32 v5, v7, s9, v5
	v_add_u32_e32 v9, 0xfffffc10, v9
	v_med3_i32 v7, v13, 0, 13
	v_or_b32_e32 v13, 0x1000, v5
	v_lshl_or_b32 v16, v9, 12, v5
	v_cmp_ne_u32_e32 vcc, 0, v5
	v_lshrrev_b32_e32 v5, v7, v13
	v_lshlrev_b32_e32 v7, v7, v5
	v_cndmask_b32_e32 v3, v1, v3, vcc
	v_cmp_ne_u32_e32 vcc, v7, v13
	v_lshrrev_b32_e32 v11, 16, v17
	s_mov_b64 s[8:9], 0
	v_cndmask_b32_e64 v7, 0, 1, vcc
	v_or_b32_e32 v5, v5, v7
	v_cmp_gt_i32_e32 vcc, 1, v9
	s_nop 1
	v_cndmask_b32_e32 v5, v16, v5, vcc
	v_and_b32_e32 v7, 7, v5
	v_cmp_lt_i32_e32 vcc, 5, v7
	v_lshrrev_b32_e32 v5, 2, v5
	s_nop 0
	v_cndmask_b32_e64 v13, 0, 1, vcc
	v_cmp_eq_u32_e32 vcc, 3, v7
	s_nop 1
	v_cndmask_b32_e64 v7, 0, 1, vcc
	v_or_b32_e32 v7, v7, v13
	v_add_u32_e32 v5, v5, v7
	v_cmp_gt_i32_e32 vcc, 31, v9
	s_nop 1
	v_cndmask_b32_e32 v1, v1, v5, vcc
	v_cmp_eq_u32_e32 vcc, s11, v9
	s_nop 1
	v_cndmask_b32_e32 v1, v1, v3, vcc
	v_and_or_b32 v3, v11, s12, v1
	s_branch .LBB529_1251
.LBB529_1247:
                                        ; implicit-def: $vgpr3
	s_branch .LBB529_1268
.LBB529_1248:
                                        ; implicit-def: $vgpr3
	s_branch .LBB529_1257
.LBB529_1249:
	s_mov_b64 s[8:9], -1
                                        ; implicit-def: $vgpr3
	s_branch .LBB529_1254
.LBB529_1250:
	s_mov_b64 s[8:9], -1
                                        ; implicit-def: $vgpr3
.LBB529_1251:
	s_andn2_b64 vcc, exec, s[8:9]
	s_cbranch_vccnz .LBB529_1253
; %bb.1252:
	global_load_dword v1, v[14:15], off
	s_waitcnt vmcnt(0)
	v_cvt_f16_f32_e32 v3, v1
.LBB529_1253:
	s_mov_b64 s[8:9], 0
.LBB529_1254:
	s_andn2_b64 vcc, exec, s[8:9]
	s_cbranch_vccnz .LBB529_1256
; %bb.1255:
	global_load_dword v3, v[14:15], off
.LBB529_1256:
	s_cbranch_execnz .LBB529_1267
.LBB529_1257:
	s_cmp_lt_i32 s10, 6
	s_cbranch_scc1 .LBB529_1260
; %bb.1258:
	s_cmp_gt_i32 s10, 6
	s_cbranch_scc0 .LBB529_1261
; %bb.1259:
	global_load_dwordx2 v[16:17], v[14:15], off
	s_movk_i32 s8, 0x1ff
	s_movk_i32 s9, 0xffe
	s_waitcnt vmcnt(1)
	v_mov_b32_e32 v1, 0x7c00
	v_mov_b32_e32 v3, 0x7e00
	s_movk_i32 s11, 0x40f
	s_mov_b32 s12, 0x8000
	s_waitcnt vmcnt(0)
	v_and_or_b32 v5, v17, s8, v16
	v_cmp_ne_u32_e32 vcc, 0, v5
	v_lshrrev_b32_e32 v7, 8, v17
	v_bfe_u32 v9, v17, 20, 11
	v_cndmask_b32_e64 v5, 0, 1, vcc
	v_sub_u32_e32 v13, 0x3f1, v9
	v_and_or_b32 v5, v7, s9, v5
	v_add_u32_e32 v9, 0xfffffc10, v9
	v_med3_i32 v7, v13, 0, 13
	v_or_b32_e32 v13, 0x1000, v5
	v_lshl_or_b32 v16, v9, 12, v5
	v_cmp_ne_u32_e32 vcc, 0, v5
	v_lshrrev_b32_e32 v5, v7, v13
	v_lshlrev_b32_e32 v7, v7, v5
	v_cndmask_b32_e32 v3, v1, v3, vcc
	v_cmp_ne_u32_e32 vcc, v7, v13
	v_lshrrev_b32_e32 v11, 16, v17
	s_mov_b64 s[8:9], 0
	v_cndmask_b32_e64 v7, 0, 1, vcc
	v_or_b32_e32 v5, v5, v7
	v_cmp_gt_i32_e32 vcc, 1, v9
	s_nop 1
	v_cndmask_b32_e32 v5, v16, v5, vcc
	v_and_b32_e32 v7, 7, v5
	v_cmp_lt_i32_e32 vcc, 5, v7
	v_lshrrev_b32_e32 v5, 2, v5
	s_nop 0
	v_cndmask_b32_e64 v13, 0, 1, vcc
	v_cmp_eq_u32_e32 vcc, 3, v7
	s_nop 1
	v_cndmask_b32_e64 v7, 0, 1, vcc
	v_or_b32_e32 v7, v7, v13
	v_add_u32_e32 v5, v5, v7
	v_cmp_gt_i32_e32 vcc, 31, v9
	s_nop 1
	v_cndmask_b32_e32 v1, v1, v5, vcc
	v_cmp_eq_u32_e32 vcc, s11, v9
	s_nop 1
	v_cndmask_b32_e32 v1, v1, v3, vcc
	v_and_or_b32 v3, v11, s12, v1
	s_branch .LBB529_1262
.LBB529_1260:
	s_mov_b64 s[8:9], -1
                                        ; implicit-def: $vgpr3
	s_branch .LBB529_1265
.LBB529_1261:
	s_mov_b64 s[8:9], -1
                                        ; implicit-def: $vgpr3
.LBB529_1262:
	s_andn2_b64 vcc, exec, s[8:9]
	s_cbranch_vccnz .LBB529_1264
; %bb.1263:
	global_load_dword v1, v[14:15], off
	s_waitcnt vmcnt(0)
	v_cvt_f16_f32_e32 v3, v1
.LBB529_1264:
	s_mov_b64 s[8:9], 0
.LBB529_1265:
	s_andn2_b64 vcc, exec, s[8:9]
	s_cbranch_vccnz .LBB529_1267
; %bb.1266:
	global_load_ushort v3, v[14:15], off
.LBB529_1267:
	s_cbranch_execnz .LBB529_1286
.LBB529_1268:
	s_cmp_lt_i32 s10, 2
	s_cbranch_scc1 .LBB529_1272
; %bb.1269:
	s_cmp_lt_i32 s10, 3
	s_cbranch_scc1 .LBB529_1273
; %bb.1270:
	s_cmp_gt_i32 s10, 3
	s_cbranch_scc0 .LBB529_1274
; %bb.1271:
	global_load_dwordx2 v[16:17], v[14:15], off
	s_mov_b64 s[8:9], 0
	s_waitcnt vmcnt(0)
	v_xor_b32_e32 v3, v16, v17
	v_ffbh_i32_e32 v1, v17
	v_ashrrev_i32_e32 v3, 31, v3
	v_add_u32_e32 v1, -1, v1
	v_add_u32_e32 v3, 32, v3
	v_min_u32_e32 v1, v1, v3
	v_lshlrev_b64 v[16:17], v1, v[16:17]
	v_min_u32_e32 v3, 1, v16
	v_or_b32_e32 v3, v17, v3
	v_cvt_f32_i32_e32 v3, v3
	v_sub_u32_e32 v1, 32, v1
	v_ldexp_f32 v1, v3, v1
	v_cvt_f16_f32_e32 v3, v1
	s_branch .LBB529_1275
.LBB529_1272:
                                        ; implicit-def: $vgpr3
	s_branch .LBB529_1281
.LBB529_1273:
	s_mov_b64 s[8:9], -1
                                        ; implicit-def: $vgpr3
	s_branch .LBB529_1278
.LBB529_1274:
	s_mov_b64 s[8:9], -1
                                        ; implicit-def: $vgpr3
.LBB529_1275:
	s_andn2_b64 vcc, exec, s[8:9]
	s_cbranch_vccnz .LBB529_1277
; %bb.1276:
	global_load_dword v1, v[14:15], off
	s_waitcnt vmcnt(0)
	v_cvt_f32_i32_e32 v1, v1
	v_cvt_f16_f32_e32 v3, v1
.LBB529_1277:
	s_mov_b64 s[8:9], 0
.LBB529_1278:
	s_andn2_b64 vcc, exec, s[8:9]
	s_cbranch_vccnz .LBB529_1280
; %bb.1279:
	global_load_ushort v1, v[14:15], off
	s_waitcnt vmcnt(0)
	v_cvt_f16_i16_e32 v3, v1
.LBB529_1280:
	s_cbranch_execnz .LBB529_1286
.LBB529_1281:
	s_cmp_gt_i32 s10, 0
	s_cbranch_scc0 .LBB529_1283
; %bb.1282:
	global_load_sbyte v1, v[14:15], off
	s_mov_b64 s[8:9], 0
	s_waitcnt vmcnt(0)
	v_cvt_f16_i16_e32 v3, v1
	s_branch .LBB529_1284
.LBB529_1283:
	s_mov_b64 s[8:9], -1
                                        ; implicit-def: $vgpr3
.LBB529_1284:
	s_andn2_b64 vcc, exec, s[8:9]
	s_cbranch_vccnz .LBB529_1286
; %bb.1285:
	global_load_ubyte v1, v[14:15], off
	s_waitcnt vmcnt(0)
	v_cvt_f16_u16_e32 v3, v1
.LBB529_1286:
.LBB529_1287:
	s_load_dword s19, s[34:35], 0x158
	s_waitcnt vmcnt(0)
	v_cmp_o_f16_e32 vcc, v3, v3
	s_waitcnt lgkmcnt(0)
	v_mov_b32_e32 v1, s19
	s_and_saveexec_b64 s[8:9], vcc
	s_cbranch_execz .LBB529_1291
; %bb.1288:
	s_load_dword s10, s[0:1], 0x160
	s_movk_i32 s11, 0x7c00
	v_cmp_neq_f16_e32 vcc, s11, v3
	s_waitcnt lgkmcnt(0)
	s_lshr_b32 s10, s10, 16
	v_mov_b32_e32 v1, s10
	s_and_saveexec_b64 s[10:11], vcc
	s_cbranch_execz .LBB529_1290
; %bb.1289:
	s_load_dword s12, s[34:35], 0x15c
	s_mov_b32 s13, 0xfc00
	v_cmp_eq_f16_e32 vcc, s13, v3
	s_waitcnt lgkmcnt(0)
	v_mov_b32_e32 v1, s12
	v_cndmask_b32_e32 v1, v3, v1, vcc
.LBB529_1290:
	s_or_b64 exec, exec, s[10:11]
.LBB529_1291:
	s_or_b64 exec, exec, s[8:9]
	v_mov_b32_e32 v13, 0
	s_and_b32 s20, 0xffff, s16
	s_cmp_lt_i32 s20, 11
	v_lshl_add_u64 v[12:13], s[6:7], 0, v[12:13]
	s_cbranch_scc1 .LBB529_1298
; %bb.1292:
	s_cmp_gt_i32 s20, 25
	s_mov_b64 s[10:11], 0
	s_cbranch_scc0 .LBB529_1300
; %bb.1293:
	s_cmp_gt_i32 s20, 28
	s_cbranch_scc0 .LBB529_1301
; %bb.1294:
	s_cmp_gt_i32 s20, 43
	;; [unrolled: 3-line block ×3, first 2 shown]
	s_cbranch_scc0 .LBB529_1304
; %bb.1296:
	s_cmp_eq_u32 s20, 46
	s_mov_b64 s[14:15], 0
	s_cbranch_scc0 .LBB529_1307
; %bb.1297:
	global_load_dword v3, v[12:13], off
	s_mov_b64 s[8:9], 0
	s_mov_b64 s[12:13], -1
	s_waitcnt vmcnt(0)
	v_lshlrev_b32_e32 v3, 16, v3
	v_cvt_f16_f32_e32 v5, v3
	s_branch .LBB529_1308
.LBB529_1298:
	s_mov_b64 s[12:13], 0
                                        ; implicit-def: $vgpr5
	s_cbranch_execnz .LBB529_1373
.LBB529_1299:
	s_andn2_b64 vcc, exec, s[12:13]
	s_cbranch_vccnz .LBB529_1769
	s_branch .LBB529_1420
.LBB529_1300:
	s_mov_b64 s[12:13], 0
	s_mov_b64 s[8:9], 0
                                        ; implicit-def: $vgpr5
	s_cbranch_execnz .LBB529_1337
	s_branch .LBB529_1369
.LBB529_1301:
	s_mov_b64 s[14:15], -1
	s_mov_b64 s[12:13], 0
	s_mov_b64 s[8:9], 0
                                        ; implicit-def: $vgpr5
	s_branch .LBB529_1318
.LBB529_1302:
	s_mov_b64 s[14:15], -1
	s_mov_b64 s[12:13], 0
	s_mov_b64 s[8:9], 0
                                        ; implicit-def: $vgpr5
	s_branch .LBB529_1313
.LBB529_1303:
	s_or_b64 s[2:3], s[24:25], exec
	s_trap 2
	s_cbranch_execz .LBB529_1240
	s_branch .LBB529_1241
.LBB529_1304:
	s_mov_b64 s[14:15], -1
	s_mov_b64 s[12:13], 0
	s_mov_b64 s[8:9], 0
                                        ; implicit-def: $vgpr5
	s_branch .LBB529_1308
.LBB529_1305:
	s_andn2_saveexec_b64 s[14:15], s[14:15]
	s_cbranch_execz .LBB529_1031
.LBB529_1306:
	s_mov_b32 s18, 0x42800000
	v_add_f32_e64 v1, |v0|, s18
	v_and_b32_e32 v1, 0xff, v1
	v_cmp_ne_u32_e32 vcc, 0, v1
	s_andn2_b64 s[12:13], s[12:13], exec
	s_and_b64 s[18:19], vcc, exec
	s_or_b64 s[12:13], s[12:13], s[18:19]
	s_or_b64 exec, exec, s[14:15]
	v_mov_b32_e32 v5, 0
	s_and_saveexec_b64 s[14:15], s[12:13]
	s_cbranch_execnz .LBB529_1032
	s_branch .LBB529_1033
.LBB529_1307:
	s_mov_b64 s[8:9], -1
                                        ; implicit-def: $vgpr5
	s_mov_b64 s[12:13], 0
.LBB529_1308:
	s_and_b64 vcc, exec, s[14:15]
	s_cbranch_vccz .LBB529_1312
; %bb.1309:
	s_cmp_eq_u32 s20, 44
	s_cbranch_scc0 .LBB529_1311
; %bb.1310:
	global_load_ubyte v3, v[12:13], off
	s_movk_i32 s12, 0xff
	v_mov_b32_e32 v7, 0x7e00
	s_mov_b64 s[8:9], 0
	s_waitcnt vmcnt(0)
	v_lshlrev_b32_e32 v5, 23, v3
	v_cvt_f16_f32_e32 v5, v5
	v_cmp_ne_u32_e32 vcc, s12, v3
	s_mov_b64 s[12:13], -1
	s_nop 0
	v_cndmask_b32_e32 v5, v7, v5, vcc
	v_cmp_ne_u32_e32 vcc, 0, v3
	s_nop 1
	v_cndmask_b32_e32 v5, 0, v5, vcc
	s_branch .LBB529_1312
.LBB529_1311:
	s_mov_b64 s[8:9], -1
                                        ; implicit-def: $vgpr5
.LBB529_1312:
	s_mov_b64 s[14:15], 0
.LBB529_1313:
	s_and_b64 vcc, exec, s[14:15]
	s_cbranch_vccz .LBB529_1317
; %bb.1314:
	s_cmp_eq_u32 s20, 29
	s_cbranch_scc0 .LBB529_1316
; %bb.1315:
	global_load_dwordx2 v[14:15], v[12:13], off
	s_mov_b64 s[8:9], 0
	s_mov_b64 s[12:13], -1
	s_mov_b64 s[14:15], 0
	s_waitcnt vmcnt(0)
	v_ffbh_u32_e32 v3, v15
	v_min_u32_e32 v3, 32, v3
	v_lshlrev_b64 v[14:15], v3, v[14:15]
	v_min_u32_e32 v5, 1, v14
	v_or_b32_e32 v5, v15, v5
	v_cvt_f32_u32_e32 v5, v5
	v_sub_u32_e32 v3, 32, v3
	v_ldexp_f32 v3, v5, v3
	v_cvt_f16_f32_e32 v5, v3
	s_branch .LBB529_1318
.LBB529_1316:
	s_mov_b64 s[8:9], -1
                                        ; implicit-def: $vgpr5
.LBB529_1317:
	s_mov_b64 s[14:15], 0
.LBB529_1318:
	s_and_b64 vcc, exec, s[14:15]
	s_cbranch_vccz .LBB529_1336
; %bb.1319:
	s_cmp_lt_i32 s20, 27
	s_cbranch_scc1 .LBB529_1322
; %bb.1320:
	s_cmp_gt_i32 s20, 27
	s_cbranch_scc0 .LBB529_1323
; %bb.1321:
	global_load_dword v3, v[12:13], off
	s_mov_b64 s[12:13], 0
	s_waitcnt vmcnt(0)
	v_cvt_f32_u32_e32 v3, v3
	v_cvt_f16_f32_e32 v5, v3
	s_branch .LBB529_1324
.LBB529_1322:
	s_mov_b64 s[12:13], -1
                                        ; implicit-def: $vgpr5
	s_branch .LBB529_1327
.LBB529_1323:
	s_mov_b64 s[12:13], -1
                                        ; implicit-def: $vgpr5
.LBB529_1324:
	s_andn2_b64 vcc, exec, s[12:13]
	s_cbranch_vccnz .LBB529_1326
; %bb.1325:
	global_load_ushort v3, v[12:13], off
	s_waitcnt vmcnt(0)
	v_cvt_f16_u16_e32 v5, v3
.LBB529_1326:
	s_mov_b64 s[12:13], 0
.LBB529_1327:
	s_andn2_b64 vcc, exec, s[12:13]
	s_cbranch_vccnz .LBB529_1335
; %bb.1328:
	global_load_ubyte v3, v[12:13], off
	s_movk_i32 s12, 0x7f
	s_waitcnt vmcnt(0)
	v_cmp_lt_i16_e32 vcc, s12, v3
	s_mov_b64 s[12:13], 0
	s_and_saveexec_b64 s[14:15], vcc
	s_xor_b64 s[14:15], exec, s[14:15]
	s_cbranch_execz .LBB529_1348
; %bb.1329:
	s_movk_i32 s12, 0x80
	v_cmp_eq_u16_e32 vcc, s12, v3
	s_mov_b64 s[12:13], -1
	s_and_saveexec_b64 s[16:17], vcc
; %bb.1330:
	s_xor_b64 s[12:13], exec, -1
; %bb.1331:
	s_or_b64 exec, exec, s[16:17]
	s_and_b64 s[12:13], s[12:13], exec
	s_or_saveexec_b64 s[14:15], s[14:15]
	v_mov_b32_e32 v5, 0x7e00
	s_xor_b64 exec, exec, s[14:15]
	s_cbranch_execnz .LBB529_1349
.LBB529_1332:
	s_or_b64 exec, exec, s[14:15]
	s_and_saveexec_b64 s[14:15], s[12:13]
	s_cbranch_execz .LBB529_1334
.LBB529_1333:
	v_lshlrev_b32_e32 v5, 24, v3
	v_and_b32_e32 v3, 0xffff, v3
	v_and_b32_e32 v7, 7, v3
	v_ffbh_u32_e32 v11, v7
	v_min_u32_e32 v11, 32, v11
	v_subrev_u32_e32 v14, 28, v11
	v_bfe_u32 v9, v3, 3, 4
	v_lshlrev_b32_e32 v3, v14, v3
	v_sub_u32_e32 v11, 29, v11
	v_and_b32_e32 v3, 7, v3
	v_cmp_eq_u32_e32 vcc, 0, v9
	v_and_b32_e32 v5, 0x80000000, v5
	s_nop 0
	v_cndmask_b32_e32 v9, v9, v11, vcc
	v_cndmask_b32_e32 v3, v7, v3, vcc
	v_mov_b32_e32 v7, 0x3b800000
	v_lshlrev_b32_e32 v3, 20, v3
	v_lshl_add_u32 v7, v9, 23, v7
	v_or3_b32 v3, v5, v7, v3
	v_cvt_f16_f32_e32 v5, v3
.LBB529_1334:
	s_or_b64 exec, exec, s[14:15]
.LBB529_1335:
	s_mov_b64 s[12:13], -1
.LBB529_1336:
	s_branch .LBB529_1369
.LBB529_1337:
	s_cmp_gt_i32 s20, 22
	s_cbranch_scc0 .LBB529_1347
; %bb.1338:
	s_cmp_lt_i32 s20, 24
	s_cbranch_scc1 .LBB529_1350
; %bb.1339:
	s_cmp_gt_i32 s20, 24
	s_cbranch_scc0 .LBB529_1351
; %bb.1340:
	global_load_ubyte v3, v[12:13], off
	s_movk_i32 s10, 0x7f
	s_waitcnt vmcnt(0)
	v_cmp_lt_i16_e32 vcc, s10, v3
	s_mov_b64 s[10:11], 0
	s_and_saveexec_b64 s[12:13], vcc
	s_xor_b64 s[12:13], exec, s[12:13]
	s_cbranch_execz .LBB529_1363
; %bb.1341:
	s_movk_i32 s10, 0x80
	v_cmp_eq_u16_e32 vcc, s10, v3
	s_mov_b64 s[10:11], -1
	s_and_saveexec_b64 s[14:15], vcc
; %bb.1342:
	s_xor_b64 s[10:11], exec, -1
; %bb.1343:
	s_or_b64 exec, exec, s[14:15]
	s_and_b64 s[10:11], s[10:11], exec
	s_or_saveexec_b64 s[12:13], s[12:13]
	v_mov_b32_e32 v5, 0x7e00
	s_xor_b64 exec, exec, s[12:13]
	s_cbranch_execnz .LBB529_1364
.LBB529_1344:
	s_or_b64 exec, exec, s[12:13]
	s_and_saveexec_b64 s[12:13], s[10:11]
	s_cbranch_execz .LBB529_1346
.LBB529_1345:
	v_lshlrev_b32_e32 v5, 24, v3
	v_and_b32_e32 v3, 0xffff, v3
	v_and_b32_e32 v7, 3, v3
	v_ffbh_u32_e32 v11, v7
	v_min_u32_e32 v11, 32, v11
	v_subrev_u32_e32 v14, 29, v11
	v_bfe_u32 v9, v3, 2, 5
	v_lshlrev_b32_e32 v3, v14, v3
	v_sub_u32_e32 v11, 30, v11
	v_and_b32_e32 v3, 3, v3
	v_cmp_eq_u32_e32 vcc, 0, v9
	v_and_b32_e32 v5, 0x80000000, v5
	s_nop 0
	v_cndmask_b32_e32 v9, v9, v11, vcc
	v_cndmask_b32_e32 v3, v7, v3, vcc
	v_mov_b32_e32 v7, 0x37800000
	v_lshlrev_b32_e32 v3, 21, v3
	v_lshl_add_u32 v7, v9, 23, v7
	v_or3_b32 v3, v5, v7, v3
	v_cvt_f16_f32_e32 v5, v3
.LBB529_1346:
	s_or_b64 exec, exec, s[12:13]
	s_mov_b64 s[10:11], 0
	s_branch .LBB529_1352
.LBB529_1347:
	s_mov_b64 s[10:11], -1
                                        ; implicit-def: $vgpr5
	s_branch .LBB529_1358
.LBB529_1348:
	s_or_saveexec_b64 s[14:15], s[14:15]
	v_mov_b32_e32 v5, 0x7e00
	s_xor_b64 exec, exec, s[14:15]
	s_cbranch_execz .LBB529_1332
.LBB529_1349:
	v_cmp_ne_u16_e32 vcc, 0, v3
	s_andn2_b64 s[12:13], s[12:13], exec
	s_and_b64 s[16:17], vcc, exec
	s_or_b64 s[12:13], s[12:13], s[16:17]
	v_mov_b32_e32 v5, v3
	s_or_b64 exec, exec, s[14:15]
	s_and_saveexec_b64 s[14:15], s[12:13]
	s_cbranch_execnz .LBB529_1333
	s_branch .LBB529_1334
.LBB529_1350:
	s_mov_b64 s[10:11], -1
                                        ; implicit-def: $vgpr5
	s_branch .LBB529_1355
.LBB529_1351:
	s_mov_b64 s[10:11], -1
                                        ; implicit-def: $vgpr5
.LBB529_1352:
	s_and_b64 vcc, exec, s[10:11]
	s_cbranch_vccz .LBB529_1354
; %bb.1353:
	global_load_ubyte v3, v[12:13], off
	s_mov_b32 s10, 0x7f800000
	s_waitcnt vmcnt(0)
	v_lshlrev_b32_e32 v3, 24, v3
	v_and_b32_e32 v5, 0x7f000000, v3
	v_ffbh_u32_e32 v7, v5
	v_min_u32_e32 v7, 32, v7
	v_sub_u32_e64 v7, v7, 4 clamp
	v_lshlrev_b32_e32 v11, v7, v5
	v_lshlrev_b32_e32 v7, 23, v7
	v_lshrrev_b32_e32 v11, 4, v11
	v_add_u32_e32 v9, 0x1000000, v5
	v_sub_u32_e32 v7, v11, v7
	v_ashrrev_i32_e32 v9, 8, v9
	v_add_u32_e32 v7, 0x3c000000, v7
	v_and_or_b32 v7, v9, s10, v7
	v_cmp_ne_u32_e32 vcc, 0, v5
	s_brev_b32 s10, 1
	s_nop 0
	v_cndmask_b32_e32 v5, 0, v7, vcc
	v_and_or_b32 v3, v3, s10, v5
	v_cvt_f16_f32_e32 v5, v3
.LBB529_1354:
	s_mov_b64 s[10:11], 0
.LBB529_1355:
	s_andn2_b64 vcc, exec, s[10:11]
	s_cbranch_vccnz .LBB529_1357
; %bb.1356:
	global_load_ubyte v3, v[12:13], off
	s_movk_i32 s10, 0x7f00
	s_brev_b32 s11, 16
	s_waitcnt vmcnt(0)
	v_lshlrev_b16_e32 v5, 8, v3
	v_lshlrev_b32_e32 v3, 25, v3
	v_lshrrev_b32_e32 v7, 4, v3
	v_and_or_b32 v9, v5, s10, 0.5
	v_or_b32_e32 v7, 0x70000000, v7
	v_add_f32_e32 v9, -0.5, v9
	v_mul_f32_e32 v7, 0x7800000, v7
	v_cmp_gt_u32_e32 vcc, s11, v3
	v_bfe_i32 v5, v5, 0, 16
	s_brev_b32 s10, 1
	v_cndmask_b32_e32 v3, v7, v9, vcc
	v_and_or_b32 v3, v5, s10, v3
	v_cvt_f16_f32_e32 v5, v3
.LBB529_1357:
	s_mov_b64 s[10:11], 0
	s_mov_b64 s[12:13], -1
.LBB529_1358:
	s_andn2_b64 vcc, exec, s[10:11]
	s_mov_b64 s[10:11], 0
	s_cbranch_vccnz .LBB529_1369
; %bb.1359:
	s_cmp_gt_i32 s20, 14
	s_cbranch_scc0 .LBB529_1362
; %bb.1360:
	s_cmp_eq_u32 s20, 15
	s_cbranch_scc0 .LBB529_1365
; %bb.1361:
	global_load_ushort v3, v[12:13], off
	s_mov_b64 s[8:9], 0
	s_mov_b64 s[12:13], -1
	s_waitcnt vmcnt(0)
	v_lshlrev_b32_e32 v3, 16, v3
	v_cvt_f16_f32_e32 v5, v3
	s_branch .LBB529_1366
.LBB529_1362:
	s_mov_b64 s[14:15], -1
                                        ; implicit-def: $vgpr5
	s_branch .LBB529_1367
.LBB529_1363:
	s_or_saveexec_b64 s[12:13], s[12:13]
	v_mov_b32_e32 v5, 0x7e00
	s_xor_b64 exec, exec, s[12:13]
	s_cbranch_execz .LBB529_1344
.LBB529_1364:
	v_cmp_ne_u16_e32 vcc, 0, v3
	s_andn2_b64 s[10:11], s[10:11], exec
	s_and_b64 s[14:15], vcc, exec
	s_or_b64 s[10:11], s[10:11], s[14:15]
	v_mov_b32_e32 v5, v3
	s_or_b64 exec, exec, s[12:13]
	s_and_saveexec_b64 s[12:13], s[10:11]
	s_cbranch_execnz .LBB529_1345
	s_branch .LBB529_1346
.LBB529_1365:
	s_mov_b64 s[8:9], -1
                                        ; implicit-def: $vgpr5
.LBB529_1366:
	s_mov_b64 s[14:15], 0
.LBB529_1367:
	s_and_b64 vcc, exec, s[14:15]
	s_cbranch_vccz .LBB529_1369
; %bb.1368:
	s_cmp_lg_u32 s20, 11
	s_mov_b64 s[10:11], -1
	s_cselect_b64 s[8:9], -1, 0
.LBB529_1369:
	s_and_b64 vcc, exec, s[8:9]
	s_cbranch_vccnz .LBB529_1436
; %bb.1370:
	s_andn2_b64 vcc, exec, s[10:11]
	s_cbranch_vccnz .LBB529_1372
.LBB529_1371:
	global_load_ubyte v3, v[12:13], off
	v_mov_b32_e32 v5, 0x3c00
	s_mov_b64 s[12:13], -1
	s_waitcnt vmcnt(0)
	v_cmp_ne_u16_e32 vcc, 0, v3
	s_nop 1
	v_cndmask_b32_e32 v5, 0, v5, vcc
.LBB529_1372:
	s_branch .LBB529_1299
.LBB529_1373:
	s_cmp_lt_i32 s20, 5
	s_cbranch_scc1 .LBB529_1378
; %bb.1374:
	s_cmp_lt_i32 s20, 8
	s_cbranch_scc1 .LBB529_1379
; %bb.1375:
	;; [unrolled: 3-line block ×3, first 2 shown]
	s_cmp_gt_i32 s20, 9
	s_cbranch_scc0 .LBB529_1381
; %bb.1377:
	global_load_dwordx2 v[14:15], v[12:13], off
	s_movk_i32 s8, 0x1ff
	s_movk_i32 s9, 0xffe
	v_mov_b32_e32 v3, 0x7c00
	v_mov_b32_e32 v5, 0x7e00
	s_movk_i32 s10, 0x40f
	s_mov_b32 s11, 0x8000
	s_waitcnt vmcnt(0)
	v_and_or_b32 v7, v15, s8, v14
	v_cmp_ne_u32_e32 vcc, 0, v7
	v_lshrrev_b32_e32 v9, 8, v15
	v_bfe_u32 v11, v15, 20, 11
	v_cndmask_b32_e64 v7, 0, 1, vcc
	v_lshrrev_b32_e32 v14, 16, v15
	v_sub_u32_e32 v15, 0x3f1, v11
	v_and_or_b32 v7, v9, s9, v7
	v_add_u32_e32 v11, 0xfffffc10, v11
	v_med3_i32 v9, v15, 0, 13
	v_or_b32_e32 v15, 0x1000, v7
	v_lshl_or_b32 v16, v11, 12, v7
	v_cmp_ne_u32_e32 vcc, 0, v7
	v_lshrrev_b32_e32 v7, v9, v15
	v_lshlrev_b32_e32 v9, v9, v7
	v_cndmask_b32_e32 v5, v3, v5, vcc
	v_cmp_ne_u32_e32 vcc, v9, v15
	s_mov_b64 s[8:9], 0
	s_nop 0
	v_cndmask_b32_e64 v9, 0, 1, vcc
	v_or_b32_e32 v7, v7, v9
	v_cmp_gt_i32_e32 vcc, 1, v11
	s_nop 1
	v_cndmask_b32_e32 v7, v16, v7, vcc
	v_and_b32_e32 v9, 7, v7
	v_cmp_lt_i32_e32 vcc, 5, v9
	v_lshrrev_b32_e32 v7, 2, v7
	s_nop 0
	v_cndmask_b32_e64 v15, 0, 1, vcc
	v_cmp_eq_u32_e32 vcc, 3, v9
	s_nop 1
	v_cndmask_b32_e64 v9, 0, 1, vcc
	v_or_b32_e32 v9, v9, v15
	v_add_u32_e32 v7, v7, v9
	v_cmp_gt_i32_e32 vcc, 31, v11
	s_nop 1
	v_cndmask_b32_e32 v3, v3, v7, vcc
	v_cmp_eq_u32_e32 vcc, s10, v11
	s_nop 1
	v_cndmask_b32_e32 v3, v3, v5, vcc
	v_and_or_b32 v5, v14, s11, v3
	s_branch .LBB529_1382
.LBB529_1378:
                                        ; implicit-def: $vgpr5
	s_branch .LBB529_1400
.LBB529_1379:
	s_mov_b64 s[8:9], -1
                                        ; implicit-def: $vgpr5
	s_branch .LBB529_1388
.LBB529_1380:
	s_mov_b64 s[8:9], -1
                                        ; implicit-def: $vgpr5
	s_branch .LBB529_1385
.LBB529_1381:
	s_mov_b64 s[8:9], -1
                                        ; implicit-def: $vgpr5
.LBB529_1382:
	s_andn2_b64 vcc, exec, s[8:9]
	s_cbranch_vccnz .LBB529_1384
; %bb.1383:
	global_load_dword v3, v[12:13], off
	s_waitcnt vmcnt(0)
	v_cvt_f16_f32_e32 v5, v3
.LBB529_1384:
	s_mov_b64 s[8:9], 0
.LBB529_1385:
	s_andn2_b64 vcc, exec, s[8:9]
	s_cbranch_vccnz .LBB529_1387
; %bb.1386:
	global_load_dword v5, v[12:13], off
.LBB529_1387:
	s_mov_b64 s[8:9], 0
.LBB529_1388:
	s_andn2_b64 vcc, exec, s[8:9]
	s_cbranch_vccnz .LBB529_1399
; %bb.1389:
	s_cmp_lt_i32 s20, 6
	s_cbranch_scc1 .LBB529_1392
; %bb.1390:
	s_cmp_gt_i32 s20, 6
	s_cbranch_scc0 .LBB529_1393
; %bb.1391:
	global_load_dwordx2 v[14:15], v[12:13], off
	s_movk_i32 s8, 0x1ff
	s_movk_i32 s9, 0xffe
	v_mov_b32_e32 v3, 0x7c00
	s_waitcnt vmcnt(1)
	v_mov_b32_e32 v5, 0x7e00
	s_movk_i32 s10, 0x40f
	s_mov_b32 s11, 0x8000
	s_waitcnt vmcnt(0)
	v_and_or_b32 v7, v15, s8, v14
	v_cmp_ne_u32_e32 vcc, 0, v7
	v_lshrrev_b32_e32 v9, 8, v15
	v_bfe_u32 v11, v15, 20, 11
	v_cndmask_b32_e64 v7, 0, 1, vcc
	v_lshrrev_b32_e32 v14, 16, v15
	v_sub_u32_e32 v15, 0x3f1, v11
	v_and_or_b32 v7, v9, s9, v7
	v_add_u32_e32 v11, 0xfffffc10, v11
	v_med3_i32 v9, v15, 0, 13
	v_or_b32_e32 v15, 0x1000, v7
	v_lshl_or_b32 v16, v11, 12, v7
	v_cmp_ne_u32_e32 vcc, 0, v7
	v_lshrrev_b32_e32 v7, v9, v15
	v_lshlrev_b32_e32 v9, v9, v7
	v_cndmask_b32_e32 v5, v3, v5, vcc
	v_cmp_ne_u32_e32 vcc, v9, v15
	s_mov_b64 s[8:9], 0
	s_nop 0
	v_cndmask_b32_e64 v9, 0, 1, vcc
	v_or_b32_e32 v7, v7, v9
	v_cmp_gt_i32_e32 vcc, 1, v11
	s_nop 1
	v_cndmask_b32_e32 v7, v16, v7, vcc
	v_and_b32_e32 v9, 7, v7
	v_cmp_lt_i32_e32 vcc, 5, v9
	v_lshrrev_b32_e32 v7, 2, v7
	s_nop 0
	v_cndmask_b32_e64 v15, 0, 1, vcc
	v_cmp_eq_u32_e32 vcc, 3, v9
	s_nop 1
	v_cndmask_b32_e64 v9, 0, 1, vcc
	v_or_b32_e32 v9, v9, v15
	v_add_u32_e32 v7, v7, v9
	v_cmp_gt_i32_e32 vcc, 31, v11
	s_nop 1
	v_cndmask_b32_e32 v3, v3, v7, vcc
	v_cmp_eq_u32_e32 vcc, s10, v11
	s_nop 1
	v_cndmask_b32_e32 v3, v3, v5, vcc
	v_and_or_b32 v5, v14, s11, v3
	s_branch .LBB529_1394
.LBB529_1392:
	s_mov_b64 s[8:9], -1
                                        ; implicit-def: $vgpr5
	s_branch .LBB529_1397
.LBB529_1393:
	s_mov_b64 s[8:9], -1
                                        ; implicit-def: $vgpr5
.LBB529_1394:
	s_andn2_b64 vcc, exec, s[8:9]
	s_cbranch_vccnz .LBB529_1396
; %bb.1395:
	global_load_dword v3, v[12:13], off
	s_waitcnt vmcnt(0)
	v_cvt_f16_f32_e32 v5, v3
.LBB529_1396:
	s_mov_b64 s[8:9], 0
.LBB529_1397:
	s_andn2_b64 vcc, exec, s[8:9]
	s_cbranch_vccnz .LBB529_1399
; %bb.1398:
	global_load_ushort v5, v[12:13], off
.LBB529_1399:
	s_cbranch_execnz .LBB529_1419
.LBB529_1400:
	s_cmp_lt_i32 s20, 2
	s_cbranch_scc1 .LBB529_1404
; %bb.1401:
	s_cmp_lt_i32 s20, 3
	s_cbranch_scc1 .LBB529_1405
; %bb.1402:
	s_cmp_gt_i32 s20, 3
	s_cbranch_scc0 .LBB529_1406
; %bb.1403:
	global_load_dwordx2 v[14:15], v[12:13], off
	s_mov_b64 s[8:9], 0
	s_waitcnt vmcnt(0)
	v_xor_b32_e32 v5, v14, v15
	v_ffbh_i32_e32 v3, v15
	v_ashrrev_i32_e32 v5, 31, v5
	v_add_u32_e32 v3, -1, v3
	v_add_u32_e32 v5, 32, v5
	v_min_u32_e32 v3, v3, v5
	v_lshlrev_b64 v[14:15], v3, v[14:15]
	v_min_u32_e32 v5, 1, v14
	v_or_b32_e32 v5, v15, v5
	v_cvt_f32_i32_e32 v5, v5
	v_sub_u32_e32 v3, 32, v3
	v_ldexp_f32 v3, v5, v3
	v_cvt_f16_f32_e32 v5, v3
	s_branch .LBB529_1407
.LBB529_1404:
	s_mov_b64 s[8:9], -1
                                        ; implicit-def: $vgpr5
	s_branch .LBB529_1413
.LBB529_1405:
	s_mov_b64 s[8:9], -1
                                        ; implicit-def: $vgpr5
	s_branch .LBB529_1410
.LBB529_1406:
	s_mov_b64 s[8:9], -1
                                        ; implicit-def: $vgpr5
.LBB529_1407:
	s_andn2_b64 vcc, exec, s[8:9]
	s_cbranch_vccnz .LBB529_1409
; %bb.1408:
	global_load_dword v3, v[12:13], off
	s_waitcnt vmcnt(0)
	v_cvt_f32_i32_e32 v3, v3
	v_cvt_f16_f32_e32 v5, v3
.LBB529_1409:
	s_mov_b64 s[8:9], 0
.LBB529_1410:
	s_andn2_b64 vcc, exec, s[8:9]
	s_cbranch_vccnz .LBB529_1412
; %bb.1411:
	global_load_ushort v3, v[12:13], off
	s_waitcnt vmcnt(0)
	v_cvt_f16_i16_e32 v5, v3
.LBB529_1412:
	s_mov_b64 s[8:9], 0
.LBB529_1413:
	s_andn2_b64 vcc, exec, s[8:9]
	s_cbranch_vccnz .LBB529_1419
; %bb.1414:
	s_cmp_gt_i32 s20, 0
	s_cbranch_scc0 .LBB529_1416
; %bb.1415:
	global_load_sbyte v3, v[12:13], off
	s_mov_b64 s[8:9], 0
	s_waitcnt vmcnt(0)
	v_cvt_f16_i16_e32 v5, v3
	s_branch .LBB529_1417
.LBB529_1416:
	s_mov_b64 s[8:9], -1
                                        ; implicit-def: $vgpr5
.LBB529_1417:
	s_andn2_b64 vcc, exec, s[8:9]
	s_cbranch_vccnz .LBB529_1419
; %bb.1418:
	global_load_ubyte v3, v[12:13], off
	s_waitcnt vmcnt(0)
	v_cvt_f16_u16_e32 v5, v3
.LBB529_1419:
.LBB529_1420:
	s_waitcnt vmcnt(0)
	v_cmp_o_f16_e32 vcc, v5, v5
	v_mov_b32_e32 v3, s19
	s_and_saveexec_b64 s[8:9], vcc
	s_cbranch_execz .LBB529_1424
; %bb.1421:
	s_load_dword s10, s[0:1], 0x160
	s_movk_i32 s11, 0x7c00
	v_cmp_neq_f16_e32 vcc, s11, v5
	s_waitcnt lgkmcnt(0)
	s_lshr_b32 s10, s10, 16
	v_mov_b32_e32 v3, s10
	s_and_saveexec_b64 s[10:11], vcc
	s_cbranch_execz .LBB529_1423
; %bb.1422:
	s_load_dword s12, s[34:35], 0x15c
	s_mov_b32 s13, 0xfc00
	v_cmp_eq_f16_e32 vcc, s13, v5
	s_waitcnt lgkmcnt(0)
	v_mov_b32_e32 v3, s12
	v_cndmask_b32_e32 v3, v5, v3, vcc
.LBB529_1423:
	s_or_b64 exec, exec, s[10:11]
.LBB529_1424:
	s_or_b64 exec, exec, s[8:9]
	v_mov_b32_e32 v11, 0
	s_cmp_lt_i32 s20, 11
	v_lshl_add_u64 v[10:11], s[6:7], 0, v[10:11]
	s_cbranch_scc1 .LBB529_1431
; %bb.1425:
	s_cmp_gt_i32 s20, 25
	s_mov_b64 s[10:11], 0
	s_cbranch_scc0 .LBB529_1433
; %bb.1426:
	s_cmp_gt_i32 s20, 28
	s_cbranch_scc0 .LBB529_1434
; %bb.1427:
	s_cmp_gt_i32 s20, 43
	;; [unrolled: 3-line block ×3, first 2 shown]
	s_cbranch_scc0 .LBB529_1437
; %bb.1429:
	s_cmp_eq_u32 s20, 46
	s_mov_b64 s[14:15], 0
	s_cbranch_scc0 .LBB529_1438
; %bb.1430:
	global_load_dword v5, v[10:11], off
	s_mov_b64 s[8:9], 0
	s_mov_b64 s[12:13], -1
	s_waitcnt vmcnt(0)
	v_lshlrev_b32_e32 v5, 16, v5
	v_cvt_f16_f32_e32 v5, v5
	s_branch .LBB529_1439
.LBB529_1431:
	s_mov_b64 s[12:13], 0
                                        ; implicit-def: $vgpr5
	s_cbranch_execnz .LBB529_1505
.LBB529_1432:
	s_andn2_b64 vcc, exec, s[12:13]
	s_cbranch_vccnz .LBB529_1769
	s_branch .LBB529_1553
.LBB529_1433:
	s_mov_b64 s[14:15], -1
	s_mov_b64 s[12:13], 0
	s_mov_b64 s[8:9], 0
                                        ; implicit-def: $vgpr5
	s_branch .LBB529_1468
.LBB529_1434:
	s_mov_b64 s[14:15], -1
	s_mov_b64 s[12:13], 0
	s_mov_b64 s[8:9], 0
                                        ; implicit-def: $vgpr5
	s_branch .LBB529_1449
.LBB529_1435:
	s_mov_b64 s[14:15], -1
	s_mov_b64 s[12:13], 0
	s_mov_b64 s[8:9], 0
                                        ; implicit-def: $vgpr5
	s_branch .LBB529_1444
.LBB529_1436:
	s_trap 2
	s_or_b64 s[2:3], s[2:3], exec
	s_cbranch_execz .LBB529_1371
	s_branch .LBB529_1372
.LBB529_1437:
	s_mov_b64 s[14:15], -1
	s_mov_b64 s[12:13], 0
	s_mov_b64 s[8:9], 0
                                        ; implicit-def: $vgpr5
	s_branch .LBB529_1439
.LBB529_1438:
	s_mov_b64 s[8:9], -1
                                        ; implicit-def: $vgpr5
	s_mov_b64 s[12:13], 0
.LBB529_1439:
	s_and_b64 vcc, exec, s[14:15]
	s_cbranch_vccz .LBB529_1443
; %bb.1440:
	s_cmp_eq_u32 s20, 44
	s_cbranch_scc0 .LBB529_1442
; %bb.1441:
	global_load_ubyte v5, v[10:11], off
	s_movk_i32 s12, 0xff
	v_mov_b32_e32 v9, 0x7e00
	s_mov_b64 s[8:9], 0
	s_waitcnt vmcnt(0)
	v_lshlrev_b32_e32 v7, 23, v5
	v_cvt_f16_f32_e32 v7, v7
	v_cmp_ne_u32_e32 vcc, s12, v5
	s_mov_b64 s[12:13], -1
	s_nop 0
	v_cndmask_b32_e32 v7, v9, v7, vcc
	v_cmp_ne_u32_e32 vcc, 0, v5
	s_nop 1
	v_cndmask_b32_e32 v5, 0, v7, vcc
	s_branch .LBB529_1443
.LBB529_1442:
	s_mov_b64 s[8:9], -1
                                        ; implicit-def: $vgpr5
.LBB529_1443:
	s_mov_b64 s[14:15], 0
.LBB529_1444:
	s_and_b64 vcc, exec, s[14:15]
	s_cbranch_vccz .LBB529_1448
; %bb.1445:
	s_cmp_eq_u32 s20, 29
	s_cbranch_scc0 .LBB529_1447
; %bb.1446:
	global_load_dwordx2 v[12:13], v[10:11], off
	s_mov_b64 s[8:9], 0
	s_mov_b64 s[12:13], -1
	s_mov_b64 s[14:15], 0
	s_waitcnt vmcnt(0)
	v_ffbh_u32_e32 v5, v13
	v_min_u32_e32 v5, 32, v5
	v_lshlrev_b64 v[12:13], v5, v[12:13]
	v_min_u32_e32 v7, 1, v12
	v_or_b32_e32 v7, v13, v7
	v_cvt_f32_u32_e32 v7, v7
	v_sub_u32_e32 v5, 32, v5
	v_ldexp_f32 v5, v7, v5
	v_cvt_f16_f32_e32 v5, v5
	s_branch .LBB529_1449
.LBB529_1447:
	s_mov_b64 s[8:9], -1
                                        ; implicit-def: $vgpr5
.LBB529_1448:
	s_mov_b64 s[14:15], 0
.LBB529_1449:
	s_and_b64 vcc, exec, s[14:15]
	s_cbranch_vccz .LBB529_1467
; %bb.1450:
	s_cmp_lt_i32 s20, 27
	s_cbranch_scc1 .LBB529_1453
; %bb.1451:
	s_cmp_gt_i32 s20, 27
	s_cbranch_scc0 .LBB529_1454
; %bb.1452:
	global_load_dword v5, v[10:11], off
	s_mov_b64 s[12:13], 0
	s_waitcnt vmcnt(0)
	v_cvt_f32_u32_e32 v5, v5
	v_cvt_f16_f32_e32 v5, v5
	s_branch .LBB529_1455
.LBB529_1453:
	s_mov_b64 s[12:13], -1
                                        ; implicit-def: $vgpr5
	s_branch .LBB529_1458
.LBB529_1454:
	s_mov_b64 s[12:13], -1
                                        ; implicit-def: $vgpr5
.LBB529_1455:
	s_andn2_b64 vcc, exec, s[12:13]
	s_cbranch_vccnz .LBB529_1457
; %bb.1456:
	global_load_ushort v5, v[10:11], off
	s_waitcnt vmcnt(0)
	v_cvt_f16_u16_e32 v5, v5
.LBB529_1457:
	s_mov_b64 s[12:13], 0
.LBB529_1458:
	s_andn2_b64 vcc, exec, s[12:13]
	s_cbranch_vccnz .LBB529_1466
; %bb.1459:
	global_load_ubyte v7, v[10:11], off
	s_movk_i32 s12, 0x7f
	s_waitcnt vmcnt(0)
	v_cmp_lt_i16_e32 vcc, s12, v7
	s_mov_b64 s[12:13], 0
	s_and_saveexec_b64 s[14:15], vcc
	s_xor_b64 s[14:15], exec, s[14:15]
	s_cbranch_execz .LBB529_1480
; %bb.1460:
	s_movk_i32 s12, 0x80
	v_cmp_eq_u16_e32 vcc, s12, v7
	s_mov_b64 s[12:13], -1
	s_and_saveexec_b64 s[16:17], vcc
; %bb.1461:
	s_xor_b64 s[12:13], exec, -1
; %bb.1462:
	s_or_b64 exec, exec, s[16:17]
	s_and_b64 s[12:13], s[12:13], exec
	s_or_saveexec_b64 s[14:15], s[14:15]
	v_mov_b32_e32 v5, 0x7e00
	s_xor_b64 exec, exec, s[14:15]
	s_cbranch_execnz .LBB529_1481
.LBB529_1463:
	s_or_b64 exec, exec, s[14:15]
	s_and_saveexec_b64 s[14:15], s[12:13]
	s_cbranch_execz .LBB529_1465
.LBB529_1464:
	v_lshlrev_b32_e32 v5, 24, v7
	v_and_b32_e32 v7, 0xffff, v7
	v_and_b32_e32 v9, 7, v7
	v_ffbh_u32_e32 v13, v9
	v_min_u32_e32 v13, 32, v13
	v_subrev_u32_e32 v14, 28, v13
	v_bfe_u32 v12, v7, 3, 4
	v_lshlrev_b32_e32 v7, v14, v7
	v_sub_u32_e32 v13, 29, v13
	v_and_b32_e32 v7, 7, v7
	v_cmp_eq_u32_e32 vcc, 0, v12
	v_and_b32_e32 v5, 0x80000000, v5
	s_nop 0
	v_cndmask_b32_e32 v12, v12, v13, vcc
	v_cndmask_b32_e32 v7, v9, v7, vcc
	v_mov_b32_e32 v9, 0x3b800000
	v_lshlrev_b32_e32 v7, 20, v7
	v_lshl_add_u32 v9, v12, 23, v9
	v_or3_b32 v5, v5, v9, v7
	v_cvt_f16_f32_e32 v5, v5
.LBB529_1465:
	s_or_b64 exec, exec, s[14:15]
.LBB529_1466:
	s_mov_b64 s[12:13], -1
.LBB529_1467:
	s_mov_b64 s[14:15], 0
.LBB529_1468:
	s_and_b64 vcc, exec, s[14:15]
	s_cbranch_vccz .LBB529_1501
; %bb.1469:
	s_cmp_gt_i32 s20, 22
	s_cbranch_scc0 .LBB529_1479
; %bb.1470:
	s_cmp_lt_i32 s20, 24
	s_cbranch_scc1 .LBB529_1482
; %bb.1471:
	s_cmp_gt_i32 s20, 24
	s_cbranch_scc0 .LBB529_1483
; %bb.1472:
	global_load_ubyte v7, v[10:11], off
	s_movk_i32 s10, 0x7f
	s_waitcnt vmcnt(0)
	v_cmp_lt_i16_e32 vcc, s10, v7
	s_mov_b64 s[10:11], 0
	s_and_saveexec_b64 s[12:13], vcc
	s_xor_b64 s[12:13], exec, s[12:13]
	s_cbranch_execz .LBB529_1495
; %bb.1473:
	s_movk_i32 s10, 0x80
	v_cmp_eq_u16_e32 vcc, s10, v7
	s_mov_b64 s[10:11], -1
	s_and_saveexec_b64 s[14:15], vcc
; %bb.1474:
	s_xor_b64 s[10:11], exec, -1
; %bb.1475:
	s_or_b64 exec, exec, s[14:15]
	s_and_b64 s[10:11], s[10:11], exec
	s_or_saveexec_b64 s[12:13], s[12:13]
	v_mov_b32_e32 v5, 0x7e00
	s_xor_b64 exec, exec, s[12:13]
	s_cbranch_execnz .LBB529_1496
.LBB529_1476:
	s_or_b64 exec, exec, s[12:13]
	s_and_saveexec_b64 s[12:13], s[10:11]
	s_cbranch_execz .LBB529_1478
.LBB529_1477:
	v_lshlrev_b32_e32 v5, 24, v7
	v_and_b32_e32 v7, 0xffff, v7
	v_and_b32_e32 v9, 3, v7
	v_ffbh_u32_e32 v13, v9
	v_min_u32_e32 v13, 32, v13
	v_subrev_u32_e32 v14, 29, v13
	v_bfe_u32 v12, v7, 2, 5
	v_lshlrev_b32_e32 v7, v14, v7
	v_sub_u32_e32 v13, 30, v13
	v_and_b32_e32 v7, 3, v7
	v_cmp_eq_u32_e32 vcc, 0, v12
	v_and_b32_e32 v5, 0x80000000, v5
	s_nop 0
	v_cndmask_b32_e32 v12, v12, v13, vcc
	v_cndmask_b32_e32 v7, v9, v7, vcc
	v_mov_b32_e32 v9, 0x37800000
	v_lshlrev_b32_e32 v7, 21, v7
	v_lshl_add_u32 v9, v12, 23, v9
	v_or3_b32 v5, v5, v9, v7
	v_cvt_f16_f32_e32 v5, v5
.LBB529_1478:
	s_or_b64 exec, exec, s[12:13]
	s_mov_b64 s[10:11], 0
	s_branch .LBB529_1484
.LBB529_1479:
	s_mov_b64 s[10:11], -1
                                        ; implicit-def: $vgpr5
	s_branch .LBB529_1490
.LBB529_1480:
	s_or_saveexec_b64 s[14:15], s[14:15]
	v_mov_b32_e32 v5, 0x7e00
	s_xor_b64 exec, exec, s[14:15]
	s_cbranch_execz .LBB529_1463
.LBB529_1481:
	v_cmp_ne_u16_e32 vcc, 0, v7
	s_andn2_b64 s[12:13], s[12:13], exec
	s_and_b64 s[16:17], vcc, exec
	s_or_b64 s[12:13], s[12:13], s[16:17]
	v_mov_b32_e32 v5, v7
	s_or_b64 exec, exec, s[14:15]
	s_and_saveexec_b64 s[14:15], s[12:13]
	s_cbranch_execnz .LBB529_1464
	s_branch .LBB529_1465
.LBB529_1482:
	s_mov_b64 s[10:11], -1
                                        ; implicit-def: $vgpr5
	s_branch .LBB529_1487
.LBB529_1483:
	s_mov_b64 s[10:11], -1
                                        ; implicit-def: $vgpr5
.LBB529_1484:
	s_and_b64 vcc, exec, s[10:11]
	s_cbranch_vccz .LBB529_1486
; %bb.1485:
	global_load_ubyte v5, v[10:11], off
	s_mov_b32 s10, 0x7f800000
	s_waitcnt vmcnt(0)
	v_lshlrev_b32_e32 v5, 24, v5
	v_and_b32_e32 v7, 0x7f000000, v5
	v_ffbh_u32_e32 v9, v7
	v_min_u32_e32 v9, 32, v9
	v_sub_u32_e64 v9, v9, 4 clamp
	v_lshlrev_b32_e32 v13, v9, v7
	v_lshlrev_b32_e32 v9, 23, v9
	v_lshrrev_b32_e32 v13, 4, v13
	v_add_u32_e32 v12, 0x1000000, v7
	v_sub_u32_e32 v9, v13, v9
	v_ashrrev_i32_e32 v12, 8, v12
	v_add_u32_e32 v9, 0x3c000000, v9
	v_and_or_b32 v9, v12, s10, v9
	v_cmp_ne_u32_e32 vcc, 0, v7
	s_brev_b32 s10, 1
	s_nop 0
	v_cndmask_b32_e32 v7, 0, v9, vcc
	v_and_or_b32 v5, v5, s10, v7
	v_cvt_f16_f32_e32 v5, v5
.LBB529_1486:
	s_mov_b64 s[10:11], 0
.LBB529_1487:
	s_andn2_b64 vcc, exec, s[10:11]
	s_cbranch_vccnz .LBB529_1489
; %bb.1488:
	global_load_ubyte v5, v[10:11], off
	s_movk_i32 s10, 0x7f00
	s_brev_b32 s11, 16
	s_waitcnt vmcnt(0)
	v_lshlrev_b16_e32 v7, 8, v5
	v_lshlrev_b32_e32 v5, 25, v5
	v_lshrrev_b32_e32 v9, 4, v5
	v_and_or_b32 v12, v7, s10, 0.5
	v_or_b32_e32 v9, 0x70000000, v9
	v_add_f32_e32 v12, -0.5, v12
	v_mul_f32_e32 v9, 0x7800000, v9
	v_cmp_gt_u32_e32 vcc, s11, v5
	v_bfe_i32 v7, v7, 0, 16
	s_brev_b32 s10, 1
	v_cndmask_b32_e32 v5, v9, v12, vcc
	v_and_or_b32 v5, v7, s10, v5
	v_cvt_f16_f32_e32 v5, v5
.LBB529_1489:
	s_mov_b64 s[10:11], 0
	s_mov_b64 s[12:13], -1
.LBB529_1490:
	s_andn2_b64 vcc, exec, s[10:11]
	s_mov_b64 s[10:11], 0
	s_cbranch_vccnz .LBB529_1501
; %bb.1491:
	s_cmp_gt_i32 s20, 14
	s_cbranch_scc0 .LBB529_1494
; %bb.1492:
	s_cmp_eq_u32 s20, 15
	s_cbranch_scc0 .LBB529_1497
; %bb.1493:
	global_load_ushort v5, v[10:11], off
	s_mov_b64 s[8:9], 0
	s_mov_b64 s[12:13], -1
	s_waitcnt vmcnt(0)
	v_lshlrev_b32_e32 v5, 16, v5
	v_cvt_f16_f32_e32 v5, v5
	s_branch .LBB529_1498
.LBB529_1494:
	s_mov_b64 s[14:15], -1
                                        ; implicit-def: $vgpr5
	s_branch .LBB529_1499
.LBB529_1495:
	s_or_saveexec_b64 s[12:13], s[12:13]
	v_mov_b32_e32 v5, 0x7e00
	s_xor_b64 exec, exec, s[12:13]
	s_cbranch_execz .LBB529_1476
.LBB529_1496:
	v_cmp_ne_u16_e32 vcc, 0, v7
	s_andn2_b64 s[10:11], s[10:11], exec
	s_and_b64 s[14:15], vcc, exec
	s_or_b64 s[10:11], s[10:11], s[14:15]
	v_mov_b32_e32 v5, v7
	s_or_b64 exec, exec, s[12:13]
	s_and_saveexec_b64 s[12:13], s[10:11]
	s_cbranch_execnz .LBB529_1477
	s_branch .LBB529_1478
.LBB529_1497:
	s_mov_b64 s[8:9], -1
                                        ; implicit-def: $vgpr5
.LBB529_1498:
	s_mov_b64 s[14:15], 0
.LBB529_1499:
	s_and_b64 vcc, exec, s[14:15]
	s_cbranch_vccz .LBB529_1501
; %bb.1500:
	s_cmp_lg_u32 s20, 11
	s_mov_b64 s[10:11], -1
	s_cselect_b64 s[8:9], -1, 0
.LBB529_1501:
	s_and_b64 vcc, exec, s[8:9]
	s_cbranch_vccnz .LBB529_1568
; %bb.1502:
	s_andn2_b64 vcc, exec, s[10:11]
	s_cbranch_vccnz .LBB529_1504
.LBB529_1503:
	global_load_ubyte v5, v[10:11], off
	v_mov_b32_e32 v7, 0x3c00
	s_mov_b64 s[12:13], -1
	s_waitcnt vmcnt(0)
	v_cmp_ne_u16_e32 vcc, 0, v5
	s_nop 1
	v_cndmask_b32_e32 v5, 0, v7, vcc
.LBB529_1504:
	s_branch .LBB529_1432
.LBB529_1505:
	s_cmp_lt_i32 s20, 5
	s_cbranch_scc1 .LBB529_1510
; %bb.1506:
	s_cmp_lt_i32 s20, 8
	s_cbranch_scc1 .LBB529_1511
; %bb.1507:
	;; [unrolled: 3-line block ×3, first 2 shown]
	s_cmp_gt_i32 s20, 9
	s_cbranch_scc0 .LBB529_1513
; %bb.1509:
	global_load_dwordx2 v[12:13], v[10:11], off
	s_movk_i32 s8, 0x1ff
	s_movk_i32 s9, 0xffe
	v_mov_b32_e32 v5, 0x7c00
	v_mov_b32_e32 v7, 0x7e00
	s_movk_i32 s10, 0x40f
	s_mov_b32 s11, 0x8000
	s_waitcnt vmcnt(0)
	v_and_or_b32 v9, v13, s8, v12
	v_cmp_ne_u32_e32 vcc, 0, v9
	v_lshrrev_b32_e32 v12, 8, v13
	v_bfe_u32 v14, v13, 20, 11
	v_cndmask_b32_e64 v9, 0, 1, vcc
	v_sub_u32_e32 v15, 0x3f1, v14
	v_and_or_b32 v9, v12, s9, v9
	v_add_u32_e32 v14, 0xfffffc10, v14
	v_med3_i32 v12, v15, 0, 13
	v_or_b32_e32 v15, 0x1000, v9
	v_lshl_or_b32 v16, v14, 12, v9
	v_cmp_ne_u32_e32 vcc, 0, v9
	v_lshrrev_b32_e32 v9, v12, v15
	v_lshlrev_b32_e32 v12, v12, v9
	v_cndmask_b32_e32 v7, v5, v7, vcc
	v_cmp_ne_u32_e32 vcc, v12, v15
	v_lshrrev_b32_e32 v13, 16, v13
	s_mov_b64 s[8:9], 0
	v_cndmask_b32_e64 v12, 0, 1, vcc
	v_or_b32_e32 v9, v9, v12
	v_cmp_gt_i32_e32 vcc, 1, v14
	s_nop 1
	v_cndmask_b32_e32 v9, v16, v9, vcc
	v_and_b32_e32 v12, 7, v9
	v_cmp_lt_i32_e32 vcc, 5, v12
	v_lshrrev_b32_e32 v9, 2, v9
	s_nop 0
	v_cndmask_b32_e64 v15, 0, 1, vcc
	v_cmp_eq_u32_e32 vcc, 3, v12
	s_nop 1
	v_cndmask_b32_e64 v12, 0, 1, vcc
	v_or_b32_e32 v12, v12, v15
	v_add_u32_e32 v9, v9, v12
	v_cmp_gt_i32_e32 vcc, 31, v14
	s_nop 1
	v_cndmask_b32_e32 v5, v5, v9, vcc
	v_cmp_eq_u32_e32 vcc, s10, v14
	s_nop 1
	v_cndmask_b32_e32 v5, v5, v7, vcc
	v_and_or_b32 v5, v13, s11, v5
	s_branch .LBB529_1514
.LBB529_1510:
	s_mov_b64 s[8:9], -1
                                        ; implicit-def: $vgpr5
	s_branch .LBB529_1532
.LBB529_1511:
	s_mov_b64 s[8:9], -1
                                        ; implicit-def: $vgpr5
	s_branch .LBB529_1520
.LBB529_1512:
	s_mov_b64 s[8:9], -1
                                        ; implicit-def: $vgpr5
	s_branch .LBB529_1517
.LBB529_1513:
	s_mov_b64 s[8:9], -1
                                        ; implicit-def: $vgpr5
.LBB529_1514:
	s_andn2_b64 vcc, exec, s[8:9]
	s_cbranch_vccnz .LBB529_1516
; %bb.1515:
	global_load_dword v5, v[10:11], off
	s_waitcnt vmcnt(0)
	v_cvt_f16_f32_e32 v5, v5
.LBB529_1516:
	s_mov_b64 s[8:9], 0
.LBB529_1517:
	s_andn2_b64 vcc, exec, s[8:9]
	s_cbranch_vccnz .LBB529_1519
; %bb.1518:
	global_load_dword v5, v[10:11], off
.LBB529_1519:
	s_mov_b64 s[8:9], 0
.LBB529_1520:
	s_andn2_b64 vcc, exec, s[8:9]
	s_cbranch_vccnz .LBB529_1531
; %bb.1521:
	s_cmp_lt_i32 s20, 6
	s_cbranch_scc1 .LBB529_1524
; %bb.1522:
	s_cmp_gt_i32 s20, 6
	s_cbranch_scc0 .LBB529_1525
; %bb.1523:
	global_load_dwordx2 v[12:13], v[10:11], off
	s_movk_i32 s8, 0x1ff
	s_movk_i32 s9, 0xffe
	s_waitcnt vmcnt(1)
	v_mov_b32_e32 v5, 0x7c00
	v_mov_b32_e32 v7, 0x7e00
	s_movk_i32 s10, 0x40f
	s_mov_b32 s11, 0x8000
	s_waitcnt vmcnt(0)
	v_and_or_b32 v9, v13, s8, v12
	v_cmp_ne_u32_e32 vcc, 0, v9
	v_lshrrev_b32_e32 v12, 8, v13
	v_bfe_u32 v14, v13, 20, 11
	v_cndmask_b32_e64 v9, 0, 1, vcc
	v_sub_u32_e32 v15, 0x3f1, v14
	v_and_or_b32 v9, v12, s9, v9
	v_add_u32_e32 v14, 0xfffffc10, v14
	v_med3_i32 v12, v15, 0, 13
	v_or_b32_e32 v15, 0x1000, v9
	v_lshl_or_b32 v16, v14, 12, v9
	v_cmp_ne_u32_e32 vcc, 0, v9
	v_lshrrev_b32_e32 v9, v12, v15
	v_lshlrev_b32_e32 v12, v12, v9
	v_cndmask_b32_e32 v7, v5, v7, vcc
	v_cmp_ne_u32_e32 vcc, v12, v15
	v_lshrrev_b32_e32 v13, 16, v13
	s_mov_b64 s[8:9], 0
	v_cndmask_b32_e64 v12, 0, 1, vcc
	v_or_b32_e32 v9, v9, v12
	v_cmp_gt_i32_e32 vcc, 1, v14
	s_nop 1
	v_cndmask_b32_e32 v9, v16, v9, vcc
	v_and_b32_e32 v12, 7, v9
	v_cmp_lt_i32_e32 vcc, 5, v12
	v_lshrrev_b32_e32 v9, 2, v9
	s_nop 0
	v_cndmask_b32_e64 v15, 0, 1, vcc
	v_cmp_eq_u32_e32 vcc, 3, v12
	s_nop 1
	v_cndmask_b32_e64 v12, 0, 1, vcc
	v_or_b32_e32 v12, v12, v15
	v_add_u32_e32 v9, v9, v12
	v_cmp_gt_i32_e32 vcc, 31, v14
	s_nop 1
	v_cndmask_b32_e32 v5, v5, v9, vcc
	v_cmp_eq_u32_e32 vcc, s10, v14
	s_nop 1
	v_cndmask_b32_e32 v5, v5, v7, vcc
	v_and_or_b32 v5, v13, s11, v5
	s_branch .LBB529_1526
.LBB529_1524:
	s_mov_b64 s[8:9], -1
                                        ; implicit-def: $vgpr5
	s_branch .LBB529_1529
.LBB529_1525:
	s_mov_b64 s[8:9], -1
                                        ; implicit-def: $vgpr5
.LBB529_1526:
	s_andn2_b64 vcc, exec, s[8:9]
	s_cbranch_vccnz .LBB529_1528
; %bb.1527:
	global_load_dword v5, v[10:11], off
	s_waitcnt vmcnt(0)
	v_cvt_f16_f32_e32 v5, v5
.LBB529_1528:
	s_mov_b64 s[8:9], 0
.LBB529_1529:
	s_andn2_b64 vcc, exec, s[8:9]
	s_cbranch_vccnz .LBB529_1531
; %bb.1530:
	global_load_ushort v5, v[10:11], off
.LBB529_1531:
	s_mov_b64 s[8:9], 0
.LBB529_1532:
	s_andn2_b64 vcc, exec, s[8:9]
	s_cbranch_vccnz .LBB529_1552
; %bb.1533:
	s_cmp_lt_i32 s20, 2
	s_cbranch_scc1 .LBB529_1537
; %bb.1534:
	s_cmp_lt_i32 s20, 3
	s_cbranch_scc1 .LBB529_1538
; %bb.1535:
	s_cmp_gt_i32 s20, 3
	s_cbranch_scc0 .LBB529_1539
; %bb.1536:
	global_load_dwordx2 v[12:13], v[10:11], off
	s_mov_b64 s[8:9], 0
	s_waitcnt vmcnt(0)
	v_xor_b32_e32 v7, v12, v13
	v_ffbh_i32_e32 v5, v13
	v_ashrrev_i32_e32 v7, 31, v7
	v_add_u32_e32 v5, -1, v5
	v_add_u32_e32 v7, 32, v7
	v_min_u32_e32 v5, v5, v7
	v_lshlrev_b64 v[12:13], v5, v[12:13]
	v_min_u32_e32 v7, 1, v12
	v_or_b32_e32 v7, v13, v7
	v_cvt_f32_i32_e32 v7, v7
	v_sub_u32_e32 v5, 32, v5
	v_ldexp_f32 v5, v7, v5
	v_cvt_f16_f32_e32 v5, v5
	s_branch .LBB529_1540
.LBB529_1537:
	s_mov_b64 s[8:9], -1
                                        ; implicit-def: $vgpr5
	s_branch .LBB529_1546
.LBB529_1538:
	s_mov_b64 s[8:9], -1
                                        ; implicit-def: $vgpr5
	s_branch .LBB529_1543
.LBB529_1539:
	s_mov_b64 s[8:9], -1
                                        ; implicit-def: $vgpr5
.LBB529_1540:
	s_andn2_b64 vcc, exec, s[8:9]
	s_cbranch_vccnz .LBB529_1542
; %bb.1541:
	global_load_dword v5, v[10:11], off
	s_waitcnt vmcnt(0)
	v_cvt_f32_i32_e32 v5, v5
	v_cvt_f16_f32_e32 v5, v5
.LBB529_1542:
	s_mov_b64 s[8:9], 0
.LBB529_1543:
	s_andn2_b64 vcc, exec, s[8:9]
	s_cbranch_vccnz .LBB529_1545
; %bb.1544:
	global_load_ushort v5, v[10:11], off
	s_waitcnt vmcnt(0)
	v_cvt_f16_i16_e32 v5, v5
.LBB529_1545:
	s_mov_b64 s[8:9], 0
.LBB529_1546:
	s_andn2_b64 vcc, exec, s[8:9]
	s_cbranch_vccnz .LBB529_1552
; %bb.1547:
	s_cmp_gt_i32 s20, 0
	s_cbranch_scc0 .LBB529_1549
; %bb.1548:
	global_load_sbyte v5, v[10:11], off
	s_mov_b64 s[8:9], 0
	s_waitcnt vmcnt(0)
	v_cvt_f16_i16_e32 v5, v5
	s_branch .LBB529_1550
.LBB529_1549:
	s_mov_b64 s[8:9], -1
                                        ; implicit-def: $vgpr5
.LBB529_1550:
	s_andn2_b64 vcc, exec, s[8:9]
	s_cbranch_vccnz .LBB529_1552
; %bb.1551:
	global_load_ubyte v5, v[10:11], off
	s_waitcnt vmcnt(0)
	v_cvt_f16_u16_e32 v5, v5
.LBB529_1552:
.LBB529_1553:
	s_waitcnt vmcnt(0)
	v_cmp_o_f16_e32 vcc, v5, v5
	v_mov_b32_e32 v10, s19
	s_and_saveexec_b64 s[8:9], vcc
	s_cbranch_execz .LBB529_1557
; %bb.1554:
	s_load_dword s10, s[0:1], 0x160
	s_movk_i32 s11, 0x7c00
	v_cmp_neq_f16_e32 vcc, s11, v5
	s_waitcnt lgkmcnt(0)
	s_lshr_b32 s10, s10, 16
	v_mov_b32_e32 v10, s10
	s_and_saveexec_b64 s[10:11], vcc
	s_cbranch_execz .LBB529_1556
; %bb.1555:
	s_load_dword s12, s[34:35], 0x15c
	s_mov_b32 s13, 0xfc00
	v_cmp_eq_f16_e32 vcc, s13, v5
	s_waitcnt lgkmcnt(0)
	v_mov_b32_e32 v7, s12
	v_cndmask_b32_e32 v10, v5, v7, vcc
.LBB529_1556:
	s_or_b64 exec, exec, s[10:11]
.LBB529_1557:
	s_or_b64 exec, exec, s[8:9]
	v_mov_b32_e32 v9, 0
	s_cmp_lt_i32 s20, 11
	v_lshl_add_u64 v[8:9], s[6:7], 0, v[8:9]
	s_cbranch_scc1 .LBB529_1564
; %bb.1558:
	s_cmp_gt_i32 s20, 25
	s_mov_b64 s[8:9], 0
	s_cbranch_scc0 .LBB529_1565
; %bb.1559:
	s_cmp_gt_i32 s20, 28
	s_cbranch_scc0 .LBB529_1566
; %bb.1560:
	s_cmp_gt_i32 s20, 43
	;; [unrolled: 3-line block ×3, first 2 shown]
	s_cbranch_scc0 .LBB529_1569
; %bb.1562:
	s_cmp_eq_u32 s20, 46
	s_mov_b64 s[12:13], 0
	s_cbranch_scc0 .LBB529_1570
; %bb.1563:
	global_load_dword v5, v[8:9], off
	s_mov_b64 s[6:7], 0
	s_mov_b64 s[10:11], -1
	s_waitcnt vmcnt(0)
	v_lshlrev_b32_e32 v5, 16, v5
	v_cvt_f16_f32_e32 v5, v5
	s_branch .LBB529_1571
.LBB529_1564:
	s_mov_b64 s[6:7], -1
	s_mov_b64 s[10:11], 0
                                        ; implicit-def: $vgpr5
	s_branch .LBB529_1637
.LBB529_1565:
	s_mov_b64 s[12:13], -1
	s_mov_b64 s[10:11], 0
	s_mov_b64 s[6:7], 0
                                        ; implicit-def: $vgpr5
	s_branch .LBB529_1600
.LBB529_1566:
	s_mov_b64 s[12:13], -1
	s_mov_b64 s[10:11], 0
	s_mov_b64 s[6:7], 0
                                        ; implicit-def: $vgpr5
	s_branch .LBB529_1581
.LBB529_1567:
	s_mov_b64 s[12:13], -1
	s_mov_b64 s[10:11], 0
	s_mov_b64 s[6:7], 0
                                        ; implicit-def: $vgpr5
	s_branch .LBB529_1576
.LBB529_1568:
	s_trap 2
	s_or_b64 s[2:3], s[2:3], exec
	s_cbranch_execz .LBB529_1503
	s_branch .LBB529_1504
.LBB529_1569:
	s_mov_b64 s[12:13], -1
	s_mov_b64 s[10:11], 0
	s_mov_b64 s[6:7], 0
                                        ; implicit-def: $vgpr5
	s_branch .LBB529_1571
.LBB529_1570:
	s_mov_b64 s[6:7], -1
                                        ; implicit-def: $vgpr5
	s_mov_b64 s[10:11], 0
.LBB529_1571:
	s_and_b64 vcc, exec, s[12:13]
	s_cbranch_vccz .LBB529_1575
; %bb.1572:
	s_cmp_eq_u32 s20, 44
	s_cbranch_scc0 .LBB529_1574
; %bb.1573:
	global_load_ubyte v5, v[8:9], off
	s_movk_i32 s10, 0xff
	v_mov_b32_e32 v11, 0x7e00
	s_mov_b64 s[6:7], 0
	s_waitcnt vmcnt(0)
	v_lshlrev_b32_e32 v7, 23, v5
	v_cvt_f16_f32_e32 v7, v7
	v_cmp_ne_u32_e32 vcc, s10, v5
	s_mov_b64 s[10:11], -1
	s_nop 0
	v_cndmask_b32_e32 v7, v11, v7, vcc
	v_cmp_ne_u32_e32 vcc, 0, v5
	s_nop 1
	v_cndmask_b32_e32 v5, 0, v7, vcc
	s_branch .LBB529_1575
.LBB529_1574:
	s_mov_b64 s[6:7], -1
                                        ; implicit-def: $vgpr5
.LBB529_1575:
	s_mov_b64 s[12:13], 0
.LBB529_1576:
	s_and_b64 vcc, exec, s[12:13]
	s_cbranch_vccz .LBB529_1580
; %bb.1577:
	s_cmp_eq_u32 s20, 29
	s_cbranch_scc0 .LBB529_1579
; %bb.1578:
	global_load_dwordx2 v[12:13], v[8:9], off
	s_mov_b64 s[6:7], 0
	s_mov_b64 s[10:11], -1
	s_mov_b64 s[12:13], 0
	s_waitcnt vmcnt(0)
	v_ffbh_u32_e32 v5, v13
	v_min_u32_e32 v5, 32, v5
	v_lshlrev_b64 v[12:13], v5, v[12:13]
	v_min_u32_e32 v7, 1, v12
	v_or_b32_e32 v7, v13, v7
	v_cvt_f32_u32_e32 v7, v7
	v_sub_u32_e32 v5, 32, v5
	v_ldexp_f32 v5, v7, v5
	v_cvt_f16_f32_e32 v5, v5
	s_branch .LBB529_1581
.LBB529_1579:
	s_mov_b64 s[6:7], -1
                                        ; implicit-def: $vgpr5
.LBB529_1580:
	s_mov_b64 s[12:13], 0
.LBB529_1581:
	s_and_b64 vcc, exec, s[12:13]
	s_cbranch_vccz .LBB529_1599
; %bb.1582:
	s_cmp_lt_i32 s20, 27
	s_cbranch_scc1 .LBB529_1585
; %bb.1583:
	s_cmp_gt_i32 s20, 27
	s_cbranch_scc0 .LBB529_1586
; %bb.1584:
	global_load_dword v5, v[8:9], off
	s_mov_b64 s[10:11], 0
	s_waitcnt vmcnt(0)
	v_cvt_f32_u32_e32 v5, v5
	v_cvt_f16_f32_e32 v5, v5
	s_branch .LBB529_1587
.LBB529_1585:
	s_mov_b64 s[10:11], -1
                                        ; implicit-def: $vgpr5
	s_branch .LBB529_1590
.LBB529_1586:
	s_mov_b64 s[10:11], -1
                                        ; implicit-def: $vgpr5
.LBB529_1587:
	s_andn2_b64 vcc, exec, s[10:11]
	s_cbranch_vccnz .LBB529_1589
; %bb.1588:
	global_load_ushort v5, v[8:9], off
	s_waitcnt vmcnt(0)
	v_cvt_f16_u16_e32 v5, v5
.LBB529_1589:
	s_mov_b64 s[10:11], 0
.LBB529_1590:
	s_andn2_b64 vcc, exec, s[10:11]
	s_cbranch_vccnz .LBB529_1598
; %bb.1591:
	global_load_ubyte v7, v[8:9], off
	s_movk_i32 s10, 0x7f
	s_waitcnt vmcnt(0)
	v_cmp_lt_i16_e32 vcc, s10, v7
	s_mov_b64 s[10:11], 0
	s_and_saveexec_b64 s[12:13], vcc
	s_xor_b64 s[12:13], exec, s[12:13]
	s_cbranch_execz .LBB529_1612
; %bb.1592:
	s_movk_i32 s10, 0x80
	v_cmp_eq_u16_e32 vcc, s10, v7
	s_mov_b64 s[10:11], -1
	s_and_saveexec_b64 s[14:15], vcc
; %bb.1593:
	s_xor_b64 s[10:11], exec, -1
; %bb.1594:
	s_or_b64 exec, exec, s[14:15]
	s_and_b64 s[10:11], s[10:11], exec
	s_or_saveexec_b64 s[12:13], s[12:13]
	v_mov_b32_e32 v5, 0x7e00
	s_xor_b64 exec, exec, s[12:13]
	s_cbranch_execnz .LBB529_1613
.LBB529_1595:
	s_or_b64 exec, exec, s[12:13]
	s_and_saveexec_b64 s[12:13], s[10:11]
	s_cbranch_execz .LBB529_1597
.LBB529_1596:
	v_lshlrev_b32_e32 v5, 24, v7
	v_and_b32_e32 v7, 0xffff, v7
	v_and_b32_e32 v11, 7, v7
	v_ffbh_u32_e32 v13, v11
	v_min_u32_e32 v13, 32, v13
	v_subrev_u32_e32 v14, 28, v13
	v_bfe_u32 v12, v7, 3, 4
	v_lshlrev_b32_e32 v7, v14, v7
	v_sub_u32_e32 v13, 29, v13
	v_and_b32_e32 v7, 7, v7
	v_cmp_eq_u32_e32 vcc, 0, v12
	v_and_b32_e32 v5, 0x80000000, v5
	s_nop 0
	v_cndmask_b32_e32 v12, v12, v13, vcc
	v_cndmask_b32_e32 v7, v11, v7, vcc
	v_mov_b32_e32 v11, 0x3b800000
	v_lshlrev_b32_e32 v7, 20, v7
	v_lshl_add_u32 v11, v12, 23, v11
	v_or3_b32 v5, v5, v11, v7
	v_cvt_f16_f32_e32 v5, v5
.LBB529_1597:
	s_or_b64 exec, exec, s[12:13]
.LBB529_1598:
	s_mov_b64 s[10:11], -1
.LBB529_1599:
	s_mov_b64 s[12:13], 0
.LBB529_1600:
	s_and_b64 vcc, exec, s[12:13]
	s_cbranch_vccz .LBB529_1633
; %bb.1601:
	s_cmp_gt_i32 s20, 22
	s_cbranch_scc0 .LBB529_1611
; %bb.1602:
	s_cmp_lt_i32 s20, 24
	s_cbranch_scc1 .LBB529_1614
; %bb.1603:
	s_cmp_gt_i32 s20, 24
	s_cbranch_scc0 .LBB529_1615
; %bb.1604:
	global_load_ubyte v7, v[8:9], off
	s_movk_i32 s8, 0x7f
	s_waitcnt vmcnt(0)
	v_cmp_lt_i16_e32 vcc, s8, v7
	s_mov_b64 s[8:9], 0
	s_and_saveexec_b64 s[10:11], vcc
	s_xor_b64 s[10:11], exec, s[10:11]
	s_cbranch_execz .LBB529_1627
; %bb.1605:
	s_movk_i32 s8, 0x80
	v_cmp_eq_u16_e32 vcc, s8, v7
	s_mov_b64 s[8:9], -1
	s_and_saveexec_b64 s[12:13], vcc
; %bb.1606:
	s_xor_b64 s[8:9], exec, -1
; %bb.1607:
	s_or_b64 exec, exec, s[12:13]
	s_and_b64 s[8:9], s[8:9], exec
	s_or_saveexec_b64 s[10:11], s[10:11]
	v_mov_b32_e32 v5, 0x7e00
	s_xor_b64 exec, exec, s[10:11]
	s_cbranch_execnz .LBB529_1628
.LBB529_1608:
	s_or_b64 exec, exec, s[10:11]
	s_and_saveexec_b64 s[10:11], s[8:9]
	s_cbranch_execz .LBB529_1610
.LBB529_1609:
	v_lshlrev_b32_e32 v5, 24, v7
	v_and_b32_e32 v7, 0xffff, v7
	v_and_b32_e32 v11, 3, v7
	v_ffbh_u32_e32 v13, v11
	v_min_u32_e32 v13, 32, v13
	v_subrev_u32_e32 v14, 29, v13
	v_bfe_u32 v12, v7, 2, 5
	v_lshlrev_b32_e32 v7, v14, v7
	v_sub_u32_e32 v13, 30, v13
	v_and_b32_e32 v7, 3, v7
	v_cmp_eq_u32_e32 vcc, 0, v12
	v_and_b32_e32 v5, 0x80000000, v5
	s_nop 0
	v_cndmask_b32_e32 v12, v12, v13, vcc
	v_cndmask_b32_e32 v7, v11, v7, vcc
	v_mov_b32_e32 v11, 0x37800000
	v_lshlrev_b32_e32 v7, 21, v7
	v_lshl_add_u32 v11, v12, 23, v11
	v_or3_b32 v5, v5, v11, v7
	v_cvt_f16_f32_e32 v5, v5
.LBB529_1610:
	s_or_b64 exec, exec, s[10:11]
	s_mov_b64 s[8:9], 0
	s_branch .LBB529_1616
.LBB529_1611:
	s_mov_b64 s[8:9], -1
                                        ; implicit-def: $vgpr5
	s_branch .LBB529_1622
.LBB529_1612:
	s_or_saveexec_b64 s[12:13], s[12:13]
	v_mov_b32_e32 v5, 0x7e00
	s_xor_b64 exec, exec, s[12:13]
	s_cbranch_execz .LBB529_1595
.LBB529_1613:
	v_cmp_ne_u16_e32 vcc, 0, v7
	s_andn2_b64 s[10:11], s[10:11], exec
	s_and_b64 s[14:15], vcc, exec
	s_or_b64 s[10:11], s[10:11], s[14:15]
	v_mov_b32_e32 v5, v7
	s_or_b64 exec, exec, s[12:13]
	s_and_saveexec_b64 s[12:13], s[10:11]
	s_cbranch_execnz .LBB529_1596
	s_branch .LBB529_1597
.LBB529_1614:
	s_mov_b64 s[8:9], -1
                                        ; implicit-def: $vgpr5
	s_branch .LBB529_1619
.LBB529_1615:
	s_mov_b64 s[8:9], -1
                                        ; implicit-def: $vgpr5
.LBB529_1616:
	s_and_b64 vcc, exec, s[8:9]
	s_cbranch_vccz .LBB529_1618
; %bb.1617:
	global_load_ubyte v5, v[8:9], off
	s_mov_b32 s8, 0x7f800000
	s_waitcnt vmcnt(0)
	v_lshlrev_b32_e32 v5, 24, v5
	v_and_b32_e32 v7, 0x7f000000, v5
	v_ffbh_u32_e32 v11, v7
	v_min_u32_e32 v11, 32, v11
	v_sub_u32_e64 v11, v11, 4 clamp
	v_lshlrev_b32_e32 v13, v11, v7
	v_lshlrev_b32_e32 v11, 23, v11
	v_lshrrev_b32_e32 v13, 4, v13
	v_add_u32_e32 v12, 0x1000000, v7
	v_sub_u32_e32 v11, v13, v11
	v_ashrrev_i32_e32 v12, 8, v12
	v_add_u32_e32 v11, 0x3c000000, v11
	v_and_or_b32 v11, v12, s8, v11
	v_cmp_ne_u32_e32 vcc, 0, v7
	s_brev_b32 s8, 1
	s_nop 0
	v_cndmask_b32_e32 v7, 0, v11, vcc
	v_and_or_b32 v5, v5, s8, v7
	v_cvt_f16_f32_e32 v5, v5
.LBB529_1618:
	s_mov_b64 s[8:9], 0
.LBB529_1619:
	s_andn2_b64 vcc, exec, s[8:9]
	s_cbranch_vccnz .LBB529_1621
; %bb.1620:
	global_load_ubyte v5, v[8:9], off
	s_movk_i32 s8, 0x7f00
	s_brev_b32 s9, 16
	s_waitcnt vmcnt(0)
	v_lshlrev_b16_e32 v7, 8, v5
	v_lshlrev_b32_e32 v5, 25, v5
	v_lshrrev_b32_e32 v11, 4, v5
	v_and_or_b32 v12, v7, s8, 0.5
	v_or_b32_e32 v11, 0x70000000, v11
	v_add_f32_e32 v12, -0.5, v12
	v_mul_f32_e32 v11, 0x7800000, v11
	v_cmp_gt_u32_e32 vcc, s9, v5
	v_bfe_i32 v7, v7, 0, 16
	s_brev_b32 s8, 1
	v_cndmask_b32_e32 v5, v11, v12, vcc
	v_and_or_b32 v5, v7, s8, v5
	v_cvt_f16_f32_e32 v5, v5
.LBB529_1621:
	s_mov_b64 s[8:9], 0
	s_mov_b64 s[10:11], -1
.LBB529_1622:
	s_andn2_b64 vcc, exec, s[8:9]
	s_mov_b64 s[8:9], 0
	s_cbranch_vccnz .LBB529_1633
; %bb.1623:
	s_cmp_gt_i32 s20, 14
	s_cbranch_scc0 .LBB529_1626
; %bb.1624:
	s_cmp_eq_u32 s20, 15
	s_cbranch_scc0 .LBB529_1629
; %bb.1625:
	global_load_ushort v5, v[8:9], off
	s_mov_b64 s[6:7], 0
	s_mov_b64 s[10:11], -1
	s_waitcnt vmcnt(0)
	v_lshlrev_b32_e32 v5, 16, v5
	v_cvt_f16_f32_e32 v5, v5
	s_branch .LBB529_1630
.LBB529_1626:
	s_mov_b64 s[12:13], -1
                                        ; implicit-def: $vgpr5
	s_branch .LBB529_1631
.LBB529_1627:
	s_or_saveexec_b64 s[10:11], s[10:11]
	v_mov_b32_e32 v5, 0x7e00
	s_xor_b64 exec, exec, s[10:11]
	s_cbranch_execz .LBB529_1608
.LBB529_1628:
	v_cmp_ne_u16_e32 vcc, 0, v7
	s_andn2_b64 s[8:9], s[8:9], exec
	s_and_b64 s[12:13], vcc, exec
	s_or_b64 s[8:9], s[8:9], s[12:13]
	v_mov_b32_e32 v5, v7
	s_or_b64 exec, exec, s[10:11]
	s_and_saveexec_b64 s[10:11], s[8:9]
	s_cbranch_execnz .LBB529_1609
	s_branch .LBB529_1610
.LBB529_1629:
	s_mov_b64 s[6:7], -1
                                        ; implicit-def: $vgpr5
.LBB529_1630:
	s_mov_b64 s[12:13], 0
.LBB529_1631:
	s_and_b64 vcc, exec, s[12:13]
	s_cbranch_vccz .LBB529_1633
; %bb.1632:
	s_cmp_lg_u32 s20, 11
	s_mov_b64 s[8:9], -1
	s_cselect_b64 s[6:7], -1, 0
.LBB529_1633:
	s_and_b64 vcc, exec, s[6:7]
	s_cbranch_vccnz .LBB529_2172
; %bb.1634:
	s_andn2_b64 vcc, exec, s[8:9]
	s_cbranch_vccnz .LBB529_1636
.LBB529_1635:
	global_load_ubyte v5, v[8:9], off
	v_mov_b32_e32 v7, 0x3c00
	s_mov_b64 s[10:11], -1
	s_waitcnt vmcnt(0)
	v_cmp_ne_u16_e32 vcc, 0, v5
	s_nop 1
	v_cndmask_b32_e32 v5, 0, v7, vcc
.LBB529_1636:
	s_mov_b64 s[6:7], 0
.LBB529_1637:
	s_and_b64 vcc, exec, s[6:7]
	s_cbranch_vccz .LBB529_1686
; %bb.1638:
	s_cmp_lt_i32 s20, 5
	s_cbranch_scc1 .LBB529_1643
; %bb.1639:
	s_cmp_lt_i32 s20, 8
	s_cbranch_scc1 .LBB529_1644
; %bb.1640:
	s_cmp_lt_i32 s20, 9
	s_cbranch_scc1 .LBB529_1645
; %bb.1641:
	s_cmp_gt_i32 s20, 9
	s_cbranch_scc0 .LBB529_1646
; %bb.1642:
	global_load_dwordx2 v[12:13], v[8:9], off
	s_movk_i32 s6, 0x1ff
	s_movk_i32 s7, 0xffe
	v_mov_b32_e32 v5, 0x7c00
	v_mov_b32_e32 v7, 0x7e00
	s_movk_i32 s8, 0x40f
	s_mov_b32 s9, 0x8000
	s_waitcnt vmcnt(0)
	v_and_or_b32 v11, v13, s6, v12
	v_cmp_ne_u32_e32 vcc, 0, v11
	v_lshrrev_b32_e32 v12, 8, v13
	v_bfe_u32 v14, v13, 20, 11
	v_cndmask_b32_e64 v11, 0, 1, vcc
	v_sub_u32_e32 v15, 0x3f1, v14
	v_and_or_b32 v11, v12, s7, v11
	v_add_u32_e32 v14, 0xfffffc10, v14
	v_med3_i32 v12, v15, 0, 13
	v_or_b32_e32 v15, 0x1000, v11
	v_lshl_or_b32 v16, v14, 12, v11
	v_cmp_ne_u32_e32 vcc, 0, v11
	v_lshrrev_b32_e32 v11, v12, v15
	v_lshlrev_b32_e32 v12, v12, v11
	v_cndmask_b32_e32 v7, v5, v7, vcc
	v_cmp_ne_u32_e32 vcc, v12, v15
	v_lshrrev_b32_e32 v13, 16, v13
	s_mov_b64 s[6:7], 0
	v_cndmask_b32_e64 v12, 0, 1, vcc
	v_or_b32_e32 v11, v11, v12
	v_cmp_gt_i32_e32 vcc, 1, v14
	s_nop 1
	v_cndmask_b32_e32 v11, v16, v11, vcc
	v_and_b32_e32 v12, 7, v11
	v_cmp_lt_i32_e32 vcc, 5, v12
	v_lshrrev_b32_e32 v11, 2, v11
	s_nop 0
	v_cndmask_b32_e64 v15, 0, 1, vcc
	v_cmp_eq_u32_e32 vcc, 3, v12
	s_nop 1
	v_cndmask_b32_e64 v12, 0, 1, vcc
	v_or_b32_e32 v12, v12, v15
	v_add_u32_e32 v11, v11, v12
	v_cmp_gt_i32_e32 vcc, 31, v14
	s_nop 1
	v_cndmask_b32_e32 v5, v5, v11, vcc
	v_cmp_eq_u32_e32 vcc, s8, v14
	s_nop 1
	v_cndmask_b32_e32 v5, v5, v7, vcc
	v_and_or_b32 v5, v13, s9, v5
	s_branch .LBB529_1647
.LBB529_1643:
	s_mov_b64 s[6:7], -1
                                        ; implicit-def: $vgpr5
	s_branch .LBB529_1665
.LBB529_1644:
	s_mov_b64 s[6:7], -1
                                        ; implicit-def: $vgpr5
	s_branch .LBB529_1653
.LBB529_1645:
	s_mov_b64 s[6:7], -1
                                        ; implicit-def: $vgpr5
	s_branch .LBB529_1650
.LBB529_1646:
	s_mov_b64 s[6:7], -1
                                        ; implicit-def: $vgpr5
.LBB529_1647:
	s_andn2_b64 vcc, exec, s[6:7]
	s_cbranch_vccnz .LBB529_1649
; %bb.1648:
	global_load_dword v5, v[8:9], off
	s_waitcnt vmcnt(0)
	v_cvt_f16_f32_e32 v5, v5
.LBB529_1649:
	s_mov_b64 s[6:7], 0
.LBB529_1650:
	s_andn2_b64 vcc, exec, s[6:7]
	s_cbranch_vccnz .LBB529_1652
; %bb.1651:
	global_load_dword v5, v[8:9], off
.LBB529_1652:
	s_mov_b64 s[6:7], 0
.LBB529_1653:
	s_andn2_b64 vcc, exec, s[6:7]
	s_cbranch_vccnz .LBB529_1664
; %bb.1654:
	s_cmp_lt_i32 s20, 6
	s_cbranch_scc1 .LBB529_1657
; %bb.1655:
	s_cmp_gt_i32 s20, 6
	s_cbranch_scc0 .LBB529_1658
; %bb.1656:
	global_load_dwordx2 v[12:13], v[8:9], off
	s_movk_i32 s6, 0x1ff
	s_movk_i32 s7, 0xffe
	s_waitcnt vmcnt(1)
	v_mov_b32_e32 v5, 0x7c00
	v_mov_b32_e32 v7, 0x7e00
	s_movk_i32 s8, 0x40f
	s_mov_b32 s9, 0x8000
	s_waitcnt vmcnt(0)
	v_and_or_b32 v11, v13, s6, v12
	v_cmp_ne_u32_e32 vcc, 0, v11
	v_lshrrev_b32_e32 v12, 8, v13
	v_bfe_u32 v14, v13, 20, 11
	v_cndmask_b32_e64 v11, 0, 1, vcc
	v_sub_u32_e32 v15, 0x3f1, v14
	v_and_or_b32 v11, v12, s7, v11
	v_add_u32_e32 v14, 0xfffffc10, v14
	v_med3_i32 v12, v15, 0, 13
	v_or_b32_e32 v15, 0x1000, v11
	v_lshl_or_b32 v16, v14, 12, v11
	v_cmp_ne_u32_e32 vcc, 0, v11
	v_lshrrev_b32_e32 v11, v12, v15
	v_lshlrev_b32_e32 v12, v12, v11
	v_cndmask_b32_e32 v7, v5, v7, vcc
	v_cmp_ne_u32_e32 vcc, v12, v15
	v_lshrrev_b32_e32 v13, 16, v13
	s_mov_b64 s[6:7], 0
	v_cndmask_b32_e64 v12, 0, 1, vcc
	v_or_b32_e32 v11, v11, v12
	v_cmp_gt_i32_e32 vcc, 1, v14
	s_nop 1
	v_cndmask_b32_e32 v11, v16, v11, vcc
	v_and_b32_e32 v12, 7, v11
	v_cmp_lt_i32_e32 vcc, 5, v12
	v_lshrrev_b32_e32 v11, 2, v11
	s_nop 0
	v_cndmask_b32_e64 v15, 0, 1, vcc
	v_cmp_eq_u32_e32 vcc, 3, v12
	s_nop 1
	v_cndmask_b32_e64 v12, 0, 1, vcc
	v_or_b32_e32 v12, v12, v15
	v_add_u32_e32 v11, v11, v12
	v_cmp_gt_i32_e32 vcc, 31, v14
	s_nop 1
	v_cndmask_b32_e32 v5, v5, v11, vcc
	v_cmp_eq_u32_e32 vcc, s8, v14
	s_nop 1
	v_cndmask_b32_e32 v5, v5, v7, vcc
	v_and_or_b32 v5, v13, s9, v5
	s_branch .LBB529_1659
.LBB529_1657:
	s_mov_b64 s[6:7], -1
                                        ; implicit-def: $vgpr5
	s_branch .LBB529_1662
.LBB529_1658:
	s_mov_b64 s[6:7], -1
                                        ; implicit-def: $vgpr5
.LBB529_1659:
	s_andn2_b64 vcc, exec, s[6:7]
	s_cbranch_vccnz .LBB529_1661
; %bb.1660:
	global_load_dword v5, v[8:9], off
	s_waitcnt vmcnt(0)
	v_cvt_f16_f32_e32 v5, v5
.LBB529_1661:
	s_mov_b64 s[6:7], 0
.LBB529_1662:
	s_andn2_b64 vcc, exec, s[6:7]
	s_cbranch_vccnz .LBB529_1664
; %bb.1663:
	global_load_ushort v5, v[8:9], off
.LBB529_1664:
	s_mov_b64 s[6:7], 0
.LBB529_1665:
	s_andn2_b64 vcc, exec, s[6:7]
	s_cbranch_vccnz .LBB529_1685
; %bb.1666:
	s_cmp_lt_i32 s20, 2
	s_cbranch_scc1 .LBB529_1670
; %bb.1667:
	s_cmp_lt_i32 s20, 3
	s_cbranch_scc1 .LBB529_1671
; %bb.1668:
	s_cmp_gt_i32 s20, 3
	s_cbranch_scc0 .LBB529_1672
; %bb.1669:
	global_load_dwordx2 v[12:13], v[8:9], off
	s_mov_b64 s[6:7], 0
	s_waitcnt vmcnt(0)
	v_xor_b32_e32 v7, v12, v13
	v_ffbh_i32_e32 v5, v13
	v_ashrrev_i32_e32 v7, 31, v7
	v_add_u32_e32 v5, -1, v5
	v_add_u32_e32 v7, 32, v7
	v_min_u32_e32 v5, v5, v7
	v_lshlrev_b64 v[12:13], v5, v[12:13]
	v_min_u32_e32 v7, 1, v12
	v_or_b32_e32 v7, v13, v7
	v_cvt_f32_i32_e32 v7, v7
	v_sub_u32_e32 v5, 32, v5
	v_ldexp_f32 v5, v7, v5
	v_cvt_f16_f32_e32 v5, v5
	s_branch .LBB529_1673
.LBB529_1670:
	s_mov_b64 s[6:7], -1
                                        ; implicit-def: $vgpr5
	s_branch .LBB529_1679
.LBB529_1671:
	s_mov_b64 s[6:7], -1
                                        ; implicit-def: $vgpr5
	s_branch .LBB529_1676
.LBB529_1672:
	s_mov_b64 s[6:7], -1
                                        ; implicit-def: $vgpr5
.LBB529_1673:
	s_andn2_b64 vcc, exec, s[6:7]
	s_cbranch_vccnz .LBB529_1675
; %bb.1674:
	global_load_dword v5, v[8:9], off
	s_waitcnt vmcnt(0)
	v_cvt_f32_i32_e32 v5, v5
	v_cvt_f16_f32_e32 v5, v5
.LBB529_1675:
	s_mov_b64 s[6:7], 0
.LBB529_1676:
	s_andn2_b64 vcc, exec, s[6:7]
	s_cbranch_vccnz .LBB529_1678
; %bb.1677:
	global_load_ushort v5, v[8:9], off
	s_waitcnt vmcnt(0)
	v_cvt_f16_i16_e32 v5, v5
.LBB529_1678:
	s_mov_b64 s[6:7], 0
.LBB529_1679:
	s_andn2_b64 vcc, exec, s[6:7]
	s_cbranch_vccnz .LBB529_1685
; %bb.1680:
	s_cmp_gt_i32 s20, 0
	s_cbranch_scc0 .LBB529_1682
; %bb.1681:
	global_load_sbyte v5, v[8:9], off
	s_mov_b64 s[6:7], 0
	s_waitcnt vmcnt(0)
	v_cvt_f16_i16_e32 v5, v5
	s_branch .LBB529_1683
.LBB529_1682:
	s_mov_b64 s[6:7], -1
                                        ; implicit-def: $vgpr5
.LBB529_1683:
	s_andn2_b64 vcc, exec, s[6:7]
	s_cbranch_vccnz .LBB529_1685
; %bb.1684:
	global_load_ubyte v5, v[8:9], off
	s_waitcnt vmcnt(0)
	v_cvt_f16_u16_e32 v5, v5
.LBB529_1685:
	s_mov_b64 s[10:11], -1
.LBB529_1686:
	s_andn2_b64 vcc, exec, s[10:11]
	s_cbranch_vccnz .LBB529_1769
; %bb.1687:
	s_waitcnt vmcnt(0)
	v_cmp_o_f16_e32 vcc, v5, v5
	v_mov_b32_e32 v9, s19
	s_and_saveexec_b64 s[6:7], vcc
	s_cbranch_execz .LBB529_1691
; %bb.1688:
	s_load_dword s0, s[0:1], 0x160
	s_movk_i32 s1, 0x7c00
	v_cmp_neq_f16_e32 vcc, s1, v5
	s_waitcnt lgkmcnt(0)
	s_lshr_b32 s0, s0, 16
	v_mov_b32_e32 v9, s0
	s_and_saveexec_b64 s[0:1], vcc
	s_cbranch_execz .LBB529_1690
; %bb.1689:
	s_load_dword s8, s[34:35], 0x15c
	s_mov_b32 s9, 0xfc00
	v_cmp_eq_f16_e32 vcc, s9, v5
	s_waitcnt lgkmcnt(0)
	v_mov_b32_e32 v7, s8
	v_cndmask_b32_e32 v9, v5, v7, vcc
.LBB529_1690:
	s_or_b64 exec, exec, s[0:1]
.LBB529_1691:
	s_or_b64 exec, exec, s[6:7]
	s_bfe_u32 s14, s18, 0x80010
	v_mov_b32_e32 v7, 0
	s_cmp_lt_i32 s14, 11
	v_lshl_add_u64 v[6:7], s[4:5], 0, v[6:7]
	s_cbranch_scc1 .LBB529_1815
; %bb.1692:
	s_and_b32 s15, 0xffff, s14
	s_mov_b64 s[10:11], -1
	s_mov_b64 s[6:7], 0
	s_cmp_gt_i32 s15, 25
	s_mov_b64 s[8:9], 0
	s_mov_b64 s[0:1], 0
	s_cbranch_scc0 .LBB529_1725
; %bb.1693:
	s_cmp_gt_i32 s15, 28
	s_cbranch_scc0 .LBB529_1708
; %bb.1694:
	s_cmp_gt_i32 s15, 43
	;; [unrolled: 3-line block ×3, first 2 shown]
	s_cbranch_scc0 .LBB529_1698
; %bb.1696:
	s_mov_b64 s[0:1], -1
	s_mov_b64 s[10:11], 0
	s_cmp_eq_u32 s15, 46
	s_cbranch_scc0 .LBB529_1698
; %bb.1697:
	v_cvt_f32_f16_e32 v5, v1
	s_movk_i32 s0, 0x7fff
	v_cmp_o_f16_e32 vcc, v1, v1
	v_mov_b32_e32 v8, 0x7fc0
	v_bfe_u32 v11, v5, 16, 1
	v_add3_u32 v5, v5, v11, s0
	v_cndmask_b32_sdwa v5, v8, v5, vcc dst_sel:DWORD dst_unused:UNUSED_PAD src0_sel:DWORD src1_sel:WORD_1
	global_store_dword v[6:7], v5, off
	s_mov_b64 s[0:1], 0
	s_mov_b64 s[8:9], -1
.LBB529_1698:
	s_and_b64 vcc, exec, s[10:11]
	s_cbranch_vccz .LBB529_1703
; %bb.1699:
	s_cmp_eq_u32 s15, 44
	s_mov_b64 s[0:1], -1
	s_cbranch_scc0 .LBB529_1703
; %bb.1700:
	v_cvt_f32_f16_e32 v5, v1
	s_movk_i32 s0, 0xff
	v_mov_b32_e32 v11, 0xff
	v_bfe_u32 v8, v5, 23, 8
	v_cmp_ne_u32_e32 vcc, s0, v8
	s_and_saveexec_b64 s[8:9], vcc
; %bb.1701:
	s_mov_b32 s0, 0x3fffff
	v_lshrrev_b32_e32 v11, 23, v5
	v_and_b32_e32 v12, 0x400000, v5
	v_and_or_b32 v5, v5, s0, v8
	v_cmp_ne_u32_e32 vcc, 0, v12
	v_cmp_ne_u32_e64 s[0:1], 0, v5
	s_and_b64 s[0:1], vcc, s[0:1]
	s_nop 0
	v_cndmask_b32_e64 v5, 0, 1, s[0:1]
	v_add_u32_e32 v11, v11, v5
; %bb.1702:
	s_or_b64 exec, exec, s[8:9]
	s_mov_b64 s[0:1], 0
	s_mov_b64 s[8:9], -1
	global_store_byte v[6:7], v11, off
.LBB529_1703:
	s_mov_b64 s[10:11], 0
.LBB529_1704:
	s_and_b64 vcc, exec, s[10:11]
	s_cbranch_vccz .LBB529_1707
; %bb.1705:
	s_cmp_eq_u32 s15, 29
	s_mov_b64 s[0:1], -1
	s_cbranch_scc0 .LBB529_1707
; %bb.1706:
	v_cvt_f32_f16_e32 v5, v1
	v_mov_b32_e32 v13, 0
	s_mov_b64 s[0:1], 0
	s_mov_b64 s[8:9], -1
	v_cvt_u32_f32_e32 v12, v5
	global_store_dwordx2 v[6:7], v[12:13], off
.LBB529_1707:
	s_mov_b64 s[10:11], 0
.LBB529_1708:
	s_and_b64 vcc, exec, s[10:11]
	s_cbranch_vccz .LBB529_1724
; %bb.1709:
	s_cmp_lt_i32 s15, 27
	s_mov_b64 s[8:9], -1
	s_cbranch_scc1 .LBB529_1715
; %bb.1710:
	s_cmp_gt_i32 s15, 27
	s_cbranch_scc0 .LBB529_1712
; %bb.1711:
	v_cvt_f32_f16_e32 v5, v1
	s_mov_b64 s[8:9], 0
	v_cvt_u32_f32_e32 v5, v5
	global_store_dword v[6:7], v5, off
.LBB529_1712:
	s_andn2_b64 vcc, exec, s[8:9]
	s_cbranch_vccnz .LBB529_1714
; %bb.1713:
	v_cvt_u16_f16_e32 v5, v1
	global_store_short v[6:7], v5, off
.LBB529_1714:
	s_mov_b64 s[8:9], 0
.LBB529_1715:
	s_andn2_b64 vcc, exec, s[8:9]
	s_cbranch_vccnz .LBB529_1723
; %bb.1716:
	v_cvt_f32_f16_e32 v5, v1
	s_mov_b32 s8, 0x43800000
	v_mov_b32_e32 v11, 0x80
	v_and_b32_e32 v8, 0x7fffffff, v5
	v_cmp_gt_u32_e32 vcc, s8, v8
	s_and_saveexec_b64 s[8:9], vcc
	s_cbranch_execz .LBB529_1722
; %bb.1717:
	s_mov_b32 s10, 0x3bffffff
	v_cmp_lt_u32_e32 vcc, s10, v8
	s_mov_b64 s[10:11], 0
                                        ; implicit-def: $vgpr8
	s_and_saveexec_b64 s[12:13], vcc
	s_xor_b64 s[12:13], exec, s[12:13]
	s_cbranch_execz .LBB529_2173
; %bb.1718:
	v_bfe_u32 v8, v5, 20, 1
	s_mov_b32 s16, 0x487ffff
	v_add3_u32 v8, v5, v8, s16
	s_mov_b64 s[10:11], exec
	v_lshrrev_b32_e32 v8, 20, v8
	s_andn2_saveexec_b64 s[12:13], s[12:13]
	s_cbranch_execnz .LBB529_2174
.LBB529_1719:
	s_or_b64 exec, exec, s[12:13]
	v_mov_b32_e32 v11, 0
	s_and_saveexec_b64 s[12:13], s[10:11]
.LBB529_1720:
	v_lshrrev_b32_e32 v5, 24, v5
	s_movk_i32 s10, 0x80
	v_and_or_b32 v11, v5, s10, v8
.LBB529_1721:
	s_or_b64 exec, exec, s[12:13]
.LBB529_1722:
	s_or_b64 exec, exec, s[8:9]
	global_store_byte v[6:7], v11, off
.LBB529_1723:
	s_mov_b64 s[8:9], -1
.LBB529_1724:
	s_mov_b64 s[10:11], 0
.LBB529_1725:
	s_and_b64 vcc, exec, s[10:11]
	s_cbranch_vccz .LBB529_1765
; %bb.1726:
	s_cmp_gt_i32 s15, 22
	s_mov_b64 s[6:7], -1
	s_cbranch_scc0 .LBB529_1758
; %bb.1727:
	s_cmp_lt_i32 s15, 24
	s_cbranch_scc1 .LBB529_1747
; %bb.1728:
	s_cmp_gt_i32 s15, 24
	s_cbranch_scc0 .LBB529_1736
; %bb.1729:
	v_cvt_f32_f16_e32 v5, v1
	s_mov_b32 s6, 0x47800000
	v_mov_b32_e32 v11, 0x80
	v_and_b32_e32 v8, 0x7fffffff, v5
	v_cmp_gt_u32_e32 vcc, s6, v8
	s_and_saveexec_b64 s[6:7], vcc
	s_cbranch_execz .LBB529_1735
; %bb.1730:
	s_mov_b32 s8, 0x37ffffff
	v_cmp_lt_u32_e32 vcc, s8, v8
	s_mov_b64 s[8:9], 0
                                        ; implicit-def: $vgpr8
	s_and_saveexec_b64 s[10:11], vcc
	s_xor_b64 s[10:11], exec, s[10:11]
	s_cbranch_execz .LBB529_2176
; %bb.1731:
	v_bfe_u32 v8, v5, 21, 1
	s_mov_b32 s12, 0x88fffff
	v_add3_u32 v8, v5, v8, s12
	s_mov_b64 s[8:9], exec
	v_lshrrev_b32_e32 v8, 21, v8
	s_andn2_saveexec_b64 s[10:11], s[10:11]
	s_cbranch_execnz .LBB529_2177
.LBB529_1732:
	s_or_b64 exec, exec, s[10:11]
	v_mov_b32_e32 v11, 0
	s_and_saveexec_b64 s[10:11], s[8:9]
.LBB529_1733:
	v_lshrrev_b32_e32 v5, 24, v5
	s_movk_i32 s8, 0x80
	v_and_or_b32 v11, v5, s8, v8
.LBB529_1734:
	s_or_b64 exec, exec, s[10:11]
.LBB529_1735:
	s_or_b64 exec, exec, s[6:7]
	s_mov_b64 s[6:7], 0
	global_store_byte v[6:7], v11, off
.LBB529_1736:
	s_and_b64 vcc, exec, s[6:7]
	s_cbranch_vccz .LBB529_1746
; %bb.1737:
	v_cvt_f32_f16_e32 v5, v1
	s_mov_b32 s6, 0x43f00000
                                        ; implicit-def: $vgpr8
	v_and_b32_e32 v11, 0x7fffffff, v5
	v_cmp_gt_u32_e32 vcc, s6, v11
	s_and_saveexec_b64 s[6:7], vcc
	s_xor_b64 s[6:7], exec, s[6:7]
	s_cbranch_execz .LBB529_1743
; %bb.1738:
	s_mov_b32 s8, 0x3c7fffff
	v_cmp_lt_u32_e32 vcc, s8, v11
                                        ; implicit-def: $vgpr8
	s_and_saveexec_b64 s[8:9], vcc
	s_xor_b64 s[8:9], exec, s[8:9]
; %bb.1739:
	v_bfe_u32 v8, v5, 20, 1
	s_mov_b32 s10, 0x407ffff
	v_add3_u32 v8, v5, v8, s10
	v_lshrrev_b32_e32 v11, 20, v8
	v_and_b32_e32 v8, 0xff00000, v8
	s_mov_b32 s10, 0x7f00000
	v_mov_b32_e32 v12, 0x7e
	v_cmp_ne_u32_e32 vcc, s10, v8
	s_nop 1
	v_cndmask_b32_e32 v8, v12, v11, vcc
; %bb.1740:
	s_andn2_saveexec_b64 s[8:9], s[8:9]
; %bb.1741:
	s_mov_b32 s10, 0x46800000
	v_add_f32_e64 v8, |v5|, s10
; %bb.1742:
	s_or_b64 exec, exec, s[8:9]
                                        ; implicit-def: $vgpr11
.LBB529_1743:
	s_andn2_saveexec_b64 s[6:7], s[6:7]
; %bb.1744:
	s_mov_b32 s8, 0x7f800000
	v_mov_b32_e32 v8, 0x7e
	v_mov_b32_e32 v12, 0x7f
	v_cmp_lt_u32_e32 vcc, s8, v11
	s_nop 1
	v_cndmask_b32_e32 v8, v8, v12, vcc
; %bb.1745:
	s_or_b64 exec, exec, s[6:7]
	v_lshrrev_b32_e32 v5, 24, v5
	s_movk_i32 s6, 0x80
	v_and_or_b32 v5, v5, s6, v8
	global_store_byte v[6:7], v5, off
.LBB529_1746:
	s_mov_b64 s[6:7], 0
.LBB529_1747:
	s_andn2_b64 vcc, exec, s[6:7]
	s_cbranch_vccnz .LBB529_1757
; %bb.1748:
	v_cvt_f32_f16_e32 v5, v1
	s_mov_b32 s6, 0x47800000
                                        ; implicit-def: $vgpr8
	v_and_b32_e32 v11, 0x7fffffff, v5
	v_cmp_gt_u32_e32 vcc, s6, v11
	s_and_saveexec_b64 s[6:7], vcc
	s_xor_b64 s[6:7], exec, s[6:7]
	s_cbranch_execz .LBB529_1754
; %bb.1749:
	s_mov_b32 s8, 0x387fffff
	v_cmp_lt_u32_e32 vcc, s8, v11
                                        ; implicit-def: $vgpr8
	s_and_saveexec_b64 s[8:9], vcc
	s_xor_b64 s[8:9], exec, s[8:9]
; %bb.1750:
	v_bfe_u32 v8, v5, 21, 1
	s_mov_b32 s10, 0x80fffff
	v_add3_u32 v8, v5, v8, s10
	v_lshrrev_b32_e32 v8, 21, v8
; %bb.1751:
	s_andn2_saveexec_b64 s[8:9], s[8:9]
; %bb.1752:
	s_mov_b32 s10, 0x43000000
	v_add_f32_e64 v8, |v5|, s10
; %bb.1753:
	s_or_b64 exec, exec, s[8:9]
                                        ; implicit-def: $vgpr11
.LBB529_1754:
	s_andn2_saveexec_b64 s[6:7], s[6:7]
; %bb.1755:
	s_mov_b32 s8, 0x7f800000
	v_mov_b32_e32 v8, 0x7c
	v_mov_b32_e32 v12, 0x7f
	v_cmp_lt_u32_e32 vcc, s8, v11
	s_nop 1
	v_cndmask_b32_e32 v8, v8, v12, vcc
; %bb.1756:
	s_or_b64 exec, exec, s[6:7]
	v_lshrrev_b32_e32 v5, 24, v5
	s_movk_i32 s6, 0x80
	v_and_or_b32 v5, v5, s6, v8
	global_store_byte v[6:7], v5, off
.LBB529_1757:
	s_mov_b64 s[6:7], 0
	s_mov_b64 s[8:9], -1
.LBB529_1758:
	s_andn2_b64 vcc, exec, s[6:7]
	s_mov_b64 s[6:7], 0
	s_cbranch_vccnz .LBB529_1765
; %bb.1759:
	s_cmp_gt_i32 s15, 14
	s_mov_b64 s[10:11], -1
	s_cbranch_scc0 .LBB529_1763
; %bb.1760:
	s_cmp_eq_u32 s15, 15
	s_mov_b64 s[0:1], -1
	s_cbranch_scc0 .LBB529_1762
; %bb.1761:
	v_cvt_f32_f16_e32 v5, v1
	s_movk_i32 s0, 0x7fff
	v_cmp_o_f16_e32 vcc, v1, v1
	v_mov_b32_e32 v8, 0x7fc0
	v_bfe_u32 v11, v5, 16, 1
	v_add3_u32 v5, v5, v11, s0
	v_cndmask_b32_sdwa v5, v8, v5, vcc dst_sel:DWORD dst_unused:UNUSED_PAD src0_sel:DWORD src1_sel:WORD_1
	global_store_short v[6:7], v5, off
	s_mov_b64 s[0:1], 0
	s_mov_b64 s[8:9], -1
.LBB529_1762:
	s_mov_b64 s[10:11], 0
.LBB529_1763:
	s_and_b64 vcc, exec, s[10:11]
	s_cbranch_vccz .LBB529_1765
; %bb.1764:
	s_cmp_lg_u32 s15, 11
	s_mov_b64 s[6:7], -1
	s_cselect_b64 s[0:1], -1, 0
.LBB529_1765:
	s_and_b64 vcc, exec, s[0:1]
	s_cbranch_vccnz .LBB529_2175
; %bb.1766:
	s_andn2_b64 vcc, exec, s[6:7]
	s_cbranch_vccnz .LBB529_1768
.LBB529_1767:
	v_and_b32_e32 v5, 0x7fff, v1
	v_cmp_ne_u16_e32 vcc, 0, v5
	s_mov_b64 s[8:9], -1
	s_nop 0
	v_cndmask_b32_e64 v5, 0, 1, vcc
	global_store_byte v[6:7], v5, off
.LBB529_1768:
	s_mov_b64 s[0:1], 0
	s_branch .LBB529_1816
.LBB529_1769:
	s_mov_b64 s[0:1], 0
                                        ; implicit-def: $vgpr0_vgpr1
                                        ; implicit-def: $sgpr14
                                        ; implicit-def: $vgpr9
.LBB529_1770:
	s_mov_b64 s[4:5], 0
.LBB529_1771:
	s_and_b64 s[6:7], s[0:1], exec
	s_andn2_b64 s[0:1], s[24:25], exec
	s_and_b64 s[2:3], s[2:3], exec
	s_and_b64 s[40:41], s[4:5], exec
	s_or_b64 s[24:25], s[0:1], s[2:3]
.LBB529_1772:
	s_or_b64 exec, exec, s[26:27]
	s_and_saveexec_b64 s[0:1], s[24:25]
	s_cbranch_execz .LBB529_1775
; %bb.1773:
	; divergent unreachable
	s_or_b64 exec, exec, s[0:1]
	s_and_saveexec_b64 s[0:1], s[40:41]
	s_xor_b64 s[0:1], exec, s[0:1]
	s_cbranch_execnz .LBB529_1776
.LBB529_1774:
	s_or_b64 exec, exec, s[0:1]
	s_and_saveexec_b64 s[0:1], s[6:7]
	s_cbranch_execnz .LBB529_1777
	s_branch .LBB529_1814
.LBB529_1775:
	s_or_b64 exec, exec, s[0:1]
	s_and_saveexec_b64 s[0:1], s[40:41]
	s_xor_b64 s[0:1], exec, s[0:1]
	s_cbranch_execz .LBB529_1774
.LBB529_1776:
	v_and_b32_e32 v2, 0x7fff, v9
	v_cmp_ne_u16_e32 vcc, 0, v2
	s_nop 1
	v_cndmask_b32_e64 v2, 0, 1, vcc
	s_waitcnt vmcnt(0)
	global_store_byte v[0:1], v2, off
	s_or_b64 exec, exec, s[0:1]
	s_and_saveexec_b64 s[0:1], s[6:7]
	s_cbranch_execz .LBB529_1814
.LBB529_1777:
	s_sext_i32_i16 s2, s14
	s_cmp_lt_i32 s2, 5
	s_mov_b64 s[0:1], -1
	s_cbranch_scc1 .LBB529_1798
; %bb.1778:
	s_cmp_lt_i32 s2, 8
	s_cbranch_scc1 .LBB529_1788
; %bb.1779:
	s_cmp_lt_i32 s2, 9
	s_cbranch_scc1 .LBB529_1785
; %bb.1780:
	s_cmp_gt_i32 s2, 9
	s_cbranch_scc0 .LBB529_1782
; %bb.1781:
	v_cvt_f32_f16_e32 v2, v9
	v_mov_b32_e32 v4, 0
	s_waitcnt vmcnt(0)
	v_mov_b32_e32 v5, v4
	s_mov_b64 s[0:1], 0
	v_cvt_f64_f32_e32 v[2:3], v2
	global_store_dwordx4 v[0:1], v[2:5], off
.LBB529_1782:
	s_andn2_b64 vcc, exec, s[0:1]
	s_cbranch_vccnz .LBB529_1784
; %bb.1783:
	v_cvt_f32_f16_e32 v2, v9
	s_waitcnt vmcnt(0)
	v_mov_b32_e32 v3, 0
	global_store_dwordx2 v[0:1], v[2:3], off
.LBB529_1784:
	s_mov_b64 s[0:1], 0
.LBB529_1785:
	s_andn2_b64 vcc, exec, s[0:1]
	s_cbranch_vccnz .LBB529_1787
; %bb.1786:
	v_and_b32_e32 v2, 0xffff, v9
	s_waitcnt vmcnt(0)
	global_store_dword v[0:1], v2, off
.LBB529_1787:
	s_mov_b64 s[0:1], 0
.LBB529_1788:
	s_andn2_b64 vcc, exec, s[0:1]
	s_cbranch_vccnz .LBB529_1797
; %bb.1789:
	s_sext_i32_i16 s2, s14
	s_cmp_lt_i32 s2, 6
	s_mov_b64 s[0:1], -1
	s_cbranch_scc1 .LBB529_1795
; %bb.1790:
	s_cmp_gt_i32 s2, 6
	s_cbranch_scc0 .LBB529_1792
; %bb.1791:
	v_cvt_f32_f16_e32 v2, v9
	s_mov_b64 s[0:1], 0
	s_waitcnt vmcnt(0)
	v_cvt_f64_f32_e32 v[2:3], v2
	global_store_dwordx2 v[0:1], v[2:3], off
.LBB529_1792:
	s_andn2_b64 vcc, exec, s[0:1]
	s_cbranch_vccnz .LBB529_1794
; %bb.1793:
	v_cvt_f32_f16_e32 v2, v9
	s_waitcnt vmcnt(0)
	global_store_dword v[0:1], v2, off
.LBB529_1794:
	s_mov_b64 s[0:1], 0
.LBB529_1795:
	s_andn2_b64 vcc, exec, s[0:1]
	s_cbranch_vccnz .LBB529_1797
; %bb.1796:
	s_waitcnt vmcnt(0)
	global_store_short v[0:1], v9, off
.LBB529_1797:
	s_mov_b64 s[0:1], 0
.LBB529_1798:
	s_andn2_b64 vcc, exec, s[0:1]
	s_cbranch_vccnz .LBB529_1814
; %bb.1799:
	s_sext_i32_i16 s2, s14
	s_cmp_lt_i32 s2, 2
	s_mov_b64 s[0:1], -1
	s_cbranch_scc1 .LBB529_1809
; %bb.1800:
	s_cmp_lt_i32 s2, 3
	s_cbranch_scc1 .LBB529_1806
; %bb.1801:
	s_cmp_gt_i32 s2, 3
	s_cbranch_scc0 .LBB529_1803
; %bb.1802:
	v_cvt_f32_f16_e32 v2, v9
	s_mov_b64 s[0:1], 0
	v_cvt_i32_f32_e32 v2, v2
	s_waitcnt vmcnt(0)
	v_ashrrev_i32_e32 v3, 31, v2
	global_store_dwordx2 v[0:1], v[2:3], off
.LBB529_1803:
	s_andn2_b64 vcc, exec, s[0:1]
	s_cbranch_vccnz .LBB529_1805
; %bb.1804:
	v_cvt_f32_f16_e32 v2, v9
	v_cvt_i32_f32_e32 v2, v2
	s_waitcnt vmcnt(0)
	global_store_dword v[0:1], v2, off
.LBB529_1805:
	s_mov_b64 s[0:1], 0
.LBB529_1806:
	s_andn2_b64 vcc, exec, s[0:1]
	s_cbranch_vccnz .LBB529_1808
; %bb.1807:
	v_cvt_i16_f16_e32 v2, v9
	s_waitcnt vmcnt(0)
	global_store_short v[0:1], v2, off
.LBB529_1808:
	s_mov_b64 s[0:1], 0
.LBB529_1809:
	s_andn2_b64 vcc, exec, s[0:1]
	s_cbranch_vccnz .LBB529_1814
; %bb.1810:
	s_sext_i32_i16 s0, s14
	s_cmp_gt_i32 s0, 0
	s_mov_b64 s[0:1], -1
	s_cbranch_scc0 .LBB529_1812
; %bb.1811:
	v_cvt_i16_f16_e32 v2, v9
	s_waitcnt vmcnt(0)
	global_store_byte v[0:1], v2, off
	s_mov_b64 s[0:1], 0
.LBB529_1812:
	s_andn2_b64 vcc, exec, s[0:1]
	s_cbranch_vccnz .LBB529_1814
; %bb.1813:
	v_cvt_f32_f16_e32 v2, v9
	v_cvt_i32_f32_e32 v2, v2
	s_waitcnt vmcnt(0)
	global_store_byte v[0:1], v2, off
	s_endpgm
.LBB529_1814:
	s_endpgm
.LBB529_1815:
	s_mov_b64 s[0:1], -1
	s_mov_b64 s[8:9], 0
.LBB529_1816:
	s_and_b64 vcc, exec, s[0:1]
	s_cbranch_vccz .LBB529_1855
; %bb.1817:
	s_and_b32 s6, 0xffff, s14
	s_cmp_lt_i32 s6, 5
	s_mov_b64 s[0:1], -1
	s_cbranch_scc1 .LBB529_1838
; %bb.1818:
	s_cmp_lt_i32 s6, 8
	s_cbranch_scc1 .LBB529_1828
; %bb.1819:
	s_cmp_lt_i32 s6, 9
	s_cbranch_scc1 .LBB529_1825
; %bb.1820:
	s_cmp_gt_i32 s6, 9
	s_cbranch_scc0 .LBB529_1822
; %bb.1821:
	v_cvt_f32_f16_e32 v5, v1
	v_mov_b32_e32 v14, 0
	v_mov_b32_e32 v15, v14
	s_mov_b64 s[0:1], 0
	v_cvt_f64_f32_e32 v[12:13], v5
	global_store_dwordx4 v[6:7], v[12:15], off
.LBB529_1822:
	s_andn2_b64 vcc, exec, s[0:1]
	s_cbranch_vccnz .LBB529_1824
; %bb.1823:
	v_cvt_f32_f16_e32 v12, v1
	v_mov_b32_e32 v13, 0
	global_store_dwordx2 v[6:7], v[12:13], off
.LBB529_1824:
	s_mov_b64 s[0:1], 0
.LBB529_1825:
	s_andn2_b64 vcc, exec, s[0:1]
	s_cbranch_vccnz .LBB529_1827
; %bb.1826:
	v_and_b32_e32 v5, 0xffff, v1
	global_store_dword v[6:7], v5, off
.LBB529_1827:
	s_mov_b64 s[0:1], 0
.LBB529_1828:
	s_andn2_b64 vcc, exec, s[0:1]
	s_cbranch_vccnz .LBB529_1837
; %bb.1829:
	s_cmp_lt_i32 s6, 6
	s_mov_b64 s[0:1], -1
	s_cbranch_scc1 .LBB529_1835
; %bb.1830:
	s_cmp_gt_i32 s6, 6
	s_cbranch_scc0 .LBB529_1832
; %bb.1831:
	v_cvt_f32_f16_e32 v5, v1
	s_mov_b64 s[0:1], 0
	v_cvt_f64_f32_e32 v[12:13], v5
	global_store_dwordx2 v[6:7], v[12:13], off
.LBB529_1832:
	s_andn2_b64 vcc, exec, s[0:1]
	s_cbranch_vccnz .LBB529_1834
; %bb.1833:
	v_cvt_f32_f16_e32 v5, v1
	global_store_dword v[6:7], v5, off
.LBB529_1834:
	s_mov_b64 s[0:1], 0
.LBB529_1835:
	s_andn2_b64 vcc, exec, s[0:1]
	s_cbranch_vccnz .LBB529_1837
; %bb.1836:
	global_store_short v[6:7], v1, off
.LBB529_1837:
	s_mov_b64 s[0:1], 0
.LBB529_1838:
	s_andn2_b64 vcc, exec, s[0:1]
	s_cbranch_vccnz .LBB529_1854
; %bb.1839:
	s_cmp_lt_i32 s6, 2
	s_mov_b64 s[0:1], -1
	s_cbranch_scc1 .LBB529_1849
; %bb.1840:
	s_cmp_lt_i32 s6, 3
	s_cbranch_scc1 .LBB529_1846
; %bb.1841:
	s_cmp_gt_i32 s6, 3
	s_cbranch_scc0 .LBB529_1843
; %bb.1842:
	v_cvt_f32_f16_e32 v5, v1
	s_mov_b64 s[0:1], 0
	v_cvt_i32_f32_e32 v12, v5
	v_ashrrev_i32_e32 v13, 31, v12
	global_store_dwordx2 v[6:7], v[12:13], off
.LBB529_1843:
	s_andn2_b64 vcc, exec, s[0:1]
	s_cbranch_vccnz .LBB529_1845
; %bb.1844:
	v_cvt_f32_f16_e32 v5, v1
	v_cvt_i32_f32_e32 v5, v5
	global_store_dword v[6:7], v5, off
.LBB529_1845:
	s_mov_b64 s[0:1], 0
.LBB529_1846:
	s_andn2_b64 vcc, exec, s[0:1]
	s_cbranch_vccnz .LBB529_1848
; %bb.1847:
	v_cvt_i16_f16_e32 v5, v1
	global_store_short v[6:7], v5, off
.LBB529_1848:
	s_mov_b64 s[0:1], 0
.LBB529_1849:
	s_andn2_b64 vcc, exec, s[0:1]
	s_cbranch_vccnz .LBB529_1854
; %bb.1850:
	s_cmp_gt_i32 s6, 0
	s_mov_b64 s[0:1], -1
	s_cbranch_scc0 .LBB529_1852
; %bb.1851:
	v_cvt_i16_f16_e32 v5, v1
	global_store_byte v[6:7], v5, off
	s_mov_b64 s[0:1], 0
.LBB529_1852:
	s_andn2_b64 vcc, exec, s[0:1]
	s_cbranch_vccnz .LBB529_1854
; %bb.1853:
	v_cvt_f32_f16_e32 v1, v1
	v_cvt_i32_f32_e32 v1, v1
	global_store_byte v[6:7], v1, off
.LBB529_1854:
	s_mov_b64 s[8:9], -1
.LBB529_1855:
	s_andn2_b64 vcc, exec, s[8:9]
	s_cbranch_vccnz .LBB529_2170
; %bb.1856:
	s_lshr_b32 s0, s18, 16
	s_and_b32 s14, s0, 0xff
	v_mov_b32_e32 v5, 0
	s_cmp_lt_i32 s14, 11
	v_lshl_add_u64 v[4:5], s[4:5], 0, v[4:5]
	s_cbranch_scc1 .LBB529_1934
; %bb.1857:
	s_and_b32 s15, 0xffff, s14
	s_mov_b64 s[10:11], -1
	s_mov_b64 s[6:7], 0
	s_cmp_gt_i32 s15, 25
	s_mov_b64 s[8:9], 0
	s_mov_b64 s[0:1], 0
	s_cbranch_scc0 .LBB529_1890
; %bb.1858:
	s_cmp_gt_i32 s15, 28
	s_cbranch_scc0 .LBB529_1873
; %bb.1859:
	s_cmp_gt_i32 s15, 43
	;; [unrolled: 3-line block ×3, first 2 shown]
	s_cbranch_scc0 .LBB529_1863
; %bb.1861:
	s_mov_b64 s[0:1], -1
	s_mov_b64 s[10:11], 0
	s_cmp_eq_u32 s15, 46
	s_cbranch_scc0 .LBB529_1863
; %bb.1862:
	v_cvt_f32_f16_e32 v1, v3
	s_movk_i32 s0, 0x7fff
	v_cmp_o_f16_e32 vcc, v3, v3
	v_mov_b32_e32 v6, 0x7fc0
	v_bfe_u32 v7, v1, 16, 1
	v_add3_u32 v1, v1, v7, s0
	v_cndmask_b32_sdwa v1, v6, v1, vcc dst_sel:DWORD dst_unused:UNUSED_PAD src0_sel:DWORD src1_sel:WORD_1
	global_store_dword v[4:5], v1, off
	s_mov_b64 s[0:1], 0
	s_mov_b64 s[8:9], -1
.LBB529_1863:
	s_and_b64 vcc, exec, s[10:11]
	s_cbranch_vccz .LBB529_1868
; %bb.1864:
	s_cmp_eq_u32 s15, 44
	s_mov_b64 s[0:1], -1
	s_cbranch_scc0 .LBB529_1868
; %bb.1865:
	v_cvt_f32_f16_e32 v1, v3
	s_movk_i32 s0, 0xff
	v_mov_b32_e32 v7, 0xff
	v_bfe_u32 v6, v1, 23, 8
	v_cmp_ne_u32_e32 vcc, s0, v6
	s_and_saveexec_b64 s[8:9], vcc
; %bb.1866:
	s_mov_b32 s0, 0x3fffff
	v_lshrrev_b32_e32 v7, 23, v1
	v_and_b32_e32 v8, 0x400000, v1
	v_and_or_b32 v1, v1, s0, v6
	v_cmp_ne_u32_e32 vcc, 0, v8
	v_cmp_ne_u32_e64 s[0:1], 0, v1
	s_and_b64 s[0:1], vcc, s[0:1]
	s_nop 0
	v_cndmask_b32_e64 v1, 0, 1, s[0:1]
	v_add_u32_e32 v7, v7, v1
; %bb.1867:
	s_or_b64 exec, exec, s[8:9]
	s_mov_b64 s[0:1], 0
	s_mov_b64 s[8:9], -1
	global_store_byte v[4:5], v7, off
.LBB529_1868:
	s_mov_b64 s[10:11], 0
.LBB529_1869:
	s_and_b64 vcc, exec, s[10:11]
	s_cbranch_vccz .LBB529_1872
; %bb.1870:
	s_cmp_eq_u32 s15, 29
	s_mov_b64 s[0:1], -1
	s_cbranch_scc0 .LBB529_1872
; %bb.1871:
	v_cvt_f32_f16_e32 v1, v3
	v_mov_b32_e32 v7, 0
	s_mov_b64 s[0:1], 0
	s_mov_b64 s[8:9], -1
	v_cvt_u32_f32_e32 v6, v1
	global_store_dwordx2 v[4:5], v[6:7], off
.LBB529_1872:
	s_mov_b64 s[10:11], 0
.LBB529_1873:
	s_and_b64 vcc, exec, s[10:11]
	s_cbranch_vccz .LBB529_1889
; %bb.1874:
	s_cmp_lt_i32 s15, 27
	s_mov_b64 s[8:9], -1
	s_cbranch_scc1 .LBB529_1880
; %bb.1875:
	s_cmp_gt_i32 s15, 27
	s_cbranch_scc0 .LBB529_1877
; %bb.1876:
	v_cvt_f32_f16_e32 v1, v3
	s_mov_b64 s[8:9], 0
	v_cvt_u32_f32_e32 v1, v1
	global_store_dword v[4:5], v1, off
.LBB529_1877:
	s_andn2_b64 vcc, exec, s[8:9]
	s_cbranch_vccnz .LBB529_1879
; %bb.1878:
	v_cvt_u16_f16_e32 v1, v3
	global_store_short v[4:5], v1, off
.LBB529_1879:
	s_mov_b64 s[8:9], 0
.LBB529_1880:
	s_andn2_b64 vcc, exec, s[8:9]
	s_cbranch_vccnz .LBB529_1888
; %bb.1881:
	v_cvt_f32_f16_e32 v1, v3
	s_mov_b32 s8, 0x43800000
	v_mov_b32_e32 v7, 0x80
	v_and_b32_e32 v6, 0x7fffffff, v1
	v_cmp_gt_u32_e32 vcc, s8, v6
	s_and_saveexec_b64 s[8:9], vcc
	s_cbranch_execz .LBB529_1887
; %bb.1882:
	s_mov_b32 s10, 0x3bffffff
	v_cmp_lt_u32_e32 vcc, s10, v6
	s_mov_b64 s[10:11], 0
                                        ; implicit-def: $vgpr6
	s_and_saveexec_b64 s[12:13], vcc
	s_xor_b64 s[12:13], exec, s[12:13]
	s_cbranch_execz .LBB529_2178
; %bb.1883:
	v_bfe_u32 v6, v1, 20, 1
	s_mov_b32 s16, 0x487ffff
	v_add3_u32 v6, v1, v6, s16
	s_mov_b64 s[10:11], exec
	v_lshrrev_b32_e32 v6, 20, v6
	s_andn2_saveexec_b64 s[12:13], s[12:13]
	s_cbranch_execnz .LBB529_2179
.LBB529_1884:
	s_or_b64 exec, exec, s[12:13]
	v_mov_b32_e32 v7, 0
	s_and_saveexec_b64 s[12:13], s[10:11]
.LBB529_1885:
	v_lshrrev_b32_e32 v1, 24, v1
	s_movk_i32 s10, 0x80
	v_and_or_b32 v7, v1, s10, v6
.LBB529_1886:
	s_or_b64 exec, exec, s[12:13]
.LBB529_1887:
	s_or_b64 exec, exec, s[8:9]
	global_store_byte v[4:5], v7, off
.LBB529_1888:
	s_mov_b64 s[8:9], -1
.LBB529_1889:
	s_mov_b64 s[10:11], 0
.LBB529_1890:
	s_and_b64 vcc, exec, s[10:11]
	s_cbranch_vccz .LBB529_1930
; %bb.1891:
	s_cmp_gt_i32 s15, 22
	s_mov_b64 s[6:7], -1
	s_cbranch_scc0 .LBB529_1923
; %bb.1892:
	s_cmp_lt_i32 s15, 24
	s_cbranch_scc1 .LBB529_1912
; %bb.1893:
	s_cmp_gt_i32 s15, 24
	s_cbranch_scc0 .LBB529_1901
; %bb.1894:
	v_cvt_f32_f16_e32 v1, v3
	s_mov_b32 s6, 0x47800000
	v_mov_b32_e32 v7, 0x80
	v_and_b32_e32 v6, 0x7fffffff, v1
	v_cmp_gt_u32_e32 vcc, s6, v6
	s_and_saveexec_b64 s[6:7], vcc
	s_cbranch_execz .LBB529_1900
; %bb.1895:
	s_mov_b32 s8, 0x37ffffff
	v_cmp_lt_u32_e32 vcc, s8, v6
	s_mov_b64 s[8:9], 0
                                        ; implicit-def: $vgpr6
	s_and_saveexec_b64 s[10:11], vcc
	s_xor_b64 s[10:11], exec, s[10:11]
	s_cbranch_execz .LBB529_2181
; %bb.1896:
	v_bfe_u32 v6, v1, 21, 1
	s_mov_b32 s12, 0x88fffff
	v_add3_u32 v6, v1, v6, s12
	s_mov_b64 s[8:9], exec
	v_lshrrev_b32_e32 v6, 21, v6
	s_andn2_saveexec_b64 s[10:11], s[10:11]
	s_cbranch_execnz .LBB529_2182
.LBB529_1897:
	s_or_b64 exec, exec, s[10:11]
	v_mov_b32_e32 v7, 0
	s_and_saveexec_b64 s[10:11], s[8:9]
.LBB529_1898:
	v_lshrrev_b32_e32 v1, 24, v1
	s_movk_i32 s8, 0x80
	v_and_or_b32 v7, v1, s8, v6
.LBB529_1899:
	s_or_b64 exec, exec, s[10:11]
.LBB529_1900:
	s_or_b64 exec, exec, s[6:7]
	s_mov_b64 s[6:7], 0
	global_store_byte v[4:5], v7, off
.LBB529_1901:
	s_and_b64 vcc, exec, s[6:7]
	s_cbranch_vccz .LBB529_1911
; %bb.1902:
	v_cvt_f32_f16_e32 v1, v3
	s_mov_b32 s6, 0x43f00000
                                        ; implicit-def: $vgpr6
	v_and_b32_e32 v7, 0x7fffffff, v1
	v_cmp_gt_u32_e32 vcc, s6, v7
	s_and_saveexec_b64 s[6:7], vcc
	s_xor_b64 s[6:7], exec, s[6:7]
	s_cbranch_execz .LBB529_1908
; %bb.1903:
	s_mov_b32 s8, 0x3c7fffff
	v_cmp_lt_u32_e32 vcc, s8, v7
                                        ; implicit-def: $vgpr6
	s_and_saveexec_b64 s[8:9], vcc
	s_xor_b64 s[8:9], exec, s[8:9]
; %bb.1904:
	v_bfe_u32 v6, v1, 20, 1
	s_mov_b32 s10, 0x407ffff
	v_add3_u32 v6, v1, v6, s10
	v_lshrrev_b32_e32 v7, 20, v6
	v_and_b32_e32 v6, 0xff00000, v6
	s_mov_b32 s10, 0x7f00000
	v_mov_b32_e32 v8, 0x7e
	v_cmp_ne_u32_e32 vcc, s10, v6
	s_nop 1
	v_cndmask_b32_e32 v6, v8, v7, vcc
; %bb.1905:
	s_andn2_saveexec_b64 s[8:9], s[8:9]
; %bb.1906:
	s_mov_b32 s10, 0x46800000
	v_add_f32_e64 v6, |v1|, s10
; %bb.1907:
	s_or_b64 exec, exec, s[8:9]
                                        ; implicit-def: $vgpr7
.LBB529_1908:
	s_andn2_saveexec_b64 s[6:7], s[6:7]
; %bb.1909:
	s_mov_b32 s8, 0x7f800000
	v_mov_b32_e32 v6, 0x7e
	v_mov_b32_e32 v8, 0x7f
	v_cmp_lt_u32_e32 vcc, s8, v7
	s_nop 1
	v_cndmask_b32_e32 v6, v6, v8, vcc
; %bb.1910:
	s_or_b64 exec, exec, s[6:7]
	v_lshrrev_b32_e32 v1, 24, v1
	s_movk_i32 s6, 0x80
	v_and_or_b32 v1, v1, s6, v6
	global_store_byte v[4:5], v1, off
.LBB529_1911:
	s_mov_b64 s[6:7], 0
.LBB529_1912:
	s_andn2_b64 vcc, exec, s[6:7]
	s_cbranch_vccnz .LBB529_1922
; %bb.1913:
	v_cvt_f32_f16_e32 v1, v3
	s_mov_b32 s6, 0x47800000
                                        ; implicit-def: $vgpr6
	v_and_b32_e32 v7, 0x7fffffff, v1
	v_cmp_gt_u32_e32 vcc, s6, v7
	s_and_saveexec_b64 s[6:7], vcc
	s_xor_b64 s[6:7], exec, s[6:7]
	s_cbranch_execz .LBB529_1919
; %bb.1914:
	s_mov_b32 s8, 0x387fffff
	v_cmp_lt_u32_e32 vcc, s8, v7
                                        ; implicit-def: $vgpr6
	s_and_saveexec_b64 s[8:9], vcc
	s_xor_b64 s[8:9], exec, s[8:9]
; %bb.1915:
	v_bfe_u32 v6, v1, 21, 1
	s_mov_b32 s10, 0x80fffff
	v_add3_u32 v6, v1, v6, s10
	v_lshrrev_b32_e32 v6, 21, v6
; %bb.1916:
	s_andn2_saveexec_b64 s[8:9], s[8:9]
; %bb.1917:
	s_mov_b32 s10, 0x43000000
	v_add_f32_e64 v6, |v1|, s10
; %bb.1918:
	s_or_b64 exec, exec, s[8:9]
                                        ; implicit-def: $vgpr7
.LBB529_1919:
	s_andn2_saveexec_b64 s[6:7], s[6:7]
; %bb.1920:
	s_mov_b32 s8, 0x7f800000
	v_mov_b32_e32 v6, 0x7c
	v_mov_b32_e32 v8, 0x7f
	v_cmp_lt_u32_e32 vcc, s8, v7
	s_nop 1
	v_cndmask_b32_e32 v6, v6, v8, vcc
; %bb.1921:
	s_or_b64 exec, exec, s[6:7]
	v_lshrrev_b32_e32 v1, 24, v1
	s_movk_i32 s6, 0x80
	v_and_or_b32 v1, v1, s6, v6
	global_store_byte v[4:5], v1, off
.LBB529_1922:
	s_mov_b64 s[6:7], 0
	s_mov_b64 s[8:9], -1
.LBB529_1923:
	s_andn2_b64 vcc, exec, s[6:7]
	s_mov_b64 s[6:7], 0
	s_cbranch_vccnz .LBB529_1930
; %bb.1924:
	s_cmp_gt_i32 s15, 14
	s_mov_b64 s[10:11], -1
	s_cbranch_scc0 .LBB529_1928
; %bb.1925:
	s_cmp_eq_u32 s15, 15
	s_mov_b64 s[0:1], -1
	s_cbranch_scc0 .LBB529_1927
; %bb.1926:
	v_cvt_f32_f16_e32 v1, v3
	s_movk_i32 s0, 0x7fff
	v_cmp_o_f16_e32 vcc, v3, v3
	v_mov_b32_e32 v6, 0x7fc0
	v_bfe_u32 v7, v1, 16, 1
	v_add3_u32 v1, v1, v7, s0
	v_cndmask_b32_sdwa v1, v6, v1, vcc dst_sel:DWORD dst_unused:UNUSED_PAD src0_sel:DWORD src1_sel:WORD_1
	global_store_short v[4:5], v1, off
	s_mov_b64 s[0:1], 0
	s_mov_b64 s[8:9], -1
.LBB529_1927:
	s_mov_b64 s[10:11], 0
.LBB529_1928:
	s_and_b64 vcc, exec, s[10:11]
	s_cbranch_vccz .LBB529_1930
; %bb.1929:
	s_cmp_lg_u32 s15, 11
	s_mov_b64 s[6:7], -1
	s_cselect_b64 s[0:1], -1, 0
.LBB529_1930:
	s_and_b64 vcc, exec, s[0:1]
	s_cbranch_vccnz .LBB529_2180
; %bb.1931:
	s_andn2_b64 vcc, exec, s[6:7]
	s_cbranch_vccnz .LBB529_1933
.LBB529_1932:
	v_and_b32_e32 v1, 0x7fff, v3
	v_cmp_ne_u16_e32 vcc, 0, v1
	s_mov_b64 s[8:9], -1
	s_nop 0
	v_cndmask_b32_e64 v1, 0, 1, vcc
	global_store_byte v[4:5], v1, off
.LBB529_1933:
	s_mov_b64 s[0:1], 0
	s_branch .LBB529_1935
.LBB529_1934:
	s_mov_b64 s[0:1], -1
	s_mov_b64 s[8:9], 0
.LBB529_1935:
	s_and_b64 vcc, exec, s[0:1]
	s_cbranch_vccz .LBB529_1974
; %bb.1936:
	s_and_b32 s6, 0xffff, s14
	s_cmp_lt_i32 s6, 5
	s_mov_b64 s[0:1], -1
	s_cbranch_scc1 .LBB529_1957
; %bb.1937:
	s_cmp_lt_i32 s6, 8
	s_cbranch_scc1 .LBB529_1947
; %bb.1938:
	s_cmp_lt_i32 s6, 9
	s_cbranch_scc1 .LBB529_1944
; %bb.1939:
	s_cmp_gt_i32 s6, 9
	s_cbranch_scc0 .LBB529_1941
; %bb.1940:
	v_cvt_f32_f16_e32 v1, v3
	v_mov_b32_e32 v14, 0
	v_mov_b32_e32 v15, v14
	s_mov_b64 s[0:1], 0
	v_cvt_f64_f32_e32 v[12:13], v1
	global_store_dwordx4 v[4:5], v[12:15], off
.LBB529_1941:
	s_andn2_b64 vcc, exec, s[0:1]
	s_cbranch_vccnz .LBB529_1943
; %bb.1942:
	v_cvt_f32_f16_e32 v6, v3
	v_mov_b32_e32 v7, 0
	global_store_dwordx2 v[4:5], v[6:7], off
.LBB529_1943:
	s_mov_b64 s[0:1], 0
.LBB529_1944:
	s_andn2_b64 vcc, exec, s[0:1]
	s_cbranch_vccnz .LBB529_1946
; %bb.1945:
	v_and_b32_e32 v1, 0xffff, v3
	global_store_dword v[4:5], v1, off
.LBB529_1946:
	s_mov_b64 s[0:1], 0
.LBB529_1947:
	s_andn2_b64 vcc, exec, s[0:1]
	s_cbranch_vccnz .LBB529_1956
; %bb.1948:
	s_cmp_lt_i32 s6, 6
	s_mov_b64 s[0:1], -1
	s_cbranch_scc1 .LBB529_1954
; %bb.1949:
	s_cmp_gt_i32 s6, 6
	s_cbranch_scc0 .LBB529_1951
; %bb.1950:
	v_cvt_f32_f16_e32 v1, v3
	s_mov_b64 s[0:1], 0
	v_cvt_f64_f32_e32 v[6:7], v1
	global_store_dwordx2 v[4:5], v[6:7], off
.LBB529_1951:
	s_andn2_b64 vcc, exec, s[0:1]
	s_cbranch_vccnz .LBB529_1953
; %bb.1952:
	v_cvt_f32_f16_e32 v1, v3
	global_store_dword v[4:5], v1, off
.LBB529_1953:
	s_mov_b64 s[0:1], 0
.LBB529_1954:
	s_andn2_b64 vcc, exec, s[0:1]
	s_cbranch_vccnz .LBB529_1956
; %bb.1955:
	global_store_short v[4:5], v3, off
.LBB529_1956:
	s_mov_b64 s[0:1], 0
.LBB529_1957:
	s_andn2_b64 vcc, exec, s[0:1]
	s_cbranch_vccnz .LBB529_1973
; %bb.1958:
	s_cmp_lt_i32 s6, 2
	s_mov_b64 s[0:1], -1
	s_cbranch_scc1 .LBB529_1968
; %bb.1959:
	s_cmp_lt_i32 s6, 3
	s_cbranch_scc1 .LBB529_1965
; %bb.1960:
	s_cmp_gt_i32 s6, 3
	s_cbranch_scc0 .LBB529_1962
; %bb.1961:
	v_cvt_f32_f16_e32 v1, v3
	s_mov_b64 s[0:1], 0
	v_cvt_i32_f32_e32 v6, v1
	v_ashrrev_i32_e32 v7, 31, v6
	global_store_dwordx2 v[4:5], v[6:7], off
.LBB529_1962:
	s_andn2_b64 vcc, exec, s[0:1]
	s_cbranch_vccnz .LBB529_1964
; %bb.1963:
	v_cvt_f32_f16_e32 v1, v3
	v_cvt_i32_f32_e32 v1, v1
	global_store_dword v[4:5], v1, off
.LBB529_1964:
	s_mov_b64 s[0:1], 0
.LBB529_1965:
	s_andn2_b64 vcc, exec, s[0:1]
	s_cbranch_vccnz .LBB529_1967
; %bb.1966:
	v_cvt_i16_f16_e32 v1, v3
	global_store_short v[4:5], v1, off
.LBB529_1967:
	s_mov_b64 s[0:1], 0
.LBB529_1968:
	s_andn2_b64 vcc, exec, s[0:1]
	s_cbranch_vccnz .LBB529_1973
; %bb.1969:
	s_cmp_gt_i32 s6, 0
	s_mov_b64 s[0:1], -1
	s_cbranch_scc0 .LBB529_1971
; %bb.1970:
	v_cvt_i16_f16_e32 v1, v3
	global_store_byte v[4:5], v1, off
	s_mov_b64 s[0:1], 0
.LBB529_1971:
	s_andn2_b64 vcc, exec, s[0:1]
	s_cbranch_vccnz .LBB529_1973
; %bb.1972:
	v_cvt_f32_f16_e32 v1, v3
	v_cvt_i32_f32_e32 v1, v1
	global_store_byte v[4:5], v1, off
.LBB529_1973:
	s_mov_b64 s[8:9], -1
.LBB529_1974:
	s_andn2_b64 vcc, exec, s[8:9]
	s_cbranch_vccnz .LBB529_2170
; %bb.1975:
	v_mov_b32_e32 v3, 0
	s_cmp_lt_i32 s14, 11
	v_lshl_add_u64 v[2:3], s[4:5], 0, v[2:3]
	s_cbranch_scc1 .LBB529_2053
; %bb.1976:
	s_and_b32 s15, 0xffff, s14
	s_mov_b64 s[10:11], -1
	s_mov_b64 s[6:7], 0
	s_cmp_gt_i32 s15, 25
	s_mov_b64 s[8:9], 0
	s_mov_b64 s[0:1], 0
	s_cbranch_scc0 .LBB529_2009
; %bb.1977:
	s_cmp_gt_i32 s15, 28
	s_cbranch_scc0 .LBB529_1992
; %bb.1978:
	s_cmp_gt_i32 s15, 43
	;; [unrolled: 3-line block ×3, first 2 shown]
	s_cbranch_scc0 .LBB529_1982
; %bb.1980:
	s_mov_b64 s[0:1], -1
	s_mov_b64 s[10:11], 0
	s_cmp_eq_u32 s15, 46
	s_cbranch_scc0 .LBB529_1982
; %bb.1981:
	v_cvt_f32_f16_e32 v1, v10
	s_movk_i32 s0, 0x7fff
	v_cmp_o_f16_e32 vcc, v10, v10
	v_mov_b32_e32 v4, 0x7fc0
	v_bfe_u32 v5, v1, 16, 1
	v_add3_u32 v1, v1, v5, s0
	v_cndmask_b32_sdwa v1, v4, v1, vcc dst_sel:DWORD dst_unused:UNUSED_PAD src0_sel:DWORD src1_sel:WORD_1
	global_store_dword v[2:3], v1, off
	s_mov_b64 s[0:1], 0
	s_mov_b64 s[8:9], -1
.LBB529_1982:
	s_and_b64 vcc, exec, s[10:11]
	s_cbranch_vccz .LBB529_1987
; %bb.1983:
	s_cmp_eq_u32 s15, 44
	s_mov_b64 s[0:1], -1
	s_cbranch_scc0 .LBB529_1987
; %bb.1984:
	v_cvt_f32_f16_e32 v1, v10
	s_movk_i32 s0, 0xff
	v_mov_b32_e32 v5, 0xff
	v_bfe_u32 v4, v1, 23, 8
	v_cmp_ne_u32_e32 vcc, s0, v4
	s_and_saveexec_b64 s[8:9], vcc
; %bb.1985:
	s_mov_b32 s0, 0x3fffff
	v_lshrrev_b32_e32 v5, 23, v1
	v_and_b32_e32 v6, 0x400000, v1
	v_and_or_b32 v1, v1, s0, v4
	v_cmp_ne_u32_e32 vcc, 0, v6
	v_cmp_ne_u32_e64 s[0:1], 0, v1
	s_and_b64 s[0:1], vcc, s[0:1]
	s_nop 0
	v_cndmask_b32_e64 v1, 0, 1, s[0:1]
	v_add_u32_e32 v5, v5, v1
; %bb.1986:
	s_or_b64 exec, exec, s[8:9]
	s_mov_b64 s[0:1], 0
	s_mov_b64 s[8:9], -1
	global_store_byte v[2:3], v5, off
.LBB529_1987:
	s_mov_b64 s[10:11], 0
.LBB529_1988:
	s_and_b64 vcc, exec, s[10:11]
	s_cbranch_vccz .LBB529_1991
; %bb.1989:
	s_cmp_eq_u32 s15, 29
	s_mov_b64 s[0:1], -1
	s_cbranch_scc0 .LBB529_1991
; %bb.1990:
	v_cvt_f32_f16_e32 v1, v10
	v_mov_b32_e32 v5, 0
	s_mov_b64 s[0:1], 0
	s_mov_b64 s[8:9], -1
	v_cvt_u32_f32_e32 v4, v1
	global_store_dwordx2 v[2:3], v[4:5], off
.LBB529_1991:
	s_mov_b64 s[10:11], 0
.LBB529_1992:
	s_and_b64 vcc, exec, s[10:11]
	s_cbranch_vccz .LBB529_2008
; %bb.1993:
	s_cmp_lt_i32 s15, 27
	s_mov_b64 s[8:9], -1
	s_cbranch_scc1 .LBB529_1999
; %bb.1994:
	s_cmp_gt_i32 s15, 27
	s_cbranch_scc0 .LBB529_1996
; %bb.1995:
	v_cvt_f32_f16_e32 v1, v10
	s_mov_b64 s[8:9], 0
	v_cvt_u32_f32_e32 v1, v1
	global_store_dword v[2:3], v1, off
.LBB529_1996:
	s_andn2_b64 vcc, exec, s[8:9]
	s_cbranch_vccnz .LBB529_1998
; %bb.1997:
	v_cvt_u16_f16_e32 v1, v10
	global_store_short v[2:3], v1, off
.LBB529_1998:
	s_mov_b64 s[8:9], 0
.LBB529_1999:
	s_andn2_b64 vcc, exec, s[8:9]
	s_cbranch_vccnz .LBB529_2007
; %bb.2000:
	v_cvt_f32_f16_e32 v1, v10
	s_mov_b32 s8, 0x43800000
	v_mov_b32_e32 v5, 0x80
	v_and_b32_e32 v4, 0x7fffffff, v1
	v_cmp_gt_u32_e32 vcc, s8, v4
	s_and_saveexec_b64 s[8:9], vcc
	s_cbranch_execz .LBB529_2006
; %bb.2001:
	s_mov_b32 s10, 0x3bffffff
	v_cmp_lt_u32_e32 vcc, s10, v4
	s_mov_b64 s[10:11], 0
                                        ; implicit-def: $vgpr4
	s_and_saveexec_b64 s[12:13], vcc
	s_xor_b64 s[12:13], exec, s[12:13]
	s_cbranch_execz .LBB529_2183
; %bb.2002:
	v_bfe_u32 v4, v1, 20, 1
	s_mov_b32 s16, 0x487ffff
	v_add3_u32 v4, v1, v4, s16
	s_mov_b64 s[10:11], exec
	v_lshrrev_b32_e32 v4, 20, v4
	s_andn2_saveexec_b64 s[12:13], s[12:13]
	s_cbranch_execnz .LBB529_2184
.LBB529_2003:
	s_or_b64 exec, exec, s[12:13]
	v_mov_b32_e32 v5, 0
	s_and_saveexec_b64 s[12:13], s[10:11]
.LBB529_2004:
	v_lshrrev_b32_e32 v1, 24, v1
	s_movk_i32 s10, 0x80
	v_and_or_b32 v5, v1, s10, v4
.LBB529_2005:
	s_or_b64 exec, exec, s[12:13]
.LBB529_2006:
	s_or_b64 exec, exec, s[8:9]
	global_store_byte v[2:3], v5, off
.LBB529_2007:
	s_mov_b64 s[8:9], -1
.LBB529_2008:
	s_mov_b64 s[10:11], 0
.LBB529_2009:
	s_and_b64 vcc, exec, s[10:11]
	s_cbranch_vccz .LBB529_2049
; %bb.2010:
	s_cmp_gt_i32 s15, 22
	s_mov_b64 s[6:7], -1
	s_cbranch_scc0 .LBB529_2042
; %bb.2011:
	s_cmp_lt_i32 s15, 24
	s_cbranch_scc1 .LBB529_2031
; %bb.2012:
	s_cmp_gt_i32 s15, 24
	s_cbranch_scc0 .LBB529_2020
; %bb.2013:
	v_cvt_f32_f16_e32 v1, v10
	s_mov_b32 s6, 0x47800000
	v_mov_b32_e32 v5, 0x80
	v_and_b32_e32 v4, 0x7fffffff, v1
	v_cmp_gt_u32_e32 vcc, s6, v4
	s_and_saveexec_b64 s[6:7], vcc
	s_cbranch_execz .LBB529_2019
; %bb.2014:
	s_mov_b32 s8, 0x37ffffff
	v_cmp_lt_u32_e32 vcc, s8, v4
	s_mov_b64 s[8:9], 0
                                        ; implicit-def: $vgpr4
	s_and_saveexec_b64 s[10:11], vcc
	s_xor_b64 s[10:11], exec, s[10:11]
	s_cbranch_execz .LBB529_2186
; %bb.2015:
	v_bfe_u32 v4, v1, 21, 1
	s_mov_b32 s12, 0x88fffff
	v_add3_u32 v4, v1, v4, s12
	s_mov_b64 s[8:9], exec
	v_lshrrev_b32_e32 v4, 21, v4
	s_andn2_saveexec_b64 s[10:11], s[10:11]
	s_cbranch_execnz .LBB529_2187
.LBB529_2016:
	s_or_b64 exec, exec, s[10:11]
	v_mov_b32_e32 v5, 0
	s_and_saveexec_b64 s[10:11], s[8:9]
.LBB529_2017:
	v_lshrrev_b32_e32 v1, 24, v1
	s_movk_i32 s8, 0x80
	v_and_or_b32 v5, v1, s8, v4
.LBB529_2018:
	s_or_b64 exec, exec, s[10:11]
.LBB529_2019:
	s_or_b64 exec, exec, s[6:7]
	s_mov_b64 s[6:7], 0
	global_store_byte v[2:3], v5, off
.LBB529_2020:
	s_and_b64 vcc, exec, s[6:7]
	s_cbranch_vccz .LBB529_2030
; %bb.2021:
	v_cvt_f32_f16_e32 v1, v10
	s_mov_b32 s6, 0x43f00000
                                        ; implicit-def: $vgpr4
	v_and_b32_e32 v5, 0x7fffffff, v1
	v_cmp_gt_u32_e32 vcc, s6, v5
	s_and_saveexec_b64 s[6:7], vcc
	s_xor_b64 s[6:7], exec, s[6:7]
	s_cbranch_execz .LBB529_2027
; %bb.2022:
	s_mov_b32 s8, 0x3c7fffff
	v_cmp_lt_u32_e32 vcc, s8, v5
                                        ; implicit-def: $vgpr4
	s_and_saveexec_b64 s[8:9], vcc
	s_xor_b64 s[8:9], exec, s[8:9]
; %bb.2023:
	v_bfe_u32 v4, v1, 20, 1
	s_mov_b32 s10, 0x407ffff
	v_add3_u32 v4, v1, v4, s10
	v_lshrrev_b32_e32 v5, 20, v4
	v_and_b32_e32 v4, 0xff00000, v4
	s_mov_b32 s10, 0x7f00000
	v_mov_b32_e32 v6, 0x7e
	v_cmp_ne_u32_e32 vcc, s10, v4
	s_nop 1
	v_cndmask_b32_e32 v4, v6, v5, vcc
; %bb.2024:
	s_andn2_saveexec_b64 s[8:9], s[8:9]
; %bb.2025:
	s_mov_b32 s10, 0x46800000
	v_add_f32_e64 v4, |v1|, s10
; %bb.2026:
	s_or_b64 exec, exec, s[8:9]
                                        ; implicit-def: $vgpr5
.LBB529_2027:
	s_andn2_saveexec_b64 s[6:7], s[6:7]
; %bb.2028:
	s_mov_b32 s8, 0x7f800000
	v_mov_b32_e32 v4, 0x7e
	v_mov_b32_e32 v6, 0x7f
	v_cmp_lt_u32_e32 vcc, s8, v5
	s_nop 1
	v_cndmask_b32_e32 v4, v4, v6, vcc
; %bb.2029:
	s_or_b64 exec, exec, s[6:7]
	v_lshrrev_b32_e32 v1, 24, v1
	s_movk_i32 s6, 0x80
	v_and_or_b32 v1, v1, s6, v4
	global_store_byte v[2:3], v1, off
.LBB529_2030:
	s_mov_b64 s[6:7], 0
.LBB529_2031:
	s_andn2_b64 vcc, exec, s[6:7]
	s_cbranch_vccnz .LBB529_2041
; %bb.2032:
	v_cvt_f32_f16_e32 v1, v10
	s_mov_b32 s6, 0x47800000
                                        ; implicit-def: $vgpr4
	v_and_b32_e32 v5, 0x7fffffff, v1
	v_cmp_gt_u32_e32 vcc, s6, v5
	s_and_saveexec_b64 s[6:7], vcc
	s_xor_b64 s[6:7], exec, s[6:7]
	s_cbranch_execz .LBB529_2038
; %bb.2033:
	s_mov_b32 s8, 0x387fffff
	v_cmp_lt_u32_e32 vcc, s8, v5
                                        ; implicit-def: $vgpr4
	s_and_saveexec_b64 s[8:9], vcc
	s_xor_b64 s[8:9], exec, s[8:9]
; %bb.2034:
	v_bfe_u32 v4, v1, 21, 1
	s_mov_b32 s10, 0x80fffff
	v_add3_u32 v4, v1, v4, s10
	v_lshrrev_b32_e32 v4, 21, v4
; %bb.2035:
	s_andn2_saveexec_b64 s[8:9], s[8:9]
; %bb.2036:
	s_mov_b32 s10, 0x43000000
	v_add_f32_e64 v4, |v1|, s10
; %bb.2037:
	s_or_b64 exec, exec, s[8:9]
                                        ; implicit-def: $vgpr5
.LBB529_2038:
	s_andn2_saveexec_b64 s[6:7], s[6:7]
; %bb.2039:
	s_mov_b32 s8, 0x7f800000
	v_mov_b32_e32 v4, 0x7c
	v_mov_b32_e32 v6, 0x7f
	v_cmp_lt_u32_e32 vcc, s8, v5
	s_nop 1
	v_cndmask_b32_e32 v4, v4, v6, vcc
; %bb.2040:
	s_or_b64 exec, exec, s[6:7]
	v_lshrrev_b32_e32 v1, 24, v1
	s_movk_i32 s6, 0x80
	v_and_or_b32 v1, v1, s6, v4
	global_store_byte v[2:3], v1, off
.LBB529_2041:
	s_mov_b64 s[6:7], 0
	s_mov_b64 s[8:9], -1
.LBB529_2042:
	s_andn2_b64 vcc, exec, s[6:7]
	s_mov_b64 s[6:7], 0
	s_cbranch_vccnz .LBB529_2049
; %bb.2043:
	s_cmp_gt_i32 s15, 14
	s_mov_b64 s[10:11], -1
	s_cbranch_scc0 .LBB529_2047
; %bb.2044:
	s_cmp_eq_u32 s15, 15
	s_mov_b64 s[0:1], -1
	s_cbranch_scc0 .LBB529_2046
; %bb.2045:
	v_cvt_f32_f16_e32 v1, v10
	s_movk_i32 s0, 0x7fff
	v_cmp_o_f16_e32 vcc, v10, v10
	v_mov_b32_e32 v4, 0x7fc0
	v_bfe_u32 v5, v1, 16, 1
	v_add3_u32 v1, v1, v5, s0
	v_cndmask_b32_sdwa v1, v4, v1, vcc dst_sel:DWORD dst_unused:UNUSED_PAD src0_sel:DWORD src1_sel:WORD_1
	global_store_short v[2:3], v1, off
	s_mov_b64 s[0:1], 0
	s_mov_b64 s[8:9], -1
.LBB529_2046:
	s_mov_b64 s[10:11], 0
.LBB529_2047:
	s_and_b64 vcc, exec, s[10:11]
	s_cbranch_vccz .LBB529_2049
; %bb.2048:
	s_cmp_lg_u32 s15, 11
	s_mov_b64 s[6:7], -1
	s_cselect_b64 s[0:1], -1, 0
.LBB529_2049:
	s_and_b64 vcc, exec, s[0:1]
	s_cbranch_vccnz .LBB529_2185
; %bb.2050:
	s_andn2_b64 vcc, exec, s[6:7]
	s_cbranch_vccnz .LBB529_2052
.LBB529_2051:
	v_and_b32_e32 v1, 0x7fff, v10
	v_cmp_ne_u16_e32 vcc, 0, v1
	s_mov_b64 s[8:9], -1
	s_nop 0
	v_cndmask_b32_e64 v1, 0, 1, vcc
	global_store_byte v[2:3], v1, off
.LBB529_2052:
	s_mov_b64 s[0:1], 0
	s_branch .LBB529_2054
.LBB529_2053:
	s_mov_b64 s[0:1], -1
	s_mov_b64 s[8:9], 0
.LBB529_2054:
	s_and_b64 vcc, exec, s[0:1]
	s_cbranch_vccz .LBB529_2093
; %bb.2055:
	s_and_b32 s6, 0xffff, s14
	s_cmp_lt_i32 s6, 5
	s_mov_b64 s[0:1], -1
	s_cbranch_scc1 .LBB529_2076
; %bb.2056:
	s_cmp_lt_i32 s6, 8
	s_cbranch_scc1 .LBB529_2066
; %bb.2057:
	s_cmp_lt_i32 s6, 9
	s_cbranch_scc1 .LBB529_2063
; %bb.2058:
	s_cmp_gt_i32 s6, 9
	s_cbranch_scc0 .LBB529_2060
; %bb.2059:
	v_cvt_f32_f16_e32 v1, v10
	v_mov_b32_e32 v6, 0
	v_mov_b32_e32 v7, v6
	s_mov_b64 s[0:1], 0
	v_cvt_f64_f32_e32 v[4:5], v1
	global_store_dwordx4 v[2:3], v[4:7], off
.LBB529_2060:
	s_andn2_b64 vcc, exec, s[0:1]
	s_cbranch_vccnz .LBB529_2062
; %bb.2061:
	v_cvt_f32_f16_e32 v4, v10
	v_mov_b32_e32 v5, 0
	global_store_dwordx2 v[2:3], v[4:5], off
.LBB529_2062:
	s_mov_b64 s[0:1], 0
.LBB529_2063:
	s_andn2_b64 vcc, exec, s[0:1]
	s_cbranch_vccnz .LBB529_2065
; %bb.2064:
	v_and_b32_e32 v1, 0xffff, v10
	global_store_dword v[2:3], v1, off
.LBB529_2065:
	s_mov_b64 s[0:1], 0
.LBB529_2066:
	s_andn2_b64 vcc, exec, s[0:1]
	s_cbranch_vccnz .LBB529_2075
; %bb.2067:
	s_cmp_lt_i32 s6, 6
	s_mov_b64 s[0:1], -1
	s_cbranch_scc1 .LBB529_2073
; %bb.2068:
	s_cmp_gt_i32 s6, 6
	s_cbranch_scc0 .LBB529_2070
; %bb.2069:
	v_cvt_f32_f16_e32 v1, v10
	s_mov_b64 s[0:1], 0
	v_cvt_f64_f32_e32 v[4:5], v1
	global_store_dwordx2 v[2:3], v[4:5], off
.LBB529_2070:
	s_andn2_b64 vcc, exec, s[0:1]
	s_cbranch_vccnz .LBB529_2072
; %bb.2071:
	v_cvt_f32_f16_e32 v1, v10
	global_store_dword v[2:3], v1, off
.LBB529_2072:
	s_mov_b64 s[0:1], 0
.LBB529_2073:
	s_andn2_b64 vcc, exec, s[0:1]
	s_cbranch_vccnz .LBB529_2075
; %bb.2074:
	global_store_short v[2:3], v10, off
.LBB529_2075:
	s_mov_b64 s[0:1], 0
.LBB529_2076:
	s_andn2_b64 vcc, exec, s[0:1]
	s_cbranch_vccnz .LBB529_2092
; %bb.2077:
	s_cmp_lt_i32 s6, 2
	s_mov_b64 s[0:1], -1
	s_cbranch_scc1 .LBB529_2087
; %bb.2078:
	s_cmp_lt_i32 s6, 3
	s_cbranch_scc1 .LBB529_2084
; %bb.2079:
	s_cmp_gt_i32 s6, 3
	s_cbranch_scc0 .LBB529_2081
; %bb.2080:
	v_cvt_f32_f16_e32 v1, v10
	s_mov_b64 s[0:1], 0
	v_cvt_i32_f32_e32 v4, v1
	v_ashrrev_i32_e32 v5, 31, v4
	global_store_dwordx2 v[2:3], v[4:5], off
.LBB529_2081:
	s_andn2_b64 vcc, exec, s[0:1]
	s_cbranch_vccnz .LBB529_2083
; %bb.2082:
	v_cvt_f32_f16_e32 v1, v10
	v_cvt_i32_f32_e32 v1, v1
	global_store_dword v[2:3], v1, off
.LBB529_2083:
	s_mov_b64 s[0:1], 0
.LBB529_2084:
	s_andn2_b64 vcc, exec, s[0:1]
	s_cbranch_vccnz .LBB529_2086
; %bb.2085:
	v_cvt_i16_f16_e32 v1, v10
	global_store_short v[2:3], v1, off
.LBB529_2086:
	s_mov_b64 s[0:1], 0
.LBB529_2087:
	s_andn2_b64 vcc, exec, s[0:1]
	s_cbranch_vccnz .LBB529_2092
; %bb.2088:
	s_cmp_gt_i32 s6, 0
	s_mov_b64 s[0:1], -1
	s_cbranch_scc0 .LBB529_2090
; %bb.2089:
	v_cvt_i16_f16_e32 v1, v10
	global_store_byte v[2:3], v1, off
	s_mov_b64 s[0:1], 0
.LBB529_2090:
	s_andn2_b64 vcc, exec, s[0:1]
	s_cbranch_vccnz .LBB529_2092
; %bb.2091:
	v_cvt_f32_f16_e32 v1, v10
	v_cvt_i32_f32_e32 v1, v1
	global_store_byte v[2:3], v1, off
.LBB529_2092:
	s_mov_b64 s[8:9], -1
.LBB529_2093:
	s_andn2_b64 vcc, exec, s[8:9]
	s_cbranch_vccnz .LBB529_2170
; %bb.2094:
	v_mov_b32_e32 v1, 0
	s_cmp_lt_i32 s14, 11
	v_lshl_add_u64 v[0:1], s[4:5], 0, v[0:1]
	s_cbranch_scc1 .LBB529_2171
; %bb.2095:
	s_and_b32 s12, 0xffff, s14
	s_mov_b64 s[6:7], -1
	s_mov_b64 s[4:5], 0
	s_cmp_gt_i32 s12, 25
	s_mov_b64 s[0:1], 0
	s_cbranch_scc0 .LBB529_2128
; %bb.2096:
	s_cmp_gt_i32 s12, 28
	s_cbranch_scc0 .LBB529_2112
; %bb.2097:
	s_cmp_gt_i32 s12, 43
	;; [unrolled: 3-line block ×3, first 2 shown]
	s_cbranch_scc0 .LBB529_2102
; %bb.2099:
	s_cmp_eq_u32 s12, 46
	s_mov_b64 s[0:1], -1
	s_cbranch_scc0 .LBB529_2101
; %bb.2100:
	v_cvt_f32_f16_e32 v2, v9
	s_movk_i32 s0, 0x7fff
	v_cmp_o_f16_e32 vcc, v9, v9
	v_mov_b32_e32 v3, 0x7fc0
	v_bfe_u32 v4, v2, 16, 1
	v_add3_u32 v2, v2, v4, s0
	v_cndmask_b32_sdwa v2, v3, v2, vcc dst_sel:DWORD dst_unused:UNUSED_PAD src0_sel:DWORD src1_sel:WORD_1
	global_store_dword v[0:1], v2, off
	s_mov_b64 s[0:1], 0
.LBB529_2101:
	s_mov_b64 s[6:7], 0
.LBB529_2102:
	s_and_b64 vcc, exec, s[6:7]
	s_cbranch_vccz .LBB529_2107
; %bb.2103:
	s_cmp_eq_u32 s12, 44
	s_mov_b64 s[0:1], -1
	s_cbranch_scc0 .LBB529_2107
; %bb.2104:
	v_cvt_f32_f16_e32 v2, v9
	s_movk_i32 s0, 0xff
	v_mov_b32_e32 v4, 0xff
	v_bfe_u32 v3, v2, 23, 8
	v_cmp_ne_u32_e32 vcc, s0, v3
	s_and_saveexec_b64 s[6:7], vcc
; %bb.2105:
	s_mov_b32 s0, 0x3fffff
	v_lshrrev_b32_e32 v4, 23, v2
	v_and_b32_e32 v5, 0x400000, v2
	v_and_or_b32 v2, v2, s0, v3
	v_cmp_ne_u32_e32 vcc, 0, v5
	v_cmp_ne_u32_e64 s[0:1], 0, v2
	s_and_b64 s[0:1], vcc, s[0:1]
	s_nop 0
	v_cndmask_b32_e64 v2, 0, 1, s[0:1]
	v_add_u32_e32 v4, v4, v2
; %bb.2106:
	s_or_b64 exec, exec, s[6:7]
	s_mov_b64 s[0:1], 0
	global_store_byte v[0:1], v4, off
.LBB529_2107:
	s_mov_b64 s[6:7], 0
.LBB529_2108:
	s_and_b64 vcc, exec, s[6:7]
	s_cbranch_vccz .LBB529_2111
; %bb.2109:
	s_cmp_eq_u32 s12, 29
	s_mov_b64 s[0:1], -1
	s_cbranch_scc0 .LBB529_2111
; %bb.2110:
	v_cvt_f32_f16_e32 v2, v9
	v_mov_b32_e32 v3, 0
	s_mov_b64 s[0:1], 0
	v_cvt_u32_f32_e32 v2, v2
	global_store_dwordx2 v[0:1], v[2:3], off
.LBB529_2111:
	s_mov_b64 s[6:7], 0
.LBB529_2112:
	s_and_b64 vcc, exec, s[6:7]
	s_cbranch_vccz .LBB529_2127
; %bb.2113:
	s_cmp_lt_i32 s12, 27
	s_mov_b64 s[6:7], -1
	s_cbranch_scc1 .LBB529_2119
; %bb.2114:
	s_cmp_gt_i32 s12, 27
	s_cbranch_scc0 .LBB529_2116
; %bb.2115:
	v_cvt_f32_f16_e32 v2, v9
	s_mov_b64 s[6:7], 0
	v_cvt_u32_f32_e32 v2, v2
	global_store_dword v[0:1], v2, off
.LBB529_2116:
	s_andn2_b64 vcc, exec, s[6:7]
	s_cbranch_vccnz .LBB529_2118
; %bb.2117:
	v_cvt_u16_f16_e32 v2, v9
	global_store_short v[0:1], v2, off
.LBB529_2118:
	s_mov_b64 s[6:7], 0
.LBB529_2119:
	s_andn2_b64 vcc, exec, s[6:7]
	s_cbranch_vccnz .LBB529_2127
; %bb.2120:
	v_cvt_f32_f16_e32 v2, v9
	s_mov_b32 s6, 0x43800000
	v_mov_b32_e32 v4, 0x80
	v_and_b32_e32 v3, 0x7fffffff, v2
	v_cmp_gt_u32_e32 vcc, s6, v3
	s_and_saveexec_b64 s[6:7], vcc
	s_cbranch_execz .LBB529_2126
; %bb.2121:
	s_mov_b32 s8, 0x3bffffff
	v_cmp_lt_u32_e32 vcc, s8, v3
	s_mov_b64 s[8:9], 0
                                        ; implicit-def: $vgpr3
	s_and_saveexec_b64 s[10:11], vcc
	s_xor_b64 s[10:11], exec, s[10:11]
	s_cbranch_execz .LBB529_2188
; %bb.2122:
	v_bfe_u32 v3, v2, 20, 1
	s_mov_b32 s13, 0x487ffff
	v_add3_u32 v3, v2, v3, s13
	s_mov_b64 s[8:9], exec
	v_lshrrev_b32_e32 v3, 20, v3
	s_andn2_saveexec_b64 s[10:11], s[10:11]
	s_cbranch_execnz .LBB529_2189
.LBB529_2123:
	s_or_b64 exec, exec, s[10:11]
	v_mov_b32_e32 v4, 0
	s_and_saveexec_b64 s[10:11], s[8:9]
.LBB529_2124:
	v_lshrrev_b32_e32 v2, 24, v2
	s_movk_i32 s8, 0x80
	v_and_or_b32 v4, v2, s8, v3
.LBB529_2125:
	s_or_b64 exec, exec, s[10:11]
.LBB529_2126:
	s_or_b64 exec, exec, s[6:7]
	global_store_byte v[0:1], v4, off
.LBB529_2127:
	s_mov_b64 s[6:7], 0
.LBB529_2128:
	s_and_b64 vcc, exec, s[6:7]
	s_cbranch_vccz .LBB529_2168
; %bb.2129:
	s_cmp_gt_i32 s12, 22
	s_mov_b64 s[4:5], -1
	s_cbranch_scc0 .LBB529_2161
; %bb.2130:
	s_cmp_lt_i32 s12, 24
	s_cbranch_scc1 .LBB529_2150
; %bb.2131:
	s_cmp_gt_i32 s12, 24
	s_cbranch_scc0 .LBB529_2139
; %bb.2132:
	v_cvt_f32_f16_e32 v2, v9
	s_mov_b32 s4, 0x47800000
	v_mov_b32_e32 v4, 0x80
	v_and_b32_e32 v3, 0x7fffffff, v2
	v_cmp_gt_u32_e32 vcc, s4, v3
	s_and_saveexec_b64 s[4:5], vcc
	s_cbranch_execz .LBB529_2138
; %bb.2133:
	s_mov_b32 s6, 0x37ffffff
	v_cmp_lt_u32_e32 vcc, s6, v3
	s_mov_b64 s[6:7], 0
                                        ; implicit-def: $vgpr3
	s_and_saveexec_b64 s[8:9], vcc
	s_xor_b64 s[8:9], exec, s[8:9]
	s_cbranch_execz .LBB529_2191
; %bb.2134:
	v_bfe_u32 v3, v2, 21, 1
	s_mov_b32 s10, 0x88fffff
	v_add3_u32 v3, v2, v3, s10
	s_mov_b64 s[6:7], exec
	v_lshrrev_b32_e32 v3, 21, v3
	s_andn2_saveexec_b64 s[8:9], s[8:9]
	s_cbranch_execnz .LBB529_2192
.LBB529_2135:
	s_or_b64 exec, exec, s[8:9]
	v_mov_b32_e32 v4, 0
	s_and_saveexec_b64 s[8:9], s[6:7]
.LBB529_2136:
	v_lshrrev_b32_e32 v2, 24, v2
	s_movk_i32 s6, 0x80
	v_and_or_b32 v4, v2, s6, v3
.LBB529_2137:
	s_or_b64 exec, exec, s[8:9]
.LBB529_2138:
	s_or_b64 exec, exec, s[4:5]
	s_mov_b64 s[4:5], 0
	global_store_byte v[0:1], v4, off
.LBB529_2139:
	s_and_b64 vcc, exec, s[4:5]
	s_cbranch_vccz .LBB529_2149
; %bb.2140:
	v_cvt_f32_f16_e32 v2, v9
	s_mov_b32 s4, 0x43f00000
                                        ; implicit-def: $vgpr3
	v_and_b32_e32 v4, 0x7fffffff, v2
	v_cmp_gt_u32_e32 vcc, s4, v4
	s_and_saveexec_b64 s[4:5], vcc
	s_xor_b64 s[4:5], exec, s[4:5]
	s_cbranch_execz .LBB529_2146
; %bb.2141:
	s_mov_b32 s6, 0x3c7fffff
	v_cmp_lt_u32_e32 vcc, s6, v4
                                        ; implicit-def: $vgpr3
	s_and_saveexec_b64 s[6:7], vcc
	s_xor_b64 s[6:7], exec, s[6:7]
; %bb.2142:
	v_bfe_u32 v3, v2, 20, 1
	s_mov_b32 s8, 0x407ffff
	v_add3_u32 v3, v2, v3, s8
	v_lshrrev_b32_e32 v4, 20, v3
	v_and_b32_e32 v3, 0xff00000, v3
	s_mov_b32 s8, 0x7f00000
	v_mov_b32_e32 v5, 0x7e
	v_cmp_ne_u32_e32 vcc, s8, v3
	s_nop 1
	v_cndmask_b32_e32 v3, v5, v4, vcc
; %bb.2143:
	s_andn2_saveexec_b64 s[6:7], s[6:7]
; %bb.2144:
	s_mov_b32 s8, 0x46800000
	v_add_f32_e64 v3, |v2|, s8
; %bb.2145:
	s_or_b64 exec, exec, s[6:7]
                                        ; implicit-def: $vgpr4
.LBB529_2146:
	s_andn2_saveexec_b64 s[4:5], s[4:5]
; %bb.2147:
	s_mov_b32 s6, 0x7f800000
	v_mov_b32_e32 v3, 0x7e
	v_mov_b32_e32 v5, 0x7f
	v_cmp_lt_u32_e32 vcc, s6, v4
	s_nop 1
	v_cndmask_b32_e32 v3, v3, v5, vcc
; %bb.2148:
	s_or_b64 exec, exec, s[4:5]
	v_lshrrev_b32_e32 v2, 24, v2
	s_movk_i32 s4, 0x80
	v_and_or_b32 v2, v2, s4, v3
	global_store_byte v[0:1], v2, off
.LBB529_2149:
	s_mov_b64 s[4:5], 0
.LBB529_2150:
	s_andn2_b64 vcc, exec, s[4:5]
	s_cbranch_vccnz .LBB529_2160
; %bb.2151:
	v_cvt_f32_f16_e32 v2, v9
	s_mov_b32 s4, 0x47800000
                                        ; implicit-def: $vgpr3
	v_and_b32_e32 v4, 0x7fffffff, v2
	v_cmp_gt_u32_e32 vcc, s4, v4
	s_and_saveexec_b64 s[4:5], vcc
	s_xor_b64 s[4:5], exec, s[4:5]
	s_cbranch_execz .LBB529_2157
; %bb.2152:
	s_mov_b32 s6, 0x387fffff
	v_cmp_lt_u32_e32 vcc, s6, v4
                                        ; implicit-def: $vgpr3
	s_and_saveexec_b64 s[6:7], vcc
	s_xor_b64 s[6:7], exec, s[6:7]
; %bb.2153:
	v_bfe_u32 v3, v2, 21, 1
	s_mov_b32 s8, 0x80fffff
	v_add3_u32 v3, v2, v3, s8
	v_lshrrev_b32_e32 v3, 21, v3
; %bb.2154:
	s_andn2_saveexec_b64 s[6:7], s[6:7]
; %bb.2155:
	s_mov_b32 s8, 0x43000000
	v_add_f32_e64 v3, |v2|, s8
; %bb.2156:
	s_or_b64 exec, exec, s[6:7]
                                        ; implicit-def: $vgpr4
.LBB529_2157:
	s_andn2_saveexec_b64 s[4:5], s[4:5]
; %bb.2158:
	s_mov_b32 s6, 0x7f800000
	v_mov_b32_e32 v3, 0x7c
	v_mov_b32_e32 v5, 0x7f
	v_cmp_lt_u32_e32 vcc, s6, v4
	s_nop 1
	v_cndmask_b32_e32 v3, v3, v5, vcc
; %bb.2159:
	s_or_b64 exec, exec, s[4:5]
	v_lshrrev_b32_e32 v2, 24, v2
	s_movk_i32 s4, 0x80
	v_and_or_b32 v2, v2, s4, v3
	global_store_byte v[0:1], v2, off
.LBB529_2160:
	s_mov_b64 s[4:5], 0
.LBB529_2161:
	s_andn2_b64 vcc, exec, s[4:5]
	s_mov_b64 s[4:5], 0
	s_cbranch_vccnz .LBB529_2168
; %bb.2162:
	s_cmp_gt_i32 s12, 14
	s_mov_b64 s[6:7], -1
	s_cbranch_scc0 .LBB529_2166
; %bb.2163:
	s_cmp_eq_u32 s12, 15
	s_mov_b64 s[0:1], -1
	s_cbranch_scc0 .LBB529_2165
; %bb.2164:
	v_cvt_f32_f16_e32 v2, v9
	s_movk_i32 s0, 0x7fff
	v_cmp_o_f16_e32 vcc, v9, v9
	v_mov_b32_e32 v3, 0x7fc0
	v_bfe_u32 v4, v2, 16, 1
	v_add3_u32 v2, v2, v4, s0
	v_cndmask_b32_sdwa v2, v3, v2, vcc dst_sel:DWORD dst_unused:UNUSED_PAD src0_sel:DWORD src1_sel:WORD_1
	global_store_short v[0:1], v2, off
	s_mov_b64 s[0:1], 0
.LBB529_2165:
	s_mov_b64 s[6:7], 0
.LBB529_2166:
	s_and_b64 vcc, exec, s[6:7]
	s_cbranch_vccz .LBB529_2168
; %bb.2167:
	s_cmp_lg_u32 s12, 11
	s_mov_b64 s[4:5], -1
	s_cselect_b64 s[0:1], -1, 0
.LBB529_2168:
	s_and_b64 vcc, exec, s[0:1]
	s_cbranch_vccnz .LBB529_2190
.LBB529_2169:
	s_mov_b64 s[0:1], 0
	s_branch .LBB529_1771
.LBB529_2170:
	s_mov_b64 s[0:1], 0
                                        ; implicit-def: $vgpr0_vgpr1
                                        ; implicit-def: $sgpr14
	s_branch .LBB529_1770
.LBB529_2171:
	s_mov_b64 s[4:5], 0
	s_mov_b64 s[0:1], -1
	s_branch .LBB529_1771
.LBB529_2172:
	s_trap 2
	s_or_b64 s[2:3], s[2:3], exec
	s_cbranch_execz .LBB529_1635
	s_branch .LBB529_1636
.LBB529_2173:
	s_andn2_saveexec_b64 s[12:13], s[12:13]
	s_cbranch_execz .LBB529_1719
.LBB529_2174:
	s_mov_b32 s16, 0x46000000
	v_add_f32_e64 v8, |v5|, s16
	v_and_b32_e32 v8, 0xff, v8
	v_cmp_ne_u32_e32 vcc, 0, v8
	s_andn2_b64 s[10:11], s[10:11], exec
	s_and_b64 s[16:17], vcc, exec
	s_or_b64 s[10:11], s[10:11], s[16:17]
	s_or_b64 exec, exec, s[12:13]
	v_mov_b32_e32 v11, 0
	s_and_saveexec_b64 s[12:13], s[10:11]
	s_cbranch_execnz .LBB529_1720
	s_branch .LBB529_1721
.LBB529_2175:
	s_trap 2
	s_or_b64 s[2:3], s[2:3], exec
	s_cbranch_execz .LBB529_1767
	s_branch .LBB529_1768
.LBB529_2176:
	s_andn2_saveexec_b64 s[10:11], s[10:11]
	s_cbranch_execz .LBB529_1732
.LBB529_2177:
	s_mov_b32 s12, 0x42800000
	v_add_f32_e64 v8, |v5|, s12
	v_and_b32_e32 v8, 0xff, v8
	v_cmp_ne_u32_e32 vcc, 0, v8
	s_andn2_b64 s[8:9], s[8:9], exec
	s_and_b64 s[12:13], vcc, exec
	s_or_b64 s[8:9], s[8:9], s[12:13]
	s_or_b64 exec, exec, s[10:11]
	v_mov_b32_e32 v11, 0
	s_and_saveexec_b64 s[10:11], s[8:9]
	s_cbranch_execnz .LBB529_1733
	s_branch .LBB529_1734
.LBB529_2178:
	s_andn2_saveexec_b64 s[12:13], s[12:13]
	s_cbranch_execz .LBB529_1884
.LBB529_2179:
	s_mov_b32 s16, 0x46000000
	v_add_f32_e64 v6, |v1|, s16
	v_and_b32_e32 v6, 0xff, v6
	v_cmp_ne_u32_e32 vcc, 0, v6
	s_andn2_b64 s[10:11], s[10:11], exec
	s_and_b64 s[16:17], vcc, exec
	s_or_b64 s[10:11], s[10:11], s[16:17]
	s_or_b64 exec, exec, s[12:13]
	v_mov_b32_e32 v7, 0
	s_and_saveexec_b64 s[12:13], s[10:11]
	s_cbranch_execnz .LBB529_1885
	s_branch .LBB529_1886
.LBB529_2180:
	s_trap 2
	s_or_b64 s[2:3], s[2:3], exec
	s_cbranch_execz .LBB529_1932
	s_branch .LBB529_1933
.LBB529_2181:
	s_andn2_saveexec_b64 s[10:11], s[10:11]
	s_cbranch_execz .LBB529_1897
.LBB529_2182:
	s_mov_b32 s12, 0x42800000
	v_add_f32_e64 v6, |v1|, s12
	v_and_b32_e32 v6, 0xff, v6
	v_cmp_ne_u32_e32 vcc, 0, v6
	s_andn2_b64 s[8:9], s[8:9], exec
	s_and_b64 s[12:13], vcc, exec
	s_or_b64 s[8:9], s[8:9], s[12:13]
	s_or_b64 exec, exec, s[10:11]
	v_mov_b32_e32 v7, 0
	s_and_saveexec_b64 s[10:11], s[8:9]
	s_cbranch_execnz .LBB529_1898
	s_branch .LBB529_1899
.LBB529_2183:
	s_andn2_saveexec_b64 s[12:13], s[12:13]
	s_cbranch_execz .LBB529_2003
.LBB529_2184:
	s_mov_b32 s16, 0x46000000
	v_add_f32_e64 v4, |v1|, s16
	v_and_b32_e32 v4, 0xff, v4
	v_cmp_ne_u32_e32 vcc, 0, v4
	s_andn2_b64 s[10:11], s[10:11], exec
	s_and_b64 s[16:17], vcc, exec
	s_or_b64 s[10:11], s[10:11], s[16:17]
	s_or_b64 exec, exec, s[12:13]
	v_mov_b32_e32 v5, 0
	s_and_saveexec_b64 s[12:13], s[10:11]
	s_cbranch_execnz .LBB529_2004
	s_branch .LBB529_2005
.LBB529_2185:
	s_trap 2
	s_or_b64 s[2:3], s[2:3], exec
	s_cbranch_execz .LBB529_2051
	s_branch .LBB529_2052
.LBB529_2186:
	s_andn2_saveexec_b64 s[10:11], s[10:11]
	s_cbranch_execz .LBB529_2016
.LBB529_2187:
	s_mov_b32 s12, 0x42800000
	v_add_f32_e64 v4, |v1|, s12
	v_and_b32_e32 v4, 0xff, v4
	v_cmp_ne_u32_e32 vcc, 0, v4
	s_andn2_b64 s[8:9], s[8:9], exec
	s_and_b64 s[12:13], vcc, exec
	s_or_b64 s[8:9], s[8:9], s[12:13]
	s_or_b64 exec, exec, s[10:11]
	v_mov_b32_e32 v5, 0
	s_and_saveexec_b64 s[10:11], s[8:9]
	s_cbranch_execnz .LBB529_2017
	s_branch .LBB529_2018
.LBB529_2188:
	s_andn2_saveexec_b64 s[10:11], s[10:11]
	s_cbranch_execz .LBB529_2123
.LBB529_2189:
	s_mov_b32 s13, 0x46000000
	v_add_f32_e64 v3, |v2|, s13
	v_and_b32_e32 v3, 0xff, v3
	v_cmp_ne_u32_e32 vcc, 0, v3
	s_andn2_b64 s[8:9], s[8:9], exec
	s_and_b64 s[16:17], vcc, exec
	s_or_b64 s[8:9], s[8:9], s[16:17]
	s_or_b64 exec, exec, s[10:11]
	v_mov_b32_e32 v4, 0
	s_and_saveexec_b64 s[10:11], s[8:9]
	s_cbranch_execnz .LBB529_2124
	s_branch .LBB529_2125
.LBB529_2190:
	s_mov_b64 s[4:5], 0
	s_or_b64 s[2:3], s[2:3], exec
	s_trap 2
	s_branch .LBB529_2169
.LBB529_2191:
	s_andn2_saveexec_b64 s[8:9], s[8:9]
	s_cbranch_execz .LBB529_2135
.LBB529_2192:
	s_mov_b32 s10, 0x42800000
	v_add_f32_e64 v3, |v2|, s10
	v_and_b32_e32 v3, 0xff, v3
	v_cmp_ne_u32_e32 vcc, 0, v3
	s_andn2_b64 s[6:7], s[6:7], exec
	s_and_b64 s[10:11], vcc, exec
	s_or_b64 s[6:7], s[6:7], s[10:11]
	s_or_b64 exec, exec, s[8:9]
	v_mov_b32_e32 v4, 0
	s_and_saveexec_b64 s[8:9], s[6:7]
	s_cbranch_execnz .LBB529_2136
	s_branch .LBB529_2137
	.section	.rodata,"a",@progbits
	.p2align	6, 0x0
	.amdhsa_kernel _ZN2at6native32elementwise_kernel_manual_unrollILi128ELi4EZNS0_15gpu_kernel_implIZZZNS0_22nan_to_num_kernel_cudaERNS_18TensorIteratorBaseESt8optionalIdES6_S6_ENKUlvE0_clEvENKUlvE1_clEvEUlN3c104HalfEE_EEvS4_RKT_EUlibE0_EEviT1_
		.amdhsa_group_segment_fixed_size 0
		.amdhsa_private_segment_fixed_size 0
		.amdhsa_kernarg_size 360
		.amdhsa_user_sgpr_count 2
		.amdhsa_user_sgpr_dispatch_ptr 0
		.amdhsa_user_sgpr_queue_ptr 0
		.amdhsa_user_sgpr_kernarg_segment_ptr 1
		.amdhsa_user_sgpr_dispatch_id 0
		.amdhsa_user_sgpr_kernarg_preload_length 0
		.amdhsa_user_sgpr_kernarg_preload_offset 0
		.amdhsa_user_sgpr_private_segment_size 0
		.amdhsa_uses_dynamic_stack 0
		.amdhsa_enable_private_segment 0
		.amdhsa_system_sgpr_workgroup_id_x 1
		.amdhsa_system_sgpr_workgroup_id_y 0
		.amdhsa_system_sgpr_workgroup_id_z 0
		.amdhsa_system_sgpr_workgroup_info 0
		.amdhsa_system_vgpr_workitem_id 0
		.amdhsa_next_free_vgpr 18
		.amdhsa_next_free_sgpr 81
		.amdhsa_accum_offset 20
		.amdhsa_reserve_vcc 1
		.amdhsa_float_round_mode_32 0
		.amdhsa_float_round_mode_16_64 0
		.amdhsa_float_denorm_mode_32 3
		.amdhsa_float_denorm_mode_16_64 3
		.amdhsa_dx10_clamp 1
		.amdhsa_ieee_mode 1
		.amdhsa_fp16_overflow 0
		.amdhsa_tg_split 0
		.amdhsa_exception_fp_ieee_invalid_op 0
		.amdhsa_exception_fp_denorm_src 0
		.amdhsa_exception_fp_ieee_div_zero 0
		.amdhsa_exception_fp_ieee_overflow 0
		.amdhsa_exception_fp_ieee_underflow 0
		.amdhsa_exception_fp_ieee_inexact 0
		.amdhsa_exception_int_div_zero 0
	.end_amdhsa_kernel
	.section	.text._ZN2at6native32elementwise_kernel_manual_unrollILi128ELi4EZNS0_15gpu_kernel_implIZZZNS0_22nan_to_num_kernel_cudaERNS_18TensorIteratorBaseESt8optionalIdES6_S6_ENKUlvE0_clEvENKUlvE1_clEvEUlN3c104HalfEE_EEvS4_RKT_EUlibE0_EEviT1_,"axG",@progbits,_ZN2at6native32elementwise_kernel_manual_unrollILi128ELi4EZNS0_15gpu_kernel_implIZZZNS0_22nan_to_num_kernel_cudaERNS_18TensorIteratorBaseESt8optionalIdES6_S6_ENKUlvE0_clEvENKUlvE1_clEvEUlN3c104HalfEE_EEvS4_RKT_EUlibE0_EEviT1_,comdat
.Lfunc_end529:
	.size	_ZN2at6native32elementwise_kernel_manual_unrollILi128ELi4EZNS0_15gpu_kernel_implIZZZNS0_22nan_to_num_kernel_cudaERNS_18TensorIteratorBaseESt8optionalIdES6_S6_ENKUlvE0_clEvENKUlvE1_clEvEUlN3c104HalfEE_EEvS4_RKT_EUlibE0_EEviT1_, .Lfunc_end529-_ZN2at6native32elementwise_kernel_manual_unrollILi128ELi4EZNS0_15gpu_kernel_implIZZZNS0_22nan_to_num_kernel_cudaERNS_18TensorIteratorBaseESt8optionalIdES6_S6_ENKUlvE0_clEvENKUlvE1_clEvEUlN3c104HalfEE_EEvS4_RKT_EUlibE0_EEviT1_
                                        ; -- End function
	.set _ZN2at6native32elementwise_kernel_manual_unrollILi128ELi4EZNS0_15gpu_kernel_implIZZZNS0_22nan_to_num_kernel_cudaERNS_18TensorIteratorBaseESt8optionalIdES6_S6_ENKUlvE0_clEvENKUlvE1_clEvEUlN3c104HalfEE_EEvS4_RKT_EUlibE0_EEviT1_.num_vgpr, 18
	.set _ZN2at6native32elementwise_kernel_manual_unrollILi128ELi4EZNS0_15gpu_kernel_implIZZZNS0_22nan_to_num_kernel_cudaERNS_18TensorIteratorBaseESt8optionalIdES6_S6_ENKUlvE0_clEvENKUlvE1_clEvEUlN3c104HalfEE_EEvS4_RKT_EUlibE0_EEviT1_.num_agpr, 0
	.set _ZN2at6native32elementwise_kernel_manual_unrollILi128ELi4EZNS0_15gpu_kernel_implIZZZNS0_22nan_to_num_kernel_cudaERNS_18TensorIteratorBaseESt8optionalIdES6_S6_ENKUlvE0_clEvENKUlvE1_clEvEUlN3c104HalfEE_EEvS4_RKT_EUlibE0_EEviT1_.numbered_sgpr, 81
	.set _ZN2at6native32elementwise_kernel_manual_unrollILi128ELi4EZNS0_15gpu_kernel_implIZZZNS0_22nan_to_num_kernel_cudaERNS_18TensorIteratorBaseESt8optionalIdES6_S6_ENKUlvE0_clEvENKUlvE1_clEvEUlN3c104HalfEE_EEvS4_RKT_EUlibE0_EEviT1_.num_named_barrier, 0
	.set _ZN2at6native32elementwise_kernel_manual_unrollILi128ELi4EZNS0_15gpu_kernel_implIZZZNS0_22nan_to_num_kernel_cudaERNS_18TensorIteratorBaseESt8optionalIdES6_S6_ENKUlvE0_clEvENKUlvE1_clEvEUlN3c104HalfEE_EEvS4_RKT_EUlibE0_EEviT1_.private_seg_size, 0
	.set _ZN2at6native32elementwise_kernel_manual_unrollILi128ELi4EZNS0_15gpu_kernel_implIZZZNS0_22nan_to_num_kernel_cudaERNS_18TensorIteratorBaseESt8optionalIdES6_S6_ENKUlvE0_clEvENKUlvE1_clEvEUlN3c104HalfEE_EEvS4_RKT_EUlibE0_EEviT1_.uses_vcc, 1
	.set _ZN2at6native32elementwise_kernel_manual_unrollILi128ELi4EZNS0_15gpu_kernel_implIZZZNS0_22nan_to_num_kernel_cudaERNS_18TensorIteratorBaseESt8optionalIdES6_S6_ENKUlvE0_clEvENKUlvE1_clEvEUlN3c104HalfEE_EEvS4_RKT_EUlibE0_EEviT1_.uses_flat_scratch, 0
	.set _ZN2at6native32elementwise_kernel_manual_unrollILi128ELi4EZNS0_15gpu_kernel_implIZZZNS0_22nan_to_num_kernel_cudaERNS_18TensorIteratorBaseESt8optionalIdES6_S6_ENKUlvE0_clEvENKUlvE1_clEvEUlN3c104HalfEE_EEvS4_RKT_EUlibE0_EEviT1_.has_dyn_sized_stack, 0
	.set _ZN2at6native32elementwise_kernel_manual_unrollILi128ELi4EZNS0_15gpu_kernel_implIZZZNS0_22nan_to_num_kernel_cudaERNS_18TensorIteratorBaseESt8optionalIdES6_S6_ENKUlvE0_clEvENKUlvE1_clEvEUlN3c104HalfEE_EEvS4_RKT_EUlibE0_EEviT1_.has_recursion, 0
	.set _ZN2at6native32elementwise_kernel_manual_unrollILi128ELi4EZNS0_15gpu_kernel_implIZZZNS0_22nan_to_num_kernel_cudaERNS_18TensorIteratorBaseESt8optionalIdES6_S6_ENKUlvE0_clEvENKUlvE1_clEvEUlN3c104HalfEE_EEvS4_RKT_EUlibE0_EEviT1_.has_indirect_call, 0
	.section	.AMDGPU.csdata,"",@progbits
; Kernel info:
; codeLenInByte = 42268
; TotalNumSgprs: 87
; NumVgprs: 18
; NumAgprs: 0
; TotalNumVgprs: 18
; ScratchSize: 0
; MemoryBound: 0
; FloatMode: 240
; IeeeMode: 1
; LDSByteSize: 0 bytes/workgroup (compile time only)
; SGPRBlocks: 10
; VGPRBlocks: 2
; NumSGPRsForWavesPerEU: 87
; NumVGPRsForWavesPerEU: 18
; AccumOffset: 20
; Occupancy: 8
; WaveLimiterHint : 1
; COMPUTE_PGM_RSRC2:SCRATCH_EN: 0
; COMPUTE_PGM_RSRC2:USER_SGPR: 2
; COMPUTE_PGM_RSRC2:TRAP_HANDLER: 0
; COMPUTE_PGM_RSRC2:TGID_X_EN: 1
; COMPUTE_PGM_RSRC2:TGID_Y_EN: 0
; COMPUTE_PGM_RSRC2:TGID_Z_EN: 0
; COMPUTE_PGM_RSRC2:TIDIG_COMP_CNT: 0
; COMPUTE_PGM_RSRC3_GFX90A:ACCUM_OFFSET: 4
; COMPUTE_PGM_RSRC3_GFX90A:TG_SPLIT: 0
	.section	.text._ZN2at6native29vectorized_elementwise_kernelILi16EZZZNS0_22nan_to_num_kernel_cudaERNS_18TensorIteratorBaseESt8optionalIdES5_S5_ENKUlvE0_clEvENKUlvE2_clEvEUlN3c108BFloat16EE_St5arrayIPcLm2EEEEviT0_T1_,"axG",@progbits,_ZN2at6native29vectorized_elementwise_kernelILi16EZZZNS0_22nan_to_num_kernel_cudaERNS_18TensorIteratorBaseESt8optionalIdES5_S5_ENKUlvE0_clEvENKUlvE2_clEvEUlN3c108BFloat16EE_St5arrayIPcLm2EEEEviT0_T1_,comdat
	.globl	_ZN2at6native29vectorized_elementwise_kernelILi16EZZZNS0_22nan_to_num_kernel_cudaERNS_18TensorIteratorBaseESt8optionalIdES5_S5_ENKUlvE0_clEvENKUlvE2_clEvEUlN3c108BFloat16EE_St5arrayIPcLm2EEEEviT0_T1_ ; -- Begin function _ZN2at6native29vectorized_elementwise_kernelILi16EZZZNS0_22nan_to_num_kernel_cudaERNS_18TensorIteratorBaseESt8optionalIdES5_S5_ENKUlvE0_clEvENKUlvE2_clEvEUlN3c108BFloat16EE_St5arrayIPcLm2EEEEviT0_T1_
	.p2align	8
	.type	_ZN2at6native29vectorized_elementwise_kernelILi16EZZZNS0_22nan_to_num_kernel_cudaERNS_18TensorIteratorBaseESt8optionalIdES5_S5_ENKUlvE0_clEvENKUlvE2_clEvEUlN3c108BFloat16EE_St5arrayIPcLm2EEEEviT0_T1_,@function
_ZN2at6native29vectorized_elementwise_kernelILi16EZZZNS0_22nan_to_num_kernel_cudaERNS_18TensorIteratorBaseESt8optionalIdES5_S5_ENKUlvE0_clEvENKUlvE2_clEvEUlN3c108BFloat16EE_St5arrayIPcLm2EEEEviT0_T1_: ; @_ZN2at6native29vectorized_elementwise_kernelILi16EZZZNS0_22nan_to_num_kernel_cudaERNS_18TensorIteratorBaseESt8optionalIdES5_S5_ENKUlvE0_clEvENKUlvE2_clEvEUlN3c108BFloat16EE_St5arrayIPcLm2EEEEviT0_T1_
; %bb.0:
	s_load_dwordx2 s[8:9], s[0:1], 0x0
	s_load_dword s15, s[0:1], 0x8
	s_load_dwordx4 s[4:7], s[0:1], 0x10
	s_lshl_b32 s2, s2, 11
	s_mov_b64 s[0:1], -1
	s_waitcnt lgkmcnt(0)
	s_sub_i32 s14, s8, s2
	s_cmpk_gt_i32 s14, 0x7ff
	s_cbranch_scc0 .LBB530_34
; %bb.1:
	s_ashr_i32 s3, s2, 31
	s_lshr_b32 s8, s9, 16
	s_lshl_b64 s[0:1], s[2:3], 1
	s_add_u32 s10, s6, s0
	s_addc_u32 s11, s7, s1
	v_lshlrev_b32_e32 v1, 4, v0
	global_load_dwordx4 v[2:5], v1, s[10:11]
	v_mov_b32_e32 v6, s9
	s_waitcnt vmcnt(0)
	v_lshlrev_b32_e32 v7, 16, v2
	v_cmp_o_f32_e32 vcc, v7, v7
	s_and_saveexec_b64 s[10:11], vcc
	s_cbranch_execz .LBB530_5
; %bb.2:
	s_mov_b32 s3, 0x7f800000
	v_cmp_neq_f32_e32 vcc, s3, v7
	v_mov_b32_e32 v6, s8
	s_and_saveexec_b64 s[12:13], vcc
; %bb.3:
	s_mov_b32 s3, 0xff800000
	v_mov_b32_e32 v6, s15
	v_cmp_eq_f32_e32 vcc, s3, v7
	s_nop 1
	v_cndmask_b32_e32 v6, v2, v6, vcc
; %bb.4:
	s_or_b64 exec, exec, s[12:13]
.LBB530_5:
	s_or_b64 exec, exec, s[10:11]
	v_and_b32_e32 v8, 0xffff0000, v2
	v_cmp_o_f32_e32 vcc, v8, v8
	v_mov_b32_e32 v7, s9
	s_and_saveexec_b64 s[10:11], vcc
	s_cbranch_execz .LBB530_9
; %bb.6:
	s_mov_b32 s3, 0x7f800000
	v_cmp_neq_f32_e32 vcc, s3, v8
	v_mov_b32_e32 v7, s8
	s_and_saveexec_b64 s[12:13], vcc
; %bb.7:
	s_mov_b32 s3, 0xff800000
	v_cmp_eq_f32_e32 vcc, s3, v8
	v_mov_b32_e32 v7, s15
	s_nop 0
	v_cndmask_b32_sdwa v7, v2, v7, vcc dst_sel:DWORD dst_unused:UNUSED_PAD src0_sel:WORD_1 src1_sel:DWORD
; %bb.8:
	s_or_b64 exec, exec, s[12:13]
.LBB530_9:
	s_or_b64 exec, exec, s[10:11]
	v_lshlrev_b32_e32 v8, 16, v3
	v_cmp_o_f32_e32 vcc, v8, v8
	v_mov_b32_e32 v2, s9
	s_and_saveexec_b64 s[10:11], vcc
	s_cbranch_execz .LBB530_13
; %bb.10:
	s_mov_b32 s3, 0x7f800000
	v_cmp_neq_f32_e32 vcc, s3, v8
	v_mov_b32_e32 v2, s8
	s_and_saveexec_b64 s[12:13], vcc
; %bb.11:
	s_mov_b32 s3, 0xff800000
	v_cmp_eq_f32_e32 vcc, s3, v8
	v_mov_b32_e32 v2, s15
	s_nop 0
	v_cndmask_b32_sdwa v2, v3, v2, vcc dst_sel:DWORD dst_unused:UNUSED_PAD src0_sel:WORD_0 src1_sel:DWORD
; %bb.12:
	s_or_b64 exec, exec, s[12:13]
.LBB530_13:
	s_or_b64 exec, exec, s[10:11]
	v_and_b32_e32 v9, 0xffff0000, v3
	v_cmp_o_f32_e32 vcc, v9, v9
	v_mov_b32_e32 v8, s9
	s_and_saveexec_b64 s[10:11], vcc
	s_cbranch_execz .LBB530_17
; %bb.14:
	s_mov_b32 s3, 0x7f800000
	v_cmp_neq_f32_e32 vcc, s3, v9
	v_mov_b32_e32 v8, s8
	s_and_saveexec_b64 s[12:13], vcc
; %bb.15:
	s_mov_b32 s3, 0xff800000
	v_cmp_eq_f32_e32 vcc, s3, v9
	v_mov_b32_e32 v8, s15
	s_nop 0
	v_cndmask_b32_sdwa v8, v3, v8, vcc dst_sel:DWORD dst_unused:UNUSED_PAD src0_sel:WORD_1 src1_sel:DWORD
; %bb.16:
	s_or_b64 exec, exec, s[12:13]
.LBB530_17:
	s_or_b64 exec, exec, s[10:11]
	v_lshlrev_b32_e32 v9, 16, v4
	v_cmp_o_f32_e32 vcc, v9, v9
	v_mov_b32_e32 v3, s9
	s_and_saveexec_b64 s[10:11], vcc
	s_cbranch_execz .LBB530_21
; %bb.18:
	s_mov_b32 s3, 0x7f800000
	v_cmp_neq_f32_e32 vcc, s3, v9
	v_mov_b32_e32 v3, s8
	s_and_saveexec_b64 s[12:13], vcc
; %bb.19:
	s_mov_b32 s3, 0xff800000
	v_cmp_eq_f32_e32 vcc, s3, v9
	v_mov_b32_e32 v3, s15
	s_nop 0
	v_cndmask_b32_sdwa v3, v4, v3, vcc dst_sel:DWORD dst_unused:UNUSED_PAD src0_sel:WORD_0 src1_sel:DWORD
; %bb.20:
	s_or_b64 exec, exec, s[12:13]
.LBB530_21:
	;; [unrolled: 40-line block ×3, first 2 shown]
	s_or_b64 exec, exec, s[10:11]
	v_and_b32_e32 v11, 0xffff0000, v5
	v_cmp_o_f32_e32 vcc, v11, v11
	v_mov_b32_e32 v10, s9
	s_and_saveexec_b64 s[10:11], vcc
	s_cbranch_execz .LBB530_33
; %bb.30:
	s_mov_b32 s3, 0x7f800000
	v_cmp_neq_f32_e32 vcc, s3, v11
	v_mov_b32_e32 v10, s8
	s_and_saveexec_b64 s[12:13], vcc
; %bb.31:
	s_mov_b32 s3, 0xff800000
	v_cmp_eq_f32_e32 vcc, s3, v11
	v_mov_b32_e32 v10, s15
	s_nop 0
	v_cndmask_b32_sdwa v10, v5, v10, vcc dst_sel:DWORD dst_unused:UNUSED_PAD src0_sel:WORD_1 src1_sel:DWORD
; %bb.32:
	s_or_b64 exec, exec, s[12:13]
.LBB530_33:
	s_or_b64 exec, exec, s[10:11]
	s_add_u32 s0, s4, s0
	s_mov_b32 s3, 0x5040100
	s_addc_u32 s1, s5, s1
	v_perm_b32 v5, v10, v4, s3
	v_perm_b32 v4, v9, v3, s3
	;; [unrolled: 1-line block ×4, first 2 shown]
	global_store_dwordx4 v1, v[2:5], s[0:1]
	s_mov_b64 s[0:1], 0
.LBB530_34:
	s_and_b64 vcc, exec, s[0:1]
	s_cbranch_vccz .LBB530_107
; %bb.35:
	v_cmp_gt_i32_e32 vcc, s14, v0
	v_mov_b32_e32 v8, 0
	v_or_b32_e32 v2, s2, v0
	v_mov_b32_e32 v6, 0
	v_mov_b32_e32 v4, v0
	s_and_saveexec_b64 s[0:1], vcc
	s_cbranch_execz .LBB530_37
; %bb.36:
	v_mov_b32_e32 v3, 0
	v_lshl_add_u64 v[4:5], v[2:3], 1, s[6:7]
	global_load_ushort v6, v[4:5], off
	v_or_b32_e32 v4, 0x100, v0
.LBB530_37:
	s_or_b64 exec, exec, s[0:1]
	v_cmp_gt_i32_e64 s[0:1], s14, v4
	s_and_saveexec_b64 s[10:11], s[0:1]
	s_cbranch_execz .LBB530_39
; %bb.38:
	v_add_u32_e32 v8, s2, v4
	v_mov_b32_e32 v9, 0
	v_lshl_add_u64 v[8:9], v[8:9], 1, s[6:7]
	global_load_ushort v8, v[8:9], off
	v_add_u32_e32 v4, 0x100, v4
.LBB530_39:
	s_or_b64 exec, exec, s[10:11]
	v_cmp_gt_i32_e64 s[0:1], s14, v4
	v_mov_b32_e32 v9, 0
	v_mov_b32_e32 v11, 0
	s_and_saveexec_b64 s[10:11], s[0:1]
	s_cbranch_execz .LBB530_41
; %bb.40:
	v_add_u32_e32 v10, s2, v4
	v_mov_b32_e32 v11, 0
	v_lshl_add_u64 v[10:11], v[10:11], 1, s[6:7]
	global_load_ushort v11, v[10:11], off
	v_add_u32_e32 v4, 0x100, v4
.LBB530_41:
	s_or_b64 exec, exec, s[10:11]
	v_cmp_gt_i32_e64 s[0:1], s14, v4
	s_and_saveexec_b64 s[10:11], s[0:1]
	s_cbranch_execz .LBB530_43
; %bb.42:
	v_add_u32_e32 v12, s2, v4
	v_mov_b32_e32 v13, 0
	v_lshl_add_u64 v[12:13], v[12:13], 1, s[6:7]
	global_load_ushort v9, v[12:13], off
	v_add_u32_e32 v4, 0x100, v4
.LBB530_43:
	s_or_b64 exec, exec, s[10:11]
	v_cmp_gt_i32_e64 s[0:1], s14, v4
	v_mov_b32_e32 v3, 0
	v_mov_b32_e32 v10, 0
	s_and_saveexec_b64 s[10:11], s[0:1]
	s_cbranch_execz .LBB530_45
; %bb.44:
	v_add_u32_e32 v12, s2, v4
	v_mov_b32_e32 v13, 0
	v_lshl_add_u64 v[12:13], v[12:13], 1, s[6:7]
	global_load_ushort v10, v[12:13], off
	v_add_u32_e32 v4, 0x100, v4
.LBB530_45:
	s_or_b64 exec, exec, s[10:11]
	v_cmp_gt_i32_e64 s[0:1], s14, v4
	s_and_saveexec_b64 s[10:11], s[0:1]
	s_cbranch_execz .LBB530_47
; %bb.46:
	v_add_u32_e32 v12, s2, v4
	v_mov_b32_e32 v13, 0
	v_lshl_add_u64 v[12:13], v[12:13], 1, s[6:7]
	global_load_ushort v3, v[12:13], off
	v_add_u32_e32 v4, 0x100, v4
.LBB530_47:
	s_or_b64 exec, exec, s[10:11]
	v_cmp_gt_i32_e64 s[0:1], s14, v4
	v_mov_b32_e32 v1, 0
	v_mov_b32_e32 v5, 0
	s_and_saveexec_b64 s[10:11], s[0:1]
	s_cbranch_execz .LBB530_49
; %bb.48:
	v_add_u32_e32 v12, s2, v4
	v_mov_b32_e32 v13, 0
	v_lshl_add_u64 v[12:13], v[12:13], 1, s[6:7]
	global_load_ushort v5, v[12:13], off
	v_add_u32_e32 v4, 0x100, v4
	s_or_b64 exec, exec, s[10:11]
	v_cmp_gt_i32_e64 s[0:1], s14, v4
	s_and_saveexec_b64 s[10:11], s[0:1]
	s_cbranch_execz .LBB530_51
	s_branch .LBB530_50
.LBB530_49:
	s_or_b64 exec, exec, s[10:11]
	v_cmp_gt_i32_e64 s[0:1], s14, v4
	s_and_saveexec_b64 s[10:11], s[0:1]
	s_cbranch_execz .LBB530_51
.LBB530_50:
	v_add_u32_e32 v12, s2, v4
	v_mov_b32_e32 v13, 0
	v_lshl_add_u64 v[12:13], v[12:13], 1, s[6:7]
	global_load_ushort v1, v[12:13], off
.LBB530_51:
	s_or_b64 exec, exec, s[10:11]
	s_lshr_b32 s3, s9, 16
                                        ; implicit-def: $vgpr4
	s_and_saveexec_b64 s[6:7], vcc
	s_cbranch_execz .LBB530_57
; %bb.52:
	s_waitcnt vmcnt(0)
	v_lshlrev_b32_e32 v7, 16, v6
	v_cmp_o_f32_e64 s[0:1], v7, v7
	v_mov_b32_e32 v4, s9
	s_and_saveexec_b64 s[10:11], s[0:1]
	s_cbranch_execz .LBB530_56
; %bb.53:
	s_mov_b32 s0, 0x7f800000
	v_cmp_neq_f32_e64 s[0:1], s0, v7
	v_mov_b32_e32 v4, s3
	s_and_saveexec_b64 s[12:13], s[0:1]
; %bb.54:
	s_mov_b32 s0, 0xff800000
	v_mov_b32_e32 v4, s15
	v_cmp_eq_f32_e64 s[0:1], s0, v7
	s_nop 1
	v_cndmask_b32_e64 v4, v6, v4, s[0:1]
; %bb.55:
	s_or_b64 exec, exec, s[12:13]
.LBB530_56:
	s_or_b64 exec, exec, s[10:11]
.LBB530_57:
	s_or_b64 exec, exec, s[6:7]
	v_or_b32_e32 v7, 0x100, v0
	v_cmp_gt_i32_e64 s[0:1], s14, v7
                                        ; implicit-def: $vgpr6
	s_and_saveexec_b64 s[6:7], s[0:1]
	s_cbranch_execz .LBB530_63
; %bb.58:
	s_waitcnt vmcnt(0)
	v_lshlrev_b32_e32 v12, 16, v8
	v_cmp_o_f32_e64 s[0:1], v12, v12
	v_mov_b32_e32 v6, s9
	s_and_saveexec_b64 s[10:11], s[0:1]
	s_cbranch_execz .LBB530_62
; %bb.59:
	s_mov_b32 s0, 0x7f800000
	v_cmp_neq_f32_e64 s[0:1], s0, v12
	v_mov_b32_e32 v6, s3
	s_and_saveexec_b64 s[12:13], s[0:1]
; %bb.60:
	s_mov_b32 s0, 0xff800000
	v_mov_b32_e32 v6, s15
	v_cmp_eq_f32_e64 s[0:1], s0, v12
	s_nop 1
	v_cndmask_b32_e64 v6, v8, v6, s[0:1]
; %bb.61:
	s_or_b64 exec, exec, s[12:13]
.LBB530_62:
	s_or_b64 exec, exec, s[10:11]
.LBB530_63:
	s_or_b64 exec, exec, s[6:7]
	s_waitcnt vmcnt(0)
	v_or_b32_e32 v8, 0x200, v0
	v_cmp_gt_i32_e64 s[0:1], s14, v8
                                        ; implicit-def: $vgpr8
	s_and_saveexec_b64 s[6:7], s[0:1]
	s_cbranch_execz .LBB530_69
; %bb.64:
	v_lshlrev_b32_e32 v12, 16, v11
	v_cmp_o_f32_e64 s[0:1], v12, v12
	v_mov_b32_e32 v8, s9
	s_and_saveexec_b64 s[10:11], s[0:1]
	s_cbranch_execz .LBB530_68
; %bb.65:
	s_mov_b32 s0, 0x7f800000
	v_cmp_neq_f32_e64 s[0:1], s0, v12
	v_mov_b32_e32 v8, s3
	s_and_saveexec_b64 s[12:13], s[0:1]
; %bb.66:
	s_mov_b32 s0, 0xff800000
	v_mov_b32_e32 v8, s15
	v_cmp_eq_f32_e64 s[0:1], s0, v12
	s_nop 1
	v_cndmask_b32_e64 v8, v11, v8, s[0:1]
; %bb.67:
	s_or_b64 exec, exec, s[12:13]
.LBB530_68:
	s_or_b64 exec, exec, s[10:11]
.LBB530_69:
	s_or_b64 exec, exec, s[6:7]
	v_or_b32_e32 v11, 0x300, v0
	v_cmp_gt_i32_e64 s[0:1], s14, v11
                                        ; implicit-def: $vgpr11
	s_and_saveexec_b64 s[6:7], s[0:1]
	s_cbranch_execz .LBB530_75
; %bb.70:
	v_lshlrev_b32_e32 v12, 16, v9
	v_cmp_o_f32_e64 s[0:1], v12, v12
	v_mov_b32_e32 v11, s9
	s_and_saveexec_b64 s[10:11], s[0:1]
	s_cbranch_execz .LBB530_74
; %bb.71:
	s_mov_b32 s0, 0x7f800000
	v_cmp_neq_f32_e64 s[0:1], s0, v12
	v_mov_b32_e32 v11, s3
	s_and_saveexec_b64 s[12:13], s[0:1]
; %bb.72:
	s_mov_b32 s0, 0xff800000
	v_mov_b32_e32 v11, s15
	v_cmp_eq_f32_e64 s[0:1], s0, v12
	s_nop 1
	v_cndmask_b32_e64 v11, v9, v11, s[0:1]
; %bb.73:
	s_or_b64 exec, exec, s[12:13]
.LBB530_74:
	s_or_b64 exec, exec, s[10:11]
.LBB530_75:
	s_or_b64 exec, exec, s[6:7]
	v_or_b32_e32 v9, 0x400, v0
	v_cmp_gt_i32_e64 s[0:1], s14, v9
                                        ; implicit-def: $vgpr9
	s_and_saveexec_b64 s[6:7], s[0:1]
	s_cbranch_execz .LBB530_81
; %bb.76:
	v_lshlrev_b32_e32 v12, 16, v10
	v_cmp_o_f32_e64 s[0:1], v12, v12
	v_mov_b32_e32 v9, s9
	s_and_saveexec_b64 s[10:11], s[0:1]
	s_cbranch_execz .LBB530_80
; %bb.77:
	s_mov_b32 s0, 0x7f800000
	v_cmp_neq_f32_e64 s[0:1], s0, v12
	v_mov_b32_e32 v9, s3
	s_and_saveexec_b64 s[12:13], s[0:1]
; %bb.78:
	s_mov_b32 s0, 0xff800000
	v_mov_b32_e32 v9, s15
	v_cmp_eq_f32_e64 s[0:1], s0, v12
	s_nop 1
	v_cndmask_b32_e64 v9, v10, v9, s[0:1]
; %bb.79:
	s_or_b64 exec, exec, s[12:13]
.LBB530_80:
	s_or_b64 exec, exec, s[10:11]
.LBB530_81:
	s_or_b64 exec, exec, s[6:7]
	v_or_b32_e32 v10, 0x500, v0
	v_cmp_gt_i32_e64 s[0:1], s14, v10
                                        ; implicit-def: $vgpr10
	s_and_saveexec_b64 s[6:7], s[0:1]
	s_cbranch_execz .LBB530_87
; %bb.82:
	v_lshlrev_b32_e32 v12, 16, v3
	v_cmp_o_f32_e64 s[0:1], v12, v12
	v_mov_b32_e32 v10, s9
	s_and_saveexec_b64 s[10:11], s[0:1]
	s_cbranch_execz .LBB530_86
; %bb.83:
	s_mov_b32 s0, 0x7f800000
	v_cmp_neq_f32_e64 s[0:1], s0, v12
	v_mov_b32_e32 v10, s3
	s_and_saveexec_b64 s[12:13], s[0:1]
; %bb.84:
	s_mov_b32 s0, 0xff800000
	v_mov_b32_e32 v10, s15
	v_cmp_eq_f32_e64 s[0:1], s0, v12
	s_nop 1
	v_cndmask_b32_e64 v10, v3, v10, s[0:1]
; %bb.85:
	s_or_b64 exec, exec, s[12:13]
.LBB530_86:
	s_or_b64 exec, exec, s[10:11]
.LBB530_87:
	s_or_b64 exec, exec, s[6:7]
	v_or_b32_e32 v3, 0x600, v0
	v_cmp_gt_i32_e64 s[0:1], s14, v3
                                        ; implicit-def: $vgpr12
	s_and_saveexec_b64 s[6:7], s[0:1]
	s_cbranch_execz .LBB530_93
; %bb.88:
	v_lshlrev_b32_e32 v3, 16, v5
	v_cmp_o_f32_e64 s[0:1], v3, v3
	v_mov_b32_e32 v12, s9
	s_and_saveexec_b64 s[10:11], s[0:1]
	s_cbranch_execz .LBB530_92
; %bb.89:
	s_mov_b32 s0, 0x7f800000
	v_cmp_neq_f32_e64 s[0:1], s0, v3
	v_mov_b32_e32 v12, s3
	s_and_saveexec_b64 s[12:13], s[0:1]
; %bb.90:
	s_mov_b32 s0, 0xff800000
	v_mov_b32_e32 v12, s15
	v_cmp_eq_f32_e64 s[0:1], s0, v3
	s_nop 1
	v_cndmask_b32_e64 v12, v5, v12, s[0:1]
; %bb.91:
	s_or_b64 exec, exec, s[12:13]
.LBB530_92:
	s_or_b64 exec, exec, s[10:11]
.LBB530_93:
	s_or_b64 exec, exec, s[6:7]
	v_or_b32_e32 v3, 0x700, v0
	v_cmp_gt_i32_e64 s[0:1], s14, v3
                                        ; implicit-def: $vgpr5
	s_and_saveexec_b64 s[6:7], s[0:1]
	s_cbranch_execz .LBB530_108
; %bb.94:
	v_lshlrev_b32_e32 v3, 16, v1
	v_cmp_o_f32_e64 s[0:1], v3, v3
	v_mov_b32_e32 v5, s9
	s_and_saveexec_b64 s[8:9], s[0:1]
	s_cbranch_execz .LBB530_98
; %bb.95:
	s_mov_b32 s0, 0x7f800000
	v_cmp_neq_f32_e64 s[0:1], s0, v3
	v_mov_b32_e32 v5, s3
	s_and_saveexec_b64 s[10:11], s[0:1]
; %bb.96:
	s_mov_b32 s0, 0xff800000
	v_mov_b32_e32 v5, s15
	v_cmp_eq_f32_e64 s[0:1], s0, v3
	s_nop 1
	v_cndmask_b32_e64 v5, v1, v5, s[0:1]
; %bb.97:
	s_or_b64 exec, exec, s[10:11]
.LBB530_98:
	s_or_b64 exec, exec, s[8:9]
	s_or_b64 exec, exec, s[6:7]
	s_and_saveexec_b64 s[0:1], vcc
	s_xor_b64 s[0:1], exec, s[0:1]
	s_cbranch_execnz .LBB530_109
.LBB530_99:
	s_or_b64 exec, exec, s[0:1]
	v_cmp_gt_i32_e32 vcc, s14, v0
	s_and_saveexec_b64 s[0:1], vcc
	s_cbranch_execz .LBB530_110
.LBB530_100:
	v_add_u32_e32 v2, s2, v0
	v_mov_b32_e32 v3, 0
	v_lshl_add_u64 v[2:3], v[2:3], 1, s[4:5]
	v_add_u32_e32 v0, 0x100, v0
	global_store_short v[2:3], v6, off
	s_or_b64 exec, exec, s[0:1]
	v_cmp_gt_i32_e32 vcc, s14, v0
	s_and_saveexec_b64 s[0:1], vcc
	s_cbranch_execnz .LBB530_111
.LBB530_101:
	s_or_b64 exec, exec, s[0:1]
	v_cmp_gt_i32_e32 vcc, s14, v0
	s_and_saveexec_b64 s[0:1], vcc
	s_cbranch_execz .LBB530_112
.LBB530_102:
	v_add_u32_e32 v2, s2, v0
	v_mov_b32_e32 v3, 0
	v_lshl_add_u64 v[2:3], v[2:3], 1, s[4:5]
	v_add_u32_e32 v0, 0x100, v0
	global_store_short v[2:3], v11, off
	s_or_b64 exec, exec, s[0:1]
	v_cmp_gt_i32_e32 vcc, s14, v0
	s_and_saveexec_b64 s[0:1], vcc
	s_cbranch_execnz .LBB530_113
.LBB530_103:
	s_or_b64 exec, exec, s[0:1]
	v_cmp_gt_i32_e32 vcc, s14, v0
	s_and_saveexec_b64 s[0:1], vcc
	s_cbranch_execz .LBB530_114
.LBB530_104:
	v_add_u32_e32 v2, s2, v0
	v_mov_b32_e32 v3, 0
	v_lshl_add_u64 v[2:3], v[2:3], 1, s[4:5]
	v_add_u32_e32 v0, 0x100, v0
	global_store_short v[2:3], v10, off
	s_or_b64 exec, exec, s[0:1]
	v_cmp_gt_i32_e32 vcc, s14, v0
	s_and_saveexec_b64 s[0:1], vcc
	s_cbranch_execnz .LBB530_115
.LBB530_105:
	s_or_b64 exec, exec, s[0:1]
	v_cmp_gt_i32_e32 vcc, s14, v0
	s_and_saveexec_b64 s[0:1], vcc
	s_cbranch_execz .LBB530_107
.LBB530_106:
	v_add_u32_e32 v0, s2, v0
	v_mov_b32_e32 v1, 0
	v_lshl_add_u64 v[0:1], v[0:1], 1, s[4:5]
	global_store_short v[0:1], v5, off
.LBB530_107:
	s_endpgm
.LBB530_108:
	s_or_b64 exec, exec, s[6:7]
	s_and_saveexec_b64 s[0:1], vcc
	s_xor_b64 s[0:1], exec, s[0:1]
	s_cbranch_execz .LBB530_99
.LBB530_109:
	v_mov_b32_e32 v3, 0
	v_lshl_add_u64 v[0:1], v[2:3], 1, s[4:5]
	global_store_short v[0:1], v4, off
	v_mov_b32_e32 v0, v7
	s_or_b64 exec, exec, s[0:1]
	v_cmp_gt_i32_e32 vcc, s14, v0
	s_and_saveexec_b64 s[0:1], vcc
	s_cbranch_execnz .LBB530_100
.LBB530_110:
	s_or_b64 exec, exec, s[0:1]
	v_cmp_gt_i32_e32 vcc, s14, v0
	s_and_saveexec_b64 s[0:1], vcc
	s_cbranch_execz .LBB530_101
.LBB530_111:
	v_add_u32_e32 v2, s2, v0
	v_mov_b32_e32 v3, 0
	v_lshl_add_u64 v[2:3], v[2:3], 1, s[4:5]
	v_add_u32_e32 v0, 0x100, v0
	global_store_short v[2:3], v8, off
	s_or_b64 exec, exec, s[0:1]
	v_cmp_gt_i32_e32 vcc, s14, v0
	s_and_saveexec_b64 s[0:1], vcc
	s_cbranch_execnz .LBB530_102
.LBB530_112:
	s_or_b64 exec, exec, s[0:1]
	v_cmp_gt_i32_e32 vcc, s14, v0
	s_and_saveexec_b64 s[0:1], vcc
	s_cbranch_execz .LBB530_103
.LBB530_113:
	v_add_u32_e32 v2, s2, v0
	v_mov_b32_e32 v3, 0
	v_lshl_add_u64 v[2:3], v[2:3], 1, s[4:5]
	v_add_u32_e32 v0, 0x100, v0
	global_store_short v[2:3], v9, off
	s_or_b64 exec, exec, s[0:1]
	v_cmp_gt_i32_e32 vcc, s14, v0
	s_and_saveexec_b64 s[0:1], vcc
	s_cbranch_execnz .LBB530_104
.LBB530_114:
	s_or_b64 exec, exec, s[0:1]
	v_cmp_gt_i32_e32 vcc, s14, v0
	s_and_saveexec_b64 s[0:1], vcc
	s_cbranch_execz .LBB530_105
.LBB530_115:
	v_add_u32_e32 v2, s2, v0
	v_mov_b32_e32 v3, 0
	v_lshl_add_u64 v[2:3], v[2:3], 1, s[4:5]
	v_add_u32_e32 v0, 0x100, v0
	global_store_short v[2:3], v12, off
	s_or_b64 exec, exec, s[0:1]
	v_cmp_gt_i32_e32 vcc, s14, v0
	s_and_saveexec_b64 s[0:1], vcc
	s_cbranch_execnz .LBB530_106
	s_branch .LBB530_107
	.section	.rodata,"a",@progbits
	.p2align	6, 0x0
	.amdhsa_kernel _ZN2at6native29vectorized_elementwise_kernelILi16EZZZNS0_22nan_to_num_kernel_cudaERNS_18TensorIteratorBaseESt8optionalIdES5_S5_ENKUlvE0_clEvENKUlvE2_clEvEUlN3c108BFloat16EE_St5arrayIPcLm2EEEEviT0_T1_
		.amdhsa_group_segment_fixed_size 0
		.amdhsa_private_segment_fixed_size 0
		.amdhsa_kernarg_size 32
		.amdhsa_user_sgpr_count 2
		.amdhsa_user_sgpr_dispatch_ptr 0
		.amdhsa_user_sgpr_queue_ptr 0
		.amdhsa_user_sgpr_kernarg_segment_ptr 1
		.amdhsa_user_sgpr_dispatch_id 0
		.amdhsa_user_sgpr_kernarg_preload_length 0
		.amdhsa_user_sgpr_kernarg_preload_offset 0
		.amdhsa_user_sgpr_private_segment_size 0
		.amdhsa_uses_dynamic_stack 0
		.amdhsa_enable_private_segment 0
		.amdhsa_system_sgpr_workgroup_id_x 1
		.amdhsa_system_sgpr_workgroup_id_y 0
		.amdhsa_system_sgpr_workgroup_id_z 0
		.amdhsa_system_sgpr_workgroup_info 0
		.amdhsa_system_vgpr_workitem_id 0
		.amdhsa_next_free_vgpr 14
		.amdhsa_next_free_sgpr 16
		.amdhsa_accum_offset 16
		.amdhsa_reserve_vcc 1
		.amdhsa_float_round_mode_32 0
		.amdhsa_float_round_mode_16_64 0
		.amdhsa_float_denorm_mode_32 3
		.amdhsa_float_denorm_mode_16_64 3
		.amdhsa_dx10_clamp 1
		.amdhsa_ieee_mode 1
		.amdhsa_fp16_overflow 0
		.amdhsa_tg_split 0
		.amdhsa_exception_fp_ieee_invalid_op 0
		.amdhsa_exception_fp_denorm_src 0
		.amdhsa_exception_fp_ieee_div_zero 0
		.amdhsa_exception_fp_ieee_overflow 0
		.amdhsa_exception_fp_ieee_underflow 0
		.amdhsa_exception_fp_ieee_inexact 0
		.amdhsa_exception_int_div_zero 0
	.end_amdhsa_kernel
	.section	.text._ZN2at6native29vectorized_elementwise_kernelILi16EZZZNS0_22nan_to_num_kernel_cudaERNS_18TensorIteratorBaseESt8optionalIdES5_S5_ENKUlvE0_clEvENKUlvE2_clEvEUlN3c108BFloat16EE_St5arrayIPcLm2EEEEviT0_T1_,"axG",@progbits,_ZN2at6native29vectorized_elementwise_kernelILi16EZZZNS0_22nan_to_num_kernel_cudaERNS_18TensorIteratorBaseESt8optionalIdES5_S5_ENKUlvE0_clEvENKUlvE2_clEvEUlN3c108BFloat16EE_St5arrayIPcLm2EEEEviT0_T1_,comdat
.Lfunc_end530:
	.size	_ZN2at6native29vectorized_elementwise_kernelILi16EZZZNS0_22nan_to_num_kernel_cudaERNS_18TensorIteratorBaseESt8optionalIdES5_S5_ENKUlvE0_clEvENKUlvE2_clEvEUlN3c108BFloat16EE_St5arrayIPcLm2EEEEviT0_T1_, .Lfunc_end530-_ZN2at6native29vectorized_elementwise_kernelILi16EZZZNS0_22nan_to_num_kernel_cudaERNS_18TensorIteratorBaseESt8optionalIdES5_S5_ENKUlvE0_clEvENKUlvE2_clEvEUlN3c108BFloat16EE_St5arrayIPcLm2EEEEviT0_T1_
                                        ; -- End function
	.set _ZN2at6native29vectorized_elementwise_kernelILi16EZZZNS0_22nan_to_num_kernel_cudaERNS_18TensorIteratorBaseESt8optionalIdES5_S5_ENKUlvE0_clEvENKUlvE2_clEvEUlN3c108BFloat16EE_St5arrayIPcLm2EEEEviT0_T1_.num_vgpr, 14
	.set _ZN2at6native29vectorized_elementwise_kernelILi16EZZZNS0_22nan_to_num_kernel_cudaERNS_18TensorIteratorBaseESt8optionalIdES5_S5_ENKUlvE0_clEvENKUlvE2_clEvEUlN3c108BFloat16EE_St5arrayIPcLm2EEEEviT0_T1_.num_agpr, 0
	.set _ZN2at6native29vectorized_elementwise_kernelILi16EZZZNS0_22nan_to_num_kernel_cudaERNS_18TensorIteratorBaseESt8optionalIdES5_S5_ENKUlvE0_clEvENKUlvE2_clEvEUlN3c108BFloat16EE_St5arrayIPcLm2EEEEviT0_T1_.numbered_sgpr, 16
	.set _ZN2at6native29vectorized_elementwise_kernelILi16EZZZNS0_22nan_to_num_kernel_cudaERNS_18TensorIteratorBaseESt8optionalIdES5_S5_ENKUlvE0_clEvENKUlvE2_clEvEUlN3c108BFloat16EE_St5arrayIPcLm2EEEEviT0_T1_.num_named_barrier, 0
	.set _ZN2at6native29vectorized_elementwise_kernelILi16EZZZNS0_22nan_to_num_kernel_cudaERNS_18TensorIteratorBaseESt8optionalIdES5_S5_ENKUlvE0_clEvENKUlvE2_clEvEUlN3c108BFloat16EE_St5arrayIPcLm2EEEEviT0_T1_.private_seg_size, 0
	.set _ZN2at6native29vectorized_elementwise_kernelILi16EZZZNS0_22nan_to_num_kernel_cudaERNS_18TensorIteratorBaseESt8optionalIdES5_S5_ENKUlvE0_clEvENKUlvE2_clEvEUlN3c108BFloat16EE_St5arrayIPcLm2EEEEviT0_T1_.uses_vcc, 1
	.set _ZN2at6native29vectorized_elementwise_kernelILi16EZZZNS0_22nan_to_num_kernel_cudaERNS_18TensorIteratorBaseESt8optionalIdES5_S5_ENKUlvE0_clEvENKUlvE2_clEvEUlN3c108BFloat16EE_St5arrayIPcLm2EEEEviT0_T1_.uses_flat_scratch, 0
	.set _ZN2at6native29vectorized_elementwise_kernelILi16EZZZNS0_22nan_to_num_kernel_cudaERNS_18TensorIteratorBaseESt8optionalIdES5_S5_ENKUlvE0_clEvENKUlvE2_clEvEUlN3c108BFloat16EE_St5arrayIPcLm2EEEEviT0_T1_.has_dyn_sized_stack, 0
	.set _ZN2at6native29vectorized_elementwise_kernelILi16EZZZNS0_22nan_to_num_kernel_cudaERNS_18TensorIteratorBaseESt8optionalIdES5_S5_ENKUlvE0_clEvENKUlvE2_clEvEUlN3c108BFloat16EE_St5arrayIPcLm2EEEEviT0_T1_.has_recursion, 0
	.set _ZN2at6native29vectorized_elementwise_kernelILi16EZZZNS0_22nan_to_num_kernel_cudaERNS_18TensorIteratorBaseESt8optionalIdES5_S5_ENKUlvE0_clEvENKUlvE2_clEvEUlN3c108BFloat16EE_St5arrayIPcLm2EEEEviT0_T1_.has_indirect_call, 0
	.section	.AMDGPU.csdata,"",@progbits
; Kernel info:
; codeLenInByte = 2664
; TotalNumSgprs: 22
; NumVgprs: 14
; NumAgprs: 0
; TotalNumVgprs: 14
; ScratchSize: 0
; MemoryBound: 0
; FloatMode: 240
; IeeeMode: 1
; LDSByteSize: 0 bytes/workgroup (compile time only)
; SGPRBlocks: 2
; VGPRBlocks: 1
; NumSGPRsForWavesPerEU: 22
; NumVGPRsForWavesPerEU: 14
; AccumOffset: 16
; Occupancy: 8
; WaveLimiterHint : 0
; COMPUTE_PGM_RSRC2:SCRATCH_EN: 0
; COMPUTE_PGM_RSRC2:USER_SGPR: 2
; COMPUTE_PGM_RSRC2:TRAP_HANDLER: 0
; COMPUTE_PGM_RSRC2:TGID_X_EN: 1
; COMPUTE_PGM_RSRC2:TGID_Y_EN: 0
; COMPUTE_PGM_RSRC2:TGID_Z_EN: 0
; COMPUTE_PGM_RSRC2:TIDIG_COMP_CNT: 0
; COMPUTE_PGM_RSRC3_GFX90A:ACCUM_OFFSET: 3
; COMPUTE_PGM_RSRC3_GFX90A:TG_SPLIT: 0
	.section	.text._ZN2at6native29vectorized_elementwise_kernelILi8EZZZNS0_22nan_to_num_kernel_cudaERNS_18TensorIteratorBaseESt8optionalIdES5_S5_ENKUlvE0_clEvENKUlvE2_clEvEUlN3c108BFloat16EE_St5arrayIPcLm2EEEEviT0_T1_,"axG",@progbits,_ZN2at6native29vectorized_elementwise_kernelILi8EZZZNS0_22nan_to_num_kernel_cudaERNS_18TensorIteratorBaseESt8optionalIdES5_S5_ENKUlvE0_clEvENKUlvE2_clEvEUlN3c108BFloat16EE_St5arrayIPcLm2EEEEviT0_T1_,comdat
	.globl	_ZN2at6native29vectorized_elementwise_kernelILi8EZZZNS0_22nan_to_num_kernel_cudaERNS_18TensorIteratorBaseESt8optionalIdES5_S5_ENKUlvE0_clEvENKUlvE2_clEvEUlN3c108BFloat16EE_St5arrayIPcLm2EEEEviT0_T1_ ; -- Begin function _ZN2at6native29vectorized_elementwise_kernelILi8EZZZNS0_22nan_to_num_kernel_cudaERNS_18TensorIteratorBaseESt8optionalIdES5_S5_ENKUlvE0_clEvENKUlvE2_clEvEUlN3c108BFloat16EE_St5arrayIPcLm2EEEEviT0_T1_
	.p2align	8
	.type	_ZN2at6native29vectorized_elementwise_kernelILi8EZZZNS0_22nan_to_num_kernel_cudaERNS_18TensorIteratorBaseESt8optionalIdES5_S5_ENKUlvE0_clEvENKUlvE2_clEvEUlN3c108BFloat16EE_St5arrayIPcLm2EEEEviT0_T1_,@function
_ZN2at6native29vectorized_elementwise_kernelILi8EZZZNS0_22nan_to_num_kernel_cudaERNS_18TensorIteratorBaseESt8optionalIdES5_S5_ENKUlvE0_clEvENKUlvE2_clEvEUlN3c108BFloat16EE_St5arrayIPcLm2EEEEviT0_T1_: ; @_ZN2at6native29vectorized_elementwise_kernelILi8EZZZNS0_22nan_to_num_kernel_cudaERNS_18TensorIteratorBaseESt8optionalIdES5_S5_ENKUlvE0_clEvENKUlvE2_clEvEUlN3c108BFloat16EE_St5arrayIPcLm2EEEEviT0_T1_
; %bb.0:
	s_load_dwordx2 s[8:9], s[0:1], 0x0
	s_load_dword s15, s[0:1], 0x8
	s_load_dwordx4 s[4:7], s[0:1], 0x10
	s_lshl_b32 s2, s2, 11
	s_mov_b64 s[0:1], -1
	s_waitcnt lgkmcnt(0)
	s_sub_i32 s14, s8, s2
	s_cmpk_gt_i32 s14, 0x7ff
	s_cbranch_scc0 .LBB531_34
; %bb.1:
	s_ashr_i32 s3, s2, 31
	s_lshr_b32 s8, s9, 16
	s_lshl_b64 s[0:1], s[2:3], 1
	s_add_u32 s10, s6, s0
	s_addc_u32 s11, s7, s1
	v_lshlrev_b32_e32 v1, 4, v0
	global_load_dwordx4 v[2:5], v1, s[10:11]
	v_mov_b32_e32 v6, s9
	s_waitcnt vmcnt(0)
	v_lshlrev_b32_e32 v7, 16, v2
	v_cmp_o_f32_e32 vcc, v7, v7
	s_and_saveexec_b64 s[10:11], vcc
	s_cbranch_execz .LBB531_5
; %bb.2:
	s_mov_b32 s3, 0x7f800000
	v_cmp_neq_f32_e32 vcc, s3, v7
	v_mov_b32_e32 v6, s8
	s_and_saveexec_b64 s[12:13], vcc
; %bb.3:
	s_mov_b32 s3, 0xff800000
	v_mov_b32_e32 v6, s15
	v_cmp_eq_f32_e32 vcc, s3, v7
	s_nop 1
	v_cndmask_b32_e32 v6, v2, v6, vcc
; %bb.4:
	s_or_b64 exec, exec, s[12:13]
.LBB531_5:
	s_or_b64 exec, exec, s[10:11]
	v_and_b32_e32 v8, 0xffff0000, v2
	v_cmp_o_f32_e32 vcc, v8, v8
	v_mov_b32_e32 v7, s9
	s_and_saveexec_b64 s[10:11], vcc
	s_cbranch_execz .LBB531_9
; %bb.6:
	s_mov_b32 s3, 0x7f800000
	v_cmp_neq_f32_e32 vcc, s3, v8
	v_mov_b32_e32 v7, s8
	s_and_saveexec_b64 s[12:13], vcc
; %bb.7:
	s_mov_b32 s3, 0xff800000
	v_cmp_eq_f32_e32 vcc, s3, v8
	v_mov_b32_e32 v7, s15
	s_nop 0
	v_cndmask_b32_sdwa v7, v2, v7, vcc dst_sel:DWORD dst_unused:UNUSED_PAD src0_sel:WORD_1 src1_sel:DWORD
; %bb.8:
	s_or_b64 exec, exec, s[12:13]
.LBB531_9:
	s_or_b64 exec, exec, s[10:11]
	v_lshlrev_b32_e32 v8, 16, v3
	v_cmp_o_f32_e32 vcc, v8, v8
	v_mov_b32_e32 v2, s9
	s_and_saveexec_b64 s[10:11], vcc
	s_cbranch_execz .LBB531_13
; %bb.10:
	s_mov_b32 s3, 0x7f800000
	v_cmp_neq_f32_e32 vcc, s3, v8
	v_mov_b32_e32 v2, s8
	s_and_saveexec_b64 s[12:13], vcc
; %bb.11:
	s_mov_b32 s3, 0xff800000
	v_cmp_eq_f32_e32 vcc, s3, v8
	v_mov_b32_e32 v2, s15
	s_nop 0
	v_cndmask_b32_sdwa v2, v3, v2, vcc dst_sel:DWORD dst_unused:UNUSED_PAD src0_sel:WORD_0 src1_sel:DWORD
; %bb.12:
	s_or_b64 exec, exec, s[12:13]
.LBB531_13:
	s_or_b64 exec, exec, s[10:11]
	v_and_b32_e32 v9, 0xffff0000, v3
	v_cmp_o_f32_e32 vcc, v9, v9
	v_mov_b32_e32 v8, s9
	s_and_saveexec_b64 s[10:11], vcc
	s_cbranch_execz .LBB531_17
; %bb.14:
	s_mov_b32 s3, 0x7f800000
	v_cmp_neq_f32_e32 vcc, s3, v9
	v_mov_b32_e32 v8, s8
	s_and_saveexec_b64 s[12:13], vcc
; %bb.15:
	s_mov_b32 s3, 0xff800000
	v_cmp_eq_f32_e32 vcc, s3, v9
	v_mov_b32_e32 v8, s15
	s_nop 0
	v_cndmask_b32_sdwa v8, v3, v8, vcc dst_sel:DWORD dst_unused:UNUSED_PAD src0_sel:WORD_1 src1_sel:DWORD
; %bb.16:
	s_or_b64 exec, exec, s[12:13]
.LBB531_17:
	s_or_b64 exec, exec, s[10:11]
	v_lshlrev_b32_e32 v9, 16, v4
	v_cmp_o_f32_e32 vcc, v9, v9
	v_mov_b32_e32 v3, s9
	s_and_saveexec_b64 s[10:11], vcc
	s_cbranch_execz .LBB531_21
; %bb.18:
	s_mov_b32 s3, 0x7f800000
	v_cmp_neq_f32_e32 vcc, s3, v9
	v_mov_b32_e32 v3, s8
	s_and_saveexec_b64 s[12:13], vcc
; %bb.19:
	s_mov_b32 s3, 0xff800000
	v_cmp_eq_f32_e32 vcc, s3, v9
	v_mov_b32_e32 v3, s15
	s_nop 0
	v_cndmask_b32_sdwa v3, v4, v3, vcc dst_sel:DWORD dst_unused:UNUSED_PAD src0_sel:WORD_0 src1_sel:DWORD
; %bb.20:
	s_or_b64 exec, exec, s[12:13]
.LBB531_21:
	;; [unrolled: 40-line block ×3, first 2 shown]
	s_or_b64 exec, exec, s[10:11]
	v_and_b32_e32 v11, 0xffff0000, v5
	v_cmp_o_f32_e32 vcc, v11, v11
	v_mov_b32_e32 v10, s9
	s_and_saveexec_b64 s[10:11], vcc
	s_cbranch_execz .LBB531_33
; %bb.30:
	s_mov_b32 s3, 0x7f800000
	v_cmp_neq_f32_e32 vcc, s3, v11
	v_mov_b32_e32 v10, s8
	s_and_saveexec_b64 s[12:13], vcc
; %bb.31:
	s_mov_b32 s3, 0xff800000
	v_cmp_eq_f32_e32 vcc, s3, v11
	v_mov_b32_e32 v10, s15
	s_nop 0
	v_cndmask_b32_sdwa v10, v5, v10, vcc dst_sel:DWORD dst_unused:UNUSED_PAD src0_sel:WORD_1 src1_sel:DWORD
; %bb.32:
	s_or_b64 exec, exec, s[12:13]
.LBB531_33:
	s_or_b64 exec, exec, s[10:11]
	s_add_u32 s0, s4, s0
	s_mov_b32 s3, 0x5040100
	s_addc_u32 s1, s5, s1
	v_perm_b32 v5, v10, v4, s3
	v_perm_b32 v4, v9, v3, s3
	;; [unrolled: 1-line block ×4, first 2 shown]
	global_store_dwordx4 v1, v[2:5], s[0:1]
	s_mov_b64 s[0:1], 0
.LBB531_34:
	s_and_b64 vcc, exec, s[0:1]
	s_cbranch_vccz .LBB531_107
; %bb.35:
	v_cmp_gt_i32_e32 vcc, s14, v0
	v_mov_b32_e32 v8, 0
	v_or_b32_e32 v2, s2, v0
	v_mov_b32_e32 v6, 0
	v_mov_b32_e32 v4, v0
	s_and_saveexec_b64 s[0:1], vcc
	s_cbranch_execz .LBB531_37
; %bb.36:
	v_mov_b32_e32 v3, 0
	v_lshl_add_u64 v[4:5], v[2:3], 1, s[6:7]
	global_load_ushort v6, v[4:5], off
	v_or_b32_e32 v4, 0x100, v0
.LBB531_37:
	s_or_b64 exec, exec, s[0:1]
	v_cmp_gt_i32_e64 s[0:1], s14, v4
	s_and_saveexec_b64 s[10:11], s[0:1]
	s_cbranch_execz .LBB531_39
; %bb.38:
	v_add_u32_e32 v8, s2, v4
	v_mov_b32_e32 v9, 0
	v_lshl_add_u64 v[8:9], v[8:9], 1, s[6:7]
	global_load_ushort v8, v[8:9], off
	v_add_u32_e32 v4, 0x100, v4
.LBB531_39:
	s_or_b64 exec, exec, s[10:11]
	v_cmp_gt_i32_e64 s[0:1], s14, v4
	v_mov_b32_e32 v9, 0
	v_mov_b32_e32 v11, 0
	s_and_saveexec_b64 s[10:11], s[0:1]
	s_cbranch_execz .LBB531_41
; %bb.40:
	v_add_u32_e32 v10, s2, v4
	v_mov_b32_e32 v11, 0
	v_lshl_add_u64 v[10:11], v[10:11], 1, s[6:7]
	global_load_ushort v11, v[10:11], off
	v_add_u32_e32 v4, 0x100, v4
.LBB531_41:
	s_or_b64 exec, exec, s[10:11]
	v_cmp_gt_i32_e64 s[0:1], s14, v4
	s_and_saveexec_b64 s[10:11], s[0:1]
	s_cbranch_execz .LBB531_43
; %bb.42:
	v_add_u32_e32 v12, s2, v4
	v_mov_b32_e32 v13, 0
	v_lshl_add_u64 v[12:13], v[12:13], 1, s[6:7]
	global_load_ushort v9, v[12:13], off
	v_add_u32_e32 v4, 0x100, v4
.LBB531_43:
	s_or_b64 exec, exec, s[10:11]
	v_cmp_gt_i32_e64 s[0:1], s14, v4
	v_mov_b32_e32 v3, 0
	v_mov_b32_e32 v10, 0
	s_and_saveexec_b64 s[10:11], s[0:1]
	s_cbranch_execz .LBB531_45
; %bb.44:
	v_add_u32_e32 v12, s2, v4
	v_mov_b32_e32 v13, 0
	v_lshl_add_u64 v[12:13], v[12:13], 1, s[6:7]
	global_load_ushort v10, v[12:13], off
	v_add_u32_e32 v4, 0x100, v4
.LBB531_45:
	s_or_b64 exec, exec, s[10:11]
	v_cmp_gt_i32_e64 s[0:1], s14, v4
	s_and_saveexec_b64 s[10:11], s[0:1]
	s_cbranch_execz .LBB531_47
; %bb.46:
	v_add_u32_e32 v12, s2, v4
	v_mov_b32_e32 v13, 0
	v_lshl_add_u64 v[12:13], v[12:13], 1, s[6:7]
	global_load_ushort v3, v[12:13], off
	v_add_u32_e32 v4, 0x100, v4
.LBB531_47:
	s_or_b64 exec, exec, s[10:11]
	v_cmp_gt_i32_e64 s[0:1], s14, v4
	v_mov_b32_e32 v1, 0
	v_mov_b32_e32 v5, 0
	s_and_saveexec_b64 s[10:11], s[0:1]
	s_cbranch_execz .LBB531_49
; %bb.48:
	v_add_u32_e32 v12, s2, v4
	v_mov_b32_e32 v13, 0
	v_lshl_add_u64 v[12:13], v[12:13], 1, s[6:7]
	global_load_ushort v5, v[12:13], off
	v_add_u32_e32 v4, 0x100, v4
	s_or_b64 exec, exec, s[10:11]
	v_cmp_gt_i32_e64 s[0:1], s14, v4
	s_and_saveexec_b64 s[10:11], s[0:1]
	s_cbranch_execz .LBB531_51
	s_branch .LBB531_50
.LBB531_49:
	s_or_b64 exec, exec, s[10:11]
	v_cmp_gt_i32_e64 s[0:1], s14, v4
	s_and_saveexec_b64 s[10:11], s[0:1]
	s_cbranch_execz .LBB531_51
.LBB531_50:
	v_add_u32_e32 v12, s2, v4
	v_mov_b32_e32 v13, 0
	v_lshl_add_u64 v[12:13], v[12:13], 1, s[6:7]
	global_load_ushort v1, v[12:13], off
.LBB531_51:
	s_or_b64 exec, exec, s[10:11]
	s_lshr_b32 s3, s9, 16
                                        ; implicit-def: $vgpr4
	s_and_saveexec_b64 s[6:7], vcc
	s_cbranch_execz .LBB531_57
; %bb.52:
	s_waitcnt vmcnt(0)
	v_lshlrev_b32_e32 v7, 16, v6
	v_cmp_o_f32_e64 s[0:1], v7, v7
	v_mov_b32_e32 v4, s9
	s_and_saveexec_b64 s[10:11], s[0:1]
	s_cbranch_execz .LBB531_56
; %bb.53:
	s_mov_b32 s0, 0x7f800000
	v_cmp_neq_f32_e64 s[0:1], s0, v7
	v_mov_b32_e32 v4, s3
	s_and_saveexec_b64 s[12:13], s[0:1]
; %bb.54:
	s_mov_b32 s0, 0xff800000
	v_mov_b32_e32 v4, s15
	v_cmp_eq_f32_e64 s[0:1], s0, v7
	s_nop 1
	v_cndmask_b32_e64 v4, v6, v4, s[0:1]
; %bb.55:
	s_or_b64 exec, exec, s[12:13]
.LBB531_56:
	s_or_b64 exec, exec, s[10:11]
.LBB531_57:
	s_or_b64 exec, exec, s[6:7]
	v_or_b32_e32 v7, 0x100, v0
	v_cmp_gt_i32_e64 s[0:1], s14, v7
                                        ; implicit-def: $vgpr6
	s_and_saveexec_b64 s[6:7], s[0:1]
	s_cbranch_execz .LBB531_63
; %bb.58:
	s_waitcnt vmcnt(0)
	v_lshlrev_b32_e32 v12, 16, v8
	v_cmp_o_f32_e64 s[0:1], v12, v12
	v_mov_b32_e32 v6, s9
	s_and_saveexec_b64 s[10:11], s[0:1]
	s_cbranch_execz .LBB531_62
; %bb.59:
	s_mov_b32 s0, 0x7f800000
	v_cmp_neq_f32_e64 s[0:1], s0, v12
	v_mov_b32_e32 v6, s3
	s_and_saveexec_b64 s[12:13], s[0:1]
; %bb.60:
	s_mov_b32 s0, 0xff800000
	v_mov_b32_e32 v6, s15
	v_cmp_eq_f32_e64 s[0:1], s0, v12
	s_nop 1
	v_cndmask_b32_e64 v6, v8, v6, s[0:1]
; %bb.61:
	s_or_b64 exec, exec, s[12:13]
.LBB531_62:
	s_or_b64 exec, exec, s[10:11]
.LBB531_63:
	s_or_b64 exec, exec, s[6:7]
	s_waitcnt vmcnt(0)
	v_or_b32_e32 v8, 0x200, v0
	v_cmp_gt_i32_e64 s[0:1], s14, v8
                                        ; implicit-def: $vgpr8
	s_and_saveexec_b64 s[6:7], s[0:1]
	s_cbranch_execz .LBB531_69
; %bb.64:
	v_lshlrev_b32_e32 v12, 16, v11
	v_cmp_o_f32_e64 s[0:1], v12, v12
	v_mov_b32_e32 v8, s9
	s_and_saveexec_b64 s[10:11], s[0:1]
	s_cbranch_execz .LBB531_68
; %bb.65:
	s_mov_b32 s0, 0x7f800000
	v_cmp_neq_f32_e64 s[0:1], s0, v12
	v_mov_b32_e32 v8, s3
	s_and_saveexec_b64 s[12:13], s[0:1]
; %bb.66:
	s_mov_b32 s0, 0xff800000
	v_mov_b32_e32 v8, s15
	v_cmp_eq_f32_e64 s[0:1], s0, v12
	s_nop 1
	v_cndmask_b32_e64 v8, v11, v8, s[0:1]
; %bb.67:
	s_or_b64 exec, exec, s[12:13]
.LBB531_68:
	s_or_b64 exec, exec, s[10:11]
.LBB531_69:
	s_or_b64 exec, exec, s[6:7]
	v_or_b32_e32 v11, 0x300, v0
	v_cmp_gt_i32_e64 s[0:1], s14, v11
                                        ; implicit-def: $vgpr11
	s_and_saveexec_b64 s[6:7], s[0:1]
	s_cbranch_execz .LBB531_75
; %bb.70:
	v_lshlrev_b32_e32 v12, 16, v9
	v_cmp_o_f32_e64 s[0:1], v12, v12
	v_mov_b32_e32 v11, s9
	s_and_saveexec_b64 s[10:11], s[0:1]
	s_cbranch_execz .LBB531_74
; %bb.71:
	s_mov_b32 s0, 0x7f800000
	v_cmp_neq_f32_e64 s[0:1], s0, v12
	v_mov_b32_e32 v11, s3
	s_and_saveexec_b64 s[12:13], s[0:1]
; %bb.72:
	s_mov_b32 s0, 0xff800000
	v_mov_b32_e32 v11, s15
	v_cmp_eq_f32_e64 s[0:1], s0, v12
	s_nop 1
	v_cndmask_b32_e64 v11, v9, v11, s[0:1]
; %bb.73:
	s_or_b64 exec, exec, s[12:13]
.LBB531_74:
	s_or_b64 exec, exec, s[10:11]
.LBB531_75:
	s_or_b64 exec, exec, s[6:7]
	v_or_b32_e32 v9, 0x400, v0
	v_cmp_gt_i32_e64 s[0:1], s14, v9
                                        ; implicit-def: $vgpr9
	s_and_saveexec_b64 s[6:7], s[0:1]
	s_cbranch_execz .LBB531_81
; %bb.76:
	v_lshlrev_b32_e32 v12, 16, v10
	v_cmp_o_f32_e64 s[0:1], v12, v12
	v_mov_b32_e32 v9, s9
	s_and_saveexec_b64 s[10:11], s[0:1]
	s_cbranch_execz .LBB531_80
; %bb.77:
	s_mov_b32 s0, 0x7f800000
	v_cmp_neq_f32_e64 s[0:1], s0, v12
	v_mov_b32_e32 v9, s3
	s_and_saveexec_b64 s[12:13], s[0:1]
; %bb.78:
	s_mov_b32 s0, 0xff800000
	v_mov_b32_e32 v9, s15
	v_cmp_eq_f32_e64 s[0:1], s0, v12
	s_nop 1
	v_cndmask_b32_e64 v9, v10, v9, s[0:1]
; %bb.79:
	s_or_b64 exec, exec, s[12:13]
.LBB531_80:
	s_or_b64 exec, exec, s[10:11]
.LBB531_81:
	s_or_b64 exec, exec, s[6:7]
	v_or_b32_e32 v10, 0x500, v0
	v_cmp_gt_i32_e64 s[0:1], s14, v10
                                        ; implicit-def: $vgpr10
	s_and_saveexec_b64 s[6:7], s[0:1]
	s_cbranch_execz .LBB531_87
; %bb.82:
	v_lshlrev_b32_e32 v12, 16, v3
	v_cmp_o_f32_e64 s[0:1], v12, v12
	v_mov_b32_e32 v10, s9
	s_and_saveexec_b64 s[10:11], s[0:1]
	s_cbranch_execz .LBB531_86
; %bb.83:
	s_mov_b32 s0, 0x7f800000
	v_cmp_neq_f32_e64 s[0:1], s0, v12
	v_mov_b32_e32 v10, s3
	s_and_saveexec_b64 s[12:13], s[0:1]
; %bb.84:
	s_mov_b32 s0, 0xff800000
	v_mov_b32_e32 v10, s15
	v_cmp_eq_f32_e64 s[0:1], s0, v12
	s_nop 1
	v_cndmask_b32_e64 v10, v3, v10, s[0:1]
; %bb.85:
	s_or_b64 exec, exec, s[12:13]
.LBB531_86:
	s_or_b64 exec, exec, s[10:11]
.LBB531_87:
	s_or_b64 exec, exec, s[6:7]
	v_or_b32_e32 v3, 0x600, v0
	v_cmp_gt_i32_e64 s[0:1], s14, v3
                                        ; implicit-def: $vgpr12
	s_and_saveexec_b64 s[6:7], s[0:1]
	s_cbranch_execz .LBB531_93
; %bb.88:
	v_lshlrev_b32_e32 v3, 16, v5
	v_cmp_o_f32_e64 s[0:1], v3, v3
	v_mov_b32_e32 v12, s9
	s_and_saveexec_b64 s[10:11], s[0:1]
	s_cbranch_execz .LBB531_92
; %bb.89:
	s_mov_b32 s0, 0x7f800000
	v_cmp_neq_f32_e64 s[0:1], s0, v3
	v_mov_b32_e32 v12, s3
	s_and_saveexec_b64 s[12:13], s[0:1]
; %bb.90:
	s_mov_b32 s0, 0xff800000
	v_mov_b32_e32 v12, s15
	v_cmp_eq_f32_e64 s[0:1], s0, v3
	s_nop 1
	v_cndmask_b32_e64 v12, v5, v12, s[0:1]
; %bb.91:
	s_or_b64 exec, exec, s[12:13]
.LBB531_92:
	s_or_b64 exec, exec, s[10:11]
.LBB531_93:
	s_or_b64 exec, exec, s[6:7]
	v_or_b32_e32 v3, 0x700, v0
	v_cmp_gt_i32_e64 s[0:1], s14, v3
                                        ; implicit-def: $vgpr5
	s_and_saveexec_b64 s[6:7], s[0:1]
	s_cbranch_execz .LBB531_108
; %bb.94:
	v_lshlrev_b32_e32 v3, 16, v1
	v_cmp_o_f32_e64 s[0:1], v3, v3
	v_mov_b32_e32 v5, s9
	s_and_saveexec_b64 s[8:9], s[0:1]
	s_cbranch_execz .LBB531_98
; %bb.95:
	s_mov_b32 s0, 0x7f800000
	v_cmp_neq_f32_e64 s[0:1], s0, v3
	v_mov_b32_e32 v5, s3
	s_and_saveexec_b64 s[10:11], s[0:1]
; %bb.96:
	s_mov_b32 s0, 0xff800000
	v_mov_b32_e32 v5, s15
	v_cmp_eq_f32_e64 s[0:1], s0, v3
	s_nop 1
	v_cndmask_b32_e64 v5, v1, v5, s[0:1]
; %bb.97:
	s_or_b64 exec, exec, s[10:11]
.LBB531_98:
	s_or_b64 exec, exec, s[8:9]
	s_or_b64 exec, exec, s[6:7]
	s_and_saveexec_b64 s[0:1], vcc
	s_xor_b64 s[0:1], exec, s[0:1]
	s_cbranch_execnz .LBB531_109
.LBB531_99:
	s_or_b64 exec, exec, s[0:1]
	v_cmp_gt_i32_e32 vcc, s14, v0
	s_and_saveexec_b64 s[0:1], vcc
	s_cbranch_execz .LBB531_110
.LBB531_100:
	v_add_u32_e32 v2, s2, v0
	v_mov_b32_e32 v3, 0
	v_lshl_add_u64 v[2:3], v[2:3], 1, s[4:5]
	v_add_u32_e32 v0, 0x100, v0
	global_store_short v[2:3], v6, off
	s_or_b64 exec, exec, s[0:1]
	v_cmp_gt_i32_e32 vcc, s14, v0
	s_and_saveexec_b64 s[0:1], vcc
	s_cbranch_execnz .LBB531_111
.LBB531_101:
	s_or_b64 exec, exec, s[0:1]
	v_cmp_gt_i32_e32 vcc, s14, v0
	s_and_saveexec_b64 s[0:1], vcc
	s_cbranch_execz .LBB531_112
.LBB531_102:
	v_add_u32_e32 v2, s2, v0
	v_mov_b32_e32 v3, 0
	v_lshl_add_u64 v[2:3], v[2:3], 1, s[4:5]
	v_add_u32_e32 v0, 0x100, v0
	global_store_short v[2:3], v11, off
	s_or_b64 exec, exec, s[0:1]
	v_cmp_gt_i32_e32 vcc, s14, v0
	s_and_saveexec_b64 s[0:1], vcc
	s_cbranch_execnz .LBB531_113
.LBB531_103:
	s_or_b64 exec, exec, s[0:1]
	v_cmp_gt_i32_e32 vcc, s14, v0
	s_and_saveexec_b64 s[0:1], vcc
	s_cbranch_execz .LBB531_114
.LBB531_104:
	v_add_u32_e32 v2, s2, v0
	v_mov_b32_e32 v3, 0
	v_lshl_add_u64 v[2:3], v[2:3], 1, s[4:5]
	v_add_u32_e32 v0, 0x100, v0
	global_store_short v[2:3], v10, off
	s_or_b64 exec, exec, s[0:1]
	v_cmp_gt_i32_e32 vcc, s14, v0
	s_and_saveexec_b64 s[0:1], vcc
	s_cbranch_execnz .LBB531_115
.LBB531_105:
	s_or_b64 exec, exec, s[0:1]
	v_cmp_gt_i32_e32 vcc, s14, v0
	s_and_saveexec_b64 s[0:1], vcc
	s_cbranch_execz .LBB531_107
.LBB531_106:
	v_add_u32_e32 v0, s2, v0
	v_mov_b32_e32 v1, 0
	v_lshl_add_u64 v[0:1], v[0:1], 1, s[4:5]
	global_store_short v[0:1], v5, off
.LBB531_107:
	s_endpgm
.LBB531_108:
	s_or_b64 exec, exec, s[6:7]
	s_and_saveexec_b64 s[0:1], vcc
	s_xor_b64 s[0:1], exec, s[0:1]
	s_cbranch_execz .LBB531_99
.LBB531_109:
	v_mov_b32_e32 v3, 0
	v_lshl_add_u64 v[0:1], v[2:3], 1, s[4:5]
	global_store_short v[0:1], v4, off
	v_mov_b32_e32 v0, v7
	s_or_b64 exec, exec, s[0:1]
	v_cmp_gt_i32_e32 vcc, s14, v0
	s_and_saveexec_b64 s[0:1], vcc
	s_cbranch_execnz .LBB531_100
.LBB531_110:
	s_or_b64 exec, exec, s[0:1]
	v_cmp_gt_i32_e32 vcc, s14, v0
	s_and_saveexec_b64 s[0:1], vcc
	s_cbranch_execz .LBB531_101
.LBB531_111:
	v_add_u32_e32 v2, s2, v0
	v_mov_b32_e32 v3, 0
	v_lshl_add_u64 v[2:3], v[2:3], 1, s[4:5]
	v_add_u32_e32 v0, 0x100, v0
	global_store_short v[2:3], v8, off
	s_or_b64 exec, exec, s[0:1]
	v_cmp_gt_i32_e32 vcc, s14, v0
	s_and_saveexec_b64 s[0:1], vcc
	s_cbranch_execnz .LBB531_102
.LBB531_112:
	s_or_b64 exec, exec, s[0:1]
	v_cmp_gt_i32_e32 vcc, s14, v0
	s_and_saveexec_b64 s[0:1], vcc
	s_cbranch_execz .LBB531_103
.LBB531_113:
	v_add_u32_e32 v2, s2, v0
	v_mov_b32_e32 v3, 0
	v_lshl_add_u64 v[2:3], v[2:3], 1, s[4:5]
	v_add_u32_e32 v0, 0x100, v0
	global_store_short v[2:3], v9, off
	s_or_b64 exec, exec, s[0:1]
	v_cmp_gt_i32_e32 vcc, s14, v0
	s_and_saveexec_b64 s[0:1], vcc
	s_cbranch_execnz .LBB531_104
.LBB531_114:
	s_or_b64 exec, exec, s[0:1]
	v_cmp_gt_i32_e32 vcc, s14, v0
	s_and_saveexec_b64 s[0:1], vcc
	s_cbranch_execz .LBB531_105
.LBB531_115:
	v_add_u32_e32 v2, s2, v0
	v_mov_b32_e32 v3, 0
	v_lshl_add_u64 v[2:3], v[2:3], 1, s[4:5]
	v_add_u32_e32 v0, 0x100, v0
	global_store_short v[2:3], v12, off
	s_or_b64 exec, exec, s[0:1]
	v_cmp_gt_i32_e32 vcc, s14, v0
	s_and_saveexec_b64 s[0:1], vcc
	s_cbranch_execnz .LBB531_106
	s_branch .LBB531_107
	.section	.rodata,"a",@progbits
	.p2align	6, 0x0
	.amdhsa_kernel _ZN2at6native29vectorized_elementwise_kernelILi8EZZZNS0_22nan_to_num_kernel_cudaERNS_18TensorIteratorBaseESt8optionalIdES5_S5_ENKUlvE0_clEvENKUlvE2_clEvEUlN3c108BFloat16EE_St5arrayIPcLm2EEEEviT0_T1_
		.amdhsa_group_segment_fixed_size 0
		.amdhsa_private_segment_fixed_size 0
		.amdhsa_kernarg_size 32
		.amdhsa_user_sgpr_count 2
		.amdhsa_user_sgpr_dispatch_ptr 0
		.amdhsa_user_sgpr_queue_ptr 0
		.amdhsa_user_sgpr_kernarg_segment_ptr 1
		.amdhsa_user_sgpr_dispatch_id 0
		.amdhsa_user_sgpr_kernarg_preload_length 0
		.amdhsa_user_sgpr_kernarg_preload_offset 0
		.amdhsa_user_sgpr_private_segment_size 0
		.amdhsa_uses_dynamic_stack 0
		.amdhsa_enable_private_segment 0
		.amdhsa_system_sgpr_workgroup_id_x 1
		.amdhsa_system_sgpr_workgroup_id_y 0
		.amdhsa_system_sgpr_workgroup_id_z 0
		.amdhsa_system_sgpr_workgroup_info 0
		.amdhsa_system_vgpr_workitem_id 0
		.amdhsa_next_free_vgpr 14
		.amdhsa_next_free_sgpr 16
		.amdhsa_accum_offset 16
		.amdhsa_reserve_vcc 1
		.amdhsa_float_round_mode_32 0
		.amdhsa_float_round_mode_16_64 0
		.amdhsa_float_denorm_mode_32 3
		.amdhsa_float_denorm_mode_16_64 3
		.amdhsa_dx10_clamp 1
		.amdhsa_ieee_mode 1
		.amdhsa_fp16_overflow 0
		.amdhsa_tg_split 0
		.amdhsa_exception_fp_ieee_invalid_op 0
		.amdhsa_exception_fp_denorm_src 0
		.amdhsa_exception_fp_ieee_div_zero 0
		.amdhsa_exception_fp_ieee_overflow 0
		.amdhsa_exception_fp_ieee_underflow 0
		.amdhsa_exception_fp_ieee_inexact 0
		.amdhsa_exception_int_div_zero 0
	.end_amdhsa_kernel
	.section	.text._ZN2at6native29vectorized_elementwise_kernelILi8EZZZNS0_22nan_to_num_kernel_cudaERNS_18TensorIteratorBaseESt8optionalIdES5_S5_ENKUlvE0_clEvENKUlvE2_clEvEUlN3c108BFloat16EE_St5arrayIPcLm2EEEEviT0_T1_,"axG",@progbits,_ZN2at6native29vectorized_elementwise_kernelILi8EZZZNS0_22nan_to_num_kernel_cudaERNS_18TensorIteratorBaseESt8optionalIdES5_S5_ENKUlvE0_clEvENKUlvE2_clEvEUlN3c108BFloat16EE_St5arrayIPcLm2EEEEviT0_T1_,comdat
.Lfunc_end531:
	.size	_ZN2at6native29vectorized_elementwise_kernelILi8EZZZNS0_22nan_to_num_kernel_cudaERNS_18TensorIteratorBaseESt8optionalIdES5_S5_ENKUlvE0_clEvENKUlvE2_clEvEUlN3c108BFloat16EE_St5arrayIPcLm2EEEEviT0_T1_, .Lfunc_end531-_ZN2at6native29vectorized_elementwise_kernelILi8EZZZNS0_22nan_to_num_kernel_cudaERNS_18TensorIteratorBaseESt8optionalIdES5_S5_ENKUlvE0_clEvENKUlvE2_clEvEUlN3c108BFloat16EE_St5arrayIPcLm2EEEEviT0_T1_
                                        ; -- End function
	.set _ZN2at6native29vectorized_elementwise_kernelILi8EZZZNS0_22nan_to_num_kernel_cudaERNS_18TensorIteratorBaseESt8optionalIdES5_S5_ENKUlvE0_clEvENKUlvE2_clEvEUlN3c108BFloat16EE_St5arrayIPcLm2EEEEviT0_T1_.num_vgpr, 14
	.set _ZN2at6native29vectorized_elementwise_kernelILi8EZZZNS0_22nan_to_num_kernel_cudaERNS_18TensorIteratorBaseESt8optionalIdES5_S5_ENKUlvE0_clEvENKUlvE2_clEvEUlN3c108BFloat16EE_St5arrayIPcLm2EEEEviT0_T1_.num_agpr, 0
	.set _ZN2at6native29vectorized_elementwise_kernelILi8EZZZNS0_22nan_to_num_kernel_cudaERNS_18TensorIteratorBaseESt8optionalIdES5_S5_ENKUlvE0_clEvENKUlvE2_clEvEUlN3c108BFloat16EE_St5arrayIPcLm2EEEEviT0_T1_.numbered_sgpr, 16
	.set _ZN2at6native29vectorized_elementwise_kernelILi8EZZZNS0_22nan_to_num_kernel_cudaERNS_18TensorIteratorBaseESt8optionalIdES5_S5_ENKUlvE0_clEvENKUlvE2_clEvEUlN3c108BFloat16EE_St5arrayIPcLm2EEEEviT0_T1_.num_named_barrier, 0
	.set _ZN2at6native29vectorized_elementwise_kernelILi8EZZZNS0_22nan_to_num_kernel_cudaERNS_18TensorIteratorBaseESt8optionalIdES5_S5_ENKUlvE0_clEvENKUlvE2_clEvEUlN3c108BFloat16EE_St5arrayIPcLm2EEEEviT0_T1_.private_seg_size, 0
	.set _ZN2at6native29vectorized_elementwise_kernelILi8EZZZNS0_22nan_to_num_kernel_cudaERNS_18TensorIteratorBaseESt8optionalIdES5_S5_ENKUlvE0_clEvENKUlvE2_clEvEUlN3c108BFloat16EE_St5arrayIPcLm2EEEEviT0_T1_.uses_vcc, 1
	.set _ZN2at6native29vectorized_elementwise_kernelILi8EZZZNS0_22nan_to_num_kernel_cudaERNS_18TensorIteratorBaseESt8optionalIdES5_S5_ENKUlvE0_clEvENKUlvE2_clEvEUlN3c108BFloat16EE_St5arrayIPcLm2EEEEviT0_T1_.uses_flat_scratch, 0
	.set _ZN2at6native29vectorized_elementwise_kernelILi8EZZZNS0_22nan_to_num_kernel_cudaERNS_18TensorIteratorBaseESt8optionalIdES5_S5_ENKUlvE0_clEvENKUlvE2_clEvEUlN3c108BFloat16EE_St5arrayIPcLm2EEEEviT0_T1_.has_dyn_sized_stack, 0
	.set _ZN2at6native29vectorized_elementwise_kernelILi8EZZZNS0_22nan_to_num_kernel_cudaERNS_18TensorIteratorBaseESt8optionalIdES5_S5_ENKUlvE0_clEvENKUlvE2_clEvEUlN3c108BFloat16EE_St5arrayIPcLm2EEEEviT0_T1_.has_recursion, 0
	.set _ZN2at6native29vectorized_elementwise_kernelILi8EZZZNS0_22nan_to_num_kernel_cudaERNS_18TensorIteratorBaseESt8optionalIdES5_S5_ENKUlvE0_clEvENKUlvE2_clEvEUlN3c108BFloat16EE_St5arrayIPcLm2EEEEviT0_T1_.has_indirect_call, 0
	.section	.AMDGPU.csdata,"",@progbits
; Kernel info:
; codeLenInByte = 2664
; TotalNumSgprs: 22
; NumVgprs: 14
; NumAgprs: 0
; TotalNumVgprs: 14
; ScratchSize: 0
; MemoryBound: 0
; FloatMode: 240
; IeeeMode: 1
; LDSByteSize: 0 bytes/workgroup (compile time only)
; SGPRBlocks: 2
; VGPRBlocks: 1
; NumSGPRsForWavesPerEU: 22
; NumVGPRsForWavesPerEU: 14
; AccumOffset: 16
; Occupancy: 8
; WaveLimiterHint : 0
; COMPUTE_PGM_RSRC2:SCRATCH_EN: 0
; COMPUTE_PGM_RSRC2:USER_SGPR: 2
; COMPUTE_PGM_RSRC2:TRAP_HANDLER: 0
; COMPUTE_PGM_RSRC2:TGID_X_EN: 1
; COMPUTE_PGM_RSRC2:TGID_Y_EN: 0
; COMPUTE_PGM_RSRC2:TGID_Z_EN: 0
; COMPUTE_PGM_RSRC2:TIDIG_COMP_CNT: 0
; COMPUTE_PGM_RSRC3_GFX90A:ACCUM_OFFSET: 3
; COMPUTE_PGM_RSRC3_GFX90A:TG_SPLIT: 0
	.section	.text._ZN2at6native29vectorized_elementwise_kernelILi4EZZZNS0_22nan_to_num_kernel_cudaERNS_18TensorIteratorBaseESt8optionalIdES5_S5_ENKUlvE0_clEvENKUlvE2_clEvEUlN3c108BFloat16EE_St5arrayIPcLm2EEEEviT0_T1_,"axG",@progbits,_ZN2at6native29vectorized_elementwise_kernelILi4EZZZNS0_22nan_to_num_kernel_cudaERNS_18TensorIteratorBaseESt8optionalIdES5_S5_ENKUlvE0_clEvENKUlvE2_clEvEUlN3c108BFloat16EE_St5arrayIPcLm2EEEEviT0_T1_,comdat
	.globl	_ZN2at6native29vectorized_elementwise_kernelILi4EZZZNS0_22nan_to_num_kernel_cudaERNS_18TensorIteratorBaseESt8optionalIdES5_S5_ENKUlvE0_clEvENKUlvE2_clEvEUlN3c108BFloat16EE_St5arrayIPcLm2EEEEviT0_T1_ ; -- Begin function _ZN2at6native29vectorized_elementwise_kernelILi4EZZZNS0_22nan_to_num_kernel_cudaERNS_18TensorIteratorBaseESt8optionalIdES5_S5_ENKUlvE0_clEvENKUlvE2_clEvEUlN3c108BFloat16EE_St5arrayIPcLm2EEEEviT0_T1_
	.p2align	8
	.type	_ZN2at6native29vectorized_elementwise_kernelILi4EZZZNS0_22nan_to_num_kernel_cudaERNS_18TensorIteratorBaseESt8optionalIdES5_S5_ENKUlvE0_clEvENKUlvE2_clEvEUlN3c108BFloat16EE_St5arrayIPcLm2EEEEviT0_T1_,@function
_ZN2at6native29vectorized_elementwise_kernelILi4EZZZNS0_22nan_to_num_kernel_cudaERNS_18TensorIteratorBaseESt8optionalIdES5_S5_ENKUlvE0_clEvENKUlvE2_clEvEUlN3c108BFloat16EE_St5arrayIPcLm2EEEEviT0_T1_: ; @_ZN2at6native29vectorized_elementwise_kernelILi4EZZZNS0_22nan_to_num_kernel_cudaERNS_18TensorIteratorBaseESt8optionalIdES5_S5_ENKUlvE0_clEvENKUlvE2_clEvEUlN3c108BFloat16EE_St5arrayIPcLm2EEEEviT0_T1_
; %bb.0:
	s_load_dwordx2 s[8:9], s[0:1], 0x0
	s_load_dword s15, s[0:1], 0x8
	s_load_dwordx4 s[4:7], s[0:1], 0x10
	s_lshl_b32 s2, s2, 11
	s_mov_b64 s[0:1], -1
	s_waitcnt lgkmcnt(0)
	s_sub_i32 s14, s8, s2
	s_cmpk_gt_i32 s14, 0x7ff
	s_cbranch_scc0 .LBB532_34
; %bb.1:
	s_ashr_i32 s3, s2, 31
	s_lshr_b32 s8, s9, 16
	s_lshl_b64 s[0:1], s[2:3], 1
	s_add_u32 s10, s6, s0
	s_addc_u32 s11, s7, s1
	v_lshlrev_b32_e32 v1, 3, v0
	global_load_dwordx2 v[4:5], v1, s[10:11]
	global_load_dwordx2 v[2:3], v1, s[10:11] offset:2048
	v_mov_b32_e32 v6, s9
	s_waitcnt vmcnt(1)
	v_lshlrev_b32_e32 v7, 16, v4
	v_cmp_o_f32_e32 vcc, v7, v7
	s_and_saveexec_b64 s[10:11], vcc
	s_cbranch_execz .LBB532_5
; %bb.2:
	s_mov_b32 s3, 0x7f800000
	v_cmp_neq_f32_e32 vcc, s3, v7
	v_mov_b32_e32 v6, s8
	s_and_saveexec_b64 s[12:13], vcc
; %bb.3:
	s_mov_b32 s3, 0xff800000
	v_mov_b32_e32 v6, s15
	v_cmp_eq_f32_e32 vcc, s3, v7
	s_nop 1
	v_cndmask_b32_e32 v6, v4, v6, vcc
; %bb.4:
	s_or_b64 exec, exec, s[12:13]
.LBB532_5:
	s_or_b64 exec, exec, s[10:11]
	v_and_b32_e32 v8, 0xffff0000, v4
	v_cmp_o_f32_e32 vcc, v8, v8
	v_mov_b32_e32 v7, s9
	s_and_saveexec_b64 s[10:11], vcc
	s_cbranch_execz .LBB532_9
; %bb.6:
	s_mov_b32 s3, 0x7f800000
	v_cmp_neq_f32_e32 vcc, s3, v8
	v_mov_b32_e32 v7, s8
	s_and_saveexec_b64 s[12:13], vcc
; %bb.7:
	s_mov_b32 s3, 0xff800000
	v_cmp_eq_f32_e32 vcc, s3, v8
	v_mov_b32_e32 v7, s15
	s_nop 0
	v_cndmask_b32_sdwa v7, v4, v7, vcc dst_sel:DWORD dst_unused:UNUSED_PAD src0_sel:WORD_1 src1_sel:DWORD
; %bb.8:
	s_or_b64 exec, exec, s[12:13]
.LBB532_9:
	s_or_b64 exec, exec, s[10:11]
	v_lshlrev_b32_e32 v8, 16, v5
	v_cmp_o_f32_e32 vcc, v8, v8
	v_mov_b32_e32 v4, s9
	s_and_saveexec_b64 s[10:11], vcc
	s_cbranch_execz .LBB532_13
; %bb.10:
	s_mov_b32 s3, 0x7f800000
	v_cmp_neq_f32_e32 vcc, s3, v8
	v_mov_b32_e32 v4, s8
	s_and_saveexec_b64 s[12:13], vcc
; %bb.11:
	s_mov_b32 s3, 0xff800000
	v_mov_b32_e32 v4, s15
	v_cmp_eq_f32_e32 vcc, s3, v8
	s_nop 1
	v_cndmask_b32_e32 v4, v5, v4, vcc
; %bb.12:
	s_or_b64 exec, exec, s[12:13]
.LBB532_13:
	s_or_b64 exec, exec, s[10:11]
	v_and_b32_e32 v9, 0xffff0000, v5
	v_cmp_o_f32_e32 vcc, v9, v9
	v_mov_b32_e32 v8, s9
	s_and_saveexec_b64 s[10:11], vcc
	s_cbranch_execz .LBB532_17
; %bb.14:
	s_mov_b32 s3, 0x7f800000
	v_cmp_neq_f32_e32 vcc, s3, v9
	v_mov_b32_e32 v8, s8
	s_and_saveexec_b64 s[12:13], vcc
; %bb.15:
	s_mov_b32 s3, 0xff800000
	v_cmp_eq_f32_e32 vcc, s3, v9
	v_mov_b32_e32 v8, s15
	s_nop 0
	v_cndmask_b32_sdwa v8, v5, v8, vcc dst_sel:DWORD dst_unused:UNUSED_PAD src0_sel:WORD_1 src1_sel:DWORD
; %bb.16:
	s_or_b64 exec, exec, s[12:13]
.LBB532_17:
	s_or_b64 exec, exec, s[10:11]
	s_waitcnt vmcnt(0)
	v_lshlrev_b32_e32 v9, 16, v2
	v_cmp_o_f32_e32 vcc, v9, v9
	v_mov_b32_e32 v5, s9
	s_and_saveexec_b64 s[10:11], vcc
	s_cbranch_execz .LBB532_21
; %bb.18:
	s_mov_b32 s3, 0x7f800000
	v_cmp_neq_f32_e32 vcc, s3, v9
	v_mov_b32_e32 v5, s8
	s_and_saveexec_b64 s[12:13], vcc
; %bb.19:
	s_mov_b32 s3, 0xff800000
	v_mov_b32_e32 v5, s15
	v_cmp_eq_f32_e32 vcc, s3, v9
	s_nop 1
	v_cndmask_b32_e32 v5, v2, v5, vcc
; %bb.20:
	s_or_b64 exec, exec, s[12:13]
.LBB532_21:
	s_or_b64 exec, exec, s[10:11]
	v_and_b32_e32 v10, 0xffff0000, v2
	v_cmp_o_f32_e32 vcc, v10, v10
	v_mov_b32_e32 v9, s9
	s_and_saveexec_b64 s[10:11], vcc
	s_cbranch_execz .LBB532_25
; %bb.22:
	s_mov_b32 s3, 0x7f800000
	v_cmp_neq_f32_e32 vcc, s3, v10
	v_mov_b32_e32 v9, s8
	s_and_saveexec_b64 s[12:13], vcc
; %bb.23:
	s_mov_b32 s3, 0xff800000
	v_cmp_eq_f32_e32 vcc, s3, v10
	v_mov_b32_e32 v9, s15
	s_nop 0
	v_cndmask_b32_sdwa v9, v2, v9, vcc dst_sel:DWORD dst_unused:UNUSED_PAD src0_sel:WORD_1 src1_sel:DWORD
; %bb.24:
	s_or_b64 exec, exec, s[12:13]
.LBB532_25:
	s_or_b64 exec, exec, s[10:11]
	v_lshlrev_b32_e32 v10, 16, v3
	v_cmp_o_f32_e32 vcc, v10, v10
	v_mov_b32_e32 v2, s9
	s_and_saveexec_b64 s[10:11], vcc
	s_cbranch_execz .LBB532_29
; %bb.26:
	s_mov_b32 s3, 0x7f800000
	v_cmp_neq_f32_e32 vcc, s3, v10
	v_mov_b32_e32 v2, s8
	s_and_saveexec_b64 s[12:13], vcc
; %bb.27:
	s_mov_b32 s3, 0xff800000
	v_mov_b32_e32 v2, s15
	v_cmp_eq_f32_e32 vcc, s3, v10
	s_nop 1
	v_cndmask_b32_e32 v2, v3, v2, vcc
; %bb.28:
	s_or_b64 exec, exec, s[12:13]
.LBB532_29:
	s_or_b64 exec, exec, s[10:11]
	v_and_b32_e32 v11, 0xffff0000, v3
	v_cmp_o_f32_e32 vcc, v11, v11
	v_mov_b32_e32 v10, s9
	s_and_saveexec_b64 s[10:11], vcc
	s_cbranch_execz .LBB532_33
; %bb.30:
	s_mov_b32 s3, 0x7f800000
	v_cmp_neq_f32_e32 vcc, s3, v11
	v_mov_b32_e32 v10, s8
	s_and_saveexec_b64 s[12:13], vcc
; %bb.31:
	s_mov_b32 s3, 0xff800000
	v_cmp_eq_f32_e32 vcc, s3, v11
	v_mov_b32_e32 v10, s15
	s_nop 0
	v_cndmask_b32_sdwa v10, v3, v10, vcc dst_sel:DWORD dst_unused:UNUSED_PAD src0_sel:WORD_1 src1_sel:DWORD
; %bb.32:
	s_or_b64 exec, exec, s[12:13]
.LBB532_33:
	s_or_b64 exec, exec, s[10:11]
	v_lshlrev_b32_e32 v3, 16, v9
	v_and_b32_e32 v5, 0xffff, v5
	v_or_b32_e32 v9, v3, v5
	v_and_b32_e32 v5, 0xffff, v2
	v_lshlrev_b32_e32 v2, 16, v7
	v_and_b32_e32 v3, 0xffff, v6
	v_or_b32_e32 v2, v2, v3
	v_and_b32_e32 v3, 0xffff, v4
	v_lshlrev_b32_e32 v4, 16, v8
	s_add_u32 s0, s4, s0
	v_or3_b32 v3, v3, 0, v4
	v_or3_b32 v2, 0, v2, 0
	v_lshlrev_b32_e32 v4, 16, v10
	s_addc_u32 s1, s5, s1
	v_or3_b32 v5, v5, 0, v4
	v_or3_b32 v4, 0, v9, 0
	global_store_dwordx2 v1, v[2:3], s[0:1]
	global_store_dwordx2 v1, v[4:5], s[0:1] offset:2048
	s_mov_b64 s[0:1], 0
.LBB532_34:
	s_and_b64 vcc, exec, s[0:1]
	s_cbranch_vccz .LBB532_107
; %bb.35:
	v_cmp_gt_i32_e32 vcc, s14, v0
	v_mov_b32_e32 v8, 0
	v_or_b32_e32 v2, s2, v0
	v_mov_b32_e32 v6, 0
	v_mov_b32_e32 v4, v0
	s_and_saveexec_b64 s[0:1], vcc
	s_cbranch_execz .LBB532_37
; %bb.36:
	v_mov_b32_e32 v3, 0
	v_lshl_add_u64 v[4:5], v[2:3], 1, s[6:7]
	global_load_ushort v6, v[4:5], off
	v_or_b32_e32 v4, 0x100, v0
.LBB532_37:
	s_or_b64 exec, exec, s[0:1]
	v_cmp_gt_i32_e64 s[0:1], s14, v4
	s_and_saveexec_b64 s[10:11], s[0:1]
	s_cbranch_execz .LBB532_39
; %bb.38:
	v_add_u32_e32 v8, s2, v4
	v_mov_b32_e32 v9, 0
	v_lshl_add_u64 v[8:9], v[8:9], 1, s[6:7]
	global_load_ushort v8, v[8:9], off
	v_add_u32_e32 v4, 0x100, v4
.LBB532_39:
	s_or_b64 exec, exec, s[10:11]
	v_cmp_gt_i32_e64 s[0:1], s14, v4
	v_mov_b32_e32 v9, 0
	v_mov_b32_e32 v11, 0
	s_and_saveexec_b64 s[10:11], s[0:1]
	s_cbranch_execz .LBB532_41
; %bb.40:
	v_add_u32_e32 v10, s2, v4
	v_mov_b32_e32 v11, 0
	v_lshl_add_u64 v[10:11], v[10:11], 1, s[6:7]
	global_load_ushort v11, v[10:11], off
	v_add_u32_e32 v4, 0x100, v4
.LBB532_41:
	s_or_b64 exec, exec, s[10:11]
	v_cmp_gt_i32_e64 s[0:1], s14, v4
	s_and_saveexec_b64 s[10:11], s[0:1]
	s_cbranch_execz .LBB532_43
; %bb.42:
	v_add_u32_e32 v12, s2, v4
	v_mov_b32_e32 v13, 0
	v_lshl_add_u64 v[12:13], v[12:13], 1, s[6:7]
	global_load_ushort v9, v[12:13], off
	v_add_u32_e32 v4, 0x100, v4
.LBB532_43:
	s_or_b64 exec, exec, s[10:11]
	v_cmp_gt_i32_e64 s[0:1], s14, v4
	v_mov_b32_e32 v3, 0
	v_mov_b32_e32 v10, 0
	s_and_saveexec_b64 s[10:11], s[0:1]
	s_cbranch_execz .LBB532_45
; %bb.44:
	v_add_u32_e32 v12, s2, v4
	v_mov_b32_e32 v13, 0
	v_lshl_add_u64 v[12:13], v[12:13], 1, s[6:7]
	global_load_ushort v10, v[12:13], off
	v_add_u32_e32 v4, 0x100, v4
.LBB532_45:
	s_or_b64 exec, exec, s[10:11]
	v_cmp_gt_i32_e64 s[0:1], s14, v4
	s_and_saveexec_b64 s[10:11], s[0:1]
	s_cbranch_execz .LBB532_47
; %bb.46:
	v_add_u32_e32 v12, s2, v4
	v_mov_b32_e32 v13, 0
	v_lshl_add_u64 v[12:13], v[12:13], 1, s[6:7]
	global_load_ushort v3, v[12:13], off
	v_add_u32_e32 v4, 0x100, v4
.LBB532_47:
	s_or_b64 exec, exec, s[10:11]
	v_cmp_gt_i32_e64 s[0:1], s14, v4
	v_mov_b32_e32 v1, 0
	v_mov_b32_e32 v5, 0
	s_and_saveexec_b64 s[10:11], s[0:1]
	s_cbranch_execz .LBB532_49
; %bb.48:
	v_add_u32_e32 v12, s2, v4
	v_mov_b32_e32 v13, 0
	v_lshl_add_u64 v[12:13], v[12:13], 1, s[6:7]
	global_load_ushort v5, v[12:13], off
	v_add_u32_e32 v4, 0x100, v4
	s_or_b64 exec, exec, s[10:11]
	v_cmp_gt_i32_e64 s[0:1], s14, v4
	s_and_saveexec_b64 s[10:11], s[0:1]
	s_cbranch_execz .LBB532_51
	s_branch .LBB532_50
.LBB532_49:
	s_or_b64 exec, exec, s[10:11]
	v_cmp_gt_i32_e64 s[0:1], s14, v4
	s_and_saveexec_b64 s[10:11], s[0:1]
	s_cbranch_execz .LBB532_51
.LBB532_50:
	v_add_u32_e32 v12, s2, v4
	v_mov_b32_e32 v13, 0
	v_lshl_add_u64 v[12:13], v[12:13], 1, s[6:7]
	global_load_ushort v1, v[12:13], off
.LBB532_51:
	s_or_b64 exec, exec, s[10:11]
	s_lshr_b32 s3, s9, 16
                                        ; implicit-def: $vgpr4
	s_and_saveexec_b64 s[6:7], vcc
	s_cbranch_execz .LBB532_57
; %bb.52:
	s_waitcnt vmcnt(0)
	v_lshlrev_b32_e32 v7, 16, v6
	v_cmp_o_f32_e64 s[0:1], v7, v7
	v_mov_b32_e32 v4, s9
	s_and_saveexec_b64 s[10:11], s[0:1]
	s_cbranch_execz .LBB532_56
; %bb.53:
	s_mov_b32 s0, 0x7f800000
	v_cmp_neq_f32_e64 s[0:1], s0, v7
	v_mov_b32_e32 v4, s3
	s_and_saveexec_b64 s[12:13], s[0:1]
; %bb.54:
	s_mov_b32 s0, 0xff800000
	v_mov_b32_e32 v4, s15
	v_cmp_eq_f32_e64 s[0:1], s0, v7
	s_nop 1
	v_cndmask_b32_e64 v4, v6, v4, s[0:1]
; %bb.55:
	s_or_b64 exec, exec, s[12:13]
.LBB532_56:
	s_or_b64 exec, exec, s[10:11]
.LBB532_57:
	s_or_b64 exec, exec, s[6:7]
	v_or_b32_e32 v7, 0x100, v0
	v_cmp_gt_i32_e64 s[0:1], s14, v7
                                        ; implicit-def: $vgpr6
	s_and_saveexec_b64 s[6:7], s[0:1]
	s_cbranch_execz .LBB532_63
; %bb.58:
	s_waitcnt vmcnt(0)
	v_lshlrev_b32_e32 v12, 16, v8
	v_cmp_o_f32_e64 s[0:1], v12, v12
	v_mov_b32_e32 v6, s9
	s_and_saveexec_b64 s[10:11], s[0:1]
	s_cbranch_execz .LBB532_62
; %bb.59:
	s_mov_b32 s0, 0x7f800000
	v_cmp_neq_f32_e64 s[0:1], s0, v12
	v_mov_b32_e32 v6, s3
	s_and_saveexec_b64 s[12:13], s[0:1]
; %bb.60:
	s_mov_b32 s0, 0xff800000
	v_mov_b32_e32 v6, s15
	v_cmp_eq_f32_e64 s[0:1], s0, v12
	s_nop 1
	v_cndmask_b32_e64 v6, v8, v6, s[0:1]
; %bb.61:
	s_or_b64 exec, exec, s[12:13]
.LBB532_62:
	s_or_b64 exec, exec, s[10:11]
.LBB532_63:
	s_or_b64 exec, exec, s[6:7]
	s_waitcnt vmcnt(0)
	v_or_b32_e32 v8, 0x200, v0
	v_cmp_gt_i32_e64 s[0:1], s14, v8
                                        ; implicit-def: $vgpr8
	s_and_saveexec_b64 s[6:7], s[0:1]
	s_cbranch_execz .LBB532_69
; %bb.64:
	v_lshlrev_b32_e32 v12, 16, v11
	v_cmp_o_f32_e64 s[0:1], v12, v12
	v_mov_b32_e32 v8, s9
	s_and_saveexec_b64 s[10:11], s[0:1]
	s_cbranch_execz .LBB532_68
; %bb.65:
	s_mov_b32 s0, 0x7f800000
	v_cmp_neq_f32_e64 s[0:1], s0, v12
	v_mov_b32_e32 v8, s3
	s_and_saveexec_b64 s[12:13], s[0:1]
; %bb.66:
	s_mov_b32 s0, 0xff800000
	v_mov_b32_e32 v8, s15
	v_cmp_eq_f32_e64 s[0:1], s0, v12
	s_nop 1
	v_cndmask_b32_e64 v8, v11, v8, s[0:1]
; %bb.67:
	s_or_b64 exec, exec, s[12:13]
.LBB532_68:
	s_or_b64 exec, exec, s[10:11]
.LBB532_69:
	s_or_b64 exec, exec, s[6:7]
	v_or_b32_e32 v11, 0x300, v0
	v_cmp_gt_i32_e64 s[0:1], s14, v11
                                        ; implicit-def: $vgpr11
	s_and_saveexec_b64 s[6:7], s[0:1]
	s_cbranch_execz .LBB532_75
; %bb.70:
	v_lshlrev_b32_e32 v12, 16, v9
	v_cmp_o_f32_e64 s[0:1], v12, v12
	v_mov_b32_e32 v11, s9
	s_and_saveexec_b64 s[10:11], s[0:1]
	s_cbranch_execz .LBB532_74
; %bb.71:
	s_mov_b32 s0, 0x7f800000
	v_cmp_neq_f32_e64 s[0:1], s0, v12
	v_mov_b32_e32 v11, s3
	s_and_saveexec_b64 s[12:13], s[0:1]
; %bb.72:
	s_mov_b32 s0, 0xff800000
	v_mov_b32_e32 v11, s15
	v_cmp_eq_f32_e64 s[0:1], s0, v12
	s_nop 1
	v_cndmask_b32_e64 v11, v9, v11, s[0:1]
; %bb.73:
	s_or_b64 exec, exec, s[12:13]
.LBB532_74:
	s_or_b64 exec, exec, s[10:11]
.LBB532_75:
	s_or_b64 exec, exec, s[6:7]
	v_or_b32_e32 v9, 0x400, v0
	v_cmp_gt_i32_e64 s[0:1], s14, v9
                                        ; implicit-def: $vgpr9
	s_and_saveexec_b64 s[6:7], s[0:1]
	s_cbranch_execz .LBB532_81
; %bb.76:
	v_lshlrev_b32_e32 v12, 16, v10
	v_cmp_o_f32_e64 s[0:1], v12, v12
	v_mov_b32_e32 v9, s9
	s_and_saveexec_b64 s[10:11], s[0:1]
	s_cbranch_execz .LBB532_80
; %bb.77:
	s_mov_b32 s0, 0x7f800000
	v_cmp_neq_f32_e64 s[0:1], s0, v12
	v_mov_b32_e32 v9, s3
	s_and_saveexec_b64 s[12:13], s[0:1]
; %bb.78:
	s_mov_b32 s0, 0xff800000
	v_mov_b32_e32 v9, s15
	v_cmp_eq_f32_e64 s[0:1], s0, v12
	s_nop 1
	v_cndmask_b32_e64 v9, v10, v9, s[0:1]
; %bb.79:
	s_or_b64 exec, exec, s[12:13]
.LBB532_80:
	s_or_b64 exec, exec, s[10:11]
.LBB532_81:
	s_or_b64 exec, exec, s[6:7]
	v_or_b32_e32 v10, 0x500, v0
	v_cmp_gt_i32_e64 s[0:1], s14, v10
                                        ; implicit-def: $vgpr10
	s_and_saveexec_b64 s[6:7], s[0:1]
	s_cbranch_execz .LBB532_87
; %bb.82:
	v_lshlrev_b32_e32 v12, 16, v3
	v_cmp_o_f32_e64 s[0:1], v12, v12
	v_mov_b32_e32 v10, s9
	s_and_saveexec_b64 s[10:11], s[0:1]
	s_cbranch_execz .LBB532_86
; %bb.83:
	s_mov_b32 s0, 0x7f800000
	v_cmp_neq_f32_e64 s[0:1], s0, v12
	v_mov_b32_e32 v10, s3
	s_and_saveexec_b64 s[12:13], s[0:1]
; %bb.84:
	s_mov_b32 s0, 0xff800000
	v_mov_b32_e32 v10, s15
	v_cmp_eq_f32_e64 s[0:1], s0, v12
	s_nop 1
	v_cndmask_b32_e64 v10, v3, v10, s[0:1]
; %bb.85:
	s_or_b64 exec, exec, s[12:13]
.LBB532_86:
	s_or_b64 exec, exec, s[10:11]
.LBB532_87:
	s_or_b64 exec, exec, s[6:7]
	v_or_b32_e32 v3, 0x600, v0
	v_cmp_gt_i32_e64 s[0:1], s14, v3
                                        ; implicit-def: $vgpr12
	s_and_saveexec_b64 s[6:7], s[0:1]
	s_cbranch_execz .LBB532_93
; %bb.88:
	v_lshlrev_b32_e32 v3, 16, v5
	v_cmp_o_f32_e64 s[0:1], v3, v3
	v_mov_b32_e32 v12, s9
	s_and_saveexec_b64 s[10:11], s[0:1]
	s_cbranch_execz .LBB532_92
; %bb.89:
	s_mov_b32 s0, 0x7f800000
	v_cmp_neq_f32_e64 s[0:1], s0, v3
	v_mov_b32_e32 v12, s3
	s_and_saveexec_b64 s[12:13], s[0:1]
; %bb.90:
	s_mov_b32 s0, 0xff800000
	v_mov_b32_e32 v12, s15
	v_cmp_eq_f32_e64 s[0:1], s0, v3
	s_nop 1
	v_cndmask_b32_e64 v12, v5, v12, s[0:1]
; %bb.91:
	s_or_b64 exec, exec, s[12:13]
.LBB532_92:
	s_or_b64 exec, exec, s[10:11]
.LBB532_93:
	s_or_b64 exec, exec, s[6:7]
	v_or_b32_e32 v3, 0x700, v0
	v_cmp_gt_i32_e64 s[0:1], s14, v3
                                        ; implicit-def: $vgpr5
	s_and_saveexec_b64 s[6:7], s[0:1]
	s_cbranch_execz .LBB532_108
; %bb.94:
	v_lshlrev_b32_e32 v3, 16, v1
	v_cmp_o_f32_e64 s[0:1], v3, v3
	v_mov_b32_e32 v5, s9
	s_and_saveexec_b64 s[8:9], s[0:1]
	s_cbranch_execz .LBB532_98
; %bb.95:
	s_mov_b32 s0, 0x7f800000
	v_cmp_neq_f32_e64 s[0:1], s0, v3
	v_mov_b32_e32 v5, s3
	s_and_saveexec_b64 s[10:11], s[0:1]
; %bb.96:
	s_mov_b32 s0, 0xff800000
	v_mov_b32_e32 v5, s15
	v_cmp_eq_f32_e64 s[0:1], s0, v3
	s_nop 1
	v_cndmask_b32_e64 v5, v1, v5, s[0:1]
; %bb.97:
	s_or_b64 exec, exec, s[10:11]
.LBB532_98:
	s_or_b64 exec, exec, s[8:9]
	s_or_b64 exec, exec, s[6:7]
	s_and_saveexec_b64 s[0:1], vcc
	s_xor_b64 s[0:1], exec, s[0:1]
	s_cbranch_execnz .LBB532_109
.LBB532_99:
	s_or_b64 exec, exec, s[0:1]
	v_cmp_gt_i32_e32 vcc, s14, v0
	s_and_saveexec_b64 s[0:1], vcc
	s_cbranch_execz .LBB532_110
.LBB532_100:
	v_add_u32_e32 v2, s2, v0
	v_mov_b32_e32 v3, 0
	v_lshl_add_u64 v[2:3], v[2:3], 1, s[4:5]
	v_add_u32_e32 v0, 0x100, v0
	global_store_short v[2:3], v6, off
	s_or_b64 exec, exec, s[0:1]
	v_cmp_gt_i32_e32 vcc, s14, v0
	s_and_saveexec_b64 s[0:1], vcc
	s_cbranch_execnz .LBB532_111
.LBB532_101:
	s_or_b64 exec, exec, s[0:1]
	v_cmp_gt_i32_e32 vcc, s14, v0
	s_and_saveexec_b64 s[0:1], vcc
	s_cbranch_execz .LBB532_112
.LBB532_102:
	v_add_u32_e32 v2, s2, v0
	v_mov_b32_e32 v3, 0
	v_lshl_add_u64 v[2:3], v[2:3], 1, s[4:5]
	v_add_u32_e32 v0, 0x100, v0
	global_store_short v[2:3], v11, off
	s_or_b64 exec, exec, s[0:1]
	v_cmp_gt_i32_e32 vcc, s14, v0
	s_and_saveexec_b64 s[0:1], vcc
	s_cbranch_execnz .LBB532_113
.LBB532_103:
	s_or_b64 exec, exec, s[0:1]
	v_cmp_gt_i32_e32 vcc, s14, v0
	s_and_saveexec_b64 s[0:1], vcc
	s_cbranch_execz .LBB532_114
.LBB532_104:
	v_add_u32_e32 v2, s2, v0
	v_mov_b32_e32 v3, 0
	v_lshl_add_u64 v[2:3], v[2:3], 1, s[4:5]
	v_add_u32_e32 v0, 0x100, v0
	global_store_short v[2:3], v10, off
	s_or_b64 exec, exec, s[0:1]
	v_cmp_gt_i32_e32 vcc, s14, v0
	s_and_saveexec_b64 s[0:1], vcc
	s_cbranch_execnz .LBB532_115
.LBB532_105:
	s_or_b64 exec, exec, s[0:1]
	v_cmp_gt_i32_e32 vcc, s14, v0
	s_and_saveexec_b64 s[0:1], vcc
	s_cbranch_execz .LBB532_107
.LBB532_106:
	v_add_u32_e32 v0, s2, v0
	v_mov_b32_e32 v1, 0
	v_lshl_add_u64 v[0:1], v[0:1], 1, s[4:5]
	global_store_short v[0:1], v5, off
.LBB532_107:
	s_endpgm
.LBB532_108:
	s_or_b64 exec, exec, s[6:7]
	s_and_saveexec_b64 s[0:1], vcc
	s_xor_b64 s[0:1], exec, s[0:1]
	s_cbranch_execz .LBB532_99
.LBB532_109:
	v_mov_b32_e32 v3, 0
	v_lshl_add_u64 v[0:1], v[2:3], 1, s[4:5]
	global_store_short v[0:1], v4, off
	v_mov_b32_e32 v0, v7
	s_or_b64 exec, exec, s[0:1]
	v_cmp_gt_i32_e32 vcc, s14, v0
	s_and_saveexec_b64 s[0:1], vcc
	s_cbranch_execnz .LBB532_100
.LBB532_110:
	s_or_b64 exec, exec, s[0:1]
	v_cmp_gt_i32_e32 vcc, s14, v0
	s_and_saveexec_b64 s[0:1], vcc
	s_cbranch_execz .LBB532_101
.LBB532_111:
	v_add_u32_e32 v2, s2, v0
	v_mov_b32_e32 v3, 0
	v_lshl_add_u64 v[2:3], v[2:3], 1, s[4:5]
	v_add_u32_e32 v0, 0x100, v0
	global_store_short v[2:3], v8, off
	s_or_b64 exec, exec, s[0:1]
	v_cmp_gt_i32_e32 vcc, s14, v0
	s_and_saveexec_b64 s[0:1], vcc
	s_cbranch_execnz .LBB532_102
.LBB532_112:
	s_or_b64 exec, exec, s[0:1]
	v_cmp_gt_i32_e32 vcc, s14, v0
	s_and_saveexec_b64 s[0:1], vcc
	s_cbranch_execz .LBB532_103
.LBB532_113:
	v_add_u32_e32 v2, s2, v0
	v_mov_b32_e32 v3, 0
	v_lshl_add_u64 v[2:3], v[2:3], 1, s[4:5]
	v_add_u32_e32 v0, 0x100, v0
	global_store_short v[2:3], v9, off
	s_or_b64 exec, exec, s[0:1]
	v_cmp_gt_i32_e32 vcc, s14, v0
	s_and_saveexec_b64 s[0:1], vcc
	s_cbranch_execnz .LBB532_104
.LBB532_114:
	s_or_b64 exec, exec, s[0:1]
	v_cmp_gt_i32_e32 vcc, s14, v0
	s_and_saveexec_b64 s[0:1], vcc
	s_cbranch_execz .LBB532_105
.LBB532_115:
	v_add_u32_e32 v2, s2, v0
	v_mov_b32_e32 v3, 0
	v_lshl_add_u64 v[2:3], v[2:3], 1, s[4:5]
	v_add_u32_e32 v0, 0x100, v0
	global_store_short v[2:3], v12, off
	s_or_b64 exec, exec, s[0:1]
	v_cmp_gt_i32_e32 vcc, s14, v0
	s_and_saveexec_b64 s[0:1], vcc
	s_cbranch_execnz .LBB532_106
	s_branch .LBB532_107
	.section	.rodata,"a",@progbits
	.p2align	6, 0x0
	.amdhsa_kernel _ZN2at6native29vectorized_elementwise_kernelILi4EZZZNS0_22nan_to_num_kernel_cudaERNS_18TensorIteratorBaseESt8optionalIdES5_S5_ENKUlvE0_clEvENKUlvE2_clEvEUlN3c108BFloat16EE_St5arrayIPcLm2EEEEviT0_T1_
		.amdhsa_group_segment_fixed_size 0
		.amdhsa_private_segment_fixed_size 0
		.amdhsa_kernarg_size 32
		.amdhsa_user_sgpr_count 2
		.amdhsa_user_sgpr_dispatch_ptr 0
		.amdhsa_user_sgpr_queue_ptr 0
		.amdhsa_user_sgpr_kernarg_segment_ptr 1
		.amdhsa_user_sgpr_dispatch_id 0
		.amdhsa_user_sgpr_kernarg_preload_length 0
		.amdhsa_user_sgpr_kernarg_preload_offset 0
		.amdhsa_user_sgpr_private_segment_size 0
		.amdhsa_uses_dynamic_stack 0
		.amdhsa_enable_private_segment 0
		.amdhsa_system_sgpr_workgroup_id_x 1
		.amdhsa_system_sgpr_workgroup_id_y 0
		.amdhsa_system_sgpr_workgroup_id_z 0
		.amdhsa_system_sgpr_workgroup_info 0
		.amdhsa_system_vgpr_workitem_id 0
		.amdhsa_next_free_vgpr 14
		.amdhsa_next_free_sgpr 16
		.amdhsa_accum_offset 16
		.amdhsa_reserve_vcc 1
		.amdhsa_float_round_mode_32 0
		.amdhsa_float_round_mode_16_64 0
		.amdhsa_float_denorm_mode_32 3
		.amdhsa_float_denorm_mode_16_64 3
		.amdhsa_dx10_clamp 1
		.amdhsa_ieee_mode 1
		.amdhsa_fp16_overflow 0
		.amdhsa_tg_split 0
		.amdhsa_exception_fp_ieee_invalid_op 0
		.amdhsa_exception_fp_denorm_src 0
		.amdhsa_exception_fp_ieee_div_zero 0
		.amdhsa_exception_fp_ieee_overflow 0
		.amdhsa_exception_fp_ieee_underflow 0
		.amdhsa_exception_fp_ieee_inexact 0
		.amdhsa_exception_int_div_zero 0
	.end_amdhsa_kernel
	.section	.text._ZN2at6native29vectorized_elementwise_kernelILi4EZZZNS0_22nan_to_num_kernel_cudaERNS_18TensorIteratorBaseESt8optionalIdES5_S5_ENKUlvE0_clEvENKUlvE2_clEvEUlN3c108BFloat16EE_St5arrayIPcLm2EEEEviT0_T1_,"axG",@progbits,_ZN2at6native29vectorized_elementwise_kernelILi4EZZZNS0_22nan_to_num_kernel_cudaERNS_18TensorIteratorBaseESt8optionalIdES5_S5_ENKUlvE0_clEvENKUlvE2_clEvEUlN3c108BFloat16EE_St5arrayIPcLm2EEEEviT0_T1_,comdat
.Lfunc_end532:
	.size	_ZN2at6native29vectorized_elementwise_kernelILi4EZZZNS0_22nan_to_num_kernel_cudaERNS_18TensorIteratorBaseESt8optionalIdES5_S5_ENKUlvE0_clEvENKUlvE2_clEvEUlN3c108BFloat16EE_St5arrayIPcLm2EEEEviT0_T1_, .Lfunc_end532-_ZN2at6native29vectorized_elementwise_kernelILi4EZZZNS0_22nan_to_num_kernel_cudaERNS_18TensorIteratorBaseESt8optionalIdES5_S5_ENKUlvE0_clEvENKUlvE2_clEvEUlN3c108BFloat16EE_St5arrayIPcLm2EEEEviT0_T1_
                                        ; -- End function
	.set _ZN2at6native29vectorized_elementwise_kernelILi4EZZZNS0_22nan_to_num_kernel_cudaERNS_18TensorIteratorBaseESt8optionalIdES5_S5_ENKUlvE0_clEvENKUlvE2_clEvEUlN3c108BFloat16EE_St5arrayIPcLm2EEEEviT0_T1_.num_vgpr, 14
	.set _ZN2at6native29vectorized_elementwise_kernelILi4EZZZNS0_22nan_to_num_kernel_cudaERNS_18TensorIteratorBaseESt8optionalIdES5_S5_ENKUlvE0_clEvENKUlvE2_clEvEUlN3c108BFloat16EE_St5arrayIPcLm2EEEEviT0_T1_.num_agpr, 0
	.set _ZN2at6native29vectorized_elementwise_kernelILi4EZZZNS0_22nan_to_num_kernel_cudaERNS_18TensorIteratorBaseESt8optionalIdES5_S5_ENKUlvE0_clEvENKUlvE2_clEvEUlN3c108BFloat16EE_St5arrayIPcLm2EEEEviT0_T1_.numbered_sgpr, 16
	.set _ZN2at6native29vectorized_elementwise_kernelILi4EZZZNS0_22nan_to_num_kernel_cudaERNS_18TensorIteratorBaseESt8optionalIdES5_S5_ENKUlvE0_clEvENKUlvE2_clEvEUlN3c108BFloat16EE_St5arrayIPcLm2EEEEviT0_T1_.num_named_barrier, 0
	.set _ZN2at6native29vectorized_elementwise_kernelILi4EZZZNS0_22nan_to_num_kernel_cudaERNS_18TensorIteratorBaseESt8optionalIdES5_S5_ENKUlvE0_clEvENKUlvE2_clEvEUlN3c108BFloat16EE_St5arrayIPcLm2EEEEviT0_T1_.private_seg_size, 0
	.set _ZN2at6native29vectorized_elementwise_kernelILi4EZZZNS0_22nan_to_num_kernel_cudaERNS_18TensorIteratorBaseESt8optionalIdES5_S5_ENKUlvE0_clEvENKUlvE2_clEvEUlN3c108BFloat16EE_St5arrayIPcLm2EEEEviT0_T1_.uses_vcc, 1
	.set _ZN2at6native29vectorized_elementwise_kernelILi4EZZZNS0_22nan_to_num_kernel_cudaERNS_18TensorIteratorBaseESt8optionalIdES5_S5_ENKUlvE0_clEvENKUlvE2_clEvEUlN3c108BFloat16EE_St5arrayIPcLm2EEEEviT0_T1_.uses_flat_scratch, 0
	.set _ZN2at6native29vectorized_elementwise_kernelILi4EZZZNS0_22nan_to_num_kernel_cudaERNS_18TensorIteratorBaseESt8optionalIdES5_S5_ENKUlvE0_clEvENKUlvE2_clEvEUlN3c108BFloat16EE_St5arrayIPcLm2EEEEviT0_T1_.has_dyn_sized_stack, 0
	.set _ZN2at6native29vectorized_elementwise_kernelILi4EZZZNS0_22nan_to_num_kernel_cudaERNS_18TensorIteratorBaseESt8optionalIdES5_S5_ENKUlvE0_clEvENKUlvE2_clEvEUlN3c108BFloat16EE_St5arrayIPcLm2EEEEviT0_T1_.has_recursion, 0
	.set _ZN2at6native29vectorized_elementwise_kernelILi4EZZZNS0_22nan_to_num_kernel_cudaERNS_18TensorIteratorBaseESt8optionalIdES5_S5_ENKUlvE0_clEvENKUlvE2_clEvEUlN3c108BFloat16EE_St5arrayIPcLm2EEEEviT0_T1_.has_indirect_call, 0
	.section	.AMDGPU.csdata,"",@progbits
; Kernel info:
; codeLenInByte = 2720
; TotalNumSgprs: 22
; NumVgprs: 14
; NumAgprs: 0
; TotalNumVgprs: 14
; ScratchSize: 0
; MemoryBound: 0
; FloatMode: 240
; IeeeMode: 1
; LDSByteSize: 0 bytes/workgroup (compile time only)
; SGPRBlocks: 2
; VGPRBlocks: 1
; NumSGPRsForWavesPerEU: 22
; NumVGPRsForWavesPerEU: 14
; AccumOffset: 16
; Occupancy: 8
; WaveLimiterHint : 1
; COMPUTE_PGM_RSRC2:SCRATCH_EN: 0
; COMPUTE_PGM_RSRC2:USER_SGPR: 2
; COMPUTE_PGM_RSRC2:TRAP_HANDLER: 0
; COMPUTE_PGM_RSRC2:TGID_X_EN: 1
; COMPUTE_PGM_RSRC2:TGID_Y_EN: 0
; COMPUTE_PGM_RSRC2:TGID_Z_EN: 0
; COMPUTE_PGM_RSRC2:TIDIG_COMP_CNT: 0
; COMPUTE_PGM_RSRC3_GFX90A:ACCUM_OFFSET: 3
; COMPUTE_PGM_RSRC3_GFX90A:TG_SPLIT: 0
	.section	.text._ZN2at6native29vectorized_elementwise_kernelILi2EZZZNS0_22nan_to_num_kernel_cudaERNS_18TensorIteratorBaseESt8optionalIdES5_S5_ENKUlvE0_clEvENKUlvE2_clEvEUlN3c108BFloat16EE_St5arrayIPcLm2EEEEviT0_T1_,"axG",@progbits,_ZN2at6native29vectorized_elementwise_kernelILi2EZZZNS0_22nan_to_num_kernel_cudaERNS_18TensorIteratorBaseESt8optionalIdES5_S5_ENKUlvE0_clEvENKUlvE2_clEvEUlN3c108BFloat16EE_St5arrayIPcLm2EEEEviT0_T1_,comdat
	.globl	_ZN2at6native29vectorized_elementwise_kernelILi2EZZZNS0_22nan_to_num_kernel_cudaERNS_18TensorIteratorBaseESt8optionalIdES5_S5_ENKUlvE0_clEvENKUlvE2_clEvEUlN3c108BFloat16EE_St5arrayIPcLm2EEEEviT0_T1_ ; -- Begin function _ZN2at6native29vectorized_elementwise_kernelILi2EZZZNS0_22nan_to_num_kernel_cudaERNS_18TensorIteratorBaseESt8optionalIdES5_S5_ENKUlvE0_clEvENKUlvE2_clEvEUlN3c108BFloat16EE_St5arrayIPcLm2EEEEviT0_T1_
	.p2align	8
	.type	_ZN2at6native29vectorized_elementwise_kernelILi2EZZZNS0_22nan_to_num_kernel_cudaERNS_18TensorIteratorBaseESt8optionalIdES5_S5_ENKUlvE0_clEvENKUlvE2_clEvEUlN3c108BFloat16EE_St5arrayIPcLm2EEEEviT0_T1_,@function
_ZN2at6native29vectorized_elementwise_kernelILi2EZZZNS0_22nan_to_num_kernel_cudaERNS_18TensorIteratorBaseESt8optionalIdES5_S5_ENKUlvE0_clEvENKUlvE2_clEvEUlN3c108BFloat16EE_St5arrayIPcLm2EEEEviT0_T1_: ; @_ZN2at6native29vectorized_elementwise_kernelILi2EZZZNS0_22nan_to_num_kernel_cudaERNS_18TensorIteratorBaseESt8optionalIdES5_S5_ENKUlvE0_clEvENKUlvE2_clEvEUlN3c108BFloat16EE_St5arrayIPcLm2EEEEviT0_T1_
; %bb.0:
	s_load_dword s3, s[0:1], 0x8
	s_load_dwordx2 s[8:9], s[0:1], 0x0
	s_load_dwordx4 s[4:7], s[0:1], 0x10
	s_lshl_b32 s2, s2, 11
	s_mov_b64 s[0:1], -1
	s_waitcnt lgkmcnt(0)
	s_and_b32 s15, s3, 0xffff
	s_sub_i32 s14, s8, s2
	s_cmpk_gt_i32 s14, 0x7ff
	s_cbranch_scc0 .LBB533_34
; %bb.1:
	s_ashr_i32 s3, s2, 31
	s_lshr_b32 s8, s9, 16
	s_lshl_b64 s[0:1], s[2:3], 1
	s_add_u32 s10, s6, s0
	s_addc_u32 s11, s7, s1
	v_lshlrev_b32_e32 v1, 2, v0
	global_load_dword v6, v1, s[10:11]
	global_load_dword v8, v1, s[10:11] offset:1024
	global_load_dword v5, v1, s[10:11] offset:2048
	;; [unrolled: 1-line block ×3, first 2 shown]
	v_mov_b32_e32 v2, s9
	s_waitcnt vmcnt(3)
	v_lshlrev_b32_e32 v4, 16, v6
	v_cmp_o_f32_e32 vcc, v4, v4
	s_and_saveexec_b64 s[10:11], vcc
	s_cbranch_execz .LBB533_5
; %bb.2:
	s_mov_b32 s3, 0x7f800000
	v_cmp_neq_f32_e32 vcc, s3, v4
	v_mov_b32_e32 v2, s8
	s_and_saveexec_b64 s[12:13], vcc
; %bb.3:
	s_mov_b32 s3, 0xff800000
	v_mov_b32_e32 v2, s15
	v_cmp_eq_f32_e32 vcc, s3, v4
	s_nop 1
	v_cndmask_b32_e32 v2, v6, v2, vcc
; %bb.4:
	s_or_b64 exec, exec, s[12:13]
.LBB533_5:
	s_or_b64 exec, exec, s[10:11]
	v_and_b32_e32 v7, 0xffff0000, v6
	v_cmp_o_f32_e32 vcc, v7, v7
	v_mov_b32_e32 v4, s9
	s_and_saveexec_b64 s[10:11], vcc
	s_cbranch_execz .LBB533_9
; %bb.6:
	s_mov_b32 s3, 0x7f800000
	v_cmp_neq_f32_e32 vcc, s3, v7
	v_mov_b32_e32 v4, s8
	s_and_saveexec_b64 s[12:13], vcc
; %bb.7:
	s_mov_b32 s3, 0xff800000
	v_cmp_eq_f32_e32 vcc, s3, v7
	v_mov_b32_e32 v4, s15
	s_nop 0
	v_cndmask_b32_sdwa v4, v6, v4, vcc dst_sel:DWORD dst_unused:UNUSED_PAD src0_sel:WORD_1 src1_sel:DWORD
; %bb.8:
	s_or_b64 exec, exec, s[12:13]
.LBB533_9:
	s_or_b64 exec, exec, s[10:11]
	s_waitcnt vmcnt(2)
	v_lshlrev_b32_e32 v7, 16, v8
	v_cmp_o_f32_e32 vcc, v7, v7
	v_mov_b32_e32 v6, s9
	s_and_saveexec_b64 s[10:11], vcc
	s_cbranch_execz .LBB533_13
; %bb.10:
	s_mov_b32 s3, 0x7f800000
	v_cmp_neq_f32_e32 vcc, s3, v7
	v_mov_b32_e32 v6, s8
	s_and_saveexec_b64 s[12:13], vcc
; %bb.11:
	s_mov_b32 s3, 0xff800000
	v_mov_b32_e32 v6, s15
	v_cmp_eq_f32_e32 vcc, s3, v7
	s_nop 1
	v_cndmask_b32_e32 v6, v8, v6, vcc
; %bb.12:
	s_or_b64 exec, exec, s[12:13]
.LBB533_13:
	s_or_b64 exec, exec, s[10:11]
	v_and_b32_e32 v9, 0xffff0000, v8
	v_cmp_o_f32_e32 vcc, v9, v9
	v_mov_b32_e32 v7, s9
	s_and_saveexec_b64 s[10:11], vcc
	s_cbranch_execz .LBB533_17
; %bb.14:
	s_mov_b32 s3, 0x7f800000
	v_cmp_neq_f32_e32 vcc, s3, v9
	v_mov_b32_e32 v7, s8
	s_and_saveexec_b64 s[12:13], vcc
; %bb.15:
	s_mov_b32 s3, 0xff800000
	v_cmp_eq_f32_e32 vcc, s3, v9
	v_mov_b32_e32 v7, s15
	s_nop 0
	v_cndmask_b32_sdwa v7, v8, v7, vcc dst_sel:DWORD dst_unused:UNUSED_PAD src0_sel:WORD_1 src1_sel:DWORD
; %bb.16:
	s_or_b64 exec, exec, s[12:13]
.LBB533_17:
	s_or_b64 exec, exec, s[10:11]
	s_waitcnt vmcnt(1)
	v_lshlrev_b32_e32 v9, 16, v5
	v_cmp_o_f32_e32 vcc, v9, v9
	v_mov_b32_e32 v8, s9
	;; [unrolled: 41-line block ×3, first 2 shown]
	s_and_saveexec_b64 s[10:11], vcc
	s_cbranch_execz .LBB533_29
; %bb.26:
	s_mov_b32 s3, 0x7f800000
	v_cmp_neq_f32_e32 vcc, s3, v10
	v_mov_b32_e32 v5, s8
	s_and_saveexec_b64 s[12:13], vcc
; %bb.27:
	s_mov_b32 s3, 0xff800000
	v_mov_b32_e32 v5, s15
	v_cmp_eq_f32_e32 vcc, s3, v10
	s_nop 1
	v_cndmask_b32_e32 v5, v3, v5, vcc
; %bb.28:
	s_or_b64 exec, exec, s[12:13]
.LBB533_29:
	s_or_b64 exec, exec, s[10:11]
	v_and_b32_e32 v11, 0xffff0000, v3
	v_cmp_o_f32_e32 vcc, v11, v11
	v_mov_b32_e32 v10, s9
	s_and_saveexec_b64 s[10:11], vcc
	s_cbranch_execz .LBB533_33
; %bb.30:
	s_mov_b32 s3, 0x7f800000
	v_cmp_neq_f32_e32 vcc, s3, v11
	v_mov_b32_e32 v10, s8
	s_and_saveexec_b64 s[12:13], vcc
; %bb.31:
	s_mov_b32 s3, 0xff800000
	v_cmp_eq_f32_e32 vcc, s3, v11
	v_mov_b32_e32 v10, s15
	s_nop 0
	v_cndmask_b32_sdwa v10, v3, v10, vcc dst_sel:DWORD dst_unused:UNUSED_PAD src0_sel:WORD_1 src1_sel:DWORD
; %bb.32:
	s_or_b64 exec, exec, s[12:13]
.LBB533_33:
	s_or_b64 exec, exec, s[10:11]
	v_and_b32_e32 v2, 0xffff, v2
	s_add_u32 s0, s4, s0
	v_and_b32_e32 v3, 0xffff, v5
	v_and_b32_e32 v5, 0xffff, v8
	;; [unrolled: 1-line block ×3, first 2 shown]
	v_lshl_or_b32 v2, v4, 16, v2
	s_addc_u32 s1, s5, s1
	v_lshl_or_b32 v5, v9, 16, v5
	v_lshl_or_b32 v6, v7, 16, v6
	;; [unrolled: 1-line block ×3, first 2 shown]
	global_store_dword v1, v2, s[0:1]
	global_store_dword v1, v6, s[0:1] offset:1024
	global_store_dword v1, v5, s[0:1] offset:2048
	;; [unrolled: 1-line block ×3, first 2 shown]
	s_mov_b64 s[0:1], 0
.LBB533_34:
	s_and_b64 vcc, exec, s[0:1]
	s_cbranch_vccz .LBB533_107
; %bb.35:
	v_cmp_gt_i32_e32 vcc, s14, v0
	v_mov_b32_e32 v8, 0
	v_or_b32_e32 v2, s2, v0
	v_mov_b32_e32 v6, 0
	v_mov_b32_e32 v4, v0
	s_and_saveexec_b64 s[0:1], vcc
	s_cbranch_execz .LBB533_37
; %bb.36:
	v_mov_b32_e32 v3, 0
	v_lshl_add_u64 v[4:5], v[2:3], 1, s[6:7]
	global_load_ushort v6, v[4:5], off
	v_or_b32_e32 v4, 0x100, v0
.LBB533_37:
	s_or_b64 exec, exec, s[0:1]
	v_cmp_gt_i32_e64 s[0:1], s14, v4
	s_and_saveexec_b64 s[10:11], s[0:1]
	s_cbranch_execz .LBB533_39
; %bb.38:
	v_add_u32_e32 v8, s2, v4
	v_mov_b32_e32 v9, 0
	v_lshl_add_u64 v[8:9], v[8:9], 1, s[6:7]
	global_load_ushort v8, v[8:9], off
	v_add_u32_e32 v4, 0x100, v4
.LBB533_39:
	s_or_b64 exec, exec, s[10:11]
	v_cmp_gt_i32_e64 s[0:1], s14, v4
	v_mov_b32_e32 v9, 0
	v_mov_b32_e32 v11, 0
	s_and_saveexec_b64 s[10:11], s[0:1]
	s_cbranch_execz .LBB533_41
; %bb.40:
	v_add_u32_e32 v10, s2, v4
	v_mov_b32_e32 v11, 0
	v_lshl_add_u64 v[10:11], v[10:11], 1, s[6:7]
	global_load_ushort v11, v[10:11], off
	v_add_u32_e32 v4, 0x100, v4
.LBB533_41:
	s_or_b64 exec, exec, s[10:11]
	v_cmp_gt_i32_e64 s[0:1], s14, v4
	s_and_saveexec_b64 s[10:11], s[0:1]
	s_cbranch_execz .LBB533_43
; %bb.42:
	v_add_u32_e32 v12, s2, v4
	v_mov_b32_e32 v13, 0
	v_lshl_add_u64 v[12:13], v[12:13], 1, s[6:7]
	global_load_ushort v9, v[12:13], off
	v_add_u32_e32 v4, 0x100, v4
.LBB533_43:
	s_or_b64 exec, exec, s[10:11]
	v_cmp_gt_i32_e64 s[0:1], s14, v4
	v_mov_b32_e32 v3, 0
	v_mov_b32_e32 v10, 0
	s_and_saveexec_b64 s[10:11], s[0:1]
	s_cbranch_execz .LBB533_45
; %bb.44:
	v_add_u32_e32 v12, s2, v4
	v_mov_b32_e32 v13, 0
	v_lshl_add_u64 v[12:13], v[12:13], 1, s[6:7]
	global_load_ushort v10, v[12:13], off
	v_add_u32_e32 v4, 0x100, v4
.LBB533_45:
	s_or_b64 exec, exec, s[10:11]
	v_cmp_gt_i32_e64 s[0:1], s14, v4
	s_and_saveexec_b64 s[10:11], s[0:1]
	s_cbranch_execz .LBB533_47
; %bb.46:
	v_add_u32_e32 v12, s2, v4
	v_mov_b32_e32 v13, 0
	v_lshl_add_u64 v[12:13], v[12:13], 1, s[6:7]
	global_load_ushort v3, v[12:13], off
	v_add_u32_e32 v4, 0x100, v4
.LBB533_47:
	s_or_b64 exec, exec, s[10:11]
	v_cmp_gt_i32_e64 s[0:1], s14, v4
	v_mov_b32_e32 v1, 0
	v_mov_b32_e32 v5, 0
	s_and_saveexec_b64 s[10:11], s[0:1]
	s_cbranch_execz .LBB533_49
; %bb.48:
	v_add_u32_e32 v12, s2, v4
	v_mov_b32_e32 v13, 0
	v_lshl_add_u64 v[12:13], v[12:13], 1, s[6:7]
	global_load_ushort v5, v[12:13], off
	v_add_u32_e32 v4, 0x100, v4
	s_or_b64 exec, exec, s[10:11]
	v_cmp_gt_i32_e64 s[0:1], s14, v4
	s_and_saveexec_b64 s[10:11], s[0:1]
	s_cbranch_execz .LBB533_51
	s_branch .LBB533_50
.LBB533_49:
	s_or_b64 exec, exec, s[10:11]
	v_cmp_gt_i32_e64 s[0:1], s14, v4
	s_and_saveexec_b64 s[10:11], s[0:1]
	s_cbranch_execz .LBB533_51
.LBB533_50:
	v_add_u32_e32 v12, s2, v4
	v_mov_b32_e32 v13, 0
	v_lshl_add_u64 v[12:13], v[12:13], 1, s[6:7]
	global_load_ushort v1, v[12:13], off
.LBB533_51:
	s_or_b64 exec, exec, s[10:11]
	s_lshr_b32 s3, s9, 16
                                        ; implicit-def: $vgpr4
	s_and_saveexec_b64 s[6:7], vcc
	s_cbranch_execz .LBB533_57
; %bb.52:
	s_waitcnt vmcnt(0)
	v_lshlrev_b32_e32 v7, 16, v6
	v_cmp_o_f32_e64 s[0:1], v7, v7
	v_mov_b32_e32 v4, s9
	s_and_saveexec_b64 s[10:11], s[0:1]
	s_cbranch_execz .LBB533_56
; %bb.53:
	s_mov_b32 s0, 0x7f800000
	v_cmp_neq_f32_e64 s[0:1], s0, v7
	v_mov_b32_e32 v4, s3
	s_and_saveexec_b64 s[12:13], s[0:1]
; %bb.54:
	s_mov_b32 s0, 0xff800000
	v_mov_b32_e32 v4, s15
	v_cmp_eq_f32_e64 s[0:1], s0, v7
	s_nop 1
	v_cndmask_b32_e64 v4, v6, v4, s[0:1]
; %bb.55:
	s_or_b64 exec, exec, s[12:13]
.LBB533_56:
	s_or_b64 exec, exec, s[10:11]
.LBB533_57:
	s_or_b64 exec, exec, s[6:7]
	v_or_b32_e32 v7, 0x100, v0
	v_cmp_gt_i32_e64 s[0:1], s14, v7
                                        ; implicit-def: $vgpr6
	s_and_saveexec_b64 s[6:7], s[0:1]
	s_cbranch_execz .LBB533_63
; %bb.58:
	s_waitcnt vmcnt(0)
	v_lshlrev_b32_e32 v12, 16, v8
	v_cmp_o_f32_e64 s[0:1], v12, v12
	v_mov_b32_e32 v6, s9
	s_and_saveexec_b64 s[10:11], s[0:1]
	s_cbranch_execz .LBB533_62
; %bb.59:
	s_mov_b32 s0, 0x7f800000
	v_cmp_neq_f32_e64 s[0:1], s0, v12
	v_mov_b32_e32 v6, s3
	s_and_saveexec_b64 s[12:13], s[0:1]
; %bb.60:
	s_mov_b32 s0, 0xff800000
	v_mov_b32_e32 v6, s15
	v_cmp_eq_f32_e64 s[0:1], s0, v12
	s_nop 1
	v_cndmask_b32_e64 v6, v8, v6, s[0:1]
; %bb.61:
	s_or_b64 exec, exec, s[12:13]
.LBB533_62:
	s_or_b64 exec, exec, s[10:11]
.LBB533_63:
	s_or_b64 exec, exec, s[6:7]
	s_waitcnt vmcnt(0)
	v_or_b32_e32 v8, 0x200, v0
	v_cmp_gt_i32_e64 s[0:1], s14, v8
                                        ; implicit-def: $vgpr8
	s_and_saveexec_b64 s[6:7], s[0:1]
	s_cbranch_execz .LBB533_69
; %bb.64:
	v_lshlrev_b32_e32 v12, 16, v11
	v_cmp_o_f32_e64 s[0:1], v12, v12
	v_mov_b32_e32 v8, s9
	s_and_saveexec_b64 s[10:11], s[0:1]
	s_cbranch_execz .LBB533_68
; %bb.65:
	s_mov_b32 s0, 0x7f800000
	v_cmp_neq_f32_e64 s[0:1], s0, v12
	v_mov_b32_e32 v8, s3
	s_and_saveexec_b64 s[12:13], s[0:1]
; %bb.66:
	s_mov_b32 s0, 0xff800000
	v_mov_b32_e32 v8, s15
	v_cmp_eq_f32_e64 s[0:1], s0, v12
	s_nop 1
	v_cndmask_b32_e64 v8, v11, v8, s[0:1]
; %bb.67:
	s_or_b64 exec, exec, s[12:13]
.LBB533_68:
	s_or_b64 exec, exec, s[10:11]
.LBB533_69:
	s_or_b64 exec, exec, s[6:7]
	v_or_b32_e32 v11, 0x300, v0
	v_cmp_gt_i32_e64 s[0:1], s14, v11
                                        ; implicit-def: $vgpr11
	s_and_saveexec_b64 s[6:7], s[0:1]
	s_cbranch_execz .LBB533_75
; %bb.70:
	v_lshlrev_b32_e32 v12, 16, v9
	v_cmp_o_f32_e64 s[0:1], v12, v12
	v_mov_b32_e32 v11, s9
	s_and_saveexec_b64 s[10:11], s[0:1]
	s_cbranch_execz .LBB533_74
; %bb.71:
	s_mov_b32 s0, 0x7f800000
	v_cmp_neq_f32_e64 s[0:1], s0, v12
	v_mov_b32_e32 v11, s3
	s_and_saveexec_b64 s[12:13], s[0:1]
; %bb.72:
	s_mov_b32 s0, 0xff800000
	v_mov_b32_e32 v11, s15
	v_cmp_eq_f32_e64 s[0:1], s0, v12
	s_nop 1
	v_cndmask_b32_e64 v11, v9, v11, s[0:1]
; %bb.73:
	s_or_b64 exec, exec, s[12:13]
.LBB533_74:
	s_or_b64 exec, exec, s[10:11]
.LBB533_75:
	s_or_b64 exec, exec, s[6:7]
	v_or_b32_e32 v9, 0x400, v0
	v_cmp_gt_i32_e64 s[0:1], s14, v9
                                        ; implicit-def: $vgpr9
	s_and_saveexec_b64 s[6:7], s[0:1]
	s_cbranch_execz .LBB533_81
; %bb.76:
	v_lshlrev_b32_e32 v12, 16, v10
	v_cmp_o_f32_e64 s[0:1], v12, v12
	v_mov_b32_e32 v9, s9
	s_and_saveexec_b64 s[10:11], s[0:1]
	s_cbranch_execz .LBB533_80
; %bb.77:
	s_mov_b32 s0, 0x7f800000
	v_cmp_neq_f32_e64 s[0:1], s0, v12
	v_mov_b32_e32 v9, s3
	s_and_saveexec_b64 s[12:13], s[0:1]
; %bb.78:
	s_mov_b32 s0, 0xff800000
	v_mov_b32_e32 v9, s15
	v_cmp_eq_f32_e64 s[0:1], s0, v12
	s_nop 1
	v_cndmask_b32_e64 v9, v10, v9, s[0:1]
; %bb.79:
	s_or_b64 exec, exec, s[12:13]
.LBB533_80:
	s_or_b64 exec, exec, s[10:11]
.LBB533_81:
	s_or_b64 exec, exec, s[6:7]
	v_or_b32_e32 v10, 0x500, v0
	v_cmp_gt_i32_e64 s[0:1], s14, v10
                                        ; implicit-def: $vgpr10
	s_and_saveexec_b64 s[6:7], s[0:1]
	s_cbranch_execz .LBB533_87
; %bb.82:
	v_lshlrev_b32_e32 v12, 16, v3
	v_cmp_o_f32_e64 s[0:1], v12, v12
	v_mov_b32_e32 v10, s9
	s_and_saveexec_b64 s[10:11], s[0:1]
	s_cbranch_execz .LBB533_86
; %bb.83:
	s_mov_b32 s0, 0x7f800000
	v_cmp_neq_f32_e64 s[0:1], s0, v12
	v_mov_b32_e32 v10, s3
	s_and_saveexec_b64 s[12:13], s[0:1]
; %bb.84:
	s_mov_b32 s0, 0xff800000
	v_mov_b32_e32 v10, s15
	v_cmp_eq_f32_e64 s[0:1], s0, v12
	s_nop 1
	v_cndmask_b32_e64 v10, v3, v10, s[0:1]
; %bb.85:
	s_or_b64 exec, exec, s[12:13]
.LBB533_86:
	s_or_b64 exec, exec, s[10:11]
.LBB533_87:
	s_or_b64 exec, exec, s[6:7]
	v_or_b32_e32 v3, 0x600, v0
	v_cmp_gt_i32_e64 s[0:1], s14, v3
                                        ; implicit-def: $vgpr12
	s_and_saveexec_b64 s[6:7], s[0:1]
	s_cbranch_execz .LBB533_93
; %bb.88:
	v_lshlrev_b32_e32 v3, 16, v5
	v_cmp_o_f32_e64 s[0:1], v3, v3
	v_mov_b32_e32 v12, s9
	s_and_saveexec_b64 s[10:11], s[0:1]
	s_cbranch_execz .LBB533_92
; %bb.89:
	s_mov_b32 s0, 0x7f800000
	v_cmp_neq_f32_e64 s[0:1], s0, v3
	v_mov_b32_e32 v12, s3
	s_and_saveexec_b64 s[12:13], s[0:1]
; %bb.90:
	s_mov_b32 s0, 0xff800000
	v_mov_b32_e32 v12, s15
	v_cmp_eq_f32_e64 s[0:1], s0, v3
	s_nop 1
	v_cndmask_b32_e64 v12, v5, v12, s[0:1]
; %bb.91:
	s_or_b64 exec, exec, s[12:13]
.LBB533_92:
	s_or_b64 exec, exec, s[10:11]
.LBB533_93:
	s_or_b64 exec, exec, s[6:7]
	v_or_b32_e32 v3, 0x700, v0
	v_cmp_gt_i32_e64 s[0:1], s14, v3
                                        ; implicit-def: $vgpr5
	s_and_saveexec_b64 s[6:7], s[0:1]
	s_cbranch_execz .LBB533_108
; %bb.94:
	v_lshlrev_b32_e32 v3, 16, v1
	v_cmp_o_f32_e64 s[0:1], v3, v3
	v_mov_b32_e32 v5, s9
	s_and_saveexec_b64 s[8:9], s[0:1]
	s_cbranch_execz .LBB533_98
; %bb.95:
	s_mov_b32 s0, 0x7f800000
	v_cmp_neq_f32_e64 s[0:1], s0, v3
	v_mov_b32_e32 v5, s3
	s_and_saveexec_b64 s[10:11], s[0:1]
; %bb.96:
	s_mov_b32 s0, 0xff800000
	v_mov_b32_e32 v5, s15
	v_cmp_eq_f32_e64 s[0:1], s0, v3
	s_nop 1
	v_cndmask_b32_e64 v5, v1, v5, s[0:1]
; %bb.97:
	s_or_b64 exec, exec, s[10:11]
.LBB533_98:
	s_or_b64 exec, exec, s[8:9]
	s_or_b64 exec, exec, s[6:7]
	s_and_saveexec_b64 s[0:1], vcc
	s_xor_b64 s[0:1], exec, s[0:1]
	s_cbranch_execnz .LBB533_109
.LBB533_99:
	s_or_b64 exec, exec, s[0:1]
	v_cmp_gt_i32_e32 vcc, s14, v0
	s_and_saveexec_b64 s[0:1], vcc
	s_cbranch_execz .LBB533_110
.LBB533_100:
	v_add_u32_e32 v2, s2, v0
	v_mov_b32_e32 v3, 0
	v_lshl_add_u64 v[2:3], v[2:3], 1, s[4:5]
	v_add_u32_e32 v0, 0x100, v0
	global_store_short v[2:3], v6, off
	s_or_b64 exec, exec, s[0:1]
	v_cmp_gt_i32_e32 vcc, s14, v0
	s_and_saveexec_b64 s[0:1], vcc
	s_cbranch_execnz .LBB533_111
.LBB533_101:
	s_or_b64 exec, exec, s[0:1]
	v_cmp_gt_i32_e32 vcc, s14, v0
	s_and_saveexec_b64 s[0:1], vcc
	s_cbranch_execz .LBB533_112
.LBB533_102:
	v_add_u32_e32 v2, s2, v0
	v_mov_b32_e32 v3, 0
	v_lshl_add_u64 v[2:3], v[2:3], 1, s[4:5]
	v_add_u32_e32 v0, 0x100, v0
	global_store_short v[2:3], v11, off
	s_or_b64 exec, exec, s[0:1]
	v_cmp_gt_i32_e32 vcc, s14, v0
	s_and_saveexec_b64 s[0:1], vcc
	s_cbranch_execnz .LBB533_113
.LBB533_103:
	s_or_b64 exec, exec, s[0:1]
	v_cmp_gt_i32_e32 vcc, s14, v0
	s_and_saveexec_b64 s[0:1], vcc
	s_cbranch_execz .LBB533_114
.LBB533_104:
	v_add_u32_e32 v2, s2, v0
	v_mov_b32_e32 v3, 0
	v_lshl_add_u64 v[2:3], v[2:3], 1, s[4:5]
	v_add_u32_e32 v0, 0x100, v0
	global_store_short v[2:3], v10, off
	s_or_b64 exec, exec, s[0:1]
	v_cmp_gt_i32_e32 vcc, s14, v0
	s_and_saveexec_b64 s[0:1], vcc
	s_cbranch_execnz .LBB533_115
.LBB533_105:
	s_or_b64 exec, exec, s[0:1]
	v_cmp_gt_i32_e32 vcc, s14, v0
	s_and_saveexec_b64 s[0:1], vcc
	s_cbranch_execz .LBB533_107
.LBB533_106:
	v_add_u32_e32 v0, s2, v0
	v_mov_b32_e32 v1, 0
	v_lshl_add_u64 v[0:1], v[0:1], 1, s[4:5]
	global_store_short v[0:1], v5, off
.LBB533_107:
	s_endpgm
.LBB533_108:
	s_or_b64 exec, exec, s[6:7]
	s_and_saveexec_b64 s[0:1], vcc
	s_xor_b64 s[0:1], exec, s[0:1]
	s_cbranch_execz .LBB533_99
.LBB533_109:
	v_mov_b32_e32 v3, 0
	v_lshl_add_u64 v[0:1], v[2:3], 1, s[4:5]
	global_store_short v[0:1], v4, off
	v_mov_b32_e32 v0, v7
	s_or_b64 exec, exec, s[0:1]
	v_cmp_gt_i32_e32 vcc, s14, v0
	s_and_saveexec_b64 s[0:1], vcc
	s_cbranch_execnz .LBB533_100
.LBB533_110:
	s_or_b64 exec, exec, s[0:1]
	v_cmp_gt_i32_e32 vcc, s14, v0
	s_and_saveexec_b64 s[0:1], vcc
	s_cbranch_execz .LBB533_101
.LBB533_111:
	v_add_u32_e32 v2, s2, v0
	v_mov_b32_e32 v3, 0
	v_lshl_add_u64 v[2:3], v[2:3], 1, s[4:5]
	v_add_u32_e32 v0, 0x100, v0
	global_store_short v[2:3], v8, off
	s_or_b64 exec, exec, s[0:1]
	v_cmp_gt_i32_e32 vcc, s14, v0
	s_and_saveexec_b64 s[0:1], vcc
	s_cbranch_execnz .LBB533_102
.LBB533_112:
	s_or_b64 exec, exec, s[0:1]
	v_cmp_gt_i32_e32 vcc, s14, v0
	s_and_saveexec_b64 s[0:1], vcc
	s_cbranch_execz .LBB533_103
.LBB533_113:
	v_add_u32_e32 v2, s2, v0
	v_mov_b32_e32 v3, 0
	v_lshl_add_u64 v[2:3], v[2:3], 1, s[4:5]
	v_add_u32_e32 v0, 0x100, v0
	global_store_short v[2:3], v9, off
	s_or_b64 exec, exec, s[0:1]
	v_cmp_gt_i32_e32 vcc, s14, v0
	s_and_saveexec_b64 s[0:1], vcc
	s_cbranch_execnz .LBB533_104
.LBB533_114:
	s_or_b64 exec, exec, s[0:1]
	v_cmp_gt_i32_e32 vcc, s14, v0
	s_and_saveexec_b64 s[0:1], vcc
	s_cbranch_execz .LBB533_105
.LBB533_115:
	v_add_u32_e32 v2, s2, v0
	v_mov_b32_e32 v3, 0
	v_lshl_add_u64 v[2:3], v[2:3], 1, s[4:5]
	v_add_u32_e32 v0, 0x100, v0
	global_store_short v[2:3], v12, off
	s_or_b64 exec, exec, s[0:1]
	v_cmp_gt_i32_e32 vcc, s14, v0
	s_and_saveexec_b64 s[0:1], vcc
	s_cbranch_execnz .LBB533_106
	s_branch .LBB533_107
	.section	.rodata,"a",@progbits
	.p2align	6, 0x0
	.amdhsa_kernel _ZN2at6native29vectorized_elementwise_kernelILi2EZZZNS0_22nan_to_num_kernel_cudaERNS_18TensorIteratorBaseESt8optionalIdES5_S5_ENKUlvE0_clEvENKUlvE2_clEvEUlN3c108BFloat16EE_St5arrayIPcLm2EEEEviT0_T1_
		.amdhsa_group_segment_fixed_size 0
		.amdhsa_private_segment_fixed_size 0
		.amdhsa_kernarg_size 32
		.amdhsa_user_sgpr_count 2
		.amdhsa_user_sgpr_dispatch_ptr 0
		.amdhsa_user_sgpr_queue_ptr 0
		.amdhsa_user_sgpr_kernarg_segment_ptr 1
		.amdhsa_user_sgpr_dispatch_id 0
		.amdhsa_user_sgpr_kernarg_preload_length 0
		.amdhsa_user_sgpr_kernarg_preload_offset 0
		.amdhsa_user_sgpr_private_segment_size 0
		.amdhsa_uses_dynamic_stack 0
		.amdhsa_enable_private_segment 0
		.amdhsa_system_sgpr_workgroup_id_x 1
		.amdhsa_system_sgpr_workgroup_id_y 0
		.amdhsa_system_sgpr_workgroup_id_z 0
		.amdhsa_system_sgpr_workgroup_info 0
		.amdhsa_system_vgpr_workitem_id 0
		.amdhsa_next_free_vgpr 14
		.amdhsa_next_free_sgpr 16
		.amdhsa_accum_offset 16
		.amdhsa_reserve_vcc 1
		.amdhsa_float_round_mode_32 0
		.amdhsa_float_round_mode_16_64 0
		.amdhsa_float_denorm_mode_32 3
		.amdhsa_float_denorm_mode_16_64 3
		.amdhsa_dx10_clamp 1
		.amdhsa_ieee_mode 1
		.amdhsa_fp16_overflow 0
		.amdhsa_tg_split 0
		.amdhsa_exception_fp_ieee_invalid_op 0
		.amdhsa_exception_fp_denorm_src 0
		.amdhsa_exception_fp_ieee_div_zero 0
		.amdhsa_exception_fp_ieee_overflow 0
		.amdhsa_exception_fp_ieee_underflow 0
		.amdhsa_exception_fp_ieee_inexact 0
		.amdhsa_exception_int_div_zero 0
	.end_amdhsa_kernel
	.section	.text._ZN2at6native29vectorized_elementwise_kernelILi2EZZZNS0_22nan_to_num_kernel_cudaERNS_18TensorIteratorBaseESt8optionalIdES5_S5_ENKUlvE0_clEvENKUlvE2_clEvEUlN3c108BFloat16EE_St5arrayIPcLm2EEEEviT0_T1_,"axG",@progbits,_ZN2at6native29vectorized_elementwise_kernelILi2EZZZNS0_22nan_to_num_kernel_cudaERNS_18TensorIteratorBaseESt8optionalIdES5_S5_ENKUlvE0_clEvENKUlvE2_clEvEUlN3c108BFloat16EE_St5arrayIPcLm2EEEEviT0_T1_,comdat
.Lfunc_end533:
	.size	_ZN2at6native29vectorized_elementwise_kernelILi2EZZZNS0_22nan_to_num_kernel_cudaERNS_18TensorIteratorBaseESt8optionalIdES5_S5_ENKUlvE0_clEvENKUlvE2_clEvEUlN3c108BFloat16EE_St5arrayIPcLm2EEEEviT0_T1_, .Lfunc_end533-_ZN2at6native29vectorized_elementwise_kernelILi2EZZZNS0_22nan_to_num_kernel_cudaERNS_18TensorIteratorBaseESt8optionalIdES5_S5_ENKUlvE0_clEvENKUlvE2_clEvEUlN3c108BFloat16EE_St5arrayIPcLm2EEEEviT0_T1_
                                        ; -- End function
	.set _ZN2at6native29vectorized_elementwise_kernelILi2EZZZNS0_22nan_to_num_kernel_cudaERNS_18TensorIteratorBaseESt8optionalIdES5_S5_ENKUlvE0_clEvENKUlvE2_clEvEUlN3c108BFloat16EE_St5arrayIPcLm2EEEEviT0_T1_.num_vgpr, 14
	.set _ZN2at6native29vectorized_elementwise_kernelILi2EZZZNS0_22nan_to_num_kernel_cudaERNS_18TensorIteratorBaseESt8optionalIdES5_S5_ENKUlvE0_clEvENKUlvE2_clEvEUlN3c108BFloat16EE_St5arrayIPcLm2EEEEviT0_T1_.num_agpr, 0
	.set _ZN2at6native29vectorized_elementwise_kernelILi2EZZZNS0_22nan_to_num_kernel_cudaERNS_18TensorIteratorBaseESt8optionalIdES5_S5_ENKUlvE0_clEvENKUlvE2_clEvEUlN3c108BFloat16EE_St5arrayIPcLm2EEEEviT0_T1_.numbered_sgpr, 16
	.set _ZN2at6native29vectorized_elementwise_kernelILi2EZZZNS0_22nan_to_num_kernel_cudaERNS_18TensorIteratorBaseESt8optionalIdES5_S5_ENKUlvE0_clEvENKUlvE2_clEvEUlN3c108BFloat16EE_St5arrayIPcLm2EEEEviT0_T1_.num_named_barrier, 0
	.set _ZN2at6native29vectorized_elementwise_kernelILi2EZZZNS0_22nan_to_num_kernel_cudaERNS_18TensorIteratorBaseESt8optionalIdES5_S5_ENKUlvE0_clEvENKUlvE2_clEvEUlN3c108BFloat16EE_St5arrayIPcLm2EEEEviT0_T1_.private_seg_size, 0
	.set _ZN2at6native29vectorized_elementwise_kernelILi2EZZZNS0_22nan_to_num_kernel_cudaERNS_18TensorIteratorBaseESt8optionalIdES5_S5_ENKUlvE0_clEvENKUlvE2_clEvEUlN3c108BFloat16EE_St5arrayIPcLm2EEEEviT0_T1_.uses_vcc, 1
	.set _ZN2at6native29vectorized_elementwise_kernelILi2EZZZNS0_22nan_to_num_kernel_cudaERNS_18TensorIteratorBaseESt8optionalIdES5_S5_ENKUlvE0_clEvENKUlvE2_clEvEUlN3c108BFloat16EE_St5arrayIPcLm2EEEEviT0_T1_.uses_flat_scratch, 0
	.set _ZN2at6native29vectorized_elementwise_kernelILi2EZZZNS0_22nan_to_num_kernel_cudaERNS_18TensorIteratorBaseESt8optionalIdES5_S5_ENKUlvE0_clEvENKUlvE2_clEvEUlN3c108BFloat16EE_St5arrayIPcLm2EEEEviT0_T1_.has_dyn_sized_stack, 0
	.set _ZN2at6native29vectorized_elementwise_kernelILi2EZZZNS0_22nan_to_num_kernel_cudaERNS_18TensorIteratorBaseESt8optionalIdES5_S5_ENKUlvE0_clEvENKUlvE2_clEvEUlN3c108BFloat16EE_St5arrayIPcLm2EEEEviT0_T1_.has_recursion, 0
	.set _ZN2at6native29vectorized_elementwise_kernelILi2EZZZNS0_22nan_to_num_kernel_cudaERNS_18TensorIteratorBaseESt8optionalIdES5_S5_ENKUlvE0_clEvENKUlvE2_clEvEUlN3c108BFloat16EE_St5arrayIPcLm2EEEEviT0_T1_.has_indirect_call, 0
	.section	.AMDGPU.csdata,"",@progbits
; Kernel info:
; codeLenInByte = 2744
; TotalNumSgprs: 22
; NumVgprs: 14
; NumAgprs: 0
; TotalNumVgprs: 14
; ScratchSize: 0
; MemoryBound: 0
; FloatMode: 240
; IeeeMode: 1
; LDSByteSize: 0 bytes/workgroup (compile time only)
; SGPRBlocks: 2
; VGPRBlocks: 1
; NumSGPRsForWavesPerEU: 22
; NumVGPRsForWavesPerEU: 14
; AccumOffset: 16
; Occupancy: 8
; WaveLimiterHint : 1
; COMPUTE_PGM_RSRC2:SCRATCH_EN: 0
; COMPUTE_PGM_RSRC2:USER_SGPR: 2
; COMPUTE_PGM_RSRC2:TRAP_HANDLER: 0
; COMPUTE_PGM_RSRC2:TGID_X_EN: 1
; COMPUTE_PGM_RSRC2:TGID_Y_EN: 0
; COMPUTE_PGM_RSRC2:TGID_Z_EN: 0
; COMPUTE_PGM_RSRC2:TIDIG_COMP_CNT: 0
; COMPUTE_PGM_RSRC3_GFX90A:ACCUM_OFFSET: 3
; COMPUTE_PGM_RSRC3_GFX90A:TG_SPLIT: 0
	.section	.text._ZN2at6native27unrolled_elementwise_kernelIZZZNS0_22nan_to_num_kernel_cudaERNS_18TensorIteratorBaseESt8optionalIdES5_S5_ENKUlvE0_clEvENKUlvE2_clEvEUlN3c108BFloat16EE_St5arrayIPcLm2EELi4E23TrivialOffsetCalculatorILi1EjESF_NS0_6memory15LoadWithoutCastENSG_16StoreWithoutCastEEEviT_T0_T2_T3_T4_T5_,"axG",@progbits,_ZN2at6native27unrolled_elementwise_kernelIZZZNS0_22nan_to_num_kernel_cudaERNS_18TensorIteratorBaseESt8optionalIdES5_S5_ENKUlvE0_clEvENKUlvE2_clEvEUlN3c108BFloat16EE_St5arrayIPcLm2EELi4E23TrivialOffsetCalculatorILi1EjESF_NS0_6memory15LoadWithoutCastENSG_16StoreWithoutCastEEEviT_T0_T2_T3_T4_T5_,comdat
	.globl	_ZN2at6native27unrolled_elementwise_kernelIZZZNS0_22nan_to_num_kernel_cudaERNS_18TensorIteratorBaseESt8optionalIdES5_S5_ENKUlvE0_clEvENKUlvE2_clEvEUlN3c108BFloat16EE_St5arrayIPcLm2EELi4E23TrivialOffsetCalculatorILi1EjESF_NS0_6memory15LoadWithoutCastENSG_16StoreWithoutCastEEEviT_T0_T2_T3_T4_T5_ ; -- Begin function _ZN2at6native27unrolled_elementwise_kernelIZZZNS0_22nan_to_num_kernel_cudaERNS_18TensorIteratorBaseESt8optionalIdES5_S5_ENKUlvE0_clEvENKUlvE2_clEvEUlN3c108BFloat16EE_St5arrayIPcLm2EELi4E23TrivialOffsetCalculatorILi1EjESF_NS0_6memory15LoadWithoutCastENSG_16StoreWithoutCastEEEviT_T0_T2_T3_T4_T5_
	.p2align	8
	.type	_ZN2at6native27unrolled_elementwise_kernelIZZZNS0_22nan_to_num_kernel_cudaERNS_18TensorIteratorBaseESt8optionalIdES5_S5_ENKUlvE0_clEvENKUlvE2_clEvEUlN3c108BFloat16EE_St5arrayIPcLm2EELi4E23TrivialOffsetCalculatorILi1EjESF_NS0_6memory15LoadWithoutCastENSG_16StoreWithoutCastEEEviT_T0_T2_T3_T4_T5_,@function
_ZN2at6native27unrolled_elementwise_kernelIZZZNS0_22nan_to_num_kernel_cudaERNS_18TensorIteratorBaseESt8optionalIdES5_S5_ENKUlvE0_clEvENKUlvE2_clEvEUlN3c108BFloat16EE_St5arrayIPcLm2EELi4E23TrivialOffsetCalculatorILi1EjESF_NS0_6memory15LoadWithoutCastENSG_16StoreWithoutCastEEEviT_T0_T2_T3_T4_T5_: ; @_ZN2at6native27unrolled_elementwise_kernelIZZZNS0_22nan_to_num_kernel_cudaERNS_18TensorIteratorBaseESt8optionalIdES5_S5_ENKUlvE0_clEvENKUlvE2_clEvEUlN3c108BFloat16EE_St5arrayIPcLm2EELi4E23TrivialOffsetCalculatorILi1EjESF_NS0_6memory15LoadWithoutCastENSG_16StoreWithoutCastEEEviT_T0_T2_T3_T4_T5_
; %bb.0:
	s_load_dwordx2 s[8:9], s[0:1], 0x0
	s_load_dwordx4 s[4:7], s[0:1], 0x10
	s_lshl_b32 s12, s2, 10
	v_mov_b32_e32 v5, 0
	v_or_b32_e32 v2, s12, v0
	s_waitcnt lgkmcnt(0)
	s_sub_i32 s13, s8, s12
	v_cmp_gt_i32_e32 vcc, s13, v0
	v_mov_b32_e32 v6, 0
	v_mov_b32_e32 v4, v0
	s_and_saveexec_b64 s[2:3], vcc
	s_cbranch_execz .LBB534_2
; %bb.1:
	v_mov_b32_e32 v3, 0
	v_lshl_add_u64 v[6:7], v[2:3], 1, s[6:7]
	global_load_ushort v6, v[6:7], off
	v_or_b32_e32 v4, 0x100, v0
.LBB534_2:
	s_or_b64 exec, exec, s[2:3]
	v_cmp_gt_i32_e64 s[2:3], s13, v4
	s_and_saveexec_b64 s[10:11], s[2:3]
	s_cbranch_execz .LBB534_4
; %bb.3:
	v_add_u32_e32 v8, s12, v4
	v_mov_b32_e32 v9, 0
	v_lshl_add_u64 v[8:9], v[8:9], 1, s[6:7]
	global_load_ushort v5, v[8:9], off
	v_add_u32_e32 v4, 0x100, v4
.LBB534_4:
	s_or_b64 exec, exec, s[10:11]
	v_cmp_gt_i32_e64 s[2:3], s13, v4
	v_mov_b32_e32 v1, 0
	v_mov_b32_e32 v3, 0
	s_and_saveexec_b64 s[10:11], s[2:3]
	s_cbranch_execz .LBB534_6
; %bb.5:
	v_add_u32_e32 v8, s12, v4
	v_mov_b32_e32 v9, 0
	v_lshl_add_u64 v[8:9], v[8:9], 1, s[6:7]
	global_load_ushort v3, v[8:9], off
	v_add_u32_e32 v4, 0x100, v4
.LBB534_6:
	s_or_b64 exec, exec, s[10:11]
	s_load_dword s14, s[0:1], 0x8
	v_cmp_gt_i32_e64 s[0:1], s13, v4
	s_and_saveexec_b64 s[2:3], s[0:1]
	s_cbranch_execz .LBB534_8
; %bb.7:
	v_add_u32_e32 v8, s12, v4
	v_mov_b32_e32 v9, 0
	v_lshl_add_u64 v[8:9], v[8:9], 1, s[6:7]
	global_load_ushort v1, v[8:9], off
.LBB534_8:
	s_or_b64 exec, exec, s[2:3]
	s_lshr_b32 s8, s9, 16
                                        ; implicit-def: $vgpr4
	s_and_saveexec_b64 s[2:3], vcc
	s_cbranch_execz .LBB534_14
; %bb.9:
	s_waitcnt vmcnt(0)
	v_lshlrev_b32_e32 v7, 16, v6
	v_cmp_o_f32_e64 s[0:1], v7, v7
	v_mov_b32_e32 v4, s9
	s_and_saveexec_b64 s[6:7], s[0:1]
	s_cbranch_execz .LBB534_13
; %bb.10:
	s_mov_b32 s0, 0x7f800000
	v_cmp_neq_f32_e64 s[0:1], s0, v7
	v_mov_b32_e32 v4, s8
	s_and_saveexec_b64 s[10:11], s[0:1]
	s_cbranch_execz .LBB534_12
; %bb.11:
	s_mov_b32 s0, 0xff800000
	s_waitcnt lgkmcnt(0)
	v_mov_b32_e32 v4, s14
	v_cmp_eq_f32_e64 s[0:1], s0, v7
	s_nop 1
	v_cndmask_b32_e64 v4, v6, v4, s[0:1]
.LBB534_12:
	s_or_b64 exec, exec, s[10:11]
.LBB534_13:
	s_or_b64 exec, exec, s[6:7]
.LBB534_14:
	s_or_b64 exec, exec, s[2:3]
	v_or_b32_e32 v7, 0x100, v0
	v_cmp_gt_i32_e64 s[0:1], s13, v7
                                        ; implicit-def: $vgpr6
	s_and_saveexec_b64 s[2:3], s[0:1]
	s_cbranch_execz .LBB534_20
; %bb.15:
	s_waitcnt vmcnt(0)
	v_lshlrev_b32_e32 v8, 16, v5
	v_cmp_o_f32_e64 s[0:1], v8, v8
	v_mov_b32_e32 v6, s9
	s_and_saveexec_b64 s[6:7], s[0:1]
	s_cbranch_execz .LBB534_19
; %bb.16:
	s_mov_b32 s0, 0x7f800000
	v_cmp_neq_f32_e64 s[0:1], s0, v8
	v_mov_b32_e32 v6, s8
	s_and_saveexec_b64 s[10:11], s[0:1]
	s_cbranch_execz .LBB534_18
; %bb.17:
	s_mov_b32 s0, 0xff800000
	s_waitcnt lgkmcnt(0)
	v_mov_b32_e32 v6, s14
	v_cmp_eq_f32_e64 s[0:1], s0, v8
	s_nop 1
	v_cndmask_b32_e64 v6, v5, v6, s[0:1]
.LBB534_18:
	s_or_b64 exec, exec, s[10:11]
.LBB534_19:
	s_or_b64 exec, exec, s[6:7]
.LBB534_20:
	s_or_b64 exec, exec, s[2:3]
	s_waitcnt vmcnt(0)
	v_or_b32_e32 v5, 0x200, v0
	v_cmp_gt_i32_e64 s[0:1], s13, v5
                                        ; implicit-def: $vgpr5
	s_and_saveexec_b64 s[2:3], s[0:1]
	s_cbranch_execz .LBB534_26
; %bb.21:
	v_lshlrev_b32_e32 v8, 16, v3
	v_cmp_o_f32_e64 s[0:1], v8, v8
	v_mov_b32_e32 v5, s9
	s_and_saveexec_b64 s[6:7], s[0:1]
	s_cbranch_execz .LBB534_25
; %bb.22:
	s_mov_b32 s0, 0x7f800000
	v_cmp_neq_f32_e64 s[0:1], s0, v8
	v_mov_b32_e32 v5, s8
	s_and_saveexec_b64 s[10:11], s[0:1]
	s_cbranch_execz .LBB534_24
; %bb.23:
	s_mov_b32 s0, 0xff800000
	s_waitcnt lgkmcnt(0)
	v_mov_b32_e32 v5, s14
	v_cmp_eq_f32_e64 s[0:1], s0, v8
	s_nop 1
	v_cndmask_b32_e64 v5, v3, v5, s[0:1]
.LBB534_24:
	s_or_b64 exec, exec, s[10:11]
.LBB534_25:
	s_or_b64 exec, exec, s[6:7]
.LBB534_26:
	s_or_b64 exec, exec, s[2:3]
	v_or_b32_e32 v3, 0x300, v0
	v_cmp_gt_i32_e64 s[0:1], s13, v3
                                        ; implicit-def: $vgpr8
	s_and_saveexec_b64 s[2:3], s[0:1]
	s_cbranch_execnz .LBB534_32
; %bb.27:
	s_or_b64 exec, exec, s[2:3]
	s_and_saveexec_b64 s[0:1], vcc
	s_xor_b64 s[0:1], exec, s[0:1]
	s_cbranch_execnz .LBB534_37
.LBB534_28:
	s_or_b64 exec, exec, s[0:1]
	v_cmp_gt_i32_e32 vcc, s13, v0
	s_and_saveexec_b64 s[0:1], vcc
	s_cbranch_execnz .LBB534_38
.LBB534_29:
	s_or_b64 exec, exec, s[0:1]
	v_cmp_gt_i32_e32 vcc, s13, v0
	s_and_saveexec_b64 s[0:1], vcc
	s_cbranch_execnz .LBB534_39
.LBB534_30:
	s_or_b64 exec, exec, s[0:1]
	v_cmp_gt_i32_e32 vcc, s13, v0
	s_and_saveexec_b64 s[0:1], vcc
	s_cbranch_execnz .LBB534_40
.LBB534_31:
	s_endpgm
.LBB534_32:
	v_lshlrev_b32_e32 v3, 16, v1
	v_cmp_o_f32_e64 s[0:1], v3, v3
	v_mov_b32_e32 v8, s9
	s_and_saveexec_b64 s[6:7], s[0:1]
	s_cbranch_execz .LBB534_36
; %bb.33:
	s_mov_b32 s0, 0x7f800000
	v_cmp_neq_f32_e64 s[0:1], s0, v3
	v_mov_b32_e32 v8, s8
	s_and_saveexec_b64 s[8:9], s[0:1]
	s_cbranch_execz .LBB534_35
; %bb.34:
	s_mov_b32 s0, 0xff800000
	s_waitcnt lgkmcnt(0)
	v_mov_b32_e32 v8, s14
	v_cmp_eq_f32_e64 s[0:1], s0, v3
	s_nop 1
	v_cndmask_b32_e64 v8, v1, v8, s[0:1]
.LBB534_35:
	s_or_b64 exec, exec, s[8:9]
.LBB534_36:
	s_or_b64 exec, exec, s[6:7]
	s_or_b64 exec, exec, s[2:3]
	s_and_saveexec_b64 s[0:1], vcc
	s_xor_b64 s[0:1], exec, s[0:1]
	s_cbranch_execz .LBB534_28
.LBB534_37:
	v_mov_b32_e32 v3, 0
	v_lshl_add_u64 v[0:1], v[2:3], 1, s[4:5]
	global_store_short v[0:1], v4, off
	v_mov_b32_e32 v0, v7
	s_or_b64 exec, exec, s[0:1]
	v_cmp_gt_i32_e32 vcc, s13, v0
	s_and_saveexec_b64 s[0:1], vcc
	s_cbranch_execz .LBB534_29
.LBB534_38:
	v_add_u32_e32 v2, 0x100, v0
	v_add_u32_e32 v0, s12, v0
	v_mov_b32_e32 v1, 0
	v_lshl_add_u64 v[0:1], v[0:1], 1, s[4:5]
	global_store_short v[0:1], v6, off
	v_mov_b32_e32 v0, v2
	s_or_b64 exec, exec, s[0:1]
	v_cmp_gt_i32_e32 vcc, s13, v0
	s_and_saveexec_b64 s[0:1], vcc
	s_cbranch_execz .LBB534_30
.LBB534_39:
	v_add_u32_e32 v2, 0x100, v0
	v_add_u32_e32 v0, s12, v0
	v_mov_b32_e32 v1, 0
	v_lshl_add_u64 v[0:1], v[0:1], 1, s[4:5]
	global_store_short v[0:1], v5, off
	v_mov_b32_e32 v0, v2
	s_or_b64 exec, exec, s[0:1]
	v_cmp_gt_i32_e32 vcc, s13, v0
	s_and_saveexec_b64 s[0:1], vcc
	s_cbranch_execz .LBB534_31
.LBB534_40:
	v_add_u32_e32 v0, s12, v0
	v_mov_b32_e32 v1, 0
	v_lshl_add_u64 v[0:1], v[0:1], 1, s[4:5]
	global_store_short v[0:1], v8, off
	s_endpgm
	.section	.rodata,"a",@progbits
	.p2align	6, 0x0
	.amdhsa_kernel _ZN2at6native27unrolled_elementwise_kernelIZZZNS0_22nan_to_num_kernel_cudaERNS_18TensorIteratorBaseESt8optionalIdES5_S5_ENKUlvE0_clEvENKUlvE2_clEvEUlN3c108BFloat16EE_St5arrayIPcLm2EELi4E23TrivialOffsetCalculatorILi1EjESF_NS0_6memory15LoadWithoutCastENSG_16StoreWithoutCastEEEviT_T0_T2_T3_T4_T5_
		.amdhsa_group_segment_fixed_size 0
		.amdhsa_private_segment_fixed_size 0
		.amdhsa_kernarg_size 36
		.amdhsa_user_sgpr_count 2
		.amdhsa_user_sgpr_dispatch_ptr 0
		.amdhsa_user_sgpr_queue_ptr 0
		.amdhsa_user_sgpr_kernarg_segment_ptr 1
		.amdhsa_user_sgpr_dispatch_id 0
		.amdhsa_user_sgpr_kernarg_preload_length 0
		.amdhsa_user_sgpr_kernarg_preload_offset 0
		.amdhsa_user_sgpr_private_segment_size 0
		.amdhsa_uses_dynamic_stack 0
		.amdhsa_enable_private_segment 0
		.amdhsa_system_sgpr_workgroup_id_x 1
		.amdhsa_system_sgpr_workgroup_id_y 0
		.amdhsa_system_sgpr_workgroup_id_z 0
		.amdhsa_system_sgpr_workgroup_info 0
		.amdhsa_system_vgpr_workitem_id 0
		.amdhsa_next_free_vgpr 10
		.amdhsa_next_free_sgpr 15
		.amdhsa_accum_offset 12
		.amdhsa_reserve_vcc 1
		.amdhsa_float_round_mode_32 0
		.amdhsa_float_round_mode_16_64 0
		.amdhsa_float_denorm_mode_32 3
		.amdhsa_float_denorm_mode_16_64 3
		.amdhsa_dx10_clamp 1
		.amdhsa_ieee_mode 1
		.amdhsa_fp16_overflow 0
		.amdhsa_tg_split 0
		.amdhsa_exception_fp_ieee_invalid_op 0
		.amdhsa_exception_fp_denorm_src 0
		.amdhsa_exception_fp_ieee_div_zero 0
		.amdhsa_exception_fp_ieee_overflow 0
		.amdhsa_exception_fp_ieee_underflow 0
		.amdhsa_exception_fp_ieee_inexact 0
		.amdhsa_exception_int_div_zero 0
	.end_amdhsa_kernel
	.section	.text._ZN2at6native27unrolled_elementwise_kernelIZZZNS0_22nan_to_num_kernel_cudaERNS_18TensorIteratorBaseESt8optionalIdES5_S5_ENKUlvE0_clEvENKUlvE2_clEvEUlN3c108BFloat16EE_St5arrayIPcLm2EELi4E23TrivialOffsetCalculatorILi1EjESF_NS0_6memory15LoadWithoutCastENSG_16StoreWithoutCastEEEviT_T0_T2_T3_T4_T5_,"axG",@progbits,_ZN2at6native27unrolled_elementwise_kernelIZZZNS0_22nan_to_num_kernel_cudaERNS_18TensorIteratorBaseESt8optionalIdES5_S5_ENKUlvE0_clEvENKUlvE2_clEvEUlN3c108BFloat16EE_St5arrayIPcLm2EELi4E23TrivialOffsetCalculatorILi1EjESF_NS0_6memory15LoadWithoutCastENSG_16StoreWithoutCastEEEviT_T0_T2_T3_T4_T5_,comdat
.Lfunc_end534:
	.size	_ZN2at6native27unrolled_elementwise_kernelIZZZNS0_22nan_to_num_kernel_cudaERNS_18TensorIteratorBaseESt8optionalIdES5_S5_ENKUlvE0_clEvENKUlvE2_clEvEUlN3c108BFloat16EE_St5arrayIPcLm2EELi4E23TrivialOffsetCalculatorILi1EjESF_NS0_6memory15LoadWithoutCastENSG_16StoreWithoutCastEEEviT_T0_T2_T3_T4_T5_, .Lfunc_end534-_ZN2at6native27unrolled_elementwise_kernelIZZZNS0_22nan_to_num_kernel_cudaERNS_18TensorIteratorBaseESt8optionalIdES5_S5_ENKUlvE0_clEvENKUlvE2_clEvEUlN3c108BFloat16EE_St5arrayIPcLm2EELi4E23TrivialOffsetCalculatorILi1EjESF_NS0_6memory15LoadWithoutCastENSG_16StoreWithoutCastEEEviT_T0_T2_T3_T4_T5_
                                        ; -- End function
	.set _ZN2at6native27unrolled_elementwise_kernelIZZZNS0_22nan_to_num_kernel_cudaERNS_18TensorIteratorBaseESt8optionalIdES5_S5_ENKUlvE0_clEvENKUlvE2_clEvEUlN3c108BFloat16EE_St5arrayIPcLm2EELi4E23TrivialOffsetCalculatorILi1EjESF_NS0_6memory15LoadWithoutCastENSG_16StoreWithoutCastEEEviT_T0_T2_T3_T4_T5_.num_vgpr, 10
	.set _ZN2at6native27unrolled_elementwise_kernelIZZZNS0_22nan_to_num_kernel_cudaERNS_18TensorIteratorBaseESt8optionalIdES5_S5_ENKUlvE0_clEvENKUlvE2_clEvEUlN3c108BFloat16EE_St5arrayIPcLm2EELi4E23TrivialOffsetCalculatorILi1EjESF_NS0_6memory15LoadWithoutCastENSG_16StoreWithoutCastEEEviT_T0_T2_T3_T4_T5_.num_agpr, 0
	.set _ZN2at6native27unrolled_elementwise_kernelIZZZNS0_22nan_to_num_kernel_cudaERNS_18TensorIteratorBaseESt8optionalIdES5_S5_ENKUlvE0_clEvENKUlvE2_clEvEUlN3c108BFloat16EE_St5arrayIPcLm2EELi4E23TrivialOffsetCalculatorILi1EjESF_NS0_6memory15LoadWithoutCastENSG_16StoreWithoutCastEEEviT_T0_T2_T3_T4_T5_.numbered_sgpr, 15
	.set _ZN2at6native27unrolled_elementwise_kernelIZZZNS0_22nan_to_num_kernel_cudaERNS_18TensorIteratorBaseESt8optionalIdES5_S5_ENKUlvE0_clEvENKUlvE2_clEvEUlN3c108BFloat16EE_St5arrayIPcLm2EELi4E23TrivialOffsetCalculatorILi1EjESF_NS0_6memory15LoadWithoutCastENSG_16StoreWithoutCastEEEviT_T0_T2_T3_T4_T5_.num_named_barrier, 0
	.set _ZN2at6native27unrolled_elementwise_kernelIZZZNS0_22nan_to_num_kernel_cudaERNS_18TensorIteratorBaseESt8optionalIdES5_S5_ENKUlvE0_clEvENKUlvE2_clEvEUlN3c108BFloat16EE_St5arrayIPcLm2EELi4E23TrivialOffsetCalculatorILi1EjESF_NS0_6memory15LoadWithoutCastENSG_16StoreWithoutCastEEEviT_T0_T2_T3_T4_T5_.private_seg_size, 0
	.set _ZN2at6native27unrolled_elementwise_kernelIZZZNS0_22nan_to_num_kernel_cudaERNS_18TensorIteratorBaseESt8optionalIdES5_S5_ENKUlvE0_clEvENKUlvE2_clEvEUlN3c108BFloat16EE_St5arrayIPcLm2EELi4E23TrivialOffsetCalculatorILi1EjESF_NS0_6memory15LoadWithoutCastENSG_16StoreWithoutCastEEEviT_T0_T2_T3_T4_T5_.uses_vcc, 1
	.set _ZN2at6native27unrolled_elementwise_kernelIZZZNS0_22nan_to_num_kernel_cudaERNS_18TensorIteratorBaseESt8optionalIdES5_S5_ENKUlvE0_clEvENKUlvE2_clEvEUlN3c108BFloat16EE_St5arrayIPcLm2EELi4E23TrivialOffsetCalculatorILi1EjESF_NS0_6memory15LoadWithoutCastENSG_16StoreWithoutCastEEEviT_T0_T2_T3_T4_T5_.uses_flat_scratch, 0
	.set _ZN2at6native27unrolled_elementwise_kernelIZZZNS0_22nan_to_num_kernel_cudaERNS_18TensorIteratorBaseESt8optionalIdES5_S5_ENKUlvE0_clEvENKUlvE2_clEvEUlN3c108BFloat16EE_St5arrayIPcLm2EELi4E23TrivialOffsetCalculatorILi1EjESF_NS0_6memory15LoadWithoutCastENSG_16StoreWithoutCastEEEviT_T0_T2_T3_T4_T5_.has_dyn_sized_stack, 0
	.set _ZN2at6native27unrolled_elementwise_kernelIZZZNS0_22nan_to_num_kernel_cudaERNS_18TensorIteratorBaseESt8optionalIdES5_S5_ENKUlvE0_clEvENKUlvE2_clEvEUlN3c108BFloat16EE_St5arrayIPcLm2EELi4E23TrivialOffsetCalculatorILi1EjESF_NS0_6memory15LoadWithoutCastENSG_16StoreWithoutCastEEEviT_T0_T2_T3_T4_T5_.has_recursion, 0
	.set _ZN2at6native27unrolled_elementwise_kernelIZZZNS0_22nan_to_num_kernel_cudaERNS_18TensorIteratorBaseESt8optionalIdES5_S5_ENKUlvE0_clEvENKUlvE2_clEvEUlN3c108BFloat16EE_St5arrayIPcLm2EELi4E23TrivialOffsetCalculatorILi1EjESF_NS0_6memory15LoadWithoutCastENSG_16StoreWithoutCastEEEviT_T0_T2_T3_T4_T5_.has_indirect_call, 0
	.section	.AMDGPU.csdata,"",@progbits
; Kernel info:
; codeLenInByte = 1000
; TotalNumSgprs: 21
; NumVgprs: 10
; NumAgprs: 0
; TotalNumVgprs: 10
; ScratchSize: 0
; MemoryBound: 0
; FloatMode: 240
; IeeeMode: 1
; LDSByteSize: 0 bytes/workgroup (compile time only)
; SGPRBlocks: 2
; VGPRBlocks: 1
; NumSGPRsForWavesPerEU: 21
; NumVGPRsForWavesPerEU: 10
; AccumOffset: 12
; Occupancy: 8
; WaveLimiterHint : 0
; COMPUTE_PGM_RSRC2:SCRATCH_EN: 0
; COMPUTE_PGM_RSRC2:USER_SGPR: 2
; COMPUTE_PGM_RSRC2:TRAP_HANDLER: 0
; COMPUTE_PGM_RSRC2:TGID_X_EN: 1
; COMPUTE_PGM_RSRC2:TGID_Y_EN: 0
; COMPUTE_PGM_RSRC2:TGID_Z_EN: 0
; COMPUTE_PGM_RSRC2:TIDIG_COMP_CNT: 0
; COMPUTE_PGM_RSRC3_GFX90A:ACCUM_OFFSET: 2
; COMPUTE_PGM_RSRC3_GFX90A:TG_SPLIT: 0
	.section	.text._ZN2at6native32elementwise_kernel_manual_unrollILi128ELi8EZNS0_22gpu_kernel_impl_nocastIZZZNS0_22nan_to_num_kernel_cudaERNS_18TensorIteratorBaseESt8optionalIdES6_S6_ENKUlvE0_clEvENKUlvE2_clEvEUlN3c108BFloat16EE_EEvS4_RKT_EUlibE_EEviT1_,"axG",@progbits,_ZN2at6native32elementwise_kernel_manual_unrollILi128ELi8EZNS0_22gpu_kernel_impl_nocastIZZZNS0_22nan_to_num_kernel_cudaERNS_18TensorIteratorBaseESt8optionalIdES6_S6_ENKUlvE0_clEvENKUlvE2_clEvEUlN3c108BFloat16EE_EEvS4_RKT_EUlibE_EEviT1_,comdat
	.globl	_ZN2at6native32elementwise_kernel_manual_unrollILi128ELi8EZNS0_22gpu_kernel_impl_nocastIZZZNS0_22nan_to_num_kernel_cudaERNS_18TensorIteratorBaseESt8optionalIdES6_S6_ENKUlvE0_clEvENKUlvE2_clEvEUlN3c108BFloat16EE_EEvS4_RKT_EUlibE_EEviT1_ ; -- Begin function _ZN2at6native32elementwise_kernel_manual_unrollILi128ELi8EZNS0_22gpu_kernel_impl_nocastIZZZNS0_22nan_to_num_kernel_cudaERNS_18TensorIteratorBaseESt8optionalIdES6_S6_ENKUlvE0_clEvENKUlvE2_clEvEUlN3c108BFloat16EE_EEvS4_RKT_EUlibE_EEviT1_
	.p2align	8
	.type	_ZN2at6native32elementwise_kernel_manual_unrollILi128ELi8EZNS0_22gpu_kernel_impl_nocastIZZZNS0_22nan_to_num_kernel_cudaERNS_18TensorIteratorBaseESt8optionalIdES6_S6_ENKUlvE0_clEvENKUlvE2_clEvEUlN3c108BFloat16EE_EEvS4_RKT_EUlibE_EEviT1_,@function
_ZN2at6native32elementwise_kernel_manual_unrollILi128ELi8EZNS0_22gpu_kernel_impl_nocastIZZZNS0_22nan_to_num_kernel_cudaERNS_18TensorIteratorBaseESt8optionalIdES6_S6_ENKUlvE0_clEvENKUlvE2_clEvEUlN3c108BFloat16EE_EEvS4_RKT_EUlibE_EEviT1_: ; @_ZN2at6native32elementwise_kernel_manual_unrollILi128ELi8EZNS0_22gpu_kernel_impl_nocastIZZZNS0_22nan_to_num_kernel_cudaERNS_18TensorIteratorBaseESt8optionalIdES6_S6_ENKUlvE0_clEvENKUlvE2_clEvEUlN3c108BFloat16EE_EEvS4_RKT_EUlibE_EEviT1_
; %bb.0:
	s_load_dword s60, s[0:1], 0x0
	s_load_dword s33, s[0:1], 0x8
	s_add_u32 s34, s0, 8
	s_addc_u32 s35, s1, 0
	v_lshl_or_b32 v24, s2, 10, v0
	v_or_b32_e32 v32, 0x380, v24
	s_waitcnt lgkmcnt(0)
	s_add_i32 s58, s33, -1
	s_cmp_gt_u32 s58, 1
	v_cmp_le_i32_e32 vcc, s60, v32
	s_cselect_b64 s[40:41], -1, 0
	s_and_saveexec_b64 s[2:3], vcc
	s_xor_b64 s[2:3], exec, s[2:3]
	s_cbranch_execz .LBB535_8
; %bb.1:
	s_cmp_lg_u32 s33, 0
	s_cselect_b64 s[50:51], -1, 0
	s_add_u32 s48, s34, 0xc4
	s_load_dwordx4 s[24:27], s[34:35], 0x4
	s_load_dwordx2 s[44:45], s[34:35], 0x14
	s_load_dwordx2 s[42:43], s[34:35], 0x158
	s_load_dwordx4 s[28:31], s[34:35], 0xc4
	s_load_dwordx4 s[20:23], s[34:35], 0x148
	s_addc_u32 s49, s35, 0
	s_min_u32 s61, s58, 15
	s_cmp_gt_u32 s33, 1
	s_cselect_b64 s[46:47], -1, 0
	s_waitcnt lgkmcnt(0)
	s_lshr_b32 s59, s42, 16
	v_cmp_gt_i32_e32 vcc, s60, v24
	s_and_saveexec_b64 s[52:53], vcc
	s_cbranch_execz .LBB535_15
; %bb.2:
	s_andn2_b64 vcc, exec, s[40:41]
	s_cbranch_vccnz .LBB535_23
; %bb.3:
	s_andn2_b64 vcc, exec, s[50:51]
	s_cbranch_vccnz .LBB535_163
; %bb.4:
	s_add_i32 s63, s61, 1
	s_cmp_eq_u32 s58, 2
	s_cbranch_scc1 .LBB535_165
; %bb.5:
	s_and_b32 s62, s63, 28
	s_mov_b32 s64, 0
	v_mov_b32_e32 v0, 0
	v_mov_b32_e32 v2, 0
	s_mov_b64 s[54:55], s[34:35]
	s_mov_b64 s[56:57], s[48:49]
	v_mov_b32_e32 v4, v24
.LBB535_6:                              ; =>This Inner Loop Header: Depth=1
	s_load_dwordx8 s[12:19], s[54:55], 0x4
	s_load_dwordx4 s[36:39], s[54:55], 0x24
	s_load_dwordx8 s[4:11], s[56:57], 0x0
	s_add_u32 s54, s54, 48
	s_addc_u32 s55, s55, 0
	s_waitcnt lgkmcnt(0)
	v_mul_hi_u32 v1, s13, v4
	v_add_u32_e32 v1, v4, v1
	v_lshrrev_b32_e32 v1, s14, v1
	v_mul_lo_u32 v3, v1, s12
	v_mul_hi_u32 v5, s16, v1
	v_sub_u32_e32 v3, v4, v3
	v_add_u32_e32 v4, v1, v5
	v_lshrrev_b32_e32 v4, s17, v4
	v_mul_lo_u32 v6, v4, s15
	v_mul_hi_u32 v7, s19, v4
	v_sub_u32_e32 v1, v1, v6
	v_add_u32_e32 v6, v4, v7
	v_mul_lo_u32 v5, v3, s5
	v_mul_lo_u32 v3, v3, s4
	;; [unrolled: 1-line block ×4, first 2 shown]
	v_lshrrev_b32_e32 v6, s36, v6
	v_add3_u32 v0, v3, v0, v1
	v_mul_hi_u32 v3, s38, v6
	v_add3_u32 v1, v5, v2, v7
	v_mul_lo_u32 v2, v6, s18
	v_add_u32_e32 v3, v6, v3
	v_sub_u32_e32 v2, v4, v2
	v_lshrrev_b32_e32 v4, s39, v3
	s_add_i32 s64, s64, 4
	v_mul_lo_u32 v3, v4, s37
	s_add_u32 s56, s56, 32
	v_sub_u32_e32 v3, v6, v3
	s_addc_u32 s57, s57, 0
	v_mul_lo_u32 v5, v2, s8
	v_mul_lo_u32 v2, v2, s9
	;; [unrolled: 1-line block ×4, first 2 shown]
	s_cmp_lg_u32 s62, s64
	v_add3_u32 v2, v2, v1, v3
	v_add3_u32 v0, v5, v0, v6
	s_cbranch_scc1 .LBB535_6
; %bb.7:
	v_mov_b32_e32 v1, v2
	s_branch .LBB535_166
.LBB535_8:
	s_andn2_saveexec_b64 s[2:3], s[2:3]
	s_cbranch_execz .LBB535_284
.LBB535_9:
	v_cndmask_b32_e64 v0, 0, 1, s[40:41]
	v_cmp_ne_u32_e64 s[2:3], 1, v0
	s_andn2_b64 vcc, exec, s[40:41]
	s_cbranch_vccnz .LBB535_22
; %bb.10:
	s_cmp_lg_u32 s33, 0
	s_mov_b32 s28, 0
	s_cbranch_scc0 .LBB535_25
; %bb.11:
	s_min_u32 s29, s58, 15
	s_add_i32 s29, s29, 1
	s_cmp_eq_u32 s58, 2
	s_cbranch_scc1 .LBB535_26
; %bb.12:
	s_and_b32 s28, s29, 28
	s_add_u32 s24, s34, 0xc4
	s_addc_u32 s25, s35, 0
	s_mov_b32 s30, 0
	v_mov_b32_e32 v0, 0
	v_mov_b32_e32 v4, 0
	s_mov_b64 s[26:27], s[34:35]
	v_mov_b32_e32 v2, v24
.LBB535_13:                             ; =>This Inner Loop Header: Depth=1
	s_load_dwordx8 s[12:19], s[26:27], 0x4
	s_load_dwordx4 s[20:23], s[26:27], 0x24
	s_load_dwordx8 s[4:11], s[24:25], 0x0
	s_add_u32 s26, s26, 48
	s_addc_u32 s27, s27, 0
	s_waitcnt lgkmcnt(0)
	v_mul_hi_u32 v1, s13, v2
	v_add_u32_e32 v1, v2, v1
	v_lshrrev_b32_e32 v1, s14, v1
	v_mul_lo_u32 v3, v1, s12
	v_mul_hi_u32 v5, s16, v1
	v_sub_u32_e32 v2, v2, v3
	v_add_u32_e32 v3, v1, v5
	v_lshrrev_b32_e32 v3, s17, v3
	v_mul_lo_u32 v6, v3, s15
	v_mul_hi_u32 v7, s19, v3
	v_sub_u32_e32 v1, v1, v6
	v_add_u32_e32 v6, v3, v7
	v_mul_lo_u32 v5, v2, s5
	v_mul_lo_u32 v2, v2, s4
	;; [unrolled: 1-line block ×4, first 2 shown]
	v_lshrrev_b32_e32 v6, s20, v6
	v_add3_u32 v0, v2, v0, v1
	v_add3_u32 v1, v5, v4, v7
	v_mul_lo_u32 v2, v6, s18
	v_mul_hi_u32 v4, s22, v6
	v_sub_u32_e32 v2, v3, v2
	v_add_u32_e32 v3, v6, v4
	v_mul_lo_u32 v5, v2, s8
	v_mul_lo_u32 v4, v2, s9
	v_lshrrev_b32_e32 v2, s23, v3
	s_add_i32 s30, s30, 4
	v_mul_lo_u32 v3, v2, s21
	s_add_u32 s24, s24, 32
	v_sub_u32_e32 v3, v6, v3
	s_addc_u32 s25, s25, 0
	v_mul_lo_u32 v6, v3, s10
	v_mul_lo_u32 v3, v3, s11
	s_cmp_lg_u32 s28, s30
	v_add3_u32 v4, v4, v1, v3
	v_add3_u32 v0, v5, v0, v6
	s_cbranch_scc1 .LBB535_13
; %bb.14:
	v_mov_b32_e32 v1, v4
	s_and_b32 s8, s29, 3
	s_cmp_eq_u32 s8, 0
	s_cbranch_scc0 .LBB535_27
	s_branch .LBB535_29
.LBB535_15:
	s_or_b64 exec, exec, s[52:53]
	v_cmp_gt_i32_e32 vcc, s60, v24
	s_and_saveexec_b64 s[52:53], vcc
	s_cbranch_execz .LBB535_177
.LBB535_16:
	s_andn2_b64 vcc, exec, s[40:41]
	s_cbranch_vccnz .LBB535_24
; %bb.17:
	s_andn2_b64 vcc, exec, s[50:51]
	s_cbranch_vccnz .LBB535_164
; %bb.18:
	s_add_i32 s63, s61, 1
	s_cmp_eq_u32 s58, 2
	s_cbranch_scc1 .LBB535_186
; %bb.19:
	s_and_b32 s62, s63, 28
	s_mov_b32 s64, 0
	v_mov_b32_e32 v0, 0
	v_mov_b32_e32 v2, 0
	s_mov_b64 s[54:55], s[34:35]
	s_mov_b64 s[56:57], s[48:49]
	v_mov_b32_e32 v4, v24
.LBB535_20:                             ; =>This Inner Loop Header: Depth=1
	s_load_dwordx8 s[12:19], s[54:55], 0x4
	s_load_dwordx4 s[36:39], s[54:55], 0x24
	s_load_dwordx8 s[4:11], s[56:57], 0x0
	s_add_u32 s54, s54, 48
	s_addc_u32 s55, s55, 0
	s_waitcnt lgkmcnt(0)
	v_mul_hi_u32 v1, s13, v4
	v_add_u32_e32 v1, v4, v1
	v_lshrrev_b32_e32 v1, s14, v1
	v_mul_lo_u32 v3, v1, s12
	v_mul_hi_u32 v5, s16, v1
	v_sub_u32_e32 v3, v4, v3
	v_add_u32_e32 v4, v1, v5
	v_lshrrev_b32_e32 v4, s17, v4
	v_mul_lo_u32 v6, v4, s15
	v_mul_hi_u32 v7, s19, v4
	v_sub_u32_e32 v1, v1, v6
	v_add_u32_e32 v6, v4, v7
	v_mul_lo_u32 v5, v3, s5
	v_mul_lo_u32 v3, v3, s4
	;; [unrolled: 1-line block ×4, first 2 shown]
	v_lshrrev_b32_e32 v6, s36, v6
	v_add3_u32 v0, v3, v0, v1
	v_mul_hi_u32 v3, s38, v6
	v_add3_u32 v1, v5, v2, v7
	v_mul_lo_u32 v2, v6, s18
	v_add_u32_e32 v3, v6, v3
	v_sub_u32_e32 v2, v4, v2
	v_lshrrev_b32_e32 v4, s39, v3
	s_add_i32 s64, s64, 4
	v_mul_lo_u32 v3, v4, s37
	s_add_u32 s56, s56, 32
	v_sub_u32_e32 v3, v6, v3
	s_addc_u32 s57, s57, 0
	v_mul_lo_u32 v5, v2, s8
	v_mul_lo_u32 v2, v2, s9
	;; [unrolled: 1-line block ×4, first 2 shown]
	s_cmp_eq_u32 s62, s64
	v_add3_u32 v2, v2, v1, v3
	v_add3_u32 v0, v5, v0, v6
	s_cbranch_scc0 .LBB535_20
; %bb.21:
	v_mov_b32_e32 v1, v2
	s_branch .LBB535_187
.LBB535_22:
                                        ; implicit-def: $vgpr4
                                        ; implicit-def: $vgpr0
	s_branch .LBB535_30
.LBB535_23:
                                        ; implicit-def: $vgpr2
                                        ; implicit-def: $vgpr0
	s_branch .LBB535_170
.LBB535_24:
                                        ; implicit-def: $vgpr2
                                        ; implicit-def: $vgpr0
	s_branch .LBB535_191
.LBB535_25:
	v_mov_b32_e32 v4, 0
	v_mov_b32_e32 v0, 0
	s_branch .LBB535_29
.LBB535_26:
	v_mov_b32_e32 v0, 0
                                        ; implicit-def: $vgpr4
	v_mov_b32_e32 v1, v0
	v_mov_b32_e32 v2, v24
	s_and_b32 s8, s29, 3
	s_cmp_eq_u32 s8, 0
	s_cbranch_scc1 .LBB535_29
.LBB535_27:
	s_lshl_b32 s4, s28, 3
	s_add_u32 s4, s34, s4
	s_addc_u32 s5, s35, 0
	s_add_u32 s4, s4, 0xc4
	s_addc_u32 s5, s5, 0
	s_mul_i32 s6, s28, 12
	s_add_u32 s6, s34, s6
	s_addc_u32 s7, s35, 0
.LBB535_28:                             ; =>This Inner Loop Header: Depth=1
	s_load_dwordx2 s[10:11], s[6:7], 0x4
	s_load_dword s9, s[6:7], 0xc
	s_load_dwordx2 s[12:13], s[4:5], 0x0
	v_mov_b32_e32 v4, v1
	s_add_u32 s6, s6, 12
	s_waitcnt lgkmcnt(0)
	v_mul_hi_u32 v1, s11, v2
	v_add_u32_e32 v1, v2, v1
	v_lshrrev_b32_e32 v1, s9, v1
	s_addc_u32 s7, s7, 0
	v_mul_lo_u32 v3, v1, s10
	s_add_u32 s4, s4, 8
	v_sub_u32_e32 v3, v2, v3
	s_addc_u32 s5, s5, 0
	s_add_i32 s8, s8, -1
	v_mov_b32_e32 v2, v1
	v_mad_u64_u32 v[4:5], s[10:11], v3, s13, v[4:5]
	v_mad_u64_u32 v[0:1], s[10:11], v3, s12, v[0:1]
	s_cmp_lg_u32 s8, 0
	v_mov_b32_e32 v1, v4
	s_cbranch_scc1 .LBB535_28
.LBB535_29:
	s_cbranch_execnz .LBB535_32
.LBB535_30:
	s_load_dwordx4 s[4:7], s[34:35], 0x4
	s_load_dwordx2 s[8:9], s[34:35], 0xc4
	s_cmp_lt_u32 s33, 2
	s_waitcnt lgkmcnt(0)
	v_mul_hi_u32 v0, s5, v24
	v_add_u32_e32 v0, v24, v0
	v_lshrrev_b32_e32 v1, s6, v0
	v_mul_lo_u32 v0, v1, s4
	v_sub_u32_e32 v0, v24, v0
	v_mul_lo_u32 v4, v0, s9
	v_mul_lo_u32 v0, v0, s8
	s_cbranch_scc1 .LBB535_32
; %bb.31:
	s_load_dwordx4 s[4:7], s[34:35], 0x10
	s_load_dwordx2 s[8:9], s[34:35], 0xcc
	s_waitcnt lgkmcnt(0)
	v_mul_hi_u32 v2, s5, v1
	v_add_u32_e32 v2, v1, v2
	v_lshrrev_b32_e32 v2, s6, v2
	v_mul_lo_u32 v2, v2, s4
	v_sub_u32_e32 v2, v1, v2
	v_mad_u64_u32 v[0:1], s[4:5], v2, s8, v[0:1]
	v_mad_u64_u32 v[4:5], s[4:5], v2, s9, v[4:5]
.LBB535_32:
	s_and_b64 vcc, exec, s[2:3]
	v_add_u32_e32 v5, 0x80, v24
	s_cbranch_vccnz .LBB535_38
; %bb.33:
	s_cmp_lg_u32 s33, 0
	s_mov_b32 s28, 0
	s_cbranch_scc0 .LBB535_39
; %bb.34:
	s_min_u32 s29, s58, 15
	s_add_i32 s29, s29, 1
	s_cmp_eq_u32 s58, 2
	s_cbranch_scc1 .LBB535_40
; %bb.35:
	s_and_b32 s28, s29, 28
	s_add_u32 s24, s34, 0xc4
	s_addc_u32 s25, s35, 0
	s_mov_b32 s30, 0
	v_mov_b32_e32 v2, 0
	v_mov_b32_e32 v8, 0
	s_mov_b64 s[26:27], s[34:35]
	v_mov_b32_e32 v6, v5
.LBB535_36:                             ; =>This Inner Loop Header: Depth=1
	s_load_dwordx8 s[12:19], s[26:27], 0x4
	s_load_dwordx4 s[20:23], s[26:27], 0x24
	s_load_dwordx8 s[4:11], s[24:25], 0x0
	s_add_u32 s26, s26, 48
	s_addc_u32 s27, s27, 0
	s_waitcnt lgkmcnt(0)
	v_mul_hi_u32 v1, s13, v6
	v_add_u32_e32 v1, v6, v1
	v_lshrrev_b32_e32 v1, s14, v1
	v_mul_lo_u32 v3, v1, s12
	v_mul_hi_u32 v7, s16, v1
	v_sub_u32_e32 v3, v6, v3
	v_add_u32_e32 v6, v1, v7
	v_lshrrev_b32_e32 v6, s17, v6
	v_mul_lo_u32 v9, v6, s15
	v_mul_hi_u32 v10, s19, v6
	v_sub_u32_e32 v1, v1, v9
	v_add_u32_e32 v9, v6, v10
	v_mul_lo_u32 v7, v3, s5
	v_mul_lo_u32 v3, v3, s4
	;; [unrolled: 1-line block ×4, first 2 shown]
	v_lshrrev_b32_e32 v9, s20, v9
	v_add3_u32 v1, v3, v2, v1
	v_add3_u32 v2, v7, v8, v10
	v_mul_lo_u32 v3, v9, s18
	v_mul_hi_u32 v7, s22, v9
	v_sub_u32_e32 v3, v6, v3
	v_add_u32_e32 v6, v9, v7
	v_lshrrev_b32_e32 v6, s23, v6
	s_add_i32 s30, s30, 4
	v_mul_lo_u32 v8, v6, s21
	s_add_u32 s24, s24, 32
	v_sub_u32_e32 v8, v9, v8
	s_addc_u32 s25, s25, 0
	v_mul_lo_u32 v7, v3, s8
	v_mul_lo_u32 v3, v3, s9
	v_mul_lo_u32 v9, v8, s10
	v_mul_lo_u32 v8, v8, s11
	s_cmp_lg_u32 s28, s30
	v_add3_u32 v8, v3, v2, v8
	v_add3_u32 v2, v7, v1, v9
	s_cbranch_scc1 .LBB535_36
; %bb.37:
	v_mov_b32_e32 v1, v8
	s_and_b32 s8, s29, 3
	s_cmp_eq_u32 s8, 0
	s_cbranch_scc0 .LBB535_41
	s_branch .LBB535_43
.LBB535_38:
                                        ; implicit-def: $vgpr8
                                        ; implicit-def: $vgpr2
	s_branch .LBB535_44
.LBB535_39:
	v_mov_b32_e32 v8, 0
	v_mov_b32_e32 v2, 0
	s_branch .LBB535_43
.LBB535_40:
	v_mov_b32_e32 v2, 0
                                        ; implicit-def: $vgpr8
	v_mov_b32_e32 v1, v2
	v_mov_b32_e32 v6, v5
	s_and_b32 s8, s29, 3
	s_cmp_eq_u32 s8, 0
	s_cbranch_scc1 .LBB535_43
.LBB535_41:
	s_lshl_b32 s4, s28, 3
	s_add_u32 s4, s34, s4
	s_addc_u32 s5, s35, 0
	s_add_u32 s4, s4, 0xc4
	s_addc_u32 s5, s5, 0
	s_mul_i32 s6, s28, 12
	s_add_u32 s6, s34, s6
	s_addc_u32 s7, s35, 0
.LBB535_42:                             ; =>This Inner Loop Header: Depth=1
	s_load_dwordx2 s[10:11], s[6:7], 0x4
	s_load_dword s9, s[6:7], 0xc
	s_load_dwordx2 s[12:13], s[4:5], 0x0
	v_mov_b32_e32 v8, v1
	s_add_u32 s6, s6, 12
	s_waitcnt lgkmcnt(0)
	v_mul_hi_u32 v1, s11, v6
	v_add_u32_e32 v1, v6, v1
	v_lshrrev_b32_e32 v1, s9, v1
	s_addc_u32 s7, s7, 0
	v_mul_lo_u32 v3, v1, s10
	s_add_u32 s4, s4, 8
	v_sub_u32_e32 v3, v6, v3
	s_addc_u32 s5, s5, 0
	s_add_i32 s8, s8, -1
	v_mad_u64_u32 v[8:9], s[10:11], v3, s13, v[8:9]
	s_cmp_lg_u32 s8, 0
	v_mov_b32_e32 v6, v1
	v_mad_u64_u32 v[2:3], s[10:11], v3, s12, v[2:3]
	v_mov_b32_e32 v1, v8
	s_cbranch_scc1 .LBB535_42
.LBB535_43:
	s_cbranch_execnz .LBB535_46
.LBB535_44:
	s_load_dwordx4 s[4:7], s[34:35], 0x4
	s_load_dwordx2 s[8:9], s[34:35], 0xc4
	s_cmp_lt_u32 s33, 2
	s_waitcnt lgkmcnt(0)
	v_mul_hi_u32 v1, s5, v5
	v_add_u32_e32 v1, v5, v1
	v_lshrrev_b32_e32 v1, s6, v1
	v_mul_lo_u32 v2, v1, s4
	v_sub_u32_e32 v2, v5, v2
	v_mul_lo_u32 v8, v2, s9
	v_mul_lo_u32 v2, v2, s8
	s_cbranch_scc1 .LBB535_46
; %bb.45:
	s_load_dwordx4 s[4:7], s[34:35], 0x10
	s_load_dwordx2 s[8:9], s[34:35], 0xcc
	s_waitcnt lgkmcnt(0)
	v_mul_hi_u32 v3, s5, v1
	v_add_u32_e32 v3, v1, v3
	v_lshrrev_b32_e32 v3, s6, v3
	v_mul_lo_u32 v3, v3, s4
	v_sub_u32_e32 v1, v1, v3
	v_mad_u64_u32 v[2:3], s[4:5], v1, s8, v[2:3]
	v_mad_u64_u32 v[8:9], s[4:5], v1, s9, v[8:9]
.LBB535_46:
	s_and_b64 vcc, exec, s[2:3]
	v_add_u32_e32 v3, 0x100, v24
	s_cbranch_vccnz .LBB535_52
; %bb.47:
	s_cmp_lg_u32 s33, 0
	s_mov_b32 s28, 0
	s_cbranch_scc0 .LBB535_53
; %bb.48:
	s_min_u32 s29, s58, 15
	s_add_i32 s29, s29, 1
	s_cmp_eq_u32 s58, 2
	s_cbranch_scc1 .LBB535_54
; %bb.49:
	s_and_b32 s28, s29, 28
	s_add_u32 s24, s34, 0xc4
	s_addc_u32 s25, s35, 0
	s_mov_b32 s30, 0
	v_mov_b32_e32 v6, 0
	v_mov_b32_e32 v10, 0
	s_mov_b64 s[26:27], s[34:35]
	v_mov_b32_e32 v5, v3
.LBB535_50:                             ; =>This Inner Loop Header: Depth=1
	s_load_dwordx8 s[12:19], s[26:27], 0x4
	s_load_dwordx4 s[20:23], s[26:27], 0x24
	s_load_dwordx8 s[4:11], s[24:25], 0x0
	s_add_u32 s26, s26, 48
	s_addc_u32 s27, s27, 0
	s_waitcnt lgkmcnt(0)
	v_mul_hi_u32 v1, s13, v5
	v_add_u32_e32 v1, v5, v1
	v_lshrrev_b32_e32 v1, s14, v1
	v_mul_lo_u32 v7, v1, s12
	v_mul_hi_u32 v9, s16, v1
	v_sub_u32_e32 v5, v5, v7
	v_add_u32_e32 v7, v1, v9
	v_lshrrev_b32_e32 v7, s17, v7
	v_mul_lo_u32 v11, v7, s15
	v_mul_hi_u32 v12, s19, v7
	v_sub_u32_e32 v1, v1, v11
	v_add_u32_e32 v11, v7, v12
	v_mul_lo_u32 v9, v5, s5
	v_mul_lo_u32 v5, v5, s4
	;; [unrolled: 1-line block ×4, first 2 shown]
	v_lshrrev_b32_e32 v11, s20, v11
	v_add3_u32 v1, v5, v6, v1
	v_add3_u32 v6, v9, v10, v12
	v_mul_lo_u32 v5, v11, s18
	v_mul_hi_u32 v9, s22, v11
	v_sub_u32_e32 v5, v7, v5
	v_add_u32_e32 v7, v11, v9
	v_mul_lo_u32 v9, v5, s8
	v_mul_lo_u32 v10, v5, s9
	v_lshrrev_b32_e32 v5, s23, v7
	s_add_i32 s30, s30, 4
	v_mul_lo_u32 v7, v5, s21
	s_add_u32 s24, s24, 32
	v_sub_u32_e32 v7, v11, v7
	s_addc_u32 s25, s25, 0
	v_mul_lo_u32 v11, v7, s10
	v_mul_lo_u32 v7, v7, s11
	s_cmp_lg_u32 s28, s30
	v_add3_u32 v10, v10, v6, v7
	v_add3_u32 v6, v9, v1, v11
	s_cbranch_scc1 .LBB535_50
; %bb.51:
	v_mov_b32_e32 v1, v10
	s_and_b32 s8, s29, 3
	s_cmp_eq_u32 s8, 0
	s_cbranch_scc0 .LBB535_55
	s_branch .LBB535_57
.LBB535_52:
                                        ; implicit-def: $vgpr10
                                        ; implicit-def: $vgpr6
	s_branch .LBB535_58
.LBB535_53:
	v_mov_b32_e32 v10, 0
	v_mov_b32_e32 v6, 0
	s_branch .LBB535_57
.LBB535_54:
	v_mov_b32_e32 v6, 0
                                        ; implicit-def: $vgpr10
	v_mov_b32_e32 v1, v6
	v_mov_b32_e32 v5, v3
	s_and_b32 s8, s29, 3
	s_cmp_eq_u32 s8, 0
	s_cbranch_scc1 .LBB535_57
.LBB535_55:
	s_lshl_b32 s4, s28, 3
	s_add_u32 s4, s34, s4
	s_addc_u32 s5, s35, 0
	s_add_u32 s4, s4, 0xc4
	s_addc_u32 s5, s5, 0
	s_mul_i32 s6, s28, 12
	s_add_u32 s6, s34, s6
	s_addc_u32 s7, s35, 0
.LBB535_56:                             ; =>This Inner Loop Header: Depth=1
	s_load_dwordx2 s[10:11], s[6:7], 0x4
	s_load_dword s9, s[6:7], 0xc
	s_load_dwordx2 s[12:13], s[4:5], 0x0
	v_mov_b32_e32 v10, v1
	s_add_u32 s6, s6, 12
	s_waitcnt lgkmcnt(0)
	v_mul_hi_u32 v1, s11, v5
	v_add_u32_e32 v1, v5, v1
	v_lshrrev_b32_e32 v1, s9, v1
	s_addc_u32 s7, s7, 0
	v_mul_lo_u32 v7, v1, s10
	s_add_u32 s4, s4, 8
	v_sub_u32_e32 v7, v5, v7
	s_addc_u32 s5, s5, 0
	s_add_i32 s8, s8, -1
	v_mad_u64_u32 v[10:11], s[10:11], v7, s13, v[10:11]
	s_cmp_lg_u32 s8, 0
	v_mov_b32_e32 v5, v1
	v_mad_u64_u32 v[6:7], s[10:11], v7, s12, v[6:7]
	v_mov_b32_e32 v1, v10
	s_cbranch_scc1 .LBB535_56
.LBB535_57:
	s_cbranch_execnz .LBB535_60
.LBB535_58:
	s_load_dwordx4 s[4:7], s[34:35], 0x4
	s_load_dwordx2 s[8:9], s[34:35], 0xc4
	s_cmp_lt_u32 s33, 2
	s_waitcnt lgkmcnt(0)
	v_mul_hi_u32 v1, s5, v3
	v_add_u32_e32 v1, v3, v1
	v_lshrrev_b32_e32 v1, s6, v1
	v_mul_lo_u32 v5, v1, s4
	v_sub_u32_e32 v3, v3, v5
	v_mul_lo_u32 v10, v3, s9
	v_mul_lo_u32 v6, v3, s8
	s_cbranch_scc1 .LBB535_60
; %bb.59:
	s_load_dwordx4 s[4:7], s[34:35], 0x10
	s_load_dwordx2 s[8:9], s[34:35], 0xcc
	s_waitcnt lgkmcnt(0)
	v_mul_hi_u32 v3, s5, v1
	v_add_u32_e32 v3, v1, v3
	v_lshrrev_b32_e32 v3, s6, v3
	v_mul_lo_u32 v3, v3, s4
	v_sub_u32_e32 v1, v1, v3
	v_mad_u64_u32 v[6:7], s[4:5], v1, s8, v[6:7]
	v_mad_u64_u32 v[10:11], s[4:5], v1, s9, v[10:11]
.LBB535_60:
	s_and_b64 vcc, exec, s[2:3]
	v_add_u32_e32 v3, 0x180, v24
	s_cbranch_vccnz .LBB535_66
; %bb.61:
	s_cmp_lg_u32 s33, 0
	s_mov_b32 s28, 0
	s_cbranch_scc0 .LBB535_67
; %bb.62:
	s_min_u32 s29, s58, 15
	s_add_i32 s29, s29, 1
	s_cmp_eq_u32 s58, 2
	s_cbranch_scc1 .LBB535_68
; %bb.63:
	s_and_b32 s28, s29, 28
	s_add_u32 s24, s34, 0xc4
	s_addc_u32 s25, s35, 0
	s_mov_b32 s30, 0
	v_mov_b32_e32 v12, 0
	v_mov_b32_e32 v14, 0
	s_mov_b64 s[26:27], s[34:35]
	v_mov_b32_e32 v5, v3
.LBB535_64:                             ; =>This Inner Loop Header: Depth=1
	s_load_dwordx8 s[12:19], s[26:27], 0x4
	s_load_dwordx4 s[20:23], s[26:27], 0x24
	s_load_dwordx8 s[4:11], s[24:25], 0x0
	s_add_u32 s26, s26, 48
	s_addc_u32 s27, s27, 0
	s_waitcnt lgkmcnt(0)
	v_mul_hi_u32 v1, s13, v5
	v_add_u32_e32 v1, v5, v1
	v_lshrrev_b32_e32 v1, s14, v1
	v_mul_lo_u32 v7, v1, s12
	v_mul_hi_u32 v9, s16, v1
	v_sub_u32_e32 v5, v5, v7
	v_add_u32_e32 v7, v1, v9
	v_lshrrev_b32_e32 v7, s17, v7
	v_mul_lo_u32 v11, v7, s15
	v_mul_hi_u32 v13, s19, v7
	v_sub_u32_e32 v1, v1, v11
	v_add_u32_e32 v11, v7, v13
	v_mul_lo_u32 v9, v5, s5
	v_mul_lo_u32 v5, v5, s4
	;; [unrolled: 1-line block ×4, first 2 shown]
	v_lshrrev_b32_e32 v11, s20, v11
	v_add3_u32 v1, v5, v12, v1
	v_mul_lo_u32 v5, v11, s18
	v_mul_hi_u32 v12, s22, v11
	v_sub_u32_e32 v5, v7, v5
	v_add_u32_e32 v7, v11, v12
	v_add3_u32 v9, v9, v14, v13
	v_mul_lo_u32 v12, v5, s8
	v_mul_lo_u32 v13, v5, s9
	v_lshrrev_b32_e32 v5, s23, v7
	s_add_i32 s30, s30, 4
	v_mul_lo_u32 v7, v5, s21
	s_add_u32 s24, s24, 32
	v_sub_u32_e32 v7, v11, v7
	s_addc_u32 s25, s25, 0
	v_mul_lo_u32 v11, v7, s10
	v_mul_lo_u32 v7, v7, s11
	s_cmp_lg_u32 s28, s30
	v_add3_u32 v14, v13, v9, v7
	v_add3_u32 v12, v12, v1, v11
	s_cbranch_scc1 .LBB535_64
; %bb.65:
	v_mov_b32_e32 v1, v14
	s_and_b32 s8, s29, 3
	s_cmp_eq_u32 s8, 0
	s_cbranch_scc0 .LBB535_69
	s_branch .LBB535_71
.LBB535_66:
                                        ; implicit-def: $vgpr14
                                        ; implicit-def: $vgpr12
	s_branch .LBB535_72
.LBB535_67:
	v_mov_b32_e32 v14, 0
	v_mov_b32_e32 v12, 0
	s_branch .LBB535_71
.LBB535_68:
	v_mov_b32_e32 v12, 0
                                        ; implicit-def: $vgpr14
	v_mov_b32_e32 v1, v12
	v_mov_b32_e32 v5, v3
	s_and_b32 s8, s29, 3
	s_cmp_eq_u32 s8, 0
	s_cbranch_scc1 .LBB535_71
.LBB535_69:
	s_lshl_b32 s4, s28, 3
	s_add_u32 s4, s34, s4
	s_addc_u32 s5, s35, 0
	s_add_u32 s4, s4, 0xc4
	s_addc_u32 s5, s5, 0
	s_mul_i32 s6, s28, 12
	s_add_u32 s6, s34, s6
	s_addc_u32 s7, s35, 0
.LBB535_70:                             ; =>This Inner Loop Header: Depth=1
	s_load_dwordx2 s[10:11], s[6:7], 0x4
	s_load_dword s9, s[6:7], 0xc
	s_load_dwordx2 s[12:13], s[4:5], 0x0
	v_mov_b32_e32 v14, v1
	s_add_u32 s6, s6, 12
	s_waitcnt lgkmcnt(0)
	v_mul_hi_u32 v1, s11, v5
	v_add_u32_e32 v1, v5, v1
	v_lshrrev_b32_e32 v1, s9, v1
	s_addc_u32 s7, s7, 0
	v_mul_lo_u32 v7, v1, s10
	s_add_u32 s4, s4, 8
	v_sub_u32_e32 v7, v5, v7
	s_addc_u32 s5, s5, 0
	s_add_i32 s8, s8, -1
	v_mad_u64_u32 v[14:15], s[10:11], v7, s13, v[14:15]
	s_cmp_lg_u32 s8, 0
	v_mov_b32_e32 v5, v1
	v_mad_u64_u32 v[12:13], s[10:11], v7, s12, v[12:13]
	v_mov_b32_e32 v1, v14
	s_cbranch_scc1 .LBB535_70
.LBB535_71:
	s_cbranch_execnz .LBB535_74
.LBB535_72:
	s_load_dwordx4 s[4:7], s[34:35], 0x4
	s_load_dwordx2 s[8:9], s[34:35], 0xc4
	s_cmp_lt_u32 s33, 2
	s_waitcnt lgkmcnt(0)
	v_mul_hi_u32 v1, s5, v3
	v_add_u32_e32 v1, v3, v1
	v_lshrrev_b32_e32 v1, s6, v1
	v_mul_lo_u32 v5, v1, s4
	v_sub_u32_e32 v3, v3, v5
	v_mul_lo_u32 v14, v3, s9
	v_mul_lo_u32 v12, v3, s8
	s_cbranch_scc1 .LBB535_74
; %bb.73:
	s_load_dwordx4 s[4:7], s[34:35], 0x10
	s_load_dwordx2 s[8:9], s[34:35], 0xcc
	s_waitcnt lgkmcnt(0)
	v_mul_hi_u32 v3, s5, v1
	v_add_u32_e32 v3, v1, v3
	v_lshrrev_b32_e32 v3, s6, v3
	v_mul_lo_u32 v3, v3, s4
	v_sub_u32_e32 v1, v1, v3
	v_mad_u64_u32 v[12:13], s[4:5], v1, s8, v[12:13]
	v_mad_u64_u32 v[14:15], s[4:5], v1, s9, v[14:15]
.LBB535_74:
	s_and_b64 vcc, exec, s[2:3]
	v_add_u32_e32 v3, 0x200, v24
	s_cbranch_vccnz .LBB535_80
; %bb.75:
	s_cmp_lg_u32 s33, 0
	s_mov_b32 s28, 0
	s_cbranch_scc0 .LBB535_81
; %bb.76:
	s_min_u32 s29, s58, 15
	s_add_i32 s29, s29, 1
	s_cmp_eq_u32 s58, 2
	s_cbranch_scc1 .LBB535_82
; %bb.77:
	s_and_b32 s28, s29, 28
	s_add_u32 s24, s34, 0xc4
	s_addc_u32 s25, s35, 0
	s_mov_b32 s30, 0
	v_mov_b32_e32 v16, 0
	v_mov_b32_e32 v18, 0
	s_mov_b64 s[26:27], s[34:35]
	v_mov_b32_e32 v5, v3
.LBB535_78:                             ; =>This Inner Loop Header: Depth=1
	s_load_dwordx8 s[12:19], s[26:27], 0x4
	s_load_dwordx4 s[20:23], s[26:27], 0x24
	s_load_dwordx8 s[4:11], s[24:25], 0x0
	s_add_u32 s26, s26, 48
	s_addc_u32 s27, s27, 0
	s_waitcnt lgkmcnt(0)
	v_mul_hi_u32 v1, s13, v5
	v_add_u32_e32 v1, v5, v1
	v_lshrrev_b32_e32 v1, s14, v1
	v_mul_lo_u32 v7, v1, s12
	v_mul_hi_u32 v9, s16, v1
	v_sub_u32_e32 v5, v5, v7
	v_add_u32_e32 v7, v1, v9
	v_lshrrev_b32_e32 v7, s17, v7
	v_mul_lo_u32 v11, v7, s15
	v_mul_hi_u32 v13, s19, v7
	v_sub_u32_e32 v1, v1, v11
	v_add_u32_e32 v11, v7, v13
	v_mul_lo_u32 v9, v5, s5
	v_mul_lo_u32 v5, v5, s4
	;; [unrolled: 1-line block ×4, first 2 shown]
	v_lshrrev_b32_e32 v11, s20, v11
	v_add3_u32 v1, v5, v16, v1
	v_add3_u32 v9, v9, v18, v13
	v_mul_lo_u32 v5, v11, s18
	v_mul_hi_u32 v13, s22, v11
	v_sub_u32_e32 v5, v7, v5
	v_add_u32_e32 v7, v11, v13
	v_mul_lo_u32 v13, v5, s8
	v_mul_lo_u32 v15, v5, s9
	v_lshrrev_b32_e32 v5, s23, v7
	s_add_i32 s30, s30, 4
	v_mul_lo_u32 v7, v5, s21
	s_add_u32 s24, s24, 32
	v_sub_u32_e32 v7, v11, v7
	s_addc_u32 s25, s25, 0
	v_mul_lo_u32 v11, v7, s10
	v_mul_lo_u32 v7, v7, s11
	s_cmp_lg_u32 s28, s30
	v_add3_u32 v18, v15, v9, v7
	v_add3_u32 v16, v13, v1, v11
	s_cbranch_scc1 .LBB535_78
; %bb.79:
	v_mov_b32_e32 v1, v18
	s_and_b32 s8, s29, 3
	s_cmp_eq_u32 s8, 0
	s_cbranch_scc0 .LBB535_83
	s_branch .LBB535_85
.LBB535_80:
                                        ; implicit-def: $vgpr18
                                        ; implicit-def: $vgpr16
	s_branch .LBB535_86
.LBB535_81:
	v_mov_b32_e32 v18, 0
	v_mov_b32_e32 v16, 0
	s_branch .LBB535_85
.LBB535_82:
	v_mov_b32_e32 v16, 0
                                        ; implicit-def: $vgpr18
	v_mov_b32_e32 v1, v16
	v_mov_b32_e32 v5, v3
	s_and_b32 s8, s29, 3
	s_cmp_eq_u32 s8, 0
	s_cbranch_scc1 .LBB535_85
.LBB535_83:
	s_lshl_b32 s4, s28, 3
	s_add_u32 s4, s34, s4
	s_addc_u32 s5, s35, 0
	s_add_u32 s4, s4, 0xc4
	s_addc_u32 s5, s5, 0
	s_mul_i32 s6, s28, 12
	s_add_u32 s6, s34, s6
	s_addc_u32 s7, s35, 0
.LBB535_84:                             ; =>This Inner Loop Header: Depth=1
	s_load_dwordx2 s[10:11], s[6:7], 0x4
	s_load_dword s9, s[6:7], 0xc
	s_load_dwordx2 s[12:13], s[4:5], 0x0
	v_mov_b32_e32 v18, v1
	s_add_u32 s6, s6, 12
	s_waitcnt lgkmcnt(0)
	v_mul_hi_u32 v1, s11, v5
	v_add_u32_e32 v1, v5, v1
	v_lshrrev_b32_e32 v1, s9, v1
	s_addc_u32 s7, s7, 0
	v_mul_lo_u32 v7, v1, s10
	s_add_u32 s4, s4, 8
	v_sub_u32_e32 v7, v5, v7
	s_addc_u32 s5, s5, 0
	s_add_i32 s8, s8, -1
	v_mad_u64_u32 v[18:19], s[10:11], v7, s13, v[18:19]
	s_cmp_lg_u32 s8, 0
	v_mov_b32_e32 v5, v1
	v_mad_u64_u32 v[16:17], s[10:11], v7, s12, v[16:17]
	v_mov_b32_e32 v1, v18
	s_cbranch_scc1 .LBB535_84
.LBB535_85:
	s_cbranch_execnz .LBB535_88
.LBB535_86:
	s_load_dwordx4 s[4:7], s[34:35], 0x4
	s_load_dwordx2 s[8:9], s[34:35], 0xc4
	s_cmp_lt_u32 s33, 2
	s_waitcnt lgkmcnt(0)
	v_mul_hi_u32 v1, s5, v3
	v_add_u32_e32 v1, v3, v1
	v_lshrrev_b32_e32 v1, s6, v1
	v_mul_lo_u32 v5, v1, s4
	v_sub_u32_e32 v3, v3, v5
	v_mul_lo_u32 v18, v3, s9
	v_mul_lo_u32 v16, v3, s8
	s_cbranch_scc1 .LBB535_88
; %bb.87:
	s_load_dwordx4 s[4:7], s[34:35], 0x10
	s_load_dwordx2 s[8:9], s[34:35], 0xcc
	s_waitcnt lgkmcnt(0)
	v_mul_hi_u32 v3, s5, v1
	v_add_u32_e32 v3, v1, v3
	v_lshrrev_b32_e32 v3, s6, v3
	v_mul_lo_u32 v3, v3, s4
	v_sub_u32_e32 v1, v1, v3
	v_mad_u64_u32 v[16:17], s[4:5], v1, s8, v[16:17]
	v_mad_u64_u32 v[18:19], s[4:5], v1, s9, v[18:19]
.LBB535_88:
	s_and_b64 vcc, exec, s[2:3]
	v_add_u32_e32 v3, 0x280, v24
	s_cbranch_vccnz .LBB535_94
; %bb.89:
	s_cmp_lg_u32 s33, 0
	s_mov_b32 s28, 0
	s_cbranch_scc0 .LBB535_95
; %bb.90:
	s_min_u32 s29, s58, 15
	s_add_i32 s29, s29, 1
	s_cmp_eq_u32 s58, 2
	s_cbranch_scc1 .LBB535_96
; %bb.91:
	s_and_b32 s28, s29, 28
	s_add_u32 s24, s34, 0xc4
	s_addc_u32 s25, s35, 0
	s_mov_b32 s30, 0
	v_mov_b32_e32 v20, 0
	v_mov_b32_e32 v22, 0
	s_mov_b64 s[26:27], s[34:35]
	v_mov_b32_e32 v5, v3
.LBB535_92:                             ; =>This Inner Loop Header: Depth=1
	s_load_dwordx8 s[12:19], s[26:27], 0x4
	s_load_dwordx4 s[20:23], s[26:27], 0x24
	s_load_dwordx8 s[4:11], s[24:25], 0x0
	s_add_u32 s26, s26, 48
	s_addc_u32 s27, s27, 0
	s_waitcnt lgkmcnt(0)
	v_mul_hi_u32 v1, s13, v5
	v_add_u32_e32 v1, v5, v1
	v_lshrrev_b32_e32 v1, s14, v1
	v_mul_lo_u32 v7, v1, s12
	v_mul_hi_u32 v9, s16, v1
	v_sub_u32_e32 v5, v5, v7
	v_add_u32_e32 v7, v1, v9
	v_lshrrev_b32_e32 v7, s17, v7
	v_mul_lo_u32 v11, v7, s15
	v_mul_hi_u32 v13, s19, v7
	v_sub_u32_e32 v1, v1, v11
	v_add_u32_e32 v11, v7, v13
	v_mul_lo_u32 v9, v5, s5
	v_mul_lo_u32 v5, v5, s4
	;; [unrolled: 1-line block ×4, first 2 shown]
	v_lshrrev_b32_e32 v11, s20, v11
	v_add3_u32 v1, v5, v20, v1
	v_add3_u32 v9, v9, v22, v13
	v_mul_lo_u32 v5, v11, s18
	v_mul_hi_u32 v13, s22, v11
	v_sub_u32_e32 v5, v7, v5
	v_add_u32_e32 v7, v11, v13
	v_mul_lo_u32 v13, v5, s8
	v_mul_lo_u32 v15, v5, s9
	v_lshrrev_b32_e32 v5, s23, v7
	s_add_i32 s30, s30, 4
	v_mul_lo_u32 v7, v5, s21
	s_add_u32 s24, s24, 32
	v_sub_u32_e32 v7, v11, v7
	s_addc_u32 s25, s25, 0
	v_mul_lo_u32 v11, v7, s10
	v_mul_lo_u32 v7, v7, s11
	s_cmp_lg_u32 s28, s30
	v_add3_u32 v22, v15, v9, v7
	v_add3_u32 v20, v13, v1, v11
	s_cbranch_scc1 .LBB535_92
; %bb.93:
	v_mov_b32_e32 v1, v22
	s_and_b32 s8, s29, 3
	s_cmp_eq_u32 s8, 0
	s_cbranch_scc0 .LBB535_97
	s_branch .LBB535_99
.LBB535_94:
                                        ; implicit-def: $vgpr22
                                        ; implicit-def: $vgpr20
	s_branch .LBB535_100
.LBB535_95:
	v_mov_b32_e32 v22, 0
	v_mov_b32_e32 v20, 0
	s_branch .LBB535_99
.LBB535_96:
	v_mov_b32_e32 v20, 0
                                        ; implicit-def: $vgpr22
	v_mov_b32_e32 v1, v20
	v_mov_b32_e32 v5, v3
	s_and_b32 s8, s29, 3
	s_cmp_eq_u32 s8, 0
	s_cbranch_scc1 .LBB535_99
.LBB535_97:
	s_lshl_b32 s4, s28, 3
	s_add_u32 s4, s34, s4
	s_addc_u32 s5, s35, 0
	s_add_u32 s4, s4, 0xc4
	s_addc_u32 s5, s5, 0
	s_mul_i32 s6, s28, 12
	s_add_u32 s6, s34, s6
	s_addc_u32 s7, s35, 0
.LBB535_98:                             ; =>This Inner Loop Header: Depth=1
	s_load_dwordx2 s[10:11], s[6:7], 0x4
	s_load_dword s9, s[6:7], 0xc
	s_load_dwordx2 s[12:13], s[4:5], 0x0
	v_mov_b32_e32 v22, v1
	s_add_u32 s6, s6, 12
	s_waitcnt lgkmcnt(0)
	v_mul_hi_u32 v1, s11, v5
	v_add_u32_e32 v1, v5, v1
	v_lshrrev_b32_e32 v1, s9, v1
	s_addc_u32 s7, s7, 0
	v_mul_lo_u32 v7, v1, s10
	s_add_u32 s4, s4, 8
	v_sub_u32_e32 v7, v5, v7
	s_addc_u32 s5, s5, 0
	s_add_i32 s8, s8, -1
	v_mad_u64_u32 v[22:23], s[10:11], v7, s13, v[22:23]
	s_cmp_lg_u32 s8, 0
	v_mov_b32_e32 v5, v1
	v_mad_u64_u32 v[20:21], s[10:11], v7, s12, v[20:21]
	v_mov_b32_e32 v1, v22
	s_cbranch_scc1 .LBB535_98
.LBB535_99:
	s_cbranch_execnz .LBB535_102
.LBB535_100:
	s_load_dwordx4 s[4:7], s[34:35], 0x4
	s_load_dwordx2 s[8:9], s[34:35], 0xc4
	s_cmp_lt_u32 s33, 2
	s_waitcnt lgkmcnt(0)
	v_mul_hi_u32 v1, s5, v3
	v_add_u32_e32 v1, v3, v1
	v_lshrrev_b32_e32 v1, s6, v1
	v_mul_lo_u32 v5, v1, s4
	v_sub_u32_e32 v3, v3, v5
	v_mul_lo_u32 v22, v3, s9
	v_mul_lo_u32 v20, v3, s8
	s_cbranch_scc1 .LBB535_102
; %bb.101:
	s_load_dwordx4 s[4:7], s[34:35], 0x10
	s_load_dwordx2 s[8:9], s[34:35], 0xcc
	s_waitcnt lgkmcnt(0)
	v_mul_hi_u32 v3, s5, v1
	v_add_u32_e32 v3, v1, v3
	v_lshrrev_b32_e32 v3, s6, v3
	v_mul_lo_u32 v3, v3, s4
	v_sub_u32_e32 v1, v1, v3
	v_mad_u64_u32 v[20:21], s[4:5], v1, s8, v[20:21]
	v_mad_u64_u32 v[22:23], s[4:5], v1, s9, v[22:23]
.LBB535_102:
	s_and_b64 vcc, exec, s[2:3]
	v_add_u32_e32 v3, 0x300, v24
	s_cbranch_vccnz .LBB535_108
; %bb.103:
	s_cmp_lg_u32 s33, 0
	s_mov_b32 s28, 0
	s_cbranch_scc0 .LBB535_109
; %bb.104:
	s_min_u32 s29, s58, 15
	s_add_i32 s29, s29, 1
	s_cmp_eq_u32 s58, 2
	s_cbranch_scc1 .LBB535_110
; %bb.105:
	s_and_b32 s28, s29, 28
	s_add_u32 s24, s34, 0xc4
	s_addc_u32 s25, s35, 0
	s_mov_b32 s30, 0
	v_mov_b32_e32 v24, 0
	v_mov_b32_e32 v26, 0
	s_mov_b64 s[26:27], s[34:35]
	v_mov_b32_e32 v5, v3
.LBB535_106:                            ; =>This Inner Loop Header: Depth=1
	s_load_dwordx8 s[12:19], s[26:27], 0x4
	s_load_dwordx4 s[20:23], s[26:27], 0x24
	s_load_dwordx8 s[4:11], s[24:25], 0x0
	s_add_u32 s26, s26, 48
	s_addc_u32 s27, s27, 0
	s_waitcnt lgkmcnt(0)
	v_mul_hi_u32 v1, s13, v5
	v_add_u32_e32 v1, v5, v1
	v_lshrrev_b32_e32 v1, s14, v1
	v_mul_lo_u32 v7, v1, s12
	v_mul_hi_u32 v9, s16, v1
	v_sub_u32_e32 v5, v5, v7
	v_add_u32_e32 v7, v1, v9
	v_lshrrev_b32_e32 v7, s17, v7
	v_mul_lo_u32 v11, v7, s15
	v_mul_hi_u32 v13, s19, v7
	v_sub_u32_e32 v1, v1, v11
	v_add_u32_e32 v11, v7, v13
	v_mul_lo_u32 v9, v5, s5
	v_mul_lo_u32 v5, v5, s4
	;; [unrolled: 1-line block ×4, first 2 shown]
	v_lshrrev_b32_e32 v11, s20, v11
	v_add3_u32 v1, v5, v24, v1
	v_add3_u32 v9, v9, v26, v13
	v_mul_lo_u32 v5, v11, s18
	v_mul_hi_u32 v13, s22, v11
	v_sub_u32_e32 v5, v7, v5
	v_add_u32_e32 v7, v11, v13
	v_mul_lo_u32 v13, v5, s8
	v_mul_lo_u32 v15, v5, s9
	v_lshrrev_b32_e32 v5, s23, v7
	s_add_i32 s30, s30, 4
	v_mul_lo_u32 v7, v5, s21
	s_add_u32 s24, s24, 32
	v_sub_u32_e32 v7, v11, v7
	s_addc_u32 s25, s25, 0
	v_mul_lo_u32 v11, v7, s10
	v_mul_lo_u32 v7, v7, s11
	s_cmp_lg_u32 s28, s30
	v_add3_u32 v26, v15, v9, v7
	v_add3_u32 v24, v13, v1, v11
	s_cbranch_scc1 .LBB535_106
; %bb.107:
	v_mov_b32_e32 v1, v26
	s_and_b32 s8, s29, 3
	s_cmp_eq_u32 s8, 0
	s_cbranch_scc0 .LBB535_111
	s_branch .LBB535_113
.LBB535_108:
                                        ; implicit-def: $vgpr26
                                        ; implicit-def: $vgpr24
	s_branch .LBB535_114
.LBB535_109:
	v_mov_b32_e32 v26, 0
	v_mov_b32_e32 v24, 0
	s_branch .LBB535_113
.LBB535_110:
	v_mov_b32_e32 v24, 0
                                        ; implicit-def: $vgpr26
	v_mov_b32_e32 v1, v24
	v_mov_b32_e32 v5, v3
	s_and_b32 s8, s29, 3
	s_cmp_eq_u32 s8, 0
	s_cbranch_scc1 .LBB535_113
.LBB535_111:
	s_lshl_b32 s4, s28, 3
	s_add_u32 s4, s34, s4
	s_addc_u32 s5, s35, 0
	s_add_u32 s4, s4, 0xc4
	s_addc_u32 s5, s5, 0
	s_mul_i32 s6, s28, 12
	s_add_u32 s6, s34, s6
	s_addc_u32 s7, s35, 0
.LBB535_112:                            ; =>This Inner Loop Header: Depth=1
	s_load_dwordx2 s[10:11], s[6:7], 0x4
	s_load_dword s9, s[6:7], 0xc
	s_load_dwordx2 s[12:13], s[4:5], 0x0
	v_mov_b32_e32 v26, v1
	s_add_u32 s6, s6, 12
	s_waitcnt lgkmcnt(0)
	v_mul_hi_u32 v1, s11, v5
	v_add_u32_e32 v1, v5, v1
	v_lshrrev_b32_e32 v1, s9, v1
	s_addc_u32 s7, s7, 0
	v_mul_lo_u32 v7, v1, s10
	s_add_u32 s4, s4, 8
	v_sub_u32_e32 v7, v5, v7
	s_addc_u32 s5, s5, 0
	s_add_i32 s8, s8, -1
	v_mad_u64_u32 v[26:27], s[10:11], v7, s13, v[26:27]
	s_cmp_lg_u32 s8, 0
	v_mov_b32_e32 v5, v1
	v_mad_u64_u32 v[24:25], s[10:11], v7, s12, v[24:25]
	v_mov_b32_e32 v1, v26
	s_cbranch_scc1 .LBB535_112
.LBB535_113:
	s_cbranch_execnz .LBB535_116
.LBB535_114:
	s_load_dwordx4 s[4:7], s[34:35], 0x4
	s_load_dwordx2 s[8:9], s[34:35], 0xc4
	s_cmp_lt_u32 s33, 2
	s_waitcnt lgkmcnt(0)
	v_mul_hi_u32 v1, s5, v3
	v_add_u32_e32 v1, v3, v1
	v_lshrrev_b32_e32 v1, s6, v1
	v_mul_lo_u32 v5, v1, s4
	v_sub_u32_e32 v3, v3, v5
	v_mul_lo_u32 v26, v3, s9
	v_mul_lo_u32 v24, v3, s8
	s_cbranch_scc1 .LBB535_116
; %bb.115:
	s_load_dwordx4 s[4:7], s[34:35], 0x10
	s_load_dwordx2 s[8:9], s[34:35], 0xcc
	s_waitcnt lgkmcnt(0)
	v_mul_hi_u32 v3, s5, v1
	v_add_u32_e32 v3, v1, v3
	v_lshrrev_b32_e32 v3, s6, v3
	v_mul_lo_u32 v3, v3, s4
	v_sub_u32_e32 v1, v1, v3
	v_mad_u64_u32 v[24:25], s[4:5], v1, s8, v[24:25]
	v_mad_u64_u32 v[26:27], s[4:5], v1, s9, v[26:27]
.LBB535_116:
	s_and_b64 vcc, exec, s[2:3]
	s_cbranch_vccnz .LBB535_122
; %bb.117:
	s_cmp_lg_u32 s33, 0
	s_mov_b32 s26, 0
	s_cbranch_scc0 .LBB535_123
; %bb.118:
	s_min_u32 s27, s58, 15
	s_add_i32 s27, s27, 1
	s_cmp_eq_u32 s58, 2
	s_cbranch_scc1 .LBB535_124
; %bb.119:
	s_and_b32 s26, s27, 28
	s_add_u32 s2, s34, 0xc4
	s_addc_u32 s3, s35, 0
	s_mov_b32 s28, 0
	v_mov_b32_e32 v28, 0
	v_mov_b32_e32 v30, 0
	s_mov_b64 s[24:25], s[34:35]
	v_mov_b32_e32 v3, v32
.LBB535_120:                            ; =>This Inner Loop Header: Depth=1
	s_load_dwordx8 s[12:19], s[24:25], 0x4
	s_load_dwordx4 s[20:23], s[24:25], 0x24
	s_load_dwordx8 s[4:11], s[2:3], 0x0
	s_add_u32 s24, s24, 48
	s_addc_u32 s25, s25, 0
	s_waitcnt lgkmcnt(0)
	v_mul_hi_u32 v1, s13, v3
	v_add_u32_e32 v1, v3, v1
	v_lshrrev_b32_e32 v1, s14, v1
	v_mul_lo_u32 v5, v1, s12
	v_mul_hi_u32 v7, s16, v1
	v_sub_u32_e32 v3, v3, v5
	v_add_u32_e32 v5, v1, v7
	v_lshrrev_b32_e32 v5, s17, v5
	v_mul_lo_u32 v9, v5, s15
	v_mul_hi_u32 v11, s19, v5
	v_sub_u32_e32 v1, v1, v9
	v_add_u32_e32 v9, v5, v11
	v_mul_lo_u32 v7, v3, s5
	v_mul_lo_u32 v3, v3, s4
	;; [unrolled: 1-line block ×4, first 2 shown]
	v_lshrrev_b32_e32 v9, s20, v9
	v_add3_u32 v1, v3, v28, v1
	v_add3_u32 v7, v7, v30, v11
	v_mul_lo_u32 v3, v9, s18
	v_mul_hi_u32 v11, s22, v9
	v_sub_u32_e32 v3, v5, v3
	v_add_u32_e32 v5, v9, v11
	v_mul_lo_u32 v11, v3, s8
	v_mul_lo_u32 v13, v3, s9
	v_lshrrev_b32_e32 v3, s23, v5
	s_add_i32 s28, s28, 4
	v_mul_lo_u32 v5, v3, s21
	s_add_u32 s2, s2, 32
	v_sub_u32_e32 v5, v9, v5
	s_addc_u32 s3, s3, 0
	v_mul_lo_u32 v9, v5, s10
	v_mul_lo_u32 v5, v5, s11
	s_cmp_lg_u32 s26, s28
	v_add3_u32 v30, v13, v7, v5
	v_add3_u32 v28, v11, v1, v9
	s_cbranch_scc1 .LBB535_120
; %bb.121:
	v_mov_b32_e32 v1, v30
	s_and_b32 s6, s27, 3
	s_cmp_eq_u32 s6, 0
	s_cbranch_scc0 .LBB535_125
	s_branch .LBB535_127
.LBB535_122:
                                        ; implicit-def: $vgpr30
                                        ; implicit-def: $vgpr28
	s_branch .LBB535_128
.LBB535_123:
	v_mov_b32_e32 v30, 0
	v_mov_b32_e32 v28, 0
	s_branch .LBB535_127
.LBB535_124:
	v_mov_b32_e32 v28, 0
                                        ; implicit-def: $vgpr30
	v_mov_b32_e32 v1, v28
	v_mov_b32_e32 v3, v32
	s_and_b32 s6, s27, 3
	s_cmp_eq_u32 s6, 0
	s_cbranch_scc1 .LBB535_127
.LBB535_125:
	s_lshl_b32 s2, s26, 3
	s_add_u32 s2, s34, s2
	s_addc_u32 s3, s35, 0
	s_add_u32 s2, s2, 0xc4
	s_addc_u32 s3, s3, 0
	s_mul_i32 s4, s26, 12
	s_add_u32 s4, s34, s4
	s_addc_u32 s5, s35, 0
.LBB535_126:                            ; =>This Inner Loop Header: Depth=1
	s_load_dwordx2 s[8:9], s[4:5], 0x4
	s_load_dword s7, s[4:5], 0xc
	s_load_dwordx2 s[10:11], s[2:3], 0x0
	v_mov_b32_e32 v30, v1
	s_add_u32 s4, s4, 12
	s_waitcnt lgkmcnt(0)
	v_mul_hi_u32 v1, s9, v3
	v_add_u32_e32 v1, v3, v1
	v_lshrrev_b32_e32 v1, s7, v1
	s_addc_u32 s5, s5, 0
	v_mul_lo_u32 v5, v1, s8
	s_add_u32 s2, s2, 8
	v_sub_u32_e32 v5, v3, v5
	s_addc_u32 s3, s3, 0
	s_add_i32 s6, s6, -1
	v_mad_u64_u32 v[30:31], s[8:9], v5, s11, v[30:31]
	s_cmp_lg_u32 s6, 0
	v_mov_b32_e32 v3, v1
	v_mad_u64_u32 v[28:29], s[8:9], v5, s10, v[28:29]
	v_mov_b32_e32 v1, v30
	s_cbranch_scc1 .LBB535_126
.LBB535_127:
	s_cbranch_execnz .LBB535_130
.LBB535_128:
	s_load_dwordx4 s[4:7], s[34:35], 0x4
	s_load_dwordx2 s[2:3], s[34:35], 0xc4
	s_cmp_lt_u32 s33, 2
	s_waitcnt lgkmcnt(0)
	v_mul_hi_u32 v1, s5, v32
	v_add_u32_e32 v1, v32, v1
	v_lshrrev_b32_e32 v1, s6, v1
	v_mul_lo_u32 v3, v1, s4
	v_sub_u32_e32 v3, v32, v3
	v_mul_lo_u32 v30, v3, s3
	v_mul_lo_u32 v28, v3, s2
	s_cbranch_scc1 .LBB535_130
; %bb.129:
	s_load_dwordx4 s[4:7], s[34:35], 0x10
	s_load_dwordx2 s[2:3], s[34:35], 0xcc
	s_waitcnt lgkmcnt(0)
	v_mul_hi_u32 v3, s5, v1
	v_add_u32_e32 v3, v1, v3
	v_lshrrev_b32_e32 v3, s6, v3
	v_mul_lo_u32 v3, v3, s4
	v_sub_u32_e32 v1, v1, v3
	v_mad_u64_u32 v[28:29], s[4:5], v1, s2, v[28:29]
	v_mad_u64_u32 v[30:31], s[2:3], v1, s3, v[30:31]
.LBB535_130:
	s_load_dwordx4 s[4:7], s[34:35], 0x148
	s_load_dword s10, s[34:35], 0x158
	s_waitcnt lgkmcnt(0)
	global_load_ushort v3, v4, s[6:7]
	v_mov_b32_e32 v1, s10
	s_waitcnt vmcnt(0)
	v_lshlrev_b32_e32 v4, 16, v3
	v_cmp_o_f32_e32 vcc, v4, v4
	s_and_saveexec_b64 s[2:3], vcc
	s_cbranch_execz .LBB535_134
; %bb.131:
	s_load_dword s8, s[0:1], 0x160
	s_mov_b32 s9, 0x7f800000
	v_cmp_neq_f32_e32 vcc, s9, v4
	s_waitcnt lgkmcnt(0)
	s_lshr_b32 s8, s8, 16
	v_mov_b32_e32 v1, s8
	s_and_saveexec_b64 s[8:9], vcc
	s_cbranch_execz .LBB535_133
; %bb.132:
	s_load_dword s11, s[34:35], 0x15c
	s_mov_b32 s12, 0xff800000
	v_cmp_eq_f32_e32 vcc, s12, v4
	s_waitcnt lgkmcnt(0)
	v_mov_b32_e32 v1, s11
	v_cndmask_b32_e32 v1, v3, v1, vcc
.LBB535_133:
	s_or_b64 exec, exec, s[8:9]
.LBB535_134:
	s_or_b64 exec, exec, s[2:3]
	global_load_ushort v4, v8, s[6:7]
	v_mov_b32_e32 v3, s10
	s_waitcnt vmcnt(0)
	v_lshlrev_b32_e32 v5, 16, v4
	v_cmp_o_f32_e32 vcc, v5, v5
	s_and_saveexec_b64 s[2:3], vcc
	s_cbranch_execz .LBB535_138
; %bb.135:
	s_load_dword s8, s[0:1], 0x160
	s_mov_b32 s9, 0x7f800000
	v_cmp_neq_f32_e32 vcc, s9, v5
	s_waitcnt lgkmcnt(0)
	s_lshr_b32 s8, s8, 16
	v_mov_b32_e32 v3, s8
	s_and_saveexec_b64 s[8:9], vcc
	s_cbranch_execz .LBB535_137
; %bb.136:
	s_load_dword s11, s[34:35], 0x15c
	s_mov_b32 s12, 0xff800000
	v_cmp_eq_f32_e32 vcc, s12, v5
	s_waitcnt lgkmcnt(0)
	v_mov_b32_e32 v3, s11
	v_cndmask_b32_e32 v3, v4, v3, vcc
.LBB535_137:
	s_or_b64 exec, exec, s[8:9]
.LBB535_138:
	s_or_b64 exec, exec, s[2:3]
	;; [unrolled: 27-line block ×8, first 2 shown]
	global_store_short v0, v1, s[4:5]
	global_store_short v2, v3, s[4:5]
	;; [unrolled: 1-line block ×8, first 2 shown]
	s_endpgm
.LBB535_163:
	v_mov_b32_e32 v2, 0
	v_mov_b32_e32 v0, 0
	s_branch .LBB535_169
.LBB535_164:
	v_mov_b32_e32 v2, 0
	v_mov_b32_e32 v0, 0
	s_branch .LBB535_190
.LBB535_165:
	v_mov_b32_e32 v0, 0
	s_mov_b32 s62, 0
	v_mov_b32_e32 v1, v0
                                        ; implicit-def: $vgpr2
	v_mov_b32_e32 v4, v24
.LBB535_166:
	s_and_b32 s8, s63, 3
	s_cmp_eq_u32 s8, 0
	s_cbranch_scc1 .LBB535_169
; %bb.167:
	s_lshl_b32 s4, s62, 3
	s_add_u32 s4, s34, s4
	s_addc_u32 s5, s35, 0
	s_add_u32 s4, s4, 0xc4
	s_addc_u32 s5, s5, 0
	s_mul_i32 s6, s62, 12
	s_add_u32 s6, s34, s6
	s_addc_u32 s7, s35, 0
.LBB535_168:                            ; =>This Inner Loop Header: Depth=1
	s_load_dwordx2 s[10:11], s[6:7], 0x4
	s_load_dword s9, s[6:7], 0xc
	s_load_dwordx2 s[12:13], s[4:5], 0x0
	v_mov_b32_e32 v2, v1
	s_add_u32 s6, s6, 12
	s_waitcnt lgkmcnt(0)
	v_mul_hi_u32 v1, s11, v4
	v_add_u32_e32 v1, v4, v1
	v_lshrrev_b32_e32 v1, s9, v1
	s_addc_u32 s7, s7, 0
	v_mul_lo_u32 v3, v1, s10
	s_add_u32 s4, s4, 8
	v_sub_u32_e32 v5, v4, v3
	s_addc_u32 s5, s5, 0
	s_add_i32 s8, s8, -1
	v_mov_b32_e32 v4, v1
	v_mad_u64_u32 v[2:3], s[10:11], v5, s13, v[2:3]
	v_mad_u64_u32 v[0:1], s[10:11], v5, s12, v[0:1]
	s_cmp_lg_u32 s8, 0
	v_mov_b32_e32 v1, v2
	s_cbranch_scc1 .LBB535_168
.LBB535_169:
	s_cbranch_execnz .LBB535_172
.LBB535_170:
	v_mul_hi_u32 v0, s25, v24
	v_add_u32_e32 v0, v24, v0
	v_lshrrev_b32_e32 v1, s26, v0
	v_mul_lo_u32 v0, v1, s24
	v_sub_u32_e32 v0, v24, v0
	v_mul_lo_u32 v2, v0, s29
	s_andn2_b64 vcc, exec, s[46:47]
	v_mul_lo_u32 v0, v0, s28
	s_cbranch_vccnz .LBB535_172
; %bb.171:
	v_mul_hi_u32 v3, s44, v1
	v_add_u32_e32 v3, v1, v3
	v_lshrrev_b32_e32 v3, s45, v3
	v_mul_lo_u32 v3, v3, s27
	v_sub_u32_e32 v3, v1, v3
	v_mad_u64_u32 v[0:1], s[4:5], v3, s30, v[0:1]
	v_mad_u64_u32 v[2:3], s[4:5], v3, s31, v[2:3]
.LBB535_172:
	global_load_ushort v1, v2, s[22:23]
	v_mov_b32_e32 v3, s42
	s_waitcnt vmcnt(0)
	v_lshlrev_b32_e32 v2, 16, v1
	v_cmp_o_f32_e32 vcc, v2, v2
	s_and_saveexec_b64 s[4:5], vcc
	s_cbranch_execz .LBB535_176
; %bb.173:
	s_mov_b32 s6, 0x7f800000
	v_cmp_neq_f32_e32 vcc, s6, v2
	v_mov_b32_e32 v3, s59
	s_and_saveexec_b64 s[6:7], vcc
; %bb.174:
	s_mov_b32 s8, 0xff800000
	v_mov_b32_e32 v3, s43
	v_cmp_eq_f32_e32 vcc, s8, v2
	s_nop 1
	v_cndmask_b32_e32 v3, v1, v3, vcc
; %bb.175:
	s_or_b64 exec, exec, s[6:7]
.LBB535_176:
	s_or_b64 exec, exec, s[4:5]
	v_add_u32_e32 v24, 0x80, v24
	global_store_short v0, v3, s[20:21]
	s_or_b64 exec, exec, s[52:53]
	v_cmp_gt_i32_e32 vcc, s60, v24
	s_and_saveexec_b64 s[52:53], vcc
	s_cbranch_execnz .LBB535_16
.LBB535_177:
	s_or_b64 exec, exec, s[52:53]
	v_cmp_gt_i32_e32 vcc, s60, v24
	s_and_saveexec_b64 s[52:53], vcc
	s_cbranch_execz .LBB535_198
.LBB535_178:
	s_andn2_b64 vcc, exec, s[40:41]
	s_cbranch_vccnz .LBB535_184
; %bb.179:
	s_andn2_b64 vcc, exec, s[50:51]
	s_cbranch_vccnz .LBB535_185
; %bb.180:
	s_add_i32 s63, s61, 1
	s_cmp_eq_u32 s58, 2
	s_cbranch_scc1 .LBB535_207
; %bb.181:
	s_and_b32 s62, s63, 28
	s_mov_b32 s64, 0
	v_mov_b32_e32 v0, 0
	v_mov_b32_e32 v2, 0
	s_mov_b64 s[54:55], s[34:35]
	s_mov_b64 s[56:57], s[48:49]
	v_mov_b32_e32 v4, v24
.LBB535_182:                            ; =>This Inner Loop Header: Depth=1
	s_load_dwordx8 s[12:19], s[54:55], 0x4
	s_load_dwordx4 s[36:39], s[54:55], 0x24
	s_load_dwordx8 s[4:11], s[56:57], 0x0
	s_add_u32 s54, s54, 48
	s_addc_u32 s55, s55, 0
	s_waitcnt lgkmcnt(0)
	v_mul_hi_u32 v1, s13, v4
	v_add_u32_e32 v1, v4, v1
	v_lshrrev_b32_e32 v1, s14, v1
	v_mul_lo_u32 v3, v1, s12
	v_mul_hi_u32 v5, s16, v1
	v_sub_u32_e32 v3, v4, v3
	v_add_u32_e32 v4, v1, v5
	v_lshrrev_b32_e32 v4, s17, v4
	v_mul_lo_u32 v6, v4, s15
	v_mul_hi_u32 v7, s19, v4
	v_sub_u32_e32 v1, v1, v6
	v_add_u32_e32 v6, v4, v7
	v_mul_lo_u32 v5, v3, s5
	v_mul_lo_u32 v3, v3, s4
	;; [unrolled: 1-line block ×4, first 2 shown]
	v_lshrrev_b32_e32 v6, s36, v6
	v_add3_u32 v0, v3, v0, v1
	v_mul_hi_u32 v3, s38, v6
	v_add3_u32 v1, v5, v2, v7
	v_mul_lo_u32 v2, v6, s18
	v_add_u32_e32 v3, v6, v3
	v_sub_u32_e32 v2, v4, v2
	v_lshrrev_b32_e32 v4, s39, v3
	s_add_i32 s64, s64, 4
	v_mul_lo_u32 v3, v4, s37
	s_add_u32 s56, s56, 32
	v_sub_u32_e32 v3, v6, v3
	s_addc_u32 s57, s57, 0
	v_mul_lo_u32 v5, v2, s8
	v_mul_lo_u32 v2, v2, s9
	;; [unrolled: 1-line block ×4, first 2 shown]
	s_cmp_eq_u32 s62, s64
	v_add3_u32 v2, v2, v1, v3
	v_add3_u32 v0, v5, v0, v6
	s_cbranch_scc0 .LBB535_182
; %bb.183:
	v_mov_b32_e32 v1, v2
	s_branch .LBB535_208
.LBB535_184:
                                        ; implicit-def: $vgpr2
                                        ; implicit-def: $vgpr0
	s_branch .LBB535_212
.LBB535_185:
	v_mov_b32_e32 v2, 0
	v_mov_b32_e32 v0, 0
	s_branch .LBB535_211
.LBB535_186:
	v_mov_b32_e32 v0, 0
	s_mov_b32 s62, 0
	v_mov_b32_e32 v1, v0
                                        ; implicit-def: $vgpr2
	v_mov_b32_e32 v4, v24
.LBB535_187:
	s_and_b32 s8, s63, 3
	s_cmp_eq_u32 s8, 0
	s_cbranch_scc1 .LBB535_190
; %bb.188:
	s_lshl_b32 s4, s62, 3
	s_add_u32 s4, s34, s4
	s_addc_u32 s5, s35, 0
	s_add_u32 s4, s4, 0xc4
	s_addc_u32 s5, s5, 0
	s_mul_i32 s6, s62, 12
	s_add_u32 s6, s34, s6
	s_addc_u32 s7, s35, 0
.LBB535_189:                            ; =>This Inner Loop Header: Depth=1
	s_load_dwordx2 s[10:11], s[6:7], 0x4
	s_load_dword s9, s[6:7], 0xc
	s_load_dwordx2 s[12:13], s[4:5], 0x0
	v_mov_b32_e32 v2, v1
	s_add_u32 s6, s6, 12
	s_waitcnt lgkmcnt(0)
	v_mul_hi_u32 v1, s11, v4
	v_add_u32_e32 v1, v4, v1
	v_lshrrev_b32_e32 v1, s9, v1
	s_addc_u32 s7, s7, 0
	v_mul_lo_u32 v3, v1, s10
	s_add_u32 s4, s4, 8
	v_sub_u32_e32 v5, v4, v3
	s_addc_u32 s5, s5, 0
	s_add_i32 s8, s8, -1
	v_mov_b32_e32 v4, v1
	v_mad_u64_u32 v[2:3], s[10:11], v5, s13, v[2:3]
	v_mad_u64_u32 v[0:1], s[10:11], v5, s12, v[0:1]
	s_cmp_lg_u32 s8, 0
	v_mov_b32_e32 v1, v2
	s_cbranch_scc1 .LBB535_189
.LBB535_190:
	s_cbranch_execnz .LBB535_193
.LBB535_191:
	v_mul_hi_u32 v0, s25, v24
	v_add_u32_e32 v0, v24, v0
	v_lshrrev_b32_e32 v1, s26, v0
	v_mul_lo_u32 v0, v1, s24
	v_sub_u32_e32 v0, v24, v0
	v_mul_lo_u32 v2, v0, s29
	s_andn2_b64 vcc, exec, s[46:47]
	v_mul_lo_u32 v0, v0, s28
	s_cbranch_vccnz .LBB535_193
; %bb.192:
	v_mul_hi_u32 v3, s44, v1
	v_add_u32_e32 v3, v1, v3
	v_lshrrev_b32_e32 v3, s45, v3
	v_mul_lo_u32 v3, v3, s27
	v_sub_u32_e32 v3, v1, v3
	v_mad_u64_u32 v[0:1], s[4:5], v3, s30, v[0:1]
	v_mad_u64_u32 v[2:3], s[4:5], v3, s31, v[2:3]
.LBB535_193:
	global_load_ushort v1, v2, s[22:23]
	v_mov_b32_e32 v3, s42
	s_waitcnt vmcnt(0)
	v_lshlrev_b32_e32 v2, 16, v1
	v_cmp_o_f32_e32 vcc, v2, v2
	s_and_saveexec_b64 s[4:5], vcc
	s_cbranch_execz .LBB535_197
; %bb.194:
	s_mov_b32 s6, 0x7f800000
	v_cmp_neq_f32_e32 vcc, s6, v2
	v_mov_b32_e32 v3, s59
	s_and_saveexec_b64 s[6:7], vcc
; %bb.195:
	s_mov_b32 s8, 0xff800000
	v_mov_b32_e32 v3, s43
	v_cmp_eq_f32_e32 vcc, s8, v2
	s_nop 1
	v_cndmask_b32_e32 v3, v1, v3, vcc
; %bb.196:
	s_or_b64 exec, exec, s[6:7]
.LBB535_197:
	s_or_b64 exec, exec, s[4:5]
	v_add_u32_e32 v24, 0x80, v24
	global_store_short v0, v3, s[20:21]
	s_or_b64 exec, exec, s[52:53]
	v_cmp_gt_i32_e32 vcc, s60, v24
	s_and_saveexec_b64 s[52:53], vcc
	s_cbranch_execnz .LBB535_178
.LBB535_198:
	s_or_b64 exec, exec, s[52:53]
	v_cmp_gt_i32_e32 vcc, s60, v24
	s_and_saveexec_b64 s[52:53], vcc
	s_cbranch_execz .LBB535_219
.LBB535_199:
	s_andn2_b64 vcc, exec, s[40:41]
	s_cbranch_vccnz .LBB535_205
; %bb.200:
	s_andn2_b64 vcc, exec, s[50:51]
	s_cbranch_vccnz .LBB535_206
; %bb.201:
	s_add_i32 s63, s61, 1
	s_cmp_eq_u32 s58, 2
	s_cbranch_scc1 .LBB535_228
; %bb.202:
	s_and_b32 s62, s63, 28
	s_mov_b32 s64, 0
	v_mov_b32_e32 v0, 0
	v_mov_b32_e32 v2, 0
	s_mov_b64 s[54:55], s[34:35]
	s_mov_b64 s[56:57], s[48:49]
	v_mov_b32_e32 v4, v24
.LBB535_203:                            ; =>This Inner Loop Header: Depth=1
	s_load_dwordx8 s[12:19], s[54:55], 0x4
	s_load_dwordx4 s[36:39], s[54:55], 0x24
	s_load_dwordx8 s[4:11], s[56:57], 0x0
	s_add_u32 s54, s54, 48
	s_addc_u32 s55, s55, 0
	s_waitcnt lgkmcnt(0)
	v_mul_hi_u32 v1, s13, v4
	v_add_u32_e32 v1, v4, v1
	v_lshrrev_b32_e32 v1, s14, v1
	v_mul_lo_u32 v3, v1, s12
	v_mul_hi_u32 v5, s16, v1
	v_sub_u32_e32 v3, v4, v3
	v_add_u32_e32 v4, v1, v5
	v_lshrrev_b32_e32 v4, s17, v4
	v_mul_lo_u32 v6, v4, s15
	v_mul_hi_u32 v7, s19, v4
	v_sub_u32_e32 v1, v1, v6
	v_add_u32_e32 v6, v4, v7
	v_mul_lo_u32 v5, v3, s5
	v_mul_lo_u32 v3, v3, s4
	;; [unrolled: 1-line block ×4, first 2 shown]
	v_lshrrev_b32_e32 v6, s36, v6
	v_add3_u32 v0, v3, v0, v1
	v_mul_hi_u32 v3, s38, v6
	v_add3_u32 v1, v5, v2, v7
	v_mul_lo_u32 v2, v6, s18
	v_add_u32_e32 v3, v6, v3
	v_sub_u32_e32 v2, v4, v2
	v_lshrrev_b32_e32 v4, s39, v3
	s_add_i32 s64, s64, 4
	v_mul_lo_u32 v3, v4, s37
	s_add_u32 s56, s56, 32
	v_sub_u32_e32 v3, v6, v3
	s_addc_u32 s57, s57, 0
	v_mul_lo_u32 v5, v2, s8
	v_mul_lo_u32 v2, v2, s9
	;; [unrolled: 1-line block ×4, first 2 shown]
	s_cmp_eq_u32 s62, s64
	v_add3_u32 v2, v2, v1, v3
	v_add3_u32 v0, v5, v0, v6
	s_cbranch_scc0 .LBB535_203
; %bb.204:
	v_mov_b32_e32 v1, v2
	s_branch .LBB535_229
.LBB535_205:
                                        ; implicit-def: $vgpr2
                                        ; implicit-def: $vgpr0
	s_branch .LBB535_233
.LBB535_206:
	v_mov_b32_e32 v2, 0
	v_mov_b32_e32 v0, 0
	s_branch .LBB535_232
.LBB535_207:
	v_mov_b32_e32 v0, 0
	s_mov_b32 s62, 0
	v_mov_b32_e32 v1, v0
                                        ; implicit-def: $vgpr2
	v_mov_b32_e32 v4, v24
.LBB535_208:
	s_and_b32 s8, s63, 3
	s_cmp_eq_u32 s8, 0
	s_cbranch_scc1 .LBB535_211
; %bb.209:
	s_lshl_b32 s4, s62, 3
	s_add_u32 s4, s34, s4
	s_addc_u32 s5, s35, 0
	s_add_u32 s4, s4, 0xc4
	s_addc_u32 s5, s5, 0
	s_mul_i32 s6, s62, 12
	s_add_u32 s6, s34, s6
	s_addc_u32 s7, s35, 0
.LBB535_210:                            ; =>This Inner Loop Header: Depth=1
	s_load_dwordx2 s[10:11], s[6:7], 0x4
	s_load_dword s9, s[6:7], 0xc
	s_load_dwordx2 s[12:13], s[4:5], 0x0
	v_mov_b32_e32 v2, v1
	s_add_u32 s6, s6, 12
	s_waitcnt lgkmcnt(0)
	v_mul_hi_u32 v1, s11, v4
	v_add_u32_e32 v1, v4, v1
	v_lshrrev_b32_e32 v1, s9, v1
	s_addc_u32 s7, s7, 0
	v_mul_lo_u32 v3, v1, s10
	s_add_u32 s4, s4, 8
	v_sub_u32_e32 v5, v4, v3
	s_addc_u32 s5, s5, 0
	s_add_i32 s8, s8, -1
	v_mov_b32_e32 v4, v1
	v_mad_u64_u32 v[2:3], s[10:11], v5, s13, v[2:3]
	v_mad_u64_u32 v[0:1], s[10:11], v5, s12, v[0:1]
	s_cmp_lg_u32 s8, 0
	v_mov_b32_e32 v1, v2
	s_cbranch_scc1 .LBB535_210
.LBB535_211:
	s_cbranch_execnz .LBB535_214
.LBB535_212:
	v_mul_hi_u32 v0, s25, v24
	v_add_u32_e32 v0, v24, v0
	v_lshrrev_b32_e32 v1, s26, v0
	v_mul_lo_u32 v0, v1, s24
	v_sub_u32_e32 v0, v24, v0
	v_mul_lo_u32 v2, v0, s29
	s_andn2_b64 vcc, exec, s[46:47]
	v_mul_lo_u32 v0, v0, s28
	s_cbranch_vccnz .LBB535_214
; %bb.213:
	v_mul_hi_u32 v3, s44, v1
	v_add_u32_e32 v3, v1, v3
	v_lshrrev_b32_e32 v3, s45, v3
	v_mul_lo_u32 v3, v3, s27
	v_sub_u32_e32 v3, v1, v3
	v_mad_u64_u32 v[0:1], s[4:5], v3, s30, v[0:1]
	v_mad_u64_u32 v[2:3], s[4:5], v3, s31, v[2:3]
.LBB535_214:
	global_load_ushort v1, v2, s[22:23]
	v_mov_b32_e32 v3, s42
	s_waitcnt vmcnt(0)
	v_lshlrev_b32_e32 v2, 16, v1
	v_cmp_o_f32_e32 vcc, v2, v2
	s_and_saveexec_b64 s[4:5], vcc
	s_cbranch_execz .LBB535_218
; %bb.215:
	s_mov_b32 s6, 0x7f800000
	v_cmp_neq_f32_e32 vcc, s6, v2
	v_mov_b32_e32 v3, s59
	s_and_saveexec_b64 s[6:7], vcc
; %bb.216:
	s_mov_b32 s8, 0xff800000
	v_mov_b32_e32 v3, s43
	v_cmp_eq_f32_e32 vcc, s8, v2
	s_nop 1
	v_cndmask_b32_e32 v3, v1, v3, vcc
; %bb.217:
	s_or_b64 exec, exec, s[6:7]
.LBB535_218:
	s_or_b64 exec, exec, s[4:5]
	v_add_u32_e32 v24, 0x80, v24
	global_store_short v0, v3, s[20:21]
	s_or_b64 exec, exec, s[52:53]
	v_cmp_gt_i32_e32 vcc, s60, v24
	s_and_saveexec_b64 s[52:53], vcc
	s_cbranch_execnz .LBB535_199
.LBB535_219:
	s_or_b64 exec, exec, s[52:53]
	v_cmp_gt_i32_e32 vcc, s60, v24
	s_and_saveexec_b64 s[52:53], vcc
	s_cbranch_execz .LBB535_240
.LBB535_220:
	s_andn2_b64 vcc, exec, s[40:41]
	s_cbranch_vccnz .LBB535_226
; %bb.221:
	s_andn2_b64 vcc, exec, s[50:51]
	s_cbranch_vccnz .LBB535_227
; %bb.222:
	s_add_i32 s63, s61, 1
	s_cmp_eq_u32 s58, 2
	s_cbranch_scc1 .LBB535_249
; %bb.223:
	s_and_b32 s62, s63, 28
	s_mov_b32 s64, 0
	v_mov_b32_e32 v0, 0
	v_mov_b32_e32 v2, 0
	s_mov_b64 s[54:55], s[34:35]
	s_mov_b64 s[56:57], s[48:49]
	v_mov_b32_e32 v4, v24
.LBB535_224:                            ; =>This Inner Loop Header: Depth=1
	s_load_dwordx8 s[12:19], s[54:55], 0x4
	s_load_dwordx4 s[36:39], s[54:55], 0x24
	s_load_dwordx8 s[4:11], s[56:57], 0x0
	s_add_u32 s54, s54, 48
	s_addc_u32 s55, s55, 0
	s_waitcnt lgkmcnt(0)
	v_mul_hi_u32 v1, s13, v4
	v_add_u32_e32 v1, v4, v1
	v_lshrrev_b32_e32 v1, s14, v1
	v_mul_lo_u32 v3, v1, s12
	v_mul_hi_u32 v5, s16, v1
	v_sub_u32_e32 v3, v4, v3
	v_add_u32_e32 v4, v1, v5
	v_lshrrev_b32_e32 v4, s17, v4
	v_mul_lo_u32 v6, v4, s15
	v_mul_hi_u32 v7, s19, v4
	v_sub_u32_e32 v1, v1, v6
	v_add_u32_e32 v6, v4, v7
	v_mul_lo_u32 v5, v3, s5
	v_mul_lo_u32 v3, v3, s4
	;; [unrolled: 1-line block ×4, first 2 shown]
	v_lshrrev_b32_e32 v6, s36, v6
	v_add3_u32 v0, v3, v0, v1
	v_mul_hi_u32 v3, s38, v6
	v_add3_u32 v1, v5, v2, v7
	v_mul_lo_u32 v2, v6, s18
	v_add_u32_e32 v3, v6, v3
	v_sub_u32_e32 v2, v4, v2
	v_lshrrev_b32_e32 v4, s39, v3
	s_add_i32 s64, s64, 4
	v_mul_lo_u32 v3, v4, s37
	s_add_u32 s56, s56, 32
	v_sub_u32_e32 v3, v6, v3
	s_addc_u32 s57, s57, 0
	v_mul_lo_u32 v5, v2, s8
	v_mul_lo_u32 v2, v2, s9
	;; [unrolled: 1-line block ×4, first 2 shown]
	s_cmp_eq_u32 s62, s64
	v_add3_u32 v2, v2, v1, v3
	v_add3_u32 v0, v5, v0, v6
	s_cbranch_scc0 .LBB535_224
; %bb.225:
	v_mov_b32_e32 v1, v2
	s_branch .LBB535_250
.LBB535_226:
                                        ; implicit-def: $vgpr2
                                        ; implicit-def: $vgpr0
	s_branch .LBB535_254
.LBB535_227:
	v_mov_b32_e32 v2, 0
	v_mov_b32_e32 v0, 0
	s_branch .LBB535_253
.LBB535_228:
	v_mov_b32_e32 v0, 0
	s_mov_b32 s62, 0
	v_mov_b32_e32 v1, v0
                                        ; implicit-def: $vgpr2
	v_mov_b32_e32 v4, v24
.LBB535_229:
	s_and_b32 s8, s63, 3
	s_cmp_eq_u32 s8, 0
	s_cbranch_scc1 .LBB535_232
; %bb.230:
	s_lshl_b32 s4, s62, 3
	s_add_u32 s4, s34, s4
	s_addc_u32 s5, s35, 0
	s_add_u32 s4, s4, 0xc4
	s_addc_u32 s5, s5, 0
	s_mul_i32 s6, s62, 12
	s_add_u32 s6, s34, s6
	s_addc_u32 s7, s35, 0
.LBB535_231:                            ; =>This Inner Loop Header: Depth=1
	s_load_dwordx2 s[10:11], s[6:7], 0x4
	s_load_dword s9, s[6:7], 0xc
	s_load_dwordx2 s[12:13], s[4:5], 0x0
	v_mov_b32_e32 v2, v1
	s_add_u32 s6, s6, 12
	s_waitcnt lgkmcnt(0)
	v_mul_hi_u32 v1, s11, v4
	v_add_u32_e32 v1, v4, v1
	v_lshrrev_b32_e32 v1, s9, v1
	s_addc_u32 s7, s7, 0
	v_mul_lo_u32 v3, v1, s10
	s_add_u32 s4, s4, 8
	v_sub_u32_e32 v5, v4, v3
	s_addc_u32 s5, s5, 0
	s_add_i32 s8, s8, -1
	v_mov_b32_e32 v4, v1
	v_mad_u64_u32 v[2:3], s[10:11], v5, s13, v[2:3]
	v_mad_u64_u32 v[0:1], s[10:11], v5, s12, v[0:1]
	s_cmp_lg_u32 s8, 0
	v_mov_b32_e32 v1, v2
	s_cbranch_scc1 .LBB535_231
.LBB535_232:
	s_cbranch_execnz .LBB535_235
.LBB535_233:
	v_mul_hi_u32 v0, s25, v24
	v_add_u32_e32 v0, v24, v0
	v_lshrrev_b32_e32 v1, s26, v0
	v_mul_lo_u32 v0, v1, s24
	v_sub_u32_e32 v0, v24, v0
	v_mul_lo_u32 v2, v0, s29
	s_andn2_b64 vcc, exec, s[46:47]
	v_mul_lo_u32 v0, v0, s28
	s_cbranch_vccnz .LBB535_235
; %bb.234:
	v_mul_hi_u32 v3, s44, v1
	v_add_u32_e32 v3, v1, v3
	v_lshrrev_b32_e32 v3, s45, v3
	v_mul_lo_u32 v3, v3, s27
	v_sub_u32_e32 v3, v1, v3
	v_mad_u64_u32 v[0:1], s[4:5], v3, s30, v[0:1]
	v_mad_u64_u32 v[2:3], s[4:5], v3, s31, v[2:3]
.LBB535_235:
	global_load_ushort v1, v2, s[22:23]
	v_mov_b32_e32 v3, s42
	s_waitcnt vmcnt(0)
	v_lshlrev_b32_e32 v2, 16, v1
	v_cmp_o_f32_e32 vcc, v2, v2
	s_and_saveexec_b64 s[4:5], vcc
	s_cbranch_execz .LBB535_239
; %bb.236:
	s_mov_b32 s6, 0x7f800000
	v_cmp_neq_f32_e32 vcc, s6, v2
	v_mov_b32_e32 v3, s59
	s_and_saveexec_b64 s[6:7], vcc
; %bb.237:
	s_mov_b32 s8, 0xff800000
	v_mov_b32_e32 v3, s43
	v_cmp_eq_f32_e32 vcc, s8, v2
	s_nop 1
	v_cndmask_b32_e32 v3, v1, v3, vcc
; %bb.238:
	s_or_b64 exec, exec, s[6:7]
.LBB535_239:
	s_or_b64 exec, exec, s[4:5]
	v_add_u32_e32 v24, 0x80, v24
	global_store_short v0, v3, s[20:21]
	s_or_b64 exec, exec, s[52:53]
	v_cmp_gt_i32_e32 vcc, s60, v24
	s_and_saveexec_b64 s[52:53], vcc
	s_cbranch_execnz .LBB535_220
.LBB535_240:
	s_or_b64 exec, exec, s[52:53]
	v_cmp_gt_i32_e32 vcc, s60, v24
	s_and_saveexec_b64 s[52:53], vcc
	s_cbranch_execz .LBB535_261
.LBB535_241:
	s_andn2_b64 vcc, exec, s[40:41]
	s_cbranch_vccnz .LBB535_247
; %bb.242:
	s_andn2_b64 vcc, exec, s[50:51]
	s_cbranch_vccnz .LBB535_248
; %bb.243:
	s_add_i32 s63, s61, 1
	s_cmp_eq_u32 s58, 2
	s_cbranch_scc1 .LBB535_270
; %bb.244:
	s_and_b32 s62, s63, 28
	s_mov_b32 s64, 0
	v_mov_b32_e32 v0, 0
	v_mov_b32_e32 v2, 0
	s_mov_b64 s[54:55], s[34:35]
	s_mov_b64 s[56:57], s[48:49]
	v_mov_b32_e32 v4, v24
.LBB535_245:                            ; =>This Inner Loop Header: Depth=1
	s_load_dwordx8 s[12:19], s[54:55], 0x4
	s_load_dwordx4 s[36:39], s[54:55], 0x24
	s_load_dwordx8 s[4:11], s[56:57], 0x0
	s_add_u32 s54, s54, 48
	s_addc_u32 s55, s55, 0
	s_waitcnt lgkmcnt(0)
	v_mul_hi_u32 v1, s13, v4
	v_add_u32_e32 v1, v4, v1
	v_lshrrev_b32_e32 v1, s14, v1
	v_mul_lo_u32 v3, v1, s12
	v_mul_hi_u32 v5, s16, v1
	v_sub_u32_e32 v3, v4, v3
	v_add_u32_e32 v4, v1, v5
	v_lshrrev_b32_e32 v4, s17, v4
	v_mul_lo_u32 v6, v4, s15
	v_mul_hi_u32 v7, s19, v4
	v_sub_u32_e32 v1, v1, v6
	v_add_u32_e32 v6, v4, v7
	v_mul_lo_u32 v5, v3, s5
	v_mul_lo_u32 v3, v3, s4
	v_mul_lo_u32 v7, v1, s7
	v_mul_lo_u32 v1, v1, s6
	v_lshrrev_b32_e32 v6, s36, v6
	v_add3_u32 v0, v3, v0, v1
	v_mul_hi_u32 v3, s38, v6
	v_add3_u32 v1, v5, v2, v7
	v_mul_lo_u32 v2, v6, s18
	v_add_u32_e32 v3, v6, v3
	v_sub_u32_e32 v2, v4, v2
	v_lshrrev_b32_e32 v4, s39, v3
	s_add_i32 s64, s64, 4
	v_mul_lo_u32 v3, v4, s37
	s_add_u32 s56, s56, 32
	v_sub_u32_e32 v3, v6, v3
	s_addc_u32 s57, s57, 0
	v_mul_lo_u32 v5, v2, s8
	v_mul_lo_u32 v2, v2, s9
	;; [unrolled: 1-line block ×4, first 2 shown]
	s_cmp_eq_u32 s62, s64
	v_add3_u32 v2, v2, v1, v3
	v_add3_u32 v0, v5, v0, v6
	s_cbranch_scc0 .LBB535_245
; %bb.246:
	v_mov_b32_e32 v1, v2
	s_branch .LBB535_271
.LBB535_247:
                                        ; implicit-def: $vgpr2
                                        ; implicit-def: $vgpr0
	s_branch .LBB535_275
.LBB535_248:
	v_mov_b32_e32 v2, 0
	v_mov_b32_e32 v0, 0
	s_branch .LBB535_274
.LBB535_249:
	v_mov_b32_e32 v0, 0
	s_mov_b32 s62, 0
	v_mov_b32_e32 v1, v0
                                        ; implicit-def: $vgpr2
	v_mov_b32_e32 v4, v24
.LBB535_250:
	s_and_b32 s8, s63, 3
	s_cmp_eq_u32 s8, 0
	s_cbranch_scc1 .LBB535_253
; %bb.251:
	s_lshl_b32 s4, s62, 3
	s_add_u32 s4, s34, s4
	s_addc_u32 s5, s35, 0
	s_add_u32 s4, s4, 0xc4
	s_addc_u32 s5, s5, 0
	s_mul_i32 s6, s62, 12
	s_add_u32 s6, s34, s6
	s_addc_u32 s7, s35, 0
.LBB535_252:                            ; =>This Inner Loop Header: Depth=1
	s_load_dwordx2 s[10:11], s[6:7], 0x4
	s_load_dword s9, s[6:7], 0xc
	s_load_dwordx2 s[12:13], s[4:5], 0x0
	v_mov_b32_e32 v2, v1
	s_add_u32 s6, s6, 12
	s_waitcnt lgkmcnt(0)
	v_mul_hi_u32 v1, s11, v4
	v_add_u32_e32 v1, v4, v1
	v_lshrrev_b32_e32 v1, s9, v1
	s_addc_u32 s7, s7, 0
	v_mul_lo_u32 v3, v1, s10
	s_add_u32 s4, s4, 8
	v_sub_u32_e32 v5, v4, v3
	s_addc_u32 s5, s5, 0
	s_add_i32 s8, s8, -1
	v_mov_b32_e32 v4, v1
	v_mad_u64_u32 v[2:3], s[10:11], v5, s13, v[2:3]
	v_mad_u64_u32 v[0:1], s[10:11], v5, s12, v[0:1]
	s_cmp_lg_u32 s8, 0
	v_mov_b32_e32 v1, v2
	s_cbranch_scc1 .LBB535_252
.LBB535_253:
	s_cbranch_execnz .LBB535_256
.LBB535_254:
	v_mul_hi_u32 v0, s25, v24
	v_add_u32_e32 v0, v24, v0
	v_lshrrev_b32_e32 v1, s26, v0
	v_mul_lo_u32 v0, v1, s24
	v_sub_u32_e32 v0, v24, v0
	v_mul_lo_u32 v2, v0, s29
	s_andn2_b64 vcc, exec, s[46:47]
	v_mul_lo_u32 v0, v0, s28
	s_cbranch_vccnz .LBB535_256
; %bb.255:
	v_mul_hi_u32 v3, s44, v1
	v_add_u32_e32 v3, v1, v3
	v_lshrrev_b32_e32 v3, s45, v3
	v_mul_lo_u32 v3, v3, s27
	v_sub_u32_e32 v3, v1, v3
	v_mad_u64_u32 v[0:1], s[4:5], v3, s30, v[0:1]
	v_mad_u64_u32 v[2:3], s[4:5], v3, s31, v[2:3]
.LBB535_256:
	global_load_ushort v1, v2, s[22:23]
	v_mov_b32_e32 v3, s42
	s_waitcnt vmcnt(0)
	v_lshlrev_b32_e32 v2, 16, v1
	v_cmp_o_f32_e32 vcc, v2, v2
	s_and_saveexec_b64 s[4:5], vcc
	s_cbranch_execz .LBB535_260
; %bb.257:
	s_mov_b32 s6, 0x7f800000
	v_cmp_neq_f32_e32 vcc, s6, v2
	v_mov_b32_e32 v3, s59
	s_and_saveexec_b64 s[6:7], vcc
; %bb.258:
	s_mov_b32 s8, 0xff800000
	v_mov_b32_e32 v3, s43
	v_cmp_eq_f32_e32 vcc, s8, v2
	s_nop 1
	v_cndmask_b32_e32 v3, v1, v3, vcc
; %bb.259:
	s_or_b64 exec, exec, s[6:7]
.LBB535_260:
	s_or_b64 exec, exec, s[4:5]
	v_add_u32_e32 v24, 0x80, v24
	global_store_short v0, v3, s[20:21]
	s_or_b64 exec, exec, s[52:53]
	v_cmp_gt_i32_e32 vcc, s60, v24
	s_and_saveexec_b64 s[52:53], vcc
	s_cbranch_execnz .LBB535_241
.LBB535_261:
	s_or_b64 exec, exec, s[52:53]
	v_cmp_gt_i32_e32 vcc, s60, v24
	s_and_saveexec_b64 s[52:53], vcc
	s_cbranch_execz .LBB535_282
.LBB535_262:
	s_andn2_b64 vcc, exec, s[40:41]
	s_cbranch_vccnz .LBB535_268
; %bb.263:
	s_andn2_b64 vcc, exec, s[50:51]
	s_cbranch_vccnz .LBB535_269
; %bb.264:
	s_add_i32 s63, s61, 1
	s_cmp_eq_u32 s58, 2
	s_cbranch_scc1 .LBB535_285
; %bb.265:
	s_and_b32 s62, s63, 28
	s_mov_b32 s64, 0
	v_mov_b32_e32 v0, 0
	v_mov_b32_e32 v2, 0
	s_mov_b64 s[54:55], s[34:35]
	s_mov_b64 s[56:57], s[48:49]
	v_mov_b32_e32 v4, v24
.LBB535_266:                            ; =>This Inner Loop Header: Depth=1
	s_load_dwordx8 s[12:19], s[54:55], 0x4
	s_load_dwordx4 s[36:39], s[54:55], 0x24
	s_load_dwordx8 s[4:11], s[56:57], 0x0
	s_add_u32 s54, s54, 48
	s_addc_u32 s55, s55, 0
	s_waitcnt lgkmcnt(0)
	v_mul_hi_u32 v1, s13, v4
	v_add_u32_e32 v1, v4, v1
	v_lshrrev_b32_e32 v1, s14, v1
	v_mul_lo_u32 v3, v1, s12
	v_mul_hi_u32 v5, s16, v1
	v_sub_u32_e32 v3, v4, v3
	v_add_u32_e32 v4, v1, v5
	v_lshrrev_b32_e32 v4, s17, v4
	v_mul_lo_u32 v6, v4, s15
	v_mul_hi_u32 v7, s19, v4
	v_sub_u32_e32 v1, v1, v6
	v_add_u32_e32 v6, v4, v7
	v_mul_lo_u32 v5, v3, s5
	v_mul_lo_u32 v3, v3, s4
	;; [unrolled: 1-line block ×4, first 2 shown]
	v_lshrrev_b32_e32 v6, s36, v6
	v_add3_u32 v0, v3, v0, v1
	v_mul_hi_u32 v3, s38, v6
	v_add3_u32 v1, v5, v2, v7
	v_mul_lo_u32 v2, v6, s18
	v_add_u32_e32 v3, v6, v3
	v_sub_u32_e32 v2, v4, v2
	v_lshrrev_b32_e32 v4, s39, v3
	s_add_i32 s64, s64, 4
	v_mul_lo_u32 v3, v4, s37
	s_add_u32 s56, s56, 32
	v_sub_u32_e32 v3, v6, v3
	s_addc_u32 s57, s57, 0
	v_mul_lo_u32 v5, v2, s8
	v_mul_lo_u32 v2, v2, s9
	v_mul_lo_u32 v6, v3, s10
	v_mul_lo_u32 v3, v3, s11
	s_cmp_eq_u32 s62, s64
	v_add3_u32 v2, v2, v1, v3
	v_add3_u32 v0, v5, v0, v6
	s_cbranch_scc0 .LBB535_266
; %bb.267:
	v_mov_b32_e32 v1, v2
	s_branch .LBB535_286
.LBB535_268:
                                        ; implicit-def: $vgpr2
                                        ; implicit-def: $vgpr0
	s_branch .LBB535_290
.LBB535_269:
	v_mov_b32_e32 v2, 0
	v_mov_b32_e32 v0, 0
	s_branch .LBB535_289
.LBB535_270:
	v_mov_b32_e32 v0, 0
	s_mov_b32 s62, 0
	v_mov_b32_e32 v1, v0
                                        ; implicit-def: $vgpr2
	v_mov_b32_e32 v4, v24
.LBB535_271:
	s_and_b32 s8, s63, 3
	s_cmp_eq_u32 s8, 0
	s_cbranch_scc1 .LBB535_274
; %bb.272:
	s_lshl_b32 s4, s62, 3
	s_add_u32 s4, s34, s4
	s_addc_u32 s5, s35, 0
	s_add_u32 s4, s4, 0xc4
	s_addc_u32 s5, s5, 0
	s_mul_i32 s6, s62, 12
	s_add_u32 s6, s34, s6
	s_addc_u32 s7, s35, 0
.LBB535_273:                            ; =>This Inner Loop Header: Depth=1
	s_load_dwordx2 s[10:11], s[6:7], 0x4
	s_load_dword s9, s[6:7], 0xc
	s_load_dwordx2 s[12:13], s[4:5], 0x0
	v_mov_b32_e32 v2, v1
	s_add_u32 s6, s6, 12
	s_waitcnt lgkmcnt(0)
	v_mul_hi_u32 v1, s11, v4
	v_add_u32_e32 v1, v4, v1
	v_lshrrev_b32_e32 v1, s9, v1
	s_addc_u32 s7, s7, 0
	v_mul_lo_u32 v3, v1, s10
	s_add_u32 s4, s4, 8
	v_sub_u32_e32 v5, v4, v3
	s_addc_u32 s5, s5, 0
	s_add_i32 s8, s8, -1
	v_mov_b32_e32 v4, v1
	v_mad_u64_u32 v[2:3], s[10:11], v5, s13, v[2:3]
	v_mad_u64_u32 v[0:1], s[10:11], v5, s12, v[0:1]
	s_cmp_lg_u32 s8, 0
	v_mov_b32_e32 v1, v2
	s_cbranch_scc1 .LBB535_273
.LBB535_274:
	s_cbranch_execnz .LBB535_277
.LBB535_275:
	v_mul_hi_u32 v0, s25, v24
	v_add_u32_e32 v0, v24, v0
	v_lshrrev_b32_e32 v1, s26, v0
	v_mul_lo_u32 v0, v1, s24
	v_sub_u32_e32 v0, v24, v0
	v_mul_lo_u32 v2, v0, s29
	s_andn2_b64 vcc, exec, s[46:47]
	v_mul_lo_u32 v0, v0, s28
	s_cbranch_vccnz .LBB535_277
; %bb.276:
	v_mul_hi_u32 v3, s44, v1
	v_add_u32_e32 v3, v1, v3
	v_lshrrev_b32_e32 v3, s45, v3
	v_mul_lo_u32 v3, v3, s27
	v_sub_u32_e32 v3, v1, v3
	v_mad_u64_u32 v[0:1], s[4:5], v3, s30, v[0:1]
	v_mad_u64_u32 v[2:3], s[4:5], v3, s31, v[2:3]
.LBB535_277:
	global_load_ushort v1, v2, s[22:23]
	v_mov_b32_e32 v3, s42
	s_waitcnt vmcnt(0)
	v_lshlrev_b32_e32 v2, 16, v1
	v_cmp_o_f32_e32 vcc, v2, v2
	s_and_saveexec_b64 s[4:5], vcc
	s_cbranch_execz .LBB535_281
; %bb.278:
	s_mov_b32 s6, 0x7f800000
	v_cmp_neq_f32_e32 vcc, s6, v2
	v_mov_b32_e32 v3, s59
	s_and_saveexec_b64 s[6:7], vcc
; %bb.279:
	s_mov_b32 s8, 0xff800000
	v_mov_b32_e32 v3, s43
	v_cmp_eq_f32_e32 vcc, s8, v2
	s_nop 1
	v_cndmask_b32_e32 v3, v1, v3, vcc
; %bb.280:
	s_or_b64 exec, exec, s[6:7]
.LBB535_281:
	s_or_b64 exec, exec, s[4:5]
	v_add_u32_e32 v24, 0x80, v24
	global_store_short v0, v3, s[20:21]
	s_or_b64 exec, exec, s[52:53]
	v_cmp_gt_i32_e32 vcc, s60, v24
	s_and_saveexec_b64 s[52:53], vcc
	s_cbranch_execnz .LBB535_262
.LBB535_282:
	s_or_b64 exec, exec, s[52:53]
	v_cmp_gt_i32_e32 vcc, s60, v24
	s_and_saveexec_b64 s[52:53], vcc
	s_cbranch_execnz .LBB535_297
.LBB535_283:
	s_or_b64 exec, exec, s[52:53]
                                        ; implicit-def: $vgpr32
                                        ; implicit-def: $vgpr24
	s_andn2_saveexec_b64 s[2:3], s[2:3]
	s_cbranch_execnz .LBB535_9
.LBB535_284:
	s_endpgm
.LBB535_285:
	v_mov_b32_e32 v0, 0
	s_mov_b32 s62, 0
	v_mov_b32_e32 v1, v0
                                        ; implicit-def: $vgpr2
	v_mov_b32_e32 v4, v24
.LBB535_286:
	s_and_b32 s8, s63, 3
	s_cmp_eq_u32 s8, 0
	s_cbranch_scc1 .LBB535_289
; %bb.287:
	s_lshl_b32 s4, s62, 3
	s_add_u32 s4, s34, s4
	s_addc_u32 s5, s35, 0
	s_add_u32 s4, s4, 0xc4
	s_addc_u32 s5, s5, 0
	s_mul_i32 s6, s62, 12
	s_add_u32 s6, s34, s6
	s_addc_u32 s7, s35, 0
.LBB535_288:                            ; =>This Inner Loop Header: Depth=1
	s_load_dwordx2 s[10:11], s[6:7], 0x4
	s_load_dword s9, s[6:7], 0xc
	s_load_dwordx2 s[12:13], s[4:5], 0x0
	v_mov_b32_e32 v2, v1
	s_add_u32 s6, s6, 12
	s_waitcnt lgkmcnt(0)
	v_mul_hi_u32 v1, s11, v4
	v_add_u32_e32 v1, v4, v1
	v_lshrrev_b32_e32 v1, s9, v1
	s_addc_u32 s7, s7, 0
	v_mul_lo_u32 v3, v1, s10
	s_add_u32 s4, s4, 8
	v_sub_u32_e32 v5, v4, v3
	s_addc_u32 s5, s5, 0
	s_add_i32 s8, s8, -1
	v_mov_b32_e32 v4, v1
	v_mad_u64_u32 v[2:3], s[10:11], v5, s13, v[2:3]
	v_mad_u64_u32 v[0:1], s[10:11], v5, s12, v[0:1]
	s_cmp_lg_u32 s8, 0
	v_mov_b32_e32 v1, v2
	s_cbranch_scc1 .LBB535_288
.LBB535_289:
	s_cbranch_execnz .LBB535_292
.LBB535_290:
	v_mul_hi_u32 v0, s25, v24
	v_add_u32_e32 v0, v24, v0
	v_lshrrev_b32_e32 v1, s26, v0
	v_mul_lo_u32 v0, v1, s24
	v_sub_u32_e32 v0, v24, v0
	v_mul_lo_u32 v2, v0, s29
	s_andn2_b64 vcc, exec, s[46:47]
	v_mul_lo_u32 v0, v0, s28
	s_cbranch_vccnz .LBB535_292
; %bb.291:
	v_mul_hi_u32 v3, s44, v1
	v_add_u32_e32 v3, v1, v3
	v_lshrrev_b32_e32 v3, s45, v3
	v_mul_lo_u32 v3, v3, s27
	v_sub_u32_e32 v3, v1, v3
	v_mad_u64_u32 v[0:1], s[4:5], v3, s30, v[0:1]
	v_mad_u64_u32 v[2:3], s[4:5], v3, s31, v[2:3]
.LBB535_292:
	global_load_ushort v1, v2, s[22:23]
	v_mov_b32_e32 v3, s42
	s_waitcnt vmcnt(0)
	v_lshlrev_b32_e32 v2, 16, v1
	v_cmp_o_f32_e32 vcc, v2, v2
	s_and_saveexec_b64 s[4:5], vcc
	s_cbranch_execz .LBB535_296
; %bb.293:
	s_mov_b32 s6, 0x7f800000
	v_cmp_neq_f32_e32 vcc, s6, v2
	v_mov_b32_e32 v3, s59
	s_and_saveexec_b64 s[6:7], vcc
; %bb.294:
	s_mov_b32 s8, 0xff800000
	v_mov_b32_e32 v3, s43
	v_cmp_eq_f32_e32 vcc, s8, v2
	s_nop 1
	v_cndmask_b32_e32 v3, v1, v3, vcc
; %bb.295:
	s_or_b64 exec, exec, s[6:7]
.LBB535_296:
	s_or_b64 exec, exec, s[4:5]
	v_add_u32_e32 v24, 0x80, v24
	global_store_short v0, v3, s[20:21]
	s_or_b64 exec, exec, s[52:53]
	v_cmp_gt_i32_e32 vcc, s60, v24
	s_and_saveexec_b64 s[52:53], vcc
	s_cbranch_execz .LBB535_283
.LBB535_297:
	s_andn2_b64 vcc, exec, s[40:41]
	s_cbranch_vccnz .LBB535_303
; %bb.298:
	s_andn2_b64 vcc, exec, s[50:51]
	s_cbranch_vccnz .LBB535_304
; %bb.299:
	s_add_i32 s61, s61, 1
	s_cmp_eq_u32 s58, 2
	s_cbranch_scc1 .LBB535_305
; %bb.300:
	s_and_b32 s54, s61, 28
	s_mov_b32 s55, 0
	v_mov_b32_e32 v0, 0
	v_mov_b32_e32 v2, 0
	s_mov_b64 s[50:51], s[34:35]
	v_mov_b32_e32 v4, v24
.LBB535_301:                            ; =>This Inner Loop Header: Depth=1
	s_load_dwordx8 s[12:19], s[50:51], 0x4
	s_load_dwordx4 s[36:39], s[50:51], 0x24
	s_load_dwordx8 s[4:11], s[48:49], 0x0
	s_add_u32 s50, s50, 48
	s_addc_u32 s51, s51, 0
	s_waitcnt lgkmcnt(0)
	v_mul_hi_u32 v1, s13, v4
	v_add_u32_e32 v1, v4, v1
	v_lshrrev_b32_e32 v1, s14, v1
	v_mul_lo_u32 v3, v1, s12
	v_mul_hi_u32 v5, s16, v1
	v_sub_u32_e32 v3, v4, v3
	v_add_u32_e32 v4, v1, v5
	v_lshrrev_b32_e32 v4, s17, v4
	v_mul_lo_u32 v6, v4, s15
	v_mul_hi_u32 v7, s19, v4
	v_sub_u32_e32 v1, v1, v6
	v_add_u32_e32 v6, v4, v7
	v_mul_lo_u32 v5, v3, s5
	v_mul_lo_u32 v3, v3, s4
	v_mul_lo_u32 v7, v1, s7
	v_mul_lo_u32 v1, v1, s6
	v_lshrrev_b32_e32 v6, s36, v6
	v_add3_u32 v0, v3, v0, v1
	v_mul_hi_u32 v3, s38, v6
	v_add3_u32 v1, v5, v2, v7
	v_mul_lo_u32 v2, v6, s18
	v_add_u32_e32 v3, v6, v3
	v_sub_u32_e32 v2, v4, v2
	v_lshrrev_b32_e32 v4, s39, v3
	s_add_i32 s55, s55, 4
	v_mul_lo_u32 v3, v4, s37
	s_add_u32 s48, s48, 32
	v_sub_u32_e32 v3, v6, v3
	s_addc_u32 s49, s49, 0
	v_mul_lo_u32 v5, v2, s8
	v_mul_lo_u32 v2, v2, s9
	;; [unrolled: 1-line block ×4, first 2 shown]
	s_cmp_eq_u32 s54, s55
	v_add3_u32 v2, v2, v1, v3
	v_add3_u32 v0, v5, v0, v6
	s_cbranch_scc0 .LBB535_301
; %bb.302:
	v_mov_b32_e32 v1, v2
	s_branch .LBB535_306
.LBB535_303:
                                        ; implicit-def: $vgpr2
                                        ; implicit-def: $vgpr0
	s_branch .LBB535_310
.LBB535_304:
	v_mov_b32_e32 v2, 0
	v_mov_b32_e32 v0, 0
	s_branch .LBB535_309
.LBB535_305:
	v_mov_b32_e32 v0, 0
	s_mov_b32 s54, 0
	v_mov_b32_e32 v1, v0
                                        ; implicit-def: $vgpr2
	v_mov_b32_e32 v4, v24
.LBB535_306:
	s_and_b32 s8, s61, 3
	s_cmp_eq_u32 s8, 0
	s_cbranch_scc1 .LBB535_309
; %bb.307:
	s_lshl_b32 s4, s54, 3
	s_add_u32 s4, s34, s4
	s_addc_u32 s5, s35, 0
	s_add_u32 s4, s4, 0xc4
	s_addc_u32 s5, s5, 0
	s_mul_i32 s6, s54, 12
	s_add_u32 s6, s34, s6
	s_addc_u32 s7, s35, 0
.LBB535_308:                            ; =>This Inner Loop Header: Depth=1
	s_load_dwordx2 s[10:11], s[6:7], 0x4
	s_load_dword s9, s[6:7], 0xc
	s_load_dwordx2 s[12:13], s[4:5], 0x0
	v_mov_b32_e32 v2, v1
	s_add_u32 s6, s6, 12
	s_waitcnt lgkmcnt(0)
	v_mul_hi_u32 v1, s11, v4
	v_add_u32_e32 v1, v4, v1
	v_lshrrev_b32_e32 v1, s9, v1
	s_addc_u32 s7, s7, 0
	v_mul_lo_u32 v3, v1, s10
	s_add_u32 s4, s4, 8
	v_sub_u32_e32 v5, v4, v3
	s_addc_u32 s5, s5, 0
	s_add_i32 s8, s8, -1
	v_mov_b32_e32 v4, v1
	v_mad_u64_u32 v[2:3], s[10:11], v5, s13, v[2:3]
	v_mad_u64_u32 v[0:1], s[10:11], v5, s12, v[0:1]
	s_cmp_lg_u32 s8, 0
	v_mov_b32_e32 v1, v2
	s_cbranch_scc1 .LBB535_308
.LBB535_309:
	s_cbranch_execnz .LBB535_312
.LBB535_310:
	v_mul_hi_u32 v0, s25, v24
	v_add_u32_e32 v0, v24, v0
	v_lshrrev_b32_e32 v1, s26, v0
	v_mul_lo_u32 v0, v1, s24
	v_sub_u32_e32 v0, v24, v0
	v_mul_lo_u32 v2, v0, s29
	s_andn2_b64 vcc, exec, s[46:47]
	v_mul_lo_u32 v0, v0, s28
	s_cbranch_vccnz .LBB535_312
; %bb.311:
	v_mul_hi_u32 v3, s44, v1
	v_add_u32_e32 v3, v1, v3
	v_lshrrev_b32_e32 v3, s45, v3
	v_mul_lo_u32 v3, v3, s27
	v_sub_u32_e32 v3, v1, v3
	v_mad_u64_u32 v[0:1], s[4:5], v3, s30, v[0:1]
	v_mad_u64_u32 v[2:3], s[4:5], v3, s31, v[2:3]
.LBB535_312:
	global_load_ushort v1, v2, s[22:23]
	v_mov_b32_e32 v3, s42
	s_waitcnt vmcnt(0)
	v_lshlrev_b32_e32 v2, 16, v1
	v_cmp_o_f32_e32 vcc, v2, v2
	s_and_saveexec_b64 s[4:5], vcc
	s_cbranch_execz .LBB535_316
; %bb.313:
	s_mov_b32 s6, 0x7f800000
	v_cmp_neq_f32_e32 vcc, s6, v2
	v_mov_b32_e32 v3, s59
	s_and_saveexec_b64 s[6:7], vcc
; %bb.314:
	s_mov_b32 s8, 0xff800000
	v_mov_b32_e32 v3, s43
	v_cmp_eq_f32_e32 vcc, s8, v2
	s_nop 1
	v_cndmask_b32_e32 v3, v1, v3, vcc
; %bb.315:
	s_or_b64 exec, exec, s[6:7]
.LBB535_316:
	s_or_b64 exec, exec, s[4:5]
	global_store_short v0, v3, s[20:21]
	s_or_b64 exec, exec, s[52:53]
                                        ; implicit-def: $vgpr32
                                        ; implicit-def: $vgpr24
	s_andn2_saveexec_b64 s[2:3], s[2:3]
	s_cbranch_execz .LBB535_284
	s_branch .LBB535_9
	.section	.rodata,"a",@progbits
	.p2align	6, 0x0
	.amdhsa_kernel _ZN2at6native32elementwise_kernel_manual_unrollILi128ELi8EZNS0_22gpu_kernel_impl_nocastIZZZNS0_22nan_to_num_kernel_cudaERNS_18TensorIteratorBaseESt8optionalIdES6_S6_ENKUlvE0_clEvENKUlvE2_clEvEUlN3c108BFloat16EE_EEvS4_RKT_EUlibE_EEviT1_
		.amdhsa_group_segment_fixed_size 0
		.amdhsa_private_segment_fixed_size 0
		.amdhsa_kernarg_size 360
		.amdhsa_user_sgpr_count 2
		.amdhsa_user_sgpr_dispatch_ptr 0
		.amdhsa_user_sgpr_queue_ptr 0
		.amdhsa_user_sgpr_kernarg_segment_ptr 1
		.amdhsa_user_sgpr_dispatch_id 0
		.amdhsa_user_sgpr_kernarg_preload_length 0
		.amdhsa_user_sgpr_kernarg_preload_offset 0
		.amdhsa_user_sgpr_private_segment_size 0
		.amdhsa_uses_dynamic_stack 0
		.amdhsa_enable_private_segment 0
		.amdhsa_system_sgpr_workgroup_id_x 1
		.amdhsa_system_sgpr_workgroup_id_y 0
		.amdhsa_system_sgpr_workgroup_id_z 0
		.amdhsa_system_sgpr_workgroup_info 0
		.amdhsa_system_vgpr_workitem_id 0
		.amdhsa_next_free_vgpr 33
		.amdhsa_next_free_sgpr 65
		.amdhsa_accum_offset 36
		.amdhsa_reserve_vcc 1
		.amdhsa_float_round_mode_32 0
		.amdhsa_float_round_mode_16_64 0
		.amdhsa_float_denorm_mode_32 3
		.amdhsa_float_denorm_mode_16_64 3
		.amdhsa_dx10_clamp 1
		.amdhsa_ieee_mode 1
		.amdhsa_fp16_overflow 0
		.amdhsa_tg_split 0
		.amdhsa_exception_fp_ieee_invalid_op 0
		.amdhsa_exception_fp_denorm_src 0
		.amdhsa_exception_fp_ieee_div_zero 0
		.amdhsa_exception_fp_ieee_overflow 0
		.amdhsa_exception_fp_ieee_underflow 0
		.amdhsa_exception_fp_ieee_inexact 0
		.amdhsa_exception_int_div_zero 0
	.end_amdhsa_kernel
	.section	.text._ZN2at6native32elementwise_kernel_manual_unrollILi128ELi8EZNS0_22gpu_kernel_impl_nocastIZZZNS0_22nan_to_num_kernel_cudaERNS_18TensorIteratorBaseESt8optionalIdES6_S6_ENKUlvE0_clEvENKUlvE2_clEvEUlN3c108BFloat16EE_EEvS4_RKT_EUlibE_EEviT1_,"axG",@progbits,_ZN2at6native32elementwise_kernel_manual_unrollILi128ELi8EZNS0_22gpu_kernel_impl_nocastIZZZNS0_22nan_to_num_kernel_cudaERNS_18TensorIteratorBaseESt8optionalIdES6_S6_ENKUlvE0_clEvENKUlvE2_clEvEUlN3c108BFloat16EE_EEvS4_RKT_EUlibE_EEviT1_,comdat
.Lfunc_end535:
	.size	_ZN2at6native32elementwise_kernel_manual_unrollILi128ELi8EZNS0_22gpu_kernel_impl_nocastIZZZNS0_22nan_to_num_kernel_cudaERNS_18TensorIteratorBaseESt8optionalIdES6_S6_ENKUlvE0_clEvENKUlvE2_clEvEUlN3c108BFloat16EE_EEvS4_RKT_EUlibE_EEviT1_, .Lfunc_end535-_ZN2at6native32elementwise_kernel_manual_unrollILi128ELi8EZNS0_22gpu_kernel_impl_nocastIZZZNS0_22nan_to_num_kernel_cudaERNS_18TensorIteratorBaseESt8optionalIdES6_S6_ENKUlvE0_clEvENKUlvE2_clEvEUlN3c108BFloat16EE_EEvS4_RKT_EUlibE_EEviT1_
                                        ; -- End function
	.set _ZN2at6native32elementwise_kernel_manual_unrollILi128ELi8EZNS0_22gpu_kernel_impl_nocastIZZZNS0_22nan_to_num_kernel_cudaERNS_18TensorIteratorBaseESt8optionalIdES6_S6_ENKUlvE0_clEvENKUlvE2_clEvEUlN3c108BFloat16EE_EEvS4_RKT_EUlibE_EEviT1_.num_vgpr, 33
	.set _ZN2at6native32elementwise_kernel_manual_unrollILi128ELi8EZNS0_22gpu_kernel_impl_nocastIZZZNS0_22nan_to_num_kernel_cudaERNS_18TensorIteratorBaseESt8optionalIdES6_S6_ENKUlvE0_clEvENKUlvE2_clEvEUlN3c108BFloat16EE_EEvS4_RKT_EUlibE_EEviT1_.num_agpr, 0
	.set _ZN2at6native32elementwise_kernel_manual_unrollILi128ELi8EZNS0_22gpu_kernel_impl_nocastIZZZNS0_22nan_to_num_kernel_cudaERNS_18TensorIteratorBaseESt8optionalIdES6_S6_ENKUlvE0_clEvENKUlvE2_clEvEUlN3c108BFloat16EE_EEvS4_RKT_EUlibE_EEviT1_.numbered_sgpr, 65
	.set _ZN2at6native32elementwise_kernel_manual_unrollILi128ELi8EZNS0_22gpu_kernel_impl_nocastIZZZNS0_22nan_to_num_kernel_cudaERNS_18TensorIteratorBaseESt8optionalIdES6_S6_ENKUlvE0_clEvENKUlvE2_clEvEUlN3c108BFloat16EE_EEvS4_RKT_EUlibE_EEviT1_.num_named_barrier, 0
	.set _ZN2at6native32elementwise_kernel_manual_unrollILi128ELi8EZNS0_22gpu_kernel_impl_nocastIZZZNS0_22nan_to_num_kernel_cudaERNS_18TensorIteratorBaseESt8optionalIdES6_S6_ENKUlvE0_clEvENKUlvE2_clEvEUlN3c108BFloat16EE_EEvS4_RKT_EUlibE_EEviT1_.private_seg_size, 0
	.set _ZN2at6native32elementwise_kernel_manual_unrollILi128ELi8EZNS0_22gpu_kernel_impl_nocastIZZZNS0_22nan_to_num_kernel_cudaERNS_18TensorIteratorBaseESt8optionalIdES6_S6_ENKUlvE0_clEvENKUlvE2_clEvEUlN3c108BFloat16EE_EEvS4_RKT_EUlibE_EEviT1_.uses_vcc, 1
	.set _ZN2at6native32elementwise_kernel_manual_unrollILi128ELi8EZNS0_22gpu_kernel_impl_nocastIZZZNS0_22nan_to_num_kernel_cudaERNS_18TensorIteratorBaseESt8optionalIdES6_S6_ENKUlvE0_clEvENKUlvE2_clEvEUlN3c108BFloat16EE_EEvS4_RKT_EUlibE_EEviT1_.uses_flat_scratch, 0
	.set _ZN2at6native32elementwise_kernel_manual_unrollILi128ELi8EZNS0_22gpu_kernel_impl_nocastIZZZNS0_22nan_to_num_kernel_cudaERNS_18TensorIteratorBaseESt8optionalIdES6_S6_ENKUlvE0_clEvENKUlvE2_clEvEUlN3c108BFloat16EE_EEvS4_RKT_EUlibE_EEviT1_.has_dyn_sized_stack, 0
	.set _ZN2at6native32elementwise_kernel_manual_unrollILi128ELi8EZNS0_22gpu_kernel_impl_nocastIZZZNS0_22nan_to_num_kernel_cudaERNS_18TensorIteratorBaseESt8optionalIdES6_S6_ENKUlvE0_clEvENKUlvE2_clEvEUlN3c108BFloat16EE_EEvS4_RKT_EUlibE_EEviT1_.has_recursion, 0
	.set _ZN2at6native32elementwise_kernel_manual_unrollILi128ELi8EZNS0_22gpu_kernel_impl_nocastIZZZNS0_22nan_to_num_kernel_cudaERNS_18TensorIteratorBaseESt8optionalIdES6_S6_ENKUlvE0_clEvENKUlvE2_clEvEUlN3c108BFloat16EE_EEvS4_RKT_EUlibE_EEviT1_.has_indirect_call, 0
	.section	.AMDGPU.csdata,"",@progbits
; Kernel info:
; codeLenInByte = 12696
; TotalNumSgprs: 71
; NumVgprs: 33
; NumAgprs: 0
; TotalNumVgprs: 33
; ScratchSize: 0
; MemoryBound: 0
; FloatMode: 240
; IeeeMode: 1
; LDSByteSize: 0 bytes/workgroup (compile time only)
; SGPRBlocks: 8
; VGPRBlocks: 4
; NumSGPRsForWavesPerEU: 71
; NumVGPRsForWavesPerEU: 33
; AccumOffset: 36
; Occupancy: 8
; WaveLimiterHint : 1
; COMPUTE_PGM_RSRC2:SCRATCH_EN: 0
; COMPUTE_PGM_RSRC2:USER_SGPR: 2
; COMPUTE_PGM_RSRC2:TRAP_HANDLER: 0
; COMPUTE_PGM_RSRC2:TGID_X_EN: 1
; COMPUTE_PGM_RSRC2:TGID_Y_EN: 0
; COMPUTE_PGM_RSRC2:TGID_Z_EN: 0
; COMPUTE_PGM_RSRC2:TIDIG_COMP_CNT: 0
; COMPUTE_PGM_RSRC3_GFX90A:ACCUM_OFFSET: 8
; COMPUTE_PGM_RSRC3_GFX90A:TG_SPLIT: 0
	.section	.text._ZN2at6native32elementwise_kernel_manual_unrollILi128ELi4EZNS0_15gpu_kernel_implIZZZNS0_22nan_to_num_kernel_cudaERNS_18TensorIteratorBaseESt8optionalIdES6_S6_ENKUlvE0_clEvENKUlvE2_clEvEUlN3c108BFloat16EE_EEvS4_RKT_EUlibE_EEviT1_,"axG",@progbits,_ZN2at6native32elementwise_kernel_manual_unrollILi128ELi4EZNS0_15gpu_kernel_implIZZZNS0_22nan_to_num_kernel_cudaERNS_18TensorIteratorBaseESt8optionalIdES6_S6_ENKUlvE0_clEvENKUlvE2_clEvEUlN3c108BFloat16EE_EEvS4_RKT_EUlibE_EEviT1_,comdat
	.globl	_ZN2at6native32elementwise_kernel_manual_unrollILi128ELi4EZNS0_15gpu_kernel_implIZZZNS0_22nan_to_num_kernel_cudaERNS_18TensorIteratorBaseESt8optionalIdES6_S6_ENKUlvE0_clEvENKUlvE2_clEvEUlN3c108BFloat16EE_EEvS4_RKT_EUlibE_EEviT1_ ; -- Begin function _ZN2at6native32elementwise_kernel_manual_unrollILi128ELi4EZNS0_15gpu_kernel_implIZZZNS0_22nan_to_num_kernel_cudaERNS_18TensorIteratorBaseESt8optionalIdES6_S6_ENKUlvE0_clEvENKUlvE2_clEvEUlN3c108BFloat16EE_EEvS4_RKT_EUlibE_EEviT1_
	.p2align	8
	.type	_ZN2at6native32elementwise_kernel_manual_unrollILi128ELi4EZNS0_15gpu_kernel_implIZZZNS0_22nan_to_num_kernel_cudaERNS_18TensorIteratorBaseESt8optionalIdES6_S6_ENKUlvE0_clEvENKUlvE2_clEvEUlN3c108BFloat16EE_EEvS4_RKT_EUlibE_EEviT1_,@function
_ZN2at6native32elementwise_kernel_manual_unrollILi128ELi4EZNS0_15gpu_kernel_implIZZZNS0_22nan_to_num_kernel_cudaERNS_18TensorIteratorBaseESt8optionalIdES6_S6_ENKUlvE0_clEvENKUlvE2_clEvEUlN3c108BFloat16EE_EEvS4_RKT_EUlibE_EEviT1_: ; @_ZN2at6native32elementwise_kernel_manual_unrollILi128ELi4EZNS0_15gpu_kernel_implIZZZNS0_22nan_to_num_kernel_cudaERNS_18TensorIteratorBaseESt8optionalIdES6_S6_ENKUlvE0_clEvENKUlvE2_clEvEUlN3c108BFloat16EE_EEvS4_RKT_EUlibE_EEviT1_
; %bb.0:
	s_load_dwordx8 s[4:11], s[0:1], 0x8
	s_load_dword s3, s[0:1], 0x24
	s_load_dword s40, s[0:1], 0x0
	v_lshl_or_b32 v4, s2, 9, v0
	v_or_b32_e32 v0, 0x180, v4
	s_waitcnt lgkmcnt(0)
	s_lshr_b32 s44, s10, 16
	s_lshr_b32 s33, s3, 16
	;; [unrolled: 1-line block ×3, first 2 shown]
	v_cmp_le_i32_e32 vcc, s40, v0
	s_mov_b64 s[2:3], 0
	s_mov_b64 s[14:15], 0
	s_and_saveexec_b64 s[0:1], vcc
	s_xor_b64 s[12:13], exec, s[0:1]
	s_cbranch_execz .LBB536_1043
; %bb.1:
	v_cmp_gt_i32_e32 vcc, s40, v4
	s_mov_b64 s[20:21], -1
	s_mov_b64 s[22:23], 0
	s_mov_b64 s[16:17], 0
	s_and_saveexec_b64 s[18:19], vcc
	s_cbranch_execz .LBB536_256
; %bb.2:
	v_mul_lo_u32 v0, v4, s9
	v_ashrrev_i32_e32 v1, 31, v0
	s_and_b32 s24, 0xffff, s45
	s_cmp_lt_i32 s24, 11
	v_lshl_add_u64 v[0:1], s[6:7], 0, v[0:1]
	s_cbranch_scc1 .LBB536_9
; %bb.3:
	s_cmp_gt_i32 s24, 25
	s_cbranch_scc0 .LBB536_22
; %bb.4:
	s_cmp_gt_i32 s24, 28
	s_cbranch_scc0 .LBB536_26
	;; [unrolled: 3-line block ×4, first 2 shown]
; %bb.7:
	s_cmp_eq_u32 s24, 46
	s_cbranch_scc0 .LBB536_32
; %bb.8:
	global_load_dword v3, v[0:1], off
	s_mov_b64 s[0:1], -1
	s_branch .LBB536_34
.LBB536_9:
                                        ; implicit-def: $vgpr3
	s_mov_b64 s[0:1], 0
	s_cbranch_execnz .LBB536_207
.LBB536_10:
	s_andn2_b64 vcc, exec, s[0:1]
	s_cbranch_vccnz .LBB536_254
.LBB536_11:
	s_waitcnt vmcnt(0)
	v_lshlrev_b32_e32 v0, 16, v3
	v_cmp_o_f32_e32 vcc, v0, v0
	v_mov_b32_e32 v2, s10
	s_and_saveexec_b64 s[0:1], vcc
	s_cbranch_execz .LBB536_15
; %bb.12:
	s_mov_b32 s14, 0x7f800000
	v_cmp_neq_f32_e32 vcc, s14, v0
	v_mov_b32_e32 v2, s44
	s_and_saveexec_b64 s[14:15], vcc
; %bb.13:
	s_mov_b32 s20, 0xff800000
	v_mov_b32_e32 v1, s11
	v_cmp_eq_f32_e32 vcc, s20, v0
	s_nop 1
	v_cndmask_b32_e32 v2, v3, v1, vcc
; %bb.14:
	s_or_b64 exec, exec, s[14:15]
.LBB536_15:
	s_or_b64 exec, exec, s[0:1]
	v_mul_lo_u32 v0, v4, s8
	v_ashrrev_i32_e32 v1, 31, v0
	s_and_b32 s26, s33, 0xff
	s_cmp_lt_i32 s26, 11
	v_lshl_add_u64 v[0:1], s[4:5], 0, v[0:1]
	s_cbranch_scc1 .LBB536_23
; %bb.16:
	s_and_b32 s27, 0xffff, s26
	s_cmp_gt_i32 s27, 25
	s_cbranch_scc0 .LBB536_27
; %bb.17:
	s_cmp_gt_i32 s27, 28
	s_cbranch_scc0 .LBB536_29
; %bb.18:
	;; [unrolled: 3-line block ×4, first 2 shown]
	s_mov_b64 s[20:21], 0
	s_mov_b64 s[0:1], -1
	s_cmp_eq_u32 s27, 46
	s_mov_b64 s[14:15], 0
	s_cbranch_scc0 .LBB536_38
; %bb.21:
	v_and_b32_e32 v3, 0xffff, v2
	global_store_dword v[0:1], v3, off
	s_mov_b64 s[14:15], -1
	s_mov_b64 s[0:1], 0
	s_branch .LBB536_38
.LBB536_22:
	s_mov_b64 s[0:1], 0
                                        ; implicit-def: $vgpr3
	s_cbranch_execnz .LBB536_172
	s_branch .LBB536_206
.LBB536_23:
	s_mov_b64 s[0:1], 0
	s_mov_b64 s[14:15], 0
	s_cbranch_execnz .LBB536_107
.LBB536_24:
	s_andn2_b64 vcc, exec, s[14:15]
	s_cbranch_vccnz .LBB536_145
.LBB536_25:
	v_add_u32_e32 v4, 0x80, v4
	s_mov_b64 s[20:21], -1
	s_branch .LBB536_255
.LBB536_26:
	s_mov_b64 s[14:15], -1
	s_mov_b64 s[0:1], 0
                                        ; implicit-def: $vgpr3
	s_branch .LBB536_153
.LBB536_27:
	s_mov_b64 s[20:21], -1
	s_mov_b64 s[0:1], 0
	s_mov_b64 s[14:15], 0
	s_branch .LBB536_65
.LBB536_28:
	s_mov_b64 s[14:15], -1
	s_mov_b64 s[0:1], 0
                                        ; implicit-def: $vgpr3
	s_branch .LBB536_148
.LBB536_29:
	s_mov_b64 s[20:21], -1
	s_mov_b64 s[0:1], 0
	s_mov_b64 s[14:15], 0
	s_branch .LBB536_48
.LBB536_30:
	s_mov_b64 s[14:15], -1
	s_branch .LBB536_33
.LBB536_31:
	s_mov_b64 s[20:21], -1
	s_mov_b64 s[0:1], 0
	s_mov_b64 s[14:15], 0
	s_branch .LBB536_44
.LBB536_32:
	s_mov_b64 s[16:17], -1
.LBB536_33:
	s_mov_b64 s[0:1], 0
                                        ; implicit-def: $vgpr3
.LBB536_34:
	s_and_b64 vcc, exec, s[14:15]
	s_cbranch_vccz .LBB536_147
; %bb.35:
	s_cmp_eq_u32 s24, 44
	s_cbranch_scc0 .LBB536_146
; %bb.36:
	global_load_ubyte v2, v[0:1], off
	s_movk_i32 s14, 0xff
	s_waitcnt vmcnt(1)
	v_mov_b32_e32 v3, 0x7f800001
	v_mov_b32_e32 v5, 0x400000
	;; [unrolled: 1-line block ×3, first 2 shown]
	s_mov_b64 s[0:1], -1
	s_mov_b64 s[16:17], 0
	s_waitcnt vmcnt(0)
	v_lshlrev_b32_e32 v7, 23, v2
	v_cmp_ne_u32_e32 vcc, s14, v2
	s_nop 1
	v_cndmask_b32_e32 v3, v3, v7, vcc
	v_cmp_ne_u32_e32 vcc, 0, v2
	s_nop 1
	v_cndmask_b32_e32 v2, v5, v3, vcc
	v_add_u32_e32 v3, 0x7fff, v2
	v_cmp_o_f32_e32 vcc, v2, v2
	s_nop 1
	v_cndmask_b32_sdwa v3, v6, v3, vcc dst_sel:DWORD dst_unused:UNUSED_PAD src0_sel:DWORD src1_sel:WORD_1
	s_branch .LBB536_147
.LBB536_37:
	s_mov_b64 s[20:21], -1
	s_mov_b64 s[0:1], 0
	s_mov_b64 s[14:15], 0
.LBB536_38:
	s_and_b64 vcc, exec, s[20:21]
	s_cbranch_vccz .LBB536_43
; %bb.39:
	s_cmp_eq_u32 s27, 44
	s_mov_b64 s[0:1], -1
	s_cbranch_scc0 .LBB536_43
; %bb.40:
	v_and_b32_e32 v5, 0xffff, v2
	v_bfe_u32 v3, v5, 7, 8
	s_movk_i32 s0, 0xff
	v_cmp_ne_u32_e32 vcc, s0, v3
	v_mov_b32_e32 v6, 0xff
	s_and_saveexec_b64 s[14:15], vcc
	s_cbranch_execz .LBB536_42
; %bb.41:
	v_lshlrev_b32_e32 v7, 16, v5
	s_mov_b32 s0, 0x3f0000
	v_lshrrev_b32_e32 v6, 7, v5
	v_and_b32_e32 v5, 64, v5
	v_and_or_b32 v3, v7, s0, v3
	v_cmp_ne_u32_e32 vcc, 0, v5
	v_cmp_ne_u32_e64 s[0:1], 0, v3
	s_and_b64 s[0:1], vcc, s[0:1]
	s_nop 0
	v_cndmask_b32_e64 v3, 0, 1, s[0:1]
	v_add_u32_e32 v6, v6, v3
.LBB536_42:
	s_or_b64 exec, exec, s[14:15]
	s_mov_b64 s[14:15], -1
	s_mov_b64 s[0:1], 0
	global_store_byte v[0:1], v6, off
.LBB536_43:
	s_mov_b64 s[20:21], 0
.LBB536_44:
	s_and_b64 vcc, exec, s[20:21]
	s_cbranch_vccz .LBB536_47
; %bb.45:
	s_cmp_eq_u32 s27, 29
	s_mov_b64 s[0:1], -1
	s_cbranch_scc0 .LBB536_47
; %bb.46:
	v_lshlrev_b32_e32 v3, 16, v2
	v_trunc_f32_e32 v3, v3
	v_mul_f32_e32 v5, 0x2f800000, v3
	v_floor_f32_e32 v5, v5
	v_fmamk_f32 v3, v5, 0xcf800000, v3
	v_cvt_u32_f32_e32 v7, v5
	v_cvt_u32_f32_e32 v6, v3
	s_mov_b64 s[14:15], -1
	s_mov_b64 s[0:1], 0
	s_mov_b64 s[20:21], 0
	global_store_dwordx2 v[0:1], v[6:7], off
	s_branch .LBB536_48
.LBB536_47:
	s_mov_b64 s[20:21], 0
.LBB536_48:
	s_and_b64 vcc, exec, s[20:21]
	s_cbranch_vccz .LBB536_64
; %bb.49:
	s_cmp_lt_i32 s27, 27
	s_mov_b64 s[14:15], -1
	s_cbranch_scc1 .LBB536_55
; %bb.50:
	s_cmp_gt_i32 s27, 27
	s_cbranch_scc0 .LBB536_52
; %bb.51:
	v_lshlrev_b32_e32 v3, 16, v2
	v_cvt_u32_f32_e32 v3, v3
	s_mov_b64 s[14:15], 0
	global_store_dword v[0:1], v3, off
.LBB536_52:
	s_andn2_b64 vcc, exec, s[14:15]
	s_cbranch_vccnz .LBB536_54
; %bb.53:
	v_lshlrev_b32_e32 v3, 16, v2
	v_cvt_u32_f32_e32 v3, v3
	global_store_short v[0:1], v3, off
.LBB536_54:
	s_mov_b64 s[14:15], 0
.LBB536_55:
	s_andn2_b64 vcc, exec, s[14:15]
	s_cbranch_vccnz .LBB536_63
; %bb.56:
	v_lshlrev_b32_e32 v6, 16, v2
	v_and_b32_e32 v5, 0x7fffffff, v6
	s_mov_b32 s14, 0x43800000
	v_cmp_gt_u32_e32 vcc, s14, v5
	v_mov_b32_e32 v7, 0x80
	s_and_saveexec_b64 s[14:15], vcc
	s_cbranch_execz .LBB536_62
; %bb.57:
	s_mov_b32 s20, 0x3bffffff
	v_and_b32_e32 v3, 0xffff, v2
	v_cmp_lt_u32_e32 vcc, s20, v5
	s_mov_b64 s[20:21], 0
                                        ; implicit-def: $vgpr5
	s_and_saveexec_b64 s[24:25], vcc
	s_xor_b64 s[24:25], exec, s[24:25]
	s_cbranch_execz .LBB536_287
; %bb.58:
	v_bfe_u32 v5, v3, 4, 1
	s_mov_b32 s28, 0x487ffff
	v_add3_u32 v5, v6, v5, s28
	s_mov_b64 s[20:21], exec
	v_lshrrev_b32_e32 v5, 20, v5
                                        ; implicit-def: $vgpr6
	s_andn2_saveexec_b64 s[24:25], s[24:25]
	s_cbranch_execnz .LBB536_288
.LBB536_59:
	s_or_b64 exec, exec, s[24:25]
	v_mov_b32_e32 v7, 0
	s_and_saveexec_b64 s[24:25], s[20:21]
.LBB536_60:
	v_lshrrev_b32_e32 v3, 8, v3
	s_movk_i32 s20, 0x80
	v_and_or_b32 v7, v3, s20, v5
.LBB536_61:
	s_or_b64 exec, exec, s[24:25]
.LBB536_62:
	s_or_b64 exec, exec, s[14:15]
	global_store_byte v[0:1], v7, off
.LBB536_63:
	s_mov_b64 s[14:15], -1
.LBB536_64:
	s_mov_b64 s[20:21], 0
.LBB536_65:
	s_and_b64 vcc, exec, s[20:21]
	s_cbranch_vccz .LBB536_106
; %bb.66:
	s_cmp_gt_i32 s27, 22
	s_mov_b64 s[20:21], -1
	s_cbranch_scc0 .LBB536_98
; %bb.67:
	s_cmp_lt_i32 s27, 24
	s_mov_b64 s[14:15], -1
	s_cbranch_scc1 .LBB536_87
; %bb.68:
	s_cmp_gt_i32 s27, 24
	s_cbranch_scc0 .LBB536_76
; %bb.69:
	v_lshlrev_b32_e32 v6, 16, v2
	v_and_b32_e32 v5, 0x7fffffff, v6
	s_mov_b32 s14, 0x47800000
	v_cmp_gt_u32_e32 vcc, s14, v5
	v_mov_b32_e32 v7, 0x80
	s_and_saveexec_b64 s[14:15], vcc
	s_cbranch_execz .LBB536_75
; %bb.70:
	s_mov_b32 s20, 0x37ffffff
	v_and_b32_e32 v3, 0xffff, v2
	v_cmp_lt_u32_e32 vcc, s20, v5
	s_mov_b64 s[20:21], 0
                                        ; implicit-def: $vgpr5
	s_and_saveexec_b64 s[24:25], vcc
	s_xor_b64 s[24:25], exec, s[24:25]
	s_cbranch_execz .LBB536_291
; %bb.71:
	v_bfe_u32 v5, v3, 5, 1
	s_mov_b32 s28, 0x88fffff
	v_add3_u32 v5, v6, v5, s28
	s_mov_b64 s[20:21], exec
	v_lshrrev_b32_e32 v5, 21, v5
                                        ; implicit-def: $vgpr6
	s_andn2_saveexec_b64 s[24:25], s[24:25]
	s_cbranch_execnz .LBB536_292
.LBB536_72:
	s_or_b64 exec, exec, s[24:25]
	v_mov_b32_e32 v7, 0
	s_and_saveexec_b64 s[24:25], s[20:21]
.LBB536_73:
	v_lshrrev_b32_e32 v3, 8, v3
	s_movk_i32 s20, 0x80
	v_and_or_b32 v7, v3, s20, v5
.LBB536_74:
	s_or_b64 exec, exec, s[24:25]
.LBB536_75:
	s_or_b64 exec, exec, s[14:15]
	s_mov_b64 s[14:15], 0
	global_store_byte v[0:1], v7, off
.LBB536_76:
	s_and_b64 vcc, exec, s[14:15]
	s_cbranch_vccz .LBB536_86
; %bb.77:
	v_lshlrev_b32_e32 v6, 16, v2
	v_and_b32_e32 v7, 0x7fffffff, v6
	s_mov_b32 s14, 0x43f00000
	v_and_b32_e32 v3, 0xffff, v2
	v_cmp_gt_u32_e32 vcc, s14, v7
                                        ; implicit-def: $vgpr5
	s_and_saveexec_b64 s[14:15], vcc
	s_xor_b64 s[14:15], exec, s[14:15]
	s_cbranch_execz .LBB536_83
; %bb.78:
	s_mov_b32 s20, 0x3c7fffff
	v_cmp_lt_u32_e32 vcc, s20, v7
                                        ; implicit-def: $vgpr5
	s_and_saveexec_b64 s[20:21], vcc
	s_xor_b64 s[20:21], exec, s[20:21]
; %bb.79:
	v_bfe_u32 v5, v3, 4, 1
	s_mov_b32 s24, 0x407ffff
	v_add3_u32 v5, v6, v5, s24
	v_lshrrev_b32_e32 v6, 20, v5
	v_and_b32_e32 v5, 0xff00000, v5
	s_mov_b32 s24, 0x7f00000
	v_mov_b32_e32 v7, 0x7e
	v_cmp_ne_u32_e32 vcc, s24, v5
	s_nop 1
	v_cndmask_b32_e32 v5, v7, v6, vcc
                                        ; implicit-def: $vgpr6
; %bb.80:
	s_andn2_saveexec_b64 s[20:21], s[20:21]
; %bb.81:
	s_mov_b32 s24, 0x46800000
	v_add_f32_e64 v5, |v6|, s24
; %bb.82:
	s_or_b64 exec, exec, s[20:21]
                                        ; implicit-def: $vgpr7
.LBB536_83:
	s_andn2_saveexec_b64 s[14:15], s[14:15]
; %bb.84:
	s_mov_b32 s20, 0x7f800000
	v_mov_b32_e32 v5, 0x7e
	v_mov_b32_e32 v6, 0x7f
	v_cmp_lt_u32_e32 vcc, s20, v7
	s_nop 1
	v_cndmask_b32_e32 v5, v5, v6, vcc
; %bb.85:
	s_or_b64 exec, exec, s[14:15]
	v_lshrrev_b32_e32 v3, 8, v3
	s_movk_i32 s14, 0x80
	v_and_or_b32 v3, v3, s14, v5
	global_store_byte v[0:1], v3, off
.LBB536_86:
	s_mov_b64 s[14:15], 0
.LBB536_87:
	s_andn2_b64 vcc, exec, s[14:15]
	s_cbranch_vccnz .LBB536_97
; %bb.88:
	v_lshlrev_b32_e32 v6, 16, v2
	v_and_b32_e32 v7, 0x7fffffff, v6
	s_mov_b32 s14, 0x47800000
	v_and_b32_e32 v3, 0xffff, v2
	v_cmp_gt_u32_e32 vcc, s14, v7
                                        ; implicit-def: $vgpr5
	s_and_saveexec_b64 s[14:15], vcc
	s_xor_b64 s[14:15], exec, s[14:15]
	s_cbranch_execz .LBB536_94
; %bb.89:
	s_mov_b32 s20, 0x387fffff
	v_cmp_lt_u32_e32 vcc, s20, v7
                                        ; implicit-def: $vgpr5
	s_and_saveexec_b64 s[20:21], vcc
	s_xor_b64 s[20:21], exec, s[20:21]
; %bb.90:
	v_bfe_u32 v5, v3, 5, 1
	s_mov_b32 s24, 0x80fffff
	v_add3_u32 v5, v6, v5, s24
	v_lshrrev_b32_e32 v5, 21, v5
                                        ; implicit-def: $vgpr6
; %bb.91:
	s_andn2_saveexec_b64 s[20:21], s[20:21]
; %bb.92:
	s_mov_b32 s24, 0x43000000
	v_add_f32_e64 v5, |v6|, s24
; %bb.93:
	s_or_b64 exec, exec, s[20:21]
                                        ; implicit-def: $vgpr7
.LBB536_94:
	s_andn2_saveexec_b64 s[14:15], s[14:15]
; %bb.95:
	s_mov_b32 s20, 0x7f800000
	v_mov_b32_e32 v5, 0x7c
	v_mov_b32_e32 v6, 0x7f
	v_cmp_lt_u32_e32 vcc, s20, v7
	s_nop 1
	v_cndmask_b32_e32 v5, v5, v6, vcc
; %bb.96:
	s_or_b64 exec, exec, s[14:15]
	v_lshrrev_b32_e32 v3, 8, v3
	s_movk_i32 s14, 0x80
	v_and_or_b32 v3, v3, s14, v5
	global_store_byte v[0:1], v3, off
.LBB536_97:
	s_mov_b64 s[20:21], 0
	s_mov_b64 s[14:15], -1
.LBB536_98:
	s_andn2_b64 vcc, exec, s[20:21]
	s_cbranch_vccnz .LBB536_106
; %bb.99:
	s_cmp_gt_i32 s27, 14
	s_mov_b64 s[20:21], -1
	s_cbranch_scc0 .LBB536_103
; %bb.100:
	s_cmp_eq_u32 s27, 15
	s_mov_b64 s[0:1], -1
	s_cbranch_scc0 .LBB536_102
; %bb.101:
	global_store_short v[0:1], v2, off
	s_mov_b64 s[14:15], -1
	s_mov_b64 s[0:1], 0
.LBB536_102:
	s_mov_b64 s[20:21], 0
.LBB536_103:
	s_and_b64 vcc, exec, s[20:21]
	s_cbranch_vccz .LBB536_106
; %bb.104:
	s_cmp_eq_u32 s27, 11
	s_mov_b64 s[0:1], -1
	s_cbranch_scc0 .LBB536_106
; %bb.105:
	v_and_b32_e32 v3, 0x7fff, v2
	v_cmp_ne_u16_e32 vcc, 0, v3
	s_mov_b64 s[14:15], -1
	s_mov_b64 s[0:1], 0
	v_cndmask_b32_e64 v3, 0, 1, vcc
	global_store_byte v[0:1], v3, off
.LBB536_106:
	s_branch .LBB536_24
.LBB536_107:
	s_and_b32 s20, 0xffff, s26
	s_cmp_lt_i32 s20, 5
	s_mov_b64 s[14:15], -1
	s_cbranch_scc1 .LBB536_128
; %bb.108:
	s_cmp_lt_i32 s20, 8
	s_cbranch_scc1 .LBB536_118
; %bb.109:
	s_cmp_lt_i32 s20, 9
	s_cbranch_scc1 .LBB536_115
; %bb.110:
	s_cmp_gt_i32 s20, 9
	s_cbranch_scc0 .LBB536_112
; %bb.111:
	v_lshlrev_b32_e32 v3, 16, v2
	v_mov_b32_e32 v8, 0
	v_cvt_f64_f32_e32 v[6:7], v3
	v_mov_b32_e32 v9, v8
	global_store_dwordx4 v[0:1], v[6:9], off
	s_mov_b64 s[14:15], 0
.LBB536_112:
	s_andn2_b64 vcc, exec, s[14:15]
	s_cbranch_vccnz .LBB536_114
; %bb.113:
	v_lshlrev_b32_e32 v6, 16, v2
	v_mov_b32_e32 v7, 0
	global_store_dwordx2 v[0:1], v[6:7], off
.LBB536_114:
	s_mov_b64 s[14:15], 0
.LBB536_115:
	s_andn2_b64 vcc, exec, s[14:15]
	s_cbranch_vccnz .LBB536_117
; %bb.116:
	v_lshlrev_b32_e32 v3, 16, v2
	v_cvt_f16_f32_e32 v3, v3
	global_store_dword v[0:1], v3, off
.LBB536_117:
	s_mov_b64 s[14:15], 0
.LBB536_118:
	s_andn2_b64 vcc, exec, s[14:15]
	s_cbranch_vccnz .LBB536_127
; %bb.119:
	s_cmp_lt_i32 s20, 6
	s_mov_b64 s[14:15], -1
	s_cbranch_scc1 .LBB536_125
; %bb.120:
	s_cmp_gt_i32 s20, 6
	s_cbranch_scc0 .LBB536_122
; %bb.121:
	v_lshlrev_b32_e32 v3, 16, v2
	v_cvt_f64_f32_e32 v[6:7], v3
	global_store_dwordx2 v[0:1], v[6:7], off
	s_mov_b64 s[14:15], 0
.LBB536_122:
	s_andn2_b64 vcc, exec, s[14:15]
	s_cbranch_vccnz .LBB536_124
; %bb.123:
	v_lshlrev_b32_e32 v3, 16, v2
	global_store_dword v[0:1], v3, off
.LBB536_124:
	s_mov_b64 s[14:15], 0
.LBB536_125:
	s_andn2_b64 vcc, exec, s[14:15]
	s_cbranch_vccnz .LBB536_127
; %bb.126:
	v_lshlrev_b32_e32 v3, 16, v2
	v_cvt_f16_f32_e32 v3, v3
	global_store_short v[0:1], v3, off
.LBB536_127:
	s_mov_b64 s[14:15], 0
.LBB536_128:
	s_andn2_b64 vcc, exec, s[14:15]
	s_cbranch_vccnz .LBB536_144
; %bb.129:
	s_cmp_lt_i32 s20, 2
	s_mov_b64 s[14:15], -1
	s_cbranch_scc1 .LBB536_139
; %bb.130:
	s_cmp_lt_i32 s20, 3
	s_cbranch_scc1 .LBB536_136
; %bb.131:
	s_cmp_gt_i32 s20, 3
	s_cbranch_scc0 .LBB536_133
; %bb.132:
	v_lshlrev_b32_e32 v3, 16, v2
	v_trunc_f32_e32 v3, v3
	s_mov_b32 s14, 0x2f800000
	v_mul_f32_e64 v5, |v3|, s14
	v_floor_f32_e32 v5, v5
	s_mov_b32 s14, 0xcf800000
	v_cvt_u32_f32_e32 v6, v5
	v_fma_f32 v5, v5, s14, |v3|
	v_cvt_u32_f32_e32 v5, v5
	v_ashrrev_i32_e32 v3, 31, v3
	v_xor_b32_e32 v7, v6, v3
	s_mov_b64 s[14:15], 0
	v_xor_b32_e32 v5, v5, v3
	v_sub_co_u32_e32 v6, vcc, v5, v3
	s_nop 1
	v_subb_co_u32_e32 v7, vcc, v7, v3, vcc
	global_store_dwordx2 v[0:1], v[6:7], off
.LBB536_133:
	s_andn2_b64 vcc, exec, s[14:15]
	s_cbranch_vccnz .LBB536_135
; %bb.134:
	v_lshlrev_b32_e32 v3, 16, v2
	v_cvt_i32_f32_e32 v3, v3
	global_store_dword v[0:1], v3, off
.LBB536_135:
	s_mov_b64 s[14:15], 0
.LBB536_136:
	s_andn2_b64 vcc, exec, s[14:15]
	s_cbranch_vccnz .LBB536_138
; %bb.137:
	v_lshlrev_b32_e32 v3, 16, v2
	v_cvt_i32_f32_e32 v3, v3
	global_store_short v[0:1], v3, off
.LBB536_138:
	s_mov_b64 s[14:15], 0
.LBB536_139:
	s_andn2_b64 vcc, exec, s[14:15]
	s_cbranch_vccnz .LBB536_144
; %bb.140:
	s_mov_b64 s[14:15], -1
	s_cmp_gt_i32 s20, 0
	v_lshlrev_b32_e32 v2, 16, v2
	s_cbranch_scc0 .LBB536_142
; %bb.141:
	v_cvt_i32_f32_e32 v3, v2
	s_mov_b64 s[14:15], 0
	global_store_byte v[0:1], v3, off
.LBB536_142:
	s_andn2_b64 vcc, exec, s[14:15]
	s_cbranch_vccnz .LBB536_144
; %bb.143:
	v_trunc_f32_e32 v2, v2
	s_mov_b32 s14, 0x2f800000
	v_mul_f32_e64 v3, |v2|, s14
	v_floor_f32_e32 v3, v3
	s_mov_b32 s14, 0xcf800000
	v_fma_f32 v3, v3, s14, |v2|
	v_cvt_u32_f32_e32 v3, v3
	v_ashrrev_i32_e32 v2, 31, v2
	v_xor_b32_e32 v3, v3, v2
	v_sub_u32_e32 v2, v3, v2
	global_store_byte v[0:1], v2, off
.LBB536_144:
	s_branch .LBB536_25
.LBB536_145:
	s_mov_b64 s[20:21], 0
                                        ; implicit-def: $vgpr4
	s_branch .LBB536_255
.LBB536_146:
	s_mov_b64 s[16:17], -1
                                        ; implicit-def: $vgpr3
.LBB536_147:
	s_mov_b64 s[14:15], 0
.LBB536_148:
	s_and_b64 vcc, exec, s[14:15]
	s_cbranch_vccz .LBB536_152
; %bb.149:
	s_cmp_eq_u32 s24, 29
	s_cbranch_scc0 .LBB536_151
; %bb.150:
	global_load_dwordx2 v[2:3], v[0:1], off
	s_movk_i32 s14, 0x7fff
	s_mov_b64 s[0:1], -1
	s_mov_b64 s[16:17], 0
	s_waitcnt vmcnt(0)
	v_ffbh_u32_e32 v5, v3
	v_min_u32_e32 v5, 32, v5
	v_lshlrev_b64 v[2:3], v5, v[2:3]
	v_min_u32_e32 v2, 1, v2
	v_or_b32_e32 v2, v3, v2
	v_cvt_f32_u32_e32 v2, v2
	v_sub_u32_e32 v3, 32, v5
	v_ldexp_f32 v2, v2, v3
	v_bfe_u32 v3, v2, 16, 1
	v_add3_u32 v2, v2, v3, s14
	v_lshrrev_b32_e32 v3, 16, v2
	s_branch .LBB536_152
.LBB536_151:
	s_mov_b64 s[16:17], -1
                                        ; implicit-def: $vgpr3
.LBB536_152:
	s_mov_b64 s[14:15], 0
.LBB536_153:
	s_and_b64 vcc, exec, s[14:15]
	s_cbranch_vccz .LBB536_171
; %bb.154:
	s_cmp_lt_i32 s24, 27
	s_cbranch_scc1 .LBB536_157
; %bb.155:
	s_cmp_gt_i32 s24, 27
	s_cbranch_scc0 .LBB536_158
; %bb.156:
	global_load_dword v2, v[0:1], off
	s_movk_i32 s0, 0x7fff
	s_waitcnt vmcnt(0)
	v_cvt_f32_u32_e32 v2, v2
	v_bfe_u32 v3, v2, 16, 1
	v_add3_u32 v2, v2, v3, s0
	v_lshrrev_b32_e32 v3, 16, v2
	s_mov_b64 s[0:1], 0
	s_branch .LBB536_159
.LBB536_157:
	s_mov_b64 s[0:1], -1
                                        ; implicit-def: $vgpr3
	s_branch .LBB536_162
.LBB536_158:
	s_mov_b64 s[0:1], -1
                                        ; implicit-def: $vgpr3
.LBB536_159:
	s_andn2_b64 vcc, exec, s[0:1]
	s_cbranch_vccnz .LBB536_161
; %bb.160:
	global_load_ushort v2, v[0:1], off
	s_movk_i32 s0, 0x7fff
	s_waitcnt vmcnt(0)
	v_cvt_f32_u32_e32 v2, v2
	v_bfe_u32 v3, v2, 16, 1
	v_add3_u32 v2, v2, v3, s0
	v_lshrrev_b32_e32 v3, 16, v2
.LBB536_161:
	s_mov_b64 s[0:1], 0
.LBB536_162:
	s_andn2_b64 vcc, exec, s[0:1]
	s_cbranch_vccnz .LBB536_170
; %bb.163:
	global_load_ubyte v2, v[0:1], off
	s_movk_i32 s0, 0x7f
	s_waitcnt vmcnt(0)
	v_cmp_lt_i16_e32 vcc, s0, v2
	s_mov_b64 s[0:1], 0
	s_and_saveexec_b64 s[14:15], vcc
	s_xor_b64 s[14:15], exec, s[14:15]
	s_cbranch_execz .LBB536_183
; %bb.164:
	s_movk_i32 s0, 0x80
	v_cmp_eq_u16_e32 vcc, s0, v2
	s_mov_b64 s[0:1], -1
	s_and_saveexec_b64 s[20:21], vcc
; %bb.165:
	s_xor_b64 s[0:1], exec, -1
; %bb.166:
	s_or_b64 exec, exec, s[20:21]
	s_and_b64 s[0:1], s[0:1], exec
	s_or_saveexec_b64 s[14:15], s[14:15]
	v_mov_b32_e32 v3, 0x7f800001
	s_xor_b64 exec, exec, s[14:15]
	s_cbranch_execnz .LBB536_184
.LBB536_167:
	s_or_b64 exec, exec, s[14:15]
	s_and_saveexec_b64 s[14:15], s[0:1]
	s_cbranch_execz .LBB536_169
.LBB536_168:
	v_lshlrev_b32_e32 v3, 24, v2
	v_and_b32_e32 v2, 0xffff, v2
	v_and_b32_e32 v5, 7, v2
	v_ffbh_u32_e32 v7, v5
	v_min_u32_e32 v7, 32, v7
	v_subrev_u32_e32 v8, 28, v7
	v_bfe_u32 v6, v2, 3, 4
	v_lshlrev_b32_e32 v2, v8, v2
	v_sub_u32_e32 v7, 29, v7
	v_and_b32_e32 v2, 7, v2
	v_cmp_eq_u32_e32 vcc, 0, v6
	v_and_b32_e32 v3, 0x80000000, v3
	s_nop 0
	v_cndmask_b32_e32 v6, v6, v7, vcc
	v_cndmask_b32_e32 v2, v5, v2, vcc
	v_mov_b32_e32 v5, 0x3b800000
	v_lshlrev_b32_e32 v2, 20, v2
	v_lshl_add_u32 v5, v6, 23, v5
	v_or3_b32 v3, v3, v5, v2
.LBB536_169:
	s_or_b64 exec, exec, s[14:15]
	v_bfe_u32 v2, v3, 16, 1
	s_movk_i32 s0, 0x7fff
	v_add3_u32 v2, v3, v2, s0
	v_cmp_o_f32_e32 vcc, v3, v3
	v_mov_b32_e32 v3, 0x7fc0
	s_nop 0
	v_cndmask_b32_sdwa v3, v3, v2, vcc dst_sel:DWORD dst_unused:UNUSED_PAD src0_sel:DWORD src1_sel:WORD_1
.LBB536_170:
	s_mov_b64 s[0:1], -1
.LBB536_171:
	s_branch .LBB536_206
.LBB536_172:
	s_cmp_gt_i32 s24, 22
	s_cbranch_scc0 .LBB536_182
; %bb.173:
	s_cmp_lt_i32 s24, 24
	s_cbranch_scc1 .LBB536_185
; %bb.174:
	s_cmp_gt_i32 s24, 24
	s_cbranch_scc0 .LBB536_186
; %bb.175:
	global_load_ubyte v2, v[0:1], off
	s_movk_i32 s0, 0x7f
	s_waitcnt vmcnt(0)
	v_cmp_lt_i16_e32 vcc, s0, v2
	s_mov_b64 s[0:1], 0
	s_and_saveexec_b64 s[14:15], vcc
	s_xor_b64 s[14:15], exec, s[14:15]
	s_cbranch_execz .LBB536_198
; %bb.176:
	s_movk_i32 s0, 0x80
	v_cmp_eq_u16_e32 vcc, s0, v2
	s_mov_b64 s[0:1], -1
	s_and_saveexec_b64 s[20:21], vcc
; %bb.177:
	s_xor_b64 s[0:1], exec, -1
; %bb.178:
	s_or_b64 exec, exec, s[20:21]
	s_and_b64 s[0:1], s[0:1], exec
	s_or_saveexec_b64 s[14:15], s[14:15]
	v_mov_b32_e32 v3, 0x7f800001
	s_xor_b64 exec, exec, s[14:15]
	s_cbranch_execnz .LBB536_199
.LBB536_179:
	s_or_b64 exec, exec, s[14:15]
	s_and_saveexec_b64 s[14:15], s[0:1]
	s_cbranch_execz .LBB536_181
.LBB536_180:
	v_lshlrev_b32_e32 v3, 24, v2
	v_and_b32_e32 v2, 0xffff, v2
	v_and_b32_e32 v5, 3, v2
	v_ffbh_u32_e32 v7, v5
	v_min_u32_e32 v7, 32, v7
	v_subrev_u32_e32 v8, 29, v7
	v_bfe_u32 v6, v2, 2, 5
	v_lshlrev_b32_e32 v2, v8, v2
	v_sub_u32_e32 v7, 30, v7
	v_and_b32_e32 v2, 3, v2
	v_cmp_eq_u32_e32 vcc, 0, v6
	v_and_b32_e32 v3, 0x80000000, v3
	s_nop 0
	v_cndmask_b32_e32 v6, v6, v7, vcc
	v_cndmask_b32_e32 v2, v5, v2, vcc
	v_mov_b32_e32 v5, 0x37800000
	v_lshlrev_b32_e32 v2, 21, v2
	v_lshl_add_u32 v5, v6, 23, v5
	v_or3_b32 v3, v3, v5, v2
.LBB536_181:
	s_or_b64 exec, exec, s[14:15]
	v_bfe_u32 v2, v3, 16, 1
	s_movk_i32 s0, 0x7fff
	v_add3_u32 v2, v3, v2, s0
	v_cmp_o_f32_e32 vcc, v3, v3
	v_mov_b32_e32 v3, 0x7fc0
	s_mov_b64 s[0:1], 0
	v_cndmask_b32_sdwa v3, v3, v2, vcc dst_sel:DWORD dst_unused:UNUSED_PAD src0_sel:DWORD src1_sel:WORD_1
	s_branch .LBB536_187
.LBB536_182:
	s_mov_b64 s[14:15], -1
                                        ; implicit-def: $vgpr3
	s_branch .LBB536_193
.LBB536_183:
	s_or_saveexec_b64 s[14:15], s[14:15]
	v_mov_b32_e32 v3, 0x7f800001
	s_xor_b64 exec, exec, s[14:15]
	s_cbranch_execz .LBB536_167
.LBB536_184:
	v_cmp_ne_u16_e32 vcc, 0, v2
	s_andn2_b64 s[0:1], s[0:1], exec
	s_and_b64 s[20:21], vcc, exec
	v_mov_b32_e32 v3, 0
	s_or_b64 s[0:1], s[0:1], s[20:21]
	s_or_b64 exec, exec, s[14:15]
	s_and_saveexec_b64 s[14:15], s[0:1]
	s_cbranch_execnz .LBB536_168
	s_branch .LBB536_169
.LBB536_185:
	s_mov_b64 s[0:1], -1
                                        ; implicit-def: $vgpr3
	s_branch .LBB536_190
.LBB536_186:
	s_mov_b64 s[0:1], -1
                                        ; implicit-def: $vgpr3
.LBB536_187:
	s_and_b64 vcc, exec, s[0:1]
	s_cbranch_vccz .LBB536_189
; %bb.188:
	global_load_ubyte v2, v[0:1], off
	s_mov_b32 s0, 0x7f800000
	s_brev_b32 s1, 1
	s_movk_i32 s14, 0x7fff
	s_waitcnt vmcnt(0)
	v_lshlrev_b32_e32 v2, 24, v2
	v_and_b32_e32 v3, 0x7f000000, v2
	v_ffbh_u32_e32 v5, v3
	v_min_u32_e32 v5, 32, v5
	v_sub_u32_e64 v5, v5, 4 clamp
	v_lshlrev_b32_e32 v7, v5, v3
	v_lshlrev_b32_e32 v5, 23, v5
	v_lshrrev_b32_e32 v7, 4, v7
	v_add_u32_e32 v6, 0x1000000, v3
	v_sub_u32_e32 v5, v7, v5
	v_ashrrev_i32_e32 v6, 8, v6
	v_add_u32_e32 v5, 0x3c000000, v5
	v_and_or_b32 v5, v6, s0, v5
	v_cmp_ne_u32_e32 vcc, 0, v3
	s_nop 1
	v_cndmask_b32_e32 v3, 0, v5, vcc
	v_and_or_b32 v2, v2, s1, v3
	v_bfe_u32 v3, v3, 16, 1
	v_add3_u32 v3, v2, v3, s14
	v_cmp_o_f32_e32 vcc, v2, v2
	v_mov_b32_e32 v2, 0x7fc0
	s_nop 0
	v_cndmask_b32_sdwa v3, v2, v3, vcc dst_sel:DWORD dst_unused:UNUSED_PAD src0_sel:DWORD src1_sel:WORD_1
.LBB536_189:
	s_mov_b64 s[0:1], 0
.LBB536_190:
	s_andn2_b64 vcc, exec, s[0:1]
	s_cbranch_vccnz .LBB536_192
; %bb.191:
	global_load_ubyte v2, v[0:1], off
	s_movk_i32 s0, 0x7f00
	s_brev_b32 s1, 16
	s_brev_b32 s14, 1
	s_movk_i32 s15, 0x7fff
	s_waitcnt vmcnt(0)
	v_lshlrev_b16_e32 v3, 8, v2
	v_lshlrev_b32_e32 v2, 25, v2
	v_lshrrev_b32_e32 v5, 4, v2
	v_and_or_b32 v6, v3, s0, 0.5
	v_or_b32_e32 v5, 0x70000000, v5
	v_add_f32_e32 v6, -0.5, v6
	v_mul_f32_e32 v5, 0x7800000, v5
	v_cmp_gt_u32_e32 vcc, s1, v2
	v_bfe_i32 v3, v3, 0, 16
	s_nop 0
	v_cndmask_b32_e32 v2, v5, v6, vcc
	v_and_or_b32 v3, v3, s14, v2
	v_bfe_u32 v2, v2, 16, 1
	v_add3_u32 v2, v3, v2, s15
	v_cmp_o_f32_e32 vcc, v3, v3
	v_mov_b32_e32 v3, 0x7fc0
	s_nop 0
	v_cndmask_b32_sdwa v3, v3, v2, vcc dst_sel:DWORD dst_unused:UNUSED_PAD src0_sel:DWORD src1_sel:WORD_1
.LBB536_192:
	s_mov_b64 s[14:15], 0
	s_mov_b64 s[0:1], -1
.LBB536_193:
	s_andn2_b64 vcc, exec, s[14:15]
	s_cbranch_vccnz .LBB536_206
; %bb.194:
	s_cmp_gt_i32 s24, 14
	s_cbranch_scc0 .LBB536_197
; %bb.195:
	s_cmp_eq_u32 s24, 15
	s_cbranch_scc0 .LBB536_200
; %bb.196:
	global_load_ushort v3, v[0:1], off
	s_mov_b64 s[0:1], -1
	s_mov_b64 s[16:17], 0
	s_branch .LBB536_201
.LBB536_197:
	s_mov_b64 s[14:15], -1
                                        ; implicit-def: $vgpr3
	s_branch .LBB536_202
.LBB536_198:
	s_or_saveexec_b64 s[14:15], s[14:15]
	v_mov_b32_e32 v3, 0x7f800001
	s_xor_b64 exec, exec, s[14:15]
	s_cbranch_execz .LBB536_179
.LBB536_199:
	v_cmp_ne_u16_e32 vcc, 0, v2
	s_andn2_b64 s[0:1], s[0:1], exec
	s_and_b64 s[20:21], vcc, exec
	v_mov_b32_e32 v3, 0
	s_or_b64 s[0:1], s[0:1], s[20:21]
	s_or_b64 exec, exec, s[14:15]
	s_and_saveexec_b64 s[14:15], s[0:1]
	s_cbranch_execnz .LBB536_180
	s_branch .LBB536_181
.LBB536_200:
	s_mov_b64 s[16:17], -1
                                        ; implicit-def: $vgpr3
.LBB536_201:
	s_mov_b64 s[14:15], 0
.LBB536_202:
	s_and_b64 vcc, exec, s[14:15]
	s_cbranch_vccz .LBB536_206
; %bb.203:
	s_cmp_eq_u32 s24, 11
	s_cbranch_scc0 .LBB536_205
; %bb.204:
	global_load_ubyte v2, v[0:1], off
	s_mov_b64 s[0:1], -1
	s_mov_b64 s[16:17], 0
	s_waitcnt vmcnt(0)
	v_cmp_ne_u16_e32 vcc, 0, v2
	s_nop 1
	v_cndmask_b32_e64 v2, 0, 1.0, vcc
	v_lshrrev_b32_e32 v3, 16, v2
	s_branch .LBB536_206
.LBB536_205:
	s_mov_b64 s[16:17], -1
                                        ; implicit-def: $vgpr3
.LBB536_206:
	s_branch .LBB536_10
.LBB536_207:
	s_cmp_lt_i32 s24, 5
	s_cbranch_scc1 .LBB536_212
; %bb.208:
	s_cmp_lt_i32 s24, 8
	s_cbranch_scc1 .LBB536_213
; %bb.209:
	;; [unrolled: 3-line block ×3, first 2 shown]
	s_cmp_gt_i32 s24, 9
	s_cbranch_scc0 .LBB536_215
; %bb.211:
	global_load_dwordx2 v[2:3], v[0:1], off
	s_movk_i32 s0, 0x7fff
	v_mov_b32_e32 v5, 0x7fc0
	s_waitcnt vmcnt(0)
	v_cvt_f32_f64_e32 v2, v[2:3]
	v_bfe_u32 v3, v2, 16, 1
	v_cmp_o_f32_e32 vcc, v2, v2
	v_add3_u32 v2, v2, v3, s0
	s_mov_b64 s[0:1], 0
	v_cndmask_b32_sdwa v3, v5, v2, vcc dst_sel:DWORD dst_unused:UNUSED_PAD src0_sel:DWORD src1_sel:WORD_1
	s_branch .LBB536_216
.LBB536_212:
                                        ; implicit-def: $vgpr3
	s_branch .LBB536_234
.LBB536_213:
	s_mov_b64 s[0:1], -1
                                        ; implicit-def: $vgpr3
	s_branch .LBB536_222
.LBB536_214:
	s_mov_b64 s[0:1], -1
                                        ; implicit-def: $vgpr3
	s_branch .LBB536_219
.LBB536_215:
	s_mov_b64 s[0:1], -1
                                        ; implicit-def: $vgpr3
.LBB536_216:
	s_andn2_b64 vcc, exec, s[0:1]
	s_cbranch_vccnz .LBB536_218
; %bb.217:
	global_load_dword v2, v[0:1], off
	s_movk_i32 s0, 0x7fff
	s_waitcnt vmcnt(1)
	v_mov_b32_e32 v3, 0x7fc0
	s_waitcnt vmcnt(0)
	v_bfe_u32 v5, v2, 16, 1
	v_cmp_o_f32_e32 vcc, v2, v2
	v_add3_u32 v2, v2, v5, s0
	s_nop 0
	v_cndmask_b32_sdwa v3, v3, v2, vcc dst_sel:DWORD dst_unused:UNUSED_PAD src0_sel:DWORD src1_sel:WORD_1
.LBB536_218:
	s_mov_b64 s[0:1], 0
.LBB536_219:
	s_andn2_b64 vcc, exec, s[0:1]
	s_cbranch_vccnz .LBB536_221
; %bb.220:
	global_load_dword v2, v[0:1], off
	s_movk_i32 s0, 0x7fff
	v_mov_b32_e32 v5, 0x7fc0
	s_waitcnt vmcnt(0)
	v_cvt_f32_f16_e32 v3, v2
	v_cmp_o_f16_e32 vcc, v2, v2
	v_bfe_u32 v2, v3, 16, 1
	v_add3_u32 v2, v3, v2, s0
	v_cndmask_b32_sdwa v3, v5, v2, vcc dst_sel:DWORD dst_unused:UNUSED_PAD src0_sel:DWORD src1_sel:WORD_1
.LBB536_221:
	s_mov_b64 s[0:1], 0
.LBB536_222:
	s_andn2_b64 vcc, exec, s[0:1]
	s_cbranch_vccnz .LBB536_233
; %bb.223:
	s_cmp_lt_i32 s24, 6
	s_cbranch_scc1 .LBB536_226
; %bb.224:
	s_cmp_gt_i32 s24, 6
	s_cbranch_scc0 .LBB536_227
; %bb.225:
	global_load_dwordx2 v[2:3], v[0:1], off
	s_movk_i32 s0, 0x7fff
	v_mov_b32_e32 v5, 0x7fc0
	s_waitcnt vmcnt(0)
	v_cvt_f32_f64_e32 v2, v[2:3]
	v_bfe_u32 v3, v2, 16, 1
	v_cmp_o_f32_e32 vcc, v2, v2
	v_add3_u32 v2, v2, v3, s0
	s_mov_b64 s[0:1], 0
	v_cndmask_b32_sdwa v3, v5, v2, vcc dst_sel:DWORD dst_unused:UNUSED_PAD src0_sel:DWORD src1_sel:WORD_1
	s_branch .LBB536_228
.LBB536_226:
	s_mov_b64 s[0:1], -1
                                        ; implicit-def: $vgpr3
	s_branch .LBB536_231
.LBB536_227:
	s_mov_b64 s[0:1], -1
                                        ; implicit-def: $vgpr3
.LBB536_228:
	s_andn2_b64 vcc, exec, s[0:1]
	s_cbranch_vccnz .LBB536_230
; %bb.229:
	global_load_dword v2, v[0:1], off
	s_movk_i32 s0, 0x7fff
	s_waitcnt vmcnt(1)
	v_mov_b32_e32 v3, 0x7fc0
	s_waitcnt vmcnt(0)
	v_bfe_u32 v5, v2, 16, 1
	v_cmp_o_f32_e32 vcc, v2, v2
	v_add3_u32 v2, v2, v5, s0
	s_nop 0
	v_cndmask_b32_sdwa v3, v3, v2, vcc dst_sel:DWORD dst_unused:UNUSED_PAD src0_sel:DWORD src1_sel:WORD_1
.LBB536_230:
	s_mov_b64 s[0:1], 0
.LBB536_231:
	s_andn2_b64 vcc, exec, s[0:1]
	s_cbranch_vccnz .LBB536_233
; %bb.232:
	global_load_ushort v2, v[0:1], off
	s_movk_i32 s0, 0x7fff
	v_mov_b32_e32 v5, 0x7fc0
	s_waitcnt vmcnt(0)
	v_cvt_f32_f16_e32 v3, v2
	v_cmp_o_f16_e32 vcc, v2, v2
	v_bfe_u32 v2, v3, 16, 1
	v_add3_u32 v2, v3, v2, s0
	v_cndmask_b32_sdwa v3, v5, v2, vcc dst_sel:DWORD dst_unused:UNUSED_PAD src0_sel:DWORD src1_sel:WORD_1
.LBB536_233:
	s_cbranch_execnz .LBB536_253
.LBB536_234:
	s_cmp_lt_i32 s24, 2
	s_cbranch_scc1 .LBB536_238
; %bb.235:
	s_cmp_lt_i32 s24, 3
	s_cbranch_scc1 .LBB536_239
; %bb.236:
	s_cmp_gt_i32 s24, 3
	s_cbranch_scc0 .LBB536_240
; %bb.237:
	global_load_dwordx2 v[2:3], v[0:1], off
	s_movk_i32 s0, 0x7fff
	s_waitcnt vmcnt(0)
	v_xor_b32_e32 v6, v2, v3
	v_ffbh_i32_e32 v5, v3
	v_ashrrev_i32_e32 v6, 31, v6
	v_add_u32_e32 v5, -1, v5
	v_add_u32_e32 v6, 32, v6
	v_min_u32_e32 v5, v5, v6
	v_lshlrev_b64 v[2:3], v5, v[2:3]
	v_min_u32_e32 v2, 1, v2
	v_or_b32_e32 v2, v3, v2
	v_cvt_f32_i32_e32 v2, v2
	v_sub_u32_e32 v3, 32, v5
	v_ldexp_f32 v2, v2, v3
	v_bfe_u32 v3, v2, 16, 1
	v_add3_u32 v2, v2, v3, s0
	v_lshrrev_b32_e32 v3, 16, v2
	s_mov_b64 s[0:1], 0
	s_branch .LBB536_241
.LBB536_238:
	s_mov_b64 s[0:1], -1
                                        ; implicit-def: $vgpr3
	s_branch .LBB536_247
.LBB536_239:
	s_mov_b64 s[0:1], -1
                                        ; implicit-def: $vgpr3
	s_branch .LBB536_244
.LBB536_240:
	s_mov_b64 s[0:1], -1
                                        ; implicit-def: $vgpr3
.LBB536_241:
	s_andn2_b64 vcc, exec, s[0:1]
	s_cbranch_vccnz .LBB536_243
; %bb.242:
	global_load_dword v2, v[0:1], off
	s_movk_i32 s0, 0x7fff
	s_waitcnt vmcnt(0)
	v_cvt_f32_i32_e32 v2, v2
	v_bfe_u32 v3, v2, 16, 1
	v_add3_u32 v2, v2, v3, s0
	v_lshrrev_b32_e32 v3, 16, v2
.LBB536_243:
	s_mov_b64 s[0:1], 0
.LBB536_244:
	s_andn2_b64 vcc, exec, s[0:1]
	s_cbranch_vccnz .LBB536_246
; %bb.245:
	global_load_sshort v2, v[0:1], off
	s_movk_i32 s0, 0x7fff
	s_waitcnt vmcnt(0)
	v_cvt_f32_i32_e32 v2, v2
	v_bfe_u32 v3, v2, 16, 1
	v_add3_u32 v2, v2, v3, s0
	v_lshrrev_b32_e32 v3, 16, v2
.LBB536_246:
	s_mov_b64 s[0:1], 0
.LBB536_247:
	s_andn2_b64 vcc, exec, s[0:1]
	s_cbranch_vccnz .LBB536_253
; %bb.248:
	s_cmp_gt_i32 s24, 0
	s_cbranch_scc0 .LBB536_250
; %bb.249:
	global_load_sbyte v2, v[0:1], off
	s_movk_i32 s0, 0x7fff
	s_waitcnt vmcnt(0)
	v_cvt_f32_i32_e32 v2, v2
	v_bfe_u32 v3, v2, 16, 1
	v_add3_u32 v2, v2, v3, s0
	v_lshrrev_b32_e32 v3, 16, v2
	s_mov_b64 s[0:1], 0
	s_branch .LBB536_251
.LBB536_250:
	s_mov_b64 s[0:1], -1
                                        ; implicit-def: $vgpr3
.LBB536_251:
	s_andn2_b64 vcc, exec, s[0:1]
	s_cbranch_vccnz .LBB536_253
; %bb.252:
	global_load_ubyte v0, v[0:1], off
	s_movk_i32 s0, 0x7fff
	s_waitcnt vmcnt(0)
	v_cvt_f32_ubyte0_e32 v0, v0
	v_bfe_u32 v1, v0, 16, 1
	v_add3_u32 v0, v0, v1, s0
	v_lshrrev_b32_e32 v3, 16, v0
.LBB536_253:
	s_branch .LBB536_11
.LBB536_254:
	s_mov_b64 s[0:1], 0
                                        ; implicit-def: $vgpr4
	s_mov_b64 s[20:21], 0
.LBB536_255:
	s_and_b64 s[14:15], s[0:1], exec
	s_and_b64 s[16:17], s[16:17], exec
	s_orn2_b64 s[20:21], s[20:21], exec
.LBB536_256:
	s_or_b64 exec, exec, s[18:19]
	s_mov_b64 s[24:25], 0
	s_mov_b64 s[0:1], 0
                                        ; implicit-def: $vgpr0_vgpr1
                                        ; implicit-def: $vgpr3
	s_and_saveexec_b64 s[18:19], s[20:21]
	s_cbranch_execz .LBB536_265
; %bb.257:
	v_cmp_gt_i32_e32 vcc, s40, v4
	s_mov_b64 s[0:1], -1
	s_mov_b64 s[20:21], s[16:17]
	s_mov_b64 s[22:23], s[14:15]
	s_and_saveexec_b64 s[24:25], vcc
	s_cbranch_execz .LBB536_521
; %bb.258:
	v_mul_lo_u32 v0, v4, s9
	v_ashrrev_i32_e32 v1, 31, v0
	s_and_b32 s28, 0xffff, s45
	s_cmp_lt_i32 s28, 11
	v_lshl_add_u64 v[0:1], s[6:7], 0, v[0:1]
	s_cbranch_scc1 .LBB536_268
; %bb.259:
	s_cmp_gt_i32 s28, 25
	s_cbranch_scc0 .LBB536_281
; %bb.260:
	s_cmp_gt_i32 s28, 28
	s_cbranch_scc0 .LBB536_283
	;; [unrolled: 3-line block ×4, first 2 shown]
; %bb.263:
	s_cmp_eq_u32 s28, 46
	s_mov_b64 s[22:23], 0
	s_cbranch_scc0 .LBB536_293
; %bb.264:
	global_load_dword v3, v[0:1], off
	s_mov_b64 s[20:21], 0
	s_branch .LBB536_294
.LBB536_265:
	s_or_b64 exec, exec, s[18:19]
	s_mov_b64 s[18:19], 0
	s_and_saveexec_b64 s[20:21], s[16:17]
	s_cbranch_execnz .LBB536_871
.LBB536_266:
	s_or_b64 exec, exec, s[20:21]
	s_and_saveexec_b64 s[16:17], s[22:23]
	s_xor_b64 s[16:17], exec, s[16:17]
	s_cbranch_execz .LBB536_872
.LBB536_267:
	global_load_ubyte v2, v[0:1], off
	s_or_b64 s[0:1], s[0:1], exec
	s_waitcnt vmcnt(0)
	v_cmp_ne_u16_e32 vcc, 0, v2
	s_nop 1
	v_cndmask_b32_e64 v2, 0, 1.0, vcc
	v_lshrrev_b32_e32 v3, 16, v2
	s_or_b64 exec, exec, s[16:17]
	s_and_saveexec_b64 s[16:17], s[24:25]
	s_cbranch_execz .LBB536_918
	s_branch .LBB536_873
.LBB536_268:
	s_mov_b64 s[0:1], 0
                                        ; implicit-def: $vgpr3
	s_mov_b64 s[20:21], s[16:17]
	s_cbranch_execnz .LBB536_471
.LBB536_269:
	s_andn2_b64 vcc, exec, s[0:1]
	s_cbranch_vccnz .LBB536_519
.LBB536_270:
	s_waitcnt vmcnt(0)
	v_lshlrev_b32_e32 v0, 16, v3
	v_cmp_o_f32_e32 vcc, v0, v0
	v_mov_b32_e32 v2, s10
	s_and_saveexec_b64 s[0:1], vcc
	s_cbranch_execz .LBB536_274
; %bb.271:
	s_mov_b32 s22, 0x7f800000
	v_cmp_neq_f32_e32 vcc, s22, v0
	v_mov_b32_e32 v2, s44
	s_and_saveexec_b64 s[22:23], vcc
; %bb.272:
	s_mov_b32 s26, 0xff800000
	v_mov_b32_e32 v1, s11
	v_cmp_eq_f32_e32 vcc, s26, v0
	s_nop 1
	v_cndmask_b32_e32 v2, v3, v1, vcc
; %bb.273:
	s_or_b64 exec, exec, s[22:23]
.LBB536_274:
	s_or_b64 exec, exec, s[0:1]
	v_mul_lo_u32 v0, v4, s8
	v_ashrrev_i32_e32 v1, 31, v0
	s_and_b32 s30, s33, 0xff
	s_cmp_lt_i32 s30, 11
	v_lshl_add_u64 v[0:1], s[4:5], 0, v[0:1]
	s_cbranch_scc1 .LBB536_282
; %bb.275:
	s_and_b32 s31, 0xffff, s30
	s_cmp_gt_i32 s31, 25
	s_cbranch_scc0 .LBB536_284
; %bb.276:
	s_cmp_gt_i32 s31, 28
	s_cbranch_scc0 .LBB536_286
; %bb.277:
	;; [unrolled: 3-line block ×4, first 2 shown]
	s_mov_b64 s[26:27], 0
	s_mov_b64 s[0:1], -1
	s_cmp_eq_u32 s31, 46
	s_mov_b64 s[22:23], 0
	s_cbranch_scc0 .LBB536_298
; %bb.280:
	v_and_b32_e32 v3, 0xffff, v2
	global_store_dword v[0:1], v3, off
	s_mov_b64 s[22:23], -1
	s_mov_b64 s[0:1], 0
	s_branch .LBB536_298
.LBB536_281:
	s_mov_b64 s[22:23], -1
	s_mov_b64 s[0:1], 0
	s_mov_b64 s[20:21], s[16:17]
                                        ; implicit-def: $vgpr3
	s_branch .LBB536_435
.LBB536_282:
	s_mov_b64 s[26:27], -1
	s_mov_b64 s[22:23], 0
	s_mov_b64 s[0:1], s[14:15]
	s_branch .LBB536_367
.LBB536_283:
	s_mov_b64 s[22:23], -1
	s_mov_b64 s[0:1], 0
	s_mov_b64 s[20:21], s[16:17]
                                        ; implicit-def: $vgpr3
	s_branch .LBB536_416
.LBB536_284:
	s_mov_b64 s[26:27], -1
	s_mov_b64 s[22:23], 0
	s_mov_b64 s[0:1], s[14:15]
	s_branch .LBB536_325
.LBB536_285:
	s_mov_b64 s[22:23], -1
	s_mov_b64 s[0:1], 0
	s_mov_b64 s[20:21], s[16:17]
                                        ; implicit-def: $vgpr3
	s_branch .LBB536_411
.LBB536_286:
	s_mov_b64 s[26:27], -1
	s_mov_b64 s[22:23], 0
	s_mov_b64 s[0:1], s[14:15]
	s_branch .LBB536_308
.LBB536_287:
	s_andn2_saveexec_b64 s[24:25], s[24:25]
	s_cbranch_execz .LBB536_59
.LBB536_288:
	s_mov_b32 s28, 0x46000000
	v_add_f32_e64 v5, |v6|, s28
	v_and_b32_e32 v5, 0xff, v5
	v_cmp_ne_u32_e32 vcc, 0, v5
	s_andn2_b64 s[20:21], s[20:21], exec
	s_and_b64 s[28:29], vcc, exec
	s_or_b64 s[20:21], s[20:21], s[28:29]
	s_or_b64 exec, exec, s[24:25]
	v_mov_b32_e32 v7, 0
	s_and_saveexec_b64 s[24:25], s[20:21]
	s_cbranch_execnz .LBB536_60
	s_branch .LBB536_61
.LBB536_289:
	s_mov_b64 s[22:23], -1
	s_mov_b64 s[0:1], 0
	s_mov_b64 s[20:21], s[16:17]
                                        ; implicit-def: $vgpr3
	s_branch .LBB536_294
.LBB536_290:
	s_mov_b64 s[26:27], -1
	s_mov_b64 s[22:23], 0
	s_mov_b64 s[0:1], s[14:15]
	s_branch .LBB536_304
.LBB536_291:
	s_andn2_saveexec_b64 s[24:25], s[24:25]
	s_cbranch_execz .LBB536_72
.LBB536_292:
	s_mov_b32 s28, 0x42800000
	v_add_f32_e64 v5, |v6|, s28
	v_and_b32_e32 v5, 0xff, v5
	v_cmp_ne_u32_e32 vcc, 0, v5
	s_andn2_b64 s[20:21], s[20:21], exec
	s_and_b64 s[28:29], vcc, exec
	s_or_b64 s[20:21], s[20:21], s[28:29]
	s_or_b64 exec, exec, s[24:25]
	v_mov_b32_e32 v7, 0
	s_and_saveexec_b64 s[24:25], s[20:21]
	s_cbranch_execnz .LBB536_73
	s_branch .LBB536_74
.LBB536_293:
	s_mov_b64 s[20:21], -1
                                        ; implicit-def: $vgpr3
	s_mov_b64 s[0:1], 0
.LBB536_294:
	s_and_b64 vcc, exec, s[22:23]
	s_cbranch_vccz .LBB536_410
; %bb.295:
	s_cmp_eq_u32 s28, 44
	s_cbranch_scc0 .LBB536_409
; %bb.296:
	global_load_ubyte v2, v[0:1], off
	s_movk_i32 s20, 0xff
	s_waitcnt vmcnt(1)
	v_mov_b32_e32 v3, 0x7f800001
	v_mov_b32_e32 v5, 0x400000
	;; [unrolled: 1-line block ×3, first 2 shown]
	s_mov_b64 s[0:1], -1
	s_waitcnt vmcnt(0)
	v_lshlrev_b32_e32 v7, 23, v2
	v_cmp_ne_u32_e32 vcc, s20, v2
	s_mov_b64 s[20:21], 0
	s_nop 0
	v_cndmask_b32_e32 v3, v3, v7, vcc
	v_cmp_ne_u32_e32 vcc, 0, v2
	s_nop 1
	v_cndmask_b32_e32 v2, v5, v3, vcc
	v_add_u32_e32 v3, 0x7fff, v2
	v_cmp_o_f32_e32 vcc, v2, v2
	s_nop 1
	v_cndmask_b32_sdwa v3, v6, v3, vcc dst_sel:DWORD dst_unused:UNUSED_PAD src0_sel:DWORD src1_sel:WORD_1
	s_branch .LBB536_410
.LBB536_297:
	s_mov_b64 s[26:27], -1
	s_mov_b64 s[22:23], 0
	s_mov_b64 s[0:1], s[14:15]
.LBB536_298:
	s_and_b64 vcc, exec, s[26:27]
	s_cbranch_vccz .LBB536_303
; %bb.299:
	s_cmp_eq_u32 s31, 44
	s_mov_b64 s[0:1], -1
	s_cbranch_scc0 .LBB536_303
; %bb.300:
	v_and_b32_e32 v5, 0xffff, v2
	v_bfe_u32 v3, v5, 7, 8
	s_movk_i32 s0, 0xff
	v_cmp_ne_u32_e32 vcc, s0, v3
	v_mov_b32_e32 v6, 0xff
	s_and_saveexec_b64 s[22:23], vcc
	s_cbranch_execz .LBB536_302
; %bb.301:
	v_lshlrev_b32_e32 v7, 16, v5
	s_mov_b32 s0, 0x3f0000
	v_lshrrev_b32_e32 v6, 7, v5
	v_and_b32_e32 v5, 64, v5
	v_and_or_b32 v3, v7, s0, v3
	v_cmp_ne_u32_e32 vcc, 0, v5
	v_cmp_ne_u32_e64 s[0:1], 0, v3
	s_and_b64 s[0:1], vcc, s[0:1]
	s_nop 0
	v_cndmask_b32_e64 v3, 0, 1, s[0:1]
	v_add_u32_e32 v6, v6, v3
.LBB536_302:
	s_or_b64 exec, exec, s[22:23]
	s_mov_b64 s[22:23], -1
	s_mov_b64 s[0:1], 0
	global_store_byte v[0:1], v6, off
.LBB536_303:
	s_mov_b64 s[26:27], 0
.LBB536_304:
	s_and_b64 vcc, exec, s[26:27]
	s_cbranch_vccz .LBB536_307
; %bb.305:
	s_cmp_eq_u32 s31, 29
	s_mov_b64 s[0:1], -1
	s_cbranch_scc0 .LBB536_307
; %bb.306:
	v_lshlrev_b32_e32 v3, 16, v2
	v_trunc_f32_e32 v3, v3
	v_mul_f32_e32 v5, 0x2f800000, v3
	v_floor_f32_e32 v5, v5
	v_fmamk_f32 v3, v5, 0xcf800000, v3
	v_cvt_u32_f32_e32 v7, v5
	v_cvt_u32_f32_e32 v6, v3
	s_mov_b64 s[22:23], -1
	s_mov_b64 s[0:1], 0
	s_mov_b64 s[26:27], 0
	global_store_dwordx2 v[0:1], v[6:7], off
	s_branch .LBB536_308
.LBB536_307:
	s_mov_b64 s[26:27], 0
.LBB536_308:
	s_and_b64 vcc, exec, s[26:27]
	s_cbranch_vccz .LBB536_324
; %bb.309:
	s_cmp_lt_i32 s31, 27
	s_mov_b64 s[22:23], -1
	s_cbranch_scc1 .LBB536_315
; %bb.310:
	s_cmp_gt_i32 s31, 27
	s_cbranch_scc0 .LBB536_312
; %bb.311:
	v_lshlrev_b32_e32 v3, 16, v2
	v_cvt_u32_f32_e32 v3, v3
	s_mov_b64 s[22:23], 0
	global_store_dword v[0:1], v3, off
.LBB536_312:
	s_andn2_b64 vcc, exec, s[22:23]
	s_cbranch_vccnz .LBB536_314
; %bb.313:
	v_lshlrev_b32_e32 v3, 16, v2
	v_cvt_u32_f32_e32 v3, v3
	global_store_short v[0:1], v3, off
.LBB536_314:
	s_mov_b64 s[22:23], 0
.LBB536_315:
	s_andn2_b64 vcc, exec, s[22:23]
	s_cbranch_vccnz .LBB536_323
; %bb.316:
	v_lshlrev_b32_e32 v6, 16, v2
	v_and_b32_e32 v5, 0x7fffffff, v6
	s_mov_b32 s22, 0x43800000
	v_cmp_gt_u32_e32 vcc, s22, v5
	v_mov_b32_e32 v7, 0x80
	s_and_saveexec_b64 s[22:23], vcc
	s_cbranch_execz .LBB536_322
; %bb.317:
	s_mov_b32 s26, 0x3bffffff
	v_and_b32_e32 v3, 0xffff, v2
	v_cmp_lt_u32_e32 vcc, s26, v5
	s_mov_b64 s[26:27], 0
                                        ; implicit-def: $vgpr5
	s_and_saveexec_b64 s[28:29], vcc
	s_xor_b64 s[28:29], exec, s[28:29]
	s_cbranch_execz .LBB536_534
; %bb.318:
	v_bfe_u32 v5, v3, 4, 1
	s_mov_b32 s34, 0x487ffff
	v_add3_u32 v5, v6, v5, s34
	s_mov_b64 s[26:27], exec
	v_lshrrev_b32_e32 v5, 20, v5
                                        ; implicit-def: $vgpr6
	s_andn2_saveexec_b64 s[28:29], s[28:29]
	s_cbranch_execnz .LBB536_535
.LBB536_319:
	s_or_b64 exec, exec, s[28:29]
	v_mov_b32_e32 v7, 0
	s_and_saveexec_b64 s[28:29], s[26:27]
.LBB536_320:
	v_lshrrev_b32_e32 v3, 8, v3
	s_movk_i32 s26, 0x80
	v_and_or_b32 v7, v3, s26, v5
.LBB536_321:
	s_or_b64 exec, exec, s[28:29]
.LBB536_322:
	s_or_b64 exec, exec, s[22:23]
	global_store_byte v[0:1], v7, off
.LBB536_323:
	s_mov_b64 s[22:23], -1
.LBB536_324:
	s_mov_b64 s[26:27], 0
.LBB536_325:
	s_and_b64 vcc, exec, s[26:27]
	s_cbranch_vccz .LBB536_366
; %bb.326:
	s_cmp_gt_i32 s31, 22
	s_mov_b64 s[26:27], -1
	s_cbranch_scc0 .LBB536_358
; %bb.327:
	s_cmp_lt_i32 s31, 24
	s_mov_b64 s[22:23], -1
	s_cbranch_scc1 .LBB536_347
; %bb.328:
	s_cmp_gt_i32 s31, 24
	s_cbranch_scc0 .LBB536_336
; %bb.329:
	v_lshlrev_b32_e32 v6, 16, v2
	v_and_b32_e32 v5, 0x7fffffff, v6
	s_mov_b32 s22, 0x47800000
	v_cmp_gt_u32_e32 vcc, s22, v5
	v_mov_b32_e32 v7, 0x80
	s_and_saveexec_b64 s[22:23], vcc
	s_cbranch_execz .LBB536_335
; %bb.330:
	s_mov_b32 s26, 0x37ffffff
	v_and_b32_e32 v3, 0xffff, v2
	v_cmp_lt_u32_e32 vcc, s26, v5
	s_mov_b64 s[26:27], 0
                                        ; implicit-def: $vgpr5
	s_and_saveexec_b64 s[28:29], vcc
	s_xor_b64 s[28:29], exec, s[28:29]
	s_cbranch_execz .LBB536_537
; %bb.331:
	v_bfe_u32 v5, v3, 5, 1
	s_mov_b32 s34, 0x88fffff
	v_add3_u32 v5, v6, v5, s34
	s_mov_b64 s[26:27], exec
	v_lshrrev_b32_e32 v5, 21, v5
                                        ; implicit-def: $vgpr6
	s_andn2_saveexec_b64 s[28:29], s[28:29]
	s_cbranch_execnz .LBB536_538
.LBB536_332:
	s_or_b64 exec, exec, s[28:29]
	v_mov_b32_e32 v7, 0
	s_and_saveexec_b64 s[28:29], s[26:27]
.LBB536_333:
	v_lshrrev_b32_e32 v3, 8, v3
	s_movk_i32 s26, 0x80
	v_and_or_b32 v7, v3, s26, v5
.LBB536_334:
	s_or_b64 exec, exec, s[28:29]
.LBB536_335:
	s_or_b64 exec, exec, s[22:23]
	s_mov_b64 s[22:23], 0
	global_store_byte v[0:1], v7, off
.LBB536_336:
	s_and_b64 vcc, exec, s[22:23]
	s_cbranch_vccz .LBB536_346
; %bb.337:
	v_lshlrev_b32_e32 v6, 16, v2
	v_and_b32_e32 v7, 0x7fffffff, v6
	s_mov_b32 s22, 0x43f00000
	v_and_b32_e32 v3, 0xffff, v2
	v_cmp_gt_u32_e32 vcc, s22, v7
                                        ; implicit-def: $vgpr5
	s_and_saveexec_b64 s[22:23], vcc
	s_xor_b64 s[22:23], exec, s[22:23]
	s_cbranch_execz .LBB536_343
; %bb.338:
	s_mov_b32 s26, 0x3c7fffff
	v_cmp_lt_u32_e32 vcc, s26, v7
                                        ; implicit-def: $vgpr5
	s_and_saveexec_b64 s[26:27], vcc
	s_xor_b64 s[26:27], exec, s[26:27]
; %bb.339:
	v_bfe_u32 v5, v3, 4, 1
	s_mov_b32 s28, 0x407ffff
	v_add3_u32 v5, v6, v5, s28
	v_lshrrev_b32_e32 v6, 20, v5
	v_and_b32_e32 v5, 0xff00000, v5
	s_mov_b32 s28, 0x7f00000
	v_mov_b32_e32 v7, 0x7e
	v_cmp_ne_u32_e32 vcc, s28, v5
	s_nop 1
	v_cndmask_b32_e32 v5, v7, v6, vcc
                                        ; implicit-def: $vgpr6
; %bb.340:
	s_andn2_saveexec_b64 s[26:27], s[26:27]
; %bb.341:
	s_mov_b32 s28, 0x46800000
	v_add_f32_e64 v5, |v6|, s28
; %bb.342:
	s_or_b64 exec, exec, s[26:27]
                                        ; implicit-def: $vgpr7
.LBB536_343:
	s_andn2_saveexec_b64 s[22:23], s[22:23]
; %bb.344:
	s_mov_b32 s26, 0x7f800000
	v_mov_b32_e32 v5, 0x7e
	v_mov_b32_e32 v6, 0x7f
	v_cmp_lt_u32_e32 vcc, s26, v7
	s_nop 1
	v_cndmask_b32_e32 v5, v5, v6, vcc
; %bb.345:
	s_or_b64 exec, exec, s[22:23]
	v_lshrrev_b32_e32 v3, 8, v3
	s_movk_i32 s22, 0x80
	v_and_or_b32 v3, v3, s22, v5
	global_store_byte v[0:1], v3, off
.LBB536_346:
	s_mov_b64 s[22:23], 0
.LBB536_347:
	s_andn2_b64 vcc, exec, s[22:23]
	s_cbranch_vccnz .LBB536_357
; %bb.348:
	v_lshlrev_b32_e32 v6, 16, v2
	v_and_b32_e32 v7, 0x7fffffff, v6
	s_mov_b32 s22, 0x47800000
	v_and_b32_e32 v3, 0xffff, v2
	v_cmp_gt_u32_e32 vcc, s22, v7
                                        ; implicit-def: $vgpr5
	s_and_saveexec_b64 s[22:23], vcc
	s_xor_b64 s[22:23], exec, s[22:23]
	s_cbranch_execz .LBB536_354
; %bb.349:
	s_mov_b32 s26, 0x387fffff
	v_cmp_lt_u32_e32 vcc, s26, v7
                                        ; implicit-def: $vgpr5
	s_and_saveexec_b64 s[26:27], vcc
	s_xor_b64 s[26:27], exec, s[26:27]
; %bb.350:
	v_bfe_u32 v5, v3, 5, 1
	s_mov_b32 s28, 0x80fffff
	v_add3_u32 v5, v6, v5, s28
	v_lshrrev_b32_e32 v5, 21, v5
                                        ; implicit-def: $vgpr6
; %bb.351:
	s_andn2_saveexec_b64 s[26:27], s[26:27]
; %bb.352:
	s_mov_b32 s28, 0x43000000
	v_add_f32_e64 v5, |v6|, s28
; %bb.353:
	s_or_b64 exec, exec, s[26:27]
                                        ; implicit-def: $vgpr7
.LBB536_354:
	s_andn2_saveexec_b64 s[22:23], s[22:23]
; %bb.355:
	s_mov_b32 s26, 0x7f800000
	v_mov_b32_e32 v5, 0x7c
	v_mov_b32_e32 v6, 0x7f
	v_cmp_lt_u32_e32 vcc, s26, v7
	s_nop 1
	v_cndmask_b32_e32 v5, v5, v6, vcc
; %bb.356:
	s_or_b64 exec, exec, s[22:23]
	v_lshrrev_b32_e32 v3, 8, v3
	s_movk_i32 s22, 0x80
	v_and_or_b32 v3, v3, s22, v5
	global_store_byte v[0:1], v3, off
.LBB536_357:
	s_mov_b64 s[26:27], 0
	s_mov_b64 s[22:23], -1
.LBB536_358:
	s_andn2_b64 vcc, exec, s[26:27]
	s_cbranch_vccnz .LBB536_366
; %bb.359:
	s_cmp_gt_i32 s31, 14
	s_mov_b64 s[26:27], -1
	s_cbranch_scc0 .LBB536_363
; %bb.360:
	s_cmp_eq_u32 s31, 15
	s_mov_b64 s[0:1], -1
	s_cbranch_scc0 .LBB536_362
; %bb.361:
	global_store_short v[0:1], v2, off
	s_mov_b64 s[22:23], -1
	s_mov_b64 s[0:1], 0
.LBB536_362:
	s_mov_b64 s[26:27], 0
.LBB536_363:
	s_and_b64 vcc, exec, s[26:27]
	s_cbranch_vccz .LBB536_366
; %bb.364:
	s_cmp_eq_u32 s31, 11
	s_mov_b64 s[0:1], -1
	s_cbranch_scc0 .LBB536_366
; %bb.365:
	v_and_b32_e32 v3, 0x7fff, v2
	v_cmp_ne_u16_e32 vcc, 0, v3
	s_mov_b64 s[22:23], -1
	s_mov_b64 s[0:1], 0
	v_cndmask_b32_e64 v3, 0, 1, vcc
	global_store_byte v[0:1], v3, off
.LBB536_366:
	s_mov_b64 s[26:27], 0
.LBB536_367:
	s_and_b64 vcc, exec, s[26:27]
	s_cbranch_vccz .LBB536_406
; %bb.368:
	s_and_b32 s26, 0xffff, s30
	s_cmp_lt_i32 s26, 5
	s_mov_b64 s[22:23], -1
	s_cbranch_scc1 .LBB536_389
; %bb.369:
	s_cmp_lt_i32 s26, 8
	s_cbranch_scc1 .LBB536_379
; %bb.370:
	s_cmp_lt_i32 s26, 9
	s_cbranch_scc1 .LBB536_376
; %bb.371:
	s_cmp_gt_i32 s26, 9
	s_cbranch_scc0 .LBB536_373
; %bb.372:
	v_lshlrev_b32_e32 v3, 16, v2
	v_mov_b32_e32 v8, 0
	v_cvt_f64_f32_e32 v[6:7], v3
	v_mov_b32_e32 v9, v8
	s_mov_b64 s[22:23], 0
	global_store_dwordx4 v[0:1], v[6:9], off
.LBB536_373:
	s_andn2_b64 vcc, exec, s[22:23]
	s_cbranch_vccnz .LBB536_375
; %bb.374:
	v_lshlrev_b32_e32 v6, 16, v2
	v_mov_b32_e32 v7, 0
	global_store_dwordx2 v[0:1], v[6:7], off
.LBB536_375:
	s_mov_b64 s[22:23], 0
.LBB536_376:
	s_andn2_b64 vcc, exec, s[22:23]
	s_cbranch_vccnz .LBB536_378
; %bb.377:
	v_lshlrev_b32_e32 v3, 16, v2
	v_cvt_f16_f32_e32 v3, v3
	global_store_dword v[0:1], v3, off
.LBB536_378:
	s_mov_b64 s[22:23], 0
.LBB536_379:
	s_andn2_b64 vcc, exec, s[22:23]
	s_cbranch_vccnz .LBB536_388
; %bb.380:
	s_cmp_lt_i32 s26, 6
	s_mov_b64 s[22:23], -1
	s_cbranch_scc1 .LBB536_386
; %bb.381:
	s_cmp_gt_i32 s26, 6
	s_cbranch_scc0 .LBB536_383
; %bb.382:
	v_lshlrev_b32_e32 v3, 16, v2
	v_cvt_f64_f32_e32 v[6:7], v3
	s_mov_b64 s[22:23], 0
	global_store_dwordx2 v[0:1], v[6:7], off
.LBB536_383:
	s_andn2_b64 vcc, exec, s[22:23]
	s_cbranch_vccnz .LBB536_385
; %bb.384:
	v_lshlrev_b32_e32 v3, 16, v2
	global_store_dword v[0:1], v3, off
.LBB536_385:
	s_mov_b64 s[22:23], 0
.LBB536_386:
	s_andn2_b64 vcc, exec, s[22:23]
	s_cbranch_vccnz .LBB536_388
; %bb.387:
	v_lshlrev_b32_e32 v3, 16, v2
	v_cvt_f16_f32_e32 v3, v3
	global_store_short v[0:1], v3, off
.LBB536_388:
	s_mov_b64 s[22:23], 0
.LBB536_389:
	s_andn2_b64 vcc, exec, s[22:23]
	s_cbranch_vccnz .LBB536_405
; %bb.390:
	s_cmp_lt_i32 s26, 2
	s_mov_b64 s[22:23], -1
	s_cbranch_scc1 .LBB536_400
; %bb.391:
	s_cmp_lt_i32 s26, 3
	s_cbranch_scc1 .LBB536_397
; %bb.392:
	s_cmp_gt_i32 s26, 3
	s_cbranch_scc0 .LBB536_394
; %bb.393:
	v_lshlrev_b32_e32 v3, 16, v2
	v_trunc_f32_e32 v3, v3
	s_mov_b32 s22, 0x2f800000
	v_mul_f32_e64 v5, |v3|, s22
	v_floor_f32_e32 v5, v5
	s_mov_b32 s22, 0xcf800000
	v_cvt_u32_f32_e32 v6, v5
	v_fma_f32 v5, v5, s22, |v3|
	v_cvt_u32_f32_e32 v5, v5
	v_ashrrev_i32_e32 v3, 31, v3
	v_xor_b32_e32 v7, v6, v3
	s_mov_b64 s[22:23], 0
	v_xor_b32_e32 v5, v5, v3
	v_sub_co_u32_e32 v6, vcc, v5, v3
	s_nop 1
	v_subb_co_u32_e32 v7, vcc, v7, v3, vcc
	global_store_dwordx2 v[0:1], v[6:7], off
.LBB536_394:
	s_andn2_b64 vcc, exec, s[22:23]
	s_cbranch_vccnz .LBB536_396
; %bb.395:
	v_lshlrev_b32_e32 v3, 16, v2
	v_cvt_i32_f32_e32 v3, v3
	global_store_dword v[0:1], v3, off
.LBB536_396:
	s_mov_b64 s[22:23], 0
.LBB536_397:
	s_andn2_b64 vcc, exec, s[22:23]
	s_cbranch_vccnz .LBB536_399
; %bb.398:
	v_lshlrev_b32_e32 v3, 16, v2
	v_cvt_i32_f32_e32 v3, v3
	global_store_short v[0:1], v3, off
.LBB536_399:
	s_mov_b64 s[22:23], 0
.LBB536_400:
	s_andn2_b64 vcc, exec, s[22:23]
	s_cbranch_vccnz .LBB536_405
; %bb.401:
	s_mov_b64 s[22:23], -1
	s_cmp_gt_i32 s26, 0
	v_lshlrev_b32_e32 v2, 16, v2
	s_cbranch_scc0 .LBB536_403
; %bb.402:
	v_cvt_i32_f32_e32 v3, v2
	s_mov_b64 s[22:23], 0
	global_store_byte v[0:1], v3, off
.LBB536_403:
	s_andn2_b64 vcc, exec, s[22:23]
	s_cbranch_vccnz .LBB536_405
; %bb.404:
	v_trunc_f32_e32 v2, v2
	s_mov_b32 s22, 0x2f800000
	v_mul_f32_e64 v3, |v2|, s22
	v_floor_f32_e32 v3, v3
	s_mov_b32 s22, 0xcf800000
	v_fma_f32 v3, v3, s22, |v2|
	v_cvt_u32_f32_e32 v3, v3
	v_ashrrev_i32_e32 v2, 31, v2
	v_xor_b32_e32 v3, v3, v2
	v_sub_u32_e32 v2, v3, v2
	global_store_byte v[0:1], v2, off
.LBB536_405:
	s_mov_b64 s[22:23], -1
.LBB536_406:
	s_andn2_b64 vcc, exec, s[22:23]
	s_cbranch_vccnz .LBB536_408
; %bb.407:
	v_add_u32_e32 v4, 0x80, v4
	s_mov_b64 s[26:27], -1
	s_branch .LBB536_520
.LBB536_408:
	s_mov_b64 s[26:27], 0
                                        ; implicit-def: $vgpr4
	s_branch .LBB536_520
.LBB536_409:
	s_mov_b64 s[20:21], -1
                                        ; implicit-def: $vgpr3
.LBB536_410:
	s_mov_b64 s[22:23], 0
.LBB536_411:
	s_and_b64 vcc, exec, s[22:23]
	s_cbranch_vccz .LBB536_415
; %bb.412:
	s_cmp_eq_u32 s28, 29
	s_cbranch_scc0 .LBB536_414
; %bb.413:
	global_load_dwordx2 v[2:3], v[0:1], off
	s_movk_i32 s20, 0x7fff
	s_mov_b64 s[0:1], -1
	s_mov_b64 s[22:23], 0
	s_waitcnt vmcnt(0)
	v_ffbh_u32_e32 v5, v3
	v_min_u32_e32 v5, 32, v5
	v_lshlrev_b64 v[2:3], v5, v[2:3]
	v_min_u32_e32 v2, 1, v2
	v_or_b32_e32 v2, v3, v2
	v_cvt_f32_u32_e32 v2, v2
	v_sub_u32_e32 v3, 32, v5
	v_ldexp_f32 v2, v2, v3
	v_bfe_u32 v3, v2, 16, 1
	v_add3_u32 v2, v2, v3, s20
	v_lshrrev_b32_e32 v3, 16, v2
	s_mov_b64 s[20:21], 0
	s_branch .LBB536_416
.LBB536_414:
	s_mov_b64 s[20:21], -1
                                        ; implicit-def: $vgpr3
.LBB536_415:
	s_mov_b64 s[22:23], 0
.LBB536_416:
	s_and_b64 vcc, exec, s[22:23]
	s_cbranch_vccz .LBB536_434
; %bb.417:
	s_cmp_lt_i32 s28, 27
	s_cbranch_scc1 .LBB536_420
; %bb.418:
	s_cmp_gt_i32 s28, 27
	s_cbranch_scc0 .LBB536_421
; %bb.419:
	global_load_dword v2, v[0:1], off
	s_movk_i32 s0, 0x7fff
	s_waitcnt vmcnt(0)
	v_cvt_f32_u32_e32 v2, v2
	v_bfe_u32 v3, v2, 16, 1
	v_add3_u32 v2, v2, v3, s0
	v_lshrrev_b32_e32 v3, 16, v2
	s_mov_b64 s[0:1], 0
	s_branch .LBB536_422
.LBB536_420:
	s_mov_b64 s[0:1], -1
                                        ; implicit-def: $vgpr3
	s_branch .LBB536_425
.LBB536_421:
	s_mov_b64 s[0:1], -1
                                        ; implicit-def: $vgpr3
.LBB536_422:
	s_andn2_b64 vcc, exec, s[0:1]
	s_cbranch_vccnz .LBB536_424
; %bb.423:
	global_load_ushort v2, v[0:1], off
	s_movk_i32 s0, 0x7fff
	s_waitcnt vmcnt(0)
	v_cvt_f32_u32_e32 v2, v2
	v_bfe_u32 v3, v2, 16, 1
	v_add3_u32 v2, v2, v3, s0
	v_lshrrev_b32_e32 v3, 16, v2
.LBB536_424:
	s_mov_b64 s[0:1], 0
.LBB536_425:
	s_andn2_b64 vcc, exec, s[0:1]
	s_cbranch_vccnz .LBB536_433
; %bb.426:
	global_load_ubyte v2, v[0:1], off
	s_movk_i32 s0, 0x7f
	s_waitcnt vmcnt(0)
	v_cmp_lt_i16_e32 vcc, s0, v2
	s_mov_b64 s[0:1], 0
	s_and_saveexec_b64 s[22:23], vcc
	s_xor_b64 s[22:23], exec, s[22:23]
	s_cbranch_execz .LBB536_447
; %bb.427:
	s_movk_i32 s0, 0x80
	v_cmp_eq_u16_e32 vcc, s0, v2
	s_mov_b64 s[0:1], -1
	s_and_saveexec_b64 s[26:27], vcc
; %bb.428:
	s_xor_b64 s[0:1], exec, -1
; %bb.429:
	s_or_b64 exec, exec, s[26:27]
	s_and_b64 s[0:1], s[0:1], exec
	s_or_saveexec_b64 s[22:23], s[22:23]
	v_mov_b32_e32 v3, 0x7f800001
	s_xor_b64 exec, exec, s[22:23]
	s_cbranch_execnz .LBB536_448
.LBB536_430:
	s_or_b64 exec, exec, s[22:23]
	s_and_saveexec_b64 s[22:23], s[0:1]
	s_cbranch_execz .LBB536_432
.LBB536_431:
	v_lshlrev_b32_e32 v3, 24, v2
	v_and_b32_e32 v2, 0xffff, v2
	v_and_b32_e32 v5, 7, v2
	v_ffbh_u32_e32 v7, v5
	v_min_u32_e32 v7, 32, v7
	v_subrev_u32_e32 v8, 28, v7
	v_bfe_u32 v6, v2, 3, 4
	v_lshlrev_b32_e32 v2, v8, v2
	v_sub_u32_e32 v7, 29, v7
	v_and_b32_e32 v2, 7, v2
	v_cmp_eq_u32_e32 vcc, 0, v6
	v_and_b32_e32 v3, 0x80000000, v3
	s_nop 0
	v_cndmask_b32_e32 v6, v6, v7, vcc
	v_cndmask_b32_e32 v2, v5, v2, vcc
	v_mov_b32_e32 v5, 0x3b800000
	v_lshlrev_b32_e32 v2, 20, v2
	v_lshl_add_u32 v5, v6, 23, v5
	v_or3_b32 v3, v3, v5, v2
.LBB536_432:
	s_or_b64 exec, exec, s[22:23]
	v_bfe_u32 v2, v3, 16, 1
	s_movk_i32 s0, 0x7fff
	v_add3_u32 v2, v3, v2, s0
	v_cmp_o_f32_e32 vcc, v3, v3
	v_mov_b32_e32 v3, 0x7fc0
	s_nop 0
	v_cndmask_b32_sdwa v3, v3, v2, vcc dst_sel:DWORD dst_unused:UNUSED_PAD src0_sel:DWORD src1_sel:WORD_1
.LBB536_433:
	s_mov_b64 s[0:1], -1
.LBB536_434:
	s_mov_b64 s[22:23], 0
.LBB536_435:
	s_and_b64 vcc, exec, s[22:23]
	s_cbranch_vccz .LBB536_470
; %bb.436:
	s_cmp_gt_i32 s28, 22
	s_cbranch_scc0 .LBB536_446
; %bb.437:
	s_cmp_lt_i32 s28, 24
	s_cbranch_scc1 .LBB536_449
; %bb.438:
	s_cmp_gt_i32 s28, 24
	s_cbranch_scc0 .LBB536_450
; %bb.439:
	global_load_ubyte v2, v[0:1], off
	s_movk_i32 s0, 0x7f
	s_waitcnt vmcnt(0)
	v_cmp_lt_i16_e32 vcc, s0, v2
	s_mov_b64 s[0:1], 0
	s_and_saveexec_b64 s[22:23], vcc
	s_xor_b64 s[22:23], exec, s[22:23]
	s_cbranch_execz .LBB536_462
; %bb.440:
	s_movk_i32 s0, 0x80
	v_cmp_eq_u16_e32 vcc, s0, v2
	s_mov_b64 s[0:1], -1
	s_and_saveexec_b64 s[26:27], vcc
; %bb.441:
	s_xor_b64 s[0:1], exec, -1
; %bb.442:
	s_or_b64 exec, exec, s[26:27]
	s_and_b64 s[0:1], s[0:1], exec
	s_or_saveexec_b64 s[22:23], s[22:23]
	v_mov_b32_e32 v3, 0x7f800001
	s_xor_b64 exec, exec, s[22:23]
	s_cbranch_execnz .LBB536_463
.LBB536_443:
	s_or_b64 exec, exec, s[22:23]
	s_and_saveexec_b64 s[22:23], s[0:1]
	s_cbranch_execz .LBB536_445
.LBB536_444:
	v_lshlrev_b32_e32 v3, 24, v2
	v_and_b32_e32 v2, 0xffff, v2
	v_and_b32_e32 v5, 3, v2
	v_ffbh_u32_e32 v7, v5
	v_min_u32_e32 v7, 32, v7
	v_subrev_u32_e32 v8, 29, v7
	v_bfe_u32 v6, v2, 2, 5
	v_lshlrev_b32_e32 v2, v8, v2
	v_sub_u32_e32 v7, 30, v7
	v_and_b32_e32 v2, 3, v2
	v_cmp_eq_u32_e32 vcc, 0, v6
	v_and_b32_e32 v3, 0x80000000, v3
	s_nop 0
	v_cndmask_b32_e32 v6, v6, v7, vcc
	v_cndmask_b32_e32 v2, v5, v2, vcc
	v_mov_b32_e32 v5, 0x37800000
	v_lshlrev_b32_e32 v2, 21, v2
	v_lshl_add_u32 v5, v6, 23, v5
	v_or3_b32 v3, v3, v5, v2
.LBB536_445:
	s_or_b64 exec, exec, s[22:23]
	v_bfe_u32 v2, v3, 16, 1
	s_movk_i32 s0, 0x7fff
	v_add3_u32 v2, v3, v2, s0
	v_cmp_o_f32_e32 vcc, v3, v3
	v_mov_b32_e32 v3, 0x7fc0
	s_mov_b64 s[0:1], 0
	v_cndmask_b32_sdwa v3, v3, v2, vcc dst_sel:DWORD dst_unused:UNUSED_PAD src0_sel:DWORD src1_sel:WORD_1
	s_branch .LBB536_451
.LBB536_446:
	s_mov_b64 s[22:23], -1
                                        ; implicit-def: $vgpr3
	s_branch .LBB536_457
.LBB536_447:
	s_or_saveexec_b64 s[22:23], s[22:23]
	v_mov_b32_e32 v3, 0x7f800001
	s_xor_b64 exec, exec, s[22:23]
	s_cbranch_execz .LBB536_430
.LBB536_448:
	v_cmp_ne_u16_e32 vcc, 0, v2
	s_andn2_b64 s[0:1], s[0:1], exec
	s_and_b64 s[26:27], vcc, exec
	v_mov_b32_e32 v3, 0
	s_or_b64 s[0:1], s[0:1], s[26:27]
	s_or_b64 exec, exec, s[22:23]
	s_and_saveexec_b64 s[22:23], s[0:1]
	s_cbranch_execnz .LBB536_431
	s_branch .LBB536_432
.LBB536_449:
	s_mov_b64 s[0:1], -1
                                        ; implicit-def: $vgpr3
	s_branch .LBB536_454
.LBB536_450:
	s_mov_b64 s[0:1], -1
                                        ; implicit-def: $vgpr3
.LBB536_451:
	s_and_b64 vcc, exec, s[0:1]
	s_cbranch_vccz .LBB536_453
; %bb.452:
	global_load_ubyte v2, v[0:1], off
	s_mov_b32 s0, 0x7f800000
	s_brev_b32 s1, 1
	s_movk_i32 s22, 0x7fff
	s_waitcnt vmcnt(0)
	v_lshlrev_b32_e32 v2, 24, v2
	v_and_b32_e32 v3, 0x7f000000, v2
	v_ffbh_u32_e32 v5, v3
	v_min_u32_e32 v5, 32, v5
	v_sub_u32_e64 v5, v5, 4 clamp
	v_lshlrev_b32_e32 v7, v5, v3
	v_lshlrev_b32_e32 v5, 23, v5
	v_lshrrev_b32_e32 v7, 4, v7
	v_add_u32_e32 v6, 0x1000000, v3
	v_sub_u32_e32 v5, v7, v5
	v_ashrrev_i32_e32 v6, 8, v6
	v_add_u32_e32 v5, 0x3c000000, v5
	v_and_or_b32 v5, v6, s0, v5
	v_cmp_ne_u32_e32 vcc, 0, v3
	s_nop 1
	v_cndmask_b32_e32 v3, 0, v5, vcc
	v_and_or_b32 v2, v2, s1, v3
	v_bfe_u32 v3, v3, 16, 1
	v_add3_u32 v3, v2, v3, s22
	v_cmp_o_f32_e32 vcc, v2, v2
	v_mov_b32_e32 v2, 0x7fc0
	s_nop 0
	v_cndmask_b32_sdwa v3, v2, v3, vcc dst_sel:DWORD dst_unused:UNUSED_PAD src0_sel:DWORD src1_sel:WORD_1
.LBB536_453:
	s_mov_b64 s[0:1], 0
.LBB536_454:
	s_andn2_b64 vcc, exec, s[0:1]
	s_cbranch_vccnz .LBB536_456
; %bb.455:
	global_load_ubyte v2, v[0:1], off
	s_movk_i32 s0, 0x7f00
	s_brev_b32 s1, 16
	s_brev_b32 s22, 1
	s_movk_i32 s23, 0x7fff
	s_waitcnt vmcnt(0)
	v_lshlrev_b16_e32 v3, 8, v2
	v_lshlrev_b32_e32 v2, 25, v2
	v_lshrrev_b32_e32 v5, 4, v2
	v_and_or_b32 v6, v3, s0, 0.5
	v_or_b32_e32 v5, 0x70000000, v5
	v_add_f32_e32 v6, -0.5, v6
	v_mul_f32_e32 v5, 0x7800000, v5
	v_cmp_gt_u32_e32 vcc, s1, v2
	v_bfe_i32 v3, v3, 0, 16
	s_nop 0
	v_cndmask_b32_e32 v2, v5, v6, vcc
	v_and_or_b32 v3, v3, s22, v2
	v_bfe_u32 v2, v2, 16, 1
	v_add3_u32 v2, v3, v2, s23
	v_cmp_o_f32_e32 vcc, v3, v3
	v_mov_b32_e32 v3, 0x7fc0
	s_nop 0
	v_cndmask_b32_sdwa v3, v3, v2, vcc dst_sel:DWORD dst_unused:UNUSED_PAD src0_sel:DWORD src1_sel:WORD_1
.LBB536_456:
	s_mov_b64 s[22:23], 0
	s_mov_b64 s[0:1], -1
.LBB536_457:
	s_andn2_b64 vcc, exec, s[22:23]
	s_cbranch_vccnz .LBB536_470
; %bb.458:
	s_cmp_gt_i32 s28, 14
	s_cbranch_scc0 .LBB536_461
; %bb.459:
	s_cmp_eq_u32 s28, 15
	s_cbranch_scc0 .LBB536_464
; %bb.460:
	global_load_ushort v3, v[0:1], off
	s_mov_b64 s[0:1], -1
	s_mov_b64 s[20:21], 0
	s_branch .LBB536_465
.LBB536_461:
	s_mov_b64 s[22:23], -1
                                        ; implicit-def: $vgpr3
	s_branch .LBB536_466
.LBB536_462:
	s_or_saveexec_b64 s[22:23], s[22:23]
	v_mov_b32_e32 v3, 0x7f800001
	s_xor_b64 exec, exec, s[22:23]
	s_cbranch_execz .LBB536_443
.LBB536_463:
	v_cmp_ne_u16_e32 vcc, 0, v2
	s_andn2_b64 s[0:1], s[0:1], exec
	s_and_b64 s[26:27], vcc, exec
	v_mov_b32_e32 v3, 0
	s_or_b64 s[0:1], s[0:1], s[26:27]
	s_or_b64 exec, exec, s[22:23]
	s_and_saveexec_b64 s[22:23], s[0:1]
	s_cbranch_execnz .LBB536_444
	s_branch .LBB536_445
.LBB536_464:
	s_mov_b64 s[20:21], -1
                                        ; implicit-def: $vgpr3
.LBB536_465:
	s_mov_b64 s[22:23], 0
.LBB536_466:
	s_and_b64 vcc, exec, s[22:23]
	s_cbranch_vccz .LBB536_470
; %bb.467:
	s_cmp_eq_u32 s28, 11
	s_cbranch_scc0 .LBB536_469
; %bb.468:
	global_load_ubyte v2, v[0:1], off
	s_mov_b64 s[0:1], -1
	s_mov_b64 s[20:21], 0
	s_waitcnt vmcnt(0)
	v_cmp_ne_u16_e32 vcc, 0, v2
	s_nop 1
	v_cndmask_b32_e64 v2, 0, 1.0, vcc
	v_lshrrev_b32_e32 v3, 16, v2
	s_branch .LBB536_470
.LBB536_469:
	s_mov_b64 s[20:21], -1
                                        ; implicit-def: $vgpr3
.LBB536_470:
	s_branch .LBB536_269
.LBB536_471:
	s_cmp_lt_i32 s28, 5
	s_cbranch_scc1 .LBB536_476
; %bb.472:
	s_cmp_lt_i32 s28, 8
	s_cbranch_scc1 .LBB536_477
; %bb.473:
	;; [unrolled: 3-line block ×3, first 2 shown]
	s_cmp_gt_i32 s28, 9
	s_cbranch_scc0 .LBB536_479
; %bb.475:
	global_load_dwordx2 v[2:3], v[0:1], off
	s_movk_i32 s0, 0x7fff
	v_mov_b32_e32 v5, 0x7fc0
	s_waitcnt vmcnt(0)
	v_cvt_f32_f64_e32 v2, v[2:3]
	v_bfe_u32 v3, v2, 16, 1
	v_cmp_o_f32_e32 vcc, v2, v2
	v_add3_u32 v2, v2, v3, s0
	s_mov_b64 s[0:1], 0
	v_cndmask_b32_sdwa v3, v5, v2, vcc dst_sel:DWORD dst_unused:UNUSED_PAD src0_sel:DWORD src1_sel:WORD_1
	s_branch .LBB536_480
.LBB536_476:
	s_mov_b64 s[0:1], -1
                                        ; implicit-def: $vgpr3
	s_branch .LBB536_498
.LBB536_477:
	s_mov_b64 s[0:1], -1
                                        ; implicit-def: $vgpr3
	s_branch .LBB536_486
.LBB536_478:
	s_mov_b64 s[0:1], -1
                                        ; implicit-def: $vgpr3
	s_branch .LBB536_483
.LBB536_479:
	s_mov_b64 s[0:1], -1
                                        ; implicit-def: $vgpr3
.LBB536_480:
	s_andn2_b64 vcc, exec, s[0:1]
	s_cbranch_vccnz .LBB536_482
; %bb.481:
	global_load_dword v2, v[0:1], off
	s_movk_i32 s0, 0x7fff
	s_waitcnt vmcnt(1)
	v_mov_b32_e32 v3, 0x7fc0
	s_waitcnt vmcnt(0)
	v_bfe_u32 v5, v2, 16, 1
	v_cmp_o_f32_e32 vcc, v2, v2
	v_add3_u32 v2, v2, v5, s0
	s_nop 0
	v_cndmask_b32_sdwa v3, v3, v2, vcc dst_sel:DWORD dst_unused:UNUSED_PAD src0_sel:DWORD src1_sel:WORD_1
.LBB536_482:
	s_mov_b64 s[0:1], 0
.LBB536_483:
	s_andn2_b64 vcc, exec, s[0:1]
	s_cbranch_vccnz .LBB536_485
; %bb.484:
	global_load_dword v2, v[0:1], off
	s_movk_i32 s0, 0x7fff
	v_mov_b32_e32 v5, 0x7fc0
	s_waitcnt vmcnt(0)
	v_cvt_f32_f16_e32 v3, v2
	v_cmp_o_f16_e32 vcc, v2, v2
	v_bfe_u32 v2, v3, 16, 1
	v_add3_u32 v2, v3, v2, s0
	v_cndmask_b32_sdwa v3, v5, v2, vcc dst_sel:DWORD dst_unused:UNUSED_PAD src0_sel:DWORD src1_sel:WORD_1
.LBB536_485:
	s_mov_b64 s[0:1], 0
.LBB536_486:
	s_andn2_b64 vcc, exec, s[0:1]
	s_cbranch_vccnz .LBB536_497
; %bb.487:
	s_cmp_lt_i32 s28, 6
	s_cbranch_scc1 .LBB536_490
; %bb.488:
	s_cmp_gt_i32 s28, 6
	s_cbranch_scc0 .LBB536_491
; %bb.489:
	global_load_dwordx2 v[2:3], v[0:1], off
	s_movk_i32 s0, 0x7fff
	v_mov_b32_e32 v5, 0x7fc0
	s_waitcnt vmcnt(0)
	v_cvt_f32_f64_e32 v2, v[2:3]
	v_bfe_u32 v3, v2, 16, 1
	v_cmp_o_f32_e32 vcc, v2, v2
	v_add3_u32 v2, v2, v3, s0
	s_mov_b64 s[0:1], 0
	v_cndmask_b32_sdwa v3, v5, v2, vcc dst_sel:DWORD dst_unused:UNUSED_PAD src0_sel:DWORD src1_sel:WORD_1
	s_branch .LBB536_492
.LBB536_490:
	s_mov_b64 s[0:1], -1
                                        ; implicit-def: $vgpr3
	s_branch .LBB536_495
.LBB536_491:
	s_mov_b64 s[0:1], -1
                                        ; implicit-def: $vgpr3
.LBB536_492:
	s_andn2_b64 vcc, exec, s[0:1]
	s_cbranch_vccnz .LBB536_494
; %bb.493:
	global_load_dword v2, v[0:1], off
	s_movk_i32 s0, 0x7fff
	s_waitcnt vmcnt(1)
	v_mov_b32_e32 v3, 0x7fc0
	s_waitcnt vmcnt(0)
	v_bfe_u32 v5, v2, 16, 1
	v_cmp_o_f32_e32 vcc, v2, v2
	v_add3_u32 v2, v2, v5, s0
	s_nop 0
	v_cndmask_b32_sdwa v3, v3, v2, vcc dst_sel:DWORD dst_unused:UNUSED_PAD src0_sel:DWORD src1_sel:WORD_1
.LBB536_494:
	s_mov_b64 s[0:1], 0
.LBB536_495:
	s_andn2_b64 vcc, exec, s[0:1]
	s_cbranch_vccnz .LBB536_497
; %bb.496:
	global_load_ushort v2, v[0:1], off
	s_movk_i32 s0, 0x7fff
	v_mov_b32_e32 v5, 0x7fc0
	s_waitcnt vmcnt(0)
	v_cvt_f32_f16_e32 v3, v2
	v_cmp_o_f16_e32 vcc, v2, v2
	v_bfe_u32 v2, v3, 16, 1
	v_add3_u32 v2, v3, v2, s0
	v_cndmask_b32_sdwa v3, v5, v2, vcc dst_sel:DWORD dst_unused:UNUSED_PAD src0_sel:DWORD src1_sel:WORD_1
.LBB536_497:
	s_mov_b64 s[0:1], 0
.LBB536_498:
	s_andn2_b64 vcc, exec, s[0:1]
	s_cbranch_vccnz .LBB536_518
; %bb.499:
	s_cmp_lt_i32 s28, 2
	s_cbranch_scc1 .LBB536_503
; %bb.500:
	s_cmp_lt_i32 s28, 3
	s_cbranch_scc1 .LBB536_504
; %bb.501:
	s_cmp_gt_i32 s28, 3
	s_cbranch_scc0 .LBB536_505
; %bb.502:
	global_load_dwordx2 v[2:3], v[0:1], off
	s_movk_i32 s0, 0x7fff
	s_waitcnt vmcnt(0)
	v_xor_b32_e32 v6, v2, v3
	v_ffbh_i32_e32 v5, v3
	v_ashrrev_i32_e32 v6, 31, v6
	v_add_u32_e32 v5, -1, v5
	v_add_u32_e32 v6, 32, v6
	v_min_u32_e32 v5, v5, v6
	v_lshlrev_b64 v[2:3], v5, v[2:3]
	v_min_u32_e32 v2, 1, v2
	v_or_b32_e32 v2, v3, v2
	v_cvt_f32_i32_e32 v2, v2
	v_sub_u32_e32 v3, 32, v5
	v_ldexp_f32 v2, v2, v3
	v_bfe_u32 v3, v2, 16, 1
	v_add3_u32 v2, v2, v3, s0
	v_lshrrev_b32_e32 v3, 16, v2
	s_mov_b64 s[0:1], 0
	s_branch .LBB536_506
.LBB536_503:
	s_mov_b64 s[0:1], -1
                                        ; implicit-def: $vgpr3
	s_branch .LBB536_512
.LBB536_504:
	s_mov_b64 s[0:1], -1
                                        ; implicit-def: $vgpr3
	s_branch .LBB536_509
.LBB536_505:
	s_mov_b64 s[0:1], -1
                                        ; implicit-def: $vgpr3
.LBB536_506:
	s_andn2_b64 vcc, exec, s[0:1]
	s_cbranch_vccnz .LBB536_508
; %bb.507:
	global_load_dword v2, v[0:1], off
	s_movk_i32 s0, 0x7fff
	s_waitcnt vmcnt(0)
	v_cvt_f32_i32_e32 v2, v2
	v_bfe_u32 v3, v2, 16, 1
	v_add3_u32 v2, v2, v3, s0
	v_lshrrev_b32_e32 v3, 16, v2
.LBB536_508:
	s_mov_b64 s[0:1], 0
.LBB536_509:
	s_andn2_b64 vcc, exec, s[0:1]
	s_cbranch_vccnz .LBB536_511
; %bb.510:
	global_load_sshort v2, v[0:1], off
	s_movk_i32 s0, 0x7fff
	s_waitcnt vmcnt(0)
	v_cvt_f32_i32_e32 v2, v2
	v_bfe_u32 v3, v2, 16, 1
	v_add3_u32 v2, v2, v3, s0
	v_lshrrev_b32_e32 v3, 16, v2
.LBB536_511:
	s_mov_b64 s[0:1], 0
.LBB536_512:
	s_andn2_b64 vcc, exec, s[0:1]
	s_cbranch_vccnz .LBB536_518
; %bb.513:
	s_cmp_gt_i32 s28, 0
	s_cbranch_scc0 .LBB536_515
; %bb.514:
	global_load_sbyte v2, v[0:1], off
	s_movk_i32 s0, 0x7fff
	s_waitcnt vmcnt(0)
	v_cvt_f32_i32_e32 v2, v2
	v_bfe_u32 v3, v2, 16, 1
	v_add3_u32 v2, v2, v3, s0
	v_lshrrev_b32_e32 v3, 16, v2
	s_mov_b64 s[0:1], 0
	s_branch .LBB536_516
.LBB536_515:
	s_mov_b64 s[0:1], -1
                                        ; implicit-def: $vgpr3
.LBB536_516:
	s_andn2_b64 vcc, exec, s[0:1]
	s_cbranch_vccnz .LBB536_518
; %bb.517:
	global_load_ubyte v0, v[0:1], off
	s_movk_i32 s0, 0x7fff
	s_waitcnt vmcnt(0)
	v_cvt_f32_ubyte0_e32 v0, v0
	v_bfe_u32 v1, v0, 16, 1
	v_add3_u32 v0, v0, v1, s0
	v_lshrrev_b32_e32 v3, 16, v0
.LBB536_518:
	s_branch .LBB536_270
.LBB536_519:
	s_mov_b64 s[26:27], 0
                                        ; implicit-def: $vgpr4
	s_mov_b64 s[0:1], s[14:15]
.LBB536_520:
	s_andn2_b64 s[22:23], s[14:15], exec
	s_and_b64 s[0:1], s[0:1], exec
	s_or_b64 s[22:23], s[22:23], s[0:1]
	s_andn2_b64 s[0:1], s[16:17], exec
	s_and_b64 s[20:21], s[20:21], exec
	s_or_b64 s[20:21], s[0:1], s[20:21]
	s_orn2_b64 s[0:1], s[26:27], exec
.LBB536_521:
	s_or_b64 exec, exec, s[24:25]
	s_mov_b64 s[26:27], 0
	s_mov_b64 s[28:29], 0
	;; [unrolled: 1-line block ×3, first 2 shown]
                                        ; implicit-def: $vgpr0_vgpr1
                                        ; implicit-def: $vgpr3
	s_and_saveexec_b64 s[24:25], s[0:1]
	s_cbranch_execz .LBB536_870
; %bb.522:
	v_cmp_gt_i32_e32 vcc, s40, v4
	s_mov_b64 s[36:37], -1
	s_mov_b64 s[0:1], s[20:21]
	s_mov_b64 s[30:31], s[22:23]
	s_and_saveexec_b64 s[26:27], vcc
	s_cbranch_execz .LBB536_784
; %bb.523:
	v_mul_lo_u32 v0, v4, s9
	v_ashrrev_i32_e32 v1, 31, v0
	s_and_b32 s36, 0xffff, s45
	s_cmp_lt_i32 s36, 11
	v_lshl_add_u64 v[0:1], s[6:7], 0, v[0:1]
	s_cbranch_scc1 .LBB536_530
; %bb.524:
	s_cmp_gt_i32 s36, 25
	s_cbranch_scc0 .LBB536_531
; %bb.525:
	s_cmp_gt_i32 s36, 28
	s_cbranch_scc0 .LBB536_532
	;; [unrolled: 3-line block ×4, first 2 shown]
; %bb.528:
	s_cmp_eq_u32 s36, 46
	s_mov_b64 s[30:31], 0
	s_cbranch_scc0 .LBB536_539
; %bb.529:
	global_load_dword v3, v[0:1], off
	s_mov_b64 s[0:1], -1
	s_branch .LBB536_540
.LBB536_530:
	s_mov_b64 s[30:31], -1
	s_mov_b64 s[0:1], 0
                                        ; implicit-def: $vgpr3
	s_mov_b64 s[28:29], s[20:21]
	s_branch .LBB536_605
.LBB536_531:
	s_mov_b64 s[30:31], -1
	s_mov_b64 s[0:1], 0
	s_mov_b64 s[28:29], s[20:21]
                                        ; implicit-def: $vgpr3
	s_branch .LBB536_569
.LBB536_532:
	s_mov_b64 s[30:31], -1
	s_mov_b64 s[0:1], 0
	s_mov_b64 s[28:29], s[20:21]
                                        ; implicit-def: $vgpr3
	s_branch .LBB536_550
.LBB536_533:
	s_mov_b64 s[30:31], -1
	s_mov_b64 s[0:1], 0
	s_mov_b64 s[28:29], s[20:21]
                                        ; implicit-def: $vgpr3
	s_branch .LBB536_545
.LBB536_534:
	s_andn2_saveexec_b64 s[28:29], s[28:29]
	s_cbranch_execz .LBB536_319
.LBB536_535:
	s_mov_b32 s34, 0x46000000
	v_add_f32_e64 v5, |v6|, s34
	v_and_b32_e32 v5, 0xff, v5
	v_cmp_ne_u32_e32 vcc, 0, v5
	s_andn2_b64 s[26:27], s[26:27], exec
	s_and_b64 s[34:35], vcc, exec
	s_or_b64 s[26:27], s[26:27], s[34:35]
	s_or_b64 exec, exec, s[28:29]
	v_mov_b32_e32 v7, 0
	s_and_saveexec_b64 s[28:29], s[26:27]
	s_cbranch_execnz .LBB536_320
	s_branch .LBB536_321
.LBB536_536:
	s_mov_b64 s[30:31], -1
	s_mov_b64 s[0:1], 0
	s_mov_b64 s[28:29], s[20:21]
                                        ; implicit-def: $vgpr3
	s_branch .LBB536_540
.LBB536_537:
	s_andn2_saveexec_b64 s[28:29], s[28:29]
	s_cbranch_execz .LBB536_332
.LBB536_538:
	s_mov_b32 s34, 0x42800000
	v_add_f32_e64 v5, |v6|, s34
	v_and_b32_e32 v5, 0xff, v5
	v_cmp_ne_u32_e32 vcc, 0, v5
	s_andn2_b64 s[26:27], s[26:27], exec
	s_and_b64 s[34:35], vcc, exec
	s_or_b64 s[26:27], s[26:27], s[34:35]
	s_or_b64 exec, exec, s[28:29]
	v_mov_b32_e32 v7, 0
	s_and_saveexec_b64 s[28:29], s[26:27]
	s_cbranch_execnz .LBB536_333
	s_branch .LBB536_334
.LBB536_539:
	s_mov_b64 s[28:29], -1
                                        ; implicit-def: $vgpr3
	s_mov_b64 s[0:1], 0
.LBB536_540:
	s_and_b64 vcc, exec, s[30:31]
	s_cbranch_vccz .LBB536_544
; %bb.541:
	s_cmp_eq_u32 s36, 44
	s_cbranch_scc0 .LBB536_543
; %bb.542:
	global_load_ubyte v2, v[0:1], off
	s_movk_i32 s28, 0xff
	s_waitcnt vmcnt(1)
	v_mov_b32_e32 v3, 0x7f800001
	v_mov_b32_e32 v5, 0x400000
	;; [unrolled: 1-line block ×3, first 2 shown]
	s_mov_b64 s[0:1], -1
	s_waitcnt vmcnt(0)
	v_lshlrev_b32_e32 v7, 23, v2
	v_cmp_ne_u32_e32 vcc, s28, v2
	s_mov_b64 s[28:29], 0
	s_nop 0
	v_cndmask_b32_e32 v3, v3, v7, vcc
	v_cmp_ne_u32_e32 vcc, 0, v2
	s_nop 1
	v_cndmask_b32_e32 v2, v5, v3, vcc
	v_add_u32_e32 v3, 0x7fff, v2
	v_cmp_o_f32_e32 vcc, v2, v2
	s_nop 1
	v_cndmask_b32_sdwa v3, v6, v3, vcc dst_sel:DWORD dst_unused:UNUSED_PAD src0_sel:DWORD src1_sel:WORD_1
	s_branch .LBB536_544
.LBB536_543:
	s_mov_b64 s[28:29], -1
                                        ; implicit-def: $vgpr3
.LBB536_544:
	s_mov_b64 s[30:31], 0
.LBB536_545:
	s_and_b64 vcc, exec, s[30:31]
	s_cbranch_vccz .LBB536_549
; %bb.546:
	s_cmp_eq_u32 s36, 29
	s_cbranch_scc0 .LBB536_548
; %bb.547:
	global_load_dwordx2 v[2:3], v[0:1], off
	s_movk_i32 s28, 0x7fff
	s_mov_b64 s[0:1], -1
	s_mov_b64 s[30:31], 0
	s_waitcnt vmcnt(0)
	v_ffbh_u32_e32 v5, v3
	v_min_u32_e32 v5, 32, v5
	v_lshlrev_b64 v[2:3], v5, v[2:3]
	v_min_u32_e32 v2, 1, v2
	v_or_b32_e32 v2, v3, v2
	v_cvt_f32_u32_e32 v2, v2
	v_sub_u32_e32 v3, 32, v5
	v_ldexp_f32 v2, v2, v3
	v_bfe_u32 v3, v2, 16, 1
	v_add3_u32 v2, v2, v3, s28
	v_lshrrev_b32_e32 v3, 16, v2
	s_mov_b64 s[28:29], 0
	s_branch .LBB536_550
.LBB536_548:
	s_mov_b64 s[28:29], -1
                                        ; implicit-def: $vgpr3
.LBB536_549:
	s_mov_b64 s[30:31], 0
.LBB536_550:
	s_and_b64 vcc, exec, s[30:31]
	s_cbranch_vccz .LBB536_568
; %bb.551:
	s_cmp_lt_i32 s36, 27
	s_cbranch_scc1 .LBB536_554
; %bb.552:
	s_cmp_gt_i32 s36, 27
	s_cbranch_scc0 .LBB536_555
; %bb.553:
	global_load_dword v2, v[0:1], off
	s_movk_i32 s0, 0x7fff
	s_waitcnt vmcnt(0)
	v_cvt_f32_u32_e32 v2, v2
	v_bfe_u32 v3, v2, 16, 1
	v_add3_u32 v2, v2, v3, s0
	v_lshrrev_b32_e32 v3, 16, v2
	s_mov_b64 s[0:1], 0
	s_branch .LBB536_556
.LBB536_554:
	s_mov_b64 s[0:1], -1
                                        ; implicit-def: $vgpr3
	s_branch .LBB536_559
.LBB536_555:
	s_mov_b64 s[0:1], -1
                                        ; implicit-def: $vgpr3
.LBB536_556:
	s_andn2_b64 vcc, exec, s[0:1]
	s_cbranch_vccnz .LBB536_558
; %bb.557:
	global_load_ushort v2, v[0:1], off
	s_movk_i32 s0, 0x7fff
	s_waitcnt vmcnt(0)
	v_cvt_f32_u32_e32 v2, v2
	v_bfe_u32 v3, v2, 16, 1
	v_add3_u32 v2, v2, v3, s0
	v_lshrrev_b32_e32 v3, 16, v2
.LBB536_558:
	s_mov_b64 s[0:1], 0
.LBB536_559:
	s_andn2_b64 vcc, exec, s[0:1]
	s_cbranch_vccnz .LBB536_567
; %bb.560:
	global_load_ubyte v2, v[0:1], off
	s_movk_i32 s0, 0x7f
	s_waitcnt vmcnt(0)
	v_cmp_lt_i16_e32 vcc, s0, v2
	s_mov_b64 s[0:1], 0
	s_and_saveexec_b64 s[30:31], vcc
	s_xor_b64 s[30:31], exec, s[30:31]
	s_cbranch_execz .LBB536_581
; %bb.561:
	s_movk_i32 s0, 0x80
	v_cmp_eq_u16_e32 vcc, s0, v2
	s_mov_b64 s[0:1], -1
	s_and_saveexec_b64 s[34:35], vcc
; %bb.562:
	s_xor_b64 s[0:1], exec, -1
; %bb.563:
	s_or_b64 exec, exec, s[34:35]
	s_and_b64 s[0:1], s[0:1], exec
	s_or_saveexec_b64 s[30:31], s[30:31]
	v_mov_b32_e32 v3, 0x7f800001
	s_xor_b64 exec, exec, s[30:31]
	s_cbranch_execnz .LBB536_582
.LBB536_564:
	s_or_b64 exec, exec, s[30:31]
	s_and_saveexec_b64 s[30:31], s[0:1]
	s_cbranch_execz .LBB536_566
.LBB536_565:
	v_lshlrev_b32_e32 v3, 24, v2
	v_and_b32_e32 v2, 0xffff, v2
	v_and_b32_e32 v5, 7, v2
	v_ffbh_u32_e32 v7, v5
	v_min_u32_e32 v7, 32, v7
	v_subrev_u32_e32 v8, 28, v7
	v_bfe_u32 v6, v2, 3, 4
	v_lshlrev_b32_e32 v2, v8, v2
	v_sub_u32_e32 v7, 29, v7
	v_and_b32_e32 v2, 7, v2
	v_cmp_eq_u32_e32 vcc, 0, v6
	v_and_b32_e32 v3, 0x80000000, v3
	s_nop 0
	v_cndmask_b32_e32 v6, v6, v7, vcc
	v_cndmask_b32_e32 v2, v5, v2, vcc
	v_mov_b32_e32 v5, 0x3b800000
	v_lshlrev_b32_e32 v2, 20, v2
	v_lshl_add_u32 v5, v6, 23, v5
	v_or3_b32 v3, v3, v5, v2
.LBB536_566:
	s_or_b64 exec, exec, s[30:31]
	v_bfe_u32 v2, v3, 16, 1
	s_movk_i32 s0, 0x7fff
	v_add3_u32 v2, v3, v2, s0
	v_cmp_o_f32_e32 vcc, v3, v3
	v_mov_b32_e32 v3, 0x7fc0
	s_nop 0
	v_cndmask_b32_sdwa v3, v3, v2, vcc dst_sel:DWORD dst_unused:UNUSED_PAD src0_sel:DWORD src1_sel:WORD_1
.LBB536_567:
	s_mov_b64 s[0:1], -1
.LBB536_568:
	s_mov_b64 s[30:31], 0
.LBB536_569:
	s_and_b64 vcc, exec, s[30:31]
	s_cbranch_vccz .LBB536_604
; %bb.570:
	s_cmp_gt_i32 s36, 22
	s_cbranch_scc0 .LBB536_580
; %bb.571:
	s_cmp_lt_i32 s36, 24
	s_cbranch_scc1 .LBB536_583
; %bb.572:
	s_cmp_gt_i32 s36, 24
	s_cbranch_scc0 .LBB536_584
; %bb.573:
	global_load_ubyte v2, v[0:1], off
	s_movk_i32 s0, 0x7f
	s_waitcnt vmcnt(0)
	v_cmp_lt_i16_e32 vcc, s0, v2
	s_mov_b64 s[0:1], 0
	s_and_saveexec_b64 s[30:31], vcc
	s_xor_b64 s[30:31], exec, s[30:31]
	s_cbranch_execz .LBB536_596
; %bb.574:
	s_movk_i32 s0, 0x80
	v_cmp_eq_u16_e32 vcc, s0, v2
	s_mov_b64 s[0:1], -1
	s_and_saveexec_b64 s[34:35], vcc
; %bb.575:
	s_xor_b64 s[0:1], exec, -1
; %bb.576:
	s_or_b64 exec, exec, s[34:35]
	s_and_b64 s[0:1], s[0:1], exec
	s_or_saveexec_b64 s[30:31], s[30:31]
	v_mov_b32_e32 v3, 0x7f800001
	s_xor_b64 exec, exec, s[30:31]
	s_cbranch_execnz .LBB536_597
.LBB536_577:
	s_or_b64 exec, exec, s[30:31]
	s_and_saveexec_b64 s[30:31], s[0:1]
	s_cbranch_execz .LBB536_579
.LBB536_578:
	v_lshlrev_b32_e32 v3, 24, v2
	v_and_b32_e32 v2, 0xffff, v2
	v_and_b32_e32 v5, 3, v2
	v_ffbh_u32_e32 v7, v5
	v_min_u32_e32 v7, 32, v7
	v_subrev_u32_e32 v8, 29, v7
	v_bfe_u32 v6, v2, 2, 5
	v_lshlrev_b32_e32 v2, v8, v2
	v_sub_u32_e32 v7, 30, v7
	v_and_b32_e32 v2, 3, v2
	v_cmp_eq_u32_e32 vcc, 0, v6
	v_and_b32_e32 v3, 0x80000000, v3
	s_nop 0
	v_cndmask_b32_e32 v6, v6, v7, vcc
	v_cndmask_b32_e32 v2, v5, v2, vcc
	v_mov_b32_e32 v5, 0x37800000
	v_lshlrev_b32_e32 v2, 21, v2
	v_lshl_add_u32 v5, v6, 23, v5
	v_or3_b32 v3, v3, v5, v2
.LBB536_579:
	s_or_b64 exec, exec, s[30:31]
	v_bfe_u32 v2, v3, 16, 1
	s_movk_i32 s0, 0x7fff
	v_add3_u32 v2, v3, v2, s0
	v_cmp_o_f32_e32 vcc, v3, v3
	v_mov_b32_e32 v3, 0x7fc0
	s_mov_b64 s[0:1], 0
	v_cndmask_b32_sdwa v3, v3, v2, vcc dst_sel:DWORD dst_unused:UNUSED_PAD src0_sel:DWORD src1_sel:WORD_1
	s_branch .LBB536_585
.LBB536_580:
	s_mov_b64 s[30:31], -1
                                        ; implicit-def: $vgpr3
	s_branch .LBB536_591
.LBB536_581:
	s_or_saveexec_b64 s[30:31], s[30:31]
	v_mov_b32_e32 v3, 0x7f800001
	s_xor_b64 exec, exec, s[30:31]
	s_cbranch_execz .LBB536_564
.LBB536_582:
	v_cmp_ne_u16_e32 vcc, 0, v2
	s_andn2_b64 s[0:1], s[0:1], exec
	s_and_b64 s[34:35], vcc, exec
	v_mov_b32_e32 v3, 0
	s_or_b64 s[0:1], s[0:1], s[34:35]
	s_or_b64 exec, exec, s[30:31]
	s_and_saveexec_b64 s[30:31], s[0:1]
	s_cbranch_execnz .LBB536_565
	s_branch .LBB536_566
.LBB536_583:
	s_mov_b64 s[0:1], -1
                                        ; implicit-def: $vgpr3
	s_branch .LBB536_588
.LBB536_584:
	s_mov_b64 s[0:1], -1
                                        ; implicit-def: $vgpr3
.LBB536_585:
	s_and_b64 vcc, exec, s[0:1]
	s_cbranch_vccz .LBB536_587
; %bb.586:
	global_load_ubyte v2, v[0:1], off
	s_mov_b32 s0, 0x7f800000
	s_brev_b32 s1, 1
	s_movk_i32 s30, 0x7fff
	s_waitcnt vmcnt(0)
	v_lshlrev_b32_e32 v2, 24, v2
	v_and_b32_e32 v3, 0x7f000000, v2
	v_ffbh_u32_e32 v5, v3
	v_min_u32_e32 v5, 32, v5
	v_sub_u32_e64 v5, v5, 4 clamp
	v_lshlrev_b32_e32 v7, v5, v3
	v_lshlrev_b32_e32 v5, 23, v5
	v_lshrrev_b32_e32 v7, 4, v7
	v_add_u32_e32 v6, 0x1000000, v3
	v_sub_u32_e32 v5, v7, v5
	v_ashrrev_i32_e32 v6, 8, v6
	v_add_u32_e32 v5, 0x3c000000, v5
	v_and_or_b32 v5, v6, s0, v5
	v_cmp_ne_u32_e32 vcc, 0, v3
	s_nop 1
	v_cndmask_b32_e32 v3, 0, v5, vcc
	v_and_or_b32 v2, v2, s1, v3
	v_bfe_u32 v3, v3, 16, 1
	v_add3_u32 v3, v2, v3, s30
	v_cmp_o_f32_e32 vcc, v2, v2
	v_mov_b32_e32 v2, 0x7fc0
	s_nop 0
	v_cndmask_b32_sdwa v3, v2, v3, vcc dst_sel:DWORD dst_unused:UNUSED_PAD src0_sel:DWORD src1_sel:WORD_1
.LBB536_587:
	s_mov_b64 s[0:1], 0
.LBB536_588:
	s_andn2_b64 vcc, exec, s[0:1]
	s_cbranch_vccnz .LBB536_590
; %bb.589:
	global_load_ubyte v2, v[0:1], off
	s_movk_i32 s0, 0x7f00
	s_brev_b32 s1, 16
	s_brev_b32 s30, 1
	s_movk_i32 s31, 0x7fff
	s_waitcnt vmcnt(0)
	v_lshlrev_b16_e32 v3, 8, v2
	v_lshlrev_b32_e32 v2, 25, v2
	v_lshrrev_b32_e32 v5, 4, v2
	v_and_or_b32 v6, v3, s0, 0.5
	v_or_b32_e32 v5, 0x70000000, v5
	v_add_f32_e32 v6, -0.5, v6
	v_mul_f32_e32 v5, 0x7800000, v5
	v_cmp_gt_u32_e32 vcc, s1, v2
	v_bfe_i32 v3, v3, 0, 16
	s_nop 0
	v_cndmask_b32_e32 v2, v5, v6, vcc
	v_and_or_b32 v3, v3, s30, v2
	v_bfe_u32 v2, v2, 16, 1
	v_add3_u32 v2, v3, v2, s31
	v_cmp_o_f32_e32 vcc, v3, v3
	v_mov_b32_e32 v3, 0x7fc0
	s_nop 0
	v_cndmask_b32_sdwa v3, v3, v2, vcc dst_sel:DWORD dst_unused:UNUSED_PAD src0_sel:DWORD src1_sel:WORD_1
.LBB536_590:
	s_mov_b64 s[30:31], 0
	s_mov_b64 s[0:1], -1
.LBB536_591:
	s_andn2_b64 vcc, exec, s[30:31]
	s_cbranch_vccnz .LBB536_604
; %bb.592:
	s_cmp_gt_i32 s36, 14
	s_cbranch_scc0 .LBB536_595
; %bb.593:
	s_cmp_eq_u32 s36, 15
	s_cbranch_scc0 .LBB536_598
; %bb.594:
	global_load_ushort v3, v[0:1], off
	s_mov_b64 s[0:1], -1
	s_mov_b64 s[28:29], 0
	s_branch .LBB536_599
.LBB536_595:
	s_mov_b64 s[30:31], -1
                                        ; implicit-def: $vgpr3
	s_branch .LBB536_600
.LBB536_596:
	s_or_saveexec_b64 s[30:31], s[30:31]
	v_mov_b32_e32 v3, 0x7f800001
	s_xor_b64 exec, exec, s[30:31]
	s_cbranch_execz .LBB536_577
.LBB536_597:
	v_cmp_ne_u16_e32 vcc, 0, v2
	s_andn2_b64 s[0:1], s[0:1], exec
	s_and_b64 s[34:35], vcc, exec
	v_mov_b32_e32 v3, 0
	s_or_b64 s[0:1], s[0:1], s[34:35]
	s_or_b64 exec, exec, s[30:31]
	s_and_saveexec_b64 s[30:31], s[0:1]
	s_cbranch_execnz .LBB536_578
	s_branch .LBB536_579
.LBB536_598:
	s_mov_b64 s[28:29], -1
                                        ; implicit-def: $vgpr3
.LBB536_599:
	s_mov_b64 s[30:31], 0
.LBB536_600:
	s_and_b64 vcc, exec, s[30:31]
	s_cbranch_vccz .LBB536_604
; %bb.601:
	s_cmp_eq_u32 s36, 11
	s_cbranch_scc0 .LBB536_603
; %bb.602:
	global_load_ubyte v2, v[0:1], off
	s_mov_b64 s[0:1], -1
	s_mov_b64 s[28:29], 0
	s_waitcnt vmcnt(0)
	v_cmp_ne_u16_e32 vcc, 0, v2
	s_nop 1
	v_cndmask_b32_e64 v2, 0, 1.0, vcc
	v_lshrrev_b32_e32 v3, 16, v2
	s_branch .LBB536_604
.LBB536_603:
	s_mov_b64 s[28:29], -1
                                        ; implicit-def: $vgpr3
.LBB536_604:
	s_mov_b64 s[30:31], 0
.LBB536_605:
	s_and_b64 vcc, exec, s[30:31]
	s_cbranch_vccz .LBB536_654
; %bb.606:
	s_cmp_lt_i32 s36, 5
	s_cbranch_scc1 .LBB536_611
; %bb.607:
	s_cmp_lt_i32 s36, 8
	s_cbranch_scc1 .LBB536_612
	;; [unrolled: 3-line block ×3, first 2 shown]
; %bb.609:
	s_cmp_gt_i32 s36, 9
	s_cbranch_scc0 .LBB536_614
; %bb.610:
	global_load_dwordx2 v[2:3], v[0:1], off
	s_movk_i32 s0, 0x7fff
	v_mov_b32_e32 v5, 0x7fc0
	s_waitcnt vmcnt(0)
	v_cvt_f32_f64_e32 v2, v[2:3]
	v_bfe_u32 v3, v2, 16, 1
	v_cmp_o_f32_e32 vcc, v2, v2
	v_add3_u32 v2, v2, v3, s0
	s_mov_b64 s[0:1], 0
	v_cndmask_b32_sdwa v3, v5, v2, vcc dst_sel:DWORD dst_unused:UNUSED_PAD src0_sel:DWORD src1_sel:WORD_1
	s_branch .LBB536_615
.LBB536_611:
	s_mov_b64 s[0:1], -1
                                        ; implicit-def: $vgpr3
	s_branch .LBB536_633
.LBB536_612:
	s_mov_b64 s[0:1], -1
                                        ; implicit-def: $vgpr3
	s_branch .LBB536_621
.LBB536_613:
	s_mov_b64 s[0:1], -1
                                        ; implicit-def: $vgpr3
	s_branch .LBB536_618
.LBB536_614:
	s_mov_b64 s[0:1], -1
                                        ; implicit-def: $vgpr3
.LBB536_615:
	s_andn2_b64 vcc, exec, s[0:1]
	s_cbranch_vccnz .LBB536_617
; %bb.616:
	global_load_dword v2, v[0:1], off
	s_movk_i32 s0, 0x7fff
	s_waitcnt vmcnt(1)
	v_mov_b32_e32 v3, 0x7fc0
	s_waitcnt vmcnt(0)
	v_bfe_u32 v5, v2, 16, 1
	v_cmp_o_f32_e32 vcc, v2, v2
	v_add3_u32 v2, v2, v5, s0
	s_nop 0
	v_cndmask_b32_sdwa v3, v3, v2, vcc dst_sel:DWORD dst_unused:UNUSED_PAD src0_sel:DWORD src1_sel:WORD_1
.LBB536_617:
	s_mov_b64 s[0:1], 0
.LBB536_618:
	s_andn2_b64 vcc, exec, s[0:1]
	s_cbranch_vccnz .LBB536_620
; %bb.619:
	global_load_dword v2, v[0:1], off
	s_movk_i32 s0, 0x7fff
	v_mov_b32_e32 v5, 0x7fc0
	s_waitcnt vmcnt(0)
	v_cvt_f32_f16_e32 v3, v2
	v_cmp_o_f16_e32 vcc, v2, v2
	v_bfe_u32 v2, v3, 16, 1
	v_add3_u32 v2, v3, v2, s0
	v_cndmask_b32_sdwa v3, v5, v2, vcc dst_sel:DWORD dst_unused:UNUSED_PAD src0_sel:DWORD src1_sel:WORD_1
.LBB536_620:
	s_mov_b64 s[0:1], 0
.LBB536_621:
	s_andn2_b64 vcc, exec, s[0:1]
	s_cbranch_vccnz .LBB536_632
; %bb.622:
	s_cmp_lt_i32 s36, 6
	s_cbranch_scc1 .LBB536_625
; %bb.623:
	s_cmp_gt_i32 s36, 6
	s_cbranch_scc0 .LBB536_626
; %bb.624:
	global_load_dwordx2 v[2:3], v[0:1], off
	s_movk_i32 s0, 0x7fff
	v_mov_b32_e32 v5, 0x7fc0
	s_waitcnt vmcnt(0)
	v_cvt_f32_f64_e32 v2, v[2:3]
	v_bfe_u32 v3, v2, 16, 1
	v_cmp_o_f32_e32 vcc, v2, v2
	v_add3_u32 v2, v2, v3, s0
	s_mov_b64 s[0:1], 0
	v_cndmask_b32_sdwa v3, v5, v2, vcc dst_sel:DWORD dst_unused:UNUSED_PAD src0_sel:DWORD src1_sel:WORD_1
	s_branch .LBB536_627
.LBB536_625:
	s_mov_b64 s[0:1], -1
                                        ; implicit-def: $vgpr3
	s_branch .LBB536_630
.LBB536_626:
	s_mov_b64 s[0:1], -1
                                        ; implicit-def: $vgpr3
.LBB536_627:
	s_andn2_b64 vcc, exec, s[0:1]
	s_cbranch_vccnz .LBB536_629
; %bb.628:
	global_load_dword v2, v[0:1], off
	s_movk_i32 s0, 0x7fff
	s_waitcnt vmcnt(1)
	v_mov_b32_e32 v3, 0x7fc0
	s_waitcnt vmcnt(0)
	v_bfe_u32 v5, v2, 16, 1
	v_cmp_o_f32_e32 vcc, v2, v2
	v_add3_u32 v2, v2, v5, s0
	s_nop 0
	v_cndmask_b32_sdwa v3, v3, v2, vcc dst_sel:DWORD dst_unused:UNUSED_PAD src0_sel:DWORD src1_sel:WORD_1
.LBB536_629:
	s_mov_b64 s[0:1], 0
.LBB536_630:
	s_andn2_b64 vcc, exec, s[0:1]
	s_cbranch_vccnz .LBB536_632
; %bb.631:
	global_load_ushort v2, v[0:1], off
	s_movk_i32 s0, 0x7fff
	v_mov_b32_e32 v5, 0x7fc0
	s_waitcnt vmcnt(0)
	v_cvt_f32_f16_e32 v3, v2
	v_cmp_o_f16_e32 vcc, v2, v2
	v_bfe_u32 v2, v3, 16, 1
	v_add3_u32 v2, v3, v2, s0
	v_cndmask_b32_sdwa v3, v5, v2, vcc dst_sel:DWORD dst_unused:UNUSED_PAD src0_sel:DWORD src1_sel:WORD_1
.LBB536_632:
	s_mov_b64 s[0:1], 0
.LBB536_633:
	s_andn2_b64 vcc, exec, s[0:1]
	s_cbranch_vccnz .LBB536_653
; %bb.634:
	s_cmp_lt_i32 s36, 2
	s_cbranch_scc1 .LBB536_638
; %bb.635:
	s_cmp_lt_i32 s36, 3
	s_cbranch_scc1 .LBB536_639
; %bb.636:
	s_cmp_gt_i32 s36, 3
	s_cbranch_scc0 .LBB536_640
; %bb.637:
	global_load_dwordx2 v[2:3], v[0:1], off
	s_movk_i32 s0, 0x7fff
	s_waitcnt vmcnt(0)
	v_xor_b32_e32 v6, v2, v3
	v_ffbh_i32_e32 v5, v3
	v_ashrrev_i32_e32 v6, 31, v6
	v_add_u32_e32 v5, -1, v5
	v_add_u32_e32 v6, 32, v6
	v_min_u32_e32 v5, v5, v6
	v_lshlrev_b64 v[2:3], v5, v[2:3]
	v_min_u32_e32 v2, 1, v2
	v_or_b32_e32 v2, v3, v2
	v_cvt_f32_i32_e32 v2, v2
	v_sub_u32_e32 v3, 32, v5
	v_ldexp_f32 v2, v2, v3
	v_bfe_u32 v3, v2, 16, 1
	v_add3_u32 v2, v2, v3, s0
	v_lshrrev_b32_e32 v3, 16, v2
	s_mov_b64 s[0:1], 0
	s_branch .LBB536_641
.LBB536_638:
	s_mov_b64 s[0:1], -1
                                        ; implicit-def: $vgpr3
	s_branch .LBB536_647
.LBB536_639:
	s_mov_b64 s[0:1], -1
                                        ; implicit-def: $vgpr3
	s_branch .LBB536_644
.LBB536_640:
	s_mov_b64 s[0:1], -1
                                        ; implicit-def: $vgpr3
.LBB536_641:
	s_andn2_b64 vcc, exec, s[0:1]
	s_cbranch_vccnz .LBB536_643
; %bb.642:
	global_load_dword v2, v[0:1], off
	s_movk_i32 s0, 0x7fff
	s_waitcnt vmcnt(0)
	v_cvt_f32_i32_e32 v2, v2
	v_bfe_u32 v3, v2, 16, 1
	v_add3_u32 v2, v2, v3, s0
	v_lshrrev_b32_e32 v3, 16, v2
.LBB536_643:
	s_mov_b64 s[0:1], 0
.LBB536_644:
	s_andn2_b64 vcc, exec, s[0:1]
	s_cbranch_vccnz .LBB536_646
; %bb.645:
	global_load_sshort v2, v[0:1], off
	s_movk_i32 s0, 0x7fff
	s_waitcnt vmcnt(0)
	v_cvt_f32_i32_e32 v2, v2
	v_bfe_u32 v3, v2, 16, 1
	v_add3_u32 v2, v2, v3, s0
	v_lshrrev_b32_e32 v3, 16, v2
.LBB536_646:
	s_mov_b64 s[0:1], 0
.LBB536_647:
	s_andn2_b64 vcc, exec, s[0:1]
	s_cbranch_vccnz .LBB536_653
; %bb.648:
	s_cmp_gt_i32 s36, 0
	s_cbranch_scc0 .LBB536_650
; %bb.649:
	global_load_sbyte v2, v[0:1], off
	s_movk_i32 s0, 0x7fff
	s_waitcnt vmcnt(0)
	v_cvt_f32_i32_e32 v2, v2
	v_bfe_u32 v3, v2, 16, 1
	v_add3_u32 v2, v2, v3, s0
	v_lshrrev_b32_e32 v3, 16, v2
	s_mov_b64 s[0:1], 0
	s_branch .LBB536_651
.LBB536_650:
	s_mov_b64 s[0:1], -1
                                        ; implicit-def: $vgpr3
.LBB536_651:
	s_andn2_b64 vcc, exec, s[0:1]
	s_cbranch_vccnz .LBB536_653
; %bb.652:
	global_load_ubyte v0, v[0:1], off
	s_movk_i32 s0, 0x7fff
	s_waitcnt vmcnt(0)
	v_cvt_f32_ubyte0_e32 v0, v0
	v_bfe_u32 v1, v0, 16, 1
	v_add3_u32 v0, v0, v1, s0
	v_lshrrev_b32_e32 v3, 16, v0
.LBB536_653:
	s_mov_b64 s[0:1], -1
.LBB536_654:
	s_andn2_b64 vcc, exec, s[0:1]
	s_cbranch_vccnz .LBB536_666
; %bb.655:
	s_waitcnt vmcnt(0)
	v_lshlrev_b32_e32 v0, 16, v3
	v_cmp_o_f32_e32 vcc, v0, v0
	v_mov_b32_e32 v2, s10
	s_and_saveexec_b64 s[0:1], vcc
	s_cbranch_execz .LBB536_659
; %bb.656:
	s_mov_b32 s30, 0x7f800000
	v_cmp_neq_f32_e32 vcc, s30, v0
	v_mov_b32_e32 v2, s44
	s_and_saveexec_b64 s[30:31], vcc
; %bb.657:
	s_mov_b32 s34, 0xff800000
	v_mov_b32_e32 v1, s11
	v_cmp_eq_f32_e32 vcc, s34, v0
	s_nop 1
	v_cndmask_b32_e32 v2, v3, v1, vcc
; %bb.658:
	s_or_b64 exec, exec, s[30:31]
.LBB536_659:
	s_or_b64 exec, exec, s[0:1]
	v_mul_lo_u32 v0, v4, s8
	v_ashrrev_i32_e32 v1, 31, v0
	s_and_b32 s38, s33, 0xff
	s_cmp_lt_i32 s38, 11
	v_lshl_add_u64 v[0:1], s[4:5], 0, v[0:1]
	s_cbranch_scc1 .LBB536_667
; %bb.660:
	s_and_b32 s39, 0xffff, s38
	s_cmp_gt_i32 s39, 25
	s_cbranch_scc0 .LBB536_668
; %bb.661:
	s_cmp_gt_i32 s39, 28
	s_cbranch_scc0 .LBB536_669
; %bb.662:
	s_cmp_gt_i32 s39, 43
	s_cbranch_scc0 .LBB536_670
; %bb.663:
	s_cmp_gt_i32 s39, 45
	s_cbranch_scc0 .LBB536_671
; %bb.664:
	s_mov_b64 s[34:35], 0
	s_mov_b64 s[0:1], -1
	s_cmp_eq_u32 s39, 46
	s_mov_b64 s[30:31], 0
	s_cbranch_scc0 .LBB536_672
; %bb.665:
	v_and_b32_e32 v3, 0xffff, v2
	global_store_dword v[0:1], v3, off
	s_mov_b64 s[30:31], -1
	s_mov_b64 s[0:1], 0
	s_branch .LBB536_672
.LBB536_666:
	s_mov_b64 s[34:35], 0
                                        ; implicit-def: $vgpr4
	s_mov_b64 s[0:1], s[22:23]
	s_branch .LBB536_783
.LBB536_667:
	s_mov_b64 s[34:35], -1
	s_mov_b64 s[30:31], 0
	s_mov_b64 s[0:1], s[22:23]
	s_branch .LBB536_741
.LBB536_668:
	s_mov_b64 s[34:35], -1
	s_mov_b64 s[30:31], 0
	s_mov_b64 s[0:1], s[22:23]
	s_branch .LBB536_699
.LBB536_669:
	s_mov_b64 s[34:35], -1
	s_mov_b64 s[30:31], 0
	s_mov_b64 s[0:1], s[22:23]
	s_branch .LBB536_682
.LBB536_670:
	s_mov_b64 s[34:35], -1
	s_mov_b64 s[30:31], 0
	s_mov_b64 s[0:1], s[22:23]
	s_branch .LBB536_678
.LBB536_671:
	s_mov_b64 s[34:35], -1
	s_mov_b64 s[30:31], 0
	s_mov_b64 s[0:1], s[22:23]
.LBB536_672:
	s_and_b64 vcc, exec, s[34:35]
	s_cbranch_vccz .LBB536_677
; %bb.673:
	s_cmp_eq_u32 s39, 44
	s_mov_b64 s[0:1], -1
	s_cbranch_scc0 .LBB536_677
; %bb.674:
	v_and_b32_e32 v5, 0xffff, v2
	v_bfe_u32 v3, v5, 7, 8
	s_movk_i32 s0, 0xff
	v_cmp_ne_u32_e32 vcc, s0, v3
	v_mov_b32_e32 v6, 0xff
	s_and_saveexec_b64 s[30:31], vcc
	s_cbranch_execz .LBB536_676
; %bb.675:
	v_lshlrev_b32_e32 v7, 16, v5
	s_mov_b32 s0, 0x3f0000
	v_lshrrev_b32_e32 v6, 7, v5
	v_and_b32_e32 v5, 64, v5
	v_and_or_b32 v3, v7, s0, v3
	v_cmp_ne_u32_e32 vcc, 0, v5
	v_cmp_ne_u32_e64 s[0:1], 0, v3
	s_and_b64 s[0:1], vcc, s[0:1]
	s_nop 0
	v_cndmask_b32_e64 v3, 0, 1, s[0:1]
	v_add_u32_e32 v6, v6, v3
.LBB536_676:
	s_or_b64 exec, exec, s[30:31]
	s_mov_b64 s[30:31], -1
	s_mov_b64 s[0:1], 0
	global_store_byte v[0:1], v6, off
.LBB536_677:
	s_mov_b64 s[34:35], 0
.LBB536_678:
	s_and_b64 vcc, exec, s[34:35]
	s_cbranch_vccz .LBB536_681
; %bb.679:
	s_cmp_eq_u32 s39, 29
	s_mov_b64 s[0:1], -1
	s_cbranch_scc0 .LBB536_681
; %bb.680:
	v_lshlrev_b32_e32 v3, 16, v2
	v_trunc_f32_e32 v3, v3
	v_mul_f32_e32 v5, 0x2f800000, v3
	v_floor_f32_e32 v5, v5
	v_fmamk_f32 v3, v5, 0xcf800000, v3
	v_cvt_u32_f32_e32 v7, v5
	v_cvt_u32_f32_e32 v6, v3
	s_mov_b64 s[30:31], -1
	s_mov_b64 s[0:1], 0
	s_mov_b64 s[34:35], 0
	global_store_dwordx2 v[0:1], v[6:7], off
	s_branch .LBB536_682
.LBB536_681:
	s_mov_b64 s[34:35], 0
.LBB536_682:
	s_and_b64 vcc, exec, s[34:35]
	s_cbranch_vccz .LBB536_698
; %bb.683:
	s_cmp_lt_i32 s39, 27
	s_mov_b64 s[30:31], -1
	s_cbranch_scc1 .LBB536_689
; %bb.684:
	s_cmp_gt_i32 s39, 27
	s_cbranch_scc0 .LBB536_686
; %bb.685:
	v_lshlrev_b32_e32 v3, 16, v2
	v_cvt_u32_f32_e32 v3, v3
	s_mov_b64 s[30:31], 0
	global_store_dword v[0:1], v3, off
.LBB536_686:
	s_andn2_b64 vcc, exec, s[30:31]
	s_cbranch_vccnz .LBB536_688
; %bb.687:
	v_lshlrev_b32_e32 v3, 16, v2
	v_cvt_u32_f32_e32 v3, v3
	global_store_short v[0:1], v3, off
.LBB536_688:
	s_mov_b64 s[30:31], 0
.LBB536_689:
	s_andn2_b64 vcc, exec, s[30:31]
	s_cbranch_vccnz .LBB536_697
; %bb.690:
	v_lshlrev_b32_e32 v6, 16, v2
	v_and_b32_e32 v5, 0x7fffffff, v6
	s_mov_b32 s30, 0x43800000
	v_cmp_gt_u32_e32 vcc, s30, v5
	v_mov_b32_e32 v7, 0x80
	s_and_saveexec_b64 s[30:31], vcc
	s_cbranch_execz .LBB536_696
; %bb.691:
	s_mov_b32 s34, 0x3bffffff
	v_and_b32_e32 v3, 0xffff, v2
	v_cmp_lt_u32_e32 vcc, s34, v5
	s_mov_b64 s[34:35], 0
                                        ; implicit-def: $vgpr5
	s_and_saveexec_b64 s[36:37], vcc
	s_xor_b64 s[36:37], exec, s[36:37]
	s_cbranch_execz .LBB536_797
; %bb.692:
	v_bfe_u32 v5, v3, 4, 1
	s_mov_b32 s41, 0x487ffff
	v_add3_u32 v5, v6, v5, s41
	s_mov_b64 s[34:35], exec
	v_lshrrev_b32_e32 v5, 20, v5
                                        ; implicit-def: $vgpr6
	s_andn2_saveexec_b64 s[36:37], s[36:37]
	s_cbranch_execnz .LBB536_798
.LBB536_693:
	s_or_b64 exec, exec, s[36:37]
	v_mov_b32_e32 v7, 0
	s_and_saveexec_b64 s[36:37], s[34:35]
.LBB536_694:
	v_lshrrev_b32_e32 v3, 8, v3
	s_movk_i32 s34, 0x80
	v_and_or_b32 v7, v3, s34, v5
.LBB536_695:
	s_or_b64 exec, exec, s[36:37]
.LBB536_696:
	s_or_b64 exec, exec, s[30:31]
	global_store_byte v[0:1], v7, off
.LBB536_697:
	s_mov_b64 s[30:31], -1
.LBB536_698:
	s_mov_b64 s[34:35], 0
.LBB536_699:
	s_and_b64 vcc, exec, s[34:35]
	s_cbranch_vccz .LBB536_740
; %bb.700:
	s_cmp_gt_i32 s39, 22
	s_mov_b64 s[34:35], -1
	s_cbranch_scc0 .LBB536_732
; %bb.701:
	s_cmp_lt_i32 s39, 24
	s_mov_b64 s[30:31], -1
	s_cbranch_scc1 .LBB536_721
; %bb.702:
	s_cmp_gt_i32 s39, 24
	s_cbranch_scc0 .LBB536_710
; %bb.703:
	v_lshlrev_b32_e32 v6, 16, v2
	v_and_b32_e32 v5, 0x7fffffff, v6
	s_mov_b32 s30, 0x47800000
	v_cmp_gt_u32_e32 vcc, s30, v5
	v_mov_b32_e32 v7, 0x80
	s_and_saveexec_b64 s[30:31], vcc
	s_cbranch_execz .LBB536_709
; %bb.704:
	s_mov_b32 s34, 0x37ffffff
	v_and_b32_e32 v3, 0xffff, v2
	v_cmp_lt_u32_e32 vcc, s34, v5
	s_mov_b64 s[34:35], 0
                                        ; implicit-def: $vgpr5
	s_and_saveexec_b64 s[36:37], vcc
	s_xor_b64 s[36:37], exec, s[36:37]
	s_cbranch_execz .LBB536_800
; %bb.705:
	v_bfe_u32 v5, v3, 5, 1
	s_mov_b32 s41, 0x88fffff
	v_add3_u32 v5, v6, v5, s41
	s_mov_b64 s[34:35], exec
	v_lshrrev_b32_e32 v5, 21, v5
                                        ; implicit-def: $vgpr6
	s_andn2_saveexec_b64 s[36:37], s[36:37]
	s_cbranch_execnz .LBB536_801
.LBB536_706:
	s_or_b64 exec, exec, s[36:37]
	v_mov_b32_e32 v7, 0
	s_and_saveexec_b64 s[36:37], s[34:35]
.LBB536_707:
	v_lshrrev_b32_e32 v3, 8, v3
	s_movk_i32 s34, 0x80
	v_and_or_b32 v7, v3, s34, v5
.LBB536_708:
	s_or_b64 exec, exec, s[36:37]
.LBB536_709:
	s_or_b64 exec, exec, s[30:31]
	s_mov_b64 s[30:31], 0
	global_store_byte v[0:1], v7, off
.LBB536_710:
	s_and_b64 vcc, exec, s[30:31]
	s_cbranch_vccz .LBB536_720
; %bb.711:
	v_lshlrev_b32_e32 v6, 16, v2
	v_and_b32_e32 v7, 0x7fffffff, v6
	s_mov_b32 s30, 0x43f00000
	v_and_b32_e32 v3, 0xffff, v2
	v_cmp_gt_u32_e32 vcc, s30, v7
                                        ; implicit-def: $vgpr5
	s_and_saveexec_b64 s[30:31], vcc
	s_xor_b64 s[30:31], exec, s[30:31]
	s_cbranch_execz .LBB536_717
; %bb.712:
	s_mov_b32 s34, 0x3c7fffff
	v_cmp_lt_u32_e32 vcc, s34, v7
                                        ; implicit-def: $vgpr5
	s_and_saveexec_b64 s[34:35], vcc
	s_xor_b64 s[34:35], exec, s[34:35]
; %bb.713:
	v_bfe_u32 v5, v3, 4, 1
	s_mov_b32 s36, 0x407ffff
	v_add3_u32 v5, v6, v5, s36
	v_lshrrev_b32_e32 v6, 20, v5
	v_and_b32_e32 v5, 0xff00000, v5
	s_mov_b32 s36, 0x7f00000
	v_mov_b32_e32 v7, 0x7e
	v_cmp_ne_u32_e32 vcc, s36, v5
	s_nop 1
	v_cndmask_b32_e32 v5, v7, v6, vcc
                                        ; implicit-def: $vgpr6
; %bb.714:
	s_andn2_saveexec_b64 s[34:35], s[34:35]
; %bb.715:
	s_mov_b32 s36, 0x46800000
	v_add_f32_e64 v5, |v6|, s36
; %bb.716:
	s_or_b64 exec, exec, s[34:35]
                                        ; implicit-def: $vgpr7
.LBB536_717:
	s_andn2_saveexec_b64 s[30:31], s[30:31]
; %bb.718:
	s_mov_b32 s34, 0x7f800000
	v_mov_b32_e32 v5, 0x7e
	v_mov_b32_e32 v6, 0x7f
	v_cmp_lt_u32_e32 vcc, s34, v7
	s_nop 1
	v_cndmask_b32_e32 v5, v5, v6, vcc
; %bb.719:
	s_or_b64 exec, exec, s[30:31]
	v_lshrrev_b32_e32 v3, 8, v3
	s_movk_i32 s30, 0x80
	v_and_or_b32 v3, v3, s30, v5
	global_store_byte v[0:1], v3, off
.LBB536_720:
	s_mov_b64 s[30:31], 0
.LBB536_721:
	s_andn2_b64 vcc, exec, s[30:31]
	s_cbranch_vccnz .LBB536_731
; %bb.722:
	v_lshlrev_b32_e32 v6, 16, v2
	v_and_b32_e32 v7, 0x7fffffff, v6
	s_mov_b32 s30, 0x47800000
	v_and_b32_e32 v3, 0xffff, v2
	v_cmp_gt_u32_e32 vcc, s30, v7
                                        ; implicit-def: $vgpr5
	s_and_saveexec_b64 s[30:31], vcc
	s_xor_b64 s[30:31], exec, s[30:31]
	s_cbranch_execz .LBB536_728
; %bb.723:
	s_mov_b32 s34, 0x387fffff
	v_cmp_lt_u32_e32 vcc, s34, v7
                                        ; implicit-def: $vgpr5
	s_and_saveexec_b64 s[34:35], vcc
	s_xor_b64 s[34:35], exec, s[34:35]
; %bb.724:
	v_bfe_u32 v5, v3, 5, 1
	s_mov_b32 s36, 0x80fffff
	v_add3_u32 v5, v6, v5, s36
	v_lshrrev_b32_e32 v5, 21, v5
                                        ; implicit-def: $vgpr6
; %bb.725:
	s_andn2_saveexec_b64 s[34:35], s[34:35]
; %bb.726:
	s_mov_b32 s36, 0x43000000
	v_add_f32_e64 v5, |v6|, s36
; %bb.727:
	s_or_b64 exec, exec, s[34:35]
                                        ; implicit-def: $vgpr7
.LBB536_728:
	s_andn2_saveexec_b64 s[30:31], s[30:31]
; %bb.729:
	s_mov_b32 s34, 0x7f800000
	v_mov_b32_e32 v5, 0x7c
	v_mov_b32_e32 v6, 0x7f
	v_cmp_lt_u32_e32 vcc, s34, v7
	s_nop 1
	v_cndmask_b32_e32 v5, v5, v6, vcc
; %bb.730:
	s_or_b64 exec, exec, s[30:31]
	v_lshrrev_b32_e32 v3, 8, v3
	s_movk_i32 s30, 0x80
	v_and_or_b32 v3, v3, s30, v5
	global_store_byte v[0:1], v3, off
.LBB536_731:
	s_mov_b64 s[34:35], 0
	s_mov_b64 s[30:31], -1
.LBB536_732:
	s_andn2_b64 vcc, exec, s[34:35]
	s_cbranch_vccnz .LBB536_740
; %bb.733:
	s_cmp_gt_i32 s39, 14
	s_mov_b64 s[34:35], -1
	s_cbranch_scc0 .LBB536_737
; %bb.734:
	s_cmp_eq_u32 s39, 15
	s_mov_b64 s[0:1], -1
	s_cbranch_scc0 .LBB536_736
; %bb.735:
	global_store_short v[0:1], v2, off
	s_mov_b64 s[30:31], -1
	s_mov_b64 s[0:1], 0
.LBB536_736:
	s_mov_b64 s[34:35], 0
.LBB536_737:
	s_and_b64 vcc, exec, s[34:35]
	s_cbranch_vccz .LBB536_740
; %bb.738:
	s_cmp_eq_u32 s39, 11
	s_mov_b64 s[0:1], -1
	s_cbranch_scc0 .LBB536_740
; %bb.739:
	v_and_b32_e32 v3, 0x7fff, v2
	v_cmp_ne_u16_e32 vcc, 0, v3
	s_mov_b64 s[30:31], -1
	s_mov_b64 s[0:1], 0
	v_cndmask_b32_e64 v3, 0, 1, vcc
	global_store_byte v[0:1], v3, off
.LBB536_740:
	s_mov_b64 s[34:35], 0
.LBB536_741:
	s_and_b64 vcc, exec, s[34:35]
	s_cbranch_vccz .LBB536_780
; %bb.742:
	s_and_b32 s34, 0xffff, s38
	s_cmp_lt_i32 s34, 5
	s_mov_b64 s[30:31], -1
	s_cbranch_scc1 .LBB536_763
; %bb.743:
	s_cmp_lt_i32 s34, 8
	s_cbranch_scc1 .LBB536_753
; %bb.744:
	s_cmp_lt_i32 s34, 9
	s_cbranch_scc1 .LBB536_750
; %bb.745:
	s_cmp_gt_i32 s34, 9
	s_cbranch_scc0 .LBB536_747
; %bb.746:
	v_lshlrev_b32_e32 v3, 16, v2
	v_mov_b32_e32 v8, 0
	v_cvt_f64_f32_e32 v[6:7], v3
	v_mov_b32_e32 v9, v8
	s_mov_b64 s[30:31], 0
	global_store_dwordx4 v[0:1], v[6:9], off
.LBB536_747:
	s_andn2_b64 vcc, exec, s[30:31]
	s_cbranch_vccnz .LBB536_749
; %bb.748:
	v_lshlrev_b32_e32 v6, 16, v2
	v_mov_b32_e32 v7, 0
	global_store_dwordx2 v[0:1], v[6:7], off
.LBB536_749:
	s_mov_b64 s[30:31], 0
.LBB536_750:
	s_andn2_b64 vcc, exec, s[30:31]
	s_cbranch_vccnz .LBB536_752
; %bb.751:
	v_lshlrev_b32_e32 v3, 16, v2
	v_cvt_f16_f32_e32 v3, v3
	global_store_dword v[0:1], v3, off
.LBB536_752:
	s_mov_b64 s[30:31], 0
.LBB536_753:
	s_andn2_b64 vcc, exec, s[30:31]
	s_cbranch_vccnz .LBB536_762
; %bb.754:
	s_cmp_lt_i32 s34, 6
	s_mov_b64 s[30:31], -1
	s_cbranch_scc1 .LBB536_760
; %bb.755:
	s_cmp_gt_i32 s34, 6
	s_cbranch_scc0 .LBB536_757
; %bb.756:
	v_lshlrev_b32_e32 v3, 16, v2
	v_cvt_f64_f32_e32 v[6:7], v3
	s_mov_b64 s[30:31], 0
	global_store_dwordx2 v[0:1], v[6:7], off
.LBB536_757:
	s_andn2_b64 vcc, exec, s[30:31]
	s_cbranch_vccnz .LBB536_759
; %bb.758:
	v_lshlrev_b32_e32 v3, 16, v2
	global_store_dword v[0:1], v3, off
.LBB536_759:
	s_mov_b64 s[30:31], 0
.LBB536_760:
	s_andn2_b64 vcc, exec, s[30:31]
	s_cbranch_vccnz .LBB536_762
; %bb.761:
	v_lshlrev_b32_e32 v3, 16, v2
	v_cvt_f16_f32_e32 v3, v3
	global_store_short v[0:1], v3, off
.LBB536_762:
	s_mov_b64 s[30:31], 0
.LBB536_763:
	s_andn2_b64 vcc, exec, s[30:31]
	s_cbranch_vccnz .LBB536_779
; %bb.764:
	s_cmp_lt_i32 s34, 2
	s_mov_b64 s[30:31], -1
	s_cbranch_scc1 .LBB536_774
; %bb.765:
	s_cmp_lt_i32 s34, 3
	s_cbranch_scc1 .LBB536_771
; %bb.766:
	s_cmp_gt_i32 s34, 3
	s_cbranch_scc0 .LBB536_768
; %bb.767:
	v_lshlrev_b32_e32 v3, 16, v2
	v_trunc_f32_e32 v3, v3
	s_mov_b32 s30, 0x2f800000
	v_mul_f32_e64 v5, |v3|, s30
	v_floor_f32_e32 v5, v5
	s_mov_b32 s30, 0xcf800000
	v_cvt_u32_f32_e32 v6, v5
	v_fma_f32 v5, v5, s30, |v3|
	v_cvt_u32_f32_e32 v5, v5
	v_ashrrev_i32_e32 v3, 31, v3
	v_xor_b32_e32 v7, v6, v3
	s_mov_b64 s[30:31], 0
	v_xor_b32_e32 v5, v5, v3
	v_sub_co_u32_e32 v6, vcc, v5, v3
	s_nop 1
	v_subb_co_u32_e32 v7, vcc, v7, v3, vcc
	global_store_dwordx2 v[0:1], v[6:7], off
.LBB536_768:
	s_andn2_b64 vcc, exec, s[30:31]
	s_cbranch_vccnz .LBB536_770
; %bb.769:
	v_lshlrev_b32_e32 v3, 16, v2
	v_cvt_i32_f32_e32 v3, v3
	global_store_dword v[0:1], v3, off
.LBB536_770:
	s_mov_b64 s[30:31], 0
.LBB536_771:
	s_andn2_b64 vcc, exec, s[30:31]
	s_cbranch_vccnz .LBB536_773
; %bb.772:
	v_lshlrev_b32_e32 v3, 16, v2
	v_cvt_i32_f32_e32 v3, v3
	global_store_short v[0:1], v3, off
.LBB536_773:
	s_mov_b64 s[30:31], 0
.LBB536_774:
	s_andn2_b64 vcc, exec, s[30:31]
	s_cbranch_vccnz .LBB536_779
; %bb.775:
	s_mov_b64 s[30:31], -1
	s_cmp_gt_i32 s34, 0
	v_lshlrev_b32_e32 v2, 16, v2
	s_cbranch_scc0 .LBB536_777
; %bb.776:
	v_cvt_i32_f32_e32 v3, v2
	s_mov_b64 s[30:31], 0
	global_store_byte v[0:1], v3, off
.LBB536_777:
	s_andn2_b64 vcc, exec, s[30:31]
	s_cbranch_vccnz .LBB536_779
; %bb.778:
	v_trunc_f32_e32 v2, v2
	s_mov_b32 s30, 0x2f800000
	v_mul_f32_e64 v3, |v2|, s30
	v_floor_f32_e32 v3, v3
	s_mov_b32 s30, 0xcf800000
	v_fma_f32 v3, v3, s30, |v2|
	v_cvt_u32_f32_e32 v3, v3
	v_ashrrev_i32_e32 v2, 31, v2
	v_xor_b32_e32 v3, v3, v2
	v_sub_u32_e32 v2, v3, v2
	global_store_byte v[0:1], v2, off
.LBB536_779:
	s_mov_b64 s[30:31], -1
.LBB536_780:
	s_andn2_b64 vcc, exec, s[30:31]
	s_cbranch_vccnz .LBB536_782
; %bb.781:
	v_add_u32_e32 v4, 0x80, v4
	s_mov_b64 s[34:35], -1
	s_branch .LBB536_783
.LBB536_782:
	s_mov_b64 s[34:35], 0
                                        ; implicit-def: $vgpr4
.LBB536_783:
	s_andn2_b64 s[30:31], s[22:23], exec
	s_and_b64 s[0:1], s[0:1], exec
	s_or_b64 s[30:31], s[30:31], s[0:1]
	s_andn2_b64 s[0:1], s[20:21], exec
	s_and_b64 s[28:29], s[28:29], exec
	s_or_b64 s[0:1], s[0:1], s[28:29]
	s_orn2_b64 s[36:37], s[34:35], exec
.LBB536_784:
	s_or_b64 exec, exec, s[26:27]
	s_mov_b64 s[34:35], 0
	s_mov_b64 s[28:29], 0
	;; [unrolled: 1-line block ×3, first 2 shown]
                                        ; implicit-def: $vgpr0_vgpr1
                                        ; implicit-def: $vgpr3
	s_and_saveexec_b64 s[26:27], s[36:37]
	s_cbranch_execz .LBB536_869
; %bb.785:
	v_cmp_gt_i32_e32 vcc, s40, v4
	s_mov_b64 s[36:37], 0
	s_mov_b64 s[40:41], s[0:1]
	;; [unrolled: 1-line block ×3, first 2 shown]
                                        ; implicit-def: $vgpr0_vgpr1
                                        ; implicit-def: $vgpr3
	s_and_saveexec_b64 s[28:29], vcc
	s_cbranch_execz .LBB536_868
; %bb.786:
	v_mul_lo_u32 v0, v4, s9
	v_ashrrev_i32_e32 v1, 31, v0
	s_and_b32 s46, 0xffff, s45
	s_cmp_lt_i32 s46, 11
	v_lshl_add_u64 v[0:1], s[6:7], 0, v[0:1]
	s_cbranch_scc1 .LBB536_793
; %bb.787:
	s_cmp_gt_i32 s46, 25
	s_cbranch_scc0 .LBB536_794
; %bb.788:
	s_cmp_gt_i32 s46, 28
	s_cbranch_scc0 .LBB536_795
	;; [unrolled: 3-line block ×4, first 2 shown]
; %bb.791:
	s_cmp_eq_u32 s46, 46
	s_mov_b64 s[40:41], 0
	s_cbranch_scc0 .LBB536_802
; %bb.792:
	global_load_dword v3, v[0:1], off
	s_mov_b64 s[38:39], -1
	s_branch .LBB536_804
.LBB536_793:
	s_mov_b64 s[40:41], -1
                                        ; implicit-def: $vgpr3
	s_mov_b64 s[34:35], s[0:1]
	s_branch .LBB536_867
.LBB536_794:
	s_mov_b64 s[40:41], -1
	s_mov_b64 s[34:35], s[0:1]
                                        ; implicit-def: $vgpr3
	s_branch .LBB536_833
.LBB536_795:
	s_mov_b64 s[40:41], -1
	s_mov_b64 s[34:35], s[0:1]
                                        ; implicit-def: $vgpr3
	s_branch .LBB536_814
.LBB536_796:
	s_mov_b64 s[40:41], -1
	s_mov_b64 s[34:35], s[0:1]
                                        ; implicit-def: $vgpr3
	s_branch .LBB536_809
.LBB536_797:
	s_andn2_saveexec_b64 s[36:37], s[36:37]
	s_cbranch_execz .LBB536_693
.LBB536_798:
	s_mov_b32 s41, 0x46000000
	v_add_f32_e64 v5, |v6|, s41
	v_and_b32_e32 v5, 0xff, v5
	v_cmp_ne_u32_e32 vcc, 0, v5
	s_andn2_b64 s[34:35], s[34:35], exec
	s_and_b64 s[42:43], vcc, exec
	s_or_b64 s[34:35], s[34:35], s[42:43]
	s_or_b64 exec, exec, s[36:37]
	v_mov_b32_e32 v7, 0
	s_and_saveexec_b64 s[36:37], s[34:35]
	s_cbranch_execnz .LBB536_694
	s_branch .LBB536_695
.LBB536_799:
	s_mov_b64 s[40:41], -1
	s_mov_b64 s[34:35], s[0:1]
	s_branch .LBB536_803
.LBB536_800:
	s_andn2_saveexec_b64 s[36:37], s[36:37]
	s_cbranch_execz .LBB536_706
.LBB536_801:
	s_mov_b32 s41, 0x42800000
	v_add_f32_e64 v5, |v6|, s41
	v_and_b32_e32 v5, 0xff, v5
	v_cmp_ne_u32_e32 vcc, 0, v5
	s_andn2_b64 s[34:35], s[34:35], exec
	s_and_b64 s[42:43], vcc, exec
	s_or_b64 s[34:35], s[34:35], s[42:43]
	s_or_b64 exec, exec, s[36:37]
	v_mov_b32_e32 v7, 0
	s_and_saveexec_b64 s[36:37], s[34:35]
	s_cbranch_execnz .LBB536_707
	s_branch .LBB536_708
.LBB536_802:
	s_mov_b64 s[34:35], -1
.LBB536_803:
                                        ; implicit-def: $vgpr3
.LBB536_804:
	s_and_b64 vcc, exec, s[40:41]
	s_cbranch_vccz .LBB536_808
; %bb.805:
	s_cmp_eq_u32 s46, 44
	s_cbranch_scc0 .LBB536_807
; %bb.806:
	global_load_ubyte v2, v[0:1], off
	s_movk_i32 s38, 0xff
	s_waitcnt vmcnt(1)
	v_mov_b32_e32 v3, 0x7f800001
	v_mov_b32_e32 v5, 0x400000
	v_mov_b32_e32 v6, 0x7fc0
	s_mov_b64 s[34:35], 0
	s_waitcnt vmcnt(0)
	v_lshlrev_b32_e32 v7, 23, v2
	v_cmp_ne_u32_e32 vcc, s38, v2
	s_mov_b64 s[38:39], -1
	s_nop 0
	v_cndmask_b32_e32 v3, v3, v7, vcc
	v_cmp_ne_u32_e32 vcc, 0, v2
	s_nop 1
	v_cndmask_b32_e32 v2, v5, v3, vcc
	v_add_u32_e32 v3, 0x7fff, v2
	v_cmp_o_f32_e32 vcc, v2, v2
	s_nop 1
	v_cndmask_b32_sdwa v3, v6, v3, vcc dst_sel:DWORD dst_unused:UNUSED_PAD src0_sel:DWORD src1_sel:WORD_1
	s_branch .LBB536_808
.LBB536_807:
	s_mov_b64 s[34:35], -1
                                        ; implicit-def: $vgpr3
.LBB536_808:
	s_mov_b64 s[40:41], 0
.LBB536_809:
	s_and_b64 vcc, exec, s[40:41]
	s_cbranch_vccz .LBB536_813
; %bb.810:
	s_cmp_eq_u32 s46, 29
	s_cbranch_scc0 .LBB536_812
; %bb.811:
	global_load_dwordx2 v[2:3], v[0:1], off
	s_movk_i32 s38, 0x7fff
	s_mov_b64 s[34:35], 0
	s_mov_b64 s[40:41], 0
	s_waitcnt vmcnt(0)
	v_ffbh_u32_e32 v5, v3
	v_min_u32_e32 v5, 32, v5
	v_lshlrev_b64 v[2:3], v5, v[2:3]
	v_min_u32_e32 v2, 1, v2
	v_or_b32_e32 v2, v3, v2
	v_cvt_f32_u32_e32 v2, v2
	v_sub_u32_e32 v3, 32, v5
	v_ldexp_f32 v2, v2, v3
	v_bfe_u32 v3, v2, 16, 1
	v_add3_u32 v2, v2, v3, s38
	v_lshrrev_b32_e32 v3, 16, v2
	s_mov_b64 s[38:39], -1
	s_branch .LBB536_814
.LBB536_812:
	s_mov_b64 s[34:35], -1
                                        ; implicit-def: $vgpr3
.LBB536_813:
	s_mov_b64 s[40:41], 0
.LBB536_814:
	s_and_b64 vcc, exec, s[40:41]
	s_cbranch_vccz .LBB536_832
; %bb.815:
	s_cmp_lt_i32 s46, 27
	s_cbranch_scc1 .LBB536_818
; %bb.816:
	s_cmp_gt_i32 s46, 27
	s_cbranch_scc0 .LBB536_819
; %bb.817:
	global_load_dword v2, v[0:1], off
	s_movk_i32 s38, 0x7fff
	s_waitcnt vmcnt(0)
	v_cvt_f32_u32_e32 v2, v2
	v_bfe_u32 v3, v2, 16, 1
	v_add3_u32 v2, v2, v3, s38
	v_lshrrev_b32_e32 v3, 16, v2
	s_mov_b64 s[38:39], 0
	s_branch .LBB536_820
.LBB536_818:
	s_mov_b64 s[38:39], -1
                                        ; implicit-def: $vgpr3
	s_branch .LBB536_823
.LBB536_819:
	s_mov_b64 s[38:39], -1
                                        ; implicit-def: $vgpr3
.LBB536_820:
	s_andn2_b64 vcc, exec, s[38:39]
	s_cbranch_vccnz .LBB536_822
; %bb.821:
	global_load_ushort v2, v[0:1], off
	s_movk_i32 s38, 0x7fff
	s_waitcnt vmcnt(0)
	v_cvt_f32_u32_e32 v2, v2
	v_bfe_u32 v3, v2, 16, 1
	v_add3_u32 v2, v2, v3, s38
	v_lshrrev_b32_e32 v3, 16, v2
.LBB536_822:
	s_mov_b64 s[38:39], 0
.LBB536_823:
	s_andn2_b64 vcc, exec, s[38:39]
	s_cbranch_vccnz .LBB536_831
; %bb.824:
	global_load_ubyte v2, v[0:1], off
	s_movk_i32 s38, 0x7f
	s_waitcnt vmcnt(0)
	v_cmp_lt_i16_e32 vcc, s38, v2
	s_mov_b64 s[38:39], 0
	s_and_saveexec_b64 s[40:41], vcc
	s_xor_b64 s[40:41], exec, s[40:41]
	s_cbranch_execz .LBB536_845
; %bb.825:
	s_movk_i32 s38, 0x80
	v_cmp_eq_u16_e32 vcc, s38, v2
	s_mov_b64 s[38:39], -1
	s_and_saveexec_b64 s[42:43], vcc
; %bb.826:
	s_xor_b64 s[38:39], exec, -1
; %bb.827:
	s_or_b64 exec, exec, s[42:43]
	s_and_b64 s[38:39], s[38:39], exec
	s_or_saveexec_b64 s[40:41], s[40:41]
	v_mov_b32_e32 v3, 0x7f800001
	s_xor_b64 exec, exec, s[40:41]
	s_cbranch_execnz .LBB536_846
.LBB536_828:
	s_or_b64 exec, exec, s[40:41]
	s_and_saveexec_b64 s[40:41], s[38:39]
	s_cbranch_execz .LBB536_830
.LBB536_829:
	v_lshlrev_b32_e32 v3, 24, v2
	v_and_b32_e32 v2, 0xffff, v2
	v_and_b32_e32 v5, 7, v2
	v_ffbh_u32_e32 v7, v5
	v_min_u32_e32 v7, 32, v7
	v_subrev_u32_e32 v8, 28, v7
	v_bfe_u32 v6, v2, 3, 4
	v_lshlrev_b32_e32 v2, v8, v2
	v_sub_u32_e32 v7, 29, v7
	v_and_b32_e32 v2, 7, v2
	v_cmp_eq_u32_e32 vcc, 0, v6
	v_and_b32_e32 v3, 0x80000000, v3
	s_nop 0
	v_cndmask_b32_e32 v6, v6, v7, vcc
	v_cndmask_b32_e32 v2, v5, v2, vcc
	v_mov_b32_e32 v5, 0x3b800000
	v_lshlrev_b32_e32 v2, 20, v2
	v_lshl_add_u32 v5, v6, 23, v5
	v_or3_b32 v3, v3, v5, v2
.LBB536_830:
	s_or_b64 exec, exec, s[40:41]
	v_bfe_u32 v2, v3, 16, 1
	s_movk_i32 s38, 0x7fff
	v_add3_u32 v2, v3, v2, s38
	v_cmp_o_f32_e32 vcc, v3, v3
	v_mov_b32_e32 v3, 0x7fc0
	s_nop 0
	v_cndmask_b32_sdwa v3, v3, v2, vcc dst_sel:DWORD dst_unused:UNUSED_PAD src0_sel:DWORD src1_sel:WORD_1
.LBB536_831:
	s_mov_b64 s[38:39], -1
.LBB536_832:
	s_mov_b64 s[40:41], 0
.LBB536_833:
	s_and_b64 vcc, exec, s[40:41]
	s_cbranch_vccz .LBB536_866
; %bb.834:
	s_cmp_gt_i32 s46, 22
	s_cbranch_scc0 .LBB536_844
; %bb.835:
	s_cmp_lt_i32 s46, 24
	s_cbranch_scc1 .LBB536_847
; %bb.836:
	s_cmp_gt_i32 s46, 24
	s_cbranch_scc0 .LBB536_848
; %bb.837:
	global_load_ubyte v2, v[0:1], off
	s_movk_i32 s36, 0x7f
	s_waitcnt vmcnt(0)
	v_cmp_lt_i16_e32 vcc, s36, v2
	s_mov_b64 s[36:37], 0
	s_and_saveexec_b64 s[38:39], vcc
	s_xor_b64 s[38:39], exec, s[38:39]
	s_cbranch_execz .LBB536_860
; %bb.838:
	s_movk_i32 s36, 0x80
	v_cmp_eq_u16_e32 vcc, s36, v2
	s_mov_b64 s[36:37], -1
	s_and_saveexec_b64 s[40:41], vcc
; %bb.839:
	s_xor_b64 s[36:37], exec, -1
; %bb.840:
	s_or_b64 exec, exec, s[40:41]
	s_and_b64 s[36:37], s[36:37], exec
	s_or_saveexec_b64 s[38:39], s[38:39]
	v_mov_b32_e32 v3, 0x7f800001
	s_xor_b64 exec, exec, s[38:39]
	s_cbranch_execnz .LBB536_861
.LBB536_841:
	s_or_b64 exec, exec, s[38:39]
	s_and_saveexec_b64 s[38:39], s[36:37]
	s_cbranch_execz .LBB536_843
.LBB536_842:
	v_lshlrev_b32_e32 v3, 24, v2
	v_and_b32_e32 v2, 0xffff, v2
	v_and_b32_e32 v5, 3, v2
	v_ffbh_u32_e32 v7, v5
	v_min_u32_e32 v7, 32, v7
	v_subrev_u32_e32 v8, 29, v7
	v_bfe_u32 v6, v2, 2, 5
	v_lshlrev_b32_e32 v2, v8, v2
	v_sub_u32_e32 v7, 30, v7
	v_and_b32_e32 v2, 3, v2
	v_cmp_eq_u32_e32 vcc, 0, v6
	v_and_b32_e32 v3, 0x80000000, v3
	s_nop 0
	v_cndmask_b32_e32 v6, v6, v7, vcc
	v_cndmask_b32_e32 v2, v5, v2, vcc
	v_mov_b32_e32 v5, 0x37800000
	v_lshlrev_b32_e32 v2, 21, v2
	v_lshl_add_u32 v5, v6, 23, v5
	v_or3_b32 v3, v3, v5, v2
.LBB536_843:
	s_or_b64 exec, exec, s[38:39]
	v_bfe_u32 v2, v3, 16, 1
	s_movk_i32 s36, 0x7fff
	v_add3_u32 v2, v3, v2, s36
	v_cmp_o_f32_e32 vcc, v3, v3
	v_mov_b32_e32 v3, 0x7fc0
	s_mov_b64 s[36:37], 0
	v_cndmask_b32_sdwa v3, v3, v2, vcc dst_sel:DWORD dst_unused:UNUSED_PAD src0_sel:DWORD src1_sel:WORD_1
	s_branch .LBB536_849
.LBB536_844:
	s_mov_b64 s[36:37], -1
                                        ; implicit-def: $vgpr3
	s_branch .LBB536_855
.LBB536_845:
	s_or_saveexec_b64 s[40:41], s[40:41]
	v_mov_b32_e32 v3, 0x7f800001
	s_xor_b64 exec, exec, s[40:41]
	s_cbranch_execz .LBB536_828
.LBB536_846:
	v_cmp_ne_u16_e32 vcc, 0, v2
	s_andn2_b64 s[38:39], s[38:39], exec
	s_and_b64 s[42:43], vcc, exec
	v_mov_b32_e32 v3, 0
	s_or_b64 s[38:39], s[38:39], s[42:43]
	s_or_b64 exec, exec, s[40:41]
	s_and_saveexec_b64 s[40:41], s[38:39]
	s_cbranch_execnz .LBB536_829
	s_branch .LBB536_830
.LBB536_847:
	s_mov_b64 s[36:37], -1
                                        ; implicit-def: $vgpr3
	s_branch .LBB536_852
.LBB536_848:
	s_mov_b64 s[36:37], -1
                                        ; implicit-def: $vgpr3
.LBB536_849:
	s_and_b64 vcc, exec, s[36:37]
	s_cbranch_vccz .LBB536_851
; %bb.850:
	global_load_ubyte v2, v[0:1], off
	s_mov_b32 s36, 0x7f800000
	s_brev_b32 s37, 1
	s_movk_i32 s38, 0x7fff
	s_waitcnt vmcnt(0)
	v_lshlrev_b32_e32 v2, 24, v2
	v_and_b32_e32 v3, 0x7f000000, v2
	v_ffbh_u32_e32 v5, v3
	v_min_u32_e32 v5, 32, v5
	v_sub_u32_e64 v5, v5, 4 clamp
	v_lshlrev_b32_e32 v7, v5, v3
	v_lshlrev_b32_e32 v5, 23, v5
	v_lshrrev_b32_e32 v7, 4, v7
	v_add_u32_e32 v6, 0x1000000, v3
	v_sub_u32_e32 v5, v7, v5
	v_ashrrev_i32_e32 v6, 8, v6
	v_add_u32_e32 v5, 0x3c000000, v5
	v_and_or_b32 v5, v6, s36, v5
	v_cmp_ne_u32_e32 vcc, 0, v3
	s_nop 1
	v_cndmask_b32_e32 v3, 0, v5, vcc
	v_and_or_b32 v2, v2, s37, v3
	v_bfe_u32 v3, v3, 16, 1
	v_add3_u32 v3, v2, v3, s38
	v_cmp_o_f32_e32 vcc, v2, v2
	v_mov_b32_e32 v2, 0x7fc0
	s_nop 0
	v_cndmask_b32_sdwa v3, v2, v3, vcc dst_sel:DWORD dst_unused:UNUSED_PAD src0_sel:DWORD src1_sel:WORD_1
.LBB536_851:
	s_mov_b64 s[36:37], 0
.LBB536_852:
	s_andn2_b64 vcc, exec, s[36:37]
	s_cbranch_vccnz .LBB536_854
; %bb.853:
	global_load_ubyte v2, v[0:1], off
	s_movk_i32 s36, 0x7f00
	s_brev_b32 s37, 16
	s_brev_b32 s38, 1
	s_movk_i32 s39, 0x7fff
	s_waitcnt vmcnt(0)
	v_lshlrev_b16_e32 v3, 8, v2
	v_lshlrev_b32_e32 v2, 25, v2
	v_lshrrev_b32_e32 v5, 4, v2
	v_and_or_b32 v6, v3, s36, 0.5
	v_or_b32_e32 v5, 0x70000000, v5
	v_add_f32_e32 v6, -0.5, v6
	v_mul_f32_e32 v5, 0x7800000, v5
	v_cmp_gt_u32_e32 vcc, s37, v2
	v_bfe_i32 v3, v3, 0, 16
	s_nop 0
	v_cndmask_b32_e32 v2, v5, v6, vcc
	v_and_or_b32 v3, v3, s38, v2
	v_bfe_u32 v2, v2, 16, 1
	v_add3_u32 v2, v3, v2, s39
	v_cmp_o_f32_e32 vcc, v3, v3
	v_mov_b32_e32 v3, 0x7fc0
	s_nop 0
	v_cndmask_b32_sdwa v3, v3, v2, vcc dst_sel:DWORD dst_unused:UNUSED_PAD src0_sel:DWORD src1_sel:WORD_1
.LBB536_854:
	s_mov_b64 s[36:37], 0
	s_mov_b64 s[38:39], -1
.LBB536_855:
	s_andn2_b64 vcc, exec, s[36:37]
	s_mov_b64 s[36:37], 0
	s_cbranch_vccnz .LBB536_866
; %bb.856:
	s_cmp_gt_i32 s46, 14
	s_cbranch_scc0 .LBB536_859
; %bb.857:
	s_cmp_eq_u32 s46, 15
	s_cbranch_scc0 .LBB536_862
; %bb.858:
	global_load_ushort v3, v[0:1], off
	s_mov_b64 s[34:35], 0
	s_mov_b64 s[38:39], -1
	s_branch .LBB536_863
.LBB536_859:
	s_mov_b64 s[40:41], -1
                                        ; implicit-def: $vgpr3
	s_branch .LBB536_864
.LBB536_860:
	s_or_saveexec_b64 s[38:39], s[38:39]
	v_mov_b32_e32 v3, 0x7f800001
	s_xor_b64 exec, exec, s[38:39]
	s_cbranch_execz .LBB536_841
.LBB536_861:
	v_cmp_ne_u16_e32 vcc, 0, v2
	s_andn2_b64 s[36:37], s[36:37], exec
	s_and_b64 s[40:41], vcc, exec
	v_mov_b32_e32 v3, 0
	s_or_b64 s[36:37], s[36:37], s[40:41]
	s_or_b64 exec, exec, s[38:39]
	s_and_saveexec_b64 s[38:39], s[36:37]
	s_cbranch_execnz .LBB536_842
	s_branch .LBB536_843
.LBB536_862:
	s_mov_b64 s[34:35], -1
                                        ; implicit-def: $vgpr3
.LBB536_863:
	s_mov_b64 s[40:41], 0
.LBB536_864:
	s_and_b64 vcc, exec, s[40:41]
	s_cbranch_vccz .LBB536_866
; %bb.865:
	s_cmp_lg_u32 s46, 11
	s_cselect_b64 s[40:41], -1, 0
	s_andn2_b64 s[34:35], s[34:35], exec
	s_and_b64 s[40:41], s[40:41], exec
	s_mov_b64 s[36:37], -1
	s_or_b64 s[34:35], s[34:35], s[40:41]
.LBB536_866:
	s_mov_b64 s[40:41], 0
.LBB536_867:
	s_and_b64 s[42:43], s[40:41], exec
	s_andn2_b64 s[40:41], s[0:1], exec
	s_and_b64 s[34:35], s[34:35], exec
	s_and_b64 s[38:39], s[38:39], exec
	;; [unrolled: 1-line block ×3, first 2 shown]
	s_or_b64 s[40:41], s[40:41], s[34:35]
.LBB536_868:
	s_or_b64 exec, exec, s[28:29]
	s_and_b64 s[34:35], s[36:37], exec
	s_andn2_b64 s[0:1], s[0:1], exec
	s_and_b64 s[36:37], s[40:41], exec
	s_and_b64 s[38:39], s[38:39], exec
	;; [unrolled: 1-line block ×3, first 2 shown]
	s_or_b64 s[0:1], s[0:1], s[36:37]
.LBB536_869:
	s_or_b64 exec, exec, s[26:27]
	s_andn2_b64 s[22:23], s[22:23], exec
	s_and_b64 s[26:27], s[30:31], exec
	s_andn2_b64 s[20:21], s[20:21], exec
	s_and_b64 s[0:1], s[0:1], exec
	s_or_b64 s[22:23], s[22:23], s[26:27]
	s_and_b64 s[30:31], s[38:39], exec
	s_and_b64 s[28:29], s[28:29], exec
	;; [unrolled: 1-line block ×3, first 2 shown]
	s_or_b64 s[20:21], s[20:21], s[0:1]
.LBB536_870:
	s_or_b64 exec, exec, s[24:25]
	s_andn2_b64 s[0:1], s[14:15], exec
	s_and_b64 s[14:15], s[22:23], exec
	s_andn2_b64 s[16:17], s[16:17], exec
	s_and_b64 s[20:21], s[20:21], exec
	s_or_b64 s[14:15], s[0:1], s[14:15]
	s_and_b64 s[0:1], s[30:31], exec
	s_and_b64 s[24:25], s[28:29], exec
	;; [unrolled: 1-line block ×3, first 2 shown]
	s_or_b64 s[16:17], s[16:17], s[20:21]
	s_or_b64 exec, exec, s[18:19]
	s_mov_b64 s[18:19], 0
	s_and_saveexec_b64 s[20:21], s[16:17]
	s_cbranch_execz .LBB536_266
.LBB536_871:
	s_mov_b64 s[18:19], exec
	s_andn2_b64 s[22:23], s[22:23], exec
	s_trap 2
	s_or_b64 exec, exec, s[20:21]
	s_and_saveexec_b64 s[16:17], s[22:23]
	s_xor_b64 s[16:17], exec, s[16:17]
	s_cbranch_execnz .LBB536_267
.LBB536_872:
	s_or_b64 exec, exec, s[16:17]
	s_and_saveexec_b64 s[16:17], s[24:25]
	s_cbranch_execz .LBB536_918
.LBB536_873:
	s_sext_i32_i16 s20, s45
	s_cmp_lt_i32 s20, 5
	s_cbranch_scc1 .LBB536_878
; %bb.874:
	s_cmp_lt_i32 s20, 8
	s_cbranch_scc1 .LBB536_879
; %bb.875:
	;; [unrolled: 3-line block ×3, first 2 shown]
	s_cmp_gt_i32 s20, 9
	s_cbranch_scc0 .LBB536_881
; %bb.877:
	global_load_dwordx2 v[2:3], v[0:1], off
	s_movk_i32 s20, 0x7fff
	v_mov_b32_e32 v5, 0x7fc0
	s_waitcnt vmcnt(0)
	v_cvt_f32_f64_e32 v2, v[2:3]
	v_bfe_u32 v3, v2, 16, 1
	v_cmp_o_f32_e32 vcc, v2, v2
	v_add3_u32 v2, v2, v3, s20
	s_mov_b64 s[20:21], 0
	v_cndmask_b32_sdwa v3, v5, v2, vcc dst_sel:DWORD dst_unused:UNUSED_PAD src0_sel:DWORD src1_sel:WORD_1
	s_branch .LBB536_882
.LBB536_878:
                                        ; implicit-def: $vgpr3
	s_branch .LBB536_899
.LBB536_879:
                                        ; implicit-def: $vgpr3
	s_branch .LBB536_888
.LBB536_880:
	s_mov_b64 s[20:21], -1
                                        ; implicit-def: $vgpr3
	s_branch .LBB536_885
.LBB536_881:
	s_mov_b64 s[20:21], -1
                                        ; implicit-def: $vgpr3
.LBB536_882:
	s_andn2_b64 vcc, exec, s[20:21]
	s_cbranch_vccnz .LBB536_884
; %bb.883:
	global_load_dword v2, v[0:1], off
	s_movk_i32 s20, 0x7fff
	s_waitcnt vmcnt(1)
	v_mov_b32_e32 v3, 0x7fc0
	s_waitcnt vmcnt(0)
	v_bfe_u32 v5, v2, 16, 1
	v_cmp_o_f32_e32 vcc, v2, v2
	v_add3_u32 v2, v2, v5, s20
	s_nop 0
	v_cndmask_b32_sdwa v3, v3, v2, vcc dst_sel:DWORD dst_unused:UNUSED_PAD src0_sel:DWORD src1_sel:WORD_1
.LBB536_884:
	s_mov_b64 s[20:21], 0
.LBB536_885:
	s_andn2_b64 vcc, exec, s[20:21]
	s_cbranch_vccnz .LBB536_887
; %bb.886:
	global_load_dword v2, v[0:1], off
	s_movk_i32 s20, 0x7fff
	v_mov_b32_e32 v5, 0x7fc0
	s_waitcnt vmcnt(0)
	v_cvt_f32_f16_e32 v3, v2
	v_cmp_o_f16_e32 vcc, v2, v2
	v_bfe_u32 v2, v3, 16, 1
	v_add3_u32 v2, v3, v2, s20
	v_cndmask_b32_sdwa v3, v5, v2, vcc dst_sel:DWORD dst_unused:UNUSED_PAD src0_sel:DWORD src1_sel:WORD_1
.LBB536_887:
	s_cbranch_execnz .LBB536_898
.LBB536_888:
	s_sext_i32_i16 s20, s45
	s_cmp_lt_i32 s20, 6
	s_cbranch_scc1 .LBB536_891
; %bb.889:
	s_cmp_gt_i32 s20, 6
	s_cbranch_scc0 .LBB536_892
; %bb.890:
	global_load_dwordx2 v[2:3], v[0:1], off
	s_movk_i32 s20, 0x7fff
	v_mov_b32_e32 v5, 0x7fc0
	s_waitcnt vmcnt(0)
	v_cvt_f32_f64_e32 v2, v[2:3]
	v_bfe_u32 v3, v2, 16, 1
	v_cmp_o_f32_e32 vcc, v2, v2
	v_add3_u32 v2, v2, v3, s20
	s_mov_b64 s[20:21], 0
	v_cndmask_b32_sdwa v3, v5, v2, vcc dst_sel:DWORD dst_unused:UNUSED_PAD src0_sel:DWORD src1_sel:WORD_1
	s_branch .LBB536_893
.LBB536_891:
	s_mov_b64 s[20:21], -1
                                        ; implicit-def: $vgpr3
	s_branch .LBB536_896
.LBB536_892:
	s_mov_b64 s[20:21], -1
                                        ; implicit-def: $vgpr3
.LBB536_893:
	s_andn2_b64 vcc, exec, s[20:21]
	s_cbranch_vccnz .LBB536_895
; %bb.894:
	global_load_dword v2, v[0:1], off
	s_movk_i32 s20, 0x7fff
	s_waitcnt vmcnt(1)
	v_mov_b32_e32 v3, 0x7fc0
	s_waitcnt vmcnt(0)
	v_bfe_u32 v5, v2, 16, 1
	v_cmp_o_f32_e32 vcc, v2, v2
	v_add3_u32 v2, v2, v5, s20
	s_nop 0
	v_cndmask_b32_sdwa v3, v3, v2, vcc dst_sel:DWORD dst_unused:UNUSED_PAD src0_sel:DWORD src1_sel:WORD_1
.LBB536_895:
	s_mov_b64 s[20:21], 0
.LBB536_896:
	s_andn2_b64 vcc, exec, s[20:21]
	s_cbranch_vccnz .LBB536_898
; %bb.897:
	global_load_ushort v2, v[0:1], off
	s_movk_i32 s20, 0x7fff
	v_mov_b32_e32 v5, 0x7fc0
	s_waitcnt vmcnt(0)
	v_cvt_f32_f16_e32 v3, v2
	v_cmp_o_f16_e32 vcc, v2, v2
	v_bfe_u32 v2, v3, 16, 1
	v_add3_u32 v2, v3, v2, s20
	v_cndmask_b32_sdwa v3, v5, v2, vcc dst_sel:DWORD dst_unused:UNUSED_PAD src0_sel:DWORD src1_sel:WORD_1
.LBB536_898:
	s_cbranch_execnz .LBB536_917
.LBB536_899:
	s_sext_i32_i16 s20, s45
	s_cmp_lt_i32 s20, 2
	s_cbranch_scc1 .LBB536_903
; %bb.900:
	s_cmp_lt_i32 s20, 3
	s_cbranch_scc1 .LBB536_904
; %bb.901:
	s_cmp_gt_i32 s20, 3
	s_cbranch_scc0 .LBB536_905
; %bb.902:
	global_load_dwordx2 v[2:3], v[0:1], off
	s_movk_i32 s20, 0x7fff
	s_waitcnt vmcnt(0)
	v_xor_b32_e32 v6, v2, v3
	v_ffbh_i32_e32 v5, v3
	v_ashrrev_i32_e32 v6, 31, v6
	v_add_u32_e32 v5, -1, v5
	v_add_u32_e32 v6, 32, v6
	v_min_u32_e32 v5, v5, v6
	v_lshlrev_b64 v[2:3], v5, v[2:3]
	v_min_u32_e32 v2, 1, v2
	v_or_b32_e32 v2, v3, v2
	v_cvt_f32_i32_e32 v2, v2
	v_sub_u32_e32 v3, 32, v5
	v_ldexp_f32 v2, v2, v3
	v_bfe_u32 v3, v2, 16, 1
	v_add3_u32 v2, v2, v3, s20
	v_lshrrev_b32_e32 v3, 16, v2
	s_mov_b64 s[20:21], 0
	s_branch .LBB536_906
.LBB536_903:
                                        ; implicit-def: $vgpr3
	s_branch .LBB536_912
.LBB536_904:
	s_mov_b64 s[20:21], -1
                                        ; implicit-def: $vgpr3
	s_branch .LBB536_909
.LBB536_905:
	s_mov_b64 s[20:21], -1
                                        ; implicit-def: $vgpr3
.LBB536_906:
	s_andn2_b64 vcc, exec, s[20:21]
	s_cbranch_vccnz .LBB536_908
; %bb.907:
	global_load_dword v2, v[0:1], off
	s_movk_i32 s20, 0x7fff
	s_waitcnt vmcnt(0)
	v_cvt_f32_i32_e32 v2, v2
	v_bfe_u32 v3, v2, 16, 1
	v_add3_u32 v2, v2, v3, s20
	v_lshrrev_b32_e32 v3, 16, v2
.LBB536_908:
	s_mov_b64 s[20:21], 0
.LBB536_909:
	s_andn2_b64 vcc, exec, s[20:21]
	s_cbranch_vccnz .LBB536_911
; %bb.910:
	global_load_sshort v2, v[0:1], off
	s_movk_i32 s20, 0x7fff
	s_waitcnt vmcnt(0)
	v_cvt_f32_i32_e32 v2, v2
	v_bfe_u32 v3, v2, 16, 1
	v_add3_u32 v2, v2, v3, s20
	v_lshrrev_b32_e32 v3, 16, v2
.LBB536_911:
	s_cbranch_execnz .LBB536_917
.LBB536_912:
	s_sext_i32_i16 s20, s45
	s_cmp_gt_i32 s20, 0
	s_cbranch_scc0 .LBB536_914
; %bb.913:
	global_load_sbyte v2, v[0:1], off
	s_movk_i32 s20, 0x7fff
	s_waitcnt vmcnt(0)
	v_cvt_f32_i32_e32 v2, v2
	v_bfe_u32 v3, v2, 16, 1
	v_add3_u32 v2, v2, v3, s20
	v_lshrrev_b32_e32 v3, 16, v2
	s_mov_b64 s[20:21], 0
	s_branch .LBB536_915
.LBB536_914:
	s_mov_b64 s[20:21], -1
                                        ; implicit-def: $vgpr3
.LBB536_915:
	s_andn2_b64 vcc, exec, s[20:21]
	s_cbranch_vccnz .LBB536_917
; %bb.916:
	global_load_ubyte v0, v[0:1], off
	s_movk_i32 s20, 0x7fff
	s_waitcnt vmcnt(0)
	v_cvt_f32_ubyte0_e32 v0, v0
	v_bfe_u32 v1, v0, 16, 1
	v_add3_u32 v0, v0, v1, s20
	v_lshrrev_b32_e32 v3, 16, v0
.LBB536_917:
	s_or_b64 s[0:1], s[0:1], exec
.LBB536_918:
	s_or_b64 exec, exec, s[16:17]
	s_mov_b64 s[22:23], 0
	s_mov_b64 s[20:21], 0
                                        ; implicit-def: $sgpr28
                                        ; implicit-def: $vgpr0_vgpr1
                                        ; implicit-def: $vgpr2
	s_and_saveexec_b64 s[16:17], s[0:1]
	s_cbranch_execz .LBB536_940
; %bb.919:
	s_waitcnt vmcnt(0)
	v_lshlrev_b32_e32 v0, 16, v3
	v_cmp_o_f32_e32 vcc, v0, v0
	v_mov_b32_e32 v2, s10
	s_and_saveexec_b64 s[0:1], vcc
	s_cbranch_execz .LBB536_923
; %bb.920:
	s_mov_b32 s20, 0x7f800000
	v_cmp_neq_f32_e32 vcc, s20, v0
	v_mov_b32_e32 v2, s44
	s_and_saveexec_b64 s[20:21], vcc
; %bb.921:
	s_mov_b32 s22, 0xff800000
	v_mov_b32_e32 v1, s11
	v_cmp_eq_f32_e32 vcc, s22, v0
	s_nop 1
	v_cndmask_b32_e32 v2, v3, v1, vcc
; %bb.922:
	s_or_b64 exec, exec, s[20:21]
.LBB536_923:
	s_or_b64 exec, exec, s[0:1]
	v_mul_lo_u32 v0, v4, s8
	v_ashrrev_i32_e32 v1, 31, v0
	s_and_b32 s28, s33, 0xff
	s_cmp_lt_i32 s28, 11
	v_lshl_add_u64 v[0:1], s[4:5], 0, v[0:1]
	s_cbranch_scc1 .LBB536_943
; %bb.924:
	s_and_b32 s29, 0xffff, s28
	s_mov_b64 s[22:23], -1
	s_cmp_gt_i32 s29, 25
	s_mov_b64 s[0:1], s[14:15]
	s_cbranch_scc0 .LBB536_961
; %bb.925:
	s_mov_b64 s[20:21], -1
	s_cmp_gt_i32 s29, 28
	s_mov_b64 s[0:1], s[14:15]
	s_cbranch_scc0 .LBB536_945
; %bb.926:
	s_cmp_gt_i32 s29, 43
	s_mov_b64 s[0:1], s[14:15]
	s_cbranch_scc0 .LBB536_937
; %bb.927:
	;; [unrolled: 4-line block ×3, first 2 shown]
	s_cmp_eq_u32 s29, 46
	s_mov_b64 s[0:1], -1
	s_cbranch_scc0 .LBB536_930
; %bb.929:
	v_and_b32_e32 v3, 0xffff, v2
	global_store_dword v[0:1], v3, off
	s_mov_b64 s[0:1], 0
.LBB536_930:
	s_mov_b64 s[20:21], 0
.LBB536_931:
	s_and_b64 vcc, exec, s[20:21]
	s_cbranch_vccz .LBB536_936
; %bb.932:
	s_cmp_eq_u32 s29, 44
	s_mov_b64 s[0:1], -1
	s_cbranch_scc0 .LBB536_936
; %bb.933:
	v_and_b32_e32 v4, 0xffff, v2
	v_bfe_u32 v3, v4, 7, 8
	s_movk_i32 s0, 0xff
	v_cmp_ne_u32_e32 vcc, s0, v3
	v_mov_b32_e32 v5, 0xff
	s_and_saveexec_b64 s[20:21], vcc
	s_cbranch_execz .LBB536_935
; %bb.934:
	v_lshlrev_b32_e32 v6, 16, v4
	s_mov_b32 s0, 0x3f0000
	v_lshrrev_b32_e32 v5, 7, v4
	v_and_b32_e32 v4, 64, v4
	v_and_or_b32 v3, v6, s0, v3
	v_cmp_ne_u32_e32 vcc, 0, v4
	v_cmp_ne_u32_e64 s[0:1], 0, v3
	s_and_b64 s[0:1], vcc, s[0:1]
	s_nop 0
	v_cndmask_b32_e64 v3, 0, 1, s[0:1]
	v_add_u32_e32 v5, v5, v3
.LBB536_935:
	s_or_b64 exec, exec, s[20:21]
	s_mov_b64 s[0:1], 0
	global_store_byte v[0:1], v5, off
.LBB536_936:
	s_mov_b64 s[20:21], 0
.LBB536_937:
	s_and_b64 vcc, exec, s[20:21]
	s_cbranch_vccz .LBB536_944
; %bb.938:
	s_cmp_eq_u32 s29, 29
	s_mov_b64 s[0:1], -1
	s_cbranch_scc0 .LBB536_944
; %bb.939:
	v_lshlrev_b32_e32 v3, 16, v2
	v_trunc_f32_e32 v3, v3
	v_mul_f32_e32 v4, 0x2f800000, v3
	v_floor_f32_e32 v4, v4
	v_fmamk_f32 v3, v4, 0xcf800000, v3
	v_cvt_u32_f32_e32 v5, v4
	v_cvt_u32_f32_e32 v4, v3
	s_mov_b64 s[0:1], 0
	s_mov_b64 s[20:21], 0
	global_store_dwordx2 v[0:1], v[4:5], off
	s_branch .LBB536_945
.LBB536_940:
	s_or_b64 exec, exec, s[16:17]
	s_and_saveexec_b64 s[0:1], s[14:15]
	s_cbranch_execnz .LBB536_1003
.LBB536_941:
	s_or_b64 exec, exec, s[0:1]
	s_and_saveexec_b64 s[0:1], s[22:23]
	s_xor_b64 s[0:1], exec, s[0:1]
	s_cbranch_execz .LBB536_1004
.LBB536_942:
	s_waitcnt vmcnt(0)
	v_and_b32_e32 v3, 0x7fff, v2
	v_cmp_ne_u16_e32 vcc, 0, v3
	s_nop 1
	v_cndmask_b32_e64 v3, 0, 1, vcc
	global_store_byte v[0:1], v3, off
	s_or_b64 exec, exec, s[0:1]
	s_and_saveexec_b64 s[0:1], s[20:21]
	s_xor_b64 s[0:1], exec, s[0:1]
	s_cbranch_execz .LBB536_1042
	s_branch .LBB536_1005
.LBB536_943:
	s_mov_b64 s[22:23], 0
	s_mov_b64 s[20:21], -1
	s_mov_b64 s[0:1], s[14:15]
	s_branch .LBB536_1002
.LBB536_944:
	s_mov_b64 s[20:21], 0
.LBB536_945:
	s_and_b64 vcc, exec, s[20:21]
	s_cbranch_vccz .LBB536_960
; %bb.946:
	s_cmp_lt_i32 s29, 27
	s_mov_b64 s[20:21], -1
	s_cbranch_scc1 .LBB536_952
; %bb.947:
	s_cmp_gt_i32 s29, 27
	s_cbranch_scc0 .LBB536_949
; %bb.948:
	v_lshlrev_b32_e32 v3, 16, v2
	v_cvt_u32_f32_e32 v3, v3
	s_mov_b64 s[20:21], 0
	global_store_dword v[0:1], v3, off
.LBB536_949:
	s_andn2_b64 vcc, exec, s[20:21]
	s_cbranch_vccnz .LBB536_951
; %bb.950:
	v_lshlrev_b32_e32 v3, 16, v2
	v_cvt_u32_f32_e32 v3, v3
	global_store_short v[0:1], v3, off
.LBB536_951:
	s_mov_b64 s[20:21], 0
.LBB536_952:
	s_andn2_b64 vcc, exec, s[20:21]
	s_cbranch_vccnz .LBB536_960
; %bb.953:
	v_lshlrev_b32_e32 v5, 16, v2
	v_and_b32_e32 v4, 0x7fffffff, v5
	s_mov_b32 s20, 0x43800000
	v_cmp_gt_u32_e32 vcc, s20, v4
	v_mov_b32_e32 v6, 0x80
	s_and_saveexec_b64 s[20:21], vcc
	s_cbranch_execz .LBB536_959
; %bb.954:
	s_mov_b32 s22, 0x3bffffff
	v_and_b32_e32 v3, 0xffff, v2
	v_cmp_lt_u32_e32 vcc, s22, v4
	s_mov_b64 s[22:23], 0
                                        ; implicit-def: $vgpr4
	s_and_saveexec_b64 s[24:25], vcc
	s_xor_b64 s[24:25], exec, s[24:25]
	s_cbranch_execz .LBB536_1057
; %bb.955:
	v_bfe_u32 v4, v3, 4, 1
	s_mov_b32 s26, 0x487ffff
	v_add3_u32 v4, v5, v4, s26
	s_mov_b64 s[22:23], exec
	v_lshrrev_b32_e32 v4, 20, v4
                                        ; implicit-def: $vgpr5
	s_andn2_saveexec_b64 s[24:25], s[24:25]
	s_cbranch_execnz .LBB536_1058
.LBB536_956:
	s_or_b64 exec, exec, s[24:25]
	v_mov_b32_e32 v6, 0
	s_and_saveexec_b64 s[24:25], s[22:23]
.LBB536_957:
	v_lshrrev_b32_e32 v3, 8, v3
	s_movk_i32 s22, 0x80
	v_and_or_b32 v6, v3, s22, v4
.LBB536_958:
	s_or_b64 exec, exec, s[24:25]
.LBB536_959:
	s_or_b64 exec, exec, s[20:21]
	global_store_byte v[0:1], v6, off
.LBB536_960:
	s_mov_b64 s[22:23], 0
.LBB536_961:
	s_mov_b64 s[20:21], 0
	s_and_b64 vcc, exec, s[22:23]
	s_cbranch_vccz .LBB536_1001
; %bb.962:
	s_cmp_gt_i32 s29, 22
	s_mov_b64 s[22:23], -1
	s_cbranch_scc0 .LBB536_994
; %bb.963:
	s_cmp_lt_i32 s29, 24
	s_cbranch_scc1 .LBB536_983
; %bb.964:
	s_cmp_gt_i32 s29, 24
	s_cbranch_scc0 .LBB536_972
; %bb.965:
	v_lshlrev_b32_e32 v5, 16, v2
	v_and_b32_e32 v4, 0x7fffffff, v5
	s_mov_b32 s22, 0x47800000
	v_cmp_gt_u32_e32 vcc, s22, v4
	v_mov_b32_e32 v6, 0x80
	s_and_saveexec_b64 s[22:23], vcc
	s_cbranch_execz .LBB536_971
; %bb.966:
	s_mov_b32 s24, 0x37ffffff
	v_and_b32_e32 v3, 0xffff, v2
	v_cmp_lt_u32_e32 vcc, s24, v4
	s_mov_b64 s[24:25], 0
                                        ; implicit-def: $vgpr4
	s_and_saveexec_b64 s[26:27], vcc
	s_xor_b64 s[26:27], exec, s[26:27]
	s_cbranch_execz .LBB536_1185
; %bb.967:
	v_bfe_u32 v4, v3, 5, 1
	s_mov_b32 s30, 0x88fffff
	v_add3_u32 v4, v5, v4, s30
	s_mov_b64 s[24:25], exec
	v_lshrrev_b32_e32 v4, 21, v4
                                        ; implicit-def: $vgpr5
	s_andn2_saveexec_b64 s[26:27], s[26:27]
	s_cbranch_execnz .LBB536_1186
.LBB536_968:
	s_or_b64 exec, exec, s[26:27]
	v_mov_b32_e32 v6, 0
	s_and_saveexec_b64 s[26:27], s[24:25]
.LBB536_969:
	v_lshrrev_b32_e32 v3, 8, v3
	s_movk_i32 s24, 0x80
	v_and_or_b32 v6, v3, s24, v4
.LBB536_970:
	s_or_b64 exec, exec, s[26:27]
.LBB536_971:
	s_or_b64 exec, exec, s[22:23]
	s_mov_b64 s[22:23], 0
	global_store_byte v[0:1], v6, off
.LBB536_972:
	s_and_b64 vcc, exec, s[22:23]
	s_cbranch_vccz .LBB536_982
; %bb.973:
	v_lshlrev_b32_e32 v5, 16, v2
	v_and_b32_e32 v6, 0x7fffffff, v5
	s_mov_b32 s22, 0x43f00000
	v_and_b32_e32 v3, 0xffff, v2
	v_cmp_gt_u32_e32 vcc, s22, v6
                                        ; implicit-def: $vgpr4
	s_and_saveexec_b64 s[22:23], vcc
	s_xor_b64 s[22:23], exec, s[22:23]
	s_cbranch_execz .LBB536_979
; %bb.974:
	s_mov_b32 s24, 0x3c7fffff
	v_cmp_lt_u32_e32 vcc, s24, v6
                                        ; implicit-def: $vgpr4
	s_and_saveexec_b64 s[24:25], vcc
	s_xor_b64 s[24:25], exec, s[24:25]
; %bb.975:
	v_bfe_u32 v4, v3, 4, 1
	s_mov_b32 s26, 0x407ffff
	v_add3_u32 v4, v5, v4, s26
	v_lshrrev_b32_e32 v5, 20, v4
	v_and_b32_e32 v4, 0xff00000, v4
	s_mov_b32 s26, 0x7f00000
	v_mov_b32_e32 v6, 0x7e
	v_cmp_ne_u32_e32 vcc, s26, v4
	s_nop 1
	v_cndmask_b32_e32 v4, v6, v5, vcc
                                        ; implicit-def: $vgpr5
; %bb.976:
	s_andn2_saveexec_b64 s[24:25], s[24:25]
; %bb.977:
	s_mov_b32 s26, 0x46800000
	v_add_f32_e64 v4, |v5|, s26
; %bb.978:
	s_or_b64 exec, exec, s[24:25]
                                        ; implicit-def: $vgpr6
.LBB536_979:
	s_andn2_saveexec_b64 s[22:23], s[22:23]
; %bb.980:
	s_mov_b32 s24, 0x7f800000
	v_mov_b32_e32 v4, 0x7e
	v_mov_b32_e32 v5, 0x7f
	v_cmp_lt_u32_e32 vcc, s24, v6
	s_nop 1
	v_cndmask_b32_e32 v4, v4, v5, vcc
; %bb.981:
	s_or_b64 exec, exec, s[22:23]
	v_lshrrev_b32_e32 v3, 8, v3
	s_movk_i32 s22, 0x80
	v_and_or_b32 v3, v3, s22, v4
	global_store_byte v[0:1], v3, off
.LBB536_982:
	s_mov_b64 s[22:23], 0
.LBB536_983:
	s_andn2_b64 vcc, exec, s[22:23]
	s_cbranch_vccnz .LBB536_993
; %bb.984:
	v_lshlrev_b32_e32 v5, 16, v2
	v_and_b32_e32 v6, 0x7fffffff, v5
	s_mov_b32 s22, 0x47800000
	v_and_b32_e32 v3, 0xffff, v2
	v_cmp_gt_u32_e32 vcc, s22, v6
                                        ; implicit-def: $vgpr4
	s_and_saveexec_b64 s[22:23], vcc
	s_xor_b64 s[22:23], exec, s[22:23]
	s_cbranch_execz .LBB536_990
; %bb.985:
	s_mov_b32 s24, 0x387fffff
	v_cmp_lt_u32_e32 vcc, s24, v6
                                        ; implicit-def: $vgpr4
	s_and_saveexec_b64 s[24:25], vcc
	s_xor_b64 s[24:25], exec, s[24:25]
; %bb.986:
	v_bfe_u32 v4, v3, 5, 1
	s_mov_b32 s26, 0x80fffff
	v_add3_u32 v4, v5, v4, s26
	v_lshrrev_b32_e32 v4, 21, v4
                                        ; implicit-def: $vgpr5
; %bb.987:
	s_andn2_saveexec_b64 s[24:25], s[24:25]
; %bb.988:
	s_mov_b32 s26, 0x43000000
	v_add_f32_e64 v4, |v5|, s26
; %bb.989:
	s_or_b64 exec, exec, s[24:25]
                                        ; implicit-def: $vgpr6
.LBB536_990:
	s_andn2_saveexec_b64 s[22:23], s[22:23]
; %bb.991:
	s_mov_b32 s24, 0x7f800000
	v_mov_b32_e32 v4, 0x7c
	v_mov_b32_e32 v5, 0x7f
	v_cmp_lt_u32_e32 vcc, s24, v6
	s_nop 1
	v_cndmask_b32_e32 v4, v4, v5, vcc
; %bb.992:
	s_or_b64 exec, exec, s[22:23]
	v_lshrrev_b32_e32 v3, 8, v3
	s_movk_i32 s22, 0x80
	v_and_or_b32 v3, v3, s22, v4
	global_store_byte v[0:1], v3, off
.LBB536_993:
	s_mov_b64 s[22:23], 0
.LBB536_994:
	s_andn2_b64 vcc, exec, s[22:23]
	s_mov_b64 s[22:23], 0
	s_cbranch_vccnz .LBB536_1002
; %bb.995:
	s_cmp_gt_i32 s29, 14
	s_mov_b64 s[24:25], -1
	s_cbranch_scc0 .LBB536_999
; %bb.996:
	s_cmp_eq_u32 s29, 15
	s_mov_b64 s[0:1], -1
	s_cbranch_scc0 .LBB536_998
; %bb.997:
	global_store_short v[0:1], v2, off
	s_mov_b64 s[0:1], 0
.LBB536_998:
	s_mov_b64 s[24:25], 0
.LBB536_999:
	s_and_b64 vcc, exec, s[24:25]
	s_cbranch_vccz .LBB536_1002
; %bb.1000:
	s_cmp_lg_u32 s29, 11
	s_cselect_b64 s[24:25], -1, 0
	s_andn2_b64 s[0:1], s[0:1], exec
	s_and_b64 s[24:25], s[24:25], exec
	s_mov_b64 s[22:23], -1
	s_or_b64 s[0:1], s[0:1], s[24:25]
	s_branch .LBB536_1002
.LBB536_1001:
	s_mov_b64 s[22:23], 0
.LBB536_1002:
	s_andn2_b64 s[14:15], s[14:15], exec
	s_and_b64 s[0:1], s[0:1], exec
	s_and_b64 s[20:21], s[20:21], exec
	;; [unrolled: 1-line block ×3, first 2 shown]
	s_or_b64 s[14:15], s[14:15], s[0:1]
	s_or_b64 exec, exec, s[16:17]
	s_and_saveexec_b64 s[0:1], s[14:15]
	s_cbranch_execz .LBB536_941
.LBB536_1003:
	s_or_b64 s[18:19], s[18:19], exec
	s_andn2_b64 s[22:23], s[22:23], exec
	s_trap 2
	s_or_b64 exec, exec, s[0:1]
	s_and_saveexec_b64 s[0:1], s[22:23]
	s_xor_b64 s[0:1], exec, s[0:1]
	s_cbranch_execnz .LBB536_942
.LBB536_1004:
	s_or_b64 exec, exec, s[0:1]
	s_and_saveexec_b64 s[0:1], s[20:21]
	s_xor_b64 s[0:1], exec, s[0:1]
	s_cbranch_execz .LBB536_1042
.LBB536_1005:
	s_sext_i32_i16 s16, s28
	s_cmp_lt_i32 s16, 5
	s_mov_b64 s[14:15], -1
	s_cbranch_scc1 .LBB536_1026
; %bb.1006:
	s_cmp_lt_i32 s16, 8
	s_cbranch_scc1 .LBB536_1016
; %bb.1007:
	s_cmp_lt_i32 s16, 9
	s_cbranch_scc1 .LBB536_1013
; %bb.1008:
	s_cmp_gt_i32 s16, 9
	s_cbranch_scc0 .LBB536_1010
; %bb.1009:
	s_waitcnt vmcnt(0)
	v_lshlrev_b32_e32 v3, 16, v2
	v_mov_b32_e32 v6, 0
	v_cvt_f64_f32_e32 v[4:5], v3
	v_mov_b32_e32 v7, v6
	s_mov_b64 s[14:15], 0
	global_store_dwordx4 v[0:1], v[4:7], off
.LBB536_1010:
	s_andn2_b64 vcc, exec, s[14:15]
	s_cbranch_vccnz .LBB536_1012
; %bb.1011:
	v_lshlrev_b32_e32 v4, 16, v2
	v_mov_b32_e32 v5, 0
	global_store_dwordx2 v[0:1], v[4:5], off
.LBB536_1012:
	s_mov_b64 s[14:15], 0
.LBB536_1013:
	s_andn2_b64 vcc, exec, s[14:15]
	s_cbranch_vccnz .LBB536_1015
; %bb.1014:
	s_waitcnt vmcnt(0)
	v_lshlrev_b32_e32 v3, 16, v2
	v_cvt_f16_f32_e32 v3, v3
	global_store_dword v[0:1], v3, off
.LBB536_1015:
	s_mov_b64 s[14:15], 0
.LBB536_1016:
	s_andn2_b64 vcc, exec, s[14:15]
	s_cbranch_vccnz .LBB536_1025
; %bb.1017:
	s_sext_i32_i16 s16, s28
	s_cmp_lt_i32 s16, 6
	s_mov_b64 s[14:15], -1
	s_cbranch_scc1 .LBB536_1023
; %bb.1018:
	s_cmp_gt_i32 s16, 6
	s_cbranch_scc0 .LBB536_1020
; %bb.1019:
	s_waitcnt vmcnt(0)
	v_lshlrev_b32_e32 v3, 16, v2
	v_cvt_f64_f32_e32 v[4:5], v3
	s_mov_b64 s[14:15], 0
	global_store_dwordx2 v[0:1], v[4:5], off
.LBB536_1020:
	s_andn2_b64 vcc, exec, s[14:15]
	s_cbranch_vccnz .LBB536_1022
; %bb.1021:
	s_waitcnt vmcnt(0)
	v_lshlrev_b32_e32 v3, 16, v2
	global_store_dword v[0:1], v3, off
.LBB536_1022:
	s_mov_b64 s[14:15], 0
.LBB536_1023:
	s_andn2_b64 vcc, exec, s[14:15]
	s_cbranch_vccnz .LBB536_1025
; %bb.1024:
	s_waitcnt vmcnt(0)
	v_lshlrev_b32_e32 v3, 16, v2
	v_cvt_f16_f32_e32 v3, v3
	global_store_short v[0:1], v3, off
.LBB536_1025:
	s_mov_b64 s[14:15], 0
.LBB536_1026:
	s_andn2_b64 vcc, exec, s[14:15]
	s_cbranch_vccnz .LBB536_1042
; %bb.1027:
	s_sext_i32_i16 s16, s28
	s_cmp_lt_i32 s16, 2
	s_mov_b64 s[14:15], -1
	s_cbranch_scc1 .LBB536_1037
; %bb.1028:
	s_cmp_lt_i32 s16, 3
	s_cbranch_scc1 .LBB536_1034
; %bb.1029:
	s_cmp_gt_i32 s16, 3
	s_cbranch_scc0 .LBB536_1031
; %bb.1030:
	s_waitcnt vmcnt(0)
	v_lshlrev_b32_e32 v3, 16, v2
	v_trunc_f32_e32 v3, v3
	s_mov_b32 s14, 0x2f800000
	v_mul_f32_e64 v4, |v3|, s14
	v_floor_f32_e32 v4, v4
	s_mov_b32 s14, 0xcf800000
	v_cvt_u32_f32_e32 v5, v4
	v_fma_f32 v4, v4, s14, |v3|
	v_cvt_u32_f32_e32 v4, v4
	v_ashrrev_i32_e32 v3, 31, v3
	v_xor_b32_e32 v5, v5, v3
	s_mov_b64 s[14:15], 0
	v_xor_b32_e32 v4, v4, v3
	v_sub_co_u32_e32 v4, vcc, v4, v3
	s_nop 1
	v_subb_co_u32_e32 v5, vcc, v5, v3, vcc
	global_store_dwordx2 v[0:1], v[4:5], off
.LBB536_1031:
	s_andn2_b64 vcc, exec, s[14:15]
	s_cbranch_vccnz .LBB536_1033
; %bb.1032:
	s_waitcnt vmcnt(0)
	v_lshlrev_b32_e32 v3, 16, v2
	v_cvt_i32_f32_e32 v3, v3
	global_store_dword v[0:1], v3, off
.LBB536_1033:
	s_mov_b64 s[14:15], 0
.LBB536_1034:
	s_andn2_b64 vcc, exec, s[14:15]
	s_cbranch_vccnz .LBB536_1036
; %bb.1035:
	s_waitcnt vmcnt(0)
	v_lshlrev_b32_e32 v3, 16, v2
	v_cvt_i32_f32_e32 v3, v3
	global_store_short v[0:1], v3, off
.LBB536_1036:
	s_mov_b64 s[14:15], 0
.LBB536_1037:
	s_andn2_b64 vcc, exec, s[14:15]
	s_cbranch_vccnz .LBB536_1042
; %bb.1038:
	s_sext_i32_i16 s16, s28
	s_mov_b64 s[14:15], -1
	s_cmp_gt_i32 s16, 0
	v_lshlrev_b32_e32 v2, 16, v2
	s_cbranch_scc0 .LBB536_1040
; %bb.1039:
	s_waitcnt vmcnt(0)
	v_cvt_i32_f32_e32 v3, v2
	s_mov_b64 s[14:15], 0
	global_store_byte v[0:1], v3, off
.LBB536_1040:
	s_andn2_b64 vcc, exec, s[14:15]
	s_cbranch_vccnz .LBB536_1042
; %bb.1041:
	v_trunc_f32_e32 v2, v2
	s_mov_b32 s14, 0x2f800000
	s_waitcnt vmcnt(0)
	v_mul_f32_e64 v3, |v2|, s14
	v_floor_f32_e32 v3, v3
	s_mov_b32 s14, 0xcf800000
	v_fma_f32 v3, v3, s14, |v2|
	v_cvt_u32_f32_e32 v3, v3
	v_ashrrev_i32_e32 v2, 31, v2
	v_xor_b32_e32 v3, v3, v2
	v_sub_u32_e32 v2, v3, v2
	global_store_byte v[0:1], v2, off
.LBB536_1042:
	s_or_b64 exec, exec, s[0:1]
	s_and_b64 s[14:15], s[18:19], exec
                                        ; implicit-def: $vgpr4
.LBB536_1043:
	s_or_saveexec_b64 s[12:13], s[12:13]
	s_mov_b64 s[0:1], 0
                                        ; implicit-def: $sgpr20
                                        ; implicit-def: $vgpr0_vgpr1
                                        ; implicit-def: $vgpr8
	s_xor_b64 exec, exec, s[12:13]
	s_cbranch_execz .LBB536_1652
; %bb.1044:
	v_mul_lo_u32 v0, s9, v4
	v_ashrrev_i32_e32 v1, 31, v0
	s_and_b32 s24, 0xffff, s45
	s_cmp_lt_i32 s24, 11
	s_waitcnt vmcnt(0)
	v_lshl_add_u64 v[2:3], s[6:7], 0, v[0:1]
	s_cbranch_scc1 .LBB536_1051
; %bb.1045:
	s_cmp_gt_i32 s24, 25
	s_cbranch_scc0 .LBB536_1053
; %bb.1046:
	s_cmp_gt_i32 s24, 28
	s_cbranch_scc0 .LBB536_1054
	;; [unrolled: 3-line block ×4, first 2 shown]
; %bb.1049:
	s_cmp_eq_u32 s24, 46
	s_mov_b64 s[16:17], 0
	s_cbranch_scc0 .LBB536_1059
; %bb.1050:
	global_load_dword v1, v[2:3], off
	s_mov_b64 s[18:19], -1
	s_branch .LBB536_1060
.LBB536_1051:
	s_mov_b64 s[18:19], 0
                                        ; implicit-def: $vgpr1
	s_mov_b64 s[16:17], s[14:15]
	s_cbranch_execnz .LBB536_1122
.LBB536_1052:
	s_andn2_b64 vcc, exec, s[18:19]
	s_cbranch_vccz .LBB536_1167
	s_branch .LBB536_1649
.LBB536_1053:
	s_mov_b64 s[18:19], 0
                                        ; implicit-def: $vgpr1
	s_cbranch_execnz .LBB536_1087
	s_branch .LBB536_1118
.LBB536_1054:
	s_mov_b64 s[18:19], 0
                                        ; implicit-def: $vgpr1
	s_cbranch_execz .LBB536_1086
	s_branch .LBB536_1069
.LBB536_1055:
	s_mov_b64 s[18:19], 0
                                        ; implicit-def: $vgpr1
	s_cbranch_execnz .LBB536_1065
	s_branch .LBB536_1068
.LBB536_1056:
	s_mov_b64 s[16:17], -1
	s_mov_b64 s[18:19], 0
                                        ; implicit-def: $vgpr1
	s_branch .LBB536_1060
.LBB536_1057:
	s_andn2_saveexec_b64 s[24:25], s[24:25]
	s_cbranch_execz .LBB536_956
.LBB536_1058:
	s_mov_b32 s26, 0x46000000
	v_add_f32_e64 v4, |v5|, s26
	v_and_b32_e32 v4, 0xff, v4
	v_cmp_ne_u32_e32 vcc, 0, v4
	s_andn2_b64 s[22:23], s[22:23], exec
	s_and_b64 s[26:27], vcc, exec
	s_or_b64 s[22:23], s[22:23], s[26:27]
	s_or_b64 exec, exec, s[24:25]
	v_mov_b32_e32 v6, 0
	s_and_saveexec_b64 s[24:25], s[22:23]
	s_cbranch_execnz .LBB536_957
	s_branch .LBB536_958
.LBB536_1059:
	s_mov_b64 s[0:1], -1
                                        ; implicit-def: $vgpr1
	s_mov_b64 s[18:19], 0
.LBB536_1060:
	s_and_b64 vcc, exec, s[16:17]
	s_cbranch_vccz .LBB536_1063
; %bb.1061:
	s_cmp_eq_u32 s24, 44
	s_cbranch_scc0 .LBB536_1064
; %bb.1062:
	global_load_ubyte v1, v[2:3], off
	s_movk_i32 s16, 0xff
	v_mov_b32_e32 v5, 0x7f800001
	v_mov_b32_e32 v6, 0x400000
	;; [unrolled: 1-line block ×3, first 2 shown]
	s_mov_b64 s[0:1], 0
	s_mov_b64 s[18:19], -1
	s_waitcnt vmcnt(0)
	v_lshlrev_b32_e32 v8, 23, v1
	v_cmp_ne_u32_e32 vcc, s16, v1
	s_nop 1
	v_cndmask_b32_e32 v5, v5, v8, vcc
	v_cmp_ne_u32_e32 vcc, 0, v1
	s_nop 1
	v_cndmask_b32_e32 v1, v6, v5, vcc
	v_add_u32_e32 v5, 0x7fff, v1
	v_cmp_o_f32_e32 vcc, v1, v1
	s_nop 1
	v_cndmask_b32_sdwa v1, v7, v5, vcc dst_sel:DWORD dst_unused:UNUSED_PAD src0_sel:DWORD src1_sel:WORD_1
.LBB536_1063:
	s_branch .LBB536_1068
.LBB536_1064:
	s_mov_b64 s[0:1], -1
                                        ; implicit-def: $vgpr1
	s_branch .LBB536_1068
.LBB536_1065:
	s_cmp_eq_u32 s24, 29
	s_cbranch_scc0 .LBB536_1067
; %bb.1066:
	global_load_dwordx2 v[6:7], v[2:3], off
	s_movk_i32 s16, 0x7fff
	s_mov_b64 s[0:1], 0
	s_mov_b64 s[18:19], -1
	s_waitcnt vmcnt(0)
	v_ffbh_u32_e32 v1, v7
	v_min_u32_e32 v1, 32, v1
	v_lshlrev_b64 v[6:7], v1, v[6:7]
	v_min_u32_e32 v5, 1, v6
	v_or_b32_e32 v5, v7, v5
	v_cvt_f32_u32_e32 v5, v5
	v_sub_u32_e32 v1, 32, v1
	v_ldexp_f32 v1, v5, v1
	v_bfe_u32 v5, v1, 16, 1
	v_add3_u32 v1, v1, v5, s16
	v_lshrrev_b32_e32 v1, 16, v1
	s_branch .LBB536_1068
.LBB536_1067:
	s_mov_b64 s[0:1], -1
                                        ; implicit-def: $vgpr1
.LBB536_1068:
	s_branch .LBB536_1086
.LBB536_1069:
	s_cmp_lt_i32 s24, 27
	s_cbranch_scc1 .LBB536_1072
; %bb.1070:
	s_cmp_gt_i32 s24, 27
	s_cbranch_scc0 .LBB536_1073
; %bb.1071:
	global_load_dword v1, v[2:3], off
	s_movk_i32 s16, 0x7fff
	s_waitcnt vmcnt(0)
	v_cvt_f32_u32_e32 v1, v1
	v_bfe_u32 v5, v1, 16, 1
	v_add3_u32 v1, v1, v5, s16
	v_lshrrev_b32_e32 v1, 16, v1
	s_mov_b64 s[16:17], 0
	s_branch .LBB536_1074
.LBB536_1072:
	s_mov_b64 s[16:17], -1
                                        ; implicit-def: $vgpr1
	s_branch .LBB536_1077
.LBB536_1073:
	s_mov_b64 s[16:17], -1
                                        ; implicit-def: $vgpr1
.LBB536_1074:
	s_andn2_b64 vcc, exec, s[16:17]
	s_cbranch_vccnz .LBB536_1076
; %bb.1075:
	global_load_ushort v1, v[2:3], off
	s_movk_i32 s16, 0x7fff
	s_waitcnt vmcnt(0)
	v_cvt_f32_u32_e32 v1, v1
	v_bfe_u32 v5, v1, 16, 1
	v_add3_u32 v1, v1, v5, s16
	v_lshrrev_b32_e32 v1, 16, v1
.LBB536_1076:
	s_mov_b64 s[16:17], 0
.LBB536_1077:
	s_andn2_b64 vcc, exec, s[16:17]
	s_cbranch_vccnz .LBB536_1085
; %bb.1078:
	global_load_ubyte v1, v[2:3], off
	s_movk_i32 s16, 0x7f
	s_waitcnt vmcnt(0)
	v_cmp_lt_i16_e32 vcc, s16, v1
	s_mov_b64 s[16:17], 0
	s_and_saveexec_b64 s[18:19], vcc
	s_xor_b64 s[18:19], exec, s[18:19]
	s_cbranch_execz .LBB536_1098
; %bb.1079:
	s_movk_i32 s16, 0x80
	v_cmp_eq_u16_e32 vcc, s16, v1
	s_mov_b64 s[16:17], -1
	s_and_saveexec_b64 s[20:21], vcc
; %bb.1080:
	s_xor_b64 s[16:17], exec, -1
; %bb.1081:
	s_or_b64 exec, exec, s[20:21]
	s_and_b64 s[16:17], s[16:17], exec
	s_or_saveexec_b64 s[18:19], s[18:19]
	v_mov_b32_e32 v5, 0x7f800001
	s_xor_b64 exec, exec, s[18:19]
	s_cbranch_execnz .LBB536_1099
.LBB536_1082:
	s_or_b64 exec, exec, s[18:19]
	s_and_saveexec_b64 s[18:19], s[16:17]
	s_cbranch_execz .LBB536_1084
.LBB536_1083:
	v_lshlrev_b32_e32 v5, 24, v1
	v_and_b32_e32 v1, 0xffff, v1
	v_and_b32_e32 v6, 7, v1
	v_ffbh_u32_e32 v8, v6
	v_min_u32_e32 v8, 32, v8
	v_subrev_u32_e32 v9, 28, v8
	v_bfe_u32 v7, v1, 3, 4
	v_lshlrev_b32_e32 v1, v9, v1
	v_sub_u32_e32 v8, 29, v8
	v_and_b32_e32 v1, 7, v1
	v_cmp_eq_u32_e32 vcc, 0, v7
	v_and_b32_e32 v5, 0x80000000, v5
	s_nop 0
	v_cndmask_b32_e32 v7, v7, v8, vcc
	v_cndmask_b32_e32 v1, v6, v1, vcc
	v_mov_b32_e32 v6, 0x3b800000
	v_lshlrev_b32_e32 v1, 20, v1
	v_lshl_add_u32 v6, v7, 23, v6
	v_or3_b32 v5, v5, v6, v1
.LBB536_1084:
	s_or_b64 exec, exec, s[18:19]
	v_bfe_u32 v1, v5, 16, 1
	s_movk_i32 s16, 0x7fff
	v_add3_u32 v1, v5, v1, s16
	v_cmp_o_f32_e32 vcc, v5, v5
	v_mov_b32_e32 v5, 0x7fc0
	s_nop 0
	v_cndmask_b32_sdwa v1, v5, v1, vcc dst_sel:DWORD dst_unused:UNUSED_PAD src0_sel:DWORD src1_sel:WORD_1
.LBB536_1085:
	s_mov_b64 s[18:19], -1
.LBB536_1086:
	s_branch .LBB536_1118
.LBB536_1087:
	s_cmp_gt_i32 s24, 22
	s_cbranch_scc0 .LBB536_1097
; %bb.1088:
	s_cmp_lt_i32 s24, 24
	s_cbranch_scc1 .LBB536_1100
; %bb.1089:
	s_cmp_gt_i32 s24, 24
	s_cbranch_scc0 .LBB536_1101
; %bb.1090:
	global_load_ubyte v1, v[2:3], off
	s_movk_i32 s2, 0x7f
	s_waitcnt vmcnt(0)
	v_cmp_lt_i16_e32 vcc, s2, v1
	s_mov_b64 s[2:3], 0
	s_and_saveexec_b64 s[16:17], vcc
	s_xor_b64 s[16:17], exec, s[16:17]
	s_cbranch_execz .LBB536_1112
; %bb.1091:
	s_movk_i32 s2, 0x80
	v_cmp_eq_u16_e32 vcc, s2, v1
	s_mov_b64 s[2:3], -1
	s_and_saveexec_b64 s[18:19], vcc
; %bb.1092:
	s_xor_b64 s[2:3], exec, -1
; %bb.1093:
	s_or_b64 exec, exec, s[18:19]
	s_and_b64 s[2:3], s[2:3], exec
	s_or_saveexec_b64 s[16:17], s[16:17]
	v_mov_b32_e32 v5, 0x7f800001
	s_xor_b64 exec, exec, s[16:17]
	s_cbranch_execnz .LBB536_1113
.LBB536_1094:
	s_or_b64 exec, exec, s[16:17]
	s_and_saveexec_b64 s[16:17], s[2:3]
	s_cbranch_execz .LBB536_1096
.LBB536_1095:
	v_lshlrev_b32_e32 v5, 24, v1
	v_and_b32_e32 v1, 0xffff, v1
	v_and_b32_e32 v6, 3, v1
	v_ffbh_u32_e32 v8, v6
	v_min_u32_e32 v8, 32, v8
	v_subrev_u32_e32 v9, 29, v8
	v_bfe_u32 v7, v1, 2, 5
	v_lshlrev_b32_e32 v1, v9, v1
	v_sub_u32_e32 v8, 30, v8
	v_and_b32_e32 v1, 3, v1
	v_cmp_eq_u32_e32 vcc, 0, v7
	v_and_b32_e32 v5, 0x80000000, v5
	s_nop 0
	v_cndmask_b32_e32 v7, v7, v8, vcc
	v_cndmask_b32_e32 v1, v6, v1, vcc
	v_mov_b32_e32 v6, 0x37800000
	v_lshlrev_b32_e32 v1, 21, v1
	v_lshl_add_u32 v6, v7, 23, v6
	v_or3_b32 v5, v5, v6, v1
.LBB536_1096:
	s_or_b64 exec, exec, s[16:17]
	v_bfe_u32 v1, v5, 16, 1
	s_movk_i32 s2, 0x7fff
	v_add3_u32 v1, v5, v1, s2
	v_cmp_o_f32_e32 vcc, v5, v5
	v_mov_b32_e32 v5, 0x7fc0
	s_mov_b64 s[2:3], 0
	v_cndmask_b32_sdwa v1, v5, v1, vcc dst_sel:DWORD dst_unused:UNUSED_PAD src0_sel:DWORD src1_sel:WORD_1
	s_branch .LBB536_1102
.LBB536_1097:
                                        ; implicit-def: $vgpr1
	s_mov_b64 s[2:3], 0
	s_branch .LBB536_1108
.LBB536_1098:
	s_or_saveexec_b64 s[18:19], s[18:19]
	v_mov_b32_e32 v5, 0x7f800001
	s_xor_b64 exec, exec, s[18:19]
	s_cbranch_execz .LBB536_1082
.LBB536_1099:
	v_cmp_ne_u16_e32 vcc, 0, v1
	s_andn2_b64 s[16:17], s[16:17], exec
	s_and_b64 s[20:21], vcc, exec
	v_mov_b32_e32 v5, 0
	s_or_b64 s[16:17], s[16:17], s[20:21]
	s_or_b64 exec, exec, s[18:19]
	s_and_saveexec_b64 s[18:19], s[16:17]
	s_cbranch_execnz .LBB536_1083
	s_branch .LBB536_1084
.LBB536_1100:
	s_mov_b64 s[2:3], -1
                                        ; implicit-def: $vgpr1
	s_branch .LBB536_1105
.LBB536_1101:
	s_mov_b64 s[2:3], -1
                                        ; implicit-def: $vgpr1
.LBB536_1102:
	s_and_b64 vcc, exec, s[2:3]
	s_cbranch_vccz .LBB536_1104
; %bb.1103:
	global_load_ubyte v1, v[2:3], off
	s_mov_b32 s2, 0x7f800000
	s_brev_b32 s3, 1
	s_movk_i32 s16, 0x7fff
	s_waitcnt vmcnt(0)
	v_lshlrev_b32_e32 v1, 24, v1
	v_and_b32_e32 v5, 0x7f000000, v1
	v_ffbh_u32_e32 v6, v5
	v_min_u32_e32 v6, 32, v6
	v_sub_u32_e64 v6, v6, 4 clamp
	v_lshlrev_b32_e32 v8, v6, v5
	v_lshlrev_b32_e32 v6, 23, v6
	v_lshrrev_b32_e32 v8, 4, v8
	v_add_u32_e32 v7, 0x1000000, v5
	v_sub_u32_e32 v6, v8, v6
	v_ashrrev_i32_e32 v7, 8, v7
	v_add_u32_e32 v6, 0x3c000000, v6
	v_and_or_b32 v6, v7, s2, v6
	v_cmp_ne_u32_e32 vcc, 0, v5
	s_nop 1
	v_cndmask_b32_e32 v5, 0, v6, vcc
	v_and_or_b32 v1, v1, s3, v5
	v_bfe_u32 v5, v5, 16, 1
	v_add3_u32 v5, v1, v5, s16
	v_cmp_o_f32_e32 vcc, v1, v1
	v_mov_b32_e32 v1, 0x7fc0
	s_nop 0
	v_cndmask_b32_sdwa v1, v1, v5, vcc dst_sel:DWORD dst_unused:UNUSED_PAD src0_sel:DWORD src1_sel:WORD_1
.LBB536_1104:
	s_mov_b64 s[2:3], 0
.LBB536_1105:
	s_andn2_b64 vcc, exec, s[2:3]
	s_cbranch_vccnz .LBB536_1107
; %bb.1106:
	global_load_ubyte v1, v[2:3], off
	s_movk_i32 s2, 0x7f00
	s_brev_b32 s3, 16
	s_brev_b32 s16, 1
	s_movk_i32 s17, 0x7fff
	s_waitcnt vmcnt(0)
	v_lshlrev_b16_e32 v5, 8, v1
	v_lshlrev_b32_e32 v1, 25, v1
	v_lshrrev_b32_e32 v6, 4, v1
	v_and_or_b32 v7, v5, s2, 0.5
	v_or_b32_e32 v6, 0x70000000, v6
	v_add_f32_e32 v7, -0.5, v7
	v_mul_f32_e32 v6, 0x7800000, v6
	v_cmp_gt_u32_e32 vcc, s3, v1
	v_bfe_i32 v5, v5, 0, 16
	s_nop 0
	v_cndmask_b32_e32 v1, v6, v7, vcc
	v_and_or_b32 v5, v5, s16, v1
	v_bfe_u32 v1, v1, 16, 1
	v_add3_u32 v1, v5, v1, s17
	v_cmp_o_f32_e32 vcc, v5, v5
	v_mov_b32_e32 v5, 0x7fc0
	s_nop 0
	v_cndmask_b32_sdwa v1, v5, v1, vcc dst_sel:DWORD dst_unused:UNUSED_PAD src0_sel:DWORD src1_sel:WORD_1
.LBB536_1107:
	s_mov_b64 s[18:19], -1
	s_mov_b64 s[2:3], 0
	s_cbranch_execnz .LBB536_1118
.LBB536_1108:
	s_cmp_gt_i32 s24, 14
	s_cbranch_scc0 .LBB536_1111
; %bb.1109:
	s_cmp_eq_u32 s24, 15
	s_cbranch_scc0 .LBB536_1114
; %bb.1110:
	global_load_ushort v1, v[2:3], off
	s_mov_b64 s[0:1], 0
	s_mov_b64 s[18:19], -1
	s_branch .LBB536_1115
.LBB536_1111:
	s_mov_b64 s[16:17], -1
                                        ; implicit-def: $vgpr1
	s_branch .LBB536_1116
.LBB536_1112:
	s_or_saveexec_b64 s[16:17], s[16:17]
	v_mov_b32_e32 v5, 0x7f800001
	s_xor_b64 exec, exec, s[16:17]
	s_cbranch_execz .LBB536_1094
.LBB536_1113:
	v_cmp_ne_u16_e32 vcc, 0, v1
	s_andn2_b64 s[2:3], s[2:3], exec
	s_and_b64 s[18:19], vcc, exec
	v_mov_b32_e32 v5, 0
	s_or_b64 s[2:3], s[2:3], s[18:19]
	s_or_b64 exec, exec, s[16:17]
	s_and_saveexec_b64 s[16:17], s[2:3]
	s_cbranch_execnz .LBB536_1095
	s_branch .LBB536_1096
.LBB536_1114:
	s_mov_b64 s[0:1], -1
                                        ; implicit-def: $vgpr1
.LBB536_1115:
	s_mov_b64 s[16:17], 0
.LBB536_1116:
	s_and_b64 vcc, exec, s[16:17]
	s_cbranch_vccz .LBB536_1118
; %bb.1117:
	s_cmp_lg_u32 s24, 11
	s_mov_b64 s[2:3], -1
	s_cselect_b64 s[0:1], -1, 0
.LBB536_1118:
	s_and_b64 vcc, exec, s[0:1]
	s_mov_b64 s[16:17], s[14:15]
	s_cbranch_vccnz .LBB536_1183
; %bb.1119:
	s_andn2_b64 vcc, exec, s[2:3]
	s_cbranch_vccnz .LBB536_1121
.LBB536_1120:
	global_load_ubyte v1, v[2:3], off
	s_mov_b64 s[18:19], -1
	s_waitcnt vmcnt(0)
	v_cmp_ne_u16_e32 vcc, 0, v1
	s_nop 1
	v_cndmask_b32_e64 v1, 0, 1.0, vcc
	v_lshrrev_b32_e32 v1, 16, v1
.LBB536_1121:
	s_branch .LBB536_1052
.LBB536_1122:
	s_cmp_lt_i32 s24, 5
	s_cbranch_scc1 .LBB536_1127
; %bb.1123:
	s_cmp_lt_i32 s24, 8
	s_cbranch_scc1 .LBB536_1128
; %bb.1124:
	;; [unrolled: 3-line block ×3, first 2 shown]
	s_cmp_gt_i32 s24, 9
	s_cbranch_scc0 .LBB536_1130
; %bb.1126:
	global_load_dwordx2 v[6:7], v[2:3], off
	s_movk_i32 s0, 0x7fff
	s_waitcnt vmcnt(1)
	v_mov_b32_e32 v1, 0x7fc0
	s_waitcnt vmcnt(0)
	v_cvt_f32_f64_e32 v5, v[6:7]
	v_bfe_u32 v6, v5, 16, 1
	v_cmp_o_f32_e32 vcc, v5, v5
	v_add3_u32 v5, v5, v6, s0
	s_mov_b64 s[0:1], 0
	v_cndmask_b32_sdwa v1, v1, v5, vcc dst_sel:DWORD dst_unused:UNUSED_PAD src0_sel:DWORD src1_sel:WORD_1
	s_branch .LBB536_1131
.LBB536_1127:
                                        ; implicit-def: $vgpr1
	s_branch .LBB536_1148
.LBB536_1128:
                                        ; implicit-def: $vgpr1
	s_branch .LBB536_1137
.LBB536_1129:
	s_mov_b64 s[0:1], -1
                                        ; implicit-def: $vgpr1
	s_branch .LBB536_1134
.LBB536_1130:
	s_mov_b64 s[0:1], -1
                                        ; implicit-def: $vgpr1
.LBB536_1131:
	s_andn2_b64 vcc, exec, s[0:1]
	s_cbranch_vccnz .LBB536_1133
; %bb.1132:
	global_load_dword v1, v[2:3], off
	s_movk_i32 s0, 0x7fff
	v_mov_b32_e32 v5, 0x7fc0
	s_waitcnt vmcnt(0)
	v_bfe_u32 v6, v1, 16, 1
	v_cmp_o_f32_e32 vcc, v1, v1
	v_add3_u32 v1, v1, v6, s0
	s_nop 0
	v_cndmask_b32_sdwa v1, v5, v1, vcc dst_sel:DWORD dst_unused:UNUSED_PAD src0_sel:DWORD src1_sel:WORD_1
.LBB536_1133:
	s_mov_b64 s[0:1], 0
.LBB536_1134:
	s_andn2_b64 vcc, exec, s[0:1]
	s_cbranch_vccnz .LBB536_1136
; %bb.1135:
	global_load_dword v1, v[2:3], off
	s_movk_i32 s0, 0x7fff
	v_mov_b32_e32 v6, 0x7fc0
	s_waitcnt vmcnt(0)
	v_cvt_f32_f16_e32 v5, v1
	v_cmp_o_f16_e32 vcc, v1, v1
	v_bfe_u32 v1, v5, 16, 1
	v_add3_u32 v1, v5, v1, s0
	v_cndmask_b32_sdwa v1, v6, v1, vcc dst_sel:DWORD dst_unused:UNUSED_PAD src0_sel:DWORD src1_sel:WORD_1
.LBB536_1136:
	s_cbranch_execnz .LBB536_1147
.LBB536_1137:
	s_cmp_lt_i32 s24, 6
	s_cbranch_scc1 .LBB536_1140
; %bb.1138:
	s_cmp_gt_i32 s24, 6
	s_cbranch_scc0 .LBB536_1141
; %bb.1139:
	global_load_dwordx2 v[6:7], v[2:3], off
	s_movk_i32 s0, 0x7fff
	s_waitcnt vmcnt(1)
	v_mov_b32_e32 v1, 0x7fc0
	s_waitcnt vmcnt(0)
	v_cvt_f32_f64_e32 v5, v[6:7]
	v_bfe_u32 v6, v5, 16, 1
	v_cmp_o_f32_e32 vcc, v5, v5
	v_add3_u32 v5, v5, v6, s0
	s_mov_b64 s[0:1], 0
	v_cndmask_b32_sdwa v1, v1, v5, vcc dst_sel:DWORD dst_unused:UNUSED_PAD src0_sel:DWORD src1_sel:WORD_1
	s_branch .LBB536_1142
.LBB536_1140:
	s_mov_b64 s[0:1], -1
                                        ; implicit-def: $vgpr1
	s_branch .LBB536_1145
.LBB536_1141:
	s_mov_b64 s[0:1], -1
                                        ; implicit-def: $vgpr1
.LBB536_1142:
	s_andn2_b64 vcc, exec, s[0:1]
	s_cbranch_vccnz .LBB536_1144
; %bb.1143:
	global_load_dword v1, v[2:3], off
	s_movk_i32 s0, 0x7fff
	v_mov_b32_e32 v5, 0x7fc0
	s_waitcnt vmcnt(0)
	v_bfe_u32 v6, v1, 16, 1
	v_cmp_o_f32_e32 vcc, v1, v1
	v_add3_u32 v1, v1, v6, s0
	s_nop 0
	v_cndmask_b32_sdwa v1, v5, v1, vcc dst_sel:DWORD dst_unused:UNUSED_PAD src0_sel:DWORD src1_sel:WORD_1
.LBB536_1144:
	s_mov_b64 s[0:1], 0
.LBB536_1145:
	s_andn2_b64 vcc, exec, s[0:1]
	s_cbranch_vccnz .LBB536_1147
; %bb.1146:
	global_load_ushort v1, v[2:3], off
	s_movk_i32 s0, 0x7fff
	v_mov_b32_e32 v6, 0x7fc0
	s_waitcnt vmcnt(0)
	v_cvt_f32_f16_e32 v5, v1
	v_cmp_o_f16_e32 vcc, v1, v1
	v_bfe_u32 v1, v5, 16, 1
	v_add3_u32 v1, v5, v1, s0
	v_cndmask_b32_sdwa v1, v6, v1, vcc dst_sel:DWORD dst_unused:UNUSED_PAD src0_sel:DWORD src1_sel:WORD_1
.LBB536_1147:
	s_cbranch_execnz .LBB536_1166
.LBB536_1148:
	s_cmp_lt_i32 s24, 2
	s_cbranch_scc1 .LBB536_1152
; %bb.1149:
	s_cmp_lt_i32 s24, 3
	s_cbranch_scc1 .LBB536_1153
; %bb.1150:
	s_cmp_gt_i32 s24, 3
	s_cbranch_scc0 .LBB536_1154
; %bb.1151:
	global_load_dwordx2 v[6:7], v[2:3], off
	s_movk_i32 s0, 0x7fff
	s_waitcnt vmcnt(0)
	v_xor_b32_e32 v5, v6, v7
	v_ffbh_i32_e32 v1, v7
	v_ashrrev_i32_e32 v5, 31, v5
	v_add_u32_e32 v1, -1, v1
	v_add_u32_e32 v5, 32, v5
	v_min_u32_e32 v1, v1, v5
	v_lshlrev_b64 v[6:7], v1, v[6:7]
	v_min_u32_e32 v5, 1, v6
	v_or_b32_e32 v5, v7, v5
	v_cvt_f32_i32_e32 v5, v5
	v_sub_u32_e32 v1, 32, v1
	v_ldexp_f32 v1, v5, v1
	v_bfe_u32 v5, v1, 16, 1
	v_add3_u32 v1, v1, v5, s0
	v_lshrrev_b32_e32 v1, 16, v1
	s_mov_b64 s[0:1], 0
	s_branch .LBB536_1155
.LBB536_1152:
                                        ; implicit-def: $vgpr1
	s_branch .LBB536_1161
.LBB536_1153:
	s_mov_b64 s[0:1], -1
                                        ; implicit-def: $vgpr1
	s_branch .LBB536_1158
.LBB536_1154:
	s_mov_b64 s[0:1], -1
                                        ; implicit-def: $vgpr1
.LBB536_1155:
	s_andn2_b64 vcc, exec, s[0:1]
	s_cbranch_vccnz .LBB536_1157
; %bb.1156:
	global_load_dword v1, v[2:3], off
	s_movk_i32 s0, 0x7fff
	s_waitcnt vmcnt(0)
	v_cvt_f32_i32_e32 v1, v1
	v_bfe_u32 v5, v1, 16, 1
	v_add3_u32 v1, v1, v5, s0
	v_lshrrev_b32_e32 v1, 16, v1
.LBB536_1157:
	s_mov_b64 s[0:1], 0
.LBB536_1158:
	s_andn2_b64 vcc, exec, s[0:1]
	s_cbranch_vccnz .LBB536_1160
; %bb.1159:
	global_load_sshort v1, v[2:3], off
	s_movk_i32 s0, 0x7fff
	s_waitcnt vmcnt(0)
	v_cvt_f32_i32_e32 v1, v1
	v_bfe_u32 v5, v1, 16, 1
	v_add3_u32 v1, v1, v5, s0
	v_lshrrev_b32_e32 v1, 16, v1
.LBB536_1160:
	s_cbranch_execnz .LBB536_1166
.LBB536_1161:
	s_cmp_gt_i32 s24, 0
	s_cbranch_scc0 .LBB536_1163
; %bb.1162:
	global_load_sbyte v1, v[2:3], off
	s_movk_i32 s0, 0x7fff
	s_waitcnt vmcnt(0)
	v_cvt_f32_i32_e32 v1, v1
	v_bfe_u32 v5, v1, 16, 1
	v_add3_u32 v1, v1, v5, s0
	v_lshrrev_b32_e32 v1, 16, v1
	s_mov_b64 s[0:1], 0
	s_branch .LBB536_1164
.LBB536_1163:
	s_mov_b64 s[0:1], -1
                                        ; implicit-def: $vgpr1
.LBB536_1164:
	s_andn2_b64 vcc, exec, s[0:1]
	s_cbranch_vccnz .LBB536_1166
; %bb.1165:
	global_load_ubyte v1, v[2:3], off
	s_movk_i32 s0, 0x7fff
	s_waitcnt vmcnt(0)
	v_cvt_f32_ubyte0_e32 v1, v1
	v_bfe_u32 v2, v1, 16, 1
	v_add3_u32 v1, v1, v2, s0
	v_lshrrev_b32_e32 v1, 16, v1
.LBB536_1166:
.LBB536_1167:
	s_waitcnt vmcnt(0)
	v_lshlrev_b32_e32 v2, 16, v1
	v_cmp_o_f32_e32 vcc, v2, v2
	v_mov_b32_e32 v5, s10
	s_and_saveexec_b64 s[0:1], vcc
	s_cbranch_execz .LBB536_1171
; %bb.1168:
	s_mov_b32 s2, 0x7f800000
	v_cmp_neq_f32_e32 vcc, s2, v2
	v_mov_b32_e32 v5, s44
	s_and_saveexec_b64 s[2:3], vcc
; %bb.1169:
	s_mov_b32 s18, 0xff800000
	v_mov_b32_e32 v3, s11
	v_cmp_eq_f32_e32 vcc, s18, v2
	s_nop 1
	v_cndmask_b32_e32 v5, v1, v3, vcc
; %bb.1170:
	s_or_b64 exec, exec, s[2:3]
.LBB536_1171:
	s_or_b64 exec, exec, s[0:1]
	s_lshl_b32 s9, s9, 7
	v_add_u32_e32 v0, s9, v0
	v_ashrrev_i32_e32 v1, 31, v0
	s_cmp_lt_i32 s24, 11
	v_lshl_add_u64 v[2:3], s[6:7], 0, v[0:1]
	s_cbranch_scc1 .LBB536_1178
; %bb.1172:
	s_cmp_gt_i32 s24, 25
	s_mov_b64 s[2:3], 0
	s_cbranch_scc0 .LBB536_1180
; %bb.1173:
	s_cmp_gt_i32 s24, 28
	s_cbranch_scc0 .LBB536_1181
; %bb.1174:
	s_cmp_gt_i32 s24, 43
	;; [unrolled: 3-line block ×3, first 2 shown]
	s_cbranch_scc0 .LBB536_1184
; %bb.1176:
	s_cmp_eq_u32 s24, 46
	s_mov_b64 s[20:21], 0
	s_cbranch_scc0 .LBB536_1187
; %bb.1177:
	global_load_dword v1, v[2:3], off
	s_mov_b64 s[0:1], 0
	s_mov_b64 s[18:19], -1
	s_branch .LBB536_1188
.LBB536_1178:
	s_mov_b64 s[18:19], 0
                                        ; implicit-def: $vgpr1
	s_cbranch_execnz .LBB536_1253
.LBB536_1179:
	s_andn2_b64 vcc, exec, s[18:19]
	s_cbranch_vccnz .LBB536_1649
	s_branch .LBB536_1300
.LBB536_1180:
	s_mov_b64 s[18:19], 0
	s_mov_b64 s[0:1], 0
                                        ; implicit-def: $vgpr1
	s_cbranch_execnz .LBB536_1217
	s_branch .LBB536_1249
.LBB536_1181:
	s_mov_b64 s[20:21], -1
	s_mov_b64 s[18:19], 0
	s_mov_b64 s[0:1], 0
                                        ; implicit-def: $vgpr1
	s_branch .LBB536_1198
.LBB536_1182:
	s_mov_b64 s[20:21], -1
	s_mov_b64 s[18:19], 0
	s_mov_b64 s[0:1], 0
                                        ; implicit-def: $vgpr1
	s_branch .LBB536_1193
.LBB536_1183:
	s_or_b64 s[16:17], s[14:15], exec
	s_trap 2
	s_cbranch_execz .LBB536_1120
	s_branch .LBB536_1121
.LBB536_1184:
	s_mov_b64 s[20:21], -1
	s_mov_b64 s[18:19], 0
	s_mov_b64 s[0:1], 0
                                        ; implicit-def: $vgpr1
	s_branch .LBB536_1188
.LBB536_1185:
	s_andn2_saveexec_b64 s[26:27], s[26:27]
	s_cbranch_execz .LBB536_968
.LBB536_1186:
	s_mov_b32 s30, 0x42800000
	v_add_f32_e64 v4, |v5|, s30
	v_and_b32_e32 v4, 0xff, v4
	v_cmp_ne_u32_e32 vcc, 0, v4
	s_andn2_b64 s[24:25], s[24:25], exec
	s_and_b64 s[30:31], vcc, exec
	s_or_b64 s[24:25], s[24:25], s[30:31]
	s_or_b64 exec, exec, s[26:27]
	v_mov_b32_e32 v6, 0
	s_and_saveexec_b64 s[26:27], s[24:25]
	s_cbranch_execnz .LBB536_969
	s_branch .LBB536_970
.LBB536_1187:
	s_mov_b64 s[0:1], -1
                                        ; implicit-def: $vgpr1
	s_mov_b64 s[18:19], 0
.LBB536_1188:
	s_and_b64 vcc, exec, s[20:21]
	s_cbranch_vccz .LBB536_1192
; %bb.1189:
	s_cmp_eq_u32 s24, 44
	s_cbranch_scc0 .LBB536_1191
; %bb.1190:
	global_load_ubyte v1, v[2:3], off
	s_movk_i32 s18, 0xff
	v_mov_b32_e32 v6, 0x7f800001
	v_mov_b32_e32 v7, 0x400000
	;; [unrolled: 1-line block ×3, first 2 shown]
	s_mov_b64 s[0:1], 0
	s_waitcnt vmcnt(0)
	v_lshlrev_b32_e32 v9, 23, v1
	v_cmp_ne_u32_e32 vcc, s18, v1
	s_mov_b64 s[18:19], -1
	s_nop 0
	v_cndmask_b32_e32 v6, v6, v9, vcc
	v_cmp_ne_u32_e32 vcc, 0, v1
	s_nop 1
	v_cndmask_b32_e32 v1, v7, v6, vcc
	v_add_u32_e32 v6, 0x7fff, v1
	v_cmp_o_f32_e32 vcc, v1, v1
	s_nop 1
	v_cndmask_b32_sdwa v1, v8, v6, vcc dst_sel:DWORD dst_unused:UNUSED_PAD src0_sel:DWORD src1_sel:WORD_1
	s_branch .LBB536_1192
.LBB536_1191:
	s_mov_b64 s[0:1], -1
                                        ; implicit-def: $vgpr1
.LBB536_1192:
	s_mov_b64 s[20:21], 0
.LBB536_1193:
	s_and_b64 vcc, exec, s[20:21]
	s_cbranch_vccz .LBB536_1197
; %bb.1194:
	s_cmp_eq_u32 s24, 29
	s_cbranch_scc0 .LBB536_1196
; %bb.1195:
	global_load_dwordx2 v[6:7], v[2:3], off
	s_movk_i32 s18, 0x7fff
	s_mov_b64 s[0:1], 0
	s_mov_b64 s[20:21], 0
	s_waitcnt vmcnt(0)
	v_ffbh_u32_e32 v1, v7
	v_min_u32_e32 v1, 32, v1
	v_lshlrev_b64 v[6:7], v1, v[6:7]
	v_min_u32_e32 v6, 1, v6
	v_or_b32_e32 v6, v7, v6
	v_cvt_f32_u32_e32 v6, v6
	v_sub_u32_e32 v1, 32, v1
	v_ldexp_f32 v1, v6, v1
	v_bfe_u32 v6, v1, 16, 1
	v_add3_u32 v1, v1, v6, s18
	v_lshrrev_b32_e32 v1, 16, v1
	s_mov_b64 s[18:19], -1
	s_branch .LBB536_1198
.LBB536_1196:
	s_mov_b64 s[0:1], -1
                                        ; implicit-def: $vgpr1
.LBB536_1197:
	s_mov_b64 s[20:21], 0
.LBB536_1198:
	s_and_b64 vcc, exec, s[20:21]
	s_cbranch_vccz .LBB536_1216
; %bb.1199:
	s_cmp_lt_i32 s24, 27
	s_cbranch_scc1 .LBB536_1202
; %bb.1200:
	s_cmp_gt_i32 s24, 27
	s_cbranch_scc0 .LBB536_1203
; %bb.1201:
	global_load_dword v1, v[2:3], off
	s_movk_i32 s18, 0x7fff
	s_waitcnt vmcnt(0)
	v_cvt_f32_u32_e32 v1, v1
	v_bfe_u32 v6, v1, 16, 1
	v_add3_u32 v1, v1, v6, s18
	v_lshrrev_b32_e32 v1, 16, v1
	s_mov_b64 s[18:19], 0
	s_branch .LBB536_1204
.LBB536_1202:
	s_mov_b64 s[18:19], -1
                                        ; implicit-def: $vgpr1
	s_branch .LBB536_1207
.LBB536_1203:
	s_mov_b64 s[18:19], -1
                                        ; implicit-def: $vgpr1
.LBB536_1204:
	s_andn2_b64 vcc, exec, s[18:19]
	s_cbranch_vccnz .LBB536_1206
; %bb.1205:
	global_load_ushort v1, v[2:3], off
	s_movk_i32 s18, 0x7fff
	s_waitcnt vmcnt(0)
	v_cvt_f32_u32_e32 v1, v1
	v_bfe_u32 v6, v1, 16, 1
	v_add3_u32 v1, v1, v6, s18
	v_lshrrev_b32_e32 v1, 16, v1
.LBB536_1206:
	s_mov_b64 s[18:19], 0
.LBB536_1207:
	s_andn2_b64 vcc, exec, s[18:19]
	s_cbranch_vccnz .LBB536_1215
; %bb.1208:
	global_load_ubyte v1, v[2:3], off
	s_movk_i32 s18, 0x7f
	s_waitcnt vmcnt(0)
	v_cmp_lt_i16_e32 vcc, s18, v1
	s_mov_b64 s[18:19], 0
	s_and_saveexec_b64 s[20:21], vcc
	s_xor_b64 s[20:21], exec, s[20:21]
	s_cbranch_execz .LBB536_1228
; %bb.1209:
	s_movk_i32 s18, 0x80
	v_cmp_eq_u16_e32 vcc, s18, v1
	s_mov_b64 s[18:19], -1
	s_and_saveexec_b64 s[22:23], vcc
; %bb.1210:
	s_xor_b64 s[18:19], exec, -1
; %bb.1211:
	s_or_b64 exec, exec, s[22:23]
	s_and_b64 s[18:19], s[18:19], exec
	s_or_saveexec_b64 s[20:21], s[20:21]
	v_mov_b32_e32 v6, 0x7f800001
	s_xor_b64 exec, exec, s[20:21]
	s_cbranch_execnz .LBB536_1229
.LBB536_1212:
	s_or_b64 exec, exec, s[20:21]
	s_and_saveexec_b64 s[20:21], s[18:19]
	s_cbranch_execz .LBB536_1214
.LBB536_1213:
	v_lshlrev_b32_e32 v6, 24, v1
	v_and_b32_e32 v1, 0xffff, v1
	v_and_b32_e32 v7, 7, v1
	v_ffbh_u32_e32 v9, v7
	v_min_u32_e32 v9, 32, v9
	v_subrev_u32_e32 v10, 28, v9
	v_bfe_u32 v8, v1, 3, 4
	v_lshlrev_b32_e32 v1, v10, v1
	v_sub_u32_e32 v9, 29, v9
	v_and_b32_e32 v1, 7, v1
	v_cmp_eq_u32_e32 vcc, 0, v8
	v_and_b32_e32 v6, 0x80000000, v6
	s_nop 0
	v_cndmask_b32_e32 v8, v8, v9, vcc
	v_cndmask_b32_e32 v1, v7, v1, vcc
	v_mov_b32_e32 v7, 0x3b800000
	v_lshlrev_b32_e32 v1, 20, v1
	v_lshl_add_u32 v7, v8, 23, v7
	v_or3_b32 v6, v6, v7, v1
.LBB536_1214:
	s_or_b64 exec, exec, s[20:21]
	v_bfe_u32 v1, v6, 16, 1
	s_movk_i32 s18, 0x7fff
	v_add3_u32 v1, v6, v1, s18
	v_cmp_o_f32_e32 vcc, v6, v6
	v_mov_b32_e32 v6, 0x7fc0
	s_nop 0
	v_cndmask_b32_sdwa v1, v6, v1, vcc dst_sel:DWORD dst_unused:UNUSED_PAD src0_sel:DWORD src1_sel:WORD_1
.LBB536_1215:
	s_mov_b64 s[18:19], -1
.LBB536_1216:
	s_branch .LBB536_1249
.LBB536_1217:
	s_cmp_gt_i32 s24, 22
	s_cbranch_scc0 .LBB536_1227
; %bb.1218:
	s_cmp_lt_i32 s24, 24
	s_cbranch_scc1 .LBB536_1230
; %bb.1219:
	s_cmp_gt_i32 s24, 24
	s_cbranch_scc0 .LBB536_1231
; %bb.1220:
	global_load_ubyte v1, v[2:3], off
	s_movk_i32 s2, 0x7f
	s_waitcnt vmcnt(0)
	v_cmp_lt_i16_e32 vcc, s2, v1
	s_mov_b64 s[2:3], 0
	s_and_saveexec_b64 s[18:19], vcc
	s_xor_b64 s[18:19], exec, s[18:19]
	s_cbranch_execz .LBB536_1243
; %bb.1221:
	s_movk_i32 s2, 0x80
	v_cmp_eq_u16_e32 vcc, s2, v1
	s_mov_b64 s[2:3], -1
	s_and_saveexec_b64 s[20:21], vcc
; %bb.1222:
	s_xor_b64 s[2:3], exec, -1
; %bb.1223:
	s_or_b64 exec, exec, s[20:21]
	s_and_b64 s[2:3], s[2:3], exec
	s_or_saveexec_b64 s[18:19], s[18:19]
	v_mov_b32_e32 v6, 0x7f800001
	s_xor_b64 exec, exec, s[18:19]
	s_cbranch_execnz .LBB536_1244
.LBB536_1224:
	s_or_b64 exec, exec, s[18:19]
	s_and_saveexec_b64 s[18:19], s[2:3]
	s_cbranch_execz .LBB536_1226
.LBB536_1225:
	v_lshlrev_b32_e32 v6, 24, v1
	v_and_b32_e32 v1, 0xffff, v1
	v_and_b32_e32 v7, 3, v1
	v_ffbh_u32_e32 v9, v7
	v_min_u32_e32 v9, 32, v9
	v_subrev_u32_e32 v10, 29, v9
	v_bfe_u32 v8, v1, 2, 5
	v_lshlrev_b32_e32 v1, v10, v1
	v_sub_u32_e32 v9, 30, v9
	v_and_b32_e32 v1, 3, v1
	v_cmp_eq_u32_e32 vcc, 0, v8
	v_and_b32_e32 v6, 0x80000000, v6
	s_nop 0
	v_cndmask_b32_e32 v8, v8, v9, vcc
	v_cndmask_b32_e32 v1, v7, v1, vcc
	v_mov_b32_e32 v7, 0x37800000
	v_lshlrev_b32_e32 v1, 21, v1
	v_lshl_add_u32 v7, v8, 23, v7
	v_or3_b32 v6, v6, v7, v1
.LBB536_1226:
	s_or_b64 exec, exec, s[18:19]
	v_bfe_u32 v1, v6, 16, 1
	s_movk_i32 s2, 0x7fff
	v_add3_u32 v1, v6, v1, s2
	v_cmp_o_f32_e32 vcc, v6, v6
	v_mov_b32_e32 v6, 0x7fc0
	s_mov_b64 s[2:3], 0
	v_cndmask_b32_sdwa v1, v6, v1, vcc dst_sel:DWORD dst_unused:UNUSED_PAD src0_sel:DWORD src1_sel:WORD_1
	s_branch .LBB536_1232
.LBB536_1227:
	s_mov_b64 s[2:3], -1
                                        ; implicit-def: $vgpr1
	s_branch .LBB536_1238
.LBB536_1228:
	s_or_saveexec_b64 s[20:21], s[20:21]
	v_mov_b32_e32 v6, 0x7f800001
	s_xor_b64 exec, exec, s[20:21]
	s_cbranch_execz .LBB536_1212
.LBB536_1229:
	v_cmp_ne_u16_e32 vcc, 0, v1
	s_andn2_b64 s[18:19], s[18:19], exec
	s_and_b64 s[22:23], vcc, exec
	v_mov_b32_e32 v6, 0
	s_or_b64 s[18:19], s[18:19], s[22:23]
	s_or_b64 exec, exec, s[20:21]
	s_and_saveexec_b64 s[20:21], s[18:19]
	s_cbranch_execnz .LBB536_1213
	s_branch .LBB536_1214
.LBB536_1230:
	s_mov_b64 s[2:3], -1
                                        ; implicit-def: $vgpr1
	s_branch .LBB536_1235
.LBB536_1231:
	s_mov_b64 s[2:3], -1
                                        ; implicit-def: $vgpr1
.LBB536_1232:
	s_and_b64 vcc, exec, s[2:3]
	s_cbranch_vccz .LBB536_1234
; %bb.1233:
	global_load_ubyte v1, v[2:3], off
	s_mov_b32 s2, 0x7f800000
	s_brev_b32 s3, 1
	s_movk_i32 s18, 0x7fff
	s_waitcnt vmcnt(0)
	v_lshlrev_b32_e32 v1, 24, v1
	v_and_b32_e32 v6, 0x7f000000, v1
	v_ffbh_u32_e32 v7, v6
	v_min_u32_e32 v7, 32, v7
	v_sub_u32_e64 v7, v7, 4 clamp
	v_lshlrev_b32_e32 v9, v7, v6
	v_lshlrev_b32_e32 v7, 23, v7
	v_lshrrev_b32_e32 v9, 4, v9
	v_add_u32_e32 v8, 0x1000000, v6
	v_sub_u32_e32 v7, v9, v7
	v_ashrrev_i32_e32 v8, 8, v8
	v_add_u32_e32 v7, 0x3c000000, v7
	v_and_or_b32 v7, v8, s2, v7
	v_cmp_ne_u32_e32 vcc, 0, v6
	s_nop 1
	v_cndmask_b32_e32 v6, 0, v7, vcc
	v_and_or_b32 v1, v1, s3, v6
	v_bfe_u32 v6, v6, 16, 1
	v_add3_u32 v6, v1, v6, s18
	v_cmp_o_f32_e32 vcc, v1, v1
	v_mov_b32_e32 v1, 0x7fc0
	s_nop 0
	v_cndmask_b32_sdwa v1, v1, v6, vcc dst_sel:DWORD dst_unused:UNUSED_PAD src0_sel:DWORD src1_sel:WORD_1
.LBB536_1234:
	s_mov_b64 s[2:3], 0
.LBB536_1235:
	s_andn2_b64 vcc, exec, s[2:3]
	s_cbranch_vccnz .LBB536_1237
; %bb.1236:
	global_load_ubyte v1, v[2:3], off
	s_movk_i32 s2, 0x7f00
	s_brev_b32 s3, 16
	s_brev_b32 s18, 1
	s_movk_i32 s19, 0x7fff
	s_waitcnt vmcnt(0)
	v_lshlrev_b16_e32 v6, 8, v1
	v_lshlrev_b32_e32 v1, 25, v1
	v_lshrrev_b32_e32 v7, 4, v1
	v_and_or_b32 v8, v6, s2, 0.5
	v_or_b32_e32 v7, 0x70000000, v7
	v_add_f32_e32 v8, -0.5, v8
	v_mul_f32_e32 v7, 0x7800000, v7
	v_cmp_gt_u32_e32 vcc, s3, v1
	v_bfe_i32 v6, v6, 0, 16
	s_nop 0
	v_cndmask_b32_e32 v1, v7, v8, vcc
	v_and_or_b32 v6, v6, s18, v1
	v_bfe_u32 v1, v1, 16, 1
	v_add3_u32 v1, v6, v1, s19
	v_cmp_o_f32_e32 vcc, v6, v6
	v_mov_b32_e32 v6, 0x7fc0
	s_nop 0
	v_cndmask_b32_sdwa v1, v6, v1, vcc dst_sel:DWORD dst_unused:UNUSED_PAD src0_sel:DWORD src1_sel:WORD_1
.LBB536_1237:
	s_mov_b64 s[2:3], 0
	s_mov_b64 s[18:19], -1
.LBB536_1238:
	s_andn2_b64 vcc, exec, s[2:3]
	s_mov_b64 s[2:3], 0
	s_cbranch_vccnz .LBB536_1249
; %bb.1239:
	s_cmp_gt_i32 s24, 14
	s_cbranch_scc0 .LBB536_1242
; %bb.1240:
	s_cmp_eq_u32 s24, 15
	s_cbranch_scc0 .LBB536_1245
; %bb.1241:
	global_load_ushort v1, v[2:3], off
	s_mov_b64 s[0:1], 0
	s_mov_b64 s[18:19], -1
	s_branch .LBB536_1246
.LBB536_1242:
	s_mov_b64 s[20:21], -1
                                        ; implicit-def: $vgpr1
	s_branch .LBB536_1247
.LBB536_1243:
	s_or_saveexec_b64 s[18:19], s[18:19]
	v_mov_b32_e32 v6, 0x7f800001
	s_xor_b64 exec, exec, s[18:19]
	s_cbranch_execz .LBB536_1224
.LBB536_1244:
	v_cmp_ne_u16_e32 vcc, 0, v1
	s_andn2_b64 s[2:3], s[2:3], exec
	s_and_b64 s[20:21], vcc, exec
	v_mov_b32_e32 v6, 0
	s_or_b64 s[2:3], s[2:3], s[20:21]
	s_or_b64 exec, exec, s[18:19]
	s_and_saveexec_b64 s[18:19], s[2:3]
	s_cbranch_execnz .LBB536_1225
	s_branch .LBB536_1226
.LBB536_1245:
	s_mov_b64 s[0:1], -1
                                        ; implicit-def: $vgpr1
.LBB536_1246:
	s_mov_b64 s[20:21], 0
.LBB536_1247:
	s_and_b64 vcc, exec, s[20:21]
	s_cbranch_vccz .LBB536_1249
; %bb.1248:
	s_cmp_lg_u32 s24, 11
	s_mov_b64 s[2:3], -1
	s_cselect_b64 s[0:1], -1, 0
.LBB536_1249:
	s_and_b64 vcc, exec, s[0:1]
	s_cbranch_vccnz .LBB536_1316
; %bb.1250:
	s_andn2_b64 vcc, exec, s[2:3]
	s_cbranch_vccnz .LBB536_1252
.LBB536_1251:
	global_load_ubyte v1, v[2:3], off
	s_mov_b64 s[18:19], -1
	s_waitcnt vmcnt(0)
	v_cmp_ne_u16_e32 vcc, 0, v1
	s_nop 1
	v_cndmask_b32_e64 v1, 0, 1.0, vcc
	v_lshrrev_b32_e32 v1, 16, v1
.LBB536_1252:
	s_branch .LBB536_1179
.LBB536_1253:
	s_cmp_lt_i32 s24, 5
	s_cbranch_scc1 .LBB536_1258
; %bb.1254:
	s_cmp_lt_i32 s24, 8
	s_cbranch_scc1 .LBB536_1259
; %bb.1255:
	;; [unrolled: 3-line block ×3, first 2 shown]
	s_cmp_gt_i32 s24, 9
	s_cbranch_scc0 .LBB536_1261
; %bb.1257:
	global_load_dwordx2 v[6:7], v[2:3], off
	s_movk_i32 s0, 0x7fff
	s_waitcnt vmcnt(1)
	v_mov_b32_e32 v1, 0x7fc0
	s_waitcnt vmcnt(0)
	v_cvt_f32_f64_e32 v6, v[6:7]
	v_bfe_u32 v7, v6, 16, 1
	v_cmp_o_f32_e32 vcc, v6, v6
	v_add3_u32 v6, v6, v7, s0
	s_mov_b64 s[0:1], 0
	v_cndmask_b32_sdwa v1, v1, v6, vcc dst_sel:DWORD dst_unused:UNUSED_PAD src0_sel:DWORD src1_sel:WORD_1
	s_branch .LBB536_1262
.LBB536_1258:
                                        ; implicit-def: $vgpr1
	s_branch .LBB536_1280
.LBB536_1259:
	s_mov_b64 s[0:1], -1
                                        ; implicit-def: $vgpr1
	s_branch .LBB536_1268
.LBB536_1260:
	s_mov_b64 s[0:1], -1
                                        ; implicit-def: $vgpr1
	s_branch .LBB536_1265
.LBB536_1261:
	s_mov_b64 s[0:1], -1
                                        ; implicit-def: $vgpr1
.LBB536_1262:
	s_andn2_b64 vcc, exec, s[0:1]
	s_cbranch_vccnz .LBB536_1264
; %bb.1263:
	global_load_dword v1, v[2:3], off
	s_movk_i32 s0, 0x7fff
	v_mov_b32_e32 v6, 0x7fc0
	s_waitcnt vmcnt(0)
	v_bfe_u32 v7, v1, 16, 1
	v_cmp_o_f32_e32 vcc, v1, v1
	v_add3_u32 v1, v1, v7, s0
	s_nop 0
	v_cndmask_b32_sdwa v1, v6, v1, vcc dst_sel:DWORD dst_unused:UNUSED_PAD src0_sel:DWORD src1_sel:WORD_1
.LBB536_1264:
	s_mov_b64 s[0:1], 0
.LBB536_1265:
	s_andn2_b64 vcc, exec, s[0:1]
	s_cbranch_vccnz .LBB536_1267
; %bb.1266:
	global_load_dword v1, v[2:3], off
	s_movk_i32 s0, 0x7fff
	v_mov_b32_e32 v7, 0x7fc0
	s_waitcnt vmcnt(0)
	v_cvt_f32_f16_e32 v6, v1
	v_cmp_o_f16_e32 vcc, v1, v1
	v_bfe_u32 v1, v6, 16, 1
	v_add3_u32 v1, v6, v1, s0
	v_cndmask_b32_sdwa v1, v7, v1, vcc dst_sel:DWORD dst_unused:UNUSED_PAD src0_sel:DWORD src1_sel:WORD_1
.LBB536_1267:
	s_mov_b64 s[0:1], 0
.LBB536_1268:
	s_andn2_b64 vcc, exec, s[0:1]
	s_cbranch_vccnz .LBB536_1279
; %bb.1269:
	s_cmp_lt_i32 s24, 6
	s_cbranch_scc1 .LBB536_1272
; %bb.1270:
	s_cmp_gt_i32 s24, 6
	s_cbranch_scc0 .LBB536_1273
; %bb.1271:
	global_load_dwordx2 v[6:7], v[2:3], off
	s_movk_i32 s0, 0x7fff
	s_waitcnt vmcnt(1)
	v_mov_b32_e32 v1, 0x7fc0
	s_waitcnt vmcnt(0)
	v_cvt_f32_f64_e32 v6, v[6:7]
	v_bfe_u32 v7, v6, 16, 1
	v_cmp_o_f32_e32 vcc, v6, v6
	v_add3_u32 v6, v6, v7, s0
	s_mov_b64 s[0:1], 0
	v_cndmask_b32_sdwa v1, v1, v6, vcc dst_sel:DWORD dst_unused:UNUSED_PAD src0_sel:DWORD src1_sel:WORD_1
	s_branch .LBB536_1274
.LBB536_1272:
	s_mov_b64 s[0:1], -1
                                        ; implicit-def: $vgpr1
	s_branch .LBB536_1277
.LBB536_1273:
	s_mov_b64 s[0:1], -1
                                        ; implicit-def: $vgpr1
.LBB536_1274:
	s_andn2_b64 vcc, exec, s[0:1]
	s_cbranch_vccnz .LBB536_1276
; %bb.1275:
	global_load_dword v1, v[2:3], off
	s_movk_i32 s0, 0x7fff
	v_mov_b32_e32 v6, 0x7fc0
	s_waitcnt vmcnt(0)
	v_bfe_u32 v7, v1, 16, 1
	v_cmp_o_f32_e32 vcc, v1, v1
	v_add3_u32 v1, v1, v7, s0
	s_nop 0
	v_cndmask_b32_sdwa v1, v6, v1, vcc dst_sel:DWORD dst_unused:UNUSED_PAD src0_sel:DWORD src1_sel:WORD_1
.LBB536_1276:
	s_mov_b64 s[0:1], 0
.LBB536_1277:
	s_andn2_b64 vcc, exec, s[0:1]
	s_cbranch_vccnz .LBB536_1279
; %bb.1278:
	global_load_ushort v1, v[2:3], off
	s_movk_i32 s0, 0x7fff
	v_mov_b32_e32 v7, 0x7fc0
	s_waitcnt vmcnt(0)
	v_cvt_f32_f16_e32 v6, v1
	v_cmp_o_f16_e32 vcc, v1, v1
	v_bfe_u32 v1, v6, 16, 1
	v_add3_u32 v1, v6, v1, s0
	v_cndmask_b32_sdwa v1, v7, v1, vcc dst_sel:DWORD dst_unused:UNUSED_PAD src0_sel:DWORD src1_sel:WORD_1
.LBB536_1279:
	s_cbranch_execnz .LBB536_1299
.LBB536_1280:
	s_cmp_lt_i32 s24, 2
	s_cbranch_scc1 .LBB536_1284
; %bb.1281:
	s_cmp_lt_i32 s24, 3
	s_cbranch_scc1 .LBB536_1285
; %bb.1282:
	s_cmp_gt_i32 s24, 3
	s_cbranch_scc0 .LBB536_1286
; %bb.1283:
	global_load_dwordx2 v[6:7], v[2:3], off
	s_movk_i32 s0, 0x7fff
	s_waitcnt vmcnt(0)
	v_xor_b32_e32 v8, v6, v7
	v_ffbh_i32_e32 v1, v7
	v_ashrrev_i32_e32 v8, 31, v8
	v_add_u32_e32 v1, -1, v1
	v_add_u32_e32 v8, 32, v8
	v_min_u32_e32 v1, v1, v8
	v_lshlrev_b64 v[6:7], v1, v[6:7]
	v_min_u32_e32 v6, 1, v6
	v_or_b32_e32 v6, v7, v6
	v_cvt_f32_i32_e32 v6, v6
	v_sub_u32_e32 v1, 32, v1
	v_ldexp_f32 v1, v6, v1
	v_bfe_u32 v6, v1, 16, 1
	v_add3_u32 v1, v1, v6, s0
	v_lshrrev_b32_e32 v1, 16, v1
	s_mov_b64 s[0:1], 0
	s_branch .LBB536_1287
.LBB536_1284:
	s_mov_b64 s[0:1], -1
                                        ; implicit-def: $vgpr1
	s_branch .LBB536_1293
.LBB536_1285:
	s_mov_b64 s[0:1], -1
                                        ; implicit-def: $vgpr1
	s_branch .LBB536_1290
.LBB536_1286:
	s_mov_b64 s[0:1], -1
                                        ; implicit-def: $vgpr1
.LBB536_1287:
	s_andn2_b64 vcc, exec, s[0:1]
	s_cbranch_vccnz .LBB536_1289
; %bb.1288:
	global_load_dword v1, v[2:3], off
	s_movk_i32 s0, 0x7fff
	s_waitcnt vmcnt(0)
	v_cvt_f32_i32_e32 v1, v1
	v_bfe_u32 v6, v1, 16, 1
	v_add3_u32 v1, v1, v6, s0
	v_lshrrev_b32_e32 v1, 16, v1
.LBB536_1289:
	s_mov_b64 s[0:1], 0
.LBB536_1290:
	s_andn2_b64 vcc, exec, s[0:1]
	s_cbranch_vccnz .LBB536_1292
; %bb.1291:
	global_load_sshort v1, v[2:3], off
	s_movk_i32 s0, 0x7fff
	s_waitcnt vmcnt(0)
	v_cvt_f32_i32_e32 v1, v1
	v_bfe_u32 v6, v1, 16, 1
	v_add3_u32 v1, v1, v6, s0
	v_lshrrev_b32_e32 v1, 16, v1
.LBB536_1292:
	s_mov_b64 s[0:1], 0
.LBB536_1293:
	s_andn2_b64 vcc, exec, s[0:1]
	s_cbranch_vccnz .LBB536_1299
; %bb.1294:
	s_cmp_gt_i32 s24, 0
	s_cbranch_scc0 .LBB536_1296
; %bb.1295:
	global_load_sbyte v1, v[2:3], off
	s_movk_i32 s0, 0x7fff
	s_waitcnt vmcnt(0)
	v_cvt_f32_i32_e32 v1, v1
	v_bfe_u32 v6, v1, 16, 1
	v_add3_u32 v1, v1, v6, s0
	v_lshrrev_b32_e32 v1, 16, v1
	s_mov_b64 s[0:1], 0
	s_branch .LBB536_1297
.LBB536_1296:
	s_mov_b64 s[0:1], -1
                                        ; implicit-def: $vgpr1
.LBB536_1297:
	s_andn2_b64 vcc, exec, s[0:1]
	s_cbranch_vccnz .LBB536_1299
; %bb.1298:
	global_load_ubyte v1, v[2:3], off
	s_movk_i32 s0, 0x7fff
	s_waitcnt vmcnt(0)
	v_cvt_f32_ubyte0_e32 v1, v1
	v_bfe_u32 v2, v1, 16, 1
	v_add3_u32 v1, v1, v2, s0
	v_lshrrev_b32_e32 v1, 16, v1
.LBB536_1299:
.LBB536_1300:
	s_waitcnt vmcnt(0)
	v_lshlrev_b32_e32 v2, 16, v1
	v_cmp_o_f32_e32 vcc, v2, v2
	v_mov_b32_e32 v6, s10
	s_and_saveexec_b64 s[0:1], vcc
	s_cbranch_execz .LBB536_1304
; %bb.1301:
	s_mov_b32 s2, 0x7f800000
	v_cmp_neq_f32_e32 vcc, s2, v2
	v_mov_b32_e32 v6, s44
	s_and_saveexec_b64 s[2:3], vcc
; %bb.1302:
	s_mov_b32 s18, 0xff800000
	v_mov_b32_e32 v3, s11
	v_cmp_eq_f32_e32 vcc, s18, v2
	s_nop 1
	v_cndmask_b32_e32 v6, v1, v3, vcc
; %bb.1303:
	s_or_b64 exec, exec, s[2:3]
.LBB536_1304:
	s_or_b64 exec, exec, s[0:1]
	v_add_u32_e32 v0, s9, v0
	v_ashrrev_i32_e32 v1, 31, v0
	s_cmp_lt_i32 s24, 11
	v_lshl_add_u64 v[2:3], s[6:7], 0, v[0:1]
	s_cbranch_scc1 .LBB536_1311
; %bb.1305:
	s_cmp_gt_i32 s24, 25
	s_mov_b64 s[2:3], 0
	s_cbranch_scc0 .LBB536_1313
; %bb.1306:
	s_cmp_gt_i32 s24, 28
	s_cbranch_scc0 .LBB536_1314
; %bb.1307:
	s_cmp_gt_i32 s24, 43
	;; [unrolled: 3-line block ×3, first 2 shown]
	s_cbranch_scc0 .LBB536_1317
; %bb.1309:
	s_cmp_eq_u32 s24, 46
	s_mov_b64 s[20:21], 0
	s_cbranch_scc0 .LBB536_1318
; %bb.1310:
	global_load_dword v1, v[2:3], off
	s_mov_b64 s[0:1], 0
	s_mov_b64 s[18:19], -1
	s_branch .LBB536_1319
.LBB536_1311:
	s_mov_b64 s[18:19], 0
                                        ; implicit-def: $vgpr1
	s_cbranch_execnz .LBB536_1385
.LBB536_1312:
	s_andn2_b64 vcc, exec, s[18:19]
	s_cbranch_vccnz .LBB536_1649
	s_branch .LBB536_1433
.LBB536_1313:
	s_mov_b64 s[20:21], -1
	s_mov_b64 s[18:19], 0
	s_mov_b64 s[0:1], 0
                                        ; implicit-def: $vgpr1
	s_branch .LBB536_1348
.LBB536_1314:
	s_mov_b64 s[20:21], -1
	s_mov_b64 s[18:19], 0
	s_mov_b64 s[0:1], 0
                                        ; implicit-def: $vgpr1
	s_branch .LBB536_1329
.LBB536_1315:
	s_mov_b64 s[20:21], -1
	s_mov_b64 s[18:19], 0
	s_mov_b64 s[0:1], 0
                                        ; implicit-def: $vgpr1
	s_branch .LBB536_1324
.LBB536_1316:
	s_trap 2
	s_or_b64 s[16:17], s[16:17], exec
	s_cbranch_execz .LBB536_1251
	s_branch .LBB536_1252
.LBB536_1317:
	s_mov_b64 s[20:21], -1
	s_mov_b64 s[18:19], 0
	s_mov_b64 s[0:1], 0
                                        ; implicit-def: $vgpr1
	s_branch .LBB536_1319
.LBB536_1318:
	s_mov_b64 s[0:1], -1
                                        ; implicit-def: $vgpr1
	s_mov_b64 s[18:19], 0
.LBB536_1319:
	s_and_b64 vcc, exec, s[20:21]
	s_cbranch_vccz .LBB536_1323
; %bb.1320:
	s_cmp_eq_u32 s24, 44
	s_cbranch_scc0 .LBB536_1322
; %bb.1321:
	global_load_ubyte v1, v[2:3], off
	s_movk_i32 s18, 0xff
	v_mov_b32_e32 v7, 0x7f800001
	v_mov_b32_e32 v8, 0x400000
	;; [unrolled: 1-line block ×3, first 2 shown]
	s_mov_b64 s[0:1], 0
	s_waitcnt vmcnt(0)
	v_lshlrev_b32_e32 v10, 23, v1
	v_cmp_ne_u32_e32 vcc, s18, v1
	s_mov_b64 s[18:19], -1
	s_nop 0
	v_cndmask_b32_e32 v7, v7, v10, vcc
	v_cmp_ne_u32_e32 vcc, 0, v1
	s_nop 1
	v_cndmask_b32_e32 v1, v8, v7, vcc
	v_add_u32_e32 v7, 0x7fff, v1
	v_cmp_o_f32_e32 vcc, v1, v1
	s_nop 1
	v_cndmask_b32_sdwa v1, v9, v7, vcc dst_sel:DWORD dst_unused:UNUSED_PAD src0_sel:DWORD src1_sel:WORD_1
	s_branch .LBB536_1323
.LBB536_1322:
	s_mov_b64 s[0:1], -1
                                        ; implicit-def: $vgpr1
.LBB536_1323:
	s_mov_b64 s[20:21], 0
.LBB536_1324:
	s_and_b64 vcc, exec, s[20:21]
	s_cbranch_vccz .LBB536_1328
; %bb.1325:
	s_cmp_eq_u32 s24, 29
	s_cbranch_scc0 .LBB536_1327
; %bb.1326:
	global_load_dwordx2 v[8:9], v[2:3], off
	s_movk_i32 s18, 0x7fff
	s_mov_b64 s[0:1], 0
	s_mov_b64 s[20:21], 0
	s_waitcnt vmcnt(0)
	v_ffbh_u32_e32 v1, v9
	v_min_u32_e32 v1, 32, v1
	v_lshlrev_b64 v[8:9], v1, v[8:9]
	v_min_u32_e32 v7, 1, v8
	v_or_b32_e32 v7, v9, v7
	v_cvt_f32_u32_e32 v7, v7
	v_sub_u32_e32 v1, 32, v1
	v_ldexp_f32 v1, v7, v1
	v_bfe_u32 v7, v1, 16, 1
	v_add3_u32 v1, v1, v7, s18
	v_lshrrev_b32_e32 v1, 16, v1
	s_mov_b64 s[18:19], -1
	s_branch .LBB536_1329
.LBB536_1327:
	s_mov_b64 s[0:1], -1
                                        ; implicit-def: $vgpr1
.LBB536_1328:
	s_mov_b64 s[20:21], 0
.LBB536_1329:
	s_and_b64 vcc, exec, s[20:21]
	s_cbranch_vccz .LBB536_1347
; %bb.1330:
	s_cmp_lt_i32 s24, 27
	s_cbranch_scc1 .LBB536_1333
; %bb.1331:
	s_cmp_gt_i32 s24, 27
	s_cbranch_scc0 .LBB536_1334
; %bb.1332:
	global_load_dword v1, v[2:3], off
	s_movk_i32 s18, 0x7fff
	s_waitcnt vmcnt(0)
	v_cvt_f32_u32_e32 v1, v1
	v_bfe_u32 v7, v1, 16, 1
	v_add3_u32 v1, v1, v7, s18
	v_lshrrev_b32_e32 v1, 16, v1
	s_mov_b64 s[18:19], 0
	s_branch .LBB536_1335
.LBB536_1333:
	s_mov_b64 s[18:19], -1
                                        ; implicit-def: $vgpr1
	s_branch .LBB536_1338
.LBB536_1334:
	s_mov_b64 s[18:19], -1
                                        ; implicit-def: $vgpr1
.LBB536_1335:
	s_andn2_b64 vcc, exec, s[18:19]
	s_cbranch_vccnz .LBB536_1337
; %bb.1336:
	global_load_ushort v1, v[2:3], off
	s_movk_i32 s18, 0x7fff
	s_waitcnt vmcnt(0)
	v_cvt_f32_u32_e32 v1, v1
	v_bfe_u32 v7, v1, 16, 1
	v_add3_u32 v1, v1, v7, s18
	v_lshrrev_b32_e32 v1, 16, v1
.LBB536_1337:
	s_mov_b64 s[18:19], 0
.LBB536_1338:
	s_andn2_b64 vcc, exec, s[18:19]
	s_cbranch_vccnz .LBB536_1346
; %bb.1339:
	global_load_ubyte v1, v[2:3], off
	s_movk_i32 s18, 0x7f
	s_waitcnt vmcnt(0)
	v_cmp_lt_i16_e32 vcc, s18, v1
	s_mov_b64 s[18:19], 0
	s_and_saveexec_b64 s[20:21], vcc
	s_xor_b64 s[20:21], exec, s[20:21]
	s_cbranch_execz .LBB536_1360
; %bb.1340:
	s_movk_i32 s18, 0x80
	v_cmp_eq_u16_e32 vcc, s18, v1
	s_mov_b64 s[18:19], -1
	s_and_saveexec_b64 s[22:23], vcc
; %bb.1341:
	s_xor_b64 s[18:19], exec, -1
; %bb.1342:
	s_or_b64 exec, exec, s[22:23]
	s_and_b64 s[18:19], s[18:19], exec
	s_or_saveexec_b64 s[20:21], s[20:21]
	v_mov_b32_e32 v7, 0x7f800001
	s_xor_b64 exec, exec, s[20:21]
	s_cbranch_execnz .LBB536_1361
.LBB536_1343:
	s_or_b64 exec, exec, s[20:21]
	s_and_saveexec_b64 s[20:21], s[18:19]
	s_cbranch_execz .LBB536_1345
.LBB536_1344:
	v_lshlrev_b32_e32 v7, 24, v1
	v_and_b32_e32 v1, 0xffff, v1
	v_and_b32_e32 v8, 7, v1
	v_ffbh_u32_e32 v10, v8
	v_min_u32_e32 v10, 32, v10
	v_subrev_u32_e32 v11, 28, v10
	v_bfe_u32 v9, v1, 3, 4
	v_lshlrev_b32_e32 v1, v11, v1
	v_sub_u32_e32 v10, 29, v10
	v_and_b32_e32 v1, 7, v1
	v_cmp_eq_u32_e32 vcc, 0, v9
	v_and_b32_e32 v7, 0x80000000, v7
	s_nop 0
	v_cndmask_b32_e32 v9, v9, v10, vcc
	v_cndmask_b32_e32 v1, v8, v1, vcc
	v_mov_b32_e32 v8, 0x3b800000
	v_lshlrev_b32_e32 v1, 20, v1
	v_lshl_add_u32 v8, v9, 23, v8
	v_or3_b32 v7, v7, v8, v1
.LBB536_1345:
	s_or_b64 exec, exec, s[20:21]
	v_bfe_u32 v1, v7, 16, 1
	s_movk_i32 s18, 0x7fff
	v_add3_u32 v1, v7, v1, s18
	v_cmp_o_f32_e32 vcc, v7, v7
	v_mov_b32_e32 v7, 0x7fc0
	s_nop 0
	v_cndmask_b32_sdwa v1, v7, v1, vcc dst_sel:DWORD dst_unused:UNUSED_PAD src0_sel:DWORD src1_sel:WORD_1
.LBB536_1346:
	s_mov_b64 s[18:19], -1
.LBB536_1347:
	s_mov_b64 s[20:21], 0
.LBB536_1348:
	s_and_b64 vcc, exec, s[20:21]
	s_cbranch_vccz .LBB536_1381
; %bb.1349:
	s_cmp_gt_i32 s24, 22
	s_cbranch_scc0 .LBB536_1359
; %bb.1350:
	s_cmp_lt_i32 s24, 24
	s_cbranch_scc1 .LBB536_1362
; %bb.1351:
	s_cmp_gt_i32 s24, 24
	s_cbranch_scc0 .LBB536_1363
; %bb.1352:
	global_load_ubyte v1, v[2:3], off
	s_movk_i32 s2, 0x7f
	s_waitcnt vmcnt(0)
	v_cmp_lt_i16_e32 vcc, s2, v1
	s_mov_b64 s[2:3], 0
	s_and_saveexec_b64 s[18:19], vcc
	s_xor_b64 s[18:19], exec, s[18:19]
	s_cbranch_execz .LBB536_1375
; %bb.1353:
	s_movk_i32 s2, 0x80
	v_cmp_eq_u16_e32 vcc, s2, v1
	s_mov_b64 s[2:3], -1
	s_and_saveexec_b64 s[20:21], vcc
; %bb.1354:
	s_xor_b64 s[2:3], exec, -1
; %bb.1355:
	s_or_b64 exec, exec, s[20:21]
	s_and_b64 s[2:3], s[2:3], exec
	s_or_saveexec_b64 s[18:19], s[18:19]
	v_mov_b32_e32 v7, 0x7f800001
	s_xor_b64 exec, exec, s[18:19]
	s_cbranch_execnz .LBB536_1376
.LBB536_1356:
	s_or_b64 exec, exec, s[18:19]
	s_and_saveexec_b64 s[18:19], s[2:3]
	s_cbranch_execz .LBB536_1358
.LBB536_1357:
	v_lshlrev_b32_e32 v7, 24, v1
	v_and_b32_e32 v1, 0xffff, v1
	v_and_b32_e32 v8, 3, v1
	v_ffbh_u32_e32 v10, v8
	v_min_u32_e32 v10, 32, v10
	v_subrev_u32_e32 v11, 29, v10
	v_bfe_u32 v9, v1, 2, 5
	v_lshlrev_b32_e32 v1, v11, v1
	v_sub_u32_e32 v10, 30, v10
	v_and_b32_e32 v1, 3, v1
	v_cmp_eq_u32_e32 vcc, 0, v9
	v_and_b32_e32 v7, 0x80000000, v7
	s_nop 0
	v_cndmask_b32_e32 v9, v9, v10, vcc
	v_cndmask_b32_e32 v1, v8, v1, vcc
	v_mov_b32_e32 v8, 0x37800000
	v_lshlrev_b32_e32 v1, 21, v1
	v_lshl_add_u32 v8, v9, 23, v8
	v_or3_b32 v7, v7, v8, v1
.LBB536_1358:
	s_or_b64 exec, exec, s[18:19]
	v_bfe_u32 v1, v7, 16, 1
	s_movk_i32 s2, 0x7fff
	v_add3_u32 v1, v7, v1, s2
	v_cmp_o_f32_e32 vcc, v7, v7
	v_mov_b32_e32 v7, 0x7fc0
	s_mov_b64 s[2:3], 0
	v_cndmask_b32_sdwa v1, v7, v1, vcc dst_sel:DWORD dst_unused:UNUSED_PAD src0_sel:DWORD src1_sel:WORD_1
	s_branch .LBB536_1364
.LBB536_1359:
	s_mov_b64 s[2:3], -1
                                        ; implicit-def: $vgpr1
	s_branch .LBB536_1370
.LBB536_1360:
	s_or_saveexec_b64 s[20:21], s[20:21]
	v_mov_b32_e32 v7, 0x7f800001
	s_xor_b64 exec, exec, s[20:21]
	s_cbranch_execz .LBB536_1343
.LBB536_1361:
	v_cmp_ne_u16_e32 vcc, 0, v1
	s_andn2_b64 s[18:19], s[18:19], exec
	s_and_b64 s[22:23], vcc, exec
	v_mov_b32_e32 v7, 0
	s_or_b64 s[18:19], s[18:19], s[22:23]
	s_or_b64 exec, exec, s[20:21]
	s_and_saveexec_b64 s[20:21], s[18:19]
	s_cbranch_execnz .LBB536_1344
	s_branch .LBB536_1345
.LBB536_1362:
	s_mov_b64 s[2:3], -1
                                        ; implicit-def: $vgpr1
	s_branch .LBB536_1367
.LBB536_1363:
	s_mov_b64 s[2:3], -1
                                        ; implicit-def: $vgpr1
.LBB536_1364:
	s_and_b64 vcc, exec, s[2:3]
	s_cbranch_vccz .LBB536_1366
; %bb.1365:
	global_load_ubyte v1, v[2:3], off
	s_mov_b32 s2, 0x7f800000
	s_brev_b32 s3, 1
	s_movk_i32 s18, 0x7fff
	s_waitcnt vmcnt(0)
	v_lshlrev_b32_e32 v1, 24, v1
	v_and_b32_e32 v7, 0x7f000000, v1
	v_ffbh_u32_e32 v8, v7
	v_min_u32_e32 v8, 32, v8
	v_sub_u32_e64 v8, v8, 4 clamp
	v_lshlrev_b32_e32 v10, v8, v7
	v_lshlrev_b32_e32 v8, 23, v8
	v_lshrrev_b32_e32 v10, 4, v10
	v_add_u32_e32 v9, 0x1000000, v7
	v_sub_u32_e32 v8, v10, v8
	v_ashrrev_i32_e32 v9, 8, v9
	v_add_u32_e32 v8, 0x3c000000, v8
	v_and_or_b32 v8, v9, s2, v8
	v_cmp_ne_u32_e32 vcc, 0, v7
	s_nop 1
	v_cndmask_b32_e32 v7, 0, v8, vcc
	v_and_or_b32 v1, v1, s3, v7
	v_bfe_u32 v7, v7, 16, 1
	v_add3_u32 v7, v1, v7, s18
	v_cmp_o_f32_e32 vcc, v1, v1
	v_mov_b32_e32 v1, 0x7fc0
	s_nop 0
	v_cndmask_b32_sdwa v1, v1, v7, vcc dst_sel:DWORD dst_unused:UNUSED_PAD src0_sel:DWORD src1_sel:WORD_1
.LBB536_1366:
	s_mov_b64 s[2:3], 0
.LBB536_1367:
	s_andn2_b64 vcc, exec, s[2:3]
	s_cbranch_vccnz .LBB536_1369
; %bb.1368:
	global_load_ubyte v1, v[2:3], off
	s_movk_i32 s2, 0x7f00
	s_brev_b32 s3, 16
	s_brev_b32 s18, 1
	s_movk_i32 s19, 0x7fff
	s_waitcnt vmcnt(0)
	v_lshlrev_b16_e32 v7, 8, v1
	v_lshlrev_b32_e32 v1, 25, v1
	v_lshrrev_b32_e32 v8, 4, v1
	v_and_or_b32 v9, v7, s2, 0.5
	v_or_b32_e32 v8, 0x70000000, v8
	v_add_f32_e32 v9, -0.5, v9
	v_mul_f32_e32 v8, 0x7800000, v8
	v_cmp_gt_u32_e32 vcc, s3, v1
	v_bfe_i32 v7, v7, 0, 16
	s_nop 0
	v_cndmask_b32_e32 v1, v8, v9, vcc
	v_and_or_b32 v7, v7, s18, v1
	v_bfe_u32 v1, v1, 16, 1
	v_add3_u32 v1, v7, v1, s19
	v_cmp_o_f32_e32 vcc, v7, v7
	v_mov_b32_e32 v7, 0x7fc0
	s_nop 0
	v_cndmask_b32_sdwa v1, v7, v1, vcc dst_sel:DWORD dst_unused:UNUSED_PAD src0_sel:DWORD src1_sel:WORD_1
.LBB536_1369:
	s_mov_b64 s[2:3], 0
	s_mov_b64 s[18:19], -1
.LBB536_1370:
	s_andn2_b64 vcc, exec, s[2:3]
	s_mov_b64 s[2:3], 0
	s_cbranch_vccnz .LBB536_1381
; %bb.1371:
	s_cmp_gt_i32 s24, 14
	s_cbranch_scc0 .LBB536_1374
; %bb.1372:
	s_cmp_eq_u32 s24, 15
	s_cbranch_scc0 .LBB536_1377
; %bb.1373:
	global_load_ushort v1, v[2:3], off
	s_mov_b64 s[0:1], 0
	s_mov_b64 s[18:19], -1
	s_branch .LBB536_1378
.LBB536_1374:
	s_mov_b64 s[20:21], -1
                                        ; implicit-def: $vgpr1
	s_branch .LBB536_1379
.LBB536_1375:
	s_or_saveexec_b64 s[18:19], s[18:19]
	v_mov_b32_e32 v7, 0x7f800001
	s_xor_b64 exec, exec, s[18:19]
	s_cbranch_execz .LBB536_1356
.LBB536_1376:
	v_cmp_ne_u16_e32 vcc, 0, v1
	s_andn2_b64 s[2:3], s[2:3], exec
	s_and_b64 s[20:21], vcc, exec
	v_mov_b32_e32 v7, 0
	s_or_b64 s[2:3], s[2:3], s[20:21]
	s_or_b64 exec, exec, s[18:19]
	s_and_saveexec_b64 s[18:19], s[2:3]
	s_cbranch_execnz .LBB536_1357
	s_branch .LBB536_1358
.LBB536_1377:
	s_mov_b64 s[0:1], -1
                                        ; implicit-def: $vgpr1
.LBB536_1378:
	s_mov_b64 s[20:21], 0
.LBB536_1379:
	s_and_b64 vcc, exec, s[20:21]
	s_cbranch_vccz .LBB536_1381
; %bb.1380:
	s_cmp_lg_u32 s24, 11
	s_mov_b64 s[2:3], -1
	s_cselect_b64 s[0:1], -1, 0
.LBB536_1381:
	s_and_b64 vcc, exec, s[0:1]
	s_cbranch_vccnz .LBB536_1448
; %bb.1382:
	s_andn2_b64 vcc, exec, s[2:3]
	s_cbranch_vccnz .LBB536_1384
.LBB536_1383:
	global_load_ubyte v1, v[2:3], off
	s_mov_b64 s[18:19], -1
	s_waitcnt vmcnt(0)
	v_cmp_ne_u16_e32 vcc, 0, v1
	s_nop 1
	v_cndmask_b32_e64 v1, 0, 1.0, vcc
	v_lshrrev_b32_e32 v1, 16, v1
.LBB536_1384:
	s_branch .LBB536_1312
.LBB536_1385:
	s_cmp_lt_i32 s24, 5
	s_cbranch_scc1 .LBB536_1390
; %bb.1386:
	s_cmp_lt_i32 s24, 8
	s_cbranch_scc1 .LBB536_1391
; %bb.1387:
	;; [unrolled: 3-line block ×3, first 2 shown]
	s_cmp_gt_i32 s24, 9
	s_cbranch_scc0 .LBB536_1393
; %bb.1389:
	global_load_dwordx2 v[8:9], v[2:3], off
	s_movk_i32 s0, 0x7fff
	s_waitcnt vmcnt(1)
	v_mov_b32_e32 v1, 0x7fc0
	s_waitcnt vmcnt(0)
	v_cvt_f32_f64_e32 v7, v[8:9]
	v_bfe_u32 v8, v7, 16, 1
	v_cmp_o_f32_e32 vcc, v7, v7
	v_add3_u32 v7, v7, v8, s0
	s_mov_b64 s[0:1], 0
	v_cndmask_b32_sdwa v1, v1, v7, vcc dst_sel:DWORD dst_unused:UNUSED_PAD src0_sel:DWORD src1_sel:WORD_1
	s_branch .LBB536_1394
.LBB536_1390:
	s_mov_b64 s[0:1], -1
                                        ; implicit-def: $vgpr1
	s_branch .LBB536_1412
.LBB536_1391:
	s_mov_b64 s[0:1], -1
                                        ; implicit-def: $vgpr1
	s_branch .LBB536_1400
.LBB536_1392:
	s_mov_b64 s[0:1], -1
                                        ; implicit-def: $vgpr1
	s_branch .LBB536_1397
.LBB536_1393:
	s_mov_b64 s[0:1], -1
                                        ; implicit-def: $vgpr1
.LBB536_1394:
	s_andn2_b64 vcc, exec, s[0:1]
	s_cbranch_vccnz .LBB536_1396
; %bb.1395:
	global_load_dword v1, v[2:3], off
	s_movk_i32 s0, 0x7fff
	v_mov_b32_e32 v7, 0x7fc0
	s_waitcnt vmcnt(0)
	v_bfe_u32 v8, v1, 16, 1
	v_cmp_o_f32_e32 vcc, v1, v1
	v_add3_u32 v1, v1, v8, s0
	s_nop 0
	v_cndmask_b32_sdwa v1, v7, v1, vcc dst_sel:DWORD dst_unused:UNUSED_PAD src0_sel:DWORD src1_sel:WORD_1
.LBB536_1396:
	s_mov_b64 s[0:1], 0
.LBB536_1397:
	s_andn2_b64 vcc, exec, s[0:1]
	s_cbranch_vccnz .LBB536_1399
; %bb.1398:
	global_load_dword v1, v[2:3], off
	s_movk_i32 s0, 0x7fff
	v_mov_b32_e32 v8, 0x7fc0
	s_waitcnt vmcnt(0)
	v_cvt_f32_f16_e32 v7, v1
	v_cmp_o_f16_e32 vcc, v1, v1
	v_bfe_u32 v1, v7, 16, 1
	v_add3_u32 v1, v7, v1, s0
	v_cndmask_b32_sdwa v1, v8, v1, vcc dst_sel:DWORD dst_unused:UNUSED_PAD src0_sel:DWORD src1_sel:WORD_1
.LBB536_1399:
	s_mov_b64 s[0:1], 0
.LBB536_1400:
	s_andn2_b64 vcc, exec, s[0:1]
	s_cbranch_vccnz .LBB536_1411
; %bb.1401:
	s_cmp_lt_i32 s24, 6
	s_cbranch_scc1 .LBB536_1404
; %bb.1402:
	s_cmp_gt_i32 s24, 6
	s_cbranch_scc0 .LBB536_1405
; %bb.1403:
	global_load_dwordx2 v[8:9], v[2:3], off
	s_movk_i32 s0, 0x7fff
	s_waitcnt vmcnt(1)
	v_mov_b32_e32 v1, 0x7fc0
	s_waitcnt vmcnt(0)
	v_cvt_f32_f64_e32 v7, v[8:9]
	v_bfe_u32 v8, v7, 16, 1
	v_cmp_o_f32_e32 vcc, v7, v7
	v_add3_u32 v7, v7, v8, s0
	s_mov_b64 s[0:1], 0
	v_cndmask_b32_sdwa v1, v1, v7, vcc dst_sel:DWORD dst_unused:UNUSED_PAD src0_sel:DWORD src1_sel:WORD_1
	s_branch .LBB536_1406
.LBB536_1404:
	s_mov_b64 s[0:1], -1
                                        ; implicit-def: $vgpr1
	s_branch .LBB536_1409
.LBB536_1405:
	s_mov_b64 s[0:1], -1
                                        ; implicit-def: $vgpr1
.LBB536_1406:
	s_andn2_b64 vcc, exec, s[0:1]
	s_cbranch_vccnz .LBB536_1408
; %bb.1407:
	global_load_dword v1, v[2:3], off
	s_movk_i32 s0, 0x7fff
	v_mov_b32_e32 v7, 0x7fc0
	s_waitcnt vmcnt(0)
	v_bfe_u32 v8, v1, 16, 1
	v_cmp_o_f32_e32 vcc, v1, v1
	v_add3_u32 v1, v1, v8, s0
	s_nop 0
	v_cndmask_b32_sdwa v1, v7, v1, vcc dst_sel:DWORD dst_unused:UNUSED_PAD src0_sel:DWORD src1_sel:WORD_1
.LBB536_1408:
	s_mov_b64 s[0:1], 0
.LBB536_1409:
	s_andn2_b64 vcc, exec, s[0:1]
	s_cbranch_vccnz .LBB536_1411
; %bb.1410:
	global_load_ushort v1, v[2:3], off
	s_movk_i32 s0, 0x7fff
	v_mov_b32_e32 v8, 0x7fc0
	s_waitcnt vmcnt(0)
	v_cvt_f32_f16_e32 v7, v1
	v_cmp_o_f16_e32 vcc, v1, v1
	v_bfe_u32 v1, v7, 16, 1
	v_add3_u32 v1, v7, v1, s0
	v_cndmask_b32_sdwa v1, v8, v1, vcc dst_sel:DWORD dst_unused:UNUSED_PAD src0_sel:DWORD src1_sel:WORD_1
.LBB536_1411:
	s_mov_b64 s[0:1], 0
.LBB536_1412:
	s_andn2_b64 vcc, exec, s[0:1]
	s_cbranch_vccnz .LBB536_1432
; %bb.1413:
	s_cmp_lt_i32 s24, 2
	s_cbranch_scc1 .LBB536_1417
; %bb.1414:
	s_cmp_lt_i32 s24, 3
	s_cbranch_scc1 .LBB536_1418
; %bb.1415:
	s_cmp_gt_i32 s24, 3
	s_cbranch_scc0 .LBB536_1419
; %bb.1416:
	global_load_dwordx2 v[8:9], v[2:3], off
	s_movk_i32 s0, 0x7fff
	s_waitcnt vmcnt(0)
	v_xor_b32_e32 v7, v8, v9
	v_ffbh_i32_e32 v1, v9
	v_ashrrev_i32_e32 v7, 31, v7
	v_add_u32_e32 v1, -1, v1
	v_add_u32_e32 v7, 32, v7
	v_min_u32_e32 v1, v1, v7
	v_lshlrev_b64 v[8:9], v1, v[8:9]
	v_min_u32_e32 v7, 1, v8
	v_or_b32_e32 v7, v9, v7
	v_cvt_f32_i32_e32 v7, v7
	v_sub_u32_e32 v1, 32, v1
	v_ldexp_f32 v1, v7, v1
	v_bfe_u32 v7, v1, 16, 1
	v_add3_u32 v1, v1, v7, s0
	v_lshrrev_b32_e32 v1, 16, v1
	s_mov_b64 s[0:1], 0
	s_branch .LBB536_1420
.LBB536_1417:
	s_mov_b64 s[0:1], -1
                                        ; implicit-def: $vgpr1
	s_branch .LBB536_1426
.LBB536_1418:
	s_mov_b64 s[0:1], -1
                                        ; implicit-def: $vgpr1
	s_branch .LBB536_1423
.LBB536_1419:
	s_mov_b64 s[0:1], -1
                                        ; implicit-def: $vgpr1
.LBB536_1420:
	s_andn2_b64 vcc, exec, s[0:1]
	s_cbranch_vccnz .LBB536_1422
; %bb.1421:
	global_load_dword v1, v[2:3], off
	s_movk_i32 s0, 0x7fff
	s_waitcnt vmcnt(0)
	v_cvt_f32_i32_e32 v1, v1
	v_bfe_u32 v7, v1, 16, 1
	v_add3_u32 v1, v1, v7, s0
	v_lshrrev_b32_e32 v1, 16, v1
.LBB536_1422:
	s_mov_b64 s[0:1], 0
.LBB536_1423:
	s_andn2_b64 vcc, exec, s[0:1]
	s_cbranch_vccnz .LBB536_1425
; %bb.1424:
	global_load_sshort v1, v[2:3], off
	s_movk_i32 s0, 0x7fff
	s_waitcnt vmcnt(0)
	v_cvt_f32_i32_e32 v1, v1
	v_bfe_u32 v7, v1, 16, 1
	v_add3_u32 v1, v1, v7, s0
	v_lshrrev_b32_e32 v1, 16, v1
.LBB536_1425:
	s_mov_b64 s[0:1], 0
.LBB536_1426:
	s_andn2_b64 vcc, exec, s[0:1]
	s_cbranch_vccnz .LBB536_1432
; %bb.1427:
	s_cmp_gt_i32 s24, 0
	s_cbranch_scc0 .LBB536_1429
; %bb.1428:
	global_load_sbyte v1, v[2:3], off
	s_movk_i32 s0, 0x7fff
	s_waitcnt vmcnt(0)
	v_cvt_f32_i32_e32 v1, v1
	v_bfe_u32 v7, v1, 16, 1
	v_add3_u32 v1, v1, v7, s0
	v_lshrrev_b32_e32 v1, 16, v1
	s_mov_b64 s[0:1], 0
	s_branch .LBB536_1430
.LBB536_1429:
	s_mov_b64 s[0:1], -1
                                        ; implicit-def: $vgpr1
.LBB536_1430:
	s_andn2_b64 vcc, exec, s[0:1]
	s_cbranch_vccnz .LBB536_1432
; %bb.1431:
	global_load_ubyte v1, v[2:3], off
	s_movk_i32 s0, 0x7fff
	s_waitcnt vmcnt(0)
	v_cvt_f32_ubyte0_e32 v1, v1
	v_bfe_u32 v2, v1, 16, 1
	v_add3_u32 v1, v1, v2, s0
	v_lshrrev_b32_e32 v1, 16, v1
.LBB536_1432:
.LBB536_1433:
	s_waitcnt vmcnt(0)
	v_lshlrev_b32_e32 v2, 16, v1
	v_cmp_o_f32_e32 vcc, v2, v2
	v_mov_b32_e32 v7, s10
	s_and_saveexec_b64 s[0:1], vcc
	s_cbranch_execz .LBB536_1437
; %bb.1434:
	s_mov_b32 s2, 0x7f800000
	v_cmp_neq_f32_e32 vcc, s2, v2
	v_mov_b32_e32 v7, s44
	s_and_saveexec_b64 s[2:3], vcc
; %bb.1435:
	s_mov_b32 s18, 0xff800000
	v_mov_b32_e32 v3, s11
	v_cmp_eq_f32_e32 vcc, s18, v2
	s_nop 1
	v_cndmask_b32_e32 v7, v1, v3, vcc
; %bb.1436:
	s_or_b64 exec, exec, s[2:3]
.LBB536_1437:
	s_or_b64 exec, exec, s[0:1]
	v_add_u32_e32 v0, s9, v0
	v_ashrrev_i32_e32 v1, 31, v0
	s_cmp_lt_i32 s24, 11
	v_lshl_add_u64 v[0:1], s[6:7], 0, v[0:1]
	s_cbranch_scc1 .LBB536_1444
; %bb.1438:
	s_cmp_gt_i32 s24, 25
	s_mov_b64 s[2:3], 0
	s_cbranch_scc0 .LBB536_1445
; %bb.1439:
	s_cmp_gt_i32 s24, 28
	s_cbranch_scc0 .LBB536_1446
; %bb.1440:
	s_cmp_gt_i32 s24, 43
	;; [unrolled: 3-line block ×3, first 2 shown]
	s_cbranch_scc0 .LBB536_1449
; %bb.1442:
	s_cmp_eq_u32 s24, 46
	s_mov_b64 s[18:19], 0
	s_cbranch_scc0 .LBB536_1450
; %bb.1443:
	global_load_dword v2, v[0:1], off
	s_mov_b64 s[0:1], 0
	s_mov_b64 s[6:7], -1
	s_branch .LBB536_1451
.LBB536_1444:
	s_mov_b64 s[0:1], -1
	s_mov_b64 s[6:7], 0
                                        ; implicit-def: $vgpr2
	s_branch .LBB536_1517
.LBB536_1445:
	s_mov_b64 s[18:19], -1
	s_mov_b64 s[6:7], 0
	s_mov_b64 s[0:1], 0
                                        ; implicit-def: $vgpr2
	s_branch .LBB536_1480
.LBB536_1446:
	s_mov_b64 s[18:19], -1
	s_mov_b64 s[6:7], 0
	s_mov_b64 s[0:1], 0
                                        ; implicit-def: $vgpr2
	s_branch .LBB536_1461
.LBB536_1447:
	s_mov_b64 s[18:19], -1
	s_mov_b64 s[6:7], 0
	s_mov_b64 s[0:1], 0
                                        ; implicit-def: $vgpr2
	s_branch .LBB536_1456
.LBB536_1448:
	s_trap 2
	s_or_b64 s[16:17], s[16:17], exec
	s_cbranch_execz .LBB536_1383
	s_branch .LBB536_1384
.LBB536_1449:
	s_mov_b64 s[18:19], -1
	s_mov_b64 s[6:7], 0
	s_mov_b64 s[0:1], 0
                                        ; implicit-def: $vgpr2
	s_branch .LBB536_1451
.LBB536_1450:
	s_mov_b64 s[0:1], -1
                                        ; implicit-def: $vgpr2
	s_mov_b64 s[6:7], 0
.LBB536_1451:
	s_and_b64 vcc, exec, s[18:19]
	s_cbranch_vccz .LBB536_1455
; %bb.1452:
	s_cmp_eq_u32 s24, 44
	s_cbranch_scc0 .LBB536_1454
; %bb.1453:
	global_load_ubyte v2, v[0:1], off
	s_movk_i32 s6, 0xff
	v_mov_b32_e32 v3, 0x7f800001
	v_mov_b32_e32 v8, 0x400000
	;; [unrolled: 1-line block ×3, first 2 shown]
	s_mov_b64 s[0:1], 0
	s_waitcnt vmcnt(0)
	v_lshlrev_b32_e32 v10, 23, v2
	v_cmp_ne_u32_e32 vcc, s6, v2
	s_mov_b64 s[6:7], -1
	s_nop 0
	v_cndmask_b32_e32 v3, v3, v10, vcc
	v_cmp_ne_u32_e32 vcc, 0, v2
	s_nop 1
	v_cndmask_b32_e32 v2, v8, v3, vcc
	v_add_u32_e32 v3, 0x7fff, v2
	v_cmp_o_f32_e32 vcc, v2, v2
	s_nop 1
	v_cndmask_b32_sdwa v2, v9, v3, vcc dst_sel:DWORD dst_unused:UNUSED_PAD src0_sel:DWORD src1_sel:WORD_1
	s_branch .LBB536_1455
.LBB536_1454:
	s_mov_b64 s[0:1], -1
                                        ; implicit-def: $vgpr2
.LBB536_1455:
	s_mov_b64 s[18:19], 0
.LBB536_1456:
	s_and_b64 vcc, exec, s[18:19]
	s_cbranch_vccz .LBB536_1460
; %bb.1457:
	s_cmp_eq_u32 s24, 29
	s_cbranch_scc0 .LBB536_1459
; %bb.1458:
	global_load_dwordx2 v[2:3], v[0:1], off
	s_movk_i32 s6, 0x7fff
	s_mov_b64 s[0:1], 0
	s_mov_b64 s[18:19], 0
	s_waitcnt vmcnt(0)
	v_ffbh_u32_e32 v8, v3
	v_min_u32_e32 v8, 32, v8
	v_lshlrev_b64 v[2:3], v8, v[2:3]
	v_min_u32_e32 v2, 1, v2
	v_or_b32_e32 v2, v3, v2
	v_cvt_f32_u32_e32 v2, v2
	v_sub_u32_e32 v3, 32, v8
	v_ldexp_f32 v2, v2, v3
	v_bfe_u32 v3, v2, 16, 1
	v_add3_u32 v2, v2, v3, s6
	v_lshrrev_b32_e32 v2, 16, v2
	s_mov_b64 s[6:7], -1
	s_branch .LBB536_1461
.LBB536_1459:
	s_mov_b64 s[0:1], -1
                                        ; implicit-def: $vgpr2
.LBB536_1460:
	s_mov_b64 s[18:19], 0
.LBB536_1461:
	s_and_b64 vcc, exec, s[18:19]
	s_cbranch_vccz .LBB536_1479
; %bb.1462:
	s_cmp_lt_i32 s24, 27
	s_cbranch_scc1 .LBB536_1465
; %bb.1463:
	s_cmp_gt_i32 s24, 27
	s_cbranch_scc0 .LBB536_1466
; %bb.1464:
	global_load_dword v2, v[0:1], off
	s_movk_i32 s6, 0x7fff
	s_waitcnt vmcnt(0)
	v_cvt_f32_u32_e32 v2, v2
	v_bfe_u32 v3, v2, 16, 1
	v_add3_u32 v2, v2, v3, s6
	v_lshrrev_b32_e32 v2, 16, v2
	s_mov_b64 s[6:7], 0
	s_branch .LBB536_1467
.LBB536_1465:
	s_mov_b64 s[6:7], -1
                                        ; implicit-def: $vgpr2
	s_branch .LBB536_1470
.LBB536_1466:
	s_mov_b64 s[6:7], -1
                                        ; implicit-def: $vgpr2
.LBB536_1467:
	s_andn2_b64 vcc, exec, s[6:7]
	s_cbranch_vccnz .LBB536_1469
; %bb.1468:
	global_load_ushort v2, v[0:1], off
	s_movk_i32 s6, 0x7fff
	s_waitcnt vmcnt(0)
	v_cvt_f32_u32_e32 v2, v2
	v_bfe_u32 v3, v2, 16, 1
	v_add3_u32 v2, v2, v3, s6
	v_lshrrev_b32_e32 v2, 16, v2
.LBB536_1469:
	s_mov_b64 s[6:7], 0
.LBB536_1470:
	s_andn2_b64 vcc, exec, s[6:7]
	s_cbranch_vccnz .LBB536_1478
; %bb.1471:
	global_load_ubyte v2, v[0:1], off
	s_movk_i32 s6, 0x7f
	s_waitcnt vmcnt(0)
	v_cmp_lt_i16_e32 vcc, s6, v2
	s_mov_b64 s[6:7], 0
	s_and_saveexec_b64 s[18:19], vcc
	s_xor_b64 s[18:19], exec, s[18:19]
	s_cbranch_execz .LBB536_1492
; %bb.1472:
	s_movk_i32 s6, 0x80
	v_cmp_eq_u16_e32 vcc, s6, v2
	s_mov_b64 s[6:7], -1
	s_and_saveexec_b64 s[20:21], vcc
; %bb.1473:
	s_xor_b64 s[6:7], exec, -1
; %bb.1474:
	s_or_b64 exec, exec, s[20:21]
	s_and_b64 s[6:7], s[6:7], exec
	s_or_saveexec_b64 s[18:19], s[18:19]
	v_mov_b32_e32 v3, 0x7f800001
	s_xor_b64 exec, exec, s[18:19]
	s_cbranch_execnz .LBB536_1493
.LBB536_1475:
	s_or_b64 exec, exec, s[18:19]
	s_and_saveexec_b64 s[18:19], s[6:7]
	s_cbranch_execz .LBB536_1477
.LBB536_1476:
	v_lshlrev_b32_e32 v3, 24, v2
	v_and_b32_e32 v2, 0xffff, v2
	v_and_b32_e32 v8, 7, v2
	v_ffbh_u32_e32 v10, v8
	v_min_u32_e32 v10, 32, v10
	v_subrev_u32_e32 v11, 28, v10
	v_bfe_u32 v9, v2, 3, 4
	v_lshlrev_b32_e32 v2, v11, v2
	v_sub_u32_e32 v10, 29, v10
	v_and_b32_e32 v2, 7, v2
	v_cmp_eq_u32_e32 vcc, 0, v9
	v_and_b32_e32 v3, 0x80000000, v3
	s_nop 0
	v_cndmask_b32_e32 v9, v9, v10, vcc
	v_cndmask_b32_e32 v2, v8, v2, vcc
	v_mov_b32_e32 v8, 0x3b800000
	v_lshlrev_b32_e32 v2, 20, v2
	v_lshl_add_u32 v8, v9, 23, v8
	v_or3_b32 v3, v3, v8, v2
.LBB536_1477:
	s_or_b64 exec, exec, s[18:19]
	v_bfe_u32 v2, v3, 16, 1
	s_movk_i32 s6, 0x7fff
	v_add3_u32 v2, v3, v2, s6
	v_cmp_o_f32_e32 vcc, v3, v3
	v_mov_b32_e32 v3, 0x7fc0
	s_nop 0
	v_cndmask_b32_sdwa v2, v3, v2, vcc dst_sel:DWORD dst_unused:UNUSED_PAD src0_sel:DWORD src1_sel:WORD_1
.LBB536_1478:
	s_mov_b64 s[6:7], -1
.LBB536_1479:
	s_mov_b64 s[18:19], 0
.LBB536_1480:
	s_and_b64 vcc, exec, s[18:19]
	s_cbranch_vccz .LBB536_1513
; %bb.1481:
	s_cmp_gt_i32 s24, 22
	s_cbranch_scc0 .LBB536_1491
; %bb.1482:
	s_cmp_lt_i32 s24, 24
	s_cbranch_scc1 .LBB536_1494
; %bb.1483:
	s_cmp_gt_i32 s24, 24
	s_cbranch_scc0 .LBB536_1495
; %bb.1484:
	global_load_ubyte v2, v[0:1], off
	s_movk_i32 s2, 0x7f
	s_waitcnt vmcnt(0)
	v_cmp_lt_i16_e32 vcc, s2, v2
	s_mov_b64 s[2:3], 0
	s_and_saveexec_b64 s[6:7], vcc
	s_xor_b64 s[6:7], exec, s[6:7]
	s_cbranch_execz .LBB536_1507
; %bb.1485:
	s_movk_i32 s2, 0x80
	v_cmp_eq_u16_e32 vcc, s2, v2
	s_mov_b64 s[2:3], -1
	s_and_saveexec_b64 s[18:19], vcc
; %bb.1486:
	s_xor_b64 s[2:3], exec, -1
; %bb.1487:
	s_or_b64 exec, exec, s[18:19]
	s_and_b64 s[2:3], s[2:3], exec
	s_or_saveexec_b64 s[6:7], s[6:7]
	v_mov_b32_e32 v3, 0x7f800001
	s_xor_b64 exec, exec, s[6:7]
	s_cbranch_execnz .LBB536_1508
.LBB536_1488:
	s_or_b64 exec, exec, s[6:7]
	s_and_saveexec_b64 s[6:7], s[2:3]
	s_cbranch_execz .LBB536_1490
.LBB536_1489:
	v_lshlrev_b32_e32 v3, 24, v2
	v_and_b32_e32 v2, 0xffff, v2
	v_and_b32_e32 v8, 3, v2
	v_ffbh_u32_e32 v10, v8
	v_min_u32_e32 v10, 32, v10
	v_subrev_u32_e32 v11, 29, v10
	v_bfe_u32 v9, v2, 2, 5
	v_lshlrev_b32_e32 v2, v11, v2
	v_sub_u32_e32 v10, 30, v10
	v_and_b32_e32 v2, 3, v2
	v_cmp_eq_u32_e32 vcc, 0, v9
	v_and_b32_e32 v3, 0x80000000, v3
	s_nop 0
	v_cndmask_b32_e32 v9, v9, v10, vcc
	v_cndmask_b32_e32 v2, v8, v2, vcc
	v_mov_b32_e32 v8, 0x37800000
	v_lshlrev_b32_e32 v2, 21, v2
	v_lshl_add_u32 v8, v9, 23, v8
	v_or3_b32 v3, v3, v8, v2
.LBB536_1490:
	s_or_b64 exec, exec, s[6:7]
	v_bfe_u32 v2, v3, 16, 1
	s_movk_i32 s2, 0x7fff
	v_add3_u32 v2, v3, v2, s2
	v_cmp_o_f32_e32 vcc, v3, v3
	v_mov_b32_e32 v3, 0x7fc0
	s_mov_b64 s[2:3], 0
	v_cndmask_b32_sdwa v2, v3, v2, vcc dst_sel:DWORD dst_unused:UNUSED_PAD src0_sel:DWORD src1_sel:WORD_1
	s_branch .LBB536_1496
.LBB536_1491:
	s_mov_b64 s[2:3], -1
                                        ; implicit-def: $vgpr2
	s_branch .LBB536_1502
.LBB536_1492:
	s_or_saveexec_b64 s[18:19], s[18:19]
	v_mov_b32_e32 v3, 0x7f800001
	s_xor_b64 exec, exec, s[18:19]
	s_cbranch_execz .LBB536_1475
.LBB536_1493:
	v_cmp_ne_u16_e32 vcc, 0, v2
	s_andn2_b64 s[6:7], s[6:7], exec
	s_and_b64 s[20:21], vcc, exec
	v_mov_b32_e32 v3, 0
	s_or_b64 s[6:7], s[6:7], s[20:21]
	s_or_b64 exec, exec, s[18:19]
	s_and_saveexec_b64 s[18:19], s[6:7]
	s_cbranch_execnz .LBB536_1476
	s_branch .LBB536_1477
.LBB536_1494:
	s_mov_b64 s[2:3], -1
                                        ; implicit-def: $vgpr2
	s_branch .LBB536_1499
.LBB536_1495:
	s_mov_b64 s[2:3], -1
                                        ; implicit-def: $vgpr2
.LBB536_1496:
	s_and_b64 vcc, exec, s[2:3]
	s_cbranch_vccz .LBB536_1498
; %bb.1497:
	global_load_ubyte v2, v[0:1], off
	s_mov_b32 s2, 0x7f800000
	s_brev_b32 s3, 1
	s_movk_i32 s6, 0x7fff
	s_waitcnt vmcnt(0)
	v_lshlrev_b32_e32 v2, 24, v2
	v_and_b32_e32 v3, 0x7f000000, v2
	v_ffbh_u32_e32 v8, v3
	v_min_u32_e32 v8, 32, v8
	v_sub_u32_e64 v8, v8, 4 clamp
	v_lshlrev_b32_e32 v10, v8, v3
	v_lshlrev_b32_e32 v8, 23, v8
	v_lshrrev_b32_e32 v10, 4, v10
	v_add_u32_e32 v9, 0x1000000, v3
	v_sub_u32_e32 v8, v10, v8
	v_ashrrev_i32_e32 v9, 8, v9
	v_add_u32_e32 v8, 0x3c000000, v8
	v_and_or_b32 v8, v9, s2, v8
	v_cmp_ne_u32_e32 vcc, 0, v3
	s_nop 1
	v_cndmask_b32_e32 v3, 0, v8, vcc
	v_and_or_b32 v2, v2, s3, v3
	v_bfe_u32 v3, v3, 16, 1
	v_add3_u32 v3, v2, v3, s6
	v_cmp_o_f32_e32 vcc, v2, v2
	v_mov_b32_e32 v2, 0x7fc0
	s_nop 0
	v_cndmask_b32_sdwa v2, v2, v3, vcc dst_sel:DWORD dst_unused:UNUSED_PAD src0_sel:DWORD src1_sel:WORD_1
.LBB536_1498:
	s_mov_b64 s[2:3], 0
.LBB536_1499:
	s_andn2_b64 vcc, exec, s[2:3]
	s_cbranch_vccnz .LBB536_1501
; %bb.1500:
	global_load_ubyte v2, v[0:1], off
	s_movk_i32 s2, 0x7f00
	s_brev_b32 s3, 16
	s_brev_b32 s6, 1
	s_movk_i32 s7, 0x7fff
	s_waitcnt vmcnt(0)
	v_lshlrev_b16_e32 v3, 8, v2
	v_lshlrev_b32_e32 v2, 25, v2
	v_lshrrev_b32_e32 v8, 4, v2
	v_and_or_b32 v9, v3, s2, 0.5
	v_or_b32_e32 v8, 0x70000000, v8
	v_add_f32_e32 v9, -0.5, v9
	v_mul_f32_e32 v8, 0x7800000, v8
	v_cmp_gt_u32_e32 vcc, s3, v2
	v_bfe_i32 v3, v3, 0, 16
	s_nop 0
	v_cndmask_b32_e32 v2, v8, v9, vcc
	v_and_or_b32 v3, v3, s6, v2
	v_bfe_u32 v2, v2, 16, 1
	v_add3_u32 v2, v3, v2, s7
	v_cmp_o_f32_e32 vcc, v3, v3
	v_mov_b32_e32 v3, 0x7fc0
	s_nop 0
	v_cndmask_b32_sdwa v2, v3, v2, vcc dst_sel:DWORD dst_unused:UNUSED_PAD src0_sel:DWORD src1_sel:WORD_1
.LBB536_1501:
	s_mov_b64 s[2:3], 0
	s_mov_b64 s[6:7], -1
.LBB536_1502:
	s_andn2_b64 vcc, exec, s[2:3]
	s_mov_b64 s[2:3], 0
	s_cbranch_vccnz .LBB536_1513
; %bb.1503:
	s_cmp_gt_i32 s24, 14
	s_cbranch_scc0 .LBB536_1506
; %bb.1504:
	s_cmp_eq_u32 s24, 15
	s_cbranch_scc0 .LBB536_1509
; %bb.1505:
	global_load_ushort v2, v[0:1], off
	s_mov_b64 s[0:1], 0
	s_mov_b64 s[6:7], -1
	s_branch .LBB536_1510
.LBB536_1506:
	s_mov_b64 s[18:19], -1
                                        ; implicit-def: $vgpr2
	s_branch .LBB536_1511
.LBB536_1507:
	s_or_saveexec_b64 s[6:7], s[6:7]
	v_mov_b32_e32 v3, 0x7f800001
	s_xor_b64 exec, exec, s[6:7]
	s_cbranch_execz .LBB536_1488
.LBB536_1508:
	v_cmp_ne_u16_e32 vcc, 0, v2
	s_andn2_b64 s[2:3], s[2:3], exec
	s_and_b64 s[18:19], vcc, exec
	v_mov_b32_e32 v3, 0
	s_or_b64 s[2:3], s[2:3], s[18:19]
	s_or_b64 exec, exec, s[6:7]
	s_and_saveexec_b64 s[6:7], s[2:3]
	s_cbranch_execnz .LBB536_1489
	s_branch .LBB536_1490
.LBB536_1509:
	s_mov_b64 s[0:1], -1
                                        ; implicit-def: $vgpr2
.LBB536_1510:
	s_mov_b64 s[18:19], 0
.LBB536_1511:
	s_and_b64 vcc, exec, s[18:19]
	s_cbranch_vccz .LBB536_1513
; %bb.1512:
	s_cmp_lg_u32 s24, 11
	s_mov_b64 s[2:3], -1
	s_cselect_b64 s[0:1], -1, 0
.LBB536_1513:
	s_and_b64 vcc, exec, s[0:1]
	s_cbranch_vccnz .LBB536_2052
; %bb.1514:
	s_andn2_b64 vcc, exec, s[2:3]
	s_cbranch_vccnz .LBB536_1516
.LBB536_1515:
	global_load_ubyte v2, v[0:1], off
	s_mov_b64 s[6:7], -1
	s_waitcnt vmcnt(0)
	v_cmp_ne_u16_e32 vcc, 0, v2
	s_nop 1
	v_cndmask_b32_e64 v2, 0, 1.0, vcc
	v_lshrrev_b32_e32 v2, 16, v2
.LBB536_1516:
	s_mov_b64 s[0:1], 0
.LBB536_1517:
	s_and_b64 vcc, exec, s[0:1]
	s_cbranch_vccz .LBB536_1566
; %bb.1518:
	s_cmp_lt_i32 s24, 5
	s_cbranch_scc1 .LBB536_1523
; %bb.1519:
	s_cmp_lt_i32 s24, 8
	s_cbranch_scc1 .LBB536_1524
; %bb.1520:
	s_cmp_lt_i32 s24, 9
	s_cbranch_scc1 .LBB536_1525
; %bb.1521:
	s_cmp_gt_i32 s24, 9
	s_cbranch_scc0 .LBB536_1526
; %bb.1522:
	global_load_dwordx2 v[2:3], v[0:1], off
	s_movk_i32 s0, 0x7fff
	v_mov_b32_e32 v8, 0x7fc0
	s_waitcnt vmcnt(0)
	v_cvt_f32_f64_e32 v2, v[2:3]
	v_bfe_u32 v3, v2, 16, 1
	v_cmp_o_f32_e32 vcc, v2, v2
	v_add3_u32 v2, v2, v3, s0
	s_mov_b64 s[0:1], 0
	v_cndmask_b32_sdwa v2, v8, v2, vcc dst_sel:DWORD dst_unused:UNUSED_PAD src0_sel:DWORD src1_sel:WORD_1
	s_branch .LBB536_1527
.LBB536_1523:
	s_mov_b64 s[0:1], -1
                                        ; implicit-def: $vgpr2
	s_branch .LBB536_1545
.LBB536_1524:
	s_mov_b64 s[0:1], -1
                                        ; implicit-def: $vgpr2
	s_branch .LBB536_1533
.LBB536_1525:
	s_mov_b64 s[0:1], -1
                                        ; implicit-def: $vgpr2
	s_branch .LBB536_1530
.LBB536_1526:
	s_mov_b64 s[0:1], -1
                                        ; implicit-def: $vgpr2
.LBB536_1527:
	s_andn2_b64 vcc, exec, s[0:1]
	s_cbranch_vccnz .LBB536_1529
; %bb.1528:
	global_load_dword v2, v[0:1], off
	s_movk_i32 s0, 0x7fff
	v_mov_b32_e32 v3, 0x7fc0
	s_waitcnt vmcnt(0)
	v_bfe_u32 v8, v2, 16, 1
	v_cmp_o_f32_e32 vcc, v2, v2
	v_add3_u32 v2, v2, v8, s0
	s_nop 0
	v_cndmask_b32_sdwa v2, v3, v2, vcc dst_sel:DWORD dst_unused:UNUSED_PAD src0_sel:DWORD src1_sel:WORD_1
.LBB536_1529:
	s_mov_b64 s[0:1], 0
.LBB536_1530:
	s_andn2_b64 vcc, exec, s[0:1]
	s_cbranch_vccnz .LBB536_1532
; %bb.1531:
	global_load_dword v2, v[0:1], off
	s_movk_i32 s0, 0x7fff
	v_mov_b32_e32 v8, 0x7fc0
	s_waitcnt vmcnt(0)
	v_cvt_f32_f16_e32 v3, v2
	v_cmp_o_f16_e32 vcc, v2, v2
	v_bfe_u32 v2, v3, 16, 1
	v_add3_u32 v2, v3, v2, s0
	v_cndmask_b32_sdwa v2, v8, v2, vcc dst_sel:DWORD dst_unused:UNUSED_PAD src0_sel:DWORD src1_sel:WORD_1
.LBB536_1532:
	s_mov_b64 s[0:1], 0
.LBB536_1533:
	s_andn2_b64 vcc, exec, s[0:1]
	s_cbranch_vccnz .LBB536_1544
; %bb.1534:
	s_cmp_lt_i32 s24, 6
	s_cbranch_scc1 .LBB536_1537
; %bb.1535:
	s_cmp_gt_i32 s24, 6
	s_cbranch_scc0 .LBB536_1538
; %bb.1536:
	global_load_dwordx2 v[2:3], v[0:1], off
	s_movk_i32 s0, 0x7fff
	v_mov_b32_e32 v8, 0x7fc0
	s_waitcnt vmcnt(0)
	v_cvt_f32_f64_e32 v2, v[2:3]
	v_bfe_u32 v3, v2, 16, 1
	v_cmp_o_f32_e32 vcc, v2, v2
	v_add3_u32 v2, v2, v3, s0
	s_mov_b64 s[0:1], 0
	v_cndmask_b32_sdwa v2, v8, v2, vcc dst_sel:DWORD dst_unused:UNUSED_PAD src0_sel:DWORD src1_sel:WORD_1
	s_branch .LBB536_1539
.LBB536_1537:
	s_mov_b64 s[0:1], -1
                                        ; implicit-def: $vgpr2
	s_branch .LBB536_1542
.LBB536_1538:
	s_mov_b64 s[0:1], -1
                                        ; implicit-def: $vgpr2
.LBB536_1539:
	s_andn2_b64 vcc, exec, s[0:1]
	s_cbranch_vccnz .LBB536_1541
; %bb.1540:
	global_load_dword v2, v[0:1], off
	s_movk_i32 s0, 0x7fff
	v_mov_b32_e32 v3, 0x7fc0
	s_waitcnt vmcnt(0)
	v_bfe_u32 v8, v2, 16, 1
	v_cmp_o_f32_e32 vcc, v2, v2
	v_add3_u32 v2, v2, v8, s0
	s_nop 0
	v_cndmask_b32_sdwa v2, v3, v2, vcc dst_sel:DWORD dst_unused:UNUSED_PAD src0_sel:DWORD src1_sel:WORD_1
.LBB536_1541:
	s_mov_b64 s[0:1], 0
.LBB536_1542:
	s_andn2_b64 vcc, exec, s[0:1]
	s_cbranch_vccnz .LBB536_1544
; %bb.1543:
	global_load_ushort v2, v[0:1], off
	s_movk_i32 s0, 0x7fff
	v_mov_b32_e32 v8, 0x7fc0
	s_waitcnt vmcnt(0)
	v_cvt_f32_f16_e32 v3, v2
	v_cmp_o_f16_e32 vcc, v2, v2
	v_bfe_u32 v2, v3, 16, 1
	v_add3_u32 v2, v3, v2, s0
	v_cndmask_b32_sdwa v2, v8, v2, vcc dst_sel:DWORD dst_unused:UNUSED_PAD src0_sel:DWORD src1_sel:WORD_1
.LBB536_1544:
	s_mov_b64 s[0:1], 0
.LBB536_1545:
	s_andn2_b64 vcc, exec, s[0:1]
	s_cbranch_vccnz .LBB536_1565
; %bb.1546:
	s_cmp_lt_i32 s24, 2
	s_cbranch_scc1 .LBB536_1550
; %bb.1547:
	s_cmp_lt_i32 s24, 3
	s_cbranch_scc1 .LBB536_1551
; %bb.1548:
	s_cmp_gt_i32 s24, 3
	s_cbranch_scc0 .LBB536_1552
; %bb.1549:
	global_load_dwordx2 v[2:3], v[0:1], off
	s_movk_i32 s0, 0x7fff
	s_waitcnt vmcnt(0)
	v_xor_b32_e32 v9, v2, v3
	v_ffbh_i32_e32 v8, v3
	v_ashrrev_i32_e32 v9, 31, v9
	v_add_u32_e32 v8, -1, v8
	v_add_u32_e32 v9, 32, v9
	v_min_u32_e32 v8, v8, v9
	v_lshlrev_b64 v[2:3], v8, v[2:3]
	v_min_u32_e32 v2, 1, v2
	v_or_b32_e32 v2, v3, v2
	v_cvt_f32_i32_e32 v2, v2
	v_sub_u32_e32 v3, 32, v8
	v_ldexp_f32 v2, v2, v3
	v_bfe_u32 v3, v2, 16, 1
	v_add3_u32 v2, v2, v3, s0
	v_lshrrev_b32_e32 v2, 16, v2
	s_mov_b64 s[0:1], 0
	s_branch .LBB536_1553
.LBB536_1550:
	s_mov_b64 s[0:1], -1
                                        ; implicit-def: $vgpr2
	s_branch .LBB536_1559
.LBB536_1551:
	s_mov_b64 s[0:1], -1
                                        ; implicit-def: $vgpr2
	s_branch .LBB536_1556
.LBB536_1552:
	s_mov_b64 s[0:1], -1
                                        ; implicit-def: $vgpr2
.LBB536_1553:
	s_andn2_b64 vcc, exec, s[0:1]
	s_cbranch_vccnz .LBB536_1555
; %bb.1554:
	global_load_dword v2, v[0:1], off
	s_movk_i32 s0, 0x7fff
	s_waitcnt vmcnt(0)
	v_cvt_f32_i32_e32 v2, v2
	v_bfe_u32 v3, v2, 16, 1
	v_add3_u32 v2, v2, v3, s0
	v_lshrrev_b32_e32 v2, 16, v2
.LBB536_1555:
	s_mov_b64 s[0:1], 0
.LBB536_1556:
	s_andn2_b64 vcc, exec, s[0:1]
	s_cbranch_vccnz .LBB536_1558
; %bb.1557:
	global_load_sshort v2, v[0:1], off
	s_movk_i32 s0, 0x7fff
	s_waitcnt vmcnt(0)
	v_cvt_f32_i32_e32 v2, v2
	v_bfe_u32 v3, v2, 16, 1
	v_add3_u32 v2, v2, v3, s0
	v_lshrrev_b32_e32 v2, 16, v2
.LBB536_1558:
	s_mov_b64 s[0:1], 0
.LBB536_1559:
	s_andn2_b64 vcc, exec, s[0:1]
	s_cbranch_vccnz .LBB536_1565
; %bb.1560:
	s_cmp_gt_i32 s24, 0
	s_cbranch_scc0 .LBB536_1562
; %bb.1561:
	global_load_sbyte v2, v[0:1], off
	s_movk_i32 s0, 0x7fff
	s_waitcnt vmcnt(0)
	v_cvt_f32_i32_e32 v2, v2
	v_bfe_u32 v3, v2, 16, 1
	v_add3_u32 v2, v2, v3, s0
	v_lshrrev_b32_e32 v2, 16, v2
	s_mov_b64 s[0:1], 0
	s_branch .LBB536_1563
.LBB536_1562:
	s_mov_b64 s[0:1], -1
                                        ; implicit-def: $vgpr2
.LBB536_1563:
	s_andn2_b64 vcc, exec, s[0:1]
	s_cbranch_vccnz .LBB536_1565
; %bb.1564:
	global_load_ubyte v0, v[0:1], off
	s_movk_i32 s0, 0x7fff
	s_waitcnt vmcnt(0)
	v_cvt_f32_ubyte0_e32 v0, v0
	v_bfe_u32 v1, v0, 16, 1
	v_add3_u32 v0, v0, v1, s0
	v_lshrrev_b32_e32 v2, 16, v0
.LBB536_1565:
	s_mov_b64 s[6:7], -1
.LBB536_1566:
	s_andn2_b64 vcc, exec, s[6:7]
	s_cbranch_vccnz .LBB536_1649
; %bb.1567:
	s_waitcnt vmcnt(0)
	v_lshlrev_b32_e32 v0, 16, v2
	v_cmp_o_f32_e32 vcc, v0, v0
	v_mov_b32_e32 v8, s10
	s_and_saveexec_b64 s[0:1], vcc
	s_cbranch_execz .LBB536_1571
; %bb.1568:
	s_mov_b32 s2, 0x7f800000
	v_cmp_neq_f32_e32 vcc, s2, v0
	v_mov_b32_e32 v8, s44
	s_and_saveexec_b64 s[2:3], vcc
; %bb.1569:
	s_mov_b32 s6, 0xff800000
	v_mov_b32_e32 v1, s11
	v_cmp_eq_f32_e32 vcc, s6, v0
	s_nop 1
	v_cndmask_b32_e32 v8, v2, v1, vcc
; %bb.1570:
	s_or_b64 exec, exec, s[2:3]
.LBB536_1571:
	s_or_b64 exec, exec, s[0:1]
	v_mul_lo_u32 v0, s8, v4
	v_ashrrev_i32_e32 v1, 31, v0
	s_and_b32 s20, s33, 0xff
	s_cmp_lt_i32 s20, 11
	v_lshl_add_u64 v[2:3], s[4:5], 0, v[0:1]
	s_cbranch_scc1 .LBB536_1695
; %bb.1572:
	s_and_b32 s9, 0xffff, s20
	s_mov_b64 s[10:11], -1
	s_mov_b64 s[2:3], 0
	s_cmp_gt_i32 s9, 25
	s_mov_b64 s[6:7], 0
	s_mov_b64 s[0:1], 0
	s_cbranch_scc0 .LBB536_1605
; %bb.1573:
	s_cmp_gt_i32 s9, 28
	s_cbranch_scc0 .LBB536_1588
; %bb.1574:
	s_cmp_gt_i32 s9, 43
	;; [unrolled: 3-line block ×3, first 2 shown]
	s_cbranch_scc0 .LBB536_1578
; %bb.1576:
	s_mov_b64 s[0:1], -1
	s_mov_b64 s[10:11], 0
	s_cmp_eq_u32 s9, 46
	s_cbranch_scc0 .LBB536_1578
; %bb.1577:
	v_and_b32_e32 v1, 0xffff, v5
	global_store_dword v[2:3], v1, off
	s_mov_b64 s[0:1], 0
	s_mov_b64 s[6:7], -1
.LBB536_1578:
	s_and_b64 vcc, exec, s[10:11]
	s_cbranch_vccz .LBB536_1583
; %bb.1579:
	s_cmp_eq_u32 s9, 44
	s_mov_b64 s[0:1], -1
	s_cbranch_scc0 .LBB536_1583
; %bb.1580:
	v_and_b32_e32 v4, 0xffff, v5
	v_bfe_u32 v1, v4, 7, 8
	s_movk_i32 s0, 0xff
	v_cmp_ne_u32_e32 vcc, s0, v1
	v_mov_b32_e32 v9, 0xff
	s_and_saveexec_b64 s[6:7], vcc
	s_cbranch_execz .LBB536_1582
; %bb.1581:
	v_lshlrev_b32_e32 v10, 16, v4
	s_mov_b32 s0, 0x3f0000
	v_lshrrev_b32_e32 v9, 7, v4
	v_and_b32_e32 v4, 64, v4
	v_and_or_b32 v1, v10, s0, v1
	v_cmp_ne_u32_e32 vcc, 0, v4
	v_cmp_ne_u32_e64 s[0:1], 0, v1
	s_and_b64 s[0:1], vcc, s[0:1]
	s_nop 0
	v_cndmask_b32_e64 v1, 0, 1, s[0:1]
	v_add_u32_e32 v9, v9, v1
.LBB536_1582:
	s_or_b64 exec, exec, s[6:7]
	s_mov_b64 s[0:1], 0
	s_mov_b64 s[6:7], -1
	global_store_byte v[2:3], v9, off
.LBB536_1583:
	s_mov_b64 s[10:11], 0
.LBB536_1584:
	s_and_b64 vcc, exec, s[10:11]
	s_cbranch_vccz .LBB536_1587
; %bb.1585:
	s_cmp_eq_u32 s9, 29
	s_mov_b64 s[0:1], -1
	s_cbranch_scc0 .LBB536_1587
; %bb.1586:
	v_lshlrev_b32_e32 v1, 16, v5
	v_trunc_f32_e32 v1, v1
	v_mul_f32_e32 v4, 0x2f800000, v1
	v_floor_f32_e32 v4, v4
	v_fmamk_f32 v1, v4, 0xcf800000, v1
	v_cvt_u32_f32_e32 v11, v4
	v_cvt_u32_f32_e32 v10, v1
	s_mov_b64 s[0:1], 0
	s_mov_b64 s[6:7], -1
	global_store_dwordx2 v[2:3], v[10:11], off
.LBB536_1587:
	s_mov_b64 s[10:11], 0
.LBB536_1588:
	s_and_b64 vcc, exec, s[10:11]
	s_cbranch_vccz .LBB536_1604
; %bb.1589:
	s_cmp_lt_i32 s9, 27
	s_mov_b64 s[6:7], -1
	s_cbranch_scc1 .LBB536_1595
; %bb.1590:
	s_cmp_gt_i32 s9, 27
	s_cbranch_scc0 .LBB536_1592
; %bb.1591:
	v_lshlrev_b32_e32 v1, 16, v5
	v_cvt_u32_f32_e32 v1, v1
	s_mov_b64 s[6:7], 0
	global_store_dword v[2:3], v1, off
.LBB536_1592:
	s_andn2_b64 vcc, exec, s[6:7]
	s_cbranch_vccnz .LBB536_1594
; %bb.1593:
	v_lshlrev_b32_e32 v1, 16, v5
	v_cvt_u32_f32_e32 v1, v1
	global_store_short v[2:3], v1, off
.LBB536_1594:
	s_mov_b64 s[6:7], 0
.LBB536_1595:
	s_andn2_b64 vcc, exec, s[6:7]
	s_cbranch_vccnz .LBB536_1603
; %bb.1596:
	v_lshlrev_b32_e32 v9, 16, v5
	v_and_b32_e32 v4, 0x7fffffff, v9
	s_mov_b32 s6, 0x43800000
	v_cmp_gt_u32_e32 vcc, s6, v4
	v_mov_b32_e32 v10, 0x80
	s_and_saveexec_b64 s[6:7], vcc
	s_cbranch_execz .LBB536_1602
; %bb.1597:
	s_mov_b32 s10, 0x3bffffff
	v_and_b32_e32 v1, 0xffff, v5
	v_cmp_lt_u32_e32 vcc, s10, v4
	s_mov_b64 s[10:11], 0
                                        ; implicit-def: $vgpr4
	s_and_saveexec_b64 s[18:19], vcc
	s_xor_b64 s[18:19], exec, s[18:19]
	s_cbranch_execz .LBB536_2053
; %bb.1598:
	v_bfe_u32 v4, v1, 4, 1
	s_mov_b32 s21, 0x487ffff
	v_add3_u32 v4, v9, v4, s21
	s_mov_b64 s[10:11], exec
	v_lshrrev_b32_e32 v4, 20, v4
                                        ; implicit-def: $vgpr9
	s_andn2_saveexec_b64 s[18:19], s[18:19]
	s_cbranch_execnz .LBB536_2054
.LBB536_1599:
	s_or_b64 exec, exec, s[18:19]
	v_mov_b32_e32 v10, 0
	s_and_saveexec_b64 s[18:19], s[10:11]
.LBB536_1600:
	v_lshrrev_b32_e32 v1, 8, v1
	s_movk_i32 s10, 0x80
	v_and_or_b32 v10, v1, s10, v4
.LBB536_1601:
	s_or_b64 exec, exec, s[18:19]
.LBB536_1602:
	s_or_b64 exec, exec, s[6:7]
	global_store_byte v[2:3], v10, off
.LBB536_1603:
	s_mov_b64 s[6:7], -1
.LBB536_1604:
	s_mov_b64 s[10:11], 0
.LBB536_1605:
	s_and_b64 vcc, exec, s[10:11]
	s_cbranch_vccz .LBB536_1645
; %bb.1606:
	s_cmp_gt_i32 s9, 22
	s_mov_b64 s[2:3], -1
	s_cbranch_scc0 .LBB536_1638
; %bb.1607:
	s_cmp_lt_i32 s9, 24
	s_cbranch_scc1 .LBB536_1627
; %bb.1608:
	s_cmp_gt_i32 s9, 24
	s_cbranch_scc0 .LBB536_1616
; %bb.1609:
	v_lshlrev_b32_e32 v9, 16, v5
	v_and_b32_e32 v4, 0x7fffffff, v9
	s_mov_b32 s2, 0x47800000
	v_cmp_gt_u32_e32 vcc, s2, v4
	v_mov_b32_e32 v10, 0x80
	s_and_saveexec_b64 s[2:3], vcc
	s_cbranch_execz .LBB536_1615
; %bb.1610:
	s_mov_b32 s6, 0x37ffffff
	v_and_b32_e32 v1, 0xffff, v5
	v_cmp_lt_u32_e32 vcc, s6, v4
	s_mov_b64 s[6:7], 0
                                        ; implicit-def: $vgpr4
	s_and_saveexec_b64 s[10:11], vcc
	s_xor_b64 s[10:11], exec, s[10:11]
	s_cbranch_execz .LBB536_2056
; %bb.1611:
	v_bfe_u32 v4, v1, 5, 1
	s_mov_b32 s18, 0x88fffff
	v_add3_u32 v4, v9, v4, s18
	s_mov_b64 s[6:7], exec
	v_lshrrev_b32_e32 v4, 21, v4
                                        ; implicit-def: $vgpr9
	s_andn2_saveexec_b64 s[10:11], s[10:11]
	s_cbranch_execnz .LBB536_2057
.LBB536_1612:
	s_or_b64 exec, exec, s[10:11]
	v_mov_b32_e32 v10, 0
	s_and_saveexec_b64 s[10:11], s[6:7]
.LBB536_1613:
	v_lshrrev_b32_e32 v1, 8, v1
	s_movk_i32 s6, 0x80
	v_and_or_b32 v10, v1, s6, v4
.LBB536_1614:
	s_or_b64 exec, exec, s[10:11]
.LBB536_1615:
	s_or_b64 exec, exec, s[2:3]
	s_mov_b64 s[2:3], 0
	global_store_byte v[2:3], v10, off
.LBB536_1616:
	s_and_b64 vcc, exec, s[2:3]
	s_cbranch_vccz .LBB536_1626
; %bb.1617:
	v_lshlrev_b32_e32 v9, 16, v5
	v_and_b32_e32 v10, 0x7fffffff, v9
	s_mov_b32 s2, 0x43f00000
	v_and_b32_e32 v1, 0xffff, v5
	v_cmp_gt_u32_e32 vcc, s2, v10
                                        ; implicit-def: $vgpr4
	s_and_saveexec_b64 s[2:3], vcc
	s_xor_b64 s[2:3], exec, s[2:3]
	s_cbranch_execz .LBB536_1623
; %bb.1618:
	s_mov_b32 s6, 0x3c7fffff
	v_cmp_lt_u32_e32 vcc, s6, v10
                                        ; implicit-def: $vgpr4
	s_and_saveexec_b64 s[6:7], vcc
	s_xor_b64 s[6:7], exec, s[6:7]
; %bb.1619:
	v_bfe_u32 v4, v1, 4, 1
	s_mov_b32 s10, 0x407ffff
	v_add3_u32 v4, v9, v4, s10
	v_lshrrev_b32_e32 v9, 20, v4
	v_and_b32_e32 v4, 0xff00000, v4
	s_mov_b32 s10, 0x7f00000
	v_mov_b32_e32 v10, 0x7e
	v_cmp_ne_u32_e32 vcc, s10, v4
	s_nop 1
	v_cndmask_b32_e32 v4, v10, v9, vcc
                                        ; implicit-def: $vgpr9
; %bb.1620:
	s_andn2_saveexec_b64 s[6:7], s[6:7]
; %bb.1621:
	s_mov_b32 s10, 0x46800000
	v_add_f32_e64 v4, |v9|, s10
; %bb.1622:
	s_or_b64 exec, exec, s[6:7]
                                        ; implicit-def: $vgpr10
.LBB536_1623:
	s_andn2_saveexec_b64 s[2:3], s[2:3]
; %bb.1624:
	s_mov_b32 s6, 0x7f800000
	v_mov_b32_e32 v4, 0x7e
	v_mov_b32_e32 v9, 0x7f
	v_cmp_lt_u32_e32 vcc, s6, v10
	s_nop 1
	v_cndmask_b32_e32 v4, v4, v9, vcc
; %bb.1625:
	s_or_b64 exec, exec, s[2:3]
	v_lshrrev_b32_e32 v1, 8, v1
	s_movk_i32 s2, 0x80
	v_and_or_b32 v1, v1, s2, v4
	global_store_byte v[2:3], v1, off
.LBB536_1626:
	s_mov_b64 s[2:3], 0
.LBB536_1627:
	s_andn2_b64 vcc, exec, s[2:3]
	s_cbranch_vccnz .LBB536_1637
; %bb.1628:
	v_lshlrev_b32_e32 v9, 16, v5
	v_and_b32_e32 v10, 0x7fffffff, v9
	s_mov_b32 s2, 0x47800000
	v_and_b32_e32 v1, 0xffff, v5
	v_cmp_gt_u32_e32 vcc, s2, v10
                                        ; implicit-def: $vgpr4
	s_and_saveexec_b64 s[2:3], vcc
	s_xor_b64 s[2:3], exec, s[2:3]
	s_cbranch_execz .LBB536_1634
; %bb.1629:
	s_mov_b32 s6, 0x387fffff
	v_cmp_lt_u32_e32 vcc, s6, v10
                                        ; implicit-def: $vgpr4
	s_and_saveexec_b64 s[6:7], vcc
	s_xor_b64 s[6:7], exec, s[6:7]
; %bb.1630:
	v_bfe_u32 v4, v1, 5, 1
	s_mov_b32 s10, 0x80fffff
	v_add3_u32 v4, v9, v4, s10
	v_lshrrev_b32_e32 v4, 21, v4
                                        ; implicit-def: $vgpr9
; %bb.1631:
	s_andn2_saveexec_b64 s[6:7], s[6:7]
; %bb.1632:
	s_mov_b32 s10, 0x43000000
	v_add_f32_e64 v4, |v9|, s10
; %bb.1633:
	s_or_b64 exec, exec, s[6:7]
                                        ; implicit-def: $vgpr10
.LBB536_1634:
	s_andn2_saveexec_b64 s[2:3], s[2:3]
; %bb.1635:
	s_mov_b32 s6, 0x7f800000
	v_mov_b32_e32 v4, 0x7c
	v_mov_b32_e32 v9, 0x7f
	v_cmp_lt_u32_e32 vcc, s6, v10
	s_nop 1
	v_cndmask_b32_e32 v4, v4, v9, vcc
; %bb.1636:
	s_or_b64 exec, exec, s[2:3]
	v_lshrrev_b32_e32 v1, 8, v1
	s_movk_i32 s2, 0x80
	v_and_or_b32 v1, v1, s2, v4
	global_store_byte v[2:3], v1, off
.LBB536_1637:
	s_mov_b64 s[2:3], 0
	s_mov_b64 s[6:7], -1
.LBB536_1638:
	s_andn2_b64 vcc, exec, s[2:3]
	s_mov_b64 s[2:3], 0
	s_cbranch_vccnz .LBB536_1645
; %bb.1639:
	s_cmp_gt_i32 s9, 14
	s_mov_b64 s[10:11], -1
	s_cbranch_scc0 .LBB536_1643
; %bb.1640:
	s_cmp_eq_u32 s9, 15
	s_mov_b64 s[0:1], -1
	s_cbranch_scc0 .LBB536_1642
; %bb.1641:
	global_store_short v[2:3], v5, off
	s_mov_b64 s[0:1], 0
	s_mov_b64 s[6:7], -1
.LBB536_1642:
	s_mov_b64 s[10:11], 0
.LBB536_1643:
	s_and_b64 vcc, exec, s[10:11]
	s_cbranch_vccz .LBB536_1645
; %bb.1644:
	s_cmp_lg_u32 s9, 11
	s_mov_b64 s[2:3], -1
	s_cselect_b64 s[0:1], -1, 0
.LBB536_1645:
	s_and_b64 vcc, exec, s[0:1]
	s_cbranch_vccnz .LBB536_2055
; %bb.1646:
	s_andn2_b64 vcc, exec, s[2:3]
	s_cbranch_vccnz .LBB536_1648
.LBB536_1647:
	v_and_b32_e32 v1, 0x7fff, v5
	v_cmp_ne_u16_e32 vcc, 0, v1
	s_mov_b64 s[6:7], -1
	s_nop 0
	v_cndmask_b32_e64 v1, 0, 1, vcc
	global_store_byte v[2:3], v1, off
.LBB536_1648:
	s_mov_b64 s[0:1], 0
	s_branch .LBB536_1696
.LBB536_1649:
	s_mov_b64 s[0:1], 0
                                        ; implicit-def: $sgpr20
                                        ; implicit-def: $vgpr0_vgpr1
                                        ; implicit-def: $vgpr8
.LBB536_1650:
	s_mov_b64 s[2:3], 0
.LBB536_1651:
	s_andn2_b64 s[4:5], s[14:15], exec
	s_and_b64 s[6:7], s[16:17], exec
	s_and_b64 s[0:1], s[0:1], exec
	;; [unrolled: 1-line block ×3, first 2 shown]
	s_or_b64 s[14:15], s[4:5], s[6:7]
.LBB536_1652:
	s_or_b64 exec, exec, s[12:13]
	s_and_saveexec_b64 s[4:5], s[14:15]
	s_cbranch_execz .LBB536_1655
; %bb.1653:
	; divergent unreachable
	s_or_b64 exec, exec, s[4:5]
	s_and_saveexec_b64 s[4:5], s[2:3]
	s_xor_b64 s[2:3], exec, s[4:5]
	s_cbranch_execnz .LBB536_1656
.LBB536_1654:
	s_or_b64 exec, exec, s[2:3]
	s_and_saveexec_b64 s[2:3], s[0:1]
	s_cbranch_execnz .LBB536_1657
	s_branch .LBB536_1694
.LBB536_1655:
	s_or_b64 exec, exec, s[4:5]
	s_and_saveexec_b64 s[4:5], s[2:3]
	s_xor_b64 s[2:3], exec, s[4:5]
	s_cbranch_execz .LBB536_1654
.LBB536_1656:
	s_waitcnt vmcnt(0)
	v_and_b32_e32 v2, 0x7fff, v8
	v_cmp_ne_u16_e32 vcc, 0, v2
	s_nop 1
	v_cndmask_b32_e64 v2, 0, 1, vcc
	global_store_byte v[0:1], v2, off
	s_or_b64 exec, exec, s[2:3]
	s_and_saveexec_b64 s[2:3], s[0:1]
	s_cbranch_execz .LBB536_1694
.LBB536_1657:
	s_sext_i32_i16 s2, s20
	s_cmp_lt_i32 s2, 5
	s_mov_b64 s[0:1], -1
	s_cbranch_scc1 .LBB536_1678
; %bb.1658:
	s_cmp_lt_i32 s2, 8
	s_cbranch_scc1 .LBB536_1668
; %bb.1659:
	s_cmp_lt_i32 s2, 9
	s_cbranch_scc1 .LBB536_1665
; %bb.1660:
	s_cmp_gt_i32 s2, 9
	s_cbranch_scc0 .LBB536_1662
; %bb.1661:
	s_waitcnt vmcnt(0)
	v_lshlrev_b32_e32 v2, 16, v8
	v_mov_b32_e32 v4, 0
	v_cvt_f64_f32_e32 v[2:3], v2
	v_mov_b32_e32 v5, v4
	global_store_dwordx4 v[0:1], v[2:5], off
	s_mov_b64 s[0:1], 0
.LBB536_1662:
	s_andn2_b64 vcc, exec, s[0:1]
	s_cbranch_vccnz .LBB536_1664
; %bb.1663:
	s_waitcnt vmcnt(0)
	v_lshlrev_b32_e32 v2, 16, v8
	v_mov_b32_e32 v3, 0
	global_store_dwordx2 v[0:1], v[2:3], off
.LBB536_1664:
	s_mov_b64 s[0:1], 0
.LBB536_1665:
	s_andn2_b64 vcc, exec, s[0:1]
	s_cbranch_vccnz .LBB536_1667
; %bb.1666:
	s_waitcnt vmcnt(0)
	v_lshlrev_b32_e32 v2, 16, v8
	v_cvt_f16_f32_e32 v2, v2
	global_store_dword v[0:1], v2, off
.LBB536_1667:
	s_mov_b64 s[0:1], 0
.LBB536_1668:
	s_andn2_b64 vcc, exec, s[0:1]
	s_cbranch_vccnz .LBB536_1677
; %bb.1669:
	s_sext_i32_i16 s2, s20
	s_cmp_lt_i32 s2, 6
	s_mov_b64 s[0:1], -1
	s_cbranch_scc1 .LBB536_1675
; %bb.1670:
	s_cmp_gt_i32 s2, 6
	s_cbranch_scc0 .LBB536_1672
; %bb.1671:
	s_waitcnt vmcnt(0)
	v_lshlrev_b32_e32 v2, 16, v8
	v_cvt_f64_f32_e32 v[2:3], v2
	global_store_dwordx2 v[0:1], v[2:3], off
	s_mov_b64 s[0:1], 0
.LBB536_1672:
	s_andn2_b64 vcc, exec, s[0:1]
	s_cbranch_vccnz .LBB536_1674
; %bb.1673:
	s_waitcnt vmcnt(0)
	v_lshlrev_b32_e32 v2, 16, v8
	global_store_dword v[0:1], v2, off
.LBB536_1674:
	s_mov_b64 s[0:1], 0
.LBB536_1675:
	s_andn2_b64 vcc, exec, s[0:1]
	s_cbranch_vccnz .LBB536_1677
; %bb.1676:
	s_waitcnt vmcnt(0)
	v_lshlrev_b32_e32 v2, 16, v8
	v_cvt_f16_f32_e32 v2, v2
	global_store_short v[0:1], v2, off
.LBB536_1677:
	s_mov_b64 s[0:1], 0
.LBB536_1678:
	s_andn2_b64 vcc, exec, s[0:1]
	s_cbranch_vccnz .LBB536_1694
; %bb.1679:
	s_sext_i32_i16 s2, s20
	s_cmp_lt_i32 s2, 2
	s_mov_b64 s[0:1], -1
	s_cbranch_scc1 .LBB536_1689
; %bb.1680:
	s_cmp_lt_i32 s2, 3
	s_cbranch_scc1 .LBB536_1686
; %bb.1681:
	s_cmp_gt_i32 s2, 3
	s_cbranch_scc0 .LBB536_1683
; %bb.1682:
	s_waitcnt vmcnt(0)
	v_lshlrev_b32_e32 v2, 16, v8
	v_trunc_f32_e32 v2, v2
	s_mov_b32 s0, 0x2f800000
	v_mul_f32_e64 v3, |v2|, s0
	v_floor_f32_e32 v3, v3
	s_mov_b32 s0, 0xcf800000
	v_cvt_u32_f32_e32 v4, v3
	v_fma_f32 v3, v3, s0, |v2|
	v_cvt_u32_f32_e32 v3, v3
	v_ashrrev_i32_e32 v5, 31, v2
	v_xor_b32_e32 v4, v4, v5
	s_mov_b64 s[0:1], 0
	v_xor_b32_e32 v2, v3, v5
	v_sub_co_u32_e32 v2, vcc, v2, v5
	s_nop 1
	v_subb_co_u32_e32 v3, vcc, v4, v5, vcc
	global_store_dwordx2 v[0:1], v[2:3], off
.LBB536_1683:
	s_andn2_b64 vcc, exec, s[0:1]
	s_cbranch_vccnz .LBB536_1685
; %bb.1684:
	s_waitcnt vmcnt(0)
	v_lshlrev_b32_e32 v2, 16, v8
	v_cvt_i32_f32_e32 v2, v2
	global_store_dword v[0:1], v2, off
.LBB536_1685:
	s_mov_b64 s[0:1], 0
.LBB536_1686:
	s_andn2_b64 vcc, exec, s[0:1]
	s_cbranch_vccnz .LBB536_1688
; %bb.1687:
	s_waitcnt vmcnt(0)
	v_lshlrev_b32_e32 v2, 16, v8
	v_cvt_i32_f32_e32 v2, v2
	global_store_short v[0:1], v2, off
.LBB536_1688:
	s_mov_b64 s[0:1], 0
.LBB536_1689:
	s_andn2_b64 vcc, exec, s[0:1]
	s_cbranch_vccnz .LBB536_1694
; %bb.1690:
	s_sext_i32_i16 s2, s20
	s_mov_b64 s[0:1], -1
	s_cmp_gt_i32 s2, 0
	s_waitcnt vmcnt(0)
	v_lshlrev_b32_e32 v2, 16, v8
	s_cbranch_scc0 .LBB536_1692
; %bb.1691:
	v_cvt_i32_f32_e32 v3, v2
	s_mov_b64 s[0:1], 0
	global_store_byte v[0:1], v3, off
.LBB536_1692:
	s_andn2_b64 vcc, exec, s[0:1]
	s_cbranch_vccnz .LBB536_1694
; %bb.1693:
	v_trunc_f32_e32 v2, v2
	s_mov_b32 s0, 0x2f800000
	v_mul_f32_e64 v3, |v2|, s0
	v_floor_f32_e32 v3, v3
	s_mov_b32 s0, 0xcf800000
	v_fma_f32 v3, v3, s0, |v2|
	v_cvt_u32_f32_e32 v3, v3
	v_ashrrev_i32_e32 v2, 31, v2
	v_xor_b32_e32 v3, v3, v2
	v_sub_u32_e32 v2, v3, v2
	global_store_byte v[0:1], v2, off
	s_endpgm
.LBB536_1694:
	s_endpgm
.LBB536_1695:
	s_mov_b64 s[0:1], -1
	s_mov_b64 s[6:7], 0
.LBB536_1696:
	s_and_b64 vcc, exec, s[0:1]
	s_cbranch_vccz .LBB536_1735
; %bb.1697:
	s_and_b32 s2, 0xffff, s20
	s_cmp_lt_i32 s2, 5
	s_mov_b64 s[0:1], -1
	s_cbranch_scc1 .LBB536_1718
; %bb.1698:
	s_cmp_lt_i32 s2, 8
	s_cbranch_scc1 .LBB536_1708
; %bb.1699:
	s_cmp_lt_i32 s2, 9
	s_cbranch_scc1 .LBB536_1705
; %bb.1700:
	s_cmp_gt_i32 s2, 9
	s_cbranch_scc0 .LBB536_1702
; %bb.1701:
	v_lshlrev_b32_e32 v1, 16, v5
	v_mov_b32_e32 v12, 0
	v_cvt_f64_f32_e32 v[10:11], v1
	v_mov_b32_e32 v13, v12
	global_store_dwordx4 v[2:3], v[10:13], off
	s_mov_b64 s[0:1], 0
.LBB536_1702:
	s_andn2_b64 vcc, exec, s[0:1]
	s_cbranch_vccnz .LBB536_1704
; %bb.1703:
	v_lshlrev_b32_e32 v10, 16, v5
	v_mov_b32_e32 v11, 0
	global_store_dwordx2 v[2:3], v[10:11], off
.LBB536_1704:
	s_mov_b64 s[0:1], 0
.LBB536_1705:
	s_andn2_b64 vcc, exec, s[0:1]
	s_cbranch_vccnz .LBB536_1707
; %bb.1706:
	v_lshlrev_b32_e32 v1, 16, v5
	v_cvt_f16_f32_e32 v1, v1
	global_store_dword v[2:3], v1, off
.LBB536_1707:
	s_mov_b64 s[0:1], 0
.LBB536_1708:
	s_andn2_b64 vcc, exec, s[0:1]
	s_cbranch_vccnz .LBB536_1717
; %bb.1709:
	s_cmp_lt_i32 s2, 6
	s_mov_b64 s[0:1], -1
	s_cbranch_scc1 .LBB536_1715
; %bb.1710:
	s_cmp_gt_i32 s2, 6
	s_cbranch_scc0 .LBB536_1712
; %bb.1711:
	v_lshlrev_b32_e32 v1, 16, v5
	v_cvt_f64_f32_e32 v[10:11], v1
	global_store_dwordx2 v[2:3], v[10:11], off
	s_mov_b64 s[0:1], 0
.LBB536_1712:
	s_andn2_b64 vcc, exec, s[0:1]
	s_cbranch_vccnz .LBB536_1714
; %bb.1713:
	v_lshlrev_b32_e32 v1, 16, v5
	global_store_dword v[2:3], v1, off
.LBB536_1714:
	s_mov_b64 s[0:1], 0
.LBB536_1715:
	s_andn2_b64 vcc, exec, s[0:1]
	s_cbranch_vccnz .LBB536_1717
; %bb.1716:
	v_lshlrev_b32_e32 v1, 16, v5
	v_cvt_f16_f32_e32 v1, v1
	global_store_short v[2:3], v1, off
.LBB536_1717:
	s_mov_b64 s[0:1], 0
.LBB536_1718:
	s_andn2_b64 vcc, exec, s[0:1]
	s_cbranch_vccnz .LBB536_1734
; %bb.1719:
	s_cmp_lt_i32 s2, 2
	s_mov_b64 s[0:1], -1
	s_cbranch_scc1 .LBB536_1729
; %bb.1720:
	s_cmp_lt_i32 s2, 3
	s_cbranch_scc1 .LBB536_1726
; %bb.1721:
	s_cmp_gt_i32 s2, 3
	s_cbranch_scc0 .LBB536_1723
; %bb.1722:
	v_lshlrev_b32_e32 v1, 16, v5
	v_trunc_f32_e32 v1, v1
	s_mov_b32 s0, 0x2f800000
	v_mul_f32_e64 v4, |v1|, s0
	v_floor_f32_e32 v4, v4
	s_mov_b32 s0, 0xcf800000
	v_cvt_u32_f32_e32 v9, v4
	v_fma_f32 v4, v4, s0, |v1|
	v_cvt_u32_f32_e32 v4, v4
	v_ashrrev_i32_e32 v1, 31, v1
	v_xor_b32_e32 v9, v9, v1
	s_mov_b64 s[0:1], 0
	v_xor_b32_e32 v4, v4, v1
	v_sub_co_u32_e32 v10, vcc, v4, v1
	s_nop 1
	v_subb_co_u32_e32 v11, vcc, v9, v1, vcc
	global_store_dwordx2 v[2:3], v[10:11], off
.LBB536_1723:
	s_andn2_b64 vcc, exec, s[0:1]
	s_cbranch_vccnz .LBB536_1725
; %bb.1724:
	v_lshlrev_b32_e32 v1, 16, v5
	v_cvt_i32_f32_e32 v1, v1
	global_store_dword v[2:3], v1, off
.LBB536_1725:
	s_mov_b64 s[0:1], 0
.LBB536_1726:
	s_andn2_b64 vcc, exec, s[0:1]
	s_cbranch_vccnz .LBB536_1728
; %bb.1727:
	v_lshlrev_b32_e32 v1, 16, v5
	v_cvt_i32_f32_e32 v1, v1
	global_store_short v[2:3], v1, off
.LBB536_1728:
	s_mov_b64 s[0:1], 0
.LBB536_1729:
	s_andn2_b64 vcc, exec, s[0:1]
	s_cbranch_vccnz .LBB536_1734
; %bb.1730:
	s_mov_b64 s[0:1], -1
	s_cmp_gt_i32 s2, 0
	v_lshlrev_b32_e32 v1, 16, v5
	s_cbranch_scc0 .LBB536_1732
; %bb.1731:
	v_cvt_i32_f32_e32 v4, v1
	s_mov_b64 s[0:1], 0
	global_store_byte v[2:3], v4, off
.LBB536_1732:
	s_andn2_b64 vcc, exec, s[0:1]
	s_cbranch_vccnz .LBB536_1734
; %bb.1733:
	v_trunc_f32_e32 v1, v1
	s_mov_b32 s0, 0x2f800000
	v_mul_f32_e64 v4, |v1|, s0
	v_floor_f32_e32 v4, v4
	s_mov_b32 s0, 0xcf800000
	v_fma_f32 v4, v4, s0, |v1|
	v_cvt_u32_f32_e32 v4, v4
	v_ashrrev_i32_e32 v1, 31, v1
	v_xor_b32_e32 v4, v4, v1
	v_sub_u32_e32 v1, v4, v1
	global_store_byte v[2:3], v1, off
.LBB536_1734:
	s_mov_b64 s[6:7], -1
.LBB536_1735:
	s_andn2_b64 vcc, exec, s[6:7]
	s_cbranch_vccnz .LBB536_2050
; %bb.1736:
	s_lshl_b32 s18, s8, 7
	v_add_u32_e32 v0, s18, v0
	v_ashrrev_i32_e32 v1, 31, v0
	s_cmp_lt_i32 s20, 11
	v_lshl_add_u64 v[2:3], s[4:5], 0, v[0:1]
	s_cbranch_scc1 .LBB536_1814
; %bb.1737:
	s_and_b32 s19, 0xffff, s20
	s_mov_b64 s[8:9], -1
	s_mov_b64 s[2:3], 0
	s_cmp_gt_i32 s19, 25
	s_mov_b64 s[6:7], 0
	s_mov_b64 s[0:1], 0
	s_cbranch_scc0 .LBB536_1770
; %bb.1738:
	s_cmp_gt_i32 s19, 28
	s_cbranch_scc0 .LBB536_1753
; %bb.1739:
	s_cmp_gt_i32 s19, 43
	;; [unrolled: 3-line block ×3, first 2 shown]
	s_cbranch_scc0 .LBB536_1743
; %bb.1741:
	s_mov_b64 s[0:1], -1
	s_mov_b64 s[8:9], 0
	s_cmp_eq_u32 s19, 46
	s_cbranch_scc0 .LBB536_1743
; %bb.1742:
	v_and_b32_e32 v1, 0xffff, v6
	global_store_dword v[2:3], v1, off
	s_mov_b64 s[0:1], 0
	s_mov_b64 s[6:7], -1
.LBB536_1743:
	s_and_b64 vcc, exec, s[8:9]
	s_cbranch_vccz .LBB536_1748
; %bb.1744:
	s_cmp_eq_u32 s19, 44
	s_mov_b64 s[0:1], -1
	s_cbranch_scc0 .LBB536_1748
; %bb.1745:
	v_and_b32_e32 v4, 0xffff, v6
	v_bfe_u32 v1, v4, 7, 8
	s_movk_i32 s0, 0xff
	v_cmp_ne_u32_e32 vcc, s0, v1
	v_mov_b32_e32 v5, 0xff
	s_and_saveexec_b64 s[6:7], vcc
	s_cbranch_execz .LBB536_1747
; %bb.1746:
	v_lshlrev_b32_e32 v9, 16, v4
	s_mov_b32 s0, 0x3f0000
	v_lshrrev_b32_e32 v5, 7, v4
	v_and_b32_e32 v4, 64, v4
	v_and_or_b32 v1, v9, s0, v1
	v_cmp_ne_u32_e32 vcc, 0, v4
	v_cmp_ne_u32_e64 s[0:1], 0, v1
	s_and_b64 s[0:1], vcc, s[0:1]
	s_nop 0
	v_cndmask_b32_e64 v1, 0, 1, s[0:1]
	v_add_u32_e32 v5, v5, v1
.LBB536_1747:
	s_or_b64 exec, exec, s[6:7]
	s_mov_b64 s[0:1], 0
	s_mov_b64 s[6:7], -1
	global_store_byte v[2:3], v5, off
.LBB536_1748:
	s_mov_b64 s[8:9], 0
.LBB536_1749:
	s_and_b64 vcc, exec, s[8:9]
	s_cbranch_vccz .LBB536_1752
; %bb.1750:
	s_cmp_eq_u32 s19, 29
	s_mov_b64 s[0:1], -1
	s_cbranch_scc0 .LBB536_1752
; %bb.1751:
	v_lshlrev_b32_e32 v1, 16, v6
	v_trunc_f32_e32 v1, v1
	v_mul_f32_e32 v4, 0x2f800000, v1
	v_floor_f32_e32 v4, v4
	v_fmamk_f32 v1, v4, 0xcf800000, v1
	v_cvt_u32_f32_e32 v5, v4
	v_cvt_u32_f32_e32 v4, v1
	s_mov_b64 s[0:1], 0
	s_mov_b64 s[6:7], -1
	global_store_dwordx2 v[2:3], v[4:5], off
.LBB536_1752:
	s_mov_b64 s[8:9], 0
.LBB536_1753:
	s_and_b64 vcc, exec, s[8:9]
	s_cbranch_vccz .LBB536_1769
; %bb.1754:
	s_cmp_lt_i32 s19, 27
	s_mov_b64 s[6:7], -1
	s_cbranch_scc1 .LBB536_1760
; %bb.1755:
	s_cmp_gt_i32 s19, 27
	s_cbranch_scc0 .LBB536_1757
; %bb.1756:
	v_lshlrev_b32_e32 v1, 16, v6
	v_cvt_u32_f32_e32 v1, v1
	s_mov_b64 s[6:7], 0
	global_store_dword v[2:3], v1, off
.LBB536_1757:
	s_andn2_b64 vcc, exec, s[6:7]
	s_cbranch_vccnz .LBB536_1759
; %bb.1758:
	v_lshlrev_b32_e32 v1, 16, v6
	v_cvt_u32_f32_e32 v1, v1
	global_store_short v[2:3], v1, off
.LBB536_1759:
	s_mov_b64 s[6:7], 0
.LBB536_1760:
	s_andn2_b64 vcc, exec, s[6:7]
	s_cbranch_vccnz .LBB536_1768
; %bb.1761:
	v_lshlrev_b32_e32 v5, 16, v6
	v_and_b32_e32 v4, 0x7fffffff, v5
	s_mov_b32 s6, 0x43800000
	v_cmp_gt_u32_e32 vcc, s6, v4
	v_mov_b32_e32 v9, 0x80
	s_and_saveexec_b64 s[6:7], vcc
	s_cbranch_execz .LBB536_1767
; %bb.1762:
	s_mov_b32 s8, 0x3bffffff
	v_and_b32_e32 v1, 0xffff, v6
	v_cmp_lt_u32_e32 vcc, s8, v4
	s_mov_b64 s[8:9], 0
                                        ; implicit-def: $vgpr4
	s_and_saveexec_b64 s[10:11], vcc
	s_xor_b64 s[10:11], exec, s[10:11]
	s_cbranch_execz .LBB536_2058
; %bb.1763:
	v_bfe_u32 v4, v1, 4, 1
	s_mov_b32 s21, 0x487ffff
	v_add3_u32 v4, v5, v4, s21
	s_mov_b64 s[8:9], exec
	v_lshrrev_b32_e32 v4, 20, v4
                                        ; implicit-def: $vgpr5
	s_andn2_saveexec_b64 s[10:11], s[10:11]
	s_cbranch_execnz .LBB536_2059
.LBB536_1764:
	s_or_b64 exec, exec, s[10:11]
	v_mov_b32_e32 v9, 0
	s_and_saveexec_b64 s[10:11], s[8:9]
.LBB536_1765:
	v_lshrrev_b32_e32 v1, 8, v1
	s_movk_i32 s8, 0x80
	v_and_or_b32 v9, v1, s8, v4
.LBB536_1766:
	s_or_b64 exec, exec, s[10:11]
.LBB536_1767:
	s_or_b64 exec, exec, s[6:7]
	global_store_byte v[2:3], v9, off
.LBB536_1768:
	s_mov_b64 s[6:7], -1
.LBB536_1769:
	s_mov_b64 s[8:9], 0
.LBB536_1770:
	s_and_b64 vcc, exec, s[8:9]
	s_cbranch_vccz .LBB536_1810
; %bb.1771:
	s_cmp_gt_i32 s19, 22
	s_mov_b64 s[2:3], -1
	s_cbranch_scc0 .LBB536_1803
; %bb.1772:
	s_cmp_lt_i32 s19, 24
	s_cbranch_scc1 .LBB536_1792
; %bb.1773:
	s_cmp_gt_i32 s19, 24
	s_cbranch_scc0 .LBB536_1781
; %bb.1774:
	v_lshlrev_b32_e32 v5, 16, v6
	v_and_b32_e32 v4, 0x7fffffff, v5
	s_mov_b32 s2, 0x47800000
	v_cmp_gt_u32_e32 vcc, s2, v4
	v_mov_b32_e32 v9, 0x80
	s_and_saveexec_b64 s[2:3], vcc
	s_cbranch_execz .LBB536_1780
; %bb.1775:
	s_mov_b32 s6, 0x37ffffff
	v_and_b32_e32 v1, 0xffff, v6
	v_cmp_lt_u32_e32 vcc, s6, v4
	s_mov_b64 s[6:7], 0
                                        ; implicit-def: $vgpr4
	s_and_saveexec_b64 s[8:9], vcc
	s_xor_b64 s[8:9], exec, s[8:9]
	s_cbranch_execz .LBB536_2061
; %bb.1776:
	v_bfe_u32 v4, v1, 5, 1
	s_mov_b32 s10, 0x88fffff
	v_add3_u32 v4, v5, v4, s10
	s_mov_b64 s[6:7], exec
	v_lshrrev_b32_e32 v4, 21, v4
                                        ; implicit-def: $vgpr5
	s_andn2_saveexec_b64 s[8:9], s[8:9]
	s_cbranch_execnz .LBB536_2062
.LBB536_1777:
	s_or_b64 exec, exec, s[8:9]
	v_mov_b32_e32 v9, 0
	s_and_saveexec_b64 s[8:9], s[6:7]
.LBB536_1778:
	v_lshrrev_b32_e32 v1, 8, v1
	s_movk_i32 s6, 0x80
	v_and_or_b32 v9, v1, s6, v4
.LBB536_1779:
	s_or_b64 exec, exec, s[8:9]
.LBB536_1780:
	s_or_b64 exec, exec, s[2:3]
	s_mov_b64 s[2:3], 0
	global_store_byte v[2:3], v9, off
.LBB536_1781:
	s_and_b64 vcc, exec, s[2:3]
	s_cbranch_vccz .LBB536_1791
; %bb.1782:
	v_lshlrev_b32_e32 v5, 16, v6
	v_and_b32_e32 v9, 0x7fffffff, v5
	s_mov_b32 s2, 0x43f00000
	v_and_b32_e32 v1, 0xffff, v6
	v_cmp_gt_u32_e32 vcc, s2, v9
                                        ; implicit-def: $vgpr4
	s_and_saveexec_b64 s[2:3], vcc
	s_xor_b64 s[2:3], exec, s[2:3]
	s_cbranch_execz .LBB536_1788
; %bb.1783:
	s_mov_b32 s6, 0x3c7fffff
	v_cmp_lt_u32_e32 vcc, s6, v9
                                        ; implicit-def: $vgpr4
	s_and_saveexec_b64 s[6:7], vcc
	s_xor_b64 s[6:7], exec, s[6:7]
; %bb.1784:
	v_bfe_u32 v4, v1, 4, 1
	s_mov_b32 s8, 0x407ffff
	v_add3_u32 v4, v5, v4, s8
	v_lshrrev_b32_e32 v5, 20, v4
	v_and_b32_e32 v4, 0xff00000, v4
	s_mov_b32 s8, 0x7f00000
	v_mov_b32_e32 v9, 0x7e
	v_cmp_ne_u32_e32 vcc, s8, v4
	s_nop 1
	v_cndmask_b32_e32 v4, v9, v5, vcc
                                        ; implicit-def: $vgpr5
; %bb.1785:
	s_andn2_saveexec_b64 s[6:7], s[6:7]
; %bb.1786:
	s_mov_b32 s8, 0x46800000
	v_add_f32_e64 v4, |v5|, s8
; %bb.1787:
	s_or_b64 exec, exec, s[6:7]
                                        ; implicit-def: $vgpr9
.LBB536_1788:
	s_andn2_saveexec_b64 s[2:3], s[2:3]
; %bb.1789:
	s_mov_b32 s6, 0x7f800000
	v_mov_b32_e32 v4, 0x7e
	v_mov_b32_e32 v5, 0x7f
	v_cmp_lt_u32_e32 vcc, s6, v9
	s_nop 1
	v_cndmask_b32_e32 v4, v4, v5, vcc
; %bb.1790:
	s_or_b64 exec, exec, s[2:3]
	v_lshrrev_b32_e32 v1, 8, v1
	s_movk_i32 s2, 0x80
	v_and_or_b32 v1, v1, s2, v4
	global_store_byte v[2:3], v1, off
.LBB536_1791:
	s_mov_b64 s[2:3], 0
.LBB536_1792:
	s_andn2_b64 vcc, exec, s[2:3]
	s_cbranch_vccnz .LBB536_1802
; %bb.1793:
	v_lshlrev_b32_e32 v5, 16, v6
	v_and_b32_e32 v9, 0x7fffffff, v5
	s_mov_b32 s2, 0x47800000
	v_and_b32_e32 v1, 0xffff, v6
	v_cmp_gt_u32_e32 vcc, s2, v9
                                        ; implicit-def: $vgpr4
	s_and_saveexec_b64 s[2:3], vcc
	s_xor_b64 s[2:3], exec, s[2:3]
	s_cbranch_execz .LBB536_1799
; %bb.1794:
	s_mov_b32 s6, 0x387fffff
	v_cmp_lt_u32_e32 vcc, s6, v9
                                        ; implicit-def: $vgpr4
	s_and_saveexec_b64 s[6:7], vcc
	s_xor_b64 s[6:7], exec, s[6:7]
; %bb.1795:
	v_bfe_u32 v4, v1, 5, 1
	s_mov_b32 s8, 0x80fffff
	v_add3_u32 v4, v5, v4, s8
	v_lshrrev_b32_e32 v4, 21, v4
                                        ; implicit-def: $vgpr5
; %bb.1796:
	s_andn2_saveexec_b64 s[6:7], s[6:7]
; %bb.1797:
	s_mov_b32 s8, 0x43000000
	v_add_f32_e64 v4, |v5|, s8
; %bb.1798:
	s_or_b64 exec, exec, s[6:7]
                                        ; implicit-def: $vgpr9
.LBB536_1799:
	s_andn2_saveexec_b64 s[2:3], s[2:3]
; %bb.1800:
	s_mov_b32 s6, 0x7f800000
	v_mov_b32_e32 v4, 0x7c
	v_mov_b32_e32 v5, 0x7f
	v_cmp_lt_u32_e32 vcc, s6, v9
	s_nop 1
	v_cndmask_b32_e32 v4, v4, v5, vcc
; %bb.1801:
	s_or_b64 exec, exec, s[2:3]
	v_lshrrev_b32_e32 v1, 8, v1
	s_movk_i32 s2, 0x80
	v_and_or_b32 v1, v1, s2, v4
	global_store_byte v[2:3], v1, off
.LBB536_1802:
	s_mov_b64 s[2:3], 0
	s_mov_b64 s[6:7], -1
.LBB536_1803:
	s_andn2_b64 vcc, exec, s[2:3]
	s_mov_b64 s[2:3], 0
	s_cbranch_vccnz .LBB536_1810
; %bb.1804:
	s_cmp_gt_i32 s19, 14
	s_mov_b64 s[8:9], -1
	s_cbranch_scc0 .LBB536_1808
; %bb.1805:
	s_cmp_eq_u32 s19, 15
	s_mov_b64 s[0:1], -1
	s_cbranch_scc0 .LBB536_1807
; %bb.1806:
	global_store_short v[2:3], v6, off
	s_mov_b64 s[0:1], 0
	s_mov_b64 s[6:7], -1
.LBB536_1807:
	s_mov_b64 s[8:9], 0
.LBB536_1808:
	s_and_b64 vcc, exec, s[8:9]
	s_cbranch_vccz .LBB536_1810
; %bb.1809:
	s_cmp_lg_u32 s19, 11
	s_mov_b64 s[2:3], -1
	s_cselect_b64 s[0:1], -1, 0
.LBB536_1810:
	s_and_b64 vcc, exec, s[0:1]
	s_cbranch_vccnz .LBB536_2060
; %bb.1811:
	s_andn2_b64 vcc, exec, s[2:3]
	s_cbranch_vccnz .LBB536_1813
.LBB536_1812:
	v_and_b32_e32 v1, 0x7fff, v6
	v_cmp_ne_u16_e32 vcc, 0, v1
	s_mov_b64 s[6:7], -1
	s_nop 0
	v_cndmask_b32_e64 v1, 0, 1, vcc
	global_store_byte v[2:3], v1, off
.LBB536_1813:
	s_mov_b64 s[0:1], 0
	s_branch .LBB536_1815
.LBB536_1814:
	s_mov_b64 s[0:1], -1
	s_mov_b64 s[6:7], 0
.LBB536_1815:
	s_and_b64 vcc, exec, s[0:1]
	s_cbranch_vccz .LBB536_1854
; %bb.1816:
	s_and_b32 s2, 0xffff, s20
	s_cmp_lt_i32 s2, 5
	s_mov_b64 s[0:1], -1
	s_cbranch_scc1 .LBB536_1837
; %bb.1817:
	s_cmp_lt_i32 s2, 8
	s_cbranch_scc1 .LBB536_1827
; %bb.1818:
	s_cmp_lt_i32 s2, 9
	s_cbranch_scc1 .LBB536_1824
; %bb.1819:
	s_cmp_gt_i32 s2, 9
	s_cbranch_scc0 .LBB536_1821
; %bb.1820:
	v_lshlrev_b32_e32 v1, 16, v6
	v_mov_b32_e32 v12, 0
	v_cvt_f64_f32_e32 v[10:11], v1
	v_mov_b32_e32 v13, v12
	global_store_dwordx4 v[2:3], v[10:13], off
	s_mov_b64 s[0:1], 0
.LBB536_1821:
	s_andn2_b64 vcc, exec, s[0:1]
	s_cbranch_vccnz .LBB536_1823
; %bb.1822:
	v_lshlrev_b32_e32 v4, 16, v6
	v_mov_b32_e32 v5, 0
	global_store_dwordx2 v[2:3], v[4:5], off
.LBB536_1823:
	s_mov_b64 s[0:1], 0
.LBB536_1824:
	s_andn2_b64 vcc, exec, s[0:1]
	s_cbranch_vccnz .LBB536_1826
; %bb.1825:
	v_lshlrev_b32_e32 v1, 16, v6
	v_cvt_f16_f32_e32 v1, v1
	global_store_dword v[2:3], v1, off
.LBB536_1826:
	s_mov_b64 s[0:1], 0
.LBB536_1827:
	s_andn2_b64 vcc, exec, s[0:1]
	s_cbranch_vccnz .LBB536_1836
; %bb.1828:
	s_cmp_lt_i32 s2, 6
	s_mov_b64 s[0:1], -1
	s_cbranch_scc1 .LBB536_1834
; %bb.1829:
	s_cmp_gt_i32 s2, 6
	s_cbranch_scc0 .LBB536_1831
; %bb.1830:
	v_lshlrev_b32_e32 v1, 16, v6
	v_cvt_f64_f32_e32 v[4:5], v1
	global_store_dwordx2 v[2:3], v[4:5], off
	s_mov_b64 s[0:1], 0
.LBB536_1831:
	s_andn2_b64 vcc, exec, s[0:1]
	s_cbranch_vccnz .LBB536_1833
; %bb.1832:
	v_lshlrev_b32_e32 v1, 16, v6
	global_store_dword v[2:3], v1, off
.LBB536_1833:
	s_mov_b64 s[0:1], 0
.LBB536_1834:
	s_andn2_b64 vcc, exec, s[0:1]
	s_cbranch_vccnz .LBB536_1836
; %bb.1835:
	v_lshlrev_b32_e32 v1, 16, v6
	v_cvt_f16_f32_e32 v1, v1
	global_store_short v[2:3], v1, off
.LBB536_1836:
	s_mov_b64 s[0:1], 0
.LBB536_1837:
	s_andn2_b64 vcc, exec, s[0:1]
	s_cbranch_vccnz .LBB536_1853
; %bb.1838:
	s_cmp_lt_i32 s2, 2
	s_mov_b64 s[0:1], -1
	s_cbranch_scc1 .LBB536_1848
; %bb.1839:
	s_cmp_lt_i32 s2, 3
	s_cbranch_scc1 .LBB536_1845
; %bb.1840:
	s_cmp_gt_i32 s2, 3
	s_cbranch_scc0 .LBB536_1842
; %bb.1841:
	v_lshlrev_b32_e32 v1, 16, v6
	v_trunc_f32_e32 v1, v1
	s_mov_b32 s0, 0x2f800000
	v_mul_f32_e64 v4, |v1|, s0
	v_floor_f32_e32 v4, v4
	s_mov_b32 s0, 0xcf800000
	v_cvt_u32_f32_e32 v5, v4
	v_fma_f32 v4, v4, s0, |v1|
	v_cvt_u32_f32_e32 v4, v4
	v_ashrrev_i32_e32 v1, 31, v1
	v_xor_b32_e32 v5, v5, v1
	s_mov_b64 s[0:1], 0
	v_xor_b32_e32 v4, v4, v1
	v_sub_co_u32_e32 v4, vcc, v4, v1
	s_nop 1
	v_subb_co_u32_e32 v5, vcc, v5, v1, vcc
	global_store_dwordx2 v[2:3], v[4:5], off
.LBB536_1842:
	s_andn2_b64 vcc, exec, s[0:1]
	s_cbranch_vccnz .LBB536_1844
; %bb.1843:
	v_lshlrev_b32_e32 v1, 16, v6
	v_cvt_i32_f32_e32 v1, v1
	global_store_dword v[2:3], v1, off
.LBB536_1844:
	s_mov_b64 s[0:1], 0
.LBB536_1845:
	s_andn2_b64 vcc, exec, s[0:1]
	s_cbranch_vccnz .LBB536_1847
; %bb.1846:
	v_lshlrev_b32_e32 v1, 16, v6
	v_cvt_i32_f32_e32 v1, v1
	global_store_short v[2:3], v1, off
.LBB536_1847:
	s_mov_b64 s[0:1], 0
.LBB536_1848:
	s_andn2_b64 vcc, exec, s[0:1]
	s_cbranch_vccnz .LBB536_1853
; %bb.1849:
	s_mov_b64 s[0:1], -1
	s_cmp_gt_i32 s2, 0
	v_lshlrev_b32_e32 v1, 16, v6
	s_cbranch_scc0 .LBB536_1851
; %bb.1850:
	v_cvt_i32_f32_e32 v4, v1
	s_mov_b64 s[0:1], 0
	global_store_byte v[2:3], v4, off
.LBB536_1851:
	s_andn2_b64 vcc, exec, s[0:1]
	s_cbranch_vccnz .LBB536_1853
; %bb.1852:
	v_trunc_f32_e32 v1, v1
	s_mov_b32 s0, 0x2f800000
	v_mul_f32_e64 v4, |v1|, s0
	v_floor_f32_e32 v4, v4
	s_mov_b32 s0, 0xcf800000
	v_fma_f32 v4, v4, s0, |v1|
	v_cvt_u32_f32_e32 v4, v4
	v_ashrrev_i32_e32 v1, 31, v1
	v_xor_b32_e32 v4, v4, v1
	v_sub_u32_e32 v1, v4, v1
	global_store_byte v[2:3], v1, off
.LBB536_1853:
	s_mov_b64 s[6:7], -1
.LBB536_1854:
	s_andn2_b64 vcc, exec, s[6:7]
	s_cbranch_vccnz .LBB536_2050
; %bb.1855:
	v_add_u32_e32 v0, s18, v0
	v_ashrrev_i32_e32 v1, 31, v0
	s_cmp_lt_i32 s20, 11
	v_lshl_add_u64 v[2:3], s[4:5], 0, v[0:1]
	s_cbranch_scc1 .LBB536_1933
; %bb.1856:
	s_and_b32 s19, 0xffff, s20
	s_mov_b64 s[8:9], -1
	s_mov_b64 s[2:3], 0
	s_cmp_gt_i32 s19, 25
	s_mov_b64 s[6:7], 0
	s_mov_b64 s[0:1], 0
	s_cbranch_scc0 .LBB536_1889
; %bb.1857:
	s_cmp_gt_i32 s19, 28
	s_cbranch_scc0 .LBB536_1872
; %bb.1858:
	s_cmp_gt_i32 s19, 43
	;; [unrolled: 3-line block ×3, first 2 shown]
	s_cbranch_scc0 .LBB536_1862
; %bb.1860:
	s_mov_b64 s[0:1], -1
	s_mov_b64 s[8:9], 0
	s_cmp_eq_u32 s19, 46
	s_cbranch_scc0 .LBB536_1862
; %bb.1861:
	v_and_b32_e32 v1, 0xffff, v7
	global_store_dword v[2:3], v1, off
	s_mov_b64 s[0:1], 0
	s_mov_b64 s[6:7], -1
.LBB536_1862:
	s_and_b64 vcc, exec, s[8:9]
	s_cbranch_vccz .LBB536_1867
; %bb.1863:
	s_cmp_eq_u32 s19, 44
	s_mov_b64 s[0:1], -1
	s_cbranch_scc0 .LBB536_1867
; %bb.1864:
	v_and_b32_e32 v4, 0xffff, v7
	v_bfe_u32 v1, v4, 7, 8
	s_movk_i32 s0, 0xff
	v_cmp_ne_u32_e32 vcc, s0, v1
	v_mov_b32_e32 v5, 0xff
	s_and_saveexec_b64 s[6:7], vcc
	s_cbranch_execz .LBB536_1866
; %bb.1865:
	v_lshlrev_b32_e32 v6, 16, v4
	s_mov_b32 s0, 0x3f0000
	v_lshrrev_b32_e32 v5, 7, v4
	v_and_b32_e32 v4, 64, v4
	v_and_or_b32 v1, v6, s0, v1
	v_cmp_ne_u32_e32 vcc, 0, v4
	v_cmp_ne_u32_e64 s[0:1], 0, v1
	s_and_b64 s[0:1], vcc, s[0:1]
	s_nop 0
	v_cndmask_b32_e64 v1, 0, 1, s[0:1]
	v_add_u32_e32 v5, v5, v1
.LBB536_1866:
	s_or_b64 exec, exec, s[6:7]
	s_mov_b64 s[0:1], 0
	s_mov_b64 s[6:7], -1
	global_store_byte v[2:3], v5, off
.LBB536_1867:
	s_mov_b64 s[8:9], 0
.LBB536_1868:
	s_and_b64 vcc, exec, s[8:9]
	s_cbranch_vccz .LBB536_1871
; %bb.1869:
	s_cmp_eq_u32 s19, 29
	s_mov_b64 s[0:1], -1
	s_cbranch_scc0 .LBB536_1871
; %bb.1870:
	v_lshlrev_b32_e32 v1, 16, v7
	v_trunc_f32_e32 v1, v1
	v_mul_f32_e32 v4, 0x2f800000, v1
	v_floor_f32_e32 v4, v4
	v_fmamk_f32 v1, v4, 0xcf800000, v1
	v_cvt_u32_f32_e32 v5, v4
	v_cvt_u32_f32_e32 v4, v1
	s_mov_b64 s[0:1], 0
	s_mov_b64 s[6:7], -1
	global_store_dwordx2 v[2:3], v[4:5], off
.LBB536_1871:
	s_mov_b64 s[8:9], 0
.LBB536_1872:
	s_and_b64 vcc, exec, s[8:9]
	s_cbranch_vccz .LBB536_1888
; %bb.1873:
	s_cmp_lt_i32 s19, 27
	s_mov_b64 s[6:7], -1
	s_cbranch_scc1 .LBB536_1879
; %bb.1874:
	s_cmp_gt_i32 s19, 27
	s_cbranch_scc0 .LBB536_1876
; %bb.1875:
	v_lshlrev_b32_e32 v1, 16, v7
	v_cvt_u32_f32_e32 v1, v1
	s_mov_b64 s[6:7], 0
	global_store_dword v[2:3], v1, off
.LBB536_1876:
	s_andn2_b64 vcc, exec, s[6:7]
	s_cbranch_vccnz .LBB536_1878
; %bb.1877:
	v_lshlrev_b32_e32 v1, 16, v7
	v_cvt_u32_f32_e32 v1, v1
	global_store_short v[2:3], v1, off
.LBB536_1878:
	s_mov_b64 s[6:7], 0
.LBB536_1879:
	s_andn2_b64 vcc, exec, s[6:7]
	s_cbranch_vccnz .LBB536_1887
; %bb.1880:
	v_lshlrev_b32_e32 v5, 16, v7
	v_and_b32_e32 v4, 0x7fffffff, v5
	s_mov_b32 s6, 0x43800000
	v_cmp_gt_u32_e32 vcc, s6, v4
	v_mov_b32_e32 v6, 0x80
	s_and_saveexec_b64 s[6:7], vcc
	s_cbranch_execz .LBB536_1886
; %bb.1881:
	s_mov_b32 s8, 0x3bffffff
	v_and_b32_e32 v1, 0xffff, v7
	v_cmp_lt_u32_e32 vcc, s8, v4
	s_mov_b64 s[8:9], 0
                                        ; implicit-def: $vgpr4
	s_and_saveexec_b64 s[10:11], vcc
	s_xor_b64 s[10:11], exec, s[10:11]
	s_cbranch_execz .LBB536_2063
; %bb.1882:
	v_bfe_u32 v4, v1, 4, 1
	s_mov_b32 s21, 0x487ffff
	v_add3_u32 v4, v5, v4, s21
	s_mov_b64 s[8:9], exec
	v_lshrrev_b32_e32 v4, 20, v4
                                        ; implicit-def: $vgpr5
	s_andn2_saveexec_b64 s[10:11], s[10:11]
	s_cbranch_execnz .LBB536_2064
.LBB536_1883:
	s_or_b64 exec, exec, s[10:11]
	v_mov_b32_e32 v6, 0
	s_and_saveexec_b64 s[10:11], s[8:9]
.LBB536_1884:
	v_lshrrev_b32_e32 v1, 8, v1
	s_movk_i32 s8, 0x80
	v_and_or_b32 v6, v1, s8, v4
.LBB536_1885:
	s_or_b64 exec, exec, s[10:11]
.LBB536_1886:
	s_or_b64 exec, exec, s[6:7]
	global_store_byte v[2:3], v6, off
.LBB536_1887:
	s_mov_b64 s[6:7], -1
.LBB536_1888:
	s_mov_b64 s[8:9], 0
.LBB536_1889:
	s_and_b64 vcc, exec, s[8:9]
	s_cbranch_vccz .LBB536_1929
; %bb.1890:
	s_cmp_gt_i32 s19, 22
	s_mov_b64 s[2:3], -1
	s_cbranch_scc0 .LBB536_1922
; %bb.1891:
	s_cmp_lt_i32 s19, 24
	s_cbranch_scc1 .LBB536_1911
; %bb.1892:
	s_cmp_gt_i32 s19, 24
	s_cbranch_scc0 .LBB536_1900
; %bb.1893:
	v_lshlrev_b32_e32 v5, 16, v7
	v_and_b32_e32 v4, 0x7fffffff, v5
	s_mov_b32 s2, 0x47800000
	v_cmp_gt_u32_e32 vcc, s2, v4
	v_mov_b32_e32 v6, 0x80
	s_and_saveexec_b64 s[2:3], vcc
	s_cbranch_execz .LBB536_1899
; %bb.1894:
	s_mov_b32 s6, 0x37ffffff
	v_and_b32_e32 v1, 0xffff, v7
	v_cmp_lt_u32_e32 vcc, s6, v4
	s_mov_b64 s[6:7], 0
                                        ; implicit-def: $vgpr4
	s_and_saveexec_b64 s[8:9], vcc
	s_xor_b64 s[8:9], exec, s[8:9]
	s_cbranch_execz .LBB536_2066
; %bb.1895:
	v_bfe_u32 v4, v1, 5, 1
	s_mov_b32 s10, 0x88fffff
	v_add3_u32 v4, v5, v4, s10
	s_mov_b64 s[6:7], exec
	v_lshrrev_b32_e32 v4, 21, v4
                                        ; implicit-def: $vgpr5
	s_andn2_saveexec_b64 s[8:9], s[8:9]
	s_cbranch_execnz .LBB536_2067
.LBB536_1896:
	s_or_b64 exec, exec, s[8:9]
	v_mov_b32_e32 v6, 0
	s_and_saveexec_b64 s[8:9], s[6:7]
.LBB536_1897:
	v_lshrrev_b32_e32 v1, 8, v1
	s_movk_i32 s6, 0x80
	v_and_or_b32 v6, v1, s6, v4
.LBB536_1898:
	s_or_b64 exec, exec, s[8:9]
.LBB536_1899:
	s_or_b64 exec, exec, s[2:3]
	s_mov_b64 s[2:3], 0
	global_store_byte v[2:3], v6, off
.LBB536_1900:
	s_and_b64 vcc, exec, s[2:3]
	s_cbranch_vccz .LBB536_1910
; %bb.1901:
	v_lshlrev_b32_e32 v5, 16, v7
	v_and_b32_e32 v6, 0x7fffffff, v5
	s_mov_b32 s2, 0x43f00000
	v_and_b32_e32 v1, 0xffff, v7
	v_cmp_gt_u32_e32 vcc, s2, v6
                                        ; implicit-def: $vgpr4
	s_and_saveexec_b64 s[2:3], vcc
	s_xor_b64 s[2:3], exec, s[2:3]
	s_cbranch_execz .LBB536_1907
; %bb.1902:
	s_mov_b32 s6, 0x3c7fffff
	v_cmp_lt_u32_e32 vcc, s6, v6
                                        ; implicit-def: $vgpr4
	s_and_saveexec_b64 s[6:7], vcc
	s_xor_b64 s[6:7], exec, s[6:7]
; %bb.1903:
	v_bfe_u32 v4, v1, 4, 1
	s_mov_b32 s8, 0x407ffff
	v_add3_u32 v4, v5, v4, s8
	v_lshrrev_b32_e32 v5, 20, v4
	v_and_b32_e32 v4, 0xff00000, v4
	s_mov_b32 s8, 0x7f00000
	v_mov_b32_e32 v6, 0x7e
	v_cmp_ne_u32_e32 vcc, s8, v4
	s_nop 1
	v_cndmask_b32_e32 v4, v6, v5, vcc
                                        ; implicit-def: $vgpr5
; %bb.1904:
	s_andn2_saveexec_b64 s[6:7], s[6:7]
; %bb.1905:
	s_mov_b32 s8, 0x46800000
	v_add_f32_e64 v4, |v5|, s8
; %bb.1906:
	s_or_b64 exec, exec, s[6:7]
                                        ; implicit-def: $vgpr6
.LBB536_1907:
	s_andn2_saveexec_b64 s[2:3], s[2:3]
; %bb.1908:
	s_mov_b32 s6, 0x7f800000
	v_mov_b32_e32 v4, 0x7e
	v_mov_b32_e32 v5, 0x7f
	v_cmp_lt_u32_e32 vcc, s6, v6
	s_nop 1
	v_cndmask_b32_e32 v4, v4, v5, vcc
; %bb.1909:
	s_or_b64 exec, exec, s[2:3]
	v_lshrrev_b32_e32 v1, 8, v1
	s_movk_i32 s2, 0x80
	v_and_or_b32 v1, v1, s2, v4
	global_store_byte v[2:3], v1, off
.LBB536_1910:
	s_mov_b64 s[2:3], 0
.LBB536_1911:
	s_andn2_b64 vcc, exec, s[2:3]
	s_cbranch_vccnz .LBB536_1921
; %bb.1912:
	v_lshlrev_b32_e32 v5, 16, v7
	v_and_b32_e32 v6, 0x7fffffff, v5
	s_mov_b32 s2, 0x47800000
	v_and_b32_e32 v1, 0xffff, v7
	v_cmp_gt_u32_e32 vcc, s2, v6
                                        ; implicit-def: $vgpr4
	s_and_saveexec_b64 s[2:3], vcc
	s_xor_b64 s[2:3], exec, s[2:3]
	s_cbranch_execz .LBB536_1918
; %bb.1913:
	s_mov_b32 s6, 0x387fffff
	v_cmp_lt_u32_e32 vcc, s6, v6
                                        ; implicit-def: $vgpr4
	s_and_saveexec_b64 s[6:7], vcc
	s_xor_b64 s[6:7], exec, s[6:7]
; %bb.1914:
	v_bfe_u32 v4, v1, 5, 1
	s_mov_b32 s8, 0x80fffff
	v_add3_u32 v4, v5, v4, s8
	v_lshrrev_b32_e32 v4, 21, v4
                                        ; implicit-def: $vgpr5
; %bb.1915:
	s_andn2_saveexec_b64 s[6:7], s[6:7]
; %bb.1916:
	s_mov_b32 s8, 0x43000000
	v_add_f32_e64 v4, |v5|, s8
; %bb.1917:
	s_or_b64 exec, exec, s[6:7]
                                        ; implicit-def: $vgpr6
.LBB536_1918:
	s_andn2_saveexec_b64 s[2:3], s[2:3]
; %bb.1919:
	s_mov_b32 s6, 0x7f800000
	v_mov_b32_e32 v4, 0x7c
	v_mov_b32_e32 v5, 0x7f
	v_cmp_lt_u32_e32 vcc, s6, v6
	s_nop 1
	v_cndmask_b32_e32 v4, v4, v5, vcc
; %bb.1920:
	s_or_b64 exec, exec, s[2:3]
	v_lshrrev_b32_e32 v1, 8, v1
	s_movk_i32 s2, 0x80
	v_and_or_b32 v1, v1, s2, v4
	global_store_byte v[2:3], v1, off
.LBB536_1921:
	s_mov_b64 s[2:3], 0
	s_mov_b64 s[6:7], -1
.LBB536_1922:
	s_andn2_b64 vcc, exec, s[2:3]
	s_mov_b64 s[2:3], 0
	s_cbranch_vccnz .LBB536_1929
; %bb.1923:
	s_cmp_gt_i32 s19, 14
	s_mov_b64 s[8:9], -1
	s_cbranch_scc0 .LBB536_1927
; %bb.1924:
	s_cmp_eq_u32 s19, 15
	s_mov_b64 s[0:1], -1
	s_cbranch_scc0 .LBB536_1926
; %bb.1925:
	global_store_short v[2:3], v7, off
	s_mov_b64 s[0:1], 0
	s_mov_b64 s[6:7], -1
.LBB536_1926:
	s_mov_b64 s[8:9], 0
.LBB536_1927:
	s_and_b64 vcc, exec, s[8:9]
	s_cbranch_vccz .LBB536_1929
; %bb.1928:
	s_cmp_lg_u32 s19, 11
	s_mov_b64 s[2:3], -1
	s_cselect_b64 s[0:1], -1, 0
.LBB536_1929:
	s_and_b64 vcc, exec, s[0:1]
	s_cbranch_vccnz .LBB536_2065
; %bb.1930:
	s_andn2_b64 vcc, exec, s[2:3]
	s_cbranch_vccnz .LBB536_1932
.LBB536_1931:
	v_and_b32_e32 v1, 0x7fff, v7
	v_cmp_ne_u16_e32 vcc, 0, v1
	s_mov_b64 s[6:7], -1
	s_nop 0
	v_cndmask_b32_e64 v1, 0, 1, vcc
	global_store_byte v[2:3], v1, off
.LBB536_1932:
	s_mov_b64 s[0:1], 0
	s_branch .LBB536_1934
.LBB536_1933:
	s_mov_b64 s[0:1], -1
	s_mov_b64 s[6:7], 0
.LBB536_1934:
	s_and_b64 vcc, exec, s[0:1]
	s_cbranch_vccz .LBB536_1973
; %bb.1935:
	s_and_b32 s2, 0xffff, s20
	s_cmp_lt_i32 s2, 5
	s_mov_b64 s[0:1], -1
	s_cbranch_scc1 .LBB536_1956
; %bb.1936:
	s_cmp_lt_i32 s2, 8
	s_cbranch_scc1 .LBB536_1946
; %bb.1937:
	s_cmp_lt_i32 s2, 9
	s_cbranch_scc1 .LBB536_1943
; %bb.1938:
	s_cmp_gt_i32 s2, 9
	s_cbranch_scc0 .LBB536_1940
; %bb.1939:
	v_lshlrev_b32_e32 v1, 16, v7
	v_mov_b32_e32 v12, 0
	v_cvt_f64_f32_e32 v[10:11], v1
	v_mov_b32_e32 v13, v12
	global_store_dwordx4 v[2:3], v[10:13], off
	s_mov_b64 s[0:1], 0
.LBB536_1940:
	s_andn2_b64 vcc, exec, s[0:1]
	s_cbranch_vccnz .LBB536_1942
; %bb.1941:
	v_lshlrev_b32_e32 v4, 16, v7
	v_mov_b32_e32 v5, 0
	global_store_dwordx2 v[2:3], v[4:5], off
.LBB536_1942:
	s_mov_b64 s[0:1], 0
.LBB536_1943:
	s_andn2_b64 vcc, exec, s[0:1]
	s_cbranch_vccnz .LBB536_1945
; %bb.1944:
	v_lshlrev_b32_e32 v1, 16, v7
	v_cvt_f16_f32_e32 v1, v1
	global_store_dword v[2:3], v1, off
.LBB536_1945:
	s_mov_b64 s[0:1], 0
.LBB536_1946:
	s_andn2_b64 vcc, exec, s[0:1]
	s_cbranch_vccnz .LBB536_1955
; %bb.1947:
	s_cmp_lt_i32 s2, 6
	s_mov_b64 s[0:1], -1
	s_cbranch_scc1 .LBB536_1953
; %bb.1948:
	s_cmp_gt_i32 s2, 6
	s_cbranch_scc0 .LBB536_1950
; %bb.1949:
	v_lshlrev_b32_e32 v1, 16, v7
	v_cvt_f64_f32_e32 v[4:5], v1
	global_store_dwordx2 v[2:3], v[4:5], off
	s_mov_b64 s[0:1], 0
.LBB536_1950:
	s_andn2_b64 vcc, exec, s[0:1]
	s_cbranch_vccnz .LBB536_1952
; %bb.1951:
	v_lshlrev_b32_e32 v1, 16, v7
	global_store_dword v[2:3], v1, off
.LBB536_1952:
	s_mov_b64 s[0:1], 0
.LBB536_1953:
	s_andn2_b64 vcc, exec, s[0:1]
	s_cbranch_vccnz .LBB536_1955
; %bb.1954:
	v_lshlrev_b32_e32 v1, 16, v7
	v_cvt_f16_f32_e32 v1, v1
	global_store_short v[2:3], v1, off
.LBB536_1955:
	s_mov_b64 s[0:1], 0
.LBB536_1956:
	s_andn2_b64 vcc, exec, s[0:1]
	s_cbranch_vccnz .LBB536_1972
; %bb.1957:
	s_cmp_lt_i32 s2, 2
	s_mov_b64 s[0:1], -1
	s_cbranch_scc1 .LBB536_1967
; %bb.1958:
	s_cmp_lt_i32 s2, 3
	s_cbranch_scc1 .LBB536_1964
; %bb.1959:
	s_cmp_gt_i32 s2, 3
	s_cbranch_scc0 .LBB536_1961
; %bb.1960:
	v_lshlrev_b32_e32 v1, 16, v7
	v_trunc_f32_e32 v1, v1
	s_mov_b32 s0, 0x2f800000
	v_mul_f32_e64 v4, |v1|, s0
	v_floor_f32_e32 v4, v4
	s_mov_b32 s0, 0xcf800000
	v_cvt_u32_f32_e32 v5, v4
	v_fma_f32 v4, v4, s0, |v1|
	v_cvt_u32_f32_e32 v4, v4
	v_ashrrev_i32_e32 v1, 31, v1
	v_xor_b32_e32 v5, v5, v1
	s_mov_b64 s[0:1], 0
	v_xor_b32_e32 v4, v4, v1
	v_sub_co_u32_e32 v4, vcc, v4, v1
	s_nop 1
	v_subb_co_u32_e32 v5, vcc, v5, v1, vcc
	global_store_dwordx2 v[2:3], v[4:5], off
.LBB536_1961:
	s_andn2_b64 vcc, exec, s[0:1]
	s_cbranch_vccnz .LBB536_1963
; %bb.1962:
	v_lshlrev_b32_e32 v1, 16, v7
	v_cvt_i32_f32_e32 v1, v1
	global_store_dword v[2:3], v1, off
.LBB536_1963:
	s_mov_b64 s[0:1], 0
.LBB536_1964:
	s_andn2_b64 vcc, exec, s[0:1]
	s_cbranch_vccnz .LBB536_1966
; %bb.1965:
	v_lshlrev_b32_e32 v1, 16, v7
	v_cvt_i32_f32_e32 v1, v1
	global_store_short v[2:3], v1, off
.LBB536_1966:
	s_mov_b64 s[0:1], 0
.LBB536_1967:
	s_andn2_b64 vcc, exec, s[0:1]
	s_cbranch_vccnz .LBB536_1972
; %bb.1968:
	s_mov_b64 s[0:1], -1
	s_cmp_gt_i32 s2, 0
	v_lshlrev_b32_e32 v1, 16, v7
	s_cbranch_scc0 .LBB536_1970
; %bb.1969:
	v_cvt_i32_f32_e32 v4, v1
	s_mov_b64 s[0:1], 0
	global_store_byte v[2:3], v4, off
.LBB536_1970:
	s_andn2_b64 vcc, exec, s[0:1]
	s_cbranch_vccnz .LBB536_1972
; %bb.1971:
	v_trunc_f32_e32 v1, v1
	s_mov_b32 s0, 0x2f800000
	v_mul_f32_e64 v4, |v1|, s0
	v_floor_f32_e32 v4, v4
	s_mov_b32 s0, 0xcf800000
	v_fma_f32 v4, v4, s0, |v1|
	v_cvt_u32_f32_e32 v4, v4
	v_ashrrev_i32_e32 v1, 31, v1
	v_xor_b32_e32 v4, v4, v1
	v_sub_u32_e32 v1, v4, v1
	global_store_byte v[2:3], v1, off
.LBB536_1972:
	s_mov_b64 s[6:7], -1
.LBB536_1973:
	s_andn2_b64 vcc, exec, s[6:7]
	s_cbranch_vccnz .LBB536_2050
; %bb.1974:
	v_add_u32_e32 v0, s18, v0
	v_ashrrev_i32_e32 v1, 31, v0
	s_cmp_lt_i32 s20, 11
	v_lshl_add_u64 v[0:1], s[4:5], 0, v[0:1]
	s_cbranch_scc1 .LBB536_2051
; %bb.1975:
	s_and_b32 s10, 0xffff, s20
	s_mov_b64 s[4:5], -1
	s_mov_b64 s[2:3], 0
	s_cmp_gt_i32 s10, 25
	s_mov_b64 s[0:1], 0
	s_cbranch_scc0 .LBB536_2008
; %bb.1976:
	s_cmp_gt_i32 s10, 28
	s_cbranch_scc0 .LBB536_1992
; %bb.1977:
	s_cmp_gt_i32 s10, 43
	;; [unrolled: 3-line block ×3, first 2 shown]
	s_cbranch_scc0 .LBB536_1982
; %bb.1979:
	s_cmp_eq_u32 s10, 46
	s_mov_b64 s[0:1], -1
	s_cbranch_scc0 .LBB536_1981
; %bb.1980:
	v_and_b32_e32 v2, 0xffff, v8
	global_store_dword v[0:1], v2, off
	s_mov_b64 s[0:1], 0
.LBB536_1981:
	s_mov_b64 s[4:5], 0
.LBB536_1982:
	s_and_b64 vcc, exec, s[4:5]
	s_cbranch_vccz .LBB536_1987
; %bb.1983:
	s_cmp_eq_u32 s10, 44
	s_mov_b64 s[0:1], -1
	s_cbranch_scc0 .LBB536_1987
; %bb.1984:
	v_and_b32_e32 v3, 0xffff, v8
	v_bfe_u32 v2, v3, 7, 8
	s_movk_i32 s0, 0xff
	v_cmp_ne_u32_e32 vcc, s0, v2
	v_mov_b32_e32 v4, 0xff
	s_and_saveexec_b64 s[4:5], vcc
	s_cbranch_execz .LBB536_1986
; %bb.1985:
	v_lshlrev_b32_e32 v5, 16, v3
	s_mov_b32 s0, 0x3f0000
	v_lshrrev_b32_e32 v4, 7, v3
	v_and_b32_e32 v3, 64, v3
	v_and_or_b32 v2, v5, s0, v2
	v_cmp_ne_u32_e32 vcc, 0, v3
	v_cmp_ne_u32_e64 s[0:1], 0, v2
	s_and_b64 s[0:1], vcc, s[0:1]
	s_nop 0
	v_cndmask_b32_e64 v2, 0, 1, s[0:1]
	v_add_u32_e32 v4, v4, v2
.LBB536_1986:
	s_or_b64 exec, exec, s[4:5]
	s_mov_b64 s[0:1], 0
	global_store_byte v[0:1], v4, off
.LBB536_1987:
	s_mov_b64 s[4:5], 0
.LBB536_1988:
	s_and_b64 vcc, exec, s[4:5]
	s_cbranch_vccz .LBB536_1991
; %bb.1989:
	s_cmp_eq_u32 s10, 29
	s_mov_b64 s[0:1], -1
	s_cbranch_scc0 .LBB536_1991
; %bb.1990:
	v_lshlrev_b32_e32 v2, 16, v8
	v_trunc_f32_e32 v2, v2
	v_mul_f32_e32 v3, 0x2f800000, v2
	v_floor_f32_e32 v4, v3
	v_fmamk_f32 v2, v4, 0xcf800000, v2
	v_cvt_u32_f32_e32 v3, v4
	v_cvt_u32_f32_e32 v2, v2
	s_mov_b64 s[0:1], 0
	global_store_dwordx2 v[0:1], v[2:3], off
.LBB536_1991:
	s_mov_b64 s[4:5], 0
.LBB536_1992:
	s_and_b64 vcc, exec, s[4:5]
	s_cbranch_vccz .LBB536_2007
; %bb.1993:
	s_cmp_lt_i32 s10, 27
	s_mov_b64 s[4:5], -1
	s_cbranch_scc1 .LBB536_1999
; %bb.1994:
	s_cmp_gt_i32 s10, 27
	s_cbranch_scc0 .LBB536_1996
; %bb.1995:
	v_lshlrev_b32_e32 v2, 16, v8
	v_cvt_u32_f32_e32 v2, v2
	s_mov_b64 s[4:5], 0
	global_store_dword v[0:1], v2, off
.LBB536_1996:
	s_andn2_b64 vcc, exec, s[4:5]
	s_cbranch_vccnz .LBB536_1998
; %bb.1997:
	v_lshlrev_b32_e32 v2, 16, v8
	v_cvt_u32_f32_e32 v2, v2
	global_store_short v[0:1], v2, off
.LBB536_1998:
	s_mov_b64 s[4:5], 0
.LBB536_1999:
	s_andn2_b64 vcc, exec, s[4:5]
	s_cbranch_vccnz .LBB536_2007
; %bb.2000:
	v_lshlrev_b32_e32 v4, 16, v8
	v_and_b32_e32 v3, 0x7fffffff, v4
	s_mov_b32 s4, 0x43800000
	v_cmp_gt_u32_e32 vcc, s4, v3
	v_mov_b32_e32 v5, 0x80
	s_and_saveexec_b64 s[4:5], vcc
	s_cbranch_execz .LBB536_2006
; %bb.2001:
	s_mov_b32 s6, 0x3bffffff
	v_and_b32_e32 v2, 0xffff, v8
	v_cmp_lt_u32_e32 vcc, s6, v3
	s_mov_b64 s[6:7], 0
                                        ; implicit-def: $vgpr3
	s_and_saveexec_b64 s[8:9], vcc
	s_xor_b64 s[8:9], exec, s[8:9]
	s_cbranch_execz .LBB536_2068
; %bb.2002:
	v_bfe_u32 v3, v2, 4, 1
	s_mov_b32 s11, 0x487ffff
	v_add3_u32 v3, v4, v3, s11
	s_mov_b64 s[6:7], exec
	v_lshrrev_b32_e32 v3, 20, v3
                                        ; implicit-def: $vgpr4
	s_andn2_saveexec_b64 s[8:9], s[8:9]
	s_cbranch_execnz .LBB536_2069
.LBB536_2003:
	s_or_b64 exec, exec, s[8:9]
	v_mov_b32_e32 v5, 0
	s_and_saveexec_b64 s[8:9], s[6:7]
.LBB536_2004:
	v_lshrrev_b32_e32 v2, 8, v2
	s_movk_i32 s6, 0x80
	v_and_or_b32 v5, v2, s6, v3
.LBB536_2005:
	s_or_b64 exec, exec, s[8:9]
.LBB536_2006:
	s_or_b64 exec, exec, s[4:5]
	global_store_byte v[0:1], v5, off
.LBB536_2007:
	s_mov_b64 s[4:5], 0
.LBB536_2008:
	s_and_b64 vcc, exec, s[4:5]
	s_cbranch_vccz .LBB536_2048
; %bb.2009:
	s_cmp_gt_i32 s10, 22
	s_mov_b64 s[2:3], -1
	s_cbranch_scc0 .LBB536_2041
; %bb.2010:
	s_cmp_lt_i32 s10, 24
	s_cbranch_scc1 .LBB536_2030
; %bb.2011:
	s_cmp_gt_i32 s10, 24
	s_cbranch_scc0 .LBB536_2019
; %bb.2012:
	v_lshlrev_b32_e32 v4, 16, v8
	v_and_b32_e32 v3, 0x7fffffff, v4
	s_mov_b32 s2, 0x47800000
	v_cmp_gt_u32_e32 vcc, s2, v3
	v_mov_b32_e32 v5, 0x80
	s_and_saveexec_b64 s[2:3], vcc
	s_cbranch_execz .LBB536_2018
; %bb.2013:
	s_mov_b32 s4, 0x37ffffff
	v_and_b32_e32 v2, 0xffff, v8
	v_cmp_lt_u32_e32 vcc, s4, v3
	s_mov_b64 s[4:5], 0
                                        ; implicit-def: $vgpr3
	s_and_saveexec_b64 s[6:7], vcc
	s_xor_b64 s[6:7], exec, s[6:7]
	s_cbranch_execz .LBB536_2071
; %bb.2014:
	v_bfe_u32 v3, v2, 5, 1
	s_mov_b32 s8, 0x88fffff
	v_add3_u32 v3, v4, v3, s8
	s_mov_b64 s[4:5], exec
	v_lshrrev_b32_e32 v3, 21, v3
                                        ; implicit-def: $vgpr4
	s_andn2_saveexec_b64 s[6:7], s[6:7]
	s_cbranch_execnz .LBB536_2072
.LBB536_2015:
	s_or_b64 exec, exec, s[6:7]
	v_mov_b32_e32 v5, 0
	s_and_saveexec_b64 s[6:7], s[4:5]
.LBB536_2016:
	v_lshrrev_b32_e32 v2, 8, v2
	s_movk_i32 s4, 0x80
	v_and_or_b32 v5, v2, s4, v3
.LBB536_2017:
	s_or_b64 exec, exec, s[6:7]
.LBB536_2018:
	s_or_b64 exec, exec, s[2:3]
	s_mov_b64 s[2:3], 0
	global_store_byte v[0:1], v5, off
.LBB536_2019:
	s_and_b64 vcc, exec, s[2:3]
	s_cbranch_vccz .LBB536_2029
; %bb.2020:
	v_lshlrev_b32_e32 v4, 16, v8
	v_and_b32_e32 v5, 0x7fffffff, v4
	s_mov_b32 s2, 0x43f00000
	v_and_b32_e32 v2, 0xffff, v8
	v_cmp_gt_u32_e32 vcc, s2, v5
                                        ; implicit-def: $vgpr3
	s_and_saveexec_b64 s[2:3], vcc
	s_xor_b64 s[2:3], exec, s[2:3]
	s_cbranch_execz .LBB536_2026
; %bb.2021:
	s_mov_b32 s4, 0x3c7fffff
	v_cmp_lt_u32_e32 vcc, s4, v5
                                        ; implicit-def: $vgpr3
	s_and_saveexec_b64 s[4:5], vcc
	s_xor_b64 s[4:5], exec, s[4:5]
; %bb.2022:
	v_bfe_u32 v3, v2, 4, 1
	s_mov_b32 s6, 0x407ffff
	v_add3_u32 v3, v4, v3, s6
	v_lshrrev_b32_e32 v4, 20, v3
	v_and_b32_e32 v3, 0xff00000, v3
	s_mov_b32 s6, 0x7f00000
	v_mov_b32_e32 v5, 0x7e
	v_cmp_ne_u32_e32 vcc, s6, v3
	s_nop 1
	v_cndmask_b32_e32 v3, v5, v4, vcc
                                        ; implicit-def: $vgpr4
; %bb.2023:
	s_andn2_saveexec_b64 s[4:5], s[4:5]
; %bb.2024:
	s_mov_b32 s6, 0x46800000
	v_add_f32_e64 v3, |v4|, s6
; %bb.2025:
	s_or_b64 exec, exec, s[4:5]
                                        ; implicit-def: $vgpr5
.LBB536_2026:
	s_andn2_saveexec_b64 s[2:3], s[2:3]
; %bb.2027:
	s_mov_b32 s4, 0x7f800000
	v_mov_b32_e32 v3, 0x7e
	v_mov_b32_e32 v4, 0x7f
	v_cmp_lt_u32_e32 vcc, s4, v5
	s_nop 1
	v_cndmask_b32_e32 v3, v3, v4, vcc
; %bb.2028:
	s_or_b64 exec, exec, s[2:3]
	v_lshrrev_b32_e32 v2, 8, v2
	s_movk_i32 s2, 0x80
	v_and_or_b32 v2, v2, s2, v3
	global_store_byte v[0:1], v2, off
.LBB536_2029:
	s_mov_b64 s[2:3], 0
.LBB536_2030:
	s_andn2_b64 vcc, exec, s[2:3]
	s_cbranch_vccnz .LBB536_2040
; %bb.2031:
	v_lshlrev_b32_e32 v4, 16, v8
	v_and_b32_e32 v5, 0x7fffffff, v4
	s_mov_b32 s2, 0x47800000
	v_and_b32_e32 v2, 0xffff, v8
	v_cmp_gt_u32_e32 vcc, s2, v5
                                        ; implicit-def: $vgpr3
	s_and_saveexec_b64 s[2:3], vcc
	s_xor_b64 s[2:3], exec, s[2:3]
	s_cbranch_execz .LBB536_2037
; %bb.2032:
	s_mov_b32 s4, 0x387fffff
	v_cmp_lt_u32_e32 vcc, s4, v5
                                        ; implicit-def: $vgpr3
	s_and_saveexec_b64 s[4:5], vcc
	s_xor_b64 s[4:5], exec, s[4:5]
; %bb.2033:
	v_bfe_u32 v3, v2, 5, 1
	s_mov_b32 s6, 0x80fffff
	v_add3_u32 v3, v4, v3, s6
	v_lshrrev_b32_e32 v3, 21, v3
                                        ; implicit-def: $vgpr4
; %bb.2034:
	s_andn2_saveexec_b64 s[4:5], s[4:5]
; %bb.2035:
	s_mov_b32 s6, 0x43000000
	v_add_f32_e64 v3, |v4|, s6
; %bb.2036:
	s_or_b64 exec, exec, s[4:5]
                                        ; implicit-def: $vgpr5
.LBB536_2037:
	s_andn2_saveexec_b64 s[2:3], s[2:3]
; %bb.2038:
	s_mov_b32 s4, 0x7f800000
	v_mov_b32_e32 v3, 0x7c
	v_mov_b32_e32 v4, 0x7f
	v_cmp_lt_u32_e32 vcc, s4, v5
	s_nop 1
	v_cndmask_b32_e32 v3, v3, v4, vcc
; %bb.2039:
	s_or_b64 exec, exec, s[2:3]
	v_lshrrev_b32_e32 v2, 8, v2
	s_movk_i32 s2, 0x80
	v_and_or_b32 v2, v2, s2, v3
	global_store_byte v[0:1], v2, off
.LBB536_2040:
	s_mov_b64 s[2:3], 0
.LBB536_2041:
	s_andn2_b64 vcc, exec, s[2:3]
	s_mov_b64 s[2:3], 0
	s_cbranch_vccnz .LBB536_2048
; %bb.2042:
	s_cmp_gt_i32 s10, 14
	s_mov_b64 s[4:5], -1
	s_cbranch_scc0 .LBB536_2046
; %bb.2043:
	s_cmp_eq_u32 s10, 15
	s_mov_b64 s[0:1], -1
	s_cbranch_scc0 .LBB536_2045
; %bb.2044:
	global_store_short v[0:1], v8, off
	s_mov_b64 s[0:1], 0
.LBB536_2045:
	s_mov_b64 s[4:5], 0
.LBB536_2046:
	s_and_b64 vcc, exec, s[4:5]
	s_cbranch_vccz .LBB536_2048
; %bb.2047:
	s_cmp_lg_u32 s10, 11
	s_mov_b64 s[2:3], -1
	s_cselect_b64 s[0:1], -1, 0
.LBB536_2048:
	s_and_b64 vcc, exec, s[0:1]
	s_cbranch_vccnz .LBB536_2070
.LBB536_2049:
	s_mov_b64 s[0:1], 0
	s_branch .LBB536_1651
.LBB536_2050:
	s_mov_b64 s[0:1], 0
                                        ; implicit-def: $sgpr20
                                        ; implicit-def: $vgpr0_vgpr1
	s_branch .LBB536_1650
.LBB536_2051:
	s_mov_b64 s[2:3], 0
	s_mov_b64 s[0:1], -1
	s_branch .LBB536_1651
.LBB536_2052:
	s_trap 2
	s_or_b64 s[16:17], s[16:17], exec
	s_cbranch_execz .LBB536_1515
	s_branch .LBB536_1516
.LBB536_2053:
	s_andn2_saveexec_b64 s[18:19], s[18:19]
	s_cbranch_execz .LBB536_1599
.LBB536_2054:
	s_mov_b32 s21, 0x46000000
	v_add_f32_e64 v4, |v9|, s21
	v_and_b32_e32 v4, 0xff, v4
	v_cmp_ne_u32_e32 vcc, 0, v4
	s_andn2_b64 s[10:11], s[10:11], exec
	s_and_b64 s[22:23], vcc, exec
	s_or_b64 s[10:11], s[10:11], s[22:23]
	s_or_b64 exec, exec, s[18:19]
	v_mov_b32_e32 v10, 0
	s_and_saveexec_b64 s[18:19], s[10:11]
	s_cbranch_execnz .LBB536_1600
	s_branch .LBB536_1601
.LBB536_2055:
	s_trap 2
	s_or_b64 s[16:17], s[16:17], exec
	s_cbranch_execz .LBB536_1647
	s_branch .LBB536_1648
.LBB536_2056:
	s_andn2_saveexec_b64 s[10:11], s[10:11]
	s_cbranch_execz .LBB536_1612
.LBB536_2057:
	s_mov_b32 s18, 0x42800000
	v_add_f32_e64 v4, |v9|, s18
	v_and_b32_e32 v4, 0xff, v4
	v_cmp_ne_u32_e32 vcc, 0, v4
	s_andn2_b64 s[6:7], s[6:7], exec
	s_and_b64 s[18:19], vcc, exec
	s_or_b64 s[6:7], s[6:7], s[18:19]
	s_or_b64 exec, exec, s[10:11]
	v_mov_b32_e32 v10, 0
	s_and_saveexec_b64 s[10:11], s[6:7]
	s_cbranch_execnz .LBB536_1613
	s_branch .LBB536_1614
.LBB536_2058:
	s_andn2_saveexec_b64 s[10:11], s[10:11]
	s_cbranch_execz .LBB536_1764
.LBB536_2059:
	s_mov_b32 s21, 0x46000000
	v_add_f32_e64 v4, |v5|, s21
	v_and_b32_e32 v4, 0xff, v4
	v_cmp_ne_u32_e32 vcc, 0, v4
	s_andn2_b64 s[8:9], s[8:9], exec
	s_and_b64 s[22:23], vcc, exec
	s_or_b64 s[8:9], s[8:9], s[22:23]
	s_or_b64 exec, exec, s[10:11]
	v_mov_b32_e32 v9, 0
	s_and_saveexec_b64 s[10:11], s[8:9]
	s_cbranch_execnz .LBB536_1765
	s_branch .LBB536_1766
.LBB536_2060:
	s_trap 2
	s_or_b64 s[16:17], s[16:17], exec
	s_cbranch_execz .LBB536_1812
	s_branch .LBB536_1813
.LBB536_2061:
	s_andn2_saveexec_b64 s[8:9], s[8:9]
	s_cbranch_execz .LBB536_1777
.LBB536_2062:
	s_mov_b32 s10, 0x42800000
	v_add_f32_e64 v4, |v5|, s10
	v_and_b32_e32 v4, 0xff, v4
	v_cmp_ne_u32_e32 vcc, 0, v4
	s_andn2_b64 s[6:7], s[6:7], exec
	s_and_b64 s[10:11], vcc, exec
	s_or_b64 s[6:7], s[6:7], s[10:11]
	s_or_b64 exec, exec, s[8:9]
	v_mov_b32_e32 v9, 0
	s_and_saveexec_b64 s[8:9], s[6:7]
	s_cbranch_execnz .LBB536_1778
	s_branch .LBB536_1779
.LBB536_2063:
	s_andn2_saveexec_b64 s[10:11], s[10:11]
	s_cbranch_execz .LBB536_1883
.LBB536_2064:
	s_mov_b32 s21, 0x46000000
	v_add_f32_e64 v4, |v5|, s21
	v_and_b32_e32 v4, 0xff, v4
	v_cmp_ne_u32_e32 vcc, 0, v4
	s_andn2_b64 s[8:9], s[8:9], exec
	s_and_b64 s[22:23], vcc, exec
	s_or_b64 s[8:9], s[8:9], s[22:23]
	s_or_b64 exec, exec, s[10:11]
	v_mov_b32_e32 v6, 0
	s_and_saveexec_b64 s[10:11], s[8:9]
	s_cbranch_execnz .LBB536_1884
	s_branch .LBB536_1885
.LBB536_2065:
	s_trap 2
	s_or_b64 s[16:17], s[16:17], exec
	s_cbranch_execz .LBB536_1931
	s_branch .LBB536_1932
.LBB536_2066:
	s_andn2_saveexec_b64 s[8:9], s[8:9]
	s_cbranch_execz .LBB536_1896
.LBB536_2067:
	s_mov_b32 s10, 0x42800000
	v_add_f32_e64 v4, |v5|, s10
	v_and_b32_e32 v4, 0xff, v4
	v_cmp_ne_u32_e32 vcc, 0, v4
	s_andn2_b64 s[6:7], s[6:7], exec
	s_and_b64 s[10:11], vcc, exec
	s_or_b64 s[6:7], s[6:7], s[10:11]
	s_or_b64 exec, exec, s[8:9]
	v_mov_b32_e32 v6, 0
	s_and_saveexec_b64 s[8:9], s[6:7]
	s_cbranch_execnz .LBB536_1897
	s_branch .LBB536_1898
.LBB536_2068:
	s_andn2_saveexec_b64 s[8:9], s[8:9]
	s_cbranch_execz .LBB536_2003
.LBB536_2069:
	s_mov_b32 s11, 0x46000000
	v_add_f32_e64 v3, |v4|, s11
	v_and_b32_e32 v3, 0xff, v3
	v_cmp_ne_u32_e32 vcc, 0, v3
	s_andn2_b64 s[6:7], s[6:7], exec
	s_and_b64 s[18:19], vcc, exec
	s_or_b64 s[6:7], s[6:7], s[18:19]
	s_or_b64 exec, exec, s[8:9]
	v_mov_b32_e32 v5, 0
	s_and_saveexec_b64 s[8:9], s[6:7]
	s_cbranch_execnz .LBB536_2004
	s_branch .LBB536_2005
.LBB536_2070:
	s_mov_b64 s[2:3], 0
	s_or_b64 s[16:17], s[16:17], exec
	s_trap 2
	s_branch .LBB536_2049
.LBB536_2071:
	s_andn2_saveexec_b64 s[6:7], s[6:7]
	s_cbranch_execz .LBB536_2015
.LBB536_2072:
	s_mov_b32 s8, 0x42800000
	v_add_f32_e64 v3, |v4|, s8
	v_and_b32_e32 v3, 0xff, v3
	v_cmp_ne_u32_e32 vcc, 0, v3
	s_andn2_b64 s[4:5], s[4:5], exec
	s_and_b64 s[8:9], vcc, exec
	s_or_b64 s[4:5], s[4:5], s[8:9]
	s_or_b64 exec, exec, s[6:7]
	v_mov_b32_e32 v5, 0
	s_and_saveexec_b64 s[6:7], s[4:5]
	s_cbranch_execnz .LBB536_2016
	s_branch .LBB536_2017
	.section	.rodata,"a",@progbits
	.p2align	6, 0x0
	.amdhsa_kernel _ZN2at6native32elementwise_kernel_manual_unrollILi128ELi4EZNS0_15gpu_kernel_implIZZZNS0_22nan_to_num_kernel_cudaERNS_18TensorIteratorBaseESt8optionalIdES6_S6_ENKUlvE0_clEvENKUlvE2_clEvEUlN3c108BFloat16EE_EEvS4_RKT_EUlibE_EEviT1_
		.amdhsa_group_segment_fixed_size 0
		.amdhsa_private_segment_fixed_size 0
		.amdhsa_kernarg_size 40
		.amdhsa_user_sgpr_count 2
		.amdhsa_user_sgpr_dispatch_ptr 0
		.amdhsa_user_sgpr_queue_ptr 0
		.amdhsa_user_sgpr_kernarg_segment_ptr 1
		.amdhsa_user_sgpr_dispatch_id 0
		.amdhsa_user_sgpr_kernarg_preload_length 0
		.amdhsa_user_sgpr_kernarg_preload_offset 0
		.amdhsa_user_sgpr_private_segment_size 0
		.amdhsa_uses_dynamic_stack 0
		.amdhsa_enable_private_segment 0
		.amdhsa_system_sgpr_workgroup_id_x 1
		.amdhsa_system_sgpr_workgroup_id_y 0
		.amdhsa_system_sgpr_workgroup_id_z 0
		.amdhsa_system_sgpr_workgroup_info 0
		.amdhsa_system_vgpr_workitem_id 0
		.amdhsa_next_free_vgpr 14
		.amdhsa_next_free_sgpr 47
		.amdhsa_accum_offset 16
		.amdhsa_reserve_vcc 1
		.amdhsa_float_round_mode_32 0
		.amdhsa_float_round_mode_16_64 0
		.amdhsa_float_denorm_mode_32 3
		.amdhsa_float_denorm_mode_16_64 3
		.amdhsa_dx10_clamp 1
		.amdhsa_ieee_mode 1
		.amdhsa_fp16_overflow 0
		.amdhsa_tg_split 0
		.amdhsa_exception_fp_ieee_invalid_op 0
		.amdhsa_exception_fp_denorm_src 0
		.amdhsa_exception_fp_ieee_div_zero 0
		.amdhsa_exception_fp_ieee_overflow 0
		.amdhsa_exception_fp_ieee_underflow 0
		.amdhsa_exception_fp_ieee_inexact 0
		.amdhsa_exception_int_div_zero 0
	.end_amdhsa_kernel
	.section	.text._ZN2at6native32elementwise_kernel_manual_unrollILi128ELi4EZNS0_15gpu_kernel_implIZZZNS0_22nan_to_num_kernel_cudaERNS_18TensorIteratorBaseESt8optionalIdES6_S6_ENKUlvE0_clEvENKUlvE2_clEvEUlN3c108BFloat16EE_EEvS4_RKT_EUlibE_EEviT1_,"axG",@progbits,_ZN2at6native32elementwise_kernel_manual_unrollILi128ELi4EZNS0_15gpu_kernel_implIZZZNS0_22nan_to_num_kernel_cudaERNS_18TensorIteratorBaseESt8optionalIdES6_S6_ENKUlvE0_clEvENKUlvE2_clEvEUlN3c108BFloat16EE_EEvS4_RKT_EUlibE_EEviT1_,comdat
.Lfunc_end536:
	.size	_ZN2at6native32elementwise_kernel_manual_unrollILi128ELi4EZNS0_15gpu_kernel_implIZZZNS0_22nan_to_num_kernel_cudaERNS_18TensorIteratorBaseESt8optionalIdES6_S6_ENKUlvE0_clEvENKUlvE2_clEvEUlN3c108BFloat16EE_EEvS4_RKT_EUlibE_EEviT1_, .Lfunc_end536-_ZN2at6native32elementwise_kernel_manual_unrollILi128ELi4EZNS0_15gpu_kernel_implIZZZNS0_22nan_to_num_kernel_cudaERNS_18TensorIteratorBaseESt8optionalIdES6_S6_ENKUlvE0_clEvENKUlvE2_clEvEUlN3c108BFloat16EE_EEvS4_RKT_EUlibE_EEviT1_
                                        ; -- End function
	.set _ZN2at6native32elementwise_kernel_manual_unrollILi128ELi4EZNS0_15gpu_kernel_implIZZZNS0_22nan_to_num_kernel_cudaERNS_18TensorIteratorBaseESt8optionalIdES6_S6_ENKUlvE0_clEvENKUlvE2_clEvEUlN3c108BFloat16EE_EEvS4_RKT_EUlibE_EEviT1_.num_vgpr, 14
	.set _ZN2at6native32elementwise_kernel_manual_unrollILi128ELi4EZNS0_15gpu_kernel_implIZZZNS0_22nan_to_num_kernel_cudaERNS_18TensorIteratorBaseESt8optionalIdES6_S6_ENKUlvE0_clEvENKUlvE2_clEvEUlN3c108BFloat16EE_EEvS4_RKT_EUlibE_EEviT1_.num_agpr, 0
	.set _ZN2at6native32elementwise_kernel_manual_unrollILi128ELi4EZNS0_15gpu_kernel_implIZZZNS0_22nan_to_num_kernel_cudaERNS_18TensorIteratorBaseESt8optionalIdES6_S6_ENKUlvE0_clEvENKUlvE2_clEvEUlN3c108BFloat16EE_EEvS4_RKT_EUlibE_EEviT1_.numbered_sgpr, 47
	.set _ZN2at6native32elementwise_kernel_manual_unrollILi128ELi4EZNS0_15gpu_kernel_implIZZZNS0_22nan_to_num_kernel_cudaERNS_18TensorIteratorBaseESt8optionalIdES6_S6_ENKUlvE0_clEvENKUlvE2_clEvEUlN3c108BFloat16EE_EEvS4_RKT_EUlibE_EEviT1_.num_named_barrier, 0
	.set _ZN2at6native32elementwise_kernel_manual_unrollILi128ELi4EZNS0_15gpu_kernel_implIZZZNS0_22nan_to_num_kernel_cudaERNS_18TensorIteratorBaseESt8optionalIdES6_S6_ENKUlvE0_clEvENKUlvE2_clEvEUlN3c108BFloat16EE_EEvS4_RKT_EUlibE_EEviT1_.private_seg_size, 0
	.set _ZN2at6native32elementwise_kernel_manual_unrollILi128ELi4EZNS0_15gpu_kernel_implIZZZNS0_22nan_to_num_kernel_cudaERNS_18TensorIteratorBaseESt8optionalIdES6_S6_ENKUlvE0_clEvENKUlvE2_clEvEUlN3c108BFloat16EE_EEvS4_RKT_EUlibE_EEviT1_.uses_vcc, 1
	.set _ZN2at6native32elementwise_kernel_manual_unrollILi128ELi4EZNS0_15gpu_kernel_implIZZZNS0_22nan_to_num_kernel_cudaERNS_18TensorIteratorBaseESt8optionalIdES6_S6_ENKUlvE0_clEvENKUlvE2_clEvEUlN3c108BFloat16EE_EEvS4_RKT_EUlibE_EEviT1_.uses_flat_scratch, 0
	.set _ZN2at6native32elementwise_kernel_manual_unrollILi128ELi4EZNS0_15gpu_kernel_implIZZZNS0_22nan_to_num_kernel_cudaERNS_18TensorIteratorBaseESt8optionalIdES6_S6_ENKUlvE0_clEvENKUlvE2_clEvEUlN3c108BFloat16EE_EEvS4_RKT_EUlibE_EEviT1_.has_dyn_sized_stack, 0
	.set _ZN2at6native32elementwise_kernel_manual_unrollILi128ELi4EZNS0_15gpu_kernel_implIZZZNS0_22nan_to_num_kernel_cudaERNS_18TensorIteratorBaseESt8optionalIdES6_S6_ENKUlvE0_clEvENKUlvE2_clEvEUlN3c108BFloat16EE_EEvS4_RKT_EUlibE_EEviT1_.has_recursion, 0
	.set _ZN2at6native32elementwise_kernel_manual_unrollILi128ELi4EZNS0_15gpu_kernel_implIZZZNS0_22nan_to_num_kernel_cudaERNS_18TensorIteratorBaseESt8optionalIdES6_S6_ENKUlvE0_clEvENKUlvE2_clEvEUlN3c108BFloat16EE_EEvS4_RKT_EUlibE_EEviT1_.has_indirect_call, 0
	.section	.AMDGPU.csdata,"",@progbits
; Kernel info:
; codeLenInByte = 38680
; TotalNumSgprs: 53
; NumVgprs: 14
; NumAgprs: 0
; TotalNumVgprs: 14
; ScratchSize: 0
; MemoryBound: 0
; FloatMode: 240
; IeeeMode: 1
; LDSByteSize: 0 bytes/workgroup (compile time only)
; SGPRBlocks: 6
; VGPRBlocks: 1
; NumSGPRsForWavesPerEU: 53
; NumVGPRsForWavesPerEU: 14
; AccumOffset: 16
; Occupancy: 8
; WaveLimiterHint : 0
; COMPUTE_PGM_RSRC2:SCRATCH_EN: 0
; COMPUTE_PGM_RSRC2:USER_SGPR: 2
; COMPUTE_PGM_RSRC2:TRAP_HANDLER: 0
; COMPUTE_PGM_RSRC2:TGID_X_EN: 1
; COMPUTE_PGM_RSRC2:TGID_Y_EN: 0
; COMPUTE_PGM_RSRC2:TGID_Z_EN: 0
; COMPUTE_PGM_RSRC2:TIDIG_COMP_CNT: 0
; COMPUTE_PGM_RSRC3_GFX90A:ACCUM_OFFSET: 3
; COMPUTE_PGM_RSRC3_GFX90A:TG_SPLIT: 0
	.section	.text._ZN2at6native32elementwise_kernel_manual_unrollILi128ELi4EZNS0_15gpu_kernel_implIZZZNS0_22nan_to_num_kernel_cudaERNS_18TensorIteratorBaseESt8optionalIdES6_S6_ENKUlvE0_clEvENKUlvE2_clEvEUlN3c108BFloat16EE_EEvS4_RKT_EUlibE0_EEviT1_,"axG",@progbits,_ZN2at6native32elementwise_kernel_manual_unrollILi128ELi4EZNS0_15gpu_kernel_implIZZZNS0_22nan_to_num_kernel_cudaERNS_18TensorIteratorBaseESt8optionalIdES6_S6_ENKUlvE0_clEvENKUlvE2_clEvEUlN3c108BFloat16EE_EEvS4_RKT_EUlibE0_EEviT1_,comdat
	.globl	_ZN2at6native32elementwise_kernel_manual_unrollILi128ELi4EZNS0_15gpu_kernel_implIZZZNS0_22nan_to_num_kernel_cudaERNS_18TensorIteratorBaseESt8optionalIdES6_S6_ENKUlvE0_clEvENKUlvE2_clEvEUlN3c108BFloat16EE_EEvS4_RKT_EUlibE0_EEviT1_ ; -- Begin function _ZN2at6native32elementwise_kernel_manual_unrollILi128ELi4EZNS0_15gpu_kernel_implIZZZNS0_22nan_to_num_kernel_cudaERNS_18TensorIteratorBaseESt8optionalIdES6_S6_ENKUlvE0_clEvENKUlvE2_clEvEUlN3c108BFloat16EE_EEvS4_RKT_EUlibE0_EEviT1_
	.p2align	8
	.type	_ZN2at6native32elementwise_kernel_manual_unrollILi128ELi4EZNS0_15gpu_kernel_implIZZZNS0_22nan_to_num_kernel_cudaERNS_18TensorIteratorBaseESt8optionalIdES6_S6_ENKUlvE0_clEvENKUlvE2_clEvEUlN3c108BFloat16EE_EEvS4_RKT_EUlibE0_EEviT1_,@function
_ZN2at6native32elementwise_kernel_manual_unrollILi128ELi4EZNS0_15gpu_kernel_implIZZZNS0_22nan_to_num_kernel_cudaERNS_18TensorIteratorBaseESt8optionalIdES6_S6_ENKUlvE0_clEvENKUlvE2_clEvEUlN3c108BFloat16EE_EEvS4_RKT_EUlibE0_EEviT1_: ; @_ZN2at6native32elementwise_kernel_manual_unrollILi128ELi4EZNS0_15gpu_kernel_implIZZZNS0_22nan_to_num_kernel_cudaERNS_18TensorIteratorBaseESt8optionalIdES6_S6_ENKUlvE0_clEvENKUlvE2_clEvEUlN3c108BFloat16EE_EEvS4_RKT_EUlibE0_EEviT1_
; %bb.0:
	s_load_dword s72, s[0:1], 0x0
	s_load_dword s33, s[0:1], 0x8
	s_add_u32 s34, s0, 8
	s_addc_u32 s35, s1, 0
	v_lshl_or_b32 v8, s2, 9, v0
	v_or_b32_e32 v16, 0x180, v8
	s_waitcnt lgkmcnt(0)
	s_add_i32 s74, s33, -1
	s_cmp_gt_u32 s74, 1
	v_cmp_le_i32_e32 vcc, s72, v16
	s_cselect_b64 s[42:43], -1, 0
	s_mov_b64 s[40:41], 0
	s_mov_b64 s[24:25], 0
	s_and_saveexec_b64 s[2:3], vcc
	s_xor_b64 s[44:45], exec, s[2:3]
	s_cbranch_execz .LBB537_1106
; %bb.1:
	s_load_dword s2, s[0:1], 0x164
	s_cmp_lg_u32 s33, 0
	s_load_dwordx4 s[24:27], s[34:35], 0x4
	s_load_dwordx2 s[48:49], s[34:35], 0x14
	s_cselect_b64 s[54:55], -1, 0
	s_add_u32 s52, s34, 0xc4
	s_load_dwordx2 s[46:47], s[34:35], 0x158
	s_load_dwordx4 s[28:31], s[34:35], 0xc4
	s_load_dwordx4 s[20:23], s[34:35], 0x148
	s_addc_u32 s53, s35, 0
	s_min_u32 s78, s74, 15
	s_cmp_gt_u32 s33, 1
	s_cselect_b64 s[50:51], -1, 0
	s_waitcnt lgkmcnt(0)
	s_lshr_b32 s75, s2, 16
	s_lshr_b32 s77, s2, 24
	;; [unrolled: 1-line block ×3, first 2 shown]
	v_cmp_gt_i32_e32 vcc, s72, v8
	s_mov_b64 s[4:5], -1
	s_mov_b64 s[64:65], 0
	s_mov_b64 s[58:59], 0
	;; [unrolled: 1-line block ×3, first 2 shown]
	s_and_saveexec_b64 s[60:61], vcc
	s_cbranch_execz .LBB537_271
; %bb.2:
	s_andn2_b64 vcc, exec, s[42:43]
	s_cbranch_vccnz .LBB537_8
; %bb.3:
	s_andn2_b64 vcc, exec, s[54:55]
	s_cbranch_vccnz .LBB537_9
; %bb.4:
	s_add_i32 s59, s78, 1
	s_cmp_eq_u32 s74, 2
	s_cbranch_scc1 .LBB537_10
; %bb.5:
	s_and_b32 s58, s59, 28
	s_mov_b32 s62, 0
	v_mov_b32_e32 v0, 0
	v_mov_b32_e32 v2, 0
	s_mov_b64 s[2:3], s[34:35]
	s_mov_b64 s[56:57], s[52:53]
	v_mov_b32_e32 v4, v8
.LBB537_6:                              ; =>This Inner Loop Header: Depth=1
	s_load_dwordx8 s[12:19], s[2:3], 0x4
	s_load_dwordx4 s[36:39], s[2:3], 0x24
	s_load_dwordx8 s[4:11], s[56:57], 0x0
	s_add_u32 s2, s2, 48
	s_addc_u32 s3, s3, 0
	s_waitcnt lgkmcnt(0)
	v_mul_hi_u32 v1, s13, v4
	v_add_u32_e32 v1, v4, v1
	v_lshrrev_b32_e32 v1, s14, v1
	v_mul_lo_u32 v3, v1, s12
	v_mul_hi_u32 v5, s16, v1
	v_sub_u32_e32 v3, v4, v3
	v_add_u32_e32 v4, v1, v5
	v_lshrrev_b32_e32 v4, s17, v4
	v_mul_lo_u32 v6, v4, s15
	v_mul_hi_u32 v7, s19, v4
	v_sub_u32_e32 v1, v1, v6
	v_add_u32_e32 v6, v4, v7
	v_mul_lo_u32 v5, v3, s5
	v_mul_lo_u32 v3, v3, s4
	;; [unrolled: 1-line block ×4, first 2 shown]
	v_lshrrev_b32_e32 v6, s36, v6
	v_add3_u32 v0, v3, v0, v1
	v_mul_hi_u32 v3, s38, v6
	v_add3_u32 v1, v5, v2, v7
	v_mul_lo_u32 v2, v6, s18
	v_add_u32_e32 v3, v6, v3
	v_sub_u32_e32 v2, v4, v2
	v_lshrrev_b32_e32 v4, s39, v3
	s_add_i32 s62, s62, 4
	v_mul_lo_u32 v3, v4, s37
	s_add_u32 s56, s56, 32
	v_sub_u32_e32 v3, v6, v3
	s_addc_u32 s57, s57, 0
	v_mul_lo_u32 v5, v2, s8
	v_mul_lo_u32 v2, v2, s9
	;; [unrolled: 1-line block ×4, first 2 shown]
	s_cmp_lg_u32 s58, s62
	v_add3_u32 v2, v2, v1, v3
	v_add3_u32 v0, v5, v0, v6
	s_cbranch_scc1 .LBB537_6
; %bb.7:
	v_mov_b32_e32 v1, v2
	s_branch .LBB537_11
.LBB537_8:
                                        ; implicit-def: $vgpr2
                                        ; implicit-def: $vgpr0
	s_branch .LBB537_15
.LBB537_9:
	v_mov_b32_e32 v2, 0
	v_mov_b32_e32 v0, 0
	s_branch .LBB537_14
.LBB537_10:
	v_mov_b32_e32 v0, 0
	s_mov_b32 s58, 0
	v_mov_b32_e32 v1, v0
                                        ; implicit-def: $vgpr2
	v_mov_b32_e32 v4, v8
.LBB537_11:
	s_and_b32 s6, s59, 3
	s_cmp_eq_u32 s6, 0
	s_cbranch_scc1 .LBB537_14
; %bb.12:
	s_lshl_b32 s2, s58, 3
	s_add_u32 s2, s34, s2
	s_addc_u32 s3, s35, 0
	s_add_u32 s2, s2, 0xc4
	s_addc_u32 s3, s3, 0
	s_mul_i32 s4, s58, 12
	s_add_u32 s4, s34, s4
	s_addc_u32 s5, s35, 0
.LBB537_13:                             ; =>This Inner Loop Header: Depth=1
	s_load_dwordx2 s[8:9], s[4:5], 0x4
	s_load_dword s7, s[4:5], 0xc
	s_load_dwordx2 s[10:11], s[2:3], 0x0
	v_mov_b32_e32 v2, v1
	s_add_u32 s4, s4, 12
	s_waitcnt lgkmcnt(0)
	v_mul_hi_u32 v1, s9, v4
	v_add_u32_e32 v1, v4, v1
	v_lshrrev_b32_e32 v1, s7, v1
	s_addc_u32 s5, s5, 0
	v_mul_lo_u32 v3, v1, s8
	s_add_u32 s2, s2, 8
	v_sub_u32_e32 v5, v4, v3
	s_addc_u32 s3, s3, 0
	s_add_i32 s6, s6, -1
	v_mov_b32_e32 v4, v1
	v_mad_u64_u32 v[2:3], s[8:9], v5, s11, v[2:3]
	v_mad_u64_u32 v[0:1], s[8:9], v5, s10, v[0:1]
	s_cmp_lg_u32 s6, 0
	v_mov_b32_e32 v1, v2
	s_cbranch_scc1 .LBB537_13
.LBB537_14:
	s_cbranch_execnz .LBB537_17
.LBB537_15:
	v_mul_hi_u32 v0, s25, v8
	v_add_u32_e32 v0, v8, v0
	v_lshrrev_b32_e32 v1, s26, v0
	v_mul_lo_u32 v0, v1, s24
	v_sub_u32_e32 v0, v8, v0
	v_mul_lo_u32 v2, v0, s29
	s_andn2_b64 vcc, exec, s[50:51]
	v_mul_lo_u32 v0, v0, s28
	s_cbranch_vccnz .LBB537_17
; %bb.16:
	v_mul_hi_u32 v3, s48, v1
	v_add_u32_e32 v3, v1, v3
	v_lshrrev_b32_e32 v3, s49, v3
	v_mul_lo_u32 v3, v3, s27
	v_sub_u32_e32 v3, v1, v3
	v_mad_u64_u32 v[0:1], s[2:3], v3, s30, v[0:1]
	v_mad_u64_u32 v[2:3], s[2:3], v3, s31, v[2:3]
.LBB537_17:
	v_mov_b32_e32 v3, 0
	s_and_b32 s10, 0xffff, s77
	s_cmp_lt_i32 s10, 11
	v_lshl_add_u64 v[2:3], s[22:23], 0, v[2:3]
	s_cbranch_scc1 .LBB537_24
; %bb.18:
	s_cmp_gt_i32 s10, 25
	s_cbranch_scc0 .LBB537_37
; %bb.19:
	s_cmp_gt_i32 s10, 28
	s_cbranch_scc0 .LBB537_40
	;; [unrolled: 3-line block ×4, first 2 shown]
; %bb.22:
	s_cmp_eq_u32 s10, 46
	s_mov_b64 s[6:7], 0
	s_cbranch_scc0 .LBB537_46
; %bb.23:
	global_load_dword v1, v[2:3], off
	s_mov_b64 s[2:3], -1
	s_mov_b64 s[4:5], 0
	s_branch .LBB537_48
.LBB537_24:
	s_mov_b64 s[4:5], 0
                                        ; implicit-def: $vgpr1
	s_mov_b64 s[2:3], 0
	s_cbranch_execnz .LBB537_221
.LBB537_25:
	s_andn2_b64 vcc, exec, s[2:3]
	s_cbranch_vccnz .LBB537_268
.LBB537_26:
	s_waitcnt vmcnt(0)
	v_lshlrev_b32_e32 v3, 16, v1
	v_cmp_o_f32_e32 vcc, v3, v3
	v_mov_b32_e32 v2, s46
	s_and_saveexec_b64 s[2:3], vcc
	s_cbranch_execz .LBB537_30
; %bb.27:
	s_mov_b32 s6, 0x7f800000
	v_cmp_neq_f32_e32 vcc, s6, v3
	v_mov_b32_e32 v2, s76
	s_and_saveexec_b64 s[6:7], vcc
; %bb.28:
	s_mov_b32 s8, 0xff800000
	v_mov_b32_e32 v2, s47
	v_cmp_eq_f32_e32 vcc, s8, v3
	s_nop 1
	v_cndmask_b32_e32 v2, v1, v2, vcc
; %bb.29:
	s_or_b64 exec, exec, s[6:7]
.LBB537_30:
	s_or_b64 exec, exec, s[2:3]
	v_mov_b32_e32 v1, 0
	s_and_b32 s12, s75, 0xff
	s_cmp_lt_i32 s12, 11
	v_lshl_add_u64 v[0:1], s[20:21], 0, v[0:1]
	s_cbranch_scc1 .LBB537_38
; %bb.31:
	s_and_b32 s13, 0xffff, s12
	s_cmp_gt_i32 s13, 25
	s_cbranch_scc0 .LBB537_41
; %bb.32:
	s_cmp_gt_i32 s13, 28
	s_cbranch_scc0 .LBB537_43
; %bb.33:
	;; [unrolled: 3-line block ×4, first 2 shown]
	s_mov_b64 s[8:9], 0
	s_mov_b64 s[2:3], -1
	s_cmp_eq_u32 s13, 46
	s_mov_b64 s[6:7], 0
	s_cbranch_scc0 .LBB537_52
; %bb.36:
	v_and_b32_e32 v3, 0xffff, v2
	global_store_dword v[0:1], v3, off
	s_mov_b64 s[6:7], -1
	s_mov_b64 s[2:3], 0
	s_branch .LBB537_52
.LBB537_37:
	s_mov_b64 s[4:5], 0
	s_mov_b64 s[2:3], 0
                                        ; implicit-def: $vgpr1
	s_cbranch_execnz .LBB537_186
	s_branch .LBB537_220
.LBB537_38:
	s_mov_b64 s[2:3], 0
	s_mov_b64 s[6:7], 0
	s_cbranch_execnz .LBB537_121
.LBB537_39:
	s_andn2_b64 vcc, exec, s[6:7]
	s_cbranch_vccnz .LBB537_269
	s_branch .LBB537_159
.LBB537_40:
	s_mov_b64 s[6:7], -1
	s_mov_b64 s[4:5], 0
	s_mov_b64 s[2:3], 0
                                        ; implicit-def: $vgpr1
	s_branch .LBB537_167
.LBB537_41:
	s_mov_b64 s[8:9], -1
	s_mov_b64 s[2:3], 0
	s_mov_b64 s[6:7], 0
	s_branch .LBB537_79
.LBB537_42:
	s_mov_b64 s[6:7], -1
	s_mov_b64 s[4:5], 0
	s_mov_b64 s[2:3], 0
                                        ; implicit-def: $vgpr1
	s_branch .LBB537_162
.LBB537_43:
	s_mov_b64 s[8:9], -1
	s_mov_b64 s[2:3], 0
	s_mov_b64 s[6:7], 0
	s_branch .LBB537_62
.LBB537_44:
	s_mov_b64 s[6:7], -1
	s_mov_b64 s[4:5], 0
	s_branch .LBB537_47
.LBB537_45:
	s_mov_b64 s[8:9], -1
	s_mov_b64 s[2:3], 0
	s_mov_b64 s[6:7], 0
	s_branch .LBB537_58
.LBB537_46:
	s_mov_b64 s[4:5], -1
.LBB537_47:
	s_mov_b64 s[2:3], 0
                                        ; implicit-def: $vgpr1
.LBB537_48:
	s_and_b64 vcc, exec, s[6:7]
	s_cbranch_vccz .LBB537_161
; %bb.49:
	s_cmp_eq_u32 s10, 44
	s_cbranch_scc0 .LBB537_160
; %bb.50:
	global_load_ubyte v1, v[2:3], off
	s_movk_i32 s4, 0xff
	v_mov_b32_e32 v4, 0x7f800001
	v_mov_b32_e32 v5, 0x400000
	;; [unrolled: 1-line block ×3, first 2 shown]
	s_mov_b64 s[2:3], -1
	s_waitcnt vmcnt(0)
	v_lshlrev_b32_e32 v7, 23, v1
	v_cmp_ne_u32_e32 vcc, s4, v1
	s_mov_b64 s[4:5], 0
	s_nop 0
	v_cndmask_b32_e32 v4, v4, v7, vcc
	v_cmp_ne_u32_e32 vcc, 0, v1
	s_nop 1
	v_cndmask_b32_e32 v1, v5, v4, vcc
	v_add_u32_e32 v4, 0x7fff, v1
	v_cmp_o_f32_e32 vcc, v1, v1
	s_nop 1
	v_cndmask_b32_sdwa v1, v6, v4, vcc dst_sel:DWORD dst_unused:UNUSED_PAD src0_sel:DWORD src1_sel:WORD_1
	s_branch .LBB537_161
.LBB537_51:
	s_mov_b64 s[8:9], -1
	s_mov_b64 s[2:3], 0
	s_mov_b64 s[6:7], 0
.LBB537_52:
	s_and_b64 vcc, exec, s[8:9]
	s_cbranch_vccz .LBB537_57
; %bb.53:
	s_cmp_eq_u32 s13, 44
	s_mov_b64 s[2:3], -1
	s_cbranch_scc0 .LBB537_57
; %bb.54:
	v_and_b32_e32 v4, 0xffff, v2
	v_bfe_u32 v3, v4, 7, 8
	s_movk_i32 s2, 0xff
	v_cmp_ne_u32_e32 vcc, s2, v3
	v_mov_b32_e32 v5, 0xff
	s_and_saveexec_b64 s[6:7], vcc
	s_cbranch_execz .LBB537_56
; %bb.55:
	v_lshlrev_b32_e32 v6, 16, v4
	s_mov_b32 s2, 0x3f0000
	v_lshrrev_b32_e32 v5, 7, v4
	v_and_b32_e32 v4, 64, v4
	v_and_or_b32 v3, v6, s2, v3
	v_cmp_ne_u32_e32 vcc, 0, v4
	v_cmp_ne_u32_e64 s[2:3], 0, v3
	s_and_b64 s[2:3], vcc, s[2:3]
	s_nop 0
	v_cndmask_b32_e64 v3, 0, 1, s[2:3]
	v_add_u32_e32 v5, v5, v3
.LBB537_56:
	s_or_b64 exec, exec, s[6:7]
	s_mov_b64 s[6:7], -1
	s_mov_b64 s[2:3], 0
	global_store_byte v[0:1], v5, off
.LBB537_57:
	s_mov_b64 s[8:9], 0
.LBB537_58:
	s_and_b64 vcc, exec, s[8:9]
	s_cbranch_vccz .LBB537_61
; %bb.59:
	s_cmp_eq_u32 s13, 29
	s_mov_b64 s[2:3], -1
	s_cbranch_scc0 .LBB537_61
; %bb.60:
	v_lshlrev_b32_e32 v3, 16, v2
	v_trunc_f32_e32 v3, v3
	v_mul_f32_e32 v4, 0x2f800000, v3
	v_floor_f32_e32 v4, v4
	v_fmamk_f32 v3, v4, 0xcf800000, v3
	v_cvt_u32_f32_e32 v5, v4
	v_cvt_u32_f32_e32 v4, v3
	s_mov_b64 s[6:7], -1
	s_mov_b64 s[2:3], 0
	s_mov_b64 s[8:9], 0
	global_store_dwordx2 v[0:1], v[4:5], off
	s_branch .LBB537_62
.LBB537_61:
	s_mov_b64 s[8:9], 0
.LBB537_62:
	s_and_b64 vcc, exec, s[8:9]
	s_cbranch_vccz .LBB537_78
; %bb.63:
	s_cmp_lt_i32 s13, 27
	s_mov_b64 s[6:7], -1
	s_cbranch_scc1 .LBB537_69
; %bb.64:
	s_cmp_gt_i32 s13, 27
	s_cbranch_scc0 .LBB537_66
; %bb.65:
	v_lshlrev_b32_e32 v3, 16, v2
	v_cvt_u32_f32_e32 v3, v3
	s_mov_b64 s[6:7], 0
	global_store_dword v[0:1], v3, off
.LBB537_66:
	s_andn2_b64 vcc, exec, s[6:7]
	s_cbranch_vccnz .LBB537_68
; %bb.67:
	v_lshlrev_b32_e32 v3, 16, v2
	v_cvt_u32_f32_e32 v3, v3
	global_store_short v[0:1], v3, off
.LBB537_68:
	s_mov_b64 s[6:7], 0
.LBB537_69:
	s_andn2_b64 vcc, exec, s[6:7]
	s_cbranch_vccnz .LBB537_77
; %bb.70:
	v_lshlrev_b32_e32 v5, 16, v2
	v_and_b32_e32 v4, 0x7fffffff, v5
	s_mov_b32 s6, 0x43800000
	v_cmp_gt_u32_e32 vcc, s6, v4
	v_mov_b32_e32 v6, 0x80
	s_and_saveexec_b64 s[6:7], vcc
	s_cbranch_execz .LBB537_76
; %bb.71:
	s_mov_b32 s8, 0x3bffffff
	v_and_b32_e32 v3, 0xffff, v2
	v_cmp_lt_u32_e32 vcc, s8, v4
	s_mov_b64 s[8:9], 0
                                        ; implicit-def: $vgpr4
	s_and_saveexec_b64 s[10:11], vcc
	s_xor_b64 s[10:11], exec, s[10:11]
	s_cbranch_execz .LBB537_317
; %bb.72:
	v_bfe_u32 v4, v3, 4, 1
	s_mov_b32 s14, 0x487ffff
	v_add3_u32 v4, v5, v4, s14
	s_mov_b64 s[8:9], exec
	v_lshrrev_b32_e32 v4, 20, v4
                                        ; implicit-def: $vgpr5
	s_andn2_saveexec_b64 s[10:11], s[10:11]
	s_cbranch_execnz .LBB537_318
.LBB537_73:
	s_or_b64 exec, exec, s[10:11]
	v_mov_b32_e32 v6, 0
	s_and_saveexec_b64 s[10:11], s[8:9]
.LBB537_74:
	v_lshrrev_b32_e32 v3, 8, v3
	s_movk_i32 s8, 0x80
	v_and_or_b32 v6, v3, s8, v4
.LBB537_75:
	s_or_b64 exec, exec, s[10:11]
.LBB537_76:
	s_or_b64 exec, exec, s[6:7]
	global_store_byte v[0:1], v6, off
.LBB537_77:
	s_mov_b64 s[6:7], -1
.LBB537_78:
	s_mov_b64 s[8:9], 0
.LBB537_79:
	s_and_b64 vcc, exec, s[8:9]
	s_cbranch_vccz .LBB537_120
; %bb.80:
	s_cmp_gt_i32 s13, 22
	s_mov_b64 s[8:9], -1
	s_cbranch_scc0 .LBB537_112
; %bb.81:
	s_cmp_lt_i32 s13, 24
	s_mov_b64 s[6:7], -1
	s_cbranch_scc1 .LBB537_101
; %bb.82:
	s_cmp_gt_i32 s13, 24
	s_cbranch_scc0 .LBB537_90
; %bb.83:
	v_lshlrev_b32_e32 v5, 16, v2
	v_and_b32_e32 v4, 0x7fffffff, v5
	s_mov_b32 s6, 0x47800000
	v_cmp_gt_u32_e32 vcc, s6, v4
	v_mov_b32_e32 v6, 0x80
	s_and_saveexec_b64 s[6:7], vcc
	s_cbranch_execz .LBB537_89
; %bb.84:
	s_mov_b32 s8, 0x37ffffff
	v_and_b32_e32 v3, 0xffff, v2
	v_cmp_lt_u32_e32 vcc, s8, v4
	s_mov_b64 s[8:9], 0
                                        ; implicit-def: $vgpr4
	s_and_saveexec_b64 s[10:11], vcc
	s_xor_b64 s[10:11], exec, s[10:11]
	s_cbranch_execz .LBB537_321
; %bb.85:
	v_bfe_u32 v4, v3, 5, 1
	s_mov_b32 s14, 0x88fffff
	v_add3_u32 v4, v5, v4, s14
	s_mov_b64 s[8:9], exec
	v_lshrrev_b32_e32 v4, 21, v4
                                        ; implicit-def: $vgpr5
	s_andn2_saveexec_b64 s[10:11], s[10:11]
	s_cbranch_execnz .LBB537_322
.LBB537_86:
	s_or_b64 exec, exec, s[10:11]
	v_mov_b32_e32 v6, 0
	s_and_saveexec_b64 s[10:11], s[8:9]
.LBB537_87:
	v_lshrrev_b32_e32 v3, 8, v3
	s_movk_i32 s8, 0x80
	v_and_or_b32 v6, v3, s8, v4
.LBB537_88:
	s_or_b64 exec, exec, s[10:11]
.LBB537_89:
	s_or_b64 exec, exec, s[6:7]
	s_mov_b64 s[6:7], 0
	global_store_byte v[0:1], v6, off
.LBB537_90:
	s_and_b64 vcc, exec, s[6:7]
	s_cbranch_vccz .LBB537_100
; %bb.91:
	v_lshlrev_b32_e32 v5, 16, v2
	v_and_b32_e32 v6, 0x7fffffff, v5
	s_mov_b32 s6, 0x43f00000
	v_and_b32_e32 v3, 0xffff, v2
	v_cmp_gt_u32_e32 vcc, s6, v6
                                        ; implicit-def: $vgpr4
	s_and_saveexec_b64 s[6:7], vcc
	s_xor_b64 s[6:7], exec, s[6:7]
	s_cbranch_execz .LBB537_97
; %bb.92:
	s_mov_b32 s8, 0x3c7fffff
	v_cmp_lt_u32_e32 vcc, s8, v6
                                        ; implicit-def: $vgpr4
	s_and_saveexec_b64 s[8:9], vcc
	s_xor_b64 s[8:9], exec, s[8:9]
; %bb.93:
	v_bfe_u32 v4, v3, 4, 1
	s_mov_b32 s10, 0x407ffff
	v_add3_u32 v4, v5, v4, s10
	v_lshrrev_b32_e32 v5, 20, v4
	v_and_b32_e32 v4, 0xff00000, v4
	s_mov_b32 s10, 0x7f00000
	v_mov_b32_e32 v6, 0x7e
	v_cmp_ne_u32_e32 vcc, s10, v4
	s_nop 1
	v_cndmask_b32_e32 v4, v6, v5, vcc
                                        ; implicit-def: $vgpr5
; %bb.94:
	s_andn2_saveexec_b64 s[8:9], s[8:9]
; %bb.95:
	s_mov_b32 s10, 0x46800000
	v_add_f32_e64 v4, |v5|, s10
; %bb.96:
	s_or_b64 exec, exec, s[8:9]
                                        ; implicit-def: $vgpr6
.LBB537_97:
	s_andn2_saveexec_b64 s[6:7], s[6:7]
; %bb.98:
	s_mov_b32 s8, 0x7f800000
	v_mov_b32_e32 v4, 0x7e
	v_mov_b32_e32 v5, 0x7f
	v_cmp_lt_u32_e32 vcc, s8, v6
	s_nop 1
	v_cndmask_b32_e32 v4, v4, v5, vcc
; %bb.99:
	s_or_b64 exec, exec, s[6:7]
	v_lshrrev_b32_e32 v3, 8, v3
	s_movk_i32 s6, 0x80
	v_and_or_b32 v3, v3, s6, v4
	global_store_byte v[0:1], v3, off
.LBB537_100:
	s_mov_b64 s[6:7], 0
.LBB537_101:
	s_andn2_b64 vcc, exec, s[6:7]
	s_cbranch_vccnz .LBB537_111
; %bb.102:
	v_lshlrev_b32_e32 v5, 16, v2
	v_and_b32_e32 v6, 0x7fffffff, v5
	s_mov_b32 s6, 0x47800000
	v_and_b32_e32 v3, 0xffff, v2
	v_cmp_gt_u32_e32 vcc, s6, v6
                                        ; implicit-def: $vgpr4
	s_and_saveexec_b64 s[6:7], vcc
	s_xor_b64 s[6:7], exec, s[6:7]
	s_cbranch_execz .LBB537_108
; %bb.103:
	s_mov_b32 s8, 0x387fffff
	v_cmp_lt_u32_e32 vcc, s8, v6
                                        ; implicit-def: $vgpr4
	s_and_saveexec_b64 s[8:9], vcc
	s_xor_b64 s[8:9], exec, s[8:9]
; %bb.104:
	v_bfe_u32 v4, v3, 5, 1
	s_mov_b32 s10, 0x80fffff
	v_add3_u32 v4, v5, v4, s10
	v_lshrrev_b32_e32 v4, 21, v4
                                        ; implicit-def: $vgpr5
; %bb.105:
	s_andn2_saveexec_b64 s[8:9], s[8:9]
; %bb.106:
	s_mov_b32 s10, 0x43000000
	v_add_f32_e64 v4, |v5|, s10
; %bb.107:
	s_or_b64 exec, exec, s[8:9]
                                        ; implicit-def: $vgpr6
.LBB537_108:
	s_andn2_saveexec_b64 s[6:7], s[6:7]
; %bb.109:
	s_mov_b32 s8, 0x7f800000
	v_mov_b32_e32 v4, 0x7c
	v_mov_b32_e32 v5, 0x7f
	v_cmp_lt_u32_e32 vcc, s8, v6
	s_nop 1
	v_cndmask_b32_e32 v4, v4, v5, vcc
; %bb.110:
	s_or_b64 exec, exec, s[6:7]
	v_lshrrev_b32_e32 v3, 8, v3
	s_movk_i32 s6, 0x80
	v_and_or_b32 v3, v3, s6, v4
	global_store_byte v[0:1], v3, off
.LBB537_111:
	s_mov_b64 s[8:9], 0
	s_mov_b64 s[6:7], -1
.LBB537_112:
	s_andn2_b64 vcc, exec, s[8:9]
	s_cbranch_vccnz .LBB537_120
; %bb.113:
	s_cmp_gt_i32 s13, 14
	s_mov_b64 s[8:9], -1
	s_cbranch_scc0 .LBB537_117
; %bb.114:
	s_cmp_eq_u32 s13, 15
	s_mov_b64 s[2:3], -1
	s_cbranch_scc0 .LBB537_116
; %bb.115:
	global_store_short v[0:1], v2, off
	s_mov_b64 s[6:7], -1
	s_mov_b64 s[2:3], 0
.LBB537_116:
	s_mov_b64 s[8:9], 0
.LBB537_117:
	s_and_b64 vcc, exec, s[8:9]
	s_cbranch_vccz .LBB537_120
; %bb.118:
	s_cmp_eq_u32 s13, 11
	s_mov_b64 s[2:3], -1
	s_cbranch_scc0 .LBB537_120
; %bb.119:
	v_and_b32_e32 v3, 0x7fff, v2
	v_cmp_ne_u16_e32 vcc, 0, v3
	s_mov_b64 s[6:7], -1
	s_mov_b64 s[2:3], 0
	v_cndmask_b32_e64 v3, 0, 1, vcc
	global_store_byte v[0:1], v3, off
.LBB537_120:
	s_branch .LBB537_39
.LBB537_121:
	s_and_b32 s8, 0xffff, s12
	s_cmp_lt_i32 s8, 5
	s_mov_b64 s[6:7], -1
	s_cbranch_scc1 .LBB537_142
; %bb.122:
	s_cmp_lt_i32 s8, 8
	s_cbranch_scc1 .LBB537_132
; %bb.123:
	s_cmp_lt_i32 s8, 9
	s_cbranch_scc1 .LBB537_129
; %bb.124:
	s_cmp_gt_i32 s8, 9
	s_cbranch_scc0 .LBB537_126
; %bb.125:
	v_lshlrev_b32_e32 v3, 16, v2
	v_mov_b32_e32 v6, 0
	v_cvt_f64_f32_e32 v[4:5], v3
	v_mov_b32_e32 v7, v6
	global_store_dwordx4 v[0:1], v[4:7], off
	s_mov_b64 s[6:7], 0
.LBB537_126:
	s_andn2_b64 vcc, exec, s[6:7]
	s_cbranch_vccnz .LBB537_128
; %bb.127:
	v_lshlrev_b32_e32 v4, 16, v2
	v_mov_b32_e32 v5, 0
	global_store_dwordx2 v[0:1], v[4:5], off
.LBB537_128:
	s_mov_b64 s[6:7], 0
.LBB537_129:
	s_andn2_b64 vcc, exec, s[6:7]
	s_cbranch_vccnz .LBB537_131
; %bb.130:
	v_lshlrev_b32_e32 v3, 16, v2
	v_cvt_f16_f32_e32 v3, v3
	global_store_dword v[0:1], v3, off
.LBB537_131:
	s_mov_b64 s[6:7], 0
.LBB537_132:
	s_andn2_b64 vcc, exec, s[6:7]
	s_cbranch_vccnz .LBB537_141
; %bb.133:
	s_cmp_lt_i32 s8, 6
	s_mov_b64 s[6:7], -1
	s_cbranch_scc1 .LBB537_139
; %bb.134:
	s_cmp_gt_i32 s8, 6
	s_cbranch_scc0 .LBB537_136
; %bb.135:
	v_lshlrev_b32_e32 v3, 16, v2
	v_cvt_f64_f32_e32 v[4:5], v3
	global_store_dwordx2 v[0:1], v[4:5], off
	s_mov_b64 s[6:7], 0
.LBB537_136:
	s_andn2_b64 vcc, exec, s[6:7]
	s_cbranch_vccnz .LBB537_138
; %bb.137:
	v_lshlrev_b32_e32 v3, 16, v2
	global_store_dword v[0:1], v3, off
.LBB537_138:
	s_mov_b64 s[6:7], 0
.LBB537_139:
	s_andn2_b64 vcc, exec, s[6:7]
	s_cbranch_vccnz .LBB537_141
; %bb.140:
	v_lshlrev_b32_e32 v3, 16, v2
	v_cvt_f16_f32_e32 v3, v3
	global_store_short v[0:1], v3, off
.LBB537_141:
	s_mov_b64 s[6:7], 0
.LBB537_142:
	s_andn2_b64 vcc, exec, s[6:7]
	s_cbranch_vccnz .LBB537_158
; %bb.143:
	s_cmp_lt_i32 s8, 2
	s_mov_b64 s[6:7], -1
	s_cbranch_scc1 .LBB537_153
; %bb.144:
	s_cmp_lt_i32 s8, 3
	s_cbranch_scc1 .LBB537_150
; %bb.145:
	s_cmp_gt_i32 s8, 3
	s_cbranch_scc0 .LBB537_147
; %bb.146:
	v_lshlrev_b32_e32 v3, 16, v2
	v_trunc_f32_e32 v3, v3
	s_mov_b32 s6, 0x2f800000
	v_mul_f32_e64 v4, |v3|, s6
	v_floor_f32_e32 v4, v4
	s_mov_b32 s6, 0xcf800000
	v_cvt_u32_f32_e32 v5, v4
	v_fma_f32 v4, v4, s6, |v3|
	v_cvt_u32_f32_e32 v4, v4
	v_ashrrev_i32_e32 v3, 31, v3
	v_xor_b32_e32 v5, v5, v3
	s_mov_b64 s[6:7], 0
	v_xor_b32_e32 v4, v4, v3
	v_sub_co_u32_e32 v4, vcc, v4, v3
	s_nop 1
	v_subb_co_u32_e32 v5, vcc, v5, v3, vcc
	global_store_dwordx2 v[0:1], v[4:5], off
.LBB537_147:
	s_andn2_b64 vcc, exec, s[6:7]
	s_cbranch_vccnz .LBB537_149
; %bb.148:
	v_lshlrev_b32_e32 v3, 16, v2
	v_cvt_i32_f32_e32 v3, v3
	global_store_dword v[0:1], v3, off
.LBB537_149:
	s_mov_b64 s[6:7], 0
.LBB537_150:
	s_andn2_b64 vcc, exec, s[6:7]
	s_cbranch_vccnz .LBB537_152
; %bb.151:
	v_lshlrev_b32_e32 v3, 16, v2
	v_cvt_i32_f32_e32 v3, v3
	global_store_short v[0:1], v3, off
.LBB537_152:
	s_mov_b64 s[6:7], 0
.LBB537_153:
	s_andn2_b64 vcc, exec, s[6:7]
	s_cbranch_vccnz .LBB537_158
; %bb.154:
	s_cmp_gt_i32 s8, 0
	s_mov_b64 s[6:7], -1
	s_cbranch_scc0 .LBB537_156
; %bb.155:
	v_lshlrev_b32_e32 v3, 16, v2
	v_cvt_i32_f32_e32 v3, v3
	s_mov_b64 s[6:7], 0
	global_store_byte v[0:1], v3, off
.LBB537_156:
	s_andn2_b64 vcc, exec, s[6:7]
	s_cbranch_vccnz .LBB537_158
; %bb.157:
	v_lshlrev_b32_e32 v2, 16, v2
	v_trunc_f32_e32 v2, v2
	s_mov_b32 s6, 0x2f800000
	v_mul_f32_e64 v3, |v2|, s6
	v_floor_f32_e32 v3, v3
	s_mov_b32 s6, 0xcf800000
	v_fma_f32 v3, v3, s6, |v2|
	v_cvt_u32_f32_e32 v3, v3
	v_ashrrev_i32_e32 v2, 31, v2
	v_xor_b32_e32 v3, v3, v2
	v_sub_u32_e32 v2, v3, v2
	global_store_byte v[0:1], v2, off
.LBB537_158:
.LBB537_159:
	v_add_u32_e32 v8, 0x80, v8
	s_mov_b64 s[6:7], -1
	s_branch .LBB537_270
.LBB537_160:
	s_mov_b64 s[4:5], -1
                                        ; implicit-def: $vgpr1
.LBB537_161:
	s_mov_b64 s[6:7], 0
.LBB537_162:
	s_and_b64 vcc, exec, s[6:7]
	s_cbranch_vccz .LBB537_166
; %bb.163:
	s_cmp_eq_u32 s10, 29
	s_cbranch_scc0 .LBB537_165
; %bb.164:
	global_load_dwordx2 v[4:5], v[2:3], off
	s_movk_i32 s4, 0x7fff
	s_mov_b64 s[2:3], -1
	s_mov_b64 s[6:7], 0
	s_waitcnt vmcnt(0)
	v_ffbh_u32_e32 v1, v5
	v_min_u32_e32 v1, 32, v1
	v_lshlrev_b64 v[4:5], v1, v[4:5]
	v_min_u32_e32 v4, 1, v4
	v_or_b32_e32 v4, v5, v4
	v_cvt_f32_u32_e32 v4, v4
	v_sub_u32_e32 v1, 32, v1
	v_ldexp_f32 v1, v4, v1
	v_bfe_u32 v4, v1, 16, 1
	v_add3_u32 v1, v1, v4, s4
	v_lshrrev_b32_e32 v1, 16, v1
	s_mov_b64 s[4:5], 0
	s_branch .LBB537_167
.LBB537_165:
	s_mov_b64 s[4:5], -1
                                        ; implicit-def: $vgpr1
.LBB537_166:
	s_mov_b64 s[6:7], 0
.LBB537_167:
	s_and_b64 vcc, exec, s[6:7]
	s_cbranch_vccz .LBB537_185
; %bb.168:
	s_cmp_lt_i32 s10, 27
	s_cbranch_scc1 .LBB537_171
; %bb.169:
	s_cmp_gt_i32 s10, 27
	s_cbranch_scc0 .LBB537_172
; %bb.170:
	global_load_dword v1, v[2:3], off
	s_movk_i32 s2, 0x7fff
	s_waitcnt vmcnt(0)
	v_cvt_f32_u32_e32 v1, v1
	v_bfe_u32 v4, v1, 16, 1
	v_add3_u32 v1, v1, v4, s2
	v_lshrrev_b32_e32 v1, 16, v1
	s_mov_b64 s[2:3], 0
	s_branch .LBB537_173
.LBB537_171:
	s_mov_b64 s[2:3], -1
                                        ; implicit-def: $vgpr1
	s_branch .LBB537_176
.LBB537_172:
	s_mov_b64 s[2:3], -1
                                        ; implicit-def: $vgpr1
.LBB537_173:
	s_andn2_b64 vcc, exec, s[2:3]
	s_cbranch_vccnz .LBB537_175
; %bb.174:
	global_load_ushort v1, v[2:3], off
	s_movk_i32 s2, 0x7fff
	s_waitcnt vmcnt(0)
	v_cvt_f32_u32_e32 v1, v1
	v_bfe_u32 v4, v1, 16, 1
	v_add3_u32 v1, v1, v4, s2
	v_lshrrev_b32_e32 v1, 16, v1
.LBB537_175:
	s_mov_b64 s[2:3], 0
.LBB537_176:
	s_andn2_b64 vcc, exec, s[2:3]
	s_cbranch_vccnz .LBB537_184
; %bb.177:
	global_load_ubyte v1, v[2:3], off
	s_movk_i32 s2, 0x7f
	s_waitcnt vmcnt(0)
	v_cmp_lt_i16_e32 vcc, s2, v1
	s_mov_b64 s[2:3], 0
	s_and_saveexec_b64 s[6:7], vcc
	s_xor_b64 s[6:7], exec, s[6:7]
	s_cbranch_execz .LBB537_197
; %bb.178:
	s_movk_i32 s2, 0x80
	v_cmp_eq_u16_e32 vcc, s2, v1
	s_mov_b64 s[2:3], -1
	s_and_saveexec_b64 s[8:9], vcc
; %bb.179:
	s_xor_b64 s[2:3], exec, -1
; %bb.180:
	s_or_b64 exec, exec, s[8:9]
	s_and_b64 s[2:3], s[2:3], exec
	s_or_saveexec_b64 s[6:7], s[6:7]
	v_mov_b32_e32 v4, 0x7f800001
	s_xor_b64 exec, exec, s[6:7]
	s_cbranch_execnz .LBB537_198
.LBB537_181:
	s_or_b64 exec, exec, s[6:7]
	s_and_saveexec_b64 s[6:7], s[2:3]
	s_cbranch_execz .LBB537_183
.LBB537_182:
	v_lshlrev_b32_e32 v4, 24, v1
	v_and_b32_e32 v1, 0xffff, v1
	v_and_b32_e32 v5, 7, v1
	v_ffbh_u32_e32 v7, v5
	v_min_u32_e32 v7, 32, v7
	v_subrev_u32_e32 v9, 28, v7
	v_bfe_u32 v6, v1, 3, 4
	v_lshlrev_b32_e32 v1, v9, v1
	v_sub_u32_e32 v7, 29, v7
	v_and_b32_e32 v1, 7, v1
	v_cmp_eq_u32_e32 vcc, 0, v6
	v_and_b32_e32 v4, 0x80000000, v4
	s_nop 0
	v_cndmask_b32_e32 v6, v6, v7, vcc
	v_cndmask_b32_e32 v1, v5, v1, vcc
	v_mov_b32_e32 v5, 0x3b800000
	v_lshlrev_b32_e32 v1, 20, v1
	v_lshl_add_u32 v5, v6, 23, v5
	v_or3_b32 v4, v4, v5, v1
.LBB537_183:
	s_or_b64 exec, exec, s[6:7]
	v_bfe_u32 v1, v4, 16, 1
	s_movk_i32 s2, 0x7fff
	v_add3_u32 v1, v4, v1, s2
	v_cmp_o_f32_e32 vcc, v4, v4
	v_mov_b32_e32 v4, 0x7fc0
	s_nop 0
	v_cndmask_b32_sdwa v1, v4, v1, vcc dst_sel:DWORD dst_unused:UNUSED_PAD src0_sel:DWORD src1_sel:WORD_1
.LBB537_184:
	s_mov_b64 s[2:3], -1
.LBB537_185:
	s_branch .LBB537_220
.LBB537_186:
	s_cmp_gt_i32 s10, 22
	s_cbranch_scc0 .LBB537_196
; %bb.187:
	s_cmp_lt_i32 s10, 24
	s_cbranch_scc1 .LBB537_199
; %bb.188:
	s_cmp_gt_i32 s10, 24
	s_cbranch_scc0 .LBB537_200
; %bb.189:
	global_load_ubyte v1, v[2:3], off
	s_movk_i32 s2, 0x7f
	s_waitcnt vmcnt(0)
	v_cmp_lt_i16_e32 vcc, s2, v1
	s_mov_b64 s[2:3], 0
	s_and_saveexec_b64 s[6:7], vcc
	s_xor_b64 s[6:7], exec, s[6:7]
	s_cbranch_execz .LBB537_212
; %bb.190:
	s_movk_i32 s2, 0x80
	v_cmp_eq_u16_e32 vcc, s2, v1
	s_mov_b64 s[2:3], -1
	s_and_saveexec_b64 s[8:9], vcc
; %bb.191:
	s_xor_b64 s[2:3], exec, -1
; %bb.192:
	s_or_b64 exec, exec, s[8:9]
	s_and_b64 s[2:3], s[2:3], exec
	s_or_saveexec_b64 s[6:7], s[6:7]
	v_mov_b32_e32 v4, 0x7f800001
	s_xor_b64 exec, exec, s[6:7]
	s_cbranch_execnz .LBB537_213
.LBB537_193:
	s_or_b64 exec, exec, s[6:7]
	s_and_saveexec_b64 s[6:7], s[2:3]
	s_cbranch_execz .LBB537_195
.LBB537_194:
	v_lshlrev_b32_e32 v4, 24, v1
	v_and_b32_e32 v1, 0xffff, v1
	v_and_b32_e32 v5, 3, v1
	v_ffbh_u32_e32 v7, v5
	v_min_u32_e32 v7, 32, v7
	v_subrev_u32_e32 v9, 29, v7
	v_bfe_u32 v6, v1, 2, 5
	v_lshlrev_b32_e32 v1, v9, v1
	v_sub_u32_e32 v7, 30, v7
	v_and_b32_e32 v1, 3, v1
	v_cmp_eq_u32_e32 vcc, 0, v6
	v_and_b32_e32 v4, 0x80000000, v4
	s_nop 0
	v_cndmask_b32_e32 v6, v6, v7, vcc
	v_cndmask_b32_e32 v1, v5, v1, vcc
	v_mov_b32_e32 v5, 0x37800000
	v_lshlrev_b32_e32 v1, 21, v1
	v_lshl_add_u32 v5, v6, 23, v5
	v_or3_b32 v4, v4, v5, v1
.LBB537_195:
	s_or_b64 exec, exec, s[6:7]
	v_bfe_u32 v1, v4, 16, 1
	s_movk_i32 s2, 0x7fff
	v_add3_u32 v1, v4, v1, s2
	v_cmp_o_f32_e32 vcc, v4, v4
	v_mov_b32_e32 v4, 0x7fc0
	s_mov_b64 s[2:3], 0
	v_cndmask_b32_sdwa v1, v4, v1, vcc dst_sel:DWORD dst_unused:UNUSED_PAD src0_sel:DWORD src1_sel:WORD_1
	s_branch .LBB537_201
.LBB537_196:
	s_mov_b64 s[6:7], -1
                                        ; implicit-def: $vgpr1
	s_branch .LBB537_207
.LBB537_197:
	s_or_saveexec_b64 s[6:7], s[6:7]
	v_mov_b32_e32 v4, 0x7f800001
	s_xor_b64 exec, exec, s[6:7]
	s_cbranch_execz .LBB537_181
.LBB537_198:
	v_cmp_ne_u16_e32 vcc, 0, v1
	s_andn2_b64 s[2:3], s[2:3], exec
	s_and_b64 s[8:9], vcc, exec
	v_mov_b32_e32 v4, 0
	s_or_b64 s[2:3], s[2:3], s[8:9]
	s_or_b64 exec, exec, s[6:7]
	s_and_saveexec_b64 s[6:7], s[2:3]
	s_cbranch_execnz .LBB537_182
	s_branch .LBB537_183
.LBB537_199:
	s_mov_b64 s[2:3], -1
                                        ; implicit-def: $vgpr1
	s_branch .LBB537_204
.LBB537_200:
	s_mov_b64 s[2:3], -1
                                        ; implicit-def: $vgpr1
.LBB537_201:
	s_and_b64 vcc, exec, s[2:3]
	s_cbranch_vccz .LBB537_203
; %bb.202:
	global_load_ubyte v1, v[2:3], off
	s_mov_b32 s2, 0x7f800000
	s_brev_b32 s3, 1
	s_movk_i32 s6, 0x7fff
	s_waitcnt vmcnt(0)
	v_lshlrev_b32_e32 v1, 24, v1
	v_and_b32_e32 v4, 0x7f000000, v1
	v_ffbh_u32_e32 v5, v4
	v_min_u32_e32 v5, 32, v5
	v_sub_u32_e64 v5, v5, 4 clamp
	v_lshlrev_b32_e32 v7, v5, v4
	v_lshlrev_b32_e32 v5, 23, v5
	v_lshrrev_b32_e32 v7, 4, v7
	v_add_u32_e32 v6, 0x1000000, v4
	v_sub_u32_e32 v5, v7, v5
	v_ashrrev_i32_e32 v6, 8, v6
	v_add_u32_e32 v5, 0x3c000000, v5
	v_and_or_b32 v5, v6, s2, v5
	v_cmp_ne_u32_e32 vcc, 0, v4
	s_nop 1
	v_cndmask_b32_e32 v4, 0, v5, vcc
	v_and_or_b32 v1, v1, s3, v4
	v_bfe_u32 v4, v4, 16, 1
	v_add3_u32 v4, v1, v4, s6
	v_cmp_o_f32_e32 vcc, v1, v1
	v_mov_b32_e32 v1, 0x7fc0
	s_nop 0
	v_cndmask_b32_sdwa v1, v1, v4, vcc dst_sel:DWORD dst_unused:UNUSED_PAD src0_sel:DWORD src1_sel:WORD_1
.LBB537_203:
	s_mov_b64 s[2:3], 0
.LBB537_204:
	s_andn2_b64 vcc, exec, s[2:3]
	s_cbranch_vccnz .LBB537_206
; %bb.205:
	global_load_ubyte v1, v[2:3], off
	s_movk_i32 s2, 0x7f00
	s_brev_b32 s3, 16
	s_brev_b32 s6, 1
	s_movk_i32 s7, 0x7fff
	s_waitcnt vmcnt(0)
	v_lshlrev_b16_e32 v4, 8, v1
	v_lshlrev_b32_e32 v1, 25, v1
	v_lshrrev_b32_e32 v5, 4, v1
	v_and_or_b32 v6, v4, s2, 0.5
	v_or_b32_e32 v5, 0x70000000, v5
	v_add_f32_e32 v6, -0.5, v6
	v_mul_f32_e32 v5, 0x7800000, v5
	v_cmp_gt_u32_e32 vcc, s3, v1
	v_bfe_i32 v4, v4, 0, 16
	s_nop 0
	v_cndmask_b32_e32 v1, v5, v6, vcc
	v_and_or_b32 v4, v4, s6, v1
	v_bfe_u32 v1, v1, 16, 1
	v_add3_u32 v1, v4, v1, s7
	v_cmp_o_f32_e32 vcc, v4, v4
	v_mov_b32_e32 v4, 0x7fc0
	s_nop 0
	v_cndmask_b32_sdwa v1, v4, v1, vcc dst_sel:DWORD dst_unused:UNUSED_PAD src0_sel:DWORD src1_sel:WORD_1
.LBB537_206:
	s_mov_b64 s[6:7], 0
	s_mov_b64 s[2:3], -1
.LBB537_207:
	s_andn2_b64 vcc, exec, s[6:7]
	s_cbranch_vccnz .LBB537_220
; %bb.208:
	s_cmp_gt_i32 s10, 14
	s_cbranch_scc0 .LBB537_211
; %bb.209:
	s_cmp_eq_u32 s10, 15
	s_cbranch_scc0 .LBB537_214
; %bb.210:
	global_load_ushort v1, v[2:3], off
	s_mov_b64 s[2:3], -1
	s_mov_b64 s[4:5], 0
	s_branch .LBB537_215
.LBB537_211:
	s_mov_b64 s[6:7], -1
                                        ; implicit-def: $vgpr1
	s_branch .LBB537_216
.LBB537_212:
	s_or_saveexec_b64 s[6:7], s[6:7]
	v_mov_b32_e32 v4, 0x7f800001
	s_xor_b64 exec, exec, s[6:7]
	s_cbranch_execz .LBB537_193
.LBB537_213:
	v_cmp_ne_u16_e32 vcc, 0, v1
	s_andn2_b64 s[2:3], s[2:3], exec
	s_and_b64 s[8:9], vcc, exec
	v_mov_b32_e32 v4, 0
	s_or_b64 s[2:3], s[2:3], s[8:9]
	s_or_b64 exec, exec, s[6:7]
	s_and_saveexec_b64 s[6:7], s[2:3]
	s_cbranch_execnz .LBB537_194
	s_branch .LBB537_195
.LBB537_214:
	s_mov_b64 s[4:5], -1
                                        ; implicit-def: $vgpr1
.LBB537_215:
	s_mov_b64 s[6:7], 0
.LBB537_216:
	s_and_b64 vcc, exec, s[6:7]
	s_cbranch_vccz .LBB537_220
; %bb.217:
	s_cmp_eq_u32 s10, 11
	s_cbranch_scc0 .LBB537_219
; %bb.218:
	global_load_ubyte v1, v[2:3], off
	s_mov_b64 s[2:3], -1
	s_mov_b64 s[4:5], 0
	s_waitcnt vmcnt(0)
	v_cmp_ne_u16_e32 vcc, 0, v1
	s_nop 1
	v_cndmask_b32_e64 v1, 0, 1.0, vcc
	v_lshrrev_b32_e32 v1, 16, v1
	s_branch .LBB537_220
.LBB537_219:
	s_mov_b64 s[4:5], -1
                                        ; implicit-def: $vgpr1
.LBB537_220:
	s_branch .LBB537_25
.LBB537_221:
	s_cmp_lt_i32 s10, 5
	s_cbranch_scc1 .LBB537_226
; %bb.222:
	s_cmp_lt_i32 s10, 8
	s_cbranch_scc1 .LBB537_227
; %bb.223:
	;; [unrolled: 3-line block ×3, first 2 shown]
	s_cmp_gt_i32 s10, 9
	s_cbranch_scc0 .LBB537_229
; %bb.225:
	global_load_dwordx2 v[4:5], v[2:3], off
	s_movk_i32 s2, 0x7fff
	s_waitcnt vmcnt(1)
	v_mov_b32_e32 v1, 0x7fc0
	s_waitcnt vmcnt(0)
	v_cvt_f32_f64_e32 v4, v[4:5]
	v_bfe_u32 v5, v4, 16, 1
	v_cmp_o_f32_e32 vcc, v4, v4
	v_add3_u32 v4, v4, v5, s2
	s_mov_b64 s[2:3], 0
	v_cndmask_b32_sdwa v1, v1, v4, vcc dst_sel:DWORD dst_unused:UNUSED_PAD src0_sel:DWORD src1_sel:WORD_1
	s_branch .LBB537_230
.LBB537_226:
                                        ; implicit-def: $vgpr1
	s_branch .LBB537_248
.LBB537_227:
	s_mov_b64 s[2:3], -1
                                        ; implicit-def: $vgpr1
	s_branch .LBB537_236
.LBB537_228:
	s_mov_b64 s[2:3], -1
                                        ; implicit-def: $vgpr1
	s_branch .LBB537_233
.LBB537_229:
	s_mov_b64 s[2:3], -1
                                        ; implicit-def: $vgpr1
.LBB537_230:
	s_andn2_b64 vcc, exec, s[2:3]
	s_cbranch_vccnz .LBB537_232
; %bb.231:
	global_load_dword v1, v[2:3], off
	s_movk_i32 s2, 0x7fff
	v_mov_b32_e32 v4, 0x7fc0
	s_waitcnt vmcnt(0)
	v_bfe_u32 v5, v1, 16, 1
	v_cmp_o_f32_e32 vcc, v1, v1
	v_add3_u32 v1, v1, v5, s2
	s_nop 0
	v_cndmask_b32_sdwa v1, v4, v1, vcc dst_sel:DWORD dst_unused:UNUSED_PAD src0_sel:DWORD src1_sel:WORD_1
.LBB537_232:
	s_mov_b64 s[2:3], 0
.LBB537_233:
	s_andn2_b64 vcc, exec, s[2:3]
	s_cbranch_vccnz .LBB537_235
; %bb.234:
	global_load_dword v1, v[2:3], off
	s_movk_i32 s2, 0x7fff
	v_mov_b32_e32 v5, 0x7fc0
	s_waitcnt vmcnt(0)
	v_cvt_f32_f16_e32 v4, v1
	v_cmp_o_f16_e32 vcc, v1, v1
	v_bfe_u32 v1, v4, 16, 1
	v_add3_u32 v1, v4, v1, s2
	v_cndmask_b32_sdwa v1, v5, v1, vcc dst_sel:DWORD dst_unused:UNUSED_PAD src0_sel:DWORD src1_sel:WORD_1
.LBB537_235:
	s_mov_b64 s[2:3], 0
.LBB537_236:
	s_andn2_b64 vcc, exec, s[2:3]
	s_cbranch_vccnz .LBB537_247
; %bb.237:
	s_cmp_lt_i32 s10, 6
	s_cbranch_scc1 .LBB537_240
; %bb.238:
	s_cmp_gt_i32 s10, 6
	s_cbranch_scc0 .LBB537_241
; %bb.239:
	global_load_dwordx2 v[4:5], v[2:3], off
	s_movk_i32 s2, 0x7fff
	s_waitcnt vmcnt(1)
	v_mov_b32_e32 v1, 0x7fc0
	s_waitcnt vmcnt(0)
	v_cvt_f32_f64_e32 v4, v[4:5]
	v_bfe_u32 v5, v4, 16, 1
	v_cmp_o_f32_e32 vcc, v4, v4
	v_add3_u32 v4, v4, v5, s2
	s_mov_b64 s[2:3], 0
	v_cndmask_b32_sdwa v1, v1, v4, vcc dst_sel:DWORD dst_unused:UNUSED_PAD src0_sel:DWORD src1_sel:WORD_1
	s_branch .LBB537_242
.LBB537_240:
	s_mov_b64 s[2:3], -1
                                        ; implicit-def: $vgpr1
	s_branch .LBB537_245
.LBB537_241:
	s_mov_b64 s[2:3], -1
                                        ; implicit-def: $vgpr1
.LBB537_242:
	s_andn2_b64 vcc, exec, s[2:3]
	s_cbranch_vccnz .LBB537_244
; %bb.243:
	global_load_dword v1, v[2:3], off
	s_movk_i32 s2, 0x7fff
	v_mov_b32_e32 v4, 0x7fc0
	s_waitcnt vmcnt(0)
	v_bfe_u32 v5, v1, 16, 1
	v_cmp_o_f32_e32 vcc, v1, v1
	v_add3_u32 v1, v1, v5, s2
	s_nop 0
	v_cndmask_b32_sdwa v1, v4, v1, vcc dst_sel:DWORD dst_unused:UNUSED_PAD src0_sel:DWORD src1_sel:WORD_1
.LBB537_244:
	s_mov_b64 s[2:3], 0
.LBB537_245:
	s_andn2_b64 vcc, exec, s[2:3]
	s_cbranch_vccnz .LBB537_247
; %bb.246:
	global_load_ushort v1, v[2:3], off
	s_movk_i32 s2, 0x7fff
	v_mov_b32_e32 v5, 0x7fc0
	s_waitcnt vmcnt(0)
	v_cvt_f32_f16_e32 v4, v1
	v_cmp_o_f16_e32 vcc, v1, v1
	v_bfe_u32 v1, v4, 16, 1
	v_add3_u32 v1, v4, v1, s2
	v_cndmask_b32_sdwa v1, v5, v1, vcc dst_sel:DWORD dst_unused:UNUSED_PAD src0_sel:DWORD src1_sel:WORD_1
.LBB537_247:
	s_cbranch_execnz .LBB537_267
.LBB537_248:
	s_cmp_lt_i32 s10, 2
	s_cbranch_scc1 .LBB537_252
; %bb.249:
	s_cmp_lt_i32 s10, 3
	s_cbranch_scc1 .LBB537_253
; %bb.250:
	s_cmp_gt_i32 s10, 3
	s_cbranch_scc0 .LBB537_254
; %bb.251:
	global_load_dwordx2 v[4:5], v[2:3], off
	s_movk_i32 s2, 0x7fff
	s_waitcnt vmcnt(0)
	v_xor_b32_e32 v6, v4, v5
	v_ffbh_i32_e32 v1, v5
	v_ashrrev_i32_e32 v6, 31, v6
	v_add_u32_e32 v1, -1, v1
	v_add_u32_e32 v6, 32, v6
	v_min_u32_e32 v1, v1, v6
	v_lshlrev_b64 v[4:5], v1, v[4:5]
	v_min_u32_e32 v4, 1, v4
	v_or_b32_e32 v4, v5, v4
	v_cvt_f32_i32_e32 v4, v4
	v_sub_u32_e32 v1, 32, v1
	v_ldexp_f32 v1, v4, v1
	v_bfe_u32 v4, v1, 16, 1
	v_add3_u32 v1, v1, v4, s2
	v_lshrrev_b32_e32 v1, 16, v1
	s_mov_b64 s[2:3], 0
	s_branch .LBB537_255
.LBB537_252:
	s_mov_b64 s[2:3], -1
                                        ; implicit-def: $vgpr1
	s_branch .LBB537_261
.LBB537_253:
	s_mov_b64 s[2:3], -1
                                        ; implicit-def: $vgpr1
	s_branch .LBB537_258
.LBB537_254:
	s_mov_b64 s[2:3], -1
                                        ; implicit-def: $vgpr1
.LBB537_255:
	s_andn2_b64 vcc, exec, s[2:3]
	s_cbranch_vccnz .LBB537_257
; %bb.256:
	global_load_dword v1, v[2:3], off
	s_movk_i32 s2, 0x7fff
	s_waitcnt vmcnt(0)
	v_cvt_f32_i32_e32 v1, v1
	v_bfe_u32 v4, v1, 16, 1
	v_add3_u32 v1, v1, v4, s2
	v_lshrrev_b32_e32 v1, 16, v1
.LBB537_257:
	s_mov_b64 s[2:3], 0
.LBB537_258:
	s_andn2_b64 vcc, exec, s[2:3]
	s_cbranch_vccnz .LBB537_260
; %bb.259:
	global_load_sshort v1, v[2:3], off
	s_movk_i32 s2, 0x7fff
	s_waitcnt vmcnt(0)
	v_cvt_f32_i32_e32 v1, v1
	v_bfe_u32 v4, v1, 16, 1
	v_add3_u32 v1, v1, v4, s2
	v_lshrrev_b32_e32 v1, 16, v1
.LBB537_260:
	s_mov_b64 s[2:3], 0
.LBB537_261:
	s_andn2_b64 vcc, exec, s[2:3]
	s_cbranch_vccnz .LBB537_267
; %bb.262:
	s_cmp_gt_i32 s10, 0
	s_cbranch_scc0 .LBB537_264
; %bb.263:
	global_load_sbyte v1, v[2:3], off
	s_movk_i32 s2, 0x7fff
	s_waitcnt vmcnt(0)
	v_cvt_f32_i32_e32 v1, v1
	v_bfe_u32 v4, v1, 16, 1
	v_add3_u32 v1, v1, v4, s2
	v_lshrrev_b32_e32 v1, 16, v1
	s_mov_b64 s[2:3], 0
	s_branch .LBB537_265
.LBB537_264:
	s_mov_b64 s[2:3], -1
                                        ; implicit-def: $vgpr1
.LBB537_265:
	s_andn2_b64 vcc, exec, s[2:3]
	s_cbranch_vccnz .LBB537_267
; %bb.266:
	global_load_ubyte v1, v[2:3], off
	s_movk_i32 s2, 0x7fff
	s_waitcnt vmcnt(0)
	v_cvt_f32_ubyte0_e32 v1, v1
	v_bfe_u32 v2, v1, 16, 1
	v_add3_u32 v1, v1, v2, s2
	v_lshrrev_b32_e32 v1, 16, v1
.LBB537_267:
	s_branch .LBB537_26
.LBB537_268:
	s_mov_b64 s[2:3], 0
.LBB537_269:
	s_mov_b64 s[6:7], 0
                                        ; implicit-def: $vgpr8
.LBB537_270:
	s_and_b64 s[56:57], s[2:3], exec
	s_and_b64 s[58:59], s[4:5], exec
	s_orn2_b64 s[4:5], s[6:7], exec
.LBB537_271:
	s_or_b64 exec, exec, s[60:61]
	s_mov_b64 s[8:9], 0
	s_mov_b64 s[2:3], 0
                                        ; implicit-def: $vgpr2_vgpr3
                                        ; implicit-def: $vgpr0
                                        ; implicit-def: $vgpr1
	s_and_saveexec_b64 s[60:61], s[4:5]
	s_cbranch_execz .LBB537_279
; %bb.272:
	v_cmp_gt_i32_e32 vcc, s72, v8
	s_mov_b64 s[2:3], -1
	s_mov_b64 s[62:63], s[58:59]
	s_mov_b64 s[64:65], s[56:57]
	s_and_saveexec_b64 s[66:67], vcc
	s_cbranch_execz .LBB537_552
; %bb.273:
	s_andn2_b64 vcc, exec, s[42:43]
	s_cbranch_vccnz .LBB537_282
; %bb.274:
	s_andn2_b64 vcc, exec, s[54:55]
	s_cbranch_vccnz .LBB537_283
; %bb.275:
	s_add_i32 s65, s78, 1
	s_cmp_eq_u32 s74, 2
	s_cbranch_scc1 .LBB537_284
; %bb.276:
	s_and_b32 s64, s65, 28
	s_mov_b32 s68, 0
	v_mov_b32_e32 v0, 0
	v_mov_b32_e32 v2, 0
	s_mov_b64 s[2:3], s[34:35]
	s_mov_b64 s[62:63], s[52:53]
	v_mov_b32_e32 v4, v8
.LBB537_277:                            ; =>This Inner Loop Header: Depth=1
	s_load_dwordx8 s[12:19], s[2:3], 0x4
	s_load_dwordx4 s[36:39], s[2:3], 0x24
	s_load_dwordx8 s[4:11], s[62:63], 0x0
	s_add_u32 s2, s2, 48
	s_addc_u32 s3, s3, 0
	s_waitcnt vmcnt(0) lgkmcnt(0)
	v_mul_hi_u32 v1, s13, v4
	v_add_u32_e32 v1, v4, v1
	v_lshrrev_b32_e32 v1, s14, v1
	v_mul_lo_u32 v3, v1, s12
	v_mul_hi_u32 v5, s16, v1
	v_sub_u32_e32 v3, v4, v3
	v_add_u32_e32 v4, v1, v5
	v_lshrrev_b32_e32 v4, s17, v4
	v_mul_lo_u32 v6, v4, s15
	v_mul_hi_u32 v7, s19, v4
	v_sub_u32_e32 v1, v1, v6
	v_add_u32_e32 v6, v4, v7
	v_mul_lo_u32 v5, v3, s5
	v_mul_lo_u32 v3, v3, s4
	;; [unrolled: 1-line block ×4, first 2 shown]
	v_lshrrev_b32_e32 v6, s36, v6
	v_add3_u32 v0, v3, v0, v1
	v_mul_hi_u32 v3, s38, v6
	v_add3_u32 v1, v5, v2, v7
	v_mul_lo_u32 v2, v6, s18
	v_add_u32_e32 v3, v6, v3
	v_sub_u32_e32 v2, v4, v2
	v_lshrrev_b32_e32 v4, s39, v3
	s_add_i32 s68, s68, 4
	v_mul_lo_u32 v3, v4, s37
	s_add_u32 s62, s62, 32
	v_sub_u32_e32 v3, v6, v3
	s_addc_u32 s63, s63, 0
	v_mul_lo_u32 v5, v2, s8
	v_mul_lo_u32 v2, v2, s9
	;; [unrolled: 1-line block ×4, first 2 shown]
	s_cmp_eq_u32 s64, s68
	v_add3_u32 v2, v2, v1, v3
	v_add3_u32 v0, v5, v0, v6
	s_cbranch_scc0 .LBB537_277
; %bb.278:
	v_mov_b32_e32 v1, v2
	s_branch .LBB537_285
.LBB537_279:
	s_or_b64 exec, exec, s[60:61]
	s_mov_b64 s[4:5], 0
	s_and_saveexec_b64 s[6:7], s[58:59]
	s_cbranch_execnz .LBB537_934
.LBB537_280:
	s_or_b64 exec, exec, s[6:7]
	s_and_saveexec_b64 s[6:7], s[64:65]
	s_xor_b64 s[6:7], exec, s[6:7]
	s_cbranch_execz .LBB537_935
.LBB537_281:
	global_load_ubyte v1, v[2:3], off
	s_or_b64 s[2:3], s[2:3], exec
	s_waitcnt vmcnt(0)
	v_cmp_ne_u16_e32 vcc, 0, v1
	s_nop 1
	v_cndmask_b32_e64 v1, 0, 1.0, vcc
	v_lshrrev_b32_e32 v1, 16, v1
	s_or_b64 exec, exec, s[6:7]
	s_and_saveexec_b64 s[6:7], s[8:9]
	s_cbranch_execz .LBB537_981
	s_branch .LBB537_936
.LBB537_282:
                                        ; implicit-def: $vgpr2
                                        ; implicit-def: $vgpr0
	s_andn2_b64 vcc, exec, s[2:3]
	s_cbranch_vccz .LBB537_289
	s_branch .LBB537_291
.LBB537_283:
	v_mov_b32_e32 v2, 0
	v_mov_b32_e32 v0, 0
	s_branch .LBB537_288
.LBB537_284:
	v_mov_b32_e32 v0, 0
	s_mov_b32 s64, 0
	s_waitcnt vmcnt(0)
	v_mov_b32_e32 v1, v0
                                        ; implicit-def: $vgpr2
	v_mov_b32_e32 v4, v8
.LBB537_285:
	s_and_b32 s6, s65, 3
	s_cmp_eq_u32 s6, 0
	s_cbranch_scc1 .LBB537_288
; %bb.286:
	s_lshl_b32 s2, s64, 3
	s_add_u32 s2, s34, s2
	s_addc_u32 s3, s35, 0
	s_add_u32 s2, s2, 0xc4
	s_addc_u32 s3, s3, 0
	s_mul_i32 s4, s64, 12
	s_add_u32 s4, s34, s4
	s_addc_u32 s5, s35, 0
.LBB537_287:                            ; =>This Inner Loop Header: Depth=1
	s_load_dwordx2 s[8:9], s[4:5], 0x4
	s_load_dword s7, s[4:5], 0xc
	s_load_dwordx2 s[10:11], s[2:3], 0x0
	v_mov_b32_e32 v2, v1
	s_add_u32 s4, s4, 12
	s_waitcnt lgkmcnt(0)
	v_mul_hi_u32 v1, s9, v4
	v_add_u32_e32 v1, v4, v1
	v_lshrrev_b32_e32 v1, s7, v1
	s_addc_u32 s5, s5, 0
	v_mul_lo_u32 v3, v1, s8
	s_add_u32 s2, s2, 8
	v_sub_u32_e32 v5, v4, v3
	s_addc_u32 s3, s3, 0
	s_add_i32 s6, s6, -1
	v_mov_b32_e32 v4, v1
	v_mad_u64_u32 v[2:3], s[8:9], v5, s11, v[2:3]
	v_mad_u64_u32 v[0:1], s[8:9], v5, s10, v[0:1]
	s_cmp_lg_u32 s6, 0
	v_mov_b32_e32 v1, v2
	s_cbranch_scc1 .LBB537_287
.LBB537_288:
	s_cbranch_execnz .LBB537_291
.LBB537_289:
	v_mul_hi_u32 v0, s25, v8
	v_add_u32_e32 v0, v8, v0
	s_waitcnt vmcnt(0)
	v_lshrrev_b32_e32 v1, s26, v0
	v_mul_lo_u32 v0, v1, s24
	v_sub_u32_e32 v0, v8, v0
	v_mul_lo_u32 v2, v0, s29
	s_andn2_b64 vcc, exec, s[50:51]
	v_mul_lo_u32 v0, v0, s28
	s_cbranch_vccnz .LBB537_291
; %bb.290:
	v_mul_hi_u32 v3, s48, v1
	v_add_u32_e32 v3, v1, v3
	v_lshrrev_b32_e32 v3, s49, v3
	v_mul_lo_u32 v3, v3, s27
	v_sub_u32_e32 v3, v1, v3
	v_mad_u64_u32 v[0:1], s[2:3], v3, s30, v[0:1]
	v_mad_u64_u32 v[2:3], s[2:3], v3, s31, v[2:3]
.LBB537_291:
	v_mov_b32_e32 v3, 0
	s_and_b32 s10, 0xffff, s77
	s_cmp_lt_i32 s10, 11
	v_lshl_add_u64 v[2:3], s[22:23], 0, v[2:3]
	s_cbranch_scc1 .LBB537_298
; %bb.292:
	s_cmp_gt_i32 s10, 25
	s_cbranch_scc0 .LBB537_311
; %bb.293:
	s_cmp_gt_i32 s10, 28
	s_cbranch_scc0 .LBB537_313
	;; [unrolled: 3-line block ×4, first 2 shown]
; %bb.296:
	s_cmp_eq_u32 s10, 46
	s_mov_b64 s[6:7], 0
	s_cbranch_scc0 .LBB537_323
; %bb.297:
	global_load_dword v1, v[2:3], off
	s_mov_b64 s[2:3], -1
	s_mov_b64 s[4:5], 0
	s_branch .LBB537_324
.LBB537_298:
	s_mov_b64 s[2:3], 0
                                        ; implicit-def: $vgpr1
	s_mov_b64 s[4:5], s[58:59]
	s_cbranch_execnz .LBB537_501
.LBB537_299:
	s_andn2_b64 vcc, exec, s[2:3]
	s_cbranch_vccnz .LBB537_549
.LBB537_300:
	s_waitcnt vmcnt(0)
	v_lshlrev_b32_e32 v3, 16, v1
	v_cmp_o_f32_e32 vcc, v3, v3
	v_mov_b32_e32 v2, s46
	s_and_saveexec_b64 s[2:3], vcc
	s_cbranch_execz .LBB537_304
; %bb.301:
	s_mov_b32 s6, 0x7f800000
	v_cmp_neq_f32_e32 vcc, s6, v3
	v_mov_b32_e32 v2, s76
	s_and_saveexec_b64 s[6:7], vcc
; %bb.302:
	s_mov_b32 s8, 0xff800000
	v_mov_b32_e32 v2, s47
	v_cmp_eq_f32_e32 vcc, s8, v3
	s_nop 1
	v_cndmask_b32_e32 v2, v1, v2, vcc
; %bb.303:
	s_or_b64 exec, exec, s[6:7]
.LBB537_304:
	s_or_b64 exec, exec, s[2:3]
	v_mov_b32_e32 v1, 0
	s_and_b32 s12, s75, 0xff
	s_cmp_lt_i32 s12, 11
	v_lshl_add_u64 v[0:1], s[20:21], 0, v[0:1]
	s_cbranch_scc1 .LBB537_312
; %bb.305:
	s_and_b32 s13, 0xffff, s12
	s_cmp_gt_i32 s13, 25
	s_cbranch_scc0 .LBB537_314
; %bb.306:
	s_cmp_gt_i32 s13, 28
	s_cbranch_scc0 .LBB537_316
; %bb.307:
	;; [unrolled: 3-line block ×4, first 2 shown]
	s_mov_b64 s[8:9], 0
	s_mov_b64 s[2:3], -1
	s_cmp_eq_u32 s13, 46
	s_mov_b64 s[6:7], 0
	s_cbranch_scc0 .LBB537_328
; %bb.310:
	v_and_b32_e32 v3, 0xffff, v2
	global_store_dword v[0:1], v3, off
	s_mov_b64 s[6:7], -1
	s_mov_b64 s[2:3], 0
	s_branch .LBB537_328
.LBB537_311:
	s_mov_b64 s[6:7], -1
	s_mov_b64 s[2:3], 0
	s_mov_b64 s[4:5], s[58:59]
                                        ; implicit-def: $vgpr1
	s_branch .LBB537_465
.LBB537_312:
	s_mov_b64 s[8:9], -1
	s_mov_b64 s[6:7], 0
	s_mov_b64 s[2:3], s[56:57]
	s_branch .LBB537_397
.LBB537_313:
	s_mov_b64 s[6:7], -1
	s_mov_b64 s[2:3], 0
	s_mov_b64 s[4:5], s[58:59]
                                        ; implicit-def: $vgpr1
	s_branch .LBB537_446
.LBB537_314:
	s_mov_b64 s[8:9], -1
	s_mov_b64 s[6:7], 0
	s_mov_b64 s[2:3], s[56:57]
	s_branch .LBB537_355
.LBB537_315:
	s_mov_b64 s[6:7], -1
	s_mov_b64 s[2:3], 0
	s_mov_b64 s[4:5], s[58:59]
                                        ; implicit-def: $vgpr1
	s_branch .LBB537_441
.LBB537_316:
	s_mov_b64 s[8:9], -1
	s_mov_b64 s[6:7], 0
	s_mov_b64 s[2:3], s[56:57]
	s_branch .LBB537_338
.LBB537_317:
	s_andn2_saveexec_b64 s[10:11], s[10:11]
	s_cbranch_execz .LBB537_73
.LBB537_318:
	s_mov_b32 s14, 0x46000000
	v_add_f32_e64 v4, |v5|, s14
	v_and_b32_e32 v4, 0xff, v4
	v_cmp_ne_u32_e32 vcc, 0, v4
	s_andn2_b64 s[8:9], s[8:9], exec
	s_and_b64 s[14:15], vcc, exec
	s_or_b64 s[8:9], s[8:9], s[14:15]
	s_or_b64 exec, exec, s[10:11]
	v_mov_b32_e32 v6, 0
	s_and_saveexec_b64 s[10:11], s[8:9]
	s_cbranch_execnz .LBB537_74
	s_branch .LBB537_75
.LBB537_319:
	s_mov_b64 s[6:7], -1
	s_mov_b64 s[2:3], 0
	s_mov_b64 s[4:5], s[58:59]
                                        ; implicit-def: $vgpr1
	s_branch .LBB537_324
.LBB537_320:
	s_mov_b64 s[8:9], -1
	s_mov_b64 s[6:7], 0
	s_mov_b64 s[2:3], s[56:57]
	s_branch .LBB537_334
.LBB537_321:
	s_andn2_saveexec_b64 s[10:11], s[10:11]
	s_cbranch_execz .LBB537_86
.LBB537_322:
	s_mov_b32 s14, 0x42800000
	v_add_f32_e64 v4, |v5|, s14
	v_and_b32_e32 v4, 0xff, v4
	v_cmp_ne_u32_e32 vcc, 0, v4
	s_andn2_b64 s[8:9], s[8:9], exec
	s_and_b64 s[14:15], vcc, exec
	s_or_b64 s[8:9], s[8:9], s[14:15]
	s_or_b64 exec, exec, s[10:11]
	v_mov_b32_e32 v6, 0
	s_and_saveexec_b64 s[10:11], s[8:9]
	s_cbranch_execnz .LBB537_87
	s_branch .LBB537_88
.LBB537_323:
	s_mov_b64 s[4:5], -1
                                        ; implicit-def: $vgpr1
	s_mov_b64 s[2:3], 0
.LBB537_324:
	s_and_b64 vcc, exec, s[6:7]
	s_cbranch_vccz .LBB537_440
; %bb.325:
	s_cmp_eq_u32 s10, 44
	s_cbranch_scc0 .LBB537_439
; %bb.326:
	global_load_ubyte v1, v[2:3], off
	s_movk_i32 s4, 0xff
	v_mov_b32_e32 v4, 0x7f800001
	v_mov_b32_e32 v5, 0x400000
	;; [unrolled: 1-line block ×3, first 2 shown]
	s_mov_b64 s[2:3], -1
	s_waitcnt vmcnt(0)
	v_lshlrev_b32_e32 v7, 23, v1
	v_cmp_ne_u32_e32 vcc, s4, v1
	s_mov_b64 s[4:5], 0
	s_nop 0
	v_cndmask_b32_e32 v4, v4, v7, vcc
	v_cmp_ne_u32_e32 vcc, 0, v1
	s_nop 1
	v_cndmask_b32_e32 v1, v5, v4, vcc
	v_add_u32_e32 v4, 0x7fff, v1
	v_cmp_o_f32_e32 vcc, v1, v1
	s_nop 1
	v_cndmask_b32_sdwa v1, v6, v4, vcc dst_sel:DWORD dst_unused:UNUSED_PAD src0_sel:DWORD src1_sel:WORD_1
	s_branch .LBB537_440
.LBB537_327:
	s_mov_b64 s[8:9], -1
	s_mov_b64 s[6:7], 0
	s_mov_b64 s[2:3], s[56:57]
.LBB537_328:
	s_and_b64 vcc, exec, s[8:9]
	s_cbranch_vccz .LBB537_333
; %bb.329:
	s_cmp_eq_u32 s13, 44
	s_mov_b64 s[2:3], -1
	s_cbranch_scc0 .LBB537_333
; %bb.330:
	v_and_b32_e32 v4, 0xffff, v2
	v_bfe_u32 v3, v4, 7, 8
	s_movk_i32 s2, 0xff
	v_cmp_ne_u32_e32 vcc, s2, v3
	v_mov_b32_e32 v5, 0xff
	s_and_saveexec_b64 s[6:7], vcc
	s_cbranch_execz .LBB537_332
; %bb.331:
	v_lshlrev_b32_e32 v6, 16, v4
	s_mov_b32 s2, 0x3f0000
	v_lshrrev_b32_e32 v5, 7, v4
	v_and_b32_e32 v4, 64, v4
	v_and_or_b32 v3, v6, s2, v3
	v_cmp_ne_u32_e32 vcc, 0, v4
	v_cmp_ne_u32_e64 s[2:3], 0, v3
	s_and_b64 s[2:3], vcc, s[2:3]
	s_nop 0
	v_cndmask_b32_e64 v3, 0, 1, s[2:3]
	v_add_u32_e32 v5, v5, v3
.LBB537_332:
	s_or_b64 exec, exec, s[6:7]
	s_mov_b64 s[6:7], -1
	s_mov_b64 s[2:3], 0
	global_store_byte v[0:1], v5, off
.LBB537_333:
	s_mov_b64 s[8:9], 0
.LBB537_334:
	s_and_b64 vcc, exec, s[8:9]
	s_cbranch_vccz .LBB537_337
; %bb.335:
	s_cmp_eq_u32 s13, 29
	s_mov_b64 s[2:3], -1
	s_cbranch_scc0 .LBB537_337
; %bb.336:
	v_lshlrev_b32_e32 v3, 16, v2
	v_trunc_f32_e32 v3, v3
	v_mul_f32_e32 v4, 0x2f800000, v3
	v_floor_f32_e32 v4, v4
	v_fmamk_f32 v3, v4, 0xcf800000, v3
	v_cvt_u32_f32_e32 v5, v4
	v_cvt_u32_f32_e32 v4, v3
	s_mov_b64 s[6:7], -1
	s_mov_b64 s[2:3], 0
	s_mov_b64 s[8:9], 0
	global_store_dwordx2 v[0:1], v[4:5], off
	s_branch .LBB537_338
.LBB537_337:
	s_mov_b64 s[8:9], 0
.LBB537_338:
	s_and_b64 vcc, exec, s[8:9]
	s_cbranch_vccz .LBB537_354
; %bb.339:
	s_cmp_lt_i32 s13, 27
	s_mov_b64 s[6:7], -1
	s_cbranch_scc1 .LBB537_345
; %bb.340:
	s_cmp_gt_i32 s13, 27
	s_cbranch_scc0 .LBB537_342
; %bb.341:
	v_lshlrev_b32_e32 v3, 16, v2
	v_cvt_u32_f32_e32 v3, v3
	s_mov_b64 s[6:7], 0
	global_store_dword v[0:1], v3, off
.LBB537_342:
	s_andn2_b64 vcc, exec, s[6:7]
	s_cbranch_vccnz .LBB537_344
; %bb.343:
	v_lshlrev_b32_e32 v3, 16, v2
	v_cvt_u32_f32_e32 v3, v3
	global_store_short v[0:1], v3, off
.LBB537_344:
	s_mov_b64 s[6:7], 0
.LBB537_345:
	s_andn2_b64 vcc, exec, s[6:7]
	s_cbranch_vccnz .LBB537_353
; %bb.346:
	v_lshlrev_b32_e32 v5, 16, v2
	v_and_b32_e32 v4, 0x7fffffff, v5
	s_mov_b32 s6, 0x43800000
	v_cmp_gt_u32_e32 vcc, s6, v4
	v_mov_b32_e32 v6, 0x80
	s_and_saveexec_b64 s[6:7], vcc
	s_cbranch_execz .LBB537_352
; %bb.347:
	s_mov_b32 s8, 0x3bffffff
	v_and_b32_e32 v3, 0xffff, v2
	v_cmp_lt_u32_e32 vcc, s8, v4
	s_mov_b64 s[8:9], 0
                                        ; implicit-def: $vgpr4
	s_and_saveexec_b64 s[10:11], vcc
	s_xor_b64 s[10:11], exec, s[10:11]
	s_cbranch_execz .LBB537_581
; %bb.348:
	v_bfe_u32 v4, v3, 4, 1
	s_mov_b32 s14, 0x487ffff
	v_add3_u32 v4, v5, v4, s14
	s_mov_b64 s[8:9], exec
	v_lshrrev_b32_e32 v4, 20, v4
                                        ; implicit-def: $vgpr5
	s_andn2_saveexec_b64 s[10:11], s[10:11]
	s_cbranch_execnz .LBB537_582
.LBB537_349:
	s_or_b64 exec, exec, s[10:11]
	v_mov_b32_e32 v6, 0
	s_and_saveexec_b64 s[10:11], s[8:9]
.LBB537_350:
	v_lshrrev_b32_e32 v3, 8, v3
	s_movk_i32 s8, 0x80
	v_and_or_b32 v6, v3, s8, v4
.LBB537_351:
	s_or_b64 exec, exec, s[10:11]
.LBB537_352:
	s_or_b64 exec, exec, s[6:7]
	global_store_byte v[0:1], v6, off
.LBB537_353:
	s_mov_b64 s[6:7], -1
.LBB537_354:
	s_mov_b64 s[8:9], 0
.LBB537_355:
	s_and_b64 vcc, exec, s[8:9]
	s_cbranch_vccz .LBB537_396
; %bb.356:
	s_cmp_gt_i32 s13, 22
	s_mov_b64 s[8:9], -1
	s_cbranch_scc0 .LBB537_388
; %bb.357:
	s_cmp_lt_i32 s13, 24
	s_mov_b64 s[6:7], -1
	s_cbranch_scc1 .LBB537_377
; %bb.358:
	s_cmp_gt_i32 s13, 24
	s_cbranch_scc0 .LBB537_366
; %bb.359:
	v_lshlrev_b32_e32 v5, 16, v2
	v_and_b32_e32 v4, 0x7fffffff, v5
	s_mov_b32 s6, 0x47800000
	v_cmp_gt_u32_e32 vcc, s6, v4
	v_mov_b32_e32 v6, 0x80
	s_and_saveexec_b64 s[6:7], vcc
	s_cbranch_execz .LBB537_365
; %bb.360:
	s_mov_b32 s8, 0x37ffffff
	v_and_b32_e32 v3, 0xffff, v2
	v_cmp_lt_u32_e32 vcc, s8, v4
	s_mov_b64 s[8:9], 0
                                        ; implicit-def: $vgpr4
	s_and_saveexec_b64 s[10:11], vcc
	s_xor_b64 s[10:11], exec, s[10:11]
	s_cbranch_execz .LBB537_584
; %bb.361:
	v_bfe_u32 v4, v3, 5, 1
	s_mov_b32 s14, 0x88fffff
	v_add3_u32 v4, v5, v4, s14
	s_mov_b64 s[8:9], exec
	v_lshrrev_b32_e32 v4, 21, v4
                                        ; implicit-def: $vgpr5
	s_andn2_saveexec_b64 s[10:11], s[10:11]
	s_cbranch_execnz .LBB537_585
.LBB537_362:
	s_or_b64 exec, exec, s[10:11]
	v_mov_b32_e32 v6, 0
	s_and_saveexec_b64 s[10:11], s[8:9]
.LBB537_363:
	v_lshrrev_b32_e32 v3, 8, v3
	s_movk_i32 s8, 0x80
	v_and_or_b32 v6, v3, s8, v4
.LBB537_364:
	s_or_b64 exec, exec, s[10:11]
.LBB537_365:
	s_or_b64 exec, exec, s[6:7]
	s_mov_b64 s[6:7], 0
	global_store_byte v[0:1], v6, off
.LBB537_366:
	s_and_b64 vcc, exec, s[6:7]
	s_cbranch_vccz .LBB537_376
; %bb.367:
	v_lshlrev_b32_e32 v5, 16, v2
	v_and_b32_e32 v6, 0x7fffffff, v5
	s_mov_b32 s6, 0x43f00000
	v_and_b32_e32 v3, 0xffff, v2
	v_cmp_gt_u32_e32 vcc, s6, v6
                                        ; implicit-def: $vgpr4
	s_and_saveexec_b64 s[6:7], vcc
	s_xor_b64 s[6:7], exec, s[6:7]
	s_cbranch_execz .LBB537_373
; %bb.368:
	s_mov_b32 s8, 0x3c7fffff
	v_cmp_lt_u32_e32 vcc, s8, v6
                                        ; implicit-def: $vgpr4
	s_and_saveexec_b64 s[8:9], vcc
	s_xor_b64 s[8:9], exec, s[8:9]
; %bb.369:
	v_bfe_u32 v4, v3, 4, 1
	s_mov_b32 s10, 0x407ffff
	v_add3_u32 v4, v5, v4, s10
	v_lshrrev_b32_e32 v5, 20, v4
	v_and_b32_e32 v4, 0xff00000, v4
	s_mov_b32 s10, 0x7f00000
	v_mov_b32_e32 v6, 0x7e
	v_cmp_ne_u32_e32 vcc, s10, v4
	s_nop 1
	v_cndmask_b32_e32 v4, v6, v5, vcc
                                        ; implicit-def: $vgpr5
; %bb.370:
	s_andn2_saveexec_b64 s[8:9], s[8:9]
; %bb.371:
	s_mov_b32 s10, 0x46800000
	v_add_f32_e64 v4, |v5|, s10
; %bb.372:
	s_or_b64 exec, exec, s[8:9]
                                        ; implicit-def: $vgpr6
.LBB537_373:
	s_andn2_saveexec_b64 s[6:7], s[6:7]
; %bb.374:
	s_mov_b32 s8, 0x7f800000
	v_mov_b32_e32 v4, 0x7e
	v_mov_b32_e32 v5, 0x7f
	v_cmp_lt_u32_e32 vcc, s8, v6
	s_nop 1
	v_cndmask_b32_e32 v4, v4, v5, vcc
; %bb.375:
	s_or_b64 exec, exec, s[6:7]
	v_lshrrev_b32_e32 v3, 8, v3
	s_movk_i32 s6, 0x80
	v_and_or_b32 v3, v3, s6, v4
	global_store_byte v[0:1], v3, off
.LBB537_376:
	s_mov_b64 s[6:7], 0
.LBB537_377:
	s_andn2_b64 vcc, exec, s[6:7]
	s_cbranch_vccnz .LBB537_387
; %bb.378:
	v_lshlrev_b32_e32 v5, 16, v2
	v_and_b32_e32 v6, 0x7fffffff, v5
	s_mov_b32 s6, 0x47800000
	v_and_b32_e32 v3, 0xffff, v2
	v_cmp_gt_u32_e32 vcc, s6, v6
                                        ; implicit-def: $vgpr4
	s_and_saveexec_b64 s[6:7], vcc
	s_xor_b64 s[6:7], exec, s[6:7]
	s_cbranch_execz .LBB537_384
; %bb.379:
	s_mov_b32 s8, 0x387fffff
	v_cmp_lt_u32_e32 vcc, s8, v6
                                        ; implicit-def: $vgpr4
	s_and_saveexec_b64 s[8:9], vcc
	s_xor_b64 s[8:9], exec, s[8:9]
; %bb.380:
	v_bfe_u32 v4, v3, 5, 1
	s_mov_b32 s10, 0x80fffff
	v_add3_u32 v4, v5, v4, s10
	v_lshrrev_b32_e32 v4, 21, v4
                                        ; implicit-def: $vgpr5
; %bb.381:
	s_andn2_saveexec_b64 s[8:9], s[8:9]
; %bb.382:
	s_mov_b32 s10, 0x43000000
	v_add_f32_e64 v4, |v5|, s10
; %bb.383:
	s_or_b64 exec, exec, s[8:9]
                                        ; implicit-def: $vgpr6
.LBB537_384:
	s_andn2_saveexec_b64 s[6:7], s[6:7]
; %bb.385:
	s_mov_b32 s8, 0x7f800000
	v_mov_b32_e32 v4, 0x7c
	v_mov_b32_e32 v5, 0x7f
	v_cmp_lt_u32_e32 vcc, s8, v6
	s_nop 1
	v_cndmask_b32_e32 v4, v4, v5, vcc
; %bb.386:
	s_or_b64 exec, exec, s[6:7]
	v_lshrrev_b32_e32 v3, 8, v3
	s_movk_i32 s6, 0x80
	v_and_or_b32 v3, v3, s6, v4
	global_store_byte v[0:1], v3, off
.LBB537_387:
	s_mov_b64 s[8:9], 0
	s_mov_b64 s[6:7], -1
.LBB537_388:
	s_andn2_b64 vcc, exec, s[8:9]
	s_cbranch_vccnz .LBB537_396
; %bb.389:
	s_cmp_gt_i32 s13, 14
	s_mov_b64 s[8:9], -1
	s_cbranch_scc0 .LBB537_393
; %bb.390:
	s_cmp_eq_u32 s13, 15
	s_mov_b64 s[2:3], -1
	s_cbranch_scc0 .LBB537_392
; %bb.391:
	global_store_short v[0:1], v2, off
	s_mov_b64 s[6:7], -1
	s_mov_b64 s[2:3], 0
.LBB537_392:
	s_mov_b64 s[8:9], 0
.LBB537_393:
	s_and_b64 vcc, exec, s[8:9]
	s_cbranch_vccz .LBB537_396
; %bb.394:
	s_cmp_eq_u32 s13, 11
	s_mov_b64 s[2:3], -1
	s_cbranch_scc0 .LBB537_396
; %bb.395:
	v_and_b32_e32 v3, 0x7fff, v2
	v_cmp_ne_u16_e32 vcc, 0, v3
	s_mov_b64 s[6:7], -1
	s_mov_b64 s[2:3], 0
	v_cndmask_b32_e64 v3, 0, 1, vcc
	global_store_byte v[0:1], v3, off
.LBB537_396:
	s_mov_b64 s[8:9], 0
.LBB537_397:
	s_and_b64 vcc, exec, s[8:9]
	s_cbranch_vccz .LBB537_436
; %bb.398:
	s_and_b32 s8, 0xffff, s12
	s_cmp_lt_i32 s8, 5
	s_mov_b64 s[6:7], -1
	s_cbranch_scc1 .LBB537_419
; %bb.399:
	s_cmp_lt_i32 s8, 8
	s_cbranch_scc1 .LBB537_409
; %bb.400:
	s_cmp_lt_i32 s8, 9
	s_cbranch_scc1 .LBB537_406
; %bb.401:
	s_cmp_gt_i32 s8, 9
	s_cbranch_scc0 .LBB537_403
; %bb.402:
	v_lshlrev_b32_e32 v3, 16, v2
	v_mov_b32_e32 v6, 0
	v_cvt_f64_f32_e32 v[4:5], v3
	v_mov_b32_e32 v7, v6
	s_mov_b64 s[6:7], 0
	global_store_dwordx4 v[0:1], v[4:7], off
.LBB537_403:
	s_andn2_b64 vcc, exec, s[6:7]
	s_cbranch_vccnz .LBB537_405
; %bb.404:
	v_lshlrev_b32_e32 v4, 16, v2
	v_mov_b32_e32 v5, 0
	global_store_dwordx2 v[0:1], v[4:5], off
.LBB537_405:
	s_mov_b64 s[6:7], 0
.LBB537_406:
	s_andn2_b64 vcc, exec, s[6:7]
	s_cbranch_vccnz .LBB537_408
; %bb.407:
	v_lshlrev_b32_e32 v3, 16, v2
	v_cvt_f16_f32_e32 v3, v3
	global_store_dword v[0:1], v3, off
.LBB537_408:
	s_mov_b64 s[6:7], 0
.LBB537_409:
	s_andn2_b64 vcc, exec, s[6:7]
	s_cbranch_vccnz .LBB537_418
; %bb.410:
	s_cmp_lt_i32 s8, 6
	s_mov_b64 s[6:7], -1
	s_cbranch_scc1 .LBB537_416
; %bb.411:
	s_cmp_gt_i32 s8, 6
	s_cbranch_scc0 .LBB537_413
; %bb.412:
	v_lshlrev_b32_e32 v3, 16, v2
	v_cvt_f64_f32_e32 v[4:5], v3
	s_mov_b64 s[6:7], 0
	global_store_dwordx2 v[0:1], v[4:5], off
.LBB537_413:
	s_andn2_b64 vcc, exec, s[6:7]
	s_cbranch_vccnz .LBB537_415
; %bb.414:
	v_lshlrev_b32_e32 v3, 16, v2
	global_store_dword v[0:1], v3, off
.LBB537_415:
	s_mov_b64 s[6:7], 0
.LBB537_416:
	s_andn2_b64 vcc, exec, s[6:7]
	s_cbranch_vccnz .LBB537_418
; %bb.417:
	v_lshlrev_b32_e32 v3, 16, v2
	v_cvt_f16_f32_e32 v3, v3
	global_store_short v[0:1], v3, off
.LBB537_418:
	s_mov_b64 s[6:7], 0
.LBB537_419:
	s_andn2_b64 vcc, exec, s[6:7]
	s_cbranch_vccnz .LBB537_435
; %bb.420:
	s_cmp_lt_i32 s8, 2
	s_mov_b64 s[6:7], -1
	s_cbranch_scc1 .LBB537_430
; %bb.421:
	s_cmp_lt_i32 s8, 3
	s_cbranch_scc1 .LBB537_427
; %bb.422:
	s_cmp_gt_i32 s8, 3
	s_cbranch_scc0 .LBB537_424
; %bb.423:
	v_lshlrev_b32_e32 v3, 16, v2
	v_trunc_f32_e32 v3, v3
	s_mov_b32 s6, 0x2f800000
	v_mul_f32_e64 v4, |v3|, s6
	v_floor_f32_e32 v4, v4
	s_mov_b32 s6, 0xcf800000
	v_cvt_u32_f32_e32 v5, v4
	v_fma_f32 v4, v4, s6, |v3|
	v_cvt_u32_f32_e32 v4, v4
	v_ashrrev_i32_e32 v3, 31, v3
	v_xor_b32_e32 v5, v5, v3
	s_mov_b64 s[6:7], 0
	v_xor_b32_e32 v4, v4, v3
	v_sub_co_u32_e32 v4, vcc, v4, v3
	s_nop 1
	v_subb_co_u32_e32 v5, vcc, v5, v3, vcc
	global_store_dwordx2 v[0:1], v[4:5], off
.LBB537_424:
	s_andn2_b64 vcc, exec, s[6:7]
	s_cbranch_vccnz .LBB537_426
; %bb.425:
	v_lshlrev_b32_e32 v3, 16, v2
	v_cvt_i32_f32_e32 v3, v3
	global_store_dword v[0:1], v3, off
.LBB537_426:
	s_mov_b64 s[6:7], 0
.LBB537_427:
	s_andn2_b64 vcc, exec, s[6:7]
	s_cbranch_vccnz .LBB537_429
; %bb.428:
	v_lshlrev_b32_e32 v3, 16, v2
	v_cvt_i32_f32_e32 v3, v3
	global_store_short v[0:1], v3, off
.LBB537_429:
	s_mov_b64 s[6:7], 0
.LBB537_430:
	s_andn2_b64 vcc, exec, s[6:7]
	s_cbranch_vccnz .LBB537_435
; %bb.431:
	s_mov_b64 s[6:7], -1
	s_cmp_gt_i32 s8, 0
	v_lshlrev_b32_e32 v2, 16, v2
	s_cbranch_scc0 .LBB537_433
; %bb.432:
	v_cvt_i32_f32_e32 v3, v2
	s_mov_b64 s[6:7], 0
	global_store_byte v[0:1], v3, off
.LBB537_433:
	s_andn2_b64 vcc, exec, s[6:7]
	s_cbranch_vccnz .LBB537_435
; %bb.434:
	v_trunc_f32_e32 v2, v2
	s_mov_b32 s6, 0x2f800000
	v_mul_f32_e64 v3, |v2|, s6
	v_floor_f32_e32 v3, v3
	s_mov_b32 s6, 0xcf800000
	v_fma_f32 v3, v3, s6, |v2|
	v_cvt_u32_f32_e32 v3, v3
	v_ashrrev_i32_e32 v2, 31, v2
	v_xor_b32_e32 v3, v3, v2
	v_sub_u32_e32 v2, v3, v2
	global_store_byte v[0:1], v2, off
.LBB537_435:
	s_mov_b64 s[6:7], -1
.LBB537_436:
	s_andn2_b64 vcc, exec, s[6:7]
	s_cbranch_vccnz .LBB537_438
; %bb.437:
	v_add_u32_e32 v8, 0x80, v8
	s_mov_b64 s[6:7], -1
	s_branch .LBB537_551
.LBB537_438:
	s_mov_b64 s[6:7], 0
	s_branch .LBB537_550
.LBB537_439:
	s_mov_b64 s[4:5], -1
                                        ; implicit-def: $vgpr1
.LBB537_440:
	s_mov_b64 s[6:7], 0
.LBB537_441:
	s_and_b64 vcc, exec, s[6:7]
	s_cbranch_vccz .LBB537_445
; %bb.442:
	s_cmp_eq_u32 s10, 29
	s_cbranch_scc0 .LBB537_444
; %bb.443:
	global_load_dwordx2 v[4:5], v[2:3], off
	s_movk_i32 s4, 0x7fff
	s_mov_b64 s[2:3], -1
	s_mov_b64 s[6:7], 0
	s_waitcnt vmcnt(0)
	v_ffbh_u32_e32 v1, v5
	v_min_u32_e32 v1, 32, v1
	v_lshlrev_b64 v[4:5], v1, v[4:5]
	v_min_u32_e32 v4, 1, v4
	v_or_b32_e32 v4, v5, v4
	v_cvt_f32_u32_e32 v4, v4
	v_sub_u32_e32 v1, 32, v1
	v_ldexp_f32 v1, v4, v1
	v_bfe_u32 v4, v1, 16, 1
	v_add3_u32 v1, v1, v4, s4
	v_lshrrev_b32_e32 v1, 16, v1
	s_mov_b64 s[4:5], 0
	s_branch .LBB537_446
.LBB537_444:
	s_mov_b64 s[4:5], -1
                                        ; implicit-def: $vgpr1
.LBB537_445:
	s_mov_b64 s[6:7], 0
.LBB537_446:
	s_and_b64 vcc, exec, s[6:7]
	s_cbranch_vccz .LBB537_464
; %bb.447:
	s_cmp_lt_i32 s10, 27
	s_cbranch_scc1 .LBB537_450
; %bb.448:
	s_cmp_gt_i32 s10, 27
	s_cbranch_scc0 .LBB537_451
; %bb.449:
	global_load_dword v1, v[2:3], off
	s_movk_i32 s2, 0x7fff
	s_waitcnt vmcnt(0)
	v_cvt_f32_u32_e32 v1, v1
	v_bfe_u32 v4, v1, 16, 1
	v_add3_u32 v1, v1, v4, s2
	v_lshrrev_b32_e32 v1, 16, v1
	s_mov_b64 s[2:3], 0
	s_branch .LBB537_452
.LBB537_450:
	s_mov_b64 s[2:3], -1
                                        ; implicit-def: $vgpr1
	s_branch .LBB537_455
.LBB537_451:
	s_mov_b64 s[2:3], -1
                                        ; implicit-def: $vgpr1
.LBB537_452:
	s_andn2_b64 vcc, exec, s[2:3]
	s_cbranch_vccnz .LBB537_454
; %bb.453:
	global_load_ushort v1, v[2:3], off
	s_movk_i32 s2, 0x7fff
	s_waitcnt vmcnt(0)
	v_cvt_f32_u32_e32 v1, v1
	v_bfe_u32 v4, v1, 16, 1
	v_add3_u32 v1, v1, v4, s2
	v_lshrrev_b32_e32 v1, 16, v1
.LBB537_454:
	s_mov_b64 s[2:3], 0
.LBB537_455:
	s_andn2_b64 vcc, exec, s[2:3]
	s_cbranch_vccnz .LBB537_463
; %bb.456:
	global_load_ubyte v1, v[2:3], off
	s_movk_i32 s2, 0x7f
	s_waitcnt vmcnt(0)
	v_cmp_lt_i16_e32 vcc, s2, v1
	s_mov_b64 s[2:3], 0
	s_and_saveexec_b64 s[6:7], vcc
	s_xor_b64 s[6:7], exec, s[6:7]
	s_cbranch_execz .LBB537_477
; %bb.457:
	s_movk_i32 s2, 0x80
	v_cmp_eq_u16_e32 vcc, s2, v1
	s_mov_b64 s[2:3], -1
	s_and_saveexec_b64 s[8:9], vcc
; %bb.458:
	s_xor_b64 s[2:3], exec, -1
; %bb.459:
	s_or_b64 exec, exec, s[8:9]
	s_and_b64 s[2:3], s[2:3], exec
	s_or_saveexec_b64 s[6:7], s[6:7]
	v_mov_b32_e32 v4, 0x7f800001
	s_xor_b64 exec, exec, s[6:7]
	s_cbranch_execnz .LBB537_478
.LBB537_460:
	s_or_b64 exec, exec, s[6:7]
	s_and_saveexec_b64 s[6:7], s[2:3]
	s_cbranch_execz .LBB537_462
.LBB537_461:
	v_lshlrev_b32_e32 v4, 24, v1
	v_and_b32_e32 v1, 0xffff, v1
	v_and_b32_e32 v5, 7, v1
	v_ffbh_u32_e32 v7, v5
	v_min_u32_e32 v7, 32, v7
	v_subrev_u32_e32 v9, 28, v7
	v_bfe_u32 v6, v1, 3, 4
	v_lshlrev_b32_e32 v1, v9, v1
	v_sub_u32_e32 v7, 29, v7
	v_and_b32_e32 v1, 7, v1
	v_cmp_eq_u32_e32 vcc, 0, v6
	v_and_b32_e32 v4, 0x80000000, v4
	s_nop 0
	v_cndmask_b32_e32 v6, v6, v7, vcc
	v_cndmask_b32_e32 v1, v5, v1, vcc
	v_mov_b32_e32 v5, 0x3b800000
	v_lshlrev_b32_e32 v1, 20, v1
	v_lshl_add_u32 v5, v6, 23, v5
	v_or3_b32 v4, v4, v5, v1
.LBB537_462:
	s_or_b64 exec, exec, s[6:7]
	v_bfe_u32 v1, v4, 16, 1
	s_movk_i32 s2, 0x7fff
	v_add3_u32 v1, v4, v1, s2
	v_cmp_o_f32_e32 vcc, v4, v4
	v_mov_b32_e32 v4, 0x7fc0
	s_nop 0
	v_cndmask_b32_sdwa v1, v4, v1, vcc dst_sel:DWORD dst_unused:UNUSED_PAD src0_sel:DWORD src1_sel:WORD_1
.LBB537_463:
	s_mov_b64 s[2:3], -1
.LBB537_464:
	s_mov_b64 s[6:7], 0
.LBB537_465:
	s_and_b64 vcc, exec, s[6:7]
	s_cbranch_vccz .LBB537_500
; %bb.466:
	s_cmp_gt_i32 s10, 22
	s_cbranch_scc0 .LBB537_476
; %bb.467:
	s_cmp_lt_i32 s10, 24
	s_cbranch_scc1 .LBB537_479
; %bb.468:
	s_cmp_gt_i32 s10, 24
	s_cbranch_scc0 .LBB537_480
; %bb.469:
	global_load_ubyte v1, v[2:3], off
	s_movk_i32 s2, 0x7f
	s_waitcnt vmcnt(0)
	v_cmp_lt_i16_e32 vcc, s2, v1
	s_mov_b64 s[2:3], 0
	s_and_saveexec_b64 s[6:7], vcc
	s_xor_b64 s[6:7], exec, s[6:7]
	s_cbranch_execz .LBB537_492
; %bb.470:
	s_movk_i32 s2, 0x80
	v_cmp_eq_u16_e32 vcc, s2, v1
	s_mov_b64 s[2:3], -1
	s_and_saveexec_b64 s[8:9], vcc
; %bb.471:
	s_xor_b64 s[2:3], exec, -1
; %bb.472:
	s_or_b64 exec, exec, s[8:9]
	s_and_b64 s[2:3], s[2:3], exec
	s_or_saveexec_b64 s[6:7], s[6:7]
	v_mov_b32_e32 v4, 0x7f800001
	s_xor_b64 exec, exec, s[6:7]
	s_cbranch_execnz .LBB537_493
.LBB537_473:
	s_or_b64 exec, exec, s[6:7]
	s_and_saveexec_b64 s[6:7], s[2:3]
	s_cbranch_execz .LBB537_475
.LBB537_474:
	v_lshlrev_b32_e32 v4, 24, v1
	v_and_b32_e32 v1, 0xffff, v1
	v_and_b32_e32 v5, 3, v1
	v_ffbh_u32_e32 v7, v5
	v_min_u32_e32 v7, 32, v7
	v_subrev_u32_e32 v9, 29, v7
	v_bfe_u32 v6, v1, 2, 5
	v_lshlrev_b32_e32 v1, v9, v1
	v_sub_u32_e32 v7, 30, v7
	v_and_b32_e32 v1, 3, v1
	v_cmp_eq_u32_e32 vcc, 0, v6
	v_and_b32_e32 v4, 0x80000000, v4
	s_nop 0
	v_cndmask_b32_e32 v6, v6, v7, vcc
	v_cndmask_b32_e32 v1, v5, v1, vcc
	v_mov_b32_e32 v5, 0x37800000
	v_lshlrev_b32_e32 v1, 21, v1
	v_lshl_add_u32 v5, v6, 23, v5
	v_or3_b32 v4, v4, v5, v1
.LBB537_475:
	s_or_b64 exec, exec, s[6:7]
	v_bfe_u32 v1, v4, 16, 1
	s_movk_i32 s2, 0x7fff
	v_add3_u32 v1, v4, v1, s2
	v_cmp_o_f32_e32 vcc, v4, v4
	v_mov_b32_e32 v4, 0x7fc0
	s_mov_b64 s[2:3], 0
	v_cndmask_b32_sdwa v1, v4, v1, vcc dst_sel:DWORD dst_unused:UNUSED_PAD src0_sel:DWORD src1_sel:WORD_1
	s_branch .LBB537_481
.LBB537_476:
	s_mov_b64 s[6:7], -1
                                        ; implicit-def: $vgpr1
	s_branch .LBB537_487
.LBB537_477:
	s_or_saveexec_b64 s[6:7], s[6:7]
	v_mov_b32_e32 v4, 0x7f800001
	s_xor_b64 exec, exec, s[6:7]
	s_cbranch_execz .LBB537_460
.LBB537_478:
	v_cmp_ne_u16_e32 vcc, 0, v1
	s_andn2_b64 s[2:3], s[2:3], exec
	s_and_b64 s[8:9], vcc, exec
	v_mov_b32_e32 v4, 0
	s_or_b64 s[2:3], s[2:3], s[8:9]
	s_or_b64 exec, exec, s[6:7]
	s_and_saveexec_b64 s[6:7], s[2:3]
	s_cbranch_execnz .LBB537_461
	s_branch .LBB537_462
.LBB537_479:
	s_mov_b64 s[2:3], -1
                                        ; implicit-def: $vgpr1
	s_branch .LBB537_484
.LBB537_480:
	s_mov_b64 s[2:3], -1
                                        ; implicit-def: $vgpr1
.LBB537_481:
	s_and_b64 vcc, exec, s[2:3]
	s_cbranch_vccz .LBB537_483
; %bb.482:
	global_load_ubyte v1, v[2:3], off
	s_mov_b32 s2, 0x7f800000
	s_brev_b32 s3, 1
	s_movk_i32 s6, 0x7fff
	s_waitcnt vmcnt(0)
	v_lshlrev_b32_e32 v1, 24, v1
	v_and_b32_e32 v4, 0x7f000000, v1
	v_ffbh_u32_e32 v5, v4
	v_min_u32_e32 v5, 32, v5
	v_sub_u32_e64 v5, v5, 4 clamp
	v_lshlrev_b32_e32 v7, v5, v4
	v_lshlrev_b32_e32 v5, 23, v5
	v_lshrrev_b32_e32 v7, 4, v7
	v_add_u32_e32 v6, 0x1000000, v4
	v_sub_u32_e32 v5, v7, v5
	v_ashrrev_i32_e32 v6, 8, v6
	v_add_u32_e32 v5, 0x3c000000, v5
	v_and_or_b32 v5, v6, s2, v5
	v_cmp_ne_u32_e32 vcc, 0, v4
	s_nop 1
	v_cndmask_b32_e32 v4, 0, v5, vcc
	v_and_or_b32 v1, v1, s3, v4
	v_bfe_u32 v4, v4, 16, 1
	v_add3_u32 v4, v1, v4, s6
	v_cmp_o_f32_e32 vcc, v1, v1
	v_mov_b32_e32 v1, 0x7fc0
	s_nop 0
	v_cndmask_b32_sdwa v1, v1, v4, vcc dst_sel:DWORD dst_unused:UNUSED_PAD src0_sel:DWORD src1_sel:WORD_1
.LBB537_483:
	s_mov_b64 s[2:3], 0
.LBB537_484:
	s_andn2_b64 vcc, exec, s[2:3]
	s_cbranch_vccnz .LBB537_486
; %bb.485:
	global_load_ubyte v1, v[2:3], off
	s_movk_i32 s2, 0x7f00
	s_brev_b32 s3, 16
	s_brev_b32 s6, 1
	s_movk_i32 s7, 0x7fff
	s_waitcnt vmcnt(0)
	v_lshlrev_b16_e32 v4, 8, v1
	v_lshlrev_b32_e32 v1, 25, v1
	v_lshrrev_b32_e32 v5, 4, v1
	v_and_or_b32 v6, v4, s2, 0.5
	v_or_b32_e32 v5, 0x70000000, v5
	v_add_f32_e32 v6, -0.5, v6
	v_mul_f32_e32 v5, 0x7800000, v5
	v_cmp_gt_u32_e32 vcc, s3, v1
	v_bfe_i32 v4, v4, 0, 16
	s_nop 0
	v_cndmask_b32_e32 v1, v5, v6, vcc
	v_and_or_b32 v4, v4, s6, v1
	v_bfe_u32 v1, v1, 16, 1
	v_add3_u32 v1, v4, v1, s7
	v_cmp_o_f32_e32 vcc, v4, v4
	v_mov_b32_e32 v4, 0x7fc0
	s_nop 0
	v_cndmask_b32_sdwa v1, v4, v1, vcc dst_sel:DWORD dst_unused:UNUSED_PAD src0_sel:DWORD src1_sel:WORD_1
.LBB537_486:
	s_mov_b64 s[6:7], 0
	s_mov_b64 s[2:3], -1
.LBB537_487:
	s_andn2_b64 vcc, exec, s[6:7]
	s_cbranch_vccnz .LBB537_500
; %bb.488:
	s_cmp_gt_i32 s10, 14
	s_cbranch_scc0 .LBB537_491
; %bb.489:
	s_cmp_eq_u32 s10, 15
	s_cbranch_scc0 .LBB537_494
; %bb.490:
	global_load_ushort v1, v[2:3], off
	s_mov_b64 s[2:3], -1
	s_mov_b64 s[4:5], 0
	s_branch .LBB537_495
.LBB537_491:
	s_mov_b64 s[6:7], -1
                                        ; implicit-def: $vgpr1
	s_branch .LBB537_496
.LBB537_492:
	s_or_saveexec_b64 s[6:7], s[6:7]
	v_mov_b32_e32 v4, 0x7f800001
	s_xor_b64 exec, exec, s[6:7]
	s_cbranch_execz .LBB537_473
.LBB537_493:
	v_cmp_ne_u16_e32 vcc, 0, v1
	s_andn2_b64 s[2:3], s[2:3], exec
	s_and_b64 s[8:9], vcc, exec
	v_mov_b32_e32 v4, 0
	s_or_b64 s[2:3], s[2:3], s[8:9]
	s_or_b64 exec, exec, s[6:7]
	s_and_saveexec_b64 s[6:7], s[2:3]
	s_cbranch_execnz .LBB537_474
	s_branch .LBB537_475
.LBB537_494:
	s_mov_b64 s[4:5], -1
                                        ; implicit-def: $vgpr1
.LBB537_495:
	s_mov_b64 s[6:7], 0
.LBB537_496:
	s_and_b64 vcc, exec, s[6:7]
	s_cbranch_vccz .LBB537_500
; %bb.497:
	s_cmp_eq_u32 s10, 11
	s_cbranch_scc0 .LBB537_499
; %bb.498:
	global_load_ubyte v1, v[2:3], off
	s_mov_b64 s[2:3], -1
	s_mov_b64 s[4:5], 0
	s_waitcnt vmcnt(0)
	v_cmp_ne_u16_e32 vcc, 0, v1
	s_nop 1
	v_cndmask_b32_e64 v1, 0, 1.0, vcc
	v_lshrrev_b32_e32 v1, 16, v1
	s_branch .LBB537_500
.LBB537_499:
	s_mov_b64 s[4:5], -1
                                        ; implicit-def: $vgpr1
.LBB537_500:
	s_branch .LBB537_299
.LBB537_501:
	s_cmp_lt_i32 s10, 5
	s_cbranch_scc1 .LBB537_506
; %bb.502:
	s_cmp_lt_i32 s10, 8
	s_cbranch_scc1 .LBB537_507
; %bb.503:
	;; [unrolled: 3-line block ×3, first 2 shown]
	s_cmp_gt_i32 s10, 9
	s_cbranch_scc0 .LBB537_509
; %bb.505:
	global_load_dwordx2 v[4:5], v[2:3], off
	s_movk_i32 s2, 0x7fff
	s_waitcnt vmcnt(1)
	v_mov_b32_e32 v1, 0x7fc0
	s_waitcnt vmcnt(0)
	v_cvt_f32_f64_e32 v4, v[4:5]
	v_bfe_u32 v5, v4, 16, 1
	v_cmp_o_f32_e32 vcc, v4, v4
	v_add3_u32 v4, v4, v5, s2
	s_mov_b64 s[2:3], 0
	v_cndmask_b32_sdwa v1, v1, v4, vcc dst_sel:DWORD dst_unused:UNUSED_PAD src0_sel:DWORD src1_sel:WORD_1
	s_branch .LBB537_510
.LBB537_506:
	s_mov_b64 s[2:3], -1
                                        ; implicit-def: $vgpr1
	s_branch .LBB537_528
.LBB537_507:
	s_mov_b64 s[2:3], -1
                                        ; implicit-def: $vgpr1
	s_branch .LBB537_516
.LBB537_508:
	s_mov_b64 s[2:3], -1
                                        ; implicit-def: $vgpr1
	s_branch .LBB537_513
.LBB537_509:
	s_mov_b64 s[2:3], -1
                                        ; implicit-def: $vgpr1
.LBB537_510:
	s_andn2_b64 vcc, exec, s[2:3]
	s_cbranch_vccnz .LBB537_512
; %bb.511:
	global_load_dword v1, v[2:3], off
	s_movk_i32 s2, 0x7fff
	v_mov_b32_e32 v4, 0x7fc0
	s_waitcnt vmcnt(0)
	v_bfe_u32 v5, v1, 16, 1
	v_cmp_o_f32_e32 vcc, v1, v1
	v_add3_u32 v1, v1, v5, s2
	s_nop 0
	v_cndmask_b32_sdwa v1, v4, v1, vcc dst_sel:DWORD dst_unused:UNUSED_PAD src0_sel:DWORD src1_sel:WORD_1
.LBB537_512:
	s_mov_b64 s[2:3], 0
.LBB537_513:
	s_andn2_b64 vcc, exec, s[2:3]
	s_cbranch_vccnz .LBB537_515
; %bb.514:
	global_load_dword v1, v[2:3], off
	s_movk_i32 s2, 0x7fff
	v_mov_b32_e32 v5, 0x7fc0
	s_waitcnt vmcnt(0)
	v_cvt_f32_f16_e32 v4, v1
	v_cmp_o_f16_e32 vcc, v1, v1
	v_bfe_u32 v1, v4, 16, 1
	v_add3_u32 v1, v4, v1, s2
	v_cndmask_b32_sdwa v1, v5, v1, vcc dst_sel:DWORD dst_unused:UNUSED_PAD src0_sel:DWORD src1_sel:WORD_1
.LBB537_515:
	s_mov_b64 s[2:3], 0
.LBB537_516:
	s_andn2_b64 vcc, exec, s[2:3]
	s_cbranch_vccnz .LBB537_527
; %bb.517:
	s_cmp_lt_i32 s10, 6
	s_cbranch_scc1 .LBB537_520
; %bb.518:
	s_cmp_gt_i32 s10, 6
	s_cbranch_scc0 .LBB537_521
; %bb.519:
	global_load_dwordx2 v[4:5], v[2:3], off
	s_movk_i32 s2, 0x7fff
	s_waitcnt vmcnt(1)
	v_mov_b32_e32 v1, 0x7fc0
	s_waitcnt vmcnt(0)
	v_cvt_f32_f64_e32 v4, v[4:5]
	v_bfe_u32 v5, v4, 16, 1
	v_cmp_o_f32_e32 vcc, v4, v4
	v_add3_u32 v4, v4, v5, s2
	s_mov_b64 s[2:3], 0
	v_cndmask_b32_sdwa v1, v1, v4, vcc dst_sel:DWORD dst_unused:UNUSED_PAD src0_sel:DWORD src1_sel:WORD_1
	s_branch .LBB537_522
.LBB537_520:
	s_mov_b64 s[2:3], -1
                                        ; implicit-def: $vgpr1
	s_branch .LBB537_525
.LBB537_521:
	s_mov_b64 s[2:3], -1
                                        ; implicit-def: $vgpr1
.LBB537_522:
	s_andn2_b64 vcc, exec, s[2:3]
	s_cbranch_vccnz .LBB537_524
; %bb.523:
	global_load_dword v1, v[2:3], off
	s_movk_i32 s2, 0x7fff
	v_mov_b32_e32 v4, 0x7fc0
	s_waitcnt vmcnt(0)
	v_bfe_u32 v5, v1, 16, 1
	v_cmp_o_f32_e32 vcc, v1, v1
	v_add3_u32 v1, v1, v5, s2
	s_nop 0
	v_cndmask_b32_sdwa v1, v4, v1, vcc dst_sel:DWORD dst_unused:UNUSED_PAD src0_sel:DWORD src1_sel:WORD_1
.LBB537_524:
	s_mov_b64 s[2:3], 0
.LBB537_525:
	s_andn2_b64 vcc, exec, s[2:3]
	s_cbranch_vccnz .LBB537_527
; %bb.526:
	global_load_ushort v1, v[2:3], off
	s_movk_i32 s2, 0x7fff
	v_mov_b32_e32 v5, 0x7fc0
	s_waitcnt vmcnt(0)
	v_cvt_f32_f16_e32 v4, v1
	v_cmp_o_f16_e32 vcc, v1, v1
	v_bfe_u32 v1, v4, 16, 1
	v_add3_u32 v1, v4, v1, s2
	v_cndmask_b32_sdwa v1, v5, v1, vcc dst_sel:DWORD dst_unused:UNUSED_PAD src0_sel:DWORD src1_sel:WORD_1
.LBB537_527:
	s_mov_b64 s[2:3], 0
.LBB537_528:
	s_andn2_b64 vcc, exec, s[2:3]
	s_cbranch_vccnz .LBB537_548
; %bb.529:
	s_cmp_lt_i32 s10, 2
	s_cbranch_scc1 .LBB537_533
; %bb.530:
	s_cmp_lt_i32 s10, 3
	s_cbranch_scc1 .LBB537_534
; %bb.531:
	s_cmp_gt_i32 s10, 3
	s_cbranch_scc0 .LBB537_535
; %bb.532:
	global_load_dwordx2 v[4:5], v[2:3], off
	s_movk_i32 s2, 0x7fff
	s_waitcnt vmcnt(0)
	v_xor_b32_e32 v6, v4, v5
	v_ffbh_i32_e32 v1, v5
	v_ashrrev_i32_e32 v6, 31, v6
	v_add_u32_e32 v1, -1, v1
	v_add_u32_e32 v6, 32, v6
	v_min_u32_e32 v1, v1, v6
	v_lshlrev_b64 v[4:5], v1, v[4:5]
	v_min_u32_e32 v4, 1, v4
	v_or_b32_e32 v4, v5, v4
	v_cvt_f32_i32_e32 v4, v4
	v_sub_u32_e32 v1, 32, v1
	v_ldexp_f32 v1, v4, v1
	v_bfe_u32 v4, v1, 16, 1
	v_add3_u32 v1, v1, v4, s2
	v_lshrrev_b32_e32 v1, 16, v1
	s_mov_b64 s[2:3], 0
	s_branch .LBB537_536
.LBB537_533:
	s_mov_b64 s[2:3], -1
                                        ; implicit-def: $vgpr1
	s_branch .LBB537_542
.LBB537_534:
	s_mov_b64 s[2:3], -1
                                        ; implicit-def: $vgpr1
	s_branch .LBB537_539
.LBB537_535:
	s_mov_b64 s[2:3], -1
                                        ; implicit-def: $vgpr1
.LBB537_536:
	s_andn2_b64 vcc, exec, s[2:3]
	s_cbranch_vccnz .LBB537_538
; %bb.537:
	global_load_dword v1, v[2:3], off
	s_movk_i32 s2, 0x7fff
	s_waitcnt vmcnt(0)
	v_cvt_f32_i32_e32 v1, v1
	v_bfe_u32 v4, v1, 16, 1
	v_add3_u32 v1, v1, v4, s2
	v_lshrrev_b32_e32 v1, 16, v1
.LBB537_538:
	s_mov_b64 s[2:3], 0
.LBB537_539:
	s_andn2_b64 vcc, exec, s[2:3]
	s_cbranch_vccnz .LBB537_541
; %bb.540:
	global_load_sshort v1, v[2:3], off
	s_movk_i32 s2, 0x7fff
	s_waitcnt vmcnt(0)
	v_cvt_f32_i32_e32 v1, v1
	v_bfe_u32 v4, v1, 16, 1
	v_add3_u32 v1, v1, v4, s2
	v_lshrrev_b32_e32 v1, 16, v1
.LBB537_541:
	s_mov_b64 s[2:3], 0
.LBB537_542:
	s_andn2_b64 vcc, exec, s[2:3]
	s_cbranch_vccnz .LBB537_548
; %bb.543:
	s_cmp_gt_i32 s10, 0
	s_cbranch_scc0 .LBB537_545
; %bb.544:
	global_load_sbyte v1, v[2:3], off
	s_movk_i32 s2, 0x7fff
	s_waitcnt vmcnt(0)
	v_cvt_f32_i32_e32 v1, v1
	v_bfe_u32 v4, v1, 16, 1
	v_add3_u32 v1, v1, v4, s2
	v_lshrrev_b32_e32 v1, 16, v1
	s_mov_b64 s[2:3], 0
	s_branch .LBB537_546
.LBB537_545:
	s_mov_b64 s[2:3], -1
                                        ; implicit-def: $vgpr1
.LBB537_546:
	s_andn2_b64 vcc, exec, s[2:3]
	s_cbranch_vccnz .LBB537_548
; %bb.547:
	global_load_ubyte v1, v[2:3], off
	s_movk_i32 s2, 0x7fff
	s_waitcnt vmcnt(0)
	v_cvt_f32_ubyte0_e32 v1, v1
	v_bfe_u32 v2, v1, 16, 1
	v_add3_u32 v1, v1, v2, s2
	v_lshrrev_b32_e32 v1, 16, v1
.LBB537_548:
	s_branch .LBB537_300
.LBB537_549:
	s_mov_b64 s[6:7], 0
	s_mov_b64 s[2:3], s[56:57]
.LBB537_550:
                                        ; implicit-def: $vgpr8
.LBB537_551:
	s_andn2_b64 s[8:9], s[56:57], exec
	s_and_b64 s[2:3], s[2:3], exec
	s_or_b64 s[64:65], s[8:9], s[2:3]
	s_andn2_b64 s[2:3], s[58:59], exec
	s_and_b64 s[4:5], s[4:5], exec
	s_or_b64 s[62:63], s[2:3], s[4:5]
	s_orn2_b64 s[2:3], s[6:7], exec
.LBB537_552:
	s_or_b64 exec, exec, s[66:67]
	s_mov_b64 s[4:5], 0
	s_mov_b64 s[6:7], 0
	s_mov_b64 s[8:9], 0
                                        ; implicit-def: $vgpr2_vgpr3
                                        ; implicit-def: $vgpr0
                                        ; implicit-def: $vgpr1
	s_and_saveexec_b64 s[66:67], s[2:3]
	s_cbranch_execz .LBB537_933
; %bb.553:
	v_cmp_gt_i32_e32 vcc, s72, v8
	s_mov_b64 s[6:7], -1
	s_mov_b64 s[2:3], s[62:63]
	s_mov_b64 s[70:71], s[64:65]
	s_and_saveexec_b64 s[68:69], vcc
	s_cbranch_execz .LBB537_832
; %bb.554:
	s_andn2_b64 vcc, exec, s[42:43]
	s_cbranch_vccnz .LBB537_560
; %bb.555:
	s_andn2_b64 vcc, exec, s[54:55]
	s_cbranch_vccnz .LBB537_561
; %bb.556:
	s_add_i32 s79, s78, 1
	s_cmp_eq_u32 s74, 2
	s_cbranch_scc1 .LBB537_562
; %bb.557:
	s_and_b32 s73, s79, 28
	s_mov_b32 s80, 0
	v_mov_b32_e32 v0, 0
	v_mov_b32_e32 v2, 0
	s_mov_b64 s[2:3], s[34:35]
	s_mov_b64 s[70:71], s[52:53]
	v_mov_b32_e32 v4, v8
.LBB537_558:                            ; =>This Inner Loop Header: Depth=1
	s_load_dwordx8 s[12:19], s[2:3], 0x4
	s_load_dwordx4 s[36:39], s[2:3], 0x24
	s_load_dwordx8 s[4:11], s[70:71], 0x0
	s_add_u32 s2, s2, 48
	s_addc_u32 s3, s3, 0
	s_waitcnt vmcnt(0) lgkmcnt(0)
	v_mul_hi_u32 v1, s13, v4
	v_add_u32_e32 v1, v4, v1
	v_lshrrev_b32_e32 v1, s14, v1
	v_mul_lo_u32 v3, v1, s12
	v_mul_hi_u32 v5, s16, v1
	v_sub_u32_e32 v3, v4, v3
	v_add_u32_e32 v4, v1, v5
	v_lshrrev_b32_e32 v4, s17, v4
	v_mul_lo_u32 v6, v4, s15
	v_mul_hi_u32 v7, s19, v4
	v_sub_u32_e32 v1, v1, v6
	v_add_u32_e32 v6, v4, v7
	v_mul_lo_u32 v5, v3, s5
	v_mul_lo_u32 v3, v3, s4
	;; [unrolled: 1-line block ×4, first 2 shown]
	v_lshrrev_b32_e32 v6, s36, v6
	v_add3_u32 v0, v3, v0, v1
	v_mul_hi_u32 v3, s38, v6
	v_add3_u32 v1, v5, v2, v7
	v_mul_lo_u32 v2, v6, s18
	v_add_u32_e32 v3, v6, v3
	v_sub_u32_e32 v2, v4, v2
	v_lshrrev_b32_e32 v4, s39, v3
	s_add_i32 s80, s80, 4
	v_mul_lo_u32 v3, v4, s37
	s_add_u32 s70, s70, 32
	v_sub_u32_e32 v3, v6, v3
	s_addc_u32 s71, s71, 0
	v_mul_lo_u32 v5, v2, s8
	v_mul_lo_u32 v2, v2, s9
	;; [unrolled: 1-line block ×4, first 2 shown]
	s_cmp_eq_u32 s73, s80
	v_add3_u32 v2, v2, v1, v3
	v_add3_u32 v0, v5, v0, v6
	s_cbranch_scc0 .LBB537_558
; %bb.559:
	v_mov_b32_e32 v1, v2
	s_branch .LBB537_563
.LBB537_560:
	s_mov_b64 s[2:3], -1
                                        ; implicit-def: $vgpr2
                                        ; implicit-def: $vgpr0
	s_branch .LBB537_567
.LBB537_561:
	v_mov_b32_e32 v2, 0
	v_mov_b32_e32 v0, 0
	s_branch .LBB537_566
.LBB537_562:
	v_mov_b32_e32 v0, 0
	s_mov_b32 s73, 0
	s_waitcnt vmcnt(0)
	v_mov_b32_e32 v1, v0
                                        ; implicit-def: $vgpr2
	v_mov_b32_e32 v4, v8
.LBB537_563:
	s_and_b32 s6, s79, 3
	s_cmp_eq_u32 s6, 0
	s_cbranch_scc1 .LBB537_566
; %bb.564:
	s_lshl_b32 s2, s73, 3
	s_add_u32 s2, s34, s2
	s_addc_u32 s3, s35, 0
	s_add_u32 s2, s2, 0xc4
	s_addc_u32 s3, s3, 0
	s_mul_i32 s4, s73, 12
	s_add_u32 s4, s34, s4
	s_addc_u32 s5, s35, 0
.LBB537_565:                            ; =>This Inner Loop Header: Depth=1
	s_load_dwordx2 s[8:9], s[4:5], 0x4
	s_load_dword s7, s[4:5], 0xc
	s_load_dwordx2 s[10:11], s[2:3], 0x0
	v_mov_b32_e32 v2, v1
	s_add_u32 s4, s4, 12
	s_waitcnt lgkmcnt(0)
	v_mul_hi_u32 v1, s9, v4
	v_add_u32_e32 v1, v4, v1
	v_lshrrev_b32_e32 v1, s7, v1
	s_addc_u32 s5, s5, 0
	v_mul_lo_u32 v3, v1, s8
	s_add_u32 s2, s2, 8
	v_sub_u32_e32 v5, v4, v3
	s_addc_u32 s3, s3, 0
	s_add_i32 s6, s6, -1
	v_mov_b32_e32 v4, v1
	v_mad_u64_u32 v[2:3], s[8:9], v5, s11, v[2:3]
	v_mad_u64_u32 v[0:1], s[8:9], v5, s10, v[0:1]
	s_cmp_lg_u32 s6, 0
	v_mov_b32_e32 v1, v2
	s_cbranch_scc1 .LBB537_565
.LBB537_566:
	s_mov_b64 s[2:3], 0
.LBB537_567:
	s_andn2_b64 vcc, exec, s[2:3]
	s_cbranch_vccnz .LBB537_570
; %bb.568:
	v_mul_hi_u32 v0, s25, v8
	v_add_u32_e32 v0, v8, v0
	s_waitcnt vmcnt(0)
	v_lshrrev_b32_e32 v1, s26, v0
	v_mul_lo_u32 v0, v1, s24
	v_sub_u32_e32 v0, v8, v0
	v_mul_lo_u32 v2, v0, s29
	s_andn2_b64 vcc, exec, s[50:51]
	v_mul_lo_u32 v0, v0, s28
	s_cbranch_vccnz .LBB537_570
; %bb.569:
	v_mul_hi_u32 v3, s48, v1
	v_add_u32_e32 v3, v1, v3
	v_lshrrev_b32_e32 v3, s49, v3
	v_mul_lo_u32 v3, v3, s27
	v_sub_u32_e32 v3, v1, v3
	v_mad_u64_u32 v[0:1], s[2:3], v3, s30, v[0:1]
	v_mad_u64_u32 v[2:3], s[2:3], v3, s31, v[2:3]
.LBB537_570:
	v_mov_b32_e32 v3, 0
	s_and_b32 s10, 0xffff, s77
	s_cmp_lt_i32 s10, 11
	v_lshl_add_u64 v[2:3], s[22:23], 0, v[2:3]
	s_cbranch_scc1 .LBB537_577
; %bb.571:
	s_cmp_gt_i32 s10, 25
	s_cbranch_scc0 .LBB537_578
; %bb.572:
	s_cmp_gt_i32 s10, 28
	s_cbranch_scc0 .LBB537_579
; %bb.573:
	s_cmp_gt_i32 s10, 43
	s_cbranch_scc0 .LBB537_580
; %bb.574:
	s_cmp_gt_i32 s10, 45
	s_cbranch_scc0 .LBB537_583
; %bb.575:
	s_cmp_eq_u32 s10, 46
	s_mov_b64 s[6:7], 0
	s_cbranch_scc0 .LBB537_586
; %bb.576:
	global_load_dword v1, v[2:3], off
	s_mov_b64 s[2:3], -1
	s_mov_b64 s[4:5], 0
	s_branch .LBB537_587
.LBB537_577:
	s_mov_b64 s[6:7], -1
	s_mov_b64 s[2:3], 0
                                        ; implicit-def: $vgpr1
	s_mov_b64 s[4:5], s[62:63]
	s_branch .LBB537_652
.LBB537_578:
	s_mov_b64 s[6:7], -1
	s_mov_b64 s[2:3], 0
	s_mov_b64 s[4:5], s[62:63]
                                        ; implicit-def: $vgpr1
	s_branch .LBB537_616
.LBB537_579:
	s_mov_b64 s[6:7], -1
	s_mov_b64 s[2:3], 0
	s_mov_b64 s[4:5], s[62:63]
                                        ; implicit-def: $vgpr1
	s_branch .LBB537_597
.LBB537_580:
	s_mov_b64 s[6:7], -1
	s_mov_b64 s[2:3], 0
	s_mov_b64 s[4:5], s[62:63]
                                        ; implicit-def: $vgpr1
	s_branch .LBB537_592
.LBB537_581:
	s_andn2_saveexec_b64 s[10:11], s[10:11]
	s_cbranch_execz .LBB537_349
.LBB537_582:
	s_mov_b32 s14, 0x46000000
	v_add_f32_e64 v4, |v5|, s14
	v_and_b32_e32 v4, 0xff, v4
	v_cmp_ne_u32_e32 vcc, 0, v4
	s_andn2_b64 s[8:9], s[8:9], exec
	s_and_b64 s[14:15], vcc, exec
	s_or_b64 s[8:9], s[8:9], s[14:15]
	s_or_b64 exec, exec, s[10:11]
	v_mov_b32_e32 v6, 0
	s_and_saveexec_b64 s[10:11], s[8:9]
	s_cbranch_execnz .LBB537_350
	s_branch .LBB537_351
.LBB537_583:
	s_mov_b64 s[6:7], -1
	s_mov_b64 s[2:3], 0
	s_mov_b64 s[4:5], s[62:63]
                                        ; implicit-def: $vgpr1
	s_branch .LBB537_587
.LBB537_584:
	s_andn2_saveexec_b64 s[10:11], s[10:11]
	s_cbranch_execz .LBB537_362
.LBB537_585:
	s_mov_b32 s14, 0x42800000
	v_add_f32_e64 v4, |v5|, s14
	v_and_b32_e32 v4, 0xff, v4
	v_cmp_ne_u32_e32 vcc, 0, v4
	s_andn2_b64 s[8:9], s[8:9], exec
	s_and_b64 s[14:15], vcc, exec
	s_or_b64 s[8:9], s[8:9], s[14:15]
	s_or_b64 exec, exec, s[10:11]
	v_mov_b32_e32 v6, 0
	s_and_saveexec_b64 s[10:11], s[8:9]
	s_cbranch_execnz .LBB537_363
	s_branch .LBB537_364
.LBB537_586:
	s_mov_b64 s[4:5], -1
                                        ; implicit-def: $vgpr1
	s_mov_b64 s[2:3], 0
.LBB537_587:
	s_and_b64 vcc, exec, s[6:7]
	s_cbranch_vccz .LBB537_591
; %bb.588:
	s_cmp_eq_u32 s10, 44
	s_cbranch_scc0 .LBB537_590
; %bb.589:
	global_load_ubyte v1, v[2:3], off
	s_movk_i32 s4, 0xff
	v_mov_b32_e32 v4, 0x7f800001
	v_mov_b32_e32 v5, 0x400000
	;; [unrolled: 1-line block ×3, first 2 shown]
	s_mov_b64 s[2:3], -1
	s_waitcnt vmcnt(0)
	v_lshlrev_b32_e32 v7, 23, v1
	v_cmp_ne_u32_e32 vcc, s4, v1
	s_mov_b64 s[4:5], 0
	s_nop 0
	v_cndmask_b32_e32 v4, v4, v7, vcc
	v_cmp_ne_u32_e32 vcc, 0, v1
	s_nop 1
	v_cndmask_b32_e32 v1, v5, v4, vcc
	v_add_u32_e32 v4, 0x7fff, v1
	v_cmp_o_f32_e32 vcc, v1, v1
	s_nop 1
	v_cndmask_b32_sdwa v1, v6, v4, vcc dst_sel:DWORD dst_unused:UNUSED_PAD src0_sel:DWORD src1_sel:WORD_1
	s_branch .LBB537_591
.LBB537_590:
	s_mov_b64 s[4:5], -1
                                        ; implicit-def: $vgpr1
.LBB537_591:
	s_mov_b64 s[6:7], 0
.LBB537_592:
	s_and_b64 vcc, exec, s[6:7]
	s_cbranch_vccz .LBB537_596
; %bb.593:
	s_cmp_eq_u32 s10, 29
	s_cbranch_scc0 .LBB537_595
; %bb.594:
	global_load_dwordx2 v[4:5], v[2:3], off
	s_movk_i32 s4, 0x7fff
	s_mov_b64 s[2:3], -1
	s_mov_b64 s[6:7], 0
	s_waitcnt vmcnt(0)
	v_ffbh_u32_e32 v1, v5
	v_min_u32_e32 v1, 32, v1
	v_lshlrev_b64 v[4:5], v1, v[4:5]
	v_min_u32_e32 v4, 1, v4
	v_or_b32_e32 v4, v5, v4
	v_cvt_f32_u32_e32 v4, v4
	v_sub_u32_e32 v1, 32, v1
	v_ldexp_f32 v1, v4, v1
	v_bfe_u32 v4, v1, 16, 1
	v_add3_u32 v1, v1, v4, s4
	v_lshrrev_b32_e32 v1, 16, v1
	s_mov_b64 s[4:5], 0
	s_branch .LBB537_597
.LBB537_595:
	s_mov_b64 s[4:5], -1
                                        ; implicit-def: $vgpr1
.LBB537_596:
	s_mov_b64 s[6:7], 0
.LBB537_597:
	s_and_b64 vcc, exec, s[6:7]
	s_cbranch_vccz .LBB537_615
; %bb.598:
	s_cmp_lt_i32 s10, 27
	s_cbranch_scc1 .LBB537_601
; %bb.599:
	s_cmp_gt_i32 s10, 27
	s_cbranch_scc0 .LBB537_602
; %bb.600:
	global_load_dword v1, v[2:3], off
	s_movk_i32 s2, 0x7fff
	s_waitcnt vmcnt(0)
	v_cvt_f32_u32_e32 v1, v1
	v_bfe_u32 v4, v1, 16, 1
	v_add3_u32 v1, v1, v4, s2
	v_lshrrev_b32_e32 v1, 16, v1
	s_mov_b64 s[2:3], 0
	s_branch .LBB537_603
.LBB537_601:
	s_mov_b64 s[2:3], -1
                                        ; implicit-def: $vgpr1
	s_branch .LBB537_606
.LBB537_602:
	s_mov_b64 s[2:3], -1
                                        ; implicit-def: $vgpr1
.LBB537_603:
	s_andn2_b64 vcc, exec, s[2:3]
	s_cbranch_vccnz .LBB537_605
; %bb.604:
	global_load_ushort v1, v[2:3], off
	s_movk_i32 s2, 0x7fff
	s_waitcnt vmcnt(0)
	v_cvt_f32_u32_e32 v1, v1
	v_bfe_u32 v4, v1, 16, 1
	v_add3_u32 v1, v1, v4, s2
	v_lshrrev_b32_e32 v1, 16, v1
.LBB537_605:
	s_mov_b64 s[2:3], 0
.LBB537_606:
	s_andn2_b64 vcc, exec, s[2:3]
	s_cbranch_vccnz .LBB537_614
; %bb.607:
	global_load_ubyte v1, v[2:3], off
	s_movk_i32 s2, 0x7f
	s_waitcnt vmcnt(0)
	v_cmp_lt_i16_e32 vcc, s2, v1
	s_mov_b64 s[2:3], 0
	s_and_saveexec_b64 s[6:7], vcc
	s_xor_b64 s[6:7], exec, s[6:7]
	s_cbranch_execz .LBB537_628
; %bb.608:
	s_movk_i32 s2, 0x80
	v_cmp_eq_u16_e32 vcc, s2, v1
	s_mov_b64 s[2:3], -1
	s_and_saveexec_b64 s[8:9], vcc
; %bb.609:
	s_xor_b64 s[2:3], exec, -1
; %bb.610:
	s_or_b64 exec, exec, s[8:9]
	s_and_b64 s[2:3], s[2:3], exec
	s_or_saveexec_b64 s[6:7], s[6:7]
	v_mov_b32_e32 v4, 0x7f800001
	s_xor_b64 exec, exec, s[6:7]
	s_cbranch_execnz .LBB537_629
.LBB537_611:
	s_or_b64 exec, exec, s[6:7]
	s_and_saveexec_b64 s[6:7], s[2:3]
	s_cbranch_execz .LBB537_613
.LBB537_612:
	v_lshlrev_b32_e32 v4, 24, v1
	v_and_b32_e32 v1, 0xffff, v1
	v_and_b32_e32 v5, 7, v1
	v_ffbh_u32_e32 v7, v5
	v_min_u32_e32 v7, 32, v7
	v_subrev_u32_e32 v9, 28, v7
	v_bfe_u32 v6, v1, 3, 4
	v_lshlrev_b32_e32 v1, v9, v1
	v_sub_u32_e32 v7, 29, v7
	v_and_b32_e32 v1, 7, v1
	v_cmp_eq_u32_e32 vcc, 0, v6
	v_and_b32_e32 v4, 0x80000000, v4
	s_nop 0
	v_cndmask_b32_e32 v6, v6, v7, vcc
	v_cndmask_b32_e32 v1, v5, v1, vcc
	v_mov_b32_e32 v5, 0x3b800000
	v_lshlrev_b32_e32 v1, 20, v1
	v_lshl_add_u32 v5, v6, 23, v5
	v_or3_b32 v4, v4, v5, v1
.LBB537_613:
	s_or_b64 exec, exec, s[6:7]
	v_bfe_u32 v1, v4, 16, 1
	s_movk_i32 s2, 0x7fff
	v_add3_u32 v1, v4, v1, s2
	v_cmp_o_f32_e32 vcc, v4, v4
	v_mov_b32_e32 v4, 0x7fc0
	s_nop 0
	v_cndmask_b32_sdwa v1, v4, v1, vcc dst_sel:DWORD dst_unused:UNUSED_PAD src0_sel:DWORD src1_sel:WORD_1
.LBB537_614:
	s_mov_b64 s[2:3], -1
.LBB537_615:
	s_mov_b64 s[6:7], 0
.LBB537_616:
	s_and_b64 vcc, exec, s[6:7]
	s_cbranch_vccz .LBB537_651
; %bb.617:
	s_cmp_gt_i32 s10, 22
	s_cbranch_scc0 .LBB537_627
; %bb.618:
	s_cmp_lt_i32 s10, 24
	s_cbranch_scc1 .LBB537_630
; %bb.619:
	s_cmp_gt_i32 s10, 24
	s_cbranch_scc0 .LBB537_631
; %bb.620:
	global_load_ubyte v1, v[2:3], off
	s_movk_i32 s2, 0x7f
	s_waitcnt vmcnt(0)
	v_cmp_lt_i16_e32 vcc, s2, v1
	s_mov_b64 s[2:3], 0
	s_and_saveexec_b64 s[6:7], vcc
	s_xor_b64 s[6:7], exec, s[6:7]
	s_cbranch_execz .LBB537_643
; %bb.621:
	s_movk_i32 s2, 0x80
	v_cmp_eq_u16_e32 vcc, s2, v1
	s_mov_b64 s[2:3], -1
	s_and_saveexec_b64 s[8:9], vcc
; %bb.622:
	s_xor_b64 s[2:3], exec, -1
; %bb.623:
	s_or_b64 exec, exec, s[8:9]
	s_and_b64 s[2:3], s[2:3], exec
	s_or_saveexec_b64 s[6:7], s[6:7]
	v_mov_b32_e32 v4, 0x7f800001
	s_xor_b64 exec, exec, s[6:7]
	s_cbranch_execnz .LBB537_644
.LBB537_624:
	s_or_b64 exec, exec, s[6:7]
	s_and_saveexec_b64 s[6:7], s[2:3]
	s_cbranch_execz .LBB537_626
.LBB537_625:
	v_lshlrev_b32_e32 v4, 24, v1
	v_and_b32_e32 v1, 0xffff, v1
	v_and_b32_e32 v5, 3, v1
	v_ffbh_u32_e32 v7, v5
	v_min_u32_e32 v7, 32, v7
	v_subrev_u32_e32 v9, 29, v7
	v_bfe_u32 v6, v1, 2, 5
	v_lshlrev_b32_e32 v1, v9, v1
	v_sub_u32_e32 v7, 30, v7
	v_and_b32_e32 v1, 3, v1
	v_cmp_eq_u32_e32 vcc, 0, v6
	v_and_b32_e32 v4, 0x80000000, v4
	s_nop 0
	v_cndmask_b32_e32 v6, v6, v7, vcc
	v_cndmask_b32_e32 v1, v5, v1, vcc
	v_mov_b32_e32 v5, 0x37800000
	v_lshlrev_b32_e32 v1, 21, v1
	v_lshl_add_u32 v5, v6, 23, v5
	v_or3_b32 v4, v4, v5, v1
.LBB537_626:
	s_or_b64 exec, exec, s[6:7]
	v_bfe_u32 v1, v4, 16, 1
	s_movk_i32 s2, 0x7fff
	v_add3_u32 v1, v4, v1, s2
	v_cmp_o_f32_e32 vcc, v4, v4
	v_mov_b32_e32 v4, 0x7fc0
	s_mov_b64 s[2:3], 0
	v_cndmask_b32_sdwa v1, v4, v1, vcc dst_sel:DWORD dst_unused:UNUSED_PAD src0_sel:DWORD src1_sel:WORD_1
	s_branch .LBB537_632
.LBB537_627:
	s_mov_b64 s[6:7], -1
                                        ; implicit-def: $vgpr1
	s_branch .LBB537_638
.LBB537_628:
	s_or_saveexec_b64 s[6:7], s[6:7]
	v_mov_b32_e32 v4, 0x7f800001
	s_xor_b64 exec, exec, s[6:7]
	s_cbranch_execz .LBB537_611
.LBB537_629:
	v_cmp_ne_u16_e32 vcc, 0, v1
	s_andn2_b64 s[2:3], s[2:3], exec
	s_and_b64 s[8:9], vcc, exec
	v_mov_b32_e32 v4, 0
	s_or_b64 s[2:3], s[2:3], s[8:9]
	s_or_b64 exec, exec, s[6:7]
	s_and_saveexec_b64 s[6:7], s[2:3]
	s_cbranch_execnz .LBB537_612
	s_branch .LBB537_613
.LBB537_630:
	s_mov_b64 s[2:3], -1
                                        ; implicit-def: $vgpr1
	s_branch .LBB537_635
.LBB537_631:
	s_mov_b64 s[2:3], -1
                                        ; implicit-def: $vgpr1
.LBB537_632:
	s_and_b64 vcc, exec, s[2:3]
	s_cbranch_vccz .LBB537_634
; %bb.633:
	global_load_ubyte v1, v[2:3], off
	s_mov_b32 s2, 0x7f800000
	s_brev_b32 s3, 1
	s_movk_i32 s6, 0x7fff
	s_waitcnt vmcnt(0)
	v_lshlrev_b32_e32 v1, 24, v1
	v_and_b32_e32 v4, 0x7f000000, v1
	v_ffbh_u32_e32 v5, v4
	v_min_u32_e32 v5, 32, v5
	v_sub_u32_e64 v5, v5, 4 clamp
	v_lshlrev_b32_e32 v7, v5, v4
	v_lshlrev_b32_e32 v5, 23, v5
	v_lshrrev_b32_e32 v7, 4, v7
	v_add_u32_e32 v6, 0x1000000, v4
	v_sub_u32_e32 v5, v7, v5
	v_ashrrev_i32_e32 v6, 8, v6
	v_add_u32_e32 v5, 0x3c000000, v5
	v_and_or_b32 v5, v6, s2, v5
	v_cmp_ne_u32_e32 vcc, 0, v4
	s_nop 1
	v_cndmask_b32_e32 v4, 0, v5, vcc
	v_and_or_b32 v1, v1, s3, v4
	v_bfe_u32 v4, v4, 16, 1
	v_add3_u32 v4, v1, v4, s6
	v_cmp_o_f32_e32 vcc, v1, v1
	v_mov_b32_e32 v1, 0x7fc0
	s_nop 0
	v_cndmask_b32_sdwa v1, v1, v4, vcc dst_sel:DWORD dst_unused:UNUSED_PAD src0_sel:DWORD src1_sel:WORD_1
.LBB537_634:
	s_mov_b64 s[2:3], 0
.LBB537_635:
	s_andn2_b64 vcc, exec, s[2:3]
	s_cbranch_vccnz .LBB537_637
; %bb.636:
	global_load_ubyte v1, v[2:3], off
	s_movk_i32 s2, 0x7f00
	s_brev_b32 s3, 16
	s_brev_b32 s6, 1
	s_movk_i32 s7, 0x7fff
	s_waitcnt vmcnt(0)
	v_lshlrev_b16_e32 v4, 8, v1
	v_lshlrev_b32_e32 v1, 25, v1
	v_lshrrev_b32_e32 v5, 4, v1
	v_and_or_b32 v6, v4, s2, 0.5
	v_or_b32_e32 v5, 0x70000000, v5
	v_add_f32_e32 v6, -0.5, v6
	v_mul_f32_e32 v5, 0x7800000, v5
	v_cmp_gt_u32_e32 vcc, s3, v1
	v_bfe_i32 v4, v4, 0, 16
	s_nop 0
	v_cndmask_b32_e32 v1, v5, v6, vcc
	v_and_or_b32 v4, v4, s6, v1
	v_bfe_u32 v1, v1, 16, 1
	v_add3_u32 v1, v4, v1, s7
	v_cmp_o_f32_e32 vcc, v4, v4
	v_mov_b32_e32 v4, 0x7fc0
	s_nop 0
	v_cndmask_b32_sdwa v1, v4, v1, vcc dst_sel:DWORD dst_unused:UNUSED_PAD src0_sel:DWORD src1_sel:WORD_1
.LBB537_637:
	s_mov_b64 s[6:7], 0
	s_mov_b64 s[2:3], -1
.LBB537_638:
	s_andn2_b64 vcc, exec, s[6:7]
	s_cbranch_vccnz .LBB537_651
; %bb.639:
	s_cmp_gt_i32 s10, 14
	s_cbranch_scc0 .LBB537_642
; %bb.640:
	s_cmp_eq_u32 s10, 15
	s_cbranch_scc0 .LBB537_645
; %bb.641:
	global_load_ushort v1, v[2:3], off
	s_mov_b64 s[2:3], -1
	s_mov_b64 s[4:5], 0
	s_branch .LBB537_646
.LBB537_642:
	s_mov_b64 s[6:7], -1
                                        ; implicit-def: $vgpr1
	s_branch .LBB537_647
.LBB537_643:
	s_or_saveexec_b64 s[6:7], s[6:7]
	v_mov_b32_e32 v4, 0x7f800001
	s_xor_b64 exec, exec, s[6:7]
	s_cbranch_execz .LBB537_624
.LBB537_644:
	v_cmp_ne_u16_e32 vcc, 0, v1
	s_andn2_b64 s[2:3], s[2:3], exec
	s_and_b64 s[8:9], vcc, exec
	v_mov_b32_e32 v4, 0
	s_or_b64 s[2:3], s[2:3], s[8:9]
	s_or_b64 exec, exec, s[6:7]
	s_and_saveexec_b64 s[6:7], s[2:3]
	s_cbranch_execnz .LBB537_625
	s_branch .LBB537_626
.LBB537_645:
	s_mov_b64 s[4:5], -1
                                        ; implicit-def: $vgpr1
.LBB537_646:
	s_mov_b64 s[6:7], 0
.LBB537_647:
	s_and_b64 vcc, exec, s[6:7]
	s_cbranch_vccz .LBB537_651
; %bb.648:
	s_cmp_eq_u32 s10, 11
	s_cbranch_scc0 .LBB537_650
; %bb.649:
	global_load_ubyte v1, v[2:3], off
	s_mov_b64 s[2:3], -1
	s_mov_b64 s[4:5], 0
	s_waitcnt vmcnt(0)
	v_cmp_ne_u16_e32 vcc, 0, v1
	s_nop 1
	v_cndmask_b32_e64 v1, 0, 1.0, vcc
	v_lshrrev_b32_e32 v1, 16, v1
	s_branch .LBB537_651
.LBB537_650:
	s_mov_b64 s[4:5], -1
                                        ; implicit-def: $vgpr1
.LBB537_651:
	s_mov_b64 s[6:7], 0
.LBB537_652:
	s_and_b64 vcc, exec, s[6:7]
	s_cbranch_vccz .LBB537_701
; %bb.653:
	s_cmp_lt_i32 s10, 5
	s_cbranch_scc1 .LBB537_658
; %bb.654:
	s_cmp_lt_i32 s10, 8
	s_cbranch_scc1 .LBB537_659
	;; [unrolled: 3-line block ×3, first 2 shown]
; %bb.656:
	s_cmp_gt_i32 s10, 9
	s_cbranch_scc0 .LBB537_661
; %bb.657:
	global_load_dwordx2 v[4:5], v[2:3], off
	s_movk_i32 s2, 0x7fff
	s_waitcnt vmcnt(1)
	v_mov_b32_e32 v1, 0x7fc0
	s_waitcnt vmcnt(0)
	v_cvt_f32_f64_e32 v4, v[4:5]
	v_bfe_u32 v5, v4, 16, 1
	v_cmp_o_f32_e32 vcc, v4, v4
	v_add3_u32 v4, v4, v5, s2
	s_mov_b64 s[2:3], 0
	v_cndmask_b32_sdwa v1, v1, v4, vcc dst_sel:DWORD dst_unused:UNUSED_PAD src0_sel:DWORD src1_sel:WORD_1
	s_branch .LBB537_662
.LBB537_658:
	s_mov_b64 s[2:3], -1
                                        ; implicit-def: $vgpr1
	s_branch .LBB537_680
.LBB537_659:
	s_mov_b64 s[2:3], -1
                                        ; implicit-def: $vgpr1
	s_branch .LBB537_668
.LBB537_660:
	s_mov_b64 s[2:3], -1
                                        ; implicit-def: $vgpr1
	s_branch .LBB537_665
.LBB537_661:
	s_mov_b64 s[2:3], -1
                                        ; implicit-def: $vgpr1
.LBB537_662:
	s_andn2_b64 vcc, exec, s[2:3]
	s_cbranch_vccnz .LBB537_664
; %bb.663:
	global_load_dword v1, v[2:3], off
	s_movk_i32 s2, 0x7fff
	v_mov_b32_e32 v4, 0x7fc0
	s_waitcnt vmcnt(0)
	v_bfe_u32 v5, v1, 16, 1
	v_cmp_o_f32_e32 vcc, v1, v1
	v_add3_u32 v1, v1, v5, s2
	s_nop 0
	v_cndmask_b32_sdwa v1, v4, v1, vcc dst_sel:DWORD dst_unused:UNUSED_PAD src0_sel:DWORD src1_sel:WORD_1
.LBB537_664:
	s_mov_b64 s[2:3], 0
.LBB537_665:
	s_andn2_b64 vcc, exec, s[2:3]
	s_cbranch_vccnz .LBB537_667
; %bb.666:
	global_load_dword v1, v[2:3], off
	s_movk_i32 s2, 0x7fff
	v_mov_b32_e32 v5, 0x7fc0
	s_waitcnt vmcnt(0)
	v_cvt_f32_f16_e32 v4, v1
	v_cmp_o_f16_e32 vcc, v1, v1
	v_bfe_u32 v1, v4, 16, 1
	v_add3_u32 v1, v4, v1, s2
	v_cndmask_b32_sdwa v1, v5, v1, vcc dst_sel:DWORD dst_unused:UNUSED_PAD src0_sel:DWORD src1_sel:WORD_1
.LBB537_667:
	s_mov_b64 s[2:3], 0
.LBB537_668:
	s_andn2_b64 vcc, exec, s[2:3]
	s_cbranch_vccnz .LBB537_679
; %bb.669:
	s_cmp_lt_i32 s10, 6
	s_cbranch_scc1 .LBB537_672
; %bb.670:
	s_cmp_gt_i32 s10, 6
	s_cbranch_scc0 .LBB537_673
; %bb.671:
	global_load_dwordx2 v[4:5], v[2:3], off
	s_movk_i32 s2, 0x7fff
	s_waitcnt vmcnt(1)
	v_mov_b32_e32 v1, 0x7fc0
	s_waitcnt vmcnt(0)
	v_cvt_f32_f64_e32 v4, v[4:5]
	v_bfe_u32 v5, v4, 16, 1
	v_cmp_o_f32_e32 vcc, v4, v4
	v_add3_u32 v4, v4, v5, s2
	s_mov_b64 s[2:3], 0
	v_cndmask_b32_sdwa v1, v1, v4, vcc dst_sel:DWORD dst_unused:UNUSED_PAD src0_sel:DWORD src1_sel:WORD_1
	s_branch .LBB537_674
.LBB537_672:
	s_mov_b64 s[2:3], -1
                                        ; implicit-def: $vgpr1
	s_branch .LBB537_677
.LBB537_673:
	s_mov_b64 s[2:3], -1
                                        ; implicit-def: $vgpr1
.LBB537_674:
	s_andn2_b64 vcc, exec, s[2:3]
	s_cbranch_vccnz .LBB537_676
; %bb.675:
	global_load_dword v1, v[2:3], off
	s_movk_i32 s2, 0x7fff
	v_mov_b32_e32 v4, 0x7fc0
	s_waitcnt vmcnt(0)
	v_bfe_u32 v5, v1, 16, 1
	v_cmp_o_f32_e32 vcc, v1, v1
	v_add3_u32 v1, v1, v5, s2
	s_nop 0
	v_cndmask_b32_sdwa v1, v4, v1, vcc dst_sel:DWORD dst_unused:UNUSED_PAD src0_sel:DWORD src1_sel:WORD_1
.LBB537_676:
	s_mov_b64 s[2:3], 0
.LBB537_677:
	s_andn2_b64 vcc, exec, s[2:3]
	s_cbranch_vccnz .LBB537_679
; %bb.678:
	global_load_ushort v1, v[2:3], off
	s_movk_i32 s2, 0x7fff
	v_mov_b32_e32 v5, 0x7fc0
	s_waitcnt vmcnt(0)
	v_cvt_f32_f16_e32 v4, v1
	v_cmp_o_f16_e32 vcc, v1, v1
	v_bfe_u32 v1, v4, 16, 1
	v_add3_u32 v1, v4, v1, s2
	v_cndmask_b32_sdwa v1, v5, v1, vcc dst_sel:DWORD dst_unused:UNUSED_PAD src0_sel:DWORD src1_sel:WORD_1
.LBB537_679:
	s_mov_b64 s[2:3], 0
.LBB537_680:
	s_andn2_b64 vcc, exec, s[2:3]
	s_cbranch_vccnz .LBB537_700
; %bb.681:
	s_cmp_lt_i32 s10, 2
	s_cbranch_scc1 .LBB537_685
; %bb.682:
	s_cmp_lt_i32 s10, 3
	s_cbranch_scc1 .LBB537_686
; %bb.683:
	s_cmp_gt_i32 s10, 3
	s_cbranch_scc0 .LBB537_687
; %bb.684:
	global_load_dwordx2 v[4:5], v[2:3], off
	s_movk_i32 s2, 0x7fff
	s_waitcnt vmcnt(0)
	v_xor_b32_e32 v6, v4, v5
	v_ffbh_i32_e32 v1, v5
	v_ashrrev_i32_e32 v6, 31, v6
	v_add_u32_e32 v1, -1, v1
	v_add_u32_e32 v6, 32, v6
	v_min_u32_e32 v1, v1, v6
	v_lshlrev_b64 v[4:5], v1, v[4:5]
	v_min_u32_e32 v4, 1, v4
	v_or_b32_e32 v4, v5, v4
	v_cvt_f32_i32_e32 v4, v4
	v_sub_u32_e32 v1, 32, v1
	v_ldexp_f32 v1, v4, v1
	v_bfe_u32 v4, v1, 16, 1
	v_add3_u32 v1, v1, v4, s2
	v_lshrrev_b32_e32 v1, 16, v1
	s_mov_b64 s[2:3], 0
	s_branch .LBB537_688
.LBB537_685:
	s_mov_b64 s[2:3], -1
                                        ; implicit-def: $vgpr1
	s_branch .LBB537_694
.LBB537_686:
	s_mov_b64 s[2:3], -1
                                        ; implicit-def: $vgpr1
	s_branch .LBB537_691
.LBB537_687:
	s_mov_b64 s[2:3], -1
                                        ; implicit-def: $vgpr1
.LBB537_688:
	s_andn2_b64 vcc, exec, s[2:3]
	s_cbranch_vccnz .LBB537_690
; %bb.689:
	global_load_dword v1, v[2:3], off
	s_movk_i32 s2, 0x7fff
	s_waitcnt vmcnt(0)
	v_cvt_f32_i32_e32 v1, v1
	v_bfe_u32 v4, v1, 16, 1
	v_add3_u32 v1, v1, v4, s2
	v_lshrrev_b32_e32 v1, 16, v1
.LBB537_690:
	s_mov_b64 s[2:3], 0
.LBB537_691:
	s_andn2_b64 vcc, exec, s[2:3]
	s_cbranch_vccnz .LBB537_693
; %bb.692:
	global_load_sshort v1, v[2:3], off
	s_movk_i32 s2, 0x7fff
	s_waitcnt vmcnt(0)
	v_cvt_f32_i32_e32 v1, v1
	v_bfe_u32 v4, v1, 16, 1
	v_add3_u32 v1, v1, v4, s2
	v_lshrrev_b32_e32 v1, 16, v1
.LBB537_693:
	s_mov_b64 s[2:3], 0
.LBB537_694:
	s_andn2_b64 vcc, exec, s[2:3]
	s_cbranch_vccnz .LBB537_700
; %bb.695:
	s_cmp_gt_i32 s10, 0
	s_cbranch_scc0 .LBB537_697
; %bb.696:
	global_load_sbyte v1, v[2:3], off
	s_movk_i32 s2, 0x7fff
	s_waitcnt vmcnt(0)
	v_cvt_f32_i32_e32 v1, v1
	v_bfe_u32 v4, v1, 16, 1
	v_add3_u32 v1, v1, v4, s2
	v_lshrrev_b32_e32 v1, 16, v1
	s_mov_b64 s[2:3], 0
	s_branch .LBB537_698
.LBB537_697:
	s_mov_b64 s[2:3], -1
                                        ; implicit-def: $vgpr1
.LBB537_698:
	s_andn2_b64 vcc, exec, s[2:3]
	s_cbranch_vccnz .LBB537_700
; %bb.699:
	global_load_ubyte v1, v[2:3], off
	s_movk_i32 s2, 0x7fff
	s_waitcnt vmcnt(0)
	v_cvt_f32_ubyte0_e32 v1, v1
	v_bfe_u32 v2, v1, 16, 1
	v_add3_u32 v1, v1, v2, s2
	v_lshrrev_b32_e32 v1, 16, v1
.LBB537_700:
	s_mov_b64 s[2:3], -1
.LBB537_701:
	s_andn2_b64 vcc, exec, s[2:3]
	s_cbranch_vccnz .LBB537_713
; %bb.702:
	s_waitcnt vmcnt(0)
	v_lshlrev_b32_e32 v3, 16, v1
	v_cmp_o_f32_e32 vcc, v3, v3
	v_mov_b32_e32 v2, s46
	s_and_saveexec_b64 s[2:3], vcc
	s_cbranch_execz .LBB537_706
; %bb.703:
	s_mov_b32 s6, 0x7f800000
	v_cmp_neq_f32_e32 vcc, s6, v3
	v_mov_b32_e32 v2, s76
	s_and_saveexec_b64 s[6:7], vcc
; %bb.704:
	s_mov_b32 s8, 0xff800000
	v_mov_b32_e32 v2, s47
	v_cmp_eq_f32_e32 vcc, s8, v3
	s_nop 1
	v_cndmask_b32_e32 v2, v1, v2, vcc
; %bb.705:
	s_or_b64 exec, exec, s[6:7]
.LBB537_706:
	s_or_b64 exec, exec, s[2:3]
	v_mov_b32_e32 v1, 0
	s_and_b32 s12, s75, 0xff
	s_cmp_lt_i32 s12, 11
	v_lshl_add_u64 v[0:1], s[20:21], 0, v[0:1]
	s_cbranch_scc1 .LBB537_714
; %bb.707:
	s_and_b32 s13, 0xffff, s12
	s_cmp_gt_i32 s13, 25
	s_cbranch_scc0 .LBB537_715
; %bb.708:
	s_cmp_gt_i32 s13, 28
	s_cbranch_scc0 .LBB537_716
; %bb.709:
	;; [unrolled: 3-line block ×4, first 2 shown]
	s_mov_b64 s[8:9], 0
	s_mov_b64 s[2:3], -1
	s_cmp_eq_u32 s13, 46
	s_mov_b64 s[6:7], 0
	s_cbranch_scc0 .LBB537_719
; %bb.712:
	v_and_b32_e32 v3, 0xffff, v2
	global_store_dword v[0:1], v3, off
	s_mov_b64 s[6:7], -1
	s_mov_b64 s[2:3], 0
	s_branch .LBB537_719
.LBB537_713:
	s_mov_b64 s[6:7], 0
	s_mov_b64 s[2:3], s[64:65]
	s_branch .LBB537_830
.LBB537_714:
	s_mov_b64 s[8:9], -1
	s_mov_b64 s[6:7], 0
	s_mov_b64 s[2:3], s[64:65]
	s_branch .LBB537_788
.LBB537_715:
	s_mov_b64 s[8:9], -1
	s_mov_b64 s[6:7], 0
	s_mov_b64 s[2:3], s[64:65]
	s_branch .LBB537_746
.LBB537_716:
	s_mov_b64 s[8:9], -1
	s_mov_b64 s[6:7], 0
	s_mov_b64 s[2:3], s[64:65]
	s_branch .LBB537_729
.LBB537_717:
	s_mov_b64 s[8:9], -1
	s_mov_b64 s[6:7], 0
	s_mov_b64 s[2:3], s[64:65]
	s_branch .LBB537_725
.LBB537_718:
	s_mov_b64 s[8:9], -1
	s_mov_b64 s[6:7], 0
	s_mov_b64 s[2:3], s[64:65]
.LBB537_719:
	s_and_b64 vcc, exec, s[8:9]
	s_cbranch_vccz .LBB537_724
; %bb.720:
	s_cmp_eq_u32 s13, 44
	s_mov_b64 s[2:3], -1
	s_cbranch_scc0 .LBB537_724
; %bb.721:
	v_and_b32_e32 v4, 0xffff, v2
	v_bfe_u32 v3, v4, 7, 8
	s_movk_i32 s2, 0xff
	v_cmp_ne_u32_e32 vcc, s2, v3
	v_mov_b32_e32 v5, 0xff
	s_and_saveexec_b64 s[6:7], vcc
	s_cbranch_execz .LBB537_723
; %bb.722:
	v_lshlrev_b32_e32 v6, 16, v4
	s_mov_b32 s2, 0x3f0000
	v_lshrrev_b32_e32 v5, 7, v4
	v_and_b32_e32 v4, 64, v4
	v_and_or_b32 v3, v6, s2, v3
	v_cmp_ne_u32_e32 vcc, 0, v4
	v_cmp_ne_u32_e64 s[2:3], 0, v3
	s_and_b64 s[2:3], vcc, s[2:3]
	s_nop 0
	v_cndmask_b32_e64 v3, 0, 1, s[2:3]
	v_add_u32_e32 v5, v5, v3
.LBB537_723:
	s_or_b64 exec, exec, s[6:7]
	s_mov_b64 s[6:7], -1
	s_mov_b64 s[2:3], 0
	global_store_byte v[0:1], v5, off
.LBB537_724:
	s_mov_b64 s[8:9], 0
.LBB537_725:
	s_and_b64 vcc, exec, s[8:9]
	s_cbranch_vccz .LBB537_728
; %bb.726:
	s_cmp_eq_u32 s13, 29
	s_mov_b64 s[2:3], -1
	s_cbranch_scc0 .LBB537_728
; %bb.727:
	v_lshlrev_b32_e32 v3, 16, v2
	v_trunc_f32_e32 v3, v3
	v_mul_f32_e32 v4, 0x2f800000, v3
	v_floor_f32_e32 v4, v4
	v_fmamk_f32 v3, v4, 0xcf800000, v3
	v_cvt_u32_f32_e32 v5, v4
	v_cvt_u32_f32_e32 v4, v3
	s_mov_b64 s[6:7], -1
	s_mov_b64 s[2:3], 0
	s_mov_b64 s[8:9], 0
	global_store_dwordx2 v[0:1], v[4:5], off
	s_branch .LBB537_729
.LBB537_728:
	s_mov_b64 s[8:9], 0
.LBB537_729:
	s_and_b64 vcc, exec, s[8:9]
	s_cbranch_vccz .LBB537_745
; %bb.730:
	s_cmp_lt_i32 s13, 27
	s_mov_b64 s[6:7], -1
	s_cbranch_scc1 .LBB537_736
; %bb.731:
	s_cmp_gt_i32 s13, 27
	s_cbranch_scc0 .LBB537_733
; %bb.732:
	v_lshlrev_b32_e32 v3, 16, v2
	v_cvt_u32_f32_e32 v3, v3
	s_mov_b64 s[6:7], 0
	global_store_dword v[0:1], v3, off
.LBB537_733:
	s_andn2_b64 vcc, exec, s[6:7]
	s_cbranch_vccnz .LBB537_735
; %bb.734:
	v_lshlrev_b32_e32 v3, 16, v2
	v_cvt_u32_f32_e32 v3, v3
	global_store_short v[0:1], v3, off
.LBB537_735:
	s_mov_b64 s[6:7], 0
.LBB537_736:
	s_andn2_b64 vcc, exec, s[6:7]
	s_cbranch_vccnz .LBB537_744
; %bb.737:
	v_lshlrev_b32_e32 v5, 16, v2
	v_and_b32_e32 v4, 0x7fffffff, v5
	s_mov_b32 s6, 0x43800000
	v_cmp_gt_u32_e32 vcc, s6, v4
	v_mov_b32_e32 v6, 0x80
	s_and_saveexec_b64 s[6:7], vcc
	s_cbranch_execz .LBB537_743
; %bb.738:
	s_mov_b32 s8, 0x3bffffff
	v_and_b32_e32 v3, 0xffff, v2
	v_cmp_lt_u32_e32 vcc, s8, v4
	s_mov_b64 s[8:9], 0
                                        ; implicit-def: $vgpr4
	s_and_saveexec_b64 s[10:11], vcc
	s_xor_b64 s[10:11], exec, s[10:11]
	s_cbranch_execz .LBB537_861
; %bb.739:
	v_bfe_u32 v4, v3, 4, 1
	s_mov_b32 s14, 0x487ffff
	v_add3_u32 v4, v5, v4, s14
	s_mov_b64 s[8:9], exec
	v_lshrrev_b32_e32 v4, 20, v4
                                        ; implicit-def: $vgpr5
	s_andn2_saveexec_b64 s[10:11], s[10:11]
	s_cbranch_execnz .LBB537_862
.LBB537_740:
	s_or_b64 exec, exec, s[10:11]
	v_mov_b32_e32 v6, 0
	s_and_saveexec_b64 s[10:11], s[8:9]
.LBB537_741:
	v_lshrrev_b32_e32 v3, 8, v3
	s_movk_i32 s8, 0x80
	v_and_or_b32 v6, v3, s8, v4
.LBB537_742:
	s_or_b64 exec, exec, s[10:11]
.LBB537_743:
	s_or_b64 exec, exec, s[6:7]
	global_store_byte v[0:1], v6, off
.LBB537_744:
	s_mov_b64 s[6:7], -1
.LBB537_745:
	s_mov_b64 s[8:9], 0
.LBB537_746:
	s_and_b64 vcc, exec, s[8:9]
	s_cbranch_vccz .LBB537_787
; %bb.747:
	s_cmp_gt_i32 s13, 22
	s_mov_b64 s[8:9], -1
	s_cbranch_scc0 .LBB537_779
; %bb.748:
	s_cmp_lt_i32 s13, 24
	s_mov_b64 s[6:7], -1
	s_cbranch_scc1 .LBB537_768
; %bb.749:
	s_cmp_gt_i32 s13, 24
	s_cbranch_scc0 .LBB537_757
; %bb.750:
	v_lshlrev_b32_e32 v5, 16, v2
	v_and_b32_e32 v4, 0x7fffffff, v5
	s_mov_b32 s6, 0x47800000
	v_cmp_gt_u32_e32 vcc, s6, v4
	v_mov_b32_e32 v6, 0x80
	s_and_saveexec_b64 s[6:7], vcc
	s_cbranch_execz .LBB537_756
; %bb.751:
	s_mov_b32 s8, 0x37ffffff
	v_and_b32_e32 v3, 0xffff, v2
	v_cmp_lt_u32_e32 vcc, s8, v4
	s_mov_b64 s[8:9], 0
                                        ; implicit-def: $vgpr4
	s_and_saveexec_b64 s[10:11], vcc
	s_xor_b64 s[10:11], exec, s[10:11]
	s_cbranch_execz .LBB537_864
; %bb.752:
	v_bfe_u32 v4, v3, 5, 1
	s_mov_b32 s14, 0x88fffff
	v_add3_u32 v4, v5, v4, s14
	s_mov_b64 s[8:9], exec
	v_lshrrev_b32_e32 v4, 21, v4
                                        ; implicit-def: $vgpr5
	s_andn2_saveexec_b64 s[10:11], s[10:11]
	s_cbranch_execnz .LBB537_865
.LBB537_753:
	s_or_b64 exec, exec, s[10:11]
	v_mov_b32_e32 v6, 0
	s_and_saveexec_b64 s[10:11], s[8:9]
.LBB537_754:
	v_lshrrev_b32_e32 v3, 8, v3
	s_movk_i32 s8, 0x80
	v_and_or_b32 v6, v3, s8, v4
.LBB537_755:
	s_or_b64 exec, exec, s[10:11]
.LBB537_756:
	s_or_b64 exec, exec, s[6:7]
	s_mov_b64 s[6:7], 0
	global_store_byte v[0:1], v6, off
.LBB537_757:
	s_and_b64 vcc, exec, s[6:7]
	s_cbranch_vccz .LBB537_767
; %bb.758:
	v_lshlrev_b32_e32 v5, 16, v2
	v_and_b32_e32 v6, 0x7fffffff, v5
	s_mov_b32 s6, 0x43f00000
	v_and_b32_e32 v3, 0xffff, v2
	v_cmp_gt_u32_e32 vcc, s6, v6
                                        ; implicit-def: $vgpr4
	s_and_saveexec_b64 s[6:7], vcc
	s_xor_b64 s[6:7], exec, s[6:7]
	s_cbranch_execz .LBB537_764
; %bb.759:
	s_mov_b32 s8, 0x3c7fffff
	v_cmp_lt_u32_e32 vcc, s8, v6
                                        ; implicit-def: $vgpr4
	s_and_saveexec_b64 s[8:9], vcc
	s_xor_b64 s[8:9], exec, s[8:9]
; %bb.760:
	v_bfe_u32 v4, v3, 4, 1
	s_mov_b32 s10, 0x407ffff
	v_add3_u32 v4, v5, v4, s10
	v_lshrrev_b32_e32 v5, 20, v4
	v_and_b32_e32 v4, 0xff00000, v4
	s_mov_b32 s10, 0x7f00000
	v_mov_b32_e32 v6, 0x7e
	v_cmp_ne_u32_e32 vcc, s10, v4
	s_nop 1
	v_cndmask_b32_e32 v4, v6, v5, vcc
                                        ; implicit-def: $vgpr5
; %bb.761:
	s_andn2_saveexec_b64 s[8:9], s[8:9]
; %bb.762:
	s_mov_b32 s10, 0x46800000
	v_add_f32_e64 v4, |v5|, s10
; %bb.763:
	s_or_b64 exec, exec, s[8:9]
                                        ; implicit-def: $vgpr6
.LBB537_764:
	s_andn2_saveexec_b64 s[6:7], s[6:7]
; %bb.765:
	s_mov_b32 s8, 0x7f800000
	v_mov_b32_e32 v4, 0x7e
	v_mov_b32_e32 v5, 0x7f
	v_cmp_lt_u32_e32 vcc, s8, v6
	s_nop 1
	v_cndmask_b32_e32 v4, v4, v5, vcc
; %bb.766:
	s_or_b64 exec, exec, s[6:7]
	v_lshrrev_b32_e32 v3, 8, v3
	s_movk_i32 s6, 0x80
	v_and_or_b32 v3, v3, s6, v4
	global_store_byte v[0:1], v3, off
.LBB537_767:
	s_mov_b64 s[6:7], 0
.LBB537_768:
	s_andn2_b64 vcc, exec, s[6:7]
	s_cbranch_vccnz .LBB537_778
; %bb.769:
	v_lshlrev_b32_e32 v5, 16, v2
	v_and_b32_e32 v6, 0x7fffffff, v5
	s_mov_b32 s6, 0x47800000
	v_and_b32_e32 v3, 0xffff, v2
	v_cmp_gt_u32_e32 vcc, s6, v6
                                        ; implicit-def: $vgpr4
	s_and_saveexec_b64 s[6:7], vcc
	s_xor_b64 s[6:7], exec, s[6:7]
	s_cbranch_execz .LBB537_775
; %bb.770:
	s_mov_b32 s8, 0x387fffff
	v_cmp_lt_u32_e32 vcc, s8, v6
                                        ; implicit-def: $vgpr4
	s_and_saveexec_b64 s[8:9], vcc
	s_xor_b64 s[8:9], exec, s[8:9]
; %bb.771:
	v_bfe_u32 v4, v3, 5, 1
	s_mov_b32 s10, 0x80fffff
	v_add3_u32 v4, v5, v4, s10
	v_lshrrev_b32_e32 v4, 21, v4
                                        ; implicit-def: $vgpr5
; %bb.772:
	s_andn2_saveexec_b64 s[8:9], s[8:9]
; %bb.773:
	s_mov_b32 s10, 0x43000000
	v_add_f32_e64 v4, |v5|, s10
; %bb.774:
	s_or_b64 exec, exec, s[8:9]
                                        ; implicit-def: $vgpr6
.LBB537_775:
	s_andn2_saveexec_b64 s[6:7], s[6:7]
; %bb.776:
	s_mov_b32 s8, 0x7f800000
	v_mov_b32_e32 v4, 0x7c
	v_mov_b32_e32 v5, 0x7f
	v_cmp_lt_u32_e32 vcc, s8, v6
	s_nop 1
	v_cndmask_b32_e32 v4, v4, v5, vcc
; %bb.777:
	s_or_b64 exec, exec, s[6:7]
	v_lshrrev_b32_e32 v3, 8, v3
	s_movk_i32 s6, 0x80
	v_and_or_b32 v3, v3, s6, v4
	global_store_byte v[0:1], v3, off
.LBB537_778:
	s_mov_b64 s[8:9], 0
	s_mov_b64 s[6:7], -1
.LBB537_779:
	s_andn2_b64 vcc, exec, s[8:9]
	s_cbranch_vccnz .LBB537_787
; %bb.780:
	s_cmp_gt_i32 s13, 14
	s_mov_b64 s[8:9], -1
	s_cbranch_scc0 .LBB537_784
; %bb.781:
	s_cmp_eq_u32 s13, 15
	s_mov_b64 s[2:3], -1
	s_cbranch_scc0 .LBB537_783
; %bb.782:
	global_store_short v[0:1], v2, off
	s_mov_b64 s[6:7], -1
	s_mov_b64 s[2:3], 0
.LBB537_783:
	s_mov_b64 s[8:9], 0
.LBB537_784:
	s_and_b64 vcc, exec, s[8:9]
	s_cbranch_vccz .LBB537_787
; %bb.785:
	s_cmp_eq_u32 s13, 11
	s_mov_b64 s[2:3], -1
	s_cbranch_scc0 .LBB537_787
; %bb.786:
	v_and_b32_e32 v3, 0x7fff, v2
	v_cmp_ne_u16_e32 vcc, 0, v3
	s_mov_b64 s[6:7], -1
	s_mov_b64 s[2:3], 0
	v_cndmask_b32_e64 v3, 0, 1, vcc
	global_store_byte v[0:1], v3, off
.LBB537_787:
	s_mov_b64 s[8:9], 0
.LBB537_788:
	s_and_b64 vcc, exec, s[8:9]
	s_cbranch_vccz .LBB537_827
; %bb.789:
	s_and_b32 s8, 0xffff, s12
	s_cmp_lt_i32 s8, 5
	s_mov_b64 s[6:7], -1
	s_cbranch_scc1 .LBB537_810
; %bb.790:
	s_cmp_lt_i32 s8, 8
	s_cbranch_scc1 .LBB537_800
; %bb.791:
	s_cmp_lt_i32 s8, 9
	s_cbranch_scc1 .LBB537_797
; %bb.792:
	s_cmp_gt_i32 s8, 9
	s_cbranch_scc0 .LBB537_794
; %bb.793:
	v_lshlrev_b32_e32 v3, 16, v2
	v_mov_b32_e32 v6, 0
	v_cvt_f64_f32_e32 v[4:5], v3
	v_mov_b32_e32 v7, v6
	s_mov_b64 s[6:7], 0
	global_store_dwordx4 v[0:1], v[4:7], off
.LBB537_794:
	s_andn2_b64 vcc, exec, s[6:7]
	s_cbranch_vccnz .LBB537_796
; %bb.795:
	v_lshlrev_b32_e32 v4, 16, v2
	v_mov_b32_e32 v5, 0
	global_store_dwordx2 v[0:1], v[4:5], off
.LBB537_796:
	s_mov_b64 s[6:7], 0
.LBB537_797:
	s_andn2_b64 vcc, exec, s[6:7]
	s_cbranch_vccnz .LBB537_799
; %bb.798:
	v_lshlrev_b32_e32 v3, 16, v2
	v_cvt_f16_f32_e32 v3, v3
	global_store_dword v[0:1], v3, off
.LBB537_799:
	s_mov_b64 s[6:7], 0
.LBB537_800:
	s_andn2_b64 vcc, exec, s[6:7]
	s_cbranch_vccnz .LBB537_809
; %bb.801:
	s_cmp_lt_i32 s8, 6
	s_mov_b64 s[6:7], -1
	s_cbranch_scc1 .LBB537_807
; %bb.802:
	s_cmp_gt_i32 s8, 6
	s_cbranch_scc0 .LBB537_804
; %bb.803:
	v_lshlrev_b32_e32 v3, 16, v2
	v_cvt_f64_f32_e32 v[4:5], v3
	s_mov_b64 s[6:7], 0
	global_store_dwordx2 v[0:1], v[4:5], off
.LBB537_804:
	s_andn2_b64 vcc, exec, s[6:7]
	s_cbranch_vccnz .LBB537_806
; %bb.805:
	v_lshlrev_b32_e32 v3, 16, v2
	global_store_dword v[0:1], v3, off
.LBB537_806:
	s_mov_b64 s[6:7], 0
.LBB537_807:
	s_andn2_b64 vcc, exec, s[6:7]
	s_cbranch_vccnz .LBB537_809
; %bb.808:
	v_lshlrev_b32_e32 v3, 16, v2
	v_cvt_f16_f32_e32 v3, v3
	global_store_short v[0:1], v3, off
.LBB537_809:
	s_mov_b64 s[6:7], 0
.LBB537_810:
	s_andn2_b64 vcc, exec, s[6:7]
	s_cbranch_vccnz .LBB537_826
; %bb.811:
	s_cmp_lt_i32 s8, 2
	s_mov_b64 s[6:7], -1
	s_cbranch_scc1 .LBB537_821
; %bb.812:
	s_cmp_lt_i32 s8, 3
	s_cbranch_scc1 .LBB537_818
; %bb.813:
	s_cmp_gt_i32 s8, 3
	s_cbranch_scc0 .LBB537_815
; %bb.814:
	v_lshlrev_b32_e32 v3, 16, v2
	v_trunc_f32_e32 v3, v3
	s_mov_b32 s6, 0x2f800000
	v_mul_f32_e64 v4, |v3|, s6
	v_floor_f32_e32 v4, v4
	s_mov_b32 s6, 0xcf800000
	v_cvt_u32_f32_e32 v5, v4
	v_fma_f32 v4, v4, s6, |v3|
	v_cvt_u32_f32_e32 v4, v4
	v_ashrrev_i32_e32 v3, 31, v3
	v_xor_b32_e32 v5, v5, v3
	s_mov_b64 s[6:7], 0
	v_xor_b32_e32 v4, v4, v3
	v_sub_co_u32_e32 v4, vcc, v4, v3
	s_nop 1
	v_subb_co_u32_e32 v5, vcc, v5, v3, vcc
	global_store_dwordx2 v[0:1], v[4:5], off
.LBB537_815:
	s_andn2_b64 vcc, exec, s[6:7]
	s_cbranch_vccnz .LBB537_817
; %bb.816:
	v_lshlrev_b32_e32 v3, 16, v2
	v_cvt_i32_f32_e32 v3, v3
	global_store_dword v[0:1], v3, off
.LBB537_817:
	s_mov_b64 s[6:7], 0
.LBB537_818:
	s_andn2_b64 vcc, exec, s[6:7]
	s_cbranch_vccnz .LBB537_820
; %bb.819:
	v_lshlrev_b32_e32 v3, 16, v2
	v_cvt_i32_f32_e32 v3, v3
	global_store_short v[0:1], v3, off
.LBB537_820:
	s_mov_b64 s[6:7], 0
.LBB537_821:
	s_andn2_b64 vcc, exec, s[6:7]
	s_cbranch_vccnz .LBB537_826
; %bb.822:
	s_mov_b64 s[6:7], -1
	s_cmp_gt_i32 s8, 0
	v_lshlrev_b32_e32 v2, 16, v2
	s_cbranch_scc0 .LBB537_824
; %bb.823:
	v_cvt_i32_f32_e32 v3, v2
	s_mov_b64 s[6:7], 0
	global_store_byte v[0:1], v3, off
.LBB537_824:
	s_andn2_b64 vcc, exec, s[6:7]
	s_cbranch_vccnz .LBB537_826
; %bb.825:
	v_trunc_f32_e32 v2, v2
	s_mov_b32 s6, 0x2f800000
	v_mul_f32_e64 v3, |v2|, s6
	v_floor_f32_e32 v3, v3
	s_mov_b32 s6, 0xcf800000
	v_fma_f32 v3, v3, s6, |v2|
	v_cvt_u32_f32_e32 v3, v3
	v_ashrrev_i32_e32 v2, 31, v2
	v_xor_b32_e32 v3, v3, v2
	v_sub_u32_e32 v2, v3, v2
	global_store_byte v[0:1], v2, off
.LBB537_826:
	s_mov_b64 s[6:7], -1
.LBB537_827:
	s_andn2_b64 vcc, exec, s[6:7]
	s_cbranch_vccnz .LBB537_829
; %bb.828:
	v_add_u32_e32 v8, 0x80, v8
	s_mov_b64 s[6:7], -1
	s_branch .LBB537_831
.LBB537_829:
	s_mov_b64 s[6:7], 0
.LBB537_830:
                                        ; implicit-def: $vgpr8
.LBB537_831:
	s_andn2_b64 s[8:9], s[64:65], exec
	s_and_b64 s[2:3], s[2:3], exec
	s_or_b64 s[70:71], s[8:9], s[2:3]
	s_andn2_b64 s[2:3], s[62:63], exec
	s_and_b64 s[4:5], s[4:5], exec
	s_or_b64 s[2:3], s[2:3], s[4:5]
	s_orn2_b64 s[6:7], s[6:7], exec
.LBB537_832:
	s_or_b64 exec, exec, s[68:69]
	s_mov_b64 s[4:5], 0
	s_mov_b64 s[10:11], 0
	;; [unrolled: 1-line block ×3, first 2 shown]
                                        ; implicit-def: $vgpr2_vgpr3
                                        ; implicit-def: $vgpr0
                                        ; implicit-def: $vgpr1
	s_and_saveexec_b64 s[68:69], s[6:7]
	s_cbranch_execz .LBB537_932
; %bb.833:
	v_cmp_gt_i32_e32 vcc, s72, v8
	s_mov_b64 s[6:7], 0
	s_mov_b64 s[12:13], s[2:3]
                                        ; implicit-def: $vgpr2_vgpr3
                                        ; implicit-def: $vgpr0
                                        ; implicit-def: $vgpr1
	s_and_saveexec_b64 s[72:73], vcc
	s_cbranch_execz .LBB537_931
; %bb.834:
	s_andn2_b64 vcc, exec, s[42:43]
	s_cbranch_vccnz .LBB537_840
; %bb.835:
	s_andn2_b64 vcc, exec, s[54:55]
	s_cbranch_vccnz .LBB537_841
; %bb.836:
	s_add_i32 s79, s78, 1
	s_cmp_eq_u32 s74, 2
	s_cbranch_scc1 .LBB537_842
; %bb.837:
	s_and_b32 s78, s79, 28
	s_mov_b32 s80, 0
	v_mov_b32_e32 v0, 0
	v_mov_b32_e32 v2, 0
	s_mov_b64 s[54:55], s[34:35]
	v_mov_b32_e32 v4, v8
.LBB537_838:                            ; =>This Inner Loop Header: Depth=1
	s_load_dwordx8 s[12:19], s[54:55], 0x4
	s_load_dwordx4 s[36:39], s[54:55], 0x24
	s_load_dwordx8 s[4:11], s[52:53], 0x0
	s_add_u32 s54, s54, 48
	s_addc_u32 s55, s55, 0
	s_waitcnt vmcnt(0) lgkmcnt(0)
	v_mul_hi_u32 v1, s13, v4
	v_add_u32_e32 v1, v4, v1
	v_lshrrev_b32_e32 v1, s14, v1
	v_mul_lo_u32 v3, v1, s12
	v_mul_hi_u32 v5, s16, v1
	v_sub_u32_e32 v3, v4, v3
	v_add_u32_e32 v4, v1, v5
	v_lshrrev_b32_e32 v4, s17, v4
	v_mul_lo_u32 v6, v4, s15
	v_mul_hi_u32 v7, s19, v4
	v_sub_u32_e32 v1, v1, v6
	v_add_u32_e32 v6, v4, v7
	v_mul_lo_u32 v5, v3, s5
	v_mul_lo_u32 v3, v3, s4
	;; [unrolled: 1-line block ×4, first 2 shown]
	v_lshrrev_b32_e32 v6, s36, v6
	v_add3_u32 v0, v3, v0, v1
	v_mul_hi_u32 v3, s38, v6
	v_add3_u32 v1, v5, v2, v7
	v_mul_lo_u32 v2, v6, s18
	v_add_u32_e32 v3, v6, v3
	v_sub_u32_e32 v2, v4, v2
	v_lshrrev_b32_e32 v4, s39, v3
	s_add_i32 s80, s80, 4
	v_mul_lo_u32 v3, v4, s37
	s_add_u32 s52, s52, 32
	v_sub_u32_e32 v3, v6, v3
	s_addc_u32 s53, s53, 0
	v_mul_lo_u32 v5, v2, s8
	v_mul_lo_u32 v2, v2, s9
	;; [unrolled: 1-line block ×4, first 2 shown]
	s_cmp_eq_u32 s78, s80
	v_add3_u32 v2, v2, v1, v3
	v_add3_u32 v0, v5, v0, v6
	s_cbranch_scc0 .LBB537_838
; %bb.839:
	v_mov_b32_e32 v1, v2
	s_branch .LBB537_843
.LBB537_840:
	s_mov_b64 s[4:5], -1
                                        ; implicit-def: $vgpr2
                                        ; implicit-def: $vgpr0
	s_branch .LBB537_847
.LBB537_841:
	v_mov_b32_e32 v2, 0
	v_mov_b32_e32 v0, 0
	s_branch .LBB537_846
.LBB537_842:
	v_mov_b32_e32 v0, 0
	s_mov_b32 s78, 0
	s_waitcnt vmcnt(0)
	v_mov_b32_e32 v1, v0
                                        ; implicit-def: $vgpr2
	v_mov_b32_e32 v4, v8
.LBB537_843:
	s_and_b32 s8, s79, 3
	s_cmp_eq_u32 s8, 0
	s_cbranch_scc1 .LBB537_846
; %bb.844:
	s_lshl_b32 s4, s78, 3
	s_add_u32 s4, s34, s4
	s_addc_u32 s5, s35, 0
	s_add_u32 s4, s4, 0xc4
	s_addc_u32 s5, s5, 0
	s_mul_i32 s6, s78, 12
	s_add_u32 s6, s34, s6
	s_addc_u32 s7, s35, 0
.LBB537_845:                            ; =>This Inner Loop Header: Depth=1
	s_load_dwordx2 s[10:11], s[6:7], 0x4
	s_load_dword s9, s[6:7], 0xc
	s_load_dwordx2 s[12:13], s[4:5], 0x0
	v_mov_b32_e32 v2, v1
	s_add_u32 s6, s6, 12
	s_waitcnt lgkmcnt(0)
	v_mul_hi_u32 v1, s11, v4
	v_add_u32_e32 v1, v4, v1
	v_lshrrev_b32_e32 v1, s9, v1
	s_addc_u32 s7, s7, 0
	v_mul_lo_u32 v3, v1, s10
	s_add_u32 s4, s4, 8
	v_sub_u32_e32 v5, v4, v3
	s_addc_u32 s5, s5, 0
	s_add_i32 s8, s8, -1
	v_mov_b32_e32 v4, v1
	v_mad_u64_u32 v[2:3], s[10:11], v5, s13, v[2:3]
	v_mad_u64_u32 v[0:1], s[10:11], v5, s12, v[0:1]
	s_cmp_lg_u32 s8, 0
	v_mov_b32_e32 v1, v2
	s_cbranch_scc1 .LBB537_845
.LBB537_846:
	s_mov_b64 s[4:5], 0
.LBB537_847:
	s_andn2_b64 vcc, exec, s[4:5]
	s_cbranch_vccnz .LBB537_850
; %bb.848:
	v_mul_hi_u32 v0, s25, v8
	v_add_u32_e32 v0, v8, v0
	s_waitcnt vmcnt(0)
	v_lshrrev_b32_e32 v1, s26, v0
	v_mul_lo_u32 v0, v1, s24
	v_sub_u32_e32 v0, v8, v0
	v_mul_lo_u32 v2, v0, s29
	s_andn2_b64 vcc, exec, s[50:51]
	v_mul_lo_u32 v0, v0, s28
	s_cbranch_vccnz .LBB537_850
; %bb.849:
	v_mul_hi_u32 v3, s48, v1
	v_add_u32_e32 v3, v1, v3
	v_lshrrev_b32_e32 v3, s49, v3
	v_mul_lo_u32 v3, v3, s27
	v_sub_u32_e32 v3, v1, v3
	v_mad_u64_u32 v[0:1], s[4:5], v3, s30, v[0:1]
	v_mad_u64_u32 v[2:3], s[4:5], v3, s31, v[2:3]
.LBB537_850:
	v_mov_b32_e32 v3, 0
	s_and_b32 s14, 0xffff, s77
	s_cmp_lt_i32 s14, 11
	v_lshl_add_u64 v[2:3], s[22:23], 0, v[2:3]
	s_cbranch_scc1 .LBB537_857
; %bb.851:
	s_cmp_gt_i32 s14, 25
	s_mov_b64 s[6:7], 0
	s_cbranch_scc0 .LBB537_858
; %bb.852:
	s_cmp_gt_i32 s14, 28
	s_cbranch_scc0 .LBB537_859
; %bb.853:
	s_cmp_gt_i32 s14, 43
	;; [unrolled: 3-line block ×3, first 2 shown]
	s_cbranch_scc0 .LBB537_863
; %bb.855:
	s_cmp_eq_u32 s14, 46
	s_mov_b64 s[10:11], 0
	s_cbranch_scc0 .LBB537_866
; %bb.856:
	global_load_dword v1, v[2:3], off
	s_mov_b64 s[4:5], 0
	s_mov_b64 s[8:9], -1
	s_branch .LBB537_867
.LBB537_857:
	s_mov_b64 s[10:11], -1
	s_mov_b64 s[8:9], 0
	s_mov_b64 s[6:7], 0
	;; [unrolled: 1-line block ×3, first 2 shown]
                                        ; implicit-def: $vgpr1
	s_branch .LBB537_930
.LBB537_858:
	s_mov_b64 s[10:11], -1
	s_mov_b64 s[8:9], 0
	s_mov_b64 s[4:5], s[2:3]
                                        ; implicit-def: $vgpr1
	s_branch .LBB537_896
.LBB537_859:
	s_mov_b64 s[10:11], -1
	s_mov_b64 s[8:9], 0
	s_mov_b64 s[4:5], s[2:3]
                                        ; implicit-def: $vgpr1
	s_branch .LBB537_877
.LBB537_860:
	s_mov_b64 s[10:11], -1
	s_mov_b64 s[8:9], 0
	s_mov_b64 s[4:5], s[2:3]
                                        ; implicit-def: $vgpr1
	s_branch .LBB537_872
.LBB537_861:
	s_andn2_saveexec_b64 s[10:11], s[10:11]
	s_cbranch_execz .LBB537_740
.LBB537_862:
	s_mov_b32 s14, 0x46000000
	v_add_f32_e64 v4, |v5|, s14
	v_and_b32_e32 v4, 0xff, v4
	v_cmp_ne_u32_e32 vcc, 0, v4
	s_andn2_b64 s[8:9], s[8:9], exec
	s_and_b64 s[14:15], vcc, exec
	s_or_b64 s[8:9], s[8:9], s[14:15]
	s_or_b64 exec, exec, s[10:11]
	v_mov_b32_e32 v6, 0
	s_and_saveexec_b64 s[10:11], s[8:9]
	s_cbranch_execnz .LBB537_741
	s_branch .LBB537_742
.LBB537_863:
	s_mov_b64 s[10:11], -1
	s_mov_b64 s[8:9], 0
	s_mov_b64 s[4:5], s[2:3]
                                        ; implicit-def: $vgpr1
	s_branch .LBB537_867
.LBB537_864:
	s_andn2_saveexec_b64 s[10:11], s[10:11]
	s_cbranch_execz .LBB537_753
.LBB537_865:
	s_mov_b32 s14, 0x42800000
	v_add_f32_e64 v4, |v5|, s14
	v_and_b32_e32 v4, 0xff, v4
	v_cmp_ne_u32_e32 vcc, 0, v4
	s_andn2_b64 s[8:9], s[8:9], exec
	s_and_b64 s[14:15], vcc, exec
	s_or_b64 s[8:9], s[8:9], s[14:15]
	s_or_b64 exec, exec, s[10:11]
	v_mov_b32_e32 v6, 0
	s_and_saveexec_b64 s[10:11], s[8:9]
	s_cbranch_execnz .LBB537_754
	s_branch .LBB537_755
.LBB537_866:
	s_mov_b64 s[4:5], -1
                                        ; implicit-def: $vgpr1
	s_mov_b64 s[8:9], 0
.LBB537_867:
	s_and_b64 vcc, exec, s[10:11]
	s_cbranch_vccz .LBB537_871
; %bb.868:
	s_cmp_eq_u32 s14, 44
	s_cbranch_scc0 .LBB537_870
; %bb.869:
	global_load_ubyte v1, v[2:3], off
	s_movk_i32 s8, 0xff
	v_mov_b32_e32 v4, 0x7f800001
	v_mov_b32_e32 v5, 0x400000
	;; [unrolled: 1-line block ×3, first 2 shown]
	s_mov_b64 s[4:5], 0
	s_waitcnt vmcnt(0)
	v_lshlrev_b32_e32 v7, 23, v1
	v_cmp_ne_u32_e32 vcc, s8, v1
	s_mov_b64 s[8:9], -1
	s_nop 0
	v_cndmask_b32_e32 v4, v4, v7, vcc
	v_cmp_ne_u32_e32 vcc, 0, v1
	s_nop 1
	v_cndmask_b32_e32 v1, v5, v4, vcc
	v_add_u32_e32 v4, 0x7fff, v1
	v_cmp_o_f32_e32 vcc, v1, v1
	s_nop 1
	v_cndmask_b32_sdwa v1, v6, v4, vcc dst_sel:DWORD dst_unused:UNUSED_PAD src0_sel:DWORD src1_sel:WORD_1
	s_branch .LBB537_871
.LBB537_870:
	s_mov_b64 s[4:5], -1
                                        ; implicit-def: $vgpr1
.LBB537_871:
	s_mov_b64 s[10:11], 0
.LBB537_872:
	s_and_b64 vcc, exec, s[10:11]
	s_cbranch_vccz .LBB537_876
; %bb.873:
	s_cmp_eq_u32 s14, 29
	s_cbranch_scc0 .LBB537_875
; %bb.874:
	global_load_dwordx2 v[4:5], v[2:3], off
	s_movk_i32 s8, 0x7fff
	s_mov_b64 s[4:5], 0
	s_mov_b64 s[10:11], 0
	s_waitcnt vmcnt(0)
	v_ffbh_u32_e32 v1, v5
	v_min_u32_e32 v1, 32, v1
	v_lshlrev_b64 v[4:5], v1, v[4:5]
	v_min_u32_e32 v4, 1, v4
	v_or_b32_e32 v4, v5, v4
	v_cvt_f32_u32_e32 v4, v4
	v_sub_u32_e32 v1, 32, v1
	v_ldexp_f32 v1, v4, v1
	v_bfe_u32 v4, v1, 16, 1
	v_add3_u32 v1, v1, v4, s8
	v_lshrrev_b32_e32 v1, 16, v1
	s_mov_b64 s[8:9], -1
	s_branch .LBB537_877
.LBB537_875:
	s_mov_b64 s[4:5], -1
                                        ; implicit-def: $vgpr1
.LBB537_876:
	s_mov_b64 s[10:11], 0
.LBB537_877:
	s_and_b64 vcc, exec, s[10:11]
	s_cbranch_vccz .LBB537_895
; %bb.878:
	s_cmp_lt_i32 s14, 27
	s_cbranch_scc1 .LBB537_881
; %bb.879:
	s_cmp_gt_i32 s14, 27
	s_cbranch_scc0 .LBB537_882
; %bb.880:
	global_load_dword v1, v[2:3], off
	s_movk_i32 s8, 0x7fff
	s_waitcnt vmcnt(0)
	v_cvt_f32_u32_e32 v1, v1
	v_bfe_u32 v4, v1, 16, 1
	v_add3_u32 v1, v1, v4, s8
	v_lshrrev_b32_e32 v1, 16, v1
	s_mov_b64 s[8:9], 0
	s_branch .LBB537_883
.LBB537_881:
	s_mov_b64 s[8:9], -1
                                        ; implicit-def: $vgpr1
	s_branch .LBB537_886
.LBB537_882:
	s_mov_b64 s[8:9], -1
                                        ; implicit-def: $vgpr1
.LBB537_883:
	s_andn2_b64 vcc, exec, s[8:9]
	s_cbranch_vccnz .LBB537_885
; %bb.884:
	global_load_ushort v1, v[2:3], off
	s_movk_i32 s8, 0x7fff
	s_waitcnt vmcnt(0)
	v_cvt_f32_u32_e32 v1, v1
	v_bfe_u32 v4, v1, 16, 1
	v_add3_u32 v1, v1, v4, s8
	v_lshrrev_b32_e32 v1, 16, v1
.LBB537_885:
	s_mov_b64 s[8:9], 0
.LBB537_886:
	s_andn2_b64 vcc, exec, s[8:9]
	s_cbranch_vccnz .LBB537_894
; %bb.887:
	global_load_ubyte v1, v[2:3], off
	s_movk_i32 s8, 0x7f
	s_waitcnt vmcnt(0)
	v_cmp_lt_i16_e32 vcc, s8, v1
	s_mov_b64 s[8:9], 0
	s_and_saveexec_b64 s[10:11], vcc
	s_xor_b64 s[10:11], exec, s[10:11]
	s_cbranch_execz .LBB537_908
; %bb.888:
	s_movk_i32 s8, 0x80
	v_cmp_eq_u16_e32 vcc, s8, v1
	s_mov_b64 s[8:9], -1
	s_and_saveexec_b64 s[12:13], vcc
; %bb.889:
	s_xor_b64 s[8:9], exec, -1
; %bb.890:
	s_or_b64 exec, exec, s[12:13]
	s_and_b64 s[8:9], s[8:9], exec
	s_or_saveexec_b64 s[10:11], s[10:11]
	v_mov_b32_e32 v4, 0x7f800001
	s_xor_b64 exec, exec, s[10:11]
	s_cbranch_execnz .LBB537_909
.LBB537_891:
	s_or_b64 exec, exec, s[10:11]
	s_and_saveexec_b64 s[10:11], s[8:9]
	s_cbranch_execz .LBB537_893
.LBB537_892:
	v_lshlrev_b32_e32 v4, 24, v1
	v_and_b32_e32 v1, 0xffff, v1
	v_and_b32_e32 v5, 7, v1
	v_ffbh_u32_e32 v7, v5
	v_min_u32_e32 v7, 32, v7
	v_subrev_u32_e32 v8, 28, v7
	v_bfe_u32 v6, v1, 3, 4
	v_lshlrev_b32_e32 v1, v8, v1
	v_sub_u32_e32 v7, 29, v7
	v_and_b32_e32 v1, 7, v1
	v_cmp_eq_u32_e32 vcc, 0, v6
	v_and_b32_e32 v4, 0x80000000, v4
	s_nop 0
	v_cndmask_b32_e32 v6, v6, v7, vcc
	v_cndmask_b32_e32 v1, v5, v1, vcc
	v_mov_b32_e32 v5, 0x3b800000
	v_lshlrev_b32_e32 v1, 20, v1
	v_lshl_add_u32 v5, v6, 23, v5
	v_or3_b32 v4, v4, v5, v1
.LBB537_893:
	s_or_b64 exec, exec, s[10:11]
	v_bfe_u32 v1, v4, 16, 1
	s_movk_i32 s8, 0x7fff
	v_add3_u32 v1, v4, v1, s8
	v_cmp_o_f32_e32 vcc, v4, v4
	v_mov_b32_e32 v4, 0x7fc0
	s_nop 0
	v_cndmask_b32_sdwa v1, v4, v1, vcc dst_sel:DWORD dst_unused:UNUSED_PAD src0_sel:DWORD src1_sel:WORD_1
.LBB537_894:
	s_mov_b64 s[8:9], -1
.LBB537_895:
	s_mov_b64 s[10:11], 0
.LBB537_896:
	s_and_b64 vcc, exec, s[10:11]
	s_cbranch_vccz .LBB537_929
; %bb.897:
	s_cmp_gt_i32 s14, 22
	s_cbranch_scc0 .LBB537_907
; %bb.898:
	s_cmp_lt_i32 s14, 24
	s_cbranch_scc1 .LBB537_910
; %bb.899:
	s_cmp_gt_i32 s14, 24
	s_cbranch_scc0 .LBB537_911
; %bb.900:
	global_load_ubyte v1, v[2:3], off
	s_movk_i32 s6, 0x7f
	s_waitcnt vmcnt(0)
	v_cmp_lt_i16_e32 vcc, s6, v1
	s_mov_b64 s[6:7], 0
	s_and_saveexec_b64 s[8:9], vcc
	s_xor_b64 s[8:9], exec, s[8:9]
	s_cbranch_execz .LBB537_923
; %bb.901:
	s_movk_i32 s6, 0x80
	v_cmp_eq_u16_e32 vcc, s6, v1
	s_mov_b64 s[6:7], -1
	s_and_saveexec_b64 s[10:11], vcc
; %bb.902:
	s_xor_b64 s[6:7], exec, -1
; %bb.903:
	s_or_b64 exec, exec, s[10:11]
	s_and_b64 s[6:7], s[6:7], exec
	s_or_saveexec_b64 s[8:9], s[8:9]
	v_mov_b32_e32 v4, 0x7f800001
	s_xor_b64 exec, exec, s[8:9]
	s_cbranch_execnz .LBB537_924
.LBB537_904:
	s_or_b64 exec, exec, s[8:9]
	s_and_saveexec_b64 s[8:9], s[6:7]
	s_cbranch_execz .LBB537_906
.LBB537_905:
	v_lshlrev_b32_e32 v4, 24, v1
	v_and_b32_e32 v1, 0xffff, v1
	v_and_b32_e32 v5, 3, v1
	v_ffbh_u32_e32 v7, v5
	v_min_u32_e32 v7, 32, v7
	v_subrev_u32_e32 v8, 29, v7
	v_bfe_u32 v6, v1, 2, 5
	v_lshlrev_b32_e32 v1, v8, v1
	v_sub_u32_e32 v7, 30, v7
	v_and_b32_e32 v1, 3, v1
	v_cmp_eq_u32_e32 vcc, 0, v6
	v_and_b32_e32 v4, 0x80000000, v4
	s_nop 0
	v_cndmask_b32_e32 v6, v6, v7, vcc
	v_cndmask_b32_e32 v1, v5, v1, vcc
	v_mov_b32_e32 v5, 0x37800000
	v_lshlrev_b32_e32 v1, 21, v1
	v_lshl_add_u32 v5, v6, 23, v5
	v_or3_b32 v4, v4, v5, v1
.LBB537_906:
	s_or_b64 exec, exec, s[8:9]
	v_bfe_u32 v1, v4, 16, 1
	s_movk_i32 s6, 0x7fff
	v_add3_u32 v1, v4, v1, s6
	v_cmp_o_f32_e32 vcc, v4, v4
	v_mov_b32_e32 v4, 0x7fc0
	s_mov_b64 s[6:7], 0
	v_cndmask_b32_sdwa v1, v4, v1, vcc dst_sel:DWORD dst_unused:UNUSED_PAD src0_sel:DWORD src1_sel:WORD_1
	s_branch .LBB537_912
.LBB537_907:
	s_mov_b64 s[6:7], -1
                                        ; implicit-def: $vgpr1
	s_branch .LBB537_918
.LBB537_908:
	s_or_saveexec_b64 s[10:11], s[10:11]
	v_mov_b32_e32 v4, 0x7f800001
	s_xor_b64 exec, exec, s[10:11]
	s_cbranch_execz .LBB537_891
.LBB537_909:
	v_cmp_ne_u16_e32 vcc, 0, v1
	s_andn2_b64 s[8:9], s[8:9], exec
	s_and_b64 s[12:13], vcc, exec
	v_mov_b32_e32 v4, 0
	s_or_b64 s[8:9], s[8:9], s[12:13]
	s_or_b64 exec, exec, s[10:11]
	s_and_saveexec_b64 s[10:11], s[8:9]
	s_cbranch_execnz .LBB537_892
	s_branch .LBB537_893
.LBB537_910:
	s_mov_b64 s[6:7], -1
                                        ; implicit-def: $vgpr1
	s_branch .LBB537_915
.LBB537_911:
	s_mov_b64 s[6:7], -1
                                        ; implicit-def: $vgpr1
.LBB537_912:
	s_and_b64 vcc, exec, s[6:7]
	s_cbranch_vccz .LBB537_914
; %bb.913:
	global_load_ubyte v1, v[2:3], off
	s_mov_b32 s6, 0x7f800000
	s_brev_b32 s7, 1
	s_movk_i32 s8, 0x7fff
	s_waitcnt vmcnt(0)
	v_lshlrev_b32_e32 v1, 24, v1
	v_and_b32_e32 v4, 0x7f000000, v1
	v_ffbh_u32_e32 v5, v4
	v_min_u32_e32 v5, 32, v5
	v_sub_u32_e64 v5, v5, 4 clamp
	v_lshlrev_b32_e32 v7, v5, v4
	v_lshlrev_b32_e32 v5, 23, v5
	v_lshrrev_b32_e32 v7, 4, v7
	v_add_u32_e32 v6, 0x1000000, v4
	v_sub_u32_e32 v5, v7, v5
	v_ashrrev_i32_e32 v6, 8, v6
	v_add_u32_e32 v5, 0x3c000000, v5
	v_and_or_b32 v5, v6, s6, v5
	v_cmp_ne_u32_e32 vcc, 0, v4
	s_nop 1
	v_cndmask_b32_e32 v4, 0, v5, vcc
	v_and_or_b32 v1, v1, s7, v4
	v_bfe_u32 v4, v4, 16, 1
	v_add3_u32 v4, v1, v4, s8
	v_cmp_o_f32_e32 vcc, v1, v1
	v_mov_b32_e32 v1, 0x7fc0
	s_nop 0
	v_cndmask_b32_sdwa v1, v1, v4, vcc dst_sel:DWORD dst_unused:UNUSED_PAD src0_sel:DWORD src1_sel:WORD_1
.LBB537_914:
	s_mov_b64 s[6:7], 0
.LBB537_915:
	s_andn2_b64 vcc, exec, s[6:7]
	s_cbranch_vccnz .LBB537_917
; %bb.916:
	global_load_ubyte v1, v[2:3], off
	s_movk_i32 s6, 0x7f00
	s_brev_b32 s7, 16
	s_brev_b32 s8, 1
	s_movk_i32 s9, 0x7fff
	s_waitcnt vmcnt(0)
	v_lshlrev_b16_e32 v4, 8, v1
	v_lshlrev_b32_e32 v1, 25, v1
	v_lshrrev_b32_e32 v5, 4, v1
	v_and_or_b32 v6, v4, s6, 0.5
	v_or_b32_e32 v5, 0x70000000, v5
	v_add_f32_e32 v6, -0.5, v6
	v_mul_f32_e32 v5, 0x7800000, v5
	v_cmp_gt_u32_e32 vcc, s7, v1
	v_bfe_i32 v4, v4, 0, 16
	s_nop 0
	v_cndmask_b32_e32 v1, v5, v6, vcc
	v_and_or_b32 v4, v4, s8, v1
	v_bfe_u32 v1, v1, 16, 1
	v_add3_u32 v1, v4, v1, s9
	v_cmp_o_f32_e32 vcc, v4, v4
	v_mov_b32_e32 v4, 0x7fc0
	s_nop 0
	v_cndmask_b32_sdwa v1, v4, v1, vcc dst_sel:DWORD dst_unused:UNUSED_PAD src0_sel:DWORD src1_sel:WORD_1
.LBB537_917:
	s_mov_b64 s[6:7], 0
	s_mov_b64 s[8:9], -1
.LBB537_918:
	s_andn2_b64 vcc, exec, s[6:7]
	s_mov_b64 s[6:7], 0
	s_cbranch_vccnz .LBB537_929
; %bb.919:
	s_cmp_gt_i32 s14, 14
	s_cbranch_scc0 .LBB537_922
; %bb.920:
	s_cmp_eq_u32 s14, 15
	s_cbranch_scc0 .LBB537_925
; %bb.921:
	global_load_ushort v1, v[2:3], off
	s_mov_b64 s[4:5], 0
	s_mov_b64 s[8:9], -1
	s_branch .LBB537_926
.LBB537_922:
	s_mov_b64 s[10:11], -1
                                        ; implicit-def: $vgpr1
	s_branch .LBB537_927
.LBB537_923:
	s_or_saveexec_b64 s[8:9], s[8:9]
	v_mov_b32_e32 v4, 0x7f800001
	s_xor_b64 exec, exec, s[8:9]
	s_cbranch_execz .LBB537_904
.LBB537_924:
	v_cmp_ne_u16_e32 vcc, 0, v1
	s_andn2_b64 s[6:7], s[6:7], exec
	s_and_b64 s[10:11], vcc, exec
	v_mov_b32_e32 v4, 0
	s_or_b64 s[6:7], s[6:7], s[10:11]
	s_or_b64 exec, exec, s[8:9]
	s_and_saveexec_b64 s[8:9], s[6:7]
	s_cbranch_execnz .LBB537_905
	s_branch .LBB537_906
.LBB537_925:
	s_mov_b64 s[4:5], -1
                                        ; implicit-def: $vgpr1
.LBB537_926:
	s_mov_b64 s[10:11], 0
.LBB537_927:
	s_and_b64 vcc, exec, s[10:11]
	s_cbranch_vccz .LBB537_929
; %bb.928:
	s_cmp_lg_u32 s14, 11
	s_cselect_b64 s[10:11], -1, 0
	s_andn2_b64 s[4:5], s[4:5], exec
	s_and_b64 s[10:11], s[10:11], exec
	s_mov_b64 s[6:7], -1
	s_or_b64 s[4:5], s[4:5], s[10:11]
.LBB537_929:
	s_mov_b64 s[10:11], 0
.LBB537_930:
	s_andn2_b64 s[12:13], s[2:3], exec
	s_and_b64 s[4:5], s[4:5], exec
	s_and_b64 s[8:9], s[8:9], exec
	s_and_b64 s[10:11], s[10:11], exec
	s_and_b64 s[6:7], s[6:7], exec
	s_or_b64 s[12:13], s[12:13], s[4:5]
.LBB537_931:
	s_or_b64 exec, exec, s[72:73]
	s_and_b64 s[4:5], s[6:7], exec
	s_andn2_b64 s[2:3], s[2:3], exec
	s_and_b64 s[6:7], s[12:13], exec
	s_and_b64 s[8:9], s[8:9], exec
	;; [unrolled: 1-line block ×3, first 2 shown]
	s_or_b64 s[2:3], s[2:3], s[6:7]
.LBB537_932:
	s_or_b64 exec, exec, s[68:69]
	s_andn2_b64 s[6:7], s[64:65], exec
	s_and_b64 s[12:13], s[70:71], exec
	s_or_b64 s[64:65], s[6:7], s[12:13]
	s_and_b64 s[6:7], s[10:11], exec
	s_andn2_b64 s[10:11], s[62:63], exec
	s_and_b64 s[2:3], s[2:3], exec
	s_and_b64 s[8:9], s[8:9], exec
	;; [unrolled: 1-line block ×3, first 2 shown]
	s_or_b64 s[62:63], s[10:11], s[2:3]
.LBB537_933:
	s_or_b64 exec, exec, s[66:67]
	s_andn2_b64 s[2:3], s[56:57], exec
	s_and_b64 s[10:11], s[64:65], exec
	s_or_b64 s[56:57], s[2:3], s[10:11]
	s_and_b64 s[2:3], s[8:9], exec
	s_and_b64 s[8:9], s[6:7], exec
	;; [unrolled: 1-line block ×3, first 2 shown]
	s_andn2_b64 s[4:5], s[58:59], exec
	s_and_b64 s[6:7], s[62:63], exec
	s_or_b64 s[58:59], s[4:5], s[6:7]
	s_or_b64 exec, exec, s[60:61]
	s_mov_b64 s[4:5], 0
	s_and_saveexec_b64 s[6:7], s[58:59]
	s_cbranch_execz .LBB537_280
.LBB537_934:
	s_mov_b64 s[4:5], exec
	s_andn2_b64 s[64:65], s[64:65], exec
	s_trap 2
	s_or_b64 exec, exec, s[6:7]
	s_and_saveexec_b64 s[6:7], s[64:65]
	s_xor_b64 s[6:7], exec, s[6:7]
	s_cbranch_execnz .LBB537_281
.LBB537_935:
	s_or_b64 exec, exec, s[6:7]
	s_and_saveexec_b64 s[6:7], s[8:9]
	s_cbranch_execz .LBB537_981
.LBB537_936:
	s_sext_i32_i16 s8, s77
	s_cmp_lt_i32 s8, 5
	s_cbranch_scc1 .LBB537_941
; %bb.937:
	s_cmp_lt_i32 s8, 8
	s_cbranch_scc1 .LBB537_942
; %bb.938:
	;; [unrolled: 3-line block ×3, first 2 shown]
	s_cmp_gt_i32 s8, 9
	s_cbranch_scc0 .LBB537_944
; %bb.940:
	global_load_dwordx2 v[4:5], v[2:3], off
	s_movk_i32 s8, 0x7fff
	s_waitcnt vmcnt(1)
	v_mov_b32_e32 v1, 0x7fc0
	s_waitcnt vmcnt(0)
	v_cvt_f32_f64_e32 v4, v[4:5]
	v_bfe_u32 v5, v4, 16, 1
	v_cmp_o_f32_e32 vcc, v4, v4
	v_add3_u32 v4, v4, v5, s8
	s_mov_b64 s[8:9], 0
	v_cndmask_b32_sdwa v1, v1, v4, vcc dst_sel:DWORD dst_unused:UNUSED_PAD src0_sel:DWORD src1_sel:WORD_1
	s_branch .LBB537_945
.LBB537_941:
                                        ; implicit-def: $vgpr1
	s_branch .LBB537_962
.LBB537_942:
                                        ; implicit-def: $vgpr1
	s_branch .LBB537_951
.LBB537_943:
	s_mov_b64 s[8:9], -1
                                        ; implicit-def: $vgpr1
	s_branch .LBB537_948
.LBB537_944:
	s_mov_b64 s[8:9], -1
                                        ; implicit-def: $vgpr1
.LBB537_945:
	s_andn2_b64 vcc, exec, s[8:9]
	s_cbranch_vccnz .LBB537_947
; %bb.946:
	global_load_dword v1, v[2:3], off
	s_movk_i32 s8, 0x7fff
	v_mov_b32_e32 v4, 0x7fc0
	s_waitcnt vmcnt(0)
	v_bfe_u32 v5, v1, 16, 1
	v_cmp_o_f32_e32 vcc, v1, v1
	v_add3_u32 v1, v1, v5, s8
	s_nop 0
	v_cndmask_b32_sdwa v1, v4, v1, vcc dst_sel:DWORD dst_unused:UNUSED_PAD src0_sel:DWORD src1_sel:WORD_1
.LBB537_947:
	s_mov_b64 s[8:9], 0
.LBB537_948:
	s_andn2_b64 vcc, exec, s[8:9]
	s_cbranch_vccnz .LBB537_950
; %bb.949:
	global_load_dword v1, v[2:3], off
	s_movk_i32 s8, 0x7fff
	v_mov_b32_e32 v5, 0x7fc0
	s_waitcnt vmcnt(0)
	v_cvt_f32_f16_e32 v4, v1
	v_cmp_o_f16_e32 vcc, v1, v1
	v_bfe_u32 v1, v4, 16, 1
	v_add3_u32 v1, v4, v1, s8
	v_cndmask_b32_sdwa v1, v5, v1, vcc dst_sel:DWORD dst_unused:UNUSED_PAD src0_sel:DWORD src1_sel:WORD_1
.LBB537_950:
	s_cbranch_execnz .LBB537_961
.LBB537_951:
	s_sext_i32_i16 s8, s77
	s_cmp_lt_i32 s8, 6
	s_cbranch_scc1 .LBB537_954
; %bb.952:
	s_cmp_gt_i32 s8, 6
	s_cbranch_scc0 .LBB537_955
; %bb.953:
	global_load_dwordx2 v[4:5], v[2:3], off
	s_movk_i32 s8, 0x7fff
	s_waitcnt vmcnt(1)
	v_mov_b32_e32 v1, 0x7fc0
	s_waitcnt vmcnt(0)
	v_cvt_f32_f64_e32 v4, v[4:5]
	v_bfe_u32 v5, v4, 16, 1
	v_cmp_o_f32_e32 vcc, v4, v4
	v_add3_u32 v4, v4, v5, s8
	s_mov_b64 s[8:9], 0
	v_cndmask_b32_sdwa v1, v1, v4, vcc dst_sel:DWORD dst_unused:UNUSED_PAD src0_sel:DWORD src1_sel:WORD_1
	s_branch .LBB537_956
.LBB537_954:
	s_mov_b64 s[8:9], -1
                                        ; implicit-def: $vgpr1
	s_branch .LBB537_959
.LBB537_955:
	s_mov_b64 s[8:9], -1
                                        ; implicit-def: $vgpr1
.LBB537_956:
	s_andn2_b64 vcc, exec, s[8:9]
	s_cbranch_vccnz .LBB537_958
; %bb.957:
	global_load_dword v1, v[2:3], off
	s_movk_i32 s8, 0x7fff
	v_mov_b32_e32 v4, 0x7fc0
	s_waitcnt vmcnt(0)
	v_bfe_u32 v5, v1, 16, 1
	v_cmp_o_f32_e32 vcc, v1, v1
	v_add3_u32 v1, v1, v5, s8
	s_nop 0
	v_cndmask_b32_sdwa v1, v4, v1, vcc dst_sel:DWORD dst_unused:UNUSED_PAD src0_sel:DWORD src1_sel:WORD_1
.LBB537_958:
	s_mov_b64 s[8:9], 0
.LBB537_959:
	s_andn2_b64 vcc, exec, s[8:9]
	s_cbranch_vccnz .LBB537_961
; %bb.960:
	global_load_ushort v1, v[2:3], off
	s_movk_i32 s8, 0x7fff
	v_mov_b32_e32 v5, 0x7fc0
	s_waitcnt vmcnt(0)
	v_cvt_f32_f16_e32 v4, v1
	v_cmp_o_f16_e32 vcc, v1, v1
	v_bfe_u32 v1, v4, 16, 1
	v_add3_u32 v1, v4, v1, s8
	v_cndmask_b32_sdwa v1, v5, v1, vcc dst_sel:DWORD dst_unused:UNUSED_PAD src0_sel:DWORD src1_sel:WORD_1
.LBB537_961:
	s_cbranch_execnz .LBB537_980
.LBB537_962:
	s_sext_i32_i16 s8, s77
	s_cmp_lt_i32 s8, 2
	s_cbranch_scc1 .LBB537_966
; %bb.963:
	s_cmp_lt_i32 s8, 3
	s_cbranch_scc1 .LBB537_967
; %bb.964:
	s_cmp_gt_i32 s8, 3
	s_cbranch_scc0 .LBB537_968
; %bb.965:
	global_load_dwordx2 v[4:5], v[2:3], off
	s_movk_i32 s8, 0x7fff
	s_waitcnt vmcnt(0)
	v_xor_b32_e32 v6, v4, v5
	v_ffbh_i32_e32 v1, v5
	v_ashrrev_i32_e32 v6, 31, v6
	v_add_u32_e32 v1, -1, v1
	v_add_u32_e32 v6, 32, v6
	v_min_u32_e32 v1, v1, v6
	v_lshlrev_b64 v[4:5], v1, v[4:5]
	v_min_u32_e32 v4, 1, v4
	v_or_b32_e32 v4, v5, v4
	v_cvt_f32_i32_e32 v4, v4
	v_sub_u32_e32 v1, 32, v1
	v_ldexp_f32 v1, v4, v1
	v_bfe_u32 v4, v1, 16, 1
	v_add3_u32 v1, v1, v4, s8
	v_lshrrev_b32_e32 v1, 16, v1
	s_mov_b64 s[8:9], 0
	s_branch .LBB537_969
.LBB537_966:
                                        ; implicit-def: $vgpr1
	s_branch .LBB537_975
.LBB537_967:
	s_mov_b64 s[8:9], -1
                                        ; implicit-def: $vgpr1
	s_branch .LBB537_972
.LBB537_968:
	s_mov_b64 s[8:9], -1
                                        ; implicit-def: $vgpr1
.LBB537_969:
	s_andn2_b64 vcc, exec, s[8:9]
	s_cbranch_vccnz .LBB537_971
; %bb.970:
	global_load_dword v1, v[2:3], off
	s_movk_i32 s8, 0x7fff
	s_waitcnt vmcnt(0)
	v_cvt_f32_i32_e32 v1, v1
	v_bfe_u32 v4, v1, 16, 1
	v_add3_u32 v1, v1, v4, s8
	v_lshrrev_b32_e32 v1, 16, v1
.LBB537_971:
	s_mov_b64 s[8:9], 0
.LBB537_972:
	s_andn2_b64 vcc, exec, s[8:9]
	s_cbranch_vccnz .LBB537_974
; %bb.973:
	global_load_sshort v1, v[2:3], off
	s_movk_i32 s8, 0x7fff
	s_waitcnt vmcnt(0)
	v_cvt_f32_i32_e32 v1, v1
	v_bfe_u32 v4, v1, 16, 1
	v_add3_u32 v1, v1, v4, s8
	v_lshrrev_b32_e32 v1, 16, v1
.LBB537_974:
	s_cbranch_execnz .LBB537_980
.LBB537_975:
	s_sext_i32_i16 s8, s77
	s_cmp_gt_i32 s8, 0
	s_cbranch_scc0 .LBB537_977
; %bb.976:
	global_load_sbyte v1, v[2:3], off
	s_movk_i32 s8, 0x7fff
	s_waitcnt vmcnt(0)
	v_cvt_f32_i32_e32 v1, v1
	v_bfe_u32 v4, v1, 16, 1
	v_add3_u32 v1, v1, v4, s8
	v_lshrrev_b32_e32 v1, 16, v1
	s_mov_b64 s[8:9], 0
	s_branch .LBB537_978
.LBB537_977:
	s_mov_b64 s[8:9], -1
                                        ; implicit-def: $vgpr1
.LBB537_978:
	s_andn2_b64 vcc, exec, s[8:9]
	s_cbranch_vccnz .LBB537_980
; %bb.979:
	global_load_ubyte v1, v[2:3], off
	s_movk_i32 s8, 0x7fff
	s_waitcnt vmcnt(0)
	v_cvt_f32_ubyte0_e32 v1, v1
	v_bfe_u32 v2, v1, 16, 1
	v_add3_u32 v1, v1, v2, s8
	v_lshrrev_b32_e32 v1, 16, v1
.LBB537_980:
	s_or_b64 s[2:3], s[2:3], exec
.LBB537_981:
	s_or_b64 exec, exec, s[6:7]
	s_mov_b64 s[10:11], 0
	s_mov_b64 s[8:9], 0
                                        ; implicit-def: $sgpr16
                                        ; implicit-def: $vgpr2_vgpr3
                                        ; implicit-def: $vgpr4
	s_and_saveexec_b64 s[6:7], s[2:3]
	s_cbranch_execz .LBB537_1003
; %bb.982:
	s_waitcnt vmcnt(0)
	v_lshlrev_b32_e32 v2, 16, v1
	v_cmp_o_f32_e32 vcc, v2, v2
	v_mov_b32_e32 v4, s46
	s_and_saveexec_b64 s[2:3], vcc
	s_cbranch_execz .LBB537_986
; %bb.983:
	s_mov_b32 s8, 0x7f800000
	v_cmp_neq_f32_e32 vcc, s8, v2
	v_mov_b32_e32 v4, s76
	s_and_saveexec_b64 s[8:9], vcc
; %bb.984:
	s_mov_b32 s10, 0xff800000
	v_mov_b32_e32 v3, s47
	v_cmp_eq_f32_e32 vcc, s10, v2
	s_nop 1
	v_cndmask_b32_e32 v4, v1, v3, vcc
; %bb.985:
	s_or_b64 exec, exec, s[8:9]
.LBB537_986:
	s_or_b64 exec, exec, s[2:3]
	v_mov_b32_e32 v1, 0
	s_and_b32 s16, s75, 0xff
	s_cmp_lt_i32 s16, 11
	v_lshl_add_u64 v[2:3], s[20:21], 0, v[0:1]
	s_cbranch_scc1 .LBB537_1006
; %bb.987:
	s_and_b32 s17, 0xffff, s16
	s_mov_b64 s[10:11], -1
	s_cmp_gt_i32 s17, 25
	s_mov_b64 s[2:3], s[56:57]
	s_cbranch_scc0 .LBB537_1024
; %bb.988:
	s_mov_b64 s[8:9], -1
	s_cmp_gt_i32 s17, 28
	s_mov_b64 s[2:3], s[56:57]
	s_cbranch_scc0 .LBB537_1008
; %bb.989:
	s_cmp_gt_i32 s17, 43
	s_mov_b64 s[2:3], s[56:57]
	s_cbranch_scc0 .LBB537_1000
; %bb.990:
	;; [unrolled: 4-line block ×3, first 2 shown]
	s_cmp_eq_u32 s17, 46
	s_mov_b64 s[2:3], -1
	s_cbranch_scc0 .LBB537_993
; %bb.992:
	v_and_b32_e32 v0, 0xffff, v4
	global_store_dword v[2:3], v0, off
	s_mov_b64 s[2:3], 0
.LBB537_993:
	s_mov_b64 s[8:9], 0
.LBB537_994:
	s_and_b64 vcc, exec, s[8:9]
	s_cbranch_vccz .LBB537_999
; %bb.995:
	s_cmp_eq_u32 s17, 44
	s_mov_b64 s[2:3], -1
	s_cbranch_scc0 .LBB537_999
; %bb.996:
	v_and_b32_e32 v1, 0xffff, v4
	v_bfe_u32 v0, v1, 7, 8
	s_movk_i32 s2, 0xff
	v_cmp_ne_u32_e32 vcc, s2, v0
	v_mov_b32_e32 v5, 0xff
	s_and_saveexec_b64 s[8:9], vcc
	s_cbranch_execz .LBB537_998
; %bb.997:
	v_lshlrev_b32_e32 v6, 16, v1
	s_mov_b32 s2, 0x3f0000
	v_lshrrev_b32_e32 v5, 7, v1
	v_and_b32_e32 v1, 64, v1
	v_and_or_b32 v0, v6, s2, v0
	v_cmp_ne_u32_e32 vcc, 0, v1
	v_cmp_ne_u32_e64 s[2:3], 0, v0
	s_and_b64 s[2:3], vcc, s[2:3]
	s_nop 0
	v_cndmask_b32_e64 v0, 0, 1, s[2:3]
	v_add_u32_e32 v5, v5, v0
.LBB537_998:
	s_or_b64 exec, exec, s[8:9]
	s_mov_b64 s[2:3], 0
	global_store_byte v[2:3], v5, off
.LBB537_999:
	s_mov_b64 s[8:9], 0
.LBB537_1000:
	s_and_b64 vcc, exec, s[8:9]
	s_cbranch_vccz .LBB537_1007
; %bb.1001:
	s_cmp_eq_u32 s17, 29
	s_mov_b64 s[2:3], -1
	s_cbranch_scc0 .LBB537_1007
; %bb.1002:
	v_lshlrev_b32_e32 v0, 16, v4
	v_trunc_f32_e32 v0, v0
	v_mul_f32_e32 v1, 0x2f800000, v0
	v_floor_f32_e32 v5, v1
	v_fmamk_f32 v0, v5, 0xcf800000, v0
	v_cvt_u32_f32_e32 v1, v5
	v_cvt_u32_f32_e32 v0, v0
	s_mov_b64 s[2:3], 0
	s_mov_b64 s[8:9], 0
	global_store_dwordx2 v[2:3], v[0:1], off
	s_branch .LBB537_1008
.LBB537_1003:
	s_or_b64 exec, exec, s[6:7]
	s_and_saveexec_b64 s[2:3], s[56:57]
	s_cbranch_execnz .LBB537_1066
.LBB537_1004:
	s_or_b64 exec, exec, s[2:3]
	s_and_saveexec_b64 s[2:3], s[10:11]
	s_xor_b64 s[2:3], exec, s[2:3]
	s_cbranch_execz .LBB537_1067
.LBB537_1005:
	v_and_b32_e32 v0, 0x7fff, v4
	v_cmp_ne_u16_e32 vcc, 0, v0
	s_nop 1
	v_cndmask_b32_e64 v0, 0, 1, vcc
	global_store_byte v[2:3], v0, off
	s_or_b64 exec, exec, s[2:3]
	s_and_saveexec_b64 s[2:3], s[8:9]
	s_xor_b64 s[2:3], exec, s[2:3]
	s_cbranch_execz .LBB537_1105
	s_branch .LBB537_1068
.LBB537_1006:
	s_mov_b64 s[10:11], 0
	s_mov_b64 s[8:9], -1
	s_mov_b64 s[2:3], s[56:57]
	s_branch .LBB537_1065
.LBB537_1007:
	s_mov_b64 s[8:9], 0
.LBB537_1008:
	s_and_b64 vcc, exec, s[8:9]
	s_cbranch_vccz .LBB537_1023
; %bb.1009:
	s_cmp_lt_i32 s17, 27
	s_mov_b64 s[8:9], -1
	s_cbranch_scc1 .LBB537_1015
; %bb.1010:
	s_cmp_gt_i32 s17, 27
	s_cbranch_scc0 .LBB537_1012
; %bb.1011:
	v_lshlrev_b32_e32 v0, 16, v4
	v_cvt_u32_f32_e32 v0, v0
	s_mov_b64 s[8:9], 0
	global_store_dword v[2:3], v0, off
.LBB537_1012:
	s_andn2_b64 vcc, exec, s[8:9]
	s_cbranch_vccnz .LBB537_1014
; %bb.1013:
	v_lshlrev_b32_e32 v0, 16, v4
	v_cvt_u32_f32_e32 v0, v0
	global_store_short v[2:3], v0, off
.LBB537_1014:
	s_mov_b64 s[8:9], 0
.LBB537_1015:
	s_andn2_b64 vcc, exec, s[8:9]
	s_cbranch_vccnz .LBB537_1023
; %bb.1016:
	v_lshlrev_b32_e32 v5, 16, v4
	v_and_b32_e32 v1, 0x7fffffff, v5
	s_mov_b32 s8, 0x43800000
	v_cmp_gt_u32_e32 vcc, s8, v1
	v_mov_b32_e32 v6, 0x80
	s_and_saveexec_b64 s[8:9], vcc
	s_cbranch_execz .LBB537_1022
; %bb.1017:
	s_mov_b32 s10, 0x3bffffff
	v_and_b32_e32 v0, 0xffff, v4
	v_cmp_lt_u32_e32 vcc, s10, v1
	s_mov_b64 s[10:11], 0
                                        ; implicit-def: $vgpr1
	s_and_saveexec_b64 s[12:13], vcc
	s_xor_b64 s[12:13], exec, s[12:13]
	s_cbranch_execz .LBB537_1176
; %bb.1018:
	v_bfe_u32 v1, v0, 4, 1
	s_mov_b32 s14, 0x487ffff
	v_add3_u32 v1, v5, v1, s14
	s_mov_b64 s[10:11], exec
	v_lshrrev_b32_e32 v1, 20, v1
                                        ; implicit-def: $vgpr5
	s_andn2_saveexec_b64 s[12:13], s[12:13]
	s_cbranch_execnz .LBB537_1177
.LBB537_1019:
	s_or_b64 exec, exec, s[12:13]
	v_mov_b32_e32 v6, 0
	s_and_saveexec_b64 s[12:13], s[10:11]
.LBB537_1020:
	v_lshrrev_b32_e32 v0, 8, v0
	s_movk_i32 s10, 0x80
	v_and_or_b32 v6, v0, s10, v1
.LBB537_1021:
	s_or_b64 exec, exec, s[12:13]
.LBB537_1022:
	s_or_b64 exec, exec, s[8:9]
	global_store_byte v[2:3], v6, off
.LBB537_1023:
	s_mov_b64 s[10:11], 0
.LBB537_1024:
	s_mov_b64 s[8:9], 0
	s_and_b64 vcc, exec, s[10:11]
	s_cbranch_vccz .LBB537_1064
; %bb.1025:
	s_cmp_gt_i32 s17, 22
	s_mov_b64 s[10:11], -1
	s_cbranch_scc0 .LBB537_1057
; %bb.1026:
	s_cmp_lt_i32 s17, 24
	s_cbranch_scc1 .LBB537_1046
; %bb.1027:
	s_cmp_gt_i32 s17, 24
	s_cbranch_scc0 .LBB537_1035
; %bb.1028:
	v_lshlrev_b32_e32 v5, 16, v4
	v_and_b32_e32 v1, 0x7fffffff, v5
	s_mov_b32 s10, 0x47800000
	v_cmp_gt_u32_e32 vcc, s10, v1
	v_mov_b32_e32 v6, 0x80
	s_and_saveexec_b64 s[10:11], vcc
	s_cbranch_execz .LBB537_1034
; %bb.1029:
	s_mov_b32 s12, 0x37ffffff
	v_and_b32_e32 v0, 0xffff, v4
	v_cmp_lt_u32_e32 vcc, s12, v1
	s_mov_b64 s[12:13], 0
                                        ; implicit-def: $vgpr1
	s_and_saveexec_b64 s[14:15], vcc
	s_xor_b64 s[14:15], exec, s[14:15]
	s_cbranch_execz .LBB537_1305
; %bb.1030:
	v_bfe_u32 v1, v0, 5, 1
	s_mov_b32 s18, 0x88fffff
	v_add3_u32 v1, v5, v1, s18
	s_mov_b64 s[12:13], exec
	v_lshrrev_b32_e32 v1, 21, v1
                                        ; implicit-def: $vgpr5
	s_andn2_saveexec_b64 s[14:15], s[14:15]
	s_cbranch_execnz .LBB537_1306
.LBB537_1031:
	s_or_b64 exec, exec, s[14:15]
	v_mov_b32_e32 v6, 0
	s_and_saveexec_b64 s[14:15], s[12:13]
.LBB537_1032:
	v_lshrrev_b32_e32 v0, 8, v0
	s_movk_i32 s12, 0x80
	v_and_or_b32 v6, v0, s12, v1
.LBB537_1033:
	s_or_b64 exec, exec, s[14:15]
.LBB537_1034:
	s_or_b64 exec, exec, s[10:11]
	s_mov_b64 s[10:11], 0
	global_store_byte v[2:3], v6, off
.LBB537_1035:
	s_and_b64 vcc, exec, s[10:11]
	s_cbranch_vccz .LBB537_1045
; %bb.1036:
	v_lshlrev_b32_e32 v5, 16, v4
	v_and_b32_e32 v6, 0x7fffffff, v5
	s_mov_b32 s10, 0x43f00000
	v_and_b32_e32 v0, 0xffff, v4
	v_cmp_gt_u32_e32 vcc, s10, v6
                                        ; implicit-def: $vgpr1
	s_and_saveexec_b64 s[10:11], vcc
	s_xor_b64 s[10:11], exec, s[10:11]
	s_cbranch_execz .LBB537_1042
; %bb.1037:
	s_mov_b32 s12, 0x3c7fffff
	v_cmp_lt_u32_e32 vcc, s12, v6
                                        ; implicit-def: $vgpr1
	s_and_saveexec_b64 s[12:13], vcc
	s_xor_b64 s[12:13], exec, s[12:13]
; %bb.1038:
	v_bfe_u32 v1, v0, 4, 1
	s_mov_b32 s14, 0x407ffff
	v_add3_u32 v1, v5, v1, s14
	v_lshrrev_b32_e32 v5, 20, v1
	v_and_b32_e32 v1, 0xff00000, v1
	s_mov_b32 s14, 0x7f00000
	v_mov_b32_e32 v6, 0x7e
	v_cmp_ne_u32_e32 vcc, s14, v1
	s_nop 1
	v_cndmask_b32_e32 v1, v6, v5, vcc
                                        ; implicit-def: $vgpr5
; %bb.1039:
	s_andn2_saveexec_b64 s[12:13], s[12:13]
; %bb.1040:
	s_mov_b32 s14, 0x46800000
	v_add_f32_e64 v1, |v5|, s14
; %bb.1041:
	s_or_b64 exec, exec, s[12:13]
                                        ; implicit-def: $vgpr6
.LBB537_1042:
	s_andn2_saveexec_b64 s[10:11], s[10:11]
; %bb.1043:
	s_mov_b32 s12, 0x7f800000
	v_mov_b32_e32 v1, 0x7e
	v_mov_b32_e32 v5, 0x7f
	v_cmp_lt_u32_e32 vcc, s12, v6
	s_nop 1
	v_cndmask_b32_e32 v1, v1, v5, vcc
; %bb.1044:
	s_or_b64 exec, exec, s[10:11]
	v_lshrrev_b32_e32 v0, 8, v0
	s_movk_i32 s10, 0x80
	v_and_or_b32 v0, v0, s10, v1
	global_store_byte v[2:3], v0, off
.LBB537_1045:
	s_mov_b64 s[10:11], 0
.LBB537_1046:
	s_andn2_b64 vcc, exec, s[10:11]
	s_cbranch_vccnz .LBB537_1056
; %bb.1047:
	v_lshlrev_b32_e32 v5, 16, v4
	v_and_b32_e32 v6, 0x7fffffff, v5
	s_mov_b32 s10, 0x47800000
	v_and_b32_e32 v0, 0xffff, v4
	v_cmp_gt_u32_e32 vcc, s10, v6
                                        ; implicit-def: $vgpr1
	s_and_saveexec_b64 s[10:11], vcc
	s_xor_b64 s[10:11], exec, s[10:11]
	s_cbranch_execz .LBB537_1053
; %bb.1048:
	s_mov_b32 s12, 0x387fffff
	v_cmp_lt_u32_e32 vcc, s12, v6
                                        ; implicit-def: $vgpr1
	s_and_saveexec_b64 s[12:13], vcc
	s_xor_b64 s[12:13], exec, s[12:13]
; %bb.1049:
	v_bfe_u32 v1, v0, 5, 1
	s_mov_b32 s14, 0x80fffff
	v_add3_u32 v1, v5, v1, s14
	v_lshrrev_b32_e32 v1, 21, v1
                                        ; implicit-def: $vgpr5
; %bb.1050:
	s_andn2_saveexec_b64 s[12:13], s[12:13]
; %bb.1051:
	s_mov_b32 s14, 0x43000000
	v_add_f32_e64 v1, |v5|, s14
; %bb.1052:
	s_or_b64 exec, exec, s[12:13]
                                        ; implicit-def: $vgpr6
.LBB537_1053:
	s_andn2_saveexec_b64 s[10:11], s[10:11]
; %bb.1054:
	s_mov_b32 s12, 0x7f800000
	v_mov_b32_e32 v1, 0x7c
	v_mov_b32_e32 v5, 0x7f
	v_cmp_lt_u32_e32 vcc, s12, v6
	s_nop 1
	v_cndmask_b32_e32 v1, v1, v5, vcc
; %bb.1055:
	s_or_b64 exec, exec, s[10:11]
	v_lshrrev_b32_e32 v0, 8, v0
	s_movk_i32 s10, 0x80
	v_and_or_b32 v0, v0, s10, v1
	global_store_byte v[2:3], v0, off
.LBB537_1056:
	s_mov_b64 s[10:11], 0
.LBB537_1057:
	s_andn2_b64 vcc, exec, s[10:11]
	s_mov_b64 s[10:11], 0
	s_cbranch_vccnz .LBB537_1065
; %bb.1058:
	s_cmp_gt_i32 s17, 14
	s_mov_b64 s[12:13], -1
	s_cbranch_scc0 .LBB537_1062
; %bb.1059:
	s_cmp_eq_u32 s17, 15
	s_mov_b64 s[2:3], -1
	s_cbranch_scc0 .LBB537_1061
; %bb.1060:
	global_store_short v[2:3], v4, off
	s_mov_b64 s[2:3], 0
.LBB537_1061:
	s_mov_b64 s[12:13], 0
.LBB537_1062:
	s_and_b64 vcc, exec, s[12:13]
	s_cbranch_vccz .LBB537_1065
; %bb.1063:
	s_cmp_lg_u32 s17, 11
	s_cselect_b64 s[12:13], -1, 0
	s_andn2_b64 s[2:3], s[2:3], exec
	s_and_b64 s[12:13], s[12:13], exec
	s_mov_b64 s[10:11], -1
	s_or_b64 s[2:3], s[2:3], s[12:13]
	s_branch .LBB537_1065
.LBB537_1064:
	s_mov_b64 s[10:11], 0
.LBB537_1065:
	s_andn2_b64 s[12:13], s[56:57], exec
	s_and_b64 s[2:3], s[2:3], exec
	s_and_b64 s[8:9], s[8:9], exec
	;; [unrolled: 1-line block ×3, first 2 shown]
	s_or_b64 s[56:57], s[12:13], s[2:3]
	s_or_b64 exec, exec, s[6:7]
	s_and_saveexec_b64 s[2:3], s[56:57]
	s_cbranch_execz .LBB537_1004
.LBB537_1066:
	s_or_b64 s[4:5], s[4:5], exec
	s_andn2_b64 s[10:11], s[10:11], exec
	s_trap 2
	s_or_b64 exec, exec, s[2:3]
	s_and_saveexec_b64 s[2:3], s[10:11]
	s_xor_b64 s[2:3], exec, s[2:3]
	s_cbranch_execnz .LBB537_1005
.LBB537_1067:
	s_or_b64 exec, exec, s[2:3]
	s_and_saveexec_b64 s[2:3], s[8:9]
	s_xor_b64 s[2:3], exec, s[2:3]
	s_cbranch_execz .LBB537_1105
.LBB537_1068:
	s_sext_i32_i16 s8, s16
	s_cmp_lt_i32 s8, 5
	s_mov_b64 s[6:7], -1
	s_cbranch_scc1 .LBB537_1089
; %bb.1069:
	s_cmp_lt_i32 s8, 8
	s_cbranch_scc1 .LBB537_1079
; %bb.1070:
	s_cmp_lt_i32 s8, 9
	s_cbranch_scc1 .LBB537_1076
; %bb.1071:
	s_cmp_gt_i32 s8, 9
	s_cbranch_scc0 .LBB537_1073
; %bb.1072:
	v_lshlrev_b32_e32 v0, 16, v4
	v_mov_b32_e32 v8, 0
	v_cvt_f64_f32_e32 v[6:7], v0
	v_mov_b32_e32 v9, v8
	s_mov_b64 s[6:7], 0
	global_store_dwordx4 v[2:3], v[6:9], off
.LBB537_1073:
	s_andn2_b64 vcc, exec, s[6:7]
	s_cbranch_vccnz .LBB537_1075
; %bb.1074:
	v_lshlrev_b32_e32 v0, 16, v4
	s_waitcnt vmcnt(0)
	v_mov_b32_e32 v1, 0
	global_store_dwordx2 v[2:3], v[0:1], off
.LBB537_1075:
	s_mov_b64 s[6:7], 0
.LBB537_1076:
	s_andn2_b64 vcc, exec, s[6:7]
	s_cbranch_vccnz .LBB537_1078
; %bb.1077:
	v_lshlrev_b32_e32 v0, 16, v4
	v_cvt_f16_f32_e32 v0, v0
	global_store_dword v[2:3], v0, off
.LBB537_1078:
	s_mov_b64 s[6:7], 0
.LBB537_1079:
	s_andn2_b64 vcc, exec, s[6:7]
	s_cbranch_vccnz .LBB537_1088
; %bb.1080:
	s_sext_i32_i16 s8, s16
	s_cmp_lt_i32 s8, 6
	s_mov_b64 s[6:7], -1
	s_cbranch_scc1 .LBB537_1086
; %bb.1081:
	s_cmp_gt_i32 s8, 6
	s_cbranch_scc0 .LBB537_1083
; %bb.1082:
	v_lshlrev_b32_e32 v0, 16, v4
	s_waitcnt vmcnt(0)
	v_cvt_f64_f32_e32 v[0:1], v0
	s_mov_b64 s[6:7], 0
	global_store_dwordx2 v[2:3], v[0:1], off
.LBB537_1083:
	s_andn2_b64 vcc, exec, s[6:7]
	s_cbranch_vccnz .LBB537_1085
; %bb.1084:
	v_lshlrev_b32_e32 v0, 16, v4
	global_store_dword v[2:3], v0, off
.LBB537_1085:
	s_mov_b64 s[6:7], 0
.LBB537_1086:
	s_andn2_b64 vcc, exec, s[6:7]
	s_cbranch_vccnz .LBB537_1088
; %bb.1087:
	v_lshlrev_b32_e32 v0, 16, v4
	v_cvt_f16_f32_e32 v0, v0
	global_store_short v[2:3], v0, off
.LBB537_1088:
	s_mov_b64 s[6:7], 0
.LBB537_1089:
	s_andn2_b64 vcc, exec, s[6:7]
	s_cbranch_vccnz .LBB537_1105
; %bb.1090:
	s_sext_i32_i16 s8, s16
	s_cmp_lt_i32 s8, 2
	s_mov_b64 s[6:7], -1
	s_cbranch_scc1 .LBB537_1100
; %bb.1091:
	s_cmp_lt_i32 s8, 3
	s_cbranch_scc1 .LBB537_1097
; %bb.1092:
	s_cmp_gt_i32 s8, 3
	s_cbranch_scc0 .LBB537_1094
; %bb.1093:
	v_lshlrev_b32_e32 v0, 16, v4
	v_trunc_f32_e32 v0, v0
	s_mov_b32 s6, 0x2f800000
	s_waitcnt vmcnt(0)
	v_mul_f32_e64 v1, |v0|, s6
	v_floor_f32_e32 v1, v1
	s_mov_b32 s6, 0xcf800000
	v_cvt_u32_f32_e32 v5, v1
	v_fma_f32 v1, v1, s6, |v0|
	v_cvt_u32_f32_e32 v1, v1
	v_ashrrev_i32_e32 v6, 31, v0
	v_xor_b32_e32 v5, v5, v6
	s_mov_b64 s[6:7], 0
	v_xor_b32_e32 v0, v1, v6
	v_sub_co_u32_e32 v0, vcc, v0, v6
	s_nop 1
	v_subb_co_u32_e32 v1, vcc, v5, v6, vcc
	global_store_dwordx2 v[2:3], v[0:1], off
.LBB537_1094:
	s_andn2_b64 vcc, exec, s[6:7]
	s_cbranch_vccnz .LBB537_1096
; %bb.1095:
	v_lshlrev_b32_e32 v0, 16, v4
	v_cvt_i32_f32_e32 v0, v0
	global_store_dword v[2:3], v0, off
.LBB537_1096:
	s_mov_b64 s[6:7], 0
.LBB537_1097:
	s_andn2_b64 vcc, exec, s[6:7]
	s_cbranch_vccnz .LBB537_1099
; %bb.1098:
	v_lshlrev_b32_e32 v0, 16, v4
	v_cvt_i32_f32_e32 v0, v0
	global_store_short v[2:3], v0, off
.LBB537_1099:
	s_mov_b64 s[6:7], 0
.LBB537_1100:
	s_andn2_b64 vcc, exec, s[6:7]
	s_cbranch_vccnz .LBB537_1105
; %bb.1101:
	s_sext_i32_i16 s6, s16
	s_cmp_gt_i32 s6, 0
	s_mov_b64 s[6:7], -1
	s_cbranch_scc0 .LBB537_1103
; %bb.1102:
	v_lshlrev_b32_e32 v0, 16, v4
	v_cvt_i32_f32_e32 v0, v0
	s_mov_b64 s[6:7], 0
	global_store_byte v[2:3], v0, off
.LBB537_1103:
	s_andn2_b64 vcc, exec, s[6:7]
	s_cbranch_vccnz .LBB537_1105
; %bb.1104:
	v_lshlrev_b32_e32 v0, 16, v4
	v_trunc_f32_e32 v0, v0
	s_mov_b32 s6, 0x2f800000
	s_waitcnt vmcnt(0)
	v_mul_f32_e64 v1, |v0|, s6
	v_floor_f32_e32 v1, v1
	s_mov_b32 s6, 0xcf800000
	v_fma_f32 v1, v1, s6, |v0|
	v_cvt_u32_f32_e32 v1, v1
	v_ashrrev_i32_e32 v0, 31, v0
	v_xor_b32_e32 v1, v1, v0
	v_sub_u32_e32 v0, v1, v0
	global_store_byte v[2:3], v0, off
.LBB537_1105:
	s_or_b64 exec, exec, s[2:3]
	s_and_b64 s[24:25], s[4:5], exec
                                        ; implicit-def: $vgpr16
                                        ; implicit-def: $vgpr8
.LBB537_1106:
	s_or_saveexec_b64 s[26:27], s[44:45]
	s_mov_b64 s[6:7], 0
                                        ; implicit-def: $vgpr0_vgpr1
                                        ; implicit-def: $sgpr14
                                        ; implicit-def: $vgpr9
	s_xor_b64 exec, exec, s[26:27]
	s_cbranch_execz .LBB537_1772
; %bb.1107:
	v_cndmask_b32_e64 v0, 0, 1, s[42:43]
	v_cmp_ne_u32_e64 s[2:3], 1, v0
	s_andn2_b64 vcc, exec, s[42:43]
	s_cbranch_vccnz .LBB537_1113
; %bb.1108:
	s_cmp_lg_u32 s33, 0
	s_mov_b32 s36, 0
	s_cbranch_scc0 .LBB537_1114
; %bb.1109:
	s_min_u32 s37, s74, 15
	s_add_i32 s37, s37, 1
	s_cmp_eq_u32 s74, 2
	s_cbranch_scc1 .LBB537_1115
; %bb.1110:
	s_and_b32 s36, s37, 28
	s_add_u32 s28, s34, 0xc4
	s_addc_u32 s29, s35, 0
	s_mov_b32 s38, 0
	v_mov_b32_e32 v6, 0
	v_mov_b32_e32 v14, 0
	s_mov_b64 s[30:31], s[34:35]
	v_mov_b32_e32 v0, v8
.LBB537_1111:                           ; =>This Inner Loop Header: Depth=1
	s_load_dwordx8 s[12:19], s[30:31], 0x4
	s_load_dwordx4 s[20:23], s[30:31], 0x24
	s_load_dwordx8 s[4:11], s[28:29], 0x0
	s_add_u32 s30, s30, 48
	s_addc_u32 s31, s31, 0
	s_waitcnt vmcnt(0) lgkmcnt(0)
	v_mul_hi_u32 v1, s13, v0
	v_add_u32_e32 v1, v0, v1
	v_lshrrev_b32_e32 v1, s14, v1
	v_mul_lo_u32 v2, v1, s12
	v_mul_hi_u32 v3, s16, v1
	v_sub_u32_e32 v0, v0, v2
	v_add_u32_e32 v2, v1, v3
	v_lshrrev_b32_e32 v2, s17, v2
	v_mul_lo_u32 v4, v2, s15
	v_mul_hi_u32 v5, s19, v2
	v_sub_u32_e32 v1, v1, v4
	v_add_u32_e32 v4, v2, v5
	v_mul_lo_u32 v3, v0, s5
	v_mul_lo_u32 v0, v0, s4
	;; [unrolled: 1-line block ×4, first 2 shown]
	v_lshrrev_b32_e32 v4, s20, v4
	v_add3_u32 v1, v0, v6, v1
	v_add3_u32 v3, v3, v14, v5
	v_mul_lo_u32 v0, v4, s18
	v_mul_hi_u32 v5, s22, v4
	v_sub_u32_e32 v0, v2, v0
	v_add_u32_e32 v2, v4, v5
	v_mul_lo_u32 v5, v0, s8
	v_mul_lo_u32 v6, v0, s9
	v_lshrrev_b32_e32 v0, s23, v2
	s_add_i32 s38, s38, 4
	v_mul_lo_u32 v2, v0, s21
	s_add_u32 s28, s28, 32
	v_sub_u32_e32 v2, v4, v2
	s_addc_u32 s29, s29, 0
	v_mul_lo_u32 v4, v2, s10
	v_mul_lo_u32 v2, v2, s11
	s_cmp_lg_u32 s36, s38
	v_add3_u32 v14, v6, v3, v2
	v_add3_u32 v6, v5, v1, v4
	s_cbranch_scc1 .LBB537_1111
; %bb.1112:
	v_mov_b32_e32 v1, v14
	s_and_b32 s8, s37, 3
	s_cmp_eq_u32 s8, 0
	s_cbranch_scc0 .LBB537_1116
	s_branch .LBB537_1118
.LBB537_1113:
                                        ; implicit-def: $vgpr14
                                        ; implicit-def: $vgpr6
	s_branch .LBB537_1119
.LBB537_1114:
	v_mov_b32_e32 v14, 0
	v_mov_b32_e32 v6, 0
	s_branch .LBB537_1118
.LBB537_1115:
	v_mov_b32_e32 v6, 0
                                        ; implicit-def: $vgpr14
	s_waitcnt vmcnt(0)
	v_mov_b32_e32 v1, v6
	v_mov_b32_e32 v0, v8
	s_and_b32 s8, s37, 3
	s_cmp_eq_u32 s8, 0
	s_cbranch_scc1 .LBB537_1118
.LBB537_1116:
	s_lshl_b32 s4, s36, 3
	s_add_u32 s4, s34, s4
	s_addc_u32 s5, s35, 0
	s_add_u32 s4, s4, 0xc4
	s_addc_u32 s5, s5, 0
	s_mul_i32 s6, s36, 12
	s_add_u32 s6, s34, s6
	s_addc_u32 s7, s35, 0
.LBB537_1117:                           ; =>This Inner Loop Header: Depth=1
	s_load_dwordx2 s[10:11], s[6:7], 0x4
	s_load_dword s9, s[6:7], 0xc
	s_load_dwordx2 s[12:13], s[4:5], 0x0
	v_mov_b32_e32 v2, v1
	s_add_u32 s6, s6, 12
	s_waitcnt lgkmcnt(0)
	v_mul_hi_u32 v1, s11, v0
	v_add_u32_e32 v1, v0, v1
	v_lshrrev_b32_e32 v1, s9, v1
	s_addc_u32 s7, s7, 0
	v_mul_lo_u32 v3, v1, s10
	s_add_u32 s4, s4, 8
	v_sub_u32_e32 v3, v0, v3
	s_addc_u32 s5, s5, 0
	s_add_i32 s8, s8, -1
	v_mad_u64_u32 v[14:15], s[10:11], v3, s13, v[2:3]
	s_cmp_lg_u32 s8, 0
	v_mov_b32_e32 v0, v1
	v_mad_u64_u32 v[6:7], s[10:11], v3, s12, v[6:7]
	v_mov_b32_e32 v1, v14
	s_cbranch_scc1 .LBB537_1117
.LBB537_1118:
	s_cbranch_execnz .LBB537_1121
.LBB537_1119:
	s_load_dwordx4 s[4:7], s[34:35], 0x4
	s_load_dwordx2 s[8:9], s[34:35], 0xc4
	s_cmp_lt_u32 s33, 2
	s_waitcnt lgkmcnt(0)
	v_mul_hi_u32 v0, s5, v8
	v_add_u32_e32 v0, v8, v0
	v_lshrrev_b32_e32 v0, s6, v0
	s_waitcnt vmcnt(0)
	v_mul_lo_u32 v1, v0, s4
	v_sub_u32_e32 v1, v8, v1
	v_mul_lo_u32 v14, v1, s9
	v_mul_lo_u32 v6, v1, s8
	s_cbranch_scc1 .LBB537_1121
; %bb.1120:
	s_load_dwordx4 s[4:7], s[34:35], 0x10
	s_load_dwordx2 s[8:9], s[34:35], 0xcc
	s_waitcnt lgkmcnt(0)
	v_mul_hi_u32 v1, s5, v0
	v_add_u32_e32 v1, v0, v1
	v_lshrrev_b32_e32 v1, s6, v1
	v_mul_lo_u32 v1, v1, s4
	v_sub_u32_e32 v0, v0, v1
	v_mad_u64_u32 v[6:7], s[4:5], v0, s8, v[6:7]
	v_mad_u64_u32 v[14:15], s[4:5], v0, s9, v[14:15]
.LBB537_1121:
	s_and_b64 vcc, exec, s[2:3]
	v_add_u32_e32 v0, 0x80, v8
	s_cbranch_vccnz .LBB537_1127
; %bb.1122:
	s_cmp_lg_u32 s33, 0
	s_mov_b32 s36, 0
	s_cbranch_scc0 .LBB537_1128
; %bb.1123:
	s_min_u32 s37, s74, 15
	s_add_i32 s37, s37, 1
	s_cmp_eq_u32 s74, 2
	s_cbranch_scc1 .LBB537_1129
; %bb.1124:
	s_and_b32 s36, s37, 28
	s_add_u32 s28, s34, 0xc4
	s_addc_u32 s29, s35, 0
	s_mov_b32 s38, 0
	v_mov_b32_e32 v4, 0
	v_mov_b32_e32 v12, 0
	s_mov_b64 s[30:31], s[34:35]
	v_mov_b32_e32 v2, v0
.LBB537_1125:                           ; =>This Inner Loop Header: Depth=1
	s_load_dwordx8 s[12:19], s[30:31], 0x4
	s_load_dwordx4 s[20:23], s[30:31], 0x24
	s_load_dwordx8 s[4:11], s[28:29], 0x0
	s_add_u32 s30, s30, 48
	s_addc_u32 s31, s31, 0
	s_waitcnt vmcnt(0) lgkmcnt(0)
	v_mul_hi_u32 v1, s13, v2
	v_add_u32_e32 v1, v2, v1
	v_lshrrev_b32_e32 v1, s14, v1
	v_mul_lo_u32 v3, v1, s12
	v_mul_hi_u32 v5, s16, v1
	v_sub_u32_e32 v2, v2, v3
	v_add_u32_e32 v3, v1, v5
	v_lshrrev_b32_e32 v3, s17, v3
	v_mul_lo_u32 v7, v3, s15
	v_mul_hi_u32 v9, s19, v3
	v_sub_u32_e32 v1, v1, v7
	v_add_u32_e32 v7, v3, v9
	v_mul_lo_u32 v5, v2, s5
	v_mul_lo_u32 v2, v2, s4
	v_mul_lo_u32 v9, v1, s7
	v_mul_lo_u32 v1, v1, s6
	v_lshrrev_b32_e32 v7, s20, v7
	v_add3_u32 v1, v2, v4, v1
	v_add3_u32 v4, v5, v12, v9
	v_mul_lo_u32 v2, v7, s18
	v_mul_hi_u32 v5, s22, v7
	v_sub_u32_e32 v2, v3, v2
	v_add_u32_e32 v3, v7, v5
	v_mul_lo_u32 v5, v2, s8
	v_mul_lo_u32 v9, v2, s9
	v_lshrrev_b32_e32 v2, s23, v3
	s_add_i32 s38, s38, 4
	v_mul_lo_u32 v3, v2, s21
	s_add_u32 s28, s28, 32
	v_sub_u32_e32 v3, v7, v3
	s_addc_u32 s29, s29, 0
	v_mul_lo_u32 v7, v3, s10
	v_mul_lo_u32 v3, v3, s11
	s_cmp_lg_u32 s36, s38
	v_add3_u32 v12, v9, v4, v3
	v_add3_u32 v4, v5, v1, v7
	s_cbranch_scc1 .LBB537_1125
; %bb.1126:
	v_mov_b32_e32 v1, v12
	s_and_b32 s8, s37, 3
	s_cmp_eq_u32 s8, 0
	s_cbranch_scc0 .LBB537_1130
	s_branch .LBB537_1132
.LBB537_1127:
                                        ; implicit-def: $vgpr12
                                        ; implicit-def: $vgpr4
	s_branch .LBB537_1133
.LBB537_1128:
	v_mov_b32_e32 v12, 0
	v_mov_b32_e32 v4, 0
	s_branch .LBB537_1132
.LBB537_1129:
	v_mov_b32_e32 v4, 0
                                        ; implicit-def: $vgpr12
	s_waitcnt vmcnt(0)
	v_mov_b32_e32 v1, v4
	v_mov_b32_e32 v2, v0
	s_and_b32 s8, s37, 3
	s_cmp_eq_u32 s8, 0
	s_cbranch_scc1 .LBB537_1132
.LBB537_1130:
	s_lshl_b32 s4, s36, 3
	s_add_u32 s4, s34, s4
	s_addc_u32 s5, s35, 0
	s_add_u32 s4, s4, 0xc4
	s_addc_u32 s5, s5, 0
	s_mul_i32 s6, s36, 12
	s_add_u32 s6, s34, s6
	s_addc_u32 s7, s35, 0
.LBB537_1131:                           ; =>This Inner Loop Header: Depth=1
	s_load_dwordx2 s[10:11], s[6:7], 0x4
	s_load_dword s9, s[6:7], 0xc
	s_load_dwordx2 s[12:13], s[4:5], 0x0
	v_mov_b32_e32 v10, v1
	s_add_u32 s6, s6, 12
	s_waitcnt lgkmcnt(0)
	v_mul_hi_u32 v1, s11, v2
	v_add_u32_e32 v1, v2, v1
	v_lshrrev_b32_e32 v1, s9, v1
	s_addc_u32 s7, s7, 0
	v_mul_lo_u32 v3, v1, s10
	s_add_u32 s4, s4, 8
	v_sub_u32_e32 v3, v2, v3
	s_addc_u32 s5, s5, 0
	s_add_i32 s8, s8, -1
	v_mad_u64_u32 v[12:13], s[10:11], v3, s13, v[10:11]
	s_cmp_lg_u32 s8, 0
	v_mov_b32_e32 v2, v1
	v_mad_u64_u32 v[4:5], s[10:11], v3, s12, v[4:5]
	v_mov_b32_e32 v1, v12
	s_cbranch_scc1 .LBB537_1131
.LBB537_1132:
	s_cbranch_execnz .LBB537_1135
.LBB537_1133:
	s_load_dwordx4 s[4:7], s[34:35], 0x4
	s_load_dwordx2 s[8:9], s[34:35], 0xc4
	s_cmp_lt_u32 s33, 2
	s_waitcnt vmcnt(0) lgkmcnt(0)
	v_mul_hi_u32 v1, s5, v0
	v_add_u32_e32 v1, v0, v1
	v_lshrrev_b32_e32 v1, s6, v1
	v_mul_lo_u32 v2, v1, s4
	v_sub_u32_e32 v0, v0, v2
	v_mul_lo_u32 v12, v0, s9
	v_mul_lo_u32 v4, v0, s8
	s_cbranch_scc1 .LBB537_1135
; %bb.1134:
	s_load_dwordx4 s[4:7], s[34:35], 0x10
	s_load_dwordx2 s[8:9], s[34:35], 0xcc
	s_waitcnt lgkmcnt(0)
	v_mul_hi_u32 v0, s5, v1
	v_add_u32_e32 v0, v1, v0
	v_lshrrev_b32_e32 v0, s6, v0
	v_mul_lo_u32 v0, v0, s4
	v_sub_u32_e32 v0, v1, v0
	v_mad_u64_u32 v[4:5], s[4:5], v0, s8, v[4:5]
	v_mad_u64_u32 v[12:13], s[4:5], v0, s9, v[12:13]
.LBB537_1135:
	s_and_b64 vcc, exec, s[2:3]
	v_add_u32_e32 v0, 0x100, v8
	s_cbranch_vccnz .LBB537_1141
; %bb.1136:
	s_cmp_lg_u32 s33, 0
	s_mov_b32 s36, 0
	s_cbranch_scc0 .LBB537_1142
; %bb.1137:
	s_min_u32 s37, s74, 15
	s_add_i32 s37, s37, 1
	s_cmp_eq_u32 s74, 2
	s_cbranch_scc1 .LBB537_1143
; %bb.1138:
	s_and_b32 s36, s37, 28
	s_add_u32 s28, s34, 0xc4
	s_addc_u32 s29, s35, 0
	s_mov_b32 s38, 0
	v_mov_b32_e32 v2, 0
	v_mov_b32_e32 v10, 0
	s_mov_b64 s[30:31], s[34:35]
	v_mov_b32_e32 v5, v0
.LBB537_1139:                           ; =>This Inner Loop Header: Depth=1
	s_load_dwordx8 s[12:19], s[30:31], 0x4
	s_load_dwordx4 s[20:23], s[30:31], 0x24
	s_load_dwordx8 s[4:11], s[28:29], 0x0
	s_add_u32 s30, s30, 48
	s_addc_u32 s31, s31, 0
	s_waitcnt vmcnt(0) lgkmcnt(0)
	v_mul_hi_u32 v1, s13, v5
	v_add_u32_e32 v1, v5, v1
	v_lshrrev_b32_e32 v1, s14, v1
	v_mul_lo_u32 v3, v1, s12
	v_mul_hi_u32 v7, s16, v1
	v_sub_u32_e32 v3, v5, v3
	v_add_u32_e32 v5, v1, v7
	v_lshrrev_b32_e32 v5, s17, v5
	v_mul_lo_u32 v8, v5, s15
	v_mul_hi_u32 v9, s19, v5
	v_sub_u32_e32 v1, v1, v8
	v_add_u32_e32 v8, v5, v9
	v_mul_lo_u32 v7, v3, s5
	v_mul_lo_u32 v3, v3, s4
	;; [unrolled: 1-line block ×4, first 2 shown]
	v_lshrrev_b32_e32 v8, s20, v8
	v_add3_u32 v1, v3, v2, v1
	v_add3_u32 v2, v7, v10, v9
	v_mul_lo_u32 v3, v8, s18
	v_mul_hi_u32 v7, s22, v8
	v_sub_u32_e32 v3, v5, v3
	v_add_u32_e32 v5, v8, v7
	v_lshrrev_b32_e32 v5, s23, v5
	s_add_i32 s38, s38, 4
	v_mul_lo_u32 v9, v5, s21
	s_add_u32 s28, s28, 32
	v_sub_u32_e32 v8, v8, v9
	s_addc_u32 s29, s29, 0
	v_mul_lo_u32 v7, v3, s8
	v_mul_lo_u32 v3, v3, s9
	;; [unrolled: 1-line block ×4, first 2 shown]
	s_cmp_lg_u32 s36, s38
	v_add3_u32 v10, v3, v2, v8
	v_add3_u32 v2, v7, v1, v9
	s_cbranch_scc1 .LBB537_1139
; %bb.1140:
	v_mov_b32_e32 v1, v10
	s_and_b32 s8, s37, 3
	s_cmp_eq_u32 s8, 0
	s_cbranch_scc0 .LBB537_1144
	s_branch .LBB537_1146
.LBB537_1141:
                                        ; implicit-def: $vgpr10
                                        ; implicit-def: $vgpr2
	s_branch .LBB537_1147
.LBB537_1142:
	v_mov_b32_e32 v10, 0
	v_mov_b32_e32 v2, 0
	s_branch .LBB537_1146
.LBB537_1143:
	v_mov_b32_e32 v2, 0
                                        ; implicit-def: $vgpr10
	s_waitcnt vmcnt(0)
	v_mov_b32_e32 v1, v2
	v_mov_b32_e32 v5, v0
	s_and_b32 s8, s37, 3
	s_cmp_eq_u32 s8, 0
	s_cbranch_scc1 .LBB537_1146
.LBB537_1144:
	s_lshl_b32 s4, s36, 3
	s_add_u32 s4, s34, s4
	s_addc_u32 s5, s35, 0
	s_add_u32 s4, s4, 0xc4
	s_addc_u32 s5, s5, 0
	s_mul_i32 s6, s36, 12
	s_add_u32 s6, s34, s6
	s_addc_u32 s7, s35, 0
.LBB537_1145:                           ; =>This Inner Loop Header: Depth=1
	s_load_dwordx2 s[10:11], s[6:7], 0x4
	s_load_dword s9, s[6:7], 0xc
	s_load_dwordx2 s[12:13], s[4:5], 0x0
	v_mov_b32_e32 v8, v1
	s_add_u32 s6, s6, 12
	s_waitcnt lgkmcnt(0)
	v_mul_hi_u32 v1, s11, v5
	v_add_u32_e32 v1, v5, v1
	v_lshrrev_b32_e32 v1, s9, v1
	s_addc_u32 s7, s7, 0
	v_mul_lo_u32 v3, v1, s10
	s_add_u32 s4, s4, 8
	v_sub_u32_e32 v3, v5, v3
	s_addc_u32 s5, s5, 0
	s_add_i32 s8, s8, -1
	v_mad_u64_u32 v[10:11], s[10:11], v3, s13, v[8:9]
	s_cmp_lg_u32 s8, 0
	v_mov_b32_e32 v5, v1
	v_mad_u64_u32 v[2:3], s[10:11], v3, s12, v[2:3]
	v_mov_b32_e32 v1, v10
	s_cbranch_scc1 .LBB537_1145
.LBB537_1146:
	s_cbranch_execnz .LBB537_1149
.LBB537_1147:
	s_load_dwordx4 s[4:7], s[34:35], 0x4
	s_load_dwordx2 s[8:9], s[34:35], 0xc4
	s_cmp_lt_u32 s33, 2
	s_waitcnt vmcnt(0) lgkmcnt(0)
	v_mul_hi_u32 v1, s5, v0
	v_add_u32_e32 v1, v0, v1
	v_lshrrev_b32_e32 v1, s6, v1
	v_mul_lo_u32 v2, v1, s4
	v_sub_u32_e32 v0, v0, v2
	v_mul_lo_u32 v10, v0, s9
	v_mul_lo_u32 v2, v0, s8
	s_cbranch_scc1 .LBB537_1149
; %bb.1148:
	s_load_dwordx4 s[4:7], s[34:35], 0x10
	s_load_dwordx2 s[8:9], s[34:35], 0xcc
	s_waitcnt lgkmcnt(0)
	v_mul_hi_u32 v0, s5, v1
	v_add_u32_e32 v0, v1, v0
	v_lshrrev_b32_e32 v0, s6, v0
	v_mul_lo_u32 v0, v0, s4
	v_sub_u32_e32 v0, v1, v0
	v_mad_u64_u32 v[2:3], s[4:5], v0, s8, v[2:3]
	v_mad_u64_u32 v[10:11], s[4:5], v0, s9, v[10:11]
.LBB537_1149:
	s_and_b64 vcc, exec, s[2:3]
	s_cbranch_vccnz .LBB537_1155
; %bb.1150:
	s_cmp_lg_u32 s33, 0
	s_mov_b32 s30, 0
	s_cbranch_scc0 .LBB537_1156
; %bb.1151:
	s_min_u32 s31, s74, 15
	s_add_i32 s31, s31, 1
	s_cmp_eq_u32 s74, 2
	s_cbranch_scc1 .LBB537_1157
; %bb.1152:
	s_and_b32 s30, s31, 28
	s_add_u32 s2, s34, 0xc4
	s_addc_u32 s3, s35, 0
	s_mov_b32 s36, 0
	v_mov_b32_e32 v0, 0
	v_mov_b32_e32 v8, 0
	s_mov_b64 s[28:29], s[34:35]
	v_mov_b32_e32 v3, v16
.LBB537_1153:                           ; =>This Inner Loop Header: Depth=1
	s_load_dwordx8 s[12:19], s[28:29], 0x4
	s_load_dwordx4 s[20:23], s[28:29], 0x24
	s_load_dwordx8 s[4:11], s[2:3], 0x0
	s_add_u32 s28, s28, 48
	s_addc_u32 s29, s29, 0
	s_waitcnt vmcnt(0) lgkmcnt(0)
	v_mul_hi_u32 v1, s13, v3
	v_add_u32_e32 v1, v3, v1
	v_lshrrev_b32_e32 v1, s14, v1
	v_mul_lo_u32 v5, v1, s12
	v_mul_hi_u32 v7, s16, v1
	v_sub_u32_e32 v3, v3, v5
	v_add_u32_e32 v5, v1, v7
	v_lshrrev_b32_e32 v5, s17, v5
	v_mul_lo_u32 v9, v5, s15
	v_mul_hi_u32 v11, s19, v5
	v_sub_u32_e32 v1, v1, v9
	v_add_u32_e32 v9, v5, v11
	v_mul_lo_u32 v7, v3, s5
	v_mul_lo_u32 v3, v3, s4
	;; [unrolled: 1-line block ×4, first 2 shown]
	v_lshrrev_b32_e32 v9, s20, v9
	v_add3_u32 v0, v3, v0, v1
	v_add3_u32 v1, v7, v8, v11
	v_mul_lo_u32 v3, v9, s18
	v_mul_hi_u32 v7, s22, v9
	v_sub_u32_e32 v3, v5, v3
	v_add_u32_e32 v5, v9, v7
	v_mul_lo_u32 v7, v3, s8
	v_mul_lo_u32 v8, v3, s9
	v_lshrrev_b32_e32 v3, s23, v5
	s_add_i32 s36, s36, 4
	v_mul_lo_u32 v5, v3, s21
	s_add_u32 s2, s2, 32
	v_sub_u32_e32 v5, v9, v5
	s_addc_u32 s3, s3, 0
	v_mul_lo_u32 v9, v5, s10
	v_mul_lo_u32 v5, v5, s11
	s_cmp_lg_u32 s30, s36
	v_add3_u32 v8, v8, v1, v5
	v_add3_u32 v0, v7, v0, v9
	s_cbranch_scc1 .LBB537_1153
; %bb.1154:
	v_mov_b32_e32 v1, v8
	s_and_b32 s6, s31, 3
	s_cmp_eq_u32 s6, 0
	s_cbranch_scc0 .LBB537_1158
	s_branch .LBB537_1160
.LBB537_1155:
                                        ; implicit-def: $vgpr8
                                        ; implicit-def: $vgpr0
	s_branch .LBB537_1161
.LBB537_1156:
	v_mov_b32_e32 v8, 0
	v_mov_b32_e32 v0, 0
	s_branch .LBB537_1160
.LBB537_1157:
	v_mov_b32_e32 v0, 0
                                        ; implicit-def: $vgpr8
	s_waitcnt vmcnt(0)
	v_mov_b32_e32 v1, v0
	v_mov_b32_e32 v3, v16
	s_and_b32 s6, s31, 3
	s_cmp_eq_u32 s6, 0
	s_cbranch_scc1 .LBB537_1160
.LBB537_1158:
	s_lshl_b32 s2, s30, 3
	s_add_u32 s2, s34, s2
	s_addc_u32 s3, s35, 0
	s_add_u32 s2, s2, 0xc4
	s_addc_u32 s3, s3, 0
	s_mul_i32 s4, s30, 12
	s_add_u32 s4, s34, s4
	s_addc_u32 s5, s35, 0
.LBB537_1159:                           ; =>This Inner Loop Header: Depth=1
	s_load_dwordx2 s[8:9], s[4:5], 0x4
	s_load_dword s7, s[4:5], 0xc
	s_load_dwordx2 s[10:11], s[2:3], 0x0
	v_mov_b32_e32 v8, v1
	s_add_u32 s4, s4, 12
	s_waitcnt lgkmcnt(0)
	v_mul_hi_u32 v1, s9, v3
	v_add_u32_e32 v1, v3, v1
	v_lshrrev_b32_e32 v1, s7, v1
	s_addc_u32 s5, s5, 0
	v_mul_lo_u32 v5, v1, s8
	s_add_u32 s2, s2, 8
	v_sub_u32_e32 v5, v3, v5
	s_addc_u32 s3, s3, 0
	s_add_i32 s6, s6, -1
	v_mov_b32_e32 v3, v1
	v_mad_u64_u32 v[8:9], s[8:9], v5, s11, v[8:9]
	v_mad_u64_u32 v[0:1], s[8:9], v5, s10, v[0:1]
	s_cmp_lg_u32 s6, 0
	v_mov_b32_e32 v1, v8
	s_cbranch_scc1 .LBB537_1159
.LBB537_1160:
	s_cbranch_execnz .LBB537_1163
.LBB537_1161:
	s_load_dwordx4 s[4:7], s[34:35], 0x4
	s_load_dwordx2 s[2:3], s[34:35], 0xc4
	s_cmp_lt_u32 s33, 2
	s_waitcnt lgkmcnt(0)
	v_mul_hi_u32 v0, s5, v16
	v_add_u32_e32 v0, v16, v0
	s_waitcnt vmcnt(0)
	v_lshrrev_b32_e32 v1, s6, v0
	v_mul_lo_u32 v0, v1, s4
	v_sub_u32_e32 v0, v16, v0
	v_mul_lo_u32 v8, v0, s3
	v_mul_lo_u32 v0, v0, s2
	s_cbranch_scc1 .LBB537_1163
; %bb.1162:
	s_load_dwordx4 s[4:7], s[34:35], 0x10
	s_load_dwordx2 s[2:3], s[34:35], 0xcc
	s_waitcnt lgkmcnt(0)
	v_mul_hi_u32 v3, s5, v1
	v_add_u32_e32 v3, v1, v3
	v_lshrrev_b32_e32 v3, s6, v3
	v_mul_lo_u32 v3, v3, s4
	v_sub_u32_e32 v3, v1, v3
	v_mad_u64_u32 v[0:1], s[4:5], v3, s2, v[0:1]
	v_mad_u64_u32 v[8:9], s[2:3], v3, s3, v[8:9]
.LBB537_1163:
	s_load_dword s18, s[0:1], 0x164
	s_load_dwordx4 s[4:7], s[34:35], 0x148
	v_mov_b32_e32 v15, 0
	s_waitcnt lgkmcnt(0)
	s_lshr_b32 s16, s18, 24
	s_cmp_lt_i32 s16, 11
	v_lshl_add_u64 v[14:15], s[6:7], 0, v[14:15]
	s_cbranch_scc1 .LBB537_1170
; %bb.1164:
	s_and_b32 s17, 0xffff, s16
	s_cmp_gt_i32 s17, 25
	s_mov_b64 s[8:9], 0
	s_cbranch_scc0 .LBB537_1172
; %bb.1165:
	s_cmp_gt_i32 s17, 28
	s_cbranch_scc0 .LBB537_1173
; %bb.1166:
	s_cmp_gt_i32 s17, 43
	;; [unrolled: 3-line block ×3, first 2 shown]
	s_cbranch_scc0 .LBB537_1175
; %bb.1168:
	s_cmp_eq_u32 s17, 46
	s_mov_b64 s[12:13], 0
	s_cbranch_scc0 .LBB537_1178
; %bb.1169:
	global_load_dword v3, v[14:15], off
	s_mov_b64 s[2:3], 0
	s_mov_b64 s[10:11], -1
	s_branch .LBB537_1179
.LBB537_1170:
	s_mov_b64 s[10:11], 0
                                        ; implicit-def: $vgpr3
	s_mov_b64 s[2:3], s[24:25]
	s_cbranch_execnz .LBB537_1242
.LBB537_1171:
	s_andn2_b64 vcc, exec, s[10:11]
	s_cbranch_vccz .LBB537_1287
	s_branch .LBB537_1769
.LBB537_1172:
	s_mov_b64 s[10:11], 0
	s_mov_b64 s[2:3], 0
                                        ; implicit-def: $vgpr3
	s_cbranch_execnz .LBB537_1207
	s_branch .LBB537_1238
.LBB537_1173:
	s_mov_b64 s[12:13], -1
	s_mov_b64 s[10:11], 0
	s_mov_b64 s[2:3], 0
                                        ; implicit-def: $vgpr3
	s_branch .LBB537_1188
.LBB537_1174:
	s_mov_b64 s[10:11], 0
	s_mov_b64 s[2:3], 0
                                        ; implicit-def: $vgpr3
	s_cbranch_execnz .LBB537_1184
	s_branch .LBB537_1187
.LBB537_1175:
	s_mov_b64 s[12:13], -1
	s_mov_b64 s[10:11], 0
	s_mov_b64 s[2:3], 0
                                        ; implicit-def: $vgpr3
	s_branch .LBB537_1179
.LBB537_1176:
	s_andn2_saveexec_b64 s[12:13], s[12:13]
	s_cbranch_execz .LBB537_1019
.LBB537_1177:
	s_mov_b32 s14, 0x46000000
	v_add_f32_e64 v1, |v5|, s14
	v_and_b32_e32 v1, 0xff, v1
	v_cmp_ne_u32_e32 vcc, 0, v1
	s_andn2_b64 s[10:11], s[10:11], exec
	s_and_b64 s[14:15], vcc, exec
	s_or_b64 s[10:11], s[10:11], s[14:15]
	s_or_b64 exec, exec, s[12:13]
	v_mov_b32_e32 v6, 0
	s_and_saveexec_b64 s[12:13], s[10:11]
	s_cbranch_execnz .LBB537_1020
	s_branch .LBB537_1021
.LBB537_1178:
	s_mov_b64 s[2:3], -1
                                        ; implicit-def: $vgpr3
	s_mov_b64 s[10:11], 0
.LBB537_1179:
	s_and_b64 vcc, exec, s[12:13]
	s_cbranch_vccz .LBB537_1182
; %bb.1180:
	s_cmp_eq_u32 s17, 44
	s_cbranch_scc0 .LBB537_1183
; %bb.1181:
	global_load_ubyte v1, v[14:15], off
	s_movk_i32 s10, 0xff
	s_waitcnt vmcnt(1)
	v_mov_b32_e32 v3, 0x7f800001
	v_mov_b32_e32 v5, 0x400000
	;; [unrolled: 1-line block ×3, first 2 shown]
	s_mov_b64 s[2:3], 0
	s_waitcnt vmcnt(0)
	v_lshlrev_b32_e32 v9, 23, v1
	v_cmp_ne_u32_e32 vcc, s10, v1
	s_mov_b64 s[10:11], -1
	s_nop 0
	v_cndmask_b32_e32 v3, v3, v9, vcc
	v_cmp_ne_u32_e32 vcc, 0, v1
	s_nop 1
	v_cndmask_b32_e32 v1, v5, v3, vcc
	v_add_u32_e32 v3, 0x7fff, v1
	v_cmp_o_f32_e32 vcc, v1, v1
	s_nop 1
	v_cndmask_b32_sdwa v3, v7, v3, vcc dst_sel:DWORD dst_unused:UNUSED_PAD src0_sel:DWORD src1_sel:WORD_1
.LBB537_1182:
	s_branch .LBB537_1187
.LBB537_1183:
	s_mov_b64 s[2:3], -1
                                        ; implicit-def: $vgpr3
	s_branch .LBB537_1187
.LBB537_1184:
	s_cmp_eq_u32 s17, 29
	s_cbranch_scc0 .LBB537_1186
; %bb.1185:
	global_load_dwordx2 v[16:17], v[14:15], off
	s_movk_i32 s10, 0x7fff
	s_mov_b64 s[2:3], 0
	s_mov_b64 s[12:13], 0
	s_waitcnt vmcnt(0)
	v_ffbh_u32_e32 v1, v17
	v_min_u32_e32 v1, 32, v1
	v_lshlrev_b64 v[16:17], v1, v[16:17]
	v_min_u32_e32 v3, 1, v16
	v_or_b32_e32 v3, v17, v3
	v_cvt_f32_u32_e32 v3, v3
	v_sub_u32_e32 v1, 32, v1
	v_ldexp_f32 v1, v3, v1
	v_bfe_u32 v3, v1, 16, 1
	v_add3_u32 v1, v1, v3, s10
	v_lshrrev_b32_e32 v3, 16, v1
	s_mov_b64 s[10:11], -1
	s_branch .LBB537_1188
.LBB537_1186:
	s_mov_b64 s[2:3], -1
                                        ; implicit-def: $vgpr3
.LBB537_1187:
	s_mov_b64 s[12:13], 0
.LBB537_1188:
	s_and_b64 vcc, exec, s[12:13]
	s_cbranch_vccz .LBB537_1206
; %bb.1189:
	s_cmp_lt_i32 s17, 27
	s_cbranch_scc1 .LBB537_1192
; %bb.1190:
	s_cmp_gt_i32 s17, 27
	s_cbranch_scc0 .LBB537_1193
; %bb.1191:
	global_load_dword v1, v[14:15], off
	s_movk_i32 s10, 0x7fff
	s_waitcnt vmcnt(0)
	v_cvt_f32_u32_e32 v1, v1
	v_bfe_u32 v3, v1, 16, 1
	v_add3_u32 v1, v1, v3, s10
	v_lshrrev_b32_e32 v3, 16, v1
	s_mov_b64 s[10:11], 0
	s_branch .LBB537_1194
.LBB537_1192:
	s_mov_b64 s[10:11], -1
                                        ; implicit-def: $vgpr3
	s_branch .LBB537_1197
.LBB537_1193:
	s_mov_b64 s[10:11], -1
                                        ; implicit-def: $vgpr3
.LBB537_1194:
	s_andn2_b64 vcc, exec, s[10:11]
	s_cbranch_vccnz .LBB537_1196
; %bb.1195:
	global_load_ushort v1, v[14:15], off
	s_movk_i32 s10, 0x7fff
	s_waitcnt vmcnt(0)
	v_cvt_f32_u32_e32 v1, v1
	v_bfe_u32 v3, v1, 16, 1
	v_add3_u32 v1, v1, v3, s10
	v_lshrrev_b32_e32 v3, 16, v1
.LBB537_1196:
	s_mov_b64 s[10:11], 0
.LBB537_1197:
	s_andn2_b64 vcc, exec, s[10:11]
	s_cbranch_vccnz .LBB537_1205
; %bb.1198:
	global_load_ubyte v1, v[14:15], off
	s_movk_i32 s10, 0x7f
	s_waitcnt vmcnt(0)
	v_cmp_lt_i16_e32 vcc, s10, v1
	s_mov_b64 s[10:11], 0
	s_and_saveexec_b64 s[12:13], vcc
	s_xor_b64 s[12:13], exec, s[12:13]
	s_cbranch_execz .LBB537_1218
; %bb.1199:
	s_movk_i32 s10, 0x80
	v_cmp_eq_u16_e32 vcc, s10, v1
	s_mov_b64 s[10:11], -1
	s_and_saveexec_b64 s[14:15], vcc
; %bb.1200:
	s_xor_b64 s[10:11], exec, -1
; %bb.1201:
	s_or_b64 exec, exec, s[14:15]
	s_and_b64 s[10:11], s[10:11], exec
	s_or_saveexec_b64 s[12:13], s[12:13]
	v_mov_b32_e32 v3, 0x7f800001
	s_xor_b64 exec, exec, s[12:13]
	s_cbranch_execnz .LBB537_1219
.LBB537_1202:
	s_or_b64 exec, exec, s[12:13]
	s_and_saveexec_b64 s[12:13], s[10:11]
	s_cbranch_execz .LBB537_1204
.LBB537_1203:
	v_lshlrev_b32_e32 v3, 24, v1
	v_and_b32_e32 v1, 0xffff, v1
	v_and_b32_e32 v5, 7, v1
	v_ffbh_u32_e32 v9, v5
	v_min_u32_e32 v9, 32, v9
	v_subrev_u32_e32 v11, 28, v9
	v_bfe_u32 v7, v1, 3, 4
	v_lshlrev_b32_e32 v1, v11, v1
	v_sub_u32_e32 v9, 29, v9
	v_and_b32_e32 v1, 7, v1
	v_cmp_eq_u32_e32 vcc, 0, v7
	v_and_b32_e32 v3, 0x80000000, v3
	s_nop 0
	v_cndmask_b32_e32 v7, v7, v9, vcc
	v_cndmask_b32_e32 v1, v5, v1, vcc
	v_mov_b32_e32 v5, 0x3b800000
	v_lshlrev_b32_e32 v1, 20, v1
	v_lshl_add_u32 v5, v7, 23, v5
	v_or3_b32 v3, v3, v5, v1
.LBB537_1204:
	s_or_b64 exec, exec, s[12:13]
	v_bfe_u32 v1, v3, 16, 1
	s_movk_i32 s10, 0x7fff
	v_add3_u32 v1, v3, v1, s10
	v_cmp_o_f32_e32 vcc, v3, v3
	v_mov_b32_e32 v3, 0x7fc0
	s_nop 0
	v_cndmask_b32_sdwa v3, v3, v1, vcc dst_sel:DWORD dst_unused:UNUSED_PAD src0_sel:DWORD src1_sel:WORD_1
.LBB537_1205:
	s_mov_b64 s[10:11], -1
.LBB537_1206:
	s_branch .LBB537_1238
.LBB537_1207:
	s_cmp_gt_i32 s17, 22
	s_cbranch_scc0 .LBB537_1217
; %bb.1208:
	s_cmp_lt_i32 s17, 24
	s_cbranch_scc1 .LBB537_1220
; %bb.1209:
	s_cmp_gt_i32 s17, 24
	s_cbranch_scc0 .LBB537_1221
; %bb.1210:
	global_load_ubyte v1, v[14:15], off
	s_movk_i32 s8, 0x7f
	s_waitcnt vmcnt(0)
	v_cmp_lt_i16_e32 vcc, s8, v1
	s_mov_b64 s[8:9], 0
	s_and_saveexec_b64 s[10:11], vcc
	s_xor_b64 s[10:11], exec, s[10:11]
	s_cbranch_execz .LBB537_1232
; %bb.1211:
	s_movk_i32 s8, 0x80
	v_cmp_eq_u16_e32 vcc, s8, v1
	s_mov_b64 s[8:9], -1
	s_and_saveexec_b64 s[12:13], vcc
; %bb.1212:
	s_xor_b64 s[8:9], exec, -1
; %bb.1213:
	s_or_b64 exec, exec, s[12:13]
	s_and_b64 s[8:9], s[8:9], exec
	s_or_saveexec_b64 s[10:11], s[10:11]
	v_mov_b32_e32 v3, 0x7f800001
	s_xor_b64 exec, exec, s[10:11]
	s_cbranch_execnz .LBB537_1233
.LBB537_1214:
	s_or_b64 exec, exec, s[10:11]
	s_and_saveexec_b64 s[10:11], s[8:9]
	s_cbranch_execz .LBB537_1216
.LBB537_1215:
	v_lshlrev_b32_e32 v3, 24, v1
	v_and_b32_e32 v1, 0xffff, v1
	v_and_b32_e32 v5, 3, v1
	v_ffbh_u32_e32 v9, v5
	v_min_u32_e32 v9, 32, v9
	v_subrev_u32_e32 v11, 29, v9
	v_bfe_u32 v7, v1, 2, 5
	v_lshlrev_b32_e32 v1, v11, v1
	v_sub_u32_e32 v9, 30, v9
	v_and_b32_e32 v1, 3, v1
	v_cmp_eq_u32_e32 vcc, 0, v7
	v_and_b32_e32 v3, 0x80000000, v3
	s_nop 0
	v_cndmask_b32_e32 v7, v7, v9, vcc
	v_cndmask_b32_e32 v1, v5, v1, vcc
	v_mov_b32_e32 v5, 0x37800000
	v_lshlrev_b32_e32 v1, 21, v1
	v_lshl_add_u32 v5, v7, 23, v5
	v_or3_b32 v3, v3, v5, v1
.LBB537_1216:
	s_or_b64 exec, exec, s[10:11]
	v_bfe_u32 v1, v3, 16, 1
	s_movk_i32 s8, 0x7fff
	v_add3_u32 v1, v3, v1, s8
	v_cmp_o_f32_e32 vcc, v3, v3
	v_mov_b32_e32 v3, 0x7fc0
	s_mov_b64 s[8:9], 0
	v_cndmask_b32_sdwa v3, v3, v1, vcc dst_sel:DWORD dst_unused:UNUSED_PAD src0_sel:DWORD src1_sel:WORD_1
	s_branch .LBB537_1222
.LBB537_1217:
                                        ; implicit-def: $vgpr3
	s_mov_b64 s[8:9], 0
	s_branch .LBB537_1228
.LBB537_1218:
	s_or_saveexec_b64 s[12:13], s[12:13]
	v_mov_b32_e32 v3, 0x7f800001
	s_xor_b64 exec, exec, s[12:13]
	s_cbranch_execz .LBB537_1202
.LBB537_1219:
	v_cmp_ne_u16_e32 vcc, 0, v1
	s_andn2_b64 s[10:11], s[10:11], exec
	s_and_b64 s[14:15], vcc, exec
	v_mov_b32_e32 v3, 0
	s_or_b64 s[10:11], s[10:11], s[14:15]
	s_or_b64 exec, exec, s[12:13]
	s_and_saveexec_b64 s[12:13], s[10:11]
	s_cbranch_execnz .LBB537_1203
	s_branch .LBB537_1204
.LBB537_1220:
	s_mov_b64 s[8:9], -1
                                        ; implicit-def: $vgpr3
	s_branch .LBB537_1225
.LBB537_1221:
	s_mov_b64 s[8:9], -1
                                        ; implicit-def: $vgpr3
.LBB537_1222:
	s_and_b64 vcc, exec, s[8:9]
	s_cbranch_vccz .LBB537_1224
; %bb.1223:
	global_load_ubyte v1, v[14:15], off
	s_mov_b32 s8, 0x7f800000
	s_brev_b32 s9, 1
	s_movk_i32 s10, 0x7fff
	s_waitcnt vmcnt(0)
	v_lshlrev_b32_e32 v1, 24, v1
	v_and_b32_e32 v3, 0x7f000000, v1
	v_ffbh_u32_e32 v5, v3
	v_min_u32_e32 v5, 32, v5
	v_sub_u32_e64 v5, v5, 4 clamp
	v_lshlrev_b32_e32 v9, v5, v3
	v_lshlrev_b32_e32 v5, 23, v5
	v_lshrrev_b32_e32 v9, 4, v9
	v_add_u32_e32 v7, 0x1000000, v3
	v_sub_u32_e32 v5, v9, v5
	v_ashrrev_i32_e32 v7, 8, v7
	v_add_u32_e32 v5, 0x3c000000, v5
	v_and_or_b32 v5, v7, s8, v5
	v_cmp_ne_u32_e32 vcc, 0, v3
	s_nop 1
	v_cndmask_b32_e32 v3, 0, v5, vcc
	v_and_or_b32 v1, v1, s9, v3
	v_bfe_u32 v3, v3, 16, 1
	v_add3_u32 v3, v1, v3, s10
	v_cmp_o_f32_e32 vcc, v1, v1
	v_mov_b32_e32 v1, 0x7fc0
	s_nop 0
	v_cndmask_b32_sdwa v3, v1, v3, vcc dst_sel:DWORD dst_unused:UNUSED_PAD src0_sel:DWORD src1_sel:WORD_1
.LBB537_1224:
	s_mov_b64 s[8:9], 0
.LBB537_1225:
	s_andn2_b64 vcc, exec, s[8:9]
	s_cbranch_vccnz .LBB537_1227
; %bb.1226:
	global_load_ubyte v1, v[14:15], off
	s_movk_i32 s8, 0x7f00
	s_brev_b32 s9, 16
	s_brev_b32 s10, 1
	s_movk_i32 s11, 0x7fff
	s_waitcnt vmcnt(0)
	v_lshlrev_b16_e32 v3, 8, v1
	v_lshlrev_b32_e32 v1, 25, v1
	v_lshrrev_b32_e32 v5, 4, v1
	v_and_or_b32 v7, v3, s8, 0.5
	v_or_b32_e32 v5, 0x70000000, v5
	v_add_f32_e32 v7, -0.5, v7
	v_mul_f32_e32 v5, 0x7800000, v5
	v_cmp_gt_u32_e32 vcc, s9, v1
	v_bfe_i32 v3, v3, 0, 16
	s_nop 0
	v_cndmask_b32_e32 v1, v5, v7, vcc
	v_and_or_b32 v3, v3, s10, v1
	v_bfe_u32 v1, v1, 16, 1
	v_add3_u32 v1, v3, v1, s11
	v_cmp_o_f32_e32 vcc, v3, v3
	v_mov_b32_e32 v3, 0x7fc0
	s_nop 0
	v_cndmask_b32_sdwa v3, v3, v1, vcc dst_sel:DWORD dst_unused:UNUSED_PAD src0_sel:DWORD src1_sel:WORD_1
.LBB537_1227:
	s_mov_b64 s[10:11], -1
	s_mov_b64 s[8:9], 0
	s_cbranch_execnz .LBB537_1238
.LBB537_1228:
	s_cmp_gt_i32 s17, 14
	s_cbranch_scc0 .LBB537_1231
; %bb.1229:
	s_cmp_eq_u32 s17, 15
	s_cbranch_scc0 .LBB537_1234
; %bb.1230:
	global_load_ushort v3, v[14:15], off
	s_mov_b64 s[2:3], 0
	s_mov_b64 s[10:11], -1
	s_branch .LBB537_1235
.LBB537_1231:
	s_mov_b64 s[12:13], -1
                                        ; implicit-def: $vgpr3
	s_branch .LBB537_1236
.LBB537_1232:
	s_or_saveexec_b64 s[10:11], s[10:11]
	v_mov_b32_e32 v3, 0x7f800001
	s_xor_b64 exec, exec, s[10:11]
	s_cbranch_execz .LBB537_1214
.LBB537_1233:
	v_cmp_ne_u16_e32 vcc, 0, v1
	s_andn2_b64 s[8:9], s[8:9], exec
	s_and_b64 s[12:13], vcc, exec
	v_mov_b32_e32 v3, 0
	s_or_b64 s[8:9], s[8:9], s[12:13]
	s_or_b64 exec, exec, s[10:11]
	s_and_saveexec_b64 s[10:11], s[8:9]
	s_cbranch_execnz .LBB537_1215
	s_branch .LBB537_1216
.LBB537_1234:
	s_mov_b64 s[2:3], -1
                                        ; implicit-def: $vgpr3
.LBB537_1235:
	s_mov_b64 s[12:13], 0
.LBB537_1236:
	s_and_b64 vcc, exec, s[12:13]
	s_cbranch_vccz .LBB537_1238
; %bb.1237:
	s_cmp_lg_u32 s17, 11
	s_mov_b64 s[8:9], -1
	s_cselect_b64 s[2:3], -1, 0
.LBB537_1238:
	s_and_b64 vcc, exec, s[2:3]
	s_mov_b64 s[2:3], s[24:25]
	s_cbranch_vccnz .LBB537_1303
; %bb.1239:
	s_andn2_b64 vcc, exec, s[8:9]
	s_cbranch_vccnz .LBB537_1241
.LBB537_1240:
	global_load_ubyte v1, v[14:15], off
	s_mov_b64 s[10:11], -1
	s_waitcnt vmcnt(0)
	v_cmp_ne_u16_e32 vcc, 0, v1
	s_nop 1
	v_cndmask_b32_e64 v1, 0, 1.0, vcc
	v_lshrrev_b32_e32 v3, 16, v1
.LBB537_1241:
	s_branch .LBB537_1171
.LBB537_1242:
	s_and_b32 s10, 0xffff, s16
	s_cmp_lt_i32 s10, 5
	s_cbranch_scc1 .LBB537_1247
; %bb.1243:
	s_cmp_lt_i32 s10, 8
	s_cbranch_scc1 .LBB537_1248
; %bb.1244:
	s_cmp_lt_i32 s10, 9
	s_cbranch_scc1 .LBB537_1249
; %bb.1245:
	s_cmp_gt_i32 s10, 9
	s_cbranch_scc0 .LBB537_1250
; %bb.1246:
	global_load_dwordx2 v[16:17], v[14:15], off
	s_movk_i32 s8, 0x7fff
	s_waitcnt vmcnt(1)
	v_mov_b32_e32 v1, 0x7fc0
	s_waitcnt vmcnt(0)
	v_cvt_f32_f64_e32 v3, v[16:17]
	v_bfe_u32 v5, v3, 16, 1
	v_cmp_o_f32_e32 vcc, v3, v3
	v_add3_u32 v3, v3, v5, s8
	s_mov_b64 s[8:9], 0
	v_cndmask_b32_sdwa v3, v1, v3, vcc dst_sel:DWORD dst_unused:UNUSED_PAD src0_sel:DWORD src1_sel:WORD_1
	s_branch .LBB537_1251
.LBB537_1247:
                                        ; implicit-def: $vgpr3
	s_branch .LBB537_1268
.LBB537_1248:
                                        ; implicit-def: $vgpr3
	s_branch .LBB537_1257
.LBB537_1249:
	s_mov_b64 s[8:9], -1
                                        ; implicit-def: $vgpr3
	s_branch .LBB537_1254
.LBB537_1250:
	s_mov_b64 s[8:9], -1
                                        ; implicit-def: $vgpr3
.LBB537_1251:
	s_andn2_b64 vcc, exec, s[8:9]
	s_cbranch_vccnz .LBB537_1253
; %bb.1252:
	global_load_dword v1, v[14:15], off
	s_movk_i32 s8, 0x7fff
	s_waitcnt vmcnt(1)
	v_mov_b32_e32 v3, 0x7fc0
	s_waitcnt vmcnt(0)
	v_bfe_u32 v5, v1, 16, 1
	v_cmp_o_f32_e32 vcc, v1, v1
	v_add3_u32 v1, v1, v5, s8
	s_nop 0
	v_cndmask_b32_sdwa v3, v3, v1, vcc dst_sel:DWORD dst_unused:UNUSED_PAD src0_sel:DWORD src1_sel:WORD_1
.LBB537_1253:
	s_mov_b64 s[8:9], 0
.LBB537_1254:
	s_andn2_b64 vcc, exec, s[8:9]
	s_cbranch_vccnz .LBB537_1256
; %bb.1255:
	global_load_dword v1, v[14:15], off
	s_movk_i32 s8, 0x7fff
	v_mov_b32_e32 v5, 0x7fc0
	s_waitcnt vmcnt(0)
	v_cvt_f32_f16_e32 v3, v1
	v_cmp_o_f16_e32 vcc, v1, v1
	v_bfe_u32 v1, v3, 16, 1
	v_add3_u32 v1, v3, v1, s8
	v_cndmask_b32_sdwa v3, v5, v1, vcc dst_sel:DWORD dst_unused:UNUSED_PAD src0_sel:DWORD src1_sel:WORD_1
.LBB537_1256:
	s_cbranch_execnz .LBB537_1267
.LBB537_1257:
	s_cmp_lt_i32 s10, 6
	s_cbranch_scc1 .LBB537_1260
; %bb.1258:
	s_cmp_gt_i32 s10, 6
	s_cbranch_scc0 .LBB537_1261
; %bb.1259:
	global_load_dwordx2 v[16:17], v[14:15], off
	s_movk_i32 s8, 0x7fff
	s_waitcnt vmcnt(1)
	v_mov_b32_e32 v1, 0x7fc0
	s_waitcnt vmcnt(0)
	v_cvt_f32_f64_e32 v3, v[16:17]
	v_bfe_u32 v5, v3, 16, 1
	v_cmp_o_f32_e32 vcc, v3, v3
	v_add3_u32 v3, v3, v5, s8
	s_mov_b64 s[8:9], 0
	v_cndmask_b32_sdwa v3, v1, v3, vcc dst_sel:DWORD dst_unused:UNUSED_PAD src0_sel:DWORD src1_sel:WORD_1
	s_branch .LBB537_1262
.LBB537_1260:
	s_mov_b64 s[8:9], -1
                                        ; implicit-def: $vgpr3
	s_branch .LBB537_1265
.LBB537_1261:
	s_mov_b64 s[8:9], -1
                                        ; implicit-def: $vgpr3
.LBB537_1262:
	s_andn2_b64 vcc, exec, s[8:9]
	s_cbranch_vccnz .LBB537_1264
; %bb.1263:
	global_load_dword v1, v[14:15], off
	s_movk_i32 s8, 0x7fff
	s_waitcnt vmcnt(1)
	v_mov_b32_e32 v3, 0x7fc0
	s_waitcnt vmcnt(0)
	v_bfe_u32 v5, v1, 16, 1
	v_cmp_o_f32_e32 vcc, v1, v1
	v_add3_u32 v1, v1, v5, s8
	s_nop 0
	v_cndmask_b32_sdwa v3, v3, v1, vcc dst_sel:DWORD dst_unused:UNUSED_PAD src0_sel:DWORD src1_sel:WORD_1
.LBB537_1264:
	s_mov_b64 s[8:9], 0
.LBB537_1265:
	s_andn2_b64 vcc, exec, s[8:9]
	s_cbranch_vccnz .LBB537_1267
; %bb.1266:
	global_load_ushort v1, v[14:15], off
	s_movk_i32 s8, 0x7fff
	v_mov_b32_e32 v5, 0x7fc0
	s_waitcnt vmcnt(0)
	v_cvt_f32_f16_e32 v3, v1
	v_cmp_o_f16_e32 vcc, v1, v1
	v_bfe_u32 v1, v3, 16, 1
	v_add3_u32 v1, v3, v1, s8
	v_cndmask_b32_sdwa v3, v5, v1, vcc dst_sel:DWORD dst_unused:UNUSED_PAD src0_sel:DWORD src1_sel:WORD_1
.LBB537_1267:
	s_cbranch_execnz .LBB537_1286
.LBB537_1268:
	s_cmp_lt_i32 s10, 2
	s_cbranch_scc1 .LBB537_1272
; %bb.1269:
	s_cmp_lt_i32 s10, 3
	s_cbranch_scc1 .LBB537_1273
; %bb.1270:
	s_cmp_gt_i32 s10, 3
	s_cbranch_scc0 .LBB537_1274
; %bb.1271:
	global_load_dwordx2 v[16:17], v[14:15], off
	s_movk_i32 s8, 0x7fff
	s_waitcnt vmcnt(0)
	v_xor_b32_e32 v3, v16, v17
	v_ffbh_i32_e32 v1, v17
	v_ashrrev_i32_e32 v3, 31, v3
	v_add_u32_e32 v1, -1, v1
	v_add_u32_e32 v3, 32, v3
	v_min_u32_e32 v1, v1, v3
	v_lshlrev_b64 v[16:17], v1, v[16:17]
	v_min_u32_e32 v3, 1, v16
	v_or_b32_e32 v3, v17, v3
	v_cvt_f32_i32_e32 v3, v3
	v_sub_u32_e32 v1, 32, v1
	v_ldexp_f32 v1, v3, v1
	v_bfe_u32 v3, v1, 16, 1
	v_add3_u32 v1, v1, v3, s8
	v_lshrrev_b32_e32 v3, 16, v1
	s_mov_b64 s[8:9], 0
	s_branch .LBB537_1275
.LBB537_1272:
                                        ; implicit-def: $vgpr3
	s_branch .LBB537_1281
.LBB537_1273:
	s_mov_b64 s[8:9], -1
                                        ; implicit-def: $vgpr3
	s_branch .LBB537_1278
.LBB537_1274:
	s_mov_b64 s[8:9], -1
                                        ; implicit-def: $vgpr3
.LBB537_1275:
	s_andn2_b64 vcc, exec, s[8:9]
	s_cbranch_vccnz .LBB537_1277
; %bb.1276:
	global_load_dword v1, v[14:15], off
	s_movk_i32 s8, 0x7fff
	s_waitcnt vmcnt(0)
	v_cvt_f32_i32_e32 v1, v1
	v_bfe_u32 v3, v1, 16, 1
	v_add3_u32 v1, v1, v3, s8
	v_lshrrev_b32_e32 v3, 16, v1
.LBB537_1277:
	s_mov_b64 s[8:9], 0
.LBB537_1278:
	s_andn2_b64 vcc, exec, s[8:9]
	s_cbranch_vccnz .LBB537_1280
; %bb.1279:
	global_load_sshort v1, v[14:15], off
	s_movk_i32 s8, 0x7fff
	s_waitcnt vmcnt(0)
	v_cvt_f32_i32_e32 v1, v1
	v_bfe_u32 v3, v1, 16, 1
	v_add3_u32 v1, v1, v3, s8
	v_lshrrev_b32_e32 v3, 16, v1
.LBB537_1280:
	s_cbranch_execnz .LBB537_1286
.LBB537_1281:
	s_cmp_gt_i32 s10, 0
	s_cbranch_scc0 .LBB537_1283
; %bb.1282:
	global_load_sbyte v1, v[14:15], off
	s_movk_i32 s8, 0x7fff
	s_waitcnt vmcnt(0)
	v_cvt_f32_i32_e32 v1, v1
	v_bfe_u32 v3, v1, 16, 1
	v_add3_u32 v1, v1, v3, s8
	v_lshrrev_b32_e32 v3, 16, v1
	s_mov_b64 s[8:9], 0
	s_branch .LBB537_1284
.LBB537_1283:
	s_mov_b64 s[8:9], -1
                                        ; implicit-def: $vgpr3
.LBB537_1284:
	s_andn2_b64 vcc, exec, s[8:9]
	s_cbranch_vccnz .LBB537_1286
; %bb.1285:
	global_load_ubyte v1, v[14:15], off
	s_movk_i32 s8, 0x7fff
	s_waitcnt vmcnt(0)
	v_cvt_f32_ubyte0_e32 v1, v1
	v_bfe_u32 v3, v1, 16, 1
	v_add3_u32 v1, v1, v3, s8
	v_lshrrev_b32_e32 v3, 16, v1
.LBB537_1286:
.LBB537_1287:
	s_load_dword s19, s[34:35], 0x158
	s_waitcnt vmcnt(0)
	v_lshlrev_b32_e32 v5, 16, v3
	v_cmp_o_f32_e32 vcc, v5, v5
	s_waitcnt lgkmcnt(0)
	v_mov_b32_e32 v1, s19
	s_and_saveexec_b64 s[8:9], vcc
	s_cbranch_execz .LBB537_1291
; %bb.1288:
	s_load_dword s10, s[0:1], 0x160
	s_mov_b32 s11, 0x7f800000
	v_cmp_neq_f32_e32 vcc, s11, v5
	s_waitcnt lgkmcnt(0)
	s_lshr_b32 s10, s10, 16
	v_mov_b32_e32 v1, s10
	s_and_saveexec_b64 s[10:11], vcc
	s_cbranch_execz .LBB537_1290
; %bb.1289:
	s_load_dword s12, s[34:35], 0x15c
	s_mov_b32 s13, 0xff800000
	v_cmp_eq_f32_e32 vcc, s13, v5
	s_waitcnt lgkmcnt(0)
	v_mov_b32_e32 v1, s12
	v_cndmask_b32_e32 v1, v3, v1, vcc
.LBB537_1290:
	s_or_b64 exec, exec, s[10:11]
.LBB537_1291:
	s_or_b64 exec, exec, s[8:9]
	v_mov_b32_e32 v13, 0
	s_and_b32 s20, 0xffff, s16
	s_cmp_lt_i32 s20, 11
	v_lshl_add_u64 v[12:13], s[6:7], 0, v[12:13]
	s_cbranch_scc1 .LBB537_1298
; %bb.1292:
	s_cmp_gt_i32 s20, 25
	s_mov_b64 s[10:11], 0
	s_cbranch_scc0 .LBB537_1300
; %bb.1293:
	s_cmp_gt_i32 s20, 28
	s_cbranch_scc0 .LBB537_1301
; %bb.1294:
	s_cmp_gt_i32 s20, 43
	;; [unrolled: 3-line block ×3, first 2 shown]
	s_cbranch_scc0 .LBB537_1304
; %bb.1296:
	s_cmp_eq_u32 s20, 46
	s_mov_b64 s[14:15], 0
	s_cbranch_scc0 .LBB537_1307
; %bb.1297:
	global_load_dword v5, v[12:13], off
	s_mov_b64 s[8:9], 0
	s_mov_b64 s[12:13], -1
	s_branch .LBB537_1308
.LBB537_1298:
	s_mov_b64 s[12:13], 0
                                        ; implicit-def: $vgpr5
	s_cbranch_execnz .LBB537_1373
.LBB537_1299:
	s_andn2_b64 vcc, exec, s[12:13]
	s_cbranch_vccnz .LBB537_1769
	s_branch .LBB537_1420
.LBB537_1300:
	s_mov_b64 s[12:13], 0
	s_mov_b64 s[8:9], 0
                                        ; implicit-def: $vgpr5
	s_cbranch_execnz .LBB537_1337
	s_branch .LBB537_1369
.LBB537_1301:
	s_mov_b64 s[14:15], -1
	s_mov_b64 s[12:13], 0
	s_mov_b64 s[8:9], 0
                                        ; implicit-def: $vgpr5
	s_branch .LBB537_1318
.LBB537_1302:
	s_mov_b64 s[14:15], -1
	s_mov_b64 s[12:13], 0
	s_mov_b64 s[8:9], 0
                                        ; implicit-def: $vgpr5
	s_branch .LBB537_1313
.LBB537_1303:
	s_or_b64 s[2:3], s[24:25], exec
	s_trap 2
	s_cbranch_execz .LBB537_1240
	s_branch .LBB537_1241
.LBB537_1304:
	s_mov_b64 s[14:15], -1
	s_mov_b64 s[12:13], 0
	s_mov_b64 s[8:9], 0
                                        ; implicit-def: $vgpr5
	s_branch .LBB537_1308
.LBB537_1305:
	s_andn2_saveexec_b64 s[14:15], s[14:15]
	s_cbranch_execz .LBB537_1031
.LBB537_1306:
	s_mov_b32 s18, 0x42800000
	v_add_f32_e64 v1, |v5|, s18
	v_and_b32_e32 v1, 0xff, v1
	v_cmp_ne_u32_e32 vcc, 0, v1
	s_andn2_b64 s[12:13], s[12:13], exec
	s_and_b64 s[18:19], vcc, exec
	s_or_b64 s[12:13], s[12:13], s[18:19]
	s_or_b64 exec, exec, s[14:15]
	v_mov_b32_e32 v6, 0
	s_and_saveexec_b64 s[14:15], s[12:13]
	s_cbranch_execnz .LBB537_1032
	s_branch .LBB537_1033
.LBB537_1307:
	s_mov_b64 s[8:9], -1
                                        ; implicit-def: $vgpr5
	s_mov_b64 s[12:13], 0
.LBB537_1308:
	s_and_b64 vcc, exec, s[14:15]
	s_cbranch_vccz .LBB537_1312
; %bb.1309:
	s_cmp_eq_u32 s20, 44
	s_cbranch_scc0 .LBB537_1311
; %bb.1310:
	global_load_ubyte v3, v[12:13], off
	s_movk_i32 s12, 0xff
	s_waitcnt vmcnt(1)
	v_mov_b32_e32 v5, 0x7f800001
	v_mov_b32_e32 v7, 0x400000
	;; [unrolled: 1-line block ×3, first 2 shown]
	s_mov_b64 s[8:9], 0
	s_waitcnt vmcnt(0)
	v_lshlrev_b32_e32 v11, 23, v3
	v_cmp_ne_u32_e32 vcc, s12, v3
	s_mov_b64 s[12:13], -1
	s_nop 0
	v_cndmask_b32_e32 v5, v5, v11, vcc
	v_cmp_ne_u32_e32 vcc, 0, v3
	s_nop 1
	v_cndmask_b32_e32 v3, v7, v5, vcc
	v_add_u32_e32 v5, 0x7fff, v3
	v_cmp_o_f32_e32 vcc, v3, v3
	s_nop 1
	v_cndmask_b32_sdwa v5, v9, v5, vcc dst_sel:DWORD dst_unused:UNUSED_PAD src0_sel:DWORD src1_sel:WORD_1
	s_branch .LBB537_1312
.LBB537_1311:
	s_mov_b64 s[8:9], -1
                                        ; implicit-def: $vgpr5
.LBB537_1312:
	s_mov_b64 s[14:15], 0
.LBB537_1313:
	s_and_b64 vcc, exec, s[14:15]
	s_cbranch_vccz .LBB537_1317
; %bb.1314:
	s_cmp_eq_u32 s20, 29
	s_cbranch_scc0 .LBB537_1316
; %bb.1315:
	global_load_dwordx2 v[14:15], v[12:13], off
	s_movk_i32 s12, 0x7fff
	s_mov_b64 s[8:9], 0
	s_mov_b64 s[14:15], 0
	s_waitcnt vmcnt(0)
	v_ffbh_u32_e32 v3, v15
	v_min_u32_e32 v3, 32, v3
	v_lshlrev_b64 v[14:15], v3, v[14:15]
	v_min_u32_e32 v5, 1, v14
	v_or_b32_e32 v5, v15, v5
	v_cvt_f32_u32_e32 v5, v5
	v_sub_u32_e32 v3, 32, v3
	v_ldexp_f32 v3, v5, v3
	v_bfe_u32 v5, v3, 16, 1
	v_add3_u32 v3, v3, v5, s12
	v_lshrrev_b32_e32 v5, 16, v3
	s_mov_b64 s[12:13], -1
	s_branch .LBB537_1318
.LBB537_1316:
	s_mov_b64 s[8:9], -1
                                        ; implicit-def: $vgpr5
.LBB537_1317:
	s_mov_b64 s[14:15], 0
.LBB537_1318:
	s_and_b64 vcc, exec, s[14:15]
	s_cbranch_vccz .LBB537_1336
; %bb.1319:
	s_cmp_lt_i32 s20, 27
	s_cbranch_scc1 .LBB537_1322
; %bb.1320:
	s_cmp_gt_i32 s20, 27
	s_cbranch_scc0 .LBB537_1323
; %bb.1321:
	global_load_dword v3, v[12:13], off
	s_movk_i32 s12, 0x7fff
	s_waitcnt vmcnt(0)
	v_cvt_f32_u32_e32 v3, v3
	v_bfe_u32 v5, v3, 16, 1
	v_add3_u32 v3, v3, v5, s12
	v_lshrrev_b32_e32 v5, 16, v3
	s_mov_b64 s[12:13], 0
	s_branch .LBB537_1324
.LBB537_1322:
	s_mov_b64 s[12:13], -1
                                        ; implicit-def: $vgpr5
	s_branch .LBB537_1327
.LBB537_1323:
	s_mov_b64 s[12:13], -1
                                        ; implicit-def: $vgpr5
.LBB537_1324:
	s_andn2_b64 vcc, exec, s[12:13]
	s_cbranch_vccnz .LBB537_1326
; %bb.1325:
	global_load_ushort v3, v[12:13], off
	s_movk_i32 s12, 0x7fff
	s_waitcnt vmcnt(0)
	v_cvt_f32_u32_e32 v3, v3
	v_bfe_u32 v5, v3, 16, 1
	v_add3_u32 v3, v3, v5, s12
	v_lshrrev_b32_e32 v5, 16, v3
.LBB537_1326:
	s_mov_b64 s[12:13], 0
.LBB537_1327:
	s_andn2_b64 vcc, exec, s[12:13]
	s_cbranch_vccnz .LBB537_1335
; %bb.1328:
	global_load_ubyte v3, v[12:13], off
	s_movk_i32 s12, 0x7f
	s_waitcnt vmcnt(0)
	v_cmp_lt_i16_e32 vcc, s12, v3
	s_mov_b64 s[12:13], 0
	s_and_saveexec_b64 s[14:15], vcc
	s_xor_b64 s[14:15], exec, s[14:15]
	s_cbranch_execz .LBB537_1348
; %bb.1329:
	s_movk_i32 s12, 0x80
	v_cmp_eq_u16_e32 vcc, s12, v3
	s_mov_b64 s[12:13], -1
	s_and_saveexec_b64 s[16:17], vcc
; %bb.1330:
	s_xor_b64 s[12:13], exec, -1
; %bb.1331:
	s_or_b64 exec, exec, s[16:17]
	s_and_b64 s[12:13], s[12:13], exec
	s_or_saveexec_b64 s[14:15], s[14:15]
	v_mov_b32_e32 v5, 0x7f800001
	s_xor_b64 exec, exec, s[14:15]
	s_cbranch_execnz .LBB537_1349
.LBB537_1332:
	s_or_b64 exec, exec, s[14:15]
	s_and_saveexec_b64 s[14:15], s[12:13]
	s_cbranch_execz .LBB537_1334
.LBB537_1333:
	v_lshlrev_b32_e32 v5, 24, v3
	v_and_b32_e32 v3, 0xffff, v3
	v_and_b32_e32 v7, 7, v3
	v_ffbh_u32_e32 v11, v7
	v_min_u32_e32 v11, 32, v11
	v_subrev_u32_e32 v14, 28, v11
	v_bfe_u32 v9, v3, 3, 4
	v_lshlrev_b32_e32 v3, v14, v3
	v_sub_u32_e32 v11, 29, v11
	v_and_b32_e32 v3, 7, v3
	v_cmp_eq_u32_e32 vcc, 0, v9
	v_and_b32_e32 v5, 0x80000000, v5
	s_nop 0
	v_cndmask_b32_e32 v9, v9, v11, vcc
	v_cndmask_b32_e32 v3, v7, v3, vcc
	v_mov_b32_e32 v7, 0x3b800000
	v_lshlrev_b32_e32 v3, 20, v3
	v_lshl_add_u32 v7, v9, 23, v7
	v_or3_b32 v5, v5, v7, v3
.LBB537_1334:
	s_or_b64 exec, exec, s[14:15]
	v_bfe_u32 v3, v5, 16, 1
	s_movk_i32 s12, 0x7fff
	v_add3_u32 v3, v5, v3, s12
	v_cmp_o_f32_e32 vcc, v5, v5
	v_mov_b32_e32 v5, 0x7fc0
	s_nop 0
	v_cndmask_b32_sdwa v5, v5, v3, vcc dst_sel:DWORD dst_unused:UNUSED_PAD src0_sel:DWORD src1_sel:WORD_1
.LBB537_1335:
	s_mov_b64 s[12:13], -1
.LBB537_1336:
	s_branch .LBB537_1369
.LBB537_1337:
	s_cmp_gt_i32 s20, 22
	s_cbranch_scc0 .LBB537_1347
; %bb.1338:
	s_cmp_lt_i32 s20, 24
	s_cbranch_scc1 .LBB537_1350
; %bb.1339:
	s_cmp_gt_i32 s20, 24
	s_cbranch_scc0 .LBB537_1351
; %bb.1340:
	global_load_ubyte v3, v[12:13], off
	s_movk_i32 s10, 0x7f
	s_waitcnt vmcnt(0)
	v_cmp_lt_i16_e32 vcc, s10, v3
	s_mov_b64 s[10:11], 0
	s_and_saveexec_b64 s[12:13], vcc
	s_xor_b64 s[12:13], exec, s[12:13]
	s_cbranch_execz .LBB537_1363
; %bb.1341:
	s_movk_i32 s10, 0x80
	v_cmp_eq_u16_e32 vcc, s10, v3
	s_mov_b64 s[10:11], -1
	s_and_saveexec_b64 s[14:15], vcc
; %bb.1342:
	s_xor_b64 s[10:11], exec, -1
; %bb.1343:
	s_or_b64 exec, exec, s[14:15]
	s_and_b64 s[10:11], s[10:11], exec
	s_or_saveexec_b64 s[12:13], s[12:13]
	v_mov_b32_e32 v5, 0x7f800001
	s_xor_b64 exec, exec, s[12:13]
	s_cbranch_execnz .LBB537_1364
.LBB537_1344:
	s_or_b64 exec, exec, s[12:13]
	s_and_saveexec_b64 s[12:13], s[10:11]
	s_cbranch_execz .LBB537_1346
.LBB537_1345:
	v_lshlrev_b32_e32 v5, 24, v3
	v_and_b32_e32 v3, 0xffff, v3
	v_and_b32_e32 v7, 3, v3
	v_ffbh_u32_e32 v11, v7
	v_min_u32_e32 v11, 32, v11
	v_subrev_u32_e32 v14, 29, v11
	v_bfe_u32 v9, v3, 2, 5
	v_lshlrev_b32_e32 v3, v14, v3
	v_sub_u32_e32 v11, 30, v11
	v_and_b32_e32 v3, 3, v3
	v_cmp_eq_u32_e32 vcc, 0, v9
	v_and_b32_e32 v5, 0x80000000, v5
	s_nop 0
	v_cndmask_b32_e32 v9, v9, v11, vcc
	v_cndmask_b32_e32 v3, v7, v3, vcc
	v_mov_b32_e32 v7, 0x37800000
	v_lshlrev_b32_e32 v3, 21, v3
	v_lshl_add_u32 v7, v9, 23, v7
	v_or3_b32 v5, v5, v7, v3
.LBB537_1346:
	s_or_b64 exec, exec, s[12:13]
	v_bfe_u32 v3, v5, 16, 1
	s_movk_i32 s10, 0x7fff
	v_add3_u32 v3, v5, v3, s10
	v_cmp_o_f32_e32 vcc, v5, v5
	v_mov_b32_e32 v5, 0x7fc0
	s_mov_b64 s[10:11], 0
	v_cndmask_b32_sdwa v5, v5, v3, vcc dst_sel:DWORD dst_unused:UNUSED_PAD src0_sel:DWORD src1_sel:WORD_1
	s_branch .LBB537_1352
.LBB537_1347:
	s_mov_b64 s[10:11], -1
                                        ; implicit-def: $vgpr5
	s_branch .LBB537_1358
.LBB537_1348:
	s_or_saveexec_b64 s[14:15], s[14:15]
	v_mov_b32_e32 v5, 0x7f800001
	s_xor_b64 exec, exec, s[14:15]
	s_cbranch_execz .LBB537_1332
.LBB537_1349:
	v_cmp_ne_u16_e32 vcc, 0, v3
	s_andn2_b64 s[12:13], s[12:13], exec
	s_and_b64 s[16:17], vcc, exec
	v_mov_b32_e32 v5, 0
	s_or_b64 s[12:13], s[12:13], s[16:17]
	s_or_b64 exec, exec, s[14:15]
	s_and_saveexec_b64 s[14:15], s[12:13]
	s_cbranch_execnz .LBB537_1333
	s_branch .LBB537_1334
.LBB537_1350:
	s_mov_b64 s[10:11], -1
                                        ; implicit-def: $vgpr5
	s_branch .LBB537_1355
.LBB537_1351:
	s_mov_b64 s[10:11], -1
                                        ; implicit-def: $vgpr5
.LBB537_1352:
	s_and_b64 vcc, exec, s[10:11]
	s_cbranch_vccz .LBB537_1354
; %bb.1353:
	global_load_ubyte v3, v[12:13], off
	s_mov_b32 s10, 0x7f800000
	s_brev_b32 s11, 1
	s_movk_i32 s12, 0x7fff
	s_waitcnt vmcnt(0)
	v_lshlrev_b32_e32 v3, 24, v3
	v_and_b32_e32 v5, 0x7f000000, v3
	v_ffbh_u32_e32 v7, v5
	v_min_u32_e32 v7, 32, v7
	v_sub_u32_e64 v7, v7, 4 clamp
	v_lshlrev_b32_e32 v11, v7, v5
	v_lshlrev_b32_e32 v7, 23, v7
	v_lshrrev_b32_e32 v11, 4, v11
	v_add_u32_e32 v9, 0x1000000, v5
	v_sub_u32_e32 v7, v11, v7
	v_ashrrev_i32_e32 v9, 8, v9
	v_add_u32_e32 v7, 0x3c000000, v7
	v_and_or_b32 v7, v9, s10, v7
	v_cmp_ne_u32_e32 vcc, 0, v5
	s_nop 1
	v_cndmask_b32_e32 v5, 0, v7, vcc
	v_and_or_b32 v3, v3, s11, v5
	v_bfe_u32 v5, v5, 16, 1
	v_add3_u32 v5, v3, v5, s12
	v_cmp_o_f32_e32 vcc, v3, v3
	v_mov_b32_e32 v3, 0x7fc0
	s_nop 0
	v_cndmask_b32_sdwa v5, v3, v5, vcc dst_sel:DWORD dst_unused:UNUSED_PAD src0_sel:DWORD src1_sel:WORD_1
.LBB537_1354:
	s_mov_b64 s[10:11], 0
.LBB537_1355:
	s_andn2_b64 vcc, exec, s[10:11]
	s_cbranch_vccnz .LBB537_1357
; %bb.1356:
	global_load_ubyte v3, v[12:13], off
	s_movk_i32 s10, 0x7f00
	s_brev_b32 s11, 16
	s_brev_b32 s12, 1
	s_movk_i32 s13, 0x7fff
	s_waitcnt vmcnt(0)
	v_lshlrev_b16_e32 v5, 8, v3
	v_lshlrev_b32_e32 v3, 25, v3
	v_lshrrev_b32_e32 v7, 4, v3
	v_and_or_b32 v9, v5, s10, 0.5
	v_or_b32_e32 v7, 0x70000000, v7
	v_add_f32_e32 v9, -0.5, v9
	v_mul_f32_e32 v7, 0x7800000, v7
	v_cmp_gt_u32_e32 vcc, s11, v3
	v_bfe_i32 v5, v5, 0, 16
	s_nop 0
	v_cndmask_b32_e32 v3, v7, v9, vcc
	v_and_or_b32 v5, v5, s12, v3
	v_bfe_u32 v3, v3, 16, 1
	v_add3_u32 v3, v5, v3, s13
	v_cmp_o_f32_e32 vcc, v5, v5
	v_mov_b32_e32 v5, 0x7fc0
	s_nop 0
	v_cndmask_b32_sdwa v5, v5, v3, vcc dst_sel:DWORD dst_unused:UNUSED_PAD src0_sel:DWORD src1_sel:WORD_1
.LBB537_1357:
	s_mov_b64 s[10:11], 0
	s_mov_b64 s[12:13], -1
.LBB537_1358:
	s_andn2_b64 vcc, exec, s[10:11]
	s_mov_b64 s[10:11], 0
	s_cbranch_vccnz .LBB537_1369
; %bb.1359:
	s_cmp_gt_i32 s20, 14
	s_cbranch_scc0 .LBB537_1362
; %bb.1360:
	s_cmp_eq_u32 s20, 15
	s_cbranch_scc0 .LBB537_1365
; %bb.1361:
	global_load_ushort v5, v[12:13], off
	s_mov_b64 s[8:9], 0
	s_mov_b64 s[12:13], -1
	s_branch .LBB537_1366
.LBB537_1362:
	s_mov_b64 s[14:15], -1
                                        ; implicit-def: $vgpr5
	s_branch .LBB537_1367
.LBB537_1363:
	s_or_saveexec_b64 s[12:13], s[12:13]
	v_mov_b32_e32 v5, 0x7f800001
	s_xor_b64 exec, exec, s[12:13]
	s_cbranch_execz .LBB537_1344
.LBB537_1364:
	v_cmp_ne_u16_e32 vcc, 0, v3
	s_andn2_b64 s[10:11], s[10:11], exec
	s_and_b64 s[14:15], vcc, exec
	v_mov_b32_e32 v5, 0
	s_or_b64 s[10:11], s[10:11], s[14:15]
	s_or_b64 exec, exec, s[12:13]
	s_and_saveexec_b64 s[12:13], s[10:11]
	s_cbranch_execnz .LBB537_1345
	s_branch .LBB537_1346
.LBB537_1365:
	s_mov_b64 s[8:9], -1
                                        ; implicit-def: $vgpr5
.LBB537_1366:
	s_mov_b64 s[14:15], 0
.LBB537_1367:
	s_and_b64 vcc, exec, s[14:15]
	s_cbranch_vccz .LBB537_1369
; %bb.1368:
	s_cmp_lg_u32 s20, 11
	s_mov_b64 s[10:11], -1
	s_cselect_b64 s[8:9], -1, 0
.LBB537_1369:
	s_and_b64 vcc, exec, s[8:9]
	s_cbranch_vccnz .LBB537_1436
; %bb.1370:
	s_andn2_b64 vcc, exec, s[10:11]
	s_cbranch_vccnz .LBB537_1372
.LBB537_1371:
	global_load_ubyte v3, v[12:13], off
	s_mov_b64 s[12:13], -1
	s_waitcnt vmcnt(0)
	v_cmp_ne_u16_e32 vcc, 0, v3
	s_nop 1
	v_cndmask_b32_e64 v3, 0, 1.0, vcc
	v_lshrrev_b32_e32 v5, 16, v3
.LBB537_1372:
	s_branch .LBB537_1299
.LBB537_1373:
	s_cmp_lt_i32 s20, 5
	s_cbranch_scc1 .LBB537_1378
; %bb.1374:
	s_cmp_lt_i32 s20, 8
	s_cbranch_scc1 .LBB537_1379
; %bb.1375:
	;; [unrolled: 3-line block ×3, first 2 shown]
	s_cmp_gt_i32 s20, 9
	s_cbranch_scc0 .LBB537_1381
; %bb.1377:
	global_load_dwordx2 v[14:15], v[12:13], off
	s_movk_i32 s8, 0x7fff
	v_mov_b32_e32 v3, 0x7fc0
	s_waitcnt vmcnt(0)
	v_cvt_f32_f64_e32 v5, v[14:15]
	v_bfe_u32 v7, v5, 16, 1
	v_cmp_o_f32_e32 vcc, v5, v5
	v_add3_u32 v5, v5, v7, s8
	s_mov_b64 s[8:9], 0
	v_cndmask_b32_sdwa v5, v3, v5, vcc dst_sel:DWORD dst_unused:UNUSED_PAD src0_sel:DWORD src1_sel:WORD_1
	s_branch .LBB537_1382
.LBB537_1378:
                                        ; implicit-def: $vgpr5
	s_branch .LBB537_1400
.LBB537_1379:
	s_mov_b64 s[8:9], -1
                                        ; implicit-def: $vgpr5
	s_branch .LBB537_1388
.LBB537_1380:
	s_mov_b64 s[8:9], -1
                                        ; implicit-def: $vgpr5
	s_branch .LBB537_1385
.LBB537_1381:
	s_mov_b64 s[8:9], -1
                                        ; implicit-def: $vgpr5
.LBB537_1382:
	s_andn2_b64 vcc, exec, s[8:9]
	s_cbranch_vccnz .LBB537_1384
; %bb.1383:
	global_load_dword v3, v[12:13], off
	s_movk_i32 s8, 0x7fff
	s_waitcnt vmcnt(1)
	v_mov_b32_e32 v5, 0x7fc0
	s_waitcnt vmcnt(0)
	v_bfe_u32 v7, v3, 16, 1
	v_cmp_o_f32_e32 vcc, v3, v3
	v_add3_u32 v3, v3, v7, s8
	s_nop 0
	v_cndmask_b32_sdwa v5, v5, v3, vcc dst_sel:DWORD dst_unused:UNUSED_PAD src0_sel:DWORD src1_sel:WORD_1
.LBB537_1384:
	s_mov_b64 s[8:9], 0
.LBB537_1385:
	s_andn2_b64 vcc, exec, s[8:9]
	s_cbranch_vccnz .LBB537_1387
; %bb.1386:
	global_load_dword v3, v[12:13], off
	s_movk_i32 s8, 0x7fff
	v_mov_b32_e32 v7, 0x7fc0
	s_waitcnt vmcnt(0)
	v_cvt_f32_f16_e32 v5, v3
	v_cmp_o_f16_e32 vcc, v3, v3
	v_bfe_u32 v3, v5, 16, 1
	v_add3_u32 v3, v5, v3, s8
	v_cndmask_b32_sdwa v5, v7, v3, vcc dst_sel:DWORD dst_unused:UNUSED_PAD src0_sel:DWORD src1_sel:WORD_1
.LBB537_1387:
	s_mov_b64 s[8:9], 0
.LBB537_1388:
	s_andn2_b64 vcc, exec, s[8:9]
	s_cbranch_vccnz .LBB537_1399
; %bb.1389:
	s_cmp_lt_i32 s20, 6
	s_cbranch_scc1 .LBB537_1392
; %bb.1390:
	s_cmp_gt_i32 s20, 6
	s_cbranch_scc0 .LBB537_1393
; %bb.1391:
	global_load_dwordx2 v[14:15], v[12:13], off
	s_movk_i32 s8, 0x7fff
	v_mov_b32_e32 v3, 0x7fc0
	s_waitcnt vmcnt(0)
	v_cvt_f32_f64_e32 v5, v[14:15]
	v_bfe_u32 v7, v5, 16, 1
	v_cmp_o_f32_e32 vcc, v5, v5
	v_add3_u32 v5, v5, v7, s8
	s_mov_b64 s[8:9], 0
	v_cndmask_b32_sdwa v5, v3, v5, vcc dst_sel:DWORD dst_unused:UNUSED_PAD src0_sel:DWORD src1_sel:WORD_1
	s_branch .LBB537_1394
.LBB537_1392:
	s_mov_b64 s[8:9], -1
                                        ; implicit-def: $vgpr5
	s_branch .LBB537_1397
.LBB537_1393:
	s_mov_b64 s[8:9], -1
                                        ; implicit-def: $vgpr5
.LBB537_1394:
	s_andn2_b64 vcc, exec, s[8:9]
	s_cbranch_vccnz .LBB537_1396
; %bb.1395:
	global_load_dword v3, v[12:13], off
	s_movk_i32 s8, 0x7fff
	s_waitcnt vmcnt(1)
	v_mov_b32_e32 v5, 0x7fc0
	s_waitcnt vmcnt(0)
	v_bfe_u32 v7, v3, 16, 1
	v_cmp_o_f32_e32 vcc, v3, v3
	v_add3_u32 v3, v3, v7, s8
	s_nop 0
	v_cndmask_b32_sdwa v5, v5, v3, vcc dst_sel:DWORD dst_unused:UNUSED_PAD src0_sel:DWORD src1_sel:WORD_1
.LBB537_1396:
	s_mov_b64 s[8:9], 0
.LBB537_1397:
	s_andn2_b64 vcc, exec, s[8:9]
	s_cbranch_vccnz .LBB537_1399
; %bb.1398:
	global_load_ushort v3, v[12:13], off
	s_movk_i32 s8, 0x7fff
	v_mov_b32_e32 v7, 0x7fc0
	s_waitcnt vmcnt(0)
	v_cvt_f32_f16_e32 v5, v3
	v_cmp_o_f16_e32 vcc, v3, v3
	v_bfe_u32 v3, v5, 16, 1
	v_add3_u32 v3, v5, v3, s8
	v_cndmask_b32_sdwa v5, v7, v3, vcc dst_sel:DWORD dst_unused:UNUSED_PAD src0_sel:DWORD src1_sel:WORD_1
.LBB537_1399:
	s_cbranch_execnz .LBB537_1419
.LBB537_1400:
	s_cmp_lt_i32 s20, 2
	s_cbranch_scc1 .LBB537_1404
; %bb.1401:
	s_cmp_lt_i32 s20, 3
	s_cbranch_scc1 .LBB537_1405
; %bb.1402:
	s_cmp_gt_i32 s20, 3
	s_cbranch_scc0 .LBB537_1406
; %bb.1403:
	global_load_dwordx2 v[14:15], v[12:13], off
	s_movk_i32 s8, 0x7fff
	s_waitcnt vmcnt(0)
	v_xor_b32_e32 v5, v14, v15
	v_ffbh_i32_e32 v3, v15
	v_ashrrev_i32_e32 v5, 31, v5
	v_add_u32_e32 v3, -1, v3
	v_add_u32_e32 v5, 32, v5
	v_min_u32_e32 v3, v3, v5
	v_lshlrev_b64 v[14:15], v3, v[14:15]
	v_min_u32_e32 v5, 1, v14
	v_or_b32_e32 v5, v15, v5
	v_cvt_f32_i32_e32 v5, v5
	v_sub_u32_e32 v3, 32, v3
	v_ldexp_f32 v3, v5, v3
	v_bfe_u32 v5, v3, 16, 1
	v_add3_u32 v3, v3, v5, s8
	v_lshrrev_b32_e32 v5, 16, v3
	s_mov_b64 s[8:9], 0
	s_branch .LBB537_1407
.LBB537_1404:
	s_mov_b64 s[8:9], -1
                                        ; implicit-def: $vgpr5
	s_branch .LBB537_1413
.LBB537_1405:
	s_mov_b64 s[8:9], -1
                                        ; implicit-def: $vgpr5
	s_branch .LBB537_1410
.LBB537_1406:
	s_mov_b64 s[8:9], -1
                                        ; implicit-def: $vgpr5
.LBB537_1407:
	s_andn2_b64 vcc, exec, s[8:9]
	s_cbranch_vccnz .LBB537_1409
; %bb.1408:
	global_load_dword v3, v[12:13], off
	s_movk_i32 s8, 0x7fff
	s_waitcnt vmcnt(0)
	v_cvt_f32_i32_e32 v3, v3
	v_bfe_u32 v5, v3, 16, 1
	v_add3_u32 v3, v3, v5, s8
	v_lshrrev_b32_e32 v5, 16, v3
.LBB537_1409:
	s_mov_b64 s[8:9], 0
.LBB537_1410:
	s_andn2_b64 vcc, exec, s[8:9]
	s_cbranch_vccnz .LBB537_1412
; %bb.1411:
	global_load_sshort v3, v[12:13], off
	s_movk_i32 s8, 0x7fff
	s_waitcnt vmcnt(0)
	v_cvt_f32_i32_e32 v3, v3
	v_bfe_u32 v5, v3, 16, 1
	v_add3_u32 v3, v3, v5, s8
	v_lshrrev_b32_e32 v5, 16, v3
.LBB537_1412:
	s_mov_b64 s[8:9], 0
.LBB537_1413:
	s_andn2_b64 vcc, exec, s[8:9]
	s_cbranch_vccnz .LBB537_1419
; %bb.1414:
	s_cmp_gt_i32 s20, 0
	s_cbranch_scc0 .LBB537_1416
; %bb.1415:
	global_load_sbyte v3, v[12:13], off
	s_movk_i32 s8, 0x7fff
	s_waitcnt vmcnt(0)
	v_cvt_f32_i32_e32 v3, v3
	v_bfe_u32 v5, v3, 16, 1
	v_add3_u32 v3, v3, v5, s8
	v_lshrrev_b32_e32 v5, 16, v3
	s_mov_b64 s[8:9], 0
	s_branch .LBB537_1417
.LBB537_1416:
	s_mov_b64 s[8:9], -1
                                        ; implicit-def: $vgpr5
.LBB537_1417:
	s_andn2_b64 vcc, exec, s[8:9]
	s_cbranch_vccnz .LBB537_1419
; %bb.1418:
	global_load_ubyte v3, v[12:13], off
	s_movk_i32 s8, 0x7fff
	s_waitcnt vmcnt(0)
	v_cvt_f32_ubyte0_e32 v3, v3
	v_bfe_u32 v5, v3, 16, 1
	v_add3_u32 v3, v3, v5, s8
	v_lshrrev_b32_e32 v5, 16, v3
.LBB537_1419:
.LBB537_1420:
	s_waitcnt vmcnt(0)
	v_lshlrev_b32_e32 v7, 16, v5
	v_cmp_o_f32_e32 vcc, v7, v7
	v_mov_b32_e32 v3, s19
	s_and_saveexec_b64 s[8:9], vcc
	s_cbranch_execz .LBB537_1424
; %bb.1421:
	s_load_dword s10, s[0:1], 0x160
	s_mov_b32 s11, 0x7f800000
	v_cmp_neq_f32_e32 vcc, s11, v7
	s_waitcnt lgkmcnt(0)
	s_lshr_b32 s10, s10, 16
	v_mov_b32_e32 v3, s10
	s_and_saveexec_b64 s[10:11], vcc
	s_cbranch_execz .LBB537_1423
; %bb.1422:
	s_load_dword s12, s[34:35], 0x15c
	s_mov_b32 s13, 0xff800000
	v_cmp_eq_f32_e32 vcc, s13, v7
	s_waitcnt lgkmcnt(0)
	v_mov_b32_e32 v3, s12
	v_cndmask_b32_e32 v3, v5, v3, vcc
.LBB537_1423:
	s_or_b64 exec, exec, s[10:11]
.LBB537_1424:
	s_or_b64 exec, exec, s[8:9]
	v_mov_b32_e32 v11, 0
	s_cmp_lt_i32 s20, 11
	v_lshl_add_u64 v[10:11], s[6:7], 0, v[10:11]
	s_cbranch_scc1 .LBB537_1431
; %bb.1425:
	s_cmp_gt_i32 s20, 25
	s_mov_b64 s[10:11], 0
	s_cbranch_scc0 .LBB537_1433
; %bb.1426:
	s_cmp_gt_i32 s20, 28
	s_cbranch_scc0 .LBB537_1434
; %bb.1427:
	s_cmp_gt_i32 s20, 43
	;; [unrolled: 3-line block ×3, first 2 shown]
	s_cbranch_scc0 .LBB537_1437
; %bb.1429:
	s_cmp_eq_u32 s20, 46
	s_mov_b64 s[14:15], 0
	s_cbranch_scc0 .LBB537_1438
; %bb.1430:
	global_load_dword v5, v[10:11], off
	s_mov_b64 s[8:9], 0
	s_mov_b64 s[12:13], -1
	s_branch .LBB537_1439
.LBB537_1431:
	s_mov_b64 s[12:13], 0
                                        ; implicit-def: $vgpr5
	s_cbranch_execnz .LBB537_1505
.LBB537_1432:
	s_andn2_b64 vcc, exec, s[12:13]
	s_cbranch_vccnz .LBB537_1769
	s_branch .LBB537_1553
.LBB537_1433:
	s_mov_b64 s[14:15], -1
	s_mov_b64 s[12:13], 0
	s_mov_b64 s[8:9], 0
                                        ; implicit-def: $vgpr5
	s_branch .LBB537_1468
.LBB537_1434:
	s_mov_b64 s[14:15], -1
	s_mov_b64 s[12:13], 0
	s_mov_b64 s[8:9], 0
                                        ; implicit-def: $vgpr5
	s_branch .LBB537_1449
.LBB537_1435:
	s_mov_b64 s[14:15], -1
	s_mov_b64 s[12:13], 0
	s_mov_b64 s[8:9], 0
                                        ; implicit-def: $vgpr5
	s_branch .LBB537_1444
.LBB537_1436:
	s_trap 2
	s_or_b64 s[2:3], s[2:3], exec
	s_cbranch_execz .LBB537_1371
	s_branch .LBB537_1372
.LBB537_1437:
	s_mov_b64 s[14:15], -1
	s_mov_b64 s[12:13], 0
	s_mov_b64 s[8:9], 0
                                        ; implicit-def: $vgpr5
	s_branch .LBB537_1439
.LBB537_1438:
	s_mov_b64 s[8:9], -1
                                        ; implicit-def: $vgpr5
	s_mov_b64 s[12:13], 0
.LBB537_1439:
	s_and_b64 vcc, exec, s[14:15]
	s_cbranch_vccz .LBB537_1443
; %bb.1440:
	s_cmp_eq_u32 s20, 44
	s_cbranch_scc0 .LBB537_1442
; %bb.1441:
	global_load_ubyte v5, v[10:11], off
	s_movk_i32 s12, 0xff
	v_mov_b32_e32 v7, 0x7f800001
	v_mov_b32_e32 v9, 0x400000
	;; [unrolled: 1-line block ×3, first 2 shown]
	s_mov_b64 s[8:9], 0
	s_waitcnt vmcnt(0)
	v_lshlrev_b32_e32 v13, 23, v5
	v_cmp_ne_u32_e32 vcc, s12, v5
	s_mov_b64 s[12:13], -1
	s_nop 0
	v_cndmask_b32_e32 v7, v7, v13, vcc
	v_cmp_ne_u32_e32 vcc, 0, v5
	s_nop 1
	v_cndmask_b32_e32 v5, v9, v7, vcc
	v_add_u32_e32 v7, 0x7fff, v5
	v_cmp_o_f32_e32 vcc, v5, v5
	s_nop 1
	v_cndmask_b32_sdwa v5, v12, v7, vcc dst_sel:DWORD dst_unused:UNUSED_PAD src0_sel:DWORD src1_sel:WORD_1
	s_branch .LBB537_1443
.LBB537_1442:
	s_mov_b64 s[8:9], -1
                                        ; implicit-def: $vgpr5
.LBB537_1443:
	s_mov_b64 s[14:15], 0
.LBB537_1444:
	s_and_b64 vcc, exec, s[14:15]
	s_cbranch_vccz .LBB537_1448
; %bb.1445:
	s_cmp_eq_u32 s20, 29
	s_cbranch_scc0 .LBB537_1447
; %bb.1446:
	global_load_dwordx2 v[12:13], v[10:11], off
	s_movk_i32 s12, 0x7fff
	s_mov_b64 s[8:9], 0
	s_mov_b64 s[14:15], 0
	s_waitcnt vmcnt(0)
	v_ffbh_u32_e32 v5, v13
	v_min_u32_e32 v5, 32, v5
	v_lshlrev_b64 v[12:13], v5, v[12:13]
	v_min_u32_e32 v7, 1, v12
	v_or_b32_e32 v7, v13, v7
	v_cvt_f32_u32_e32 v7, v7
	v_sub_u32_e32 v5, 32, v5
	v_ldexp_f32 v5, v7, v5
	v_bfe_u32 v7, v5, 16, 1
	v_add3_u32 v5, v5, v7, s12
	v_lshrrev_b32_e32 v5, 16, v5
	s_mov_b64 s[12:13], -1
	s_branch .LBB537_1449
.LBB537_1447:
	s_mov_b64 s[8:9], -1
                                        ; implicit-def: $vgpr5
.LBB537_1448:
	s_mov_b64 s[14:15], 0
.LBB537_1449:
	s_and_b64 vcc, exec, s[14:15]
	s_cbranch_vccz .LBB537_1467
; %bb.1450:
	s_cmp_lt_i32 s20, 27
	s_cbranch_scc1 .LBB537_1453
; %bb.1451:
	s_cmp_gt_i32 s20, 27
	s_cbranch_scc0 .LBB537_1454
; %bb.1452:
	global_load_dword v5, v[10:11], off
	s_movk_i32 s12, 0x7fff
	s_waitcnt vmcnt(0)
	v_cvt_f32_u32_e32 v5, v5
	v_bfe_u32 v7, v5, 16, 1
	v_add3_u32 v5, v5, v7, s12
	v_lshrrev_b32_e32 v5, 16, v5
	s_mov_b64 s[12:13], 0
	s_branch .LBB537_1455
.LBB537_1453:
	s_mov_b64 s[12:13], -1
                                        ; implicit-def: $vgpr5
	s_branch .LBB537_1458
.LBB537_1454:
	s_mov_b64 s[12:13], -1
                                        ; implicit-def: $vgpr5
.LBB537_1455:
	s_andn2_b64 vcc, exec, s[12:13]
	s_cbranch_vccnz .LBB537_1457
; %bb.1456:
	global_load_ushort v5, v[10:11], off
	s_movk_i32 s12, 0x7fff
	s_waitcnt vmcnt(0)
	v_cvt_f32_u32_e32 v5, v5
	v_bfe_u32 v7, v5, 16, 1
	v_add3_u32 v5, v5, v7, s12
	v_lshrrev_b32_e32 v5, 16, v5
.LBB537_1457:
	s_mov_b64 s[12:13], 0
.LBB537_1458:
	s_andn2_b64 vcc, exec, s[12:13]
	s_cbranch_vccnz .LBB537_1466
; %bb.1459:
	global_load_ubyte v5, v[10:11], off
	s_movk_i32 s12, 0x7f
	s_waitcnt vmcnt(0)
	v_cmp_lt_i16_e32 vcc, s12, v5
	s_mov_b64 s[12:13], 0
	s_and_saveexec_b64 s[14:15], vcc
	s_xor_b64 s[14:15], exec, s[14:15]
	s_cbranch_execz .LBB537_1480
; %bb.1460:
	s_movk_i32 s12, 0x80
	v_cmp_eq_u16_e32 vcc, s12, v5
	s_mov_b64 s[12:13], -1
	s_and_saveexec_b64 s[16:17], vcc
; %bb.1461:
	s_xor_b64 s[12:13], exec, -1
; %bb.1462:
	s_or_b64 exec, exec, s[16:17]
	s_and_b64 s[12:13], s[12:13], exec
	s_or_saveexec_b64 s[14:15], s[14:15]
	v_mov_b32_e32 v7, 0x7f800001
	s_xor_b64 exec, exec, s[14:15]
	s_cbranch_execnz .LBB537_1481
.LBB537_1463:
	s_or_b64 exec, exec, s[14:15]
	s_and_saveexec_b64 s[14:15], s[12:13]
	s_cbranch_execz .LBB537_1465
.LBB537_1464:
	v_lshlrev_b32_e32 v7, 24, v5
	v_and_b32_e32 v5, 0xffff, v5
	v_and_b32_e32 v9, 7, v5
	v_ffbh_u32_e32 v13, v9
	v_min_u32_e32 v13, 32, v13
	v_subrev_u32_e32 v14, 28, v13
	v_bfe_u32 v12, v5, 3, 4
	v_lshlrev_b32_e32 v5, v14, v5
	v_sub_u32_e32 v13, 29, v13
	v_and_b32_e32 v5, 7, v5
	v_cmp_eq_u32_e32 vcc, 0, v12
	v_and_b32_e32 v7, 0x80000000, v7
	s_nop 0
	v_cndmask_b32_e32 v12, v12, v13, vcc
	v_cndmask_b32_e32 v5, v9, v5, vcc
	v_mov_b32_e32 v9, 0x3b800000
	v_lshlrev_b32_e32 v5, 20, v5
	v_lshl_add_u32 v9, v12, 23, v9
	v_or3_b32 v7, v7, v9, v5
.LBB537_1465:
	s_or_b64 exec, exec, s[14:15]
	v_bfe_u32 v5, v7, 16, 1
	s_movk_i32 s12, 0x7fff
	v_add3_u32 v5, v7, v5, s12
	v_cmp_o_f32_e32 vcc, v7, v7
	v_mov_b32_e32 v7, 0x7fc0
	s_nop 0
	v_cndmask_b32_sdwa v5, v7, v5, vcc dst_sel:DWORD dst_unused:UNUSED_PAD src0_sel:DWORD src1_sel:WORD_1
.LBB537_1466:
	s_mov_b64 s[12:13], -1
.LBB537_1467:
	s_mov_b64 s[14:15], 0
.LBB537_1468:
	s_and_b64 vcc, exec, s[14:15]
	s_cbranch_vccz .LBB537_1501
; %bb.1469:
	s_cmp_gt_i32 s20, 22
	s_cbranch_scc0 .LBB537_1479
; %bb.1470:
	s_cmp_lt_i32 s20, 24
	s_cbranch_scc1 .LBB537_1482
; %bb.1471:
	s_cmp_gt_i32 s20, 24
	s_cbranch_scc0 .LBB537_1483
; %bb.1472:
	global_load_ubyte v5, v[10:11], off
	s_movk_i32 s10, 0x7f
	s_waitcnt vmcnt(0)
	v_cmp_lt_i16_e32 vcc, s10, v5
	s_mov_b64 s[10:11], 0
	s_and_saveexec_b64 s[12:13], vcc
	s_xor_b64 s[12:13], exec, s[12:13]
	s_cbranch_execz .LBB537_1495
; %bb.1473:
	s_movk_i32 s10, 0x80
	v_cmp_eq_u16_e32 vcc, s10, v5
	s_mov_b64 s[10:11], -1
	s_and_saveexec_b64 s[14:15], vcc
; %bb.1474:
	s_xor_b64 s[10:11], exec, -1
; %bb.1475:
	s_or_b64 exec, exec, s[14:15]
	s_and_b64 s[10:11], s[10:11], exec
	s_or_saveexec_b64 s[12:13], s[12:13]
	v_mov_b32_e32 v7, 0x7f800001
	s_xor_b64 exec, exec, s[12:13]
	s_cbranch_execnz .LBB537_1496
.LBB537_1476:
	s_or_b64 exec, exec, s[12:13]
	s_and_saveexec_b64 s[12:13], s[10:11]
	s_cbranch_execz .LBB537_1478
.LBB537_1477:
	v_lshlrev_b32_e32 v7, 24, v5
	v_and_b32_e32 v5, 0xffff, v5
	v_and_b32_e32 v9, 3, v5
	v_ffbh_u32_e32 v13, v9
	v_min_u32_e32 v13, 32, v13
	v_subrev_u32_e32 v14, 29, v13
	v_bfe_u32 v12, v5, 2, 5
	v_lshlrev_b32_e32 v5, v14, v5
	v_sub_u32_e32 v13, 30, v13
	v_and_b32_e32 v5, 3, v5
	v_cmp_eq_u32_e32 vcc, 0, v12
	v_and_b32_e32 v7, 0x80000000, v7
	s_nop 0
	v_cndmask_b32_e32 v12, v12, v13, vcc
	v_cndmask_b32_e32 v5, v9, v5, vcc
	v_mov_b32_e32 v9, 0x37800000
	v_lshlrev_b32_e32 v5, 21, v5
	v_lshl_add_u32 v9, v12, 23, v9
	v_or3_b32 v7, v7, v9, v5
.LBB537_1478:
	s_or_b64 exec, exec, s[12:13]
	v_bfe_u32 v5, v7, 16, 1
	s_movk_i32 s10, 0x7fff
	v_add3_u32 v5, v7, v5, s10
	v_cmp_o_f32_e32 vcc, v7, v7
	v_mov_b32_e32 v7, 0x7fc0
	s_mov_b64 s[10:11], 0
	v_cndmask_b32_sdwa v5, v7, v5, vcc dst_sel:DWORD dst_unused:UNUSED_PAD src0_sel:DWORD src1_sel:WORD_1
	s_branch .LBB537_1484
.LBB537_1479:
	s_mov_b64 s[10:11], -1
                                        ; implicit-def: $vgpr5
	s_branch .LBB537_1490
.LBB537_1480:
	s_or_saveexec_b64 s[14:15], s[14:15]
	v_mov_b32_e32 v7, 0x7f800001
	s_xor_b64 exec, exec, s[14:15]
	s_cbranch_execz .LBB537_1463
.LBB537_1481:
	v_cmp_ne_u16_e32 vcc, 0, v5
	s_andn2_b64 s[12:13], s[12:13], exec
	s_and_b64 s[16:17], vcc, exec
	v_mov_b32_e32 v7, 0
	s_or_b64 s[12:13], s[12:13], s[16:17]
	s_or_b64 exec, exec, s[14:15]
	s_and_saveexec_b64 s[14:15], s[12:13]
	s_cbranch_execnz .LBB537_1464
	s_branch .LBB537_1465
.LBB537_1482:
	s_mov_b64 s[10:11], -1
                                        ; implicit-def: $vgpr5
	s_branch .LBB537_1487
.LBB537_1483:
	s_mov_b64 s[10:11], -1
                                        ; implicit-def: $vgpr5
.LBB537_1484:
	s_and_b64 vcc, exec, s[10:11]
	s_cbranch_vccz .LBB537_1486
; %bb.1485:
	global_load_ubyte v5, v[10:11], off
	s_mov_b32 s10, 0x7f800000
	s_brev_b32 s11, 1
	s_movk_i32 s12, 0x7fff
	s_waitcnt vmcnt(0)
	v_lshlrev_b32_e32 v5, 24, v5
	v_and_b32_e32 v7, 0x7f000000, v5
	v_ffbh_u32_e32 v9, v7
	v_min_u32_e32 v9, 32, v9
	v_sub_u32_e64 v9, v9, 4 clamp
	v_lshlrev_b32_e32 v13, v9, v7
	v_lshlrev_b32_e32 v9, 23, v9
	v_lshrrev_b32_e32 v13, 4, v13
	v_add_u32_e32 v12, 0x1000000, v7
	v_sub_u32_e32 v9, v13, v9
	v_ashrrev_i32_e32 v12, 8, v12
	v_add_u32_e32 v9, 0x3c000000, v9
	v_and_or_b32 v9, v12, s10, v9
	v_cmp_ne_u32_e32 vcc, 0, v7
	s_nop 1
	v_cndmask_b32_e32 v7, 0, v9, vcc
	v_and_or_b32 v5, v5, s11, v7
	v_bfe_u32 v7, v7, 16, 1
	v_add3_u32 v7, v5, v7, s12
	v_cmp_o_f32_e32 vcc, v5, v5
	v_mov_b32_e32 v5, 0x7fc0
	s_nop 0
	v_cndmask_b32_sdwa v5, v5, v7, vcc dst_sel:DWORD dst_unused:UNUSED_PAD src0_sel:DWORD src1_sel:WORD_1
.LBB537_1486:
	s_mov_b64 s[10:11], 0
.LBB537_1487:
	s_andn2_b64 vcc, exec, s[10:11]
	s_cbranch_vccnz .LBB537_1489
; %bb.1488:
	global_load_ubyte v5, v[10:11], off
	s_movk_i32 s10, 0x7f00
	s_brev_b32 s11, 16
	s_brev_b32 s12, 1
	s_movk_i32 s13, 0x7fff
	s_waitcnt vmcnt(0)
	v_lshlrev_b16_e32 v7, 8, v5
	v_lshlrev_b32_e32 v5, 25, v5
	v_lshrrev_b32_e32 v9, 4, v5
	v_and_or_b32 v12, v7, s10, 0.5
	v_or_b32_e32 v9, 0x70000000, v9
	v_add_f32_e32 v12, -0.5, v12
	v_mul_f32_e32 v9, 0x7800000, v9
	v_cmp_gt_u32_e32 vcc, s11, v5
	v_bfe_i32 v7, v7, 0, 16
	s_nop 0
	v_cndmask_b32_e32 v5, v9, v12, vcc
	v_and_or_b32 v7, v7, s12, v5
	v_bfe_u32 v5, v5, 16, 1
	v_add3_u32 v5, v7, v5, s13
	v_cmp_o_f32_e32 vcc, v7, v7
	v_mov_b32_e32 v7, 0x7fc0
	s_nop 0
	v_cndmask_b32_sdwa v5, v7, v5, vcc dst_sel:DWORD dst_unused:UNUSED_PAD src0_sel:DWORD src1_sel:WORD_1
.LBB537_1489:
	s_mov_b64 s[10:11], 0
	s_mov_b64 s[12:13], -1
.LBB537_1490:
	s_andn2_b64 vcc, exec, s[10:11]
	s_mov_b64 s[10:11], 0
	s_cbranch_vccnz .LBB537_1501
; %bb.1491:
	s_cmp_gt_i32 s20, 14
	s_cbranch_scc0 .LBB537_1494
; %bb.1492:
	s_cmp_eq_u32 s20, 15
	s_cbranch_scc0 .LBB537_1497
; %bb.1493:
	global_load_ushort v5, v[10:11], off
	s_mov_b64 s[8:9], 0
	s_mov_b64 s[12:13], -1
	s_branch .LBB537_1498
.LBB537_1494:
	s_mov_b64 s[14:15], -1
                                        ; implicit-def: $vgpr5
	s_branch .LBB537_1499
.LBB537_1495:
	s_or_saveexec_b64 s[12:13], s[12:13]
	v_mov_b32_e32 v7, 0x7f800001
	s_xor_b64 exec, exec, s[12:13]
	s_cbranch_execz .LBB537_1476
.LBB537_1496:
	v_cmp_ne_u16_e32 vcc, 0, v5
	s_andn2_b64 s[10:11], s[10:11], exec
	s_and_b64 s[14:15], vcc, exec
	v_mov_b32_e32 v7, 0
	s_or_b64 s[10:11], s[10:11], s[14:15]
	s_or_b64 exec, exec, s[12:13]
	s_and_saveexec_b64 s[12:13], s[10:11]
	s_cbranch_execnz .LBB537_1477
	s_branch .LBB537_1478
.LBB537_1497:
	s_mov_b64 s[8:9], -1
                                        ; implicit-def: $vgpr5
.LBB537_1498:
	s_mov_b64 s[14:15], 0
.LBB537_1499:
	s_and_b64 vcc, exec, s[14:15]
	s_cbranch_vccz .LBB537_1501
; %bb.1500:
	s_cmp_lg_u32 s20, 11
	s_mov_b64 s[10:11], -1
	s_cselect_b64 s[8:9], -1, 0
.LBB537_1501:
	s_and_b64 vcc, exec, s[8:9]
	s_cbranch_vccnz .LBB537_1568
; %bb.1502:
	s_andn2_b64 vcc, exec, s[10:11]
	s_cbranch_vccnz .LBB537_1504
.LBB537_1503:
	global_load_ubyte v5, v[10:11], off
	s_mov_b64 s[12:13], -1
	s_waitcnt vmcnt(0)
	v_cmp_ne_u16_e32 vcc, 0, v5
	s_nop 1
	v_cndmask_b32_e64 v5, 0, 1.0, vcc
	v_lshrrev_b32_e32 v5, 16, v5
.LBB537_1504:
	s_branch .LBB537_1432
.LBB537_1505:
	s_cmp_lt_i32 s20, 5
	s_cbranch_scc1 .LBB537_1510
; %bb.1506:
	s_cmp_lt_i32 s20, 8
	s_cbranch_scc1 .LBB537_1511
; %bb.1507:
	;; [unrolled: 3-line block ×3, first 2 shown]
	s_cmp_gt_i32 s20, 9
	s_cbranch_scc0 .LBB537_1513
; %bb.1509:
	global_load_dwordx2 v[12:13], v[10:11], off
	s_movk_i32 s8, 0x7fff
	s_waitcnt vmcnt(1)
	v_mov_b32_e32 v5, 0x7fc0
	s_waitcnt vmcnt(0)
	v_cvt_f32_f64_e32 v7, v[12:13]
	v_bfe_u32 v9, v7, 16, 1
	v_cmp_o_f32_e32 vcc, v7, v7
	v_add3_u32 v7, v7, v9, s8
	s_mov_b64 s[8:9], 0
	v_cndmask_b32_sdwa v5, v5, v7, vcc dst_sel:DWORD dst_unused:UNUSED_PAD src0_sel:DWORD src1_sel:WORD_1
	s_branch .LBB537_1514
.LBB537_1510:
	s_mov_b64 s[8:9], -1
                                        ; implicit-def: $vgpr5
	s_branch .LBB537_1532
.LBB537_1511:
	s_mov_b64 s[8:9], -1
                                        ; implicit-def: $vgpr5
	s_branch .LBB537_1520
.LBB537_1512:
	s_mov_b64 s[8:9], -1
                                        ; implicit-def: $vgpr5
	s_branch .LBB537_1517
.LBB537_1513:
	s_mov_b64 s[8:9], -1
                                        ; implicit-def: $vgpr5
.LBB537_1514:
	s_andn2_b64 vcc, exec, s[8:9]
	s_cbranch_vccnz .LBB537_1516
; %bb.1515:
	global_load_dword v5, v[10:11], off
	s_movk_i32 s8, 0x7fff
	v_mov_b32_e32 v7, 0x7fc0
	s_waitcnt vmcnt(0)
	v_bfe_u32 v9, v5, 16, 1
	v_cmp_o_f32_e32 vcc, v5, v5
	v_add3_u32 v5, v5, v9, s8
	s_nop 0
	v_cndmask_b32_sdwa v5, v7, v5, vcc dst_sel:DWORD dst_unused:UNUSED_PAD src0_sel:DWORD src1_sel:WORD_1
.LBB537_1516:
	s_mov_b64 s[8:9], 0
.LBB537_1517:
	s_andn2_b64 vcc, exec, s[8:9]
	s_cbranch_vccnz .LBB537_1519
; %bb.1518:
	global_load_dword v5, v[10:11], off
	s_movk_i32 s8, 0x7fff
	v_mov_b32_e32 v9, 0x7fc0
	s_waitcnt vmcnt(0)
	v_cvt_f32_f16_e32 v7, v5
	v_cmp_o_f16_e32 vcc, v5, v5
	v_bfe_u32 v5, v7, 16, 1
	v_add3_u32 v5, v7, v5, s8
	v_cndmask_b32_sdwa v5, v9, v5, vcc dst_sel:DWORD dst_unused:UNUSED_PAD src0_sel:DWORD src1_sel:WORD_1
.LBB537_1519:
	s_mov_b64 s[8:9], 0
.LBB537_1520:
	s_andn2_b64 vcc, exec, s[8:9]
	s_cbranch_vccnz .LBB537_1531
; %bb.1521:
	s_cmp_lt_i32 s20, 6
	s_cbranch_scc1 .LBB537_1524
; %bb.1522:
	s_cmp_gt_i32 s20, 6
	s_cbranch_scc0 .LBB537_1525
; %bb.1523:
	global_load_dwordx2 v[12:13], v[10:11], off
	s_movk_i32 s8, 0x7fff
	s_waitcnt vmcnt(1)
	v_mov_b32_e32 v5, 0x7fc0
	s_waitcnt vmcnt(0)
	v_cvt_f32_f64_e32 v7, v[12:13]
	v_bfe_u32 v9, v7, 16, 1
	v_cmp_o_f32_e32 vcc, v7, v7
	v_add3_u32 v7, v7, v9, s8
	s_mov_b64 s[8:9], 0
	v_cndmask_b32_sdwa v5, v5, v7, vcc dst_sel:DWORD dst_unused:UNUSED_PAD src0_sel:DWORD src1_sel:WORD_1
	s_branch .LBB537_1526
.LBB537_1524:
	s_mov_b64 s[8:9], -1
                                        ; implicit-def: $vgpr5
	s_branch .LBB537_1529
.LBB537_1525:
	s_mov_b64 s[8:9], -1
                                        ; implicit-def: $vgpr5
.LBB537_1526:
	s_andn2_b64 vcc, exec, s[8:9]
	s_cbranch_vccnz .LBB537_1528
; %bb.1527:
	global_load_dword v5, v[10:11], off
	s_movk_i32 s8, 0x7fff
	v_mov_b32_e32 v7, 0x7fc0
	s_waitcnt vmcnt(0)
	v_bfe_u32 v9, v5, 16, 1
	v_cmp_o_f32_e32 vcc, v5, v5
	v_add3_u32 v5, v5, v9, s8
	s_nop 0
	v_cndmask_b32_sdwa v5, v7, v5, vcc dst_sel:DWORD dst_unused:UNUSED_PAD src0_sel:DWORD src1_sel:WORD_1
.LBB537_1528:
	s_mov_b64 s[8:9], 0
.LBB537_1529:
	s_andn2_b64 vcc, exec, s[8:9]
	s_cbranch_vccnz .LBB537_1531
; %bb.1530:
	global_load_ushort v5, v[10:11], off
	s_movk_i32 s8, 0x7fff
	v_mov_b32_e32 v9, 0x7fc0
	s_waitcnt vmcnt(0)
	v_cvt_f32_f16_e32 v7, v5
	v_cmp_o_f16_e32 vcc, v5, v5
	v_bfe_u32 v5, v7, 16, 1
	v_add3_u32 v5, v7, v5, s8
	v_cndmask_b32_sdwa v5, v9, v5, vcc dst_sel:DWORD dst_unused:UNUSED_PAD src0_sel:DWORD src1_sel:WORD_1
.LBB537_1531:
	s_mov_b64 s[8:9], 0
.LBB537_1532:
	s_andn2_b64 vcc, exec, s[8:9]
	s_cbranch_vccnz .LBB537_1552
; %bb.1533:
	s_cmp_lt_i32 s20, 2
	s_cbranch_scc1 .LBB537_1537
; %bb.1534:
	s_cmp_lt_i32 s20, 3
	s_cbranch_scc1 .LBB537_1538
; %bb.1535:
	s_cmp_gt_i32 s20, 3
	s_cbranch_scc0 .LBB537_1539
; %bb.1536:
	global_load_dwordx2 v[12:13], v[10:11], off
	s_movk_i32 s8, 0x7fff
	s_waitcnt vmcnt(0)
	v_xor_b32_e32 v7, v12, v13
	v_ffbh_i32_e32 v5, v13
	v_ashrrev_i32_e32 v7, 31, v7
	v_add_u32_e32 v5, -1, v5
	v_add_u32_e32 v7, 32, v7
	v_min_u32_e32 v5, v5, v7
	v_lshlrev_b64 v[12:13], v5, v[12:13]
	v_min_u32_e32 v7, 1, v12
	v_or_b32_e32 v7, v13, v7
	v_cvt_f32_i32_e32 v7, v7
	v_sub_u32_e32 v5, 32, v5
	v_ldexp_f32 v5, v7, v5
	v_bfe_u32 v7, v5, 16, 1
	v_add3_u32 v5, v5, v7, s8
	v_lshrrev_b32_e32 v5, 16, v5
	s_mov_b64 s[8:9], 0
	s_branch .LBB537_1540
.LBB537_1537:
	s_mov_b64 s[8:9], -1
                                        ; implicit-def: $vgpr5
	s_branch .LBB537_1546
.LBB537_1538:
	s_mov_b64 s[8:9], -1
                                        ; implicit-def: $vgpr5
	s_branch .LBB537_1543
.LBB537_1539:
	s_mov_b64 s[8:9], -1
                                        ; implicit-def: $vgpr5
.LBB537_1540:
	s_andn2_b64 vcc, exec, s[8:9]
	s_cbranch_vccnz .LBB537_1542
; %bb.1541:
	global_load_dword v5, v[10:11], off
	s_movk_i32 s8, 0x7fff
	s_waitcnt vmcnt(0)
	v_cvt_f32_i32_e32 v5, v5
	v_bfe_u32 v7, v5, 16, 1
	v_add3_u32 v5, v5, v7, s8
	v_lshrrev_b32_e32 v5, 16, v5
.LBB537_1542:
	s_mov_b64 s[8:9], 0
.LBB537_1543:
	s_andn2_b64 vcc, exec, s[8:9]
	s_cbranch_vccnz .LBB537_1545
; %bb.1544:
	global_load_sshort v5, v[10:11], off
	s_movk_i32 s8, 0x7fff
	s_waitcnt vmcnt(0)
	v_cvt_f32_i32_e32 v5, v5
	v_bfe_u32 v7, v5, 16, 1
	v_add3_u32 v5, v5, v7, s8
	v_lshrrev_b32_e32 v5, 16, v5
.LBB537_1545:
	s_mov_b64 s[8:9], 0
.LBB537_1546:
	s_andn2_b64 vcc, exec, s[8:9]
	s_cbranch_vccnz .LBB537_1552
; %bb.1547:
	s_cmp_gt_i32 s20, 0
	s_cbranch_scc0 .LBB537_1549
; %bb.1548:
	global_load_sbyte v5, v[10:11], off
	s_movk_i32 s8, 0x7fff
	s_waitcnt vmcnt(0)
	v_cvt_f32_i32_e32 v5, v5
	v_bfe_u32 v7, v5, 16, 1
	v_add3_u32 v5, v5, v7, s8
	v_lshrrev_b32_e32 v5, 16, v5
	s_mov_b64 s[8:9], 0
	s_branch .LBB537_1550
.LBB537_1549:
	s_mov_b64 s[8:9], -1
                                        ; implicit-def: $vgpr5
.LBB537_1550:
	s_andn2_b64 vcc, exec, s[8:9]
	s_cbranch_vccnz .LBB537_1552
; %bb.1551:
	global_load_ubyte v5, v[10:11], off
	s_movk_i32 s8, 0x7fff
	s_waitcnt vmcnt(0)
	v_cvt_f32_ubyte0_e32 v5, v5
	v_bfe_u32 v7, v5, 16, 1
	v_add3_u32 v5, v5, v7, s8
	v_lshrrev_b32_e32 v5, 16, v5
.LBB537_1552:
.LBB537_1553:
	s_waitcnt vmcnt(0)
	v_lshlrev_b32_e32 v7, 16, v5
	v_cmp_o_f32_e32 vcc, v7, v7
	v_mov_b32_e32 v10, s19
	s_and_saveexec_b64 s[8:9], vcc
	s_cbranch_execz .LBB537_1557
; %bb.1554:
	s_load_dword s10, s[0:1], 0x160
	s_mov_b32 s11, 0x7f800000
	v_cmp_neq_f32_e32 vcc, s11, v7
	s_waitcnt lgkmcnt(0)
	s_lshr_b32 s10, s10, 16
	v_mov_b32_e32 v10, s10
	s_and_saveexec_b64 s[10:11], vcc
	s_cbranch_execz .LBB537_1556
; %bb.1555:
	s_load_dword s12, s[34:35], 0x15c
	s_mov_b32 s13, 0xff800000
	v_cmp_eq_f32_e32 vcc, s13, v7
	s_waitcnt lgkmcnt(0)
	v_mov_b32_e32 v9, s12
	v_cndmask_b32_e32 v10, v5, v9, vcc
.LBB537_1556:
	s_or_b64 exec, exec, s[10:11]
.LBB537_1557:
	s_or_b64 exec, exec, s[8:9]
	v_mov_b32_e32 v9, 0
	s_cmp_lt_i32 s20, 11
	v_lshl_add_u64 v[8:9], s[6:7], 0, v[8:9]
	s_cbranch_scc1 .LBB537_1564
; %bb.1558:
	s_cmp_gt_i32 s20, 25
	s_mov_b64 s[8:9], 0
	s_cbranch_scc0 .LBB537_1565
; %bb.1559:
	s_cmp_gt_i32 s20, 28
	s_cbranch_scc0 .LBB537_1566
; %bb.1560:
	s_cmp_gt_i32 s20, 43
	;; [unrolled: 3-line block ×3, first 2 shown]
	s_cbranch_scc0 .LBB537_1569
; %bb.1562:
	s_cmp_eq_u32 s20, 46
	s_mov_b64 s[12:13], 0
	s_cbranch_scc0 .LBB537_1570
; %bb.1563:
	global_load_dword v5, v[8:9], off
	s_mov_b64 s[6:7], 0
	s_mov_b64 s[10:11], -1
	s_branch .LBB537_1571
.LBB537_1564:
	s_mov_b64 s[6:7], -1
	s_mov_b64 s[10:11], 0
                                        ; implicit-def: $vgpr5
	s_branch .LBB537_1637
.LBB537_1565:
	s_mov_b64 s[12:13], -1
	s_mov_b64 s[10:11], 0
	s_mov_b64 s[6:7], 0
                                        ; implicit-def: $vgpr5
	s_branch .LBB537_1600
.LBB537_1566:
	s_mov_b64 s[12:13], -1
	s_mov_b64 s[10:11], 0
	s_mov_b64 s[6:7], 0
                                        ; implicit-def: $vgpr5
	s_branch .LBB537_1581
.LBB537_1567:
	s_mov_b64 s[12:13], -1
	s_mov_b64 s[10:11], 0
	s_mov_b64 s[6:7], 0
                                        ; implicit-def: $vgpr5
	s_branch .LBB537_1576
.LBB537_1568:
	s_trap 2
	s_or_b64 s[2:3], s[2:3], exec
	s_cbranch_execz .LBB537_1503
	s_branch .LBB537_1504
.LBB537_1569:
	s_mov_b64 s[12:13], -1
	s_mov_b64 s[10:11], 0
	s_mov_b64 s[6:7], 0
                                        ; implicit-def: $vgpr5
	s_branch .LBB537_1571
.LBB537_1570:
	s_mov_b64 s[6:7], -1
                                        ; implicit-def: $vgpr5
	s_mov_b64 s[10:11], 0
.LBB537_1571:
	s_and_b64 vcc, exec, s[12:13]
	s_cbranch_vccz .LBB537_1575
; %bb.1572:
	s_cmp_eq_u32 s20, 44
	s_cbranch_scc0 .LBB537_1574
; %bb.1573:
	global_load_ubyte v5, v[8:9], off
	s_movk_i32 s10, 0xff
	v_mov_b32_e32 v7, 0x7f800001
	v_mov_b32_e32 v11, 0x400000
	;; [unrolled: 1-line block ×3, first 2 shown]
	s_mov_b64 s[6:7], 0
	s_waitcnt vmcnt(0)
	v_lshlrev_b32_e32 v13, 23, v5
	v_cmp_ne_u32_e32 vcc, s10, v5
	s_mov_b64 s[10:11], -1
	s_nop 0
	v_cndmask_b32_e32 v7, v7, v13, vcc
	v_cmp_ne_u32_e32 vcc, 0, v5
	s_nop 1
	v_cndmask_b32_e32 v5, v11, v7, vcc
	v_add_u32_e32 v7, 0x7fff, v5
	v_cmp_o_f32_e32 vcc, v5, v5
	s_nop 1
	v_cndmask_b32_sdwa v5, v12, v7, vcc dst_sel:DWORD dst_unused:UNUSED_PAD src0_sel:DWORD src1_sel:WORD_1
	s_branch .LBB537_1575
.LBB537_1574:
	s_mov_b64 s[6:7], -1
                                        ; implicit-def: $vgpr5
.LBB537_1575:
	s_mov_b64 s[12:13], 0
.LBB537_1576:
	s_and_b64 vcc, exec, s[12:13]
	s_cbranch_vccz .LBB537_1580
; %bb.1577:
	s_cmp_eq_u32 s20, 29
	s_cbranch_scc0 .LBB537_1579
; %bb.1578:
	global_load_dwordx2 v[12:13], v[8:9], off
	s_movk_i32 s10, 0x7fff
	s_mov_b64 s[6:7], 0
	s_mov_b64 s[12:13], 0
	s_waitcnt vmcnt(0)
	v_ffbh_u32_e32 v5, v13
	v_min_u32_e32 v5, 32, v5
	v_lshlrev_b64 v[12:13], v5, v[12:13]
	v_min_u32_e32 v7, 1, v12
	v_or_b32_e32 v7, v13, v7
	v_cvt_f32_u32_e32 v7, v7
	v_sub_u32_e32 v5, 32, v5
	v_ldexp_f32 v5, v7, v5
	v_bfe_u32 v7, v5, 16, 1
	v_add3_u32 v5, v5, v7, s10
	v_lshrrev_b32_e32 v5, 16, v5
	s_mov_b64 s[10:11], -1
	s_branch .LBB537_1581
.LBB537_1579:
	s_mov_b64 s[6:7], -1
                                        ; implicit-def: $vgpr5
.LBB537_1580:
	s_mov_b64 s[12:13], 0
.LBB537_1581:
	s_and_b64 vcc, exec, s[12:13]
	s_cbranch_vccz .LBB537_1599
; %bb.1582:
	s_cmp_lt_i32 s20, 27
	s_cbranch_scc1 .LBB537_1585
; %bb.1583:
	s_cmp_gt_i32 s20, 27
	s_cbranch_scc0 .LBB537_1586
; %bb.1584:
	global_load_dword v5, v[8:9], off
	s_movk_i32 s10, 0x7fff
	s_waitcnt vmcnt(0)
	v_cvt_f32_u32_e32 v5, v5
	v_bfe_u32 v7, v5, 16, 1
	v_add3_u32 v5, v5, v7, s10
	v_lshrrev_b32_e32 v5, 16, v5
	s_mov_b64 s[10:11], 0
	s_branch .LBB537_1587
.LBB537_1585:
	s_mov_b64 s[10:11], -1
                                        ; implicit-def: $vgpr5
	s_branch .LBB537_1590
.LBB537_1586:
	s_mov_b64 s[10:11], -1
                                        ; implicit-def: $vgpr5
.LBB537_1587:
	s_andn2_b64 vcc, exec, s[10:11]
	s_cbranch_vccnz .LBB537_1589
; %bb.1588:
	global_load_ushort v5, v[8:9], off
	s_movk_i32 s10, 0x7fff
	s_waitcnt vmcnt(0)
	v_cvt_f32_u32_e32 v5, v5
	v_bfe_u32 v7, v5, 16, 1
	v_add3_u32 v5, v5, v7, s10
	v_lshrrev_b32_e32 v5, 16, v5
.LBB537_1589:
	s_mov_b64 s[10:11], 0
.LBB537_1590:
	s_andn2_b64 vcc, exec, s[10:11]
	s_cbranch_vccnz .LBB537_1598
; %bb.1591:
	global_load_ubyte v5, v[8:9], off
	s_movk_i32 s10, 0x7f
	s_waitcnt vmcnt(0)
	v_cmp_lt_i16_e32 vcc, s10, v5
	s_mov_b64 s[10:11], 0
	s_and_saveexec_b64 s[12:13], vcc
	s_xor_b64 s[12:13], exec, s[12:13]
	s_cbranch_execz .LBB537_1612
; %bb.1592:
	s_movk_i32 s10, 0x80
	v_cmp_eq_u16_e32 vcc, s10, v5
	s_mov_b64 s[10:11], -1
	s_and_saveexec_b64 s[14:15], vcc
; %bb.1593:
	s_xor_b64 s[10:11], exec, -1
; %bb.1594:
	s_or_b64 exec, exec, s[14:15]
	s_and_b64 s[10:11], s[10:11], exec
	s_or_saveexec_b64 s[12:13], s[12:13]
	v_mov_b32_e32 v7, 0x7f800001
	s_xor_b64 exec, exec, s[12:13]
	s_cbranch_execnz .LBB537_1613
.LBB537_1595:
	s_or_b64 exec, exec, s[12:13]
	s_and_saveexec_b64 s[12:13], s[10:11]
	s_cbranch_execz .LBB537_1597
.LBB537_1596:
	v_lshlrev_b32_e32 v7, 24, v5
	v_and_b32_e32 v5, 0xffff, v5
	v_and_b32_e32 v11, 7, v5
	v_ffbh_u32_e32 v13, v11
	v_min_u32_e32 v13, 32, v13
	v_subrev_u32_e32 v14, 28, v13
	v_bfe_u32 v12, v5, 3, 4
	v_lshlrev_b32_e32 v5, v14, v5
	v_sub_u32_e32 v13, 29, v13
	v_and_b32_e32 v5, 7, v5
	v_cmp_eq_u32_e32 vcc, 0, v12
	v_and_b32_e32 v7, 0x80000000, v7
	s_nop 0
	v_cndmask_b32_e32 v12, v12, v13, vcc
	v_cndmask_b32_e32 v5, v11, v5, vcc
	v_mov_b32_e32 v11, 0x3b800000
	v_lshlrev_b32_e32 v5, 20, v5
	v_lshl_add_u32 v11, v12, 23, v11
	v_or3_b32 v7, v7, v11, v5
.LBB537_1597:
	s_or_b64 exec, exec, s[12:13]
	v_bfe_u32 v5, v7, 16, 1
	s_movk_i32 s10, 0x7fff
	v_add3_u32 v5, v7, v5, s10
	v_cmp_o_f32_e32 vcc, v7, v7
	v_mov_b32_e32 v7, 0x7fc0
	s_nop 0
	v_cndmask_b32_sdwa v5, v7, v5, vcc dst_sel:DWORD dst_unused:UNUSED_PAD src0_sel:DWORD src1_sel:WORD_1
.LBB537_1598:
	s_mov_b64 s[10:11], -1
.LBB537_1599:
	s_mov_b64 s[12:13], 0
.LBB537_1600:
	s_and_b64 vcc, exec, s[12:13]
	s_cbranch_vccz .LBB537_1633
; %bb.1601:
	s_cmp_gt_i32 s20, 22
	s_cbranch_scc0 .LBB537_1611
; %bb.1602:
	s_cmp_lt_i32 s20, 24
	s_cbranch_scc1 .LBB537_1614
; %bb.1603:
	s_cmp_gt_i32 s20, 24
	s_cbranch_scc0 .LBB537_1615
; %bb.1604:
	global_load_ubyte v5, v[8:9], off
	s_movk_i32 s8, 0x7f
	s_waitcnt vmcnt(0)
	v_cmp_lt_i16_e32 vcc, s8, v5
	s_mov_b64 s[8:9], 0
	s_and_saveexec_b64 s[10:11], vcc
	s_xor_b64 s[10:11], exec, s[10:11]
	s_cbranch_execz .LBB537_1627
; %bb.1605:
	s_movk_i32 s8, 0x80
	v_cmp_eq_u16_e32 vcc, s8, v5
	s_mov_b64 s[8:9], -1
	s_and_saveexec_b64 s[12:13], vcc
; %bb.1606:
	s_xor_b64 s[8:9], exec, -1
; %bb.1607:
	s_or_b64 exec, exec, s[12:13]
	s_and_b64 s[8:9], s[8:9], exec
	s_or_saveexec_b64 s[10:11], s[10:11]
	v_mov_b32_e32 v7, 0x7f800001
	s_xor_b64 exec, exec, s[10:11]
	s_cbranch_execnz .LBB537_1628
.LBB537_1608:
	s_or_b64 exec, exec, s[10:11]
	s_and_saveexec_b64 s[10:11], s[8:9]
	s_cbranch_execz .LBB537_1610
.LBB537_1609:
	v_lshlrev_b32_e32 v7, 24, v5
	v_and_b32_e32 v5, 0xffff, v5
	v_and_b32_e32 v11, 3, v5
	v_ffbh_u32_e32 v13, v11
	v_min_u32_e32 v13, 32, v13
	v_subrev_u32_e32 v14, 29, v13
	v_bfe_u32 v12, v5, 2, 5
	v_lshlrev_b32_e32 v5, v14, v5
	v_sub_u32_e32 v13, 30, v13
	v_and_b32_e32 v5, 3, v5
	v_cmp_eq_u32_e32 vcc, 0, v12
	v_and_b32_e32 v7, 0x80000000, v7
	s_nop 0
	v_cndmask_b32_e32 v12, v12, v13, vcc
	v_cndmask_b32_e32 v5, v11, v5, vcc
	v_mov_b32_e32 v11, 0x37800000
	v_lshlrev_b32_e32 v5, 21, v5
	v_lshl_add_u32 v11, v12, 23, v11
	v_or3_b32 v7, v7, v11, v5
.LBB537_1610:
	s_or_b64 exec, exec, s[10:11]
	v_bfe_u32 v5, v7, 16, 1
	s_movk_i32 s8, 0x7fff
	v_add3_u32 v5, v7, v5, s8
	v_cmp_o_f32_e32 vcc, v7, v7
	v_mov_b32_e32 v7, 0x7fc0
	s_mov_b64 s[8:9], 0
	v_cndmask_b32_sdwa v5, v7, v5, vcc dst_sel:DWORD dst_unused:UNUSED_PAD src0_sel:DWORD src1_sel:WORD_1
	s_branch .LBB537_1616
.LBB537_1611:
	s_mov_b64 s[8:9], -1
                                        ; implicit-def: $vgpr5
	s_branch .LBB537_1622
.LBB537_1612:
	s_or_saveexec_b64 s[12:13], s[12:13]
	v_mov_b32_e32 v7, 0x7f800001
	s_xor_b64 exec, exec, s[12:13]
	s_cbranch_execz .LBB537_1595
.LBB537_1613:
	v_cmp_ne_u16_e32 vcc, 0, v5
	s_andn2_b64 s[10:11], s[10:11], exec
	s_and_b64 s[14:15], vcc, exec
	v_mov_b32_e32 v7, 0
	s_or_b64 s[10:11], s[10:11], s[14:15]
	s_or_b64 exec, exec, s[12:13]
	s_and_saveexec_b64 s[12:13], s[10:11]
	s_cbranch_execnz .LBB537_1596
	s_branch .LBB537_1597
.LBB537_1614:
	s_mov_b64 s[8:9], -1
                                        ; implicit-def: $vgpr5
	s_branch .LBB537_1619
.LBB537_1615:
	s_mov_b64 s[8:9], -1
                                        ; implicit-def: $vgpr5
.LBB537_1616:
	s_and_b64 vcc, exec, s[8:9]
	s_cbranch_vccz .LBB537_1618
; %bb.1617:
	global_load_ubyte v5, v[8:9], off
	s_mov_b32 s8, 0x7f800000
	s_brev_b32 s9, 1
	s_movk_i32 s10, 0x7fff
	s_waitcnt vmcnt(0)
	v_lshlrev_b32_e32 v5, 24, v5
	v_and_b32_e32 v7, 0x7f000000, v5
	v_ffbh_u32_e32 v11, v7
	v_min_u32_e32 v11, 32, v11
	v_sub_u32_e64 v11, v11, 4 clamp
	v_lshlrev_b32_e32 v13, v11, v7
	v_lshlrev_b32_e32 v11, 23, v11
	v_lshrrev_b32_e32 v13, 4, v13
	v_add_u32_e32 v12, 0x1000000, v7
	v_sub_u32_e32 v11, v13, v11
	v_ashrrev_i32_e32 v12, 8, v12
	v_add_u32_e32 v11, 0x3c000000, v11
	v_and_or_b32 v11, v12, s8, v11
	v_cmp_ne_u32_e32 vcc, 0, v7
	s_nop 1
	v_cndmask_b32_e32 v7, 0, v11, vcc
	v_and_or_b32 v5, v5, s9, v7
	v_bfe_u32 v7, v7, 16, 1
	v_add3_u32 v7, v5, v7, s10
	v_cmp_o_f32_e32 vcc, v5, v5
	v_mov_b32_e32 v5, 0x7fc0
	s_nop 0
	v_cndmask_b32_sdwa v5, v5, v7, vcc dst_sel:DWORD dst_unused:UNUSED_PAD src0_sel:DWORD src1_sel:WORD_1
.LBB537_1618:
	s_mov_b64 s[8:9], 0
.LBB537_1619:
	s_andn2_b64 vcc, exec, s[8:9]
	s_cbranch_vccnz .LBB537_1621
; %bb.1620:
	global_load_ubyte v5, v[8:9], off
	s_movk_i32 s8, 0x7f00
	s_brev_b32 s9, 16
	s_brev_b32 s10, 1
	s_movk_i32 s11, 0x7fff
	s_waitcnt vmcnt(0)
	v_lshlrev_b16_e32 v7, 8, v5
	v_lshlrev_b32_e32 v5, 25, v5
	v_lshrrev_b32_e32 v11, 4, v5
	v_and_or_b32 v12, v7, s8, 0.5
	v_or_b32_e32 v11, 0x70000000, v11
	v_add_f32_e32 v12, -0.5, v12
	v_mul_f32_e32 v11, 0x7800000, v11
	v_cmp_gt_u32_e32 vcc, s9, v5
	v_bfe_i32 v7, v7, 0, 16
	s_nop 0
	v_cndmask_b32_e32 v5, v11, v12, vcc
	v_and_or_b32 v7, v7, s10, v5
	v_bfe_u32 v5, v5, 16, 1
	v_add3_u32 v5, v7, v5, s11
	v_cmp_o_f32_e32 vcc, v7, v7
	v_mov_b32_e32 v7, 0x7fc0
	s_nop 0
	v_cndmask_b32_sdwa v5, v7, v5, vcc dst_sel:DWORD dst_unused:UNUSED_PAD src0_sel:DWORD src1_sel:WORD_1
.LBB537_1621:
	s_mov_b64 s[8:9], 0
	s_mov_b64 s[10:11], -1
.LBB537_1622:
	s_andn2_b64 vcc, exec, s[8:9]
	s_mov_b64 s[8:9], 0
	s_cbranch_vccnz .LBB537_1633
; %bb.1623:
	s_cmp_gt_i32 s20, 14
	s_cbranch_scc0 .LBB537_1626
; %bb.1624:
	s_cmp_eq_u32 s20, 15
	s_cbranch_scc0 .LBB537_1629
; %bb.1625:
	global_load_ushort v5, v[8:9], off
	s_mov_b64 s[6:7], 0
	s_mov_b64 s[10:11], -1
	s_branch .LBB537_1630
.LBB537_1626:
	s_mov_b64 s[12:13], -1
                                        ; implicit-def: $vgpr5
	s_branch .LBB537_1631
.LBB537_1627:
	s_or_saveexec_b64 s[10:11], s[10:11]
	v_mov_b32_e32 v7, 0x7f800001
	s_xor_b64 exec, exec, s[10:11]
	s_cbranch_execz .LBB537_1608
.LBB537_1628:
	v_cmp_ne_u16_e32 vcc, 0, v5
	s_andn2_b64 s[8:9], s[8:9], exec
	s_and_b64 s[12:13], vcc, exec
	v_mov_b32_e32 v7, 0
	s_or_b64 s[8:9], s[8:9], s[12:13]
	s_or_b64 exec, exec, s[10:11]
	s_and_saveexec_b64 s[10:11], s[8:9]
	s_cbranch_execnz .LBB537_1609
	s_branch .LBB537_1610
.LBB537_1629:
	s_mov_b64 s[6:7], -1
                                        ; implicit-def: $vgpr5
.LBB537_1630:
	s_mov_b64 s[12:13], 0
.LBB537_1631:
	s_and_b64 vcc, exec, s[12:13]
	s_cbranch_vccz .LBB537_1633
; %bb.1632:
	s_cmp_lg_u32 s20, 11
	s_mov_b64 s[8:9], -1
	s_cselect_b64 s[6:7], -1, 0
.LBB537_1633:
	s_and_b64 vcc, exec, s[6:7]
	s_cbranch_vccnz .LBB537_2172
; %bb.1634:
	s_andn2_b64 vcc, exec, s[8:9]
	s_cbranch_vccnz .LBB537_1636
.LBB537_1635:
	global_load_ubyte v5, v[8:9], off
	s_mov_b64 s[10:11], -1
	s_waitcnt vmcnt(0)
	v_cmp_ne_u16_e32 vcc, 0, v5
	s_nop 1
	v_cndmask_b32_e64 v5, 0, 1.0, vcc
	v_lshrrev_b32_e32 v5, 16, v5
.LBB537_1636:
	s_mov_b64 s[6:7], 0
.LBB537_1637:
	s_and_b64 vcc, exec, s[6:7]
	s_cbranch_vccz .LBB537_1686
; %bb.1638:
	s_cmp_lt_i32 s20, 5
	s_cbranch_scc1 .LBB537_1643
; %bb.1639:
	s_cmp_lt_i32 s20, 8
	s_cbranch_scc1 .LBB537_1644
	;; [unrolled: 3-line block ×3, first 2 shown]
; %bb.1641:
	s_cmp_gt_i32 s20, 9
	s_cbranch_scc0 .LBB537_1646
; %bb.1642:
	global_load_dwordx2 v[12:13], v[8:9], off
	s_movk_i32 s6, 0x7fff
	s_waitcnt vmcnt(1)
	v_mov_b32_e32 v5, 0x7fc0
	s_waitcnt vmcnt(0)
	v_cvt_f32_f64_e32 v7, v[12:13]
	v_bfe_u32 v11, v7, 16, 1
	v_cmp_o_f32_e32 vcc, v7, v7
	v_add3_u32 v7, v7, v11, s6
	s_mov_b64 s[6:7], 0
	v_cndmask_b32_sdwa v5, v5, v7, vcc dst_sel:DWORD dst_unused:UNUSED_PAD src0_sel:DWORD src1_sel:WORD_1
	s_branch .LBB537_1647
.LBB537_1643:
	s_mov_b64 s[6:7], -1
                                        ; implicit-def: $vgpr5
	s_branch .LBB537_1665
.LBB537_1644:
	s_mov_b64 s[6:7], -1
                                        ; implicit-def: $vgpr5
	s_branch .LBB537_1653
.LBB537_1645:
	s_mov_b64 s[6:7], -1
                                        ; implicit-def: $vgpr5
	s_branch .LBB537_1650
.LBB537_1646:
	s_mov_b64 s[6:7], -1
                                        ; implicit-def: $vgpr5
.LBB537_1647:
	s_andn2_b64 vcc, exec, s[6:7]
	s_cbranch_vccnz .LBB537_1649
; %bb.1648:
	global_load_dword v5, v[8:9], off
	s_movk_i32 s6, 0x7fff
	v_mov_b32_e32 v7, 0x7fc0
	s_waitcnt vmcnt(0)
	v_bfe_u32 v11, v5, 16, 1
	v_cmp_o_f32_e32 vcc, v5, v5
	v_add3_u32 v5, v5, v11, s6
	s_nop 0
	v_cndmask_b32_sdwa v5, v7, v5, vcc dst_sel:DWORD dst_unused:UNUSED_PAD src0_sel:DWORD src1_sel:WORD_1
.LBB537_1649:
	s_mov_b64 s[6:7], 0
.LBB537_1650:
	s_andn2_b64 vcc, exec, s[6:7]
	s_cbranch_vccnz .LBB537_1652
; %bb.1651:
	global_load_dword v5, v[8:9], off
	s_movk_i32 s6, 0x7fff
	v_mov_b32_e32 v11, 0x7fc0
	s_waitcnt vmcnt(0)
	v_cvt_f32_f16_e32 v7, v5
	v_cmp_o_f16_e32 vcc, v5, v5
	v_bfe_u32 v5, v7, 16, 1
	v_add3_u32 v5, v7, v5, s6
	v_cndmask_b32_sdwa v5, v11, v5, vcc dst_sel:DWORD dst_unused:UNUSED_PAD src0_sel:DWORD src1_sel:WORD_1
.LBB537_1652:
	s_mov_b64 s[6:7], 0
.LBB537_1653:
	s_andn2_b64 vcc, exec, s[6:7]
	s_cbranch_vccnz .LBB537_1664
; %bb.1654:
	s_cmp_lt_i32 s20, 6
	s_cbranch_scc1 .LBB537_1657
; %bb.1655:
	s_cmp_gt_i32 s20, 6
	s_cbranch_scc0 .LBB537_1658
; %bb.1656:
	global_load_dwordx2 v[12:13], v[8:9], off
	s_movk_i32 s6, 0x7fff
	s_waitcnt vmcnt(1)
	v_mov_b32_e32 v5, 0x7fc0
	s_waitcnt vmcnt(0)
	v_cvt_f32_f64_e32 v7, v[12:13]
	v_bfe_u32 v11, v7, 16, 1
	v_cmp_o_f32_e32 vcc, v7, v7
	v_add3_u32 v7, v7, v11, s6
	s_mov_b64 s[6:7], 0
	v_cndmask_b32_sdwa v5, v5, v7, vcc dst_sel:DWORD dst_unused:UNUSED_PAD src0_sel:DWORD src1_sel:WORD_1
	s_branch .LBB537_1659
.LBB537_1657:
	s_mov_b64 s[6:7], -1
                                        ; implicit-def: $vgpr5
	s_branch .LBB537_1662
.LBB537_1658:
	s_mov_b64 s[6:7], -1
                                        ; implicit-def: $vgpr5
.LBB537_1659:
	s_andn2_b64 vcc, exec, s[6:7]
	s_cbranch_vccnz .LBB537_1661
; %bb.1660:
	global_load_dword v5, v[8:9], off
	s_movk_i32 s6, 0x7fff
	v_mov_b32_e32 v7, 0x7fc0
	s_waitcnt vmcnt(0)
	v_bfe_u32 v11, v5, 16, 1
	v_cmp_o_f32_e32 vcc, v5, v5
	v_add3_u32 v5, v5, v11, s6
	s_nop 0
	v_cndmask_b32_sdwa v5, v7, v5, vcc dst_sel:DWORD dst_unused:UNUSED_PAD src0_sel:DWORD src1_sel:WORD_1
.LBB537_1661:
	s_mov_b64 s[6:7], 0
.LBB537_1662:
	s_andn2_b64 vcc, exec, s[6:7]
	s_cbranch_vccnz .LBB537_1664
; %bb.1663:
	global_load_ushort v5, v[8:9], off
	s_movk_i32 s6, 0x7fff
	v_mov_b32_e32 v11, 0x7fc0
	s_waitcnt vmcnt(0)
	v_cvt_f32_f16_e32 v7, v5
	v_cmp_o_f16_e32 vcc, v5, v5
	v_bfe_u32 v5, v7, 16, 1
	v_add3_u32 v5, v7, v5, s6
	v_cndmask_b32_sdwa v5, v11, v5, vcc dst_sel:DWORD dst_unused:UNUSED_PAD src0_sel:DWORD src1_sel:WORD_1
.LBB537_1664:
	s_mov_b64 s[6:7], 0
.LBB537_1665:
	s_andn2_b64 vcc, exec, s[6:7]
	s_cbranch_vccnz .LBB537_1685
; %bb.1666:
	s_cmp_lt_i32 s20, 2
	s_cbranch_scc1 .LBB537_1670
; %bb.1667:
	s_cmp_lt_i32 s20, 3
	s_cbranch_scc1 .LBB537_1671
; %bb.1668:
	s_cmp_gt_i32 s20, 3
	s_cbranch_scc0 .LBB537_1672
; %bb.1669:
	global_load_dwordx2 v[12:13], v[8:9], off
	s_movk_i32 s6, 0x7fff
	s_waitcnt vmcnt(0)
	v_xor_b32_e32 v7, v12, v13
	v_ffbh_i32_e32 v5, v13
	v_ashrrev_i32_e32 v7, 31, v7
	v_add_u32_e32 v5, -1, v5
	v_add_u32_e32 v7, 32, v7
	v_min_u32_e32 v5, v5, v7
	v_lshlrev_b64 v[12:13], v5, v[12:13]
	v_min_u32_e32 v7, 1, v12
	v_or_b32_e32 v7, v13, v7
	v_cvt_f32_i32_e32 v7, v7
	v_sub_u32_e32 v5, 32, v5
	v_ldexp_f32 v5, v7, v5
	v_bfe_u32 v7, v5, 16, 1
	v_add3_u32 v5, v5, v7, s6
	v_lshrrev_b32_e32 v5, 16, v5
	s_mov_b64 s[6:7], 0
	s_branch .LBB537_1673
.LBB537_1670:
	s_mov_b64 s[6:7], -1
                                        ; implicit-def: $vgpr5
	s_branch .LBB537_1679
.LBB537_1671:
	s_mov_b64 s[6:7], -1
                                        ; implicit-def: $vgpr5
	s_branch .LBB537_1676
.LBB537_1672:
	s_mov_b64 s[6:7], -1
                                        ; implicit-def: $vgpr5
.LBB537_1673:
	s_andn2_b64 vcc, exec, s[6:7]
	s_cbranch_vccnz .LBB537_1675
; %bb.1674:
	global_load_dword v5, v[8:9], off
	s_movk_i32 s6, 0x7fff
	s_waitcnt vmcnt(0)
	v_cvt_f32_i32_e32 v5, v5
	v_bfe_u32 v7, v5, 16, 1
	v_add3_u32 v5, v5, v7, s6
	v_lshrrev_b32_e32 v5, 16, v5
.LBB537_1675:
	s_mov_b64 s[6:7], 0
.LBB537_1676:
	s_andn2_b64 vcc, exec, s[6:7]
	s_cbranch_vccnz .LBB537_1678
; %bb.1677:
	global_load_sshort v5, v[8:9], off
	s_movk_i32 s6, 0x7fff
	s_waitcnt vmcnt(0)
	v_cvt_f32_i32_e32 v5, v5
	v_bfe_u32 v7, v5, 16, 1
	v_add3_u32 v5, v5, v7, s6
	v_lshrrev_b32_e32 v5, 16, v5
.LBB537_1678:
	s_mov_b64 s[6:7], 0
.LBB537_1679:
	s_andn2_b64 vcc, exec, s[6:7]
	s_cbranch_vccnz .LBB537_1685
; %bb.1680:
	s_cmp_gt_i32 s20, 0
	s_cbranch_scc0 .LBB537_1682
; %bb.1681:
	global_load_sbyte v5, v[8:9], off
	s_movk_i32 s6, 0x7fff
	s_waitcnt vmcnt(0)
	v_cvt_f32_i32_e32 v5, v5
	v_bfe_u32 v7, v5, 16, 1
	v_add3_u32 v5, v5, v7, s6
	v_lshrrev_b32_e32 v5, 16, v5
	s_mov_b64 s[6:7], 0
	s_branch .LBB537_1683
.LBB537_1682:
	s_mov_b64 s[6:7], -1
                                        ; implicit-def: $vgpr5
.LBB537_1683:
	s_andn2_b64 vcc, exec, s[6:7]
	s_cbranch_vccnz .LBB537_1685
; %bb.1684:
	global_load_ubyte v5, v[8:9], off
	s_movk_i32 s6, 0x7fff
	s_waitcnt vmcnt(0)
	v_cvt_f32_ubyte0_e32 v5, v5
	v_bfe_u32 v7, v5, 16, 1
	v_add3_u32 v5, v5, v7, s6
	v_lshrrev_b32_e32 v5, 16, v5
.LBB537_1685:
	s_mov_b64 s[10:11], -1
.LBB537_1686:
	s_andn2_b64 vcc, exec, s[10:11]
	s_cbranch_vccnz .LBB537_1769
; %bb.1687:
	s_waitcnt vmcnt(0)
	v_lshlrev_b32_e32 v7, 16, v5
	v_cmp_o_f32_e32 vcc, v7, v7
	v_mov_b32_e32 v9, s19
	s_and_saveexec_b64 s[6:7], vcc
	s_cbranch_execz .LBB537_1691
; %bb.1688:
	s_load_dword s0, s[0:1], 0x160
	s_mov_b32 s1, 0x7f800000
	v_cmp_neq_f32_e32 vcc, s1, v7
	s_waitcnt lgkmcnt(0)
	s_lshr_b32 s0, s0, 16
	v_mov_b32_e32 v9, s0
	s_and_saveexec_b64 s[0:1], vcc
	s_cbranch_execz .LBB537_1690
; %bb.1689:
	s_load_dword s8, s[34:35], 0x15c
	s_mov_b32 s9, 0xff800000
	v_cmp_eq_f32_e32 vcc, s9, v7
	s_waitcnt lgkmcnt(0)
	v_mov_b32_e32 v8, s8
	v_cndmask_b32_e32 v9, v5, v8, vcc
.LBB537_1690:
	s_or_b64 exec, exec, s[0:1]
.LBB537_1691:
	s_or_b64 exec, exec, s[6:7]
	s_bfe_u32 s14, s18, 0x80010
	v_mov_b32_e32 v7, 0
	s_cmp_lt_i32 s14, 11
	v_lshl_add_u64 v[6:7], s[4:5], 0, v[6:7]
	s_cbranch_scc1 .LBB537_1815
; %bb.1692:
	s_and_b32 s15, 0xffff, s14
	s_mov_b64 s[10:11], -1
	s_mov_b64 s[6:7], 0
	s_cmp_gt_i32 s15, 25
	s_mov_b64 s[8:9], 0
	s_mov_b64 s[0:1], 0
	s_cbranch_scc0 .LBB537_1725
; %bb.1693:
	s_cmp_gt_i32 s15, 28
	s_cbranch_scc0 .LBB537_1708
; %bb.1694:
	s_cmp_gt_i32 s15, 43
	;; [unrolled: 3-line block ×3, first 2 shown]
	s_cbranch_scc0 .LBB537_1698
; %bb.1696:
	s_mov_b64 s[0:1], -1
	s_mov_b64 s[10:11], 0
	s_cmp_eq_u32 s15, 46
	s_cbranch_scc0 .LBB537_1698
; %bb.1697:
	v_and_b32_e32 v5, 0xffff, v1
	global_store_dword v[6:7], v5, off
	s_mov_b64 s[0:1], 0
	s_mov_b64 s[8:9], -1
.LBB537_1698:
	s_and_b64 vcc, exec, s[10:11]
	s_cbranch_vccz .LBB537_1703
; %bb.1699:
	s_cmp_eq_u32 s15, 44
	s_mov_b64 s[0:1], -1
	s_cbranch_scc0 .LBB537_1703
; %bb.1700:
	v_and_b32_e32 v8, 0xffff, v1
	v_bfe_u32 v5, v8, 7, 8
	s_movk_i32 s0, 0xff
	v_cmp_ne_u32_e32 vcc, s0, v5
	v_mov_b32_e32 v11, 0xff
	s_and_saveexec_b64 s[8:9], vcc
	s_cbranch_execz .LBB537_1702
; %bb.1701:
	v_lshlrev_b32_e32 v12, 16, v8
	s_mov_b32 s0, 0x3f0000
	v_lshrrev_b32_e32 v11, 7, v8
	v_and_b32_e32 v8, 64, v8
	v_and_or_b32 v5, v12, s0, v5
	v_cmp_ne_u32_e32 vcc, 0, v8
	v_cmp_ne_u32_e64 s[0:1], 0, v5
	s_and_b64 s[0:1], vcc, s[0:1]
	s_nop 0
	v_cndmask_b32_e64 v5, 0, 1, s[0:1]
	v_add_u32_e32 v11, v11, v5
.LBB537_1702:
	s_or_b64 exec, exec, s[8:9]
	s_mov_b64 s[0:1], 0
	s_mov_b64 s[8:9], -1
	global_store_byte v[6:7], v11, off
.LBB537_1703:
	s_mov_b64 s[10:11], 0
.LBB537_1704:
	s_and_b64 vcc, exec, s[10:11]
	s_cbranch_vccz .LBB537_1707
; %bb.1705:
	s_cmp_eq_u32 s15, 29
	s_mov_b64 s[0:1], -1
	s_cbranch_scc0 .LBB537_1707
; %bb.1706:
	v_lshlrev_b32_e32 v5, 16, v1
	v_trunc_f32_e32 v5, v5
	v_mul_f32_e32 v8, 0x2f800000, v5
	v_floor_f32_e32 v8, v8
	v_fmamk_f32 v5, v8, 0xcf800000, v5
	v_cvt_u32_f32_e32 v13, v8
	v_cvt_u32_f32_e32 v12, v5
	s_mov_b64 s[0:1], 0
	s_mov_b64 s[8:9], -1
	global_store_dwordx2 v[6:7], v[12:13], off
.LBB537_1707:
	s_mov_b64 s[10:11], 0
.LBB537_1708:
	s_and_b64 vcc, exec, s[10:11]
	s_cbranch_vccz .LBB537_1724
; %bb.1709:
	s_cmp_lt_i32 s15, 27
	s_mov_b64 s[8:9], -1
	s_cbranch_scc1 .LBB537_1715
; %bb.1710:
	s_cmp_gt_i32 s15, 27
	s_cbranch_scc0 .LBB537_1712
; %bb.1711:
	v_lshlrev_b32_e32 v5, 16, v1
	v_cvt_u32_f32_e32 v5, v5
	s_mov_b64 s[8:9], 0
	global_store_dword v[6:7], v5, off
.LBB537_1712:
	s_andn2_b64 vcc, exec, s[8:9]
	s_cbranch_vccnz .LBB537_1714
; %bb.1713:
	v_lshlrev_b32_e32 v5, 16, v1
	v_cvt_u32_f32_e32 v5, v5
	global_store_short v[6:7], v5, off
.LBB537_1714:
	s_mov_b64 s[8:9], 0
.LBB537_1715:
	s_andn2_b64 vcc, exec, s[8:9]
	s_cbranch_vccnz .LBB537_1723
; %bb.1716:
	v_lshlrev_b32_e32 v11, 16, v1
	v_and_b32_e32 v8, 0x7fffffff, v11
	s_mov_b32 s8, 0x43800000
	v_cmp_gt_u32_e32 vcc, s8, v8
	v_mov_b32_e32 v12, 0x80
	s_and_saveexec_b64 s[8:9], vcc
	s_cbranch_execz .LBB537_1722
; %bb.1717:
	s_mov_b32 s10, 0x3bffffff
	v_and_b32_e32 v5, 0xffff, v1
	v_cmp_lt_u32_e32 vcc, s10, v8
	s_mov_b64 s[10:11], 0
                                        ; implicit-def: $vgpr8
	s_and_saveexec_b64 s[12:13], vcc
	s_xor_b64 s[12:13], exec, s[12:13]
	s_cbranch_execz .LBB537_2173
; %bb.1718:
	v_bfe_u32 v8, v5, 4, 1
	s_mov_b32 s16, 0x487ffff
	v_add3_u32 v8, v11, v8, s16
	s_mov_b64 s[10:11], exec
	v_lshrrev_b32_e32 v8, 20, v8
                                        ; implicit-def: $vgpr11
	s_andn2_saveexec_b64 s[12:13], s[12:13]
	s_cbranch_execnz .LBB537_2174
.LBB537_1719:
	s_or_b64 exec, exec, s[12:13]
	v_mov_b32_e32 v12, 0
	s_and_saveexec_b64 s[12:13], s[10:11]
.LBB537_1720:
	v_lshrrev_b32_e32 v5, 8, v5
	s_movk_i32 s10, 0x80
	v_and_or_b32 v12, v5, s10, v8
.LBB537_1721:
	s_or_b64 exec, exec, s[12:13]
.LBB537_1722:
	s_or_b64 exec, exec, s[8:9]
	global_store_byte v[6:7], v12, off
.LBB537_1723:
	s_mov_b64 s[8:9], -1
.LBB537_1724:
	s_mov_b64 s[10:11], 0
.LBB537_1725:
	s_and_b64 vcc, exec, s[10:11]
	s_cbranch_vccz .LBB537_1765
; %bb.1726:
	s_cmp_gt_i32 s15, 22
	s_mov_b64 s[6:7], -1
	s_cbranch_scc0 .LBB537_1758
; %bb.1727:
	s_cmp_lt_i32 s15, 24
	s_cbranch_scc1 .LBB537_1747
; %bb.1728:
	s_cmp_gt_i32 s15, 24
	s_cbranch_scc0 .LBB537_1736
; %bb.1729:
	v_lshlrev_b32_e32 v11, 16, v1
	v_and_b32_e32 v8, 0x7fffffff, v11
	s_mov_b32 s6, 0x47800000
	v_cmp_gt_u32_e32 vcc, s6, v8
	v_mov_b32_e32 v12, 0x80
	s_and_saveexec_b64 s[6:7], vcc
	s_cbranch_execz .LBB537_1735
; %bb.1730:
	s_mov_b32 s8, 0x37ffffff
	v_and_b32_e32 v5, 0xffff, v1
	v_cmp_lt_u32_e32 vcc, s8, v8
	s_mov_b64 s[8:9], 0
                                        ; implicit-def: $vgpr8
	s_and_saveexec_b64 s[10:11], vcc
	s_xor_b64 s[10:11], exec, s[10:11]
	s_cbranch_execz .LBB537_2176
; %bb.1731:
	v_bfe_u32 v8, v5, 5, 1
	s_mov_b32 s12, 0x88fffff
	v_add3_u32 v8, v11, v8, s12
	s_mov_b64 s[8:9], exec
	v_lshrrev_b32_e32 v8, 21, v8
                                        ; implicit-def: $vgpr11
	s_andn2_saveexec_b64 s[10:11], s[10:11]
	s_cbranch_execnz .LBB537_2177
.LBB537_1732:
	s_or_b64 exec, exec, s[10:11]
	v_mov_b32_e32 v12, 0
	s_and_saveexec_b64 s[10:11], s[8:9]
.LBB537_1733:
	v_lshrrev_b32_e32 v5, 8, v5
	s_movk_i32 s8, 0x80
	v_and_or_b32 v12, v5, s8, v8
.LBB537_1734:
	s_or_b64 exec, exec, s[10:11]
.LBB537_1735:
	s_or_b64 exec, exec, s[6:7]
	s_mov_b64 s[6:7], 0
	global_store_byte v[6:7], v12, off
.LBB537_1736:
	s_and_b64 vcc, exec, s[6:7]
	s_cbranch_vccz .LBB537_1746
; %bb.1737:
	v_lshlrev_b32_e32 v11, 16, v1
	v_and_b32_e32 v12, 0x7fffffff, v11
	s_mov_b32 s6, 0x43f00000
	v_and_b32_e32 v5, 0xffff, v1
	v_cmp_gt_u32_e32 vcc, s6, v12
                                        ; implicit-def: $vgpr8
	s_and_saveexec_b64 s[6:7], vcc
	s_xor_b64 s[6:7], exec, s[6:7]
	s_cbranch_execz .LBB537_1743
; %bb.1738:
	s_mov_b32 s8, 0x3c7fffff
	v_cmp_lt_u32_e32 vcc, s8, v12
                                        ; implicit-def: $vgpr8
	s_and_saveexec_b64 s[8:9], vcc
	s_xor_b64 s[8:9], exec, s[8:9]
; %bb.1739:
	v_bfe_u32 v8, v5, 4, 1
	s_mov_b32 s10, 0x407ffff
	v_add3_u32 v8, v11, v8, s10
	v_lshrrev_b32_e32 v11, 20, v8
	v_and_b32_e32 v8, 0xff00000, v8
	s_mov_b32 s10, 0x7f00000
	v_mov_b32_e32 v12, 0x7e
	v_cmp_ne_u32_e32 vcc, s10, v8
	s_nop 1
	v_cndmask_b32_e32 v8, v12, v11, vcc
                                        ; implicit-def: $vgpr11
; %bb.1740:
	s_andn2_saveexec_b64 s[8:9], s[8:9]
; %bb.1741:
	s_mov_b32 s10, 0x46800000
	v_add_f32_e64 v8, |v11|, s10
; %bb.1742:
	s_or_b64 exec, exec, s[8:9]
                                        ; implicit-def: $vgpr12
.LBB537_1743:
	s_andn2_saveexec_b64 s[6:7], s[6:7]
; %bb.1744:
	s_mov_b32 s8, 0x7f800000
	v_mov_b32_e32 v8, 0x7e
	v_mov_b32_e32 v11, 0x7f
	v_cmp_lt_u32_e32 vcc, s8, v12
	s_nop 1
	v_cndmask_b32_e32 v8, v8, v11, vcc
; %bb.1745:
	s_or_b64 exec, exec, s[6:7]
	v_lshrrev_b32_e32 v5, 8, v5
	s_movk_i32 s6, 0x80
	v_and_or_b32 v5, v5, s6, v8
	global_store_byte v[6:7], v5, off
.LBB537_1746:
	s_mov_b64 s[6:7], 0
.LBB537_1747:
	s_andn2_b64 vcc, exec, s[6:7]
	s_cbranch_vccnz .LBB537_1757
; %bb.1748:
	v_lshlrev_b32_e32 v11, 16, v1
	v_and_b32_e32 v12, 0x7fffffff, v11
	s_mov_b32 s6, 0x47800000
	v_and_b32_e32 v5, 0xffff, v1
	v_cmp_gt_u32_e32 vcc, s6, v12
                                        ; implicit-def: $vgpr8
	s_and_saveexec_b64 s[6:7], vcc
	s_xor_b64 s[6:7], exec, s[6:7]
	s_cbranch_execz .LBB537_1754
; %bb.1749:
	s_mov_b32 s8, 0x387fffff
	v_cmp_lt_u32_e32 vcc, s8, v12
                                        ; implicit-def: $vgpr8
	s_and_saveexec_b64 s[8:9], vcc
	s_xor_b64 s[8:9], exec, s[8:9]
; %bb.1750:
	v_bfe_u32 v8, v5, 5, 1
	s_mov_b32 s10, 0x80fffff
	v_add3_u32 v8, v11, v8, s10
	v_lshrrev_b32_e32 v8, 21, v8
                                        ; implicit-def: $vgpr11
; %bb.1751:
	s_andn2_saveexec_b64 s[8:9], s[8:9]
; %bb.1752:
	s_mov_b32 s10, 0x43000000
	v_add_f32_e64 v8, |v11|, s10
; %bb.1753:
	s_or_b64 exec, exec, s[8:9]
                                        ; implicit-def: $vgpr12
.LBB537_1754:
	s_andn2_saveexec_b64 s[6:7], s[6:7]
; %bb.1755:
	s_mov_b32 s8, 0x7f800000
	v_mov_b32_e32 v8, 0x7c
	v_mov_b32_e32 v11, 0x7f
	v_cmp_lt_u32_e32 vcc, s8, v12
	s_nop 1
	v_cndmask_b32_e32 v8, v8, v11, vcc
; %bb.1756:
	s_or_b64 exec, exec, s[6:7]
	v_lshrrev_b32_e32 v5, 8, v5
	s_movk_i32 s6, 0x80
	v_and_or_b32 v5, v5, s6, v8
	global_store_byte v[6:7], v5, off
.LBB537_1757:
	s_mov_b64 s[6:7], 0
	s_mov_b64 s[8:9], -1
.LBB537_1758:
	s_andn2_b64 vcc, exec, s[6:7]
	s_mov_b64 s[6:7], 0
	s_cbranch_vccnz .LBB537_1765
; %bb.1759:
	s_cmp_gt_i32 s15, 14
	s_mov_b64 s[10:11], -1
	s_cbranch_scc0 .LBB537_1763
; %bb.1760:
	s_cmp_eq_u32 s15, 15
	s_mov_b64 s[0:1], -1
	s_cbranch_scc0 .LBB537_1762
; %bb.1761:
	global_store_short v[6:7], v1, off
	s_mov_b64 s[0:1], 0
	s_mov_b64 s[8:9], -1
.LBB537_1762:
	s_mov_b64 s[10:11], 0
.LBB537_1763:
	s_and_b64 vcc, exec, s[10:11]
	s_cbranch_vccz .LBB537_1765
; %bb.1764:
	s_cmp_lg_u32 s15, 11
	s_mov_b64 s[6:7], -1
	s_cselect_b64 s[0:1], -1, 0
.LBB537_1765:
	s_and_b64 vcc, exec, s[0:1]
	s_cbranch_vccnz .LBB537_2175
; %bb.1766:
	s_andn2_b64 vcc, exec, s[6:7]
	s_cbranch_vccnz .LBB537_1768
.LBB537_1767:
	v_and_b32_e32 v5, 0x7fff, v1
	v_cmp_ne_u16_e32 vcc, 0, v5
	s_mov_b64 s[8:9], -1
	s_nop 0
	v_cndmask_b32_e64 v5, 0, 1, vcc
	global_store_byte v[6:7], v5, off
.LBB537_1768:
	s_mov_b64 s[0:1], 0
	s_branch .LBB537_1816
.LBB537_1769:
	s_mov_b64 s[0:1], 0
                                        ; implicit-def: $vgpr0_vgpr1
                                        ; implicit-def: $sgpr14
                                        ; implicit-def: $vgpr9
.LBB537_1770:
	s_mov_b64 s[4:5], 0
.LBB537_1771:
	s_and_b64 s[6:7], s[0:1], exec
	s_andn2_b64 s[0:1], s[24:25], exec
	s_and_b64 s[2:3], s[2:3], exec
	s_and_b64 s[40:41], s[4:5], exec
	s_or_b64 s[24:25], s[0:1], s[2:3]
.LBB537_1772:
	s_or_b64 exec, exec, s[26:27]
	s_and_saveexec_b64 s[0:1], s[24:25]
	s_cbranch_execz .LBB537_1775
; %bb.1773:
	; divergent unreachable
	s_or_b64 exec, exec, s[0:1]
	s_and_saveexec_b64 s[0:1], s[40:41]
	s_xor_b64 s[0:1], exec, s[0:1]
	s_cbranch_execnz .LBB537_1776
.LBB537_1774:
	s_or_b64 exec, exec, s[0:1]
	s_and_saveexec_b64 s[0:1], s[6:7]
	s_cbranch_execnz .LBB537_1777
	s_branch .LBB537_1814
.LBB537_1775:
	s_or_b64 exec, exec, s[0:1]
	s_and_saveexec_b64 s[0:1], s[40:41]
	s_xor_b64 s[0:1], exec, s[0:1]
	s_cbranch_execz .LBB537_1774
.LBB537_1776:
	v_and_b32_e32 v2, 0x7fff, v9
	v_cmp_ne_u16_e32 vcc, 0, v2
	s_nop 1
	v_cndmask_b32_e64 v2, 0, 1, vcc
	s_waitcnt vmcnt(0)
	global_store_byte v[0:1], v2, off
	s_or_b64 exec, exec, s[0:1]
	s_and_saveexec_b64 s[0:1], s[6:7]
	s_cbranch_execz .LBB537_1814
.LBB537_1777:
	s_sext_i32_i16 s2, s14
	s_cmp_lt_i32 s2, 5
	s_mov_b64 s[0:1], -1
	s_cbranch_scc1 .LBB537_1798
; %bb.1778:
	s_cmp_lt_i32 s2, 8
	s_cbranch_scc1 .LBB537_1788
; %bb.1779:
	s_cmp_lt_i32 s2, 9
	s_cbranch_scc1 .LBB537_1785
; %bb.1780:
	s_cmp_gt_i32 s2, 9
	s_cbranch_scc0 .LBB537_1782
; %bb.1781:
	v_lshlrev_b32_e32 v2, 16, v9
	v_mov_b32_e32 v4, 0
	s_waitcnt vmcnt(0)
	v_cvt_f64_f32_e32 v[2:3], v2
	v_mov_b32_e32 v5, v4
	global_store_dwordx4 v[0:1], v[2:5], off
	s_mov_b64 s[0:1], 0
.LBB537_1782:
	s_andn2_b64 vcc, exec, s[0:1]
	s_cbranch_vccnz .LBB537_1784
; %bb.1783:
	v_lshlrev_b32_e32 v2, 16, v9
	s_waitcnt vmcnt(0)
	v_mov_b32_e32 v3, 0
	global_store_dwordx2 v[0:1], v[2:3], off
.LBB537_1784:
	s_mov_b64 s[0:1], 0
.LBB537_1785:
	s_andn2_b64 vcc, exec, s[0:1]
	s_cbranch_vccnz .LBB537_1787
; %bb.1786:
	v_lshlrev_b32_e32 v2, 16, v9
	v_cvt_f16_f32_e32 v2, v2
	s_waitcnt vmcnt(0)
	global_store_dword v[0:1], v2, off
.LBB537_1787:
	s_mov_b64 s[0:1], 0
.LBB537_1788:
	s_andn2_b64 vcc, exec, s[0:1]
	s_cbranch_vccnz .LBB537_1797
; %bb.1789:
	s_sext_i32_i16 s2, s14
	s_cmp_lt_i32 s2, 6
	s_mov_b64 s[0:1], -1
	s_cbranch_scc1 .LBB537_1795
; %bb.1790:
	s_cmp_gt_i32 s2, 6
	s_cbranch_scc0 .LBB537_1792
; %bb.1791:
	v_lshlrev_b32_e32 v2, 16, v9
	s_waitcnt vmcnt(0)
	v_cvt_f64_f32_e32 v[2:3], v2
	global_store_dwordx2 v[0:1], v[2:3], off
	s_mov_b64 s[0:1], 0
.LBB537_1792:
	s_andn2_b64 vcc, exec, s[0:1]
	s_cbranch_vccnz .LBB537_1794
; %bb.1793:
	v_lshlrev_b32_e32 v2, 16, v9
	s_waitcnt vmcnt(0)
	global_store_dword v[0:1], v2, off
.LBB537_1794:
	s_mov_b64 s[0:1], 0
.LBB537_1795:
	s_andn2_b64 vcc, exec, s[0:1]
	s_cbranch_vccnz .LBB537_1797
; %bb.1796:
	v_lshlrev_b32_e32 v2, 16, v9
	v_cvt_f16_f32_e32 v2, v2
	s_waitcnt vmcnt(0)
	global_store_short v[0:1], v2, off
.LBB537_1797:
	s_mov_b64 s[0:1], 0
.LBB537_1798:
	s_andn2_b64 vcc, exec, s[0:1]
	s_cbranch_vccnz .LBB537_1814
; %bb.1799:
	s_sext_i32_i16 s2, s14
	s_cmp_lt_i32 s2, 2
	s_mov_b64 s[0:1], -1
	s_cbranch_scc1 .LBB537_1809
; %bb.1800:
	s_cmp_lt_i32 s2, 3
	s_cbranch_scc1 .LBB537_1806
; %bb.1801:
	s_cmp_gt_i32 s2, 3
	s_cbranch_scc0 .LBB537_1803
; %bb.1802:
	v_lshlrev_b32_e32 v2, 16, v9
	v_trunc_f32_e32 v2, v2
	s_mov_b32 s0, 0x2f800000
	s_waitcnt vmcnt(0)
	v_mul_f32_e64 v3, |v2|, s0
	v_floor_f32_e32 v3, v3
	s_mov_b32 s0, 0xcf800000
	v_cvt_u32_f32_e32 v4, v3
	v_fma_f32 v3, v3, s0, |v2|
	v_cvt_u32_f32_e32 v3, v3
	v_ashrrev_i32_e32 v5, 31, v2
	v_xor_b32_e32 v4, v4, v5
	s_mov_b64 s[0:1], 0
	v_xor_b32_e32 v2, v3, v5
	v_sub_co_u32_e32 v2, vcc, v2, v5
	s_nop 1
	v_subb_co_u32_e32 v3, vcc, v4, v5, vcc
	global_store_dwordx2 v[0:1], v[2:3], off
.LBB537_1803:
	s_andn2_b64 vcc, exec, s[0:1]
	s_cbranch_vccnz .LBB537_1805
; %bb.1804:
	v_lshlrev_b32_e32 v2, 16, v9
	v_cvt_i32_f32_e32 v2, v2
	s_waitcnt vmcnt(0)
	global_store_dword v[0:1], v2, off
.LBB537_1805:
	s_mov_b64 s[0:1], 0
.LBB537_1806:
	s_andn2_b64 vcc, exec, s[0:1]
	s_cbranch_vccnz .LBB537_1808
; %bb.1807:
	v_lshlrev_b32_e32 v2, 16, v9
	v_cvt_i32_f32_e32 v2, v2
	s_waitcnt vmcnt(0)
	global_store_short v[0:1], v2, off
.LBB537_1808:
	s_mov_b64 s[0:1], 0
.LBB537_1809:
	s_andn2_b64 vcc, exec, s[0:1]
	s_cbranch_vccnz .LBB537_1814
; %bb.1810:
	s_sext_i32_i16 s0, s14
	s_cmp_gt_i32 s0, 0
	s_mov_b64 s[0:1], -1
	s_cbranch_scc0 .LBB537_1812
; %bb.1811:
	v_lshlrev_b32_e32 v2, 16, v9
	v_cvt_i32_f32_e32 v2, v2
	s_mov_b64 s[0:1], 0
	s_waitcnt vmcnt(0)
	global_store_byte v[0:1], v2, off
.LBB537_1812:
	s_andn2_b64 vcc, exec, s[0:1]
	s_cbranch_vccnz .LBB537_1814
; %bb.1813:
	v_lshlrev_b32_e32 v2, 16, v9
	v_trunc_f32_e32 v2, v2
	s_mov_b32 s0, 0x2f800000
	s_waitcnt vmcnt(0)
	v_mul_f32_e64 v3, |v2|, s0
	v_floor_f32_e32 v3, v3
	s_mov_b32 s0, 0xcf800000
	v_fma_f32 v3, v3, s0, |v2|
	v_cvt_u32_f32_e32 v3, v3
	v_ashrrev_i32_e32 v2, 31, v2
	v_xor_b32_e32 v3, v3, v2
	v_sub_u32_e32 v2, v3, v2
	global_store_byte v[0:1], v2, off
	s_endpgm
.LBB537_1814:
	s_endpgm
.LBB537_1815:
	s_mov_b64 s[0:1], -1
	s_mov_b64 s[8:9], 0
.LBB537_1816:
	s_and_b64 vcc, exec, s[0:1]
	s_cbranch_vccz .LBB537_1855
; %bb.1817:
	s_and_b32 s6, 0xffff, s14
	s_cmp_lt_i32 s6, 5
	s_mov_b64 s[0:1], -1
	s_cbranch_scc1 .LBB537_1838
; %bb.1818:
	s_cmp_lt_i32 s6, 8
	s_cbranch_scc1 .LBB537_1828
; %bb.1819:
	s_cmp_lt_i32 s6, 9
	s_cbranch_scc1 .LBB537_1825
; %bb.1820:
	s_cmp_gt_i32 s6, 9
	s_cbranch_scc0 .LBB537_1822
; %bb.1821:
	v_lshlrev_b32_e32 v5, 16, v1
	v_mov_b32_e32 v14, 0
	v_cvt_f64_f32_e32 v[12:13], v5
	v_mov_b32_e32 v15, v14
	global_store_dwordx4 v[6:7], v[12:15], off
	s_mov_b64 s[0:1], 0
.LBB537_1822:
	s_andn2_b64 vcc, exec, s[0:1]
	s_cbranch_vccnz .LBB537_1824
; %bb.1823:
	v_lshlrev_b32_e32 v12, 16, v1
	v_mov_b32_e32 v13, 0
	global_store_dwordx2 v[6:7], v[12:13], off
.LBB537_1824:
	s_mov_b64 s[0:1], 0
.LBB537_1825:
	s_andn2_b64 vcc, exec, s[0:1]
	s_cbranch_vccnz .LBB537_1827
; %bb.1826:
	v_lshlrev_b32_e32 v5, 16, v1
	v_cvt_f16_f32_e32 v5, v5
	global_store_dword v[6:7], v5, off
.LBB537_1827:
	s_mov_b64 s[0:1], 0
.LBB537_1828:
	s_andn2_b64 vcc, exec, s[0:1]
	s_cbranch_vccnz .LBB537_1837
; %bb.1829:
	s_cmp_lt_i32 s6, 6
	s_mov_b64 s[0:1], -1
	s_cbranch_scc1 .LBB537_1835
; %bb.1830:
	s_cmp_gt_i32 s6, 6
	s_cbranch_scc0 .LBB537_1832
; %bb.1831:
	v_lshlrev_b32_e32 v5, 16, v1
	v_cvt_f64_f32_e32 v[12:13], v5
	global_store_dwordx2 v[6:7], v[12:13], off
	s_mov_b64 s[0:1], 0
.LBB537_1832:
	s_andn2_b64 vcc, exec, s[0:1]
	s_cbranch_vccnz .LBB537_1834
; %bb.1833:
	v_lshlrev_b32_e32 v5, 16, v1
	global_store_dword v[6:7], v5, off
.LBB537_1834:
	s_mov_b64 s[0:1], 0
.LBB537_1835:
	s_andn2_b64 vcc, exec, s[0:1]
	s_cbranch_vccnz .LBB537_1837
; %bb.1836:
	v_lshlrev_b32_e32 v5, 16, v1
	v_cvt_f16_f32_e32 v5, v5
	global_store_short v[6:7], v5, off
.LBB537_1837:
	s_mov_b64 s[0:1], 0
.LBB537_1838:
	s_andn2_b64 vcc, exec, s[0:1]
	s_cbranch_vccnz .LBB537_1854
; %bb.1839:
	s_cmp_lt_i32 s6, 2
	s_mov_b64 s[0:1], -1
	s_cbranch_scc1 .LBB537_1849
; %bb.1840:
	s_cmp_lt_i32 s6, 3
	s_cbranch_scc1 .LBB537_1846
; %bb.1841:
	s_cmp_gt_i32 s6, 3
	s_cbranch_scc0 .LBB537_1843
; %bb.1842:
	v_lshlrev_b32_e32 v5, 16, v1
	v_trunc_f32_e32 v5, v5
	s_mov_b32 s0, 0x2f800000
	v_mul_f32_e64 v8, |v5|, s0
	v_floor_f32_e32 v8, v8
	s_mov_b32 s0, 0xcf800000
	v_cvt_u32_f32_e32 v11, v8
	v_fma_f32 v8, v8, s0, |v5|
	v_cvt_u32_f32_e32 v8, v8
	v_ashrrev_i32_e32 v5, 31, v5
	v_xor_b32_e32 v11, v11, v5
	s_mov_b64 s[0:1], 0
	v_xor_b32_e32 v8, v8, v5
	v_sub_co_u32_e32 v12, vcc, v8, v5
	s_nop 1
	v_subb_co_u32_e32 v13, vcc, v11, v5, vcc
	global_store_dwordx2 v[6:7], v[12:13], off
.LBB537_1843:
	s_andn2_b64 vcc, exec, s[0:1]
	s_cbranch_vccnz .LBB537_1845
; %bb.1844:
	v_lshlrev_b32_e32 v5, 16, v1
	v_cvt_i32_f32_e32 v5, v5
	global_store_dword v[6:7], v5, off
.LBB537_1845:
	s_mov_b64 s[0:1], 0
.LBB537_1846:
	s_andn2_b64 vcc, exec, s[0:1]
	s_cbranch_vccnz .LBB537_1848
; %bb.1847:
	v_lshlrev_b32_e32 v5, 16, v1
	v_cvt_i32_f32_e32 v5, v5
	global_store_short v[6:7], v5, off
.LBB537_1848:
	s_mov_b64 s[0:1], 0
.LBB537_1849:
	s_andn2_b64 vcc, exec, s[0:1]
	s_cbranch_vccnz .LBB537_1854
; %bb.1850:
	s_mov_b64 s[0:1], -1
	s_cmp_gt_i32 s6, 0
	v_lshlrev_b32_e32 v1, 16, v1
	s_cbranch_scc0 .LBB537_1852
; %bb.1851:
	v_cvt_i32_f32_e32 v5, v1
	s_mov_b64 s[0:1], 0
	global_store_byte v[6:7], v5, off
.LBB537_1852:
	s_andn2_b64 vcc, exec, s[0:1]
	s_cbranch_vccnz .LBB537_1854
; %bb.1853:
	v_trunc_f32_e32 v1, v1
	s_mov_b32 s0, 0x2f800000
	v_mul_f32_e64 v5, |v1|, s0
	v_floor_f32_e32 v5, v5
	s_mov_b32 s0, 0xcf800000
	v_fma_f32 v5, v5, s0, |v1|
	v_cvt_u32_f32_e32 v5, v5
	v_ashrrev_i32_e32 v1, 31, v1
	v_xor_b32_e32 v5, v5, v1
	v_sub_u32_e32 v1, v5, v1
	global_store_byte v[6:7], v1, off
.LBB537_1854:
	s_mov_b64 s[8:9], -1
.LBB537_1855:
	s_andn2_b64 vcc, exec, s[8:9]
	s_cbranch_vccnz .LBB537_2170
; %bb.1856:
	s_lshr_b32 s0, s18, 16
	s_and_b32 s14, s0, 0xff
	v_mov_b32_e32 v5, 0
	s_cmp_lt_i32 s14, 11
	v_lshl_add_u64 v[4:5], s[4:5], 0, v[4:5]
	s_cbranch_scc1 .LBB537_1934
; %bb.1857:
	s_and_b32 s15, 0xffff, s14
	s_mov_b64 s[10:11], -1
	s_mov_b64 s[6:7], 0
	s_cmp_gt_i32 s15, 25
	s_mov_b64 s[8:9], 0
	s_mov_b64 s[0:1], 0
	s_cbranch_scc0 .LBB537_1890
; %bb.1858:
	s_cmp_gt_i32 s15, 28
	s_cbranch_scc0 .LBB537_1873
; %bb.1859:
	s_cmp_gt_i32 s15, 43
	;; [unrolled: 3-line block ×3, first 2 shown]
	s_cbranch_scc0 .LBB537_1863
; %bb.1861:
	s_mov_b64 s[0:1], -1
	s_mov_b64 s[10:11], 0
	s_cmp_eq_u32 s15, 46
	s_cbranch_scc0 .LBB537_1863
; %bb.1862:
	v_and_b32_e32 v1, 0xffff, v3
	global_store_dword v[4:5], v1, off
	s_mov_b64 s[0:1], 0
	s_mov_b64 s[8:9], -1
.LBB537_1863:
	s_and_b64 vcc, exec, s[10:11]
	s_cbranch_vccz .LBB537_1868
; %bb.1864:
	s_cmp_eq_u32 s15, 44
	s_mov_b64 s[0:1], -1
	s_cbranch_scc0 .LBB537_1868
; %bb.1865:
	v_and_b32_e32 v6, 0xffff, v3
	v_bfe_u32 v1, v6, 7, 8
	s_movk_i32 s0, 0xff
	v_cmp_ne_u32_e32 vcc, s0, v1
	v_mov_b32_e32 v7, 0xff
	s_and_saveexec_b64 s[8:9], vcc
	s_cbranch_execz .LBB537_1867
; %bb.1866:
	v_lshlrev_b32_e32 v8, 16, v6
	s_mov_b32 s0, 0x3f0000
	v_lshrrev_b32_e32 v7, 7, v6
	v_and_b32_e32 v6, 64, v6
	v_and_or_b32 v1, v8, s0, v1
	v_cmp_ne_u32_e32 vcc, 0, v6
	v_cmp_ne_u32_e64 s[0:1], 0, v1
	s_and_b64 s[0:1], vcc, s[0:1]
	s_nop 0
	v_cndmask_b32_e64 v1, 0, 1, s[0:1]
	v_add_u32_e32 v7, v7, v1
.LBB537_1867:
	s_or_b64 exec, exec, s[8:9]
	s_mov_b64 s[0:1], 0
	s_mov_b64 s[8:9], -1
	global_store_byte v[4:5], v7, off
.LBB537_1868:
	s_mov_b64 s[10:11], 0
.LBB537_1869:
	s_and_b64 vcc, exec, s[10:11]
	s_cbranch_vccz .LBB537_1872
; %bb.1870:
	s_cmp_eq_u32 s15, 29
	s_mov_b64 s[0:1], -1
	s_cbranch_scc0 .LBB537_1872
; %bb.1871:
	v_lshlrev_b32_e32 v1, 16, v3
	v_trunc_f32_e32 v1, v1
	v_mul_f32_e32 v6, 0x2f800000, v1
	v_floor_f32_e32 v6, v6
	v_fmamk_f32 v1, v6, 0xcf800000, v1
	v_cvt_u32_f32_e32 v7, v6
	v_cvt_u32_f32_e32 v6, v1
	s_mov_b64 s[0:1], 0
	s_mov_b64 s[8:9], -1
	global_store_dwordx2 v[4:5], v[6:7], off
.LBB537_1872:
	s_mov_b64 s[10:11], 0
.LBB537_1873:
	s_and_b64 vcc, exec, s[10:11]
	s_cbranch_vccz .LBB537_1889
; %bb.1874:
	s_cmp_lt_i32 s15, 27
	s_mov_b64 s[8:9], -1
	s_cbranch_scc1 .LBB537_1880
; %bb.1875:
	s_cmp_gt_i32 s15, 27
	s_cbranch_scc0 .LBB537_1877
; %bb.1876:
	v_lshlrev_b32_e32 v1, 16, v3
	v_cvt_u32_f32_e32 v1, v1
	s_mov_b64 s[8:9], 0
	global_store_dword v[4:5], v1, off
.LBB537_1877:
	s_andn2_b64 vcc, exec, s[8:9]
	s_cbranch_vccnz .LBB537_1879
; %bb.1878:
	v_lshlrev_b32_e32 v1, 16, v3
	v_cvt_u32_f32_e32 v1, v1
	global_store_short v[4:5], v1, off
.LBB537_1879:
	s_mov_b64 s[8:9], 0
.LBB537_1880:
	s_andn2_b64 vcc, exec, s[8:9]
	s_cbranch_vccnz .LBB537_1888
; %bb.1881:
	v_lshlrev_b32_e32 v7, 16, v3
	v_and_b32_e32 v6, 0x7fffffff, v7
	s_mov_b32 s8, 0x43800000
	v_cmp_gt_u32_e32 vcc, s8, v6
	v_mov_b32_e32 v8, 0x80
	s_and_saveexec_b64 s[8:9], vcc
	s_cbranch_execz .LBB537_1887
; %bb.1882:
	s_mov_b32 s10, 0x3bffffff
	v_and_b32_e32 v1, 0xffff, v3
	v_cmp_lt_u32_e32 vcc, s10, v6
	s_mov_b64 s[10:11], 0
                                        ; implicit-def: $vgpr6
	s_and_saveexec_b64 s[12:13], vcc
	s_xor_b64 s[12:13], exec, s[12:13]
	s_cbranch_execz .LBB537_2178
; %bb.1883:
	v_bfe_u32 v6, v1, 4, 1
	s_mov_b32 s16, 0x487ffff
	v_add3_u32 v6, v7, v6, s16
	s_mov_b64 s[10:11], exec
	v_lshrrev_b32_e32 v6, 20, v6
                                        ; implicit-def: $vgpr7
	s_andn2_saveexec_b64 s[12:13], s[12:13]
	s_cbranch_execnz .LBB537_2179
.LBB537_1884:
	s_or_b64 exec, exec, s[12:13]
	v_mov_b32_e32 v8, 0
	s_and_saveexec_b64 s[12:13], s[10:11]
.LBB537_1885:
	v_lshrrev_b32_e32 v1, 8, v1
	s_movk_i32 s10, 0x80
	v_and_or_b32 v8, v1, s10, v6
.LBB537_1886:
	s_or_b64 exec, exec, s[12:13]
.LBB537_1887:
	s_or_b64 exec, exec, s[8:9]
	global_store_byte v[4:5], v8, off
.LBB537_1888:
	s_mov_b64 s[8:9], -1
.LBB537_1889:
	s_mov_b64 s[10:11], 0
.LBB537_1890:
	s_and_b64 vcc, exec, s[10:11]
	s_cbranch_vccz .LBB537_1930
; %bb.1891:
	s_cmp_gt_i32 s15, 22
	s_mov_b64 s[6:7], -1
	s_cbranch_scc0 .LBB537_1923
; %bb.1892:
	s_cmp_lt_i32 s15, 24
	s_cbranch_scc1 .LBB537_1912
; %bb.1893:
	s_cmp_gt_i32 s15, 24
	s_cbranch_scc0 .LBB537_1901
; %bb.1894:
	v_lshlrev_b32_e32 v7, 16, v3
	v_and_b32_e32 v6, 0x7fffffff, v7
	s_mov_b32 s6, 0x47800000
	v_cmp_gt_u32_e32 vcc, s6, v6
	v_mov_b32_e32 v8, 0x80
	s_and_saveexec_b64 s[6:7], vcc
	s_cbranch_execz .LBB537_1900
; %bb.1895:
	s_mov_b32 s8, 0x37ffffff
	v_and_b32_e32 v1, 0xffff, v3
	v_cmp_lt_u32_e32 vcc, s8, v6
	s_mov_b64 s[8:9], 0
                                        ; implicit-def: $vgpr6
	s_and_saveexec_b64 s[10:11], vcc
	s_xor_b64 s[10:11], exec, s[10:11]
	s_cbranch_execz .LBB537_2181
; %bb.1896:
	v_bfe_u32 v6, v1, 5, 1
	s_mov_b32 s12, 0x88fffff
	v_add3_u32 v6, v7, v6, s12
	s_mov_b64 s[8:9], exec
	v_lshrrev_b32_e32 v6, 21, v6
                                        ; implicit-def: $vgpr7
	s_andn2_saveexec_b64 s[10:11], s[10:11]
	s_cbranch_execnz .LBB537_2182
.LBB537_1897:
	s_or_b64 exec, exec, s[10:11]
	v_mov_b32_e32 v8, 0
	s_and_saveexec_b64 s[10:11], s[8:9]
.LBB537_1898:
	v_lshrrev_b32_e32 v1, 8, v1
	s_movk_i32 s8, 0x80
	v_and_or_b32 v8, v1, s8, v6
.LBB537_1899:
	s_or_b64 exec, exec, s[10:11]
.LBB537_1900:
	s_or_b64 exec, exec, s[6:7]
	s_mov_b64 s[6:7], 0
	global_store_byte v[4:5], v8, off
.LBB537_1901:
	s_and_b64 vcc, exec, s[6:7]
	s_cbranch_vccz .LBB537_1911
; %bb.1902:
	v_lshlrev_b32_e32 v7, 16, v3
	v_and_b32_e32 v8, 0x7fffffff, v7
	s_mov_b32 s6, 0x43f00000
	v_and_b32_e32 v1, 0xffff, v3
	v_cmp_gt_u32_e32 vcc, s6, v8
                                        ; implicit-def: $vgpr6
	s_and_saveexec_b64 s[6:7], vcc
	s_xor_b64 s[6:7], exec, s[6:7]
	s_cbranch_execz .LBB537_1908
; %bb.1903:
	s_mov_b32 s8, 0x3c7fffff
	v_cmp_lt_u32_e32 vcc, s8, v8
                                        ; implicit-def: $vgpr6
	s_and_saveexec_b64 s[8:9], vcc
	s_xor_b64 s[8:9], exec, s[8:9]
; %bb.1904:
	v_bfe_u32 v6, v1, 4, 1
	s_mov_b32 s10, 0x407ffff
	v_add3_u32 v6, v7, v6, s10
	v_lshrrev_b32_e32 v7, 20, v6
	v_and_b32_e32 v6, 0xff00000, v6
	s_mov_b32 s10, 0x7f00000
	v_mov_b32_e32 v8, 0x7e
	v_cmp_ne_u32_e32 vcc, s10, v6
	s_nop 1
	v_cndmask_b32_e32 v6, v8, v7, vcc
                                        ; implicit-def: $vgpr7
; %bb.1905:
	s_andn2_saveexec_b64 s[8:9], s[8:9]
; %bb.1906:
	s_mov_b32 s10, 0x46800000
	v_add_f32_e64 v6, |v7|, s10
; %bb.1907:
	s_or_b64 exec, exec, s[8:9]
                                        ; implicit-def: $vgpr8
.LBB537_1908:
	s_andn2_saveexec_b64 s[6:7], s[6:7]
; %bb.1909:
	s_mov_b32 s8, 0x7f800000
	v_mov_b32_e32 v6, 0x7e
	v_mov_b32_e32 v7, 0x7f
	v_cmp_lt_u32_e32 vcc, s8, v8
	s_nop 1
	v_cndmask_b32_e32 v6, v6, v7, vcc
; %bb.1910:
	s_or_b64 exec, exec, s[6:7]
	v_lshrrev_b32_e32 v1, 8, v1
	s_movk_i32 s6, 0x80
	v_and_or_b32 v1, v1, s6, v6
	global_store_byte v[4:5], v1, off
.LBB537_1911:
	s_mov_b64 s[6:7], 0
.LBB537_1912:
	s_andn2_b64 vcc, exec, s[6:7]
	s_cbranch_vccnz .LBB537_1922
; %bb.1913:
	v_lshlrev_b32_e32 v7, 16, v3
	v_and_b32_e32 v8, 0x7fffffff, v7
	s_mov_b32 s6, 0x47800000
	v_and_b32_e32 v1, 0xffff, v3
	v_cmp_gt_u32_e32 vcc, s6, v8
                                        ; implicit-def: $vgpr6
	s_and_saveexec_b64 s[6:7], vcc
	s_xor_b64 s[6:7], exec, s[6:7]
	s_cbranch_execz .LBB537_1919
; %bb.1914:
	s_mov_b32 s8, 0x387fffff
	v_cmp_lt_u32_e32 vcc, s8, v8
                                        ; implicit-def: $vgpr6
	s_and_saveexec_b64 s[8:9], vcc
	s_xor_b64 s[8:9], exec, s[8:9]
; %bb.1915:
	v_bfe_u32 v6, v1, 5, 1
	s_mov_b32 s10, 0x80fffff
	v_add3_u32 v6, v7, v6, s10
	v_lshrrev_b32_e32 v6, 21, v6
                                        ; implicit-def: $vgpr7
; %bb.1916:
	s_andn2_saveexec_b64 s[8:9], s[8:9]
; %bb.1917:
	s_mov_b32 s10, 0x43000000
	v_add_f32_e64 v6, |v7|, s10
; %bb.1918:
	s_or_b64 exec, exec, s[8:9]
                                        ; implicit-def: $vgpr8
.LBB537_1919:
	s_andn2_saveexec_b64 s[6:7], s[6:7]
; %bb.1920:
	s_mov_b32 s8, 0x7f800000
	v_mov_b32_e32 v6, 0x7c
	v_mov_b32_e32 v7, 0x7f
	v_cmp_lt_u32_e32 vcc, s8, v8
	s_nop 1
	v_cndmask_b32_e32 v6, v6, v7, vcc
; %bb.1921:
	s_or_b64 exec, exec, s[6:7]
	v_lshrrev_b32_e32 v1, 8, v1
	s_movk_i32 s6, 0x80
	v_and_or_b32 v1, v1, s6, v6
	global_store_byte v[4:5], v1, off
.LBB537_1922:
	s_mov_b64 s[6:7], 0
	s_mov_b64 s[8:9], -1
.LBB537_1923:
	s_andn2_b64 vcc, exec, s[6:7]
	s_mov_b64 s[6:7], 0
	s_cbranch_vccnz .LBB537_1930
; %bb.1924:
	s_cmp_gt_i32 s15, 14
	s_mov_b64 s[10:11], -1
	s_cbranch_scc0 .LBB537_1928
; %bb.1925:
	s_cmp_eq_u32 s15, 15
	s_mov_b64 s[0:1], -1
	s_cbranch_scc0 .LBB537_1927
; %bb.1926:
	global_store_short v[4:5], v3, off
	s_mov_b64 s[0:1], 0
	s_mov_b64 s[8:9], -1
.LBB537_1927:
	s_mov_b64 s[10:11], 0
.LBB537_1928:
	s_and_b64 vcc, exec, s[10:11]
	s_cbranch_vccz .LBB537_1930
; %bb.1929:
	s_cmp_lg_u32 s15, 11
	s_mov_b64 s[6:7], -1
	s_cselect_b64 s[0:1], -1, 0
.LBB537_1930:
	s_and_b64 vcc, exec, s[0:1]
	s_cbranch_vccnz .LBB537_2180
; %bb.1931:
	s_andn2_b64 vcc, exec, s[6:7]
	s_cbranch_vccnz .LBB537_1933
.LBB537_1932:
	v_and_b32_e32 v1, 0x7fff, v3
	v_cmp_ne_u16_e32 vcc, 0, v1
	s_mov_b64 s[8:9], -1
	s_nop 0
	v_cndmask_b32_e64 v1, 0, 1, vcc
	global_store_byte v[4:5], v1, off
.LBB537_1933:
	s_mov_b64 s[0:1], 0
	s_branch .LBB537_1935
.LBB537_1934:
	s_mov_b64 s[0:1], -1
	s_mov_b64 s[8:9], 0
.LBB537_1935:
	s_and_b64 vcc, exec, s[0:1]
	s_cbranch_vccz .LBB537_1974
; %bb.1936:
	s_and_b32 s6, 0xffff, s14
	s_cmp_lt_i32 s6, 5
	s_mov_b64 s[0:1], -1
	s_cbranch_scc1 .LBB537_1957
; %bb.1937:
	s_cmp_lt_i32 s6, 8
	s_cbranch_scc1 .LBB537_1947
; %bb.1938:
	s_cmp_lt_i32 s6, 9
	s_cbranch_scc1 .LBB537_1944
; %bb.1939:
	s_cmp_gt_i32 s6, 9
	s_cbranch_scc0 .LBB537_1941
; %bb.1940:
	v_lshlrev_b32_e32 v1, 16, v3
	v_mov_b32_e32 v14, 0
	v_cvt_f64_f32_e32 v[12:13], v1
	v_mov_b32_e32 v15, v14
	global_store_dwordx4 v[4:5], v[12:15], off
	s_mov_b64 s[0:1], 0
.LBB537_1941:
	s_andn2_b64 vcc, exec, s[0:1]
	s_cbranch_vccnz .LBB537_1943
; %bb.1942:
	v_lshlrev_b32_e32 v6, 16, v3
	v_mov_b32_e32 v7, 0
	global_store_dwordx2 v[4:5], v[6:7], off
.LBB537_1943:
	s_mov_b64 s[0:1], 0
.LBB537_1944:
	s_andn2_b64 vcc, exec, s[0:1]
	s_cbranch_vccnz .LBB537_1946
; %bb.1945:
	v_lshlrev_b32_e32 v1, 16, v3
	v_cvt_f16_f32_e32 v1, v1
	global_store_dword v[4:5], v1, off
.LBB537_1946:
	s_mov_b64 s[0:1], 0
.LBB537_1947:
	s_andn2_b64 vcc, exec, s[0:1]
	s_cbranch_vccnz .LBB537_1956
; %bb.1948:
	s_cmp_lt_i32 s6, 6
	s_mov_b64 s[0:1], -1
	s_cbranch_scc1 .LBB537_1954
; %bb.1949:
	s_cmp_gt_i32 s6, 6
	s_cbranch_scc0 .LBB537_1951
; %bb.1950:
	v_lshlrev_b32_e32 v1, 16, v3
	v_cvt_f64_f32_e32 v[6:7], v1
	global_store_dwordx2 v[4:5], v[6:7], off
	s_mov_b64 s[0:1], 0
.LBB537_1951:
	s_andn2_b64 vcc, exec, s[0:1]
	s_cbranch_vccnz .LBB537_1953
; %bb.1952:
	v_lshlrev_b32_e32 v1, 16, v3
	global_store_dword v[4:5], v1, off
.LBB537_1953:
	s_mov_b64 s[0:1], 0
.LBB537_1954:
	s_andn2_b64 vcc, exec, s[0:1]
	s_cbranch_vccnz .LBB537_1956
; %bb.1955:
	v_lshlrev_b32_e32 v1, 16, v3
	v_cvt_f16_f32_e32 v1, v1
	global_store_short v[4:5], v1, off
.LBB537_1956:
	s_mov_b64 s[0:1], 0
.LBB537_1957:
	s_andn2_b64 vcc, exec, s[0:1]
	s_cbranch_vccnz .LBB537_1973
; %bb.1958:
	s_cmp_lt_i32 s6, 2
	s_mov_b64 s[0:1], -1
	s_cbranch_scc1 .LBB537_1968
; %bb.1959:
	s_cmp_lt_i32 s6, 3
	s_cbranch_scc1 .LBB537_1965
; %bb.1960:
	s_cmp_gt_i32 s6, 3
	s_cbranch_scc0 .LBB537_1962
; %bb.1961:
	v_lshlrev_b32_e32 v1, 16, v3
	v_trunc_f32_e32 v1, v1
	s_mov_b32 s0, 0x2f800000
	v_mul_f32_e64 v6, |v1|, s0
	v_floor_f32_e32 v6, v6
	s_mov_b32 s0, 0xcf800000
	v_cvt_u32_f32_e32 v7, v6
	v_fma_f32 v6, v6, s0, |v1|
	v_cvt_u32_f32_e32 v6, v6
	v_ashrrev_i32_e32 v1, 31, v1
	v_xor_b32_e32 v7, v7, v1
	s_mov_b64 s[0:1], 0
	v_xor_b32_e32 v6, v6, v1
	v_sub_co_u32_e32 v6, vcc, v6, v1
	s_nop 1
	v_subb_co_u32_e32 v7, vcc, v7, v1, vcc
	global_store_dwordx2 v[4:5], v[6:7], off
.LBB537_1962:
	s_andn2_b64 vcc, exec, s[0:1]
	s_cbranch_vccnz .LBB537_1964
; %bb.1963:
	v_lshlrev_b32_e32 v1, 16, v3
	v_cvt_i32_f32_e32 v1, v1
	global_store_dword v[4:5], v1, off
.LBB537_1964:
	s_mov_b64 s[0:1], 0
.LBB537_1965:
	s_andn2_b64 vcc, exec, s[0:1]
	s_cbranch_vccnz .LBB537_1967
; %bb.1966:
	v_lshlrev_b32_e32 v1, 16, v3
	v_cvt_i32_f32_e32 v1, v1
	global_store_short v[4:5], v1, off
.LBB537_1967:
	s_mov_b64 s[0:1], 0
.LBB537_1968:
	s_andn2_b64 vcc, exec, s[0:1]
	s_cbranch_vccnz .LBB537_1973
; %bb.1969:
	s_mov_b64 s[0:1], -1
	s_cmp_gt_i32 s6, 0
	v_lshlrev_b32_e32 v1, 16, v3
	s_cbranch_scc0 .LBB537_1971
; %bb.1970:
	v_cvt_i32_f32_e32 v3, v1
	s_mov_b64 s[0:1], 0
	global_store_byte v[4:5], v3, off
.LBB537_1971:
	s_andn2_b64 vcc, exec, s[0:1]
	s_cbranch_vccnz .LBB537_1973
; %bb.1972:
	v_trunc_f32_e32 v1, v1
	s_mov_b32 s0, 0x2f800000
	v_mul_f32_e64 v3, |v1|, s0
	v_floor_f32_e32 v3, v3
	s_mov_b32 s0, 0xcf800000
	v_fma_f32 v3, v3, s0, |v1|
	v_cvt_u32_f32_e32 v3, v3
	v_ashrrev_i32_e32 v1, 31, v1
	v_xor_b32_e32 v3, v3, v1
	v_sub_u32_e32 v1, v3, v1
	global_store_byte v[4:5], v1, off
.LBB537_1973:
	s_mov_b64 s[8:9], -1
.LBB537_1974:
	s_andn2_b64 vcc, exec, s[8:9]
	s_cbranch_vccnz .LBB537_2170
; %bb.1975:
	v_mov_b32_e32 v3, 0
	s_cmp_lt_i32 s14, 11
	v_lshl_add_u64 v[2:3], s[4:5], 0, v[2:3]
	s_cbranch_scc1 .LBB537_2053
; %bb.1976:
	s_and_b32 s15, 0xffff, s14
	s_mov_b64 s[10:11], -1
	s_mov_b64 s[6:7], 0
	s_cmp_gt_i32 s15, 25
	s_mov_b64 s[8:9], 0
	s_mov_b64 s[0:1], 0
	s_cbranch_scc0 .LBB537_2009
; %bb.1977:
	s_cmp_gt_i32 s15, 28
	s_cbranch_scc0 .LBB537_1992
; %bb.1978:
	s_cmp_gt_i32 s15, 43
	;; [unrolled: 3-line block ×3, first 2 shown]
	s_cbranch_scc0 .LBB537_1982
; %bb.1980:
	s_mov_b64 s[0:1], -1
	s_mov_b64 s[10:11], 0
	s_cmp_eq_u32 s15, 46
	s_cbranch_scc0 .LBB537_1982
; %bb.1981:
	v_and_b32_e32 v1, 0xffff, v10
	global_store_dword v[2:3], v1, off
	s_mov_b64 s[0:1], 0
	s_mov_b64 s[8:9], -1
.LBB537_1982:
	s_and_b64 vcc, exec, s[10:11]
	s_cbranch_vccz .LBB537_1987
; %bb.1983:
	s_cmp_eq_u32 s15, 44
	s_mov_b64 s[0:1], -1
	s_cbranch_scc0 .LBB537_1987
; %bb.1984:
	v_and_b32_e32 v4, 0xffff, v10
	v_bfe_u32 v1, v4, 7, 8
	s_movk_i32 s0, 0xff
	v_cmp_ne_u32_e32 vcc, s0, v1
	v_mov_b32_e32 v5, 0xff
	s_and_saveexec_b64 s[8:9], vcc
	s_cbranch_execz .LBB537_1986
; %bb.1985:
	v_lshlrev_b32_e32 v6, 16, v4
	s_mov_b32 s0, 0x3f0000
	v_lshrrev_b32_e32 v5, 7, v4
	v_and_b32_e32 v4, 64, v4
	v_and_or_b32 v1, v6, s0, v1
	v_cmp_ne_u32_e32 vcc, 0, v4
	v_cmp_ne_u32_e64 s[0:1], 0, v1
	s_and_b64 s[0:1], vcc, s[0:1]
	s_nop 0
	v_cndmask_b32_e64 v1, 0, 1, s[0:1]
	v_add_u32_e32 v5, v5, v1
.LBB537_1986:
	s_or_b64 exec, exec, s[8:9]
	s_mov_b64 s[0:1], 0
	s_mov_b64 s[8:9], -1
	global_store_byte v[2:3], v5, off
.LBB537_1987:
	s_mov_b64 s[10:11], 0
.LBB537_1988:
	s_and_b64 vcc, exec, s[10:11]
	s_cbranch_vccz .LBB537_1991
; %bb.1989:
	s_cmp_eq_u32 s15, 29
	s_mov_b64 s[0:1], -1
	s_cbranch_scc0 .LBB537_1991
; %bb.1990:
	v_lshlrev_b32_e32 v1, 16, v10
	v_trunc_f32_e32 v1, v1
	v_mul_f32_e32 v4, 0x2f800000, v1
	v_floor_f32_e32 v4, v4
	v_fmamk_f32 v1, v4, 0xcf800000, v1
	v_cvt_u32_f32_e32 v5, v4
	v_cvt_u32_f32_e32 v4, v1
	s_mov_b64 s[0:1], 0
	s_mov_b64 s[8:9], -1
	global_store_dwordx2 v[2:3], v[4:5], off
.LBB537_1991:
	s_mov_b64 s[10:11], 0
.LBB537_1992:
	s_and_b64 vcc, exec, s[10:11]
	s_cbranch_vccz .LBB537_2008
; %bb.1993:
	s_cmp_lt_i32 s15, 27
	s_mov_b64 s[8:9], -1
	s_cbranch_scc1 .LBB537_1999
; %bb.1994:
	s_cmp_gt_i32 s15, 27
	s_cbranch_scc0 .LBB537_1996
; %bb.1995:
	v_lshlrev_b32_e32 v1, 16, v10
	v_cvt_u32_f32_e32 v1, v1
	s_mov_b64 s[8:9], 0
	global_store_dword v[2:3], v1, off
.LBB537_1996:
	s_andn2_b64 vcc, exec, s[8:9]
	s_cbranch_vccnz .LBB537_1998
; %bb.1997:
	v_lshlrev_b32_e32 v1, 16, v10
	v_cvt_u32_f32_e32 v1, v1
	global_store_short v[2:3], v1, off
.LBB537_1998:
	s_mov_b64 s[8:9], 0
.LBB537_1999:
	s_andn2_b64 vcc, exec, s[8:9]
	s_cbranch_vccnz .LBB537_2007
; %bb.2000:
	v_lshlrev_b32_e32 v5, 16, v10
	v_and_b32_e32 v4, 0x7fffffff, v5
	s_mov_b32 s8, 0x43800000
	v_cmp_gt_u32_e32 vcc, s8, v4
	v_mov_b32_e32 v6, 0x80
	s_and_saveexec_b64 s[8:9], vcc
	s_cbranch_execz .LBB537_2006
; %bb.2001:
	s_mov_b32 s10, 0x3bffffff
	v_and_b32_e32 v1, 0xffff, v10
	v_cmp_lt_u32_e32 vcc, s10, v4
	s_mov_b64 s[10:11], 0
                                        ; implicit-def: $vgpr4
	s_and_saveexec_b64 s[12:13], vcc
	s_xor_b64 s[12:13], exec, s[12:13]
	s_cbranch_execz .LBB537_2183
; %bb.2002:
	v_bfe_u32 v4, v1, 4, 1
	s_mov_b32 s16, 0x487ffff
	v_add3_u32 v4, v5, v4, s16
	s_mov_b64 s[10:11], exec
	v_lshrrev_b32_e32 v4, 20, v4
                                        ; implicit-def: $vgpr5
	s_andn2_saveexec_b64 s[12:13], s[12:13]
	s_cbranch_execnz .LBB537_2184
.LBB537_2003:
	s_or_b64 exec, exec, s[12:13]
	v_mov_b32_e32 v6, 0
	s_and_saveexec_b64 s[12:13], s[10:11]
.LBB537_2004:
	v_lshrrev_b32_e32 v1, 8, v1
	s_movk_i32 s10, 0x80
	v_and_or_b32 v6, v1, s10, v4
.LBB537_2005:
	s_or_b64 exec, exec, s[12:13]
.LBB537_2006:
	s_or_b64 exec, exec, s[8:9]
	global_store_byte v[2:3], v6, off
.LBB537_2007:
	s_mov_b64 s[8:9], -1
.LBB537_2008:
	s_mov_b64 s[10:11], 0
.LBB537_2009:
	s_and_b64 vcc, exec, s[10:11]
	s_cbranch_vccz .LBB537_2049
; %bb.2010:
	s_cmp_gt_i32 s15, 22
	s_mov_b64 s[6:7], -1
	s_cbranch_scc0 .LBB537_2042
; %bb.2011:
	s_cmp_lt_i32 s15, 24
	s_cbranch_scc1 .LBB537_2031
; %bb.2012:
	s_cmp_gt_i32 s15, 24
	s_cbranch_scc0 .LBB537_2020
; %bb.2013:
	v_lshlrev_b32_e32 v5, 16, v10
	v_and_b32_e32 v4, 0x7fffffff, v5
	s_mov_b32 s6, 0x47800000
	v_cmp_gt_u32_e32 vcc, s6, v4
	v_mov_b32_e32 v6, 0x80
	s_and_saveexec_b64 s[6:7], vcc
	s_cbranch_execz .LBB537_2019
; %bb.2014:
	s_mov_b32 s8, 0x37ffffff
	v_and_b32_e32 v1, 0xffff, v10
	v_cmp_lt_u32_e32 vcc, s8, v4
	s_mov_b64 s[8:9], 0
                                        ; implicit-def: $vgpr4
	s_and_saveexec_b64 s[10:11], vcc
	s_xor_b64 s[10:11], exec, s[10:11]
	s_cbranch_execz .LBB537_2186
; %bb.2015:
	v_bfe_u32 v4, v1, 5, 1
	s_mov_b32 s12, 0x88fffff
	v_add3_u32 v4, v5, v4, s12
	s_mov_b64 s[8:9], exec
	v_lshrrev_b32_e32 v4, 21, v4
                                        ; implicit-def: $vgpr5
	s_andn2_saveexec_b64 s[10:11], s[10:11]
	s_cbranch_execnz .LBB537_2187
.LBB537_2016:
	s_or_b64 exec, exec, s[10:11]
	v_mov_b32_e32 v6, 0
	s_and_saveexec_b64 s[10:11], s[8:9]
.LBB537_2017:
	v_lshrrev_b32_e32 v1, 8, v1
	s_movk_i32 s8, 0x80
	v_and_or_b32 v6, v1, s8, v4
.LBB537_2018:
	s_or_b64 exec, exec, s[10:11]
.LBB537_2019:
	s_or_b64 exec, exec, s[6:7]
	s_mov_b64 s[6:7], 0
	global_store_byte v[2:3], v6, off
.LBB537_2020:
	s_and_b64 vcc, exec, s[6:7]
	s_cbranch_vccz .LBB537_2030
; %bb.2021:
	v_lshlrev_b32_e32 v5, 16, v10
	v_and_b32_e32 v6, 0x7fffffff, v5
	s_mov_b32 s6, 0x43f00000
	v_and_b32_e32 v1, 0xffff, v10
	v_cmp_gt_u32_e32 vcc, s6, v6
                                        ; implicit-def: $vgpr4
	s_and_saveexec_b64 s[6:7], vcc
	s_xor_b64 s[6:7], exec, s[6:7]
	s_cbranch_execz .LBB537_2027
; %bb.2022:
	s_mov_b32 s8, 0x3c7fffff
	v_cmp_lt_u32_e32 vcc, s8, v6
                                        ; implicit-def: $vgpr4
	s_and_saveexec_b64 s[8:9], vcc
	s_xor_b64 s[8:9], exec, s[8:9]
; %bb.2023:
	v_bfe_u32 v4, v1, 4, 1
	s_mov_b32 s10, 0x407ffff
	v_add3_u32 v4, v5, v4, s10
	v_lshrrev_b32_e32 v5, 20, v4
	v_and_b32_e32 v4, 0xff00000, v4
	s_mov_b32 s10, 0x7f00000
	v_mov_b32_e32 v6, 0x7e
	v_cmp_ne_u32_e32 vcc, s10, v4
	s_nop 1
	v_cndmask_b32_e32 v4, v6, v5, vcc
                                        ; implicit-def: $vgpr5
; %bb.2024:
	s_andn2_saveexec_b64 s[8:9], s[8:9]
; %bb.2025:
	s_mov_b32 s10, 0x46800000
	v_add_f32_e64 v4, |v5|, s10
; %bb.2026:
	s_or_b64 exec, exec, s[8:9]
                                        ; implicit-def: $vgpr6
.LBB537_2027:
	s_andn2_saveexec_b64 s[6:7], s[6:7]
; %bb.2028:
	s_mov_b32 s8, 0x7f800000
	v_mov_b32_e32 v4, 0x7e
	v_mov_b32_e32 v5, 0x7f
	v_cmp_lt_u32_e32 vcc, s8, v6
	s_nop 1
	v_cndmask_b32_e32 v4, v4, v5, vcc
; %bb.2029:
	s_or_b64 exec, exec, s[6:7]
	v_lshrrev_b32_e32 v1, 8, v1
	s_movk_i32 s6, 0x80
	v_and_or_b32 v1, v1, s6, v4
	global_store_byte v[2:3], v1, off
.LBB537_2030:
	s_mov_b64 s[6:7], 0
.LBB537_2031:
	s_andn2_b64 vcc, exec, s[6:7]
	s_cbranch_vccnz .LBB537_2041
; %bb.2032:
	v_lshlrev_b32_e32 v5, 16, v10
	v_and_b32_e32 v6, 0x7fffffff, v5
	s_mov_b32 s6, 0x47800000
	v_and_b32_e32 v1, 0xffff, v10
	v_cmp_gt_u32_e32 vcc, s6, v6
                                        ; implicit-def: $vgpr4
	s_and_saveexec_b64 s[6:7], vcc
	s_xor_b64 s[6:7], exec, s[6:7]
	s_cbranch_execz .LBB537_2038
; %bb.2033:
	s_mov_b32 s8, 0x387fffff
	v_cmp_lt_u32_e32 vcc, s8, v6
                                        ; implicit-def: $vgpr4
	s_and_saveexec_b64 s[8:9], vcc
	s_xor_b64 s[8:9], exec, s[8:9]
; %bb.2034:
	v_bfe_u32 v4, v1, 5, 1
	s_mov_b32 s10, 0x80fffff
	v_add3_u32 v4, v5, v4, s10
	v_lshrrev_b32_e32 v4, 21, v4
                                        ; implicit-def: $vgpr5
; %bb.2035:
	s_andn2_saveexec_b64 s[8:9], s[8:9]
; %bb.2036:
	s_mov_b32 s10, 0x43000000
	v_add_f32_e64 v4, |v5|, s10
; %bb.2037:
	s_or_b64 exec, exec, s[8:9]
                                        ; implicit-def: $vgpr6
.LBB537_2038:
	s_andn2_saveexec_b64 s[6:7], s[6:7]
; %bb.2039:
	s_mov_b32 s8, 0x7f800000
	v_mov_b32_e32 v4, 0x7c
	v_mov_b32_e32 v5, 0x7f
	v_cmp_lt_u32_e32 vcc, s8, v6
	s_nop 1
	v_cndmask_b32_e32 v4, v4, v5, vcc
; %bb.2040:
	s_or_b64 exec, exec, s[6:7]
	v_lshrrev_b32_e32 v1, 8, v1
	s_movk_i32 s6, 0x80
	v_and_or_b32 v1, v1, s6, v4
	global_store_byte v[2:3], v1, off
.LBB537_2041:
	s_mov_b64 s[6:7], 0
	s_mov_b64 s[8:9], -1
.LBB537_2042:
	s_andn2_b64 vcc, exec, s[6:7]
	s_mov_b64 s[6:7], 0
	s_cbranch_vccnz .LBB537_2049
; %bb.2043:
	s_cmp_gt_i32 s15, 14
	s_mov_b64 s[10:11], -1
	s_cbranch_scc0 .LBB537_2047
; %bb.2044:
	s_cmp_eq_u32 s15, 15
	s_mov_b64 s[0:1], -1
	s_cbranch_scc0 .LBB537_2046
; %bb.2045:
	global_store_short v[2:3], v10, off
	s_mov_b64 s[0:1], 0
	s_mov_b64 s[8:9], -1
.LBB537_2046:
	s_mov_b64 s[10:11], 0
.LBB537_2047:
	s_and_b64 vcc, exec, s[10:11]
	s_cbranch_vccz .LBB537_2049
; %bb.2048:
	s_cmp_lg_u32 s15, 11
	s_mov_b64 s[6:7], -1
	s_cselect_b64 s[0:1], -1, 0
.LBB537_2049:
	s_and_b64 vcc, exec, s[0:1]
	s_cbranch_vccnz .LBB537_2185
; %bb.2050:
	s_andn2_b64 vcc, exec, s[6:7]
	s_cbranch_vccnz .LBB537_2052
.LBB537_2051:
	v_and_b32_e32 v1, 0x7fff, v10
	v_cmp_ne_u16_e32 vcc, 0, v1
	s_mov_b64 s[8:9], -1
	s_nop 0
	v_cndmask_b32_e64 v1, 0, 1, vcc
	global_store_byte v[2:3], v1, off
.LBB537_2052:
	s_mov_b64 s[0:1], 0
	s_branch .LBB537_2054
.LBB537_2053:
	s_mov_b64 s[0:1], -1
	s_mov_b64 s[8:9], 0
.LBB537_2054:
	s_and_b64 vcc, exec, s[0:1]
	s_cbranch_vccz .LBB537_2093
; %bb.2055:
	s_and_b32 s6, 0xffff, s14
	s_cmp_lt_i32 s6, 5
	s_mov_b64 s[0:1], -1
	s_cbranch_scc1 .LBB537_2076
; %bb.2056:
	s_cmp_lt_i32 s6, 8
	s_cbranch_scc1 .LBB537_2066
; %bb.2057:
	s_cmp_lt_i32 s6, 9
	s_cbranch_scc1 .LBB537_2063
; %bb.2058:
	s_cmp_gt_i32 s6, 9
	s_cbranch_scc0 .LBB537_2060
; %bb.2059:
	v_lshlrev_b32_e32 v1, 16, v10
	v_mov_b32_e32 v6, 0
	v_cvt_f64_f32_e32 v[4:5], v1
	v_mov_b32_e32 v7, v6
	global_store_dwordx4 v[2:3], v[4:7], off
	s_mov_b64 s[0:1], 0
.LBB537_2060:
	s_andn2_b64 vcc, exec, s[0:1]
	s_cbranch_vccnz .LBB537_2062
; %bb.2061:
	v_lshlrev_b32_e32 v4, 16, v10
	v_mov_b32_e32 v5, 0
	global_store_dwordx2 v[2:3], v[4:5], off
.LBB537_2062:
	s_mov_b64 s[0:1], 0
.LBB537_2063:
	s_andn2_b64 vcc, exec, s[0:1]
	s_cbranch_vccnz .LBB537_2065
; %bb.2064:
	v_lshlrev_b32_e32 v1, 16, v10
	v_cvt_f16_f32_e32 v1, v1
	global_store_dword v[2:3], v1, off
.LBB537_2065:
	s_mov_b64 s[0:1], 0
.LBB537_2066:
	s_andn2_b64 vcc, exec, s[0:1]
	s_cbranch_vccnz .LBB537_2075
; %bb.2067:
	s_cmp_lt_i32 s6, 6
	s_mov_b64 s[0:1], -1
	s_cbranch_scc1 .LBB537_2073
; %bb.2068:
	s_cmp_gt_i32 s6, 6
	s_cbranch_scc0 .LBB537_2070
; %bb.2069:
	v_lshlrev_b32_e32 v1, 16, v10
	v_cvt_f64_f32_e32 v[4:5], v1
	global_store_dwordx2 v[2:3], v[4:5], off
	s_mov_b64 s[0:1], 0
.LBB537_2070:
	s_andn2_b64 vcc, exec, s[0:1]
	s_cbranch_vccnz .LBB537_2072
; %bb.2071:
	v_lshlrev_b32_e32 v1, 16, v10
	global_store_dword v[2:3], v1, off
.LBB537_2072:
	s_mov_b64 s[0:1], 0
.LBB537_2073:
	s_andn2_b64 vcc, exec, s[0:1]
	s_cbranch_vccnz .LBB537_2075
; %bb.2074:
	v_lshlrev_b32_e32 v1, 16, v10
	v_cvt_f16_f32_e32 v1, v1
	global_store_short v[2:3], v1, off
.LBB537_2075:
	s_mov_b64 s[0:1], 0
.LBB537_2076:
	s_andn2_b64 vcc, exec, s[0:1]
	s_cbranch_vccnz .LBB537_2092
; %bb.2077:
	s_cmp_lt_i32 s6, 2
	s_mov_b64 s[0:1], -1
	s_cbranch_scc1 .LBB537_2087
; %bb.2078:
	s_cmp_lt_i32 s6, 3
	s_cbranch_scc1 .LBB537_2084
; %bb.2079:
	s_cmp_gt_i32 s6, 3
	s_cbranch_scc0 .LBB537_2081
; %bb.2080:
	v_lshlrev_b32_e32 v1, 16, v10
	v_trunc_f32_e32 v1, v1
	s_mov_b32 s0, 0x2f800000
	v_mul_f32_e64 v4, |v1|, s0
	v_floor_f32_e32 v4, v4
	s_mov_b32 s0, 0xcf800000
	v_cvt_u32_f32_e32 v5, v4
	v_fma_f32 v4, v4, s0, |v1|
	v_cvt_u32_f32_e32 v4, v4
	v_ashrrev_i32_e32 v1, 31, v1
	v_xor_b32_e32 v5, v5, v1
	s_mov_b64 s[0:1], 0
	v_xor_b32_e32 v4, v4, v1
	v_sub_co_u32_e32 v4, vcc, v4, v1
	s_nop 1
	v_subb_co_u32_e32 v5, vcc, v5, v1, vcc
	global_store_dwordx2 v[2:3], v[4:5], off
.LBB537_2081:
	s_andn2_b64 vcc, exec, s[0:1]
	s_cbranch_vccnz .LBB537_2083
; %bb.2082:
	v_lshlrev_b32_e32 v1, 16, v10
	v_cvt_i32_f32_e32 v1, v1
	global_store_dword v[2:3], v1, off
.LBB537_2083:
	s_mov_b64 s[0:1], 0
.LBB537_2084:
	s_andn2_b64 vcc, exec, s[0:1]
	s_cbranch_vccnz .LBB537_2086
; %bb.2085:
	v_lshlrev_b32_e32 v1, 16, v10
	v_cvt_i32_f32_e32 v1, v1
	global_store_short v[2:3], v1, off
.LBB537_2086:
	s_mov_b64 s[0:1], 0
.LBB537_2087:
	s_andn2_b64 vcc, exec, s[0:1]
	s_cbranch_vccnz .LBB537_2092
; %bb.2088:
	s_cmp_gt_i32 s6, 0
	s_mov_b64 s[0:1], -1
	s_cbranch_scc0 .LBB537_2090
; %bb.2089:
	v_lshlrev_b32_e32 v1, 16, v10
	v_cvt_i32_f32_e32 v1, v1
	s_mov_b64 s[0:1], 0
	global_store_byte v[2:3], v1, off
.LBB537_2090:
	s_andn2_b64 vcc, exec, s[0:1]
	s_cbranch_vccnz .LBB537_2092
; %bb.2091:
	v_lshlrev_b32_e32 v1, 16, v10
	v_trunc_f32_e32 v1, v1
	s_mov_b32 s0, 0x2f800000
	v_mul_f32_e64 v4, |v1|, s0
	v_floor_f32_e32 v4, v4
	s_mov_b32 s0, 0xcf800000
	v_fma_f32 v4, v4, s0, |v1|
	v_cvt_u32_f32_e32 v4, v4
	v_ashrrev_i32_e32 v1, 31, v1
	v_xor_b32_e32 v4, v4, v1
	v_sub_u32_e32 v1, v4, v1
	global_store_byte v[2:3], v1, off
.LBB537_2092:
	s_mov_b64 s[8:9], -1
.LBB537_2093:
	s_andn2_b64 vcc, exec, s[8:9]
	s_cbranch_vccnz .LBB537_2170
; %bb.2094:
	v_mov_b32_e32 v1, 0
	s_cmp_lt_i32 s14, 11
	v_lshl_add_u64 v[0:1], s[4:5], 0, v[0:1]
	s_cbranch_scc1 .LBB537_2171
; %bb.2095:
	s_and_b32 s12, 0xffff, s14
	s_mov_b64 s[6:7], -1
	s_mov_b64 s[4:5], 0
	s_cmp_gt_i32 s12, 25
	s_mov_b64 s[0:1], 0
	s_cbranch_scc0 .LBB537_2128
; %bb.2096:
	s_cmp_gt_i32 s12, 28
	s_cbranch_scc0 .LBB537_2112
; %bb.2097:
	s_cmp_gt_i32 s12, 43
	;; [unrolled: 3-line block ×3, first 2 shown]
	s_cbranch_scc0 .LBB537_2102
; %bb.2099:
	s_cmp_eq_u32 s12, 46
	s_mov_b64 s[0:1], -1
	s_cbranch_scc0 .LBB537_2101
; %bb.2100:
	v_and_b32_e32 v2, 0xffff, v9
	global_store_dword v[0:1], v2, off
	s_mov_b64 s[0:1], 0
.LBB537_2101:
	s_mov_b64 s[6:7], 0
.LBB537_2102:
	s_and_b64 vcc, exec, s[6:7]
	s_cbranch_vccz .LBB537_2107
; %bb.2103:
	s_cmp_eq_u32 s12, 44
	s_mov_b64 s[0:1], -1
	s_cbranch_scc0 .LBB537_2107
; %bb.2104:
	v_and_b32_e32 v3, 0xffff, v9
	v_bfe_u32 v2, v3, 7, 8
	s_movk_i32 s0, 0xff
	v_cmp_ne_u32_e32 vcc, s0, v2
	v_mov_b32_e32 v4, 0xff
	s_and_saveexec_b64 s[6:7], vcc
	s_cbranch_execz .LBB537_2106
; %bb.2105:
	v_lshlrev_b32_e32 v5, 16, v3
	s_mov_b32 s0, 0x3f0000
	v_lshrrev_b32_e32 v4, 7, v3
	v_and_b32_e32 v3, 64, v3
	v_and_or_b32 v2, v5, s0, v2
	v_cmp_ne_u32_e32 vcc, 0, v3
	v_cmp_ne_u32_e64 s[0:1], 0, v2
	s_and_b64 s[0:1], vcc, s[0:1]
	s_nop 0
	v_cndmask_b32_e64 v2, 0, 1, s[0:1]
	v_add_u32_e32 v4, v4, v2
.LBB537_2106:
	s_or_b64 exec, exec, s[6:7]
	s_mov_b64 s[0:1], 0
	global_store_byte v[0:1], v4, off
.LBB537_2107:
	s_mov_b64 s[6:7], 0
.LBB537_2108:
	s_and_b64 vcc, exec, s[6:7]
	s_cbranch_vccz .LBB537_2111
; %bb.2109:
	s_cmp_eq_u32 s12, 29
	s_mov_b64 s[0:1], -1
	s_cbranch_scc0 .LBB537_2111
; %bb.2110:
	v_lshlrev_b32_e32 v2, 16, v9
	v_trunc_f32_e32 v2, v2
	v_mul_f32_e32 v3, 0x2f800000, v2
	v_floor_f32_e32 v4, v3
	v_fmamk_f32 v2, v4, 0xcf800000, v2
	v_cvt_u32_f32_e32 v3, v4
	v_cvt_u32_f32_e32 v2, v2
	s_mov_b64 s[0:1], 0
	global_store_dwordx2 v[0:1], v[2:3], off
.LBB537_2111:
	s_mov_b64 s[6:7], 0
.LBB537_2112:
	s_and_b64 vcc, exec, s[6:7]
	s_cbranch_vccz .LBB537_2127
; %bb.2113:
	s_cmp_lt_i32 s12, 27
	s_mov_b64 s[6:7], -1
	s_cbranch_scc1 .LBB537_2119
; %bb.2114:
	s_cmp_gt_i32 s12, 27
	s_cbranch_scc0 .LBB537_2116
; %bb.2115:
	v_lshlrev_b32_e32 v2, 16, v9
	v_cvt_u32_f32_e32 v2, v2
	s_mov_b64 s[6:7], 0
	global_store_dword v[0:1], v2, off
.LBB537_2116:
	s_andn2_b64 vcc, exec, s[6:7]
	s_cbranch_vccnz .LBB537_2118
; %bb.2117:
	v_lshlrev_b32_e32 v2, 16, v9
	v_cvt_u32_f32_e32 v2, v2
	global_store_short v[0:1], v2, off
.LBB537_2118:
	s_mov_b64 s[6:7], 0
.LBB537_2119:
	s_andn2_b64 vcc, exec, s[6:7]
	s_cbranch_vccnz .LBB537_2127
; %bb.2120:
	v_lshlrev_b32_e32 v4, 16, v9
	v_and_b32_e32 v3, 0x7fffffff, v4
	s_mov_b32 s6, 0x43800000
	v_cmp_gt_u32_e32 vcc, s6, v3
	v_mov_b32_e32 v5, 0x80
	s_and_saveexec_b64 s[6:7], vcc
	s_cbranch_execz .LBB537_2126
; %bb.2121:
	s_mov_b32 s8, 0x3bffffff
	v_and_b32_e32 v2, 0xffff, v9
	v_cmp_lt_u32_e32 vcc, s8, v3
	s_mov_b64 s[8:9], 0
                                        ; implicit-def: $vgpr3
	s_and_saveexec_b64 s[10:11], vcc
	s_xor_b64 s[10:11], exec, s[10:11]
	s_cbranch_execz .LBB537_2188
; %bb.2122:
	v_bfe_u32 v3, v2, 4, 1
	s_mov_b32 s13, 0x487ffff
	v_add3_u32 v3, v4, v3, s13
	s_mov_b64 s[8:9], exec
	v_lshrrev_b32_e32 v3, 20, v3
                                        ; implicit-def: $vgpr4
	s_andn2_saveexec_b64 s[10:11], s[10:11]
	s_cbranch_execnz .LBB537_2189
.LBB537_2123:
	s_or_b64 exec, exec, s[10:11]
	v_mov_b32_e32 v5, 0
	s_and_saveexec_b64 s[10:11], s[8:9]
.LBB537_2124:
	v_lshrrev_b32_e32 v2, 8, v2
	s_movk_i32 s8, 0x80
	v_and_or_b32 v5, v2, s8, v3
.LBB537_2125:
	s_or_b64 exec, exec, s[10:11]
.LBB537_2126:
	s_or_b64 exec, exec, s[6:7]
	global_store_byte v[0:1], v5, off
.LBB537_2127:
	s_mov_b64 s[6:7], 0
.LBB537_2128:
	s_and_b64 vcc, exec, s[6:7]
	s_cbranch_vccz .LBB537_2168
; %bb.2129:
	s_cmp_gt_i32 s12, 22
	s_mov_b64 s[4:5], -1
	s_cbranch_scc0 .LBB537_2161
; %bb.2130:
	s_cmp_lt_i32 s12, 24
	s_cbranch_scc1 .LBB537_2150
; %bb.2131:
	s_cmp_gt_i32 s12, 24
	s_cbranch_scc0 .LBB537_2139
; %bb.2132:
	v_lshlrev_b32_e32 v4, 16, v9
	v_and_b32_e32 v3, 0x7fffffff, v4
	s_mov_b32 s4, 0x47800000
	v_cmp_gt_u32_e32 vcc, s4, v3
	v_mov_b32_e32 v5, 0x80
	s_and_saveexec_b64 s[4:5], vcc
	s_cbranch_execz .LBB537_2138
; %bb.2133:
	s_mov_b32 s6, 0x37ffffff
	v_and_b32_e32 v2, 0xffff, v9
	v_cmp_lt_u32_e32 vcc, s6, v3
	s_mov_b64 s[6:7], 0
                                        ; implicit-def: $vgpr3
	s_and_saveexec_b64 s[8:9], vcc
	s_xor_b64 s[8:9], exec, s[8:9]
	s_cbranch_execz .LBB537_2191
; %bb.2134:
	v_bfe_u32 v3, v2, 5, 1
	s_mov_b32 s10, 0x88fffff
	v_add3_u32 v3, v4, v3, s10
	s_mov_b64 s[6:7], exec
	v_lshrrev_b32_e32 v3, 21, v3
                                        ; implicit-def: $vgpr4
	s_andn2_saveexec_b64 s[8:9], s[8:9]
	s_cbranch_execnz .LBB537_2192
.LBB537_2135:
	s_or_b64 exec, exec, s[8:9]
	v_mov_b32_e32 v5, 0
	s_and_saveexec_b64 s[8:9], s[6:7]
.LBB537_2136:
	v_lshrrev_b32_e32 v2, 8, v2
	s_movk_i32 s6, 0x80
	v_and_or_b32 v5, v2, s6, v3
.LBB537_2137:
	s_or_b64 exec, exec, s[8:9]
.LBB537_2138:
	s_or_b64 exec, exec, s[4:5]
	s_mov_b64 s[4:5], 0
	global_store_byte v[0:1], v5, off
.LBB537_2139:
	s_and_b64 vcc, exec, s[4:5]
	s_cbranch_vccz .LBB537_2149
; %bb.2140:
	v_lshlrev_b32_e32 v4, 16, v9
	v_and_b32_e32 v5, 0x7fffffff, v4
	s_mov_b32 s4, 0x43f00000
	v_and_b32_e32 v2, 0xffff, v9
	v_cmp_gt_u32_e32 vcc, s4, v5
                                        ; implicit-def: $vgpr3
	s_and_saveexec_b64 s[4:5], vcc
	s_xor_b64 s[4:5], exec, s[4:5]
	s_cbranch_execz .LBB537_2146
; %bb.2141:
	s_mov_b32 s6, 0x3c7fffff
	v_cmp_lt_u32_e32 vcc, s6, v5
                                        ; implicit-def: $vgpr3
	s_and_saveexec_b64 s[6:7], vcc
	s_xor_b64 s[6:7], exec, s[6:7]
; %bb.2142:
	v_bfe_u32 v3, v2, 4, 1
	s_mov_b32 s8, 0x407ffff
	v_add3_u32 v3, v4, v3, s8
	v_lshrrev_b32_e32 v4, 20, v3
	v_and_b32_e32 v3, 0xff00000, v3
	s_mov_b32 s8, 0x7f00000
	v_mov_b32_e32 v5, 0x7e
	v_cmp_ne_u32_e32 vcc, s8, v3
	s_nop 1
	v_cndmask_b32_e32 v3, v5, v4, vcc
                                        ; implicit-def: $vgpr4
; %bb.2143:
	s_andn2_saveexec_b64 s[6:7], s[6:7]
; %bb.2144:
	s_mov_b32 s8, 0x46800000
	v_add_f32_e64 v3, |v4|, s8
; %bb.2145:
	s_or_b64 exec, exec, s[6:7]
                                        ; implicit-def: $vgpr5
.LBB537_2146:
	s_andn2_saveexec_b64 s[4:5], s[4:5]
; %bb.2147:
	s_mov_b32 s6, 0x7f800000
	v_mov_b32_e32 v3, 0x7e
	v_mov_b32_e32 v4, 0x7f
	v_cmp_lt_u32_e32 vcc, s6, v5
	s_nop 1
	v_cndmask_b32_e32 v3, v3, v4, vcc
; %bb.2148:
	s_or_b64 exec, exec, s[4:5]
	v_lshrrev_b32_e32 v2, 8, v2
	s_movk_i32 s4, 0x80
	v_and_or_b32 v2, v2, s4, v3
	global_store_byte v[0:1], v2, off
.LBB537_2149:
	s_mov_b64 s[4:5], 0
.LBB537_2150:
	s_andn2_b64 vcc, exec, s[4:5]
	s_cbranch_vccnz .LBB537_2160
; %bb.2151:
	v_lshlrev_b32_e32 v4, 16, v9
	v_and_b32_e32 v5, 0x7fffffff, v4
	s_mov_b32 s4, 0x47800000
	v_and_b32_e32 v2, 0xffff, v9
	v_cmp_gt_u32_e32 vcc, s4, v5
                                        ; implicit-def: $vgpr3
	s_and_saveexec_b64 s[4:5], vcc
	s_xor_b64 s[4:5], exec, s[4:5]
	s_cbranch_execz .LBB537_2157
; %bb.2152:
	s_mov_b32 s6, 0x387fffff
	v_cmp_lt_u32_e32 vcc, s6, v5
                                        ; implicit-def: $vgpr3
	s_and_saveexec_b64 s[6:7], vcc
	s_xor_b64 s[6:7], exec, s[6:7]
; %bb.2153:
	v_bfe_u32 v3, v2, 5, 1
	s_mov_b32 s8, 0x80fffff
	v_add3_u32 v3, v4, v3, s8
	v_lshrrev_b32_e32 v3, 21, v3
                                        ; implicit-def: $vgpr4
; %bb.2154:
	s_andn2_saveexec_b64 s[6:7], s[6:7]
; %bb.2155:
	s_mov_b32 s8, 0x43000000
	v_add_f32_e64 v3, |v4|, s8
; %bb.2156:
	s_or_b64 exec, exec, s[6:7]
                                        ; implicit-def: $vgpr5
.LBB537_2157:
	s_andn2_saveexec_b64 s[4:5], s[4:5]
; %bb.2158:
	s_mov_b32 s6, 0x7f800000
	v_mov_b32_e32 v3, 0x7c
	v_mov_b32_e32 v4, 0x7f
	v_cmp_lt_u32_e32 vcc, s6, v5
	s_nop 1
	v_cndmask_b32_e32 v3, v3, v4, vcc
; %bb.2159:
	s_or_b64 exec, exec, s[4:5]
	v_lshrrev_b32_e32 v2, 8, v2
	s_movk_i32 s4, 0x80
	v_and_or_b32 v2, v2, s4, v3
	global_store_byte v[0:1], v2, off
.LBB537_2160:
	s_mov_b64 s[4:5], 0
.LBB537_2161:
	s_andn2_b64 vcc, exec, s[4:5]
	s_mov_b64 s[4:5], 0
	s_cbranch_vccnz .LBB537_2168
; %bb.2162:
	s_cmp_gt_i32 s12, 14
	s_mov_b64 s[6:7], -1
	s_cbranch_scc0 .LBB537_2166
; %bb.2163:
	s_cmp_eq_u32 s12, 15
	s_mov_b64 s[0:1], -1
	s_cbranch_scc0 .LBB537_2165
; %bb.2164:
	global_store_short v[0:1], v9, off
	s_mov_b64 s[0:1], 0
.LBB537_2165:
	s_mov_b64 s[6:7], 0
.LBB537_2166:
	s_and_b64 vcc, exec, s[6:7]
	s_cbranch_vccz .LBB537_2168
; %bb.2167:
	s_cmp_lg_u32 s12, 11
	s_mov_b64 s[4:5], -1
	s_cselect_b64 s[0:1], -1, 0
.LBB537_2168:
	s_and_b64 vcc, exec, s[0:1]
	s_cbranch_vccnz .LBB537_2190
.LBB537_2169:
	s_mov_b64 s[0:1], 0
	s_branch .LBB537_1771
.LBB537_2170:
	s_mov_b64 s[0:1], 0
                                        ; implicit-def: $vgpr0_vgpr1
                                        ; implicit-def: $sgpr14
	s_branch .LBB537_1770
.LBB537_2171:
	s_mov_b64 s[4:5], 0
	s_mov_b64 s[0:1], -1
	s_branch .LBB537_1771
.LBB537_2172:
	s_trap 2
	s_or_b64 s[2:3], s[2:3], exec
	s_cbranch_execz .LBB537_1635
	s_branch .LBB537_1636
.LBB537_2173:
	s_andn2_saveexec_b64 s[12:13], s[12:13]
	s_cbranch_execz .LBB537_1719
.LBB537_2174:
	s_mov_b32 s16, 0x46000000
	v_add_f32_e64 v8, |v11|, s16
	v_and_b32_e32 v8, 0xff, v8
	v_cmp_ne_u32_e32 vcc, 0, v8
	s_andn2_b64 s[10:11], s[10:11], exec
	s_and_b64 s[16:17], vcc, exec
	s_or_b64 s[10:11], s[10:11], s[16:17]
	s_or_b64 exec, exec, s[12:13]
	v_mov_b32_e32 v12, 0
	s_and_saveexec_b64 s[12:13], s[10:11]
	s_cbranch_execnz .LBB537_1720
	s_branch .LBB537_1721
.LBB537_2175:
	s_trap 2
	s_or_b64 s[2:3], s[2:3], exec
	s_cbranch_execz .LBB537_1767
	s_branch .LBB537_1768
.LBB537_2176:
	s_andn2_saveexec_b64 s[10:11], s[10:11]
	s_cbranch_execz .LBB537_1732
.LBB537_2177:
	s_mov_b32 s12, 0x42800000
	v_add_f32_e64 v8, |v11|, s12
	v_and_b32_e32 v8, 0xff, v8
	v_cmp_ne_u32_e32 vcc, 0, v8
	s_andn2_b64 s[8:9], s[8:9], exec
	s_and_b64 s[12:13], vcc, exec
	s_or_b64 s[8:9], s[8:9], s[12:13]
	s_or_b64 exec, exec, s[10:11]
	v_mov_b32_e32 v12, 0
	s_and_saveexec_b64 s[10:11], s[8:9]
	s_cbranch_execnz .LBB537_1733
	s_branch .LBB537_1734
.LBB537_2178:
	s_andn2_saveexec_b64 s[12:13], s[12:13]
	s_cbranch_execz .LBB537_1884
.LBB537_2179:
	s_mov_b32 s16, 0x46000000
	v_add_f32_e64 v6, |v7|, s16
	v_and_b32_e32 v6, 0xff, v6
	v_cmp_ne_u32_e32 vcc, 0, v6
	s_andn2_b64 s[10:11], s[10:11], exec
	s_and_b64 s[16:17], vcc, exec
	s_or_b64 s[10:11], s[10:11], s[16:17]
	s_or_b64 exec, exec, s[12:13]
	v_mov_b32_e32 v8, 0
	s_and_saveexec_b64 s[12:13], s[10:11]
	s_cbranch_execnz .LBB537_1885
	s_branch .LBB537_1886
.LBB537_2180:
	s_trap 2
	s_or_b64 s[2:3], s[2:3], exec
	s_cbranch_execz .LBB537_1932
	s_branch .LBB537_1933
.LBB537_2181:
	s_andn2_saveexec_b64 s[10:11], s[10:11]
	s_cbranch_execz .LBB537_1897
.LBB537_2182:
	s_mov_b32 s12, 0x42800000
	v_add_f32_e64 v6, |v7|, s12
	v_and_b32_e32 v6, 0xff, v6
	v_cmp_ne_u32_e32 vcc, 0, v6
	s_andn2_b64 s[8:9], s[8:9], exec
	s_and_b64 s[12:13], vcc, exec
	s_or_b64 s[8:9], s[8:9], s[12:13]
	s_or_b64 exec, exec, s[10:11]
	v_mov_b32_e32 v8, 0
	s_and_saveexec_b64 s[10:11], s[8:9]
	s_cbranch_execnz .LBB537_1898
	s_branch .LBB537_1899
.LBB537_2183:
	s_andn2_saveexec_b64 s[12:13], s[12:13]
	s_cbranch_execz .LBB537_2003
.LBB537_2184:
	s_mov_b32 s16, 0x46000000
	v_add_f32_e64 v4, |v5|, s16
	v_and_b32_e32 v4, 0xff, v4
	v_cmp_ne_u32_e32 vcc, 0, v4
	s_andn2_b64 s[10:11], s[10:11], exec
	s_and_b64 s[16:17], vcc, exec
	s_or_b64 s[10:11], s[10:11], s[16:17]
	s_or_b64 exec, exec, s[12:13]
	v_mov_b32_e32 v6, 0
	s_and_saveexec_b64 s[12:13], s[10:11]
	s_cbranch_execnz .LBB537_2004
	s_branch .LBB537_2005
.LBB537_2185:
	s_trap 2
	s_or_b64 s[2:3], s[2:3], exec
	s_cbranch_execz .LBB537_2051
	s_branch .LBB537_2052
.LBB537_2186:
	s_andn2_saveexec_b64 s[10:11], s[10:11]
	s_cbranch_execz .LBB537_2016
.LBB537_2187:
	s_mov_b32 s12, 0x42800000
	v_add_f32_e64 v4, |v5|, s12
	v_and_b32_e32 v4, 0xff, v4
	v_cmp_ne_u32_e32 vcc, 0, v4
	s_andn2_b64 s[8:9], s[8:9], exec
	s_and_b64 s[12:13], vcc, exec
	s_or_b64 s[8:9], s[8:9], s[12:13]
	s_or_b64 exec, exec, s[10:11]
	v_mov_b32_e32 v6, 0
	s_and_saveexec_b64 s[10:11], s[8:9]
	s_cbranch_execnz .LBB537_2017
	s_branch .LBB537_2018
.LBB537_2188:
	s_andn2_saveexec_b64 s[10:11], s[10:11]
	s_cbranch_execz .LBB537_2123
.LBB537_2189:
	s_mov_b32 s13, 0x46000000
	v_add_f32_e64 v3, |v4|, s13
	v_and_b32_e32 v3, 0xff, v3
	v_cmp_ne_u32_e32 vcc, 0, v3
	s_andn2_b64 s[8:9], s[8:9], exec
	s_and_b64 s[16:17], vcc, exec
	s_or_b64 s[8:9], s[8:9], s[16:17]
	s_or_b64 exec, exec, s[10:11]
	v_mov_b32_e32 v5, 0
	s_and_saveexec_b64 s[10:11], s[8:9]
	s_cbranch_execnz .LBB537_2124
	s_branch .LBB537_2125
.LBB537_2190:
	s_mov_b64 s[4:5], 0
	s_or_b64 s[2:3], s[2:3], exec
	s_trap 2
	s_branch .LBB537_2169
.LBB537_2191:
	s_andn2_saveexec_b64 s[8:9], s[8:9]
	s_cbranch_execz .LBB537_2135
.LBB537_2192:
	s_mov_b32 s10, 0x42800000
	v_add_f32_e64 v3, |v4|, s10
	v_and_b32_e32 v3, 0xff, v3
	v_cmp_ne_u32_e32 vcc, 0, v3
	s_andn2_b64 s[6:7], s[6:7], exec
	s_and_b64 s[10:11], vcc, exec
	s_or_b64 s[6:7], s[6:7], s[10:11]
	s_or_b64 exec, exec, s[8:9]
	v_mov_b32_e32 v5, 0
	s_and_saveexec_b64 s[8:9], s[6:7]
	s_cbranch_execnz .LBB537_2136
	s_branch .LBB537_2137
	.section	.rodata,"a",@progbits
	.p2align	6, 0x0
	.amdhsa_kernel _ZN2at6native32elementwise_kernel_manual_unrollILi128ELi4EZNS0_15gpu_kernel_implIZZZNS0_22nan_to_num_kernel_cudaERNS_18TensorIteratorBaseESt8optionalIdES6_S6_ENKUlvE0_clEvENKUlvE2_clEvEUlN3c108BFloat16EE_EEvS4_RKT_EUlibE0_EEviT1_
		.amdhsa_group_segment_fixed_size 0
		.amdhsa_private_segment_fixed_size 0
		.amdhsa_kernarg_size 360
		.amdhsa_user_sgpr_count 2
		.amdhsa_user_sgpr_dispatch_ptr 0
		.amdhsa_user_sgpr_queue_ptr 0
		.amdhsa_user_sgpr_kernarg_segment_ptr 1
		.amdhsa_user_sgpr_dispatch_id 0
		.amdhsa_user_sgpr_kernarg_preload_length 0
		.amdhsa_user_sgpr_kernarg_preload_offset 0
		.amdhsa_user_sgpr_private_segment_size 0
		.amdhsa_uses_dynamic_stack 0
		.amdhsa_enable_private_segment 0
		.amdhsa_system_sgpr_workgroup_id_x 1
		.amdhsa_system_sgpr_workgroup_id_y 0
		.amdhsa_system_sgpr_workgroup_id_z 0
		.amdhsa_system_sgpr_workgroup_info 0
		.amdhsa_system_vgpr_workitem_id 0
		.amdhsa_next_free_vgpr 18
		.amdhsa_next_free_sgpr 81
		.amdhsa_accum_offset 20
		.amdhsa_reserve_vcc 1
		.amdhsa_float_round_mode_32 0
		.amdhsa_float_round_mode_16_64 0
		.amdhsa_float_denorm_mode_32 3
		.amdhsa_float_denorm_mode_16_64 3
		.amdhsa_dx10_clamp 1
		.amdhsa_ieee_mode 1
		.amdhsa_fp16_overflow 0
		.amdhsa_tg_split 0
		.amdhsa_exception_fp_ieee_invalid_op 0
		.amdhsa_exception_fp_denorm_src 0
		.amdhsa_exception_fp_ieee_div_zero 0
		.amdhsa_exception_fp_ieee_overflow 0
		.amdhsa_exception_fp_ieee_underflow 0
		.amdhsa_exception_fp_ieee_inexact 0
		.amdhsa_exception_int_div_zero 0
	.end_amdhsa_kernel
	.section	.text._ZN2at6native32elementwise_kernel_manual_unrollILi128ELi4EZNS0_15gpu_kernel_implIZZZNS0_22nan_to_num_kernel_cudaERNS_18TensorIteratorBaseESt8optionalIdES6_S6_ENKUlvE0_clEvENKUlvE2_clEvEUlN3c108BFloat16EE_EEvS4_RKT_EUlibE0_EEviT1_,"axG",@progbits,_ZN2at6native32elementwise_kernel_manual_unrollILi128ELi4EZNS0_15gpu_kernel_implIZZZNS0_22nan_to_num_kernel_cudaERNS_18TensorIteratorBaseESt8optionalIdES6_S6_ENKUlvE0_clEvENKUlvE2_clEvEUlN3c108BFloat16EE_EEvS4_RKT_EUlibE0_EEviT1_,comdat
.Lfunc_end537:
	.size	_ZN2at6native32elementwise_kernel_manual_unrollILi128ELi4EZNS0_15gpu_kernel_implIZZZNS0_22nan_to_num_kernel_cudaERNS_18TensorIteratorBaseESt8optionalIdES6_S6_ENKUlvE0_clEvENKUlvE2_clEvEUlN3c108BFloat16EE_EEvS4_RKT_EUlibE0_EEviT1_, .Lfunc_end537-_ZN2at6native32elementwise_kernel_manual_unrollILi128ELi4EZNS0_15gpu_kernel_implIZZZNS0_22nan_to_num_kernel_cudaERNS_18TensorIteratorBaseESt8optionalIdES6_S6_ENKUlvE0_clEvENKUlvE2_clEvEUlN3c108BFloat16EE_EEvS4_RKT_EUlibE0_EEviT1_
                                        ; -- End function
	.set _ZN2at6native32elementwise_kernel_manual_unrollILi128ELi4EZNS0_15gpu_kernel_implIZZZNS0_22nan_to_num_kernel_cudaERNS_18TensorIteratorBaseESt8optionalIdES6_S6_ENKUlvE0_clEvENKUlvE2_clEvEUlN3c108BFloat16EE_EEvS4_RKT_EUlibE0_EEviT1_.num_vgpr, 18
	.set _ZN2at6native32elementwise_kernel_manual_unrollILi128ELi4EZNS0_15gpu_kernel_implIZZZNS0_22nan_to_num_kernel_cudaERNS_18TensorIteratorBaseESt8optionalIdES6_S6_ENKUlvE0_clEvENKUlvE2_clEvEUlN3c108BFloat16EE_EEvS4_RKT_EUlibE0_EEviT1_.num_agpr, 0
	.set _ZN2at6native32elementwise_kernel_manual_unrollILi128ELi4EZNS0_15gpu_kernel_implIZZZNS0_22nan_to_num_kernel_cudaERNS_18TensorIteratorBaseESt8optionalIdES6_S6_ENKUlvE0_clEvENKUlvE2_clEvEUlN3c108BFloat16EE_EEvS4_RKT_EUlibE0_EEviT1_.numbered_sgpr, 81
	.set _ZN2at6native32elementwise_kernel_manual_unrollILi128ELi4EZNS0_15gpu_kernel_implIZZZNS0_22nan_to_num_kernel_cudaERNS_18TensorIteratorBaseESt8optionalIdES6_S6_ENKUlvE0_clEvENKUlvE2_clEvEUlN3c108BFloat16EE_EEvS4_RKT_EUlibE0_EEviT1_.num_named_barrier, 0
	.set _ZN2at6native32elementwise_kernel_manual_unrollILi128ELi4EZNS0_15gpu_kernel_implIZZZNS0_22nan_to_num_kernel_cudaERNS_18TensorIteratorBaseESt8optionalIdES6_S6_ENKUlvE0_clEvENKUlvE2_clEvEUlN3c108BFloat16EE_EEvS4_RKT_EUlibE0_EEviT1_.private_seg_size, 0
	.set _ZN2at6native32elementwise_kernel_manual_unrollILi128ELi4EZNS0_15gpu_kernel_implIZZZNS0_22nan_to_num_kernel_cudaERNS_18TensorIteratorBaseESt8optionalIdES6_S6_ENKUlvE0_clEvENKUlvE2_clEvEUlN3c108BFloat16EE_EEvS4_RKT_EUlibE0_EEviT1_.uses_vcc, 1
	.set _ZN2at6native32elementwise_kernel_manual_unrollILi128ELi4EZNS0_15gpu_kernel_implIZZZNS0_22nan_to_num_kernel_cudaERNS_18TensorIteratorBaseESt8optionalIdES6_S6_ENKUlvE0_clEvENKUlvE2_clEvEUlN3c108BFloat16EE_EEvS4_RKT_EUlibE0_EEviT1_.uses_flat_scratch, 0
	.set _ZN2at6native32elementwise_kernel_manual_unrollILi128ELi4EZNS0_15gpu_kernel_implIZZZNS0_22nan_to_num_kernel_cudaERNS_18TensorIteratorBaseESt8optionalIdES6_S6_ENKUlvE0_clEvENKUlvE2_clEvEUlN3c108BFloat16EE_EEvS4_RKT_EUlibE0_EEviT1_.has_dyn_sized_stack, 0
	.set _ZN2at6native32elementwise_kernel_manual_unrollILi128ELi4EZNS0_15gpu_kernel_implIZZZNS0_22nan_to_num_kernel_cudaERNS_18TensorIteratorBaseESt8optionalIdES6_S6_ENKUlvE0_clEvENKUlvE2_clEvEUlN3c108BFloat16EE_EEvS4_RKT_EUlibE0_EEviT1_.has_recursion, 0
	.set _ZN2at6native32elementwise_kernel_manual_unrollILi128ELi4EZNS0_15gpu_kernel_implIZZZNS0_22nan_to_num_kernel_cudaERNS_18TensorIteratorBaseESt8optionalIdES6_S6_ENKUlvE0_clEvENKUlvE2_clEvEUlN3c108BFloat16EE_EEvS4_RKT_EUlibE0_EEviT1_.has_indirect_call, 0
	.section	.AMDGPU.csdata,"",@progbits
; Kernel info:
; codeLenInByte = 44264
; TotalNumSgprs: 87
; NumVgprs: 18
; NumAgprs: 0
; TotalNumVgprs: 18
; ScratchSize: 0
; MemoryBound: 0
; FloatMode: 240
; IeeeMode: 1
; LDSByteSize: 0 bytes/workgroup (compile time only)
; SGPRBlocks: 10
; VGPRBlocks: 2
; NumSGPRsForWavesPerEU: 87
; NumVGPRsForWavesPerEU: 18
; AccumOffset: 20
; Occupancy: 8
; WaveLimiterHint : 1
; COMPUTE_PGM_RSRC2:SCRATCH_EN: 0
; COMPUTE_PGM_RSRC2:USER_SGPR: 2
; COMPUTE_PGM_RSRC2:TRAP_HANDLER: 0
; COMPUTE_PGM_RSRC2:TGID_X_EN: 1
; COMPUTE_PGM_RSRC2:TGID_Y_EN: 0
; COMPUTE_PGM_RSRC2:TGID_Z_EN: 0
; COMPUTE_PGM_RSRC2:TIDIG_COMP_CNT: 0
; COMPUTE_PGM_RSRC3_GFX90A:ACCUM_OFFSET: 4
; COMPUTE_PGM_RSRC3_GFX90A:TG_SPLIT: 0
	.section	.text._ZN2at6native12_GLOBAL__N_145unrolled_elementwise_kernel_for_multi_outputsILi2EZZZNS0_17frexp_kernel_cudaERNS_18TensorIteratorBaseEENKUlvE_clEvENKUlvE_clEvEUldE_St5arrayIPcLm3EE23TrivialOffsetCalculatorILi1EjESB_ILi2EjEEEviT0_T1_T2_T3_,"axG",@progbits,_ZN2at6native12_GLOBAL__N_145unrolled_elementwise_kernel_for_multi_outputsILi2EZZZNS0_17frexp_kernel_cudaERNS_18TensorIteratorBaseEENKUlvE_clEvENKUlvE_clEvEUldE_St5arrayIPcLm3EE23TrivialOffsetCalculatorILi1EjESB_ILi2EjEEEviT0_T1_T2_T3_,comdat
	.globl	_ZN2at6native12_GLOBAL__N_145unrolled_elementwise_kernel_for_multi_outputsILi2EZZZNS0_17frexp_kernel_cudaERNS_18TensorIteratorBaseEENKUlvE_clEvENKUlvE_clEvEUldE_St5arrayIPcLm3EE23TrivialOffsetCalculatorILi1EjESB_ILi2EjEEEviT0_T1_T2_T3_ ; -- Begin function _ZN2at6native12_GLOBAL__N_145unrolled_elementwise_kernel_for_multi_outputsILi2EZZZNS0_17frexp_kernel_cudaERNS_18TensorIteratorBaseEENKUlvE_clEvENKUlvE_clEvEUldE_St5arrayIPcLm3EE23TrivialOffsetCalculatorILi1EjESB_ILi2EjEEEviT0_T1_T2_T3_
	.p2align	8
	.type	_ZN2at6native12_GLOBAL__N_145unrolled_elementwise_kernel_for_multi_outputsILi2EZZZNS0_17frexp_kernel_cudaERNS_18TensorIteratorBaseEENKUlvE_clEvENKUlvE_clEvEUldE_St5arrayIPcLm3EE23TrivialOffsetCalculatorILi1EjESB_ILi2EjEEEviT0_T1_T2_T3_,@function
_ZN2at6native12_GLOBAL__N_145unrolled_elementwise_kernel_for_multi_outputsILi2EZZZNS0_17frexp_kernel_cudaERNS_18TensorIteratorBaseEENKUlvE_clEvENKUlvE_clEvEUldE_St5arrayIPcLm3EE23TrivialOffsetCalculatorILi1EjESB_ILi2EjEEEviT0_T1_T2_T3_: ; @_ZN2at6native12_GLOBAL__N_145unrolled_elementwise_kernel_for_multi_outputsILi2EZZZNS0_17frexp_kernel_cudaERNS_18TensorIteratorBaseEENKUlvE_clEvENKUlvE_clEvEUldE_St5arrayIPcLm3EE23TrivialOffsetCalculatorILi1EjESB_ILi2EjEEEviT0_T1_T2_T3_
; %bb.0:
	s_load_dword s3, s[0:1], 0x0
	s_load_dwordx4 s[4:7], s[0:1], 0x8
	s_load_dwordx2 s[8:9], s[0:1], 0x18
	s_lshl_b32 s16, s2, 10
                                        ; implicit-def: $vgpr1
	s_waitcnt lgkmcnt(0)
	s_sub_i32 s17, s3, s16
	v_cmp_gt_i32_e32 vcc, s17, v0
	v_cmp_le_i32_e64 s[0:1], s17, v0
	s_and_saveexec_b64 s[2:3], s[0:1]
	s_xor_b64 s[0:1], exec, s[2:3]
; %bb.1:
	v_or_b32_e32 v1, 0x100, v0
; %bb.2:
	s_or_saveexec_b64 s[2:3], s[0:1]
	v_mov_b64_e32 v[4:5], 0
	v_or_b32_e32 v2, s16, v0
	v_mov_b64_e32 v[6:7], 0
	v_mov_b64_e32 v[8:9], 0
	;; [unrolled: 1-line block ×3, first 2 shown]
	s_xor_b64 exec, exec, s[2:3]
	s_cbranch_execz .LBB538_10
; %bb.3:
	v_mov_b32_e32 v3, 0
	v_lshl_add_u64 v[4:5], v[2:3], 3, s[8:9]
	global_load_dwordx2 v[10:11], v[4:5], off
	v_or_b32_e32 v1, 0x100, v0
	v_cmp_gt_u32_e64 s[0:1], s17, v1
	v_mov_b64_e32 v[8:9], 0
	v_mov_b64_e32 v[6:7], 0
	;; [unrolled: 1-line block ×3, first 2 shown]
	s_and_saveexec_b64 s[10:11], s[0:1]
	s_cbranch_execz .LBB538_9
; %bb.4:
	v_add_u32_e32 v4, s16, v1
	v_mov_b32_e32 v5, v3
	v_lshl_add_u64 v[4:5], v[4:5], 3, s[8:9]
	global_load_dwordx2 v[8:9], v[4:5], off
	v_or_b32_e32 v3, 0x200, v0
	v_cmp_gt_u32_e64 s[0:1], s17, v3
	v_mov_b64_e32 v[6:7], 0
	v_mov_b64_e32 v[4:5], 0
	s_and_saveexec_b64 s[12:13], s[0:1]
	s_cbranch_execz .LBB538_8
; %bb.5:
	v_add_u32_e32 v12, s16, v3
	v_mov_b32_e32 v13, 0
	v_lshl_add_u64 v[4:5], v[12:13], 3, s[8:9]
	global_load_dwordx2 v[6:7], v[4:5], off
	v_or_b32_e32 v3, 0x300, v0
	v_cmp_gt_u32_e64 s[0:1], s17, v3
	v_mov_b64_e32 v[4:5], 0
	s_and_saveexec_b64 s[14:15], s[0:1]
	s_cbranch_execz .LBB538_7
; %bb.6:
	v_add_u32_e32 v12, s16, v3
	v_lshl_add_u64 v[4:5], v[12:13], 3, s[8:9]
	global_load_dwordx2 v[4:5], v[4:5], off
.LBB538_7:
	s_or_b64 exec, exec, s[14:15]
.LBB538_8:
	s_or_b64 exec, exec, s[12:13]
.LBB538_9:
	s_or_b64 exec, exec, s[10:11]
.LBB538_10:
	s_or_b64 exec, exec, s[2:3]
	s_and_saveexec_b64 s[0:1], vcc
	s_cbranch_execz .LBB538_15
; %bb.11:
	v_mov_b32_e32 v3, 0
	s_waitcnt vmcnt(0)
	v_frexp_exp_i32_f64_e32 v14, v[10:11]
	v_frexp_mant_f64_e32 v[10:11], v[10:11]
	v_lshl_add_u64 v[12:13], v[2:3], 3, s[4:5]
	v_cmp_gt_u32_e32 vcc, s17, v1
	global_store_dwordx2 v[12:13], v[10:11], off
	v_lshl_add_u64 v[10:11], v[2:3], 2, s[6:7]
	global_store_dword v[10:11], v14, off
	s_and_b64 exec, exec, vcc
	s_cbranch_execz .LBB538_15
; %bb.12:
	v_frexp_exp_i32_f64_e32 v14, v[8:9]
	v_frexp_mant_f64_e32 v[10:11], v[8:9]
	v_or_b32_e32 v8, 0x200, v0
	v_add_u32_e32 v2, s16, v1
	v_cmp_gt_i32_e32 vcc, s17, v8
	v_lshl_add_u64 v[12:13], v[2:3], 3, s[4:5]
	v_lshl_add_u64 v[2:3], v[2:3], 2, s[6:7]
	global_store_dwordx2 v[12:13], v[10:11], off
	global_store_dword v[2:3], v14, off
	s_and_b64 exec, exec, vcc
	s_cbranch_execz .LBB538_15
; %bb.13:
	v_or_b32_e32 v2, 0x300, v0
	v_add_u32_e32 v0, s16, v8
	v_mov_b32_e32 v1, 0
	v_frexp_exp_i32_f64_e32 v3, v[6:7]
	v_frexp_mant_f64_e32 v[6:7], v[6:7]
	v_lshl_add_u64 v[8:9], v[0:1], 3, s[4:5]
	v_cmp_gt_i32_e32 vcc, s17, v2
	global_store_dwordx2 v[8:9], v[6:7], off
	v_lshl_add_u64 v[6:7], v[0:1], 2, s[6:7]
	global_store_dword v[6:7], v3, off
	s_and_b64 exec, exec, vcc
	s_cbranch_execz .LBB538_15
; %bb.14:
	v_add_u32_e32 v0, s16, v2
	v_frexp_exp_i32_f64_e32 v6, v[4:5]
	v_frexp_mant_f64_e32 v[4:5], v[4:5]
	v_lshl_add_u64 v[2:3], v[0:1], 3, s[4:5]
	v_lshl_add_u64 v[0:1], v[0:1], 2, s[6:7]
	global_store_dwordx2 v[2:3], v[4:5], off
	global_store_dword v[0:1], v6, off
.LBB538_15:
	s_endpgm
	.section	.rodata,"a",@progbits
	.p2align	6, 0x0
	.amdhsa_kernel _ZN2at6native12_GLOBAL__N_145unrolled_elementwise_kernel_for_multi_outputsILi2EZZZNS0_17frexp_kernel_cudaERNS_18TensorIteratorBaseEENKUlvE_clEvENKUlvE_clEvEUldE_St5arrayIPcLm3EE23TrivialOffsetCalculatorILi1EjESB_ILi2EjEEEviT0_T1_T2_T3_
		.amdhsa_group_segment_fixed_size 0
		.amdhsa_private_segment_fixed_size 0
		.amdhsa_kernarg_size 36
		.amdhsa_user_sgpr_count 2
		.amdhsa_user_sgpr_dispatch_ptr 0
		.amdhsa_user_sgpr_queue_ptr 0
		.amdhsa_user_sgpr_kernarg_segment_ptr 1
		.amdhsa_user_sgpr_dispatch_id 0
		.amdhsa_user_sgpr_kernarg_preload_length 0
		.amdhsa_user_sgpr_kernarg_preload_offset 0
		.amdhsa_user_sgpr_private_segment_size 0
		.amdhsa_uses_dynamic_stack 0
		.amdhsa_enable_private_segment 0
		.amdhsa_system_sgpr_workgroup_id_x 1
		.amdhsa_system_sgpr_workgroup_id_y 0
		.amdhsa_system_sgpr_workgroup_id_z 0
		.amdhsa_system_sgpr_workgroup_info 0
		.amdhsa_system_vgpr_workitem_id 0
		.amdhsa_next_free_vgpr 15
		.amdhsa_next_free_sgpr 18
		.amdhsa_accum_offset 16
		.amdhsa_reserve_vcc 1
		.amdhsa_float_round_mode_32 0
		.amdhsa_float_round_mode_16_64 0
		.amdhsa_float_denorm_mode_32 3
		.amdhsa_float_denorm_mode_16_64 3
		.amdhsa_dx10_clamp 1
		.amdhsa_ieee_mode 1
		.amdhsa_fp16_overflow 0
		.amdhsa_tg_split 0
		.amdhsa_exception_fp_ieee_invalid_op 0
		.amdhsa_exception_fp_denorm_src 0
		.amdhsa_exception_fp_ieee_div_zero 0
		.amdhsa_exception_fp_ieee_overflow 0
		.amdhsa_exception_fp_ieee_underflow 0
		.amdhsa_exception_fp_ieee_inexact 0
		.amdhsa_exception_int_div_zero 0
	.end_amdhsa_kernel
	.section	.text._ZN2at6native12_GLOBAL__N_145unrolled_elementwise_kernel_for_multi_outputsILi2EZZZNS0_17frexp_kernel_cudaERNS_18TensorIteratorBaseEENKUlvE_clEvENKUlvE_clEvEUldE_St5arrayIPcLm3EE23TrivialOffsetCalculatorILi1EjESB_ILi2EjEEEviT0_T1_T2_T3_,"axG",@progbits,_ZN2at6native12_GLOBAL__N_145unrolled_elementwise_kernel_for_multi_outputsILi2EZZZNS0_17frexp_kernel_cudaERNS_18TensorIteratorBaseEENKUlvE_clEvENKUlvE_clEvEUldE_St5arrayIPcLm3EE23TrivialOffsetCalculatorILi1EjESB_ILi2EjEEEviT0_T1_T2_T3_,comdat
.Lfunc_end538:
	.size	_ZN2at6native12_GLOBAL__N_145unrolled_elementwise_kernel_for_multi_outputsILi2EZZZNS0_17frexp_kernel_cudaERNS_18TensorIteratorBaseEENKUlvE_clEvENKUlvE_clEvEUldE_St5arrayIPcLm3EE23TrivialOffsetCalculatorILi1EjESB_ILi2EjEEEviT0_T1_T2_T3_, .Lfunc_end538-_ZN2at6native12_GLOBAL__N_145unrolled_elementwise_kernel_for_multi_outputsILi2EZZZNS0_17frexp_kernel_cudaERNS_18TensorIteratorBaseEENKUlvE_clEvENKUlvE_clEvEUldE_St5arrayIPcLm3EE23TrivialOffsetCalculatorILi1EjESB_ILi2EjEEEviT0_T1_T2_T3_
                                        ; -- End function
	.set _ZN2at6native12_GLOBAL__N_145unrolled_elementwise_kernel_for_multi_outputsILi2EZZZNS0_17frexp_kernel_cudaERNS_18TensorIteratorBaseEENKUlvE_clEvENKUlvE_clEvEUldE_St5arrayIPcLm3EE23TrivialOffsetCalculatorILi1EjESB_ILi2EjEEEviT0_T1_T2_T3_.num_vgpr, 15
	.set _ZN2at6native12_GLOBAL__N_145unrolled_elementwise_kernel_for_multi_outputsILi2EZZZNS0_17frexp_kernel_cudaERNS_18TensorIteratorBaseEENKUlvE_clEvENKUlvE_clEvEUldE_St5arrayIPcLm3EE23TrivialOffsetCalculatorILi1EjESB_ILi2EjEEEviT0_T1_T2_T3_.num_agpr, 0
	.set _ZN2at6native12_GLOBAL__N_145unrolled_elementwise_kernel_for_multi_outputsILi2EZZZNS0_17frexp_kernel_cudaERNS_18TensorIteratorBaseEENKUlvE_clEvENKUlvE_clEvEUldE_St5arrayIPcLm3EE23TrivialOffsetCalculatorILi1EjESB_ILi2EjEEEviT0_T1_T2_T3_.numbered_sgpr, 18
	.set _ZN2at6native12_GLOBAL__N_145unrolled_elementwise_kernel_for_multi_outputsILi2EZZZNS0_17frexp_kernel_cudaERNS_18TensorIteratorBaseEENKUlvE_clEvENKUlvE_clEvEUldE_St5arrayIPcLm3EE23TrivialOffsetCalculatorILi1EjESB_ILi2EjEEEviT0_T1_T2_T3_.num_named_barrier, 0
	.set _ZN2at6native12_GLOBAL__N_145unrolled_elementwise_kernel_for_multi_outputsILi2EZZZNS0_17frexp_kernel_cudaERNS_18TensorIteratorBaseEENKUlvE_clEvENKUlvE_clEvEUldE_St5arrayIPcLm3EE23TrivialOffsetCalculatorILi1EjESB_ILi2EjEEEviT0_T1_T2_T3_.private_seg_size, 0
	.set _ZN2at6native12_GLOBAL__N_145unrolled_elementwise_kernel_for_multi_outputsILi2EZZZNS0_17frexp_kernel_cudaERNS_18TensorIteratorBaseEENKUlvE_clEvENKUlvE_clEvEUldE_St5arrayIPcLm3EE23TrivialOffsetCalculatorILi1EjESB_ILi2EjEEEviT0_T1_T2_T3_.uses_vcc, 1
	.set _ZN2at6native12_GLOBAL__N_145unrolled_elementwise_kernel_for_multi_outputsILi2EZZZNS0_17frexp_kernel_cudaERNS_18TensorIteratorBaseEENKUlvE_clEvENKUlvE_clEvEUldE_St5arrayIPcLm3EE23TrivialOffsetCalculatorILi1EjESB_ILi2EjEEEviT0_T1_T2_T3_.uses_flat_scratch, 0
	.set _ZN2at6native12_GLOBAL__N_145unrolled_elementwise_kernel_for_multi_outputsILi2EZZZNS0_17frexp_kernel_cudaERNS_18TensorIteratorBaseEENKUlvE_clEvENKUlvE_clEvEUldE_St5arrayIPcLm3EE23TrivialOffsetCalculatorILi1EjESB_ILi2EjEEEviT0_T1_T2_T3_.has_dyn_sized_stack, 0
	.set _ZN2at6native12_GLOBAL__N_145unrolled_elementwise_kernel_for_multi_outputsILi2EZZZNS0_17frexp_kernel_cudaERNS_18TensorIteratorBaseEENKUlvE_clEvENKUlvE_clEvEUldE_St5arrayIPcLm3EE23TrivialOffsetCalculatorILi1EjESB_ILi2EjEEEviT0_T1_T2_T3_.has_recursion, 0
	.set _ZN2at6native12_GLOBAL__N_145unrolled_elementwise_kernel_for_multi_outputsILi2EZZZNS0_17frexp_kernel_cudaERNS_18TensorIteratorBaseEENKUlvE_clEvENKUlvE_clEvEUldE_St5arrayIPcLm3EE23TrivialOffsetCalculatorILi1EjESB_ILi2EjEEEviT0_T1_T2_T3_.has_indirect_call, 0
	.section	.AMDGPU.csdata,"",@progbits
; Kernel info:
; codeLenInByte = 544
; TotalNumSgprs: 24
; NumVgprs: 15
; NumAgprs: 0
; TotalNumVgprs: 15
; ScratchSize: 0
; MemoryBound: 0
; FloatMode: 240
; IeeeMode: 1
; LDSByteSize: 0 bytes/workgroup (compile time only)
; SGPRBlocks: 2
; VGPRBlocks: 1
; NumSGPRsForWavesPerEU: 24
; NumVGPRsForWavesPerEU: 15
; AccumOffset: 16
; Occupancy: 8
; WaveLimiterHint : 0
; COMPUTE_PGM_RSRC2:SCRATCH_EN: 0
; COMPUTE_PGM_RSRC2:USER_SGPR: 2
; COMPUTE_PGM_RSRC2:TRAP_HANDLER: 0
; COMPUTE_PGM_RSRC2:TGID_X_EN: 1
; COMPUTE_PGM_RSRC2:TGID_Y_EN: 0
; COMPUTE_PGM_RSRC2:TGID_Z_EN: 0
; COMPUTE_PGM_RSRC2:TIDIG_COMP_CNT: 0
; COMPUTE_PGM_RSRC3_GFX90A:ACCUM_OFFSET: 3
; COMPUTE_PGM_RSRC3_GFX90A:TG_SPLIT: 0
	.section	.text._ZN2at6native12_GLOBAL__N_145unrolled_elementwise_kernel_for_multi_outputsILi2EZZZNS0_17frexp_kernel_cudaERNS_18TensorIteratorBaseEENKUlvE_clEvENKUlvE_clEvEUldE_St5arrayIPcLm3EE16OffsetCalculatorILi1EjLb0EESB_ILi2EjLb0EEEEviT0_T1_T2_T3_,"axG",@progbits,_ZN2at6native12_GLOBAL__N_145unrolled_elementwise_kernel_for_multi_outputsILi2EZZZNS0_17frexp_kernel_cudaERNS_18TensorIteratorBaseEENKUlvE_clEvENKUlvE_clEvEUldE_St5arrayIPcLm3EE16OffsetCalculatorILi1EjLb0EESB_ILi2EjLb0EEEEviT0_T1_T2_T3_,comdat
	.globl	_ZN2at6native12_GLOBAL__N_145unrolled_elementwise_kernel_for_multi_outputsILi2EZZZNS0_17frexp_kernel_cudaERNS_18TensorIteratorBaseEENKUlvE_clEvENKUlvE_clEvEUldE_St5arrayIPcLm3EE16OffsetCalculatorILi1EjLb0EESB_ILi2EjLb0EEEEviT0_T1_T2_T3_ ; -- Begin function _ZN2at6native12_GLOBAL__N_145unrolled_elementwise_kernel_for_multi_outputsILi2EZZZNS0_17frexp_kernel_cudaERNS_18TensorIteratorBaseEENKUlvE_clEvENKUlvE_clEvEUldE_St5arrayIPcLm3EE16OffsetCalculatorILi1EjLb0EESB_ILi2EjLb0EEEEviT0_T1_T2_T3_
	.p2align	8
	.type	_ZN2at6native12_GLOBAL__N_145unrolled_elementwise_kernel_for_multi_outputsILi2EZZZNS0_17frexp_kernel_cudaERNS_18TensorIteratorBaseEENKUlvE_clEvENKUlvE_clEvEUldE_St5arrayIPcLm3EE16OffsetCalculatorILi1EjLb0EESB_ILi2EjLb0EEEEviT0_T1_T2_T3_,@function
_ZN2at6native12_GLOBAL__N_145unrolled_elementwise_kernel_for_multi_outputsILi2EZZZNS0_17frexp_kernel_cudaERNS_18TensorIteratorBaseEENKUlvE_clEvENKUlvE_clEvEUldE_St5arrayIPcLm3EE16OffsetCalculatorILi1EjLb0EESB_ILi2EjLb0EEEEviT0_T1_T2_T3_: ; @_ZN2at6native12_GLOBAL__N_145unrolled_elementwise_kernel_for_multi_outputsILi2EZZZNS0_17frexp_kernel_cudaERNS_18TensorIteratorBaseEENKUlvE_clEvENKUlvE_clEvEUldE_St5arrayIPcLm3EE16OffsetCalculatorILi1EjLb0EESB_ILi2EjLb0EEEEviT0_T1_T2_T3_
; %bb.0:
	s_load_dword s3, s[0:1], 0x0
	s_load_dwordx4 s[16:19], s[0:1], 0x8
	s_load_dwordx8 s[4:11], s[0:1], 0x164
	s_load_dwordx2 s[20:21], s[0:1], 0x18
	s_load_dwordx8 s[36:43], s[0:1], 0x184
	s_load_dwordx8 s[44:51], s[0:1], 0x60
	s_lshl_b32 s28, s2, 10
	s_waitcnt lgkmcnt(0)
	v_mov_b64_e32 v[2:3], s[8:9]
	v_mov_b64_e32 v[4:5], s[10:11]
	s_load_dwordx8 s[8:15], s[0:1], 0x1a4
	scratch_store_dwordx4 off, v[2:5], off offset:368
	s_load_dword s2, s[0:1], 0x264
	s_sub_i32 s29, s3, s28
	v_mov_b64_e32 v[2:3], s[36:37]
	v_mov_b64_e32 v[4:5], s[38:39]
	scratch_store_dwordx4 off, v[2:5], off offset:384
	s_waitcnt lgkmcnt(0)
	v_mov_b32_e32 v1, s2
	scratch_store_dword off, v1, off offset:608
	v_mov_b64_e32 v[2:3], s[40:41]
	v_mov_b64_e32 v[4:5], s[42:43]
	s_load_dwordx8 s[36:43], s[0:1], 0x1c4
	scratch_store_dwordx4 off, v[2:5], off offset:400
	v_cmp_gt_i32_e32 vcc, s29, v0
                                        ; implicit-def: $vgpr20
	s_nop 0
	v_mov_b64_e32 v[2:3], s[8:9]
	v_mov_b64_e32 v[4:5], s[10:11]
	scratch_store_dwordx4 off, v[2:5], off offset:416
	s_nop 1
	v_mov_b64_e32 v[2:3], s[12:13]
	v_mov_b64_e32 v[4:5], s[14:15]
	s_load_dwordx8 s[8:15], s[0:1], 0x1e4
	scratch_store_dwordx4 off, v[2:5], off offset:432
	s_waitcnt lgkmcnt(0)
	s_nop 0
	v_mov_b64_e32 v[2:3], s[36:37]
	v_mov_b64_e32 v[4:5], s[38:39]
	scratch_store_dwordx4 off, v[2:5], off offset:448
	s_nop 1
	v_mov_b64_e32 v[2:3], s[40:41]
	v_mov_b64_e32 v[4:5], s[42:43]
	s_load_dwordx8 s[36:43], s[0:1], 0x204
	scratch_store_dwordx4 off, v[2:5], off offset:464
	s_nop 1
	v_mov_b64_e32 v[2:3], s[8:9]
	v_mov_b64_e32 v[4:5], s[10:11]
	scratch_store_dwordx4 off, v[2:5], off offset:480
	s_nop 1
	v_mov_b64_e32 v[2:3], s[12:13]
	v_mov_b64_e32 v[4:5], s[14:15]
	s_load_dwordx8 s[8:15], s[0:1], 0x224
	scratch_store_dwordx4 off, v[2:5], off offset:496
	s_waitcnt lgkmcnt(0)
	s_nop 0
	v_mov_b64_e32 v[2:3], s[36:37]
	v_mov_b64_e32 v[4:5], s[38:39]
	scratch_store_dwordx4 off, v[2:5], off offset:512
	s_nop 1
	v_mov_b64_e32 v[2:3], s[40:41]
	v_mov_b64_e32 v[4:5], s[42:43]
	s_load_dwordx8 s[36:43], s[0:1], 0x244
	scratch_store_dwordx4 off, v[2:5], off offset:528
	;; [unrolled: 19-line block ×3, first 2 shown]
	s_nop 1
	v_mov_b64_e32 v[2:3], s[8:9]
	v_mov_b64_e32 v[4:5], s[10:11]
	scratch_store_dwordx4 off, v[2:5], off offset:288
	s_nop 1
	v_mov_b64_e32 v[2:3], s[12:13]
	v_mov_b64_e32 v[4:5], s[14:15]
	scratch_store_dwordx4 off, v[2:5], off offset:304
	s_load_dwordx8 s[8:15], s[0:1], 0x20
	s_waitcnt lgkmcnt(0)
	v_mov_b64_e32 v[2:3], s[36:37]
	v_mov_b64_e32 v[4:5], s[38:39]
	scratch_store_dwordx4 off, v[2:5], off offset:320
	s_nop 1
	v_mov_b64_e32 v[2:3], s[40:41]
	v_mov_b64_e32 v[4:5], s[42:43]
	s_load_dwordx8 s[36:43], s[0:1], 0x40
	scratch_store_dwordx4 off, v[2:5], off offset:336
	s_nop 1
	v_mov_b64_e32 v[2:3], s[4:5]
	v_mov_b64_e32 v[4:5], s[6:7]
	scratch_store_dwordx4 off, v[2:5], off offset:352
	s_nop 1
	v_mov_b64_e32 v[2:3], s[12:13]
	v_mov_b64_e32 v[4:5], s[14:15]
	scratch_store_dwordx4 off, v[2:5], off offset:44
	s_waitcnt lgkmcnt(0)
	s_nop 0
	v_mov_b64_e32 v[2:3], s[36:37]
	v_mov_b64_e32 v[4:5], s[38:39]
	scratch_store_dwordx4 off, v[2:5], off offset:60
	s_nop 1
	v_mov_b64_e32 v[2:3], s[40:41]
	v_mov_b64_e32 v[4:5], s[42:43]
	s_load_dwordx8 s[36:43], s[0:1], 0x80
	scratch_store_dwordx4 off, v[2:5], off offset:76
	s_nop 1
	v_mov_b64_e32 v[2:3], s[44:45]
	v_mov_b64_e32 v[4:5], s[46:47]
	scratch_store_dwordx4 off, v[2:5], off offset:92
	s_nop 1
	v_mov_b64_e32 v[2:3], s[48:49]
	v_mov_b64_e32 v[4:5], s[50:51]
	s_load_dwordx8 s[44:51], s[0:1], 0xa0
	scratch_store_dwordx4 off, v[2:5], off offset:108
	s_waitcnt lgkmcnt(0)
	s_nop 0
	v_mov_b64_e32 v[2:3], s[36:37]
	v_mov_b64_e32 v[4:5], s[38:39]
	scratch_store_dwordx4 off, v[2:5], off offset:124
	s_nop 1
	v_mov_b64_e32 v[2:3], s[40:41]
	v_mov_b64_e32 v[4:5], s[42:43]
	s_load_dwordx8 s[36:43], s[0:1], 0xc0
	scratch_store_dwordx4 off, v[2:5], off offset:140
	s_nop 1
	v_mov_b64_e32 v[2:3], s[44:45]
	v_mov_b64_e32 v[4:5], s[46:47]
	scratch_store_dwordx4 off, v[2:5], off offset:156
	s_nop 1
	v_mov_b64_e32 v[2:3], s[48:49]
	v_mov_b64_e32 v[4:5], s[50:51]
	s_load_dwordx8 s[44:51], s[0:1], 0xe0
	scratch_store_dwordx4 off, v[2:5], off offset:172
	s_waitcnt lgkmcnt(0)
	s_nop 0
	v_mov_b64_e32 v[2:3], s[36:37]
	v_mov_b64_e32 v[4:5], s[38:39]
	scratch_store_dwordx4 off, v[2:5], off offset:188
	s_nop 1
	v_mov_b64_e32 v[2:3], s[40:41]
	v_mov_b64_e32 v[4:5], s[42:43]
	s_load_dwordx8 s[36:43], s[0:1], 0x100
	scratch_store_dwordx4 off, v[2:5], off offset:204
	s_load_dword s0, s[0:1], 0x120
	s_waitcnt lgkmcnt(0)
	v_mov_b32_e32 v1, s0
	v_mov_b64_e32 v[2:3], s[44:45]
	v_mov_b64_e32 v[4:5], s[46:47]
	scratch_store_dwordx4 off, v[2:5], off offset:220
	v_cmp_le_i32_e64 s[0:1], s29, v0
	scratch_store_dword off, v1, off offset:284
	v_mov_b64_e32 v[2:3], s[48:49]
	v_mov_b64_e32 v[4:5], s[50:51]
	scratch_store_dwordx4 off, v[2:5], off offset:236
	s_nop 1
	v_mov_b64_e32 v[2:3], s[36:37]
	v_mov_b64_e32 v[4:5], s[38:39]
	scratch_store_dwordx4 off, v[2:5], off offset:252
	s_nop 1
	;; [unrolled: 4-line block ×3, first 2 shown]
	v_mov_b64_e32 v[2:3], s[8:9]
	v_mov_b64_e32 v[4:5], s[10:11]
	scratch_store_dwordx4 off, v[2:5], off offset:28
	s_and_saveexec_b64 s[2:3], s[0:1]
	s_xor_b64 s[0:1], exec, s[2:3]
; %bb.1:
	v_or_b32_e32 v20, 0x100, v0
; %bb.2:
	s_or_saveexec_b64 s[6:7], s[0:1]
	v_mov_b64_e32 v[16:17], 0
	v_or_b32_e32 v9, s28, v0
	v_mov_b64_e32 v[14:15], 0
	v_mov_b64_e32 v[12:13], 0
	;; [unrolled: 1-line block ×3, first 2 shown]
	s_xor_b64 exec, exec, s[6:7]
	s_cbranch_execz .LBB539_74
; %bb.3:
	scratch_load_dwordx4 v[2:5], off, off offset:28
	scratch_load_dwordx2 v[18:19], off, off offset:224
	scratch_load_dwordx3 v[6:8], off, off offset:44
	v_mov_b32_e32 v10, 0
	v_or_b32_e32 v12, s28, v0
	s_waitcnt vmcnt(2)
	v_subrev_co_u32_e64 v1, s[2:3], 1, v2
	v_cmp_lt_u32_e64 s[0:1], 1, v2
	s_xor_b64 s[10:11], s[2:3], -1
	v_cmp_lt_u32_e64 s[2:3], 1, v1
	v_min_u32_e32 v2, 15, v1
	s_and_saveexec_b64 s[4:5], s[2:3]
	s_xor_b64 s[8:9], exec, s[4:5]
	s_cbranch_execz .LBB539_15
; %bb.4:
	s_and_saveexec_b64 s[12:13], s[10:11]
	s_cbranch_execz .LBB539_14
; %bb.5:
	v_add_u32_e32 v13, 1, v2
	v_cmp_ne_u32_e64 s[4:5], 2, v1
	v_mov_b32_e32 v10, 0
	v_mov_b32_e32 v11, 0
	s_and_saveexec_b64 s[14:15], s[4:5]
	s_cbranch_execz .LBB539_9
; %bb.6:
	v_and_b32_e32 v11, 28, v13
	s_mov_b32 s24, 0
	s_mov_b64 s[22:23], 0
	v_mov_b32_e32 v10, 0
	s_mov_b32 s25, 0
	s_mov_b32 s26, 0
.LBB539_7:                              ; =>This Inner Loop Header: Depth=1
	s_add_i32 s27, s25, 32
	s_add_i32 s5, s24, 0xe0
	;; [unrolled: 1-line block ×4, first 2 shown]
	scratch_load_dwordx4 v[14:17], off, s27
	scratch_load_dwordx4 v[20:23], off, s30
	;; [unrolled: 1-line block ×4, first 2 shown]
	s_add_i32 s26, s26, 4
	s_add_i32 s25, s25, 48
	;; [unrolled: 1-line block ×3, first 2 shown]
	v_cmp_eq_u32_e64 s[4:5], s26, v11
	s_or_b64 s[22:23], s[4:5], s[22:23]
	s_waitcnt vmcnt(3)
	v_mul_hi_u32 v15, v15, v12
	v_add_u32_e32 v15, v12, v15
	v_lshrrev_b32_e32 v15, v16, v15
	v_mul_lo_u32 v14, v15, v14
	s_waitcnt vmcnt(2)
	v_mul_hi_u32 v16, v20, v15
	v_sub_u32_e32 v12, v12, v14
	v_add_u32_e32 v14, v15, v16
	v_lshrrev_b32_e32 v14, v21, v14
	v_mul_lo_u32 v16, v14, v17
	v_mul_hi_u32 v17, v23, v14
	v_sub_u32_e32 v15, v15, v16
	v_add_u32_e32 v16, v14, v17
	s_waitcnt vmcnt(0)
	v_mul_lo_u32 v12, v12, v28
	v_mul_lo_u32 v15, v15, v29
	v_lshrrev_b32_e32 v16, v24, v16
	v_add3_u32 v10, v12, v10, v15
	v_mul_lo_u32 v12, v16, v22
	v_mul_hi_u32 v15, v26, v16
	v_sub_u32_e32 v12, v14, v12
	v_add_u32_e32 v14, v16, v15
	v_mul_lo_u32 v15, v12, v30
	v_lshrrev_b32_e32 v12, v27, v14
	v_mul_lo_u32 v14, v12, v25
	v_sub_u32_e32 v14, v16, v14
	v_mul_lo_u32 v14, v14, v31
	v_add3_u32 v10, v15, v10, v14
	s_andn2_b64 exec, exec, s[22:23]
	s_cbranch_execnz .LBB539_7
; %bb.8:
	s_or_b64 exec, exec, s[22:23]
.LBB539_9:
	s_or_b64 exec, exec, s[14:15]
	v_and_b32_e32 v13, 3, v13
	v_cmp_ne_u32_e64 s[4:5], 0, v13
	s_and_saveexec_b64 s[14:15], s[4:5]
	s_cbranch_execz .LBB539_13
; %bb.10:
	v_mov_b32_e32 v15, 0
	v_lshl_add_u32 v14, v11, 2, v15
	v_add_u32_e32 v14, 0xe0, v14
	v_mad_u32_u24 v15, v11, 12, v15
	s_mov_b64 s[22:23], 0
.LBB539_11:                             ; =>This Inner Loop Header: Depth=1
	v_add_u32_e32 v11, 32, v15
	scratch_load_dwordx3 v[20:22], v11, off
	scratch_load_dword v16, v14, off
	v_add_u32_e32 v13, -1, v13
	v_cmp_eq_u32_e64 s[4:5], 0, v13
	v_add_u32_e32 v14, 4, v14
	v_add_u32_e32 v15, 12, v15
	s_or_b64 s[22:23], s[4:5], s[22:23]
	s_waitcnt vmcnt(1)
	v_mul_hi_u32 v11, v21, v12
	v_add_u32_e32 v11, v12, v11
	v_lshrrev_b32_e32 v11, v22, v11
	v_mul_lo_u32 v17, v11, v20
	v_sub_u32_e32 v17, v12, v17
	v_mov_b32_e32 v12, v11
	s_waitcnt vmcnt(0)
	v_mad_u64_u32 v[10:11], s[4:5], v17, v16, v[10:11]
	s_andn2_b64 exec, exec, s[22:23]
	s_cbranch_execnz .LBB539_11
; %bb.12:
	s_or_b64 exec, exec, s[22:23]
.LBB539_13:
	s_or_b64 exec, exec, s[14:15]
.LBB539_14:
	s_or_b64 exec, exec, s[12:13]
                                        ; implicit-def: $vgpr12
.LBB539_15:
	s_andn2_saveexec_b64 s[4:5], s[8:9]
	s_cbranch_execz .LBB539_19
; %bb.16:
	v_mul_hi_u32 v10, v4, v12
	v_add_u32_e32 v10, v12, v10
	v_lshrrev_b32_e32 v11, v5, v10
	v_mul_lo_u32 v10, v11, v3
	v_sub_u32_e32 v10, v12, v10
	s_waitcnt vmcnt(1)
	v_mul_lo_u32 v10, v10, v18
	s_and_saveexec_b64 s[8:9], s[0:1]
	s_cbranch_execz .LBB539_18
; %bb.17:
	s_waitcnt vmcnt(0)
	v_mul_hi_u32 v12, v11, v7
	v_add_u32_e32 v12, v11, v12
	v_lshrrev_b32_e32 v12, v8, v12
	v_mul_lo_u32 v12, v12, v6
	v_sub_u32_e32 v11, v11, v12
	v_mad_u64_u32 v[10:11], s[12:13], v11, v19, v[10:11]
.LBB539_18:
	s_or_b64 exec, exec, s[8:9]
.LBB539_19:
	s_or_b64 exec, exec, s[4:5]
	v_mov_b32_e32 v11, 0
	v_lshl_add_u64 v[10:11], v[10:11], 3, s[20:21]
	global_load_dwordx2 v[16:17], v[10:11], off
	v_or_b32_e32 v20, 0x100, v0
	v_cmp_gt_u32_e64 s[4:5], s29, v20
	v_mov_b64_e32 v[14:15], 0
	v_mov_b64_e32 v[12:13], 0
	;; [unrolled: 1-line block ×3, first 2 shown]
	s_and_saveexec_b64 s[8:9], s[4:5]
	s_cbranch_execz .LBB539_73
; %bb.20:
	v_add_u32_e32 v12, s28, v20
                                        ; implicit-def: $vgpr10
	s_and_saveexec_b64 s[4:5], s[2:3]
	s_xor_b64 s[12:13], exec, s[4:5]
	s_cbranch_execz .LBB539_32
; %bb.21:
	v_mov_b32_e32 v10, 0
	s_and_saveexec_b64 s[14:15], s[10:11]
	s_cbranch_execz .LBB539_31
; %bb.22:
	v_add_u32_e32 v13, 1, v2
	v_cmp_ne_u32_e64 s[4:5], 2, v1
	v_mov_b32_e32 v10, 0
	v_mov_b32_e32 v11, 0
	s_and_saveexec_b64 s[22:23], s[4:5]
	s_cbranch_execz .LBB539_26
; %bb.23:
	v_and_b32_e32 v11, 28, v13
	s_mov_b32 s26, 0
	s_mov_b64 s[24:25], 0
	v_mov_b32_e32 v10, 0
	s_mov_b32 s27, 0
	s_mov_b32 s30, 0
.LBB539_24:                             ; =>This Inner Loop Header: Depth=1
	s_add_i32 s31, s27, 32
	s_add_i32 s5, s26, 0xe0
	;; [unrolled: 1-line block ×4, first 2 shown]
	scratch_load_dwordx4 v[22:25], off, s31
	scratch_load_dwordx4 v[26:29], off, s33
	;; [unrolled: 1-line block ×4, first 2 shown]
	s_add_i32 s30, s30, 4
	s_add_i32 s27, s27, 48
	;; [unrolled: 1-line block ×3, first 2 shown]
	v_cmp_eq_u32_e64 s[4:5], s30, v11
	s_or_b64 s[24:25], s[4:5], s[24:25]
	s_waitcnt vmcnt(3)
	v_mul_hi_u32 v14, v23, v12
	v_add_u32_e32 v14, v12, v14
	v_lshrrev_b32_e32 v14, v24, v14
	v_mul_lo_u32 v15, v14, v22
	s_waitcnt vmcnt(2)
	v_mul_hi_u32 v21, v26, v14
	v_sub_u32_e32 v12, v12, v15
	v_add_u32_e32 v15, v14, v21
	v_lshrrev_b32_e32 v15, v27, v15
	v_mul_lo_u32 v21, v15, v25
	v_mul_hi_u32 v22, v29, v15
	v_sub_u32_e32 v14, v14, v21
	v_add_u32_e32 v21, v15, v22
	s_waitcnt vmcnt(0)
	v_mul_lo_u32 v12, v12, v34
	v_mul_lo_u32 v14, v14, v35
	v_lshrrev_b32_e32 v21, v30, v21
	v_add3_u32 v10, v12, v10, v14
	v_mul_lo_u32 v12, v21, v28
	v_mul_hi_u32 v14, v32, v21
	v_sub_u32_e32 v12, v15, v12
	v_add_u32_e32 v14, v21, v14
	v_mul_lo_u32 v15, v12, v36
	v_lshrrev_b32_e32 v12, v33, v14
	v_mul_lo_u32 v14, v12, v31
	v_sub_u32_e32 v14, v21, v14
	v_mul_lo_u32 v14, v14, v37
	v_add3_u32 v10, v15, v10, v14
	s_andn2_b64 exec, exec, s[24:25]
	s_cbranch_execnz .LBB539_24
; %bb.25:
	s_or_b64 exec, exec, s[24:25]
.LBB539_26:
	s_or_b64 exec, exec, s[22:23]
	v_and_b32_e32 v13, 3, v13
	v_cmp_ne_u32_e64 s[4:5], 0, v13
	s_and_saveexec_b64 s[22:23], s[4:5]
	s_cbranch_execz .LBB539_30
; %bb.27:
	v_mov_b32_e32 v15, 0
	v_lshl_add_u32 v14, v11, 2, v15
	v_add_u32_e32 v14, 0xe0, v14
	v_mad_u32_u24 v15, v11, 12, v15
	s_mov_b64 s[24:25], 0
.LBB539_28:                             ; =>This Inner Loop Header: Depth=1
	v_add_u32_e32 v11, 32, v15
	scratch_load_dwordx3 v[22:24], v11, off
	scratch_load_dword v21, v14, off
	v_add_u32_e32 v13, -1, v13
	v_cmp_eq_u32_e64 s[4:5], 0, v13
	v_add_u32_e32 v14, 4, v14
	v_add_u32_e32 v15, 12, v15
	s_or_b64 s[24:25], s[4:5], s[24:25]
	s_waitcnt vmcnt(1)
	v_mul_hi_u32 v11, v23, v12
	v_add_u32_e32 v11, v12, v11
	v_lshrrev_b32_e32 v11, v24, v11
	v_mul_lo_u32 v22, v11, v22
	v_sub_u32_e32 v22, v12, v22
	v_mov_b32_e32 v12, v11
	s_waitcnt vmcnt(0)
	v_mad_u64_u32 v[10:11], s[4:5], v22, v21, v[10:11]
	s_andn2_b64 exec, exec, s[24:25]
	s_cbranch_execnz .LBB539_28
; %bb.29:
	s_or_b64 exec, exec, s[24:25]
.LBB539_30:
	s_or_b64 exec, exec, s[22:23]
.LBB539_31:
	s_or_b64 exec, exec, s[14:15]
                                        ; implicit-def: $vgpr12
.LBB539_32:
	s_andn2_saveexec_b64 s[4:5], s[12:13]
	s_cbranch_execz .LBB539_36
; %bb.33:
	v_mul_hi_u32 v10, v4, v12
	v_add_u32_e32 v10, v12, v10
	v_lshrrev_b32_e32 v11, v5, v10
	v_mul_lo_u32 v10, v11, v3
	v_sub_u32_e32 v10, v12, v10
	s_waitcnt vmcnt(2)
	v_mul_lo_u32 v10, v10, v18
	s_and_saveexec_b64 s[12:13], s[0:1]
	s_cbranch_execz .LBB539_35
; %bb.34:
	s_waitcnt vmcnt(1)
	v_mul_hi_u32 v12, v11, v7
	v_add_u32_e32 v12, v11, v12
	v_lshrrev_b32_e32 v12, v8, v12
	v_mul_lo_u32 v12, v12, v6
	v_sub_u32_e32 v11, v11, v12
	v_mad_u64_u32 v[10:11], s[14:15], v11, v19, v[10:11]
.LBB539_35:
	s_or_b64 exec, exec, s[12:13]
.LBB539_36:
	s_or_b64 exec, exec, s[4:5]
	v_mov_b32_e32 v11, 0
	v_lshl_add_u64 v[10:11], v[10:11], 3, s[20:21]
	global_load_dwordx2 v[14:15], v[10:11], off
	v_or_b32_e32 v21, 0x200, v0
	v_cmp_gt_u32_e64 s[4:5], s29, v21
	v_mov_b64_e32 v[12:13], 0
	v_mov_b64_e32 v[10:11], 0
	s_and_saveexec_b64 s[12:13], s[4:5]
	s_cbranch_execz .LBB539_72
; %bb.37:
	v_add_u32_e32 v12, s28, v21
                                        ; implicit-def: $vgpr10
	s_and_saveexec_b64 s[4:5], s[2:3]
	s_xor_b64 s[14:15], exec, s[4:5]
	s_cbranch_execz .LBB539_49
; %bb.38:
	v_mov_b32_e32 v10, 0
	s_and_saveexec_b64 s[22:23], s[10:11]
	s_cbranch_execz .LBB539_48
; %bb.39:
	v_add_u32_e32 v13, 1, v2
	v_cmp_ne_u32_e64 s[4:5], 2, v1
	v_mov_b32_e32 v10, 0
	v_mov_b32_e32 v11, 0
	s_and_saveexec_b64 s[24:25], s[4:5]
	s_cbranch_execz .LBB539_43
; %bb.40:
	v_and_b32_e32 v11, 28, v13
	s_mov_b32 s30, 0
	s_mov_b64 s[26:27], 0
	v_mov_b32_e32 v10, 0
	s_mov_b32 s31, 0
	s_mov_b32 s33, 0
.LBB539_41:                             ; =>This Inner Loop Header: Depth=1
	s_add_i32 s34, s31, 32
	s_add_i32 s5, s30, 0xe0
	;; [unrolled: 1-line block ×4, first 2 shown]
	scratch_load_dwordx4 v[22:25], off, s34
	scratch_load_dwordx4 v[26:29], off, s35
	;; [unrolled: 1-line block ×4, first 2 shown]
	s_add_i32 s33, s33, 4
	s_add_i32 s31, s31, 48
	;; [unrolled: 1-line block ×3, first 2 shown]
	v_cmp_eq_u32_e64 s[4:5], s33, v11
	s_or_b64 s[26:27], s[4:5], s[26:27]
	s_waitcnt vmcnt(3)
	v_mul_hi_u32 v21, v23, v12
	v_add_u32_e32 v21, v12, v21
	v_lshrrev_b32_e32 v21, v24, v21
	v_mul_lo_u32 v22, v21, v22
	s_waitcnt vmcnt(2)
	v_mul_hi_u32 v23, v26, v21
	v_sub_u32_e32 v12, v12, v22
	v_add_u32_e32 v22, v21, v23
	v_lshrrev_b32_e32 v22, v27, v22
	v_mul_lo_u32 v23, v22, v25
	v_mul_hi_u32 v24, v29, v22
	v_sub_u32_e32 v21, v21, v23
	v_add_u32_e32 v23, v22, v24
	s_waitcnt vmcnt(0)
	v_mul_lo_u32 v12, v12, v34
	v_mul_lo_u32 v21, v21, v35
	v_lshrrev_b32_e32 v23, v30, v23
	v_add3_u32 v10, v12, v10, v21
	v_mul_lo_u32 v12, v23, v28
	v_mul_hi_u32 v21, v32, v23
	v_sub_u32_e32 v12, v22, v12
	v_add_u32_e32 v21, v23, v21
	v_mul_lo_u32 v22, v12, v36
	v_lshrrev_b32_e32 v12, v33, v21
	v_mul_lo_u32 v21, v12, v31
	v_sub_u32_e32 v21, v23, v21
	v_mul_lo_u32 v21, v21, v37
	v_add3_u32 v10, v22, v10, v21
	s_andn2_b64 exec, exec, s[26:27]
	s_cbranch_execnz .LBB539_41
; %bb.42:
	s_or_b64 exec, exec, s[26:27]
.LBB539_43:
	s_or_b64 exec, exec, s[24:25]
	v_and_b32_e32 v13, 3, v13
	v_cmp_ne_u32_e64 s[4:5], 0, v13
	s_and_saveexec_b64 s[24:25], s[4:5]
	s_cbranch_execz .LBB539_47
; %bb.44:
	v_mov_b32_e32 v22, 0
	v_lshl_add_u32 v21, v11, 2, v22
	v_add_u32_e32 v21, 0xe0, v21
	v_mad_u32_u24 v22, v11, 12, v22
	s_mov_b64 s[26:27], 0
.LBB539_45:                             ; =>This Inner Loop Header: Depth=1
	v_add_u32_e32 v11, 32, v22
	scratch_load_dwordx3 v[24:26], v11, off
	scratch_load_dword v23, v21, off
	v_add_u32_e32 v13, -1, v13
	v_cmp_eq_u32_e64 s[4:5], 0, v13
	v_add_u32_e32 v21, 4, v21
	v_add_u32_e32 v22, 12, v22
	s_or_b64 s[26:27], s[4:5], s[26:27]
	s_waitcnt vmcnt(1)
	v_mul_hi_u32 v11, v25, v12
	v_add_u32_e32 v11, v12, v11
	v_lshrrev_b32_e32 v11, v26, v11
	v_mul_lo_u32 v24, v11, v24
	v_sub_u32_e32 v24, v12, v24
	v_mov_b32_e32 v12, v11
	s_waitcnt vmcnt(0)
	v_mad_u64_u32 v[10:11], s[4:5], v24, v23, v[10:11]
	s_andn2_b64 exec, exec, s[26:27]
	s_cbranch_execnz .LBB539_45
; %bb.46:
	s_or_b64 exec, exec, s[26:27]
.LBB539_47:
	s_or_b64 exec, exec, s[24:25]
.LBB539_48:
	s_or_b64 exec, exec, s[22:23]
                                        ; implicit-def: $vgpr12
.LBB539_49:
	s_andn2_saveexec_b64 s[4:5], s[14:15]
	s_cbranch_execz .LBB539_53
; %bb.50:
	v_mul_hi_u32 v10, v4, v12
	v_add_u32_e32 v10, v12, v10
	v_lshrrev_b32_e32 v11, v5, v10
	v_mul_lo_u32 v10, v11, v3
	v_sub_u32_e32 v10, v12, v10
	s_waitcnt vmcnt(3)
	v_mul_lo_u32 v10, v10, v18
	s_and_saveexec_b64 s[14:15], s[0:1]
	s_cbranch_execz .LBB539_52
; %bb.51:
	s_waitcnt vmcnt(2)
	v_mul_hi_u32 v12, v11, v7
	v_add_u32_e32 v12, v11, v12
	v_lshrrev_b32_e32 v12, v8, v12
	v_mul_lo_u32 v12, v12, v6
	v_sub_u32_e32 v11, v11, v12
	v_mad_u64_u32 v[10:11], s[22:23], v11, v19, v[10:11]
.LBB539_52:
	s_or_b64 exec, exec, s[14:15]
.LBB539_53:
	s_or_b64 exec, exec, s[4:5]
	v_mov_b32_e32 v11, 0
	v_lshl_add_u64 v[10:11], v[10:11], 3, s[20:21]
	global_load_dwordx2 v[12:13], v[10:11], off
	v_or_b32_e32 v21, 0x300, v0
	v_cmp_gt_u32_e64 s[4:5], s29, v21
	v_mov_b64_e32 v[10:11], 0
	s_and_saveexec_b64 s[14:15], s[4:5]
	s_cbranch_execz .LBB539_71
; %bb.54:
	v_add_u32_e32 v21, s28, v21
                                        ; implicit-def: $vgpr10
	s_and_saveexec_b64 s[4:5], s[2:3]
	s_xor_b64 s[4:5], exec, s[4:5]
	s_cbranch_execz .LBB539_66
; %bb.55:
	v_mov_b32_e32 v10, 0
	s_and_saveexec_b64 s[22:23], s[10:11]
	s_cbranch_execz .LBB539_65
; %bb.56:
	v_add_u32_e32 v2, 1, v2
	v_cmp_ne_u32_e64 s[2:3], 2, v1
	v_mov_b32_e32 v10, 0
	v_mov_b32_e32 v1, 0
	s_and_saveexec_b64 s[10:11], s[2:3]
	s_cbranch_execz .LBB539_60
; %bb.57:
	v_and_b32_e32 v1, 28, v2
	s_mov_b32 s26, 0
	s_mov_b64 s[24:25], 0
	v_mov_b32_e32 v10, 0
	s_mov_b32 s27, 0
	s_mov_b32 s30, 0
.LBB539_58:                             ; =>This Inner Loop Header: Depth=1
	s_add_i32 s31, s27, 32
	s_add_i32 s3, s26, 0xe0
	;; [unrolled: 1-line block ×4, first 2 shown]
	scratch_load_dwordx4 v[4:7], off, s31
	scratch_load_dwordx4 v[22:25], off, s33
	scratch_load_dwordx4 v[26:29], off, s2
	scratch_load_dwordx4 v[30:33], off, s3
	s_add_i32 s30, s30, 4
	s_add_i32 s27, s27, 48
	;; [unrolled: 1-line block ×3, first 2 shown]
	v_cmp_eq_u32_e64 s[2:3], s30, v1
	s_or_b64 s[24:25], s[2:3], s[24:25]
	s_waitcnt vmcnt(3)
	v_mul_hi_u32 v3, v5, v21
	v_add_u32_e32 v3, v21, v3
	v_lshrrev_b32_e32 v3, v6, v3
	s_waitcnt vmcnt(2)
	v_mul_hi_u32 v5, v22, v3
	v_add_u32_e32 v5, v3, v5
	v_lshrrev_b32_e32 v5, v23, v5
	v_mul_lo_u32 v4, v3, v4
	v_mul_lo_u32 v6, v5, v7
	v_mul_hi_u32 v7, v25, v5
	v_sub_u32_e32 v4, v21, v4
	v_sub_u32_e32 v3, v3, v6
	v_add_u32_e32 v6, v5, v7
	s_waitcnt vmcnt(0)
	v_mul_lo_u32 v4, v4, v30
	v_mul_lo_u32 v3, v3, v31
	v_lshrrev_b32_e32 v6, v26, v6
	v_add3_u32 v3, v4, v10, v3
	v_mul_lo_u32 v4, v6, v24
	v_mul_hi_u32 v7, v28, v6
	v_sub_u32_e32 v4, v5, v4
	v_add_u32_e32 v5, v6, v7
	v_lshrrev_b32_e32 v21, v29, v5
	v_mul_lo_u32 v5, v21, v27
	v_sub_u32_e32 v5, v6, v5
	v_mul_lo_u32 v4, v4, v32
	v_mul_lo_u32 v5, v5, v33
	v_add3_u32 v10, v4, v3, v5
	s_andn2_b64 exec, exec, s[24:25]
	s_cbranch_execnz .LBB539_58
; %bb.59:
	s_or_b64 exec, exec, s[24:25]
.LBB539_60:
	s_or_b64 exec, exec, s[10:11]
	v_and_b32_e32 v2, 3, v2
	v_cmp_ne_u32_e64 s[2:3], 0, v2
	s_and_saveexec_b64 s[10:11], s[2:3]
	s_cbranch_execz .LBB539_64
; %bb.61:
	v_mov_b32_e32 v4, 0
	v_lshl_add_u32 v3, v1, 2, v4
	v_add_u32_e32 v3, 0xe0, v3
	v_mad_u32_u24 v1, v1, 12, v4
	s_mov_b64 s[24:25], 0
.LBB539_62:                             ; =>This Inner Loop Header: Depth=1
	s_waitcnt vmcnt(3)
	v_add_u32_e32 v7, 32, v1
	scratch_load_dwordx3 v[4:6], v7, off
	scratch_load_dword v8, v3, off
	v_add_u32_e32 v2, -1, v2
	v_cmp_eq_u32_e64 s[2:3], 0, v2
	v_add_u32_e32 v3, 4, v3
	v_add_u32_e32 v1, 12, v1
	s_or_b64 s[24:25], s[2:3], s[24:25]
	s_waitcnt vmcnt(1)
	v_mul_hi_u32 v5, v5, v21
	v_add_u32_e32 v5, v21, v5
	v_lshrrev_b32_e32 v5, v6, v5
	v_mul_lo_u32 v4, v5, v4
	v_sub_u32_e32 v4, v21, v4
	v_mov_b32_e32 v21, v5
	s_waitcnt vmcnt(0)
	v_mad_u64_u32 v[10:11], s[2:3], v4, v8, v[10:11]
	s_andn2_b64 exec, exec, s[24:25]
	s_cbranch_execnz .LBB539_62
; %bb.63:
	s_or_b64 exec, exec, s[24:25]
.LBB539_64:
	s_or_b64 exec, exec, s[10:11]
.LBB539_65:
	s_or_b64 exec, exec, s[22:23]
                                        ; implicit-def: $vgpr2_vgpr3_vgpr4_vgpr5
                                        ; implicit-def: $vgpr21
                                        ; implicit-def: $vgpr18_vgpr19
                                        ; implicit-def: $vgpr6_vgpr7_vgpr8
.LBB539_66:
	s_andn2_saveexec_b64 s[2:3], s[4:5]
	s_cbranch_execz .LBB539_70
; %bb.67:
	v_mul_hi_u32 v1, v4, v21
	v_add_u32_e32 v1, v21, v1
	v_lshrrev_b32_e32 v1, v5, v1
	v_mul_lo_u32 v2, v1, v3
	v_sub_u32_e32 v2, v21, v2
	s_waitcnt vmcnt(4)
	v_mul_lo_u32 v10, v2, v18
	s_and_saveexec_b64 s[4:5], s[0:1]
	s_cbranch_execz .LBB539_69
; %bb.68:
	s_waitcnt vmcnt(3)
	v_mul_hi_u32 v2, v1, v7
	v_add_u32_e32 v2, v1, v2
	v_lshrrev_b32_e32 v2, v8, v2
	v_mul_lo_u32 v2, v2, v6
	v_sub_u32_e32 v1, v1, v2
	v_mad_u64_u32 v[10:11], s[0:1], v1, v19, v[10:11]
.LBB539_69:
	s_or_b64 exec, exec, s[4:5]
.LBB539_70:
	s_or_b64 exec, exec, s[2:3]
	v_mov_b32_e32 v11, 0
	v_lshl_add_u64 v[2:3], v[10:11], 3, s[20:21]
	global_load_dwordx2 v[10:11], v[2:3], off
.LBB539_71:
	s_or_b64 exec, exec, s[14:15]
.LBB539_72:
	s_or_b64 exec, exec, s[12:13]
.LBB539_73:
	s_or_b64 exec, exec, s[8:9]
.LBB539_74:
	s_or_b64 exec, exec, s[6:7]
	s_and_saveexec_b64 s[0:1], vcc
	s_cbranch_execz .LBB539_143
; %bb.75:
	scratch_load_dword v6, off, off offset:288
                                        ; implicit-def: $vgpr4
                                        ; implicit-def: $vgpr2
	s_waitcnt vmcnt(0)
	v_add_u32_e32 v7, -1, v6
	v_cmp_lt_u32_e32 vcc, 1, v7
	s_and_saveexec_b64 s[0:1], vcc
	s_xor_b64 s[2:3], exec, s[0:1]
	s_cbranch_execz .LBB539_87
; %bb.76:
	v_mov_b32_e32 v4, 0
	v_cmp_ne_u32_e64 s[0:1], 0, v6
	v_mov_b32_e32 v2, 0
	s_and_saveexec_b64 s[4:5], s[0:1]
	s_cbranch_execz .LBB539_86
; %bb.77:
	v_min_u32_e32 v1, 15, v7
	v_mov_b32_e32 v2, 0
	v_add_u32_e32 v5, 1, v1
	v_cmp_ne_u32_e64 s[0:1], 2, v7
	s_mov_b32 s10, 0
	v_mov_b32_e32 v1, v2
	v_mov_b32_e32 v3, v2
                                        ; implicit-def: $vgpr4
	s_and_saveexec_b64 s[6:7], s[0:1]
	s_cbranch_execz .LBB539_81
; %bb.78:
	v_and_b32_e32 v3, 28, v5
	s_mov_b64 s[8:9], 0
	v_mov_b32_e32 v2, 0
	v_mov_b32_e32 v4, 0
	s_mov_b32 s11, 0
	s_mov_b32 s12, 0
.LBB539_79:                             ; =>This Inner Loop Header: Depth=1
	s_add_i32 s13, s11, 0x124
	s_add_i32 s14, s10, 0x1e4
	;; [unrolled: 1-line block ×5, first 2 shown]
	scratch_load_dwordx4 v[22:25], off, s13
	scratch_load_dwordx4 v[26:29], off, s15
	;; [unrolled: 1-line block ×5, first 2 shown]
	s_add_i32 s12, s12, 4
	s_add_i32 s11, s11, 48
	;; [unrolled: 1-line block ×3, first 2 shown]
	v_cmp_eq_u32_e64 s[0:1], s12, v3
	s_or_b64 s[8:9], s[0:1], s[8:9]
	s_waitcnt vmcnt(4)
	v_mul_hi_u32 v1, v23, v9
	v_add_u32_e32 v1, v9, v1
	v_lshrrev_b32_e32 v1, v24, v1
	v_mul_lo_u32 v8, v1, v22
	s_waitcnt vmcnt(3)
	v_mul_hi_u32 v18, v26, v1
	v_sub_u32_e32 v8, v9, v8
	v_add_u32_e32 v9, v1, v18
	v_lshrrev_b32_e32 v9, v27, v9
	v_mul_lo_u32 v19, v9, v25
	v_mul_hi_u32 v21, v29, v9
	v_sub_u32_e32 v1, v1, v19
	v_add_u32_e32 v19, v9, v21
	s_waitcnt vmcnt(2)
	v_mul_lo_u32 v18, v8, v31
	v_mul_lo_u32 v8, v8, v30
	;; [unrolled: 1-line block ×4, first 2 shown]
	s_waitcnt vmcnt(1)
	v_lshrrev_b32_e32 v19, v34, v19
	v_add3_u32 v1, v8, v2, v1
	v_mul_hi_u32 v8, v36, v19
	v_add3_u32 v2, v18, v4, v21
	v_mul_lo_u32 v4, v19, v28
	v_add_u32_e32 v8, v19, v8
	v_sub_u32_e32 v4, v9, v4
	v_lshrrev_b32_e32 v9, v37, v8
	v_mul_lo_u32 v8, v9, v35
	v_sub_u32_e32 v8, v19, v8
	s_waitcnt vmcnt(0)
	v_mul_lo_u32 v18, v4, v38
	v_mul_lo_u32 v4, v4, v39
	v_mul_lo_u32 v19, v8, v40
	v_mul_lo_u32 v8, v8, v41
	v_add3_u32 v4, v4, v2, v8
	v_add3_u32 v2, v18, v1, v19
	s_andn2_b64 exec, exec, s[8:9]
	s_cbranch_execnz .LBB539_79
; %bb.80:
	s_or_b64 exec, exec, s[8:9]
	v_mov_b32_e32 v1, v4
.LBB539_81:
	s_or_b64 exec, exec, s[6:7]
	v_and_b32_e32 v8, 3, v5
	v_cmp_ne_u32_e64 s[0:1], 0, v8
	s_and_saveexec_b64 s[6:7], s[0:1]
	s_cbranch_execz .LBB539_85
; %bb.82:
	v_mov_b32_e32 v4, 0
	v_lshl_add_u32 v5, v3, 3, v4
	v_add_u32_e32 v18, 0x1e4, v5
	v_mad_u32_u24 v19, v3, 12, v4
	s_mov_b64 s[8:9], 0
.LBB539_83:                             ; =>This Inner Loop Header: Depth=1
	v_add_u32_e32 v3, 0x124, v19
	scratch_load_dwordx3 v[22:24], v3, off
	scratch_load_dwordx2 v[26:27], v18, off
	v_mov_b32_e32 v4, v1
	v_add_u32_e32 v8, -1, v8
	v_cmp_eq_u32_e64 s[0:1], 0, v8
	s_or_b64 s[8:9], s[0:1], s[8:9]
	v_add_u32_e32 v18, 8, v18
	v_add_u32_e32 v19, 12, v19
	s_waitcnt vmcnt(1)
	v_mul_hi_u32 v1, v23, v9
	v_add_u32_e32 v1, v9, v1
	v_lshrrev_b32_e32 v1, v24, v1
	v_mul_lo_u32 v3, v1, v22
	v_sub_u32_e32 v3, v9, v3
	s_waitcnt vmcnt(0)
	v_mad_u64_u32 v[4:5], s[0:1], v3, v27, v[4:5]
	v_mov_b32_e32 v9, v1
	v_mad_u64_u32 v[2:3], s[0:1], v3, v26, v[2:3]
	v_mov_b32_e32 v1, v4
	s_andn2_b64 exec, exec, s[8:9]
	s_cbranch_execnz .LBB539_83
; %bb.84:
	s_or_b64 exec, exec, s[8:9]
.LBB539_85:
	s_or_b64 exec, exec, s[6:7]
.LBB539_86:
	s_or_b64 exec, exec, s[4:5]
                                        ; implicit-def: $vgpr9
.LBB539_87:
	s_andn2_saveexec_b64 s[2:3], s[2:3]
	s_cbranch_execz .LBB539_91
; %bb.88:
	scratch_load_dwordx3 v[2:4], off, off offset:292
	scratch_load_dwordx2 v[18:19], off, off offset:484
	v_cmp_lt_u32_e64 s[0:1], 1, v6
	s_waitcnt vmcnt(1)
	v_mul_hi_u32 v1, v3, v9
	v_add_u32_e32 v1, v9, v1
	v_lshrrev_b32_e32 v1, v4, v1
	v_mul_lo_u32 v2, v1, v2
	v_sub_u32_e32 v2, v9, v2
	s_waitcnt vmcnt(0)
	v_mul_lo_u32 v4, v2, v19
	v_mul_lo_u32 v2, v2, v18
	s_and_saveexec_b64 s[4:5], s[0:1]
	s_cbranch_execz .LBB539_90
; %bb.89:
	scratch_load_dwordx3 v[22:24], off, off offset:304
	scratch_load_dwordx2 v[8:9], off, off offset:492
	s_waitcnt vmcnt(1)
	v_mul_hi_u32 v3, v23, v1
	v_add_u32_e32 v3, v1, v3
	v_lshrrev_b32_e32 v3, v24, v3
	v_mul_lo_u32 v3, v3, v22
	v_sub_u32_e32 v1, v1, v3
	s_waitcnt vmcnt(0)
	v_mad_u64_u32 v[2:3], s[0:1], v1, v8, v[2:3]
	v_mad_u64_u32 v[4:5], s[0:1], v1, v9, v[4:5]
.LBB539_90:
	s_or_b64 exec, exec, s[4:5]
.LBB539_91:
	s_or_b64 exec, exec, s[2:3]
	v_mov_b32_e32 v3, 0
	v_mov_b32_e32 v5, v3
	v_frexp_exp_i32_f64_e32 v1, v[16:17]
	v_frexp_mant_f64_e32 v[8:9], v[16:17]
	v_cmp_gt_i32_e64 s[0:1], s29, v20
	v_lshl_add_u64 v[16:17], v[2:3], 3, s[16:17]
	v_lshl_add_u64 v[2:3], v[4:5], 2, s[18:19]
	global_store_dwordx2 v[16:17], v[8:9], off
	global_store_dword v[2:3], v1, off
	s_and_b64 exec, exec, s[0:1]
	s_cbranch_execz .LBB539_143
; %bb.92:
	v_add_u32_e32 v8, s28, v20
                                        ; implicit-def: $vgpr4
                                        ; implicit-def: $vgpr2
	s_and_saveexec_b64 s[0:1], vcc
	s_xor_b64 s[2:3], exec, s[0:1]
	s_cbranch_execz .LBB539_104
; %bb.93:
	v_mov_b32_e32 v4, 0
	v_cmp_ne_u32_e64 s[0:1], 0, v6
	v_mov_b32_e32 v2, 0
	s_and_saveexec_b64 s[4:5], s[0:1]
	s_cbranch_execz .LBB539_103
; %bb.94:
	v_min_u32_e32 v1, 15, v7
	v_mov_b32_e32 v2, 0
	v_add_u32_e32 v5, 1, v1
	v_cmp_ne_u32_e64 s[0:1], 2, v7
	s_mov_b32 s10, 0
	v_mov_b32_e32 v1, v2
	v_mov_b32_e32 v3, v2
                                        ; implicit-def: $vgpr4
	s_and_saveexec_b64 s[6:7], s[0:1]
	s_cbranch_execz .LBB539_98
; %bb.95:
	v_and_b32_e32 v3, 28, v5
	s_mov_b64 s[8:9], 0
	v_mov_b32_e32 v2, 0
	v_mov_b32_e32 v4, 0
	s_mov_b32 s11, 0
	s_mov_b32 s12, 0
.LBB539_96:                             ; =>This Inner Loop Header: Depth=1
	s_add_i32 s13, s11, 0x124
	s_add_i32 s14, s10, 0x1e4
	;; [unrolled: 1-line block ×5, first 2 shown]
	scratch_load_dwordx4 v[16:19], off, s13
	scratch_load_dwordx4 v[20:23], off, s15
	;; [unrolled: 1-line block ×5, first 2 shown]
	s_add_i32 s12, s12, 4
	s_add_i32 s11, s11, 48
	;; [unrolled: 1-line block ×3, first 2 shown]
	v_cmp_eq_u32_e64 s[0:1], s12, v3
	s_or_b64 s[8:9], s[0:1], s[8:9]
	s_waitcnt vmcnt(4)
	v_mul_hi_u32 v1, v17, v8
	v_add_u32_e32 v1, v8, v1
	v_lshrrev_b32_e32 v1, v18, v1
	v_mul_lo_u32 v9, v1, v16
	s_waitcnt vmcnt(3)
	v_mul_hi_u32 v16, v20, v1
	v_sub_u32_e32 v8, v8, v9
	v_add_u32_e32 v9, v1, v16
	v_lshrrev_b32_e32 v9, v21, v9
	v_mul_lo_u32 v17, v9, v19
	v_mul_hi_u32 v18, v23, v9
	v_sub_u32_e32 v1, v1, v17
	v_add_u32_e32 v17, v9, v18
	s_waitcnt vmcnt(2)
	v_mul_lo_u32 v16, v8, v25
	v_mul_lo_u32 v8, v8, v24
	;; [unrolled: 1-line block ×4, first 2 shown]
	s_waitcnt vmcnt(1)
	v_lshrrev_b32_e32 v17, v28, v17
	v_add3_u32 v1, v8, v2, v1
	v_mul_hi_u32 v8, v30, v17
	v_add_u32_e32 v8, v17, v8
	v_lshrrev_b32_e32 v8, v31, v8
	v_add3_u32 v2, v16, v4, v18
	v_mul_lo_u32 v4, v17, v22
	v_mul_lo_u32 v16, v8, v29
	v_sub_u32_e32 v4, v9, v4
	v_sub_u32_e32 v16, v17, v16
	s_waitcnt vmcnt(0)
	v_mul_lo_u32 v9, v4, v32
	v_mul_lo_u32 v4, v4, v33
	;; [unrolled: 1-line block ×4, first 2 shown]
	v_add3_u32 v4, v4, v2, v16
	v_add3_u32 v2, v9, v1, v17
	s_andn2_b64 exec, exec, s[8:9]
	s_cbranch_execnz .LBB539_96
; %bb.97:
	s_or_b64 exec, exec, s[8:9]
	v_mov_b32_e32 v1, v4
.LBB539_98:
	s_or_b64 exec, exec, s[6:7]
	v_and_b32_e32 v9, 3, v5
	v_cmp_ne_u32_e64 s[0:1], 0, v9
	s_and_saveexec_b64 s[6:7], s[0:1]
	s_cbranch_execz .LBB539_102
; %bb.99:
	v_mov_b32_e32 v4, 0
	v_lshl_add_u32 v5, v3, 3, v4
	v_add_u32_e32 v16, 0x1e4, v5
	v_mad_u32_u24 v17, v3, 12, v4
	s_mov_b64 s[8:9], 0
.LBB539_100:                            ; =>This Inner Loop Header: Depth=1
	v_add_u32_e32 v3, 0x124, v17
	scratch_load_dwordx3 v[18:20], v3, off
	scratch_load_dwordx2 v[22:23], v16, off
	v_mov_b32_e32 v4, v1
	v_add_u32_e32 v9, -1, v9
	v_cmp_eq_u32_e64 s[0:1], 0, v9
	s_or_b64 s[8:9], s[0:1], s[8:9]
	v_add_u32_e32 v16, 8, v16
	v_add_u32_e32 v17, 12, v17
	s_waitcnt vmcnt(1)
	v_mul_hi_u32 v1, v19, v8
	v_add_u32_e32 v1, v8, v1
	v_lshrrev_b32_e32 v1, v20, v1
	v_mul_lo_u32 v3, v1, v18
	v_sub_u32_e32 v3, v8, v3
	s_waitcnt vmcnt(0)
	v_mad_u64_u32 v[4:5], s[0:1], v3, v23, v[4:5]
	v_mov_b32_e32 v8, v1
	v_mad_u64_u32 v[2:3], s[0:1], v3, v22, v[2:3]
	v_mov_b32_e32 v1, v4
	s_andn2_b64 exec, exec, s[8:9]
	s_cbranch_execnz .LBB539_100
; %bb.101:
	s_or_b64 exec, exec, s[8:9]
.LBB539_102:
	s_or_b64 exec, exec, s[6:7]
.LBB539_103:
	s_or_b64 exec, exec, s[4:5]
                                        ; implicit-def: $vgpr8
.LBB539_104:
	s_andn2_saveexec_b64 s[2:3], s[2:3]
	s_cbranch_execz .LBB539_108
; %bb.105:
	scratch_load_dwordx3 v[2:4], off, off offset:292
	scratch_load_dwordx2 v[16:17], off, off offset:484
	v_cmp_lt_u32_e64 s[0:1], 1, v6
	s_waitcnt vmcnt(1)
	v_mul_hi_u32 v1, v3, v8
	v_add_u32_e32 v1, v8, v1
	v_lshrrev_b32_e32 v1, v4, v1
	v_mul_lo_u32 v2, v1, v2
	v_sub_u32_e32 v2, v8, v2
	s_waitcnt vmcnt(0)
	v_mul_lo_u32 v4, v2, v17
	v_mul_lo_u32 v2, v2, v16
	s_and_saveexec_b64 s[4:5], s[0:1]
	s_cbranch_execz .LBB539_107
; %bb.106:
	scratch_load_dwordx3 v[16:18], off, off offset:304
	scratch_load_dwordx2 v[8:9], off, off offset:492
	s_waitcnt vmcnt(1)
	v_mul_hi_u32 v3, v17, v1
	v_add_u32_e32 v3, v1, v3
	v_lshrrev_b32_e32 v3, v18, v3
	v_mul_lo_u32 v3, v3, v16
	v_sub_u32_e32 v1, v1, v3
	s_waitcnt vmcnt(0)
	v_mad_u64_u32 v[2:3], s[0:1], v1, v8, v[2:3]
	v_mad_u64_u32 v[4:5], s[0:1], v1, v9, v[4:5]
.LBB539_107:
	s_or_b64 exec, exec, s[4:5]
.LBB539_108:
	s_or_b64 exec, exec, s[2:3]
	v_mov_b32_e32 v3, 0
	v_or_b32_e32 v1, 0x200, v0
	v_mov_b32_e32 v5, v3
	v_frexp_exp_i32_f64_e32 v16, v[14:15]
	v_frexp_mant_f64_e32 v[8:9], v[14:15]
	v_cmp_gt_i32_e64 s[0:1], s29, v1
	v_lshl_add_u64 v[14:15], v[2:3], 3, s[16:17]
	v_lshl_add_u64 v[2:3], v[4:5], 2, s[18:19]
	global_store_dwordx2 v[14:15], v[8:9], off
	global_store_dword v[2:3], v16, off
	s_and_b64 exec, exec, s[0:1]
	s_cbranch_execz .LBB539_143
; %bb.109:
	v_add_u32_e32 v8, s28, v1
                                        ; implicit-def: $vgpr4
                                        ; implicit-def: $vgpr2
	s_and_saveexec_b64 s[0:1], vcc
	s_xor_b64 s[2:3], exec, s[0:1]
	s_cbranch_execz .LBB539_121
; %bb.110:
	v_mov_b32_e32 v4, 0
	v_cmp_ne_u32_e64 s[0:1], 0, v6
	v_mov_b32_e32 v2, 0
	s_and_saveexec_b64 s[4:5], s[0:1]
	s_cbranch_execz .LBB539_120
; %bb.111:
	v_min_u32_e32 v1, 15, v7
	v_mov_b32_e32 v2, 0
	v_add_u32_e32 v5, 1, v1
	v_cmp_ne_u32_e64 s[0:1], 2, v7
	s_mov_b32 s10, 0
	v_mov_b32_e32 v1, v2
	v_mov_b32_e32 v3, v2
                                        ; implicit-def: $vgpr4
	s_and_saveexec_b64 s[6:7], s[0:1]
	s_cbranch_execz .LBB539_115
; %bb.112:
	v_and_b32_e32 v3, 28, v5
	s_mov_b64 s[8:9], 0
	v_mov_b32_e32 v2, 0
	v_mov_b32_e32 v4, 0
	s_mov_b32 s11, 0
	s_mov_b32 s12, 0
.LBB539_113:                            ; =>This Inner Loop Header: Depth=1
	s_add_i32 s13, s11, 0x124
	s_add_i32 s14, s10, 0x1e4
	;; [unrolled: 1-line block ×5, first 2 shown]
	scratch_load_dwordx4 v[14:17], off, s13
	scratch_load_dwordx4 v[18:21], off, s15
	scratch_load_dwordx4 v[22:25], off, s14
	scratch_load_dwordx4 v[26:29], off, s0
	scratch_load_dwordx4 v[30:33], off, s1
	s_add_i32 s12, s12, 4
	s_add_i32 s11, s11, 48
	;; [unrolled: 1-line block ×3, first 2 shown]
	v_cmp_eq_u32_e64 s[0:1], s12, v3
	s_or_b64 s[8:9], s[0:1], s[8:9]
	s_waitcnt vmcnt(4)
	v_mul_hi_u32 v1, v15, v8
	v_add_u32_e32 v1, v8, v1
	v_lshrrev_b32_e32 v1, v16, v1
	v_mul_lo_u32 v9, v1, v14
	s_waitcnt vmcnt(3)
	v_mul_hi_u32 v14, v18, v1
	v_sub_u32_e32 v8, v8, v9
	v_add_u32_e32 v9, v1, v14
	v_lshrrev_b32_e32 v9, v19, v9
	v_mul_lo_u32 v15, v9, v17
	v_mul_hi_u32 v16, v21, v9
	v_sub_u32_e32 v1, v1, v15
	v_add_u32_e32 v15, v9, v16
	s_waitcnt vmcnt(2)
	v_mul_lo_u32 v14, v8, v23
	v_mul_lo_u32 v8, v8, v22
	;; [unrolled: 1-line block ×4, first 2 shown]
	s_waitcnt vmcnt(1)
	v_lshrrev_b32_e32 v15, v26, v15
	v_add3_u32 v1, v8, v2, v1
	v_mul_hi_u32 v8, v28, v15
	v_add_u32_e32 v8, v15, v8
	v_lshrrev_b32_e32 v8, v29, v8
	v_add3_u32 v2, v14, v4, v16
	v_mul_lo_u32 v4, v15, v20
	v_mul_lo_u32 v14, v8, v27
	v_sub_u32_e32 v4, v9, v4
	v_sub_u32_e32 v14, v15, v14
	s_waitcnt vmcnt(0)
	v_mul_lo_u32 v9, v4, v30
	v_mul_lo_u32 v4, v4, v31
	;; [unrolled: 1-line block ×4, first 2 shown]
	v_add3_u32 v4, v4, v2, v14
	v_add3_u32 v2, v9, v1, v15
	s_andn2_b64 exec, exec, s[8:9]
	s_cbranch_execnz .LBB539_113
; %bb.114:
	s_or_b64 exec, exec, s[8:9]
	v_mov_b32_e32 v1, v4
.LBB539_115:
	s_or_b64 exec, exec, s[6:7]
	v_and_b32_e32 v9, 3, v5
	v_cmp_ne_u32_e64 s[0:1], 0, v9
	s_and_saveexec_b64 s[6:7], s[0:1]
	s_cbranch_execz .LBB539_119
; %bb.116:
	v_mov_b32_e32 v4, 0
	v_lshl_add_u32 v5, v3, 3, v4
	v_add_u32_e32 v14, 0x1e4, v5
	v_mad_u32_u24 v15, v3, 12, v4
	s_mov_b64 s[8:9], 0
.LBB539_117:                            ; =>This Inner Loop Header: Depth=1
	v_add_u32_e32 v3, 0x124, v15
	scratch_load_dwordx3 v[16:18], v3, off
	scratch_load_dwordx2 v[20:21], v14, off
	v_mov_b32_e32 v4, v1
	v_add_u32_e32 v9, -1, v9
	v_cmp_eq_u32_e64 s[0:1], 0, v9
	s_or_b64 s[8:9], s[0:1], s[8:9]
	v_add_u32_e32 v14, 8, v14
	v_add_u32_e32 v15, 12, v15
	s_waitcnt vmcnt(1)
	v_mul_hi_u32 v1, v17, v8
	v_add_u32_e32 v1, v8, v1
	v_lshrrev_b32_e32 v1, v18, v1
	v_mul_lo_u32 v3, v1, v16
	v_sub_u32_e32 v3, v8, v3
	s_waitcnt vmcnt(0)
	v_mad_u64_u32 v[4:5], s[0:1], v3, v21, v[4:5]
	v_mov_b32_e32 v8, v1
	v_mad_u64_u32 v[2:3], s[0:1], v3, v20, v[2:3]
	v_mov_b32_e32 v1, v4
	s_andn2_b64 exec, exec, s[8:9]
	s_cbranch_execnz .LBB539_117
; %bb.118:
	s_or_b64 exec, exec, s[8:9]
.LBB539_119:
	s_or_b64 exec, exec, s[6:7]
.LBB539_120:
	s_or_b64 exec, exec, s[4:5]
                                        ; implicit-def: $vgpr8
.LBB539_121:
	s_andn2_saveexec_b64 s[2:3], s[2:3]
	s_cbranch_execz .LBB539_125
; %bb.122:
	scratch_load_dwordx3 v[2:4], off, off offset:292
	scratch_load_dwordx2 v[14:15], off, off offset:484
	v_cmp_lt_u32_e64 s[0:1], 1, v6
	s_waitcnt vmcnt(1)
	v_mul_hi_u32 v1, v3, v8
	v_add_u32_e32 v1, v8, v1
	v_lshrrev_b32_e32 v1, v4, v1
	v_mul_lo_u32 v2, v1, v2
	v_sub_u32_e32 v2, v8, v2
	s_waitcnt vmcnt(0)
	v_mul_lo_u32 v4, v2, v15
	v_mul_lo_u32 v2, v2, v14
	s_and_saveexec_b64 s[4:5], s[0:1]
	s_cbranch_execz .LBB539_124
; %bb.123:
	scratch_load_dwordx3 v[14:16], off, off offset:304
	scratch_load_dwordx2 v[8:9], off, off offset:492
	s_waitcnt vmcnt(1)
	v_mul_hi_u32 v3, v15, v1
	v_add_u32_e32 v3, v1, v3
	v_lshrrev_b32_e32 v3, v16, v3
	v_mul_lo_u32 v3, v3, v14
	v_sub_u32_e32 v1, v1, v3
	s_waitcnt vmcnt(0)
	v_mad_u64_u32 v[2:3], s[0:1], v1, v8, v[2:3]
	v_mad_u64_u32 v[4:5], s[0:1], v1, v9, v[4:5]
.LBB539_124:
	s_or_b64 exec, exec, s[4:5]
.LBB539_125:
	s_or_b64 exec, exec, s[2:3]
	v_mov_b32_e32 v3, 0
	v_or_b32_e32 v0, 0x300, v0
	v_mov_b32_e32 v5, v3
	v_frexp_exp_i32_f64_e32 v1, v[12:13]
	v_frexp_mant_f64_e32 v[8:9], v[12:13]
	v_cmp_gt_i32_e64 s[0:1], s29, v0
	v_lshl_add_u64 v[12:13], v[2:3], 3, s[16:17]
	v_lshl_add_u64 v[2:3], v[4:5], 2, s[18:19]
	global_store_dwordx2 v[12:13], v[8:9], off
	global_store_dword v[2:3], v1, off
	s_and_b64 exec, exec, s[0:1]
	s_cbranch_execz .LBB539_143
; %bb.126:
	v_add_u32_e32 v4, s28, v0
                                        ; implicit-def: $vgpr2
                                        ; implicit-def: $vgpr0
	s_and_saveexec_b64 s[0:1], vcc
	s_xor_b64 s[0:1], exec, s[0:1]
	s_cbranch_execz .LBB539_138
; %bb.127:
	v_mov_b32_e32 v2, 0
	v_cmp_ne_u32_e32 vcc, 0, v6
	v_mov_b32_e32 v0, 0
	s_and_saveexec_b64 s[2:3], vcc
	s_cbranch_execz .LBB539_137
; %bb.128:
	v_min_u32_e32 v0, 15, v7
	v_add_u32_e32 v5, 1, v0
	v_mov_b32_e32 v0, 0
	v_cmp_ne_u32_e32 vcc, 2, v7
	s_mov_b32 s8, 0
	v_mov_b32_e32 v1, v0
	v_mov_b32_e32 v3, v0
                                        ; implicit-def: $vgpr2
	s_and_saveexec_b64 s[4:5], vcc
	s_cbranch_execz .LBB539_132
; %bb.129:
	v_and_b32_e32 v3, 28, v5
	s_mov_b64 s[6:7], 0
	v_mov_b32_e32 v0, 0
	v_mov_b32_e32 v2, 0
	s_mov_b32 s9, 0
	s_mov_b32 s10, 0
.LBB539_130:                            ; =>This Inner Loop Header: Depth=1
	s_add_i32 s13, s9, 0x124
	s_add_i32 s14, s8, 0x1e4
	;; [unrolled: 1-line block ×5, first 2 shown]
	scratch_load_dwordx4 v[6:9], off, s13
	scratch_load_dwordx4 v[12:15], off, s15
	;; [unrolled: 1-line block ×5, first 2 shown]
	s_add_i32 s10, s10, 4
	s_add_i32 s9, s9, 48
	;; [unrolled: 1-line block ×3, first 2 shown]
	v_cmp_eq_u32_e32 vcc, s10, v3
	s_or_b64 s[6:7], vcc, s[6:7]
	s_waitcnt vmcnt(4)
	v_mul_hi_u32 v1, v7, v4
	v_add_u32_e32 v1, v4, v1
	v_lshrrev_b32_e32 v1, v8, v1
	v_mul_lo_u32 v6, v1, v6
	s_waitcnt vmcnt(3)
	v_mul_hi_u32 v7, v12, v1
	v_sub_u32_e32 v4, v4, v6
	v_add_u32_e32 v6, v1, v7
	v_lshrrev_b32_e32 v6, v13, v6
	v_mul_lo_u32 v8, v6, v9
	v_mul_hi_u32 v9, v15, v6
	v_sub_u32_e32 v1, v1, v8
	v_add_u32_e32 v8, v6, v9
	s_waitcnt vmcnt(2)
	v_mul_lo_u32 v7, v4, v17
	v_mul_lo_u32 v4, v4, v16
	;; [unrolled: 1-line block ×4, first 2 shown]
	s_waitcnt vmcnt(1)
	v_lshrrev_b32_e32 v8, v20, v8
	v_add3_u32 v0, v4, v0, v1
	v_mul_hi_u32 v4, v22, v8
	v_add_u32_e32 v4, v8, v4
	v_lshrrev_b32_e32 v4, v23, v4
	v_add3_u32 v1, v7, v2, v9
	v_mul_lo_u32 v2, v8, v14
	v_mul_lo_u32 v7, v4, v21
	v_sub_u32_e32 v2, v6, v2
	v_sub_u32_e32 v7, v8, v7
	s_waitcnt vmcnt(0)
	v_mul_lo_u32 v6, v2, v24
	v_mul_lo_u32 v2, v2, v25
	;; [unrolled: 1-line block ×4, first 2 shown]
	v_add3_u32 v2, v2, v1, v7
	v_add3_u32 v0, v6, v0, v8
	s_andn2_b64 exec, exec, s[6:7]
	s_cbranch_execnz .LBB539_130
; %bb.131:
	s_or_b64 exec, exec, s[6:7]
	v_mov_b32_e32 v1, v2
.LBB539_132:
	s_or_b64 exec, exec, s[4:5]
	v_and_b32_e32 v5, 3, v5
	v_cmp_ne_u32_e32 vcc, 0, v5
	s_and_saveexec_b64 s[4:5], vcc
	s_cbranch_execz .LBB539_136
; %bb.133:
	v_mov_b32_e32 v2, 0
	v_lshl_add_u32 v6, v3, 3, v2
	v_add_u32_e32 v6, 0x1e4, v6
	v_mad_u32_u24 v7, v3, 12, v2
	s_mov_b64 s[6:7], 0
.LBB539_134:                            ; =>This Inner Loop Header: Depth=1
	v_add_u32_e32 v2, 0x124, v7
	scratch_load_dwordx3 v[12:14], v2, off
	scratch_load_dwordx2 v[8:9], v6, off
	v_mov_b32_e32 v2, v1
	v_add_u32_e32 v5, -1, v5
	v_cmp_eq_u32_e32 vcc, 0, v5
	v_add_u32_e32 v6, 8, v6
	v_add_u32_e32 v7, 12, v7
	s_or_b64 s[6:7], vcc, s[6:7]
	s_waitcnt vmcnt(1)
	v_mul_hi_u32 v1, v13, v4
	v_add_u32_e32 v1, v4, v1
	v_lshrrev_b32_e32 v1, v14, v1
	v_mul_lo_u32 v3, v1, v12
	v_sub_u32_e32 v12, v4, v3
	v_mov_b32_e32 v4, v1
	s_waitcnt vmcnt(0)
	v_mad_u64_u32 v[2:3], s[8:9], v12, v9, v[2:3]
	v_mad_u64_u32 v[0:1], s[8:9], v12, v8, v[0:1]
	v_mov_b32_e32 v1, v2
	s_andn2_b64 exec, exec, s[6:7]
	s_cbranch_execnz .LBB539_134
; %bb.135:
	s_or_b64 exec, exec, s[6:7]
.LBB539_136:
	s_or_b64 exec, exec, s[4:5]
.LBB539_137:
	s_or_b64 exec, exec, s[2:3]
                                        ; implicit-def: $vgpr4
                                        ; implicit-def: $vgpr6
.LBB539_138:
	s_andn2_saveexec_b64 s[0:1], s[0:1]
	s_cbranch_execz .LBB539_142
; %bb.139:
	scratch_load_dwordx3 v[0:2], off, off offset:292
	scratch_load_dwordx2 v[8:9], off, off offset:484
	v_cmp_lt_u32_e32 vcc, 1, v6
	s_waitcnt vmcnt(1)
	v_mul_hi_u32 v1, v1, v4
	v_add_u32_e32 v1, v4, v1
	v_lshrrev_b32_e32 v1, v2, v1
	v_mul_lo_u32 v0, v1, v0
	v_sub_u32_e32 v0, v4, v0
	s_waitcnt vmcnt(0)
	v_mul_lo_u32 v2, v0, v9
	v_mul_lo_u32 v0, v0, v8
	s_and_saveexec_b64 s[2:3], vcc
	s_cbranch_execz .LBB539_141
; %bb.140:
	scratch_load_dwordx3 v[4:6], off, off offset:304
	scratch_load_dwordx2 v[8:9], off, off offset:492
	s_waitcnt vmcnt(1)
	v_mul_hi_u32 v3, v5, v1
	v_add_u32_e32 v3, v1, v3
	v_lshrrev_b32_e32 v3, v6, v3
	v_mul_lo_u32 v3, v3, v4
	v_sub_u32_e32 v3, v1, v3
	s_waitcnt vmcnt(0)
	v_mad_u64_u32 v[0:1], s[4:5], v3, v8, v[0:1]
	v_mad_u64_u32 v[2:3], s[4:5], v3, v9, v[2:3]
.LBB539_141:
	s_or_b64 exec, exec, s[2:3]
.LBB539_142:
	s_or_b64 exec, exec, s[0:1]
	v_mov_b32_e32 v1, 0
	v_mov_b32_e32 v3, v1
	v_frexp_exp_i32_f64_e32 v8, v[10:11]
	v_frexp_mant_f64_e32 v[4:5], v[10:11]
	v_lshl_add_u64 v[6:7], v[0:1], 3, s[16:17]
	v_lshl_add_u64 v[0:1], v[2:3], 2, s[18:19]
	global_store_dwordx2 v[6:7], v[4:5], off
	global_store_dword v[0:1], v8, off
.LBB539_143:
	s_endpgm
	.section	.rodata,"a",@progbits
	.p2align	6, 0x0
	.amdhsa_kernel _ZN2at6native12_GLOBAL__N_145unrolled_elementwise_kernel_for_multi_outputsILi2EZZZNS0_17frexp_kernel_cudaERNS_18TensorIteratorBaseEENKUlvE_clEvENKUlvE_clEvEUldE_St5arrayIPcLm3EE16OffsetCalculatorILi1EjLb0EESB_ILi2EjLb0EEEEviT0_T1_T2_T3_
		.amdhsa_group_segment_fixed_size 0
		.amdhsa_private_segment_fixed_size 624
		.amdhsa_kernarg_size 616
		.amdhsa_user_sgpr_count 2
		.amdhsa_user_sgpr_dispatch_ptr 0
		.amdhsa_user_sgpr_queue_ptr 0
		.amdhsa_user_sgpr_kernarg_segment_ptr 1
		.amdhsa_user_sgpr_dispatch_id 0
		.amdhsa_user_sgpr_kernarg_preload_length 0
		.amdhsa_user_sgpr_kernarg_preload_offset 0
		.amdhsa_user_sgpr_private_segment_size 0
		.amdhsa_uses_dynamic_stack 0
		.amdhsa_enable_private_segment 1
		.amdhsa_system_sgpr_workgroup_id_x 1
		.amdhsa_system_sgpr_workgroup_id_y 0
		.amdhsa_system_sgpr_workgroup_id_z 0
		.amdhsa_system_sgpr_workgroup_info 0
		.amdhsa_system_vgpr_workitem_id 0
		.amdhsa_next_free_vgpr 42
		.amdhsa_next_free_sgpr 52
		.amdhsa_accum_offset 44
		.amdhsa_reserve_vcc 1
		.amdhsa_float_round_mode_32 0
		.amdhsa_float_round_mode_16_64 0
		.amdhsa_float_denorm_mode_32 3
		.amdhsa_float_denorm_mode_16_64 3
		.amdhsa_dx10_clamp 1
		.amdhsa_ieee_mode 1
		.amdhsa_fp16_overflow 0
		.amdhsa_tg_split 0
		.amdhsa_exception_fp_ieee_invalid_op 0
		.amdhsa_exception_fp_denorm_src 0
		.amdhsa_exception_fp_ieee_div_zero 0
		.amdhsa_exception_fp_ieee_overflow 0
		.amdhsa_exception_fp_ieee_underflow 0
		.amdhsa_exception_fp_ieee_inexact 0
		.amdhsa_exception_int_div_zero 0
	.end_amdhsa_kernel
	.section	.text._ZN2at6native12_GLOBAL__N_145unrolled_elementwise_kernel_for_multi_outputsILi2EZZZNS0_17frexp_kernel_cudaERNS_18TensorIteratorBaseEENKUlvE_clEvENKUlvE_clEvEUldE_St5arrayIPcLm3EE16OffsetCalculatorILi1EjLb0EESB_ILi2EjLb0EEEEviT0_T1_T2_T3_,"axG",@progbits,_ZN2at6native12_GLOBAL__N_145unrolled_elementwise_kernel_for_multi_outputsILi2EZZZNS0_17frexp_kernel_cudaERNS_18TensorIteratorBaseEENKUlvE_clEvENKUlvE_clEvEUldE_St5arrayIPcLm3EE16OffsetCalculatorILi1EjLb0EESB_ILi2EjLb0EEEEviT0_T1_T2_T3_,comdat
.Lfunc_end539:
	.size	_ZN2at6native12_GLOBAL__N_145unrolled_elementwise_kernel_for_multi_outputsILi2EZZZNS0_17frexp_kernel_cudaERNS_18TensorIteratorBaseEENKUlvE_clEvENKUlvE_clEvEUldE_St5arrayIPcLm3EE16OffsetCalculatorILi1EjLb0EESB_ILi2EjLb0EEEEviT0_T1_T2_T3_, .Lfunc_end539-_ZN2at6native12_GLOBAL__N_145unrolled_elementwise_kernel_for_multi_outputsILi2EZZZNS0_17frexp_kernel_cudaERNS_18TensorIteratorBaseEENKUlvE_clEvENKUlvE_clEvEUldE_St5arrayIPcLm3EE16OffsetCalculatorILi1EjLb0EESB_ILi2EjLb0EEEEviT0_T1_T2_T3_
                                        ; -- End function
	.set _ZN2at6native12_GLOBAL__N_145unrolled_elementwise_kernel_for_multi_outputsILi2EZZZNS0_17frexp_kernel_cudaERNS_18TensorIteratorBaseEENKUlvE_clEvENKUlvE_clEvEUldE_St5arrayIPcLm3EE16OffsetCalculatorILi1EjLb0EESB_ILi2EjLb0EEEEviT0_T1_T2_T3_.num_vgpr, 42
	.set _ZN2at6native12_GLOBAL__N_145unrolled_elementwise_kernel_for_multi_outputsILi2EZZZNS0_17frexp_kernel_cudaERNS_18TensorIteratorBaseEENKUlvE_clEvENKUlvE_clEvEUldE_St5arrayIPcLm3EE16OffsetCalculatorILi1EjLb0EESB_ILi2EjLb0EEEEviT0_T1_T2_T3_.num_agpr, 0
	.set _ZN2at6native12_GLOBAL__N_145unrolled_elementwise_kernel_for_multi_outputsILi2EZZZNS0_17frexp_kernel_cudaERNS_18TensorIteratorBaseEENKUlvE_clEvENKUlvE_clEvEUldE_St5arrayIPcLm3EE16OffsetCalculatorILi1EjLb0EESB_ILi2EjLb0EEEEviT0_T1_T2_T3_.numbered_sgpr, 52
	.set _ZN2at6native12_GLOBAL__N_145unrolled_elementwise_kernel_for_multi_outputsILi2EZZZNS0_17frexp_kernel_cudaERNS_18TensorIteratorBaseEENKUlvE_clEvENKUlvE_clEvEUldE_St5arrayIPcLm3EE16OffsetCalculatorILi1EjLb0EESB_ILi2EjLb0EEEEviT0_T1_T2_T3_.num_named_barrier, 0
	.set _ZN2at6native12_GLOBAL__N_145unrolled_elementwise_kernel_for_multi_outputsILi2EZZZNS0_17frexp_kernel_cudaERNS_18TensorIteratorBaseEENKUlvE_clEvENKUlvE_clEvEUldE_St5arrayIPcLm3EE16OffsetCalculatorILi1EjLb0EESB_ILi2EjLb0EEEEviT0_T1_T2_T3_.private_seg_size, 624
	.set _ZN2at6native12_GLOBAL__N_145unrolled_elementwise_kernel_for_multi_outputsILi2EZZZNS0_17frexp_kernel_cudaERNS_18TensorIteratorBaseEENKUlvE_clEvENKUlvE_clEvEUldE_St5arrayIPcLm3EE16OffsetCalculatorILi1EjLb0EESB_ILi2EjLb0EEEEviT0_T1_T2_T3_.uses_vcc, 1
	.set _ZN2at6native12_GLOBAL__N_145unrolled_elementwise_kernel_for_multi_outputsILi2EZZZNS0_17frexp_kernel_cudaERNS_18TensorIteratorBaseEENKUlvE_clEvENKUlvE_clEvEUldE_St5arrayIPcLm3EE16OffsetCalculatorILi1EjLb0EESB_ILi2EjLb0EEEEviT0_T1_T2_T3_.uses_flat_scratch, 0
	.set _ZN2at6native12_GLOBAL__N_145unrolled_elementwise_kernel_for_multi_outputsILi2EZZZNS0_17frexp_kernel_cudaERNS_18TensorIteratorBaseEENKUlvE_clEvENKUlvE_clEvEUldE_St5arrayIPcLm3EE16OffsetCalculatorILi1EjLb0EESB_ILi2EjLb0EEEEviT0_T1_T2_T3_.has_dyn_sized_stack, 0
	.set _ZN2at6native12_GLOBAL__N_145unrolled_elementwise_kernel_for_multi_outputsILi2EZZZNS0_17frexp_kernel_cudaERNS_18TensorIteratorBaseEENKUlvE_clEvENKUlvE_clEvEUldE_St5arrayIPcLm3EE16OffsetCalculatorILi1EjLb0EESB_ILi2EjLb0EEEEviT0_T1_T2_T3_.has_recursion, 0
	.set _ZN2at6native12_GLOBAL__N_145unrolled_elementwise_kernel_for_multi_outputsILi2EZZZNS0_17frexp_kernel_cudaERNS_18TensorIteratorBaseEENKUlvE_clEvENKUlvE_clEvEUldE_St5arrayIPcLm3EE16OffsetCalculatorILi1EjLb0EESB_ILi2EjLb0EEEEviT0_T1_T2_T3_.has_indirect_call, 0
	.section	.AMDGPU.csdata,"",@progbits
; Kernel info:
; codeLenInByte = 7208
; TotalNumSgprs: 58
; NumVgprs: 42
; NumAgprs: 0
; TotalNumVgprs: 42
; ScratchSize: 624
; MemoryBound: 0
; FloatMode: 240
; IeeeMode: 1
; LDSByteSize: 0 bytes/workgroup (compile time only)
; SGPRBlocks: 7
; VGPRBlocks: 5
; NumSGPRsForWavesPerEU: 58
; NumVGPRsForWavesPerEU: 42
; AccumOffset: 44
; Occupancy: 8
; WaveLimiterHint : 1
; COMPUTE_PGM_RSRC2:SCRATCH_EN: 1
; COMPUTE_PGM_RSRC2:USER_SGPR: 2
; COMPUTE_PGM_RSRC2:TRAP_HANDLER: 0
; COMPUTE_PGM_RSRC2:TGID_X_EN: 1
; COMPUTE_PGM_RSRC2:TGID_Y_EN: 0
; COMPUTE_PGM_RSRC2:TGID_Z_EN: 0
; COMPUTE_PGM_RSRC2:TIDIG_COMP_CNT: 0
; COMPUTE_PGM_RSRC3_GFX90A:ACCUM_OFFSET: 10
; COMPUTE_PGM_RSRC3_GFX90A:TG_SPLIT: 0
	.section	.text._ZN2at6native12_GLOBAL__N_145unrolled_elementwise_kernel_for_multi_outputsILi2EZZZNS0_17frexp_kernel_cudaERNS_18TensorIteratorBaseEENKUlvE_clEvENKUlvE0_clEvEUlfE_St5arrayIPcLm3EE23TrivialOffsetCalculatorILi1EjESB_ILi2EjEEEviT0_T1_T2_T3_,"axG",@progbits,_ZN2at6native12_GLOBAL__N_145unrolled_elementwise_kernel_for_multi_outputsILi2EZZZNS0_17frexp_kernel_cudaERNS_18TensorIteratorBaseEENKUlvE_clEvENKUlvE0_clEvEUlfE_St5arrayIPcLm3EE23TrivialOffsetCalculatorILi1EjESB_ILi2EjEEEviT0_T1_T2_T3_,comdat
	.globl	_ZN2at6native12_GLOBAL__N_145unrolled_elementwise_kernel_for_multi_outputsILi2EZZZNS0_17frexp_kernel_cudaERNS_18TensorIteratorBaseEENKUlvE_clEvENKUlvE0_clEvEUlfE_St5arrayIPcLm3EE23TrivialOffsetCalculatorILi1EjESB_ILi2EjEEEviT0_T1_T2_T3_ ; -- Begin function _ZN2at6native12_GLOBAL__N_145unrolled_elementwise_kernel_for_multi_outputsILi2EZZZNS0_17frexp_kernel_cudaERNS_18TensorIteratorBaseEENKUlvE_clEvENKUlvE0_clEvEUlfE_St5arrayIPcLm3EE23TrivialOffsetCalculatorILi1EjESB_ILi2EjEEEviT0_T1_T2_T3_
	.p2align	8
	.type	_ZN2at6native12_GLOBAL__N_145unrolled_elementwise_kernel_for_multi_outputsILi2EZZZNS0_17frexp_kernel_cudaERNS_18TensorIteratorBaseEENKUlvE_clEvENKUlvE0_clEvEUlfE_St5arrayIPcLm3EE23TrivialOffsetCalculatorILi1EjESB_ILi2EjEEEviT0_T1_T2_T3_,@function
_ZN2at6native12_GLOBAL__N_145unrolled_elementwise_kernel_for_multi_outputsILi2EZZZNS0_17frexp_kernel_cudaERNS_18TensorIteratorBaseEENKUlvE_clEvENKUlvE0_clEvEUlfE_St5arrayIPcLm3EE23TrivialOffsetCalculatorILi1EjESB_ILi2EjEEEviT0_T1_T2_T3_: ; @_ZN2at6native12_GLOBAL__N_145unrolled_elementwise_kernel_for_multi_outputsILi2EZZZNS0_17frexp_kernel_cudaERNS_18TensorIteratorBaseEENKUlvE_clEvENKUlvE0_clEvEUlfE_St5arrayIPcLm3EE23TrivialOffsetCalculatorILi1EjESB_ILi2EjEEEviT0_T1_T2_T3_
; %bb.0:
	s_load_dword s3, s[0:1], 0x0
	s_load_dwordx4 s[4:7], s[0:1], 0x8
	s_load_dwordx2 s[8:9], s[0:1], 0x18
	s_lshl_b32 s16, s2, 10
                                        ; implicit-def: $vgpr1
	s_waitcnt lgkmcnt(0)
	s_sub_i32 s17, s3, s16
	v_cmp_gt_i32_e32 vcc, s17, v0
	v_cmp_le_i32_e64 s[0:1], s17, v0
	s_and_saveexec_b64 s[2:3], s[0:1]
	s_xor_b64 s[0:1], exec, s[2:3]
; %bb.1:
	v_or_b32_e32 v1, 0x100, v0
; %bb.2:
	s_or_saveexec_b64 s[2:3], s[0:1]
	v_mov_b32_e32 v3, 0
	v_or_b32_e32 v4, s16, v0
	v_mov_b32_e32 v7, 0
	v_mov_b32_e32 v5, 0
	;; [unrolled: 1-line block ×3, first 2 shown]
	s_xor_b64 exec, exec, s[2:3]
	s_cbranch_execz .LBB540_10
; %bb.3:
	v_mov_b32_e32 v5, 0
	v_lshl_add_u64 v[2:3], v[4:5], 2, s[8:9]
	global_load_dword v8, v[2:3], off
	v_or_b32_e32 v1, 0x100, v0
	v_cmp_gt_u32_e64 s[0:1], s17, v1
	v_mov_b32_e32 v7, v5
	v_mov_b32_e32 v3, v5
	s_and_saveexec_b64 s[10:11], s[0:1]
	s_cbranch_execz .LBB540_9
; %bb.4:
	v_add_u32_e32 v6, s16, v1
	v_mov_b32_e32 v7, 0
	v_lshl_add_u64 v[2:3], v[6:7], 2, s[8:9]
	global_load_dword v5, v[2:3], off
	v_or_b32_e32 v2, 0x200, v0
	v_cmp_gt_u32_e64 s[0:1], s17, v2
	v_mov_b32_e32 v3, v7
	s_and_saveexec_b64 s[12:13], s[0:1]
	s_cbranch_execz .LBB540_8
; %bb.5:
	v_add_u32_e32 v2, s16, v2
	v_mov_b32_e32 v3, 0
	v_lshl_add_u64 v[6:7], v[2:3], 2, s[8:9]
	global_load_dword v7, v[6:7], off
	v_or_b32_e32 v2, 0x300, v0
	v_cmp_gt_u32_e64 s[0:1], s17, v2
	s_and_saveexec_b64 s[14:15], s[0:1]
	s_cbranch_execz .LBB540_7
; %bb.6:
	v_add_u32_e32 v2, s16, v2
	v_mov_b32_e32 v3, 0
	v_lshl_add_u64 v[2:3], v[2:3], 2, s[8:9]
	global_load_dword v3, v[2:3], off
.LBB540_7:
	s_or_b64 exec, exec, s[14:15]
.LBB540_8:
	s_or_b64 exec, exec, s[12:13]
.LBB540_9:
	s_or_b64 exec, exec, s[10:11]
.LBB540_10:
	s_or_b64 exec, exec, s[2:3]
	s_and_saveexec_b64 s[0:1], vcc
	s_cbranch_execz .LBB540_15
; %bb.11:
	s_waitcnt vmcnt(0)
	v_frexp_exp_i32_f32_e32 v2, v8
	v_frexp_mant_f32_e32 v6, v8
	v_mov_b32_e32 v9, 0
	v_mov_b32_e32 v8, v4
	v_lshlrev_b64 v[10:11], 2, v[8:9]
	v_cmp_gt_u32_e32 vcc, s17, v1
	v_lshl_add_u64 v[12:13], s[4:5], 0, v[10:11]
	v_lshl_add_u64 v[10:11], s[6:7], 0, v[10:11]
	global_store_dword v[12:13], v6, off
	global_store_dword v[10:11], v2, off
	s_and_b64 exec, exec, vcc
	s_cbranch_execz .LBB540_15
; %bb.12:
	v_add_u32_e32 v8, s16, v1
	v_frexp_exp_i32_f32_e32 v6, v5
	v_frexp_mant_f32_e32 v10, v5
	v_or_b32_e32 v2, 0x200, v0
	v_lshlrev_b64 v[4:5], 2, v[8:9]
	v_cmp_gt_i32_e32 vcc, s17, v2
	v_lshl_add_u64 v[8:9], s[4:5], 0, v[4:5]
	v_lshl_add_u64 v[4:5], s[6:7], 0, v[4:5]
	global_store_dword v[8:9], v10, off
	global_store_dword v[4:5], v6, off
	s_and_b64 exec, exec, vcc
	s_cbranch_execz .LBB540_15
; %bb.13:
	v_or_b32_e32 v4, 0x300, v0
	v_add_u32_e32 v0, s16, v2
	v_mov_b32_e32 v1, 0
	v_frexp_exp_i32_f32_e32 v5, v7
	v_frexp_mant_f32_e32 v10, v7
	v_lshlrev_b64 v[6:7], 2, v[0:1]
	v_cmp_gt_i32_e32 vcc, s17, v4
	v_lshl_add_u64 v[8:9], s[4:5], 0, v[6:7]
	v_lshl_add_u64 v[6:7], s[6:7], 0, v[6:7]
	global_store_dword v[8:9], v10, off
	global_store_dword v[6:7], v5, off
	s_and_b64 exec, exec, vcc
	s_cbranch_execz .LBB540_15
; %bb.14:
	v_add_u32_e32 v0, s16, v4
	v_lshlrev_b64 v[0:1], 2, v[0:1]
	v_frexp_exp_i32_f32_e32 v5, v3
	v_frexp_mant_f32_e32 v6, v3
	v_lshl_add_u64 v[2:3], s[4:5], 0, v[0:1]
	v_lshl_add_u64 v[0:1], s[6:7], 0, v[0:1]
	global_store_dword v[2:3], v6, off
	global_store_dword v[0:1], v5, off
.LBB540_15:
	s_endpgm
	.section	.rodata,"a",@progbits
	.p2align	6, 0x0
	.amdhsa_kernel _ZN2at6native12_GLOBAL__N_145unrolled_elementwise_kernel_for_multi_outputsILi2EZZZNS0_17frexp_kernel_cudaERNS_18TensorIteratorBaseEENKUlvE_clEvENKUlvE0_clEvEUlfE_St5arrayIPcLm3EE23TrivialOffsetCalculatorILi1EjESB_ILi2EjEEEviT0_T1_T2_T3_
		.amdhsa_group_segment_fixed_size 0
		.amdhsa_private_segment_fixed_size 0
		.amdhsa_kernarg_size 36
		.amdhsa_user_sgpr_count 2
		.amdhsa_user_sgpr_dispatch_ptr 0
		.amdhsa_user_sgpr_queue_ptr 0
		.amdhsa_user_sgpr_kernarg_segment_ptr 1
		.amdhsa_user_sgpr_dispatch_id 0
		.amdhsa_user_sgpr_kernarg_preload_length 0
		.amdhsa_user_sgpr_kernarg_preload_offset 0
		.amdhsa_user_sgpr_private_segment_size 0
		.amdhsa_uses_dynamic_stack 0
		.amdhsa_enable_private_segment 0
		.amdhsa_system_sgpr_workgroup_id_x 1
		.amdhsa_system_sgpr_workgroup_id_y 0
		.amdhsa_system_sgpr_workgroup_id_z 0
		.amdhsa_system_sgpr_workgroup_info 0
		.amdhsa_system_vgpr_workitem_id 0
		.amdhsa_next_free_vgpr 14
		.amdhsa_next_free_sgpr 18
		.amdhsa_accum_offset 16
		.amdhsa_reserve_vcc 1
		.amdhsa_float_round_mode_32 0
		.amdhsa_float_round_mode_16_64 0
		.amdhsa_float_denorm_mode_32 3
		.amdhsa_float_denorm_mode_16_64 3
		.amdhsa_dx10_clamp 1
		.amdhsa_ieee_mode 1
		.amdhsa_fp16_overflow 0
		.amdhsa_tg_split 0
		.amdhsa_exception_fp_ieee_invalid_op 0
		.amdhsa_exception_fp_denorm_src 0
		.amdhsa_exception_fp_ieee_div_zero 0
		.amdhsa_exception_fp_ieee_overflow 0
		.amdhsa_exception_fp_ieee_underflow 0
		.amdhsa_exception_fp_ieee_inexact 0
		.amdhsa_exception_int_div_zero 0
	.end_amdhsa_kernel
	.section	.text._ZN2at6native12_GLOBAL__N_145unrolled_elementwise_kernel_for_multi_outputsILi2EZZZNS0_17frexp_kernel_cudaERNS_18TensorIteratorBaseEENKUlvE_clEvENKUlvE0_clEvEUlfE_St5arrayIPcLm3EE23TrivialOffsetCalculatorILi1EjESB_ILi2EjEEEviT0_T1_T2_T3_,"axG",@progbits,_ZN2at6native12_GLOBAL__N_145unrolled_elementwise_kernel_for_multi_outputsILi2EZZZNS0_17frexp_kernel_cudaERNS_18TensorIteratorBaseEENKUlvE_clEvENKUlvE0_clEvEUlfE_St5arrayIPcLm3EE23TrivialOffsetCalculatorILi1EjESB_ILi2EjEEEviT0_T1_T2_T3_,comdat
.Lfunc_end540:
	.size	_ZN2at6native12_GLOBAL__N_145unrolled_elementwise_kernel_for_multi_outputsILi2EZZZNS0_17frexp_kernel_cudaERNS_18TensorIteratorBaseEENKUlvE_clEvENKUlvE0_clEvEUlfE_St5arrayIPcLm3EE23TrivialOffsetCalculatorILi1EjESB_ILi2EjEEEviT0_T1_T2_T3_, .Lfunc_end540-_ZN2at6native12_GLOBAL__N_145unrolled_elementwise_kernel_for_multi_outputsILi2EZZZNS0_17frexp_kernel_cudaERNS_18TensorIteratorBaseEENKUlvE_clEvENKUlvE0_clEvEUlfE_St5arrayIPcLm3EE23TrivialOffsetCalculatorILi1EjESB_ILi2EjEEEviT0_T1_T2_T3_
                                        ; -- End function
	.set _ZN2at6native12_GLOBAL__N_145unrolled_elementwise_kernel_for_multi_outputsILi2EZZZNS0_17frexp_kernel_cudaERNS_18TensorIteratorBaseEENKUlvE_clEvENKUlvE0_clEvEUlfE_St5arrayIPcLm3EE23TrivialOffsetCalculatorILi1EjESB_ILi2EjEEEviT0_T1_T2_T3_.num_vgpr, 14
	.set _ZN2at6native12_GLOBAL__N_145unrolled_elementwise_kernel_for_multi_outputsILi2EZZZNS0_17frexp_kernel_cudaERNS_18TensorIteratorBaseEENKUlvE_clEvENKUlvE0_clEvEUlfE_St5arrayIPcLm3EE23TrivialOffsetCalculatorILi1EjESB_ILi2EjEEEviT0_T1_T2_T3_.num_agpr, 0
	.set _ZN2at6native12_GLOBAL__N_145unrolled_elementwise_kernel_for_multi_outputsILi2EZZZNS0_17frexp_kernel_cudaERNS_18TensorIteratorBaseEENKUlvE_clEvENKUlvE0_clEvEUlfE_St5arrayIPcLm3EE23TrivialOffsetCalculatorILi1EjESB_ILi2EjEEEviT0_T1_T2_T3_.numbered_sgpr, 18
	.set _ZN2at6native12_GLOBAL__N_145unrolled_elementwise_kernel_for_multi_outputsILi2EZZZNS0_17frexp_kernel_cudaERNS_18TensorIteratorBaseEENKUlvE_clEvENKUlvE0_clEvEUlfE_St5arrayIPcLm3EE23TrivialOffsetCalculatorILi1EjESB_ILi2EjEEEviT0_T1_T2_T3_.num_named_barrier, 0
	.set _ZN2at6native12_GLOBAL__N_145unrolled_elementwise_kernel_for_multi_outputsILi2EZZZNS0_17frexp_kernel_cudaERNS_18TensorIteratorBaseEENKUlvE_clEvENKUlvE0_clEvEUlfE_St5arrayIPcLm3EE23TrivialOffsetCalculatorILi1EjESB_ILi2EjEEEviT0_T1_T2_T3_.private_seg_size, 0
	.set _ZN2at6native12_GLOBAL__N_145unrolled_elementwise_kernel_for_multi_outputsILi2EZZZNS0_17frexp_kernel_cudaERNS_18TensorIteratorBaseEENKUlvE_clEvENKUlvE0_clEvEUlfE_St5arrayIPcLm3EE23TrivialOffsetCalculatorILi1EjESB_ILi2EjEEEviT0_T1_T2_T3_.uses_vcc, 1
	.set _ZN2at6native12_GLOBAL__N_145unrolled_elementwise_kernel_for_multi_outputsILi2EZZZNS0_17frexp_kernel_cudaERNS_18TensorIteratorBaseEENKUlvE_clEvENKUlvE0_clEvEUlfE_St5arrayIPcLm3EE23TrivialOffsetCalculatorILi1EjESB_ILi2EjEEEviT0_T1_T2_T3_.uses_flat_scratch, 0
	.set _ZN2at6native12_GLOBAL__N_145unrolled_elementwise_kernel_for_multi_outputsILi2EZZZNS0_17frexp_kernel_cudaERNS_18TensorIteratorBaseEENKUlvE_clEvENKUlvE0_clEvEUlfE_St5arrayIPcLm3EE23TrivialOffsetCalculatorILi1EjESB_ILi2EjEEEviT0_T1_T2_T3_.has_dyn_sized_stack, 0
	.set _ZN2at6native12_GLOBAL__N_145unrolled_elementwise_kernel_for_multi_outputsILi2EZZZNS0_17frexp_kernel_cudaERNS_18TensorIteratorBaseEENKUlvE_clEvENKUlvE0_clEvEUlfE_St5arrayIPcLm3EE23TrivialOffsetCalculatorILi1EjESB_ILi2EjEEEviT0_T1_T2_T3_.has_recursion, 0
	.set _ZN2at6native12_GLOBAL__N_145unrolled_elementwise_kernel_for_multi_outputsILi2EZZZNS0_17frexp_kernel_cudaERNS_18TensorIteratorBaseEENKUlvE_clEvENKUlvE0_clEvEUlfE_St5arrayIPcLm3EE23TrivialOffsetCalculatorILi1EjESB_ILi2EjEEEviT0_T1_T2_T3_.has_indirect_call, 0
	.section	.AMDGPU.csdata,"",@progbits
; Kernel info:
; codeLenInByte = 572
; TotalNumSgprs: 24
; NumVgprs: 14
; NumAgprs: 0
; TotalNumVgprs: 14
; ScratchSize: 0
; MemoryBound: 0
; FloatMode: 240
; IeeeMode: 1
; LDSByteSize: 0 bytes/workgroup (compile time only)
; SGPRBlocks: 2
; VGPRBlocks: 1
; NumSGPRsForWavesPerEU: 24
; NumVGPRsForWavesPerEU: 14
; AccumOffset: 16
; Occupancy: 8
; WaveLimiterHint : 0
; COMPUTE_PGM_RSRC2:SCRATCH_EN: 0
; COMPUTE_PGM_RSRC2:USER_SGPR: 2
; COMPUTE_PGM_RSRC2:TRAP_HANDLER: 0
; COMPUTE_PGM_RSRC2:TGID_X_EN: 1
; COMPUTE_PGM_RSRC2:TGID_Y_EN: 0
; COMPUTE_PGM_RSRC2:TGID_Z_EN: 0
; COMPUTE_PGM_RSRC2:TIDIG_COMP_CNT: 0
; COMPUTE_PGM_RSRC3_GFX90A:ACCUM_OFFSET: 3
; COMPUTE_PGM_RSRC3_GFX90A:TG_SPLIT: 0
	.section	.text._ZN2at6native12_GLOBAL__N_145unrolled_elementwise_kernel_for_multi_outputsILi2EZZZNS0_17frexp_kernel_cudaERNS_18TensorIteratorBaseEENKUlvE_clEvENKUlvE0_clEvEUlfE_St5arrayIPcLm3EE16OffsetCalculatorILi1EjLb0EESB_ILi2EjLb0EEEEviT0_T1_T2_T3_,"axG",@progbits,_ZN2at6native12_GLOBAL__N_145unrolled_elementwise_kernel_for_multi_outputsILi2EZZZNS0_17frexp_kernel_cudaERNS_18TensorIteratorBaseEENKUlvE_clEvENKUlvE0_clEvEUlfE_St5arrayIPcLm3EE16OffsetCalculatorILi1EjLb0EESB_ILi2EjLb0EEEEviT0_T1_T2_T3_,comdat
	.globl	_ZN2at6native12_GLOBAL__N_145unrolled_elementwise_kernel_for_multi_outputsILi2EZZZNS0_17frexp_kernel_cudaERNS_18TensorIteratorBaseEENKUlvE_clEvENKUlvE0_clEvEUlfE_St5arrayIPcLm3EE16OffsetCalculatorILi1EjLb0EESB_ILi2EjLb0EEEEviT0_T1_T2_T3_ ; -- Begin function _ZN2at6native12_GLOBAL__N_145unrolled_elementwise_kernel_for_multi_outputsILi2EZZZNS0_17frexp_kernel_cudaERNS_18TensorIteratorBaseEENKUlvE_clEvENKUlvE0_clEvEUlfE_St5arrayIPcLm3EE16OffsetCalculatorILi1EjLb0EESB_ILi2EjLb0EEEEviT0_T1_T2_T3_
	.p2align	8
	.type	_ZN2at6native12_GLOBAL__N_145unrolled_elementwise_kernel_for_multi_outputsILi2EZZZNS0_17frexp_kernel_cudaERNS_18TensorIteratorBaseEENKUlvE_clEvENKUlvE0_clEvEUlfE_St5arrayIPcLm3EE16OffsetCalculatorILi1EjLb0EESB_ILi2EjLb0EEEEviT0_T1_T2_T3_,@function
_ZN2at6native12_GLOBAL__N_145unrolled_elementwise_kernel_for_multi_outputsILi2EZZZNS0_17frexp_kernel_cudaERNS_18TensorIteratorBaseEENKUlvE_clEvENKUlvE0_clEvEUlfE_St5arrayIPcLm3EE16OffsetCalculatorILi1EjLb0EESB_ILi2EjLb0EEEEviT0_T1_T2_T3_: ; @_ZN2at6native12_GLOBAL__N_145unrolled_elementwise_kernel_for_multi_outputsILi2EZZZNS0_17frexp_kernel_cudaERNS_18TensorIteratorBaseEENKUlvE_clEvENKUlvE0_clEvEUlfE_St5arrayIPcLm3EE16OffsetCalculatorILi1EjLb0EESB_ILi2EjLb0EEEEviT0_T1_T2_T3_
; %bb.0:
	s_load_dword s3, s[0:1], 0x0
	s_load_dwordx4 s[16:19], s[0:1], 0x8
	s_load_dwordx8 s[4:11], s[0:1], 0x164
	s_load_dwordx2 s[20:21], s[0:1], 0x18
	s_load_dwordx8 s[36:43], s[0:1], 0x184
	s_load_dwordx8 s[44:51], s[0:1], 0x60
	s_lshl_b32 s28, s2, 10
	s_waitcnt lgkmcnt(0)
	v_mov_b64_e32 v[2:3], s[8:9]
	v_mov_b64_e32 v[4:5], s[10:11]
	s_load_dwordx8 s[8:15], s[0:1], 0x1a4
	scratch_store_dwordx4 off, v[2:5], off offset:368
	s_load_dword s2, s[0:1], 0x264
	s_sub_i32 s29, s3, s28
	v_mov_b64_e32 v[2:3], s[36:37]
	v_mov_b64_e32 v[4:5], s[38:39]
	scratch_store_dwordx4 off, v[2:5], off offset:384
	s_waitcnt lgkmcnt(0)
	v_mov_b32_e32 v1, s2
	scratch_store_dword off, v1, off offset:608
	v_mov_b64_e32 v[2:3], s[40:41]
	v_mov_b64_e32 v[4:5], s[42:43]
	s_load_dwordx8 s[36:43], s[0:1], 0x1c4
	scratch_store_dwordx4 off, v[2:5], off offset:400
	v_cmp_gt_i32_e32 vcc, s29, v0
                                        ; implicit-def: $vgpr14
	s_nop 0
	v_mov_b64_e32 v[2:3], s[8:9]
	v_mov_b64_e32 v[4:5], s[10:11]
	scratch_store_dwordx4 off, v[2:5], off offset:416
	s_nop 1
	v_mov_b64_e32 v[2:3], s[12:13]
	v_mov_b64_e32 v[4:5], s[14:15]
	s_load_dwordx8 s[8:15], s[0:1], 0x1e4
	scratch_store_dwordx4 off, v[2:5], off offset:432
	s_waitcnt lgkmcnt(0)
	s_nop 0
	v_mov_b64_e32 v[2:3], s[36:37]
	v_mov_b64_e32 v[4:5], s[38:39]
	scratch_store_dwordx4 off, v[2:5], off offset:448
	s_nop 1
	v_mov_b64_e32 v[2:3], s[40:41]
	v_mov_b64_e32 v[4:5], s[42:43]
	s_load_dwordx8 s[36:43], s[0:1], 0x204
	scratch_store_dwordx4 off, v[2:5], off offset:464
	s_nop 1
	v_mov_b64_e32 v[2:3], s[8:9]
	v_mov_b64_e32 v[4:5], s[10:11]
	scratch_store_dwordx4 off, v[2:5], off offset:480
	s_nop 1
	v_mov_b64_e32 v[2:3], s[12:13]
	v_mov_b64_e32 v[4:5], s[14:15]
	s_load_dwordx8 s[8:15], s[0:1], 0x224
	scratch_store_dwordx4 off, v[2:5], off offset:496
	s_waitcnt lgkmcnt(0)
	s_nop 0
	v_mov_b64_e32 v[2:3], s[36:37]
	v_mov_b64_e32 v[4:5], s[38:39]
	scratch_store_dwordx4 off, v[2:5], off offset:512
	s_nop 1
	v_mov_b64_e32 v[2:3], s[40:41]
	v_mov_b64_e32 v[4:5], s[42:43]
	s_load_dwordx8 s[36:43], s[0:1], 0x244
	scratch_store_dwordx4 off, v[2:5], off offset:528
	;; [unrolled: 19-line block ×3, first 2 shown]
	s_nop 1
	v_mov_b64_e32 v[2:3], s[8:9]
	v_mov_b64_e32 v[4:5], s[10:11]
	scratch_store_dwordx4 off, v[2:5], off offset:288
	s_nop 1
	v_mov_b64_e32 v[2:3], s[12:13]
	v_mov_b64_e32 v[4:5], s[14:15]
	scratch_store_dwordx4 off, v[2:5], off offset:304
	s_load_dwordx8 s[8:15], s[0:1], 0x20
	s_waitcnt lgkmcnt(0)
	v_mov_b64_e32 v[2:3], s[36:37]
	v_mov_b64_e32 v[4:5], s[38:39]
	scratch_store_dwordx4 off, v[2:5], off offset:320
	s_nop 1
	v_mov_b64_e32 v[2:3], s[40:41]
	v_mov_b64_e32 v[4:5], s[42:43]
	s_load_dwordx8 s[36:43], s[0:1], 0x40
	scratch_store_dwordx4 off, v[2:5], off offset:336
	s_nop 1
	v_mov_b64_e32 v[2:3], s[4:5]
	v_mov_b64_e32 v[4:5], s[6:7]
	scratch_store_dwordx4 off, v[2:5], off offset:352
	s_nop 1
	v_mov_b64_e32 v[2:3], s[12:13]
	v_mov_b64_e32 v[4:5], s[14:15]
	scratch_store_dwordx4 off, v[2:5], off offset:44
	s_waitcnt lgkmcnt(0)
	s_nop 0
	v_mov_b64_e32 v[2:3], s[36:37]
	v_mov_b64_e32 v[4:5], s[38:39]
	scratch_store_dwordx4 off, v[2:5], off offset:60
	s_nop 1
	v_mov_b64_e32 v[2:3], s[40:41]
	v_mov_b64_e32 v[4:5], s[42:43]
	s_load_dwordx8 s[36:43], s[0:1], 0x80
	scratch_store_dwordx4 off, v[2:5], off offset:76
	s_nop 1
	v_mov_b64_e32 v[2:3], s[44:45]
	v_mov_b64_e32 v[4:5], s[46:47]
	scratch_store_dwordx4 off, v[2:5], off offset:92
	s_nop 1
	v_mov_b64_e32 v[2:3], s[48:49]
	v_mov_b64_e32 v[4:5], s[50:51]
	s_load_dwordx8 s[44:51], s[0:1], 0xa0
	scratch_store_dwordx4 off, v[2:5], off offset:108
	s_waitcnt lgkmcnt(0)
	s_nop 0
	v_mov_b64_e32 v[2:3], s[36:37]
	v_mov_b64_e32 v[4:5], s[38:39]
	scratch_store_dwordx4 off, v[2:5], off offset:124
	s_nop 1
	v_mov_b64_e32 v[2:3], s[40:41]
	v_mov_b64_e32 v[4:5], s[42:43]
	s_load_dwordx8 s[36:43], s[0:1], 0xc0
	scratch_store_dwordx4 off, v[2:5], off offset:140
	s_nop 1
	v_mov_b64_e32 v[2:3], s[44:45]
	v_mov_b64_e32 v[4:5], s[46:47]
	scratch_store_dwordx4 off, v[2:5], off offset:156
	s_nop 1
	v_mov_b64_e32 v[2:3], s[48:49]
	v_mov_b64_e32 v[4:5], s[50:51]
	s_load_dwordx8 s[44:51], s[0:1], 0xe0
	scratch_store_dwordx4 off, v[2:5], off offset:172
	s_waitcnt lgkmcnt(0)
	s_nop 0
	v_mov_b64_e32 v[2:3], s[36:37]
	v_mov_b64_e32 v[4:5], s[38:39]
	scratch_store_dwordx4 off, v[2:5], off offset:188
	s_nop 1
	v_mov_b64_e32 v[2:3], s[40:41]
	v_mov_b64_e32 v[4:5], s[42:43]
	s_load_dwordx8 s[36:43], s[0:1], 0x100
	scratch_store_dwordx4 off, v[2:5], off offset:204
	s_load_dword s0, s[0:1], 0x120
	s_waitcnt lgkmcnt(0)
	v_mov_b32_e32 v1, s0
	v_mov_b64_e32 v[2:3], s[44:45]
	v_mov_b64_e32 v[4:5], s[46:47]
	scratch_store_dwordx4 off, v[2:5], off offset:220
	v_cmp_le_i32_e64 s[0:1], s29, v0
	scratch_store_dword off, v1, off offset:284
	v_mov_b64_e32 v[2:3], s[48:49]
	v_mov_b64_e32 v[4:5], s[50:51]
	scratch_store_dwordx4 off, v[2:5], off offset:236
	s_nop 1
	v_mov_b64_e32 v[2:3], s[36:37]
	v_mov_b64_e32 v[4:5], s[38:39]
	scratch_store_dwordx4 off, v[2:5], off offset:252
	s_nop 1
	;; [unrolled: 4-line block ×3, first 2 shown]
	v_mov_b64_e32 v[2:3], s[8:9]
	v_mov_b64_e32 v[4:5], s[10:11]
	scratch_store_dwordx4 off, v[2:5], off offset:28
	s_and_saveexec_b64 s[2:3], s[0:1]
	s_xor_b64 s[0:1], exec, s[2:3]
; %bb.1:
	v_or_b32_e32 v14, 0x100, v0
; %bb.2:
	s_or_saveexec_b64 s[6:7], s[0:1]
	v_mov_b32_e32 v18, 0
	v_or_b32_e32 v9, s28, v0
	v_mov_b32_e32 v15, 0
	v_mov_b32_e32 v13, 0
	;; [unrolled: 1-line block ×3, first 2 shown]
	s_xor_b64 exec, exec, s[6:7]
	s_cbranch_execz .LBB541_74
; %bb.3:
	scratch_load_dwordx4 v[2:5], off, off offset:28
	scratch_load_dwordx2 v[16:17], off, off offset:224
	scratch_load_dwordx3 v[6:8], off, off offset:44
	v_mov_b32_e32 v14, 0
	v_or_b32_e32 v10, s28, v0
	s_waitcnt vmcnt(2)
	v_subrev_co_u32_e64 v1, s[2:3], 1, v2
	v_cmp_lt_u32_e64 s[0:1], 1, v2
	s_xor_b64 s[10:11], s[2:3], -1
	v_cmp_lt_u32_e64 s[2:3], 1, v1
	v_min_u32_e32 v2, 15, v1
	s_and_saveexec_b64 s[4:5], s[2:3]
	s_xor_b64 s[8:9], exec, s[4:5]
	s_cbranch_execz .LBB541_15
; %bb.4:
	s_and_saveexec_b64 s[12:13], s[10:11]
	s_cbranch_execz .LBB541_14
; %bb.5:
	v_add_u32_e32 v12, 1, v2
	v_cmp_ne_u32_e64 s[4:5], 2, v1
	v_mov_b32_e32 v14, 0
	v_mov_b32_e32 v11, 0
	s_and_saveexec_b64 s[14:15], s[4:5]
	s_cbranch_execz .LBB541_9
; %bb.6:
	v_and_b32_e32 v11, 28, v12
	s_mov_b32 s24, 0
	s_mov_b64 s[22:23], 0
	v_mov_b32_e32 v14, 0
	s_mov_b32 s25, 0
	s_mov_b32 s26, 0
.LBB541_7:                              ; =>This Inner Loop Header: Depth=1
	s_add_i32 s27, s25, 32
	s_add_i32 s5, s24, 0xe0
	;; [unrolled: 1-line block ×4, first 2 shown]
	scratch_load_dwordx4 v[18:21], off, s27
	scratch_load_dwordx4 v[22:25], off, s30
	;; [unrolled: 1-line block ×4, first 2 shown]
	s_add_i32 s26, s26, 4
	s_add_i32 s25, s25, 48
	;; [unrolled: 1-line block ×3, first 2 shown]
	v_cmp_eq_u32_e64 s[4:5], s26, v11
	s_or_b64 s[22:23], s[4:5], s[22:23]
	s_waitcnt vmcnt(3)
	v_mul_hi_u32 v13, v19, v10
	v_add_u32_e32 v13, v10, v13
	v_lshrrev_b32_e32 v13, v20, v13
	v_mul_lo_u32 v15, v13, v18
	s_waitcnt vmcnt(2)
	v_mul_hi_u32 v18, v22, v13
	v_sub_u32_e32 v10, v10, v15
	v_add_u32_e32 v15, v13, v18
	v_lshrrev_b32_e32 v15, v23, v15
	v_mul_lo_u32 v18, v15, v21
	v_mul_hi_u32 v19, v25, v15
	v_sub_u32_e32 v13, v13, v18
	v_add_u32_e32 v18, v15, v19
	s_waitcnt vmcnt(0)
	v_mul_lo_u32 v10, v10, v30
	v_mul_lo_u32 v13, v13, v31
	v_lshrrev_b32_e32 v18, v26, v18
	v_add3_u32 v13, v10, v14, v13
	v_mul_lo_u32 v10, v18, v24
	v_mul_hi_u32 v14, v28, v18
	v_sub_u32_e32 v10, v15, v10
	v_add_u32_e32 v14, v18, v14
	v_mul_lo_u32 v15, v10, v32
	v_lshrrev_b32_e32 v10, v29, v14
	v_mul_lo_u32 v14, v10, v27
	v_sub_u32_e32 v14, v18, v14
	v_mul_lo_u32 v14, v14, v33
	v_add3_u32 v14, v15, v13, v14
	s_andn2_b64 exec, exec, s[22:23]
	s_cbranch_execnz .LBB541_7
; %bb.8:
	s_or_b64 exec, exec, s[22:23]
.LBB541_9:
	s_or_b64 exec, exec, s[14:15]
	v_and_b32_e32 v12, 3, v12
	v_cmp_ne_u32_e64 s[4:5], 0, v12
	s_and_saveexec_b64 s[14:15], s[4:5]
	s_cbranch_execz .LBB541_13
; %bb.10:
	v_mov_b32_e32 v15, 0
	v_lshl_add_u32 v13, v11, 2, v15
	v_add_u32_e32 v13, 0xe0, v13
	v_mad_u32_u24 v11, v11, 12, v15
	s_mov_b64 s[22:23], 0
.LBB541_11:                             ; =>This Inner Loop Header: Depth=1
	v_add_u32_e32 v15, 32, v11
	scratch_load_dwordx3 v[18:20], v15, off
	scratch_load_dword v21, v13, off
	v_add_u32_e32 v12, -1, v12
	v_cmp_eq_u32_e64 s[4:5], 0, v12
	v_add_u32_e32 v13, 4, v13
	v_add_u32_e32 v11, 12, v11
	s_or_b64 s[22:23], s[4:5], s[22:23]
	s_waitcnt vmcnt(1)
	v_mul_hi_u32 v15, v19, v10
	v_add_u32_e32 v15, v10, v15
	v_lshrrev_b32_e32 v15, v20, v15
	v_mul_lo_u32 v18, v15, v18
	v_sub_u32_e32 v18, v10, v18
	v_mov_b32_e32 v10, v15
	s_waitcnt vmcnt(0)
	v_mad_u64_u32 v[14:15], s[4:5], v18, v21, v[14:15]
	s_andn2_b64 exec, exec, s[22:23]
	s_cbranch_execnz .LBB541_11
; %bb.12:
	s_or_b64 exec, exec, s[22:23]
.LBB541_13:
	s_or_b64 exec, exec, s[14:15]
.LBB541_14:
	s_or_b64 exec, exec, s[12:13]
                                        ; implicit-def: $vgpr10
.LBB541_15:
	s_andn2_saveexec_b64 s[4:5], s[8:9]
	s_cbranch_execz .LBB541_19
; %bb.16:
	v_mul_hi_u32 v11, v4, v10
	v_add_u32_e32 v11, v10, v11
	v_lshrrev_b32_e32 v11, v5, v11
	v_mul_lo_u32 v12, v11, v3
	v_sub_u32_e32 v10, v10, v12
	s_waitcnt vmcnt(1)
	v_mul_lo_u32 v14, v10, v16
	s_and_saveexec_b64 s[8:9], s[0:1]
	s_cbranch_execz .LBB541_18
; %bb.17:
	s_waitcnt vmcnt(0)
	v_mul_hi_u32 v10, v11, v7
	v_add_u32_e32 v10, v11, v10
	v_lshrrev_b32_e32 v10, v8, v10
	v_mul_lo_u32 v10, v10, v6
	v_sub_u32_e32 v10, v11, v10
	v_mad_u64_u32 v[14:15], s[12:13], v10, v17, v[14:15]
.LBB541_18:
	s_or_b64 exec, exec, s[8:9]
.LBB541_19:
	s_or_b64 exec, exec, s[4:5]
	v_mov_b32_e32 v15, 0
	v_lshl_add_u64 v[10:11], v[14:15], 2, s[20:21]
	global_load_dword v18, v[10:11], off
	v_or_b32_e32 v14, 0x100, v0
	v_cmp_gt_u32_e64 s[4:5], s29, v14
	v_mov_b32_e32 v13, v15
	v_mov_b32_e32 v11, v15
	s_and_saveexec_b64 s[8:9], s[4:5]
	s_cbranch_execz .LBB541_73
; %bb.20:
	v_add_u32_e32 v10, s28, v14
                                        ; implicit-def: $vgpr12
	s_and_saveexec_b64 s[4:5], s[2:3]
	s_xor_b64 s[12:13], exec, s[4:5]
	s_cbranch_execz .LBB541_32
; %bb.21:
	v_mov_b32_e32 v12, 0
	s_and_saveexec_b64 s[14:15], s[10:11]
	s_cbranch_execz .LBB541_31
; %bb.22:
	v_add_u32_e32 v13, 1, v2
	v_cmp_ne_u32_e64 s[4:5], 2, v1
	v_mov_b32_e32 v12, 0
	v_mov_b32_e32 v11, 0
	s_and_saveexec_b64 s[22:23], s[4:5]
	s_cbranch_execz .LBB541_26
; %bb.23:
	v_and_b32_e32 v11, 28, v13
	s_mov_b32 s26, 0
	s_mov_b64 s[24:25], 0
	v_mov_b32_e32 v12, 0
	s_mov_b32 s27, 0
	s_mov_b32 s30, 0
.LBB541_24:                             ; =>This Inner Loop Header: Depth=1
	s_add_i32 s31, s27, 32
	s_add_i32 s5, s26, 0xe0
	;; [unrolled: 1-line block ×4, first 2 shown]
	scratch_load_dwordx4 v[20:23], off, s31
	scratch_load_dwordx4 v[24:27], off, s33
	scratch_load_dwordx4 v[28:31], off, s4
	scratch_load_dwordx4 v[32:35], off, s5
	s_add_i32 s30, s30, 4
	s_add_i32 s27, s27, 48
	;; [unrolled: 1-line block ×3, first 2 shown]
	v_cmp_eq_u32_e64 s[4:5], s30, v11
	s_or_b64 s[24:25], s[4:5], s[24:25]
	s_waitcnt vmcnt(3)
	v_mul_hi_u32 v15, v21, v10
	v_add_u32_e32 v15, v10, v15
	v_lshrrev_b32_e32 v15, v22, v15
	v_mul_lo_u32 v19, v15, v20
	s_waitcnt vmcnt(2)
	v_mul_hi_u32 v20, v24, v15
	v_sub_u32_e32 v10, v10, v19
	v_add_u32_e32 v19, v15, v20
	v_lshrrev_b32_e32 v19, v25, v19
	v_mul_lo_u32 v20, v19, v23
	v_mul_hi_u32 v21, v27, v19
	v_sub_u32_e32 v15, v15, v20
	v_add_u32_e32 v20, v19, v21
	s_waitcnt vmcnt(0)
	v_mul_lo_u32 v10, v10, v32
	v_mul_lo_u32 v15, v15, v33
	v_lshrrev_b32_e32 v20, v28, v20
	v_add3_u32 v12, v10, v12, v15
	v_mul_lo_u32 v10, v20, v26
	v_mul_hi_u32 v15, v30, v20
	v_sub_u32_e32 v10, v19, v10
	v_add_u32_e32 v15, v20, v15
	v_mul_lo_u32 v19, v10, v34
	v_lshrrev_b32_e32 v10, v31, v15
	v_mul_lo_u32 v15, v10, v29
	v_sub_u32_e32 v15, v20, v15
	v_mul_lo_u32 v15, v15, v35
	v_add3_u32 v12, v19, v12, v15
	s_andn2_b64 exec, exec, s[24:25]
	s_cbranch_execnz .LBB541_24
; %bb.25:
	s_or_b64 exec, exec, s[24:25]
.LBB541_26:
	s_or_b64 exec, exec, s[22:23]
	v_and_b32_e32 v15, 3, v13
	v_cmp_ne_u32_e64 s[4:5], 0, v15
	s_and_saveexec_b64 s[22:23], s[4:5]
	s_cbranch_execz .LBB541_30
; %bb.27:
	v_mov_b32_e32 v13, 0
	v_lshl_add_u32 v19, v11, 2, v13
	v_add_u32_e32 v19, 0xe0, v19
	v_mad_u32_u24 v11, v11, 12, v13
	s_mov_b64 s[24:25], 0
.LBB541_28:                             ; =>This Inner Loop Header: Depth=1
	v_add_u32_e32 v13, 32, v11
	scratch_load_dwordx3 v[20:22], v13, off
	scratch_load_dword v23, v19, off
	v_add_u32_e32 v15, -1, v15
	v_cmp_eq_u32_e64 s[4:5], 0, v15
	v_add_u32_e32 v19, 4, v19
	v_add_u32_e32 v11, 12, v11
	s_or_b64 s[24:25], s[4:5], s[24:25]
	s_waitcnt vmcnt(1)
	v_mul_hi_u32 v13, v21, v10
	v_add_u32_e32 v13, v10, v13
	v_lshrrev_b32_e32 v13, v22, v13
	v_mul_lo_u32 v20, v13, v20
	v_sub_u32_e32 v20, v10, v20
	v_mov_b32_e32 v10, v13
	s_waitcnt vmcnt(0)
	v_mad_u64_u32 v[12:13], s[4:5], v20, v23, v[12:13]
	s_andn2_b64 exec, exec, s[24:25]
	s_cbranch_execnz .LBB541_28
; %bb.29:
	s_or_b64 exec, exec, s[24:25]
.LBB541_30:
	s_or_b64 exec, exec, s[22:23]
.LBB541_31:
	s_or_b64 exec, exec, s[14:15]
                                        ; implicit-def: $vgpr10
.LBB541_32:
	s_andn2_saveexec_b64 s[4:5], s[12:13]
	s_cbranch_execz .LBB541_36
; %bb.33:
	v_mul_hi_u32 v11, v4, v10
	v_add_u32_e32 v11, v10, v11
	v_lshrrev_b32_e32 v11, v5, v11
	v_mul_lo_u32 v12, v11, v3
	v_sub_u32_e32 v10, v10, v12
	s_waitcnt vmcnt(2)
	v_mul_lo_u32 v12, v10, v16
	s_and_saveexec_b64 s[12:13], s[0:1]
	s_cbranch_execz .LBB541_35
; %bb.34:
	s_waitcnt vmcnt(1)
	v_mul_hi_u32 v10, v11, v7
	v_add_u32_e32 v10, v11, v10
	v_lshrrev_b32_e32 v10, v8, v10
	v_mul_lo_u32 v10, v10, v6
	v_sub_u32_e32 v10, v11, v10
	v_mad_u64_u32 v[12:13], s[14:15], v10, v17, v[12:13]
.LBB541_35:
	s_or_b64 exec, exec, s[12:13]
.LBB541_36:
	s_or_b64 exec, exec, s[4:5]
	v_mov_b32_e32 v13, 0
	v_lshl_add_u64 v[10:11], v[12:13], 2, s[20:21]
	global_load_dword v15, v[10:11], off
	v_or_b32_e32 v10, 0x200, v0
	v_cmp_gt_u32_e64 s[4:5], s29, v10
	v_mov_b32_e32 v11, v13
	s_and_saveexec_b64 s[12:13], s[4:5]
	s_cbranch_execz .LBB541_72
; %bb.37:
	v_add_u32_e32 v12, s28, v10
                                        ; implicit-def: $vgpr10
	s_and_saveexec_b64 s[4:5], s[2:3]
	s_xor_b64 s[14:15], exec, s[4:5]
	s_cbranch_execz .LBB541_49
; %bb.38:
	v_mov_b32_e32 v10, 0
	s_and_saveexec_b64 s[22:23], s[10:11]
	s_cbranch_execz .LBB541_48
; %bb.39:
	v_add_u32_e32 v13, 1, v2
	v_cmp_ne_u32_e64 s[4:5], 2, v1
	v_mov_b32_e32 v10, 0
	v_mov_b32_e32 v11, 0
	s_and_saveexec_b64 s[24:25], s[4:5]
	s_cbranch_execz .LBB541_43
; %bb.40:
	v_and_b32_e32 v11, 28, v13
	s_mov_b32 s30, 0
	s_mov_b64 s[26:27], 0
	v_mov_b32_e32 v10, 0
	s_mov_b32 s31, 0
	s_mov_b32 s33, 0
.LBB541_41:                             ; =>This Inner Loop Header: Depth=1
	s_add_i32 s34, s31, 32
	s_add_i32 s5, s30, 0xe0
	;; [unrolled: 1-line block ×4, first 2 shown]
	scratch_load_dwordx4 v[20:23], off, s34
	scratch_load_dwordx4 v[24:27], off, s35
	;; [unrolled: 1-line block ×4, first 2 shown]
	s_add_i32 s33, s33, 4
	s_add_i32 s31, s31, 48
	;; [unrolled: 1-line block ×3, first 2 shown]
	v_cmp_eq_u32_e64 s[4:5], s33, v11
	s_or_b64 s[26:27], s[4:5], s[26:27]
	s_waitcnt vmcnt(3)
	v_mul_hi_u32 v19, v21, v12
	v_add_u32_e32 v19, v12, v19
	v_lshrrev_b32_e32 v19, v22, v19
	v_mul_lo_u32 v20, v19, v20
	s_waitcnt vmcnt(2)
	v_mul_hi_u32 v21, v24, v19
	v_sub_u32_e32 v12, v12, v20
	v_add_u32_e32 v20, v19, v21
	v_lshrrev_b32_e32 v20, v25, v20
	v_mul_lo_u32 v21, v20, v23
	v_mul_hi_u32 v22, v27, v20
	v_sub_u32_e32 v19, v19, v21
	v_add_u32_e32 v21, v20, v22
	s_waitcnt vmcnt(0)
	v_mul_lo_u32 v12, v12, v32
	v_mul_lo_u32 v19, v19, v33
	v_lshrrev_b32_e32 v21, v28, v21
	v_add3_u32 v10, v12, v10, v19
	v_mul_lo_u32 v12, v21, v26
	v_mul_hi_u32 v19, v30, v21
	v_sub_u32_e32 v12, v20, v12
	v_add_u32_e32 v19, v21, v19
	v_mul_lo_u32 v20, v12, v34
	v_lshrrev_b32_e32 v12, v31, v19
	v_mul_lo_u32 v19, v12, v29
	v_sub_u32_e32 v19, v21, v19
	v_mul_lo_u32 v19, v19, v35
	v_add3_u32 v10, v20, v10, v19
	s_andn2_b64 exec, exec, s[26:27]
	s_cbranch_execnz .LBB541_41
; %bb.42:
	s_or_b64 exec, exec, s[26:27]
.LBB541_43:
	s_or_b64 exec, exec, s[24:25]
	v_and_b32_e32 v13, 3, v13
	v_cmp_ne_u32_e64 s[4:5], 0, v13
	s_and_saveexec_b64 s[24:25], s[4:5]
	s_cbranch_execz .LBB541_47
; %bb.44:
	v_mov_b32_e32 v20, 0
	v_lshl_add_u32 v19, v11, 2, v20
	v_add_u32_e32 v19, 0xe0, v19
	v_mad_u32_u24 v20, v11, 12, v20
	s_mov_b64 s[26:27], 0
.LBB541_45:                             ; =>This Inner Loop Header: Depth=1
	v_add_u32_e32 v11, 32, v20
	scratch_load_dwordx3 v[22:24], v11, off
	scratch_load_dword v21, v19, off
	v_add_u32_e32 v13, -1, v13
	v_cmp_eq_u32_e64 s[4:5], 0, v13
	v_add_u32_e32 v19, 4, v19
	v_add_u32_e32 v20, 12, v20
	s_or_b64 s[26:27], s[4:5], s[26:27]
	s_waitcnt vmcnt(1)
	v_mul_hi_u32 v11, v23, v12
	v_add_u32_e32 v11, v12, v11
	v_lshrrev_b32_e32 v11, v24, v11
	v_mul_lo_u32 v22, v11, v22
	v_sub_u32_e32 v22, v12, v22
	v_mov_b32_e32 v12, v11
	s_waitcnt vmcnt(0)
	v_mad_u64_u32 v[10:11], s[4:5], v22, v21, v[10:11]
	s_andn2_b64 exec, exec, s[26:27]
	s_cbranch_execnz .LBB541_45
; %bb.46:
	s_or_b64 exec, exec, s[26:27]
.LBB541_47:
	s_or_b64 exec, exec, s[24:25]
.LBB541_48:
	s_or_b64 exec, exec, s[22:23]
                                        ; implicit-def: $vgpr12
.LBB541_49:
	s_andn2_saveexec_b64 s[4:5], s[14:15]
	s_cbranch_execz .LBB541_53
; %bb.50:
	v_mul_hi_u32 v10, v4, v12
	v_add_u32_e32 v10, v12, v10
	v_lshrrev_b32_e32 v11, v5, v10
	v_mul_lo_u32 v10, v11, v3
	v_sub_u32_e32 v10, v12, v10
	s_waitcnt vmcnt(3)
	v_mul_lo_u32 v10, v10, v16
	s_and_saveexec_b64 s[14:15], s[0:1]
	s_cbranch_execz .LBB541_52
; %bb.51:
	s_waitcnt vmcnt(2)
	v_mul_hi_u32 v12, v11, v7
	v_add_u32_e32 v12, v11, v12
	v_lshrrev_b32_e32 v12, v8, v12
	v_mul_lo_u32 v12, v12, v6
	v_sub_u32_e32 v11, v11, v12
	v_mad_u64_u32 v[10:11], s[22:23], v11, v17, v[10:11]
.LBB541_52:
	s_or_b64 exec, exec, s[14:15]
.LBB541_53:
	s_or_b64 exec, exec, s[4:5]
	v_mov_b32_e32 v11, 0
	v_lshl_add_u64 v[12:13], v[10:11], 2, s[20:21]
	global_load_dword v13, v[12:13], off
	v_or_b32_e32 v10, 0x300, v0
	v_cmp_gt_u32_e64 s[4:5], s29, v10
	s_and_saveexec_b64 s[14:15], s[4:5]
	s_cbranch_execz .LBB541_71
; %bb.54:
	v_add_u32_e32 v12, s28, v10
                                        ; implicit-def: $vgpr10
	s_and_saveexec_b64 s[4:5], s[2:3]
	s_xor_b64 s[4:5], exec, s[4:5]
	s_cbranch_execz .LBB541_66
; %bb.55:
	v_mov_b32_e32 v10, 0
	s_and_saveexec_b64 s[22:23], s[10:11]
	s_cbranch_execz .LBB541_65
; %bb.56:
	v_add_u32_e32 v2, 1, v2
	v_cmp_ne_u32_e64 s[2:3], 2, v1
	v_mov_b32_e32 v10, 0
	v_mov_b32_e32 v1, 0
	s_and_saveexec_b64 s[10:11], s[2:3]
	s_cbranch_execz .LBB541_60
; %bb.57:
	v_and_b32_e32 v1, 28, v2
	s_mov_b32 s26, 0
	s_mov_b64 s[24:25], 0
	v_mov_b32_e32 v10, 0
	s_mov_b32 s27, 0
	s_mov_b32 s30, 0
.LBB541_58:                             ; =>This Inner Loop Header: Depth=1
	s_add_i32 s31, s27, 32
	s_add_i32 s3, s26, 0xe0
	;; [unrolled: 1-line block ×4, first 2 shown]
	scratch_load_dwordx4 v[4:7], off, s31
	scratch_load_dwordx4 v[20:23], off, s33
	scratch_load_dwordx4 v[24:27], off, s2
	scratch_load_dwordx4 v[28:31], off, s3
	s_add_i32 s30, s30, 4
	s_add_i32 s27, s27, 48
	;; [unrolled: 1-line block ×3, first 2 shown]
	v_cmp_eq_u32_e64 s[2:3], s30, v1
	s_or_b64 s[24:25], s[2:3], s[24:25]
	s_waitcnt vmcnt(3)
	v_mul_hi_u32 v3, v5, v12
	v_add_u32_e32 v3, v12, v3
	v_lshrrev_b32_e32 v3, v6, v3
	s_waitcnt vmcnt(2)
	v_mul_hi_u32 v5, v20, v3
	v_add_u32_e32 v5, v3, v5
	v_lshrrev_b32_e32 v5, v21, v5
	v_mul_lo_u32 v4, v3, v4
	v_mul_lo_u32 v6, v5, v7
	v_mul_hi_u32 v7, v23, v5
	v_sub_u32_e32 v4, v12, v4
	v_sub_u32_e32 v3, v3, v6
	v_add_u32_e32 v6, v5, v7
	s_waitcnt vmcnt(0)
	v_mul_lo_u32 v4, v4, v28
	v_mul_lo_u32 v3, v3, v29
	v_lshrrev_b32_e32 v6, v24, v6
	v_add3_u32 v3, v4, v10, v3
	v_mul_lo_u32 v4, v6, v22
	v_mul_hi_u32 v7, v26, v6
	v_sub_u32_e32 v4, v5, v4
	v_add_u32_e32 v5, v6, v7
	v_lshrrev_b32_e32 v12, v27, v5
	v_mul_lo_u32 v5, v12, v25
	v_sub_u32_e32 v5, v6, v5
	v_mul_lo_u32 v4, v4, v30
	v_mul_lo_u32 v5, v5, v31
	v_add3_u32 v10, v4, v3, v5
	s_andn2_b64 exec, exec, s[24:25]
	s_cbranch_execnz .LBB541_58
; %bb.59:
	s_or_b64 exec, exec, s[24:25]
.LBB541_60:
	s_or_b64 exec, exec, s[10:11]
	v_and_b32_e32 v2, 3, v2
	v_cmp_ne_u32_e64 s[2:3], 0, v2
	s_and_saveexec_b64 s[10:11], s[2:3]
	s_cbranch_execz .LBB541_64
; %bb.61:
	v_mov_b32_e32 v4, 0
	v_lshl_add_u32 v3, v1, 2, v4
	v_add_u32_e32 v3, 0xe0, v3
	v_mad_u32_u24 v1, v1, 12, v4
	s_mov_b64 s[24:25], 0
.LBB541_62:                             ; =>This Inner Loop Header: Depth=1
	s_waitcnt vmcnt(3)
	v_add_u32_e32 v7, 32, v1
	scratch_load_dwordx3 v[4:6], v7, off
	scratch_load_dword v8, v3, off
	v_add_u32_e32 v2, -1, v2
	v_cmp_eq_u32_e64 s[2:3], 0, v2
	v_add_u32_e32 v3, 4, v3
	v_add_u32_e32 v1, 12, v1
	s_or_b64 s[24:25], s[2:3], s[24:25]
	s_waitcnt vmcnt(1)
	v_mul_hi_u32 v5, v5, v12
	v_add_u32_e32 v5, v12, v5
	v_lshrrev_b32_e32 v5, v6, v5
	v_mul_lo_u32 v4, v5, v4
	v_sub_u32_e32 v4, v12, v4
	v_mov_b32_e32 v12, v5
	s_waitcnt vmcnt(0)
	v_mad_u64_u32 v[10:11], s[2:3], v4, v8, v[10:11]
	s_andn2_b64 exec, exec, s[24:25]
	s_cbranch_execnz .LBB541_62
; %bb.63:
	s_or_b64 exec, exec, s[24:25]
.LBB541_64:
	s_or_b64 exec, exec, s[10:11]
.LBB541_65:
	s_or_b64 exec, exec, s[22:23]
                                        ; implicit-def: $vgpr2_vgpr3_vgpr4_vgpr5
                                        ; implicit-def: $vgpr12
                                        ; implicit-def: $vgpr16_vgpr17
                                        ; implicit-def: $vgpr6_vgpr7_vgpr8
.LBB541_66:
	s_andn2_saveexec_b64 s[2:3], s[4:5]
	s_cbranch_execz .LBB541_70
; %bb.67:
	v_mul_hi_u32 v1, v4, v12
	v_add_u32_e32 v1, v12, v1
	v_lshrrev_b32_e32 v1, v5, v1
	v_mul_lo_u32 v2, v1, v3
	v_sub_u32_e32 v2, v12, v2
	s_waitcnt vmcnt(4)
	v_mul_lo_u32 v10, v2, v16
	s_and_saveexec_b64 s[4:5], s[0:1]
	s_cbranch_execz .LBB541_69
; %bb.68:
	s_waitcnt vmcnt(3)
	v_mul_hi_u32 v2, v1, v7
	v_add_u32_e32 v2, v1, v2
	v_lshrrev_b32_e32 v2, v8, v2
	v_mul_lo_u32 v2, v2, v6
	v_sub_u32_e32 v1, v1, v2
	v_mad_u64_u32 v[10:11], s[0:1], v1, v17, v[10:11]
.LBB541_69:
	s_or_b64 exec, exec, s[4:5]
.LBB541_70:
	s_or_b64 exec, exec, s[2:3]
	v_mov_b32_e32 v11, 0
	v_lshl_add_u64 v[2:3], v[10:11], 2, s[20:21]
	global_load_dword v11, v[2:3], off
.LBB541_71:
	s_or_b64 exec, exec, s[14:15]
.LBB541_72:
	s_or_b64 exec, exec, s[12:13]
.LBB541_73:
	s_or_b64 exec, exec, s[8:9]
.LBB541_74:
	s_or_b64 exec, exec, s[6:7]
	s_and_saveexec_b64 s[0:1], vcc
	s_cbranch_execz .LBB541_143
; %bb.75:
	scratch_load_dword v6, off, off offset:288
                                        ; implicit-def: $vgpr4
                                        ; implicit-def: $vgpr2
	s_waitcnt vmcnt(0)
	v_add_u32_e32 v7, -1, v6
	v_cmp_lt_u32_e32 vcc, 1, v7
	s_and_saveexec_b64 s[0:1], vcc
	s_xor_b64 s[2:3], exec, s[0:1]
	s_cbranch_execz .LBB541_87
; %bb.76:
	v_mov_b32_e32 v4, 0
	v_cmp_ne_u32_e64 s[0:1], 0, v6
	v_mov_b32_e32 v2, 0
	s_and_saveexec_b64 s[4:5], s[0:1]
	s_cbranch_execz .LBB541_86
; %bb.77:
	v_min_u32_e32 v1, 15, v7
	v_mov_b32_e32 v2, 0
	v_add_u32_e32 v5, 1, v1
	v_cmp_ne_u32_e64 s[0:1], 2, v7
	s_mov_b32 s10, 0
	v_mov_b32_e32 v1, v2
	v_mov_b32_e32 v3, v2
                                        ; implicit-def: $vgpr4
	s_and_saveexec_b64 s[6:7], s[0:1]
	s_cbranch_execz .LBB541_81
; %bb.78:
	v_and_b32_e32 v3, 28, v5
	s_mov_b64 s[8:9], 0
	v_mov_b32_e32 v2, 0
	v_mov_b32_e32 v4, 0
	s_mov_b32 s11, 0
	s_mov_b32 s12, 0
.LBB541_79:                             ; =>This Inner Loop Header: Depth=1
	s_add_i32 s13, s11, 0x124
	s_add_i32 s14, s10, 0x1e4
	;; [unrolled: 1-line block ×5, first 2 shown]
	scratch_load_dwordx4 v[20:23], off, s13
	scratch_load_dwordx4 v[24:27], off, s15
	;; [unrolled: 1-line block ×5, first 2 shown]
	s_add_i32 s12, s12, 4
	s_add_i32 s11, s11, 48
	;; [unrolled: 1-line block ×3, first 2 shown]
	v_cmp_eq_u32_e64 s[0:1], s12, v3
	s_or_b64 s[8:9], s[0:1], s[8:9]
	s_waitcnt vmcnt(4)
	v_mul_hi_u32 v1, v21, v9
	v_add_u32_e32 v1, v9, v1
	v_lshrrev_b32_e32 v1, v22, v1
	v_mul_lo_u32 v8, v1, v20
	s_waitcnt vmcnt(3)
	v_mul_hi_u32 v10, v24, v1
	v_sub_u32_e32 v8, v9, v8
	v_add_u32_e32 v9, v1, v10
	v_lshrrev_b32_e32 v9, v25, v9
	v_mul_lo_u32 v12, v9, v23
	v_mul_hi_u32 v16, v27, v9
	v_sub_u32_e32 v1, v1, v12
	v_add_u32_e32 v12, v9, v16
	s_waitcnt vmcnt(2)
	v_mul_lo_u32 v10, v8, v29
	v_mul_lo_u32 v8, v8, v28
	;; [unrolled: 1-line block ×4, first 2 shown]
	s_waitcnt vmcnt(1)
	v_lshrrev_b32_e32 v12, v32, v12
	v_add3_u32 v1, v8, v2, v1
	v_mul_hi_u32 v8, v34, v12
	v_add3_u32 v2, v10, v4, v16
	v_mul_lo_u32 v4, v12, v26
	v_add_u32_e32 v8, v12, v8
	v_sub_u32_e32 v4, v9, v4
	v_lshrrev_b32_e32 v9, v35, v8
	v_mul_lo_u32 v8, v9, v33
	v_sub_u32_e32 v8, v12, v8
	s_waitcnt vmcnt(0)
	v_mul_lo_u32 v10, v4, v36
	v_mul_lo_u32 v4, v4, v37
	;; [unrolled: 1-line block ×4, first 2 shown]
	v_add3_u32 v4, v4, v2, v8
	v_add3_u32 v2, v10, v1, v12
	s_andn2_b64 exec, exec, s[8:9]
	s_cbranch_execnz .LBB541_79
; %bb.80:
	s_or_b64 exec, exec, s[8:9]
	v_mov_b32_e32 v1, v4
.LBB541_81:
	s_or_b64 exec, exec, s[6:7]
	v_and_b32_e32 v8, 3, v5
	v_cmp_ne_u32_e64 s[0:1], 0, v8
	s_and_saveexec_b64 s[6:7], s[0:1]
	s_cbranch_execz .LBB541_85
; %bb.82:
	v_mov_b32_e32 v4, 0
	v_lshl_add_u32 v5, v3, 3, v4
	v_add_u32_e32 v10, 0x1e4, v5
	v_mad_u32_u24 v12, v3, 12, v4
	s_mov_b64 s[8:9], 0
.LBB541_83:                             ; =>This Inner Loop Header: Depth=1
	v_add_u32_e32 v3, 0x124, v12
	scratch_load_dwordx3 v[20:22], v3, off
	scratch_load_dwordx2 v[16:17], v10, off
	v_mov_b32_e32 v4, v1
	v_add_u32_e32 v8, -1, v8
	v_cmp_eq_u32_e64 s[0:1], 0, v8
	s_or_b64 s[8:9], s[0:1], s[8:9]
	v_add_u32_e32 v10, 8, v10
	v_add_u32_e32 v12, 12, v12
	s_waitcnt vmcnt(1)
	v_mul_hi_u32 v1, v21, v9
	v_add_u32_e32 v1, v9, v1
	v_lshrrev_b32_e32 v1, v22, v1
	v_mul_lo_u32 v3, v1, v20
	v_sub_u32_e32 v3, v9, v3
	s_waitcnt vmcnt(0)
	v_mad_u64_u32 v[4:5], s[0:1], v3, v17, v[4:5]
	v_mov_b32_e32 v9, v1
	v_mad_u64_u32 v[2:3], s[0:1], v3, v16, v[2:3]
	v_mov_b32_e32 v1, v4
	s_andn2_b64 exec, exec, s[8:9]
	s_cbranch_execnz .LBB541_83
; %bb.84:
	s_or_b64 exec, exec, s[8:9]
.LBB541_85:
	s_or_b64 exec, exec, s[6:7]
.LBB541_86:
	s_or_b64 exec, exec, s[4:5]
                                        ; implicit-def: $vgpr9
.LBB541_87:
	s_andn2_saveexec_b64 s[2:3], s[2:3]
	s_cbranch_execz .LBB541_91
; %bb.88:
	scratch_load_dwordx3 v[2:4], off, off offset:292
	scratch_load_dwordx2 v[16:17], off, off offset:484
	v_cmp_lt_u32_e64 s[0:1], 1, v6
	s_waitcnt vmcnt(1)
	v_mul_hi_u32 v1, v3, v9
	v_add_u32_e32 v1, v9, v1
	v_lshrrev_b32_e32 v1, v4, v1
	v_mul_lo_u32 v2, v1, v2
	v_sub_u32_e32 v2, v9, v2
	s_waitcnt vmcnt(0)
	v_mul_lo_u32 v4, v2, v17
	v_mul_lo_u32 v2, v2, v16
	s_and_saveexec_b64 s[4:5], s[0:1]
	s_cbranch_execz .LBB541_90
; %bb.89:
	scratch_load_dwordx3 v[8:10], off, off offset:304
	scratch_load_dwordx2 v[16:17], off, off offset:492
	s_waitcnt vmcnt(1)
	v_mul_hi_u32 v3, v9, v1
	v_add_u32_e32 v3, v1, v3
	v_lshrrev_b32_e32 v3, v10, v3
	v_mul_lo_u32 v3, v3, v8
	v_sub_u32_e32 v1, v1, v3
	s_waitcnt vmcnt(0)
	v_mad_u64_u32 v[2:3], s[0:1], v1, v16, v[2:3]
	v_mad_u64_u32 v[4:5], s[0:1], v1, v17, v[4:5]
.LBB541_90:
	s_or_b64 exec, exec, s[4:5]
.LBB541_91:
	s_or_b64 exec, exec, s[2:3]
	v_mov_b32_e32 v3, 0
	v_frexp_mant_f32_e32 v5, v18
	v_lshl_add_u64 v[8:9], v[2:3], 2, s[16:17]
	global_store_dword v[8:9], v5, off
	v_mov_b32_e32 v5, v3
	v_frexp_exp_i32_f32_e32 v1, v18
	v_cmp_gt_i32_e64 s[0:1], s29, v14
	v_lshl_add_u64 v[2:3], v[4:5], 2, s[18:19]
	global_store_dword v[2:3], v1, off
	s_and_b64 exec, exec, s[0:1]
	s_cbranch_execz .LBB541_143
; %bb.92:
	v_add_u32_e32 v8, s28, v14
                                        ; implicit-def: $vgpr4
                                        ; implicit-def: $vgpr2
	s_and_saveexec_b64 s[0:1], vcc
	s_xor_b64 s[2:3], exec, s[0:1]
	s_cbranch_execz .LBB541_104
; %bb.93:
	v_mov_b32_e32 v4, 0
	v_cmp_ne_u32_e64 s[0:1], 0, v6
	v_mov_b32_e32 v2, 0
	s_and_saveexec_b64 s[4:5], s[0:1]
	s_cbranch_execz .LBB541_103
; %bb.94:
	v_min_u32_e32 v1, 15, v7
	v_mov_b32_e32 v2, 0
	v_add_u32_e32 v5, 1, v1
	v_cmp_ne_u32_e64 s[0:1], 2, v7
	s_mov_b32 s10, 0
	v_mov_b32_e32 v1, v2
	v_mov_b32_e32 v3, v2
                                        ; implicit-def: $vgpr4
	s_and_saveexec_b64 s[6:7], s[0:1]
	s_cbranch_execz .LBB541_98
; %bb.95:
	v_and_b32_e32 v3, 28, v5
	s_mov_b64 s[8:9], 0
	v_mov_b32_e32 v2, 0
	v_mov_b32_e32 v4, 0
	s_mov_b32 s11, 0
	s_mov_b32 s12, 0
.LBB541_96:                             ; =>This Inner Loop Header: Depth=1
	s_add_i32 s13, s11, 0x124
	s_add_i32 s14, s10, 0x1e4
	;; [unrolled: 1-line block ×5, first 2 shown]
	scratch_load_dwordx4 v[16:19], off, s13
	scratch_load_dwordx4 v[20:23], off, s15
	;; [unrolled: 1-line block ×5, first 2 shown]
	s_add_i32 s12, s12, 4
	s_add_i32 s11, s11, 48
	;; [unrolled: 1-line block ×3, first 2 shown]
	v_cmp_eq_u32_e64 s[0:1], s12, v3
	s_or_b64 s[8:9], s[0:1], s[8:9]
	s_waitcnt vmcnt(4)
	v_mul_hi_u32 v1, v17, v8
	v_add_u32_e32 v1, v8, v1
	v_lshrrev_b32_e32 v1, v18, v1
	v_mul_lo_u32 v9, v1, v16
	s_waitcnt vmcnt(3)
	v_mul_hi_u32 v10, v20, v1
	v_sub_u32_e32 v8, v8, v9
	v_add_u32_e32 v9, v1, v10
	v_lshrrev_b32_e32 v9, v21, v9
	v_mul_lo_u32 v12, v9, v19
	v_mul_hi_u32 v14, v23, v9
	v_sub_u32_e32 v1, v1, v12
	v_add_u32_e32 v12, v9, v14
	s_waitcnt vmcnt(2)
	v_mul_lo_u32 v10, v8, v25
	v_mul_lo_u32 v8, v8, v24
	;; [unrolled: 1-line block ×4, first 2 shown]
	s_waitcnt vmcnt(1)
	v_lshrrev_b32_e32 v12, v28, v12
	v_add3_u32 v1, v8, v2, v1
	v_mul_hi_u32 v8, v30, v12
	v_add_u32_e32 v8, v12, v8
	v_lshrrev_b32_e32 v8, v31, v8
	v_add3_u32 v2, v10, v4, v14
	v_mul_lo_u32 v4, v12, v22
	v_mul_lo_u32 v10, v8, v29
	v_sub_u32_e32 v4, v9, v4
	v_sub_u32_e32 v10, v12, v10
	s_waitcnt vmcnt(0)
	v_mul_lo_u32 v9, v4, v32
	v_mul_lo_u32 v4, v4, v33
	;; [unrolled: 1-line block ×4, first 2 shown]
	v_add3_u32 v4, v4, v2, v10
	v_add3_u32 v2, v9, v1, v12
	s_andn2_b64 exec, exec, s[8:9]
	s_cbranch_execnz .LBB541_96
; %bb.97:
	s_or_b64 exec, exec, s[8:9]
	v_mov_b32_e32 v1, v4
.LBB541_98:
	s_or_b64 exec, exec, s[6:7]
	v_and_b32_e32 v9, 3, v5
	v_cmp_ne_u32_e64 s[0:1], 0, v9
	s_and_saveexec_b64 s[6:7], s[0:1]
	s_cbranch_execz .LBB541_102
; %bb.99:
	v_mov_b32_e32 v4, 0
	v_lshl_add_u32 v5, v3, 3, v4
	v_add_u32_e32 v10, 0x1e4, v5
	v_mad_u32_u24 v12, v3, 12, v4
	s_mov_b64 s[8:9], 0
.LBB541_100:                            ; =>This Inner Loop Header: Depth=1
	v_add_u32_e32 v3, 0x124, v12
	scratch_load_dwordx3 v[16:18], v3, off
	scratch_load_dwordx2 v[20:21], v10, off
	v_mov_b32_e32 v4, v1
	v_add_u32_e32 v9, -1, v9
	v_cmp_eq_u32_e64 s[0:1], 0, v9
	s_or_b64 s[8:9], s[0:1], s[8:9]
	v_add_u32_e32 v10, 8, v10
	v_add_u32_e32 v12, 12, v12
	s_waitcnt vmcnt(1)
	v_mul_hi_u32 v1, v17, v8
	v_add_u32_e32 v1, v8, v1
	v_lshrrev_b32_e32 v1, v18, v1
	v_mul_lo_u32 v3, v1, v16
	v_sub_u32_e32 v3, v8, v3
	s_waitcnt vmcnt(0)
	v_mad_u64_u32 v[4:5], s[0:1], v3, v21, v[4:5]
	v_mov_b32_e32 v8, v1
	v_mad_u64_u32 v[2:3], s[0:1], v3, v20, v[2:3]
	v_mov_b32_e32 v1, v4
	s_andn2_b64 exec, exec, s[8:9]
	s_cbranch_execnz .LBB541_100
; %bb.101:
	s_or_b64 exec, exec, s[8:9]
.LBB541_102:
	s_or_b64 exec, exec, s[6:7]
.LBB541_103:
	s_or_b64 exec, exec, s[4:5]
                                        ; implicit-def: $vgpr8
.LBB541_104:
	s_andn2_saveexec_b64 s[2:3], s[2:3]
	s_cbranch_execz .LBB541_108
; %bb.105:
	scratch_load_dwordx3 v[2:4], off, off offset:292
	scratch_load_dwordx2 v[16:17], off, off offset:484
	v_cmp_lt_u32_e64 s[0:1], 1, v6
	s_waitcnt vmcnt(1)
	v_mul_hi_u32 v1, v3, v8
	v_add_u32_e32 v1, v8, v1
	v_lshrrev_b32_e32 v1, v4, v1
	v_mul_lo_u32 v2, v1, v2
	v_sub_u32_e32 v2, v8, v2
	s_waitcnt vmcnt(0)
	v_mul_lo_u32 v4, v2, v17
	v_mul_lo_u32 v2, v2, v16
	s_and_saveexec_b64 s[4:5], s[0:1]
	s_cbranch_execz .LBB541_107
; %bb.106:
	scratch_load_dwordx3 v[8:10], off, off offset:304
	scratch_load_dwordx2 v[16:17], off, off offset:492
	s_waitcnt vmcnt(1)
	v_mul_hi_u32 v3, v9, v1
	v_add_u32_e32 v3, v1, v3
	v_lshrrev_b32_e32 v3, v10, v3
	v_mul_lo_u32 v3, v3, v8
	v_sub_u32_e32 v1, v1, v3
	s_waitcnt vmcnt(0)
	v_mad_u64_u32 v[2:3], s[0:1], v1, v16, v[2:3]
	v_mad_u64_u32 v[4:5], s[0:1], v1, v17, v[4:5]
.LBB541_107:
	s_or_b64 exec, exec, s[4:5]
.LBB541_108:
	s_or_b64 exec, exec, s[2:3]
	v_mov_b32_e32 v3, 0
	v_frexp_mant_f32_e32 v5, v15
	v_lshl_add_u64 v[8:9], v[2:3], 2, s[16:17]
	v_or_b32_e32 v1, 0x200, v0
	global_store_dword v[8:9], v5, off
	v_mov_b32_e32 v5, v3
	v_frexp_exp_i32_f32_e32 v10, v15
	v_cmp_gt_i32_e64 s[0:1], s29, v1
	v_lshl_add_u64 v[2:3], v[4:5], 2, s[18:19]
	global_store_dword v[2:3], v10, off
	s_and_b64 exec, exec, s[0:1]
	s_cbranch_execz .LBB541_143
; %bb.109:
	v_add_u32_e32 v8, s28, v1
                                        ; implicit-def: $vgpr4
                                        ; implicit-def: $vgpr2
	s_and_saveexec_b64 s[0:1], vcc
	s_xor_b64 s[2:3], exec, s[0:1]
	s_cbranch_execz .LBB541_121
; %bb.110:
	v_mov_b32_e32 v4, 0
	v_cmp_ne_u32_e64 s[0:1], 0, v6
	v_mov_b32_e32 v2, 0
	s_and_saveexec_b64 s[4:5], s[0:1]
	s_cbranch_execz .LBB541_120
; %bb.111:
	v_min_u32_e32 v1, 15, v7
	v_mov_b32_e32 v2, 0
	v_add_u32_e32 v5, 1, v1
	v_cmp_ne_u32_e64 s[0:1], 2, v7
	s_mov_b32 s10, 0
	v_mov_b32_e32 v1, v2
	v_mov_b32_e32 v3, v2
                                        ; implicit-def: $vgpr4
	s_and_saveexec_b64 s[6:7], s[0:1]
	s_cbranch_execz .LBB541_115
; %bb.112:
	v_and_b32_e32 v3, 28, v5
	s_mov_b64 s[8:9], 0
	v_mov_b32_e32 v2, 0
	v_mov_b32_e32 v4, 0
	s_mov_b32 s11, 0
	s_mov_b32 s12, 0
.LBB541_113:                            ; =>This Inner Loop Header: Depth=1
	s_add_i32 s13, s11, 0x124
	s_add_i32 s14, s10, 0x1e4
	;; [unrolled: 1-line block ×5, first 2 shown]
	scratch_load_dwordx4 v[14:17], off, s13
	scratch_load_dwordx4 v[18:21], off, s15
	;; [unrolled: 1-line block ×5, first 2 shown]
	s_add_i32 s12, s12, 4
	s_add_i32 s11, s11, 48
	;; [unrolled: 1-line block ×3, first 2 shown]
	v_cmp_eq_u32_e64 s[0:1], s12, v3
	s_or_b64 s[8:9], s[0:1], s[8:9]
	s_waitcnt vmcnt(4)
	v_mul_hi_u32 v1, v15, v8
	v_add_u32_e32 v1, v8, v1
	v_lshrrev_b32_e32 v1, v16, v1
	v_mul_lo_u32 v9, v1, v14
	s_waitcnt vmcnt(3)
	v_mul_hi_u32 v10, v18, v1
	v_sub_u32_e32 v8, v8, v9
	v_add_u32_e32 v9, v1, v10
	v_lshrrev_b32_e32 v9, v19, v9
	v_mul_lo_u32 v12, v9, v17
	v_mul_hi_u32 v14, v21, v9
	v_sub_u32_e32 v1, v1, v12
	v_add_u32_e32 v12, v9, v14
	s_waitcnt vmcnt(2)
	v_mul_lo_u32 v10, v8, v23
	v_mul_lo_u32 v8, v8, v22
	;; [unrolled: 1-line block ×4, first 2 shown]
	s_waitcnt vmcnt(1)
	v_lshrrev_b32_e32 v12, v26, v12
	v_add3_u32 v1, v8, v2, v1
	v_mul_hi_u32 v8, v28, v12
	v_add_u32_e32 v8, v12, v8
	v_lshrrev_b32_e32 v8, v29, v8
	v_add3_u32 v2, v10, v4, v14
	v_mul_lo_u32 v4, v12, v20
	v_mul_lo_u32 v10, v8, v27
	v_sub_u32_e32 v4, v9, v4
	v_sub_u32_e32 v10, v12, v10
	s_waitcnt vmcnt(0)
	v_mul_lo_u32 v9, v4, v30
	v_mul_lo_u32 v4, v4, v31
	;; [unrolled: 1-line block ×4, first 2 shown]
	v_add3_u32 v4, v4, v2, v10
	v_add3_u32 v2, v9, v1, v12
	s_andn2_b64 exec, exec, s[8:9]
	s_cbranch_execnz .LBB541_113
; %bb.114:
	s_or_b64 exec, exec, s[8:9]
	v_mov_b32_e32 v1, v4
.LBB541_115:
	s_or_b64 exec, exec, s[6:7]
	v_and_b32_e32 v9, 3, v5
	v_cmp_ne_u32_e64 s[0:1], 0, v9
	s_and_saveexec_b64 s[6:7], s[0:1]
	s_cbranch_execz .LBB541_119
; %bb.116:
	v_mov_b32_e32 v4, 0
	v_lshl_add_u32 v5, v3, 3, v4
	v_add_u32_e32 v10, 0x1e4, v5
	v_mad_u32_u24 v12, v3, 12, v4
	s_mov_b64 s[8:9], 0
.LBB541_117:                            ; =>This Inner Loop Header: Depth=1
	v_add_u32_e32 v3, 0x124, v12
	scratch_load_dwordx3 v[14:16], v3, off
	scratch_load_dwordx2 v[18:19], v10, off
	v_mov_b32_e32 v4, v1
	v_add_u32_e32 v9, -1, v9
	v_cmp_eq_u32_e64 s[0:1], 0, v9
	s_or_b64 s[8:9], s[0:1], s[8:9]
	v_add_u32_e32 v10, 8, v10
	v_add_u32_e32 v12, 12, v12
	s_waitcnt vmcnt(1)
	v_mul_hi_u32 v1, v15, v8
	v_add_u32_e32 v1, v8, v1
	v_lshrrev_b32_e32 v1, v16, v1
	v_mul_lo_u32 v3, v1, v14
	v_sub_u32_e32 v3, v8, v3
	s_waitcnt vmcnt(0)
	v_mad_u64_u32 v[4:5], s[0:1], v3, v19, v[4:5]
	v_mov_b32_e32 v8, v1
	v_mad_u64_u32 v[2:3], s[0:1], v3, v18, v[2:3]
	v_mov_b32_e32 v1, v4
	s_andn2_b64 exec, exec, s[8:9]
	s_cbranch_execnz .LBB541_117
; %bb.118:
	s_or_b64 exec, exec, s[8:9]
.LBB541_119:
	s_or_b64 exec, exec, s[6:7]
.LBB541_120:
	s_or_b64 exec, exec, s[4:5]
                                        ; implicit-def: $vgpr8
.LBB541_121:
	s_andn2_saveexec_b64 s[2:3], s[2:3]
	s_cbranch_execz .LBB541_125
; %bb.122:
	scratch_load_dwordx3 v[2:4], off, off offset:292
	scratch_load_dwordx2 v[14:15], off, off offset:484
	v_cmp_lt_u32_e64 s[0:1], 1, v6
	s_waitcnt vmcnt(1)
	v_mul_hi_u32 v1, v3, v8
	v_add_u32_e32 v1, v8, v1
	v_lshrrev_b32_e32 v1, v4, v1
	v_mul_lo_u32 v2, v1, v2
	v_sub_u32_e32 v2, v8, v2
	s_waitcnt vmcnt(0)
	v_mul_lo_u32 v4, v2, v15
	v_mul_lo_u32 v2, v2, v14
	s_and_saveexec_b64 s[4:5], s[0:1]
	s_cbranch_execz .LBB541_124
; %bb.123:
	scratch_load_dwordx3 v[8:10], off, off offset:304
	scratch_load_dwordx2 v[14:15], off, off offset:492
	s_waitcnt vmcnt(1)
	v_mul_hi_u32 v3, v9, v1
	v_add_u32_e32 v3, v1, v3
	v_lshrrev_b32_e32 v3, v10, v3
	v_mul_lo_u32 v3, v3, v8
	v_sub_u32_e32 v1, v1, v3
	s_waitcnt vmcnt(0)
	v_mad_u64_u32 v[2:3], s[0:1], v1, v14, v[2:3]
	v_mad_u64_u32 v[4:5], s[0:1], v1, v15, v[4:5]
.LBB541_124:
	s_or_b64 exec, exec, s[4:5]
.LBB541_125:
	s_or_b64 exec, exec, s[2:3]
	v_mov_b32_e32 v3, 0
	v_frexp_mant_f32_e32 v5, v13
	v_lshl_add_u64 v[8:9], v[2:3], 2, s[16:17]
	v_or_b32_e32 v0, 0x300, v0
	global_store_dword v[8:9], v5, off
	v_mov_b32_e32 v5, v3
	v_frexp_exp_i32_f32_e32 v1, v13
	v_cmp_gt_i32_e64 s[0:1], s29, v0
	v_lshl_add_u64 v[2:3], v[4:5], 2, s[18:19]
	global_store_dword v[2:3], v1, off
	s_and_b64 exec, exec, s[0:1]
	s_cbranch_execz .LBB541_143
; %bb.126:
	v_add_u32_e32 v4, s28, v0
                                        ; implicit-def: $vgpr2
                                        ; implicit-def: $vgpr0
	s_and_saveexec_b64 s[0:1], vcc
	s_xor_b64 s[0:1], exec, s[0:1]
	s_cbranch_execz .LBB541_138
; %bb.127:
	v_mov_b32_e32 v2, 0
	v_cmp_ne_u32_e32 vcc, 0, v6
	v_mov_b32_e32 v0, 0
	s_and_saveexec_b64 s[2:3], vcc
	s_cbranch_execz .LBB541_137
; %bb.128:
	v_min_u32_e32 v0, 15, v7
	v_add_u32_e32 v5, 1, v0
	v_mov_b32_e32 v0, 0
	v_cmp_ne_u32_e32 vcc, 2, v7
	s_mov_b32 s8, 0
	v_mov_b32_e32 v1, v0
	v_mov_b32_e32 v3, v0
                                        ; implicit-def: $vgpr2
	s_and_saveexec_b64 s[4:5], vcc
	s_cbranch_execz .LBB541_132
; %bb.129:
	v_and_b32_e32 v3, 28, v5
	s_mov_b64 s[6:7], 0
	v_mov_b32_e32 v0, 0
	v_mov_b32_e32 v2, 0
	s_mov_b32 s9, 0
	s_mov_b32 s10, 0
.LBB541_130:                            ; =>This Inner Loop Header: Depth=1
	s_add_i32 s13, s9, 0x124
	s_add_i32 s14, s8, 0x1e4
	;; [unrolled: 1-line block ×5, first 2 shown]
	scratch_load_dwordx4 v[6:9], off, s13
	scratch_load_dwordx4 v[12:15], off, s15
	;; [unrolled: 1-line block ×5, first 2 shown]
	s_add_i32 s10, s10, 4
	s_add_i32 s9, s9, 48
	;; [unrolled: 1-line block ×3, first 2 shown]
	v_cmp_eq_u32_e32 vcc, s10, v3
	s_or_b64 s[6:7], vcc, s[6:7]
	s_waitcnt vmcnt(4)
	v_mul_hi_u32 v1, v7, v4
	v_add_u32_e32 v1, v4, v1
	v_lshrrev_b32_e32 v1, v8, v1
	v_mul_lo_u32 v6, v1, v6
	s_waitcnt vmcnt(3)
	v_mul_hi_u32 v7, v12, v1
	v_sub_u32_e32 v4, v4, v6
	v_add_u32_e32 v6, v1, v7
	v_lshrrev_b32_e32 v6, v13, v6
	v_mul_lo_u32 v8, v6, v9
	v_mul_hi_u32 v9, v15, v6
	v_sub_u32_e32 v1, v1, v8
	v_add_u32_e32 v8, v6, v9
	s_waitcnt vmcnt(2)
	v_mul_lo_u32 v7, v4, v17
	v_mul_lo_u32 v4, v4, v16
	v_mul_lo_u32 v9, v1, v19
	v_mul_lo_u32 v1, v1, v18
	s_waitcnt vmcnt(1)
	v_lshrrev_b32_e32 v8, v20, v8
	v_add3_u32 v0, v4, v0, v1
	v_mul_hi_u32 v4, v22, v8
	v_add_u32_e32 v4, v8, v4
	v_lshrrev_b32_e32 v4, v23, v4
	v_add3_u32 v1, v7, v2, v9
	v_mul_lo_u32 v2, v8, v14
	v_mul_lo_u32 v7, v4, v21
	v_sub_u32_e32 v2, v6, v2
	v_sub_u32_e32 v7, v8, v7
	s_waitcnt vmcnt(0)
	v_mul_lo_u32 v6, v2, v24
	v_mul_lo_u32 v2, v2, v25
	;; [unrolled: 1-line block ×4, first 2 shown]
	v_add3_u32 v2, v2, v1, v7
	v_add3_u32 v0, v6, v0, v8
	s_andn2_b64 exec, exec, s[6:7]
	s_cbranch_execnz .LBB541_130
; %bb.131:
	s_or_b64 exec, exec, s[6:7]
	v_mov_b32_e32 v1, v2
.LBB541_132:
	s_or_b64 exec, exec, s[4:5]
	v_and_b32_e32 v5, 3, v5
	v_cmp_ne_u32_e32 vcc, 0, v5
	s_and_saveexec_b64 s[4:5], vcc
	s_cbranch_execz .LBB541_136
; %bb.133:
	v_mov_b32_e32 v2, 0
	v_lshl_add_u32 v6, v3, 3, v2
	v_add_u32_e32 v6, 0x1e4, v6
	v_mad_u32_u24 v7, v3, 12, v2
	s_mov_b64 s[6:7], 0
.LBB541_134:                            ; =>This Inner Loop Header: Depth=1
	v_add_u32_e32 v2, 0x124, v7
	scratch_load_dwordx3 v[8:10], v2, off
	scratch_load_dwordx2 v[12:13], v6, off
	v_mov_b32_e32 v2, v1
	v_add_u32_e32 v5, -1, v5
	v_cmp_eq_u32_e32 vcc, 0, v5
	v_add_u32_e32 v6, 8, v6
	v_add_u32_e32 v7, 12, v7
	s_or_b64 s[6:7], vcc, s[6:7]
	s_waitcnt vmcnt(1)
	v_mul_hi_u32 v1, v9, v4
	v_add_u32_e32 v1, v4, v1
	v_lshrrev_b32_e32 v1, v10, v1
	v_mul_lo_u32 v3, v1, v8
	v_sub_u32_e32 v8, v4, v3
	v_mov_b32_e32 v4, v1
	s_waitcnt vmcnt(0)
	v_mad_u64_u32 v[2:3], s[8:9], v8, v13, v[2:3]
	v_mad_u64_u32 v[0:1], s[8:9], v8, v12, v[0:1]
	v_mov_b32_e32 v1, v2
	s_andn2_b64 exec, exec, s[6:7]
	s_cbranch_execnz .LBB541_134
; %bb.135:
	s_or_b64 exec, exec, s[6:7]
.LBB541_136:
	s_or_b64 exec, exec, s[4:5]
.LBB541_137:
	s_or_b64 exec, exec, s[2:3]
                                        ; implicit-def: $vgpr4
                                        ; implicit-def: $vgpr6
.LBB541_138:
	s_andn2_saveexec_b64 s[0:1], s[0:1]
	s_cbranch_execz .LBB541_142
; %bb.139:
	scratch_load_dwordx3 v[0:2], off, off offset:292
	scratch_load_dwordx2 v[8:9], off, off offset:484
	v_cmp_lt_u32_e32 vcc, 1, v6
	s_waitcnt vmcnt(1)
	v_mul_hi_u32 v1, v1, v4
	v_add_u32_e32 v1, v4, v1
	v_lshrrev_b32_e32 v1, v2, v1
	v_mul_lo_u32 v0, v1, v0
	v_sub_u32_e32 v0, v4, v0
	s_waitcnt vmcnt(0)
	v_mul_lo_u32 v2, v0, v9
	v_mul_lo_u32 v0, v0, v8
	s_and_saveexec_b64 s[2:3], vcc
	s_cbranch_execz .LBB541_141
; %bb.140:
	scratch_load_dwordx3 v[4:6], off, off offset:304
	scratch_load_dwordx2 v[8:9], off, off offset:492
	s_waitcnt vmcnt(1)
	v_mul_hi_u32 v3, v5, v1
	v_add_u32_e32 v3, v1, v3
	v_lshrrev_b32_e32 v3, v6, v3
	v_mul_lo_u32 v3, v3, v4
	v_sub_u32_e32 v3, v1, v3
	s_waitcnt vmcnt(0)
	v_mad_u64_u32 v[0:1], s[4:5], v3, v8, v[0:1]
	v_mad_u64_u32 v[2:3], s[4:5], v3, v9, v[2:3]
.LBB541_141:
	s_or_b64 exec, exec, s[2:3]
.LBB541_142:
	s_or_b64 exec, exec, s[0:1]
	v_mov_b32_e32 v1, 0
	v_frexp_mant_f32_e32 v3, v11
	v_lshl_add_u64 v[4:5], v[0:1], 2, s[16:17]
	global_store_dword v[4:5], v3, off
	v_mov_b32_e32 v3, v1
	v_frexp_exp_i32_f32_e32 v6, v11
	v_lshl_add_u64 v[0:1], v[2:3], 2, s[18:19]
	global_store_dword v[0:1], v6, off
.LBB541_143:
	s_endpgm
	.section	.rodata,"a",@progbits
	.p2align	6, 0x0
	.amdhsa_kernel _ZN2at6native12_GLOBAL__N_145unrolled_elementwise_kernel_for_multi_outputsILi2EZZZNS0_17frexp_kernel_cudaERNS_18TensorIteratorBaseEENKUlvE_clEvENKUlvE0_clEvEUlfE_St5arrayIPcLm3EE16OffsetCalculatorILi1EjLb0EESB_ILi2EjLb0EEEEviT0_T1_T2_T3_
		.amdhsa_group_segment_fixed_size 0
		.amdhsa_private_segment_fixed_size 624
		.amdhsa_kernarg_size 616
		.amdhsa_user_sgpr_count 2
		.amdhsa_user_sgpr_dispatch_ptr 0
		.amdhsa_user_sgpr_queue_ptr 0
		.amdhsa_user_sgpr_kernarg_segment_ptr 1
		.amdhsa_user_sgpr_dispatch_id 0
		.amdhsa_user_sgpr_kernarg_preload_length 0
		.amdhsa_user_sgpr_kernarg_preload_offset 0
		.amdhsa_user_sgpr_private_segment_size 0
		.amdhsa_uses_dynamic_stack 0
		.amdhsa_enable_private_segment 1
		.amdhsa_system_sgpr_workgroup_id_x 1
		.amdhsa_system_sgpr_workgroup_id_y 0
		.amdhsa_system_sgpr_workgroup_id_z 0
		.amdhsa_system_sgpr_workgroup_info 0
		.amdhsa_system_vgpr_workitem_id 0
		.amdhsa_next_free_vgpr 40
		.amdhsa_next_free_sgpr 52
		.amdhsa_accum_offset 40
		.amdhsa_reserve_vcc 1
		.amdhsa_float_round_mode_32 0
		.amdhsa_float_round_mode_16_64 0
		.amdhsa_float_denorm_mode_32 3
		.amdhsa_float_denorm_mode_16_64 3
		.amdhsa_dx10_clamp 1
		.amdhsa_ieee_mode 1
		.amdhsa_fp16_overflow 0
		.amdhsa_tg_split 0
		.amdhsa_exception_fp_ieee_invalid_op 0
		.amdhsa_exception_fp_denorm_src 0
		.amdhsa_exception_fp_ieee_div_zero 0
		.amdhsa_exception_fp_ieee_overflow 0
		.amdhsa_exception_fp_ieee_underflow 0
		.amdhsa_exception_fp_ieee_inexact 0
		.amdhsa_exception_int_div_zero 0
	.end_amdhsa_kernel
	.section	.text._ZN2at6native12_GLOBAL__N_145unrolled_elementwise_kernel_for_multi_outputsILi2EZZZNS0_17frexp_kernel_cudaERNS_18TensorIteratorBaseEENKUlvE_clEvENKUlvE0_clEvEUlfE_St5arrayIPcLm3EE16OffsetCalculatorILi1EjLb0EESB_ILi2EjLb0EEEEviT0_T1_T2_T3_,"axG",@progbits,_ZN2at6native12_GLOBAL__N_145unrolled_elementwise_kernel_for_multi_outputsILi2EZZZNS0_17frexp_kernel_cudaERNS_18TensorIteratorBaseEENKUlvE_clEvENKUlvE0_clEvEUlfE_St5arrayIPcLm3EE16OffsetCalculatorILi1EjLb0EESB_ILi2EjLb0EEEEviT0_T1_T2_T3_,comdat
.Lfunc_end541:
	.size	_ZN2at6native12_GLOBAL__N_145unrolled_elementwise_kernel_for_multi_outputsILi2EZZZNS0_17frexp_kernel_cudaERNS_18TensorIteratorBaseEENKUlvE_clEvENKUlvE0_clEvEUlfE_St5arrayIPcLm3EE16OffsetCalculatorILi1EjLb0EESB_ILi2EjLb0EEEEviT0_T1_T2_T3_, .Lfunc_end541-_ZN2at6native12_GLOBAL__N_145unrolled_elementwise_kernel_for_multi_outputsILi2EZZZNS0_17frexp_kernel_cudaERNS_18TensorIteratorBaseEENKUlvE_clEvENKUlvE0_clEvEUlfE_St5arrayIPcLm3EE16OffsetCalculatorILi1EjLb0EESB_ILi2EjLb0EEEEviT0_T1_T2_T3_
                                        ; -- End function
	.set _ZN2at6native12_GLOBAL__N_145unrolled_elementwise_kernel_for_multi_outputsILi2EZZZNS0_17frexp_kernel_cudaERNS_18TensorIteratorBaseEENKUlvE_clEvENKUlvE0_clEvEUlfE_St5arrayIPcLm3EE16OffsetCalculatorILi1EjLb0EESB_ILi2EjLb0EEEEviT0_T1_T2_T3_.num_vgpr, 40
	.set _ZN2at6native12_GLOBAL__N_145unrolled_elementwise_kernel_for_multi_outputsILi2EZZZNS0_17frexp_kernel_cudaERNS_18TensorIteratorBaseEENKUlvE_clEvENKUlvE0_clEvEUlfE_St5arrayIPcLm3EE16OffsetCalculatorILi1EjLb0EESB_ILi2EjLb0EEEEviT0_T1_T2_T3_.num_agpr, 0
	.set _ZN2at6native12_GLOBAL__N_145unrolled_elementwise_kernel_for_multi_outputsILi2EZZZNS0_17frexp_kernel_cudaERNS_18TensorIteratorBaseEENKUlvE_clEvENKUlvE0_clEvEUlfE_St5arrayIPcLm3EE16OffsetCalculatorILi1EjLb0EESB_ILi2EjLb0EEEEviT0_T1_T2_T3_.numbered_sgpr, 52
	.set _ZN2at6native12_GLOBAL__N_145unrolled_elementwise_kernel_for_multi_outputsILi2EZZZNS0_17frexp_kernel_cudaERNS_18TensorIteratorBaseEENKUlvE_clEvENKUlvE0_clEvEUlfE_St5arrayIPcLm3EE16OffsetCalculatorILi1EjLb0EESB_ILi2EjLb0EEEEviT0_T1_T2_T3_.num_named_barrier, 0
	.set _ZN2at6native12_GLOBAL__N_145unrolled_elementwise_kernel_for_multi_outputsILi2EZZZNS0_17frexp_kernel_cudaERNS_18TensorIteratorBaseEENKUlvE_clEvENKUlvE0_clEvEUlfE_St5arrayIPcLm3EE16OffsetCalculatorILi1EjLb0EESB_ILi2EjLb0EEEEviT0_T1_T2_T3_.private_seg_size, 624
	.set _ZN2at6native12_GLOBAL__N_145unrolled_elementwise_kernel_for_multi_outputsILi2EZZZNS0_17frexp_kernel_cudaERNS_18TensorIteratorBaseEENKUlvE_clEvENKUlvE0_clEvEUlfE_St5arrayIPcLm3EE16OffsetCalculatorILi1EjLb0EESB_ILi2EjLb0EEEEviT0_T1_T2_T3_.uses_vcc, 1
	.set _ZN2at6native12_GLOBAL__N_145unrolled_elementwise_kernel_for_multi_outputsILi2EZZZNS0_17frexp_kernel_cudaERNS_18TensorIteratorBaseEENKUlvE_clEvENKUlvE0_clEvEUlfE_St5arrayIPcLm3EE16OffsetCalculatorILi1EjLb0EESB_ILi2EjLb0EEEEviT0_T1_T2_T3_.uses_flat_scratch, 0
	.set _ZN2at6native12_GLOBAL__N_145unrolled_elementwise_kernel_for_multi_outputsILi2EZZZNS0_17frexp_kernel_cudaERNS_18TensorIteratorBaseEENKUlvE_clEvENKUlvE0_clEvEUlfE_St5arrayIPcLm3EE16OffsetCalculatorILi1EjLb0EESB_ILi2EjLb0EEEEviT0_T1_T2_T3_.has_dyn_sized_stack, 0
	.set _ZN2at6native12_GLOBAL__N_145unrolled_elementwise_kernel_for_multi_outputsILi2EZZZNS0_17frexp_kernel_cudaERNS_18TensorIteratorBaseEENKUlvE_clEvENKUlvE0_clEvEUlfE_St5arrayIPcLm3EE16OffsetCalculatorILi1EjLb0EESB_ILi2EjLb0EEEEviT0_T1_T2_T3_.has_recursion, 0
	.set _ZN2at6native12_GLOBAL__N_145unrolled_elementwise_kernel_for_multi_outputsILi2EZZZNS0_17frexp_kernel_cudaERNS_18TensorIteratorBaseEENKUlvE_clEvENKUlvE0_clEvEUlfE_St5arrayIPcLm3EE16OffsetCalculatorILi1EjLb0EESB_ILi2EjLb0EEEEviT0_T1_T2_T3_.has_indirect_call, 0
	.section	.AMDGPU.csdata,"",@progbits
; Kernel info:
; codeLenInByte = 7196
; TotalNumSgprs: 58
; NumVgprs: 40
; NumAgprs: 0
; TotalNumVgprs: 40
; ScratchSize: 624
; MemoryBound: 0
; FloatMode: 240
; IeeeMode: 1
; LDSByteSize: 0 bytes/workgroup (compile time only)
; SGPRBlocks: 7
; VGPRBlocks: 4
; NumSGPRsForWavesPerEU: 58
; NumVGPRsForWavesPerEU: 40
; AccumOffset: 40
; Occupancy: 8
; WaveLimiterHint : 1
; COMPUTE_PGM_RSRC2:SCRATCH_EN: 1
; COMPUTE_PGM_RSRC2:USER_SGPR: 2
; COMPUTE_PGM_RSRC2:TRAP_HANDLER: 0
; COMPUTE_PGM_RSRC2:TGID_X_EN: 1
; COMPUTE_PGM_RSRC2:TGID_Y_EN: 0
; COMPUTE_PGM_RSRC2:TGID_Z_EN: 0
; COMPUTE_PGM_RSRC2:TIDIG_COMP_CNT: 0
; COMPUTE_PGM_RSRC3_GFX90A:ACCUM_OFFSET: 9
; COMPUTE_PGM_RSRC3_GFX90A:TG_SPLIT: 0
	.section	.text._ZN2at6native12_GLOBAL__N_145unrolled_elementwise_kernel_for_multi_outputsILi2EZZZNS0_17frexp_kernel_cudaERNS_18TensorIteratorBaseEENKUlvE_clEvENKUlvE1_clEvEUlN3c104HalfEE_St5arrayIPcLm3EE23TrivialOffsetCalculatorILi1EjESD_ILi2EjEEEviT0_T1_T2_T3_,"axG",@progbits,_ZN2at6native12_GLOBAL__N_145unrolled_elementwise_kernel_for_multi_outputsILi2EZZZNS0_17frexp_kernel_cudaERNS_18TensorIteratorBaseEENKUlvE_clEvENKUlvE1_clEvEUlN3c104HalfEE_St5arrayIPcLm3EE23TrivialOffsetCalculatorILi1EjESD_ILi2EjEEEviT0_T1_T2_T3_,comdat
	.globl	_ZN2at6native12_GLOBAL__N_145unrolled_elementwise_kernel_for_multi_outputsILi2EZZZNS0_17frexp_kernel_cudaERNS_18TensorIteratorBaseEENKUlvE_clEvENKUlvE1_clEvEUlN3c104HalfEE_St5arrayIPcLm3EE23TrivialOffsetCalculatorILi1EjESD_ILi2EjEEEviT0_T1_T2_T3_ ; -- Begin function _ZN2at6native12_GLOBAL__N_145unrolled_elementwise_kernel_for_multi_outputsILi2EZZZNS0_17frexp_kernel_cudaERNS_18TensorIteratorBaseEENKUlvE_clEvENKUlvE1_clEvEUlN3c104HalfEE_St5arrayIPcLm3EE23TrivialOffsetCalculatorILi1EjESD_ILi2EjEEEviT0_T1_T2_T3_
	.p2align	8
	.type	_ZN2at6native12_GLOBAL__N_145unrolled_elementwise_kernel_for_multi_outputsILi2EZZZNS0_17frexp_kernel_cudaERNS_18TensorIteratorBaseEENKUlvE_clEvENKUlvE1_clEvEUlN3c104HalfEE_St5arrayIPcLm3EE23TrivialOffsetCalculatorILi1EjESD_ILi2EjEEEviT0_T1_T2_T3_,@function
_ZN2at6native12_GLOBAL__N_145unrolled_elementwise_kernel_for_multi_outputsILi2EZZZNS0_17frexp_kernel_cudaERNS_18TensorIteratorBaseEENKUlvE_clEvENKUlvE1_clEvEUlN3c104HalfEE_St5arrayIPcLm3EE23TrivialOffsetCalculatorILi1EjESD_ILi2EjEEEviT0_T1_T2_T3_: ; @_ZN2at6native12_GLOBAL__N_145unrolled_elementwise_kernel_for_multi_outputsILi2EZZZNS0_17frexp_kernel_cudaERNS_18TensorIteratorBaseEENKUlvE_clEvENKUlvE1_clEvEUlN3c104HalfEE_St5arrayIPcLm3EE23TrivialOffsetCalculatorILi1EjESD_ILi2EjEEEviT0_T1_T2_T3_
; %bb.0:
	s_load_dword s3, s[0:1], 0x0
	s_load_dwordx4 s[4:7], s[0:1], 0x8
	s_load_dwordx2 s[8:9], s[0:1], 0x18
	s_lshl_b32 s16, s2, 10
                                        ; implicit-def: $vgpr1
	s_waitcnt lgkmcnt(0)
	s_sub_i32 s17, s3, s16
	v_cmp_gt_i32_e32 vcc, s17, v0
	v_cmp_le_i32_e64 s[0:1], s17, v0
	s_and_saveexec_b64 s[2:3], s[0:1]
	s_xor_b64 s[0:1], exec, s[2:3]
; %bb.1:
	v_or_b32_e32 v1, 0x100, v0
; %bb.2:
	s_or_saveexec_b64 s[2:3], s[0:1]
	v_mov_b32_e32 v5, 0
	v_mov_b32_e32 v3, 0
	v_or_b32_e32 v6, s16, v0
	v_mov_b32_e32 v7, 0
	v_mov_b32_e32 v8, 0
	s_xor_b64 exec, exec, s[2:3]
	s_cbranch_execz .LBB542_10
; %bb.3:
	v_mov_b32_e32 v7, 0
	v_lshl_add_u64 v[2:3], v[6:7], 1, s[8:9]
	global_load_ushort v8, v[2:3], off
	v_or_b32_e32 v1, 0x100, v0
	v_cmp_gt_u32_e64 s[0:1], s17, v1
	v_mov_b32_e32 v5, v7
	v_mov_b32_e32 v3, v7
	s_and_saveexec_b64 s[10:11], s[0:1]
	s_cbranch_execz .LBB542_9
; %bb.4:
	v_add_u32_e32 v4, s16, v1
	v_mov_b32_e32 v5, 0
	v_lshl_add_u64 v[2:3], v[4:5], 1, s[8:9]
	global_load_ushort v7, v[2:3], off
	v_or_b32_e32 v2, 0x200, v0
	v_cmp_gt_u32_e64 s[0:1], s17, v2
	v_mov_b32_e32 v3, v5
	s_and_saveexec_b64 s[12:13], s[0:1]
	s_cbranch_execz .LBB542_8
; %bb.5:
	v_add_u32_e32 v2, s16, v2
	v_mov_b32_e32 v3, 0
	v_lshl_add_u64 v[4:5], v[2:3], 1, s[8:9]
	global_load_ushort v5, v[4:5], off
	v_or_b32_e32 v2, 0x300, v0
	v_cmp_gt_u32_e64 s[0:1], s17, v2
	s_and_saveexec_b64 s[14:15], s[0:1]
	s_cbranch_execz .LBB542_7
; %bb.6:
	v_add_u32_e32 v2, s16, v2
	v_mov_b32_e32 v3, 0
	v_lshl_add_u64 v[2:3], v[2:3], 1, s[8:9]
	global_load_ushort v2, v[2:3], off
	s_waitcnt vmcnt(0)
	v_cvt_f32_f16_e32 v3, v2
.LBB542_7:
	s_or_b64 exec, exec, s[14:15]
.LBB542_8:
	s_or_b64 exec, exec, s[12:13]
.LBB542_9:
	s_or_b64 exec, exec, s[10:11]
.LBB542_10:
	s_or_b64 exec, exec, s[2:3]
	s_and_saveexec_b64 s[0:1], vcc
	s_cbranch_execz .LBB542_15
; %bb.11:
	s_waitcnt vmcnt(0)
	v_cvt_f32_f16_e32 v2, v8
	v_mov_b32_e32 v9, 0
	v_mov_b32_e32 v8, v6
	v_cmp_gt_i32_e32 vcc, s17, v1
	v_frexp_mant_f32_e32 v4, v2
	v_cvt_f16_f32_e32 v4, v4
	v_lshl_add_u64 v[10:11], v[8:9], 1, s[4:5]
	v_lshl_add_u64 v[12:13], v[8:9], 2, s[6:7]
	v_frexp_exp_i32_f32_e32 v2, v2
	global_store_short v[10:11], v4, off
	global_store_dword v[12:13], v2, off
	s_and_b64 exec, exec, vcc
	s_cbranch_execz .LBB542_15
; %bb.12:
	v_cvt_f32_f16_e32 v4, v7
	v_add_u32_e32 v8, s16, v1
	v_or_b32_e32 v2, 0x200, v0
	v_cmp_gt_i32_e32 vcc, s17, v2
	v_frexp_mant_f32_e32 v1, v4
	v_cvt_f16_f32_e32 v1, v1
	v_lshl_add_u64 v[6:7], v[8:9], 1, s[4:5]
	v_lshl_add_u64 v[8:9], v[8:9], 2, s[6:7]
	v_frexp_exp_i32_f32_e32 v4, v4
	global_store_short v[6:7], v1, off
	global_store_dword v[8:9], v4, off
	s_and_b64 exec, exec, vcc
	s_cbranch_execz .LBB542_15
; %bb.13:
	v_cvt_f32_f16_e32 v5, v5
	v_or_b32_e32 v4, 0x300, v0
	v_add_u32_e32 v0, s16, v2
	v_mov_b32_e32 v1, 0
	v_frexp_mant_f32_e32 v2, v5
	v_cvt_f16_f32_e32 v2, v2
	v_lshl_add_u64 v[6:7], v[0:1], 1, s[4:5]
	v_cmp_gt_i32_e32 vcc, s17, v4
	v_frexp_exp_i32_f32_e32 v5, v5
	global_store_short v[6:7], v2, off
	v_lshl_add_u64 v[6:7], v[0:1], 2, s[6:7]
	global_store_dword v[6:7], v5, off
	s_and_b64 exec, exec, vcc
	s_cbranch_execz .LBB542_15
; %bb.14:
	v_frexp_mant_f32_e32 v0, v3
	v_cvt_f16_f32_e32 v6, v0
	v_add_u32_e32 v0, s16, v4
	v_frexp_exp_i32_f32_e32 v5, v3
	v_lshl_add_u64 v[2:3], v[0:1], 2, s[6:7]
	v_lshl_add_u64 v[0:1], v[0:1], 1, s[4:5]
	global_store_short v[0:1], v6, off
	global_store_dword v[2:3], v5, off
.LBB542_15:
	s_endpgm
	.section	.rodata,"a",@progbits
	.p2align	6, 0x0
	.amdhsa_kernel _ZN2at6native12_GLOBAL__N_145unrolled_elementwise_kernel_for_multi_outputsILi2EZZZNS0_17frexp_kernel_cudaERNS_18TensorIteratorBaseEENKUlvE_clEvENKUlvE1_clEvEUlN3c104HalfEE_St5arrayIPcLm3EE23TrivialOffsetCalculatorILi1EjESD_ILi2EjEEEviT0_T1_T2_T3_
		.amdhsa_group_segment_fixed_size 0
		.amdhsa_private_segment_fixed_size 0
		.amdhsa_kernarg_size 36
		.amdhsa_user_sgpr_count 2
		.amdhsa_user_sgpr_dispatch_ptr 0
		.amdhsa_user_sgpr_queue_ptr 0
		.amdhsa_user_sgpr_kernarg_segment_ptr 1
		.amdhsa_user_sgpr_dispatch_id 0
		.amdhsa_user_sgpr_kernarg_preload_length 0
		.amdhsa_user_sgpr_kernarg_preload_offset 0
		.amdhsa_user_sgpr_private_segment_size 0
		.amdhsa_uses_dynamic_stack 0
		.amdhsa_enable_private_segment 0
		.amdhsa_system_sgpr_workgroup_id_x 1
		.amdhsa_system_sgpr_workgroup_id_y 0
		.amdhsa_system_sgpr_workgroup_id_z 0
		.amdhsa_system_sgpr_workgroup_info 0
		.amdhsa_system_vgpr_workitem_id 0
		.amdhsa_next_free_vgpr 14
		.amdhsa_next_free_sgpr 18
		.amdhsa_accum_offset 16
		.amdhsa_reserve_vcc 1
		.amdhsa_float_round_mode_32 0
		.amdhsa_float_round_mode_16_64 0
		.amdhsa_float_denorm_mode_32 3
		.amdhsa_float_denorm_mode_16_64 3
		.amdhsa_dx10_clamp 1
		.amdhsa_ieee_mode 1
		.amdhsa_fp16_overflow 0
		.amdhsa_tg_split 0
		.amdhsa_exception_fp_ieee_invalid_op 0
		.amdhsa_exception_fp_denorm_src 0
		.amdhsa_exception_fp_ieee_div_zero 0
		.amdhsa_exception_fp_ieee_overflow 0
		.amdhsa_exception_fp_ieee_underflow 0
		.amdhsa_exception_fp_ieee_inexact 0
		.amdhsa_exception_int_div_zero 0
	.end_amdhsa_kernel
	.section	.text._ZN2at6native12_GLOBAL__N_145unrolled_elementwise_kernel_for_multi_outputsILi2EZZZNS0_17frexp_kernel_cudaERNS_18TensorIteratorBaseEENKUlvE_clEvENKUlvE1_clEvEUlN3c104HalfEE_St5arrayIPcLm3EE23TrivialOffsetCalculatorILi1EjESD_ILi2EjEEEviT0_T1_T2_T3_,"axG",@progbits,_ZN2at6native12_GLOBAL__N_145unrolled_elementwise_kernel_for_multi_outputsILi2EZZZNS0_17frexp_kernel_cudaERNS_18TensorIteratorBaseEENKUlvE_clEvENKUlvE1_clEvEUlN3c104HalfEE_St5arrayIPcLm3EE23TrivialOffsetCalculatorILi1EjESD_ILi2EjEEEviT0_T1_T2_T3_,comdat
.Lfunc_end542:
	.size	_ZN2at6native12_GLOBAL__N_145unrolled_elementwise_kernel_for_multi_outputsILi2EZZZNS0_17frexp_kernel_cudaERNS_18TensorIteratorBaseEENKUlvE_clEvENKUlvE1_clEvEUlN3c104HalfEE_St5arrayIPcLm3EE23TrivialOffsetCalculatorILi1EjESD_ILi2EjEEEviT0_T1_T2_T3_, .Lfunc_end542-_ZN2at6native12_GLOBAL__N_145unrolled_elementwise_kernel_for_multi_outputsILi2EZZZNS0_17frexp_kernel_cudaERNS_18TensorIteratorBaseEENKUlvE_clEvENKUlvE1_clEvEUlN3c104HalfEE_St5arrayIPcLm3EE23TrivialOffsetCalculatorILi1EjESD_ILi2EjEEEviT0_T1_T2_T3_
                                        ; -- End function
	.set _ZN2at6native12_GLOBAL__N_145unrolled_elementwise_kernel_for_multi_outputsILi2EZZZNS0_17frexp_kernel_cudaERNS_18TensorIteratorBaseEENKUlvE_clEvENKUlvE1_clEvEUlN3c104HalfEE_St5arrayIPcLm3EE23TrivialOffsetCalculatorILi1EjESD_ILi2EjEEEviT0_T1_T2_T3_.num_vgpr, 14
	.set _ZN2at6native12_GLOBAL__N_145unrolled_elementwise_kernel_for_multi_outputsILi2EZZZNS0_17frexp_kernel_cudaERNS_18TensorIteratorBaseEENKUlvE_clEvENKUlvE1_clEvEUlN3c104HalfEE_St5arrayIPcLm3EE23TrivialOffsetCalculatorILi1EjESD_ILi2EjEEEviT0_T1_T2_T3_.num_agpr, 0
	.set _ZN2at6native12_GLOBAL__N_145unrolled_elementwise_kernel_for_multi_outputsILi2EZZZNS0_17frexp_kernel_cudaERNS_18TensorIteratorBaseEENKUlvE_clEvENKUlvE1_clEvEUlN3c104HalfEE_St5arrayIPcLm3EE23TrivialOffsetCalculatorILi1EjESD_ILi2EjEEEviT0_T1_T2_T3_.numbered_sgpr, 18
	.set _ZN2at6native12_GLOBAL__N_145unrolled_elementwise_kernel_for_multi_outputsILi2EZZZNS0_17frexp_kernel_cudaERNS_18TensorIteratorBaseEENKUlvE_clEvENKUlvE1_clEvEUlN3c104HalfEE_St5arrayIPcLm3EE23TrivialOffsetCalculatorILi1EjESD_ILi2EjEEEviT0_T1_T2_T3_.num_named_barrier, 0
	.set _ZN2at6native12_GLOBAL__N_145unrolled_elementwise_kernel_for_multi_outputsILi2EZZZNS0_17frexp_kernel_cudaERNS_18TensorIteratorBaseEENKUlvE_clEvENKUlvE1_clEvEUlN3c104HalfEE_St5arrayIPcLm3EE23TrivialOffsetCalculatorILi1EjESD_ILi2EjEEEviT0_T1_T2_T3_.private_seg_size, 0
	.set _ZN2at6native12_GLOBAL__N_145unrolled_elementwise_kernel_for_multi_outputsILi2EZZZNS0_17frexp_kernel_cudaERNS_18TensorIteratorBaseEENKUlvE_clEvENKUlvE1_clEvEUlN3c104HalfEE_St5arrayIPcLm3EE23TrivialOffsetCalculatorILi1EjESD_ILi2EjEEEviT0_T1_T2_T3_.uses_vcc, 1
	.set _ZN2at6native12_GLOBAL__N_145unrolled_elementwise_kernel_for_multi_outputsILi2EZZZNS0_17frexp_kernel_cudaERNS_18TensorIteratorBaseEENKUlvE_clEvENKUlvE1_clEvEUlN3c104HalfEE_St5arrayIPcLm3EE23TrivialOffsetCalculatorILi1EjESD_ILi2EjEEEviT0_T1_T2_T3_.uses_flat_scratch, 0
	.set _ZN2at6native12_GLOBAL__N_145unrolled_elementwise_kernel_for_multi_outputsILi2EZZZNS0_17frexp_kernel_cudaERNS_18TensorIteratorBaseEENKUlvE_clEvENKUlvE1_clEvEUlN3c104HalfEE_St5arrayIPcLm3EE23TrivialOffsetCalculatorILi1EjESD_ILi2EjEEEviT0_T1_T2_T3_.has_dyn_sized_stack, 0
	.set _ZN2at6native12_GLOBAL__N_145unrolled_elementwise_kernel_for_multi_outputsILi2EZZZNS0_17frexp_kernel_cudaERNS_18TensorIteratorBaseEENKUlvE_clEvENKUlvE1_clEvEUlN3c104HalfEE_St5arrayIPcLm3EE23TrivialOffsetCalculatorILi1EjESD_ILi2EjEEEviT0_T1_T2_T3_.has_recursion, 0
	.set _ZN2at6native12_GLOBAL__N_145unrolled_elementwise_kernel_for_multi_outputsILi2EZZZNS0_17frexp_kernel_cudaERNS_18TensorIteratorBaseEENKUlvE_clEvENKUlvE1_clEvEUlN3c104HalfEE_St5arrayIPcLm3EE23TrivialOffsetCalculatorILi1EjESD_ILi2EjEEEviT0_T1_T2_T3_.has_indirect_call, 0
	.section	.AMDGPU.csdata,"",@progbits
; Kernel info:
; codeLenInByte = 576
; TotalNumSgprs: 24
; NumVgprs: 14
; NumAgprs: 0
; TotalNumVgprs: 14
; ScratchSize: 0
; MemoryBound: 0
; FloatMode: 240
; IeeeMode: 1
; LDSByteSize: 0 bytes/workgroup (compile time only)
; SGPRBlocks: 2
; VGPRBlocks: 1
; NumSGPRsForWavesPerEU: 24
; NumVGPRsForWavesPerEU: 14
; AccumOffset: 16
; Occupancy: 8
; WaveLimiterHint : 0
; COMPUTE_PGM_RSRC2:SCRATCH_EN: 0
; COMPUTE_PGM_RSRC2:USER_SGPR: 2
; COMPUTE_PGM_RSRC2:TRAP_HANDLER: 0
; COMPUTE_PGM_RSRC2:TGID_X_EN: 1
; COMPUTE_PGM_RSRC2:TGID_Y_EN: 0
; COMPUTE_PGM_RSRC2:TGID_Z_EN: 0
; COMPUTE_PGM_RSRC2:TIDIG_COMP_CNT: 0
; COMPUTE_PGM_RSRC3_GFX90A:ACCUM_OFFSET: 3
; COMPUTE_PGM_RSRC3_GFX90A:TG_SPLIT: 0
	.section	.text._ZN2at6native12_GLOBAL__N_145unrolled_elementwise_kernel_for_multi_outputsILi2EZZZNS0_17frexp_kernel_cudaERNS_18TensorIteratorBaseEENKUlvE_clEvENKUlvE1_clEvEUlN3c104HalfEE_St5arrayIPcLm3EE16OffsetCalculatorILi1EjLb0EESD_ILi2EjLb0EEEEviT0_T1_T2_T3_,"axG",@progbits,_ZN2at6native12_GLOBAL__N_145unrolled_elementwise_kernel_for_multi_outputsILi2EZZZNS0_17frexp_kernel_cudaERNS_18TensorIteratorBaseEENKUlvE_clEvENKUlvE1_clEvEUlN3c104HalfEE_St5arrayIPcLm3EE16OffsetCalculatorILi1EjLb0EESD_ILi2EjLb0EEEEviT0_T1_T2_T3_,comdat
	.globl	_ZN2at6native12_GLOBAL__N_145unrolled_elementwise_kernel_for_multi_outputsILi2EZZZNS0_17frexp_kernel_cudaERNS_18TensorIteratorBaseEENKUlvE_clEvENKUlvE1_clEvEUlN3c104HalfEE_St5arrayIPcLm3EE16OffsetCalculatorILi1EjLb0EESD_ILi2EjLb0EEEEviT0_T1_T2_T3_ ; -- Begin function _ZN2at6native12_GLOBAL__N_145unrolled_elementwise_kernel_for_multi_outputsILi2EZZZNS0_17frexp_kernel_cudaERNS_18TensorIteratorBaseEENKUlvE_clEvENKUlvE1_clEvEUlN3c104HalfEE_St5arrayIPcLm3EE16OffsetCalculatorILi1EjLb0EESD_ILi2EjLb0EEEEviT0_T1_T2_T3_
	.p2align	8
	.type	_ZN2at6native12_GLOBAL__N_145unrolled_elementwise_kernel_for_multi_outputsILi2EZZZNS0_17frexp_kernel_cudaERNS_18TensorIteratorBaseEENKUlvE_clEvENKUlvE1_clEvEUlN3c104HalfEE_St5arrayIPcLm3EE16OffsetCalculatorILi1EjLb0EESD_ILi2EjLb0EEEEviT0_T1_T2_T3_,@function
_ZN2at6native12_GLOBAL__N_145unrolled_elementwise_kernel_for_multi_outputsILi2EZZZNS0_17frexp_kernel_cudaERNS_18TensorIteratorBaseEENKUlvE_clEvENKUlvE1_clEvEUlN3c104HalfEE_St5arrayIPcLm3EE16OffsetCalculatorILi1EjLb0EESD_ILi2EjLb0EEEEviT0_T1_T2_T3_: ; @_ZN2at6native12_GLOBAL__N_145unrolled_elementwise_kernel_for_multi_outputsILi2EZZZNS0_17frexp_kernel_cudaERNS_18TensorIteratorBaseEENKUlvE_clEvENKUlvE1_clEvEUlN3c104HalfEE_St5arrayIPcLm3EE16OffsetCalculatorILi1EjLb0EESD_ILi2EjLb0EEEEviT0_T1_T2_T3_
; %bb.0:
	s_load_dword s3, s[0:1], 0x0
	s_load_dwordx4 s[16:19], s[0:1], 0x8
	s_load_dwordx8 s[4:11], s[0:1], 0x164
	s_load_dwordx2 s[20:21], s[0:1], 0x18
	s_load_dwordx8 s[36:43], s[0:1], 0x184
	s_load_dwordx8 s[44:51], s[0:1], 0x60
	s_lshl_b32 s28, s2, 10
	s_waitcnt lgkmcnt(0)
	v_mov_b64_e32 v[2:3], s[8:9]
	v_mov_b64_e32 v[4:5], s[10:11]
	s_load_dwordx8 s[8:15], s[0:1], 0x1a4
	scratch_store_dwordx4 off, v[2:5], off offset:368
	s_load_dword s2, s[0:1], 0x264
	s_sub_i32 s29, s3, s28
	v_mov_b64_e32 v[2:3], s[36:37]
	v_mov_b64_e32 v[4:5], s[38:39]
	scratch_store_dwordx4 off, v[2:5], off offset:384
	s_waitcnt lgkmcnt(0)
	v_mov_b32_e32 v1, s2
	scratch_store_dword off, v1, off offset:608
	v_mov_b64_e32 v[2:3], s[40:41]
	v_mov_b64_e32 v[4:5], s[42:43]
	s_load_dwordx8 s[36:43], s[0:1], 0x1c4
	scratch_store_dwordx4 off, v[2:5], off offset:400
	v_cmp_gt_i32_e32 vcc, s29, v0
                                        ; implicit-def: $vgpr14
	s_nop 0
	v_mov_b64_e32 v[2:3], s[8:9]
	v_mov_b64_e32 v[4:5], s[10:11]
	scratch_store_dwordx4 off, v[2:5], off offset:416
	s_nop 1
	v_mov_b64_e32 v[2:3], s[12:13]
	v_mov_b64_e32 v[4:5], s[14:15]
	s_load_dwordx8 s[8:15], s[0:1], 0x1e4
	scratch_store_dwordx4 off, v[2:5], off offset:432
	s_waitcnt lgkmcnt(0)
	s_nop 0
	v_mov_b64_e32 v[2:3], s[36:37]
	v_mov_b64_e32 v[4:5], s[38:39]
	scratch_store_dwordx4 off, v[2:5], off offset:448
	s_nop 1
	v_mov_b64_e32 v[2:3], s[40:41]
	v_mov_b64_e32 v[4:5], s[42:43]
	s_load_dwordx8 s[36:43], s[0:1], 0x204
	scratch_store_dwordx4 off, v[2:5], off offset:464
	s_nop 1
	v_mov_b64_e32 v[2:3], s[8:9]
	v_mov_b64_e32 v[4:5], s[10:11]
	scratch_store_dwordx4 off, v[2:5], off offset:480
	s_nop 1
	v_mov_b64_e32 v[2:3], s[12:13]
	v_mov_b64_e32 v[4:5], s[14:15]
	s_load_dwordx8 s[8:15], s[0:1], 0x224
	scratch_store_dwordx4 off, v[2:5], off offset:496
	s_waitcnt lgkmcnt(0)
	s_nop 0
	v_mov_b64_e32 v[2:3], s[36:37]
	v_mov_b64_e32 v[4:5], s[38:39]
	scratch_store_dwordx4 off, v[2:5], off offset:512
	s_nop 1
	v_mov_b64_e32 v[2:3], s[40:41]
	v_mov_b64_e32 v[4:5], s[42:43]
	s_load_dwordx8 s[36:43], s[0:1], 0x244
	scratch_store_dwordx4 off, v[2:5], off offset:528
	;; [unrolled: 19-line block ×3, first 2 shown]
	s_nop 1
	v_mov_b64_e32 v[2:3], s[8:9]
	v_mov_b64_e32 v[4:5], s[10:11]
	scratch_store_dwordx4 off, v[2:5], off offset:288
	s_nop 1
	v_mov_b64_e32 v[2:3], s[12:13]
	v_mov_b64_e32 v[4:5], s[14:15]
	scratch_store_dwordx4 off, v[2:5], off offset:304
	s_load_dwordx8 s[8:15], s[0:1], 0x20
	s_waitcnt lgkmcnt(0)
	v_mov_b64_e32 v[2:3], s[36:37]
	v_mov_b64_e32 v[4:5], s[38:39]
	scratch_store_dwordx4 off, v[2:5], off offset:320
	s_nop 1
	v_mov_b64_e32 v[2:3], s[40:41]
	v_mov_b64_e32 v[4:5], s[42:43]
	s_load_dwordx8 s[36:43], s[0:1], 0x40
	scratch_store_dwordx4 off, v[2:5], off offset:336
	s_nop 1
	v_mov_b64_e32 v[2:3], s[4:5]
	v_mov_b64_e32 v[4:5], s[6:7]
	scratch_store_dwordx4 off, v[2:5], off offset:352
	s_nop 1
	v_mov_b64_e32 v[2:3], s[12:13]
	v_mov_b64_e32 v[4:5], s[14:15]
	scratch_store_dwordx4 off, v[2:5], off offset:44
	s_waitcnt lgkmcnt(0)
	s_nop 0
	v_mov_b64_e32 v[2:3], s[36:37]
	v_mov_b64_e32 v[4:5], s[38:39]
	scratch_store_dwordx4 off, v[2:5], off offset:60
	s_nop 1
	v_mov_b64_e32 v[2:3], s[40:41]
	v_mov_b64_e32 v[4:5], s[42:43]
	s_load_dwordx8 s[36:43], s[0:1], 0x80
	scratch_store_dwordx4 off, v[2:5], off offset:76
	s_nop 1
	v_mov_b64_e32 v[2:3], s[44:45]
	v_mov_b64_e32 v[4:5], s[46:47]
	scratch_store_dwordx4 off, v[2:5], off offset:92
	s_nop 1
	v_mov_b64_e32 v[2:3], s[48:49]
	v_mov_b64_e32 v[4:5], s[50:51]
	s_load_dwordx8 s[44:51], s[0:1], 0xa0
	scratch_store_dwordx4 off, v[2:5], off offset:108
	s_waitcnt lgkmcnt(0)
	s_nop 0
	v_mov_b64_e32 v[2:3], s[36:37]
	v_mov_b64_e32 v[4:5], s[38:39]
	scratch_store_dwordx4 off, v[2:5], off offset:124
	s_nop 1
	v_mov_b64_e32 v[2:3], s[40:41]
	v_mov_b64_e32 v[4:5], s[42:43]
	s_load_dwordx8 s[36:43], s[0:1], 0xc0
	scratch_store_dwordx4 off, v[2:5], off offset:140
	s_nop 1
	v_mov_b64_e32 v[2:3], s[44:45]
	v_mov_b64_e32 v[4:5], s[46:47]
	scratch_store_dwordx4 off, v[2:5], off offset:156
	s_nop 1
	v_mov_b64_e32 v[2:3], s[48:49]
	v_mov_b64_e32 v[4:5], s[50:51]
	s_load_dwordx8 s[44:51], s[0:1], 0xe0
	scratch_store_dwordx4 off, v[2:5], off offset:172
	s_waitcnt lgkmcnt(0)
	s_nop 0
	v_mov_b64_e32 v[2:3], s[36:37]
	v_mov_b64_e32 v[4:5], s[38:39]
	scratch_store_dwordx4 off, v[2:5], off offset:188
	s_nop 1
	v_mov_b64_e32 v[2:3], s[40:41]
	v_mov_b64_e32 v[4:5], s[42:43]
	s_load_dwordx8 s[36:43], s[0:1], 0x100
	scratch_store_dwordx4 off, v[2:5], off offset:204
	s_load_dword s0, s[0:1], 0x120
	s_waitcnt lgkmcnt(0)
	v_mov_b32_e32 v1, s0
	v_mov_b64_e32 v[2:3], s[44:45]
	v_mov_b64_e32 v[4:5], s[46:47]
	scratch_store_dwordx4 off, v[2:5], off offset:220
	v_cmp_le_i32_e64 s[0:1], s29, v0
	scratch_store_dword off, v1, off offset:284
	v_mov_b64_e32 v[2:3], s[48:49]
	v_mov_b64_e32 v[4:5], s[50:51]
	scratch_store_dwordx4 off, v[2:5], off offset:236
	s_nop 1
	v_mov_b64_e32 v[2:3], s[36:37]
	v_mov_b64_e32 v[4:5], s[38:39]
	scratch_store_dwordx4 off, v[2:5], off offset:252
	s_nop 1
	v_mov_b64_e32 v[2:3], s[40:41]
	v_mov_b64_e32 v[4:5], s[42:43]
	scratch_store_dwordx4 off, v[2:5], off offset:268
	s_nop 1
	v_mov_b64_e32 v[2:3], s[8:9]
	v_mov_b64_e32 v[4:5], s[10:11]
	scratch_store_dwordx4 off, v[2:5], off offset:28
	s_and_saveexec_b64 s[2:3], s[0:1]
	s_xor_b64 s[0:1], exec, s[2:3]
; %bb.1:
	v_or_b32_e32 v14, 0x100, v0
; %bb.2:
	s_or_saveexec_b64 s[6:7], s[0:1]
	v_mov_b32_e32 v11, 0
	v_mov_b32_e32 v18, 0
	v_or_b32_e32 v9, s28, v0
	v_mov_b32_e32 v15, 0
	v_mov_b32_e32 v13, 0
	s_xor_b64 exec, exec, s[6:7]
	s_cbranch_execz .LBB543_74
; %bb.3:
	scratch_load_dwordx4 v[2:5], off, off offset:28
	scratch_load_dwordx2 v[16:17], off, off offset:224
	scratch_load_dwordx3 v[6:8], off, off offset:44
	v_mov_b32_e32 v14, 0
	v_or_b32_e32 v10, s28, v0
	s_waitcnt vmcnt(2)
	v_subrev_co_u32_e64 v1, s[2:3], 1, v2
	v_cmp_lt_u32_e64 s[0:1], 1, v2
	s_xor_b64 s[10:11], s[2:3], -1
	v_cmp_lt_u32_e64 s[2:3], 1, v1
	v_min_u32_e32 v2, 15, v1
	s_and_saveexec_b64 s[4:5], s[2:3]
	s_xor_b64 s[8:9], exec, s[4:5]
	s_cbranch_execz .LBB543_15
; %bb.4:
	s_and_saveexec_b64 s[12:13], s[10:11]
	s_cbranch_execz .LBB543_14
; %bb.5:
	v_add_u32_e32 v12, 1, v2
	v_cmp_ne_u32_e64 s[4:5], 2, v1
	v_mov_b32_e32 v14, 0
	v_mov_b32_e32 v11, 0
	s_and_saveexec_b64 s[14:15], s[4:5]
	s_cbranch_execz .LBB543_9
; %bb.6:
	v_and_b32_e32 v11, 28, v12
	s_mov_b32 s24, 0
	s_mov_b64 s[22:23], 0
	v_mov_b32_e32 v14, 0
	s_mov_b32 s25, 0
	s_mov_b32 s26, 0
.LBB543_7:                              ; =>This Inner Loop Header: Depth=1
	s_add_i32 s27, s25, 32
	s_add_i32 s5, s24, 0xe0
	;; [unrolled: 1-line block ×4, first 2 shown]
	scratch_load_dwordx4 v[18:21], off, s27
	scratch_load_dwordx4 v[22:25], off, s30
	;; [unrolled: 1-line block ×4, first 2 shown]
	s_add_i32 s26, s26, 4
	s_add_i32 s25, s25, 48
	;; [unrolled: 1-line block ×3, first 2 shown]
	v_cmp_eq_u32_e64 s[4:5], s26, v11
	s_or_b64 s[22:23], s[4:5], s[22:23]
	s_waitcnt vmcnt(3)
	v_mul_hi_u32 v13, v19, v10
	v_add_u32_e32 v13, v10, v13
	v_lshrrev_b32_e32 v13, v20, v13
	v_mul_lo_u32 v15, v13, v18
	s_waitcnt vmcnt(2)
	v_mul_hi_u32 v18, v22, v13
	v_sub_u32_e32 v10, v10, v15
	v_add_u32_e32 v15, v13, v18
	v_lshrrev_b32_e32 v15, v23, v15
	v_mul_lo_u32 v18, v15, v21
	v_mul_hi_u32 v19, v25, v15
	v_sub_u32_e32 v13, v13, v18
	v_add_u32_e32 v18, v15, v19
	s_waitcnt vmcnt(0)
	v_mul_lo_u32 v10, v10, v30
	v_mul_lo_u32 v13, v13, v31
	v_lshrrev_b32_e32 v18, v26, v18
	v_add3_u32 v13, v10, v14, v13
	v_mul_lo_u32 v10, v18, v24
	v_mul_hi_u32 v14, v28, v18
	v_sub_u32_e32 v10, v15, v10
	v_add_u32_e32 v14, v18, v14
	v_mul_lo_u32 v15, v10, v32
	v_lshrrev_b32_e32 v10, v29, v14
	v_mul_lo_u32 v14, v10, v27
	v_sub_u32_e32 v14, v18, v14
	v_mul_lo_u32 v14, v14, v33
	v_add3_u32 v14, v15, v13, v14
	s_andn2_b64 exec, exec, s[22:23]
	s_cbranch_execnz .LBB543_7
; %bb.8:
	s_or_b64 exec, exec, s[22:23]
.LBB543_9:
	s_or_b64 exec, exec, s[14:15]
	v_and_b32_e32 v12, 3, v12
	v_cmp_ne_u32_e64 s[4:5], 0, v12
	s_and_saveexec_b64 s[14:15], s[4:5]
	s_cbranch_execz .LBB543_13
; %bb.10:
	v_mov_b32_e32 v15, 0
	v_lshl_add_u32 v13, v11, 2, v15
	v_add_u32_e32 v13, 0xe0, v13
	v_mad_u32_u24 v11, v11, 12, v15
	s_mov_b64 s[22:23], 0
.LBB543_11:                             ; =>This Inner Loop Header: Depth=1
	v_add_u32_e32 v15, 32, v11
	scratch_load_dwordx3 v[18:20], v15, off
	scratch_load_dword v21, v13, off
	v_add_u32_e32 v12, -1, v12
	v_cmp_eq_u32_e64 s[4:5], 0, v12
	v_add_u32_e32 v13, 4, v13
	v_add_u32_e32 v11, 12, v11
	s_or_b64 s[22:23], s[4:5], s[22:23]
	s_waitcnt vmcnt(1)
	v_mul_hi_u32 v15, v19, v10
	v_add_u32_e32 v15, v10, v15
	v_lshrrev_b32_e32 v15, v20, v15
	v_mul_lo_u32 v18, v15, v18
	v_sub_u32_e32 v18, v10, v18
	v_mov_b32_e32 v10, v15
	s_waitcnt vmcnt(0)
	v_mad_u64_u32 v[14:15], s[4:5], v18, v21, v[14:15]
	s_andn2_b64 exec, exec, s[22:23]
	s_cbranch_execnz .LBB543_11
; %bb.12:
	s_or_b64 exec, exec, s[22:23]
.LBB543_13:
	s_or_b64 exec, exec, s[14:15]
.LBB543_14:
	s_or_b64 exec, exec, s[12:13]
                                        ; implicit-def: $vgpr10
.LBB543_15:
	s_andn2_saveexec_b64 s[4:5], s[8:9]
	s_cbranch_execz .LBB543_19
; %bb.16:
	v_mul_hi_u32 v11, v4, v10
	v_add_u32_e32 v11, v10, v11
	v_lshrrev_b32_e32 v11, v5, v11
	v_mul_lo_u32 v12, v11, v3
	v_sub_u32_e32 v10, v10, v12
	s_waitcnt vmcnt(1)
	v_mul_lo_u32 v14, v10, v16
	s_and_saveexec_b64 s[8:9], s[0:1]
	s_cbranch_execz .LBB543_18
; %bb.17:
	s_waitcnt vmcnt(0)
	v_mul_hi_u32 v10, v11, v7
	v_add_u32_e32 v10, v11, v10
	v_lshrrev_b32_e32 v10, v8, v10
	v_mul_lo_u32 v10, v10, v6
	v_sub_u32_e32 v10, v11, v10
	v_mad_u64_u32 v[14:15], s[12:13], v10, v17, v[14:15]
.LBB543_18:
	s_or_b64 exec, exec, s[8:9]
.LBB543_19:
	s_or_b64 exec, exec, s[4:5]
	v_mov_b32_e32 v15, 0
	v_lshl_add_u64 v[10:11], v[14:15], 1, s[20:21]
	global_load_ushort v18, v[10:11], off
	v_or_b32_e32 v14, 0x100, v0
	v_cmp_gt_u32_e64 s[4:5], s29, v14
	v_mov_b32_e32 v13, v15
	v_mov_b32_e32 v11, v15
	s_and_saveexec_b64 s[8:9], s[4:5]
	s_cbranch_execz .LBB543_73
; %bb.20:
	v_add_u32_e32 v10, s28, v14
                                        ; implicit-def: $vgpr12
	s_and_saveexec_b64 s[4:5], s[2:3]
	s_xor_b64 s[12:13], exec, s[4:5]
	s_cbranch_execz .LBB543_32
; %bb.21:
	v_mov_b32_e32 v12, 0
	s_and_saveexec_b64 s[14:15], s[10:11]
	s_cbranch_execz .LBB543_31
; %bb.22:
	v_add_u32_e32 v13, 1, v2
	v_cmp_ne_u32_e64 s[4:5], 2, v1
	v_mov_b32_e32 v12, 0
	v_mov_b32_e32 v11, 0
	s_and_saveexec_b64 s[22:23], s[4:5]
	s_cbranch_execz .LBB543_26
; %bb.23:
	v_and_b32_e32 v11, 28, v13
	s_mov_b32 s26, 0
	s_mov_b64 s[24:25], 0
	v_mov_b32_e32 v12, 0
	s_mov_b32 s27, 0
	s_mov_b32 s30, 0
.LBB543_24:                             ; =>This Inner Loop Header: Depth=1
	s_add_i32 s31, s27, 32
	s_add_i32 s5, s26, 0xe0
	;; [unrolled: 1-line block ×4, first 2 shown]
	scratch_load_dwordx4 v[20:23], off, s31
	scratch_load_dwordx4 v[24:27], off, s33
	;; [unrolled: 1-line block ×4, first 2 shown]
	s_add_i32 s30, s30, 4
	s_add_i32 s27, s27, 48
	;; [unrolled: 1-line block ×3, first 2 shown]
	v_cmp_eq_u32_e64 s[4:5], s30, v11
	s_or_b64 s[24:25], s[4:5], s[24:25]
	s_waitcnt vmcnt(3)
	v_mul_hi_u32 v15, v21, v10
	v_add_u32_e32 v15, v10, v15
	v_lshrrev_b32_e32 v15, v22, v15
	v_mul_lo_u32 v19, v15, v20
	s_waitcnt vmcnt(2)
	v_mul_hi_u32 v20, v24, v15
	v_sub_u32_e32 v10, v10, v19
	v_add_u32_e32 v19, v15, v20
	v_lshrrev_b32_e32 v19, v25, v19
	v_mul_lo_u32 v20, v19, v23
	v_mul_hi_u32 v21, v27, v19
	v_sub_u32_e32 v15, v15, v20
	v_add_u32_e32 v20, v19, v21
	s_waitcnt vmcnt(0)
	v_mul_lo_u32 v10, v10, v32
	v_mul_lo_u32 v15, v15, v33
	v_lshrrev_b32_e32 v20, v28, v20
	v_add3_u32 v12, v10, v12, v15
	v_mul_lo_u32 v10, v20, v26
	v_mul_hi_u32 v15, v30, v20
	v_sub_u32_e32 v10, v19, v10
	v_add_u32_e32 v15, v20, v15
	v_mul_lo_u32 v19, v10, v34
	v_lshrrev_b32_e32 v10, v31, v15
	v_mul_lo_u32 v15, v10, v29
	v_sub_u32_e32 v15, v20, v15
	v_mul_lo_u32 v15, v15, v35
	v_add3_u32 v12, v19, v12, v15
	s_andn2_b64 exec, exec, s[24:25]
	s_cbranch_execnz .LBB543_24
; %bb.25:
	s_or_b64 exec, exec, s[24:25]
.LBB543_26:
	s_or_b64 exec, exec, s[22:23]
	v_and_b32_e32 v15, 3, v13
	v_cmp_ne_u32_e64 s[4:5], 0, v15
	s_and_saveexec_b64 s[22:23], s[4:5]
	s_cbranch_execz .LBB543_30
; %bb.27:
	v_mov_b32_e32 v13, 0
	v_lshl_add_u32 v19, v11, 2, v13
	v_add_u32_e32 v19, 0xe0, v19
	v_mad_u32_u24 v11, v11, 12, v13
	s_mov_b64 s[24:25], 0
.LBB543_28:                             ; =>This Inner Loop Header: Depth=1
	v_add_u32_e32 v13, 32, v11
	scratch_load_dwordx3 v[20:22], v13, off
	scratch_load_dword v23, v19, off
	v_add_u32_e32 v15, -1, v15
	v_cmp_eq_u32_e64 s[4:5], 0, v15
	v_add_u32_e32 v19, 4, v19
	v_add_u32_e32 v11, 12, v11
	s_or_b64 s[24:25], s[4:5], s[24:25]
	s_waitcnt vmcnt(1)
	v_mul_hi_u32 v13, v21, v10
	v_add_u32_e32 v13, v10, v13
	v_lshrrev_b32_e32 v13, v22, v13
	v_mul_lo_u32 v20, v13, v20
	v_sub_u32_e32 v20, v10, v20
	v_mov_b32_e32 v10, v13
	s_waitcnt vmcnt(0)
	v_mad_u64_u32 v[12:13], s[4:5], v20, v23, v[12:13]
	s_andn2_b64 exec, exec, s[24:25]
	s_cbranch_execnz .LBB543_28
; %bb.29:
	s_or_b64 exec, exec, s[24:25]
.LBB543_30:
	s_or_b64 exec, exec, s[22:23]
.LBB543_31:
	s_or_b64 exec, exec, s[14:15]
                                        ; implicit-def: $vgpr10
.LBB543_32:
	s_andn2_saveexec_b64 s[4:5], s[12:13]
	s_cbranch_execz .LBB543_36
; %bb.33:
	v_mul_hi_u32 v11, v4, v10
	v_add_u32_e32 v11, v10, v11
	v_lshrrev_b32_e32 v11, v5, v11
	v_mul_lo_u32 v12, v11, v3
	v_sub_u32_e32 v10, v10, v12
	s_waitcnt vmcnt(2)
	v_mul_lo_u32 v12, v10, v16
	s_and_saveexec_b64 s[12:13], s[0:1]
	s_cbranch_execz .LBB543_35
; %bb.34:
	s_waitcnt vmcnt(1)
	v_mul_hi_u32 v10, v11, v7
	v_add_u32_e32 v10, v11, v10
	v_lshrrev_b32_e32 v10, v8, v10
	v_mul_lo_u32 v10, v10, v6
	v_sub_u32_e32 v10, v11, v10
	v_mad_u64_u32 v[12:13], s[14:15], v10, v17, v[12:13]
.LBB543_35:
	s_or_b64 exec, exec, s[12:13]
.LBB543_36:
	s_or_b64 exec, exec, s[4:5]
	v_mov_b32_e32 v13, 0
	v_lshl_add_u64 v[10:11], v[12:13], 1, s[20:21]
	global_load_ushort v15, v[10:11], off
	v_or_b32_e32 v10, 0x200, v0
	v_cmp_gt_u32_e64 s[4:5], s29, v10
	v_mov_b32_e32 v11, v13
	s_and_saveexec_b64 s[12:13], s[4:5]
	s_cbranch_execz .LBB543_72
; %bb.37:
	v_add_u32_e32 v12, s28, v10
                                        ; implicit-def: $vgpr10
	s_and_saveexec_b64 s[4:5], s[2:3]
	s_xor_b64 s[14:15], exec, s[4:5]
	s_cbranch_execz .LBB543_49
; %bb.38:
	v_mov_b32_e32 v10, 0
	s_and_saveexec_b64 s[22:23], s[10:11]
	s_cbranch_execz .LBB543_48
; %bb.39:
	v_add_u32_e32 v13, 1, v2
	v_cmp_ne_u32_e64 s[4:5], 2, v1
	v_mov_b32_e32 v10, 0
	v_mov_b32_e32 v11, 0
	s_and_saveexec_b64 s[24:25], s[4:5]
	s_cbranch_execz .LBB543_43
; %bb.40:
	v_and_b32_e32 v11, 28, v13
	s_mov_b32 s30, 0
	s_mov_b64 s[26:27], 0
	v_mov_b32_e32 v10, 0
	s_mov_b32 s31, 0
	s_mov_b32 s33, 0
.LBB543_41:                             ; =>This Inner Loop Header: Depth=1
	s_add_i32 s34, s31, 32
	s_add_i32 s5, s30, 0xe0
	;; [unrolled: 1-line block ×4, first 2 shown]
	scratch_load_dwordx4 v[20:23], off, s34
	scratch_load_dwordx4 v[24:27], off, s35
	scratch_load_dwordx4 v[28:31], off, s4
	scratch_load_dwordx4 v[32:35], off, s5
	s_add_i32 s33, s33, 4
	s_add_i32 s31, s31, 48
	;; [unrolled: 1-line block ×3, first 2 shown]
	v_cmp_eq_u32_e64 s[4:5], s33, v11
	s_or_b64 s[26:27], s[4:5], s[26:27]
	s_waitcnt vmcnt(3)
	v_mul_hi_u32 v19, v21, v12
	v_add_u32_e32 v19, v12, v19
	v_lshrrev_b32_e32 v19, v22, v19
	v_mul_lo_u32 v20, v19, v20
	s_waitcnt vmcnt(2)
	v_mul_hi_u32 v21, v24, v19
	v_sub_u32_e32 v12, v12, v20
	v_add_u32_e32 v20, v19, v21
	v_lshrrev_b32_e32 v20, v25, v20
	v_mul_lo_u32 v21, v20, v23
	v_mul_hi_u32 v22, v27, v20
	v_sub_u32_e32 v19, v19, v21
	v_add_u32_e32 v21, v20, v22
	s_waitcnt vmcnt(0)
	v_mul_lo_u32 v12, v12, v32
	v_mul_lo_u32 v19, v19, v33
	v_lshrrev_b32_e32 v21, v28, v21
	v_add3_u32 v10, v12, v10, v19
	v_mul_lo_u32 v12, v21, v26
	v_mul_hi_u32 v19, v30, v21
	v_sub_u32_e32 v12, v20, v12
	v_add_u32_e32 v19, v21, v19
	v_mul_lo_u32 v20, v12, v34
	v_lshrrev_b32_e32 v12, v31, v19
	v_mul_lo_u32 v19, v12, v29
	v_sub_u32_e32 v19, v21, v19
	v_mul_lo_u32 v19, v19, v35
	v_add3_u32 v10, v20, v10, v19
	s_andn2_b64 exec, exec, s[26:27]
	s_cbranch_execnz .LBB543_41
; %bb.42:
	s_or_b64 exec, exec, s[26:27]
.LBB543_43:
	s_or_b64 exec, exec, s[24:25]
	v_and_b32_e32 v13, 3, v13
	v_cmp_ne_u32_e64 s[4:5], 0, v13
	s_and_saveexec_b64 s[24:25], s[4:5]
	s_cbranch_execz .LBB543_47
; %bb.44:
	v_mov_b32_e32 v20, 0
	v_lshl_add_u32 v19, v11, 2, v20
	v_add_u32_e32 v19, 0xe0, v19
	v_mad_u32_u24 v20, v11, 12, v20
	s_mov_b64 s[26:27], 0
.LBB543_45:                             ; =>This Inner Loop Header: Depth=1
	v_add_u32_e32 v11, 32, v20
	scratch_load_dwordx3 v[22:24], v11, off
	scratch_load_dword v21, v19, off
	v_add_u32_e32 v13, -1, v13
	v_cmp_eq_u32_e64 s[4:5], 0, v13
	v_add_u32_e32 v19, 4, v19
	v_add_u32_e32 v20, 12, v20
	s_or_b64 s[26:27], s[4:5], s[26:27]
	s_waitcnt vmcnt(1)
	v_mul_hi_u32 v11, v23, v12
	v_add_u32_e32 v11, v12, v11
	v_lshrrev_b32_e32 v11, v24, v11
	v_mul_lo_u32 v22, v11, v22
	v_sub_u32_e32 v22, v12, v22
	v_mov_b32_e32 v12, v11
	s_waitcnt vmcnt(0)
	v_mad_u64_u32 v[10:11], s[4:5], v22, v21, v[10:11]
	s_andn2_b64 exec, exec, s[26:27]
	s_cbranch_execnz .LBB543_45
; %bb.46:
	s_or_b64 exec, exec, s[26:27]
.LBB543_47:
	s_or_b64 exec, exec, s[24:25]
.LBB543_48:
	s_or_b64 exec, exec, s[22:23]
                                        ; implicit-def: $vgpr12
.LBB543_49:
	s_andn2_saveexec_b64 s[4:5], s[14:15]
	s_cbranch_execz .LBB543_53
; %bb.50:
	v_mul_hi_u32 v10, v4, v12
	v_add_u32_e32 v10, v12, v10
	v_lshrrev_b32_e32 v11, v5, v10
	v_mul_lo_u32 v10, v11, v3
	v_sub_u32_e32 v10, v12, v10
	s_waitcnt vmcnt(3)
	v_mul_lo_u32 v10, v10, v16
	s_and_saveexec_b64 s[14:15], s[0:1]
	s_cbranch_execz .LBB543_52
; %bb.51:
	s_waitcnt vmcnt(2)
	v_mul_hi_u32 v12, v11, v7
	v_add_u32_e32 v12, v11, v12
	v_lshrrev_b32_e32 v12, v8, v12
	v_mul_lo_u32 v12, v12, v6
	v_sub_u32_e32 v11, v11, v12
	v_mad_u64_u32 v[10:11], s[22:23], v11, v17, v[10:11]
.LBB543_52:
	s_or_b64 exec, exec, s[14:15]
.LBB543_53:
	s_or_b64 exec, exec, s[4:5]
	v_mov_b32_e32 v11, 0
	v_lshl_add_u64 v[12:13], v[10:11], 1, s[20:21]
	global_load_ushort v13, v[12:13], off
	v_or_b32_e32 v10, 0x300, v0
	v_cmp_gt_u32_e64 s[4:5], s29, v10
	s_and_saveexec_b64 s[14:15], s[4:5]
	s_cbranch_execz .LBB543_71
; %bb.54:
	v_add_u32_e32 v12, s28, v10
                                        ; implicit-def: $vgpr10
	s_and_saveexec_b64 s[4:5], s[2:3]
	s_xor_b64 s[4:5], exec, s[4:5]
	s_cbranch_execz .LBB543_66
; %bb.55:
	v_mov_b32_e32 v10, 0
	s_and_saveexec_b64 s[22:23], s[10:11]
	s_cbranch_execz .LBB543_65
; %bb.56:
	v_add_u32_e32 v2, 1, v2
	v_cmp_ne_u32_e64 s[2:3], 2, v1
	v_mov_b32_e32 v10, 0
	v_mov_b32_e32 v1, 0
	s_and_saveexec_b64 s[10:11], s[2:3]
	s_cbranch_execz .LBB543_60
; %bb.57:
	v_and_b32_e32 v1, 28, v2
	s_mov_b32 s26, 0
	s_mov_b64 s[24:25], 0
	v_mov_b32_e32 v10, 0
	s_mov_b32 s27, 0
	s_mov_b32 s30, 0
.LBB543_58:                             ; =>This Inner Loop Header: Depth=1
	s_add_i32 s31, s27, 32
	s_add_i32 s3, s26, 0xe0
	;; [unrolled: 1-line block ×4, first 2 shown]
	scratch_load_dwordx4 v[4:7], off, s31
	scratch_load_dwordx4 v[20:23], off, s33
	;; [unrolled: 1-line block ×4, first 2 shown]
	s_add_i32 s30, s30, 4
	s_add_i32 s27, s27, 48
	;; [unrolled: 1-line block ×3, first 2 shown]
	v_cmp_eq_u32_e64 s[2:3], s30, v1
	s_or_b64 s[24:25], s[2:3], s[24:25]
	s_waitcnt vmcnt(3)
	v_mul_hi_u32 v3, v5, v12
	v_add_u32_e32 v3, v12, v3
	v_lshrrev_b32_e32 v3, v6, v3
	s_waitcnt vmcnt(2)
	v_mul_hi_u32 v5, v20, v3
	v_add_u32_e32 v5, v3, v5
	v_lshrrev_b32_e32 v5, v21, v5
	v_mul_lo_u32 v4, v3, v4
	v_mul_lo_u32 v6, v5, v7
	v_mul_hi_u32 v7, v23, v5
	v_sub_u32_e32 v4, v12, v4
	v_sub_u32_e32 v3, v3, v6
	v_add_u32_e32 v6, v5, v7
	s_waitcnt vmcnt(0)
	v_mul_lo_u32 v4, v4, v28
	v_mul_lo_u32 v3, v3, v29
	v_lshrrev_b32_e32 v6, v24, v6
	v_add3_u32 v3, v4, v10, v3
	v_mul_lo_u32 v4, v6, v22
	v_mul_hi_u32 v7, v26, v6
	v_sub_u32_e32 v4, v5, v4
	v_add_u32_e32 v5, v6, v7
	v_lshrrev_b32_e32 v12, v27, v5
	v_mul_lo_u32 v5, v12, v25
	v_sub_u32_e32 v5, v6, v5
	v_mul_lo_u32 v4, v4, v30
	v_mul_lo_u32 v5, v5, v31
	v_add3_u32 v10, v4, v3, v5
	s_andn2_b64 exec, exec, s[24:25]
	s_cbranch_execnz .LBB543_58
; %bb.59:
	s_or_b64 exec, exec, s[24:25]
.LBB543_60:
	s_or_b64 exec, exec, s[10:11]
	v_and_b32_e32 v2, 3, v2
	v_cmp_ne_u32_e64 s[2:3], 0, v2
	s_and_saveexec_b64 s[10:11], s[2:3]
	s_cbranch_execz .LBB543_64
; %bb.61:
	v_mov_b32_e32 v4, 0
	v_lshl_add_u32 v3, v1, 2, v4
	v_add_u32_e32 v3, 0xe0, v3
	v_mad_u32_u24 v1, v1, 12, v4
	s_mov_b64 s[24:25], 0
.LBB543_62:                             ; =>This Inner Loop Header: Depth=1
	s_waitcnt vmcnt(3)
	v_add_u32_e32 v7, 32, v1
	scratch_load_dwordx3 v[4:6], v7, off
	scratch_load_dword v8, v3, off
	v_add_u32_e32 v2, -1, v2
	v_cmp_eq_u32_e64 s[2:3], 0, v2
	v_add_u32_e32 v3, 4, v3
	v_add_u32_e32 v1, 12, v1
	s_or_b64 s[24:25], s[2:3], s[24:25]
	s_waitcnt vmcnt(1)
	v_mul_hi_u32 v5, v5, v12
	v_add_u32_e32 v5, v12, v5
	v_lshrrev_b32_e32 v5, v6, v5
	v_mul_lo_u32 v4, v5, v4
	v_sub_u32_e32 v4, v12, v4
	v_mov_b32_e32 v12, v5
	s_waitcnt vmcnt(0)
	v_mad_u64_u32 v[10:11], s[2:3], v4, v8, v[10:11]
	s_andn2_b64 exec, exec, s[24:25]
	s_cbranch_execnz .LBB543_62
; %bb.63:
	s_or_b64 exec, exec, s[24:25]
.LBB543_64:
	s_or_b64 exec, exec, s[10:11]
.LBB543_65:
	s_or_b64 exec, exec, s[22:23]
                                        ; implicit-def: $vgpr2_vgpr3_vgpr4_vgpr5
                                        ; implicit-def: $vgpr12
                                        ; implicit-def: $vgpr16_vgpr17
                                        ; implicit-def: $vgpr6_vgpr7_vgpr8
.LBB543_66:
	s_andn2_saveexec_b64 s[2:3], s[4:5]
	s_cbranch_execz .LBB543_70
; %bb.67:
	v_mul_hi_u32 v1, v4, v12
	v_add_u32_e32 v1, v12, v1
	v_lshrrev_b32_e32 v1, v5, v1
	v_mul_lo_u32 v2, v1, v3
	v_sub_u32_e32 v2, v12, v2
	s_waitcnt vmcnt(4)
	v_mul_lo_u32 v10, v2, v16
	s_and_saveexec_b64 s[4:5], s[0:1]
	s_cbranch_execz .LBB543_69
; %bb.68:
	s_waitcnt vmcnt(3)
	v_mul_hi_u32 v2, v1, v7
	v_add_u32_e32 v2, v1, v2
	v_lshrrev_b32_e32 v2, v8, v2
	v_mul_lo_u32 v2, v2, v6
	v_sub_u32_e32 v1, v1, v2
	v_mad_u64_u32 v[10:11], s[0:1], v1, v17, v[10:11]
.LBB543_69:
	s_or_b64 exec, exec, s[4:5]
.LBB543_70:
	s_or_b64 exec, exec, s[2:3]
	v_mov_b32_e32 v11, 0
	v_lshl_add_u64 v[2:3], v[10:11], 1, s[20:21]
	global_load_ushort v1, v[2:3], off
	s_waitcnt vmcnt(0)
	v_cvt_f32_f16_e32 v11, v1
.LBB543_71:
	s_or_b64 exec, exec, s[14:15]
.LBB543_72:
	s_or_b64 exec, exec, s[12:13]
.LBB543_73:
	s_or_b64 exec, exec, s[8:9]
.LBB543_74:
	s_or_b64 exec, exec, s[6:7]
	s_and_saveexec_b64 s[0:1], vcc
	s_cbranch_execz .LBB543_143
; %bb.75:
	scratch_load_dword v6, off, off offset:288
                                        ; implicit-def: $vgpr4
                                        ; implicit-def: $vgpr2
	s_waitcnt vmcnt(0)
	v_add_u32_e32 v7, -1, v6
	v_cmp_lt_u32_e32 vcc, 1, v7
	s_and_saveexec_b64 s[0:1], vcc
	s_xor_b64 s[2:3], exec, s[0:1]
	s_cbranch_execz .LBB543_87
; %bb.76:
	v_mov_b32_e32 v4, 0
	v_cmp_ne_u32_e64 s[0:1], 0, v6
	v_mov_b32_e32 v2, 0
	s_and_saveexec_b64 s[4:5], s[0:1]
	s_cbranch_execz .LBB543_86
; %bb.77:
	v_min_u32_e32 v1, 15, v7
	v_mov_b32_e32 v2, 0
	v_add_u32_e32 v5, 1, v1
	v_cmp_ne_u32_e64 s[0:1], 2, v7
	s_mov_b32 s10, 0
	v_mov_b32_e32 v1, v2
	v_mov_b32_e32 v3, v2
                                        ; implicit-def: $vgpr4
	s_and_saveexec_b64 s[6:7], s[0:1]
	s_cbranch_execz .LBB543_81
; %bb.78:
	v_and_b32_e32 v3, 28, v5
	s_mov_b64 s[8:9], 0
	v_mov_b32_e32 v2, 0
	v_mov_b32_e32 v4, 0
	s_mov_b32 s11, 0
	s_mov_b32 s12, 0
.LBB543_79:                             ; =>This Inner Loop Header: Depth=1
	s_add_i32 s13, s11, 0x124
	s_add_i32 s14, s10, 0x1e4
	;; [unrolled: 1-line block ×5, first 2 shown]
	scratch_load_dwordx4 v[20:23], off, s13
	scratch_load_dwordx4 v[24:27], off, s15
	;; [unrolled: 1-line block ×5, first 2 shown]
	s_add_i32 s12, s12, 4
	s_add_i32 s11, s11, 48
	;; [unrolled: 1-line block ×3, first 2 shown]
	v_cmp_eq_u32_e64 s[0:1], s12, v3
	s_or_b64 s[8:9], s[0:1], s[8:9]
	s_waitcnt vmcnt(4)
	v_mul_hi_u32 v1, v21, v9
	v_add_u32_e32 v1, v9, v1
	v_lshrrev_b32_e32 v1, v22, v1
	v_mul_lo_u32 v8, v1, v20
	s_waitcnt vmcnt(3)
	v_mul_hi_u32 v10, v24, v1
	v_sub_u32_e32 v8, v9, v8
	v_add_u32_e32 v9, v1, v10
	v_lshrrev_b32_e32 v9, v25, v9
	v_mul_lo_u32 v12, v9, v23
	v_mul_hi_u32 v16, v27, v9
	v_sub_u32_e32 v1, v1, v12
	v_add_u32_e32 v12, v9, v16
	s_waitcnt vmcnt(2)
	v_mul_lo_u32 v10, v8, v29
	v_mul_lo_u32 v8, v8, v28
	;; [unrolled: 1-line block ×4, first 2 shown]
	s_waitcnt vmcnt(1)
	v_lshrrev_b32_e32 v12, v32, v12
	v_add3_u32 v1, v8, v2, v1
	v_mul_hi_u32 v8, v34, v12
	v_add3_u32 v2, v10, v4, v16
	v_mul_lo_u32 v4, v12, v26
	v_add_u32_e32 v8, v12, v8
	v_sub_u32_e32 v4, v9, v4
	v_lshrrev_b32_e32 v9, v35, v8
	v_mul_lo_u32 v8, v9, v33
	v_sub_u32_e32 v8, v12, v8
	s_waitcnt vmcnt(0)
	v_mul_lo_u32 v10, v4, v36
	v_mul_lo_u32 v4, v4, v37
	;; [unrolled: 1-line block ×4, first 2 shown]
	v_add3_u32 v4, v4, v2, v8
	v_add3_u32 v2, v10, v1, v12
	s_andn2_b64 exec, exec, s[8:9]
	s_cbranch_execnz .LBB543_79
; %bb.80:
	s_or_b64 exec, exec, s[8:9]
	v_mov_b32_e32 v1, v4
.LBB543_81:
	s_or_b64 exec, exec, s[6:7]
	v_and_b32_e32 v8, 3, v5
	v_cmp_ne_u32_e64 s[0:1], 0, v8
	s_and_saveexec_b64 s[6:7], s[0:1]
	s_cbranch_execz .LBB543_85
; %bb.82:
	v_mov_b32_e32 v4, 0
	v_lshl_add_u32 v5, v3, 3, v4
	v_add_u32_e32 v10, 0x1e4, v5
	v_mad_u32_u24 v12, v3, 12, v4
	s_mov_b64 s[8:9], 0
.LBB543_83:                             ; =>This Inner Loop Header: Depth=1
	v_add_u32_e32 v3, 0x124, v12
	scratch_load_dwordx3 v[20:22], v3, off
	scratch_load_dwordx2 v[16:17], v10, off
	v_mov_b32_e32 v4, v1
	v_add_u32_e32 v8, -1, v8
	v_cmp_eq_u32_e64 s[0:1], 0, v8
	s_or_b64 s[8:9], s[0:1], s[8:9]
	v_add_u32_e32 v10, 8, v10
	v_add_u32_e32 v12, 12, v12
	s_waitcnt vmcnt(1)
	v_mul_hi_u32 v1, v21, v9
	v_add_u32_e32 v1, v9, v1
	v_lshrrev_b32_e32 v1, v22, v1
	v_mul_lo_u32 v3, v1, v20
	v_sub_u32_e32 v3, v9, v3
	s_waitcnt vmcnt(0)
	v_mad_u64_u32 v[4:5], s[0:1], v3, v17, v[4:5]
	v_mov_b32_e32 v9, v1
	v_mad_u64_u32 v[2:3], s[0:1], v3, v16, v[2:3]
	v_mov_b32_e32 v1, v4
	s_andn2_b64 exec, exec, s[8:9]
	s_cbranch_execnz .LBB543_83
; %bb.84:
	s_or_b64 exec, exec, s[8:9]
.LBB543_85:
	s_or_b64 exec, exec, s[6:7]
.LBB543_86:
	s_or_b64 exec, exec, s[4:5]
                                        ; implicit-def: $vgpr9
.LBB543_87:
	s_andn2_saveexec_b64 s[2:3], s[2:3]
	s_cbranch_execz .LBB543_91
; %bb.88:
	scratch_load_dwordx3 v[2:4], off, off offset:292
	scratch_load_dwordx2 v[16:17], off, off offset:484
	v_cmp_lt_u32_e64 s[0:1], 1, v6
	s_waitcnt vmcnt(1)
	v_mul_hi_u32 v1, v3, v9
	v_add_u32_e32 v1, v9, v1
	v_lshrrev_b32_e32 v1, v4, v1
	v_mul_lo_u32 v2, v1, v2
	v_sub_u32_e32 v2, v9, v2
	s_waitcnt vmcnt(0)
	v_mul_lo_u32 v4, v2, v17
	v_mul_lo_u32 v2, v2, v16
	s_and_saveexec_b64 s[4:5], s[0:1]
	s_cbranch_execz .LBB543_90
; %bb.89:
	scratch_load_dwordx3 v[8:10], off, off offset:304
	scratch_load_dwordx2 v[16:17], off, off offset:492
	s_waitcnt vmcnt(1)
	v_mul_hi_u32 v3, v9, v1
	v_add_u32_e32 v3, v1, v3
	v_lshrrev_b32_e32 v3, v10, v3
	v_mul_lo_u32 v3, v3, v8
	v_sub_u32_e32 v1, v1, v3
	s_waitcnt vmcnt(0)
	v_mad_u64_u32 v[2:3], s[0:1], v1, v16, v[2:3]
	v_mad_u64_u32 v[4:5], s[0:1], v1, v17, v[4:5]
.LBB543_90:
	s_or_b64 exec, exec, s[4:5]
.LBB543_91:
	s_or_b64 exec, exec, s[2:3]
	v_cvt_f32_f16_e32 v1, v18
	v_mov_b32_e32 v3, 0
	v_lshl_add_u64 v[8:9], v[2:3], 1, s[16:17]
	v_cmp_gt_i32_e64 s[0:1], s29, v14
	v_frexp_mant_f32_e32 v2, v1
	v_cvt_f16_f32_e32 v10, v2
	v_mov_b32_e32 v5, v3
	v_lshl_add_u64 v[2:3], v[4:5], 2, s[18:19]
	v_frexp_exp_i32_f32_e32 v1, v1
	global_store_short v[8:9], v10, off
	global_store_dword v[2:3], v1, off
	s_and_b64 exec, exec, s[0:1]
	s_cbranch_execz .LBB543_143
; %bb.92:
	v_add_u32_e32 v8, s28, v14
                                        ; implicit-def: $vgpr4
                                        ; implicit-def: $vgpr2
	s_and_saveexec_b64 s[0:1], vcc
	s_xor_b64 s[2:3], exec, s[0:1]
	s_cbranch_execz .LBB543_104
; %bb.93:
	v_mov_b32_e32 v4, 0
	v_cmp_ne_u32_e64 s[0:1], 0, v6
	v_mov_b32_e32 v2, 0
	s_and_saveexec_b64 s[4:5], s[0:1]
	s_cbranch_execz .LBB543_103
; %bb.94:
	v_min_u32_e32 v1, 15, v7
	v_mov_b32_e32 v2, 0
	v_add_u32_e32 v5, 1, v1
	v_cmp_ne_u32_e64 s[0:1], 2, v7
	s_mov_b32 s10, 0
	v_mov_b32_e32 v1, v2
	v_mov_b32_e32 v3, v2
                                        ; implicit-def: $vgpr4
	s_and_saveexec_b64 s[6:7], s[0:1]
	s_cbranch_execz .LBB543_98
; %bb.95:
	v_and_b32_e32 v3, 28, v5
	s_mov_b64 s[8:9], 0
	v_mov_b32_e32 v2, 0
	v_mov_b32_e32 v4, 0
	s_mov_b32 s11, 0
	s_mov_b32 s12, 0
.LBB543_96:                             ; =>This Inner Loop Header: Depth=1
	s_add_i32 s13, s11, 0x124
	s_add_i32 s14, s10, 0x1e4
	;; [unrolled: 1-line block ×5, first 2 shown]
	scratch_load_dwordx4 v[16:19], off, s13
	scratch_load_dwordx4 v[20:23], off, s15
	;; [unrolled: 1-line block ×5, first 2 shown]
	s_add_i32 s12, s12, 4
	s_add_i32 s11, s11, 48
	;; [unrolled: 1-line block ×3, first 2 shown]
	v_cmp_eq_u32_e64 s[0:1], s12, v3
	s_or_b64 s[8:9], s[0:1], s[8:9]
	s_waitcnt vmcnt(4)
	v_mul_hi_u32 v1, v17, v8
	v_add_u32_e32 v1, v8, v1
	v_lshrrev_b32_e32 v1, v18, v1
	v_mul_lo_u32 v9, v1, v16
	s_waitcnt vmcnt(3)
	v_mul_hi_u32 v10, v20, v1
	v_sub_u32_e32 v8, v8, v9
	v_add_u32_e32 v9, v1, v10
	v_lshrrev_b32_e32 v9, v21, v9
	v_mul_lo_u32 v12, v9, v19
	v_mul_hi_u32 v14, v23, v9
	v_sub_u32_e32 v1, v1, v12
	v_add_u32_e32 v12, v9, v14
	s_waitcnt vmcnt(2)
	v_mul_lo_u32 v10, v8, v25
	v_mul_lo_u32 v8, v8, v24
	;; [unrolled: 1-line block ×4, first 2 shown]
	s_waitcnt vmcnt(1)
	v_lshrrev_b32_e32 v12, v28, v12
	v_add3_u32 v1, v8, v2, v1
	v_mul_hi_u32 v8, v30, v12
	v_add_u32_e32 v8, v12, v8
	v_lshrrev_b32_e32 v8, v31, v8
	v_add3_u32 v2, v10, v4, v14
	v_mul_lo_u32 v4, v12, v22
	v_mul_lo_u32 v10, v8, v29
	v_sub_u32_e32 v4, v9, v4
	v_sub_u32_e32 v10, v12, v10
	s_waitcnt vmcnt(0)
	v_mul_lo_u32 v9, v4, v32
	v_mul_lo_u32 v4, v4, v33
	;; [unrolled: 1-line block ×4, first 2 shown]
	v_add3_u32 v4, v4, v2, v10
	v_add3_u32 v2, v9, v1, v12
	s_andn2_b64 exec, exec, s[8:9]
	s_cbranch_execnz .LBB543_96
; %bb.97:
	s_or_b64 exec, exec, s[8:9]
	v_mov_b32_e32 v1, v4
.LBB543_98:
	s_or_b64 exec, exec, s[6:7]
	v_and_b32_e32 v9, 3, v5
	v_cmp_ne_u32_e64 s[0:1], 0, v9
	s_and_saveexec_b64 s[6:7], s[0:1]
	s_cbranch_execz .LBB543_102
; %bb.99:
	v_mov_b32_e32 v4, 0
	v_lshl_add_u32 v5, v3, 3, v4
	v_add_u32_e32 v10, 0x1e4, v5
	v_mad_u32_u24 v12, v3, 12, v4
	s_mov_b64 s[8:9], 0
.LBB543_100:                            ; =>This Inner Loop Header: Depth=1
	v_add_u32_e32 v3, 0x124, v12
	scratch_load_dwordx3 v[16:18], v3, off
	scratch_load_dwordx2 v[20:21], v10, off
	v_mov_b32_e32 v4, v1
	v_add_u32_e32 v9, -1, v9
	v_cmp_eq_u32_e64 s[0:1], 0, v9
	s_or_b64 s[8:9], s[0:1], s[8:9]
	v_add_u32_e32 v10, 8, v10
	v_add_u32_e32 v12, 12, v12
	s_waitcnt vmcnt(1)
	v_mul_hi_u32 v1, v17, v8
	v_add_u32_e32 v1, v8, v1
	v_lshrrev_b32_e32 v1, v18, v1
	v_mul_lo_u32 v3, v1, v16
	v_sub_u32_e32 v3, v8, v3
	s_waitcnt vmcnt(0)
	v_mad_u64_u32 v[4:5], s[0:1], v3, v21, v[4:5]
	v_mov_b32_e32 v8, v1
	v_mad_u64_u32 v[2:3], s[0:1], v3, v20, v[2:3]
	v_mov_b32_e32 v1, v4
	s_andn2_b64 exec, exec, s[8:9]
	s_cbranch_execnz .LBB543_100
; %bb.101:
	s_or_b64 exec, exec, s[8:9]
.LBB543_102:
	s_or_b64 exec, exec, s[6:7]
.LBB543_103:
	s_or_b64 exec, exec, s[4:5]
                                        ; implicit-def: $vgpr8
.LBB543_104:
	s_andn2_saveexec_b64 s[2:3], s[2:3]
	s_cbranch_execz .LBB543_108
; %bb.105:
	scratch_load_dwordx3 v[2:4], off, off offset:292
	scratch_load_dwordx2 v[16:17], off, off offset:484
	v_cmp_lt_u32_e64 s[0:1], 1, v6
	s_waitcnt vmcnt(1)
	v_mul_hi_u32 v1, v3, v8
	v_add_u32_e32 v1, v8, v1
	v_lshrrev_b32_e32 v1, v4, v1
	v_mul_lo_u32 v2, v1, v2
	v_sub_u32_e32 v2, v8, v2
	s_waitcnt vmcnt(0)
	v_mul_lo_u32 v4, v2, v17
	v_mul_lo_u32 v2, v2, v16
	s_and_saveexec_b64 s[4:5], s[0:1]
	s_cbranch_execz .LBB543_107
; %bb.106:
	scratch_load_dwordx3 v[8:10], off, off offset:304
	scratch_load_dwordx2 v[16:17], off, off offset:492
	s_waitcnt vmcnt(1)
	v_mul_hi_u32 v3, v9, v1
	v_add_u32_e32 v3, v1, v3
	v_lshrrev_b32_e32 v3, v10, v3
	v_mul_lo_u32 v3, v3, v8
	v_sub_u32_e32 v1, v1, v3
	s_waitcnt vmcnt(0)
	v_mad_u64_u32 v[2:3], s[0:1], v1, v16, v[2:3]
	v_mad_u64_u32 v[4:5], s[0:1], v1, v17, v[4:5]
.LBB543_107:
	s_or_b64 exec, exec, s[4:5]
.LBB543_108:
	s_or_b64 exec, exec, s[2:3]
	v_cvt_f32_f16_e32 v10, v15
	v_mov_b32_e32 v3, 0
	v_or_b32_e32 v1, 0x200, v0
	v_cmp_gt_i32_e64 s[0:1], s29, v1
	v_frexp_mant_f32_e32 v5, v10
	v_cvt_f16_f32_e32 v12, v5
	v_mov_b32_e32 v5, v3
	v_lshl_add_u64 v[8:9], v[2:3], 1, s[16:17]
	v_frexp_exp_i32_f32_e32 v10, v10
	v_lshl_add_u64 v[2:3], v[4:5], 2, s[18:19]
	global_store_short v[8:9], v12, off
	global_store_dword v[2:3], v10, off
	s_and_b64 exec, exec, s[0:1]
	s_cbranch_execz .LBB543_143
; %bb.109:
	v_add_u32_e32 v8, s28, v1
                                        ; implicit-def: $vgpr4
                                        ; implicit-def: $vgpr2
	s_and_saveexec_b64 s[0:1], vcc
	s_xor_b64 s[2:3], exec, s[0:1]
	s_cbranch_execz .LBB543_121
; %bb.110:
	v_mov_b32_e32 v4, 0
	v_cmp_ne_u32_e64 s[0:1], 0, v6
	v_mov_b32_e32 v2, 0
	s_and_saveexec_b64 s[4:5], s[0:1]
	s_cbranch_execz .LBB543_120
; %bb.111:
	v_min_u32_e32 v1, 15, v7
	v_mov_b32_e32 v2, 0
	v_add_u32_e32 v5, 1, v1
	v_cmp_ne_u32_e64 s[0:1], 2, v7
	s_mov_b32 s10, 0
	v_mov_b32_e32 v1, v2
	v_mov_b32_e32 v3, v2
                                        ; implicit-def: $vgpr4
	s_and_saveexec_b64 s[6:7], s[0:1]
	s_cbranch_execz .LBB543_115
; %bb.112:
	v_and_b32_e32 v3, 28, v5
	s_mov_b64 s[8:9], 0
	v_mov_b32_e32 v2, 0
	v_mov_b32_e32 v4, 0
	s_mov_b32 s11, 0
	s_mov_b32 s12, 0
.LBB543_113:                            ; =>This Inner Loop Header: Depth=1
	s_add_i32 s13, s11, 0x124
	s_add_i32 s14, s10, 0x1e4
	;; [unrolled: 1-line block ×5, first 2 shown]
	scratch_load_dwordx4 v[14:17], off, s13
	scratch_load_dwordx4 v[18:21], off, s15
	;; [unrolled: 1-line block ×5, first 2 shown]
	s_add_i32 s12, s12, 4
	s_add_i32 s11, s11, 48
	s_add_i32 s10, s10, 32
	v_cmp_eq_u32_e64 s[0:1], s12, v3
	s_or_b64 s[8:9], s[0:1], s[8:9]
	s_waitcnt vmcnt(4)
	v_mul_hi_u32 v1, v15, v8
	v_add_u32_e32 v1, v8, v1
	v_lshrrev_b32_e32 v1, v16, v1
	v_mul_lo_u32 v9, v1, v14
	s_waitcnt vmcnt(3)
	v_mul_hi_u32 v10, v18, v1
	v_sub_u32_e32 v8, v8, v9
	v_add_u32_e32 v9, v1, v10
	v_lshrrev_b32_e32 v9, v19, v9
	v_mul_lo_u32 v12, v9, v17
	v_mul_hi_u32 v14, v21, v9
	v_sub_u32_e32 v1, v1, v12
	v_add_u32_e32 v12, v9, v14
	s_waitcnt vmcnt(2)
	v_mul_lo_u32 v10, v8, v23
	v_mul_lo_u32 v8, v8, v22
	;; [unrolled: 1-line block ×4, first 2 shown]
	s_waitcnt vmcnt(1)
	v_lshrrev_b32_e32 v12, v26, v12
	v_add3_u32 v1, v8, v2, v1
	v_mul_hi_u32 v8, v28, v12
	v_add_u32_e32 v8, v12, v8
	v_lshrrev_b32_e32 v8, v29, v8
	v_add3_u32 v2, v10, v4, v14
	v_mul_lo_u32 v4, v12, v20
	v_mul_lo_u32 v10, v8, v27
	v_sub_u32_e32 v4, v9, v4
	v_sub_u32_e32 v10, v12, v10
	s_waitcnt vmcnt(0)
	v_mul_lo_u32 v9, v4, v30
	v_mul_lo_u32 v4, v4, v31
	;; [unrolled: 1-line block ×4, first 2 shown]
	v_add3_u32 v4, v4, v2, v10
	v_add3_u32 v2, v9, v1, v12
	s_andn2_b64 exec, exec, s[8:9]
	s_cbranch_execnz .LBB543_113
; %bb.114:
	s_or_b64 exec, exec, s[8:9]
	v_mov_b32_e32 v1, v4
.LBB543_115:
	s_or_b64 exec, exec, s[6:7]
	v_and_b32_e32 v9, 3, v5
	v_cmp_ne_u32_e64 s[0:1], 0, v9
	s_and_saveexec_b64 s[6:7], s[0:1]
	s_cbranch_execz .LBB543_119
; %bb.116:
	v_mov_b32_e32 v4, 0
	v_lshl_add_u32 v5, v3, 3, v4
	v_add_u32_e32 v10, 0x1e4, v5
	v_mad_u32_u24 v12, v3, 12, v4
	s_mov_b64 s[8:9], 0
.LBB543_117:                            ; =>This Inner Loop Header: Depth=1
	v_add_u32_e32 v3, 0x124, v12
	scratch_load_dwordx3 v[14:16], v3, off
	scratch_load_dwordx2 v[18:19], v10, off
	v_mov_b32_e32 v4, v1
	v_add_u32_e32 v9, -1, v9
	v_cmp_eq_u32_e64 s[0:1], 0, v9
	s_or_b64 s[8:9], s[0:1], s[8:9]
	v_add_u32_e32 v10, 8, v10
	v_add_u32_e32 v12, 12, v12
	s_waitcnt vmcnt(1)
	v_mul_hi_u32 v1, v15, v8
	v_add_u32_e32 v1, v8, v1
	v_lshrrev_b32_e32 v1, v16, v1
	v_mul_lo_u32 v3, v1, v14
	v_sub_u32_e32 v3, v8, v3
	s_waitcnt vmcnt(0)
	v_mad_u64_u32 v[4:5], s[0:1], v3, v19, v[4:5]
	v_mov_b32_e32 v8, v1
	v_mad_u64_u32 v[2:3], s[0:1], v3, v18, v[2:3]
	v_mov_b32_e32 v1, v4
	s_andn2_b64 exec, exec, s[8:9]
	s_cbranch_execnz .LBB543_117
; %bb.118:
	s_or_b64 exec, exec, s[8:9]
.LBB543_119:
	s_or_b64 exec, exec, s[6:7]
.LBB543_120:
	s_or_b64 exec, exec, s[4:5]
                                        ; implicit-def: $vgpr8
.LBB543_121:
	s_andn2_saveexec_b64 s[2:3], s[2:3]
	s_cbranch_execz .LBB543_125
; %bb.122:
	scratch_load_dwordx3 v[2:4], off, off offset:292
	scratch_load_dwordx2 v[14:15], off, off offset:484
	v_cmp_lt_u32_e64 s[0:1], 1, v6
	s_waitcnt vmcnt(1)
	v_mul_hi_u32 v1, v3, v8
	v_add_u32_e32 v1, v8, v1
	v_lshrrev_b32_e32 v1, v4, v1
	v_mul_lo_u32 v2, v1, v2
	v_sub_u32_e32 v2, v8, v2
	s_waitcnt vmcnt(0)
	v_mul_lo_u32 v4, v2, v15
	v_mul_lo_u32 v2, v2, v14
	s_and_saveexec_b64 s[4:5], s[0:1]
	s_cbranch_execz .LBB543_124
; %bb.123:
	scratch_load_dwordx3 v[8:10], off, off offset:304
	scratch_load_dwordx2 v[14:15], off, off offset:492
	s_waitcnt vmcnt(1)
	v_mul_hi_u32 v3, v9, v1
	v_add_u32_e32 v3, v1, v3
	v_lshrrev_b32_e32 v3, v10, v3
	v_mul_lo_u32 v3, v3, v8
	v_sub_u32_e32 v1, v1, v3
	s_waitcnt vmcnt(0)
	v_mad_u64_u32 v[2:3], s[0:1], v1, v14, v[2:3]
	v_mad_u64_u32 v[4:5], s[0:1], v1, v15, v[4:5]
.LBB543_124:
	s_or_b64 exec, exec, s[4:5]
.LBB543_125:
	s_or_b64 exec, exec, s[2:3]
	v_cvt_f32_f16_e32 v1, v13
	v_mov_b32_e32 v3, 0
	v_or_b32_e32 v0, 0x300, v0
	v_cmp_gt_i32_e64 s[0:1], s29, v0
	v_frexp_mant_f32_e32 v5, v1
	v_cvt_f16_f32_e32 v10, v5
	v_mov_b32_e32 v5, v3
	v_lshl_add_u64 v[8:9], v[2:3], 1, s[16:17]
	v_frexp_exp_i32_f32_e32 v1, v1
	v_lshl_add_u64 v[2:3], v[4:5], 2, s[18:19]
	global_store_short v[8:9], v10, off
	global_store_dword v[2:3], v1, off
	s_and_b64 exec, exec, s[0:1]
	s_cbranch_execz .LBB543_143
; %bb.126:
	v_add_u32_e32 v4, s28, v0
                                        ; implicit-def: $vgpr2
                                        ; implicit-def: $vgpr0
	s_and_saveexec_b64 s[0:1], vcc
	s_xor_b64 s[0:1], exec, s[0:1]
	s_cbranch_execz .LBB543_138
; %bb.127:
	v_mov_b32_e32 v2, 0
	v_cmp_ne_u32_e32 vcc, 0, v6
	v_mov_b32_e32 v0, 0
	s_and_saveexec_b64 s[2:3], vcc
	s_cbranch_execz .LBB543_137
; %bb.128:
	v_min_u32_e32 v0, 15, v7
	v_add_u32_e32 v5, 1, v0
	v_mov_b32_e32 v0, 0
	v_cmp_ne_u32_e32 vcc, 2, v7
	s_mov_b32 s8, 0
	v_mov_b32_e32 v1, v0
	v_mov_b32_e32 v3, v0
                                        ; implicit-def: $vgpr2
	s_and_saveexec_b64 s[4:5], vcc
	s_cbranch_execz .LBB543_132
; %bb.129:
	v_and_b32_e32 v3, 28, v5
	s_mov_b64 s[6:7], 0
	v_mov_b32_e32 v0, 0
	v_mov_b32_e32 v2, 0
	s_mov_b32 s9, 0
	s_mov_b32 s10, 0
.LBB543_130:                            ; =>This Inner Loop Header: Depth=1
	s_add_i32 s13, s9, 0x124
	s_add_i32 s14, s8, 0x1e4
	;; [unrolled: 1-line block ×5, first 2 shown]
	scratch_load_dwordx4 v[6:9], off, s13
	scratch_load_dwordx4 v[12:15], off, s15
	scratch_load_dwordx4 v[16:19], off, s14
	scratch_load_dwordx4 v[20:23], off, s11
	scratch_load_dwordx4 v[24:27], off, s12
	s_add_i32 s10, s10, 4
	s_add_i32 s9, s9, 48
	;; [unrolled: 1-line block ×3, first 2 shown]
	v_cmp_eq_u32_e32 vcc, s10, v3
	s_or_b64 s[6:7], vcc, s[6:7]
	s_waitcnt vmcnt(4)
	v_mul_hi_u32 v1, v7, v4
	v_add_u32_e32 v1, v4, v1
	v_lshrrev_b32_e32 v1, v8, v1
	v_mul_lo_u32 v6, v1, v6
	s_waitcnt vmcnt(3)
	v_mul_hi_u32 v7, v12, v1
	v_sub_u32_e32 v4, v4, v6
	v_add_u32_e32 v6, v1, v7
	v_lshrrev_b32_e32 v6, v13, v6
	v_mul_lo_u32 v8, v6, v9
	v_mul_hi_u32 v9, v15, v6
	v_sub_u32_e32 v1, v1, v8
	v_add_u32_e32 v8, v6, v9
	s_waitcnt vmcnt(2)
	v_mul_lo_u32 v7, v4, v17
	v_mul_lo_u32 v4, v4, v16
	;; [unrolled: 1-line block ×4, first 2 shown]
	s_waitcnt vmcnt(1)
	v_lshrrev_b32_e32 v8, v20, v8
	v_add3_u32 v0, v4, v0, v1
	v_mul_hi_u32 v4, v22, v8
	v_add_u32_e32 v4, v8, v4
	v_lshrrev_b32_e32 v4, v23, v4
	v_add3_u32 v1, v7, v2, v9
	v_mul_lo_u32 v2, v8, v14
	v_mul_lo_u32 v7, v4, v21
	v_sub_u32_e32 v2, v6, v2
	v_sub_u32_e32 v7, v8, v7
	s_waitcnt vmcnt(0)
	v_mul_lo_u32 v6, v2, v24
	v_mul_lo_u32 v2, v2, v25
	;; [unrolled: 1-line block ×4, first 2 shown]
	v_add3_u32 v2, v2, v1, v7
	v_add3_u32 v0, v6, v0, v8
	s_andn2_b64 exec, exec, s[6:7]
	s_cbranch_execnz .LBB543_130
; %bb.131:
	s_or_b64 exec, exec, s[6:7]
	v_mov_b32_e32 v1, v2
.LBB543_132:
	s_or_b64 exec, exec, s[4:5]
	v_and_b32_e32 v5, 3, v5
	v_cmp_ne_u32_e32 vcc, 0, v5
	s_and_saveexec_b64 s[4:5], vcc
	s_cbranch_execz .LBB543_136
; %bb.133:
	v_mov_b32_e32 v2, 0
	v_lshl_add_u32 v6, v3, 3, v2
	v_add_u32_e32 v6, 0x1e4, v6
	v_mad_u32_u24 v7, v3, 12, v2
	s_mov_b64 s[6:7], 0
.LBB543_134:                            ; =>This Inner Loop Header: Depth=1
	v_add_u32_e32 v2, 0x124, v7
	scratch_load_dwordx3 v[8:10], v2, off
	scratch_load_dwordx2 v[12:13], v6, off
	v_mov_b32_e32 v2, v1
	v_add_u32_e32 v5, -1, v5
	v_cmp_eq_u32_e32 vcc, 0, v5
	v_add_u32_e32 v6, 8, v6
	v_add_u32_e32 v7, 12, v7
	s_or_b64 s[6:7], vcc, s[6:7]
	s_waitcnt vmcnt(1)
	v_mul_hi_u32 v1, v9, v4
	v_add_u32_e32 v1, v4, v1
	v_lshrrev_b32_e32 v1, v10, v1
	v_mul_lo_u32 v3, v1, v8
	v_sub_u32_e32 v8, v4, v3
	v_mov_b32_e32 v4, v1
	s_waitcnt vmcnt(0)
	v_mad_u64_u32 v[2:3], s[8:9], v8, v13, v[2:3]
	v_mad_u64_u32 v[0:1], s[8:9], v8, v12, v[0:1]
	v_mov_b32_e32 v1, v2
	s_andn2_b64 exec, exec, s[6:7]
	s_cbranch_execnz .LBB543_134
; %bb.135:
	s_or_b64 exec, exec, s[6:7]
.LBB543_136:
	s_or_b64 exec, exec, s[4:5]
.LBB543_137:
	s_or_b64 exec, exec, s[2:3]
                                        ; implicit-def: $vgpr4
                                        ; implicit-def: $vgpr6
.LBB543_138:
	s_andn2_saveexec_b64 s[0:1], s[0:1]
	s_cbranch_execz .LBB543_142
; %bb.139:
	scratch_load_dwordx3 v[0:2], off, off offset:292
	scratch_load_dwordx2 v[8:9], off, off offset:484
	v_cmp_lt_u32_e32 vcc, 1, v6
	s_waitcnt vmcnt(1)
	v_mul_hi_u32 v1, v1, v4
	v_add_u32_e32 v1, v4, v1
	v_lshrrev_b32_e32 v1, v2, v1
	v_mul_lo_u32 v0, v1, v0
	v_sub_u32_e32 v0, v4, v0
	s_waitcnt vmcnt(0)
	v_mul_lo_u32 v2, v0, v9
	v_mul_lo_u32 v0, v0, v8
	s_and_saveexec_b64 s[2:3], vcc
	s_cbranch_execz .LBB543_141
; %bb.140:
	scratch_load_dwordx3 v[4:6], off, off offset:304
	scratch_load_dwordx2 v[8:9], off, off offset:492
	s_waitcnt vmcnt(1)
	v_mul_hi_u32 v3, v5, v1
	v_add_u32_e32 v3, v1, v3
	v_lshrrev_b32_e32 v3, v6, v3
	v_mul_lo_u32 v3, v3, v4
	v_sub_u32_e32 v3, v1, v3
	s_waitcnt vmcnt(0)
	v_mad_u64_u32 v[0:1], s[4:5], v3, v8, v[0:1]
	v_mad_u64_u32 v[2:3], s[4:5], v3, v9, v[2:3]
.LBB543_141:
	s_or_b64 exec, exec, s[2:3]
.LBB543_142:
	s_or_b64 exec, exec, s[0:1]
	v_frexp_mant_f32_e32 v1, v11
	v_cvt_f16_f32_e32 v3, v1
	v_mov_b32_e32 v1, 0
	v_lshl_add_u64 v[4:5], v[0:1], 1, s[16:17]
	v_frexp_exp_i32_f32_e32 v6, v11
	global_store_short v[4:5], v3, off
	v_mov_b32_e32 v3, v1
	v_lshl_add_u64 v[0:1], v[2:3], 2, s[18:19]
	global_store_dword v[0:1], v6, off
.LBB543_143:
	s_endpgm
	.section	.rodata,"a",@progbits
	.p2align	6, 0x0
	.amdhsa_kernel _ZN2at6native12_GLOBAL__N_145unrolled_elementwise_kernel_for_multi_outputsILi2EZZZNS0_17frexp_kernel_cudaERNS_18TensorIteratorBaseEENKUlvE_clEvENKUlvE1_clEvEUlN3c104HalfEE_St5arrayIPcLm3EE16OffsetCalculatorILi1EjLb0EESD_ILi2EjLb0EEEEviT0_T1_T2_T3_
		.amdhsa_group_segment_fixed_size 0
		.amdhsa_private_segment_fixed_size 624
		.amdhsa_kernarg_size 616
		.amdhsa_user_sgpr_count 2
		.amdhsa_user_sgpr_dispatch_ptr 0
		.amdhsa_user_sgpr_queue_ptr 0
		.amdhsa_user_sgpr_kernarg_segment_ptr 1
		.amdhsa_user_sgpr_dispatch_id 0
		.amdhsa_user_sgpr_kernarg_preload_length 0
		.amdhsa_user_sgpr_kernarg_preload_offset 0
		.amdhsa_user_sgpr_private_segment_size 0
		.amdhsa_uses_dynamic_stack 0
		.amdhsa_enable_private_segment 1
		.amdhsa_system_sgpr_workgroup_id_x 1
		.amdhsa_system_sgpr_workgroup_id_y 0
		.amdhsa_system_sgpr_workgroup_id_z 0
		.amdhsa_system_sgpr_workgroup_info 0
		.amdhsa_system_vgpr_workitem_id 0
		.amdhsa_next_free_vgpr 40
		.amdhsa_next_free_sgpr 52
		.amdhsa_accum_offset 40
		.amdhsa_reserve_vcc 1
		.amdhsa_float_round_mode_32 0
		.amdhsa_float_round_mode_16_64 0
		.amdhsa_float_denorm_mode_32 3
		.amdhsa_float_denorm_mode_16_64 3
		.amdhsa_dx10_clamp 1
		.amdhsa_ieee_mode 1
		.amdhsa_fp16_overflow 0
		.amdhsa_tg_split 0
		.amdhsa_exception_fp_ieee_invalid_op 0
		.amdhsa_exception_fp_denorm_src 0
		.amdhsa_exception_fp_ieee_div_zero 0
		.amdhsa_exception_fp_ieee_overflow 0
		.amdhsa_exception_fp_ieee_underflow 0
		.amdhsa_exception_fp_ieee_inexact 0
		.amdhsa_exception_int_div_zero 0
	.end_amdhsa_kernel
	.section	.text._ZN2at6native12_GLOBAL__N_145unrolled_elementwise_kernel_for_multi_outputsILi2EZZZNS0_17frexp_kernel_cudaERNS_18TensorIteratorBaseEENKUlvE_clEvENKUlvE1_clEvEUlN3c104HalfEE_St5arrayIPcLm3EE16OffsetCalculatorILi1EjLb0EESD_ILi2EjLb0EEEEviT0_T1_T2_T3_,"axG",@progbits,_ZN2at6native12_GLOBAL__N_145unrolled_elementwise_kernel_for_multi_outputsILi2EZZZNS0_17frexp_kernel_cudaERNS_18TensorIteratorBaseEENKUlvE_clEvENKUlvE1_clEvEUlN3c104HalfEE_St5arrayIPcLm3EE16OffsetCalculatorILi1EjLb0EESD_ILi2EjLb0EEEEviT0_T1_T2_T3_,comdat
.Lfunc_end543:
	.size	_ZN2at6native12_GLOBAL__N_145unrolled_elementwise_kernel_for_multi_outputsILi2EZZZNS0_17frexp_kernel_cudaERNS_18TensorIteratorBaseEENKUlvE_clEvENKUlvE1_clEvEUlN3c104HalfEE_St5arrayIPcLm3EE16OffsetCalculatorILi1EjLb0EESD_ILi2EjLb0EEEEviT0_T1_T2_T3_, .Lfunc_end543-_ZN2at6native12_GLOBAL__N_145unrolled_elementwise_kernel_for_multi_outputsILi2EZZZNS0_17frexp_kernel_cudaERNS_18TensorIteratorBaseEENKUlvE_clEvENKUlvE1_clEvEUlN3c104HalfEE_St5arrayIPcLm3EE16OffsetCalculatorILi1EjLb0EESD_ILi2EjLb0EEEEviT0_T1_T2_T3_
                                        ; -- End function
	.set _ZN2at6native12_GLOBAL__N_145unrolled_elementwise_kernel_for_multi_outputsILi2EZZZNS0_17frexp_kernel_cudaERNS_18TensorIteratorBaseEENKUlvE_clEvENKUlvE1_clEvEUlN3c104HalfEE_St5arrayIPcLm3EE16OffsetCalculatorILi1EjLb0EESD_ILi2EjLb0EEEEviT0_T1_T2_T3_.num_vgpr, 40
	.set _ZN2at6native12_GLOBAL__N_145unrolled_elementwise_kernel_for_multi_outputsILi2EZZZNS0_17frexp_kernel_cudaERNS_18TensorIteratorBaseEENKUlvE_clEvENKUlvE1_clEvEUlN3c104HalfEE_St5arrayIPcLm3EE16OffsetCalculatorILi1EjLb0EESD_ILi2EjLb0EEEEviT0_T1_T2_T3_.num_agpr, 0
	.set _ZN2at6native12_GLOBAL__N_145unrolled_elementwise_kernel_for_multi_outputsILi2EZZZNS0_17frexp_kernel_cudaERNS_18TensorIteratorBaseEENKUlvE_clEvENKUlvE1_clEvEUlN3c104HalfEE_St5arrayIPcLm3EE16OffsetCalculatorILi1EjLb0EESD_ILi2EjLb0EEEEviT0_T1_T2_T3_.numbered_sgpr, 52
	.set _ZN2at6native12_GLOBAL__N_145unrolled_elementwise_kernel_for_multi_outputsILi2EZZZNS0_17frexp_kernel_cudaERNS_18TensorIteratorBaseEENKUlvE_clEvENKUlvE1_clEvEUlN3c104HalfEE_St5arrayIPcLm3EE16OffsetCalculatorILi1EjLb0EESD_ILi2EjLb0EEEEviT0_T1_T2_T3_.num_named_barrier, 0
	.set _ZN2at6native12_GLOBAL__N_145unrolled_elementwise_kernel_for_multi_outputsILi2EZZZNS0_17frexp_kernel_cudaERNS_18TensorIteratorBaseEENKUlvE_clEvENKUlvE1_clEvEUlN3c104HalfEE_St5arrayIPcLm3EE16OffsetCalculatorILi1EjLb0EESD_ILi2EjLb0EEEEviT0_T1_T2_T3_.private_seg_size, 624
	.set _ZN2at6native12_GLOBAL__N_145unrolled_elementwise_kernel_for_multi_outputsILi2EZZZNS0_17frexp_kernel_cudaERNS_18TensorIteratorBaseEENKUlvE_clEvENKUlvE1_clEvEUlN3c104HalfEE_St5arrayIPcLm3EE16OffsetCalculatorILi1EjLb0EESD_ILi2EjLb0EEEEviT0_T1_T2_T3_.uses_vcc, 1
	.set _ZN2at6native12_GLOBAL__N_145unrolled_elementwise_kernel_for_multi_outputsILi2EZZZNS0_17frexp_kernel_cudaERNS_18TensorIteratorBaseEENKUlvE_clEvENKUlvE1_clEvEUlN3c104HalfEE_St5arrayIPcLm3EE16OffsetCalculatorILi1EjLb0EESD_ILi2EjLb0EEEEviT0_T1_T2_T3_.uses_flat_scratch, 0
	.set _ZN2at6native12_GLOBAL__N_145unrolled_elementwise_kernel_for_multi_outputsILi2EZZZNS0_17frexp_kernel_cudaERNS_18TensorIteratorBaseEENKUlvE_clEvENKUlvE1_clEvEUlN3c104HalfEE_St5arrayIPcLm3EE16OffsetCalculatorILi1EjLb0EESD_ILi2EjLb0EEEEviT0_T1_T2_T3_.has_dyn_sized_stack, 0
	.set _ZN2at6native12_GLOBAL__N_145unrolled_elementwise_kernel_for_multi_outputsILi2EZZZNS0_17frexp_kernel_cudaERNS_18TensorIteratorBaseEENKUlvE_clEvENKUlvE1_clEvEUlN3c104HalfEE_St5arrayIPcLm3EE16OffsetCalculatorILi1EjLb0EESD_ILi2EjLb0EEEEviT0_T1_T2_T3_.has_recursion, 0
	.set _ZN2at6native12_GLOBAL__N_145unrolled_elementwise_kernel_for_multi_outputsILi2EZZZNS0_17frexp_kernel_cudaERNS_18TensorIteratorBaseEENKUlvE_clEvENKUlvE1_clEvEUlN3c104HalfEE_St5arrayIPcLm3EE16OffsetCalculatorILi1EjLb0EESD_ILi2EjLb0EEEEviT0_T1_T2_T3_.has_indirect_call, 0
	.section	.AMDGPU.csdata,"",@progbits
; Kernel info:
; codeLenInByte = 7232
; TotalNumSgprs: 58
; NumVgprs: 40
; NumAgprs: 0
; TotalNumVgprs: 40
; ScratchSize: 624
; MemoryBound: 0
; FloatMode: 240
; IeeeMode: 1
; LDSByteSize: 0 bytes/workgroup (compile time only)
; SGPRBlocks: 7
; VGPRBlocks: 4
; NumSGPRsForWavesPerEU: 58
; NumVGPRsForWavesPerEU: 40
; AccumOffset: 40
; Occupancy: 8
; WaveLimiterHint : 1
; COMPUTE_PGM_RSRC2:SCRATCH_EN: 1
; COMPUTE_PGM_RSRC2:USER_SGPR: 2
; COMPUTE_PGM_RSRC2:TRAP_HANDLER: 0
; COMPUTE_PGM_RSRC2:TGID_X_EN: 1
; COMPUTE_PGM_RSRC2:TGID_Y_EN: 0
; COMPUTE_PGM_RSRC2:TGID_Z_EN: 0
; COMPUTE_PGM_RSRC2:TIDIG_COMP_CNT: 0
; COMPUTE_PGM_RSRC3_GFX90A:ACCUM_OFFSET: 9
; COMPUTE_PGM_RSRC3_GFX90A:TG_SPLIT: 0
	.section	.text._ZN2at6native12_GLOBAL__N_145unrolled_elementwise_kernel_for_multi_outputsILi2EZZZNS0_17frexp_kernel_cudaERNS_18TensorIteratorBaseEENKUlvE_clEvENKUlvE2_clEvEUlN3c108BFloat16EE_St5arrayIPcLm3EE23TrivialOffsetCalculatorILi1EjESD_ILi2EjEEEviT0_T1_T2_T3_,"axG",@progbits,_ZN2at6native12_GLOBAL__N_145unrolled_elementwise_kernel_for_multi_outputsILi2EZZZNS0_17frexp_kernel_cudaERNS_18TensorIteratorBaseEENKUlvE_clEvENKUlvE2_clEvEUlN3c108BFloat16EE_St5arrayIPcLm3EE23TrivialOffsetCalculatorILi1EjESD_ILi2EjEEEviT0_T1_T2_T3_,comdat
	.globl	_ZN2at6native12_GLOBAL__N_145unrolled_elementwise_kernel_for_multi_outputsILi2EZZZNS0_17frexp_kernel_cudaERNS_18TensorIteratorBaseEENKUlvE_clEvENKUlvE2_clEvEUlN3c108BFloat16EE_St5arrayIPcLm3EE23TrivialOffsetCalculatorILi1EjESD_ILi2EjEEEviT0_T1_T2_T3_ ; -- Begin function _ZN2at6native12_GLOBAL__N_145unrolled_elementwise_kernel_for_multi_outputsILi2EZZZNS0_17frexp_kernel_cudaERNS_18TensorIteratorBaseEENKUlvE_clEvENKUlvE2_clEvEUlN3c108BFloat16EE_St5arrayIPcLm3EE23TrivialOffsetCalculatorILi1EjESD_ILi2EjEEEviT0_T1_T2_T3_
	.p2align	8
	.type	_ZN2at6native12_GLOBAL__N_145unrolled_elementwise_kernel_for_multi_outputsILi2EZZZNS0_17frexp_kernel_cudaERNS_18TensorIteratorBaseEENKUlvE_clEvENKUlvE2_clEvEUlN3c108BFloat16EE_St5arrayIPcLm3EE23TrivialOffsetCalculatorILi1EjESD_ILi2EjEEEviT0_T1_T2_T3_,@function
_ZN2at6native12_GLOBAL__N_145unrolled_elementwise_kernel_for_multi_outputsILi2EZZZNS0_17frexp_kernel_cudaERNS_18TensorIteratorBaseEENKUlvE_clEvENKUlvE2_clEvEUlN3c108BFloat16EE_St5arrayIPcLm3EE23TrivialOffsetCalculatorILi1EjESD_ILi2EjEEEviT0_T1_T2_T3_: ; @_ZN2at6native12_GLOBAL__N_145unrolled_elementwise_kernel_for_multi_outputsILi2EZZZNS0_17frexp_kernel_cudaERNS_18TensorIteratorBaseEENKUlvE_clEvENKUlvE2_clEvEUlN3c108BFloat16EE_St5arrayIPcLm3EE23TrivialOffsetCalculatorILi1EjESD_ILi2EjEEEviT0_T1_T2_T3_
; %bb.0:
	s_load_dword s3, s[0:1], 0x0
	s_load_dwordx4 s[8:11], s[0:1], 0x8
	s_load_dwordx2 s[4:5], s[0:1], 0x18
	s_lshl_b32 s16, s2, 10
	v_mov_b32_e32 v7, 0
	s_waitcnt lgkmcnt(0)
	s_sub_i32 s17, s3, s16
	v_cmp_gt_i32_e64 s[0:1], s17, v0
	v_mov_b32_e32 v1, 0
	v_or_b32_e32 v2, s16, v0
	v_mov_b32_e32 v5, 0
	v_mov_b32_e32 v3, v7
	;; [unrolled: 1-line block ×3, first 2 shown]
	s_and_saveexec_b64 s[2:3], s[0:1]
	s_cbranch_execz .LBB544_8
; %bb.1:
	v_mov_b32_e32 v3, 0
	v_lshl_add_u64 v[4:5], v[2:3], 1, s[4:5]
	global_load_ushort v8, v[4:5], off
	v_or_b32_e32 v4, 0x100, v0
	v_cmp_gt_u32_e32 vcc, s17, v4
	v_mov_b32_e32 v7, v3
	v_mov_b32_e32 v5, v3
	s_and_saveexec_b64 s[6:7], vcc
	s_cbranch_execz .LBB544_7
; %bb.2:
	v_add_u32_e32 v6, s16, v4
	v_mov_b32_e32 v7, 0
	v_lshl_add_u64 v[4:5], v[6:7], 1, s[4:5]
	global_load_ushort v3, v[4:5], off
	v_or_b32_e32 v4, 0x200, v0
	v_cmp_gt_u32_e32 vcc, s17, v4
	v_mov_b32_e32 v5, v7
	s_and_saveexec_b64 s[12:13], vcc
	s_cbranch_execz .LBB544_6
; %bb.3:
	v_add_u32_e32 v4, s16, v4
	v_mov_b32_e32 v5, 0
	v_lshl_add_u64 v[6:7], v[4:5], 1, s[4:5]
	global_load_ushort v7, v[6:7], off
	v_or_b32_e32 v4, 0x300, v0
	v_cmp_gt_u32_e32 vcc, s17, v4
	s_and_saveexec_b64 s[14:15], vcc
	s_cbranch_execz .LBB544_5
; %bb.4:
	v_add_u32_e32 v4, s16, v4
	v_mov_b32_e32 v5, 0
	v_lshl_add_u64 v[4:5], v[4:5], 1, s[4:5]
	global_load_ushort v4, v[4:5], off
	s_waitcnt vmcnt(0)
	v_lshlrev_b32_e32 v5, 16, v4
.LBB544_5:
	s_or_b64 exec, exec, s[14:15]
.LBB544_6:
	s_or_b64 exec, exec, s[12:13]
.LBB544_7:
	s_or_b64 exec, exec, s[6:7]
.LBB544_8:
	s_or_b64 exec, exec, s[2:3]
	v_mov_b32_e32 v6, 0
	s_and_saveexec_b64 s[2:3], s[0:1]
	s_cbranch_execz .LBB544_10
; %bb.9:
	s_waitcnt vmcnt(0)
	v_lshlrev_b32_e32 v4, 16, v8
	v_frexp_exp_i32_f32_e32 v1, v4
	v_frexp_mant_f32_e32 v4, v4
	v_bfe_u32 v6, v4, 16, 1
	s_movk_i32 s4, 0x7fff
	v_add3_u32 v6, v4, v6, s4
	v_cmp_o_f32_e32 vcc, v4, v4
	v_mov_b32_e32 v4, 0x7fc0
	s_nop 0
	v_cndmask_b32_sdwa v6, v4, v6, vcc dst_sel:DWORD dst_unused:UNUSED_PAD src0_sel:DWORD src1_sel:WORD_1
.LBB544_10:
	s_or_b64 exec, exec, s[2:3]
	s_waitcnt vmcnt(0)
	v_or_b32_e32 v8, 0x100, v0
	v_cmp_gt_i32_e64 s[2:3], s17, v8
	v_mov_b32_e32 v10, 0
	v_mov_b32_e32 v4, 0
	;; [unrolled: 1-line block ×3, first 2 shown]
	s_and_saveexec_b64 s[4:5], s[2:3]
; %bb.11:
	v_lshlrev_b32_e32 v3, 16, v3
	v_frexp_exp_i32_f32_e32 v9, v3
	v_frexp_mant_f32_e32 v3, v3
	v_bfe_u32 v10, v3, 16, 1
	s_movk_i32 s6, 0x7fff
	v_add3_u32 v10, v3, v10, s6
	v_cmp_o_f32_e32 vcc, v3, v3
	v_mov_b32_e32 v3, 0x7fc0
	s_nop 0
	v_cndmask_b32_sdwa v10, v3, v10, vcc dst_sel:DWORD dst_unused:UNUSED_PAD src0_sel:DWORD src1_sel:WORD_1
; %bb.12:
	s_or_b64 exec, exec, s[4:5]
	v_or_b32_e32 v11, 0x200, v0
	v_cmp_gt_i32_e64 s[4:5], s17, v11
	v_mov_b32_e32 v12, 0
	s_and_saveexec_b64 s[6:7], s[4:5]
; %bb.13:
	v_lshlrev_b32_e32 v3, 16, v7
	v_frexp_exp_i32_f32_e32 v4, v3
	v_frexp_mant_f32_e32 v3, v3
	v_bfe_u32 v7, v3, 16, 1
	s_movk_i32 s12, 0x7fff
	v_add3_u32 v7, v3, v7, s12
	v_cmp_o_f32_e32 vcc, v3, v3
	v_mov_b32_e32 v3, 0x7fc0
	s_nop 0
	v_cndmask_b32_sdwa v12, v3, v7, vcc dst_sel:DWORD dst_unused:UNUSED_PAD src0_sel:DWORD src1_sel:WORD_1
; %bb.14:
	s_or_b64 exec, exec, s[6:7]
	v_or_b32_e32 v13, 0x300, v0
	v_cmp_gt_i32_e64 s[6:7], s17, v13
	v_mov_b32_e32 v14, 0
	v_mov_b32_e32 v7, 0
	s_and_saveexec_b64 s[12:13], s[6:7]
; %bb.15:
	v_frexp_mant_f32_e32 v0, v5
	v_bfe_u32 v3, v0, 16, 1
	s_movk_i32 s14, 0x7fff
	v_add3_u32 v3, v0, v3, s14
	v_cmp_o_f32_e32 vcc, v0, v0
	v_mov_b32_e32 v0, 0x7fc0
	v_frexp_exp_i32_f32_e32 v7, v5
	v_cndmask_b32_sdwa v14, v0, v3, vcc dst_sel:DWORD dst_unused:UNUSED_PAD src0_sel:DWORD src1_sel:WORD_1
; %bb.16:
	s_or_b64 exec, exec, s[12:13]
	s_and_saveexec_b64 s[12:13], s[0:1]
	s_cbranch_execz .LBB544_21
; %bb.17:
	v_mov_b32_e32 v3, 0
	v_lshl_add_u64 v[16:17], v[2:3], 1, s[8:9]
	global_store_short v[16:17], v6, off
	v_lshl_add_u64 v[16:17], v[2:3], 2, s[10:11]
	global_store_dword v[16:17], v1, off
	s_and_b64 exec, exec, s[2:3]
	s_cbranch_execz .LBB544_21
; %bb.18:
	v_add_u32_e32 v2, s16, v8
	v_lshl_add_u64 v[0:1], v[2:3], 1, s[8:9]
	global_store_short v[0:1], v10, off
	v_lshl_add_u64 v[0:1], v[2:3], 2, s[10:11]
	global_store_dword v[0:1], v9, off
	s_and_b64 exec, exec, s[4:5]
	s_cbranch_execz .LBB544_21
; %bb.19:
	v_add_u32_e32 v0, s16, v11
	v_mov_b32_e32 v1, 0
	v_lshl_add_u64 v[2:3], v[0:1], 1, s[8:9]
	global_store_short v[2:3], v12, off
	v_lshl_add_u64 v[2:3], v[0:1], 2, s[10:11]
	global_store_dword v[2:3], v4, off
	s_and_b64 exec, exec, s[6:7]
	s_cbranch_execz .LBB544_21
; %bb.20:
	v_add_u32_e32 v0, s16, v13
	v_lshl_add_u64 v[2:3], v[0:1], 2, s[10:11]
	v_lshl_add_u64 v[0:1], v[0:1], 1, s[8:9]
	global_store_short v[0:1], v14, off
	global_store_dword v[2:3], v7, off
.LBB544_21:
	s_endpgm
	.section	.rodata,"a",@progbits
	.p2align	6, 0x0
	.amdhsa_kernel _ZN2at6native12_GLOBAL__N_145unrolled_elementwise_kernel_for_multi_outputsILi2EZZZNS0_17frexp_kernel_cudaERNS_18TensorIteratorBaseEENKUlvE_clEvENKUlvE2_clEvEUlN3c108BFloat16EE_St5arrayIPcLm3EE23TrivialOffsetCalculatorILi1EjESD_ILi2EjEEEviT0_T1_T2_T3_
		.amdhsa_group_segment_fixed_size 0
		.amdhsa_private_segment_fixed_size 0
		.amdhsa_kernarg_size 36
		.amdhsa_user_sgpr_count 2
		.amdhsa_user_sgpr_dispatch_ptr 0
		.amdhsa_user_sgpr_queue_ptr 0
		.amdhsa_user_sgpr_kernarg_segment_ptr 1
		.amdhsa_user_sgpr_dispatch_id 0
		.amdhsa_user_sgpr_kernarg_preload_length 0
		.amdhsa_user_sgpr_kernarg_preload_offset 0
		.amdhsa_user_sgpr_private_segment_size 0
		.amdhsa_uses_dynamic_stack 0
		.amdhsa_enable_private_segment 0
		.amdhsa_system_sgpr_workgroup_id_x 1
		.amdhsa_system_sgpr_workgroup_id_y 0
		.amdhsa_system_sgpr_workgroup_id_z 0
		.amdhsa_system_sgpr_workgroup_info 0
		.amdhsa_system_vgpr_workitem_id 0
		.amdhsa_next_free_vgpr 18
		.amdhsa_next_free_sgpr 18
		.amdhsa_accum_offset 20
		.amdhsa_reserve_vcc 1
		.amdhsa_float_round_mode_32 0
		.amdhsa_float_round_mode_16_64 0
		.amdhsa_float_denorm_mode_32 3
		.amdhsa_float_denorm_mode_16_64 3
		.amdhsa_dx10_clamp 1
		.amdhsa_ieee_mode 1
		.amdhsa_fp16_overflow 0
		.amdhsa_tg_split 0
		.amdhsa_exception_fp_ieee_invalid_op 0
		.amdhsa_exception_fp_denorm_src 0
		.amdhsa_exception_fp_ieee_div_zero 0
		.amdhsa_exception_fp_ieee_overflow 0
		.amdhsa_exception_fp_ieee_underflow 0
		.amdhsa_exception_fp_ieee_inexact 0
		.amdhsa_exception_int_div_zero 0
	.end_amdhsa_kernel
	.section	.text._ZN2at6native12_GLOBAL__N_145unrolled_elementwise_kernel_for_multi_outputsILi2EZZZNS0_17frexp_kernel_cudaERNS_18TensorIteratorBaseEENKUlvE_clEvENKUlvE2_clEvEUlN3c108BFloat16EE_St5arrayIPcLm3EE23TrivialOffsetCalculatorILi1EjESD_ILi2EjEEEviT0_T1_T2_T3_,"axG",@progbits,_ZN2at6native12_GLOBAL__N_145unrolled_elementwise_kernel_for_multi_outputsILi2EZZZNS0_17frexp_kernel_cudaERNS_18TensorIteratorBaseEENKUlvE_clEvENKUlvE2_clEvEUlN3c108BFloat16EE_St5arrayIPcLm3EE23TrivialOffsetCalculatorILi1EjESD_ILi2EjEEEviT0_T1_T2_T3_,comdat
.Lfunc_end544:
	.size	_ZN2at6native12_GLOBAL__N_145unrolled_elementwise_kernel_for_multi_outputsILi2EZZZNS0_17frexp_kernel_cudaERNS_18TensorIteratorBaseEENKUlvE_clEvENKUlvE2_clEvEUlN3c108BFloat16EE_St5arrayIPcLm3EE23TrivialOffsetCalculatorILi1EjESD_ILi2EjEEEviT0_T1_T2_T3_, .Lfunc_end544-_ZN2at6native12_GLOBAL__N_145unrolled_elementwise_kernel_for_multi_outputsILi2EZZZNS0_17frexp_kernel_cudaERNS_18TensorIteratorBaseEENKUlvE_clEvENKUlvE2_clEvEUlN3c108BFloat16EE_St5arrayIPcLm3EE23TrivialOffsetCalculatorILi1EjESD_ILi2EjEEEviT0_T1_T2_T3_
                                        ; -- End function
	.set _ZN2at6native12_GLOBAL__N_145unrolled_elementwise_kernel_for_multi_outputsILi2EZZZNS0_17frexp_kernel_cudaERNS_18TensorIteratorBaseEENKUlvE_clEvENKUlvE2_clEvEUlN3c108BFloat16EE_St5arrayIPcLm3EE23TrivialOffsetCalculatorILi1EjESD_ILi2EjEEEviT0_T1_T2_T3_.num_vgpr, 18
	.set _ZN2at6native12_GLOBAL__N_145unrolled_elementwise_kernel_for_multi_outputsILi2EZZZNS0_17frexp_kernel_cudaERNS_18TensorIteratorBaseEENKUlvE_clEvENKUlvE2_clEvEUlN3c108BFloat16EE_St5arrayIPcLm3EE23TrivialOffsetCalculatorILi1EjESD_ILi2EjEEEviT0_T1_T2_T3_.num_agpr, 0
	.set _ZN2at6native12_GLOBAL__N_145unrolled_elementwise_kernel_for_multi_outputsILi2EZZZNS0_17frexp_kernel_cudaERNS_18TensorIteratorBaseEENKUlvE_clEvENKUlvE2_clEvEUlN3c108BFloat16EE_St5arrayIPcLm3EE23TrivialOffsetCalculatorILi1EjESD_ILi2EjEEEviT0_T1_T2_T3_.numbered_sgpr, 18
	.set _ZN2at6native12_GLOBAL__N_145unrolled_elementwise_kernel_for_multi_outputsILi2EZZZNS0_17frexp_kernel_cudaERNS_18TensorIteratorBaseEENKUlvE_clEvENKUlvE2_clEvEUlN3c108BFloat16EE_St5arrayIPcLm3EE23TrivialOffsetCalculatorILi1EjESD_ILi2EjEEEviT0_T1_T2_T3_.num_named_barrier, 0
	.set _ZN2at6native12_GLOBAL__N_145unrolled_elementwise_kernel_for_multi_outputsILi2EZZZNS0_17frexp_kernel_cudaERNS_18TensorIteratorBaseEENKUlvE_clEvENKUlvE2_clEvEUlN3c108BFloat16EE_St5arrayIPcLm3EE23TrivialOffsetCalculatorILi1EjESD_ILi2EjEEEviT0_T1_T2_T3_.private_seg_size, 0
	.set _ZN2at6native12_GLOBAL__N_145unrolled_elementwise_kernel_for_multi_outputsILi2EZZZNS0_17frexp_kernel_cudaERNS_18TensorIteratorBaseEENKUlvE_clEvENKUlvE2_clEvEUlN3c108BFloat16EE_St5arrayIPcLm3EE23TrivialOffsetCalculatorILi1EjESD_ILi2EjEEEviT0_T1_T2_T3_.uses_vcc, 1
	.set _ZN2at6native12_GLOBAL__N_145unrolled_elementwise_kernel_for_multi_outputsILi2EZZZNS0_17frexp_kernel_cudaERNS_18TensorIteratorBaseEENKUlvE_clEvENKUlvE2_clEvEUlN3c108BFloat16EE_St5arrayIPcLm3EE23TrivialOffsetCalculatorILi1EjESD_ILi2EjEEEviT0_T1_T2_T3_.uses_flat_scratch, 0
	.set _ZN2at6native12_GLOBAL__N_145unrolled_elementwise_kernel_for_multi_outputsILi2EZZZNS0_17frexp_kernel_cudaERNS_18TensorIteratorBaseEENKUlvE_clEvENKUlvE2_clEvEUlN3c108BFloat16EE_St5arrayIPcLm3EE23TrivialOffsetCalculatorILi1EjESD_ILi2EjEEEviT0_T1_T2_T3_.has_dyn_sized_stack, 0
	.set _ZN2at6native12_GLOBAL__N_145unrolled_elementwise_kernel_for_multi_outputsILi2EZZZNS0_17frexp_kernel_cudaERNS_18TensorIteratorBaseEENKUlvE_clEvENKUlvE2_clEvEUlN3c108BFloat16EE_St5arrayIPcLm3EE23TrivialOffsetCalculatorILi1EjESD_ILi2EjEEEviT0_T1_T2_T3_.has_recursion, 0
	.set _ZN2at6native12_GLOBAL__N_145unrolled_elementwise_kernel_for_multi_outputsILi2EZZZNS0_17frexp_kernel_cudaERNS_18TensorIteratorBaseEENKUlvE_clEvENKUlvE2_clEvEUlN3c108BFloat16EE_St5arrayIPcLm3EE23TrivialOffsetCalculatorILi1EjESD_ILi2EjEEEviT0_T1_T2_T3_.has_indirect_call, 0
	.section	.AMDGPU.csdata,"",@progbits
; Kernel info:
; codeLenInByte = 784
; TotalNumSgprs: 24
; NumVgprs: 18
; NumAgprs: 0
; TotalNumVgprs: 18
; ScratchSize: 0
; MemoryBound: 0
; FloatMode: 240
; IeeeMode: 1
; LDSByteSize: 0 bytes/workgroup (compile time only)
; SGPRBlocks: 2
; VGPRBlocks: 2
; NumSGPRsForWavesPerEU: 24
; NumVGPRsForWavesPerEU: 18
; AccumOffset: 20
; Occupancy: 8
; WaveLimiterHint : 0
; COMPUTE_PGM_RSRC2:SCRATCH_EN: 0
; COMPUTE_PGM_RSRC2:USER_SGPR: 2
; COMPUTE_PGM_RSRC2:TRAP_HANDLER: 0
; COMPUTE_PGM_RSRC2:TGID_X_EN: 1
; COMPUTE_PGM_RSRC2:TGID_Y_EN: 0
; COMPUTE_PGM_RSRC2:TGID_Z_EN: 0
; COMPUTE_PGM_RSRC2:TIDIG_COMP_CNT: 0
; COMPUTE_PGM_RSRC3_GFX90A:ACCUM_OFFSET: 4
; COMPUTE_PGM_RSRC3_GFX90A:TG_SPLIT: 0
	.section	.text._ZN2at6native12_GLOBAL__N_145unrolled_elementwise_kernel_for_multi_outputsILi2EZZZNS0_17frexp_kernel_cudaERNS_18TensorIteratorBaseEENKUlvE_clEvENKUlvE2_clEvEUlN3c108BFloat16EE_St5arrayIPcLm3EE16OffsetCalculatorILi1EjLb0EESD_ILi2EjLb0EEEEviT0_T1_T2_T3_,"axG",@progbits,_ZN2at6native12_GLOBAL__N_145unrolled_elementwise_kernel_for_multi_outputsILi2EZZZNS0_17frexp_kernel_cudaERNS_18TensorIteratorBaseEENKUlvE_clEvENKUlvE2_clEvEUlN3c108BFloat16EE_St5arrayIPcLm3EE16OffsetCalculatorILi1EjLb0EESD_ILi2EjLb0EEEEviT0_T1_T2_T3_,comdat
	.globl	_ZN2at6native12_GLOBAL__N_145unrolled_elementwise_kernel_for_multi_outputsILi2EZZZNS0_17frexp_kernel_cudaERNS_18TensorIteratorBaseEENKUlvE_clEvENKUlvE2_clEvEUlN3c108BFloat16EE_St5arrayIPcLm3EE16OffsetCalculatorILi1EjLb0EESD_ILi2EjLb0EEEEviT0_T1_T2_T3_ ; -- Begin function _ZN2at6native12_GLOBAL__N_145unrolled_elementwise_kernel_for_multi_outputsILi2EZZZNS0_17frexp_kernel_cudaERNS_18TensorIteratorBaseEENKUlvE_clEvENKUlvE2_clEvEUlN3c108BFloat16EE_St5arrayIPcLm3EE16OffsetCalculatorILi1EjLb0EESD_ILi2EjLb0EEEEviT0_T1_T2_T3_
	.p2align	8
	.type	_ZN2at6native12_GLOBAL__N_145unrolled_elementwise_kernel_for_multi_outputsILi2EZZZNS0_17frexp_kernel_cudaERNS_18TensorIteratorBaseEENKUlvE_clEvENKUlvE2_clEvEUlN3c108BFloat16EE_St5arrayIPcLm3EE16OffsetCalculatorILi1EjLb0EESD_ILi2EjLb0EEEEviT0_T1_T2_T3_,@function
_ZN2at6native12_GLOBAL__N_145unrolled_elementwise_kernel_for_multi_outputsILi2EZZZNS0_17frexp_kernel_cudaERNS_18TensorIteratorBaseEENKUlvE_clEvENKUlvE2_clEvEUlN3c108BFloat16EE_St5arrayIPcLm3EE16OffsetCalculatorILi1EjLb0EESD_ILi2EjLb0EEEEviT0_T1_T2_T3_: ; @_ZN2at6native12_GLOBAL__N_145unrolled_elementwise_kernel_for_multi_outputsILi2EZZZNS0_17frexp_kernel_cudaERNS_18TensorIteratorBaseEENKUlvE_clEvENKUlvE2_clEvEUlN3c108BFloat16EE_St5arrayIPcLm3EE16OffsetCalculatorILi1EjLb0EESD_ILi2EjLb0EEEEviT0_T1_T2_T3_
; %bb.0:
	s_load_dword s3, s[0:1], 0x0
	s_load_dwordx4 s[16:19], s[0:1], 0x8
	s_load_dwordx8 s[4:11], s[0:1], 0x164
	s_load_dwordx2 s[20:21], s[0:1], 0x18
	s_load_dwordx8 s[36:43], s[0:1], 0x184
	s_load_dwordx8 s[44:51], s[0:1], 0x60
	s_lshl_b32 s28, s2, 10
	s_waitcnt lgkmcnt(0)
	v_mov_b64_e32 v[2:3], s[8:9]
	v_mov_b64_e32 v[4:5], s[10:11]
	s_load_dwordx8 s[8:15], s[0:1], 0x1a4
	scratch_store_dwordx4 off, v[2:5], off offset:368
	s_load_dword s2, s[0:1], 0x264
	s_sub_i32 s29, s3, s28
	v_mov_b64_e32 v[2:3], s[36:37]
	v_mov_b64_e32 v[4:5], s[38:39]
	scratch_store_dwordx4 off, v[2:5], off offset:384
	s_waitcnt lgkmcnt(0)
	v_mov_b32_e32 v1, s2
	scratch_store_dword off, v1, off offset:608
	v_mov_b64_e32 v[2:3], s[40:41]
	v_mov_b64_e32 v[4:5], s[42:43]
	s_load_dwordx8 s[36:43], s[0:1], 0x1c4
	scratch_store_dwordx4 off, v[2:5], off offset:400
	v_mov_b32_e32 v17, 0
	v_or_b32_e32 v9, s28, v0
	v_mov_b64_e32 v[2:3], s[8:9]
	v_mov_b64_e32 v[4:5], s[10:11]
	scratch_store_dwordx4 off, v[2:5], off offset:416
	v_mov_b32_e32 v11, 0
	v_mov_b32_e32 v15, 0
	v_mov_b64_e32 v[2:3], s[12:13]
	v_mov_b64_e32 v[4:5], s[14:15]
	s_load_dwordx8 s[8:15], s[0:1], 0x1e4
	scratch_store_dwordx4 off, v[2:5], off offset:432
	s_waitcnt lgkmcnt(0)
	s_nop 0
	v_mov_b64_e32 v[2:3], s[36:37]
	v_mov_b64_e32 v[4:5], s[38:39]
	scratch_store_dwordx4 off, v[2:5], off offset:448
	s_nop 1
	v_mov_b64_e32 v[2:3], s[40:41]
	v_mov_b64_e32 v[4:5], s[42:43]
	s_load_dwordx8 s[36:43], s[0:1], 0x204
	scratch_store_dwordx4 off, v[2:5], off offset:464
	s_nop 1
	v_mov_b64_e32 v[2:3], s[8:9]
	v_mov_b64_e32 v[4:5], s[10:11]
	scratch_store_dwordx4 off, v[2:5], off offset:480
	s_nop 1
	v_mov_b64_e32 v[2:3], s[12:13]
	v_mov_b64_e32 v[4:5], s[14:15]
	s_load_dwordx8 s[8:15], s[0:1], 0x224
	scratch_store_dwordx4 off, v[2:5], off offset:496
	s_waitcnt lgkmcnt(0)
	s_nop 0
	v_mov_b64_e32 v[2:3], s[36:37]
	v_mov_b64_e32 v[4:5], s[38:39]
	scratch_store_dwordx4 off, v[2:5], off offset:512
	s_nop 1
	v_mov_b64_e32 v[2:3], s[40:41]
	v_mov_b64_e32 v[4:5], s[42:43]
	s_load_dwordx8 s[36:43], s[0:1], 0x244
	scratch_store_dwordx4 off, v[2:5], off offset:528
	s_nop 1
	v_mov_b64_e32 v[2:3], s[8:9]
	v_mov_b64_e32 v[4:5], s[10:11]
	scratch_store_dwordx4 off, v[2:5], off offset:544
	s_nop 1
	;; [unrolled: 19-line block ×3, first 2 shown]
	v_mov_b64_e32 v[2:3], s[12:13]
	v_mov_b64_e32 v[4:5], s[14:15]
	scratch_store_dwordx4 off, v[2:5], off offset:304
	s_load_dwordx8 s[8:15], s[0:1], 0x20
	s_waitcnt lgkmcnt(0)
	v_mov_b64_e32 v[2:3], s[36:37]
	v_mov_b64_e32 v[4:5], s[38:39]
	scratch_store_dwordx4 off, v[2:5], off offset:320
	s_nop 1
	v_mov_b64_e32 v[2:3], s[40:41]
	v_mov_b64_e32 v[4:5], s[42:43]
	s_load_dwordx8 s[36:43], s[0:1], 0x40
	scratch_store_dwordx4 off, v[2:5], off offset:336
	s_nop 1
	v_mov_b64_e32 v[2:3], s[4:5]
	v_mov_b64_e32 v[4:5], s[6:7]
	scratch_store_dwordx4 off, v[2:5], off offset:352
	s_nop 1
	v_mov_b64_e32 v[2:3], s[12:13]
	v_mov_b64_e32 v[4:5], s[14:15]
	scratch_store_dwordx4 off, v[2:5], off offset:44
	s_waitcnt lgkmcnt(0)
	s_nop 0
	v_mov_b64_e32 v[2:3], s[36:37]
	v_mov_b64_e32 v[4:5], s[38:39]
	scratch_store_dwordx4 off, v[2:5], off offset:60
	s_nop 1
	v_mov_b64_e32 v[2:3], s[40:41]
	v_mov_b64_e32 v[4:5], s[42:43]
	s_load_dwordx8 s[36:43], s[0:1], 0x80
	scratch_store_dwordx4 off, v[2:5], off offset:76
	s_nop 1
	v_mov_b64_e32 v[2:3], s[44:45]
	v_mov_b64_e32 v[4:5], s[46:47]
	scratch_store_dwordx4 off, v[2:5], off offset:92
	s_nop 1
	v_mov_b64_e32 v[2:3], s[48:49]
	v_mov_b64_e32 v[4:5], s[50:51]
	s_load_dwordx8 s[44:51], s[0:1], 0xa0
	scratch_store_dwordx4 off, v[2:5], off offset:108
	s_waitcnt lgkmcnt(0)
	s_nop 0
	v_mov_b64_e32 v[2:3], s[36:37]
	v_mov_b64_e32 v[4:5], s[38:39]
	scratch_store_dwordx4 off, v[2:5], off offset:124
	s_nop 1
	v_mov_b64_e32 v[2:3], s[40:41]
	v_mov_b64_e32 v[4:5], s[42:43]
	s_load_dwordx8 s[36:43], s[0:1], 0xc0
	scratch_store_dwordx4 off, v[2:5], off offset:140
	s_nop 1
	v_mov_b64_e32 v[2:3], s[44:45]
	v_mov_b64_e32 v[4:5], s[46:47]
	scratch_store_dwordx4 off, v[2:5], off offset:156
	s_nop 1
	v_mov_b64_e32 v[2:3], s[48:49]
	v_mov_b64_e32 v[4:5], s[50:51]
	s_load_dwordx8 s[44:51], s[0:1], 0xe0
	scratch_store_dwordx4 off, v[2:5], off offset:172
	s_waitcnt lgkmcnt(0)
	s_nop 0
	v_mov_b64_e32 v[2:3], s[36:37]
	v_mov_b64_e32 v[4:5], s[38:39]
	scratch_store_dwordx4 off, v[2:5], off offset:188
	s_nop 1
	v_mov_b64_e32 v[2:3], s[40:41]
	v_mov_b64_e32 v[4:5], s[42:43]
	s_load_dwordx8 s[36:43], s[0:1], 0x100
	scratch_store_dwordx4 off, v[2:5], off offset:204
	s_load_dword s0, s[0:1], 0x120
	s_waitcnt lgkmcnt(0)
	v_mov_b32_e32 v1, s0
	v_mov_b64_e32 v[2:3], s[44:45]
	v_mov_b64_e32 v[4:5], s[46:47]
	scratch_store_dwordx4 off, v[2:5], off offset:220
	scratch_store_dword off, v1, off offset:284
	v_cmp_gt_i32_e64 s[0:1], s29, v0
	v_mov_b64_e32 v[2:3], s[48:49]
	v_mov_b64_e32 v[4:5], s[50:51]
	scratch_store_dwordx4 off, v[2:5], off offset:236
	v_mov_b32_e32 v1, 0
	s_nop 0
	v_mov_b64_e32 v[2:3], s[36:37]
	v_mov_b64_e32 v[4:5], s[38:39]
	scratch_store_dwordx4 off, v[2:5], off offset:252
	s_nop 1
	v_mov_b64_e32 v[2:3], s[40:41]
	v_mov_b64_e32 v[4:5], s[42:43]
	scratch_store_dwordx4 off, v[2:5], off offset:268
	;; [unrolled: 4-line block ×3, first 2 shown]
	s_and_saveexec_b64 s[6:7], s[0:1]
	s_cbranch_execz .LBB545_72
; %bb.1:
	scratch_load_dwordx4 v[2:5], off, off offset:28
	scratch_load_dwordx2 v[12:13], off, off offset:224
	scratch_load_dwordx3 v[6:8], off, off offset:44
	v_mov_b32_e32 v10, 0
	v_or_b32_e32 v1, s28, v0
	s_waitcnt vmcnt(2)
	v_subrev_co_u32_e64 v18, s[2:3], 1, v2
	v_cmp_lt_u32_e32 vcc, 1, v2
	s_xor_b64 s[10:11], s[2:3], -1
	v_cmp_lt_u32_e64 s[2:3], 1, v18
	v_min_u32_e32 v2, 15, v18
	s_and_saveexec_b64 s[4:5], s[2:3]
	s_xor_b64 s[8:9], exec, s[4:5]
	s_cbranch_execz .LBB545_13
; %bb.2:
	s_and_saveexec_b64 s[12:13], s[10:11]
	s_cbranch_execz .LBB545_12
; %bb.3:
	v_add_u32_e32 v14, 1, v2
	v_cmp_ne_u32_e64 s[4:5], 2, v18
	v_mov_b32_e32 v10, 0
	v_mov_b32_e32 v11, 0
	s_and_saveexec_b64 s[14:15], s[4:5]
	s_cbranch_execz .LBB545_7
; %bb.4:
	v_and_b32_e32 v11, 28, v14
	s_mov_b32 s24, 0
	s_mov_b64 s[22:23], 0
	v_mov_b32_e32 v10, 0
	s_mov_b32 s25, 0
	s_mov_b32 s26, 0
.LBB545_5:                              ; =>This Inner Loop Header: Depth=1
	s_add_i32 s27, s25, 32
	s_add_i32 s5, s24, 0xe0
	s_add_i32 s30, s25, 48
	s_add_i32 s4, s25, 64
	scratch_load_dwordx4 v[20:23], off, s27
	scratch_load_dwordx4 v[24:27], off, s30
	;; [unrolled: 1-line block ×4, first 2 shown]
	s_add_i32 s26, s26, 4
	s_add_i32 s25, s25, 48
	;; [unrolled: 1-line block ×3, first 2 shown]
	v_cmp_eq_u32_e64 s[4:5], s26, v11
	s_or_b64 s[22:23], s[4:5], s[22:23]
	s_waitcnt vmcnt(3)
	v_mul_hi_u32 v15, v21, v1
	v_add_u32_e32 v15, v1, v15
	v_lshrrev_b32_e32 v15, v22, v15
	v_mul_lo_u32 v16, v15, v20
	s_waitcnt vmcnt(2)
	v_mul_hi_u32 v17, v24, v15
	v_sub_u32_e32 v1, v1, v16
	v_add_u32_e32 v16, v15, v17
	v_lshrrev_b32_e32 v16, v25, v16
	v_mul_lo_u32 v17, v16, v23
	v_mul_hi_u32 v19, v27, v16
	v_sub_u32_e32 v15, v15, v17
	v_add_u32_e32 v17, v16, v19
	s_waitcnt vmcnt(0)
	v_mul_lo_u32 v1, v1, v32
	v_mul_lo_u32 v15, v15, v33
	v_lshrrev_b32_e32 v17, v28, v17
	v_add3_u32 v10, v1, v10, v15
	v_mul_lo_u32 v1, v17, v26
	v_mul_hi_u32 v15, v30, v17
	v_sub_u32_e32 v1, v16, v1
	v_add_u32_e32 v15, v17, v15
	v_mul_lo_u32 v16, v1, v34
	v_lshrrev_b32_e32 v1, v31, v15
	v_mul_lo_u32 v15, v1, v29
	v_sub_u32_e32 v15, v17, v15
	v_mul_lo_u32 v15, v15, v35
	v_add3_u32 v10, v16, v10, v15
	s_andn2_b64 exec, exec, s[22:23]
	s_cbranch_execnz .LBB545_5
; %bb.6:
	s_or_b64 exec, exec, s[22:23]
.LBB545_7:
	s_or_b64 exec, exec, s[14:15]
	v_and_b32_e32 v14, 3, v14
	v_cmp_ne_u32_e64 s[4:5], 0, v14
	s_and_saveexec_b64 s[14:15], s[4:5]
	s_cbranch_execz .LBB545_11
; %bb.8:
	v_mov_b32_e32 v16, 0
	v_lshl_add_u32 v15, v11, 2, v16
	v_add_u32_e32 v15, 0xe0, v15
	v_mad_u32_u24 v16, v11, 12, v16
	s_mov_b64 s[22:23], 0
.LBB545_9:                              ; =>This Inner Loop Header: Depth=1
	v_add_u32_e32 v11, 32, v16
	scratch_load_dwordx3 v[20:22], v11, off
	scratch_load_dword v17, v15, off
	v_add_u32_e32 v14, -1, v14
	v_cmp_eq_u32_e64 s[4:5], 0, v14
	v_add_u32_e32 v15, 4, v15
	v_add_u32_e32 v16, 12, v16
	s_or_b64 s[22:23], s[4:5], s[22:23]
	s_waitcnt vmcnt(1)
	v_mul_hi_u32 v11, v21, v1
	v_add_u32_e32 v11, v1, v11
	v_lshrrev_b32_e32 v11, v22, v11
	v_mul_lo_u32 v19, v11, v20
	v_sub_u32_e32 v19, v1, v19
	v_mov_b32_e32 v1, v11
	s_waitcnt vmcnt(0)
	v_mad_u64_u32 v[10:11], s[4:5], v19, v17, v[10:11]
	s_andn2_b64 exec, exec, s[22:23]
	s_cbranch_execnz .LBB545_9
; %bb.10:
	s_or_b64 exec, exec, s[22:23]
.LBB545_11:
	s_or_b64 exec, exec, s[14:15]
.LBB545_12:
	s_or_b64 exec, exec, s[12:13]
                                        ; implicit-def: $vgpr1
.LBB545_13:
	s_andn2_saveexec_b64 s[4:5], s[8:9]
	s_cbranch_execz .LBB545_17
; %bb.14:
	v_mul_hi_u32 v10, v4, v1
	v_add_u32_e32 v10, v1, v10
	v_lshrrev_b32_e32 v11, v5, v10
	v_mul_lo_u32 v10, v11, v3
	v_sub_u32_e32 v1, v1, v10
	s_waitcnt vmcnt(1)
	v_mul_lo_u32 v10, v1, v12
	s_and_saveexec_b64 s[8:9], vcc
	s_cbranch_execz .LBB545_16
; %bb.15:
	s_waitcnt vmcnt(0)
	v_mul_hi_u32 v1, v11, v7
	v_add_u32_e32 v1, v11, v1
	v_lshrrev_b32_e32 v1, v8, v1
	v_mul_lo_u32 v1, v1, v6
	v_sub_u32_e32 v1, v11, v1
	v_mad_u64_u32 v[10:11], s[12:13], v1, v13, v[10:11]
.LBB545_16:
	s_or_b64 exec, exec, s[8:9]
.LBB545_17:
	s_or_b64 exec, exec, s[4:5]
	v_mov_b32_e32 v11, 0
	v_lshl_add_u64 v[14:15], v[10:11], 1, s[20:21]
	global_load_ushort v1, v[14:15], off
	v_or_b32_e32 v10, 0x100, v0
	v_cmp_gt_u32_e64 s[4:5], s29, v10
	v_mov_b32_e32 v15, v11
	v_mov_b32_e32 v17, v11
	s_and_saveexec_b64 s[8:9], s[4:5]
	s_cbranch_execz .LBB545_71
; %bb.18:
	v_add_u32_e32 v10, s28, v10
                                        ; implicit-def: $vgpr14
	s_and_saveexec_b64 s[4:5], s[2:3]
	s_xor_b64 s[12:13], exec, s[4:5]
	s_cbranch_execz .LBB545_30
; %bb.19:
	v_mov_b32_e32 v14, 0
	s_and_saveexec_b64 s[14:15], s[10:11]
	s_cbranch_execz .LBB545_29
; %bb.20:
	v_add_u32_e32 v15, 1, v2
	v_cmp_ne_u32_e64 s[4:5], 2, v18
	v_mov_b32_e32 v14, 0
	v_mov_b32_e32 v11, 0
	s_and_saveexec_b64 s[22:23], s[4:5]
	s_cbranch_execz .LBB545_24
; %bb.21:
	v_and_b32_e32 v11, 28, v15
	s_mov_b32 s26, 0
	s_mov_b64 s[24:25], 0
	v_mov_b32_e32 v14, 0
	s_mov_b32 s27, 0
	s_mov_b32 s30, 0
.LBB545_22:                             ; =>This Inner Loop Header: Depth=1
	s_add_i32 s31, s27, 32
	s_add_i32 s5, s26, 0xe0
	;; [unrolled: 1-line block ×4, first 2 shown]
	scratch_load_dwordx4 v[20:23], off, s31
	scratch_load_dwordx4 v[24:27], off, s33
	scratch_load_dwordx4 v[28:31], off, s4
	scratch_load_dwordx4 v[32:35], off, s5
	s_add_i32 s30, s30, 4
	s_add_i32 s27, s27, 48
	;; [unrolled: 1-line block ×3, first 2 shown]
	v_cmp_eq_u32_e64 s[4:5], s30, v11
	s_or_b64 s[24:25], s[4:5], s[24:25]
	s_waitcnt vmcnt(3)
	v_mul_hi_u32 v16, v21, v10
	v_add_u32_e32 v16, v10, v16
	v_lshrrev_b32_e32 v16, v22, v16
	v_mul_lo_u32 v17, v16, v20
	s_waitcnt vmcnt(2)
	v_mul_hi_u32 v19, v24, v16
	v_sub_u32_e32 v10, v10, v17
	v_add_u32_e32 v17, v16, v19
	v_lshrrev_b32_e32 v17, v25, v17
	v_mul_lo_u32 v19, v17, v23
	v_mul_hi_u32 v20, v27, v17
	v_sub_u32_e32 v16, v16, v19
	v_add_u32_e32 v19, v17, v20
	s_waitcnt vmcnt(0)
	v_mul_lo_u32 v10, v10, v32
	v_mul_lo_u32 v16, v16, v33
	v_lshrrev_b32_e32 v19, v28, v19
	v_add3_u32 v14, v10, v14, v16
	v_mul_lo_u32 v10, v19, v26
	v_mul_hi_u32 v16, v30, v19
	v_sub_u32_e32 v10, v17, v10
	v_add_u32_e32 v16, v19, v16
	v_mul_lo_u32 v17, v10, v34
	v_lshrrev_b32_e32 v10, v31, v16
	v_mul_lo_u32 v16, v10, v29
	v_sub_u32_e32 v16, v19, v16
	v_mul_lo_u32 v16, v16, v35
	v_add3_u32 v14, v17, v14, v16
	s_andn2_b64 exec, exec, s[24:25]
	s_cbranch_execnz .LBB545_22
; %bb.23:
	s_or_b64 exec, exec, s[24:25]
.LBB545_24:
	s_or_b64 exec, exec, s[22:23]
	v_and_b32_e32 v16, 3, v15
	v_cmp_ne_u32_e64 s[4:5], 0, v16
	s_and_saveexec_b64 s[22:23], s[4:5]
	s_cbranch_execz .LBB545_28
; %bb.25:
	v_mov_b32_e32 v15, 0
	v_lshl_add_u32 v17, v11, 2, v15
	v_add_u32_e32 v17, 0xe0, v17
	v_mad_u32_u24 v11, v11, 12, v15
	s_mov_b64 s[24:25], 0
.LBB545_26:                             ; =>This Inner Loop Header: Depth=1
	v_add_u32_e32 v15, 32, v11
	scratch_load_dwordx3 v[20:22], v15, off
	scratch_load_dword v19, v17, off
	v_add_u32_e32 v16, -1, v16
	v_cmp_eq_u32_e64 s[4:5], 0, v16
	v_add_u32_e32 v17, 4, v17
	v_add_u32_e32 v11, 12, v11
	s_or_b64 s[24:25], s[4:5], s[24:25]
	s_waitcnt vmcnt(1)
	v_mul_hi_u32 v15, v21, v10
	v_add_u32_e32 v15, v10, v15
	v_lshrrev_b32_e32 v15, v22, v15
	v_mul_lo_u32 v20, v15, v20
	v_sub_u32_e32 v20, v10, v20
	v_mov_b32_e32 v10, v15
	s_waitcnt vmcnt(0)
	v_mad_u64_u32 v[14:15], s[4:5], v20, v19, v[14:15]
	s_andn2_b64 exec, exec, s[24:25]
	s_cbranch_execnz .LBB545_26
; %bb.27:
	s_or_b64 exec, exec, s[24:25]
.LBB545_28:
	s_or_b64 exec, exec, s[22:23]
.LBB545_29:
	s_or_b64 exec, exec, s[14:15]
                                        ; implicit-def: $vgpr10
.LBB545_30:
	s_andn2_saveexec_b64 s[4:5], s[12:13]
	s_cbranch_execz .LBB545_34
; %bb.31:
	v_mul_hi_u32 v11, v4, v10
	v_add_u32_e32 v11, v10, v11
	v_lshrrev_b32_e32 v11, v5, v11
	v_mul_lo_u32 v14, v11, v3
	v_sub_u32_e32 v10, v10, v14
	s_waitcnt vmcnt(2)
	v_mul_lo_u32 v14, v10, v12
	s_and_saveexec_b64 s[12:13], vcc
	s_cbranch_execz .LBB545_33
; %bb.32:
	s_waitcnt vmcnt(1)
	v_mul_hi_u32 v10, v11, v7
	v_add_u32_e32 v10, v11, v10
	v_lshrrev_b32_e32 v10, v8, v10
	v_mul_lo_u32 v10, v10, v6
	v_sub_u32_e32 v10, v11, v10
	v_mad_u64_u32 v[14:15], s[14:15], v10, v13, v[14:15]
.LBB545_33:
	s_or_b64 exec, exec, s[12:13]
.LBB545_34:
	s_or_b64 exec, exec, s[4:5]
	v_mov_b32_e32 v15, 0
	v_lshl_add_u64 v[10:11], v[14:15], 1, s[20:21]
	global_load_ushort v11, v[10:11], off
	v_or_b32_e32 v10, 0x200, v0
	v_cmp_gt_u32_e64 s[4:5], s29, v10
	v_mov_b32_e32 v17, v15
	s_and_saveexec_b64 s[12:13], s[4:5]
	s_cbranch_execz .LBB545_70
; %bb.35:
	v_add_u32_e32 v10, s28, v10
                                        ; implicit-def: $vgpr16
	s_and_saveexec_b64 s[4:5], s[2:3]
	s_xor_b64 s[14:15], exec, s[4:5]
	s_cbranch_execz .LBB545_47
; %bb.36:
	v_mov_b32_e32 v16, 0
	s_and_saveexec_b64 s[22:23], s[10:11]
	s_cbranch_execz .LBB545_46
; %bb.37:
	v_add_u32_e32 v15, 1, v2
	v_cmp_ne_u32_e64 s[4:5], 2, v18
	v_mov_b32_e32 v16, 0
	v_mov_b32_e32 v14, 0
	s_and_saveexec_b64 s[24:25], s[4:5]
	s_cbranch_execz .LBB545_41
; %bb.38:
	v_and_b32_e32 v14, 28, v15
	s_mov_b32 s30, 0
	s_mov_b64 s[26:27], 0
	v_mov_b32_e32 v16, 0
	s_mov_b32 s31, 0
	s_mov_b32 s33, 0
.LBB545_39:                             ; =>This Inner Loop Header: Depth=1
	s_add_i32 s34, s31, 32
	s_add_i32 s5, s30, 0xe0
	;; [unrolled: 1-line block ×4, first 2 shown]
	scratch_load_dwordx4 v[20:23], off, s34
	scratch_load_dwordx4 v[24:27], off, s35
	;; [unrolled: 1-line block ×4, first 2 shown]
	s_add_i32 s33, s33, 4
	s_add_i32 s31, s31, 48
	;; [unrolled: 1-line block ×3, first 2 shown]
	v_cmp_eq_u32_e64 s[4:5], s33, v14
	s_or_b64 s[26:27], s[4:5], s[26:27]
	s_waitcnt vmcnt(3)
	v_mul_hi_u32 v17, v21, v10
	v_add_u32_e32 v17, v10, v17
	v_lshrrev_b32_e32 v17, v22, v17
	v_mul_lo_u32 v19, v17, v20
	s_waitcnt vmcnt(2)
	v_mul_hi_u32 v20, v24, v17
	v_sub_u32_e32 v10, v10, v19
	v_add_u32_e32 v19, v17, v20
	v_lshrrev_b32_e32 v19, v25, v19
	v_mul_lo_u32 v20, v19, v23
	v_mul_hi_u32 v21, v27, v19
	v_sub_u32_e32 v17, v17, v20
	v_add_u32_e32 v20, v19, v21
	s_waitcnt vmcnt(0)
	v_mul_lo_u32 v10, v10, v32
	v_mul_lo_u32 v17, v17, v33
	v_lshrrev_b32_e32 v20, v28, v20
	v_add3_u32 v16, v10, v16, v17
	v_mul_lo_u32 v10, v20, v26
	v_mul_hi_u32 v17, v30, v20
	v_sub_u32_e32 v10, v19, v10
	v_add_u32_e32 v17, v20, v17
	v_mul_lo_u32 v19, v10, v34
	v_lshrrev_b32_e32 v10, v31, v17
	v_mul_lo_u32 v17, v10, v29
	v_sub_u32_e32 v17, v20, v17
	v_mul_lo_u32 v17, v17, v35
	v_add3_u32 v16, v19, v16, v17
	s_andn2_b64 exec, exec, s[26:27]
	s_cbranch_execnz .LBB545_39
; %bb.40:
	s_or_b64 exec, exec, s[26:27]
.LBB545_41:
	s_or_b64 exec, exec, s[24:25]
	v_and_b32_e32 v15, 3, v15
	v_cmp_ne_u32_e64 s[4:5], 0, v15
	s_and_saveexec_b64 s[24:25], s[4:5]
	s_cbranch_execz .LBB545_45
; %bb.42:
	v_mov_b32_e32 v17, 0
	v_lshl_add_u32 v19, v14, 2, v17
	v_add_u32_e32 v19, 0xe0, v19
	v_mad_u32_u24 v14, v14, 12, v17
	s_mov_b64 s[26:27], 0
.LBB545_43:                             ; =>This Inner Loop Header: Depth=1
	v_add_u32_e32 v17, 32, v14
	scratch_load_dwordx3 v[20:22], v17, off
	scratch_load_dword v23, v19, off
	v_add_u32_e32 v15, -1, v15
	v_cmp_eq_u32_e64 s[4:5], 0, v15
	v_add_u32_e32 v19, 4, v19
	v_add_u32_e32 v14, 12, v14
	s_or_b64 s[26:27], s[4:5], s[26:27]
	s_waitcnt vmcnt(1)
	v_mul_hi_u32 v17, v21, v10
	v_add_u32_e32 v17, v10, v17
	v_lshrrev_b32_e32 v17, v22, v17
	v_mul_lo_u32 v20, v17, v20
	v_sub_u32_e32 v20, v10, v20
	v_mov_b32_e32 v10, v17
	s_waitcnt vmcnt(0)
	v_mad_u64_u32 v[16:17], s[4:5], v20, v23, v[16:17]
	s_andn2_b64 exec, exec, s[26:27]
	s_cbranch_execnz .LBB545_43
; %bb.44:
	s_or_b64 exec, exec, s[26:27]
.LBB545_45:
	s_or_b64 exec, exec, s[24:25]
.LBB545_46:
	s_or_b64 exec, exec, s[22:23]
                                        ; implicit-def: $vgpr10
.LBB545_47:
	s_andn2_saveexec_b64 s[4:5], s[14:15]
	s_cbranch_execz .LBB545_51
; %bb.48:
	v_mul_hi_u32 v14, v4, v10
	v_add_u32_e32 v14, v10, v14
	v_lshrrev_b32_e32 v14, v5, v14
	v_mul_lo_u32 v15, v14, v3
	v_sub_u32_e32 v10, v10, v15
	s_waitcnt vmcnt(3)
	v_mul_lo_u32 v16, v10, v12
	s_and_saveexec_b64 s[14:15], vcc
	s_cbranch_execz .LBB545_50
; %bb.49:
	s_waitcnt vmcnt(2)
	v_mul_hi_u32 v10, v14, v7
	v_add_u32_e32 v10, v14, v10
	v_lshrrev_b32_e32 v10, v8, v10
	v_mul_lo_u32 v10, v10, v6
	v_sub_u32_e32 v10, v14, v10
	v_mad_u64_u32 v[16:17], s[22:23], v10, v13, v[16:17]
.LBB545_50:
	s_or_b64 exec, exec, s[14:15]
.LBB545_51:
	s_or_b64 exec, exec, s[4:5]
	v_mov_b32_e32 v17, 0
	v_lshl_add_u64 v[14:15], v[16:17], 1, s[20:21]
	global_load_ushort v15, v[14:15], off
	v_or_b32_e32 v10, 0x300, v0
	v_cmp_gt_u32_e64 s[4:5], s29, v10
	s_and_saveexec_b64 s[14:15], s[4:5]
	s_cbranch_execz .LBB545_69
; %bb.52:
	v_add_u32_e32 v10, s28, v10
                                        ; implicit-def: $vgpr16
	s_and_saveexec_b64 s[4:5], s[2:3]
	s_xor_b64 s[4:5], exec, s[4:5]
	s_cbranch_execz .LBB545_64
; %bb.53:
	v_mov_b32_e32 v16, 0
	s_and_saveexec_b64 s[22:23], s[10:11]
	s_cbranch_execz .LBB545_63
; %bb.54:
	v_add_u32_e32 v3, 1, v2
	v_cmp_ne_u32_e64 s[2:3], 2, v18
	v_mov_b32_e32 v16, 0
	v_mov_b32_e32 v2, 0
	s_and_saveexec_b64 s[10:11], s[2:3]
	s_cbranch_execz .LBB545_58
; %bb.55:
	v_and_b32_e32 v2, 28, v3
	s_mov_b32 s26, 0
	s_mov_b64 s[24:25], 0
	v_mov_b32_e32 v16, 0
	s_mov_b32 s27, 0
	s_mov_b32 s30, 0
.LBB545_56:                             ; =>This Inner Loop Header: Depth=1
	s_add_i32 s31, s27, 32
	s_add_i32 s3, s26, 0xe0
	;; [unrolled: 1-line block ×4, first 2 shown]
	scratch_load_dwordx4 v[4:7], off, s31
	scratch_load_dwordx4 v[18:21], off, s33
	scratch_load_dwordx4 v[22:25], off, s2
	scratch_load_dwordx4 v[26:29], off, s3
	s_add_i32 s30, s30, 4
	s_add_i32 s27, s27, 48
	;; [unrolled: 1-line block ×3, first 2 shown]
	v_cmp_eq_u32_e64 s[2:3], s30, v2
	s_or_b64 s[24:25], s[2:3], s[24:25]
	s_waitcnt vmcnt(3)
	v_mul_hi_u32 v5, v5, v10
	v_add_u32_e32 v5, v10, v5
	v_lshrrev_b32_e32 v5, v6, v5
	s_waitcnt vmcnt(2)
	v_mul_hi_u32 v6, v18, v5
	v_add_u32_e32 v6, v5, v6
	v_lshrrev_b32_e32 v6, v19, v6
	v_mul_lo_u32 v4, v5, v4
	v_mul_lo_u32 v7, v6, v7
	v_mul_hi_u32 v8, v21, v6
	v_sub_u32_e32 v4, v10, v4
	v_sub_u32_e32 v5, v5, v7
	v_add_u32_e32 v7, v6, v8
	s_waitcnt vmcnt(0)
	v_mul_lo_u32 v4, v4, v26
	v_mul_lo_u32 v5, v5, v27
	v_lshrrev_b32_e32 v7, v22, v7
	v_add3_u32 v4, v4, v16, v5
	v_mul_lo_u32 v5, v7, v20
	v_mul_hi_u32 v8, v24, v7
	v_sub_u32_e32 v5, v6, v5
	v_add_u32_e32 v6, v7, v8
	v_lshrrev_b32_e32 v10, v25, v6
	v_mul_lo_u32 v6, v10, v23
	v_sub_u32_e32 v6, v7, v6
	v_mul_lo_u32 v5, v5, v28
	v_mul_lo_u32 v6, v6, v29
	v_add3_u32 v16, v5, v4, v6
	s_andn2_b64 exec, exec, s[24:25]
	s_cbranch_execnz .LBB545_56
; %bb.57:
	s_or_b64 exec, exec, s[24:25]
.LBB545_58:
	s_or_b64 exec, exec, s[10:11]
	v_and_b32_e32 v3, 3, v3
	v_cmp_ne_u32_e64 s[2:3], 0, v3
	s_and_saveexec_b64 s[10:11], s[2:3]
	s_cbranch_execz .LBB545_62
; %bb.59:
	v_mov_b32_e32 v5, 0
	v_lshl_add_u32 v4, v2, 2, v5
	v_add_u32_e32 v4, 0xe0, v4
	v_mad_u32_u24 v2, v2, 12, v5
	s_mov_b64 s[24:25], 0
.LBB545_60:                             ; =>This Inner Loop Header: Depth=1
	v_add_u32_e32 v5, 32, v2
	scratch_load_dwordx3 v[6:8], v5, off
	scratch_load_dword v12, v4, off
	v_add_u32_e32 v3, -1, v3
	v_cmp_eq_u32_e64 s[2:3], 0, v3
	v_add_u32_e32 v4, 4, v4
	v_add_u32_e32 v2, 12, v2
	s_or_b64 s[24:25], s[2:3], s[24:25]
	s_waitcnt vmcnt(1)
	v_mul_hi_u32 v5, v7, v10
	v_add_u32_e32 v5, v10, v5
	v_lshrrev_b32_e32 v5, v8, v5
	v_mul_lo_u32 v6, v5, v6
	v_sub_u32_e32 v6, v10, v6
	v_mov_b32_e32 v10, v5
	s_waitcnt vmcnt(0)
	v_mad_u64_u32 v[16:17], s[2:3], v6, v12, v[16:17]
	s_andn2_b64 exec, exec, s[24:25]
	s_cbranch_execnz .LBB545_60
; %bb.61:
	s_or_b64 exec, exec, s[24:25]
.LBB545_62:
	s_or_b64 exec, exec, s[10:11]
.LBB545_63:
	s_or_b64 exec, exec, s[22:23]
                                        ; implicit-def: $vgpr2_vgpr3_vgpr4_vgpr5
                                        ; implicit-def: $vgpr10
                                        ; implicit-def: $vgpr12_vgpr13
                                        ; implicit-def: $vgpr6_vgpr7_vgpr8
.LBB545_64:
	s_andn2_saveexec_b64 s[2:3], s[4:5]
	s_cbranch_execz .LBB545_68
; %bb.65:
	v_mul_hi_u32 v2, v4, v10
	v_add_u32_e32 v2, v10, v2
	v_lshrrev_b32_e32 v2, v5, v2
	v_mul_lo_u32 v3, v2, v3
	v_sub_u32_e32 v3, v10, v3
	s_waitcnt vmcnt(4)
	v_mul_lo_u32 v16, v3, v12
	s_and_saveexec_b64 s[4:5], vcc
	s_cbranch_execz .LBB545_67
; %bb.66:
	s_waitcnt vmcnt(3)
	v_mul_hi_u32 v3, v2, v7
	v_add_u32_e32 v3, v2, v3
	v_lshrrev_b32_e32 v3, v8, v3
	v_mul_lo_u32 v3, v3, v6
	v_sub_u32_e32 v2, v2, v3
	v_mad_u64_u32 v[16:17], s[10:11], v2, v13, v[16:17]
.LBB545_67:
	s_or_b64 exec, exec, s[4:5]
.LBB545_68:
	s_or_b64 exec, exec, s[2:3]
	v_mov_b32_e32 v17, 0
	v_lshl_add_u64 v[2:3], v[16:17], 1, s[20:21]
	global_load_ushort v2, v[2:3], off
	s_waitcnt vmcnt(0)
	v_lshlrev_b32_e32 v17, 16, v2
.LBB545_69:
	s_or_b64 exec, exec, s[14:15]
.LBB545_70:
	s_or_b64 exec, exec, s[12:13]
.LBB545_71:
	s_or_b64 exec, exec, s[8:9]
.LBB545_72:
	s_or_b64 exec, exec, s[6:7]
	v_mov_b32_e32 v18, 0
	s_waitcnt vmcnt(2)
	v_mov_b32_e32 v12, 0
	v_mov_b32_e32 v16, 0
	s_and_saveexec_b64 s[2:3], s[0:1]
	s_cbranch_execz .LBB545_74
; %bb.73:
	s_waitcnt vmcnt(0)
	v_lshlrev_b32_e32 v1, 16, v1
	v_frexp_exp_i32_f32_e32 v16, v1
	v_frexp_mant_f32_e32 v1, v1
	v_bfe_u32 v2, v1, 16, 1
	s_movk_i32 s4, 0x7fff
	v_add3_u32 v2, v1, v2, s4
	v_cmp_o_f32_e32 vcc, v1, v1
	v_mov_b32_e32 v1, 0x7fc0
	s_nop 0
	v_cndmask_b32_sdwa v18, v1, v2, vcc dst_sel:DWORD dst_unused:UNUSED_PAD src0_sel:DWORD src1_sel:WORD_1
.LBB545_74:
	s_or_b64 exec, exec, s[2:3]
	v_or_b32_e32 v19, 0x100, v0
	v_cmp_gt_i32_e64 s[6:7], s29, v19
	v_mov_b32_e32 v13, 0
	s_and_saveexec_b64 s[2:3], s[6:7]
	s_cbranch_execz .LBB545_76
; %bb.75:
	s_waitcnt vmcnt(0)
	v_lshlrev_b32_e32 v1, 16, v11
	v_frexp_exp_i32_f32_e32 v12, v1
	v_frexp_mant_f32_e32 v1, v1
	v_bfe_u32 v2, v1, 16, 1
	s_movk_i32 s4, 0x7fff
	v_add3_u32 v2, v1, v2, s4
	v_cmp_o_f32_e32 vcc, v1, v1
	v_mov_b32_e32 v1, 0x7fc0
	s_nop 0
	v_cndmask_b32_sdwa v13, v1, v2, vcc dst_sel:DWORD dst_unused:UNUSED_PAD src0_sel:DWORD src1_sel:WORD_1
.LBB545_76:
	s_or_b64 exec, exec, s[2:3]
	v_or_b32_e32 v14, 0x200, v0
	v_cmp_gt_i32_e64 s[4:5], s29, v14
	s_waitcnt vmcnt(1)
	v_mov_b32_e32 v8, 0
	v_mov_b32_e32 v4, 0
	;; [unrolled: 1-line block ×3, first 2 shown]
	s_and_saveexec_b64 s[2:3], s[4:5]
	s_cbranch_execz .LBB545_78
; %bb.77:
	s_waitcnt vmcnt(0)
	v_lshlrev_b32_e32 v1, 16, v15
	v_frexp_exp_i32_f32_e32 v6, v1
	v_frexp_mant_f32_e32 v1, v1
	v_bfe_u32 v2, v1, 16, 1
	s_movk_i32 s8, 0x7fff
	v_add3_u32 v2, v1, v2, s8
	v_cmp_o_f32_e32 vcc, v1, v1
	v_mov_b32_e32 v1, 0x7fc0
	s_nop 0
	v_cndmask_b32_sdwa v8, v1, v2, vcc dst_sel:DWORD dst_unused:UNUSED_PAD src0_sel:DWORD src1_sel:WORD_1
.LBB545_78:
	s_or_b64 exec, exec, s[2:3]
	v_or_b32_e32 v10, 0x300, v0
	v_cmp_gt_i32_e64 s[2:3], s29, v10
	v_mov_b32_e32 v5, 0
	s_and_saveexec_b64 s[8:9], s[2:3]
	s_cbranch_execz .LBB545_80
; %bb.79:
	v_frexp_mant_f32_e32 v0, v17
	s_waitcnt vmcnt(0)
	v_bfe_u32 v1, v0, 16, 1
	s_movk_i32 s10, 0x7fff
	v_add3_u32 v1, v0, v1, s10
	v_cmp_o_f32_e32 vcc, v0, v0
	v_mov_b32_e32 v0, 0x7fc0
	v_frexp_exp_i32_f32_e32 v4, v17
	v_cndmask_b32_sdwa v5, v0, v1, vcc dst_sel:DWORD dst_unused:UNUSED_PAD src0_sel:DWORD src1_sel:WORD_1
.LBB545_80:
	s_or_b64 exec, exec, s[8:9]
	s_and_saveexec_b64 s[8:9], s[0:1]
	s_xor_b64 s[8:9], exec, s[8:9]
	s_cbranch_execz .LBB545_149
; %bb.81:
	scratch_load_dword v7, off, off offset:288
                                        ; implicit-def: $vgpr2
                                        ; implicit-def: $vgpr0
	s_waitcnt vmcnt(0)
	v_add_u32_e32 v11, -1, v7
	v_cmp_lt_u32_e32 vcc, 1, v11
	s_and_saveexec_b64 s[0:1], vcc
	s_xor_b64 s[8:9], exec, s[0:1]
	s_cbranch_execz .LBB545_93
; %bb.82:
	v_mov_b32_e32 v2, 0
	v_cmp_ne_u32_e64 s[0:1], 0, v7
	v_mov_b32_e32 v0, 0
	s_and_saveexec_b64 s[10:11], s[0:1]
	s_cbranch_execz .LBB545_92
; %bb.83:
	v_min_u32_e32 v0, 15, v11
	v_add_u32_e32 v15, 1, v0
	v_mov_b32_e32 v0, 0
	v_cmp_ne_u32_e64 s[0:1], 2, v11
	s_mov_b32 s20, 0
	v_mov_b32_e32 v1, v0
	v_mov_b32_e32 v3, v0
                                        ; implicit-def: $vgpr2
	s_and_saveexec_b64 s[12:13], s[0:1]
	s_cbranch_execz .LBB545_87
; %bb.84:
	v_and_b32_e32 v3, 28, v15
	s_mov_b64 s[14:15], 0
	v_mov_b32_e32 v0, 0
	v_mov_b32_e32 v2, 0
	s_mov_b32 s21, 0
	s_mov_b32 s22, 0
.LBB545_85:                             ; =>This Inner Loop Header: Depth=1
	s_add_i32 s23, s21, 0x124
	s_add_i32 s24, s20, 0x1e4
	;; [unrolled: 1-line block ×5, first 2 shown]
	scratch_load_dwordx4 v[20:23], off, s23
	scratch_load_dwordx4 v[24:27], off, s25
	;; [unrolled: 1-line block ×5, first 2 shown]
	s_add_i32 s22, s22, 4
	s_add_i32 s21, s21, 48
	;; [unrolled: 1-line block ×3, first 2 shown]
	v_cmp_eq_u32_e64 s[0:1], s22, v3
	s_or_b64 s[14:15], s[0:1], s[14:15]
	s_waitcnt vmcnt(4)
	v_mul_hi_u32 v1, v21, v9
	v_add_u32_e32 v1, v9, v1
	v_lshrrev_b32_e32 v1, v22, v1
	v_mul_lo_u32 v17, v1, v20
	s_waitcnt vmcnt(3)
	v_mul_hi_u32 v20, v24, v1
	v_sub_u32_e32 v9, v9, v17
	v_add_u32_e32 v17, v1, v20
	v_lshrrev_b32_e32 v17, v25, v17
	v_mul_lo_u32 v21, v17, v23
	v_mul_hi_u32 v22, v27, v17
	v_sub_u32_e32 v1, v1, v21
	v_add_u32_e32 v21, v17, v22
	s_waitcnt vmcnt(2)
	v_mul_lo_u32 v20, v9, v29
	v_mul_lo_u32 v9, v9, v28
	;; [unrolled: 1-line block ×4, first 2 shown]
	s_waitcnt vmcnt(1)
	v_lshrrev_b32_e32 v21, v32, v21
	v_add3_u32 v0, v9, v0, v1
	v_mul_hi_u32 v9, v34, v21
	v_add_u32_e32 v9, v21, v9
	v_lshrrev_b32_e32 v9, v35, v9
	v_add3_u32 v1, v20, v2, v22
	v_mul_lo_u32 v2, v21, v26
	v_mul_lo_u32 v20, v9, v33
	v_sub_u32_e32 v2, v17, v2
	v_sub_u32_e32 v20, v21, v20
	s_waitcnt vmcnt(0)
	v_mul_lo_u32 v17, v2, v36
	v_mul_lo_u32 v2, v2, v37
	;; [unrolled: 1-line block ×4, first 2 shown]
	v_add3_u32 v2, v2, v1, v20
	v_add3_u32 v0, v17, v0, v21
	s_andn2_b64 exec, exec, s[14:15]
	s_cbranch_execnz .LBB545_85
; %bb.86:
	s_or_b64 exec, exec, s[14:15]
	v_mov_b32_e32 v1, v2
.LBB545_87:
	s_or_b64 exec, exec, s[12:13]
	v_and_b32_e32 v15, 3, v15
	v_cmp_ne_u32_e64 s[0:1], 0, v15
	s_and_saveexec_b64 s[12:13], s[0:1]
	s_cbranch_execz .LBB545_91
; %bb.88:
	v_mov_b32_e32 v2, 0
	v_lshl_add_u32 v17, v3, 3, v2
	v_add_u32_e32 v17, 0x1e4, v17
	v_mad_u32_u24 v20, v3, 12, v2
	s_mov_b64 s[14:15], 0
.LBB545_89:                             ; =>This Inner Loop Header: Depth=1
	v_add_u32_e32 v2, 0x124, v20
	scratch_load_dwordx3 v[22:24], v2, off
	scratch_load_dwordx2 v[26:27], v17, off
	v_mov_b32_e32 v2, v1
	v_add_u32_e32 v15, -1, v15
	v_cmp_eq_u32_e64 s[0:1], 0, v15
	s_or_b64 s[14:15], s[0:1], s[14:15]
	v_add_u32_e32 v17, 8, v17
	v_add_u32_e32 v20, 12, v20
	s_waitcnt vmcnt(1)
	v_mul_hi_u32 v1, v23, v9
	v_add_u32_e32 v1, v9, v1
	v_lshrrev_b32_e32 v1, v24, v1
	v_mul_lo_u32 v3, v1, v22
	v_sub_u32_e32 v21, v9, v3
	v_mov_b32_e32 v9, v1
	s_waitcnt vmcnt(0)
	v_mad_u64_u32 v[2:3], s[0:1], v21, v27, v[2:3]
	v_mad_u64_u32 v[0:1], s[0:1], v21, v26, v[0:1]
	v_mov_b32_e32 v1, v2
	s_andn2_b64 exec, exec, s[14:15]
	s_cbranch_execnz .LBB545_89
; %bb.90:
	s_or_b64 exec, exec, s[14:15]
.LBB545_91:
	s_or_b64 exec, exec, s[12:13]
.LBB545_92:
	s_or_b64 exec, exec, s[10:11]
                                        ; implicit-def: $vgpr9
.LBB545_93:
	s_andn2_saveexec_b64 s[8:9], s[8:9]
	s_cbranch_execz .LBB545_97
; %bb.94:
	scratch_load_dwordx3 v[0:2], off, off offset:292
	scratch_load_dwordx2 v[20:21], off, off offset:484
	v_cmp_lt_u32_e64 s[0:1], 1, v7
	s_waitcnt vmcnt(1)
	v_mul_hi_u32 v1, v1, v9
	v_add_u32_e32 v1, v9, v1
	v_lshrrev_b32_e32 v1, v2, v1
	v_mul_lo_u32 v0, v1, v0
	v_sub_u32_e32 v0, v9, v0
	s_waitcnt vmcnt(0)
	v_mul_lo_u32 v2, v0, v21
	v_mul_lo_u32 v0, v0, v20
	s_and_saveexec_b64 s[10:11], s[0:1]
	s_cbranch_execz .LBB545_96
; %bb.95:
	scratch_load_dwordx3 v[20:22], off, off offset:304
	scratch_load_dwordx2 v[24:25], off, off offset:492
	s_waitcnt vmcnt(1)
	v_mul_hi_u32 v3, v21, v1
	v_add_u32_e32 v3, v1, v3
	v_lshrrev_b32_e32 v3, v22, v3
	v_mul_lo_u32 v3, v3, v20
	v_sub_u32_e32 v3, v1, v3
	s_waitcnt vmcnt(0)
	v_mad_u64_u32 v[0:1], s[0:1], v3, v24, v[0:1]
	v_mad_u64_u32 v[2:3], s[0:1], v3, v25, v[2:3]
.LBB545_96:
	s_or_b64 exec, exec, s[10:11]
.LBB545_97:
	s_or_b64 exec, exec, s[8:9]
	v_mov_b32_e32 v1, 0
	v_mov_b32_e32 v3, v1
	v_lshl_add_u64 v[20:21], v[0:1], 1, s[16:17]
	v_lshl_add_u64 v[0:1], v[2:3], 2, s[18:19]
	global_store_short v[20:21], v18, off
	global_store_dword v[0:1], v16, off
	s_and_saveexec_b64 s[0:1], s[6:7]
	s_cbranch_execz .LBB545_149
; %bb.98:
	v_add_u32_e32 v9, s28, v19
                                        ; implicit-def: $vgpr2
                                        ; implicit-def: $vgpr0
	s_and_saveexec_b64 s[0:1], vcc
	s_xor_b64 s[6:7], exec, s[0:1]
	s_cbranch_execz .LBB545_110
; %bb.99:
	v_mov_b32_e32 v2, 0
	v_cmp_ne_u32_e64 s[0:1], 0, v7
	v_mov_b32_e32 v0, 0
	s_and_saveexec_b64 s[8:9], s[0:1]
	s_cbranch_execz .LBB545_109
; %bb.100:
	v_min_u32_e32 v0, 15, v11
	v_add_u32_e32 v15, 1, v0
	v_mov_b32_e32 v0, 0
	v_cmp_ne_u32_e64 s[0:1], 2, v11
	s_mov_b32 s14, 0
	v_mov_b32_e32 v1, v0
	v_mov_b32_e32 v3, v0
                                        ; implicit-def: $vgpr2
	s_and_saveexec_b64 s[10:11], s[0:1]
	s_cbranch_execz .LBB545_104
; %bb.101:
	v_and_b32_e32 v3, 28, v15
	s_mov_b64 s[12:13], 0
	v_mov_b32_e32 v0, 0
	v_mov_b32_e32 v2, 0
	s_mov_b32 s15, 0
	s_mov_b32 s20, 0
.LBB545_102:                            ; =>This Inner Loop Header: Depth=1
	s_add_i32 s21, s15, 0x124
	s_add_i32 s22, s14, 0x1e4
	;; [unrolled: 1-line block ×5, first 2 shown]
	scratch_load_dwordx4 v[16:19], off, s21
	scratch_load_dwordx4 v[20:23], off, s23
	;; [unrolled: 1-line block ×5, first 2 shown]
	s_add_i32 s20, s20, 4
	s_add_i32 s15, s15, 48
	;; [unrolled: 1-line block ×3, first 2 shown]
	v_cmp_eq_u32_e64 s[0:1], s20, v3
	s_or_b64 s[12:13], s[0:1], s[12:13]
	s_waitcnt vmcnt(4)
	v_mul_hi_u32 v1, v17, v9
	v_add_u32_e32 v1, v9, v1
	v_lshrrev_b32_e32 v1, v18, v1
	v_mul_lo_u32 v16, v1, v16
	s_waitcnt vmcnt(3)
	v_mul_hi_u32 v17, v20, v1
	v_sub_u32_e32 v9, v9, v16
	v_add_u32_e32 v16, v1, v17
	v_lshrrev_b32_e32 v16, v21, v16
	v_mul_lo_u32 v18, v16, v19
	v_mul_hi_u32 v19, v23, v16
	v_sub_u32_e32 v1, v1, v18
	v_add_u32_e32 v18, v16, v19
	s_waitcnt vmcnt(2)
	v_mul_lo_u32 v17, v9, v25
	v_mul_lo_u32 v9, v9, v24
	;; [unrolled: 1-line block ×4, first 2 shown]
	s_waitcnt vmcnt(1)
	v_lshrrev_b32_e32 v18, v28, v18
	v_add3_u32 v0, v9, v0, v1
	v_mul_hi_u32 v9, v30, v18
	v_add_u32_e32 v9, v18, v9
	v_lshrrev_b32_e32 v9, v31, v9
	v_add3_u32 v1, v17, v2, v19
	v_mul_lo_u32 v2, v18, v22
	v_mul_lo_u32 v17, v9, v29
	v_sub_u32_e32 v2, v16, v2
	v_sub_u32_e32 v17, v18, v17
	s_waitcnt vmcnt(0)
	v_mul_lo_u32 v16, v2, v32
	v_mul_lo_u32 v2, v2, v33
	;; [unrolled: 1-line block ×4, first 2 shown]
	v_add3_u32 v2, v2, v1, v17
	v_add3_u32 v0, v16, v0, v18
	s_andn2_b64 exec, exec, s[12:13]
	s_cbranch_execnz .LBB545_102
; %bb.103:
	s_or_b64 exec, exec, s[12:13]
	v_mov_b32_e32 v1, v2
.LBB545_104:
	s_or_b64 exec, exec, s[10:11]
	v_and_b32_e32 v15, 3, v15
	v_cmp_ne_u32_e64 s[0:1], 0, v15
	s_and_saveexec_b64 s[10:11], s[0:1]
	s_cbranch_execz .LBB545_108
; %bb.105:
	v_mov_b32_e32 v2, 0
	v_lshl_add_u32 v16, v3, 3, v2
	v_add_u32_e32 v16, 0x1e4, v16
	v_mad_u32_u24 v17, v3, 12, v2
	s_mov_b64 s[12:13], 0
.LBB545_106:                            ; =>This Inner Loop Header: Depth=1
	v_add_u32_e32 v2, 0x124, v17
	scratch_load_dwordx3 v[18:20], v2, off
	scratch_load_dwordx2 v[22:23], v16, off
	v_mov_b32_e32 v2, v1
	v_add_u32_e32 v15, -1, v15
	v_cmp_eq_u32_e64 s[0:1], 0, v15
	s_or_b64 s[12:13], s[0:1], s[12:13]
	v_add_u32_e32 v16, 8, v16
	v_add_u32_e32 v17, 12, v17
	s_waitcnt vmcnt(1)
	v_mul_hi_u32 v1, v19, v9
	v_add_u32_e32 v1, v9, v1
	v_lshrrev_b32_e32 v1, v20, v1
	v_mul_lo_u32 v3, v1, v18
	v_sub_u32_e32 v18, v9, v3
	v_mov_b32_e32 v9, v1
	s_waitcnt vmcnt(0)
	v_mad_u64_u32 v[2:3], s[0:1], v18, v23, v[2:3]
	v_mad_u64_u32 v[0:1], s[0:1], v18, v22, v[0:1]
	v_mov_b32_e32 v1, v2
	s_andn2_b64 exec, exec, s[12:13]
	s_cbranch_execnz .LBB545_106
; %bb.107:
	s_or_b64 exec, exec, s[12:13]
.LBB545_108:
	s_or_b64 exec, exec, s[10:11]
.LBB545_109:
	s_or_b64 exec, exec, s[8:9]
                                        ; implicit-def: $vgpr9
.LBB545_110:
	s_andn2_saveexec_b64 s[6:7], s[6:7]
	s_cbranch_execz .LBB545_114
; %bb.111:
	scratch_load_dwordx3 v[0:2], off, off offset:292
	scratch_load_dwordx2 v[16:17], off, off offset:484
	v_cmp_lt_u32_e64 s[0:1], 1, v7
	s_waitcnt vmcnt(1)
	v_mul_hi_u32 v1, v1, v9
	v_add_u32_e32 v1, v9, v1
	v_lshrrev_b32_e32 v1, v2, v1
	v_mul_lo_u32 v0, v1, v0
	v_sub_u32_e32 v0, v9, v0
	s_waitcnt vmcnt(0)
	v_mul_lo_u32 v2, v0, v17
	v_mul_lo_u32 v0, v0, v16
	s_and_saveexec_b64 s[8:9], s[0:1]
	s_cbranch_execz .LBB545_113
; %bb.112:
	scratch_load_dwordx3 v[16:18], off, off offset:304
	scratch_load_dwordx2 v[20:21], off, off offset:492
	s_waitcnt vmcnt(1)
	v_mul_hi_u32 v3, v17, v1
	v_add_u32_e32 v3, v1, v3
	v_lshrrev_b32_e32 v3, v18, v3
	v_mul_lo_u32 v3, v3, v16
	v_sub_u32_e32 v3, v1, v3
	s_waitcnt vmcnt(0)
	v_mad_u64_u32 v[0:1], s[0:1], v3, v20, v[0:1]
	v_mad_u64_u32 v[2:3], s[0:1], v3, v21, v[2:3]
.LBB545_113:
	s_or_b64 exec, exec, s[8:9]
.LBB545_114:
	s_or_b64 exec, exec, s[6:7]
	v_mov_b32_e32 v1, 0
	v_mov_b32_e32 v3, v1
	v_lshl_add_u64 v[16:17], v[0:1], 1, s[16:17]
	v_lshl_add_u64 v[0:1], v[2:3], 2, s[18:19]
	global_store_short v[16:17], v13, off
	global_store_dword v[0:1], v12, off
	s_and_b64 exec, exec, s[4:5]
	s_cbranch_execz .LBB545_149
; %bb.115:
	v_add_u32_e32 v9, s28, v14
                                        ; implicit-def: $vgpr2
                                        ; implicit-def: $vgpr0
	s_and_saveexec_b64 s[0:1], vcc
	s_xor_b64 s[4:5], exec, s[0:1]
	s_cbranch_execz .LBB545_127
; %bb.116:
	v_mov_b32_e32 v2, 0
	v_cmp_ne_u32_e64 s[0:1], 0, v7
	v_mov_b32_e32 v0, 0
	s_and_saveexec_b64 s[6:7], s[0:1]
	s_cbranch_execz .LBB545_126
; %bb.117:
	v_min_u32_e32 v0, 15, v11
	v_add_u32_e32 v12, 1, v0
	v_mov_b32_e32 v0, 0
	v_cmp_ne_u32_e64 s[0:1], 2, v11
	s_mov_b32 s12, 0
	v_mov_b32_e32 v1, v0
	v_mov_b32_e32 v3, v0
                                        ; implicit-def: $vgpr2
	s_and_saveexec_b64 s[8:9], s[0:1]
	s_cbranch_execz .LBB545_121
; %bb.118:
	v_and_b32_e32 v3, 28, v12
	s_mov_b64 s[10:11], 0
	v_mov_b32_e32 v0, 0
	v_mov_b32_e32 v2, 0
	s_mov_b32 s13, 0
	s_mov_b32 s14, 0
.LBB545_119:                            ; =>This Inner Loop Header: Depth=1
	s_add_i32 s15, s13, 0x124
	s_add_i32 s20, s12, 0x1e4
	;; [unrolled: 1-line block ×5, first 2 shown]
	scratch_load_dwordx4 v[14:17], off, s15
	scratch_load_dwordx4 v[18:21], off, s21
	;; [unrolled: 1-line block ×5, first 2 shown]
	s_add_i32 s14, s14, 4
	s_add_i32 s13, s13, 48
	;; [unrolled: 1-line block ×3, first 2 shown]
	v_cmp_eq_u32_e64 s[0:1], s14, v3
	s_or_b64 s[10:11], s[0:1], s[10:11]
	s_waitcnt vmcnt(4)
	v_mul_hi_u32 v1, v15, v9
	v_add_u32_e32 v1, v9, v1
	v_lshrrev_b32_e32 v1, v16, v1
	v_mul_lo_u32 v13, v1, v14
	s_waitcnt vmcnt(3)
	v_mul_hi_u32 v14, v18, v1
	v_sub_u32_e32 v9, v9, v13
	v_add_u32_e32 v13, v1, v14
	v_lshrrev_b32_e32 v13, v19, v13
	v_mul_lo_u32 v15, v13, v17
	v_mul_hi_u32 v16, v21, v13
	v_sub_u32_e32 v1, v1, v15
	v_add_u32_e32 v15, v13, v16
	s_waitcnt vmcnt(2)
	v_mul_lo_u32 v14, v9, v23
	v_mul_lo_u32 v9, v9, v22
	;; [unrolled: 1-line block ×4, first 2 shown]
	s_waitcnt vmcnt(1)
	v_lshrrev_b32_e32 v15, v26, v15
	v_add3_u32 v0, v9, v0, v1
	v_mul_hi_u32 v9, v28, v15
	v_add_u32_e32 v9, v15, v9
	v_lshrrev_b32_e32 v9, v29, v9
	v_add3_u32 v1, v14, v2, v16
	v_mul_lo_u32 v2, v15, v20
	v_mul_lo_u32 v14, v9, v27
	v_sub_u32_e32 v2, v13, v2
	v_sub_u32_e32 v14, v15, v14
	s_waitcnt vmcnt(0)
	v_mul_lo_u32 v13, v2, v30
	v_mul_lo_u32 v2, v2, v31
	;; [unrolled: 1-line block ×4, first 2 shown]
	v_add3_u32 v2, v2, v1, v14
	v_add3_u32 v0, v13, v0, v15
	s_andn2_b64 exec, exec, s[10:11]
	s_cbranch_execnz .LBB545_119
; %bb.120:
	s_or_b64 exec, exec, s[10:11]
	v_mov_b32_e32 v1, v2
.LBB545_121:
	s_or_b64 exec, exec, s[8:9]
	v_and_b32_e32 v12, 3, v12
	v_cmp_ne_u32_e64 s[0:1], 0, v12
	s_and_saveexec_b64 s[8:9], s[0:1]
	s_cbranch_execz .LBB545_125
; %bb.122:
	v_mov_b32_e32 v2, 0
	v_lshl_add_u32 v13, v3, 3, v2
	v_add_u32_e32 v13, 0x1e4, v13
	v_mad_u32_u24 v14, v3, 12, v2
	s_mov_b64 s[10:11], 0
.LBB545_123:                            ; =>This Inner Loop Header: Depth=1
	v_add_u32_e32 v2, 0x124, v14
	scratch_load_dwordx3 v[16:18], v2, off
	scratch_load_dwordx2 v[20:21], v13, off
	v_mov_b32_e32 v2, v1
	v_add_u32_e32 v12, -1, v12
	v_cmp_eq_u32_e64 s[0:1], 0, v12
	s_or_b64 s[10:11], s[0:1], s[10:11]
	v_add_u32_e32 v13, 8, v13
	v_add_u32_e32 v14, 12, v14
	s_waitcnt vmcnt(1)
	v_mul_hi_u32 v1, v17, v9
	v_add_u32_e32 v1, v9, v1
	v_lshrrev_b32_e32 v1, v18, v1
	v_mul_lo_u32 v3, v1, v16
	v_sub_u32_e32 v15, v9, v3
	v_mov_b32_e32 v9, v1
	s_waitcnt vmcnt(0)
	v_mad_u64_u32 v[2:3], s[0:1], v15, v21, v[2:3]
	v_mad_u64_u32 v[0:1], s[0:1], v15, v20, v[0:1]
	v_mov_b32_e32 v1, v2
	s_andn2_b64 exec, exec, s[10:11]
	s_cbranch_execnz .LBB545_123
; %bb.124:
	s_or_b64 exec, exec, s[10:11]
.LBB545_125:
	s_or_b64 exec, exec, s[8:9]
.LBB545_126:
	s_or_b64 exec, exec, s[6:7]
                                        ; implicit-def: $vgpr9
.LBB545_127:
	s_andn2_saveexec_b64 s[4:5], s[4:5]
	s_cbranch_execz .LBB545_131
; %bb.128:
	scratch_load_dwordx3 v[0:2], off, off offset:292
	scratch_load_dwordx2 v[12:13], off, off offset:484
	v_cmp_lt_u32_e64 s[0:1], 1, v7
	s_waitcnt vmcnt(1)
	v_mul_hi_u32 v1, v1, v9
	v_add_u32_e32 v1, v9, v1
	v_lshrrev_b32_e32 v1, v2, v1
	v_mul_lo_u32 v0, v1, v0
	v_sub_u32_e32 v0, v9, v0
	s_waitcnt vmcnt(0)
	v_mul_lo_u32 v2, v0, v13
	v_mul_lo_u32 v0, v0, v12
	s_and_saveexec_b64 s[6:7], s[0:1]
	s_cbranch_execz .LBB545_130
; %bb.129:
	scratch_load_dwordx3 v[12:14], off, off offset:304
	scratch_load_dwordx2 v[16:17], off, off offset:492
	s_waitcnt vmcnt(1)
	v_mul_hi_u32 v3, v13, v1
	v_add_u32_e32 v3, v1, v3
	v_lshrrev_b32_e32 v3, v14, v3
	v_mul_lo_u32 v3, v3, v12
	v_sub_u32_e32 v3, v1, v3
	s_waitcnt vmcnt(0)
	v_mad_u64_u32 v[0:1], s[0:1], v3, v16, v[0:1]
	v_mad_u64_u32 v[2:3], s[0:1], v3, v17, v[2:3]
.LBB545_130:
	s_or_b64 exec, exec, s[6:7]
.LBB545_131:
	s_or_b64 exec, exec, s[4:5]
	v_mov_b32_e32 v1, 0
	v_mov_b32_e32 v3, v1
	v_lshl_add_u64 v[12:13], v[0:1], 1, s[16:17]
	v_lshl_add_u64 v[0:1], v[2:3], 2, s[18:19]
	global_store_short v[12:13], v8, off
	global_store_dword v[0:1], v6, off
	s_and_b64 exec, exec, s[2:3]
	s_cbranch_execz .LBB545_149
; %bb.132:
	v_add_u32_e32 v6, s28, v10
                                        ; implicit-def: $vgpr2
                                        ; implicit-def: $vgpr0
	s_and_saveexec_b64 s[0:1], vcc
	s_xor_b64 s[0:1], exec, s[0:1]
	s_cbranch_execz .LBB545_144
; %bb.133:
	v_mov_b32_e32 v2, 0
	v_cmp_ne_u32_e32 vcc, 0, v7
	v_mov_b32_e32 v0, 0
	s_and_saveexec_b64 s[2:3], vcc
	s_cbranch_execz .LBB545_143
; %bb.134:
	v_min_u32_e32 v0, 15, v11
	v_add_u32_e32 v7, 1, v0
	v_mov_b32_e32 v0, 0
	v_cmp_ne_u32_e32 vcc, 2, v11
	s_mov_b32 s8, 0
	v_mov_b32_e32 v1, v0
	v_mov_b32_e32 v3, v0
                                        ; implicit-def: $vgpr2
	s_and_saveexec_b64 s[4:5], vcc
	s_cbranch_execz .LBB545_138
; %bb.135:
	v_and_b32_e32 v3, 28, v7
	s_mov_b64 s[6:7], 0
	v_mov_b32_e32 v0, 0
	v_mov_b32_e32 v2, 0
	s_mov_b32 s9, 0
	s_mov_b32 s10, 0
.LBB545_136:                            ; =>This Inner Loop Header: Depth=1
	s_add_i32 s13, s9, 0x124
	s_add_i32 s14, s8, 0x1e4
	;; [unrolled: 1-line block ×5, first 2 shown]
	scratch_load_dwordx4 v[8:11], off, s13
	scratch_load_dwordx4 v[12:15], off, s15
	;; [unrolled: 1-line block ×5, first 2 shown]
	s_add_i32 s10, s10, 4
	s_add_i32 s9, s9, 48
	;; [unrolled: 1-line block ×3, first 2 shown]
	v_cmp_eq_u32_e32 vcc, s10, v3
	s_or_b64 s[6:7], vcc, s[6:7]
	s_waitcnt vmcnt(4)
	v_mul_hi_u32 v1, v9, v6
	v_add_u32_e32 v1, v6, v1
	v_lshrrev_b32_e32 v1, v10, v1
	v_mul_lo_u32 v8, v1, v8
	s_waitcnt vmcnt(3)
	v_mul_hi_u32 v9, v12, v1
	v_sub_u32_e32 v6, v6, v8
	v_add_u32_e32 v8, v1, v9
	v_lshrrev_b32_e32 v8, v13, v8
	v_mul_lo_u32 v10, v8, v11
	v_mul_hi_u32 v11, v15, v8
	v_sub_u32_e32 v1, v1, v10
	v_add_u32_e32 v10, v8, v11
	s_waitcnt vmcnt(2)
	v_mul_lo_u32 v9, v6, v17
	v_mul_lo_u32 v6, v6, v16
	;; [unrolled: 1-line block ×4, first 2 shown]
	s_waitcnt vmcnt(1)
	v_lshrrev_b32_e32 v10, v20, v10
	v_add3_u32 v0, v6, v0, v1
	v_mul_hi_u32 v6, v22, v10
	v_add_u32_e32 v6, v10, v6
	v_lshrrev_b32_e32 v6, v23, v6
	v_add3_u32 v1, v9, v2, v11
	v_mul_lo_u32 v2, v10, v14
	v_mul_lo_u32 v9, v6, v21
	v_sub_u32_e32 v2, v8, v2
	v_sub_u32_e32 v9, v10, v9
	s_waitcnt vmcnt(0)
	v_mul_lo_u32 v8, v2, v24
	v_mul_lo_u32 v2, v2, v25
	;; [unrolled: 1-line block ×4, first 2 shown]
	v_add3_u32 v2, v2, v1, v9
	v_add3_u32 v0, v8, v0, v10
	s_andn2_b64 exec, exec, s[6:7]
	s_cbranch_execnz .LBB545_136
; %bb.137:
	s_or_b64 exec, exec, s[6:7]
	v_mov_b32_e32 v1, v2
.LBB545_138:
	s_or_b64 exec, exec, s[4:5]
	v_and_b32_e32 v7, 3, v7
	v_cmp_ne_u32_e32 vcc, 0, v7
	s_and_saveexec_b64 s[4:5], vcc
	s_cbranch_execz .LBB545_142
; %bb.139:
	v_mov_b32_e32 v2, 0
	v_lshl_add_u32 v8, v3, 3, v2
	v_add_u32_e32 v8, 0x1e4, v8
	v_mad_u32_u24 v9, v3, 12, v2
	s_mov_b64 s[6:7], 0
.LBB545_140:                            ; =>This Inner Loop Header: Depth=1
	v_add_u32_e32 v2, 0x124, v9
	scratch_load_dwordx3 v[10:12], v2, off
	scratch_load_dwordx2 v[14:15], v8, off
	v_mov_b32_e32 v2, v1
	v_add_u32_e32 v7, -1, v7
	v_cmp_eq_u32_e32 vcc, 0, v7
	v_add_u32_e32 v8, 8, v8
	v_add_u32_e32 v9, 12, v9
	s_or_b64 s[6:7], vcc, s[6:7]
	s_waitcnt vmcnt(1)
	v_mul_hi_u32 v1, v11, v6
	v_add_u32_e32 v1, v6, v1
	v_lshrrev_b32_e32 v1, v12, v1
	v_mul_lo_u32 v3, v1, v10
	v_sub_u32_e32 v10, v6, v3
	v_mov_b32_e32 v6, v1
	s_waitcnt vmcnt(0)
	v_mad_u64_u32 v[2:3], s[8:9], v10, v15, v[2:3]
	v_mad_u64_u32 v[0:1], s[8:9], v10, v14, v[0:1]
	v_mov_b32_e32 v1, v2
	s_andn2_b64 exec, exec, s[6:7]
	s_cbranch_execnz .LBB545_140
; %bb.141:
	s_or_b64 exec, exec, s[6:7]
.LBB545_142:
	s_or_b64 exec, exec, s[4:5]
.LBB545_143:
	s_or_b64 exec, exec, s[2:3]
                                        ; implicit-def: $vgpr6
                                        ; implicit-def: $vgpr7
.LBB545_144:
	s_andn2_saveexec_b64 s[0:1], s[0:1]
	s_cbranch_execz .LBB545_148
; %bb.145:
	scratch_load_dwordx3 v[0:2], off, off offset:292
	scratch_load_dwordx2 v[8:9], off, off offset:484
	v_cmp_lt_u32_e32 vcc, 1, v7
	s_waitcnt vmcnt(1)
	v_mul_hi_u32 v1, v1, v6
	v_add_u32_e32 v1, v6, v1
	v_lshrrev_b32_e32 v1, v2, v1
	v_mul_lo_u32 v0, v1, v0
	v_sub_u32_e32 v0, v6, v0
	s_waitcnt vmcnt(0)
	v_mul_lo_u32 v2, v0, v9
	v_mul_lo_u32 v0, v0, v8
	s_and_saveexec_b64 s[2:3], vcc
	s_cbranch_execz .LBB545_147
; %bb.146:
	scratch_load_dwordx3 v[6:8], off, off offset:304
	scratch_load_dwordx2 v[10:11], off, off offset:492
	s_waitcnt vmcnt(1)
	v_mul_hi_u32 v3, v7, v1
	v_add_u32_e32 v3, v1, v3
	v_lshrrev_b32_e32 v3, v8, v3
	v_mul_lo_u32 v3, v3, v6
	v_sub_u32_e32 v3, v1, v3
	s_waitcnt vmcnt(0)
	v_mad_u64_u32 v[0:1], s[4:5], v3, v10, v[0:1]
	v_mad_u64_u32 v[2:3], s[4:5], v3, v11, v[2:3]
.LBB545_147:
	s_or_b64 exec, exec, s[2:3]
.LBB545_148:
	s_or_b64 exec, exec, s[0:1]
	v_mov_b32_e32 v1, 0
	v_mov_b32_e32 v3, v1
	v_lshl_add_u64 v[6:7], v[0:1], 1, s[16:17]
	v_lshl_add_u64 v[0:1], v[2:3], 2, s[18:19]
	global_store_short v[6:7], v5, off
	global_store_dword v[0:1], v4, off
.LBB545_149:
	s_endpgm
	.section	.rodata,"a",@progbits
	.p2align	6, 0x0
	.amdhsa_kernel _ZN2at6native12_GLOBAL__N_145unrolled_elementwise_kernel_for_multi_outputsILi2EZZZNS0_17frexp_kernel_cudaERNS_18TensorIteratorBaseEENKUlvE_clEvENKUlvE2_clEvEUlN3c108BFloat16EE_St5arrayIPcLm3EE16OffsetCalculatorILi1EjLb0EESD_ILi2EjLb0EEEEviT0_T1_T2_T3_
		.amdhsa_group_segment_fixed_size 0
		.amdhsa_private_segment_fixed_size 624
		.amdhsa_kernarg_size 616
		.amdhsa_user_sgpr_count 2
		.amdhsa_user_sgpr_dispatch_ptr 0
		.amdhsa_user_sgpr_queue_ptr 0
		.amdhsa_user_sgpr_kernarg_segment_ptr 1
		.amdhsa_user_sgpr_dispatch_id 0
		.amdhsa_user_sgpr_kernarg_preload_length 0
		.amdhsa_user_sgpr_kernarg_preload_offset 0
		.amdhsa_user_sgpr_private_segment_size 0
		.amdhsa_uses_dynamic_stack 0
		.amdhsa_enable_private_segment 1
		.amdhsa_system_sgpr_workgroup_id_x 1
		.amdhsa_system_sgpr_workgroup_id_y 0
		.amdhsa_system_sgpr_workgroup_id_z 0
		.amdhsa_system_sgpr_workgroup_info 0
		.amdhsa_system_vgpr_workitem_id 0
		.amdhsa_next_free_vgpr 40
		.amdhsa_next_free_sgpr 52
		.amdhsa_accum_offset 40
		.amdhsa_reserve_vcc 1
		.amdhsa_float_round_mode_32 0
		.amdhsa_float_round_mode_16_64 0
		.amdhsa_float_denorm_mode_32 3
		.amdhsa_float_denorm_mode_16_64 3
		.amdhsa_dx10_clamp 1
		.amdhsa_ieee_mode 1
		.amdhsa_fp16_overflow 0
		.amdhsa_tg_split 0
		.amdhsa_exception_fp_ieee_invalid_op 0
		.amdhsa_exception_fp_denorm_src 0
		.amdhsa_exception_fp_ieee_div_zero 0
		.amdhsa_exception_fp_ieee_overflow 0
		.amdhsa_exception_fp_ieee_underflow 0
		.amdhsa_exception_fp_ieee_inexact 0
		.amdhsa_exception_int_div_zero 0
	.end_amdhsa_kernel
	.section	.text._ZN2at6native12_GLOBAL__N_145unrolled_elementwise_kernel_for_multi_outputsILi2EZZZNS0_17frexp_kernel_cudaERNS_18TensorIteratorBaseEENKUlvE_clEvENKUlvE2_clEvEUlN3c108BFloat16EE_St5arrayIPcLm3EE16OffsetCalculatorILi1EjLb0EESD_ILi2EjLb0EEEEviT0_T1_T2_T3_,"axG",@progbits,_ZN2at6native12_GLOBAL__N_145unrolled_elementwise_kernel_for_multi_outputsILi2EZZZNS0_17frexp_kernel_cudaERNS_18TensorIteratorBaseEENKUlvE_clEvENKUlvE2_clEvEUlN3c108BFloat16EE_St5arrayIPcLm3EE16OffsetCalculatorILi1EjLb0EESD_ILi2EjLb0EEEEviT0_T1_T2_T3_,comdat
.Lfunc_end545:
	.size	_ZN2at6native12_GLOBAL__N_145unrolled_elementwise_kernel_for_multi_outputsILi2EZZZNS0_17frexp_kernel_cudaERNS_18TensorIteratorBaseEENKUlvE_clEvENKUlvE2_clEvEUlN3c108BFloat16EE_St5arrayIPcLm3EE16OffsetCalculatorILi1EjLb0EESD_ILi2EjLb0EEEEviT0_T1_T2_T3_, .Lfunc_end545-_ZN2at6native12_GLOBAL__N_145unrolled_elementwise_kernel_for_multi_outputsILi2EZZZNS0_17frexp_kernel_cudaERNS_18TensorIteratorBaseEENKUlvE_clEvENKUlvE2_clEvEUlN3c108BFloat16EE_St5arrayIPcLm3EE16OffsetCalculatorILi1EjLb0EESD_ILi2EjLb0EEEEviT0_T1_T2_T3_
                                        ; -- End function
	.set _ZN2at6native12_GLOBAL__N_145unrolled_elementwise_kernel_for_multi_outputsILi2EZZZNS0_17frexp_kernel_cudaERNS_18TensorIteratorBaseEENKUlvE_clEvENKUlvE2_clEvEUlN3c108BFloat16EE_St5arrayIPcLm3EE16OffsetCalculatorILi1EjLb0EESD_ILi2EjLb0EEEEviT0_T1_T2_T3_.num_vgpr, 40
	.set _ZN2at6native12_GLOBAL__N_145unrolled_elementwise_kernel_for_multi_outputsILi2EZZZNS0_17frexp_kernel_cudaERNS_18TensorIteratorBaseEENKUlvE_clEvENKUlvE2_clEvEUlN3c108BFloat16EE_St5arrayIPcLm3EE16OffsetCalculatorILi1EjLb0EESD_ILi2EjLb0EEEEviT0_T1_T2_T3_.num_agpr, 0
	.set _ZN2at6native12_GLOBAL__N_145unrolled_elementwise_kernel_for_multi_outputsILi2EZZZNS0_17frexp_kernel_cudaERNS_18TensorIteratorBaseEENKUlvE_clEvENKUlvE2_clEvEUlN3c108BFloat16EE_St5arrayIPcLm3EE16OffsetCalculatorILi1EjLb0EESD_ILi2EjLb0EEEEviT0_T1_T2_T3_.numbered_sgpr, 52
	.set _ZN2at6native12_GLOBAL__N_145unrolled_elementwise_kernel_for_multi_outputsILi2EZZZNS0_17frexp_kernel_cudaERNS_18TensorIteratorBaseEENKUlvE_clEvENKUlvE2_clEvEUlN3c108BFloat16EE_St5arrayIPcLm3EE16OffsetCalculatorILi1EjLb0EESD_ILi2EjLb0EEEEviT0_T1_T2_T3_.num_named_barrier, 0
	.set _ZN2at6native12_GLOBAL__N_145unrolled_elementwise_kernel_for_multi_outputsILi2EZZZNS0_17frexp_kernel_cudaERNS_18TensorIteratorBaseEENKUlvE_clEvENKUlvE2_clEvEUlN3c108BFloat16EE_St5arrayIPcLm3EE16OffsetCalculatorILi1EjLb0EESD_ILi2EjLb0EEEEviT0_T1_T2_T3_.private_seg_size, 624
	.set _ZN2at6native12_GLOBAL__N_145unrolled_elementwise_kernel_for_multi_outputsILi2EZZZNS0_17frexp_kernel_cudaERNS_18TensorIteratorBaseEENKUlvE_clEvENKUlvE2_clEvEUlN3c108BFloat16EE_St5arrayIPcLm3EE16OffsetCalculatorILi1EjLb0EESD_ILi2EjLb0EEEEviT0_T1_T2_T3_.uses_vcc, 1
	.set _ZN2at6native12_GLOBAL__N_145unrolled_elementwise_kernel_for_multi_outputsILi2EZZZNS0_17frexp_kernel_cudaERNS_18TensorIteratorBaseEENKUlvE_clEvENKUlvE2_clEvEUlN3c108BFloat16EE_St5arrayIPcLm3EE16OffsetCalculatorILi1EjLb0EESD_ILi2EjLb0EEEEviT0_T1_T2_T3_.uses_flat_scratch, 0
	.set _ZN2at6native12_GLOBAL__N_145unrolled_elementwise_kernel_for_multi_outputsILi2EZZZNS0_17frexp_kernel_cudaERNS_18TensorIteratorBaseEENKUlvE_clEvENKUlvE2_clEvEUlN3c108BFloat16EE_St5arrayIPcLm3EE16OffsetCalculatorILi1EjLb0EESD_ILi2EjLb0EEEEviT0_T1_T2_T3_.has_dyn_sized_stack, 0
	.set _ZN2at6native12_GLOBAL__N_145unrolled_elementwise_kernel_for_multi_outputsILi2EZZZNS0_17frexp_kernel_cudaERNS_18TensorIteratorBaseEENKUlvE_clEvENKUlvE2_clEvEUlN3c108BFloat16EE_St5arrayIPcLm3EE16OffsetCalculatorILi1EjLb0EESD_ILi2EjLb0EEEEviT0_T1_T2_T3_.has_recursion, 0
	.set _ZN2at6native12_GLOBAL__N_145unrolled_elementwise_kernel_for_multi_outputsILi2EZZZNS0_17frexp_kernel_cudaERNS_18TensorIteratorBaseEENKUlvE_clEvENKUlvE2_clEvEUlN3c108BFloat16EE_St5arrayIPcLm3EE16OffsetCalculatorILi1EjLb0EESD_ILi2EjLb0EEEEviT0_T1_T2_T3_.has_indirect_call, 0
	.section	.AMDGPU.csdata,"",@progbits
; Kernel info:
; codeLenInByte = 7464
; TotalNumSgprs: 58
; NumVgprs: 40
; NumAgprs: 0
; TotalNumVgprs: 40
; ScratchSize: 624
; MemoryBound: 0
; FloatMode: 240
; IeeeMode: 1
; LDSByteSize: 0 bytes/workgroup (compile time only)
; SGPRBlocks: 7
; VGPRBlocks: 4
; NumSGPRsForWavesPerEU: 58
; NumVGPRsForWavesPerEU: 40
; AccumOffset: 40
; Occupancy: 8
; WaveLimiterHint : 1
; COMPUTE_PGM_RSRC2:SCRATCH_EN: 1
; COMPUTE_PGM_RSRC2:USER_SGPR: 2
; COMPUTE_PGM_RSRC2:TRAP_HANDLER: 0
; COMPUTE_PGM_RSRC2:TGID_X_EN: 1
; COMPUTE_PGM_RSRC2:TGID_Y_EN: 0
; COMPUTE_PGM_RSRC2:TGID_Z_EN: 0
; COMPUTE_PGM_RSRC2:TIDIG_COMP_CNT: 0
; COMPUTE_PGM_RSRC3_GFX90A:ACCUM_OFFSET: 9
; COMPUTE_PGM_RSRC3_GFX90A:TG_SPLIT: 0
	.text
	.p2alignl 6, 3212836864
	.fill 256, 4, 3212836864
	.section	.AMDGPU.gpr_maximums,"",@progbits
	.set amdgpu.max_num_vgpr, 194
	.set amdgpu.max_num_agpr, 0
	.set amdgpu.max_num_sgpr, 96
	.text
	.type	__hip_cuid_4692ca96ff423151,@object ; @__hip_cuid_4692ca96ff423151
	.section	.bss,"aw",@nobits
	.globl	__hip_cuid_4692ca96ff423151
__hip_cuid_4692ca96ff423151:
	.byte	0                               ; 0x0
	.size	__hip_cuid_4692ca96ff423151, 1

	.ident	"AMD clang version 22.0.0git (https://github.com/RadeonOpenCompute/llvm-project roc-7.2.4 26084 f58b06dce1f9c15707c5f808fd002e18c2accf7e)"
	.section	".note.GNU-stack","",@progbits
	.addrsig
	.addrsig_sym __hip_cuid_4692ca96ff423151
	.amdgpu_metadata
---
amdhsa.kernels:
  - .agpr_count:     0
    .args:
      - .offset:         0
        .size:           4
        .value_kind:     by_value
      - .offset:         4
        .size:           1
        .value_kind:     by_value
      - .offset:         8
        .size:           16
        .value_kind:     by_value
    .group_segment_fixed_size: 0
    .kernarg_segment_align: 8
    .kernarg_segment_size: 24
    .language:       OpenCL C
    .language_version:
      - 2
      - 0
    .max_flat_workgroup_size: 256
    .name:           _ZN2at6native29vectorized_elementwise_kernelILi16EZNS0_23bitwise_not_kernel_cudaERNS_18TensorIteratorBaseEEUlbE_St5arrayIPcLm2EEEEviT0_T1_
    .private_segment_fixed_size: 0
    .sgpr_count:     49
    .sgpr_spill_count: 0
    .symbol:         _ZN2at6native29vectorized_elementwise_kernelILi16EZNS0_23bitwise_not_kernel_cudaERNS_18TensorIteratorBaseEEUlbE_St5arrayIPcLm2EEEEviT0_T1_.kd
    .uniform_work_group_size: 1
    .uses_dynamic_stack: false
    .vgpr_count:     19
    .vgpr_spill_count: 0
    .wavefront_size: 64
  - .agpr_count:     0
    .args:
      - .offset:         0
        .size:           4
        .value_kind:     by_value
      - .offset:         4
        .size:           1
        .value_kind:     by_value
      - .offset:         8
        .size:           16
        .value_kind:     by_value
    .group_segment_fixed_size: 0
    .kernarg_segment_align: 8
    .kernarg_segment_size: 24
    .language:       OpenCL C
    .language_version:
      - 2
      - 0
    .max_flat_workgroup_size: 256
    .name:           _ZN2at6native29vectorized_elementwise_kernelILi8EZNS0_23bitwise_not_kernel_cudaERNS_18TensorIteratorBaseEEUlbE_St5arrayIPcLm2EEEEviT0_T1_
    .private_segment_fixed_size: 0
    .sgpr_count:     49
    .sgpr_spill_count: 0
    .symbol:         _ZN2at6native29vectorized_elementwise_kernelILi8EZNS0_23bitwise_not_kernel_cudaERNS_18TensorIteratorBaseEEUlbE_St5arrayIPcLm2EEEEviT0_T1_.kd
    .uniform_work_group_size: 1
    .uses_dynamic_stack: false
    .vgpr_count:     18
    .vgpr_spill_count: 0
    .wavefront_size: 64
  - .agpr_count:     0
    .args:
      - .offset:         0
        .size:           4
        .value_kind:     by_value
      - .offset:         4
        .size:           1
        .value_kind:     by_value
      - .offset:         8
        .size:           16
        .value_kind:     by_value
    .group_segment_fixed_size: 0
    .kernarg_segment_align: 8
    .kernarg_segment_size: 24
    .language:       OpenCL C
    .language_version:
      - 2
      - 0
    .max_flat_workgroup_size: 256
    .name:           _ZN2at6native29vectorized_elementwise_kernelILi4EZNS0_23bitwise_not_kernel_cudaERNS_18TensorIteratorBaseEEUlbE_St5arrayIPcLm2EEEEviT0_T1_
    .private_segment_fixed_size: 0
    .sgpr_count:     49
    .sgpr_spill_count: 0
    .symbol:         _ZN2at6native29vectorized_elementwise_kernelILi4EZNS0_23bitwise_not_kernel_cudaERNS_18TensorIteratorBaseEEUlbE_St5arrayIPcLm2EEEEviT0_T1_.kd
    .uniform_work_group_size: 1
    .uses_dynamic_stack: false
    .vgpr_count:     18
    .vgpr_spill_count: 0
    .wavefront_size: 64
  - .agpr_count:     0
    .args:
      - .offset:         0
        .size:           4
        .value_kind:     by_value
      - .offset:         4
        .size:           1
        .value_kind:     by_value
      - .offset:         8
        .size:           16
        .value_kind:     by_value
    .group_segment_fixed_size: 0
    .kernarg_segment_align: 8
    .kernarg_segment_size: 24
    .language:       OpenCL C
    .language_version:
      - 2
      - 0
    .max_flat_workgroup_size: 256
    .name:           _ZN2at6native29vectorized_elementwise_kernelILi2EZNS0_23bitwise_not_kernel_cudaERNS_18TensorIteratorBaseEEUlbE_St5arrayIPcLm2EEEEviT0_T1_
    .private_segment_fixed_size: 0
    .sgpr_count:     49
    .sgpr_spill_count: 0
    .symbol:         _ZN2at6native29vectorized_elementwise_kernelILi2EZNS0_23bitwise_not_kernel_cudaERNS_18TensorIteratorBaseEEUlbE_St5arrayIPcLm2EEEEviT0_T1_.kd
    .uniform_work_group_size: 1
    .uses_dynamic_stack: false
    .vgpr_count:     18
    .vgpr_spill_count: 0
    .wavefront_size: 64
  - .agpr_count:     0
    .args:
      - .offset:         0
        .size:           4
        .value_kind:     by_value
      - .offset:         4
        .size:           1
        .value_kind:     by_value
      - .offset:         8
        .size:           16
        .value_kind:     by_value
      - .offset:         24
        .size:           1
        .value_kind:     by_value
      - .offset:         25
        .size:           1
        .value_kind:     by_value
      - .offset:         26
        .size:           1
        .value_kind:     by_value
      - .offset:         27
        .size:           1
        .value_kind:     by_value
    .group_segment_fixed_size: 0
    .kernarg_segment_align: 8
    .kernarg_segment_size: 28
    .language:       OpenCL C
    .language_version:
      - 2
      - 0
    .max_flat_workgroup_size: 256
    .name:           _ZN2at6native27unrolled_elementwise_kernelIZNS0_23bitwise_not_kernel_cudaERNS_18TensorIteratorBaseEEUlbE_St5arrayIPcLm2EELi4E23TrivialOffsetCalculatorILi1EjES9_NS0_6memory15LoadWithoutCastENSA_16StoreWithoutCastEEEviT_T0_T2_T3_T4_T5_
    .private_segment_fixed_size: 0
    .sgpr_count:     24
    .sgpr_spill_count: 0
    .symbol:         _ZN2at6native27unrolled_elementwise_kernelIZNS0_23bitwise_not_kernel_cudaERNS_18TensorIteratorBaseEEUlbE_St5arrayIPcLm2EELi4E23TrivialOffsetCalculatorILi1EjES9_NS0_6memory15LoadWithoutCastENSA_16StoreWithoutCastEEEviT_T0_T2_T3_T4_T5_.kd
    .uniform_work_group_size: 1
    .uses_dynamic_stack: false
    .vgpr_count:     7
    .vgpr_spill_count: 0
    .wavefront_size: 64
  - .agpr_count:     0
    .args:
      - .offset:         0
        .size:           4
        .value_kind:     by_value
      - .offset:         8
        .size:           352
        .value_kind:     by_value
    .group_segment_fixed_size: 0
    .kernarg_segment_align: 8
    .kernarg_segment_size: 360
    .language:       OpenCL C
    .language_version:
      - 2
      - 0
    .max_flat_workgroup_size: 128
    .name:           _ZN2at6native32elementwise_kernel_manual_unrollILi128ELi8EZNS0_22gpu_kernel_impl_nocastIZNS0_23bitwise_not_kernel_cudaERNS_18TensorIteratorBaseEEUlbE_EEvS4_RKT_EUlibE_EEviT1_
    .private_segment_fixed_size: 0
    .sgpr_count:     66
    .sgpr_spill_count: 0
    .symbol:         _ZN2at6native32elementwise_kernel_manual_unrollILi128ELi8EZNS0_22gpu_kernel_impl_nocastIZNS0_23bitwise_not_kernel_cudaERNS_18TensorIteratorBaseEEUlbE_EEvS4_RKT_EUlibE_EEviT1_.kd
    .uniform_work_group_size: 1
    .uses_dynamic_stack: false
    .vgpr_count:     33
    .vgpr_spill_count: 0
    .wavefront_size: 64
  - .agpr_count:     0
    .args:
      - .offset:         0
        .size:           4
        .value_kind:     by_value
      - .offset:         8
        .size:           32
        .value_kind:     by_value
    .group_segment_fixed_size: 0
    .kernarg_segment_align: 8
    .kernarg_segment_size: 40
    .language:       OpenCL C
    .language_version:
      - 2
      - 0
    .max_flat_workgroup_size: 128
    .name:           _ZN2at6native32elementwise_kernel_manual_unrollILi128ELi4EZNS0_15gpu_kernel_implIZNS0_23bitwise_not_kernel_cudaERNS_18TensorIteratorBaseEEUlbE_EEvS4_RKT_EUlibE_EEviT1_
    .private_segment_fixed_size: 0
    .sgpr_count:     51
    .sgpr_spill_count: 0
    .symbol:         _ZN2at6native32elementwise_kernel_manual_unrollILi128ELi4EZNS0_15gpu_kernel_implIZNS0_23bitwise_not_kernel_cudaERNS_18TensorIteratorBaseEEUlbE_EEvS4_RKT_EUlibE_EEviT1_.kd
    .uniform_work_group_size: 1
    .uses_dynamic_stack: false
    .vgpr_count:     10
    .vgpr_spill_count: 0
    .wavefront_size: 64
  - .agpr_count:     0
    .args:
      - .offset:         0
        .size:           4
        .value_kind:     by_value
      - .offset:         8
        .size:           352
        .value_kind:     by_value
    .group_segment_fixed_size: 0
    .kernarg_segment_align: 8
    .kernarg_segment_size: 360
    .language:       OpenCL C
    .language_version:
      - 2
      - 0
    .max_flat_workgroup_size: 128
    .name:           _ZN2at6native32elementwise_kernel_manual_unrollILi128ELi4EZNS0_15gpu_kernel_implIZNS0_23bitwise_not_kernel_cudaERNS_18TensorIteratorBaseEEUlbE_EEvS4_RKT_EUlibE0_EEviT1_
    .private_segment_fixed_size: 0
    .sgpr_count:     84
    .sgpr_spill_count: 0
    .symbol:         _ZN2at6native32elementwise_kernel_manual_unrollILi128ELi4EZNS0_15gpu_kernel_implIZNS0_23bitwise_not_kernel_cudaERNS_18TensorIteratorBaseEEUlbE_EEvS4_RKT_EUlibE0_EEviT1_.kd
    .uniform_work_group_size: 1
    .uses_dynamic_stack: false
    .vgpr_count:     20
    .vgpr_spill_count: 0
    .wavefront_size: 64
  - .agpr_count:     0
    .args:
      - .offset:         0
        .size:           4
        .value_kind:     by_value
      - .offset:         4
        .size:           1
        .value_kind:     by_value
      - .offset:         8
        .size:           16
        .value_kind:     by_value
    .group_segment_fixed_size: 0
    .kernarg_segment_align: 8
    .kernarg_segment_size: 24
    .language:       OpenCL C
    .language_version:
      - 2
      - 0
    .max_flat_workgroup_size: 256
    .name:           _ZN2at6native29vectorized_elementwise_kernelILi16EZZZNS0_23bitwise_not_kernel_cudaERNS_18TensorIteratorBaseEENKUlvE_clEvENKUlvE_clEvEUlhE_St5arrayIPcLm2EEEEviT0_T1_
    .private_segment_fixed_size: 0
    .sgpr_count:     45
    .sgpr_spill_count: 0
    .symbol:         _ZN2at6native29vectorized_elementwise_kernelILi16EZZZNS0_23bitwise_not_kernel_cudaERNS_18TensorIteratorBaseEENKUlvE_clEvENKUlvE_clEvEUlhE_St5arrayIPcLm2EEEEviT0_T1_.kd
    .uniform_work_group_size: 1
    .uses_dynamic_stack: false
    .vgpr_count:     21
    .vgpr_spill_count: 0
    .wavefront_size: 64
  - .agpr_count:     0
    .args:
      - .offset:         0
        .size:           4
        .value_kind:     by_value
      - .offset:         4
        .size:           1
        .value_kind:     by_value
      - .offset:         8
        .size:           16
        .value_kind:     by_value
    .group_segment_fixed_size: 0
    .kernarg_segment_align: 8
    .kernarg_segment_size: 24
    .language:       OpenCL C
    .language_version:
      - 2
      - 0
    .max_flat_workgroup_size: 256
    .name:           _ZN2at6native29vectorized_elementwise_kernelILi8EZZZNS0_23bitwise_not_kernel_cudaERNS_18TensorIteratorBaseEENKUlvE_clEvENKUlvE_clEvEUlhE_St5arrayIPcLm2EEEEviT0_T1_
    .private_segment_fixed_size: 0
    .sgpr_count:     45
    .sgpr_spill_count: 0
    .symbol:         _ZN2at6native29vectorized_elementwise_kernelILi8EZZZNS0_23bitwise_not_kernel_cudaERNS_18TensorIteratorBaseEENKUlvE_clEvENKUlvE_clEvEUlhE_St5arrayIPcLm2EEEEviT0_T1_.kd
    .uniform_work_group_size: 1
    .uses_dynamic_stack: false
    .vgpr_count:     21
    .vgpr_spill_count: 0
    .wavefront_size: 64
  - .agpr_count:     0
    .args:
      - .offset:         0
        .size:           4
        .value_kind:     by_value
      - .offset:         4
        .size:           1
        .value_kind:     by_value
      - .offset:         8
        .size:           16
        .value_kind:     by_value
    .group_segment_fixed_size: 0
    .kernarg_segment_align: 8
    .kernarg_segment_size: 24
    .language:       OpenCL C
    .language_version:
      - 2
      - 0
    .max_flat_workgroup_size: 256
    .name:           _ZN2at6native29vectorized_elementwise_kernelILi4EZZZNS0_23bitwise_not_kernel_cudaERNS_18TensorIteratorBaseEENKUlvE_clEvENKUlvE_clEvEUlhE_St5arrayIPcLm2EEEEviT0_T1_
    .private_segment_fixed_size: 0
    .sgpr_count:     45
    .sgpr_spill_count: 0
    .symbol:         _ZN2at6native29vectorized_elementwise_kernelILi4EZZZNS0_23bitwise_not_kernel_cudaERNS_18TensorIteratorBaseEENKUlvE_clEvENKUlvE_clEvEUlhE_St5arrayIPcLm2EEEEviT0_T1_.kd
    .uniform_work_group_size: 1
    .uses_dynamic_stack: false
    .vgpr_count:     21
    .vgpr_spill_count: 0
    .wavefront_size: 64
  - .agpr_count:     0
    .args:
      - .offset:         0
        .size:           4
        .value_kind:     by_value
      - .offset:         4
        .size:           1
        .value_kind:     by_value
      - .offset:         8
        .size:           16
        .value_kind:     by_value
    .group_segment_fixed_size: 0
    .kernarg_segment_align: 8
    .kernarg_segment_size: 24
    .language:       OpenCL C
    .language_version:
      - 2
      - 0
    .max_flat_workgroup_size: 256
    .name:           _ZN2at6native29vectorized_elementwise_kernelILi2EZZZNS0_23bitwise_not_kernel_cudaERNS_18TensorIteratorBaseEENKUlvE_clEvENKUlvE_clEvEUlhE_St5arrayIPcLm2EEEEviT0_T1_
    .private_segment_fixed_size: 0
    .sgpr_count:     45
    .sgpr_spill_count: 0
    .symbol:         _ZN2at6native29vectorized_elementwise_kernelILi2EZZZNS0_23bitwise_not_kernel_cudaERNS_18TensorIteratorBaseEENKUlvE_clEvENKUlvE_clEvEUlhE_St5arrayIPcLm2EEEEviT0_T1_.kd
    .uniform_work_group_size: 1
    .uses_dynamic_stack: false
    .vgpr_count:     21
    .vgpr_spill_count: 0
    .wavefront_size: 64
  - .agpr_count:     0
    .args:
      - .offset:         0
        .size:           4
        .value_kind:     by_value
      - .offset:         4
        .size:           1
        .value_kind:     by_value
      - .offset:         8
        .size:           16
        .value_kind:     by_value
      - .offset:         24
        .size:           1
        .value_kind:     by_value
      - .offset:         25
        .size:           1
        .value_kind:     by_value
      - .offset:         26
        .size:           1
        .value_kind:     by_value
      - .offset:         27
        .size:           1
        .value_kind:     by_value
    .group_segment_fixed_size: 0
    .kernarg_segment_align: 8
    .kernarg_segment_size: 28
    .language:       OpenCL C
    .language_version:
      - 2
      - 0
    .max_flat_workgroup_size: 256
    .name:           _ZN2at6native27unrolled_elementwise_kernelIZZZNS0_23bitwise_not_kernel_cudaERNS_18TensorIteratorBaseEENKUlvE_clEvENKUlvE_clEvEUlhE_St5arrayIPcLm2EELi4E23TrivialOffsetCalculatorILi1EjESB_NS0_6memory15LoadWithoutCastENSC_16StoreWithoutCastEEEviT_T0_T2_T3_T4_T5_
    .private_segment_fixed_size: 0
    .sgpr_count:     22
    .sgpr_spill_count: 0
    .symbol:         _ZN2at6native27unrolled_elementwise_kernelIZZZNS0_23bitwise_not_kernel_cudaERNS_18TensorIteratorBaseEENKUlvE_clEvENKUlvE_clEvEUlhE_St5arrayIPcLm2EELi4E23TrivialOffsetCalculatorILi1EjESB_NS0_6memory15LoadWithoutCastENSC_16StoreWithoutCastEEEviT_T0_T2_T3_T4_T5_.kd
    .uniform_work_group_size: 1
    .uses_dynamic_stack: false
    .vgpr_count:     8
    .vgpr_spill_count: 0
    .wavefront_size: 64
  - .agpr_count:     0
    .args:
      - .offset:         0
        .size:           4
        .value_kind:     by_value
      - .offset:         8
        .size:           352
        .value_kind:     by_value
    .group_segment_fixed_size: 0
    .kernarg_segment_align: 8
    .kernarg_segment_size: 360
    .language:       OpenCL C
    .language_version:
      - 2
      - 0
    .max_flat_workgroup_size: 128
    .name:           _ZN2at6native32elementwise_kernel_manual_unrollILi128ELi8EZNS0_22gpu_kernel_impl_nocastIZZZNS0_23bitwise_not_kernel_cudaERNS_18TensorIteratorBaseEENKUlvE_clEvENKUlvE_clEvEUlhE_EEvS4_RKT_EUlibE_EEviT1_
    .private_segment_fixed_size: 0
    .sgpr_count:     66
    .sgpr_spill_count: 0
    .symbol:         _ZN2at6native32elementwise_kernel_manual_unrollILi128ELi8EZNS0_22gpu_kernel_impl_nocastIZZZNS0_23bitwise_not_kernel_cudaERNS_18TensorIteratorBaseEENKUlvE_clEvENKUlvE_clEvEUlhE_EEvS4_RKT_EUlibE_EEviT1_.kd
    .uniform_work_group_size: 1
    .uses_dynamic_stack: false
    .vgpr_count:     33
    .vgpr_spill_count: 0
    .wavefront_size: 64
  - .agpr_count:     0
    .args:
      - .offset:         0
        .size:           4
        .value_kind:     by_value
      - .offset:         8
        .size:           32
        .value_kind:     by_value
    .group_segment_fixed_size: 0
    .kernarg_segment_align: 8
    .kernarg_segment_size: 40
    .language:       OpenCL C
    .language_version:
      - 2
      - 0
    .max_flat_workgroup_size: 128
    .name:           _ZN2at6native32elementwise_kernel_manual_unrollILi128ELi4EZNS0_15gpu_kernel_implIZZZNS0_23bitwise_not_kernel_cudaERNS_18TensorIteratorBaseEENKUlvE_clEvENKUlvE_clEvEUlhE_EEvS4_RKT_EUlibE_EEviT1_
    .private_segment_fixed_size: 0
    .sgpr_count:     52
    .sgpr_spill_count: 0
    .symbol:         _ZN2at6native32elementwise_kernel_manual_unrollILi128ELi4EZNS0_15gpu_kernel_implIZZZNS0_23bitwise_not_kernel_cudaERNS_18TensorIteratorBaseEENKUlvE_clEvENKUlvE_clEvEUlhE_EEvS4_RKT_EUlibE_EEviT1_.kd
    .uniform_work_group_size: 1
    .uses_dynamic_stack: false
    .vgpr_count:     16
    .vgpr_spill_count: 0
    .wavefront_size: 64
  - .agpr_count:     0
    .args:
      - .offset:         0
        .size:           4
        .value_kind:     by_value
      - .offset:         8
        .size:           352
        .value_kind:     by_value
    .group_segment_fixed_size: 0
    .kernarg_segment_align: 8
    .kernarg_segment_size: 360
    .language:       OpenCL C
    .language_version:
      - 2
      - 0
    .max_flat_workgroup_size: 128
    .name:           _ZN2at6native32elementwise_kernel_manual_unrollILi128ELi4EZNS0_15gpu_kernel_implIZZZNS0_23bitwise_not_kernel_cudaERNS_18TensorIteratorBaseEENKUlvE_clEvENKUlvE_clEvEUlhE_EEvS4_RKT_EUlibE0_EEviT1_
    .private_segment_fixed_size: 0
    .sgpr_count:     84
    .sgpr_spill_count: 0
    .symbol:         _ZN2at6native32elementwise_kernel_manual_unrollILi128ELi4EZNS0_15gpu_kernel_implIZZZNS0_23bitwise_not_kernel_cudaERNS_18TensorIteratorBaseEENKUlvE_clEvENKUlvE_clEvEUlhE_EEvS4_RKT_EUlibE0_EEviT1_.kd
    .uniform_work_group_size: 1
    .uses_dynamic_stack: false
    .vgpr_count:     20
    .vgpr_spill_count: 0
    .wavefront_size: 64
  - .agpr_count:     0
    .args:
      - .offset:         0
        .size:           4
        .value_kind:     by_value
      - .offset:         4
        .size:           1
        .value_kind:     by_value
      - .offset:         8
        .size:           16
        .value_kind:     by_value
    .group_segment_fixed_size: 0
    .kernarg_segment_align: 8
    .kernarg_segment_size: 24
    .language:       OpenCL C
    .language_version:
      - 2
      - 0
    .max_flat_workgroup_size: 256
    .name:           _ZN2at6native29vectorized_elementwise_kernelILi16EZZZNS0_23bitwise_not_kernel_cudaERNS_18TensorIteratorBaseEENKUlvE_clEvENKUlvE0_clEvEUlaE_St5arrayIPcLm2EEEEviT0_T1_
    .private_segment_fixed_size: 0
    .sgpr_count:     45
    .sgpr_spill_count: 0
    .symbol:         _ZN2at6native29vectorized_elementwise_kernelILi16EZZZNS0_23bitwise_not_kernel_cudaERNS_18TensorIteratorBaseEENKUlvE_clEvENKUlvE0_clEvEUlaE_St5arrayIPcLm2EEEEviT0_T1_.kd
    .uniform_work_group_size: 1
    .uses_dynamic_stack: false
    .vgpr_count:     21
    .vgpr_spill_count: 0
    .wavefront_size: 64
  - .agpr_count:     0
    .args:
      - .offset:         0
        .size:           4
        .value_kind:     by_value
      - .offset:         4
        .size:           1
        .value_kind:     by_value
      - .offset:         8
        .size:           16
        .value_kind:     by_value
    .group_segment_fixed_size: 0
    .kernarg_segment_align: 8
    .kernarg_segment_size: 24
    .language:       OpenCL C
    .language_version:
      - 2
      - 0
    .max_flat_workgroup_size: 256
    .name:           _ZN2at6native29vectorized_elementwise_kernelILi8EZZZNS0_23bitwise_not_kernel_cudaERNS_18TensorIteratorBaseEENKUlvE_clEvENKUlvE0_clEvEUlaE_St5arrayIPcLm2EEEEviT0_T1_
    .private_segment_fixed_size: 0
    .sgpr_count:     45
    .sgpr_spill_count: 0
    .symbol:         _ZN2at6native29vectorized_elementwise_kernelILi8EZZZNS0_23bitwise_not_kernel_cudaERNS_18TensorIteratorBaseEENKUlvE_clEvENKUlvE0_clEvEUlaE_St5arrayIPcLm2EEEEviT0_T1_.kd
    .uniform_work_group_size: 1
    .uses_dynamic_stack: false
    .vgpr_count:     21
    .vgpr_spill_count: 0
    .wavefront_size: 64
  - .agpr_count:     0
    .args:
      - .offset:         0
        .size:           4
        .value_kind:     by_value
      - .offset:         4
        .size:           1
        .value_kind:     by_value
      - .offset:         8
        .size:           16
        .value_kind:     by_value
    .group_segment_fixed_size: 0
    .kernarg_segment_align: 8
    .kernarg_segment_size: 24
    .language:       OpenCL C
    .language_version:
      - 2
      - 0
    .max_flat_workgroup_size: 256
    .name:           _ZN2at6native29vectorized_elementwise_kernelILi4EZZZNS0_23bitwise_not_kernel_cudaERNS_18TensorIteratorBaseEENKUlvE_clEvENKUlvE0_clEvEUlaE_St5arrayIPcLm2EEEEviT0_T1_
    .private_segment_fixed_size: 0
    .sgpr_count:     45
    .sgpr_spill_count: 0
    .symbol:         _ZN2at6native29vectorized_elementwise_kernelILi4EZZZNS0_23bitwise_not_kernel_cudaERNS_18TensorIteratorBaseEENKUlvE_clEvENKUlvE0_clEvEUlaE_St5arrayIPcLm2EEEEviT0_T1_.kd
    .uniform_work_group_size: 1
    .uses_dynamic_stack: false
    .vgpr_count:     21
    .vgpr_spill_count: 0
    .wavefront_size: 64
  - .agpr_count:     0
    .args:
      - .offset:         0
        .size:           4
        .value_kind:     by_value
      - .offset:         4
        .size:           1
        .value_kind:     by_value
      - .offset:         8
        .size:           16
        .value_kind:     by_value
    .group_segment_fixed_size: 0
    .kernarg_segment_align: 8
    .kernarg_segment_size: 24
    .language:       OpenCL C
    .language_version:
      - 2
      - 0
    .max_flat_workgroup_size: 256
    .name:           _ZN2at6native29vectorized_elementwise_kernelILi2EZZZNS0_23bitwise_not_kernel_cudaERNS_18TensorIteratorBaseEENKUlvE_clEvENKUlvE0_clEvEUlaE_St5arrayIPcLm2EEEEviT0_T1_
    .private_segment_fixed_size: 0
    .sgpr_count:     45
    .sgpr_spill_count: 0
    .symbol:         _ZN2at6native29vectorized_elementwise_kernelILi2EZZZNS0_23bitwise_not_kernel_cudaERNS_18TensorIteratorBaseEENKUlvE_clEvENKUlvE0_clEvEUlaE_St5arrayIPcLm2EEEEviT0_T1_.kd
    .uniform_work_group_size: 1
    .uses_dynamic_stack: false
    .vgpr_count:     21
    .vgpr_spill_count: 0
    .wavefront_size: 64
  - .agpr_count:     0
    .args:
      - .offset:         0
        .size:           4
        .value_kind:     by_value
      - .offset:         4
        .size:           1
        .value_kind:     by_value
      - .offset:         8
        .size:           16
        .value_kind:     by_value
      - .offset:         24
        .size:           1
        .value_kind:     by_value
      - .offset:         25
        .size:           1
        .value_kind:     by_value
      - .offset:         26
        .size:           1
        .value_kind:     by_value
      - .offset:         27
        .size:           1
        .value_kind:     by_value
    .group_segment_fixed_size: 0
    .kernarg_segment_align: 8
    .kernarg_segment_size: 28
    .language:       OpenCL C
    .language_version:
      - 2
      - 0
    .max_flat_workgroup_size: 256
    .name:           _ZN2at6native27unrolled_elementwise_kernelIZZZNS0_23bitwise_not_kernel_cudaERNS_18TensorIteratorBaseEENKUlvE_clEvENKUlvE0_clEvEUlaE_St5arrayIPcLm2EELi4E23TrivialOffsetCalculatorILi1EjESB_NS0_6memory15LoadWithoutCastENSC_16StoreWithoutCastEEEviT_T0_T2_T3_T4_T5_
    .private_segment_fixed_size: 0
    .sgpr_count:     22
    .sgpr_spill_count: 0
    .symbol:         _ZN2at6native27unrolled_elementwise_kernelIZZZNS0_23bitwise_not_kernel_cudaERNS_18TensorIteratorBaseEENKUlvE_clEvENKUlvE0_clEvEUlaE_St5arrayIPcLm2EELi4E23TrivialOffsetCalculatorILi1EjESB_NS0_6memory15LoadWithoutCastENSC_16StoreWithoutCastEEEviT_T0_T2_T3_T4_T5_.kd
    .uniform_work_group_size: 1
    .uses_dynamic_stack: false
    .vgpr_count:     8
    .vgpr_spill_count: 0
    .wavefront_size: 64
  - .agpr_count:     0
    .args:
      - .offset:         0
        .size:           4
        .value_kind:     by_value
      - .offset:         8
        .size:           352
        .value_kind:     by_value
    .group_segment_fixed_size: 0
    .kernarg_segment_align: 8
    .kernarg_segment_size: 360
    .language:       OpenCL C
    .language_version:
      - 2
      - 0
    .max_flat_workgroup_size: 128
    .name:           _ZN2at6native32elementwise_kernel_manual_unrollILi128ELi8EZNS0_22gpu_kernel_impl_nocastIZZZNS0_23bitwise_not_kernel_cudaERNS_18TensorIteratorBaseEENKUlvE_clEvENKUlvE0_clEvEUlaE_EEvS4_RKT_EUlibE_EEviT1_
    .private_segment_fixed_size: 0
    .sgpr_count:     66
    .sgpr_spill_count: 0
    .symbol:         _ZN2at6native32elementwise_kernel_manual_unrollILi128ELi8EZNS0_22gpu_kernel_impl_nocastIZZZNS0_23bitwise_not_kernel_cudaERNS_18TensorIteratorBaseEENKUlvE_clEvENKUlvE0_clEvEUlaE_EEvS4_RKT_EUlibE_EEviT1_.kd
    .uniform_work_group_size: 1
    .uses_dynamic_stack: false
    .vgpr_count:     33
    .vgpr_spill_count: 0
    .wavefront_size: 64
  - .agpr_count:     0
    .args:
      - .offset:         0
        .size:           4
        .value_kind:     by_value
      - .offset:         8
        .size:           32
        .value_kind:     by_value
    .group_segment_fixed_size: 0
    .kernarg_segment_align: 8
    .kernarg_segment_size: 40
    .language:       OpenCL C
    .language_version:
      - 2
      - 0
    .max_flat_workgroup_size: 128
    .name:           _ZN2at6native32elementwise_kernel_manual_unrollILi128ELi4EZNS0_15gpu_kernel_implIZZZNS0_23bitwise_not_kernel_cudaERNS_18TensorIteratorBaseEENKUlvE_clEvENKUlvE0_clEvEUlaE_EEvS4_RKT_EUlibE_EEviT1_
    .private_segment_fixed_size: 0
    .sgpr_count:     52
    .sgpr_spill_count: 0
    .symbol:         _ZN2at6native32elementwise_kernel_manual_unrollILi128ELi4EZNS0_15gpu_kernel_implIZZZNS0_23bitwise_not_kernel_cudaERNS_18TensorIteratorBaseEENKUlvE_clEvENKUlvE0_clEvEUlaE_EEvS4_RKT_EUlibE_EEviT1_.kd
    .uniform_work_group_size: 1
    .uses_dynamic_stack: false
    .vgpr_count:     16
    .vgpr_spill_count: 0
    .wavefront_size: 64
  - .agpr_count:     0
    .args:
      - .offset:         0
        .size:           4
        .value_kind:     by_value
      - .offset:         8
        .size:           352
        .value_kind:     by_value
    .group_segment_fixed_size: 0
    .kernarg_segment_align: 8
    .kernarg_segment_size: 360
    .language:       OpenCL C
    .language_version:
      - 2
      - 0
    .max_flat_workgroup_size: 128
    .name:           _ZN2at6native32elementwise_kernel_manual_unrollILi128ELi4EZNS0_15gpu_kernel_implIZZZNS0_23bitwise_not_kernel_cudaERNS_18TensorIteratorBaseEENKUlvE_clEvENKUlvE0_clEvEUlaE_EEvS4_RKT_EUlibE0_EEviT1_
    .private_segment_fixed_size: 0
    .sgpr_count:     84
    .sgpr_spill_count: 0
    .symbol:         _ZN2at6native32elementwise_kernel_manual_unrollILi128ELi4EZNS0_15gpu_kernel_implIZZZNS0_23bitwise_not_kernel_cudaERNS_18TensorIteratorBaseEENKUlvE_clEvENKUlvE0_clEvEUlaE_EEvS4_RKT_EUlibE0_EEviT1_.kd
    .uniform_work_group_size: 1
    .uses_dynamic_stack: false
    .vgpr_count:     18
    .vgpr_spill_count: 0
    .wavefront_size: 64
  - .agpr_count:     0
    .args:
      - .offset:         0
        .size:           4
        .value_kind:     by_value
      - .offset:         4
        .size:           1
        .value_kind:     by_value
      - .offset:         8
        .size:           16
        .value_kind:     by_value
    .group_segment_fixed_size: 0
    .kernarg_segment_align: 8
    .kernarg_segment_size: 24
    .language:       OpenCL C
    .language_version:
      - 2
      - 0
    .max_flat_workgroup_size: 256
    .name:           _ZN2at6native29vectorized_elementwise_kernelILi16EZZZNS0_23bitwise_not_kernel_cudaERNS_18TensorIteratorBaseEENKUlvE_clEvENKUlvE1_clEvEUliE_St5arrayIPcLm2EEEEviT0_T1_
    .private_segment_fixed_size: 0
    .sgpr_count:     21
    .sgpr_spill_count: 0
    .symbol:         _ZN2at6native29vectorized_elementwise_kernelILi16EZZZNS0_23bitwise_not_kernel_cudaERNS_18TensorIteratorBaseEENKUlvE_clEvENKUlvE1_clEvEUliE_St5arrayIPcLm2EEEEviT0_T1_.kd
    .uniform_work_group_size: 1
    .uses_dynamic_stack: false
    .vgpr_count:     9
    .vgpr_spill_count: 0
    .wavefront_size: 64
  - .agpr_count:     0
    .args:
      - .offset:         0
        .size:           4
        .value_kind:     by_value
      - .offset:         4
        .size:           1
        .value_kind:     by_value
      - .offset:         8
        .size:           16
        .value_kind:     by_value
    .group_segment_fixed_size: 0
    .kernarg_segment_align: 8
    .kernarg_segment_size: 24
    .language:       OpenCL C
    .language_version:
      - 2
      - 0
    .max_flat_workgroup_size: 256
    .name:           _ZN2at6native29vectorized_elementwise_kernelILi8EZZZNS0_23bitwise_not_kernel_cudaERNS_18TensorIteratorBaseEENKUlvE_clEvENKUlvE1_clEvEUliE_St5arrayIPcLm2EEEEviT0_T1_
    .private_segment_fixed_size: 0
    .sgpr_count:     21
    .sgpr_spill_count: 0
    .symbol:         _ZN2at6native29vectorized_elementwise_kernelILi8EZZZNS0_23bitwise_not_kernel_cudaERNS_18TensorIteratorBaseEENKUlvE_clEvENKUlvE1_clEvEUliE_St5arrayIPcLm2EEEEviT0_T1_.kd
    .uniform_work_group_size: 1
    .uses_dynamic_stack: false
    .vgpr_count:     9
    .vgpr_spill_count: 0
    .wavefront_size: 64
  - .agpr_count:     0
    .args:
      - .offset:         0
        .size:           4
        .value_kind:     by_value
      - .offset:         4
        .size:           1
        .value_kind:     by_value
      - .offset:         8
        .size:           16
        .value_kind:     by_value
    .group_segment_fixed_size: 0
    .kernarg_segment_align: 8
    .kernarg_segment_size: 24
    .language:       OpenCL C
    .language_version:
      - 2
      - 0
    .max_flat_workgroup_size: 256
    .name:           _ZN2at6native29vectorized_elementwise_kernelILi4EZZZNS0_23bitwise_not_kernel_cudaERNS_18TensorIteratorBaseEENKUlvE_clEvENKUlvE1_clEvEUliE_St5arrayIPcLm2EEEEviT0_T1_
    .private_segment_fixed_size: 0
    .sgpr_count:     21
    .sgpr_spill_count: 0
    .symbol:         _ZN2at6native29vectorized_elementwise_kernelILi4EZZZNS0_23bitwise_not_kernel_cudaERNS_18TensorIteratorBaseEENKUlvE_clEvENKUlvE1_clEvEUliE_St5arrayIPcLm2EEEEviT0_T1_.kd
    .uniform_work_group_size: 1
    .uses_dynamic_stack: false
    .vgpr_count:     9
    .vgpr_spill_count: 0
    .wavefront_size: 64
  - .agpr_count:     0
    .args:
      - .offset:         0
        .size:           4
        .value_kind:     by_value
      - .offset:         4
        .size:           1
        .value_kind:     by_value
      - .offset:         8
        .size:           16
        .value_kind:     by_value
    .group_segment_fixed_size: 0
    .kernarg_segment_align: 8
    .kernarg_segment_size: 24
    .language:       OpenCL C
    .language_version:
      - 2
      - 0
    .max_flat_workgroup_size: 256
    .name:           _ZN2at6native29vectorized_elementwise_kernelILi2EZZZNS0_23bitwise_not_kernel_cudaERNS_18TensorIteratorBaseEENKUlvE_clEvENKUlvE1_clEvEUliE_St5arrayIPcLm2EEEEviT0_T1_
    .private_segment_fixed_size: 0
    .sgpr_count:     21
    .sgpr_spill_count: 0
    .symbol:         _ZN2at6native29vectorized_elementwise_kernelILi2EZZZNS0_23bitwise_not_kernel_cudaERNS_18TensorIteratorBaseEENKUlvE_clEvENKUlvE1_clEvEUliE_St5arrayIPcLm2EEEEviT0_T1_.kd
    .uniform_work_group_size: 1
    .uses_dynamic_stack: false
    .vgpr_count:     9
    .vgpr_spill_count: 0
    .wavefront_size: 64
  - .agpr_count:     0
    .args:
      - .offset:         0
        .size:           4
        .value_kind:     by_value
      - .offset:         4
        .size:           1
        .value_kind:     by_value
      - .offset:         8
        .size:           16
        .value_kind:     by_value
      - .offset:         24
        .size:           1
        .value_kind:     by_value
      - .offset:         25
        .size:           1
        .value_kind:     by_value
      - .offset:         26
        .size:           1
        .value_kind:     by_value
      - .offset:         27
        .size:           1
        .value_kind:     by_value
    .group_segment_fixed_size: 0
    .kernarg_segment_align: 8
    .kernarg_segment_size: 28
    .language:       OpenCL C
    .language_version:
      - 2
      - 0
    .max_flat_workgroup_size: 256
    .name:           _ZN2at6native27unrolled_elementwise_kernelIZZZNS0_23bitwise_not_kernel_cudaERNS_18TensorIteratorBaseEENKUlvE_clEvENKUlvE1_clEvEUliE_St5arrayIPcLm2EELi4E23TrivialOffsetCalculatorILi1EjESB_NS0_6memory15LoadWithoutCastENSC_16StoreWithoutCastEEEviT_T0_T2_T3_T4_T5_
    .private_segment_fixed_size: 0
    .sgpr_count:     22
    .sgpr_spill_count: 0
    .symbol:         _ZN2at6native27unrolled_elementwise_kernelIZZZNS0_23bitwise_not_kernel_cudaERNS_18TensorIteratorBaseEENKUlvE_clEvENKUlvE1_clEvEUliE_St5arrayIPcLm2EELi4E23TrivialOffsetCalculatorILi1EjESB_NS0_6memory15LoadWithoutCastENSC_16StoreWithoutCastEEEviT_T0_T2_T3_T4_T5_.kd
    .uniform_work_group_size: 1
    .uses_dynamic_stack: false
    .vgpr_count:     9
    .vgpr_spill_count: 0
    .wavefront_size: 64
  - .agpr_count:     0
    .args:
      - .offset:         0
        .size:           4
        .value_kind:     by_value
      - .offset:         8
        .size:           352
        .value_kind:     by_value
    .group_segment_fixed_size: 0
    .kernarg_segment_align: 8
    .kernarg_segment_size: 360
    .language:       OpenCL C
    .language_version:
      - 2
      - 0
    .max_flat_workgroup_size: 128
    .name:           _ZN2at6native32elementwise_kernel_manual_unrollILi128ELi4EZNS0_22gpu_kernel_impl_nocastIZZZNS0_23bitwise_not_kernel_cudaERNS_18TensorIteratorBaseEENKUlvE_clEvENKUlvE1_clEvEUliE_EEvS4_RKT_EUlibE_EEviT1_
    .private_segment_fixed_size: 0
    .sgpr_count:     66
    .sgpr_spill_count: 0
    .symbol:         _ZN2at6native32elementwise_kernel_manual_unrollILi128ELi4EZNS0_22gpu_kernel_impl_nocastIZZZNS0_23bitwise_not_kernel_cudaERNS_18TensorIteratorBaseEENKUlvE_clEvENKUlvE1_clEvEUliE_EEvS4_RKT_EUlibE_EEviT1_.kd
    .uniform_work_group_size: 1
    .uses_dynamic_stack: false
    .vgpr_count:     17
    .vgpr_spill_count: 0
    .wavefront_size: 64
  - .agpr_count:     0
    .args:
      - .offset:         0
        .size:           4
        .value_kind:     by_value
      - .offset:         8
        .size:           32
        .value_kind:     by_value
    .group_segment_fixed_size: 0
    .kernarg_segment_align: 8
    .kernarg_segment_size: 40
    .language:       OpenCL C
    .language_version:
      - 2
      - 0
    .max_flat_workgroup_size: 128
    .name:           _ZN2at6native32elementwise_kernel_manual_unrollILi128ELi4EZNS0_15gpu_kernel_implIZZZNS0_23bitwise_not_kernel_cudaERNS_18TensorIteratorBaseEENKUlvE_clEvENKUlvE1_clEvEUliE_EEvS4_RKT_EUlibE_EEviT1_
    .private_segment_fixed_size: 0
    .sgpr_count:     52
    .sgpr_spill_count: 0
    .symbol:         _ZN2at6native32elementwise_kernel_manual_unrollILi128ELi4EZNS0_15gpu_kernel_implIZZZNS0_23bitwise_not_kernel_cudaERNS_18TensorIteratorBaseEENKUlvE_clEvENKUlvE1_clEvEUliE_EEvS4_RKT_EUlibE_EEviT1_.kd
    .uniform_work_group_size: 1
    .uses_dynamic_stack: false
    .vgpr_count:     14
    .vgpr_spill_count: 0
    .wavefront_size: 64
  - .agpr_count:     0
    .args:
      - .offset:         0
        .size:           4
        .value_kind:     by_value
      - .offset:         8
        .size:           352
        .value_kind:     by_value
    .group_segment_fixed_size: 0
    .kernarg_segment_align: 8
    .kernarg_segment_size: 360
    .language:       OpenCL C
    .language_version:
      - 2
      - 0
    .max_flat_workgroup_size: 128
    .name:           _ZN2at6native32elementwise_kernel_manual_unrollILi128ELi4EZNS0_15gpu_kernel_implIZZZNS0_23bitwise_not_kernel_cudaERNS_18TensorIteratorBaseEENKUlvE_clEvENKUlvE1_clEvEUliE_EEvS4_RKT_EUlibE0_EEviT1_
    .private_segment_fixed_size: 0
    .sgpr_count:     84
    .sgpr_spill_count: 0
    .symbol:         _ZN2at6native32elementwise_kernel_manual_unrollILi128ELi4EZNS0_15gpu_kernel_implIZZZNS0_23bitwise_not_kernel_cudaERNS_18TensorIteratorBaseEENKUlvE_clEvENKUlvE1_clEvEUliE_EEvS4_RKT_EUlibE0_EEviT1_.kd
    .uniform_work_group_size: 1
    .uses_dynamic_stack: false
    .vgpr_count:     18
    .vgpr_spill_count: 0
    .wavefront_size: 64
  - .agpr_count:     0
    .args:
      - .offset:         0
        .size:           4
        .value_kind:     by_value
      - .offset:         4
        .size:           1
        .value_kind:     by_value
      - .offset:         8
        .size:           16
        .value_kind:     by_value
    .group_segment_fixed_size: 0
    .kernarg_segment_align: 8
    .kernarg_segment_size: 24
    .language:       OpenCL C
    .language_version:
      - 2
      - 0
    .max_flat_workgroup_size: 256
    .name:           _ZN2at6native29vectorized_elementwise_kernelILi16EZZZNS0_23bitwise_not_kernel_cudaERNS_18TensorIteratorBaseEENKUlvE_clEvENKUlvE2_clEvEUllE_St5arrayIPcLm2EEEEviT0_T1_
    .private_segment_fixed_size: 0
    .sgpr_count:     17
    .sgpr_spill_count: 0
    .symbol:         _ZN2at6native29vectorized_elementwise_kernelILi16EZZZNS0_23bitwise_not_kernel_cudaERNS_18TensorIteratorBaseEENKUlvE_clEvENKUlvE2_clEvEUllE_St5arrayIPcLm2EEEEviT0_T1_.kd
    .uniform_work_group_size: 1
    .uses_dynamic_stack: false
    .vgpr_count:     16
    .vgpr_spill_count: 0
    .wavefront_size: 64
  - .agpr_count:     0
    .args:
      - .offset:         0
        .size:           4
        .value_kind:     by_value
      - .offset:         4
        .size:           1
        .value_kind:     by_value
      - .offset:         8
        .size:           16
        .value_kind:     by_value
    .group_segment_fixed_size: 0
    .kernarg_segment_align: 8
    .kernarg_segment_size: 24
    .language:       OpenCL C
    .language_version:
      - 2
      - 0
    .max_flat_workgroup_size: 256
    .name:           _ZN2at6native29vectorized_elementwise_kernelILi8EZZZNS0_23bitwise_not_kernel_cudaERNS_18TensorIteratorBaseEENKUlvE_clEvENKUlvE2_clEvEUllE_St5arrayIPcLm2EEEEviT0_T1_
    .private_segment_fixed_size: 0
    .sgpr_count:     17
    .sgpr_spill_count: 0
    .symbol:         _ZN2at6native29vectorized_elementwise_kernelILi8EZZZNS0_23bitwise_not_kernel_cudaERNS_18TensorIteratorBaseEENKUlvE_clEvENKUlvE2_clEvEUllE_St5arrayIPcLm2EEEEviT0_T1_.kd
    .uniform_work_group_size: 1
    .uses_dynamic_stack: false
    .vgpr_count:     16
    .vgpr_spill_count: 0
    .wavefront_size: 64
  - .agpr_count:     0
    .args:
      - .offset:         0
        .size:           4
        .value_kind:     by_value
      - .offset:         4
        .size:           1
        .value_kind:     by_value
      - .offset:         8
        .size:           16
        .value_kind:     by_value
    .group_segment_fixed_size: 0
    .kernarg_segment_align: 8
    .kernarg_segment_size: 24
    .language:       OpenCL C
    .language_version:
      - 2
      - 0
    .max_flat_workgroup_size: 256
    .name:           _ZN2at6native29vectorized_elementwise_kernelILi4EZZZNS0_23bitwise_not_kernel_cudaERNS_18TensorIteratorBaseEENKUlvE_clEvENKUlvE2_clEvEUllE_St5arrayIPcLm2EEEEviT0_T1_
    .private_segment_fixed_size: 0
    .sgpr_count:     17
    .sgpr_spill_count: 0
    .symbol:         _ZN2at6native29vectorized_elementwise_kernelILi4EZZZNS0_23bitwise_not_kernel_cudaERNS_18TensorIteratorBaseEENKUlvE_clEvENKUlvE2_clEvEUllE_St5arrayIPcLm2EEEEviT0_T1_.kd
    .uniform_work_group_size: 1
    .uses_dynamic_stack: false
    .vgpr_count:     16
    .vgpr_spill_count: 0
    .wavefront_size: 64
  - .agpr_count:     0
    .args:
      - .offset:         0
        .size:           4
        .value_kind:     by_value
      - .offset:         4
        .size:           1
        .value_kind:     by_value
      - .offset:         8
        .size:           16
        .value_kind:     by_value
    .group_segment_fixed_size: 0
    .kernarg_segment_align: 8
    .kernarg_segment_size: 24
    .language:       OpenCL C
    .language_version:
      - 2
      - 0
    .max_flat_workgroup_size: 256
    .name:           _ZN2at6native29vectorized_elementwise_kernelILi2EZZZNS0_23bitwise_not_kernel_cudaERNS_18TensorIteratorBaseEENKUlvE_clEvENKUlvE2_clEvEUllE_St5arrayIPcLm2EEEEviT0_T1_
    .private_segment_fixed_size: 0
    .sgpr_count:     17
    .sgpr_spill_count: 0
    .symbol:         _ZN2at6native29vectorized_elementwise_kernelILi2EZZZNS0_23bitwise_not_kernel_cudaERNS_18TensorIteratorBaseEENKUlvE_clEvENKUlvE2_clEvEUllE_St5arrayIPcLm2EEEEviT0_T1_.kd
    .uniform_work_group_size: 1
    .uses_dynamic_stack: false
    .vgpr_count:     16
    .vgpr_spill_count: 0
    .wavefront_size: 64
  - .agpr_count:     0
    .args:
      - .offset:         0
        .size:           4
        .value_kind:     by_value
      - .offset:         4
        .size:           1
        .value_kind:     by_value
      - .offset:         8
        .size:           16
        .value_kind:     by_value
      - .offset:         24
        .size:           1
        .value_kind:     by_value
      - .offset:         25
        .size:           1
        .value_kind:     by_value
      - .offset:         26
        .size:           1
        .value_kind:     by_value
      - .offset:         27
        .size:           1
        .value_kind:     by_value
    .group_segment_fixed_size: 0
    .kernarg_segment_align: 8
    .kernarg_segment_size: 28
    .language:       OpenCL C
    .language_version:
      - 2
      - 0
    .max_flat_workgroup_size: 256
    .name:           _ZN2at6native27unrolled_elementwise_kernelIZZZNS0_23bitwise_not_kernel_cudaERNS_18TensorIteratorBaseEENKUlvE_clEvENKUlvE2_clEvEUllE_St5arrayIPcLm2EELi4E23TrivialOffsetCalculatorILi1EjESB_NS0_6memory15LoadWithoutCastENSC_16StoreWithoutCastEEEviT_T0_T2_T3_T4_T5_
    .private_segment_fixed_size: 0
    .sgpr_count:     16
    .sgpr_spill_count: 0
    .symbol:         _ZN2at6native27unrolled_elementwise_kernelIZZZNS0_23bitwise_not_kernel_cudaERNS_18TensorIteratorBaseEENKUlvE_clEvENKUlvE2_clEvEUllE_St5arrayIPcLm2EELi4E23TrivialOffsetCalculatorILi1EjESB_NS0_6memory15LoadWithoutCastENSC_16StoreWithoutCastEEEviT_T0_T2_T3_T4_T5_.kd
    .uniform_work_group_size: 1
    .uses_dynamic_stack: false
    .vgpr_count:     16
    .vgpr_spill_count: 0
    .wavefront_size: 64
  - .agpr_count:     0
    .args:
      - .offset:         0
        .size:           4
        .value_kind:     by_value
      - .offset:         8
        .size:           352
        .value_kind:     by_value
    .group_segment_fixed_size: 0
    .kernarg_segment_align: 8
    .kernarg_segment_size: 360
    .language:       OpenCL C
    .language_version:
      - 2
      - 0
    .max_flat_workgroup_size: 128
    .name:           _ZN2at6native32elementwise_kernel_manual_unrollILi128ELi4EZNS0_22gpu_kernel_impl_nocastIZZZNS0_23bitwise_not_kernel_cudaERNS_18TensorIteratorBaseEENKUlvE_clEvENKUlvE2_clEvEUllE_EEvS4_RKT_EUlibE_EEviT1_
    .private_segment_fixed_size: 0
    .sgpr_count:     66
    .sgpr_spill_count: 0
    .symbol:         _ZN2at6native32elementwise_kernel_manual_unrollILi128ELi4EZNS0_22gpu_kernel_impl_nocastIZZZNS0_23bitwise_not_kernel_cudaERNS_18TensorIteratorBaseEENKUlvE_clEvENKUlvE2_clEvEUllE_EEvS4_RKT_EUlibE_EEviT1_.kd
    .uniform_work_group_size: 1
    .uses_dynamic_stack: false
    .vgpr_count:     24
    .vgpr_spill_count: 0
    .wavefront_size: 64
  - .agpr_count:     0
    .args:
      - .offset:         0
        .size:           4
        .value_kind:     by_value
      - .offset:         8
        .size:           32
        .value_kind:     by_value
    .group_segment_fixed_size: 0
    .kernarg_segment_align: 8
    .kernarg_segment_size: 40
    .language:       OpenCL C
    .language_version:
      - 2
      - 0
    .max_flat_workgroup_size: 128
    .name:           _ZN2at6native32elementwise_kernel_manual_unrollILi128ELi4EZNS0_15gpu_kernel_implIZZZNS0_23bitwise_not_kernel_cudaERNS_18TensorIteratorBaseEENKUlvE_clEvENKUlvE2_clEvEUllE_EEvS4_RKT_EUlibE_EEviT1_
    .private_segment_fixed_size: 0
    .sgpr_count:     52
    .sgpr_spill_count: 0
    .symbol:         _ZN2at6native32elementwise_kernel_manual_unrollILi128ELi4EZNS0_15gpu_kernel_implIZZZNS0_23bitwise_not_kernel_cudaERNS_18TensorIteratorBaseEENKUlvE_clEvENKUlvE2_clEvEUllE_EEvS4_RKT_EUlibE_EEviT1_.kd
    .uniform_work_group_size: 1
    .uses_dynamic_stack: false
    .vgpr_count:     18
    .vgpr_spill_count: 0
    .wavefront_size: 64
  - .agpr_count:     0
    .args:
      - .offset:         0
        .size:           4
        .value_kind:     by_value
      - .offset:         8
        .size:           352
        .value_kind:     by_value
    .group_segment_fixed_size: 0
    .kernarg_segment_align: 8
    .kernarg_segment_size: 360
    .language:       OpenCL C
    .language_version:
      - 2
      - 0
    .max_flat_workgroup_size: 128
    .name:           _ZN2at6native32elementwise_kernel_manual_unrollILi128ELi4EZNS0_15gpu_kernel_implIZZZNS0_23bitwise_not_kernel_cudaERNS_18TensorIteratorBaseEENKUlvE_clEvENKUlvE2_clEvEUllE_EEvS4_RKT_EUlibE0_EEviT1_
    .private_segment_fixed_size: 0
    .sgpr_count:     84
    .sgpr_spill_count: 0
    .symbol:         _ZN2at6native32elementwise_kernel_manual_unrollILi128ELi4EZNS0_15gpu_kernel_implIZZZNS0_23bitwise_not_kernel_cudaERNS_18TensorIteratorBaseEENKUlvE_clEvENKUlvE2_clEvEUllE_EEvS4_RKT_EUlibE0_EEviT1_.kd
    .uniform_work_group_size: 1
    .uses_dynamic_stack: false
    .vgpr_count:     22
    .vgpr_spill_count: 0
    .wavefront_size: 64
  - .agpr_count:     0
    .args:
      - .offset:         0
        .size:           4
        .value_kind:     by_value
      - .offset:         4
        .size:           1
        .value_kind:     by_value
      - .offset:         8
        .size:           16
        .value_kind:     by_value
    .group_segment_fixed_size: 0
    .kernarg_segment_align: 8
    .kernarg_segment_size: 24
    .language:       OpenCL C
    .language_version:
      - 2
      - 0
    .max_flat_workgroup_size: 256
    .name:           _ZN2at6native29vectorized_elementwise_kernelILi16EZZZNS0_23bitwise_not_kernel_cudaERNS_18TensorIteratorBaseEENKUlvE_clEvENKUlvE3_clEvEUlsE_St5arrayIPcLm2EEEEviT0_T1_
    .private_segment_fixed_size: 0
    .sgpr_count:     17
    .sgpr_spill_count: 0
    .symbol:         _ZN2at6native29vectorized_elementwise_kernelILi16EZZZNS0_23bitwise_not_kernel_cudaERNS_18TensorIteratorBaseEENKUlvE_clEvENKUlvE3_clEvEUlsE_St5arrayIPcLm2EEEEviT0_T1_.kd
    .uniform_work_group_size: 1
    .uses_dynamic_stack: false
    .vgpr_count:     14
    .vgpr_spill_count: 0
    .wavefront_size: 64
  - .agpr_count:     0
    .args:
      - .offset:         0
        .size:           4
        .value_kind:     by_value
      - .offset:         4
        .size:           1
        .value_kind:     by_value
      - .offset:         8
        .size:           16
        .value_kind:     by_value
    .group_segment_fixed_size: 0
    .kernarg_segment_align: 8
    .kernarg_segment_size: 24
    .language:       OpenCL C
    .language_version:
      - 2
      - 0
    .max_flat_workgroup_size: 256
    .name:           _ZN2at6native29vectorized_elementwise_kernelILi8EZZZNS0_23bitwise_not_kernel_cudaERNS_18TensorIteratorBaseEENKUlvE_clEvENKUlvE3_clEvEUlsE_St5arrayIPcLm2EEEEviT0_T1_
    .private_segment_fixed_size: 0
    .sgpr_count:     17
    .sgpr_spill_count: 0
    .symbol:         _ZN2at6native29vectorized_elementwise_kernelILi8EZZZNS0_23bitwise_not_kernel_cudaERNS_18TensorIteratorBaseEENKUlvE_clEvENKUlvE3_clEvEUlsE_St5arrayIPcLm2EEEEviT0_T1_.kd
    .uniform_work_group_size: 1
    .uses_dynamic_stack: false
    .vgpr_count:     14
    .vgpr_spill_count: 0
    .wavefront_size: 64
  - .agpr_count:     0
    .args:
      - .offset:         0
        .size:           4
        .value_kind:     by_value
      - .offset:         4
        .size:           1
        .value_kind:     by_value
      - .offset:         8
        .size:           16
        .value_kind:     by_value
    .group_segment_fixed_size: 0
    .kernarg_segment_align: 8
    .kernarg_segment_size: 24
    .language:       OpenCL C
    .language_version:
      - 2
      - 0
    .max_flat_workgroup_size: 256
    .name:           _ZN2at6native29vectorized_elementwise_kernelILi4EZZZNS0_23bitwise_not_kernel_cudaERNS_18TensorIteratorBaseEENKUlvE_clEvENKUlvE3_clEvEUlsE_St5arrayIPcLm2EEEEviT0_T1_
    .private_segment_fixed_size: 0
    .sgpr_count:     17
    .sgpr_spill_count: 0
    .symbol:         _ZN2at6native29vectorized_elementwise_kernelILi4EZZZNS0_23bitwise_not_kernel_cudaERNS_18TensorIteratorBaseEENKUlvE_clEvENKUlvE3_clEvEUlsE_St5arrayIPcLm2EEEEviT0_T1_.kd
    .uniform_work_group_size: 1
    .uses_dynamic_stack: false
    .vgpr_count:     14
    .vgpr_spill_count: 0
    .wavefront_size: 64
  - .agpr_count:     0
    .args:
      - .offset:         0
        .size:           4
        .value_kind:     by_value
      - .offset:         4
        .size:           1
        .value_kind:     by_value
      - .offset:         8
        .size:           16
        .value_kind:     by_value
    .group_segment_fixed_size: 0
    .kernarg_segment_align: 8
    .kernarg_segment_size: 24
    .language:       OpenCL C
    .language_version:
      - 2
      - 0
    .max_flat_workgroup_size: 256
    .name:           _ZN2at6native29vectorized_elementwise_kernelILi2EZZZNS0_23bitwise_not_kernel_cudaERNS_18TensorIteratorBaseEENKUlvE_clEvENKUlvE3_clEvEUlsE_St5arrayIPcLm2EEEEviT0_T1_
    .private_segment_fixed_size: 0
    .sgpr_count:     17
    .sgpr_spill_count: 0
    .symbol:         _ZN2at6native29vectorized_elementwise_kernelILi2EZZZNS0_23bitwise_not_kernel_cudaERNS_18TensorIteratorBaseEENKUlvE_clEvENKUlvE3_clEvEUlsE_St5arrayIPcLm2EEEEviT0_T1_.kd
    .uniform_work_group_size: 1
    .uses_dynamic_stack: false
    .vgpr_count:     14
    .vgpr_spill_count: 0
    .wavefront_size: 64
  - .agpr_count:     0
    .args:
      - .offset:         0
        .size:           4
        .value_kind:     by_value
      - .offset:         4
        .size:           1
        .value_kind:     by_value
      - .offset:         8
        .size:           16
        .value_kind:     by_value
      - .offset:         24
        .size:           1
        .value_kind:     by_value
      - .offset:         25
        .size:           1
        .value_kind:     by_value
      - .offset:         26
        .size:           1
        .value_kind:     by_value
      - .offset:         27
        .size:           1
        .value_kind:     by_value
    .group_segment_fixed_size: 0
    .kernarg_segment_align: 8
    .kernarg_segment_size: 28
    .language:       OpenCL C
    .language_version:
      - 2
      - 0
    .max_flat_workgroup_size: 256
    .name:           _ZN2at6native27unrolled_elementwise_kernelIZZZNS0_23bitwise_not_kernel_cudaERNS_18TensorIteratorBaseEENKUlvE_clEvENKUlvE3_clEvEUlsE_St5arrayIPcLm2EELi4E23TrivialOffsetCalculatorILi1EjESB_NS0_6memory15LoadWithoutCastENSC_16StoreWithoutCastEEEviT_T0_T2_T3_T4_T5_
    .private_segment_fixed_size: 0
    .sgpr_count:     16
    .sgpr_spill_count: 0
    .symbol:         _ZN2at6native27unrolled_elementwise_kernelIZZZNS0_23bitwise_not_kernel_cudaERNS_18TensorIteratorBaseEENKUlvE_clEvENKUlvE3_clEvEUlsE_St5arrayIPcLm2EELi4E23TrivialOffsetCalculatorILi1EjESB_NS0_6memory15LoadWithoutCastENSC_16StoreWithoutCastEEEviT_T0_T2_T3_T4_T5_.kd
    .uniform_work_group_size: 1
    .uses_dynamic_stack: false
    .vgpr_count:     10
    .vgpr_spill_count: 0
    .wavefront_size: 64
  - .agpr_count:     0
    .args:
      - .offset:         0
        .size:           4
        .value_kind:     by_value
      - .offset:         8
        .size:           352
        .value_kind:     by_value
    .group_segment_fixed_size: 0
    .kernarg_segment_align: 8
    .kernarg_segment_size: 360
    .language:       OpenCL C
    .language_version:
      - 2
      - 0
    .max_flat_workgroup_size: 128
    .name:           _ZN2at6native32elementwise_kernel_manual_unrollILi128ELi8EZNS0_22gpu_kernel_impl_nocastIZZZNS0_23bitwise_not_kernel_cudaERNS_18TensorIteratorBaseEENKUlvE_clEvENKUlvE3_clEvEUlsE_EEvS4_RKT_EUlibE_EEviT1_
    .private_segment_fixed_size: 0
    .sgpr_count:     66
    .sgpr_spill_count: 0
    .symbol:         _ZN2at6native32elementwise_kernel_manual_unrollILi128ELi8EZNS0_22gpu_kernel_impl_nocastIZZZNS0_23bitwise_not_kernel_cudaERNS_18TensorIteratorBaseEENKUlvE_clEvENKUlvE3_clEvEUlsE_EEvS4_RKT_EUlibE_EEviT1_.kd
    .uniform_work_group_size: 1
    .uses_dynamic_stack: false
    .vgpr_count:     33
    .vgpr_spill_count: 0
    .wavefront_size: 64
  - .agpr_count:     0
    .args:
      - .offset:         0
        .size:           4
        .value_kind:     by_value
      - .offset:         8
        .size:           32
        .value_kind:     by_value
    .group_segment_fixed_size: 0
    .kernarg_segment_align: 8
    .kernarg_segment_size: 40
    .language:       OpenCL C
    .language_version:
      - 2
      - 0
    .max_flat_workgroup_size: 128
    .name:           _ZN2at6native32elementwise_kernel_manual_unrollILi128ELi4EZNS0_15gpu_kernel_implIZZZNS0_23bitwise_not_kernel_cudaERNS_18TensorIteratorBaseEENKUlvE_clEvENKUlvE3_clEvEUlsE_EEvS4_RKT_EUlibE_EEviT1_
    .private_segment_fixed_size: 0
    .sgpr_count:     52
    .sgpr_spill_count: 0
    .symbol:         _ZN2at6native32elementwise_kernel_manual_unrollILi128ELi4EZNS0_15gpu_kernel_implIZZZNS0_23bitwise_not_kernel_cudaERNS_18TensorIteratorBaseEENKUlvE_clEvENKUlvE3_clEvEUlsE_EEvS4_RKT_EUlibE_EEviT1_.kd
    .uniform_work_group_size: 1
    .uses_dynamic_stack: false
    .vgpr_count:     16
    .vgpr_spill_count: 0
    .wavefront_size: 64
  - .agpr_count:     0
    .args:
      - .offset:         0
        .size:           4
        .value_kind:     by_value
      - .offset:         8
        .size:           352
        .value_kind:     by_value
    .group_segment_fixed_size: 0
    .kernarg_segment_align: 8
    .kernarg_segment_size: 360
    .language:       OpenCL C
    .language_version:
      - 2
      - 0
    .max_flat_workgroup_size: 128
    .name:           _ZN2at6native32elementwise_kernel_manual_unrollILi128ELi4EZNS0_15gpu_kernel_implIZZZNS0_23bitwise_not_kernel_cudaERNS_18TensorIteratorBaseEENKUlvE_clEvENKUlvE3_clEvEUlsE_EEvS4_RKT_EUlibE0_EEviT1_
    .private_segment_fixed_size: 0
    .sgpr_count:     84
    .sgpr_spill_count: 0
    .symbol:         _ZN2at6native32elementwise_kernel_manual_unrollILi128ELi4EZNS0_15gpu_kernel_implIZZZNS0_23bitwise_not_kernel_cudaERNS_18TensorIteratorBaseEENKUlvE_clEvENKUlvE3_clEvEUlsE_EEvS4_RKT_EUlibE0_EEviT1_.kd
    .uniform_work_group_size: 1
    .uses_dynamic_stack: false
    .vgpr_count:     18
    .vgpr_spill_count: 0
    .wavefront_size: 64
  - .agpr_count:     0
    .args:
      - .offset:         0
        .size:           4
        .value_kind:     by_value
      - .offset:         4
        .size:           1
        .value_kind:     by_value
      - .offset:         8
        .size:           16
        .value_kind:     by_value
    .group_segment_fixed_size: 0
    .kernarg_segment_align: 8
    .kernarg_segment_size: 24
    .language:       OpenCL C
    .language_version:
      - 2
      - 0
    .max_flat_workgroup_size: 256
    .name:           _ZN2at6native29vectorized_elementwise_kernelILi16EZZZNS0_15exp_kernel_cudaERNS_18TensorIteratorBaseEENKUlvE_clEvENKUlvE_clEvEUlN3c107complexIdEEE_St5arrayIPcLm2EEEEviT0_T1_
    .private_segment_fixed_size: 0
    .sgpr_count:     54
    .sgpr_spill_count: 0
    .symbol:         _ZN2at6native29vectorized_elementwise_kernelILi16EZZZNS0_15exp_kernel_cudaERNS_18TensorIteratorBaseEENKUlvE_clEvENKUlvE_clEvEUlN3c107complexIdEEE_St5arrayIPcLm2EEEEviT0_T1_.kd
    .uniform_work_group_size: 1
    .uses_dynamic_stack: false
    .vgpr_count:     62
    .vgpr_spill_count: 0
    .wavefront_size: 64
  - .agpr_count:     0
    .args:
      - .offset:         0
        .size:           4
        .value_kind:     by_value
      - .offset:         4
        .size:           1
        .value_kind:     by_value
      - .offset:         8
        .size:           16
        .value_kind:     by_value
    .group_segment_fixed_size: 0
    .kernarg_segment_align: 8
    .kernarg_segment_size: 24
    .language:       OpenCL C
    .language_version:
      - 2
      - 0
    .max_flat_workgroup_size: 256
    .name:           _ZN2at6native29vectorized_elementwise_kernelILi8EZZZNS0_15exp_kernel_cudaERNS_18TensorIteratorBaseEENKUlvE_clEvENKUlvE_clEvEUlN3c107complexIdEEE_St5arrayIPcLm2EEEEviT0_T1_
    .private_segment_fixed_size: 0
    .sgpr_count:     54
    .sgpr_spill_count: 0
    .symbol:         _ZN2at6native29vectorized_elementwise_kernelILi8EZZZNS0_15exp_kernel_cudaERNS_18TensorIteratorBaseEENKUlvE_clEvENKUlvE_clEvEUlN3c107complexIdEEE_St5arrayIPcLm2EEEEviT0_T1_.kd
    .uniform_work_group_size: 1
    .uses_dynamic_stack: false
    .vgpr_count:     62
    .vgpr_spill_count: 0
    .wavefront_size: 64
  - .agpr_count:     0
    .args:
      - .offset:         0
        .size:           4
        .value_kind:     by_value
      - .offset:         4
        .size:           1
        .value_kind:     by_value
      - .offset:         8
        .size:           16
        .value_kind:     by_value
    .group_segment_fixed_size: 0
    .kernarg_segment_align: 8
    .kernarg_segment_size: 24
    .language:       OpenCL C
    .language_version:
      - 2
      - 0
    .max_flat_workgroup_size: 256
    .name:           _ZN2at6native29vectorized_elementwise_kernelILi4EZZZNS0_15exp_kernel_cudaERNS_18TensorIteratorBaseEENKUlvE_clEvENKUlvE_clEvEUlN3c107complexIdEEE_St5arrayIPcLm2EEEEviT0_T1_
    .private_segment_fixed_size: 0
    .sgpr_count:     54
    .sgpr_spill_count: 0
    .symbol:         _ZN2at6native29vectorized_elementwise_kernelILi4EZZZNS0_15exp_kernel_cudaERNS_18TensorIteratorBaseEENKUlvE_clEvENKUlvE_clEvEUlN3c107complexIdEEE_St5arrayIPcLm2EEEEviT0_T1_.kd
    .uniform_work_group_size: 1
    .uses_dynamic_stack: false
    .vgpr_count:     62
    .vgpr_spill_count: 0
    .wavefront_size: 64
  - .agpr_count:     0
    .args:
      - .offset:         0
        .size:           4
        .value_kind:     by_value
      - .offset:         4
        .size:           1
        .value_kind:     by_value
      - .offset:         8
        .size:           16
        .value_kind:     by_value
    .group_segment_fixed_size: 0
    .kernarg_segment_align: 8
    .kernarg_segment_size: 24
    .language:       OpenCL C
    .language_version:
      - 2
      - 0
    .max_flat_workgroup_size: 256
    .name:           _ZN2at6native29vectorized_elementwise_kernelILi2EZZZNS0_15exp_kernel_cudaERNS_18TensorIteratorBaseEENKUlvE_clEvENKUlvE_clEvEUlN3c107complexIdEEE_St5arrayIPcLm2EEEEviT0_T1_
    .private_segment_fixed_size: 0
    .sgpr_count:     54
    .sgpr_spill_count: 0
    .symbol:         _ZN2at6native29vectorized_elementwise_kernelILi2EZZZNS0_15exp_kernel_cudaERNS_18TensorIteratorBaseEENKUlvE_clEvENKUlvE_clEvEUlN3c107complexIdEEE_St5arrayIPcLm2EEEEviT0_T1_.kd
    .uniform_work_group_size: 1
    .uses_dynamic_stack: false
    .vgpr_count:     62
    .vgpr_spill_count: 0
    .wavefront_size: 64
  - .agpr_count:     0
    .args:
      - .offset:         0
        .size:           4
        .value_kind:     by_value
      - .offset:         4
        .size:           1
        .value_kind:     by_value
      - .offset:         8
        .size:           16
        .value_kind:     by_value
      - .offset:         24
        .size:           1
        .value_kind:     by_value
      - .offset:         25
        .size:           1
        .value_kind:     by_value
      - .offset:         26
        .size:           1
        .value_kind:     by_value
      - .offset:         27
        .size:           1
        .value_kind:     by_value
    .group_segment_fixed_size: 0
    .kernarg_segment_align: 8
    .kernarg_segment_size: 28
    .language:       OpenCL C
    .language_version:
      - 2
      - 0
    .max_flat_workgroup_size: 256
    .name:           _ZN2at6native27unrolled_elementwise_kernelIZZZNS0_15exp_kernel_cudaERNS_18TensorIteratorBaseEENKUlvE_clEvENKUlvE_clEvEUlN3c107complexIdEEE_St5arrayIPcLm2EELi4E23TrivialOffsetCalculatorILi1EjESE_NS0_6memory15LoadWithoutCastENSF_16StoreWithoutCastEEEviT_T0_T2_T3_T4_T5_
    .private_segment_fixed_size: 0
    .sgpr_count:     50
    .sgpr_spill_count: 0
    .symbol:         _ZN2at6native27unrolled_elementwise_kernelIZZZNS0_15exp_kernel_cudaERNS_18TensorIteratorBaseEENKUlvE_clEvENKUlvE_clEvEUlN3c107complexIdEEE_St5arrayIPcLm2EELi4E23TrivialOffsetCalculatorILi1EjESE_NS0_6memory15LoadWithoutCastENSF_16StoreWithoutCastEEEviT_T0_T2_T3_T4_T5_.kd
    .uniform_work_group_size: 1
    .uses_dynamic_stack: false
    .vgpr_count:     62
    .vgpr_spill_count: 0
    .wavefront_size: 64
  - .agpr_count:     0
    .args:
      - .offset:         0
        .size:           4
        .value_kind:     by_value
      - .offset:         8
        .size:           352
        .value_kind:     by_value
    .group_segment_fixed_size: 0
    .kernarg_segment_align: 8
    .kernarg_segment_size: 360
    .language:       OpenCL C
    .language_version:
      - 2
      - 0
    .max_flat_workgroup_size: 128
    .name:           _ZN2at6native32elementwise_kernel_manual_unrollILi128ELi4EZNS0_22gpu_kernel_impl_nocastIZZZNS0_15exp_kernel_cudaERNS_18TensorIteratorBaseEENKUlvE_clEvENKUlvE_clEvEUlN3c107complexIdEEE_EEvS4_RKT_EUlibE_EEviT1_
    .private_segment_fixed_size: 0
    .sgpr_count:     74
    .sgpr_spill_count: 0
    .symbol:         _ZN2at6native32elementwise_kernel_manual_unrollILi128ELi4EZNS0_22gpu_kernel_impl_nocastIZZZNS0_15exp_kernel_cudaERNS_18TensorIteratorBaseEENKUlvE_clEvENKUlvE_clEvEUlN3c107complexIdEEE_EEvS4_RKT_EUlibE_EEviT1_.kd
    .uniform_work_group_size: 1
    .uses_dynamic_stack: false
    .vgpr_count:     58
    .vgpr_spill_count: 0
    .wavefront_size: 64
  - .agpr_count:     0
    .args:
      - .offset:         0
        .size:           4
        .value_kind:     by_value
      - .offset:         8
        .size:           32
        .value_kind:     by_value
    .group_segment_fixed_size: 0
    .kernarg_segment_align: 8
    .kernarg_segment_size: 40
    .language:       OpenCL C
    .language_version:
      - 2
      - 0
    .max_flat_workgroup_size: 128
    .name:           _ZN2at6native32elementwise_kernel_manual_unrollILi128ELi4EZNS0_15gpu_kernel_implIZZZNS0_15exp_kernel_cudaERNS_18TensorIteratorBaseEENKUlvE_clEvENKUlvE_clEvEUlN3c107complexIdEEE_EEvS4_RKT_EUlibE_EEviT1_
    .private_segment_fixed_size: 0
    .sgpr_count:     71
    .sgpr_spill_count: 0
    .symbol:         _ZN2at6native32elementwise_kernel_manual_unrollILi128ELi4EZNS0_15gpu_kernel_implIZZZNS0_15exp_kernel_cudaERNS_18TensorIteratorBaseEENKUlvE_clEvENKUlvE_clEvEUlN3c107complexIdEEE_EEvS4_RKT_EUlibE_EEviT1_.kd
    .uniform_work_group_size: 1
    .uses_dynamic_stack: false
    .vgpr_count:     48
    .vgpr_spill_count: 0
    .wavefront_size: 64
  - .agpr_count:     0
    .args:
      - .offset:         0
        .size:           4
        .value_kind:     by_value
      - .offset:         8
        .size:           352
        .value_kind:     by_value
    .group_segment_fixed_size: 0
    .kernarg_segment_align: 8
    .kernarg_segment_size: 360
    .language:       OpenCL C
    .language_version:
      - 2
      - 0
    .max_flat_workgroup_size: 128
    .name:           _ZN2at6native32elementwise_kernel_manual_unrollILi128ELi4EZNS0_15gpu_kernel_implIZZZNS0_15exp_kernel_cudaERNS_18TensorIteratorBaseEENKUlvE_clEvENKUlvE_clEvEUlN3c107complexIdEEE_EEvS4_RKT_EUlibE0_EEviT1_
    .private_segment_fixed_size: 0
    .sgpr_count:     94
    .sgpr_spill_count: 0
    .symbol:         _ZN2at6native32elementwise_kernel_manual_unrollILi128ELi4EZNS0_15gpu_kernel_implIZZZNS0_15exp_kernel_cudaERNS_18TensorIteratorBaseEENKUlvE_clEvENKUlvE_clEvEUlN3c107complexIdEEE_EEvS4_RKT_EUlibE0_EEviT1_.kd
    .uniform_work_group_size: 1
    .uses_dynamic_stack: false
    .vgpr_count:     54
    .vgpr_spill_count: 0
    .wavefront_size: 64
  - .agpr_count:     0
    .args:
      - .offset:         0
        .size:           4
        .value_kind:     by_value
      - .offset:         4
        .size:           1
        .value_kind:     by_value
      - .offset:         8
        .size:           16
        .value_kind:     by_value
    .group_segment_fixed_size: 0
    .kernarg_segment_align: 8
    .kernarg_segment_size: 24
    .language:       OpenCL C
    .language_version:
      - 2
      - 0
    .max_flat_workgroup_size: 256
    .name:           _ZN2at6native29vectorized_elementwise_kernelILi16EZZZNS0_15exp_kernel_cudaERNS_18TensorIteratorBaseEENKUlvE_clEvENKUlvE0_clEvEUlN3c107complexIfEEE_St5arrayIPcLm2EEEEviT0_T1_
    .private_segment_fixed_size: 0
    .sgpr_count:     39
    .sgpr_spill_count: 0
    .symbol:         _ZN2at6native29vectorized_elementwise_kernelILi16EZZZNS0_15exp_kernel_cudaERNS_18TensorIteratorBaseEENKUlvE_clEvENKUlvE0_clEvEUlN3c107complexIfEEE_St5arrayIPcLm2EEEEviT0_T1_.kd
    .uniform_work_group_size: 1
    .uses_dynamic_stack: false
    .vgpr_count:     37
    .vgpr_spill_count: 0
    .wavefront_size: 64
  - .agpr_count:     0
    .args:
      - .offset:         0
        .size:           4
        .value_kind:     by_value
      - .offset:         4
        .size:           1
        .value_kind:     by_value
      - .offset:         8
        .size:           16
        .value_kind:     by_value
    .group_segment_fixed_size: 0
    .kernarg_segment_align: 8
    .kernarg_segment_size: 24
    .language:       OpenCL C
    .language_version:
      - 2
      - 0
    .max_flat_workgroup_size: 256
    .name:           _ZN2at6native29vectorized_elementwise_kernelILi8EZZZNS0_15exp_kernel_cudaERNS_18TensorIteratorBaseEENKUlvE_clEvENKUlvE0_clEvEUlN3c107complexIfEEE_St5arrayIPcLm2EEEEviT0_T1_
    .private_segment_fixed_size: 0
    .sgpr_count:     39
    .sgpr_spill_count: 0
    .symbol:         _ZN2at6native29vectorized_elementwise_kernelILi8EZZZNS0_15exp_kernel_cudaERNS_18TensorIteratorBaseEENKUlvE_clEvENKUlvE0_clEvEUlN3c107complexIfEEE_St5arrayIPcLm2EEEEviT0_T1_.kd
    .uniform_work_group_size: 1
    .uses_dynamic_stack: false
    .vgpr_count:     37
    .vgpr_spill_count: 0
    .wavefront_size: 64
  - .agpr_count:     0
    .args:
      - .offset:         0
        .size:           4
        .value_kind:     by_value
      - .offset:         4
        .size:           1
        .value_kind:     by_value
      - .offset:         8
        .size:           16
        .value_kind:     by_value
    .group_segment_fixed_size: 0
    .kernarg_segment_align: 8
    .kernarg_segment_size: 24
    .language:       OpenCL C
    .language_version:
      - 2
      - 0
    .max_flat_workgroup_size: 256
    .name:           _ZN2at6native29vectorized_elementwise_kernelILi4EZZZNS0_15exp_kernel_cudaERNS_18TensorIteratorBaseEENKUlvE_clEvENKUlvE0_clEvEUlN3c107complexIfEEE_St5arrayIPcLm2EEEEviT0_T1_
    .private_segment_fixed_size: 0
    .sgpr_count:     39
    .sgpr_spill_count: 0
    .symbol:         _ZN2at6native29vectorized_elementwise_kernelILi4EZZZNS0_15exp_kernel_cudaERNS_18TensorIteratorBaseEENKUlvE_clEvENKUlvE0_clEvEUlN3c107complexIfEEE_St5arrayIPcLm2EEEEviT0_T1_.kd
    .uniform_work_group_size: 1
    .uses_dynamic_stack: false
    .vgpr_count:     37
    .vgpr_spill_count: 0
    .wavefront_size: 64
  - .agpr_count:     0
    .args:
      - .offset:         0
        .size:           4
        .value_kind:     by_value
      - .offset:         4
        .size:           1
        .value_kind:     by_value
      - .offset:         8
        .size:           16
        .value_kind:     by_value
    .group_segment_fixed_size: 0
    .kernarg_segment_align: 8
    .kernarg_segment_size: 24
    .language:       OpenCL C
    .language_version:
      - 2
      - 0
    .max_flat_workgroup_size: 256
    .name:           _ZN2at6native29vectorized_elementwise_kernelILi2EZZZNS0_15exp_kernel_cudaERNS_18TensorIteratorBaseEENKUlvE_clEvENKUlvE0_clEvEUlN3c107complexIfEEE_St5arrayIPcLm2EEEEviT0_T1_
    .private_segment_fixed_size: 0
    .sgpr_count:     39
    .sgpr_spill_count: 0
    .symbol:         _ZN2at6native29vectorized_elementwise_kernelILi2EZZZNS0_15exp_kernel_cudaERNS_18TensorIteratorBaseEENKUlvE_clEvENKUlvE0_clEvEUlN3c107complexIfEEE_St5arrayIPcLm2EEEEviT0_T1_.kd
    .uniform_work_group_size: 1
    .uses_dynamic_stack: false
    .vgpr_count:     37
    .vgpr_spill_count: 0
    .wavefront_size: 64
  - .agpr_count:     0
    .args:
      - .offset:         0
        .size:           4
        .value_kind:     by_value
      - .offset:         4
        .size:           1
        .value_kind:     by_value
      - .offset:         8
        .size:           16
        .value_kind:     by_value
      - .offset:         24
        .size:           1
        .value_kind:     by_value
      - .offset:         25
        .size:           1
        .value_kind:     by_value
      - .offset:         26
        .size:           1
        .value_kind:     by_value
      - .offset:         27
        .size:           1
        .value_kind:     by_value
    .group_segment_fixed_size: 0
    .kernarg_segment_align: 8
    .kernarg_segment_size: 28
    .language:       OpenCL C
    .language_version:
      - 2
      - 0
    .max_flat_workgroup_size: 256
    .name:           _ZN2at6native27unrolled_elementwise_kernelIZZZNS0_15exp_kernel_cudaERNS_18TensorIteratorBaseEENKUlvE_clEvENKUlvE0_clEvEUlN3c107complexIfEEE_St5arrayIPcLm2EELi4E23TrivialOffsetCalculatorILi1EjESE_NS0_6memory15LoadWithoutCastENSF_16StoreWithoutCastEEEviT_T0_T2_T3_T4_T5_
    .private_segment_fixed_size: 0
    .sgpr_count:     39
    .sgpr_spill_count: 0
    .symbol:         _ZN2at6native27unrolled_elementwise_kernelIZZZNS0_15exp_kernel_cudaERNS_18TensorIteratorBaseEENKUlvE_clEvENKUlvE0_clEvEUlN3c107complexIfEEE_St5arrayIPcLm2EELi4E23TrivialOffsetCalculatorILi1EjESE_NS0_6memory15LoadWithoutCastENSF_16StoreWithoutCastEEEviT_T0_T2_T3_T4_T5_.kd
    .uniform_work_group_size: 1
    .uses_dynamic_stack: false
    .vgpr_count:     37
    .vgpr_spill_count: 0
    .wavefront_size: 64
  - .agpr_count:     0
    .args:
      - .offset:         0
        .size:           4
        .value_kind:     by_value
      - .offset:         8
        .size:           352
        .value_kind:     by_value
    .group_segment_fixed_size: 0
    .kernarg_segment_align: 8
    .kernarg_segment_size: 360
    .language:       OpenCL C
    .language_version:
      - 2
      - 0
    .max_flat_workgroup_size: 128
    .name:           _ZN2at6native32elementwise_kernel_manual_unrollILi128ELi4EZNS0_22gpu_kernel_impl_nocastIZZZNS0_15exp_kernel_cudaERNS_18TensorIteratorBaseEENKUlvE_clEvENKUlvE0_clEvEUlN3c107complexIfEEE_EEvS4_RKT_EUlibE_EEviT1_
    .private_segment_fixed_size: 0
    .sgpr_count:     66
    .sgpr_spill_count: 0
    .symbol:         _ZN2at6native32elementwise_kernel_manual_unrollILi128ELi4EZNS0_22gpu_kernel_impl_nocastIZZZNS0_15exp_kernel_cudaERNS_18TensorIteratorBaseEENKUlvE_clEvENKUlvE0_clEvEUlN3c107complexIfEEE_EEvS4_RKT_EUlibE_EEviT1_.kd
    .uniform_work_group_size: 1
    .uses_dynamic_stack: false
    .vgpr_count:     40
    .vgpr_spill_count: 0
    .wavefront_size: 64
  - .agpr_count:     0
    .args:
      - .offset:         0
        .size:           4
        .value_kind:     by_value
      - .offset:         8
        .size:           32
        .value_kind:     by_value
    .group_segment_fixed_size: 0
    .kernarg_segment_align: 8
    .kernarg_segment_size: 40
    .language:       OpenCL C
    .language_version:
      - 2
      - 0
    .max_flat_workgroup_size: 128
    .name:           _ZN2at6native32elementwise_kernel_manual_unrollILi128ELi4EZNS0_15gpu_kernel_implIZZZNS0_15exp_kernel_cudaERNS_18TensorIteratorBaseEENKUlvE_clEvENKUlvE0_clEvEUlN3c107complexIfEEE_EEvS4_RKT_EUlibE_EEviT1_
    .private_segment_fixed_size: 0
    .sgpr_count:     56
    .sgpr_spill_count: 0
    .symbol:         _ZN2at6native32elementwise_kernel_manual_unrollILi128ELi4EZNS0_15gpu_kernel_implIZZZNS0_15exp_kernel_cudaERNS_18TensorIteratorBaseEENKUlvE_clEvENKUlvE0_clEvEUlN3c107complexIfEEE_EEvS4_RKT_EUlibE_EEviT1_.kd
    .uniform_work_group_size: 1
    .uses_dynamic_stack: false
    .vgpr_count:     30
    .vgpr_spill_count: 0
    .wavefront_size: 64
  - .agpr_count:     0
    .args:
      - .offset:         0
        .size:           4
        .value_kind:     by_value
      - .offset:         8
        .size:           352
        .value_kind:     by_value
    .group_segment_fixed_size: 0
    .kernarg_segment_align: 8
    .kernarg_segment_size: 360
    .language:       OpenCL C
    .language_version:
      - 2
      - 0
    .max_flat_workgroup_size: 128
    .name:           _ZN2at6native32elementwise_kernel_manual_unrollILi128ELi4EZNS0_15gpu_kernel_implIZZZNS0_15exp_kernel_cudaERNS_18TensorIteratorBaseEENKUlvE_clEvENKUlvE0_clEvEUlN3c107complexIfEEE_EEvS4_RKT_EUlibE0_EEviT1_
    .private_segment_fixed_size: 0
    .sgpr_count:     84
    .sgpr_spill_count: 0
    .symbol:         _ZN2at6native32elementwise_kernel_manual_unrollILi128ELi4EZNS0_15gpu_kernel_implIZZZNS0_15exp_kernel_cudaERNS_18TensorIteratorBaseEENKUlvE_clEvENKUlvE0_clEvEUlN3c107complexIfEEE_EEvS4_RKT_EUlibE0_EEviT1_.kd
    .uniform_work_group_size: 1
    .uses_dynamic_stack: false
    .vgpr_count:     36
    .vgpr_spill_count: 0
    .wavefront_size: 64
  - .agpr_count:     0
    .args:
      - .offset:         0
        .size:           4
        .value_kind:     by_value
      - .offset:         4
        .size:           1
        .value_kind:     by_value
      - .offset:         8
        .size:           16
        .value_kind:     by_value
    .group_segment_fixed_size: 0
    .kernarg_segment_align: 8
    .kernarg_segment_size: 24
    .language:       OpenCL C
    .language_version:
      - 2
      - 0
    .max_flat_workgroup_size: 256
    .name:           _ZN2at6native29vectorized_elementwise_kernelILi16EZZZNS0_15exp_kernel_cudaERNS_18TensorIteratorBaseEENKUlvE_clEvENKUlvE1_clEvEUlN3c107complexINS6_4HalfEEEE_St5arrayIPcLm2EEEEviT0_T1_
    .private_segment_fixed_size: 0
    .sgpr_count:     39
    .sgpr_spill_count: 0
    .symbol:         _ZN2at6native29vectorized_elementwise_kernelILi16EZZZNS0_15exp_kernel_cudaERNS_18TensorIteratorBaseEENKUlvE_clEvENKUlvE1_clEvEUlN3c107complexINS6_4HalfEEEE_St5arrayIPcLm2EEEEviT0_T1_.kd
    .uniform_work_group_size: 1
    .uses_dynamic_stack: false
    .vgpr_count:     31
    .vgpr_spill_count: 0
    .wavefront_size: 64
  - .agpr_count:     0
    .args:
      - .offset:         0
        .size:           4
        .value_kind:     by_value
      - .offset:         4
        .size:           1
        .value_kind:     by_value
      - .offset:         8
        .size:           16
        .value_kind:     by_value
    .group_segment_fixed_size: 0
    .kernarg_segment_align: 8
    .kernarg_segment_size: 24
    .language:       OpenCL C
    .language_version:
      - 2
      - 0
    .max_flat_workgroup_size: 256
    .name:           _ZN2at6native29vectorized_elementwise_kernelILi8EZZZNS0_15exp_kernel_cudaERNS_18TensorIteratorBaseEENKUlvE_clEvENKUlvE1_clEvEUlN3c107complexINS6_4HalfEEEE_St5arrayIPcLm2EEEEviT0_T1_
    .private_segment_fixed_size: 0
    .sgpr_count:     39
    .sgpr_spill_count: 0
    .symbol:         _ZN2at6native29vectorized_elementwise_kernelILi8EZZZNS0_15exp_kernel_cudaERNS_18TensorIteratorBaseEENKUlvE_clEvENKUlvE1_clEvEUlN3c107complexINS6_4HalfEEEE_St5arrayIPcLm2EEEEviT0_T1_.kd
    .uniform_work_group_size: 1
    .uses_dynamic_stack: false
    .vgpr_count:     31
    .vgpr_spill_count: 0
    .wavefront_size: 64
  - .agpr_count:     0
    .args:
      - .offset:         0
        .size:           4
        .value_kind:     by_value
      - .offset:         4
        .size:           1
        .value_kind:     by_value
      - .offset:         8
        .size:           16
        .value_kind:     by_value
    .group_segment_fixed_size: 0
    .kernarg_segment_align: 8
    .kernarg_segment_size: 24
    .language:       OpenCL C
    .language_version:
      - 2
      - 0
    .max_flat_workgroup_size: 256
    .name:           _ZN2at6native29vectorized_elementwise_kernelILi4EZZZNS0_15exp_kernel_cudaERNS_18TensorIteratorBaseEENKUlvE_clEvENKUlvE1_clEvEUlN3c107complexINS6_4HalfEEEE_St5arrayIPcLm2EEEEviT0_T1_
    .private_segment_fixed_size: 0
    .sgpr_count:     39
    .sgpr_spill_count: 0
    .symbol:         _ZN2at6native29vectorized_elementwise_kernelILi4EZZZNS0_15exp_kernel_cudaERNS_18TensorIteratorBaseEENKUlvE_clEvENKUlvE1_clEvEUlN3c107complexINS6_4HalfEEEE_St5arrayIPcLm2EEEEviT0_T1_.kd
    .uniform_work_group_size: 1
    .uses_dynamic_stack: false
    .vgpr_count:     31
    .vgpr_spill_count: 0
    .wavefront_size: 64
  - .agpr_count:     0
    .args:
      - .offset:         0
        .size:           4
        .value_kind:     by_value
      - .offset:         4
        .size:           1
        .value_kind:     by_value
      - .offset:         8
        .size:           16
        .value_kind:     by_value
    .group_segment_fixed_size: 0
    .kernarg_segment_align: 8
    .kernarg_segment_size: 24
    .language:       OpenCL C
    .language_version:
      - 2
      - 0
    .max_flat_workgroup_size: 256
    .name:           _ZN2at6native29vectorized_elementwise_kernelILi2EZZZNS0_15exp_kernel_cudaERNS_18TensorIteratorBaseEENKUlvE_clEvENKUlvE1_clEvEUlN3c107complexINS6_4HalfEEEE_St5arrayIPcLm2EEEEviT0_T1_
    .private_segment_fixed_size: 0
    .sgpr_count:     39
    .sgpr_spill_count: 0
    .symbol:         _ZN2at6native29vectorized_elementwise_kernelILi2EZZZNS0_15exp_kernel_cudaERNS_18TensorIteratorBaseEENKUlvE_clEvENKUlvE1_clEvEUlN3c107complexINS6_4HalfEEEE_St5arrayIPcLm2EEEEviT0_T1_.kd
    .uniform_work_group_size: 1
    .uses_dynamic_stack: false
    .vgpr_count:     30
    .vgpr_spill_count: 0
    .wavefront_size: 64
  - .agpr_count:     0
    .args:
      - .offset:         0
        .size:           4
        .value_kind:     by_value
      - .offset:         4
        .size:           1
        .value_kind:     by_value
      - .offset:         8
        .size:           16
        .value_kind:     by_value
      - .offset:         24
        .size:           1
        .value_kind:     by_value
      - .offset:         25
        .size:           1
        .value_kind:     by_value
      - .offset:         26
        .size:           1
        .value_kind:     by_value
      - .offset:         27
        .size:           1
        .value_kind:     by_value
    .group_segment_fixed_size: 0
    .kernarg_segment_align: 8
    .kernarg_segment_size: 28
    .language:       OpenCL C
    .language_version:
      - 2
      - 0
    .max_flat_workgroup_size: 256
    .name:           _ZN2at6native27unrolled_elementwise_kernelIZZZNS0_15exp_kernel_cudaERNS_18TensorIteratorBaseEENKUlvE_clEvENKUlvE1_clEvEUlN3c107complexINS6_4HalfEEEE_St5arrayIPcLm2EELi4E23TrivialOffsetCalculatorILi1EjESF_NS0_6memory15LoadWithoutCastENSG_16StoreWithoutCastEEEviT_T0_T2_T3_T4_T5_
    .private_segment_fixed_size: 0
    .sgpr_count:     39
    .sgpr_spill_count: 0
    .symbol:         _ZN2at6native27unrolled_elementwise_kernelIZZZNS0_15exp_kernel_cudaERNS_18TensorIteratorBaseEENKUlvE_clEvENKUlvE1_clEvEUlN3c107complexINS6_4HalfEEEE_St5arrayIPcLm2EELi4E23TrivialOffsetCalculatorILi1EjESF_NS0_6memory15LoadWithoutCastENSG_16StoreWithoutCastEEEviT_T0_T2_T3_T4_T5_.kd
    .uniform_work_group_size: 1
    .uses_dynamic_stack: false
    .vgpr_count:     30
    .vgpr_spill_count: 0
    .wavefront_size: 64
  - .agpr_count:     0
    .args:
      - .offset:         0
        .size:           4
        .value_kind:     by_value
      - .offset:         8
        .size:           352
        .value_kind:     by_value
    .group_segment_fixed_size: 0
    .kernarg_segment_align: 8
    .kernarg_segment_size: 360
    .language:       OpenCL C
    .language_version:
      - 2
      - 0
    .max_flat_workgroup_size: 128
    .name:           _ZN2at6native32elementwise_kernel_manual_unrollILi128ELi4EZNS0_22gpu_kernel_impl_nocastIZZZNS0_15exp_kernel_cudaERNS_18TensorIteratorBaseEENKUlvE_clEvENKUlvE1_clEvEUlN3c107complexINS7_4HalfEEEE_EEvS4_RKT_EUlibE_EEviT1_
    .private_segment_fixed_size: 0
    .sgpr_count:     66
    .sgpr_spill_count: 0
    .symbol:         _ZN2at6native32elementwise_kernel_manual_unrollILi128ELi4EZNS0_22gpu_kernel_impl_nocastIZZZNS0_15exp_kernel_cudaERNS_18TensorIteratorBaseEENKUlvE_clEvENKUlvE1_clEvEUlN3c107complexINS7_4HalfEEEE_EEvS4_RKT_EUlibE_EEviT1_.kd
    .uniform_work_group_size: 1
    .uses_dynamic_stack: false
    .vgpr_count:     36
    .vgpr_spill_count: 0
    .wavefront_size: 64
  - .agpr_count:     0
    .args:
      - .offset:         0
        .size:           4
        .value_kind:     by_value
      - .offset:         8
        .size:           32
        .value_kind:     by_value
    .group_segment_fixed_size: 0
    .kernarg_segment_align: 8
    .kernarg_segment_size: 40
    .language:       OpenCL C
    .language_version:
      - 2
      - 0
    .max_flat_workgroup_size: 128
    .name:           _ZN2at6native32elementwise_kernel_manual_unrollILi128ELi4EZNS0_15gpu_kernel_implIZZZNS0_15exp_kernel_cudaERNS_18TensorIteratorBaseEENKUlvE_clEvENKUlvE1_clEvEUlN3c107complexINS7_4HalfEEEE_EEvS4_RKT_EUlibE_EEviT1_
    .private_segment_fixed_size: 0
    .sgpr_count:     56
    .sgpr_spill_count: 0
    .symbol:         _ZN2at6native32elementwise_kernel_manual_unrollILi128ELi4EZNS0_15gpu_kernel_implIZZZNS0_15exp_kernel_cudaERNS_18TensorIteratorBaseEENKUlvE_clEvENKUlvE1_clEvEUlN3c107complexINS7_4HalfEEEE_EEvS4_RKT_EUlibE_EEviT1_.kd
    .uniform_work_group_size: 1
    .uses_dynamic_stack: false
    .vgpr_count:     30
    .vgpr_spill_count: 0
    .wavefront_size: 64
  - .agpr_count:     0
    .args:
      - .offset:         0
        .size:           4
        .value_kind:     by_value
      - .offset:         8
        .size:           352
        .value_kind:     by_value
    .group_segment_fixed_size: 0
    .kernarg_segment_align: 8
    .kernarg_segment_size: 360
    .language:       OpenCL C
    .language_version:
      - 2
      - 0
    .max_flat_workgroup_size: 128
    .name:           _ZN2at6native32elementwise_kernel_manual_unrollILi128ELi4EZNS0_15gpu_kernel_implIZZZNS0_15exp_kernel_cudaERNS_18TensorIteratorBaseEENKUlvE_clEvENKUlvE1_clEvEUlN3c107complexINS7_4HalfEEEE_EEvS4_RKT_EUlibE0_EEviT1_
    .private_segment_fixed_size: 0
    .sgpr_count:     84
    .sgpr_spill_count: 0
    .symbol:         _ZN2at6native32elementwise_kernel_manual_unrollILi128ELi4EZNS0_15gpu_kernel_implIZZZNS0_15exp_kernel_cudaERNS_18TensorIteratorBaseEENKUlvE_clEvENKUlvE1_clEvEUlN3c107complexINS7_4HalfEEEE_EEvS4_RKT_EUlibE0_EEviT1_.kd
    .uniform_work_group_size: 1
    .uses_dynamic_stack: false
    .vgpr_count:     33
    .vgpr_spill_count: 0
    .wavefront_size: 64
  - .agpr_count:     0
    .args:
      - .offset:         0
        .size:           4
        .value_kind:     by_value
      - .offset:         4
        .size:           1
        .value_kind:     by_value
      - .offset:         8
        .size:           16
        .value_kind:     by_value
    .group_segment_fixed_size: 0
    .kernarg_segment_align: 8
    .kernarg_segment_size: 24
    .language:       OpenCL C
    .language_version:
      - 2
      - 0
    .max_flat_workgroup_size: 256
    .name:           _ZN2at6native29vectorized_elementwise_kernelILi16EZZZNS0_15exp_kernel_cudaERNS_18TensorIteratorBaseEENKUlvE0_clEvENKUlvE_clEvEUldE_St5arrayIPcLm2EEEEviT0_T1_
    .private_segment_fixed_size: 0
    .sgpr_count:     48
    .sgpr_spill_count: 0
    .symbol:         _ZN2at6native29vectorized_elementwise_kernelILi16EZZZNS0_15exp_kernel_cudaERNS_18TensorIteratorBaseEENKUlvE0_clEvENKUlvE_clEvEUldE_St5arrayIPcLm2EEEEviT0_T1_.kd
    .uniform_work_group_size: 1
    .uses_dynamic_stack: false
    .vgpr_count:     28
    .vgpr_spill_count: 0
    .wavefront_size: 64
  - .agpr_count:     0
    .args:
      - .offset:         0
        .size:           4
        .value_kind:     by_value
      - .offset:         4
        .size:           1
        .value_kind:     by_value
      - .offset:         8
        .size:           16
        .value_kind:     by_value
    .group_segment_fixed_size: 0
    .kernarg_segment_align: 8
    .kernarg_segment_size: 24
    .language:       OpenCL C
    .language_version:
      - 2
      - 0
    .max_flat_workgroup_size: 256
    .name:           _ZN2at6native29vectorized_elementwise_kernelILi8EZZZNS0_15exp_kernel_cudaERNS_18TensorIteratorBaseEENKUlvE0_clEvENKUlvE_clEvEUldE_St5arrayIPcLm2EEEEviT0_T1_
    .private_segment_fixed_size: 0
    .sgpr_count:     48
    .sgpr_spill_count: 0
    .symbol:         _ZN2at6native29vectorized_elementwise_kernelILi8EZZZNS0_15exp_kernel_cudaERNS_18TensorIteratorBaseEENKUlvE0_clEvENKUlvE_clEvEUldE_St5arrayIPcLm2EEEEviT0_T1_.kd
    .uniform_work_group_size: 1
    .uses_dynamic_stack: false
    .vgpr_count:     28
    .vgpr_spill_count: 0
    .wavefront_size: 64
  - .agpr_count:     0
    .args:
      - .offset:         0
        .size:           4
        .value_kind:     by_value
      - .offset:         4
        .size:           1
        .value_kind:     by_value
      - .offset:         8
        .size:           16
        .value_kind:     by_value
    .group_segment_fixed_size: 0
    .kernarg_segment_align: 8
    .kernarg_segment_size: 24
    .language:       OpenCL C
    .language_version:
      - 2
      - 0
    .max_flat_workgroup_size: 256
    .name:           _ZN2at6native29vectorized_elementwise_kernelILi4EZZZNS0_15exp_kernel_cudaERNS_18TensorIteratorBaseEENKUlvE0_clEvENKUlvE_clEvEUldE_St5arrayIPcLm2EEEEviT0_T1_
    .private_segment_fixed_size: 0
    .sgpr_count:     48
    .sgpr_spill_count: 0
    .symbol:         _ZN2at6native29vectorized_elementwise_kernelILi4EZZZNS0_15exp_kernel_cudaERNS_18TensorIteratorBaseEENKUlvE0_clEvENKUlvE_clEvEUldE_St5arrayIPcLm2EEEEviT0_T1_.kd
    .uniform_work_group_size: 1
    .uses_dynamic_stack: false
    .vgpr_count:     28
    .vgpr_spill_count: 0
    .wavefront_size: 64
  - .agpr_count:     0
    .args:
      - .offset:         0
        .size:           4
        .value_kind:     by_value
      - .offset:         4
        .size:           1
        .value_kind:     by_value
      - .offset:         8
        .size:           16
        .value_kind:     by_value
    .group_segment_fixed_size: 0
    .kernarg_segment_align: 8
    .kernarg_segment_size: 24
    .language:       OpenCL C
    .language_version:
      - 2
      - 0
    .max_flat_workgroup_size: 256
    .name:           _ZN2at6native29vectorized_elementwise_kernelILi2EZZZNS0_15exp_kernel_cudaERNS_18TensorIteratorBaseEENKUlvE0_clEvENKUlvE_clEvEUldE_St5arrayIPcLm2EEEEviT0_T1_
    .private_segment_fixed_size: 0
    .sgpr_count:     48
    .sgpr_spill_count: 0
    .symbol:         _ZN2at6native29vectorized_elementwise_kernelILi2EZZZNS0_15exp_kernel_cudaERNS_18TensorIteratorBaseEENKUlvE0_clEvENKUlvE_clEvEUldE_St5arrayIPcLm2EEEEviT0_T1_.kd
    .uniform_work_group_size: 1
    .uses_dynamic_stack: false
    .vgpr_count:     30
    .vgpr_spill_count: 0
    .wavefront_size: 64
  - .agpr_count:     0
    .args:
      - .offset:         0
        .size:           4
        .value_kind:     by_value
      - .offset:         4
        .size:           1
        .value_kind:     by_value
      - .offset:         8
        .size:           16
        .value_kind:     by_value
      - .offset:         24
        .size:           1
        .value_kind:     by_value
      - .offset:         25
        .size:           1
        .value_kind:     by_value
      - .offset:         26
        .size:           1
        .value_kind:     by_value
      - .offset:         27
        .size:           1
        .value_kind:     by_value
    .group_segment_fixed_size: 0
    .kernarg_segment_align: 8
    .kernarg_segment_size: 28
    .language:       OpenCL C
    .language_version:
      - 2
      - 0
    .max_flat_workgroup_size: 256
    .name:           _ZN2at6native27unrolled_elementwise_kernelIZZZNS0_15exp_kernel_cudaERNS_18TensorIteratorBaseEENKUlvE0_clEvENKUlvE_clEvEUldE_St5arrayIPcLm2EELi4E23TrivialOffsetCalculatorILi1EjESB_NS0_6memory15LoadWithoutCastENSC_16StoreWithoutCastEEEviT_T0_T2_T3_T4_T5_
    .private_segment_fixed_size: 0
    .sgpr_count:     16
    .sgpr_spill_count: 0
    .symbol:         _ZN2at6native27unrolled_elementwise_kernelIZZZNS0_15exp_kernel_cudaERNS_18TensorIteratorBaseEENKUlvE0_clEvENKUlvE_clEvEUldE_St5arrayIPcLm2EELi4E23TrivialOffsetCalculatorILi1EjESB_NS0_6memory15LoadWithoutCastENSC_16StoreWithoutCastEEEviT_T0_T2_T3_T4_T5_.kd
    .uniform_work_group_size: 1
    .uses_dynamic_stack: false
    .vgpr_count:     26
    .vgpr_spill_count: 0
    .wavefront_size: 64
  - .agpr_count:     0
    .args:
      - .offset:         0
        .size:           4
        .value_kind:     by_value
      - .offset:         8
        .size:           352
        .value_kind:     by_value
    .group_segment_fixed_size: 0
    .kernarg_segment_align: 8
    .kernarg_segment_size: 360
    .language:       OpenCL C
    .language_version:
      - 2
      - 0
    .max_flat_workgroup_size: 128
    .name:           _ZN2at6native32elementwise_kernel_manual_unrollILi128ELi4EZNS0_22gpu_kernel_impl_nocastIZZZNS0_15exp_kernel_cudaERNS_18TensorIteratorBaseEENKUlvE0_clEvENKUlvE_clEvEUldE_EEvS4_RKT_EUlibE_EEviT1_
    .private_segment_fixed_size: 0
    .sgpr_count:     66
    .sgpr_spill_count: 0
    .symbol:         _ZN2at6native32elementwise_kernel_manual_unrollILi128ELi4EZNS0_22gpu_kernel_impl_nocastIZZZNS0_15exp_kernel_cudaERNS_18TensorIteratorBaseEENKUlvE0_clEvENKUlvE_clEvEUldE_EEvS4_RKT_EUlibE_EEviT1_.kd
    .uniform_work_group_size: 1
    .uses_dynamic_stack: false
    .vgpr_count:     30
    .vgpr_spill_count: 0
    .wavefront_size: 64
  - .agpr_count:     0
    .args:
      - .offset:         0
        .size:           4
        .value_kind:     by_value
      - .offset:         8
        .size:           32
        .value_kind:     by_value
    .group_segment_fixed_size: 0
    .kernarg_segment_align: 8
    .kernarg_segment_size: 40
    .language:       OpenCL C
    .language_version:
      - 2
      - 0
    .max_flat_workgroup_size: 128
    .name:           _ZN2at6native32elementwise_kernel_manual_unrollILi128ELi4EZNS0_15gpu_kernel_implIZZZNS0_15exp_kernel_cudaERNS_18TensorIteratorBaseEENKUlvE0_clEvENKUlvE_clEvEUldE_EEvS4_RKT_EUlibE_EEviT1_
    .private_segment_fixed_size: 0
    .sgpr_count:     50
    .sgpr_spill_count: 0
    .symbol:         _ZN2at6native32elementwise_kernel_manual_unrollILi128ELi4EZNS0_15gpu_kernel_implIZZZNS0_15exp_kernel_cudaERNS_18TensorIteratorBaseEENKUlvE0_clEvENKUlvE_clEvEUldE_EEvS4_RKT_EUlibE_EEviT1_.kd
    .uniform_work_group_size: 1
    .uses_dynamic_stack: false
    .vgpr_count:     18
    .vgpr_spill_count: 0
    .wavefront_size: 64
  - .agpr_count:     0
    .args:
      - .offset:         0
        .size:           4
        .value_kind:     by_value
      - .offset:         8
        .size:           352
        .value_kind:     by_value
    .group_segment_fixed_size: 0
    .kernarg_segment_align: 8
    .kernarg_segment_size: 360
    .language:       OpenCL C
    .language_version:
      - 2
      - 0
    .max_flat_workgroup_size: 128
    .name:           _ZN2at6native32elementwise_kernel_manual_unrollILi128ELi4EZNS0_15gpu_kernel_implIZZZNS0_15exp_kernel_cudaERNS_18TensorIteratorBaseEENKUlvE0_clEvENKUlvE_clEvEUldE_EEvS4_RKT_EUlibE0_EEviT1_
    .private_segment_fixed_size: 0
    .sgpr_count:     84
    .sgpr_spill_count: 0
    .symbol:         _ZN2at6native32elementwise_kernel_manual_unrollILi128ELi4EZNS0_15gpu_kernel_implIZZZNS0_15exp_kernel_cudaERNS_18TensorIteratorBaseEENKUlvE0_clEvENKUlvE_clEvEUldE_EEvS4_RKT_EUlibE0_EEviT1_.kd
    .uniform_work_group_size: 1
    .uses_dynamic_stack: false
    .vgpr_count:     24
    .vgpr_spill_count: 0
    .wavefront_size: 64
  - .agpr_count:     0
    .args:
      - .offset:         0
        .size:           4
        .value_kind:     by_value
      - .offset:         4
        .size:           1
        .value_kind:     by_value
      - .offset:         8
        .size:           16
        .value_kind:     by_value
    .group_segment_fixed_size: 0
    .kernarg_segment_align: 8
    .kernarg_segment_size: 24
    .language:       OpenCL C
    .language_version:
      - 2
      - 0
    .max_flat_workgroup_size: 256
    .name:           _ZN2at6native29vectorized_elementwise_kernelILi16EZZZNS0_15exp_kernel_cudaERNS_18TensorIteratorBaseEENKUlvE0_clEvENKUlvE0_clEvEUlfE_St5arrayIPcLm2EEEEviT0_T1_
    .private_segment_fixed_size: 0
    .sgpr_count:     17
    .sgpr_spill_count: 0
    .symbol:         _ZN2at6native29vectorized_elementwise_kernelILi16EZZZNS0_15exp_kernel_cudaERNS_18TensorIteratorBaseEENKUlvE0_clEvENKUlvE0_clEvEUlfE_St5arrayIPcLm2EEEEviT0_T1_.kd
    .uniform_work_group_size: 1
    .uses_dynamic_stack: false
    .vgpr_count:     19
    .vgpr_spill_count: 0
    .wavefront_size: 64
  - .agpr_count:     0
    .args:
      - .offset:         0
        .size:           4
        .value_kind:     by_value
      - .offset:         4
        .size:           1
        .value_kind:     by_value
      - .offset:         8
        .size:           16
        .value_kind:     by_value
    .group_segment_fixed_size: 0
    .kernarg_segment_align: 8
    .kernarg_segment_size: 24
    .language:       OpenCL C
    .language_version:
      - 2
      - 0
    .max_flat_workgroup_size: 256
    .name:           _ZN2at6native29vectorized_elementwise_kernelILi8EZZZNS0_15exp_kernel_cudaERNS_18TensorIteratorBaseEENKUlvE0_clEvENKUlvE0_clEvEUlfE_St5arrayIPcLm2EEEEviT0_T1_
    .private_segment_fixed_size: 0
    .sgpr_count:     17
    .sgpr_spill_count: 0
    .symbol:         _ZN2at6native29vectorized_elementwise_kernelILi8EZZZNS0_15exp_kernel_cudaERNS_18TensorIteratorBaseEENKUlvE0_clEvENKUlvE0_clEvEUlfE_St5arrayIPcLm2EEEEviT0_T1_.kd
    .uniform_work_group_size: 1
    .uses_dynamic_stack: false
    .vgpr_count:     19
    .vgpr_spill_count: 0
    .wavefront_size: 64
  - .agpr_count:     0
    .args:
      - .offset:         0
        .size:           4
        .value_kind:     by_value
      - .offset:         4
        .size:           1
        .value_kind:     by_value
      - .offset:         8
        .size:           16
        .value_kind:     by_value
    .group_segment_fixed_size: 0
    .kernarg_segment_align: 8
    .kernarg_segment_size: 24
    .language:       OpenCL C
    .language_version:
      - 2
      - 0
    .max_flat_workgroup_size: 256
    .name:           _ZN2at6native29vectorized_elementwise_kernelILi4EZZZNS0_15exp_kernel_cudaERNS_18TensorIteratorBaseEENKUlvE0_clEvENKUlvE0_clEvEUlfE_St5arrayIPcLm2EEEEviT0_T1_
    .private_segment_fixed_size: 0
    .sgpr_count:     17
    .sgpr_spill_count: 0
    .symbol:         _ZN2at6native29vectorized_elementwise_kernelILi4EZZZNS0_15exp_kernel_cudaERNS_18TensorIteratorBaseEENKUlvE0_clEvENKUlvE0_clEvEUlfE_St5arrayIPcLm2EEEEviT0_T1_.kd
    .uniform_work_group_size: 1
    .uses_dynamic_stack: false
    .vgpr_count:     19
    .vgpr_spill_count: 0
    .wavefront_size: 64
  - .agpr_count:     0
    .args:
      - .offset:         0
        .size:           4
        .value_kind:     by_value
      - .offset:         4
        .size:           1
        .value_kind:     by_value
      - .offset:         8
        .size:           16
        .value_kind:     by_value
    .group_segment_fixed_size: 0
    .kernarg_segment_align: 8
    .kernarg_segment_size: 24
    .language:       OpenCL C
    .language_version:
      - 2
      - 0
    .max_flat_workgroup_size: 256
    .name:           _ZN2at6native29vectorized_elementwise_kernelILi2EZZZNS0_15exp_kernel_cudaERNS_18TensorIteratorBaseEENKUlvE0_clEvENKUlvE0_clEvEUlfE_St5arrayIPcLm2EEEEviT0_T1_
    .private_segment_fixed_size: 0
    .sgpr_count:     17
    .sgpr_spill_count: 0
    .symbol:         _ZN2at6native29vectorized_elementwise_kernelILi2EZZZNS0_15exp_kernel_cudaERNS_18TensorIteratorBaseEENKUlvE0_clEvENKUlvE0_clEvEUlfE_St5arrayIPcLm2EEEEviT0_T1_.kd
    .uniform_work_group_size: 1
    .uses_dynamic_stack: false
    .vgpr_count:     19
    .vgpr_spill_count: 0
    .wavefront_size: 64
  - .agpr_count:     0
    .args:
      - .offset:         0
        .size:           4
        .value_kind:     by_value
      - .offset:         4
        .size:           1
        .value_kind:     by_value
      - .offset:         8
        .size:           16
        .value_kind:     by_value
      - .offset:         24
        .size:           1
        .value_kind:     by_value
      - .offset:         25
        .size:           1
        .value_kind:     by_value
      - .offset:         26
        .size:           1
        .value_kind:     by_value
      - .offset:         27
        .size:           1
        .value_kind:     by_value
    .group_segment_fixed_size: 0
    .kernarg_segment_align: 8
    .kernarg_segment_size: 28
    .language:       OpenCL C
    .language_version:
      - 2
      - 0
    .max_flat_workgroup_size: 256
    .name:           _ZN2at6native27unrolled_elementwise_kernelIZZZNS0_15exp_kernel_cudaERNS_18TensorIteratorBaseEENKUlvE0_clEvENKUlvE0_clEvEUlfE_St5arrayIPcLm2EELi4E23TrivialOffsetCalculatorILi1EjESB_NS0_6memory15LoadWithoutCastENSC_16StoreWithoutCastEEEviT_T0_T2_T3_T4_T5_
    .private_segment_fixed_size: 0
    .sgpr_count:     17
    .sgpr_spill_count: 0
    .symbol:         _ZN2at6native27unrolled_elementwise_kernelIZZZNS0_15exp_kernel_cudaERNS_18TensorIteratorBaseEENKUlvE0_clEvENKUlvE0_clEvEUlfE_St5arrayIPcLm2EELi4E23TrivialOffsetCalculatorILi1EjESB_NS0_6memory15LoadWithoutCastENSC_16StoreWithoutCastEEEviT_T0_T2_T3_T4_T5_.kd
    .uniform_work_group_size: 1
    .uses_dynamic_stack: false
    .vgpr_count:     10
    .vgpr_spill_count: 0
    .wavefront_size: 64
  - .agpr_count:     0
    .args:
      - .offset:         0
        .size:           4
        .value_kind:     by_value
      - .offset:         8
        .size:           352
        .value_kind:     by_value
    .group_segment_fixed_size: 0
    .kernarg_segment_align: 8
    .kernarg_segment_size: 360
    .language:       OpenCL C
    .language_version:
      - 2
      - 0
    .max_flat_workgroup_size: 128
    .name:           _ZN2at6native32elementwise_kernel_manual_unrollILi128ELi4EZNS0_22gpu_kernel_impl_nocastIZZZNS0_15exp_kernel_cudaERNS_18TensorIteratorBaseEENKUlvE0_clEvENKUlvE0_clEvEUlfE_EEvS4_RKT_EUlibE_EEviT1_
    .private_segment_fixed_size: 0
    .sgpr_count:     66
    .sgpr_spill_count: 0
    .symbol:         _ZN2at6native32elementwise_kernel_manual_unrollILi128ELi4EZNS0_22gpu_kernel_impl_nocastIZZZNS0_15exp_kernel_cudaERNS_18TensorIteratorBaseEENKUlvE0_clEvENKUlvE0_clEvEUlfE_EEvS4_RKT_EUlibE_EEviT1_.kd
    .uniform_work_group_size: 1
    .uses_dynamic_stack: false
    .vgpr_count:     21
    .vgpr_spill_count: 0
    .wavefront_size: 64
  - .agpr_count:     0
    .args:
      - .offset:         0
        .size:           4
        .value_kind:     by_value
      - .offset:         8
        .size:           32
        .value_kind:     by_value
    .group_segment_fixed_size: 0
    .kernarg_segment_align: 8
    .kernarg_segment_size: 40
    .language:       OpenCL C
    .language_version:
      - 2
      - 0
    .max_flat_workgroup_size: 128
    .name:           _ZN2at6native32elementwise_kernel_manual_unrollILi128ELi4EZNS0_15gpu_kernel_implIZZZNS0_15exp_kernel_cudaERNS_18TensorIteratorBaseEENKUlvE0_clEvENKUlvE0_clEvEUlfE_EEvS4_RKT_EUlibE_EEviT1_
    .private_segment_fixed_size: 0
    .sgpr_count:     50
    .sgpr_spill_count: 0
    .symbol:         _ZN2at6native32elementwise_kernel_manual_unrollILi128ELi4EZNS0_15gpu_kernel_implIZZZNS0_15exp_kernel_cudaERNS_18TensorIteratorBaseEENKUlvE0_clEvENKUlvE0_clEvEUlfE_EEvS4_RKT_EUlibE_EEviT1_.kd
    .uniform_work_group_size: 1
    .uses_dynamic_stack: false
    .vgpr_count:     14
    .vgpr_spill_count: 0
    .wavefront_size: 64
  - .agpr_count:     0
    .args:
      - .offset:         0
        .size:           4
        .value_kind:     by_value
      - .offset:         8
        .size:           352
        .value_kind:     by_value
    .group_segment_fixed_size: 0
    .kernarg_segment_align: 8
    .kernarg_segment_size: 360
    .language:       OpenCL C
    .language_version:
      - 2
      - 0
    .max_flat_workgroup_size: 128
    .name:           _ZN2at6native32elementwise_kernel_manual_unrollILi128ELi4EZNS0_15gpu_kernel_implIZZZNS0_15exp_kernel_cudaERNS_18TensorIteratorBaseEENKUlvE0_clEvENKUlvE0_clEvEUlfE_EEvS4_RKT_EUlibE0_EEviT1_
    .private_segment_fixed_size: 0
    .sgpr_count:     84
    .sgpr_spill_count: 0
    .symbol:         _ZN2at6native32elementwise_kernel_manual_unrollILi128ELi4EZNS0_15gpu_kernel_implIZZZNS0_15exp_kernel_cudaERNS_18TensorIteratorBaseEENKUlvE0_clEvENKUlvE0_clEvEUlfE_EEvS4_RKT_EUlibE0_EEviT1_.kd
    .uniform_work_group_size: 1
    .uses_dynamic_stack: false
    .vgpr_count:     18
    .vgpr_spill_count: 0
    .wavefront_size: 64
  - .agpr_count:     0
    .args:
      - .offset:         0
        .size:           4
        .value_kind:     by_value
      - .offset:         4
        .size:           1
        .value_kind:     by_value
      - .offset:         8
        .size:           16
        .value_kind:     by_value
    .group_segment_fixed_size: 0
    .kernarg_segment_align: 8
    .kernarg_segment_size: 24
    .language:       OpenCL C
    .language_version:
      - 2
      - 0
    .max_flat_workgroup_size: 256
    .name:           _ZN2at6native29vectorized_elementwise_kernelILi16EZZZNS0_15exp_kernel_cudaERNS_18TensorIteratorBaseEENKUlvE0_clEvENKUlvE1_clEvEUlN3c104HalfEE_St5arrayIPcLm2EEEEviT0_T1_
    .private_segment_fixed_size: 0
    .sgpr_count:     18
    .sgpr_spill_count: 0
    .symbol:         _ZN2at6native29vectorized_elementwise_kernelILi16EZZZNS0_15exp_kernel_cudaERNS_18TensorIteratorBaseEENKUlvE0_clEvENKUlvE1_clEvEUlN3c104HalfEE_St5arrayIPcLm2EEEEviT0_T1_.kd
    .uniform_work_group_size: 1
    .uses_dynamic_stack: false
    .vgpr_count:     35
    .vgpr_spill_count: 0
    .wavefront_size: 64
  - .agpr_count:     0
    .args:
      - .offset:         0
        .size:           4
        .value_kind:     by_value
      - .offset:         4
        .size:           1
        .value_kind:     by_value
      - .offset:         8
        .size:           16
        .value_kind:     by_value
    .group_segment_fixed_size: 0
    .kernarg_segment_align: 8
    .kernarg_segment_size: 24
    .language:       OpenCL C
    .language_version:
      - 2
      - 0
    .max_flat_workgroup_size: 256
    .name:           _ZN2at6native29vectorized_elementwise_kernelILi8EZZZNS0_15exp_kernel_cudaERNS_18TensorIteratorBaseEENKUlvE0_clEvENKUlvE1_clEvEUlN3c104HalfEE_St5arrayIPcLm2EEEEviT0_T1_
    .private_segment_fixed_size: 0
    .sgpr_count:     18
    .sgpr_spill_count: 0
    .symbol:         _ZN2at6native29vectorized_elementwise_kernelILi8EZZZNS0_15exp_kernel_cudaERNS_18TensorIteratorBaseEENKUlvE0_clEvENKUlvE1_clEvEUlN3c104HalfEE_St5arrayIPcLm2EEEEviT0_T1_.kd
    .uniform_work_group_size: 1
    .uses_dynamic_stack: false
    .vgpr_count:     35
    .vgpr_spill_count: 0
    .wavefront_size: 64
  - .agpr_count:     0
    .args:
      - .offset:         0
        .size:           4
        .value_kind:     by_value
      - .offset:         4
        .size:           1
        .value_kind:     by_value
      - .offset:         8
        .size:           16
        .value_kind:     by_value
    .group_segment_fixed_size: 0
    .kernarg_segment_align: 8
    .kernarg_segment_size: 24
    .language:       OpenCL C
    .language_version:
      - 2
      - 0
    .max_flat_workgroup_size: 256
    .name:           _ZN2at6native29vectorized_elementwise_kernelILi4EZZZNS0_15exp_kernel_cudaERNS_18TensorIteratorBaseEENKUlvE0_clEvENKUlvE1_clEvEUlN3c104HalfEE_St5arrayIPcLm2EEEEviT0_T1_
    .private_segment_fixed_size: 0
    .sgpr_count:     18
    .sgpr_spill_count: 0
    .symbol:         _ZN2at6native29vectorized_elementwise_kernelILi4EZZZNS0_15exp_kernel_cudaERNS_18TensorIteratorBaseEENKUlvE0_clEvENKUlvE1_clEvEUlN3c104HalfEE_St5arrayIPcLm2EEEEviT0_T1_.kd
    .uniform_work_group_size: 1
    .uses_dynamic_stack: false
    .vgpr_count:     35
    .vgpr_spill_count: 0
    .wavefront_size: 64
  - .agpr_count:     0
    .args:
      - .offset:         0
        .size:           4
        .value_kind:     by_value
      - .offset:         4
        .size:           1
        .value_kind:     by_value
      - .offset:         8
        .size:           16
        .value_kind:     by_value
    .group_segment_fixed_size: 0
    .kernarg_segment_align: 8
    .kernarg_segment_size: 24
    .language:       OpenCL C
    .language_version:
      - 2
      - 0
    .max_flat_workgroup_size: 256
    .name:           _ZN2at6native29vectorized_elementwise_kernelILi2EZZZNS0_15exp_kernel_cudaERNS_18TensorIteratorBaseEENKUlvE0_clEvENKUlvE1_clEvEUlN3c104HalfEE_St5arrayIPcLm2EEEEviT0_T1_
    .private_segment_fixed_size: 0
    .sgpr_count:     18
    .sgpr_spill_count: 0
    .symbol:         _ZN2at6native29vectorized_elementwise_kernelILi2EZZZNS0_15exp_kernel_cudaERNS_18TensorIteratorBaseEENKUlvE0_clEvENKUlvE1_clEvEUlN3c104HalfEE_St5arrayIPcLm2EEEEviT0_T1_.kd
    .uniform_work_group_size: 1
    .uses_dynamic_stack: false
    .vgpr_count:     34
    .vgpr_spill_count: 0
    .wavefront_size: 64
  - .agpr_count:     0
    .args:
      - .offset:         0
        .size:           4
        .value_kind:     by_value
      - .offset:         4
        .size:           1
        .value_kind:     by_value
      - .offset:         8
        .size:           16
        .value_kind:     by_value
      - .offset:         24
        .size:           1
        .value_kind:     by_value
      - .offset:         25
        .size:           1
        .value_kind:     by_value
      - .offset:         26
        .size:           1
        .value_kind:     by_value
      - .offset:         27
        .size:           1
        .value_kind:     by_value
    .group_segment_fixed_size: 0
    .kernarg_segment_align: 8
    .kernarg_segment_size: 28
    .language:       OpenCL C
    .language_version:
      - 2
      - 0
    .max_flat_workgroup_size: 256
    .name:           _ZN2at6native27unrolled_elementwise_kernelIZZZNS0_15exp_kernel_cudaERNS_18TensorIteratorBaseEENKUlvE0_clEvENKUlvE1_clEvEUlN3c104HalfEE_St5arrayIPcLm2EELi4E23TrivialOffsetCalculatorILi1EjESD_NS0_6memory15LoadWithoutCastENSE_16StoreWithoutCastEEEviT_T0_T2_T3_T4_T5_
    .private_segment_fixed_size: 0
    .sgpr_count:     17
    .sgpr_spill_count: 0
    .symbol:         _ZN2at6native27unrolled_elementwise_kernelIZZZNS0_15exp_kernel_cudaERNS_18TensorIteratorBaseEENKUlvE0_clEvENKUlvE1_clEvEUlN3c104HalfEE_St5arrayIPcLm2EELi4E23TrivialOffsetCalculatorILi1EjESD_NS0_6memory15LoadWithoutCastENSE_16StoreWithoutCastEEEviT_T0_T2_T3_T4_T5_.kd
    .uniform_work_group_size: 1
    .uses_dynamic_stack: false
    .vgpr_count:     11
    .vgpr_spill_count: 0
    .wavefront_size: 64
  - .agpr_count:     0
    .args:
      - .offset:         0
        .size:           4
        .value_kind:     by_value
      - .offset:         8
        .size:           352
        .value_kind:     by_value
    .group_segment_fixed_size: 0
    .kernarg_segment_align: 8
    .kernarg_segment_size: 360
    .language:       OpenCL C
    .language_version:
      - 2
      - 0
    .max_flat_workgroup_size: 128
    .name:           _ZN2at6native32elementwise_kernel_manual_unrollILi128ELi8EZNS0_22gpu_kernel_impl_nocastIZZZNS0_15exp_kernel_cudaERNS_18TensorIteratorBaseEENKUlvE0_clEvENKUlvE1_clEvEUlN3c104HalfEE_EEvS4_RKT_EUlibE_EEviT1_
    .private_segment_fixed_size: 0
    .sgpr_count:     66
    .sgpr_spill_count: 0
    .symbol:         _ZN2at6native32elementwise_kernel_manual_unrollILi128ELi8EZNS0_22gpu_kernel_impl_nocastIZZZNS0_15exp_kernel_cudaERNS_18TensorIteratorBaseEENKUlvE0_clEvENKUlvE1_clEvEUlN3c104HalfEE_EEvS4_RKT_EUlibE_EEviT1_.kd
    .uniform_work_group_size: 1
    .uses_dynamic_stack: false
    .vgpr_count:     42
    .vgpr_spill_count: 0
    .wavefront_size: 64
  - .agpr_count:     0
    .args:
      - .offset:         0
        .size:           4
        .value_kind:     by_value
      - .offset:         8
        .size:           32
        .value_kind:     by_value
    .group_segment_fixed_size: 0
    .kernarg_segment_align: 8
    .kernarg_segment_size: 40
    .language:       OpenCL C
    .language_version:
      - 2
      - 0
    .max_flat_workgroup_size: 128
    .name:           _ZN2at6native32elementwise_kernel_manual_unrollILi128ELi4EZNS0_15gpu_kernel_implIZZZNS0_15exp_kernel_cudaERNS_18TensorIteratorBaseEENKUlvE0_clEvENKUlvE1_clEvEUlN3c104HalfEE_EEvS4_RKT_EUlibE_EEviT1_
    .private_segment_fixed_size: 0
    .sgpr_count:     50
    .sgpr_spill_count: 0
    .symbol:         _ZN2at6native32elementwise_kernel_manual_unrollILi128ELi4EZNS0_15gpu_kernel_implIZZZNS0_15exp_kernel_cudaERNS_18TensorIteratorBaseEENKUlvE0_clEvENKUlvE1_clEvEUlN3c104HalfEE_EEvS4_RKT_EUlibE_EEviT1_.kd
    .uniform_work_group_size: 1
    .uses_dynamic_stack: false
    .vgpr_count:     14
    .vgpr_spill_count: 0
    .wavefront_size: 64
  - .agpr_count:     0
    .args:
      - .offset:         0
        .size:           4
        .value_kind:     by_value
      - .offset:         8
        .size:           352
        .value_kind:     by_value
    .group_segment_fixed_size: 0
    .kernarg_segment_align: 8
    .kernarg_segment_size: 360
    .language:       OpenCL C
    .language_version:
      - 2
      - 0
    .max_flat_workgroup_size: 128
    .name:           _ZN2at6native32elementwise_kernel_manual_unrollILi128ELi4EZNS0_15gpu_kernel_implIZZZNS0_15exp_kernel_cudaERNS_18TensorIteratorBaseEENKUlvE0_clEvENKUlvE1_clEvEUlN3c104HalfEE_EEvS4_RKT_EUlibE0_EEviT1_
    .private_segment_fixed_size: 0
    .sgpr_count:     84
    .sgpr_spill_count: 0
    .symbol:         _ZN2at6native32elementwise_kernel_manual_unrollILi128ELi4EZNS0_15gpu_kernel_implIZZZNS0_15exp_kernel_cudaERNS_18TensorIteratorBaseEENKUlvE0_clEvENKUlvE1_clEvEUlN3c104HalfEE_EEvS4_RKT_EUlibE0_EEviT1_.kd
    .uniform_work_group_size: 1
    .uses_dynamic_stack: false
    .vgpr_count:     18
    .vgpr_spill_count: 0
    .wavefront_size: 64
  - .agpr_count:     0
    .args:
      - .offset:         0
        .size:           4
        .value_kind:     by_value
      - .offset:         4
        .size:           1
        .value_kind:     by_value
      - .offset:         8
        .size:           16
        .value_kind:     by_value
    .group_segment_fixed_size: 0
    .kernarg_segment_align: 8
    .kernarg_segment_size: 24
    .language:       OpenCL C
    .language_version:
      - 2
      - 0
    .max_flat_workgroup_size: 256
    .name:           _ZN2at6native29vectorized_elementwise_kernelILi16EZZZNS0_15exp_kernel_cudaERNS_18TensorIteratorBaseEENKUlvE0_clEvENKUlvE2_clEvEUlN3c108BFloat16EE_St5arrayIPcLm2EEEEviT0_T1_
    .private_segment_fixed_size: 0
    .sgpr_count:     18
    .sgpr_spill_count: 0
    .symbol:         _ZN2at6native29vectorized_elementwise_kernelILi16EZZZNS0_15exp_kernel_cudaERNS_18TensorIteratorBaseEENKUlvE0_clEvENKUlvE2_clEvEUlN3c108BFloat16EE_St5arrayIPcLm2EEEEviT0_T1_.kd
    .uniform_work_group_size: 1
    .uses_dynamic_stack: false
    .vgpr_count:     32
    .vgpr_spill_count: 0
    .wavefront_size: 64
  - .agpr_count:     0
    .args:
      - .offset:         0
        .size:           4
        .value_kind:     by_value
      - .offset:         4
        .size:           1
        .value_kind:     by_value
      - .offset:         8
        .size:           16
        .value_kind:     by_value
    .group_segment_fixed_size: 0
    .kernarg_segment_align: 8
    .kernarg_segment_size: 24
    .language:       OpenCL C
    .language_version:
      - 2
      - 0
    .max_flat_workgroup_size: 256
    .name:           _ZN2at6native29vectorized_elementwise_kernelILi8EZZZNS0_15exp_kernel_cudaERNS_18TensorIteratorBaseEENKUlvE0_clEvENKUlvE2_clEvEUlN3c108BFloat16EE_St5arrayIPcLm2EEEEviT0_T1_
    .private_segment_fixed_size: 0
    .sgpr_count:     18
    .sgpr_spill_count: 0
    .symbol:         _ZN2at6native29vectorized_elementwise_kernelILi8EZZZNS0_15exp_kernel_cudaERNS_18TensorIteratorBaseEENKUlvE0_clEvENKUlvE2_clEvEUlN3c108BFloat16EE_St5arrayIPcLm2EEEEviT0_T1_.kd
    .uniform_work_group_size: 1
    .uses_dynamic_stack: false
    .vgpr_count:     32
    .vgpr_spill_count: 0
    .wavefront_size: 64
  - .agpr_count:     0
    .args:
      - .offset:         0
        .size:           4
        .value_kind:     by_value
      - .offset:         4
        .size:           1
        .value_kind:     by_value
      - .offset:         8
        .size:           16
        .value_kind:     by_value
    .group_segment_fixed_size: 0
    .kernarg_segment_align: 8
    .kernarg_segment_size: 24
    .language:       OpenCL C
    .language_version:
      - 2
      - 0
    .max_flat_workgroup_size: 256
    .name:           _ZN2at6native29vectorized_elementwise_kernelILi4EZZZNS0_15exp_kernel_cudaERNS_18TensorIteratorBaseEENKUlvE0_clEvENKUlvE2_clEvEUlN3c108BFloat16EE_St5arrayIPcLm2EEEEviT0_T1_
    .private_segment_fixed_size: 0
    .sgpr_count:     18
    .sgpr_spill_count: 0
    .symbol:         _ZN2at6native29vectorized_elementwise_kernelILi4EZZZNS0_15exp_kernel_cudaERNS_18TensorIteratorBaseEENKUlvE0_clEvENKUlvE2_clEvEUlN3c108BFloat16EE_St5arrayIPcLm2EEEEviT0_T1_.kd
    .uniform_work_group_size: 1
    .uses_dynamic_stack: false
    .vgpr_count:     27
    .vgpr_spill_count: 0
    .wavefront_size: 64
  - .agpr_count:     0
    .args:
      - .offset:         0
        .size:           4
        .value_kind:     by_value
      - .offset:         4
        .size:           1
        .value_kind:     by_value
      - .offset:         8
        .size:           16
        .value_kind:     by_value
    .group_segment_fixed_size: 0
    .kernarg_segment_align: 8
    .kernarg_segment_size: 24
    .language:       OpenCL C
    .language_version:
      - 2
      - 0
    .max_flat_workgroup_size: 256
    .name:           _ZN2at6native29vectorized_elementwise_kernelILi2EZZZNS0_15exp_kernel_cudaERNS_18TensorIteratorBaseEENKUlvE0_clEvENKUlvE2_clEvEUlN3c108BFloat16EE_St5arrayIPcLm2EEEEviT0_T1_
    .private_segment_fixed_size: 0
    .sgpr_count:     20
    .sgpr_spill_count: 0
    .symbol:         _ZN2at6native29vectorized_elementwise_kernelILi2EZZZNS0_15exp_kernel_cudaERNS_18TensorIteratorBaseEENKUlvE0_clEvENKUlvE2_clEvEUlN3c108BFloat16EE_St5arrayIPcLm2EEEEviT0_T1_.kd
    .uniform_work_group_size: 1
    .uses_dynamic_stack: false
    .vgpr_count:     27
    .vgpr_spill_count: 0
    .wavefront_size: 64
  - .agpr_count:     0
    .args:
      - .offset:         0
        .size:           4
        .value_kind:     by_value
      - .offset:         4
        .size:           1
        .value_kind:     by_value
      - .offset:         8
        .size:           16
        .value_kind:     by_value
      - .offset:         24
        .size:           1
        .value_kind:     by_value
      - .offset:         25
        .size:           1
        .value_kind:     by_value
      - .offset:         26
        .size:           1
        .value_kind:     by_value
      - .offset:         27
        .size:           1
        .value_kind:     by_value
    .group_segment_fixed_size: 0
    .kernarg_segment_align: 8
    .kernarg_segment_size: 28
    .language:       OpenCL C
    .language_version:
      - 2
      - 0
    .max_flat_workgroup_size: 256
    .name:           _ZN2at6native27unrolled_elementwise_kernelIZZZNS0_15exp_kernel_cudaERNS_18TensorIteratorBaseEENKUlvE0_clEvENKUlvE2_clEvEUlN3c108BFloat16EE_St5arrayIPcLm2EELi4E23TrivialOffsetCalculatorILi1EjESD_NS0_6memory15LoadWithoutCastENSE_16StoreWithoutCastEEEviT_T0_T2_T3_T4_T5_
    .private_segment_fixed_size: 0
    .sgpr_count:     18
    .sgpr_spill_count: 0
    .symbol:         _ZN2at6native27unrolled_elementwise_kernelIZZZNS0_15exp_kernel_cudaERNS_18TensorIteratorBaseEENKUlvE0_clEvENKUlvE2_clEvEUlN3c108BFloat16EE_St5arrayIPcLm2EELi4E23TrivialOffsetCalculatorILi1EjESD_NS0_6memory15LoadWithoutCastENSE_16StoreWithoutCastEEEviT_T0_T2_T3_T4_T5_.kd
    .uniform_work_group_size: 1
    .uses_dynamic_stack: false
    .vgpr_count:     10
    .vgpr_spill_count: 0
    .wavefront_size: 64
  - .agpr_count:     0
    .args:
      - .offset:         0
        .size:           4
        .value_kind:     by_value
      - .offset:         8
        .size:           352
        .value_kind:     by_value
    .group_segment_fixed_size: 0
    .kernarg_segment_align: 8
    .kernarg_segment_size: 360
    .language:       OpenCL C
    .language_version:
      - 2
      - 0
    .max_flat_workgroup_size: 128
    .name:           _ZN2at6native32elementwise_kernel_manual_unrollILi128ELi8EZNS0_22gpu_kernel_impl_nocastIZZZNS0_15exp_kernel_cudaERNS_18TensorIteratorBaseEENKUlvE0_clEvENKUlvE2_clEvEUlN3c108BFloat16EE_EEvS4_RKT_EUlibE_EEviT1_
    .private_segment_fixed_size: 0
    .sgpr_count:     66
    .sgpr_spill_count: 0
    .symbol:         _ZN2at6native32elementwise_kernel_manual_unrollILi128ELi8EZNS0_22gpu_kernel_impl_nocastIZZZNS0_15exp_kernel_cudaERNS_18TensorIteratorBaseEENKUlvE0_clEvENKUlvE2_clEvEUlN3c108BFloat16EE_EEvS4_RKT_EUlibE_EEviT1_.kd
    .uniform_work_group_size: 1
    .uses_dynamic_stack: false
    .vgpr_count:     33
    .vgpr_spill_count: 0
    .wavefront_size: 64
  - .agpr_count:     0
    .args:
      - .offset:         0
        .size:           4
        .value_kind:     by_value
      - .offset:         8
        .size:           32
        .value_kind:     by_value
    .group_segment_fixed_size: 0
    .kernarg_segment_align: 8
    .kernarg_segment_size: 40
    .language:       OpenCL C
    .language_version:
      - 2
      - 0
    .max_flat_workgroup_size: 128
    .name:           _ZN2at6native32elementwise_kernel_manual_unrollILi128ELi4EZNS0_15gpu_kernel_implIZZZNS0_15exp_kernel_cudaERNS_18TensorIteratorBaseEENKUlvE0_clEvENKUlvE2_clEvEUlN3c108BFloat16EE_EEvS4_RKT_EUlibE_EEviT1_
    .private_segment_fixed_size: 0
    .sgpr_count:     50
    .sgpr_spill_count: 0
    .symbol:         _ZN2at6native32elementwise_kernel_manual_unrollILi128ELi4EZNS0_15gpu_kernel_implIZZZNS0_15exp_kernel_cudaERNS_18TensorIteratorBaseEENKUlvE0_clEvENKUlvE2_clEvEUlN3c108BFloat16EE_EEvS4_RKT_EUlibE_EEviT1_.kd
    .uniform_work_group_size: 1
    .uses_dynamic_stack: false
    .vgpr_count:     14
    .vgpr_spill_count: 0
    .wavefront_size: 64
  - .agpr_count:     0
    .args:
      - .offset:         0
        .size:           4
        .value_kind:     by_value
      - .offset:         8
        .size:           352
        .value_kind:     by_value
    .group_segment_fixed_size: 0
    .kernarg_segment_align: 8
    .kernarg_segment_size: 360
    .language:       OpenCL C
    .language_version:
      - 2
      - 0
    .max_flat_workgroup_size: 128
    .name:           _ZN2at6native32elementwise_kernel_manual_unrollILi128ELi4EZNS0_15gpu_kernel_implIZZZNS0_15exp_kernel_cudaERNS_18TensorIteratorBaseEENKUlvE0_clEvENKUlvE2_clEvEUlN3c108BFloat16EE_EEvS4_RKT_EUlibE0_EEviT1_
    .private_segment_fixed_size: 0
    .sgpr_count:     84
    .sgpr_spill_count: 0
    .symbol:         _ZN2at6native32elementwise_kernel_manual_unrollILi128ELi4EZNS0_15gpu_kernel_implIZZZNS0_15exp_kernel_cudaERNS_18TensorIteratorBaseEENKUlvE0_clEvENKUlvE2_clEvEUlN3c108BFloat16EE_EEvS4_RKT_EUlibE0_EEviT1_.kd
    .uniform_work_group_size: 1
    .uses_dynamic_stack: false
    .vgpr_count:     18
    .vgpr_spill_count: 0
    .wavefront_size: 64
  - .agpr_count:     0
    .args:
      - .offset:         0
        .size:           4
        .value_kind:     by_value
      - .offset:         4
        .size:           1
        .value_kind:     by_value
      - .offset:         8
        .size:           16
        .value_kind:     by_value
    .group_segment_fixed_size: 0
    .kernarg_segment_align: 8
    .kernarg_segment_size: 24
    .language:       OpenCL C
    .language_version:
      - 2
      - 0
    .max_flat_workgroup_size: 256
    .name:           _ZN2at6native29vectorized_elementwise_kernelILi16EZZZNS0_17expm1_kernel_cudaERNS_18TensorIteratorBaseEENKUlvE_clEvENKUlvE_clEvEUldE_St5arrayIPcLm2EEEEviT0_T1_
    .private_segment_fixed_size: 0
    .sgpr_count:     50
    .sgpr_spill_count: 0
    .symbol:         _ZN2at6native29vectorized_elementwise_kernelILi16EZZZNS0_17expm1_kernel_cudaERNS_18TensorIteratorBaseEENKUlvE_clEvENKUlvE_clEvEUldE_St5arrayIPcLm2EEEEviT0_T1_.kd
    .uniform_work_group_size: 1
    .uses_dynamic_stack: false
    .vgpr_count:     31
    .vgpr_spill_count: 0
    .wavefront_size: 64
  - .agpr_count:     0
    .args:
      - .offset:         0
        .size:           4
        .value_kind:     by_value
      - .offset:         4
        .size:           1
        .value_kind:     by_value
      - .offset:         8
        .size:           16
        .value_kind:     by_value
    .group_segment_fixed_size: 0
    .kernarg_segment_align: 8
    .kernarg_segment_size: 24
    .language:       OpenCL C
    .language_version:
      - 2
      - 0
    .max_flat_workgroup_size: 256
    .name:           _ZN2at6native29vectorized_elementwise_kernelILi8EZZZNS0_17expm1_kernel_cudaERNS_18TensorIteratorBaseEENKUlvE_clEvENKUlvE_clEvEUldE_St5arrayIPcLm2EEEEviT0_T1_
    .private_segment_fixed_size: 0
    .sgpr_count:     50
    .sgpr_spill_count: 0
    .symbol:         _ZN2at6native29vectorized_elementwise_kernelILi8EZZZNS0_17expm1_kernel_cudaERNS_18TensorIteratorBaseEENKUlvE_clEvENKUlvE_clEvEUldE_St5arrayIPcLm2EEEEviT0_T1_.kd
    .uniform_work_group_size: 1
    .uses_dynamic_stack: false
    .vgpr_count:     31
    .vgpr_spill_count: 0
    .wavefront_size: 64
  - .agpr_count:     0
    .args:
      - .offset:         0
        .size:           4
        .value_kind:     by_value
      - .offset:         4
        .size:           1
        .value_kind:     by_value
      - .offset:         8
        .size:           16
        .value_kind:     by_value
    .group_segment_fixed_size: 0
    .kernarg_segment_align: 8
    .kernarg_segment_size: 24
    .language:       OpenCL C
    .language_version:
      - 2
      - 0
    .max_flat_workgroup_size: 256
    .name:           _ZN2at6native29vectorized_elementwise_kernelILi4EZZZNS0_17expm1_kernel_cudaERNS_18TensorIteratorBaseEENKUlvE_clEvENKUlvE_clEvEUldE_St5arrayIPcLm2EEEEviT0_T1_
    .private_segment_fixed_size: 0
    .sgpr_count:     50
    .sgpr_spill_count: 0
    .symbol:         _ZN2at6native29vectorized_elementwise_kernelILi4EZZZNS0_17expm1_kernel_cudaERNS_18TensorIteratorBaseEENKUlvE_clEvENKUlvE_clEvEUldE_St5arrayIPcLm2EEEEviT0_T1_.kd
    .uniform_work_group_size: 1
    .uses_dynamic_stack: false
    .vgpr_count:     31
    .vgpr_spill_count: 0
    .wavefront_size: 64
  - .agpr_count:     0
    .args:
      - .offset:         0
        .size:           4
        .value_kind:     by_value
      - .offset:         4
        .size:           1
        .value_kind:     by_value
      - .offset:         8
        .size:           16
        .value_kind:     by_value
    .group_segment_fixed_size: 0
    .kernarg_segment_align: 8
    .kernarg_segment_size: 24
    .language:       OpenCL C
    .language_version:
      - 2
      - 0
    .max_flat_workgroup_size: 256
    .name:           _ZN2at6native29vectorized_elementwise_kernelILi2EZZZNS0_17expm1_kernel_cudaERNS_18TensorIteratorBaseEENKUlvE_clEvENKUlvE_clEvEUldE_St5arrayIPcLm2EEEEviT0_T1_
    .private_segment_fixed_size: 0
    .sgpr_count:     50
    .sgpr_spill_count: 0
    .symbol:         _ZN2at6native29vectorized_elementwise_kernelILi2EZZZNS0_17expm1_kernel_cudaERNS_18TensorIteratorBaseEENKUlvE_clEvENKUlvE_clEvEUldE_St5arrayIPcLm2EEEEviT0_T1_.kd
    .uniform_work_group_size: 1
    .uses_dynamic_stack: false
    .vgpr_count:     32
    .vgpr_spill_count: 0
    .wavefront_size: 64
  - .agpr_count:     0
    .args:
      - .offset:         0
        .size:           4
        .value_kind:     by_value
      - .offset:         4
        .size:           1
        .value_kind:     by_value
      - .offset:         8
        .size:           16
        .value_kind:     by_value
      - .offset:         24
        .size:           1
        .value_kind:     by_value
      - .offset:         25
        .size:           1
        .value_kind:     by_value
      - .offset:         26
        .size:           1
        .value_kind:     by_value
      - .offset:         27
        .size:           1
        .value_kind:     by_value
    .group_segment_fixed_size: 0
    .kernarg_segment_align: 8
    .kernarg_segment_size: 28
    .language:       OpenCL C
    .language_version:
      - 2
      - 0
    .max_flat_workgroup_size: 256
    .name:           _ZN2at6native27unrolled_elementwise_kernelIZZZNS0_17expm1_kernel_cudaERNS_18TensorIteratorBaseEENKUlvE_clEvENKUlvE_clEvEUldE_St5arrayIPcLm2EELi4E23TrivialOffsetCalculatorILi1EjESB_NS0_6memory15LoadWithoutCastENSC_16StoreWithoutCastEEEviT_T0_T2_T3_T4_T5_
    .private_segment_fixed_size: 0
    .sgpr_count:     16
    .sgpr_spill_count: 0
    .symbol:         _ZN2at6native27unrolled_elementwise_kernelIZZZNS0_17expm1_kernel_cudaERNS_18TensorIteratorBaseEENKUlvE_clEvENKUlvE_clEvEUldE_St5arrayIPcLm2EELi4E23TrivialOffsetCalculatorILi1EjESB_NS0_6memory15LoadWithoutCastENSC_16StoreWithoutCastEEEviT_T0_T2_T3_T4_T5_.kd
    .uniform_work_group_size: 1
    .uses_dynamic_stack: false
    .vgpr_count:     26
    .vgpr_spill_count: 0
    .wavefront_size: 64
  - .agpr_count:     0
    .args:
      - .offset:         0
        .size:           4
        .value_kind:     by_value
      - .offset:         8
        .size:           352
        .value_kind:     by_value
    .group_segment_fixed_size: 0
    .kernarg_segment_align: 8
    .kernarg_segment_size: 360
    .language:       OpenCL C
    .language_version:
      - 2
      - 0
    .max_flat_workgroup_size: 128
    .name:           _ZN2at6native32elementwise_kernel_manual_unrollILi128ELi4EZNS0_22gpu_kernel_impl_nocastIZZZNS0_17expm1_kernel_cudaERNS_18TensorIteratorBaseEENKUlvE_clEvENKUlvE_clEvEUldE_EEvS4_RKT_EUlibE_EEviT1_
    .private_segment_fixed_size: 0
    .sgpr_count:     66
    .sgpr_spill_count: 0
    .symbol:         _ZN2at6native32elementwise_kernel_manual_unrollILi128ELi4EZNS0_22gpu_kernel_impl_nocastIZZZNS0_17expm1_kernel_cudaERNS_18TensorIteratorBaseEENKUlvE_clEvENKUlvE_clEvEUldE_EEvS4_RKT_EUlibE_EEviT1_.kd
    .uniform_work_group_size: 1
    .uses_dynamic_stack: false
    .vgpr_count:     36
    .vgpr_spill_count: 0
    .wavefront_size: 64
  - .agpr_count:     0
    .args:
      - .offset:         0
        .size:           4
        .value_kind:     by_value
      - .offset:         8
        .size:           32
        .value_kind:     by_value
    .group_segment_fixed_size: 0
    .kernarg_segment_align: 8
    .kernarg_segment_size: 40
    .language:       OpenCL C
    .language_version:
      - 2
      - 0
    .max_flat_workgroup_size: 128
    .name:           _ZN2at6native32elementwise_kernel_manual_unrollILi128ELi4EZNS0_15gpu_kernel_implIZZZNS0_17expm1_kernel_cudaERNS_18TensorIteratorBaseEENKUlvE_clEvENKUlvE_clEvEUldE_EEvS4_RKT_EUlibE_EEviT1_
    .private_segment_fixed_size: 0
    .sgpr_count:     50
    .sgpr_spill_count: 0
    .symbol:         _ZN2at6native32elementwise_kernel_manual_unrollILi128ELi4EZNS0_15gpu_kernel_implIZZZNS0_17expm1_kernel_cudaERNS_18TensorIteratorBaseEENKUlvE_clEvENKUlvE_clEvEUldE_EEvS4_RKT_EUlibE_EEviT1_.kd
    .uniform_work_group_size: 1
    .uses_dynamic_stack: false
    .vgpr_count:     18
    .vgpr_spill_count: 0
    .wavefront_size: 64
  - .agpr_count:     0
    .args:
      - .offset:         0
        .size:           4
        .value_kind:     by_value
      - .offset:         8
        .size:           352
        .value_kind:     by_value
    .group_segment_fixed_size: 0
    .kernarg_segment_align: 8
    .kernarg_segment_size: 360
    .language:       OpenCL C
    .language_version:
      - 2
      - 0
    .max_flat_workgroup_size: 128
    .name:           _ZN2at6native32elementwise_kernel_manual_unrollILi128ELi4EZNS0_15gpu_kernel_implIZZZNS0_17expm1_kernel_cudaERNS_18TensorIteratorBaseEENKUlvE_clEvENKUlvE_clEvEUldE_EEvS4_RKT_EUlibE0_EEviT1_
    .private_segment_fixed_size: 0
    .sgpr_count:     84
    .sgpr_spill_count: 0
    .symbol:         _ZN2at6native32elementwise_kernel_manual_unrollILi128ELi4EZNS0_15gpu_kernel_implIZZZNS0_17expm1_kernel_cudaERNS_18TensorIteratorBaseEENKUlvE_clEvENKUlvE_clEvEUldE_EEvS4_RKT_EUlibE0_EEviT1_.kd
    .uniform_work_group_size: 1
    .uses_dynamic_stack: false
    .vgpr_count:     24
    .vgpr_spill_count: 0
    .wavefront_size: 64
  - .agpr_count:     0
    .args:
      - .offset:         0
        .size:           4
        .value_kind:     by_value
      - .offset:         4
        .size:           1
        .value_kind:     by_value
      - .offset:         8
        .size:           16
        .value_kind:     by_value
    .group_segment_fixed_size: 0
    .kernarg_segment_align: 8
    .kernarg_segment_size: 24
    .language:       OpenCL C
    .language_version:
      - 2
      - 0
    .max_flat_workgroup_size: 256
    .name:           _ZN2at6native29vectorized_elementwise_kernelILi16EZZZNS0_17expm1_kernel_cudaERNS_18TensorIteratorBaseEENKUlvE_clEvENKUlvE0_clEvEUlfE_St5arrayIPcLm2EEEEviT0_T1_
    .private_segment_fixed_size: 0
    .sgpr_count:     30
    .sgpr_spill_count: 0
    .symbol:         _ZN2at6native29vectorized_elementwise_kernelILi16EZZZNS0_17expm1_kernel_cudaERNS_18TensorIteratorBaseEENKUlvE_clEvENKUlvE0_clEvEUlfE_St5arrayIPcLm2EEEEviT0_T1_.kd
    .uniform_work_group_size: 1
    .uses_dynamic_stack: false
    .vgpr_count:     24
    .vgpr_spill_count: 0
    .wavefront_size: 64
  - .agpr_count:     0
    .args:
      - .offset:         0
        .size:           4
        .value_kind:     by_value
      - .offset:         4
        .size:           1
        .value_kind:     by_value
      - .offset:         8
        .size:           16
        .value_kind:     by_value
    .group_segment_fixed_size: 0
    .kernarg_segment_align: 8
    .kernarg_segment_size: 24
    .language:       OpenCL C
    .language_version:
      - 2
      - 0
    .max_flat_workgroup_size: 256
    .name:           _ZN2at6native29vectorized_elementwise_kernelILi8EZZZNS0_17expm1_kernel_cudaERNS_18TensorIteratorBaseEENKUlvE_clEvENKUlvE0_clEvEUlfE_St5arrayIPcLm2EEEEviT0_T1_
    .private_segment_fixed_size: 0
    .sgpr_count:     30
    .sgpr_spill_count: 0
    .symbol:         _ZN2at6native29vectorized_elementwise_kernelILi8EZZZNS0_17expm1_kernel_cudaERNS_18TensorIteratorBaseEENKUlvE_clEvENKUlvE0_clEvEUlfE_St5arrayIPcLm2EEEEviT0_T1_.kd
    .uniform_work_group_size: 1
    .uses_dynamic_stack: false
    .vgpr_count:     24
    .vgpr_spill_count: 0
    .wavefront_size: 64
  - .agpr_count:     0
    .args:
      - .offset:         0
        .size:           4
        .value_kind:     by_value
      - .offset:         4
        .size:           1
        .value_kind:     by_value
      - .offset:         8
        .size:           16
        .value_kind:     by_value
    .group_segment_fixed_size: 0
    .kernarg_segment_align: 8
    .kernarg_segment_size: 24
    .language:       OpenCL C
    .language_version:
      - 2
      - 0
    .max_flat_workgroup_size: 256
    .name:           _ZN2at6native29vectorized_elementwise_kernelILi4EZZZNS0_17expm1_kernel_cudaERNS_18TensorIteratorBaseEENKUlvE_clEvENKUlvE0_clEvEUlfE_St5arrayIPcLm2EEEEviT0_T1_
    .private_segment_fixed_size: 0
    .sgpr_count:     30
    .sgpr_spill_count: 0
    .symbol:         _ZN2at6native29vectorized_elementwise_kernelILi4EZZZNS0_17expm1_kernel_cudaERNS_18TensorIteratorBaseEENKUlvE_clEvENKUlvE0_clEvEUlfE_St5arrayIPcLm2EEEEviT0_T1_.kd
    .uniform_work_group_size: 1
    .uses_dynamic_stack: false
    .vgpr_count:     24
    .vgpr_spill_count: 0
    .wavefront_size: 64
  - .agpr_count:     0
    .args:
      - .offset:         0
        .size:           4
        .value_kind:     by_value
      - .offset:         4
        .size:           1
        .value_kind:     by_value
      - .offset:         8
        .size:           16
        .value_kind:     by_value
    .group_segment_fixed_size: 0
    .kernarg_segment_align: 8
    .kernarg_segment_size: 24
    .language:       OpenCL C
    .language_version:
      - 2
      - 0
    .max_flat_workgroup_size: 256
    .name:           _ZN2at6native29vectorized_elementwise_kernelILi2EZZZNS0_17expm1_kernel_cudaERNS_18TensorIteratorBaseEENKUlvE_clEvENKUlvE0_clEvEUlfE_St5arrayIPcLm2EEEEviT0_T1_
    .private_segment_fixed_size: 0
    .sgpr_count:     30
    .sgpr_spill_count: 0
    .symbol:         _ZN2at6native29vectorized_elementwise_kernelILi2EZZZNS0_17expm1_kernel_cudaERNS_18TensorIteratorBaseEENKUlvE_clEvENKUlvE0_clEvEUlfE_St5arrayIPcLm2EEEEviT0_T1_.kd
    .uniform_work_group_size: 1
    .uses_dynamic_stack: false
    .vgpr_count:     24
    .vgpr_spill_count: 0
    .wavefront_size: 64
  - .agpr_count:     0
    .args:
      - .offset:         0
        .size:           4
        .value_kind:     by_value
      - .offset:         4
        .size:           1
        .value_kind:     by_value
      - .offset:         8
        .size:           16
        .value_kind:     by_value
      - .offset:         24
        .size:           1
        .value_kind:     by_value
      - .offset:         25
        .size:           1
        .value_kind:     by_value
      - .offset:         26
        .size:           1
        .value_kind:     by_value
      - .offset:         27
        .size:           1
        .value_kind:     by_value
    .group_segment_fixed_size: 0
    .kernarg_segment_align: 8
    .kernarg_segment_size: 28
    .language:       OpenCL C
    .language_version:
      - 2
      - 0
    .max_flat_workgroup_size: 256
    .name:           _ZN2at6native27unrolled_elementwise_kernelIZZZNS0_17expm1_kernel_cudaERNS_18TensorIteratorBaseEENKUlvE_clEvENKUlvE0_clEvEUlfE_St5arrayIPcLm2EELi4E23TrivialOffsetCalculatorILi1EjESB_NS0_6memory15LoadWithoutCastENSC_16StoreWithoutCastEEEviT_T0_T2_T3_T4_T5_
    .private_segment_fixed_size: 0
    .sgpr_count:     16
    .sgpr_spill_count: 0
    .symbol:         _ZN2at6native27unrolled_elementwise_kernelIZZZNS0_17expm1_kernel_cudaERNS_18TensorIteratorBaseEENKUlvE_clEvENKUlvE0_clEvEUlfE_St5arrayIPcLm2EELi4E23TrivialOffsetCalculatorILi1EjESB_NS0_6memory15LoadWithoutCastENSC_16StoreWithoutCastEEEviT_T0_T2_T3_T4_T5_.kd
    .uniform_work_group_size: 1
    .uses_dynamic_stack: false
    .vgpr_count:     14
    .vgpr_spill_count: 0
    .wavefront_size: 64
  - .agpr_count:     0
    .args:
      - .offset:         0
        .size:           4
        .value_kind:     by_value
      - .offset:         8
        .size:           352
        .value_kind:     by_value
    .group_segment_fixed_size: 0
    .kernarg_segment_align: 8
    .kernarg_segment_size: 360
    .language:       OpenCL C
    .language_version:
      - 2
      - 0
    .max_flat_workgroup_size: 128
    .name:           _ZN2at6native32elementwise_kernel_manual_unrollILi128ELi4EZNS0_22gpu_kernel_impl_nocastIZZZNS0_17expm1_kernel_cudaERNS_18TensorIteratorBaseEENKUlvE_clEvENKUlvE0_clEvEUlfE_EEvS4_RKT_EUlibE_EEviT1_
    .private_segment_fixed_size: 0
    .sgpr_count:     66
    .sgpr_spill_count: 0
    .symbol:         _ZN2at6native32elementwise_kernel_manual_unrollILi128ELi4EZNS0_22gpu_kernel_impl_nocastIZZZNS0_17expm1_kernel_cudaERNS_18TensorIteratorBaseEENKUlvE_clEvENKUlvE0_clEvEUlfE_EEvS4_RKT_EUlibE_EEviT1_.kd
    .uniform_work_group_size: 1
    .uses_dynamic_stack: false
    .vgpr_count:     29
    .vgpr_spill_count: 0
    .wavefront_size: 64
  - .agpr_count:     0
    .args:
      - .offset:         0
        .size:           4
        .value_kind:     by_value
      - .offset:         8
        .size:           32
        .value_kind:     by_value
    .group_segment_fixed_size: 0
    .kernarg_segment_align: 8
    .kernarg_segment_size: 40
    .language:       OpenCL C
    .language_version:
      - 2
      - 0
    .max_flat_workgroup_size: 128
    .name:           _ZN2at6native32elementwise_kernel_manual_unrollILi128ELi4EZNS0_15gpu_kernel_implIZZZNS0_17expm1_kernel_cudaERNS_18TensorIteratorBaseEENKUlvE_clEvENKUlvE0_clEvEUlfE_EEvS4_RKT_EUlibE_EEviT1_
    .private_segment_fixed_size: 0
    .sgpr_count:     50
    .sgpr_spill_count: 0
    .symbol:         _ZN2at6native32elementwise_kernel_manual_unrollILi128ELi4EZNS0_15gpu_kernel_implIZZZNS0_17expm1_kernel_cudaERNS_18TensorIteratorBaseEENKUlvE_clEvENKUlvE0_clEvEUlfE_EEvS4_RKT_EUlibE_EEviT1_.kd
    .uniform_work_group_size: 1
    .uses_dynamic_stack: false
    .vgpr_count:     14
    .vgpr_spill_count: 0
    .wavefront_size: 64
  - .agpr_count:     0
    .args:
      - .offset:         0
        .size:           4
        .value_kind:     by_value
      - .offset:         8
        .size:           352
        .value_kind:     by_value
    .group_segment_fixed_size: 0
    .kernarg_segment_align: 8
    .kernarg_segment_size: 360
    .language:       OpenCL C
    .language_version:
      - 2
      - 0
    .max_flat_workgroup_size: 128
    .name:           _ZN2at6native32elementwise_kernel_manual_unrollILi128ELi4EZNS0_15gpu_kernel_implIZZZNS0_17expm1_kernel_cudaERNS_18TensorIteratorBaseEENKUlvE_clEvENKUlvE0_clEvEUlfE_EEvS4_RKT_EUlibE0_EEviT1_
    .private_segment_fixed_size: 0
    .sgpr_count:     84
    .sgpr_spill_count: 0
    .symbol:         _ZN2at6native32elementwise_kernel_manual_unrollILi128ELi4EZNS0_15gpu_kernel_implIZZZNS0_17expm1_kernel_cudaERNS_18TensorIteratorBaseEENKUlvE_clEvENKUlvE0_clEvEUlfE_EEvS4_RKT_EUlibE0_EEviT1_.kd
    .uniform_work_group_size: 1
    .uses_dynamic_stack: false
    .vgpr_count:     18
    .vgpr_spill_count: 0
    .wavefront_size: 64
  - .agpr_count:     0
    .args:
      - .offset:         0
        .size:           4
        .value_kind:     by_value
      - .offset:         4
        .size:           1
        .value_kind:     by_value
      - .offset:         8
        .size:           16
        .value_kind:     by_value
    .group_segment_fixed_size: 0
    .kernarg_segment_align: 8
    .kernarg_segment_size: 24
    .language:       OpenCL C
    .language_version:
      - 2
      - 0
    .max_flat_workgroup_size: 256
    .name:           _ZN2at6native29vectorized_elementwise_kernelILi16EZZZNS0_17expm1_kernel_cudaERNS_18TensorIteratorBaseEENKUlvE_clEvENKUlvE1_clEvEUlN3c107complexIdEEE_St5arrayIPcLm2EEEEviT0_T1_
    .private_segment_fixed_size: 8
    .sgpr_count:     102
    .sgpr_spill_count: 0
    .symbol:         _ZN2at6native29vectorized_elementwise_kernelILi16EZZZNS0_17expm1_kernel_cudaERNS_18TensorIteratorBaseEENKUlvE_clEvENKUlvE1_clEvEUlN3c107complexIdEEE_St5arrayIPcLm2EEEEviT0_T1_.kd
    .uniform_work_group_size: 1
    .uses_dynamic_stack: false
    .vgpr_count:     194
    .vgpr_spill_count: 0
    .wavefront_size: 64
  - .agpr_count:     0
    .args:
      - .offset:         0
        .size:           4
        .value_kind:     by_value
      - .offset:         4
        .size:           1
        .value_kind:     by_value
      - .offset:         8
        .size:           16
        .value_kind:     by_value
    .group_segment_fixed_size: 0
    .kernarg_segment_align: 8
    .kernarg_segment_size: 24
    .language:       OpenCL C
    .language_version:
      - 2
      - 0
    .max_flat_workgroup_size: 256
    .name:           _ZN2at6native29vectorized_elementwise_kernelILi8EZZZNS0_17expm1_kernel_cudaERNS_18TensorIteratorBaseEENKUlvE_clEvENKUlvE1_clEvEUlN3c107complexIdEEE_St5arrayIPcLm2EEEEviT0_T1_
    .private_segment_fixed_size: 8
    .sgpr_count:     102
    .sgpr_spill_count: 0
    .symbol:         _ZN2at6native29vectorized_elementwise_kernelILi8EZZZNS0_17expm1_kernel_cudaERNS_18TensorIteratorBaseEENKUlvE_clEvENKUlvE1_clEvEUlN3c107complexIdEEE_St5arrayIPcLm2EEEEviT0_T1_.kd
    .uniform_work_group_size: 1
    .uses_dynamic_stack: false
    .vgpr_count:     194
    .vgpr_spill_count: 0
    .wavefront_size: 64
  - .agpr_count:     0
    .args:
      - .offset:         0
        .size:           4
        .value_kind:     by_value
      - .offset:         4
        .size:           1
        .value_kind:     by_value
      - .offset:         8
        .size:           16
        .value_kind:     by_value
    .group_segment_fixed_size: 0
    .kernarg_segment_align: 8
    .kernarg_segment_size: 24
    .language:       OpenCL C
    .language_version:
      - 2
      - 0
    .max_flat_workgroup_size: 256
    .name:           _ZN2at6native29vectorized_elementwise_kernelILi4EZZZNS0_17expm1_kernel_cudaERNS_18TensorIteratorBaseEENKUlvE_clEvENKUlvE1_clEvEUlN3c107complexIdEEE_St5arrayIPcLm2EEEEviT0_T1_
    .private_segment_fixed_size: 8
    .sgpr_count:     102
    .sgpr_spill_count: 0
    .symbol:         _ZN2at6native29vectorized_elementwise_kernelILi4EZZZNS0_17expm1_kernel_cudaERNS_18TensorIteratorBaseEENKUlvE_clEvENKUlvE1_clEvEUlN3c107complexIdEEE_St5arrayIPcLm2EEEEviT0_T1_.kd
    .uniform_work_group_size: 1
    .uses_dynamic_stack: false
    .vgpr_count:     194
    .vgpr_spill_count: 0
    .wavefront_size: 64
  - .agpr_count:     0
    .args:
      - .offset:         0
        .size:           4
        .value_kind:     by_value
      - .offset:         4
        .size:           1
        .value_kind:     by_value
      - .offset:         8
        .size:           16
        .value_kind:     by_value
    .group_segment_fixed_size: 0
    .kernarg_segment_align: 8
    .kernarg_segment_size: 24
    .language:       OpenCL C
    .language_version:
      - 2
      - 0
    .max_flat_workgroup_size: 256
    .name:           _ZN2at6native29vectorized_elementwise_kernelILi2EZZZNS0_17expm1_kernel_cudaERNS_18TensorIteratorBaseEENKUlvE_clEvENKUlvE1_clEvEUlN3c107complexIdEEE_St5arrayIPcLm2EEEEviT0_T1_
    .private_segment_fixed_size: 0
    .sgpr_count:     91
    .sgpr_spill_count: 0
    .symbol:         _ZN2at6native29vectorized_elementwise_kernelILi2EZZZNS0_17expm1_kernel_cudaERNS_18TensorIteratorBaseEENKUlvE_clEvENKUlvE1_clEvEUlN3c107complexIdEEE_St5arrayIPcLm2EEEEviT0_T1_.kd
    .uniform_work_group_size: 1
    .uses_dynamic_stack: false
    .vgpr_count:     113
    .vgpr_spill_count: 0
    .wavefront_size: 64
  - .agpr_count:     0
    .args:
      - .offset:         0
        .size:           4
        .value_kind:     by_value
      - .offset:         4
        .size:           1
        .value_kind:     by_value
      - .offset:         8
        .size:           16
        .value_kind:     by_value
      - .offset:         24
        .size:           1
        .value_kind:     by_value
      - .offset:         25
        .size:           1
        .value_kind:     by_value
      - .offset:         26
        .size:           1
        .value_kind:     by_value
      - .offset:         27
        .size:           1
        .value_kind:     by_value
    .group_segment_fixed_size: 0
    .kernarg_segment_align: 8
    .kernarg_segment_size: 28
    .language:       OpenCL C
    .language_version:
      - 2
      - 0
    .max_flat_workgroup_size: 256
    .name:           _ZN2at6native27unrolled_elementwise_kernelIZZZNS0_17expm1_kernel_cudaERNS_18TensorIteratorBaseEENKUlvE_clEvENKUlvE1_clEvEUlN3c107complexIdEEE_St5arrayIPcLm2EELi4E23TrivialOffsetCalculatorILi1EjESE_NS0_6memory15LoadWithoutCastENSF_16StoreWithoutCastEEEviT_T0_T2_T3_T4_T5_
    .private_segment_fixed_size: 0
    .sgpr_count:     39
    .sgpr_spill_count: 0
    .symbol:         _ZN2at6native27unrolled_elementwise_kernelIZZZNS0_17expm1_kernel_cudaERNS_18TensorIteratorBaseEENKUlvE_clEvENKUlvE1_clEvEUlN3c107complexIdEEE_St5arrayIPcLm2EELi4E23TrivialOffsetCalculatorILi1EjESE_NS0_6memory15LoadWithoutCastENSF_16StoreWithoutCastEEEviT_T0_T2_T3_T4_T5_.kd
    .uniform_work_group_size: 1
    .uses_dynamic_stack: false
    .vgpr_count:     85
    .vgpr_spill_count: 0
    .wavefront_size: 64
  - .agpr_count:     0
    .args:
      - .offset:         0
        .size:           4
        .value_kind:     by_value
      - .offset:         8
        .size:           352
        .value_kind:     by_value
    .group_segment_fixed_size: 0
    .kernarg_segment_align: 8
    .kernarg_segment_size: 360
    .language:       OpenCL C
    .language_version:
      - 2
      - 0
    .max_flat_workgroup_size: 128
    .name:           _ZN2at6native32elementwise_kernel_manual_unrollILi128ELi4EZNS0_22gpu_kernel_impl_nocastIZZZNS0_17expm1_kernel_cudaERNS_18TensorIteratorBaseEENKUlvE_clEvENKUlvE1_clEvEUlN3c107complexIdEEE_EEvS4_RKT_EUlibE_EEviT1_
    .private_segment_fixed_size: 0
    .sgpr_count:     87
    .sgpr_spill_count: 0
    .symbol:         _ZN2at6native32elementwise_kernel_manual_unrollILi128ELi4EZNS0_22gpu_kernel_impl_nocastIZZZNS0_17expm1_kernel_cudaERNS_18TensorIteratorBaseEENKUlvE_clEvENKUlvE1_clEvEUlN3c107complexIdEEE_EEvS4_RKT_EUlibE_EEviT1_.kd
    .uniform_work_group_size: 1
    .uses_dynamic_stack: false
    .vgpr_count:     114
    .vgpr_spill_count: 0
    .wavefront_size: 64
  - .agpr_count:     0
    .args:
      - .offset:         0
        .size:           4
        .value_kind:     by_value
      - .offset:         8
        .size:           32
        .value_kind:     by_value
    .group_segment_fixed_size: 0
    .kernarg_segment_align: 8
    .kernarg_segment_size: 40
    .language:       OpenCL C
    .language_version:
      - 2
      - 0
    .max_flat_workgroup_size: 128
    .name:           _ZN2at6native32elementwise_kernel_manual_unrollILi128ELi4EZNS0_15gpu_kernel_implIZZZNS0_17expm1_kernel_cudaERNS_18TensorIteratorBaseEENKUlvE_clEvENKUlvE1_clEvEUlN3c107complexIdEEE_EEvS4_RKT_EUlibE_EEviT1_
    .private_segment_fixed_size: 0
    .sgpr_count:     60
    .sgpr_spill_count: 0
    .symbol:         _ZN2at6native32elementwise_kernel_manual_unrollILi128ELi4EZNS0_15gpu_kernel_implIZZZNS0_17expm1_kernel_cudaERNS_18TensorIteratorBaseEENKUlvE_clEvENKUlvE1_clEvEUlN3c107complexIdEEE_EEvS4_RKT_EUlibE_EEviT1_.kd
    .uniform_work_group_size: 1
    .uses_dynamic_stack: false
    .vgpr_count:     58
    .vgpr_spill_count: 0
    .wavefront_size: 64
  - .agpr_count:     0
    .args:
      - .offset:         0
        .size:           4
        .value_kind:     by_value
      - .offset:         8
        .size:           352
        .value_kind:     by_value
    .group_segment_fixed_size: 0
    .kernarg_segment_align: 8
    .kernarg_segment_size: 360
    .language:       OpenCL C
    .language_version:
      - 2
      - 0
    .max_flat_workgroup_size: 128
    .name:           _ZN2at6native32elementwise_kernel_manual_unrollILi128ELi4EZNS0_15gpu_kernel_implIZZZNS0_17expm1_kernel_cudaERNS_18TensorIteratorBaseEENKUlvE_clEvENKUlvE1_clEvEUlN3c107complexIdEEE_EEvS4_RKT_EUlibE0_EEviT1_
    .private_segment_fixed_size: 0
    .sgpr_count:     83
    .sgpr_spill_count: 0
    .symbol:         _ZN2at6native32elementwise_kernel_manual_unrollILi128ELi4EZNS0_15gpu_kernel_implIZZZNS0_17expm1_kernel_cudaERNS_18TensorIteratorBaseEENKUlvE_clEvENKUlvE1_clEvEUlN3c107complexIdEEE_EEvS4_RKT_EUlibE0_EEviT1_.kd
    .uniform_work_group_size: 1
    .uses_dynamic_stack: false
    .vgpr_count:     66
    .vgpr_spill_count: 0
    .wavefront_size: 64
  - .agpr_count:     0
    .args:
      - .offset:         0
        .size:           4
        .value_kind:     by_value
      - .offset:         4
        .size:           1
        .value_kind:     by_value
      - .offset:         8
        .size:           16
        .value_kind:     by_value
    .group_segment_fixed_size: 0
    .kernarg_segment_align: 8
    .kernarg_segment_size: 24
    .language:       OpenCL C
    .language_version:
      - 2
      - 0
    .max_flat_workgroup_size: 256
    .name:           _ZN2at6native29vectorized_elementwise_kernelILi16EZZZNS0_17expm1_kernel_cudaERNS_18TensorIteratorBaseEENKUlvE_clEvENKUlvE2_clEvEUlN3c107complexIfEEE_St5arrayIPcLm2EEEEviT0_T1_
    .private_segment_fixed_size: 0
    .sgpr_count:     39
    .sgpr_spill_count: 0
    .symbol:         _ZN2at6native29vectorized_elementwise_kernelILi16EZZZNS0_17expm1_kernel_cudaERNS_18TensorIteratorBaseEENKUlvE_clEvENKUlvE2_clEvEUlN3c107complexIfEEE_St5arrayIPcLm2EEEEviT0_T1_.kd
    .uniform_work_group_size: 1
    .uses_dynamic_stack: false
    .vgpr_count:     86
    .vgpr_spill_count: 0
    .wavefront_size: 64
  - .agpr_count:     0
    .args:
      - .offset:         0
        .size:           4
        .value_kind:     by_value
      - .offset:         4
        .size:           1
        .value_kind:     by_value
      - .offset:         8
        .size:           16
        .value_kind:     by_value
    .group_segment_fixed_size: 0
    .kernarg_segment_align: 8
    .kernarg_segment_size: 24
    .language:       OpenCL C
    .language_version:
      - 2
      - 0
    .max_flat_workgroup_size: 256
    .name:           _ZN2at6native29vectorized_elementwise_kernelILi8EZZZNS0_17expm1_kernel_cudaERNS_18TensorIteratorBaseEENKUlvE_clEvENKUlvE2_clEvEUlN3c107complexIfEEE_St5arrayIPcLm2EEEEviT0_T1_
    .private_segment_fixed_size: 0
    .sgpr_count:     39
    .sgpr_spill_count: 0
    .symbol:         _ZN2at6native29vectorized_elementwise_kernelILi8EZZZNS0_17expm1_kernel_cudaERNS_18TensorIteratorBaseEENKUlvE_clEvENKUlvE2_clEvEUlN3c107complexIfEEE_St5arrayIPcLm2EEEEviT0_T1_.kd
    .uniform_work_group_size: 1
    .uses_dynamic_stack: false
    .vgpr_count:     86
    .vgpr_spill_count: 0
    .wavefront_size: 64
  - .agpr_count:     0
    .args:
      - .offset:         0
        .size:           4
        .value_kind:     by_value
      - .offset:         4
        .size:           1
        .value_kind:     by_value
      - .offset:         8
        .size:           16
        .value_kind:     by_value
    .group_segment_fixed_size: 0
    .kernarg_segment_align: 8
    .kernarg_segment_size: 24
    .language:       OpenCL C
    .language_version:
      - 2
      - 0
    .max_flat_workgroup_size: 256
    .name:           _ZN2at6native29vectorized_elementwise_kernelILi4EZZZNS0_17expm1_kernel_cudaERNS_18TensorIteratorBaseEENKUlvE_clEvENKUlvE2_clEvEUlN3c107complexIfEEE_St5arrayIPcLm2EEEEviT0_T1_
    .private_segment_fixed_size: 0
    .sgpr_count:     39
    .sgpr_spill_count: 0
    .symbol:         _ZN2at6native29vectorized_elementwise_kernelILi4EZZZNS0_17expm1_kernel_cudaERNS_18TensorIteratorBaseEENKUlvE_clEvENKUlvE2_clEvEUlN3c107complexIfEEE_St5arrayIPcLm2EEEEviT0_T1_.kd
    .uniform_work_group_size: 1
    .uses_dynamic_stack: false
    .vgpr_count:     86
    .vgpr_spill_count: 0
    .wavefront_size: 64
  - .agpr_count:     0
    .args:
      - .offset:         0
        .size:           4
        .value_kind:     by_value
      - .offset:         4
        .size:           1
        .value_kind:     by_value
      - .offset:         8
        .size:           16
        .value_kind:     by_value
    .group_segment_fixed_size: 0
    .kernarg_segment_align: 8
    .kernarg_segment_size: 24
    .language:       OpenCL C
    .language_version:
      - 2
      - 0
    .max_flat_workgroup_size: 256
    .name:           _ZN2at6native29vectorized_elementwise_kernelILi2EZZZNS0_17expm1_kernel_cudaERNS_18TensorIteratorBaseEENKUlvE_clEvENKUlvE2_clEvEUlN3c107complexIfEEE_St5arrayIPcLm2EEEEviT0_T1_
    .private_segment_fixed_size: 0
    .sgpr_count:     39
    .sgpr_spill_count: 0
    .symbol:         _ZN2at6native29vectorized_elementwise_kernelILi2EZZZNS0_17expm1_kernel_cudaERNS_18TensorIteratorBaseEENKUlvE_clEvENKUlvE2_clEvEUlN3c107complexIfEEE_St5arrayIPcLm2EEEEviT0_T1_.kd
    .uniform_work_group_size: 1
    .uses_dynamic_stack: false
    .vgpr_count:     60
    .vgpr_spill_count: 0
    .wavefront_size: 64
  - .agpr_count:     0
    .args:
      - .offset:         0
        .size:           4
        .value_kind:     by_value
      - .offset:         4
        .size:           1
        .value_kind:     by_value
      - .offset:         8
        .size:           16
        .value_kind:     by_value
      - .offset:         24
        .size:           1
        .value_kind:     by_value
      - .offset:         25
        .size:           1
        .value_kind:     by_value
      - .offset:         26
        .size:           1
        .value_kind:     by_value
      - .offset:         27
        .size:           1
        .value_kind:     by_value
    .group_segment_fixed_size: 0
    .kernarg_segment_align: 8
    .kernarg_segment_size: 28
    .language:       OpenCL C
    .language_version:
      - 2
      - 0
    .max_flat_workgroup_size: 256
    .name:           _ZN2at6native27unrolled_elementwise_kernelIZZZNS0_17expm1_kernel_cudaERNS_18TensorIteratorBaseEENKUlvE_clEvENKUlvE2_clEvEUlN3c107complexIfEEE_St5arrayIPcLm2EELi4E23TrivialOffsetCalculatorILi1EjESE_NS0_6memory15LoadWithoutCastENSF_16StoreWithoutCastEEEviT_T0_T2_T3_T4_T5_
    .private_segment_fixed_size: 0
    .sgpr_count:     39
    .sgpr_spill_count: 0
    .symbol:         _ZN2at6native27unrolled_elementwise_kernelIZZZNS0_17expm1_kernel_cudaERNS_18TensorIteratorBaseEENKUlvE_clEvENKUlvE2_clEvEUlN3c107complexIfEEE_St5arrayIPcLm2EELi4E23TrivialOffsetCalculatorILi1EjESE_NS0_6memory15LoadWithoutCastENSF_16StoreWithoutCastEEEviT_T0_T2_T3_T4_T5_.kd
    .uniform_work_group_size: 1
    .uses_dynamic_stack: false
    .vgpr_count:     37
    .vgpr_spill_count: 0
    .wavefront_size: 64
  - .agpr_count:     0
    .args:
      - .offset:         0
        .size:           4
        .value_kind:     by_value
      - .offset:         8
        .size:           352
        .value_kind:     by_value
    .group_segment_fixed_size: 0
    .kernarg_segment_align: 8
    .kernarg_segment_size: 360
    .language:       OpenCL C
    .language_version:
      - 2
      - 0
    .max_flat_workgroup_size: 128
    .name:           _ZN2at6native32elementwise_kernel_manual_unrollILi128ELi4EZNS0_22gpu_kernel_impl_nocastIZZZNS0_17expm1_kernel_cudaERNS_18TensorIteratorBaseEENKUlvE_clEvENKUlvE2_clEvEUlN3c107complexIfEEE_EEvS4_RKT_EUlibE_EEviT1_
    .private_segment_fixed_size: 0
    .sgpr_count:     66
    .sgpr_spill_count: 0
    .symbol:         _ZN2at6native32elementwise_kernel_manual_unrollILi128ELi4EZNS0_22gpu_kernel_impl_nocastIZZZNS0_17expm1_kernel_cudaERNS_18TensorIteratorBaseEENKUlvE_clEvENKUlvE2_clEvEUlN3c107complexIfEEE_EEvS4_RKT_EUlibE_EEviT1_.kd
    .uniform_work_group_size: 1
    .uses_dynamic_stack: false
    .vgpr_count:     62
    .vgpr_spill_count: 0
    .wavefront_size: 64
  - .agpr_count:     0
    .args:
      - .offset:         0
        .size:           4
        .value_kind:     by_value
      - .offset:         8
        .size:           32
        .value_kind:     by_value
    .group_segment_fixed_size: 0
    .kernarg_segment_align: 8
    .kernarg_segment_size: 40
    .language:       OpenCL C
    .language_version:
      - 2
      - 0
    .max_flat_workgroup_size: 128
    .name:           _ZN2at6native32elementwise_kernel_manual_unrollILi128ELi4EZNS0_15gpu_kernel_implIZZZNS0_17expm1_kernel_cudaERNS_18TensorIteratorBaseEENKUlvE_clEvENKUlvE2_clEvEUlN3c107complexIfEEE_EEvS4_RKT_EUlibE_EEviT1_
    .private_segment_fixed_size: 0
    .sgpr_count:     58
    .sgpr_spill_count: 0
    .symbol:         _ZN2at6native32elementwise_kernel_manual_unrollILi128ELi4EZNS0_15gpu_kernel_implIZZZNS0_17expm1_kernel_cudaERNS_18TensorIteratorBaseEENKUlvE_clEvENKUlvE2_clEvEUlN3c107complexIfEEE_EEvS4_RKT_EUlibE_EEviT1_.kd
    .uniform_work_group_size: 1
    .uses_dynamic_stack: false
    .vgpr_count:     34
    .vgpr_spill_count: 0
    .wavefront_size: 64
  - .agpr_count:     0
    .args:
      - .offset:         0
        .size:           4
        .value_kind:     by_value
      - .offset:         8
        .size:           352
        .value_kind:     by_value
    .group_segment_fixed_size: 0
    .kernarg_segment_align: 8
    .kernarg_segment_size: 360
    .language:       OpenCL C
    .language_version:
      - 2
      - 0
    .max_flat_workgroup_size: 128
    .name:           _ZN2at6native32elementwise_kernel_manual_unrollILi128ELi4EZNS0_15gpu_kernel_implIZZZNS0_17expm1_kernel_cudaERNS_18TensorIteratorBaseEENKUlvE_clEvENKUlvE2_clEvEUlN3c107complexIfEEE_EEvS4_RKT_EUlibE0_EEviT1_
    .private_segment_fixed_size: 0
    .sgpr_count:     81
    .sgpr_spill_count: 0
    .symbol:         _ZN2at6native32elementwise_kernel_manual_unrollILi128ELi4EZNS0_15gpu_kernel_implIZZZNS0_17expm1_kernel_cudaERNS_18TensorIteratorBaseEENKUlvE_clEvENKUlvE2_clEvEUlN3c107complexIfEEE_EEvS4_RKT_EUlibE0_EEviT1_.kd
    .uniform_work_group_size: 1
    .uses_dynamic_stack: false
    .vgpr_count:     44
    .vgpr_spill_count: 0
    .wavefront_size: 64
  - .agpr_count:     0
    .args:
      - .offset:         0
        .size:           4
        .value_kind:     by_value
      - .offset:         4
        .size:           1
        .value_kind:     by_value
      - .offset:         8
        .size:           16
        .value_kind:     by_value
    .group_segment_fixed_size: 0
    .kernarg_segment_align: 8
    .kernarg_segment_size: 24
    .language:       OpenCL C
    .language_version:
      - 2
      - 0
    .max_flat_workgroup_size: 256
    .name:           _ZN2at6native29vectorized_elementwise_kernelILi16EZZZNS0_17expm1_kernel_cudaERNS_18TensorIteratorBaseEENKUlvE_clEvENKUlvE3_clEvEUlN3c108BFloat16EE_St5arrayIPcLm2EEEEviT0_T1_
    .private_segment_fixed_size: 0
    .sgpr_count:     32
    .sgpr_spill_count: 0
    .symbol:         _ZN2at6native29vectorized_elementwise_kernelILi16EZZZNS0_17expm1_kernel_cudaERNS_18TensorIteratorBaseEENKUlvE_clEvENKUlvE3_clEvEUlN3c108BFloat16EE_St5arrayIPcLm2EEEEviT0_T1_.kd
    .uniform_work_group_size: 1
    .uses_dynamic_stack: false
    .vgpr_count:     29
    .vgpr_spill_count: 0
    .wavefront_size: 64
  - .agpr_count:     0
    .args:
      - .offset:         0
        .size:           4
        .value_kind:     by_value
      - .offset:         4
        .size:           1
        .value_kind:     by_value
      - .offset:         8
        .size:           16
        .value_kind:     by_value
    .group_segment_fixed_size: 0
    .kernarg_segment_align: 8
    .kernarg_segment_size: 24
    .language:       OpenCL C
    .language_version:
      - 2
      - 0
    .max_flat_workgroup_size: 256
    .name:           _ZN2at6native29vectorized_elementwise_kernelILi8EZZZNS0_17expm1_kernel_cudaERNS_18TensorIteratorBaseEENKUlvE_clEvENKUlvE3_clEvEUlN3c108BFloat16EE_St5arrayIPcLm2EEEEviT0_T1_
    .private_segment_fixed_size: 0
    .sgpr_count:     32
    .sgpr_spill_count: 0
    .symbol:         _ZN2at6native29vectorized_elementwise_kernelILi8EZZZNS0_17expm1_kernel_cudaERNS_18TensorIteratorBaseEENKUlvE_clEvENKUlvE3_clEvEUlN3c108BFloat16EE_St5arrayIPcLm2EEEEviT0_T1_.kd
    .uniform_work_group_size: 1
    .uses_dynamic_stack: false
    .vgpr_count:     29
    .vgpr_spill_count: 0
    .wavefront_size: 64
  - .agpr_count:     0
    .args:
      - .offset:         0
        .size:           4
        .value_kind:     by_value
      - .offset:         4
        .size:           1
        .value_kind:     by_value
      - .offset:         8
        .size:           16
        .value_kind:     by_value
    .group_segment_fixed_size: 0
    .kernarg_segment_align: 8
    .kernarg_segment_size: 24
    .language:       OpenCL C
    .language_version:
      - 2
      - 0
    .max_flat_workgroup_size: 256
    .name:           _ZN2at6native29vectorized_elementwise_kernelILi4EZZZNS0_17expm1_kernel_cudaERNS_18TensorIteratorBaseEENKUlvE_clEvENKUlvE3_clEvEUlN3c108BFloat16EE_St5arrayIPcLm2EEEEviT0_T1_
    .private_segment_fixed_size: 0
    .sgpr_count:     32
    .sgpr_spill_count: 0
    .symbol:         _ZN2at6native29vectorized_elementwise_kernelILi4EZZZNS0_17expm1_kernel_cudaERNS_18TensorIteratorBaseEENKUlvE_clEvENKUlvE3_clEvEUlN3c108BFloat16EE_St5arrayIPcLm2EEEEviT0_T1_.kd
    .uniform_work_group_size: 1
    .uses_dynamic_stack: false
    .vgpr_count:     30
    .vgpr_spill_count: 0
    .wavefront_size: 64
  - .agpr_count:     0
    .args:
      - .offset:         0
        .size:           4
        .value_kind:     by_value
      - .offset:         4
        .size:           1
        .value_kind:     by_value
      - .offset:         8
        .size:           16
        .value_kind:     by_value
    .group_segment_fixed_size: 0
    .kernarg_segment_align: 8
    .kernarg_segment_size: 24
    .language:       OpenCL C
    .language_version:
      - 2
      - 0
    .max_flat_workgroup_size: 256
    .name:           _ZN2at6native29vectorized_elementwise_kernelILi2EZZZNS0_17expm1_kernel_cudaERNS_18TensorIteratorBaseEENKUlvE_clEvENKUlvE3_clEvEUlN3c108BFloat16EE_St5arrayIPcLm2EEEEviT0_T1_
    .private_segment_fixed_size: 0
    .sgpr_count:     32
    .sgpr_spill_count: 0
    .symbol:         _ZN2at6native29vectorized_elementwise_kernelILi2EZZZNS0_17expm1_kernel_cudaERNS_18TensorIteratorBaseEENKUlvE_clEvENKUlvE3_clEvEUlN3c108BFloat16EE_St5arrayIPcLm2EEEEviT0_T1_.kd
    .uniform_work_group_size: 1
    .uses_dynamic_stack: false
    .vgpr_count:     30
    .vgpr_spill_count: 0
    .wavefront_size: 64
  - .agpr_count:     0
    .args:
      - .offset:         0
        .size:           4
        .value_kind:     by_value
      - .offset:         4
        .size:           1
        .value_kind:     by_value
      - .offset:         8
        .size:           16
        .value_kind:     by_value
      - .offset:         24
        .size:           1
        .value_kind:     by_value
      - .offset:         25
        .size:           1
        .value_kind:     by_value
      - .offset:         26
        .size:           1
        .value_kind:     by_value
      - .offset:         27
        .size:           1
        .value_kind:     by_value
    .group_segment_fixed_size: 0
    .kernarg_segment_align: 8
    .kernarg_segment_size: 28
    .language:       OpenCL C
    .language_version:
      - 2
      - 0
    .max_flat_workgroup_size: 256
    .name:           _ZN2at6native27unrolled_elementwise_kernelIZZZNS0_17expm1_kernel_cudaERNS_18TensorIteratorBaseEENKUlvE_clEvENKUlvE3_clEvEUlN3c108BFloat16EE_St5arrayIPcLm2EELi4E23TrivialOffsetCalculatorILi1EjESD_NS0_6memory15LoadWithoutCastENSE_16StoreWithoutCastEEEviT_T0_T2_T3_T4_T5_
    .private_segment_fixed_size: 0
    .sgpr_count:     16
    .sgpr_spill_count: 0
    .symbol:         _ZN2at6native27unrolled_elementwise_kernelIZZZNS0_17expm1_kernel_cudaERNS_18TensorIteratorBaseEENKUlvE_clEvENKUlvE3_clEvEUlN3c108BFloat16EE_St5arrayIPcLm2EELi4E23TrivialOffsetCalculatorILi1EjESD_NS0_6memory15LoadWithoutCastENSE_16StoreWithoutCastEEEviT_T0_T2_T3_T4_T5_.kd
    .uniform_work_group_size: 1
    .uses_dynamic_stack: false
    .vgpr_count:     11
    .vgpr_spill_count: 0
    .wavefront_size: 64
  - .agpr_count:     0
    .args:
      - .offset:         0
        .size:           4
        .value_kind:     by_value
      - .offset:         8
        .size:           352
        .value_kind:     by_value
    .group_segment_fixed_size: 0
    .kernarg_segment_align: 8
    .kernarg_segment_size: 360
    .language:       OpenCL C
    .language_version:
      - 2
      - 0
    .max_flat_workgroup_size: 128
    .name:           _ZN2at6native32elementwise_kernel_manual_unrollILi128ELi8EZNS0_22gpu_kernel_impl_nocastIZZZNS0_17expm1_kernel_cudaERNS_18TensorIteratorBaseEENKUlvE_clEvENKUlvE3_clEvEUlN3c108BFloat16EE_EEvS4_RKT_EUlibE_EEviT1_
    .private_segment_fixed_size: 0
    .sgpr_count:     66
    .sgpr_spill_count: 0
    .symbol:         _ZN2at6native32elementwise_kernel_manual_unrollILi128ELi8EZNS0_22gpu_kernel_impl_nocastIZZZNS0_17expm1_kernel_cudaERNS_18TensorIteratorBaseEENKUlvE_clEvENKUlvE3_clEvEUlN3c108BFloat16EE_EEvS4_RKT_EUlibE_EEviT1_.kd
    .uniform_work_group_size: 1
    .uses_dynamic_stack: false
    .vgpr_count:     39
    .vgpr_spill_count: 0
    .wavefront_size: 64
  - .agpr_count:     0
    .args:
      - .offset:         0
        .size:           4
        .value_kind:     by_value
      - .offset:         8
        .size:           32
        .value_kind:     by_value
    .group_segment_fixed_size: 0
    .kernarg_segment_align: 8
    .kernarg_segment_size: 40
    .language:       OpenCL C
    .language_version:
      - 2
      - 0
    .max_flat_workgroup_size: 128
    .name:           _ZN2at6native32elementwise_kernel_manual_unrollILi128ELi4EZNS0_15gpu_kernel_implIZZZNS0_17expm1_kernel_cudaERNS_18TensorIteratorBaseEENKUlvE_clEvENKUlvE3_clEvEUlN3c108BFloat16EE_EEvS4_RKT_EUlibE_EEviT1_
    .private_segment_fixed_size: 0
    .sgpr_count:     50
    .sgpr_spill_count: 0
    .symbol:         _ZN2at6native32elementwise_kernel_manual_unrollILi128ELi4EZNS0_15gpu_kernel_implIZZZNS0_17expm1_kernel_cudaERNS_18TensorIteratorBaseEENKUlvE_clEvENKUlvE3_clEvEUlN3c108BFloat16EE_EEvS4_RKT_EUlibE_EEviT1_.kd
    .uniform_work_group_size: 1
    .uses_dynamic_stack: false
    .vgpr_count:     14
    .vgpr_spill_count: 0
    .wavefront_size: 64
  - .agpr_count:     0
    .args:
      - .offset:         0
        .size:           4
        .value_kind:     by_value
      - .offset:         8
        .size:           352
        .value_kind:     by_value
    .group_segment_fixed_size: 0
    .kernarg_segment_align: 8
    .kernarg_segment_size: 360
    .language:       OpenCL C
    .language_version:
      - 2
      - 0
    .max_flat_workgroup_size: 128
    .name:           _ZN2at6native32elementwise_kernel_manual_unrollILi128ELi4EZNS0_15gpu_kernel_implIZZZNS0_17expm1_kernel_cudaERNS_18TensorIteratorBaseEENKUlvE_clEvENKUlvE3_clEvEUlN3c108BFloat16EE_EEvS4_RKT_EUlibE0_EEviT1_
    .private_segment_fixed_size: 0
    .sgpr_count:     84
    .sgpr_spill_count: 0
    .symbol:         _ZN2at6native32elementwise_kernel_manual_unrollILi128ELi4EZNS0_15gpu_kernel_implIZZZNS0_17expm1_kernel_cudaERNS_18TensorIteratorBaseEENKUlvE_clEvENKUlvE3_clEvEUlN3c108BFloat16EE_EEvS4_RKT_EUlibE0_EEviT1_.kd
    .uniform_work_group_size: 1
    .uses_dynamic_stack: false
    .vgpr_count:     18
    .vgpr_spill_count: 0
    .wavefront_size: 64
  - .agpr_count:     0
    .args:
      - .offset:         0
        .size:           4
        .value_kind:     by_value
      - .offset:         4
        .size:           1
        .value_kind:     by_value
      - .offset:         8
        .size:           16
        .value_kind:     by_value
    .group_segment_fixed_size: 0
    .kernarg_segment_align: 8
    .kernarg_segment_size: 24
    .language:       OpenCL C
    .language_version:
      - 2
      - 0
    .max_flat_workgroup_size: 256
    .name:           _ZN2at6native29vectorized_elementwise_kernelILi16EZZZNS0_17expm1_kernel_cudaERNS_18TensorIteratorBaseEENKUlvE_clEvENKUlvE4_clEvEUlN3c104HalfEE_St5arrayIPcLm2EEEEviT0_T1_
    .private_segment_fixed_size: 0
    .sgpr_count:     32
    .sgpr_spill_count: 0
    .symbol:         _ZN2at6native29vectorized_elementwise_kernelILi16EZZZNS0_17expm1_kernel_cudaERNS_18TensorIteratorBaseEENKUlvE_clEvENKUlvE4_clEvEUlN3c104HalfEE_St5arrayIPcLm2EEEEviT0_T1_.kd
    .uniform_work_group_size: 1
    .uses_dynamic_stack: false
    .vgpr_count:     36
    .vgpr_spill_count: 0
    .wavefront_size: 64
  - .agpr_count:     0
    .args:
      - .offset:         0
        .size:           4
        .value_kind:     by_value
      - .offset:         4
        .size:           1
        .value_kind:     by_value
      - .offset:         8
        .size:           16
        .value_kind:     by_value
    .group_segment_fixed_size: 0
    .kernarg_segment_align: 8
    .kernarg_segment_size: 24
    .language:       OpenCL C
    .language_version:
      - 2
      - 0
    .max_flat_workgroup_size: 256
    .name:           _ZN2at6native29vectorized_elementwise_kernelILi8EZZZNS0_17expm1_kernel_cudaERNS_18TensorIteratorBaseEENKUlvE_clEvENKUlvE4_clEvEUlN3c104HalfEE_St5arrayIPcLm2EEEEviT0_T1_
    .private_segment_fixed_size: 0
    .sgpr_count:     32
    .sgpr_spill_count: 0
    .symbol:         _ZN2at6native29vectorized_elementwise_kernelILi8EZZZNS0_17expm1_kernel_cudaERNS_18TensorIteratorBaseEENKUlvE_clEvENKUlvE4_clEvEUlN3c104HalfEE_St5arrayIPcLm2EEEEviT0_T1_.kd
    .uniform_work_group_size: 1
    .uses_dynamic_stack: false
    .vgpr_count:     36
    .vgpr_spill_count: 0
    .wavefront_size: 64
  - .agpr_count:     0
    .args:
      - .offset:         0
        .size:           4
        .value_kind:     by_value
      - .offset:         4
        .size:           1
        .value_kind:     by_value
      - .offset:         8
        .size:           16
        .value_kind:     by_value
    .group_segment_fixed_size: 0
    .kernarg_segment_align: 8
    .kernarg_segment_size: 24
    .language:       OpenCL C
    .language_version:
      - 2
      - 0
    .max_flat_workgroup_size: 256
    .name:           _ZN2at6native29vectorized_elementwise_kernelILi4EZZZNS0_17expm1_kernel_cudaERNS_18TensorIteratorBaseEENKUlvE_clEvENKUlvE4_clEvEUlN3c104HalfEE_St5arrayIPcLm2EEEEviT0_T1_
    .private_segment_fixed_size: 0
    .sgpr_count:     32
    .sgpr_spill_count: 0
    .symbol:         _ZN2at6native29vectorized_elementwise_kernelILi4EZZZNS0_17expm1_kernel_cudaERNS_18TensorIteratorBaseEENKUlvE_clEvENKUlvE4_clEvEUlN3c104HalfEE_St5arrayIPcLm2EEEEviT0_T1_.kd
    .uniform_work_group_size: 1
    .uses_dynamic_stack: false
    .vgpr_count:     35
    .vgpr_spill_count: 0
    .wavefront_size: 64
  - .agpr_count:     0
    .args:
      - .offset:         0
        .size:           4
        .value_kind:     by_value
      - .offset:         4
        .size:           1
        .value_kind:     by_value
      - .offset:         8
        .size:           16
        .value_kind:     by_value
    .group_segment_fixed_size: 0
    .kernarg_segment_align: 8
    .kernarg_segment_size: 24
    .language:       OpenCL C
    .language_version:
      - 2
      - 0
    .max_flat_workgroup_size: 256
    .name:           _ZN2at6native29vectorized_elementwise_kernelILi2EZZZNS0_17expm1_kernel_cudaERNS_18TensorIteratorBaseEENKUlvE_clEvENKUlvE4_clEvEUlN3c104HalfEE_St5arrayIPcLm2EEEEviT0_T1_
    .private_segment_fixed_size: 0
    .sgpr_count:     32
    .sgpr_spill_count: 0
    .symbol:         _ZN2at6native29vectorized_elementwise_kernelILi2EZZZNS0_17expm1_kernel_cudaERNS_18TensorIteratorBaseEENKUlvE_clEvENKUlvE4_clEvEUlN3c104HalfEE_St5arrayIPcLm2EEEEviT0_T1_.kd
    .uniform_work_group_size: 1
    .uses_dynamic_stack: false
    .vgpr_count:     34
    .vgpr_spill_count: 0
    .wavefront_size: 64
  - .agpr_count:     0
    .args:
      - .offset:         0
        .size:           4
        .value_kind:     by_value
      - .offset:         4
        .size:           1
        .value_kind:     by_value
      - .offset:         8
        .size:           16
        .value_kind:     by_value
      - .offset:         24
        .size:           1
        .value_kind:     by_value
      - .offset:         25
        .size:           1
        .value_kind:     by_value
      - .offset:         26
        .size:           1
        .value_kind:     by_value
      - .offset:         27
        .size:           1
        .value_kind:     by_value
    .group_segment_fixed_size: 0
    .kernarg_segment_align: 8
    .kernarg_segment_size: 28
    .language:       OpenCL C
    .language_version:
      - 2
      - 0
    .max_flat_workgroup_size: 256
    .name:           _ZN2at6native27unrolled_elementwise_kernelIZZZNS0_17expm1_kernel_cudaERNS_18TensorIteratorBaseEENKUlvE_clEvENKUlvE4_clEvEUlN3c104HalfEE_St5arrayIPcLm2EELi4E23TrivialOffsetCalculatorILi1EjESD_NS0_6memory15LoadWithoutCastENSE_16StoreWithoutCastEEEviT_T0_T2_T3_T4_T5_
    .private_segment_fixed_size: 0
    .sgpr_count:     16
    .sgpr_spill_count: 0
    .symbol:         _ZN2at6native27unrolled_elementwise_kernelIZZZNS0_17expm1_kernel_cudaERNS_18TensorIteratorBaseEENKUlvE_clEvENKUlvE4_clEvEUlN3c104HalfEE_St5arrayIPcLm2EELi4E23TrivialOffsetCalculatorILi1EjESD_NS0_6memory15LoadWithoutCastENSE_16StoreWithoutCastEEEviT_T0_T2_T3_T4_T5_.kd
    .uniform_work_group_size: 1
    .uses_dynamic_stack: false
    .vgpr_count:     12
    .vgpr_spill_count: 0
    .wavefront_size: 64
  - .agpr_count:     0
    .args:
      - .offset:         0
        .size:           4
        .value_kind:     by_value
      - .offset:         8
        .size:           352
        .value_kind:     by_value
    .group_segment_fixed_size: 0
    .kernarg_segment_align: 8
    .kernarg_segment_size: 360
    .language:       OpenCL C
    .language_version:
      - 2
      - 0
    .max_flat_workgroup_size: 128
    .name:           _ZN2at6native32elementwise_kernel_manual_unrollILi128ELi8EZNS0_22gpu_kernel_impl_nocastIZZZNS0_17expm1_kernel_cudaERNS_18TensorIteratorBaseEENKUlvE_clEvENKUlvE4_clEvEUlN3c104HalfEE_EEvS4_RKT_EUlibE_EEviT1_
    .private_segment_fixed_size: 0
    .sgpr_count:     66
    .sgpr_spill_count: 0
    .symbol:         _ZN2at6native32elementwise_kernel_manual_unrollILi128ELi8EZNS0_22gpu_kernel_impl_nocastIZZZNS0_17expm1_kernel_cudaERNS_18TensorIteratorBaseEENKUlvE_clEvENKUlvE4_clEvEUlN3c104HalfEE_EEvS4_RKT_EUlibE_EEviT1_.kd
    .uniform_work_group_size: 1
    .uses_dynamic_stack: false
    .vgpr_count:     43
    .vgpr_spill_count: 0
    .wavefront_size: 64
  - .agpr_count:     0
    .args:
      - .offset:         0
        .size:           4
        .value_kind:     by_value
      - .offset:         8
        .size:           32
        .value_kind:     by_value
    .group_segment_fixed_size: 0
    .kernarg_segment_align: 8
    .kernarg_segment_size: 40
    .language:       OpenCL C
    .language_version:
      - 2
      - 0
    .max_flat_workgroup_size: 128
    .name:           _ZN2at6native32elementwise_kernel_manual_unrollILi128ELi4EZNS0_15gpu_kernel_implIZZZNS0_17expm1_kernel_cudaERNS_18TensorIteratorBaseEENKUlvE_clEvENKUlvE4_clEvEUlN3c104HalfEE_EEvS4_RKT_EUlibE_EEviT1_
    .private_segment_fixed_size: 0
    .sgpr_count:     50
    .sgpr_spill_count: 0
    .symbol:         _ZN2at6native32elementwise_kernel_manual_unrollILi128ELi4EZNS0_15gpu_kernel_implIZZZNS0_17expm1_kernel_cudaERNS_18TensorIteratorBaseEENKUlvE_clEvENKUlvE4_clEvEUlN3c104HalfEE_EEvS4_RKT_EUlibE_EEviT1_.kd
    .uniform_work_group_size: 1
    .uses_dynamic_stack: false
    .vgpr_count:     14
    .vgpr_spill_count: 0
    .wavefront_size: 64
  - .agpr_count:     0
    .args:
      - .offset:         0
        .size:           4
        .value_kind:     by_value
      - .offset:         8
        .size:           352
        .value_kind:     by_value
    .group_segment_fixed_size: 0
    .kernarg_segment_align: 8
    .kernarg_segment_size: 360
    .language:       OpenCL C
    .language_version:
      - 2
      - 0
    .max_flat_workgroup_size: 128
    .name:           _ZN2at6native32elementwise_kernel_manual_unrollILi128ELi4EZNS0_15gpu_kernel_implIZZZNS0_17expm1_kernel_cudaERNS_18TensorIteratorBaseEENKUlvE_clEvENKUlvE4_clEvEUlN3c104HalfEE_EEvS4_RKT_EUlibE0_EEviT1_
    .private_segment_fixed_size: 0
    .sgpr_count:     84
    .sgpr_spill_count: 0
    .symbol:         _ZN2at6native32elementwise_kernel_manual_unrollILi128ELi4EZNS0_15gpu_kernel_implIZZZNS0_17expm1_kernel_cudaERNS_18TensorIteratorBaseEENKUlvE_clEvENKUlvE4_clEvEUlN3c104HalfEE_EEvS4_RKT_EUlibE0_EEviT1_.kd
    .uniform_work_group_size: 1
    .uses_dynamic_stack: false
    .vgpr_count:     18
    .vgpr_spill_count: 0
    .wavefront_size: 64
  - .agpr_count:     0
    .args:
      - .offset:         0
        .size:           4
        .value_kind:     by_value
      - .offset:         4
        .size:           1
        .value_kind:     by_value
      - .offset:         8
        .size:           16
        .value_kind:     by_value
    .group_segment_fixed_size: 0
    .kernarg_segment_align: 8
    .kernarg_segment_size: 24
    .language:       OpenCL C
    .language_version:
      - 2
      - 0
    .max_flat_workgroup_size: 256
    .name:           _ZN2at6native29vectorized_elementwise_kernelILi16EZZZNS0_17rsqrt_kernel_cudaERNS_18TensorIteratorBaseEENKUlvE_clEvENKUlvE_clEvEUlN3c107complexIdEEE_St5arrayIPcLm2EEEEviT0_T1_
    .private_segment_fixed_size: 0
    .sgpr_count:     34
    .sgpr_spill_count: 0
    .symbol:         _ZN2at6native29vectorized_elementwise_kernelILi16EZZZNS0_17rsqrt_kernel_cudaERNS_18TensorIteratorBaseEENKUlvE_clEvENKUlvE_clEvEUlN3c107complexIdEEE_St5arrayIPcLm2EEEEviT0_T1_.kd
    .uniform_work_group_size: 1
    .uses_dynamic_stack: false
    .vgpr_count:     30
    .vgpr_spill_count: 0
    .wavefront_size: 64
  - .agpr_count:     0
    .args:
      - .offset:         0
        .size:           4
        .value_kind:     by_value
      - .offset:         4
        .size:           1
        .value_kind:     by_value
      - .offset:         8
        .size:           16
        .value_kind:     by_value
    .group_segment_fixed_size: 0
    .kernarg_segment_align: 8
    .kernarg_segment_size: 24
    .language:       OpenCL C
    .language_version:
      - 2
      - 0
    .max_flat_workgroup_size: 256
    .name:           _ZN2at6native29vectorized_elementwise_kernelILi8EZZZNS0_17rsqrt_kernel_cudaERNS_18TensorIteratorBaseEENKUlvE_clEvENKUlvE_clEvEUlN3c107complexIdEEE_St5arrayIPcLm2EEEEviT0_T1_
    .private_segment_fixed_size: 0
    .sgpr_count:     34
    .sgpr_spill_count: 0
    .symbol:         _ZN2at6native29vectorized_elementwise_kernelILi8EZZZNS0_17rsqrt_kernel_cudaERNS_18TensorIteratorBaseEENKUlvE_clEvENKUlvE_clEvEUlN3c107complexIdEEE_St5arrayIPcLm2EEEEviT0_T1_.kd
    .uniform_work_group_size: 1
    .uses_dynamic_stack: false
    .vgpr_count:     30
    .vgpr_spill_count: 0
    .wavefront_size: 64
  - .agpr_count:     0
    .args:
      - .offset:         0
        .size:           4
        .value_kind:     by_value
      - .offset:         4
        .size:           1
        .value_kind:     by_value
      - .offset:         8
        .size:           16
        .value_kind:     by_value
    .group_segment_fixed_size: 0
    .kernarg_segment_align: 8
    .kernarg_segment_size: 24
    .language:       OpenCL C
    .language_version:
      - 2
      - 0
    .max_flat_workgroup_size: 256
    .name:           _ZN2at6native29vectorized_elementwise_kernelILi4EZZZNS0_17rsqrt_kernel_cudaERNS_18TensorIteratorBaseEENKUlvE_clEvENKUlvE_clEvEUlN3c107complexIdEEE_St5arrayIPcLm2EEEEviT0_T1_
    .private_segment_fixed_size: 0
    .sgpr_count:     34
    .sgpr_spill_count: 0
    .symbol:         _ZN2at6native29vectorized_elementwise_kernelILi4EZZZNS0_17rsqrt_kernel_cudaERNS_18TensorIteratorBaseEENKUlvE_clEvENKUlvE_clEvEUlN3c107complexIdEEE_St5arrayIPcLm2EEEEviT0_T1_.kd
    .uniform_work_group_size: 1
    .uses_dynamic_stack: false
    .vgpr_count:     30
    .vgpr_spill_count: 0
    .wavefront_size: 64
  - .agpr_count:     0
    .args:
      - .offset:         0
        .size:           4
        .value_kind:     by_value
      - .offset:         4
        .size:           1
        .value_kind:     by_value
      - .offset:         8
        .size:           16
        .value_kind:     by_value
    .group_segment_fixed_size: 0
    .kernarg_segment_align: 8
    .kernarg_segment_size: 24
    .language:       OpenCL C
    .language_version:
      - 2
      - 0
    .max_flat_workgroup_size: 256
    .name:           _ZN2at6native29vectorized_elementwise_kernelILi2EZZZNS0_17rsqrt_kernel_cudaERNS_18TensorIteratorBaseEENKUlvE_clEvENKUlvE_clEvEUlN3c107complexIdEEE_St5arrayIPcLm2EEEEviT0_T1_
    .private_segment_fixed_size: 0
    .sgpr_count:     34
    .sgpr_spill_count: 0
    .symbol:         _ZN2at6native29vectorized_elementwise_kernelILi2EZZZNS0_17rsqrt_kernel_cudaERNS_18TensorIteratorBaseEENKUlvE_clEvENKUlvE_clEvEUlN3c107complexIdEEE_St5arrayIPcLm2EEEEviT0_T1_.kd
    .uniform_work_group_size: 1
    .uses_dynamic_stack: false
    .vgpr_count:     30
    .vgpr_spill_count: 0
    .wavefront_size: 64
  - .agpr_count:     0
    .args:
      - .offset:         0
        .size:           4
        .value_kind:     by_value
      - .offset:         4
        .size:           1
        .value_kind:     by_value
      - .offset:         8
        .size:           16
        .value_kind:     by_value
      - .offset:         24
        .size:           1
        .value_kind:     by_value
      - .offset:         25
        .size:           1
        .value_kind:     by_value
      - .offset:         26
        .size:           1
        .value_kind:     by_value
      - .offset:         27
        .size:           1
        .value_kind:     by_value
    .group_segment_fixed_size: 0
    .kernarg_segment_align: 8
    .kernarg_segment_size: 28
    .language:       OpenCL C
    .language_version:
      - 2
      - 0
    .max_flat_workgroup_size: 256
    .name:           _ZN2at6native27unrolled_elementwise_kernelIZZZNS0_17rsqrt_kernel_cudaERNS_18TensorIteratorBaseEENKUlvE_clEvENKUlvE_clEvEUlN3c107complexIdEEE_St5arrayIPcLm2EELi4E23TrivialOffsetCalculatorILi1EjESE_NS0_6memory15LoadWithoutCastENSF_16StoreWithoutCastEEEviT_T0_T2_T3_T4_T5_
    .private_segment_fixed_size: 0
    .sgpr_count:     32
    .sgpr_spill_count: 0
    .symbol:         _ZN2at6native27unrolled_elementwise_kernelIZZZNS0_17rsqrt_kernel_cudaERNS_18TensorIteratorBaseEENKUlvE_clEvENKUlvE_clEvEUlN3c107complexIdEEE_St5arrayIPcLm2EELi4E23TrivialOffsetCalculatorILi1EjESE_NS0_6memory15LoadWithoutCastENSF_16StoreWithoutCastEEEviT_T0_T2_T3_T4_T5_.kd
    .uniform_work_group_size: 1
    .uses_dynamic_stack: false
    .vgpr_count:     30
    .vgpr_spill_count: 0
    .wavefront_size: 64
  - .agpr_count:     0
    .args:
      - .offset:         0
        .size:           4
        .value_kind:     by_value
      - .offset:         8
        .size:           352
        .value_kind:     by_value
    .group_segment_fixed_size: 0
    .kernarg_segment_align: 8
    .kernarg_segment_size: 360
    .language:       OpenCL C
    .language_version:
      - 2
      - 0
    .max_flat_workgroup_size: 128
    .name:           _ZN2at6native32elementwise_kernel_manual_unrollILi128ELi4EZNS0_22gpu_kernel_impl_nocastIZZZNS0_17rsqrt_kernel_cudaERNS_18TensorIteratorBaseEENKUlvE_clEvENKUlvE_clEvEUlN3c107complexIdEEE_EEvS4_RKT_EUlibE_EEviT1_
    .private_segment_fixed_size: 0
    .sgpr_count:     66
    .sgpr_spill_count: 0
    .symbol:         _ZN2at6native32elementwise_kernel_manual_unrollILi128ELi4EZNS0_22gpu_kernel_impl_nocastIZZZNS0_17rsqrt_kernel_cudaERNS_18TensorIteratorBaseEENKUlvE_clEvENKUlvE_clEvEUlN3c107complexIdEEE_EEvS4_RKT_EUlibE_EEviT1_.kd
    .uniform_work_group_size: 1
    .uses_dynamic_stack: false
    .vgpr_count:     34
    .vgpr_spill_count: 0
    .wavefront_size: 64
  - .agpr_count:     0
    .args:
      - .offset:         0
        .size:           4
        .value_kind:     by_value
      - .offset:         8
        .size:           32
        .value_kind:     by_value
    .group_segment_fixed_size: 0
    .kernarg_segment_align: 8
    .kernarg_segment_size: 40
    .language:       OpenCL C
    .language_version:
      - 2
      - 0
    .max_flat_workgroup_size: 128
    .name:           _ZN2at6native32elementwise_kernel_manual_unrollILi128ELi4EZNS0_15gpu_kernel_implIZZZNS0_17rsqrt_kernel_cudaERNS_18TensorIteratorBaseEENKUlvE_clEvENKUlvE_clEvEUlN3c107complexIdEEE_EEvS4_RKT_EUlibE_EEviT1_
    .private_segment_fixed_size: 0
    .sgpr_count:     54
    .sgpr_spill_count: 0
    .symbol:         _ZN2at6native32elementwise_kernel_manual_unrollILi128ELi4EZNS0_15gpu_kernel_implIZZZNS0_17rsqrt_kernel_cudaERNS_18TensorIteratorBaseEENKUlvE_clEvENKUlvE_clEvEUlN3c107complexIdEEE_EEvS4_RKT_EUlibE_EEviT1_.kd
    .uniform_work_group_size: 1
    .uses_dynamic_stack: false
    .vgpr_count:     28
    .vgpr_spill_count: 0
    .wavefront_size: 64
  - .agpr_count:     0
    .args:
      - .offset:         0
        .size:           4
        .value_kind:     by_value
      - .offset:         8
        .size:           352
        .value_kind:     by_value
    .group_segment_fixed_size: 0
    .kernarg_segment_align: 8
    .kernarg_segment_size: 360
    .language:       OpenCL C
    .language_version:
      - 2
      - 0
    .max_flat_workgroup_size: 128
    .name:           _ZN2at6native32elementwise_kernel_manual_unrollILi128ELi4EZNS0_15gpu_kernel_implIZZZNS0_17rsqrt_kernel_cudaERNS_18TensorIteratorBaseEENKUlvE_clEvENKUlvE_clEvEUlN3c107complexIdEEE_EEvS4_RKT_EUlibE0_EEviT1_
    .private_segment_fixed_size: 0
    .sgpr_count:     84
    .sgpr_spill_count: 0
    .symbol:         _ZN2at6native32elementwise_kernel_manual_unrollILi128ELi4EZNS0_15gpu_kernel_implIZZZNS0_17rsqrt_kernel_cudaERNS_18TensorIteratorBaseEENKUlvE_clEvENKUlvE_clEvEUlN3c107complexIdEEE_EEvS4_RKT_EUlibE0_EEviT1_.kd
    .uniform_work_group_size: 1
    .uses_dynamic_stack: false
    .vgpr_count:     34
    .vgpr_spill_count: 0
    .wavefront_size: 64
  - .agpr_count:     0
    .args:
      - .offset:         0
        .size:           4
        .value_kind:     by_value
      - .offset:         4
        .size:           1
        .value_kind:     by_value
      - .offset:         8
        .size:           16
        .value_kind:     by_value
    .group_segment_fixed_size: 0
    .kernarg_segment_align: 8
    .kernarg_segment_size: 24
    .language:       OpenCL C
    .language_version:
      - 2
      - 0
    .max_flat_workgroup_size: 256
    .name:           _ZN2at6native29vectorized_elementwise_kernelILi16EZZZNS0_17rsqrt_kernel_cudaERNS_18TensorIteratorBaseEENKUlvE_clEvENKUlvE0_clEvEUlN3c107complexIfEEE_St5arrayIPcLm2EEEEviT0_T1_
    .private_segment_fixed_size: 0
    .sgpr_count:     34
    .sgpr_spill_count: 0
    .symbol:         _ZN2at6native29vectorized_elementwise_kernelILi16EZZZNS0_17rsqrt_kernel_cudaERNS_18TensorIteratorBaseEENKUlvE_clEvENKUlvE0_clEvEUlN3c107complexIfEEE_St5arrayIPcLm2EEEEviT0_T1_.kd
    .uniform_work_group_size: 1
    .uses_dynamic_stack: false
    .vgpr_count:     18
    .vgpr_spill_count: 0
    .wavefront_size: 64
  - .agpr_count:     0
    .args:
      - .offset:         0
        .size:           4
        .value_kind:     by_value
      - .offset:         4
        .size:           1
        .value_kind:     by_value
      - .offset:         8
        .size:           16
        .value_kind:     by_value
    .group_segment_fixed_size: 0
    .kernarg_segment_align: 8
    .kernarg_segment_size: 24
    .language:       OpenCL C
    .language_version:
      - 2
      - 0
    .max_flat_workgroup_size: 256
    .name:           _ZN2at6native29vectorized_elementwise_kernelILi8EZZZNS0_17rsqrt_kernel_cudaERNS_18TensorIteratorBaseEENKUlvE_clEvENKUlvE0_clEvEUlN3c107complexIfEEE_St5arrayIPcLm2EEEEviT0_T1_
    .private_segment_fixed_size: 0
    .sgpr_count:     34
    .sgpr_spill_count: 0
    .symbol:         _ZN2at6native29vectorized_elementwise_kernelILi8EZZZNS0_17rsqrt_kernel_cudaERNS_18TensorIteratorBaseEENKUlvE_clEvENKUlvE0_clEvEUlN3c107complexIfEEE_St5arrayIPcLm2EEEEviT0_T1_.kd
    .uniform_work_group_size: 1
    .uses_dynamic_stack: false
    .vgpr_count:     18
    .vgpr_spill_count: 0
    .wavefront_size: 64
  - .agpr_count:     0
    .args:
      - .offset:         0
        .size:           4
        .value_kind:     by_value
      - .offset:         4
        .size:           1
        .value_kind:     by_value
      - .offset:         8
        .size:           16
        .value_kind:     by_value
    .group_segment_fixed_size: 0
    .kernarg_segment_align: 8
    .kernarg_segment_size: 24
    .language:       OpenCL C
    .language_version:
      - 2
      - 0
    .max_flat_workgroup_size: 256
    .name:           _ZN2at6native29vectorized_elementwise_kernelILi4EZZZNS0_17rsqrt_kernel_cudaERNS_18TensorIteratorBaseEENKUlvE_clEvENKUlvE0_clEvEUlN3c107complexIfEEE_St5arrayIPcLm2EEEEviT0_T1_
    .private_segment_fixed_size: 0
    .sgpr_count:     34
    .sgpr_spill_count: 0
    .symbol:         _ZN2at6native29vectorized_elementwise_kernelILi4EZZZNS0_17rsqrt_kernel_cudaERNS_18TensorIteratorBaseEENKUlvE_clEvENKUlvE0_clEvEUlN3c107complexIfEEE_St5arrayIPcLm2EEEEviT0_T1_.kd
    .uniform_work_group_size: 1
    .uses_dynamic_stack: false
    .vgpr_count:     18
    .vgpr_spill_count: 0
    .wavefront_size: 64
  - .agpr_count:     0
    .args:
      - .offset:         0
        .size:           4
        .value_kind:     by_value
      - .offset:         4
        .size:           1
        .value_kind:     by_value
      - .offset:         8
        .size:           16
        .value_kind:     by_value
    .group_segment_fixed_size: 0
    .kernarg_segment_align: 8
    .kernarg_segment_size: 24
    .language:       OpenCL C
    .language_version:
      - 2
      - 0
    .max_flat_workgroup_size: 256
    .name:           _ZN2at6native29vectorized_elementwise_kernelILi2EZZZNS0_17rsqrt_kernel_cudaERNS_18TensorIteratorBaseEENKUlvE_clEvENKUlvE0_clEvEUlN3c107complexIfEEE_St5arrayIPcLm2EEEEviT0_T1_
    .private_segment_fixed_size: 0
    .sgpr_count:     34
    .sgpr_spill_count: 0
    .symbol:         _ZN2at6native29vectorized_elementwise_kernelILi2EZZZNS0_17rsqrt_kernel_cudaERNS_18TensorIteratorBaseEENKUlvE_clEvENKUlvE0_clEvEUlN3c107complexIfEEE_St5arrayIPcLm2EEEEviT0_T1_.kd
    .uniform_work_group_size: 1
    .uses_dynamic_stack: false
    .vgpr_count:     18
    .vgpr_spill_count: 0
    .wavefront_size: 64
  - .agpr_count:     0
    .args:
      - .offset:         0
        .size:           4
        .value_kind:     by_value
      - .offset:         4
        .size:           1
        .value_kind:     by_value
      - .offset:         8
        .size:           16
        .value_kind:     by_value
      - .offset:         24
        .size:           1
        .value_kind:     by_value
      - .offset:         25
        .size:           1
        .value_kind:     by_value
      - .offset:         26
        .size:           1
        .value_kind:     by_value
      - .offset:         27
        .size:           1
        .value_kind:     by_value
    .group_segment_fixed_size: 0
    .kernarg_segment_align: 8
    .kernarg_segment_size: 28
    .language:       OpenCL C
    .language_version:
      - 2
      - 0
    .max_flat_workgroup_size: 256
    .name:           _ZN2at6native27unrolled_elementwise_kernelIZZZNS0_17rsqrt_kernel_cudaERNS_18TensorIteratorBaseEENKUlvE_clEvENKUlvE0_clEvEUlN3c107complexIfEEE_St5arrayIPcLm2EELi4E23TrivialOffsetCalculatorILi1EjESE_NS0_6memory15LoadWithoutCastENSF_16StoreWithoutCastEEEviT_T0_T2_T3_T4_T5_
    .private_segment_fixed_size: 0
    .sgpr_count:     32
    .sgpr_spill_count: 0
    .symbol:         _ZN2at6native27unrolled_elementwise_kernelIZZZNS0_17rsqrt_kernel_cudaERNS_18TensorIteratorBaseEENKUlvE_clEvENKUlvE0_clEvEUlN3c107complexIfEEE_St5arrayIPcLm2EELi4E23TrivialOffsetCalculatorILi1EjESE_NS0_6memory15LoadWithoutCastENSF_16StoreWithoutCastEEEviT_T0_T2_T3_T4_T5_.kd
    .uniform_work_group_size: 1
    .uses_dynamic_stack: false
    .vgpr_count:     17
    .vgpr_spill_count: 0
    .wavefront_size: 64
  - .agpr_count:     0
    .args:
      - .offset:         0
        .size:           4
        .value_kind:     by_value
      - .offset:         8
        .size:           352
        .value_kind:     by_value
    .group_segment_fixed_size: 0
    .kernarg_segment_align: 8
    .kernarg_segment_size: 360
    .language:       OpenCL C
    .language_version:
      - 2
      - 0
    .max_flat_workgroup_size: 128
    .name:           _ZN2at6native32elementwise_kernel_manual_unrollILi128ELi4EZNS0_22gpu_kernel_impl_nocastIZZZNS0_17rsqrt_kernel_cudaERNS_18TensorIteratorBaseEENKUlvE_clEvENKUlvE0_clEvEUlN3c107complexIfEEE_EEvS4_RKT_EUlibE_EEviT1_
    .private_segment_fixed_size: 0
    .sgpr_count:     66
    .sgpr_spill_count: 0
    .symbol:         _ZN2at6native32elementwise_kernel_manual_unrollILi128ELi4EZNS0_22gpu_kernel_impl_nocastIZZZNS0_17rsqrt_kernel_cudaERNS_18TensorIteratorBaseEENKUlvE_clEvENKUlvE0_clEvEUlN3c107complexIfEEE_EEvS4_RKT_EUlibE_EEviT1_.kd
    .uniform_work_group_size: 1
    .uses_dynamic_stack: false
    .vgpr_count:     18
    .vgpr_spill_count: 0
    .wavefront_size: 64
  - .agpr_count:     0
    .args:
      - .offset:         0
        .size:           4
        .value_kind:     by_value
      - .offset:         8
        .size:           32
        .value_kind:     by_value
    .group_segment_fixed_size: 0
    .kernarg_segment_align: 8
    .kernarg_segment_size: 40
    .language:       OpenCL C
    .language_version:
      - 2
      - 0
    .max_flat_workgroup_size: 128
    .name:           _ZN2at6native32elementwise_kernel_manual_unrollILi128ELi4EZNS0_15gpu_kernel_implIZZZNS0_17rsqrt_kernel_cudaERNS_18TensorIteratorBaseEENKUlvE_clEvENKUlvE0_clEvEUlN3c107complexIfEEE_EEvS4_RKT_EUlibE_EEviT1_
    .private_segment_fixed_size: 0
    .sgpr_count:     54
    .sgpr_spill_count: 0
    .symbol:         _ZN2at6native32elementwise_kernel_manual_unrollILi128ELi4EZNS0_15gpu_kernel_implIZZZNS0_17rsqrt_kernel_cudaERNS_18TensorIteratorBaseEENKUlvE_clEvENKUlvE0_clEvEUlN3c107complexIfEEE_EEvS4_RKT_EUlibE_EEviT1_.kd
    .uniform_work_group_size: 1
    .uses_dynamic_stack: false
    .vgpr_count:     16
    .vgpr_spill_count: 0
    .wavefront_size: 64
  - .agpr_count:     0
    .args:
      - .offset:         0
        .size:           4
        .value_kind:     by_value
      - .offset:         8
        .size:           352
        .value_kind:     by_value
    .group_segment_fixed_size: 0
    .kernarg_segment_align: 8
    .kernarg_segment_size: 360
    .language:       OpenCL C
    .language_version:
      - 2
      - 0
    .max_flat_workgroup_size: 128
    .name:           _ZN2at6native32elementwise_kernel_manual_unrollILi128ELi4EZNS0_15gpu_kernel_implIZZZNS0_17rsqrt_kernel_cudaERNS_18TensorIteratorBaseEENKUlvE_clEvENKUlvE0_clEvEUlN3c107complexIfEEE_EEvS4_RKT_EUlibE0_EEviT1_
    .private_segment_fixed_size: 0
    .sgpr_count:     84
    .sgpr_spill_count: 0
    .symbol:         _ZN2at6native32elementwise_kernel_manual_unrollILi128ELi4EZNS0_15gpu_kernel_implIZZZNS0_17rsqrt_kernel_cudaERNS_18TensorIteratorBaseEENKUlvE_clEvENKUlvE0_clEvEUlN3c107complexIfEEE_EEvS4_RKT_EUlibE0_EEviT1_.kd
    .uniform_work_group_size: 1
    .uses_dynamic_stack: false
    .vgpr_count:     22
    .vgpr_spill_count: 0
    .wavefront_size: 64
  - .agpr_count:     0
    .args:
      - .offset:         0
        .size:           4
        .value_kind:     by_value
      - .offset:         4
        .size:           1
        .value_kind:     by_value
      - .offset:         8
        .size:           16
        .value_kind:     by_value
    .group_segment_fixed_size: 0
    .kernarg_segment_align: 8
    .kernarg_segment_size: 24
    .language:       OpenCL C
    .language_version:
      - 2
      - 0
    .max_flat_workgroup_size: 256
    .name:           _ZN2at6native29vectorized_elementwise_kernelILi16EZZZNS0_17rsqrt_kernel_cudaERNS_18TensorIteratorBaseEENKUlvE_clEvENKUlvE1_clEvEUlN3c107complexINS6_4HalfEEEE_St5arrayIPcLm2EEEEviT0_T1_
    .private_segment_fixed_size: 0
    .sgpr_count:     34
    .sgpr_spill_count: 0
    .symbol:         _ZN2at6native29vectorized_elementwise_kernelILi16EZZZNS0_17rsqrt_kernel_cudaERNS_18TensorIteratorBaseEENKUlvE_clEvENKUlvE1_clEvEUlN3c107complexINS6_4HalfEEEE_St5arrayIPcLm2EEEEviT0_T1_.kd
    .uniform_work_group_size: 1
    .uses_dynamic_stack: false
    .vgpr_count:     16
    .vgpr_spill_count: 0
    .wavefront_size: 64
  - .agpr_count:     0
    .args:
      - .offset:         0
        .size:           4
        .value_kind:     by_value
      - .offset:         4
        .size:           1
        .value_kind:     by_value
      - .offset:         8
        .size:           16
        .value_kind:     by_value
    .group_segment_fixed_size: 0
    .kernarg_segment_align: 8
    .kernarg_segment_size: 24
    .language:       OpenCL C
    .language_version:
      - 2
      - 0
    .max_flat_workgroup_size: 256
    .name:           _ZN2at6native29vectorized_elementwise_kernelILi8EZZZNS0_17rsqrt_kernel_cudaERNS_18TensorIteratorBaseEENKUlvE_clEvENKUlvE1_clEvEUlN3c107complexINS6_4HalfEEEE_St5arrayIPcLm2EEEEviT0_T1_
    .private_segment_fixed_size: 0
    .sgpr_count:     34
    .sgpr_spill_count: 0
    .symbol:         _ZN2at6native29vectorized_elementwise_kernelILi8EZZZNS0_17rsqrt_kernel_cudaERNS_18TensorIteratorBaseEENKUlvE_clEvENKUlvE1_clEvEUlN3c107complexINS6_4HalfEEEE_St5arrayIPcLm2EEEEviT0_T1_.kd
    .uniform_work_group_size: 1
    .uses_dynamic_stack: false
    .vgpr_count:     16
    .vgpr_spill_count: 0
    .wavefront_size: 64
  - .agpr_count:     0
    .args:
      - .offset:         0
        .size:           4
        .value_kind:     by_value
      - .offset:         4
        .size:           1
        .value_kind:     by_value
      - .offset:         8
        .size:           16
        .value_kind:     by_value
    .group_segment_fixed_size: 0
    .kernarg_segment_align: 8
    .kernarg_segment_size: 24
    .language:       OpenCL C
    .language_version:
      - 2
      - 0
    .max_flat_workgroup_size: 256
    .name:           _ZN2at6native29vectorized_elementwise_kernelILi4EZZZNS0_17rsqrt_kernel_cudaERNS_18TensorIteratorBaseEENKUlvE_clEvENKUlvE1_clEvEUlN3c107complexINS6_4HalfEEEE_St5arrayIPcLm2EEEEviT0_T1_
    .private_segment_fixed_size: 0
    .sgpr_count:     34
    .sgpr_spill_count: 0
    .symbol:         _ZN2at6native29vectorized_elementwise_kernelILi4EZZZNS0_17rsqrt_kernel_cudaERNS_18TensorIteratorBaseEENKUlvE_clEvENKUlvE1_clEvEUlN3c107complexINS6_4HalfEEEE_St5arrayIPcLm2EEEEviT0_T1_.kd
    .uniform_work_group_size: 1
    .uses_dynamic_stack: false
    .vgpr_count:     16
    .vgpr_spill_count: 0
    .wavefront_size: 64
  - .agpr_count:     0
    .args:
      - .offset:         0
        .size:           4
        .value_kind:     by_value
      - .offset:         4
        .size:           1
        .value_kind:     by_value
      - .offset:         8
        .size:           16
        .value_kind:     by_value
    .group_segment_fixed_size: 0
    .kernarg_segment_align: 8
    .kernarg_segment_size: 24
    .language:       OpenCL C
    .language_version:
      - 2
      - 0
    .max_flat_workgroup_size: 256
    .name:           _ZN2at6native29vectorized_elementwise_kernelILi2EZZZNS0_17rsqrt_kernel_cudaERNS_18TensorIteratorBaseEENKUlvE_clEvENKUlvE1_clEvEUlN3c107complexINS6_4HalfEEEE_St5arrayIPcLm2EEEEviT0_T1_
    .private_segment_fixed_size: 0
    .sgpr_count:     34
    .sgpr_spill_count: 0
    .symbol:         _ZN2at6native29vectorized_elementwise_kernelILi2EZZZNS0_17rsqrt_kernel_cudaERNS_18TensorIteratorBaseEENKUlvE_clEvENKUlvE1_clEvEUlN3c107complexINS6_4HalfEEEE_St5arrayIPcLm2EEEEviT0_T1_.kd
    .uniform_work_group_size: 1
    .uses_dynamic_stack: false
    .vgpr_count:     16
    .vgpr_spill_count: 0
    .wavefront_size: 64
  - .agpr_count:     0
    .args:
      - .offset:         0
        .size:           4
        .value_kind:     by_value
      - .offset:         4
        .size:           1
        .value_kind:     by_value
      - .offset:         8
        .size:           16
        .value_kind:     by_value
      - .offset:         24
        .size:           1
        .value_kind:     by_value
      - .offset:         25
        .size:           1
        .value_kind:     by_value
      - .offset:         26
        .size:           1
        .value_kind:     by_value
      - .offset:         27
        .size:           1
        .value_kind:     by_value
    .group_segment_fixed_size: 0
    .kernarg_segment_align: 8
    .kernarg_segment_size: 28
    .language:       OpenCL C
    .language_version:
      - 2
      - 0
    .max_flat_workgroup_size: 256
    .name:           _ZN2at6native27unrolled_elementwise_kernelIZZZNS0_17rsqrt_kernel_cudaERNS_18TensorIteratorBaseEENKUlvE_clEvENKUlvE1_clEvEUlN3c107complexINS6_4HalfEEEE_St5arrayIPcLm2EELi4E23TrivialOffsetCalculatorILi1EjESF_NS0_6memory15LoadWithoutCastENSG_16StoreWithoutCastEEEviT_T0_T2_T3_T4_T5_
    .private_segment_fixed_size: 0
    .sgpr_count:     32
    .sgpr_spill_count: 0
    .symbol:         _ZN2at6native27unrolled_elementwise_kernelIZZZNS0_17rsqrt_kernel_cudaERNS_18TensorIteratorBaseEENKUlvE_clEvENKUlvE1_clEvEUlN3c107complexINS6_4HalfEEEE_St5arrayIPcLm2EELi4E23TrivialOffsetCalculatorILi1EjESF_NS0_6memory15LoadWithoutCastENSG_16StoreWithoutCastEEEviT_T0_T2_T3_T4_T5_.kd
    .uniform_work_group_size: 1
    .uses_dynamic_stack: false
    .vgpr_count:     15
    .vgpr_spill_count: 0
    .wavefront_size: 64
  - .agpr_count:     0
    .args:
      - .offset:         0
        .size:           4
        .value_kind:     by_value
      - .offset:         8
        .size:           352
        .value_kind:     by_value
    .group_segment_fixed_size: 0
    .kernarg_segment_align: 8
    .kernarg_segment_size: 360
    .language:       OpenCL C
    .language_version:
      - 2
      - 0
    .max_flat_workgroup_size: 128
    .name:           _ZN2at6native32elementwise_kernel_manual_unrollILi128ELi4EZNS0_22gpu_kernel_impl_nocastIZZZNS0_17rsqrt_kernel_cudaERNS_18TensorIteratorBaseEENKUlvE_clEvENKUlvE1_clEvEUlN3c107complexINS7_4HalfEEEE_EEvS4_RKT_EUlibE_EEviT1_
    .private_segment_fixed_size: 0
    .sgpr_count:     66
    .sgpr_spill_count: 0
    .symbol:         _ZN2at6native32elementwise_kernel_manual_unrollILi128ELi4EZNS0_22gpu_kernel_impl_nocastIZZZNS0_17rsqrt_kernel_cudaERNS_18TensorIteratorBaseEENKUlvE_clEvENKUlvE1_clEvEUlN3c107complexINS7_4HalfEEEE_EEvS4_RKT_EUlibE_EEviT1_.kd
    .uniform_work_group_size: 1
    .uses_dynamic_stack: false
    .vgpr_count:     20
    .vgpr_spill_count: 0
    .wavefront_size: 64
  - .agpr_count:     0
    .args:
      - .offset:         0
        .size:           4
        .value_kind:     by_value
      - .offset:         8
        .size:           32
        .value_kind:     by_value
    .group_segment_fixed_size: 0
    .kernarg_segment_align: 8
    .kernarg_segment_size: 40
    .language:       OpenCL C
    .language_version:
      - 2
      - 0
    .max_flat_workgroup_size: 128
    .name:           _ZN2at6native32elementwise_kernel_manual_unrollILi128ELi4EZNS0_15gpu_kernel_implIZZZNS0_17rsqrt_kernel_cudaERNS_18TensorIteratorBaseEENKUlvE_clEvENKUlvE1_clEvEUlN3c107complexINS7_4HalfEEEE_EEvS4_RKT_EUlibE_EEviT1_
    .private_segment_fixed_size: 0
    .sgpr_count:     54
    .sgpr_spill_count: 0
    .symbol:         _ZN2at6native32elementwise_kernel_manual_unrollILi128ELi4EZNS0_15gpu_kernel_implIZZZNS0_17rsqrt_kernel_cudaERNS_18TensorIteratorBaseEENKUlvE_clEvENKUlvE1_clEvEUlN3c107complexINS7_4HalfEEEE_EEvS4_RKT_EUlibE_EEviT1_.kd
    .uniform_work_group_size: 1
    .uses_dynamic_stack: false
    .vgpr_count:     24
    .vgpr_spill_count: 0
    .wavefront_size: 64
  - .agpr_count:     0
    .args:
      - .offset:         0
        .size:           4
        .value_kind:     by_value
      - .offset:         8
        .size:           352
        .value_kind:     by_value
    .group_segment_fixed_size: 0
    .kernarg_segment_align: 8
    .kernarg_segment_size: 360
    .language:       OpenCL C
    .language_version:
      - 2
      - 0
    .max_flat_workgroup_size: 128
    .name:           _ZN2at6native32elementwise_kernel_manual_unrollILi128ELi4EZNS0_15gpu_kernel_implIZZZNS0_17rsqrt_kernel_cudaERNS_18TensorIteratorBaseEENKUlvE_clEvENKUlvE1_clEvEUlN3c107complexINS7_4HalfEEEE_EEvS4_RKT_EUlibE0_EEviT1_
    .private_segment_fixed_size: 0
    .sgpr_count:     84
    .sgpr_spill_count: 0
    .symbol:         _ZN2at6native32elementwise_kernel_manual_unrollILi128ELi4EZNS0_15gpu_kernel_implIZZZNS0_17rsqrt_kernel_cudaERNS_18TensorIteratorBaseEENKUlvE_clEvENKUlvE1_clEvEUlN3c107complexINS7_4HalfEEEE_EEvS4_RKT_EUlibE0_EEviT1_.kd
    .uniform_work_group_size: 1
    .uses_dynamic_stack: false
    .vgpr_count:     27
    .vgpr_spill_count: 0
    .wavefront_size: 64
  - .agpr_count:     0
    .args:
      - .offset:         0
        .size:           4
        .value_kind:     by_value
      - .offset:         4
        .size:           1
        .value_kind:     by_value
      - .offset:         8
        .size:           16
        .value_kind:     by_value
    .group_segment_fixed_size: 0
    .kernarg_segment_align: 8
    .kernarg_segment_size: 24
    .language:       OpenCL C
    .language_version:
      - 2
      - 0
    .max_flat_workgroup_size: 256
    .name:           _ZN2at6native29vectorized_elementwise_kernelILi16EZZZNS0_17rsqrt_kernel_cudaERNS_18TensorIteratorBaseEENKUlvE0_clEvENKUlvE_clEvEUldE_St5arrayIPcLm2EEEEviT0_T1_
    .private_segment_fixed_size: 0
    .sgpr_count:     17
    .sgpr_spill_count: 0
    .symbol:         _ZN2at6native29vectorized_elementwise_kernelILi16EZZZNS0_17rsqrt_kernel_cudaERNS_18TensorIteratorBaseEENKUlvE0_clEvENKUlvE_clEvEUldE_St5arrayIPcLm2EEEEviT0_T1_.kd
    .uniform_work_group_size: 1
    .uses_dynamic_stack: false
    .vgpr_count:     27
    .vgpr_spill_count: 0
    .wavefront_size: 64
  - .agpr_count:     0
    .args:
      - .offset:         0
        .size:           4
        .value_kind:     by_value
      - .offset:         4
        .size:           1
        .value_kind:     by_value
      - .offset:         8
        .size:           16
        .value_kind:     by_value
    .group_segment_fixed_size: 0
    .kernarg_segment_align: 8
    .kernarg_segment_size: 24
    .language:       OpenCL C
    .language_version:
      - 2
      - 0
    .max_flat_workgroup_size: 256
    .name:           _ZN2at6native29vectorized_elementwise_kernelILi8EZZZNS0_17rsqrt_kernel_cudaERNS_18TensorIteratorBaseEENKUlvE0_clEvENKUlvE_clEvEUldE_St5arrayIPcLm2EEEEviT0_T1_
    .private_segment_fixed_size: 0
    .sgpr_count:     17
    .sgpr_spill_count: 0
    .symbol:         _ZN2at6native29vectorized_elementwise_kernelILi8EZZZNS0_17rsqrt_kernel_cudaERNS_18TensorIteratorBaseEENKUlvE0_clEvENKUlvE_clEvEUldE_St5arrayIPcLm2EEEEviT0_T1_.kd
    .uniform_work_group_size: 1
    .uses_dynamic_stack: false
    .vgpr_count:     27
    .vgpr_spill_count: 0
    .wavefront_size: 64
  - .agpr_count:     0
    .args:
      - .offset:         0
        .size:           4
        .value_kind:     by_value
      - .offset:         4
        .size:           1
        .value_kind:     by_value
      - .offset:         8
        .size:           16
        .value_kind:     by_value
    .group_segment_fixed_size: 0
    .kernarg_segment_align: 8
    .kernarg_segment_size: 24
    .language:       OpenCL C
    .language_version:
      - 2
      - 0
    .max_flat_workgroup_size: 256
    .name:           _ZN2at6native29vectorized_elementwise_kernelILi4EZZZNS0_17rsqrt_kernel_cudaERNS_18TensorIteratorBaseEENKUlvE0_clEvENKUlvE_clEvEUldE_St5arrayIPcLm2EEEEviT0_T1_
    .private_segment_fixed_size: 0
    .sgpr_count:     17
    .sgpr_spill_count: 0
    .symbol:         _ZN2at6native29vectorized_elementwise_kernelILi4EZZZNS0_17rsqrt_kernel_cudaERNS_18TensorIteratorBaseEENKUlvE0_clEvENKUlvE_clEvEUldE_St5arrayIPcLm2EEEEviT0_T1_.kd
    .uniform_work_group_size: 1
    .uses_dynamic_stack: false
    .vgpr_count:     27
    .vgpr_spill_count: 0
    .wavefront_size: 64
  - .agpr_count:     0
    .args:
      - .offset:         0
        .size:           4
        .value_kind:     by_value
      - .offset:         4
        .size:           1
        .value_kind:     by_value
      - .offset:         8
        .size:           16
        .value_kind:     by_value
    .group_segment_fixed_size: 0
    .kernarg_segment_align: 8
    .kernarg_segment_size: 24
    .language:       OpenCL C
    .language_version:
      - 2
      - 0
    .max_flat_workgroup_size: 256
    .name:           _ZN2at6native29vectorized_elementwise_kernelILi2EZZZNS0_17rsqrt_kernel_cudaERNS_18TensorIteratorBaseEENKUlvE0_clEvENKUlvE_clEvEUldE_St5arrayIPcLm2EEEEviT0_T1_
    .private_segment_fixed_size: 0
    .sgpr_count:     17
    .sgpr_spill_count: 0
    .symbol:         _ZN2at6native29vectorized_elementwise_kernelILi2EZZZNS0_17rsqrt_kernel_cudaERNS_18TensorIteratorBaseEENKUlvE0_clEvENKUlvE_clEvEUldE_St5arrayIPcLm2EEEEviT0_T1_.kd
    .uniform_work_group_size: 1
    .uses_dynamic_stack: false
    .vgpr_count:     26
    .vgpr_spill_count: 0
    .wavefront_size: 64
  - .agpr_count:     0
    .args:
      - .offset:         0
        .size:           4
        .value_kind:     by_value
      - .offset:         4
        .size:           1
        .value_kind:     by_value
      - .offset:         8
        .size:           16
        .value_kind:     by_value
      - .offset:         24
        .size:           1
        .value_kind:     by_value
      - .offset:         25
        .size:           1
        .value_kind:     by_value
      - .offset:         26
        .size:           1
        .value_kind:     by_value
      - .offset:         27
        .size:           1
        .value_kind:     by_value
    .group_segment_fixed_size: 0
    .kernarg_segment_align: 8
    .kernarg_segment_size: 28
    .language:       OpenCL C
    .language_version:
      - 2
      - 0
    .max_flat_workgroup_size: 256
    .name:           _ZN2at6native27unrolled_elementwise_kernelIZZZNS0_17rsqrt_kernel_cudaERNS_18TensorIteratorBaseEENKUlvE0_clEvENKUlvE_clEvEUldE_St5arrayIPcLm2EELi4E23TrivialOffsetCalculatorILi1EjESB_NS0_6memory15LoadWithoutCastENSC_16StoreWithoutCastEEEviT_T0_T2_T3_T4_T5_
    .private_segment_fixed_size: 0
    .sgpr_count:     16
    .sgpr_spill_count: 0
    .symbol:         _ZN2at6native27unrolled_elementwise_kernelIZZZNS0_17rsqrt_kernel_cudaERNS_18TensorIteratorBaseEENKUlvE0_clEvENKUlvE_clEvEUldE_St5arrayIPcLm2EELi4E23TrivialOffsetCalculatorILi1EjESB_NS0_6memory15LoadWithoutCastENSC_16StoreWithoutCastEEEviT_T0_T2_T3_T4_T5_.kd
    .uniform_work_group_size: 1
    .uses_dynamic_stack: false
    .vgpr_count:     26
    .vgpr_spill_count: 0
    .wavefront_size: 64
  - .agpr_count:     0
    .args:
      - .offset:         0
        .size:           4
        .value_kind:     by_value
      - .offset:         8
        .size:           352
        .value_kind:     by_value
    .group_segment_fixed_size: 0
    .kernarg_segment_align: 8
    .kernarg_segment_size: 360
    .language:       OpenCL C
    .language_version:
      - 2
      - 0
    .max_flat_workgroup_size: 128
    .name:           _ZN2at6native32elementwise_kernel_manual_unrollILi128ELi4EZNS0_22gpu_kernel_impl_nocastIZZZNS0_17rsqrt_kernel_cudaERNS_18TensorIteratorBaseEENKUlvE0_clEvENKUlvE_clEvEUldE_EEvS4_RKT_EUlibE_EEviT1_
    .private_segment_fixed_size: 0
    .sgpr_count:     66
    .sgpr_spill_count: 0
    .symbol:         _ZN2at6native32elementwise_kernel_manual_unrollILi128ELi4EZNS0_22gpu_kernel_impl_nocastIZZZNS0_17rsqrt_kernel_cudaERNS_18TensorIteratorBaseEENKUlvE0_clEvENKUlvE_clEvEUldE_EEvS4_RKT_EUlibE_EEviT1_.kd
    .uniform_work_group_size: 1
    .uses_dynamic_stack: false
    .vgpr_count:     32
    .vgpr_spill_count: 0
    .wavefront_size: 64
  - .agpr_count:     0
    .args:
      - .offset:         0
        .size:           4
        .value_kind:     by_value
      - .offset:         8
        .size:           32
        .value_kind:     by_value
    .group_segment_fixed_size: 0
    .kernarg_segment_align: 8
    .kernarg_segment_size: 40
    .language:       OpenCL C
    .language_version:
      - 2
      - 0
    .max_flat_workgroup_size: 128
    .name:           _ZN2at6native32elementwise_kernel_manual_unrollILi128ELi4EZNS0_15gpu_kernel_implIZZZNS0_17rsqrt_kernel_cudaERNS_18TensorIteratorBaseEENKUlvE0_clEvENKUlvE_clEvEUldE_EEvS4_RKT_EUlibE_EEviT1_
    .private_segment_fixed_size: 0
    .sgpr_count:     50
    .sgpr_spill_count: 0
    .symbol:         _ZN2at6native32elementwise_kernel_manual_unrollILi128ELi4EZNS0_15gpu_kernel_implIZZZNS0_17rsqrt_kernel_cudaERNS_18TensorIteratorBaseEENKUlvE0_clEvENKUlvE_clEvEUldE_EEvS4_RKT_EUlibE_EEviT1_.kd
    .uniform_work_group_size: 1
    .uses_dynamic_stack: false
    .vgpr_count:     18
    .vgpr_spill_count: 0
    .wavefront_size: 64
  - .agpr_count:     0
    .args:
      - .offset:         0
        .size:           4
        .value_kind:     by_value
      - .offset:         8
        .size:           352
        .value_kind:     by_value
    .group_segment_fixed_size: 0
    .kernarg_segment_align: 8
    .kernarg_segment_size: 360
    .language:       OpenCL C
    .language_version:
      - 2
      - 0
    .max_flat_workgroup_size: 128
    .name:           _ZN2at6native32elementwise_kernel_manual_unrollILi128ELi4EZNS0_15gpu_kernel_implIZZZNS0_17rsqrt_kernel_cudaERNS_18TensorIteratorBaseEENKUlvE0_clEvENKUlvE_clEvEUldE_EEvS4_RKT_EUlibE0_EEviT1_
    .private_segment_fixed_size: 0
    .sgpr_count:     84
    .sgpr_spill_count: 0
    .symbol:         _ZN2at6native32elementwise_kernel_manual_unrollILi128ELi4EZNS0_15gpu_kernel_implIZZZNS0_17rsqrt_kernel_cudaERNS_18TensorIteratorBaseEENKUlvE0_clEvENKUlvE_clEvEUldE_EEvS4_RKT_EUlibE0_EEviT1_.kd
    .uniform_work_group_size: 1
    .uses_dynamic_stack: false
    .vgpr_count:     22
    .vgpr_spill_count: 0
    .wavefront_size: 64
  - .agpr_count:     0
    .args:
      - .offset:         0
        .size:           4
        .value_kind:     by_value
      - .offset:         4
        .size:           1
        .value_kind:     by_value
      - .offset:         8
        .size:           16
        .value_kind:     by_value
    .group_segment_fixed_size: 0
    .kernarg_segment_align: 8
    .kernarg_segment_size: 24
    .language:       OpenCL C
    .language_version:
      - 2
      - 0
    .max_flat_workgroup_size: 256
    .name:           _ZN2at6native29vectorized_elementwise_kernelILi16EZZZNS0_17rsqrt_kernel_cudaERNS_18TensorIteratorBaseEENKUlvE0_clEvENKUlvE0_clEvEUlfE_St5arrayIPcLm2EEEEviT0_T1_
    .private_segment_fixed_size: 0
    .sgpr_count:     17
    .sgpr_spill_count: 0
    .symbol:         _ZN2at6native29vectorized_elementwise_kernelILi16EZZZNS0_17rsqrt_kernel_cudaERNS_18TensorIteratorBaseEENKUlvE0_clEvENKUlvE0_clEvEUlfE_St5arrayIPcLm2EEEEviT0_T1_.kd
    .uniform_work_group_size: 1
    .uses_dynamic_stack: false
    .vgpr_count:     27
    .vgpr_spill_count: 0
    .wavefront_size: 64
  - .agpr_count:     0
    .args:
      - .offset:         0
        .size:           4
        .value_kind:     by_value
      - .offset:         4
        .size:           1
        .value_kind:     by_value
      - .offset:         8
        .size:           16
        .value_kind:     by_value
    .group_segment_fixed_size: 0
    .kernarg_segment_align: 8
    .kernarg_segment_size: 24
    .language:       OpenCL C
    .language_version:
      - 2
      - 0
    .max_flat_workgroup_size: 256
    .name:           _ZN2at6native29vectorized_elementwise_kernelILi8EZZZNS0_17rsqrt_kernel_cudaERNS_18TensorIteratorBaseEENKUlvE0_clEvENKUlvE0_clEvEUlfE_St5arrayIPcLm2EEEEviT0_T1_
    .private_segment_fixed_size: 0
    .sgpr_count:     17
    .sgpr_spill_count: 0
    .symbol:         _ZN2at6native29vectorized_elementwise_kernelILi8EZZZNS0_17rsqrt_kernel_cudaERNS_18TensorIteratorBaseEENKUlvE0_clEvENKUlvE0_clEvEUlfE_St5arrayIPcLm2EEEEviT0_T1_.kd
    .uniform_work_group_size: 1
    .uses_dynamic_stack: false
    .vgpr_count:     27
    .vgpr_spill_count: 0
    .wavefront_size: 64
  - .agpr_count:     0
    .args:
      - .offset:         0
        .size:           4
        .value_kind:     by_value
      - .offset:         4
        .size:           1
        .value_kind:     by_value
      - .offset:         8
        .size:           16
        .value_kind:     by_value
    .group_segment_fixed_size: 0
    .kernarg_segment_align: 8
    .kernarg_segment_size: 24
    .language:       OpenCL C
    .language_version:
      - 2
      - 0
    .max_flat_workgroup_size: 256
    .name:           _ZN2at6native29vectorized_elementwise_kernelILi4EZZZNS0_17rsqrt_kernel_cudaERNS_18TensorIteratorBaseEENKUlvE0_clEvENKUlvE0_clEvEUlfE_St5arrayIPcLm2EEEEviT0_T1_
    .private_segment_fixed_size: 0
    .sgpr_count:     17
    .sgpr_spill_count: 0
    .symbol:         _ZN2at6native29vectorized_elementwise_kernelILi4EZZZNS0_17rsqrt_kernel_cudaERNS_18TensorIteratorBaseEENKUlvE0_clEvENKUlvE0_clEvEUlfE_St5arrayIPcLm2EEEEviT0_T1_.kd
    .uniform_work_group_size: 1
    .uses_dynamic_stack: false
    .vgpr_count:     27
    .vgpr_spill_count: 0
    .wavefront_size: 64
  - .agpr_count:     0
    .args:
      - .offset:         0
        .size:           4
        .value_kind:     by_value
      - .offset:         4
        .size:           1
        .value_kind:     by_value
      - .offset:         8
        .size:           16
        .value_kind:     by_value
    .group_segment_fixed_size: 0
    .kernarg_segment_align: 8
    .kernarg_segment_size: 24
    .language:       OpenCL C
    .language_version:
      - 2
      - 0
    .max_flat_workgroup_size: 256
    .name:           _ZN2at6native29vectorized_elementwise_kernelILi2EZZZNS0_17rsqrt_kernel_cudaERNS_18TensorIteratorBaseEENKUlvE0_clEvENKUlvE0_clEvEUlfE_St5arrayIPcLm2EEEEviT0_T1_
    .private_segment_fixed_size: 0
    .sgpr_count:     17
    .sgpr_spill_count: 0
    .symbol:         _ZN2at6native29vectorized_elementwise_kernelILi2EZZZNS0_17rsqrt_kernel_cudaERNS_18TensorIteratorBaseEENKUlvE0_clEvENKUlvE0_clEvEUlfE_St5arrayIPcLm2EEEEviT0_T1_.kd
    .uniform_work_group_size: 1
    .uses_dynamic_stack: false
    .vgpr_count:     27
    .vgpr_spill_count: 0
    .wavefront_size: 64
  - .agpr_count:     0
    .args:
      - .offset:         0
        .size:           4
        .value_kind:     by_value
      - .offset:         4
        .size:           1
        .value_kind:     by_value
      - .offset:         8
        .size:           16
        .value_kind:     by_value
      - .offset:         24
        .size:           1
        .value_kind:     by_value
      - .offset:         25
        .size:           1
        .value_kind:     by_value
      - .offset:         26
        .size:           1
        .value_kind:     by_value
      - .offset:         27
        .size:           1
        .value_kind:     by_value
    .group_segment_fixed_size: 0
    .kernarg_segment_align: 8
    .kernarg_segment_size: 28
    .language:       OpenCL C
    .language_version:
      - 2
      - 0
    .max_flat_workgroup_size: 256
    .name:           _ZN2at6native27unrolled_elementwise_kernelIZZZNS0_17rsqrt_kernel_cudaERNS_18TensorIteratorBaseEENKUlvE0_clEvENKUlvE0_clEvEUlfE_St5arrayIPcLm2EELi4E23TrivialOffsetCalculatorILi1EjESB_NS0_6memory15LoadWithoutCastENSC_16StoreWithoutCastEEEviT_T0_T2_T3_T4_T5_
    .private_segment_fixed_size: 0
    .sgpr_count:     16
    .sgpr_spill_count: 0
    .symbol:         _ZN2at6native27unrolled_elementwise_kernelIZZZNS0_17rsqrt_kernel_cudaERNS_18TensorIteratorBaseEENKUlvE0_clEvENKUlvE0_clEvEUlfE_St5arrayIPcLm2EELi4E23TrivialOffsetCalculatorILi1EjESB_NS0_6memory15LoadWithoutCastENSC_16StoreWithoutCastEEEviT_T0_T2_T3_T4_T5_.kd
    .uniform_work_group_size: 1
    .uses_dynamic_stack: false
    .vgpr_count:     18
    .vgpr_spill_count: 0
    .wavefront_size: 64
  - .agpr_count:     0
    .args:
      - .offset:         0
        .size:           4
        .value_kind:     by_value
      - .offset:         8
        .size:           352
        .value_kind:     by_value
    .group_segment_fixed_size: 0
    .kernarg_segment_align: 8
    .kernarg_segment_size: 360
    .language:       OpenCL C
    .language_version:
      - 2
      - 0
    .max_flat_workgroup_size: 128
    .name:           _ZN2at6native32elementwise_kernel_manual_unrollILi128ELi4EZNS0_22gpu_kernel_impl_nocastIZZZNS0_17rsqrt_kernel_cudaERNS_18TensorIteratorBaseEENKUlvE0_clEvENKUlvE0_clEvEUlfE_EEvS4_RKT_EUlibE_EEviT1_
    .private_segment_fixed_size: 0
    .sgpr_count:     66
    .sgpr_spill_count: 0
    .symbol:         _ZN2at6native32elementwise_kernel_manual_unrollILi128ELi4EZNS0_22gpu_kernel_impl_nocastIZZZNS0_17rsqrt_kernel_cudaERNS_18TensorIteratorBaseEENKUlvE0_clEvENKUlvE0_clEvEUlfE_EEvS4_RKT_EUlibE_EEviT1_.kd
    .uniform_work_group_size: 1
    .uses_dynamic_stack: false
    .vgpr_count:     33
    .vgpr_spill_count: 0
    .wavefront_size: 64
  - .agpr_count:     0
    .args:
      - .offset:         0
        .size:           4
        .value_kind:     by_value
      - .offset:         8
        .size:           32
        .value_kind:     by_value
    .group_segment_fixed_size: 0
    .kernarg_segment_align: 8
    .kernarg_segment_size: 40
    .language:       OpenCL C
    .language_version:
      - 2
      - 0
    .max_flat_workgroup_size: 128
    .name:           _ZN2at6native32elementwise_kernel_manual_unrollILi128ELi4EZNS0_15gpu_kernel_implIZZZNS0_17rsqrt_kernel_cudaERNS_18TensorIteratorBaseEENKUlvE0_clEvENKUlvE0_clEvEUlfE_EEvS4_RKT_EUlibE_EEviT1_
    .private_segment_fixed_size: 0
    .sgpr_count:     50
    .sgpr_spill_count: 0
    .symbol:         _ZN2at6native32elementwise_kernel_manual_unrollILi128ELi4EZNS0_15gpu_kernel_implIZZZNS0_17rsqrt_kernel_cudaERNS_18TensorIteratorBaseEENKUlvE0_clEvENKUlvE0_clEvEUlfE_EEvS4_RKT_EUlibE_EEviT1_.kd
    .uniform_work_group_size: 1
    .uses_dynamic_stack: false
    .vgpr_count:     14
    .vgpr_spill_count: 0
    .wavefront_size: 64
  - .agpr_count:     0
    .args:
      - .offset:         0
        .size:           4
        .value_kind:     by_value
      - .offset:         8
        .size:           352
        .value_kind:     by_value
    .group_segment_fixed_size: 0
    .kernarg_segment_align: 8
    .kernarg_segment_size: 360
    .language:       OpenCL C
    .language_version:
      - 2
      - 0
    .max_flat_workgroup_size: 128
    .name:           _ZN2at6native32elementwise_kernel_manual_unrollILi128ELi4EZNS0_15gpu_kernel_implIZZZNS0_17rsqrt_kernel_cudaERNS_18TensorIteratorBaseEENKUlvE0_clEvENKUlvE0_clEvEUlfE_EEvS4_RKT_EUlibE0_EEviT1_
    .private_segment_fixed_size: 0
    .sgpr_count:     84
    .sgpr_spill_count: 0
    .symbol:         _ZN2at6native32elementwise_kernel_manual_unrollILi128ELi4EZNS0_15gpu_kernel_implIZZZNS0_17rsqrt_kernel_cudaERNS_18TensorIteratorBaseEENKUlvE0_clEvENKUlvE0_clEvEUlfE_EEvS4_RKT_EUlibE0_EEviT1_.kd
    .uniform_work_group_size: 1
    .uses_dynamic_stack: false
    .vgpr_count:     18
    .vgpr_spill_count: 0
    .wavefront_size: 64
  - .agpr_count:     0
    .args:
      - .offset:         0
        .size:           4
        .value_kind:     by_value
      - .offset:         4
        .size:           1
        .value_kind:     by_value
      - .offset:         8
        .size:           16
        .value_kind:     by_value
    .group_segment_fixed_size: 0
    .kernarg_segment_align: 8
    .kernarg_segment_size: 24
    .language:       OpenCL C
    .language_version:
      - 2
      - 0
    .max_flat_workgroup_size: 256
    .name:           _ZN2at6native29vectorized_elementwise_kernelILi16EZZZNS0_17rsqrt_kernel_cudaERNS_18TensorIteratorBaseEENKUlvE0_clEvENKUlvE1_clEvEUlN3c108BFloat16EE_St5arrayIPcLm2EEEEviT0_T1_
    .private_segment_fixed_size: 0
    .sgpr_count:     17
    .sgpr_spill_count: 0
    .symbol:         _ZN2at6native29vectorized_elementwise_kernelILi16EZZZNS0_17rsqrt_kernel_cudaERNS_18TensorIteratorBaseEENKUlvE0_clEvENKUlvE1_clEvEUlN3c108BFloat16EE_St5arrayIPcLm2EEEEviT0_T1_.kd
    .uniform_work_group_size: 1
    .uses_dynamic_stack: false
    .vgpr_count:     44
    .vgpr_spill_count: 0
    .wavefront_size: 64
  - .agpr_count:     0
    .args:
      - .offset:         0
        .size:           4
        .value_kind:     by_value
      - .offset:         4
        .size:           1
        .value_kind:     by_value
      - .offset:         8
        .size:           16
        .value_kind:     by_value
    .group_segment_fixed_size: 0
    .kernarg_segment_align: 8
    .kernarg_segment_size: 24
    .language:       OpenCL C
    .language_version:
      - 2
      - 0
    .max_flat_workgroup_size: 256
    .name:           _ZN2at6native29vectorized_elementwise_kernelILi8EZZZNS0_17rsqrt_kernel_cudaERNS_18TensorIteratorBaseEENKUlvE0_clEvENKUlvE1_clEvEUlN3c108BFloat16EE_St5arrayIPcLm2EEEEviT0_T1_
    .private_segment_fixed_size: 0
    .sgpr_count:     17
    .sgpr_spill_count: 0
    .symbol:         _ZN2at6native29vectorized_elementwise_kernelILi8EZZZNS0_17rsqrt_kernel_cudaERNS_18TensorIteratorBaseEENKUlvE0_clEvENKUlvE1_clEvEUlN3c108BFloat16EE_St5arrayIPcLm2EEEEviT0_T1_.kd
    .uniform_work_group_size: 1
    .uses_dynamic_stack: false
    .vgpr_count:     44
    .vgpr_spill_count: 0
    .wavefront_size: 64
  - .agpr_count:     0
    .args:
      - .offset:         0
        .size:           4
        .value_kind:     by_value
      - .offset:         4
        .size:           1
        .value_kind:     by_value
      - .offset:         8
        .size:           16
        .value_kind:     by_value
    .group_segment_fixed_size: 0
    .kernarg_segment_align: 8
    .kernarg_segment_size: 24
    .language:       OpenCL C
    .language_version:
      - 2
      - 0
    .max_flat_workgroup_size: 256
    .name:           _ZN2at6native29vectorized_elementwise_kernelILi4EZZZNS0_17rsqrt_kernel_cudaERNS_18TensorIteratorBaseEENKUlvE0_clEvENKUlvE1_clEvEUlN3c108BFloat16EE_St5arrayIPcLm2EEEEviT0_T1_
    .private_segment_fixed_size: 0
    .sgpr_count:     17
    .sgpr_spill_count: 0
    .symbol:         _ZN2at6native29vectorized_elementwise_kernelILi4EZZZNS0_17rsqrt_kernel_cudaERNS_18TensorIteratorBaseEENKUlvE0_clEvENKUlvE1_clEvEUlN3c108BFloat16EE_St5arrayIPcLm2EEEEviT0_T1_.kd
    .uniform_work_group_size: 1
    .uses_dynamic_stack: false
    .vgpr_count:     41
    .vgpr_spill_count: 0
    .wavefront_size: 64
  - .agpr_count:     0
    .args:
      - .offset:         0
        .size:           4
        .value_kind:     by_value
      - .offset:         4
        .size:           1
        .value_kind:     by_value
      - .offset:         8
        .size:           16
        .value_kind:     by_value
    .group_segment_fixed_size: 0
    .kernarg_segment_align: 8
    .kernarg_segment_size: 24
    .language:       OpenCL C
    .language_version:
      - 2
      - 0
    .max_flat_workgroup_size: 256
    .name:           _ZN2at6native29vectorized_elementwise_kernelILi2EZZZNS0_17rsqrt_kernel_cudaERNS_18TensorIteratorBaseEENKUlvE0_clEvENKUlvE1_clEvEUlN3c108BFloat16EE_St5arrayIPcLm2EEEEviT0_T1_
    .private_segment_fixed_size: 0
    .sgpr_count:     20
    .sgpr_spill_count: 0
    .symbol:         _ZN2at6native29vectorized_elementwise_kernelILi2EZZZNS0_17rsqrt_kernel_cudaERNS_18TensorIteratorBaseEENKUlvE0_clEvENKUlvE1_clEvEUlN3c108BFloat16EE_St5arrayIPcLm2EEEEviT0_T1_.kd
    .uniform_work_group_size: 1
    .uses_dynamic_stack: false
    .vgpr_count:     38
    .vgpr_spill_count: 0
    .wavefront_size: 64
  - .agpr_count:     0
    .args:
      - .offset:         0
        .size:           4
        .value_kind:     by_value
      - .offset:         4
        .size:           1
        .value_kind:     by_value
      - .offset:         8
        .size:           16
        .value_kind:     by_value
      - .offset:         24
        .size:           1
        .value_kind:     by_value
      - .offset:         25
        .size:           1
        .value_kind:     by_value
      - .offset:         26
        .size:           1
        .value_kind:     by_value
      - .offset:         27
        .size:           1
        .value_kind:     by_value
    .group_segment_fixed_size: 0
    .kernarg_segment_align: 8
    .kernarg_segment_size: 28
    .language:       OpenCL C
    .language_version:
      - 2
      - 0
    .max_flat_workgroup_size: 256
    .name:           _ZN2at6native27unrolled_elementwise_kernelIZZZNS0_17rsqrt_kernel_cudaERNS_18TensorIteratorBaseEENKUlvE0_clEvENKUlvE1_clEvEUlN3c108BFloat16EE_St5arrayIPcLm2EELi4E23TrivialOffsetCalculatorILi1EjESD_NS0_6memory15LoadWithoutCastENSE_16StoreWithoutCastEEEviT_T0_T2_T3_T4_T5_
    .private_segment_fixed_size: 0
    .sgpr_count:     16
    .sgpr_spill_count: 0
    .symbol:         _ZN2at6native27unrolled_elementwise_kernelIZZZNS0_17rsqrt_kernel_cudaERNS_18TensorIteratorBaseEENKUlvE0_clEvENKUlvE1_clEvEUlN3c108BFloat16EE_St5arrayIPcLm2EELi4E23TrivialOffsetCalculatorILi1EjESD_NS0_6memory15LoadWithoutCastENSE_16StoreWithoutCastEEEviT_T0_T2_T3_T4_T5_.kd
    .uniform_work_group_size: 1
    .uses_dynamic_stack: false
    .vgpr_count:     16
    .vgpr_spill_count: 0
    .wavefront_size: 64
  - .agpr_count:     0
    .args:
      - .offset:         0
        .size:           4
        .value_kind:     by_value
      - .offset:         8
        .size:           352
        .value_kind:     by_value
    .group_segment_fixed_size: 0
    .kernarg_segment_align: 8
    .kernarg_segment_size: 360
    .language:       OpenCL C
    .language_version:
      - 2
      - 0
    .max_flat_workgroup_size: 128
    .name:           _ZN2at6native32elementwise_kernel_manual_unrollILi128ELi8EZNS0_22gpu_kernel_impl_nocastIZZZNS0_17rsqrt_kernel_cudaERNS_18TensorIteratorBaseEENKUlvE0_clEvENKUlvE1_clEvEUlN3c108BFloat16EE_EEvS4_RKT_EUlibE_EEviT1_
    .private_segment_fixed_size: 0
    .sgpr_count:     66
    .sgpr_spill_count: 0
    .symbol:         _ZN2at6native32elementwise_kernel_manual_unrollILi128ELi8EZNS0_22gpu_kernel_impl_nocastIZZZNS0_17rsqrt_kernel_cudaERNS_18TensorIteratorBaseEENKUlvE0_clEvENKUlvE1_clEvEUlN3c108BFloat16EE_EEvS4_RKT_EUlibE_EEviT1_.kd
    .uniform_work_group_size: 1
    .uses_dynamic_stack: false
    .vgpr_count:     50
    .vgpr_spill_count: 0
    .wavefront_size: 64
  - .agpr_count:     0
    .args:
      - .offset:         0
        .size:           4
        .value_kind:     by_value
      - .offset:         8
        .size:           32
        .value_kind:     by_value
    .group_segment_fixed_size: 0
    .kernarg_segment_align: 8
    .kernarg_segment_size: 40
    .language:       OpenCL C
    .language_version:
      - 2
      - 0
    .max_flat_workgroup_size: 128
    .name:           _ZN2at6native32elementwise_kernel_manual_unrollILi128ELi4EZNS0_15gpu_kernel_implIZZZNS0_17rsqrt_kernel_cudaERNS_18TensorIteratorBaseEENKUlvE0_clEvENKUlvE1_clEvEUlN3c108BFloat16EE_EEvS4_RKT_EUlibE_EEviT1_
    .private_segment_fixed_size: 0
    .sgpr_count:     50
    .sgpr_spill_count: 0
    .symbol:         _ZN2at6native32elementwise_kernel_manual_unrollILi128ELi4EZNS0_15gpu_kernel_implIZZZNS0_17rsqrt_kernel_cudaERNS_18TensorIteratorBaseEENKUlvE0_clEvENKUlvE1_clEvEUlN3c108BFloat16EE_EEvS4_RKT_EUlibE_EEviT1_.kd
    .uniform_work_group_size: 1
    .uses_dynamic_stack: false
    .vgpr_count:     14
    .vgpr_spill_count: 0
    .wavefront_size: 64
  - .agpr_count:     0
    .args:
      - .offset:         0
        .size:           4
        .value_kind:     by_value
      - .offset:         8
        .size:           352
        .value_kind:     by_value
    .group_segment_fixed_size: 0
    .kernarg_segment_align: 8
    .kernarg_segment_size: 360
    .language:       OpenCL C
    .language_version:
      - 2
      - 0
    .max_flat_workgroup_size: 128
    .name:           _ZN2at6native32elementwise_kernel_manual_unrollILi128ELi4EZNS0_15gpu_kernel_implIZZZNS0_17rsqrt_kernel_cudaERNS_18TensorIteratorBaseEENKUlvE0_clEvENKUlvE1_clEvEUlN3c108BFloat16EE_EEvS4_RKT_EUlibE0_EEviT1_
    .private_segment_fixed_size: 0
    .sgpr_count:     84
    .sgpr_spill_count: 0
    .symbol:         _ZN2at6native32elementwise_kernel_manual_unrollILi128ELi4EZNS0_15gpu_kernel_implIZZZNS0_17rsqrt_kernel_cudaERNS_18TensorIteratorBaseEENKUlvE0_clEvENKUlvE1_clEvEUlN3c108BFloat16EE_EEvS4_RKT_EUlibE0_EEviT1_.kd
    .uniform_work_group_size: 1
    .uses_dynamic_stack: false
    .vgpr_count:     18
    .vgpr_spill_count: 0
    .wavefront_size: 64
  - .agpr_count:     0
    .args:
      - .offset:         0
        .size:           4
        .value_kind:     by_value
      - .offset:         4
        .size:           1
        .value_kind:     by_value
      - .offset:         8
        .size:           16
        .value_kind:     by_value
    .group_segment_fixed_size: 0
    .kernarg_segment_align: 8
    .kernarg_segment_size: 24
    .language:       OpenCL C
    .language_version:
      - 2
      - 0
    .max_flat_workgroup_size: 256
    .name:           _ZN2at6native29vectorized_elementwise_kernelILi16EZZZNS0_17rsqrt_kernel_cudaERNS_18TensorIteratorBaseEENKUlvE0_clEvENKUlvE2_clEvEUlN3c104HalfEE_St5arrayIPcLm2EEEEviT0_T1_
    .private_segment_fixed_size: 0
    .sgpr_count:     20
    .sgpr_spill_count: 0
    .symbol:         _ZN2at6native29vectorized_elementwise_kernelILi16EZZZNS0_17rsqrt_kernel_cudaERNS_18TensorIteratorBaseEENKUlvE0_clEvENKUlvE2_clEvEUlN3c104HalfEE_St5arrayIPcLm2EEEEviT0_T1_.kd
    .uniform_work_group_size: 1
    .uses_dynamic_stack: false
    .vgpr_count:     27
    .vgpr_spill_count: 0
    .wavefront_size: 64
  - .agpr_count:     0
    .args:
      - .offset:         0
        .size:           4
        .value_kind:     by_value
      - .offset:         4
        .size:           1
        .value_kind:     by_value
      - .offset:         8
        .size:           16
        .value_kind:     by_value
    .group_segment_fixed_size: 0
    .kernarg_segment_align: 8
    .kernarg_segment_size: 24
    .language:       OpenCL C
    .language_version:
      - 2
      - 0
    .max_flat_workgroup_size: 256
    .name:           _ZN2at6native29vectorized_elementwise_kernelILi8EZZZNS0_17rsqrt_kernel_cudaERNS_18TensorIteratorBaseEENKUlvE0_clEvENKUlvE2_clEvEUlN3c104HalfEE_St5arrayIPcLm2EEEEviT0_T1_
    .private_segment_fixed_size: 0
    .sgpr_count:     20
    .sgpr_spill_count: 0
    .symbol:         _ZN2at6native29vectorized_elementwise_kernelILi8EZZZNS0_17rsqrt_kernel_cudaERNS_18TensorIteratorBaseEENKUlvE0_clEvENKUlvE2_clEvEUlN3c104HalfEE_St5arrayIPcLm2EEEEviT0_T1_.kd
    .uniform_work_group_size: 1
    .uses_dynamic_stack: false
    .vgpr_count:     27
    .vgpr_spill_count: 0
    .wavefront_size: 64
  - .agpr_count:     0
    .args:
      - .offset:         0
        .size:           4
        .value_kind:     by_value
      - .offset:         4
        .size:           1
        .value_kind:     by_value
      - .offset:         8
        .size:           16
        .value_kind:     by_value
    .group_segment_fixed_size: 0
    .kernarg_segment_align: 8
    .kernarg_segment_size: 24
    .language:       OpenCL C
    .language_version:
      - 2
      - 0
    .max_flat_workgroup_size: 256
    .name:           _ZN2at6native29vectorized_elementwise_kernelILi4EZZZNS0_17rsqrt_kernel_cudaERNS_18TensorIteratorBaseEENKUlvE0_clEvENKUlvE2_clEvEUlN3c104HalfEE_St5arrayIPcLm2EEEEviT0_T1_
    .private_segment_fixed_size: 0
    .sgpr_count:     20
    .sgpr_spill_count: 0
    .symbol:         _ZN2at6native29vectorized_elementwise_kernelILi4EZZZNS0_17rsqrt_kernel_cudaERNS_18TensorIteratorBaseEENKUlvE0_clEvENKUlvE2_clEvEUlN3c104HalfEE_St5arrayIPcLm2EEEEviT0_T1_.kd
    .uniform_work_group_size: 1
    .uses_dynamic_stack: false
    .vgpr_count:     27
    .vgpr_spill_count: 0
    .wavefront_size: 64
  - .agpr_count:     0
    .args:
      - .offset:         0
        .size:           4
        .value_kind:     by_value
      - .offset:         4
        .size:           1
        .value_kind:     by_value
      - .offset:         8
        .size:           16
        .value_kind:     by_value
    .group_segment_fixed_size: 0
    .kernarg_segment_align: 8
    .kernarg_segment_size: 24
    .language:       OpenCL C
    .language_version:
      - 2
      - 0
    .max_flat_workgroup_size: 256
    .name:           _ZN2at6native29vectorized_elementwise_kernelILi2EZZZNS0_17rsqrt_kernel_cudaERNS_18TensorIteratorBaseEENKUlvE0_clEvENKUlvE2_clEvEUlN3c104HalfEE_St5arrayIPcLm2EEEEviT0_T1_
    .private_segment_fixed_size: 0
    .sgpr_count:     20
    .sgpr_spill_count: 0
    .symbol:         _ZN2at6native29vectorized_elementwise_kernelILi2EZZZNS0_17rsqrt_kernel_cudaERNS_18TensorIteratorBaseEENKUlvE0_clEvENKUlvE2_clEvEUlN3c104HalfEE_St5arrayIPcLm2EEEEviT0_T1_.kd
    .uniform_work_group_size: 1
    .uses_dynamic_stack: false
    .vgpr_count:     28
    .vgpr_spill_count: 0
    .wavefront_size: 64
  - .agpr_count:     0
    .args:
      - .offset:         0
        .size:           4
        .value_kind:     by_value
      - .offset:         4
        .size:           1
        .value_kind:     by_value
      - .offset:         8
        .size:           16
        .value_kind:     by_value
      - .offset:         24
        .size:           1
        .value_kind:     by_value
      - .offset:         25
        .size:           1
        .value_kind:     by_value
      - .offset:         26
        .size:           1
        .value_kind:     by_value
      - .offset:         27
        .size:           1
        .value_kind:     by_value
    .group_segment_fixed_size: 0
    .kernarg_segment_align: 8
    .kernarg_segment_size: 28
    .language:       OpenCL C
    .language_version:
      - 2
      - 0
    .max_flat_workgroup_size: 256
    .name:           _ZN2at6native27unrolled_elementwise_kernelIZZZNS0_17rsqrt_kernel_cudaERNS_18TensorIteratorBaseEENKUlvE0_clEvENKUlvE2_clEvEUlN3c104HalfEE_St5arrayIPcLm2EELi4E23TrivialOffsetCalculatorILi1EjESD_NS0_6memory15LoadWithoutCastENSE_16StoreWithoutCastEEEviT_T0_T2_T3_T4_T5_
    .private_segment_fixed_size: 0
    .sgpr_count:     16
    .sgpr_spill_count: 0
    .symbol:         _ZN2at6native27unrolled_elementwise_kernelIZZZNS0_17rsqrt_kernel_cudaERNS_18TensorIteratorBaseEENKUlvE0_clEvENKUlvE2_clEvEUlN3c104HalfEE_St5arrayIPcLm2EELi4E23TrivialOffsetCalculatorILi1EjESD_NS0_6memory15LoadWithoutCastENSE_16StoreWithoutCastEEEviT_T0_T2_T3_T4_T5_.kd
    .uniform_work_group_size: 1
    .uses_dynamic_stack: false
    .vgpr_count:     16
    .vgpr_spill_count: 0
    .wavefront_size: 64
  - .agpr_count:     0
    .args:
      - .offset:         0
        .size:           4
        .value_kind:     by_value
      - .offset:         8
        .size:           352
        .value_kind:     by_value
    .group_segment_fixed_size: 0
    .kernarg_segment_align: 8
    .kernarg_segment_size: 360
    .language:       OpenCL C
    .language_version:
      - 2
      - 0
    .max_flat_workgroup_size: 128
    .name:           _ZN2at6native32elementwise_kernel_manual_unrollILi128ELi8EZNS0_22gpu_kernel_impl_nocastIZZZNS0_17rsqrt_kernel_cudaERNS_18TensorIteratorBaseEENKUlvE0_clEvENKUlvE2_clEvEUlN3c104HalfEE_EEvS4_RKT_EUlibE_EEviT1_
    .private_segment_fixed_size: 0
    .sgpr_count:     66
    .sgpr_spill_count: 0
    .symbol:         _ZN2at6native32elementwise_kernel_manual_unrollILi128ELi8EZNS0_22gpu_kernel_impl_nocastIZZZNS0_17rsqrt_kernel_cudaERNS_18TensorIteratorBaseEENKUlvE0_clEvENKUlvE2_clEvEUlN3c104HalfEE_EEvS4_RKT_EUlibE_EEviT1_.kd
    .uniform_work_group_size: 1
    .uses_dynamic_stack: false
    .vgpr_count:     40
    .vgpr_spill_count: 0
    .wavefront_size: 64
  - .agpr_count:     0
    .args:
      - .offset:         0
        .size:           4
        .value_kind:     by_value
      - .offset:         8
        .size:           32
        .value_kind:     by_value
    .group_segment_fixed_size: 0
    .kernarg_segment_align: 8
    .kernarg_segment_size: 40
    .language:       OpenCL C
    .language_version:
      - 2
      - 0
    .max_flat_workgroup_size: 128
    .name:           _ZN2at6native32elementwise_kernel_manual_unrollILi128ELi4EZNS0_15gpu_kernel_implIZZZNS0_17rsqrt_kernel_cudaERNS_18TensorIteratorBaseEENKUlvE0_clEvENKUlvE2_clEvEUlN3c104HalfEE_EEvS4_RKT_EUlibE_EEviT1_
    .private_segment_fixed_size: 0
    .sgpr_count:     50
    .sgpr_spill_count: 0
    .symbol:         _ZN2at6native32elementwise_kernel_manual_unrollILi128ELi4EZNS0_15gpu_kernel_implIZZZNS0_17rsqrt_kernel_cudaERNS_18TensorIteratorBaseEENKUlvE0_clEvENKUlvE2_clEvEUlN3c104HalfEE_EEvS4_RKT_EUlibE_EEviT1_.kd
    .uniform_work_group_size: 1
    .uses_dynamic_stack: false
    .vgpr_count:     14
    .vgpr_spill_count: 0
    .wavefront_size: 64
  - .agpr_count:     0
    .args:
      - .offset:         0
        .size:           4
        .value_kind:     by_value
      - .offset:         8
        .size:           352
        .value_kind:     by_value
    .group_segment_fixed_size: 0
    .kernarg_segment_align: 8
    .kernarg_segment_size: 360
    .language:       OpenCL C
    .language_version:
      - 2
      - 0
    .max_flat_workgroup_size: 128
    .name:           _ZN2at6native32elementwise_kernel_manual_unrollILi128ELi4EZNS0_15gpu_kernel_implIZZZNS0_17rsqrt_kernel_cudaERNS_18TensorIteratorBaseEENKUlvE0_clEvENKUlvE2_clEvEUlN3c104HalfEE_EEvS4_RKT_EUlibE0_EEviT1_
    .private_segment_fixed_size: 0
    .sgpr_count:     84
    .sgpr_spill_count: 0
    .symbol:         _ZN2at6native32elementwise_kernel_manual_unrollILi128ELi4EZNS0_15gpu_kernel_implIZZZNS0_17rsqrt_kernel_cudaERNS_18TensorIteratorBaseEENKUlvE0_clEvENKUlvE2_clEvEUlN3c104HalfEE_EEvS4_RKT_EUlibE0_EEviT1_.kd
    .uniform_work_group_size: 1
    .uses_dynamic_stack: false
    .vgpr_count:     18
    .vgpr_spill_count: 0
    .wavefront_size: 64
  - .agpr_count:     0
    .args:
      - .offset:         0
        .size:           4
        .value_kind:     by_value
      - .offset:         4
        .size:           1
        .value_kind:     by_value
      - .offset:         8
        .size:           16
        .value_kind:     by_value
    .group_segment_fixed_size: 0
    .kernarg_segment_align: 8
    .kernarg_segment_size: 24
    .language:       OpenCL C
    .language_version:
      - 2
      - 0
    .max_flat_workgroup_size: 256
    .name:           _ZN2at6native29vectorized_elementwise_kernelILi16EZZZNS0_16sqrt_kernel_cudaERNS_18TensorIteratorBaseEENKUlvE_clEvENKUlvE_clEvEUlN3c107complexIdEEE_St5arrayIPcLm2EEEEviT0_T1_
    .private_segment_fixed_size: 0
    .sgpr_count:     34
    .sgpr_spill_count: 0
    .symbol:         _ZN2at6native29vectorized_elementwise_kernelILi16EZZZNS0_16sqrt_kernel_cudaERNS_18TensorIteratorBaseEENKUlvE_clEvENKUlvE_clEvEUlN3c107complexIdEEE_St5arrayIPcLm2EEEEviT0_T1_.kd
    .uniform_work_group_size: 1
    .uses_dynamic_stack: false
    .vgpr_count:     32
    .vgpr_spill_count: 0
    .wavefront_size: 64
  - .agpr_count:     0
    .args:
      - .offset:         0
        .size:           4
        .value_kind:     by_value
      - .offset:         4
        .size:           1
        .value_kind:     by_value
      - .offset:         8
        .size:           16
        .value_kind:     by_value
    .group_segment_fixed_size: 0
    .kernarg_segment_align: 8
    .kernarg_segment_size: 24
    .language:       OpenCL C
    .language_version:
      - 2
      - 0
    .max_flat_workgroup_size: 256
    .name:           _ZN2at6native29vectorized_elementwise_kernelILi8EZZZNS0_16sqrt_kernel_cudaERNS_18TensorIteratorBaseEENKUlvE_clEvENKUlvE_clEvEUlN3c107complexIdEEE_St5arrayIPcLm2EEEEviT0_T1_
    .private_segment_fixed_size: 0
    .sgpr_count:     34
    .sgpr_spill_count: 0
    .symbol:         _ZN2at6native29vectorized_elementwise_kernelILi8EZZZNS0_16sqrt_kernel_cudaERNS_18TensorIteratorBaseEENKUlvE_clEvENKUlvE_clEvEUlN3c107complexIdEEE_St5arrayIPcLm2EEEEviT0_T1_.kd
    .uniform_work_group_size: 1
    .uses_dynamic_stack: false
    .vgpr_count:     32
    .vgpr_spill_count: 0
    .wavefront_size: 64
  - .agpr_count:     0
    .args:
      - .offset:         0
        .size:           4
        .value_kind:     by_value
      - .offset:         4
        .size:           1
        .value_kind:     by_value
      - .offset:         8
        .size:           16
        .value_kind:     by_value
    .group_segment_fixed_size: 0
    .kernarg_segment_align: 8
    .kernarg_segment_size: 24
    .language:       OpenCL C
    .language_version:
      - 2
      - 0
    .max_flat_workgroup_size: 256
    .name:           _ZN2at6native29vectorized_elementwise_kernelILi4EZZZNS0_16sqrt_kernel_cudaERNS_18TensorIteratorBaseEENKUlvE_clEvENKUlvE_clEvEUlN3c107complexIdEEE_St5arrayIPcLm2EEEEviT0_T1_
    .private_segment_fixed_size: 0
    .sgpr_count:     34
    .sgpr_spill_count: 0
    .symbol:         _ZN2at6native29vectorized_elementwise_kernelILi4EZZZNS0_16sqrt_kernel_cudaERNS_18TensorIteratorBaseEENKUlvE_clEvENKUlvE_clEvEUlN3c107complexIdEEE_St5arrayIPcLm2EEEEviT0_T1_.kd
    .uniform_work_group_size: 1
    .uses_dynamic_stack: false
    .vgpr_count:     32
    .vgpr_spill_count: 0
    .wavefront_size: 64
  - .agpr_count:     0
    .args:
      - .offset:         0
        .size:           4
        .value_kind:     by_value
      - .offset:         4
        .size:           1
        .value_kind:     by_value
      - .offset:         8
        .size:           16
        .value_kind:     by_value
    .group_segment_fixed_size: 0
    .kernarg_segment_align: 8
    .kernarg_segment_size: 24
    .language:       OpenCL C
    .language_version:
      - 2
      - 0
    .max_flat_workgroup_size: 256
    .name:           _ZN2at6native29vectorized_elementwise_kernelILi2EZZZNS0_16sqrt_kernel_cudaERNS_18TensorIteratorBaseEENKUlvE_clEvENKUlvE_clEvEUlN3c107complexIdEEE_St5arrayIPcLm2EEEEviT0_T1_
    .private_segment_fixed_size: 0
    .sgpr_count:     34
    .sgpr_spill_count: 0
    .symbol:         _ZN2at6native29vectorized_elementwise_kernelILi2EZZZNS0_16sqrt_kernel_cudaERNS_18TensorIteratorBaseEENKUlvE_clEvENKUlvE_clEvEUlN3c107complexIdEEE_St5arrayIPcLm2EEEEviT0_T1_.kd
    .uniform_work_group_size: 1
    .uses_dynamic_stack: false
    .vgpr_count:     32
    .vgpr_spill_count: 0
    .wavefront_size: 64
  - .agpr_count:     0
    .args:
      - .offset:         0
        .size:           4
        .value_kind:     by_value
      - .offset:         4
        .size:           1
        .value_kind:     by_value
      - .offset:         8
        .size:           16
        .value_kind:     by_value
      - .offset:         24
        .size:           1
        .value_kind:     by_value
      - .offset:         25
        .size:           1
        .value_kind:     by_value
      - .offset:         26
        .size:           1
        .value_kind:     by_value
      - .offset:         27
        .size:           1
        .value_kind:     by_value
    .group_segment_fixed_size: 0
    .kernarg_segment_align: 8
    .kernarg_segment_size: 28
    .language:       OpenCL C
    .language_version:
      - 2
      - 0
    .max_flat_workgroup_size: 256
    .name:           _ZN2at6native27unrolled_elementwise_kernelIZZZNS0_16sqrt_kernel_cudaERNS_18TensorIteratorBaseEENKUlvE_clEvENKUlvE_clEvEUlN3c107complexIdEEE_St5arrayIPcLm2EELi4E23TrivialOffsetCalculatorILi1EjESE_NS0_6memory15LoadWithoutCastENSF_16StoreWithoutCastEEEviT_T0_T2_T3_T4_T5_
    .private_segment_fixed_size: 0
    .sgpr_count:     32
    .sgpr_spill_count: 0
    .symbol:         _ZN2at6native27unrolled_elementwise_kernelIZZZNS0_16sqrt_kernel_cudaERNS_18TensorIteratorBaseEENKUlvE_clEvENKUlvE_clEvEUlN3c107complexIdEEE_St5arrayIPcLm2EELi4E23TrivialOffsetCalculatorILi1EjESE_NS0_6memory15LoadWithoutCastENSF_16StoreWithoutCastEEEviT_T0_T2_T3_T4_T5_.kd
    .uniform_work_group_size: 1
    .uses_dynamic_stack: false
    .vgpr_count:     32
    .vgpr_spill_count: 0
    .wavefront_size: 64
  - .agpr_count:     0
    .args:
      - .offset:         0
        .size:           4
        .value_kind:     by_value
      - .offset:         8
        .size:           352
        .value_kind:     by_value
    .group_segment_fixed_size: 0
    .kernarg_segment_align: 8
    .kernarg_segment_size: 360
    .language:       OpenCL C
    .language_version:
      - 2
      - 0
    .max_flat_workgroup_size: 128
    .name:           _ZN2at6native32elementwise_kernel_manual_unrollILi128ELi4EZNS0_22gpu_kernel_impl_nocastIZZZNS0_16sqrt_kernel_cudaERNS_18TensorIteratorBaseEENKUlvE_clEvENKUlvE_clEvEUlN3c107complexIdEEE_EEvS4_RKT_EUlibE_EEviT1_
    .private_segment_fixed_size: 0
    .sgpr_count:     66
    .sgpr_spill_count: 0
    .symbol:         _ZN2at6native32elementwise_kernel_manual_unrollILi128ELi4EZNS0_22gpu_kernel_impl_nocastIZZZNS0_16sqrt_kernel_cudaERNS_18TensorIteratorBaseEENKUlvE_clEvENKUlvE_clEvEUlN3c107complexIdEEE_EEvS4_RKT_EUlibE_EEviT1_.kd
    .uniform_work_group_size: 1
    .uses_dynamic_stack: false
    .vgpr_count:     34
    .vgpr_spill_count: 0
    .wavefront_size: 64
  - .agpr_count:     0
    .args:
      - .offset:         0
        .size:           4
        .value_kind:     by_value
      - .offset:         8
        .size:           32
        .value_kind:     by_value
    .group_segment_fixed_size: 0
    .kernarg_segment_align: 8
    .kernarg_segment_size: 40
    .language:       OpenCL C
    .language_version:
      - 2
      - 0
    .max_flat_workgroup_size: 128
    .name:           _ZN2at6native32elementwise_kernel_manual_unrollILi128ELi4EZNS0_15gpu_kernel_implIZZZNS0_16sqrt_kernel_cudaERNS_18TensorIteratorBaseEENKUlvE_clEvENKUlvE_clEvEUlN3c107complexIdEEE_EEvS4_RKT_EUlibE_EEviT1_
    .private_segment_fixed_size: 0
    .sgpr_count:     54
    .sgpr_spill_count: 0
    .symbol:         _ZN2at6native32elementwise_kernel_manual_unrollILi128ELi4EZNS0_15gpu_kernel_implIZZZNS0_16sqrt_kernel_cudaERNS_18TensorIteratorBaseEENKUlvE_clEvENKUlvE_clEvEUlN3c107complexIdEEE_EEvS4_RKT_EUlibE_EEviT1_.kd
    .uniform_work_group_size: 1
    .uses_dynamic_stack: false
    .vgpr_count:     28
    .vgpr_spill_count: 0
    .wavefront_size: 64
  - .agpr_count:     0
    .args:
      - .offset:         0
        .size:           4
        .value_kind:     by_value
      - .offset:         8
        .size:           352
        .value_kind:     by_value
    .group_segment_fixed_size: 0
    .kernarg_segment_align: 8
    .kernarg_segment_size: 360
    .language:       OpenCL C
    .language_version:
      - 2
      - 0
    .max_flat_workgroup_size: 128
    .name:           _ZN2at6native32elementwise_kernel_manual_unrollILi128ELi4EZNS0_15gpu_kernel_implIZZZNS0_16sqrt_kernel_cudaERNS_18TensorIteratorBaseEENKUlvE_clEvENKUlvE_clEvEUlN3c107complexIdEEE_EEvS4_RKT_EUlibE0_EEviT1_
    .private_segment_fixed_size: 0
    .sgpr_count:     84
    .sgpr_spill_count: 0
    .symbol:         _ZN2at6native32elementwise_kernel_manual_unrollILi128ELi4EZNS0_15gpu_kernel_implIZZZNS0_16sqrt_kernel_cudaERNS_18TensorIteratorBaseEENKUlvE_clEvENKUlvE_clEvEUlN3c107complexIdEEE_EEvS4_RKT_EUlibE0_EEviT1_.kd
    .uniform_work_group_size: 1
    .uses_dynamic_stack: false
    .vgpr_count:     34
    .vgpr_spill_count: 0
    .wavefront_size: 64
  - .agpr_count:     0
    .args:
      - .offset:         0
        .size:           4
        .value_kind:     by_value
      - .offset:         4
        .size:           1
        .value_kind:     by_value
      - .offset:         8
        .size:           16
        .value_kind:     by_value
    .group_segment_fixed_size: 0
    .kernarg_segment_align: 8
    .kernarg_segment_size: 24
    .language:       OpenCL C
    .language_version:
      - 2
      - 0
    .max_flat_workgroup_size: 256
    .name:           _ZN2at6native29vectorized_elementwise_kernelILi16EZZZNS0_16sqrt_kernel_cudaERNS_18TensorIteratorBaseEENKUlvE_clEvENKUlvE0_clEvEUlN3c107complexIfEEE_St5arrayIPcLm2EEEEviT0_T1_
    .private_segment_fixed_size: 0
    .sgpr_count:     34
    .sgpr_spill_count: 0
    .symbol:         _ZN2at6native29vectorized_elementwise_kernelILi16EZZZNS0_16sqrt_kernel_cudaERNS_18TensorIteratorBaseEENKUlvE_clEvENKUlvE0_clEvEUlN3c107complexIfEEE_St5arrayIPcLm2EEEEviT0_T1_.kd
    .uniform_work_group_size: 1
    .uses_dynamic_stack: false
    .vgpr_count:     19
    .vgpr_spill_count: 0
    .wavefront_size: 64
  - .agpr_count:     0
    .args:
      - .offset:         0
        .size:           4
        .value_kind:     by_value
      - .offset:         4
        .size:           1
        .value_kind:     by_value
      - .offset:         8
        .size:           16
        .value_kind:     by_value
    .group_segment_fixed_size: 0
    .kernarg_segment_align: 8
    .kernarg_segment_size: 24
    .language:       OpenCL C
    .language_version:
      - 2
      - 0
    .max_flat_workgroup_size: 256
    .name:           _ZN2at6native29vectorized_elementwise_kernelILi8EZZZNS0_16sqrt_kernel_cudaERNS_18TensorIteratorBaseEENKUlvE_clEvENKUlvE0_clEvEUlN3c107complexIfEEE_St5arrayIPcLm2EEEEviT0_T1_
    .private_segment_fixed_size: 0
    .sgpr_count:     34
    .sgpr_spill_count: 0
    .symbol:         _ZN2at6native29vectorized_elementwise_kernelILi8EZZZNS0_16sqrt_kernel_cudaERNS_18TensorIteratorBaseEENKUlvE_clEvENKUlvE0_clEvEUlN3c107complexIfEEE_St5arrayIPcLm2EEEEviT0_T1_.kd
    .uniform_work_group_size: 1
    .uses_dynamic_stack: false
    .vgpr_count:     19
    .vgpr_spill_count: 0
    .wavefront_size: 64
  - .agpr_count:     0
    .args:
      - .offset:         0
        .size:           4
        .value_kind:     by_value
      - .offset:         4
        .size:           1
        .value_kind:     by_value
      - .offset:         8
        .size:           16
        .value_kind:     by_value
    .group_segment_fixed_size: 0
    .kernarg_segment_align: 8
    .kernarg_segment_size: 24
    .language:       OpenCL C
    .language_version:
      - 2
      - 0
    .max_flat_workgroup_size: 256
    .name:           _ZN2at6native29vectorized_elementwise_kernelILi4EZZZNS0_16sqrt_kernel_cudaERNS_18TensorIteratorBaseEENKUlvE_clEvENKUlvE0_clEvEUlN3c107complexIfEEE_St5arrayIPcLm2EEEEviT0_T1_
    .private_segment_fixed_size: 0
    .sgpr_count:     34
    .sgpr_spill_count: 0
    .symbol:         _ZN2at6native29vectorized_elementwise_kernelILi4EZZZNS0_16sqrt_kernel_cudaERNS_18TensorIteratorBaseEENKUlvE_clEvENKUlvE0_clEvEUlN3c107complexIfEEE_St5arrayIPcLm2EEEEviT0_T1_.kd
    .uniform_work_group_size: 1
    .uses_dynamic_stack: false
    .vgpr_count:     19
    .vgpr_spill_count: 0
    .wavefront_size: 64
  - .agpr_count:     0
    .args:
      - .offset:         0
        .size:           4
        .value_kind:     by_value
      - .offset:         4
        .size:           1
        .value_kind:     by_value
      - .offset:         8
        .size:           16
        .value_kind:     by_value
    .group_segment_fixed_size: 0
    .kernarg_segment_align: 8
    .kernarg_segment_size: 24
    .language:       OpenCL C
    .language_version:
      - 2
      - 0
    .max_flat_workgroup_size: 256
    .name:           _ZN2at6native29vectorized_elementwise_kernelILi2EZZZNS0_16sqrt_kernel_cudaERNS_18TensorIteratorBaseEENKUlvE_clEvENKUlvE0_clEvEUlN3c107complexIfEEE_St5arrayIPcLm2EEEEviT0_T1_
    .private_segment_fixed_size: 0
    .sgpr_count:     34
    .sgpr_spill_count: 0
    .symbol:         _ZN2at6native29vectorized_elementwise_kernelILi2EZZZNS0_16sqrt_kernel_cudaERNS_18TensorIteratorBaseEENKUlvE_clEvENKUlvE0_clEvEUlN3c107complexIfEEE_St5arrayIPcLm2EEEEviT0_T1_.kd
    .uniform_work_group_size: 1
    .uses_dynamic_stack: false
    .vgpr_count:     19
    .vgpr_spill_count: 0
    .wavefront_size: 64
  - .agpr_count:     0
    .args:
      - .offset:         0
        .size:           4
        .value_kind:     by_value
      - .offset:         4
        .size:           1
        .value_kind:     by_value
      - .offset:         8
        .size:           16
        .value_kind:     by_value
      - .offset:         24
        .size:           1
        .value_kind:     by_value
      - .offset:         25
        .size:           1
        .value_kind:     by_value
      - .offset:         26
        .size:           1
        .value_kind:     by_value
      - .offset:         27
        .size:           1
        .value_kind:     by_value
    .group_segment_fixed_size: 0
    .kernarg_segment_align: 8
    .kernarg_segment_size: 28
    .language:       OpenCL C
    .language_version:
      - 2
      - 0
    .max_flat_workgroup_size: 256
    .name:           _ZN2at6native27unrolled_elementwise_kernelIZZZNS0_16sqrt_kernel_cudaERNS_18TensorIteratorBaseEENKUlvE_clEvENKUlvE0_clEvEUlN3c107complexIfEEE_St5arrayIPcLm2EELi4E23TrivialOffsetCalculatorILi1EjESE_NS0_6memory15LoadWithoutCastENSF_16StoreWithoutCastEEEviT_T0_T2_T3_T4_T5_
    .private_segment_fixed_size: 0
    .sgpr_count:     32
    .sgpr_spill_count: 0
    .symbol:         _ZN2at6native27unrolled_elementwise_kernelIZZZNS0_16sqrt_kernel_cudaERNS_18TensorIteratorBaseEENKUlvE_clEvENKUlvE0_clEvEUlN3c107complexIfEEE_St5arrayIPcLm2EELi4E23TrivialOffsetCalculatorILi1EjESE_NS0_6memory15LoadWithoutCastENSF_16StoreWithoutCastEEEviT_T0_T2_T3_T4_T5_.kd
    .uniform_work_group_size: 1
    .uses_dynamic_stack: false
    .vgpr_count:     17
    .vgpr_spill_count: 0
    .wavefront_size: 64
  - .agpr_count:     0
    .args:
      - .offset:         0
        .size:           4
        .value_kind:     by_value
      - .offset:         8
        .size:           352
        .value_kind:     by_value
    .group_segment_fixed_size: 0
    .kernarg_segment_align: 8
    .kernarg_segment_size: 360
    .language:       OpenCL C
    .language_version:
      - 2
      - 0
    .max_flat_workgroup_size: 128
    .name:           _ZN2at6native32elementwise_kernel_manual_unrollILi128ELi4EZNS0_22gpu_kernel_impl_nocastIZZZNS0_16sqrt_kernel_cudaERNS_18TensorIteratorBaseEENKUlvE_clEvENKUlvE0_clEvEUlN3c107complexIfEEE_EEvS4_RKT_EUlibE_EEviT1_
    .private_segment_fixed_size: 0
    .sgpr_count:     66
    .sgpr_spill_count: 0
    .symbol:         _ZN2at6native32elementwise_kernel_manual_unrollILi128ELi4EZNS0_22gpu_kernel_impl_nocastIZZZNS0_16sqrt_kernel_cudaERNS_18TensorIteratorBaseEENKUlvE_clEvENKUlvE0_clEvEUlN3c107complexIfEEE_EEvS4_RKT_EUlibE_EEviT1_.kd
    .uniform_work_group_size: 1
    .uses_dynamic_stack: false
    .vgpr_count:     22
    .vgpr_spill_count: 0
    .wavefront_size: 64
  - .agpr_count:     0
    .args:
      - .offset:         0
        .size:           4
        .value_kind:     by_value
      - .offset:         8
        .size:           32
        .value_kind:     by_value
    .group_segment_fixed_size: 0
    .kernarg_segment_align: 8
    .kernarg_segment_size: 40
    .language:       OpenCL C
    .language_version:
      - 2
      - 0
    .max_flat_workgroup_size: 128
    .name:           _ZN2at6native32elementwise_kernel_manual_unrollILi128ELi4EZNS0_15gpu_kernel_implIZZZNS0_16sqrt_kernel_cudaERNS_18TensorIteratorBaseEENKUlvE_clEvENKUlvE0_clEvEUlN3c107complexIfEEE_EEvS4_RKT_EUlibE_EEviT1_
    .private_segment_fixed_size: 0
    .sgpr_count:     54
    .sgpr_spill_count: 0
    .symbol:         _ZN2at6native32elementwise_kernel_manual_unrollILi128ELi4EZNS0_15gpu_kernel_implIZZZNS0_16sqrt_kernel_cudaERNS_18TensorIteratorBaseEENKUlvE_clEvENKUlvE0_clEvEUlN3c107complexIfEEE_EEvS4_RKT_EUlibE_EEviT1_.kd
    .uniform_work_group_size: 1
    .uses_dynamic_stack: false
    .vgpr_count:     18
    .vgpr_spill_count: 0
    .wavefront_size: 64
  - .agpr_count:     0
    .args:
      - .offset:         0
        .size:           4
        .value_kind:     by_value
      - .offset:         8
        .size:           352
        .value_kind:     by_value
    .group_segment_fixed_size: 0
    .kernarg_segment_align: 8
    .kernarg_segment_size: 360
    .language:       OpenCL C
    .language_version:
      - 2
      - 0
    .max_flat_workgroup_size: 128
    .name:           _ZN2at6native32elementwise_kernel_manual_unrollILi128ELi4EZNS0_15gpu_kernel_implIZZZNS0_16sqrt_kernel_cudaERNS_18TensorIteratorBaseEENKUlvE_clEvENKUlvE0_clEvEUlN3c107complexIfEEE_EEvS4_RKT_EUlibE0_EEviT1_
    .private_segment_fixed_size: 0
    .sgpr_count:     84
    .sgpr_spill_count: 0
    .symbol:         _ZN2at6native32elementwise_kernel_manual_unrollILi128ELi4EZNS0_15gpu_kernel_implIZZZNS0_16sqrt_kernel_cudaERNS_18TensorIteratorBaseEENKUlvE_clEvENKUlvE0_clEvEUlN3c107complexIfEEE_EEvS4_RKT_EUlibE0_EEviT1_.kd
    .uniform_work_group_size: 1
    .uses_dynamic_stack: false
    .vgpr_count:     24
    .vgpr_spill_count: 0
    .wavefront_size: 64
  - .agpr_count:     0
    .args:
      - .offset:         0
        .size:           4
        .value_kind:     by_value
      - .offset:         4
        .size:           1
        .value_kind:     by_value
      - .offset:         8
        .size:           16
        .value_kind:     by_value
    .group_segment_fixed_size: 0
    .kernarg_segment_align: 8
    .kernarg_segment_size: 24
    .language:       OpenCL C
    .language_version:
      - 2
      - 0
    .max_flat_workgroup_size: 256
    .name:           _ZN2at6native29vectorized_elementwise_kernelILi16EZZZNS0_16sqrt_kernel_cudaERNS_18TensorIteratorBaseEENKUlvE_clEvENKUlvE1_clEvEUlN3c107complexINS6_4HalfEEEE_St5arrayIPcLm2EEEEviT0_T1_
    .private_segment_fixed_size: 0
    .sgpr_count:     34
    .sgpr_spill_count: 0
    .symbol:         _ZN2at6native29vectorized_elementwise_kernelILi16EZZZNS0_16sqrt_kernel_cudaERNS_18TensorIteratorBaseEENKUlvE_clEvENKUlvE1_clEvEUlN3c107complexINS6_4HalfEEEE_St5arrayIPcLm2EEEEviT0_T1_.kd
    .uniform_work_group_size: 1
    .uses_dynamic_stack: false
    .vgpr_count:     17
    .vgpr_spill_count: 0
    .wavefront_size: 64
  - .agpr_count:     0
    .args:
      - .offset:         0
        .size:           4
        .value_kind:     by_value
      - .offset:         4
        .size:           1
        .value_kind:     by_value
      - .offset:         8
        .size:           16
        .value_kind:     by_value
    .group_segment_fixed_size: 0
    .kernarg_segment_align: 8
    .kernarg_segment_size: 24
    .language:       OpenCL C
    .language_version:
      - 2
      - 0
    .max_flat_workgroup_size: 256
    .name:           _ZN2at6native29vectorized_elementwise_kernelILi8EZZZNS0_16sqrt_kernel_cudaERNS_18TensorIteratorBaseEENKUlvE_clEvENKUlvE1_clEvEUlN3c107complexINS6_4HalfEEEE_St5arrayIPcLm2EEEEviT0_T1_
    .private_segment_fixed_size: 0
    .sgpr_count:     34
    .sgpr_spill_count: 0
    .symbol:         _ZN2at6native29vectorized_elementwise_kernelILi8EZZZNS0_16sqrt_kernel_cudaERNS_18TensorIteratorBaseEENKUlvE_clEvENKUlvE1_clEvEUlN3c107complexINS6_4HalfEEEE_St5arrayIPcLm2EEEEviT0_T1_.kd
    .uniform_work_group_size: 1
    .uses_dynamic_stack: false
    .vgpr_count:     17
    .vgpr_spill_count: 0
    .wavefront_size: 64
  - .agpr_count:     0
    .args:
      - .offset:         0
        .size:           4
        .value_kind:     by_value
      - .offset:         4
        .size:           1
        .value_kind:     by_value
      - .offset:         8
        .size:           16
        .value_kind:     by_value
    .group_segment_fixed_size: 0
    .kernarg_segment_align: 8
    .kernarg_segment_size: 24
    .language:       OpenCL C
    .language_version:
      - 2
      - 0
    .max_flat_workgroup_size: 256
    .name:           _ZN2at6native29vectorized_elementwise_kernelILi4EZZZNS0_16sqrt_kernel_cudaERNS_18TensorIteratorBaseEENKUlvE_clEvENKUlvE1_clEvEUlN3c107complexINS6_4HalfEEEE_St5arrayIPcLm2EEEEviT0_T1_
    .private_segment_fixed_size: 0
    .sgpr_count:     34
    .sgpr_spill_count: 0
    .symbol:         _ZN2at6native29vectorized_elementwise_kernelILi4EZZZNS0_16sqrt_kernel_cudaERNS_18TensorIteratorBaseEENKUlvE_clEvENKUlvE1_clEvEUlN3c107complexINS6_4HalfEEEE_St5arrayIPcLm2EEEEviT0_T1_.kd
    .uniform_work_group_size: 1
    .uses_dynamic_stack: false
    .vgpr_count:     17
    .vgpr_spill_count: 0
    .wavefront_size: 64
  - .agpr_count:     0
    .args:
      - .offset:         0
        .size:           4
        .value_kind:     by_value
      - .offset:         4
        .size:           1
        .value_kind:     by_value
      - .offset:         8
        .size:           16
        .value_kind:     by_value
    .group_segment_fixed_size: 0
    .kernarg_segment_align: 8
    .kernarg_segment_size: 24
    .language:       OpenCL C
    .language_version:
      - 2
      - 0
    .max_flat_workgroup_size: 256
    .name:           _ZN2at6native29vectorized_elementwise_kernelILi2EZZZNS0_16sqrt_kernel_cudaERNS_18TensorIteratorBaseEENKUlvE_clEvENKUlvE1_clEvEUlN3c107complexINS6_4HalfEEEE_St5arrayIPcLm2EEEEviT0_T1_
    .private_segment_fixed_size: 0
    .sgpr_count:     34
    .sgpr_spill_count: 0
    .symbol:         _ZN2at6native29vectorized_elementwise_kernelILi2EZZZNS0_16sqrt_kernel_cudaERNS_18TensorIteratorBaseEENKUlvE_clEvENKUlvE1_clEvEUlN3c107complexINS6_4HalfEEEE_St5arrayIPcLm2EEEEviT0_T1_.kd
    .uniform_work_group_size: 1
    .uses_dynamic_stack: false
    .vgpr_count:     17
    .vgpr_spill_count: 0
    .wavefront_size: 64
  - .agpr_count:     0
    .args:
      - .offset:         0
        .size:           4
        .value_kind:     by_value
      - .offset:         4
        .size:           1
        .value_kind:     by_value
      - .offset:         8
        .size:           16
        .value_kind:     by_value
      - .offset:         24
        .size:           1
        .value_kind:     by_value
      - .offset:         25
        .size:           1
        .value_kind:     by_value
      - .offset:         26
        .size:           1
        .value_kind:     by_value
      - .offset:         27
        .size:           1
        .value_kind:     by_value
    .group_segment_fixed_size: 0
    .kernarg_segment_align: 8
    .kernarg_segment_size: 28
    .language:       OpenCL C
    .language_version:
      - 2
      - 0
    .max_flat_workgroup_size: 256
    .name:           _ZN2at6native27unrolled_elementwise_kernelIZZZNS0_16sqrt_kernel_cudaERNS_18TensorIteratorBaseEENKUlvE_clEvENKUlvE1_clEvEUlN3c107complexINS6_4HalfEEEE_St5arrayIPcLm2EELi4E23TrivialOffsetCalculatorILi1EjESF_NS0_6memory15LoadWithoutCastENSG_16StoreWithoutCastEEEviT_T0_T2_T3_T4_T5_
    .private_segment_fixed_size: 0
    .sgpr_count:     32
    .sgpr_spill_count: 0
    .symbol:         _ZN2at6native27unrolled_elementwise_kernelIZZZNS0_16sqrt_kernel_cudaERNS_18TensorIteratorBaseEENKUlvE_clEvENKUlvE1_clEvEUlN3c107complexINS6_4HalfEEEE_St5arrayIPcLm2EELi4E23TrivialOffsetCalculatorILi1EjESF_NS0_6memory15LoadWithoutCastENSG_16StoreWithoutCastEEEviT_T0_T2_T3_T4_T5_.kd
    .uniform_work_group_size: 1
    .uses_dynamic_stack: false
    .vgpr_count:     14
    .vgpr_spill_count: 0
    .wavefront_size: 64
  - .agpr_count:     0
    .args:
      - .offset:         0
        .size:           4
        .value_kind:     by_value
      - .offset:         8
        .size:           352
        .value_kind:     by_value
    .group_segment_fixed_size: 0
    .kernarg_segment_align: 8
    .kernarg_segment_size: 360
    .language:       OpenCL C
    .language_version:
      - 2
      - 0
    .max_flat_workgroup_size: 128
    .name:           _ZN2at6native32elementwise_kernel_manual_unrollILi128ELi4EZNS0_22gpu_kernel_impl_nocastIZZZNS0_16sqrt_kernel_cudaERNS_18TensorIteratorBaseEENKUlvE_clEvENKUlvE1_clEvEUlN3c107complexINS7_4HalfEEEE_EEvS4_RKT_EUlibE_EEviT1_
    .private_segment_fixed_size: 0
    .sgpr_count:     66
    .sgpr_spill_count: 0
    .symbol:         _ZN2at6native32elementwise_kernel_manual_unrollILi128ELi4EZNS0_22gpu_kernel_impl_nocastIZZZNS0_16sqrt_kernel_cudaERNS_18TensorIteratorBaseEENKUlvE_clEvENKUlvE1_clEvEUlN3c107complexINS7_4HalfEEEE_EEvS4_RKT_EUlibE_EEviT1_.kd
    .uniform_work_group_size: 1
    .uses_dynamic_stack: false
    .vgpr_count:     18
    .vgpr_spill_count: 0
    .wavefront_size: 64
  - .agpr_count:     0
    .args:
      - .offset:         0
        .size:           4
        .value_kind:     by_value
      - .offset:         8
        .size:           32
        .value_kind:     by_value
    .group_segment_fixed_size: 0
    .kernarg_segment_align: 8
    .kernarg_segment_size: 40
    .language:       OpenCL C
    .language_version:
      - 2
      - 0
    .max_flat_workgroup_size: 128
    .name:           _ZN2at6native32elementwise_kernel_manual_unrollILi128ELi4EZNS0_15gpu_kernel_implIZZZNS0_16sqrt_kernel_cudaERNS_18TensorIteratorBaseEENKUlvE_clEvENKUlvE1_clEvEUlN3c107complexINS7_4HalfEEEE_EEvS4_RKT_EUlibE_EEviT1_
    .private_segment_fixed_size: 0
    .sgpr_count:     54
    .sgpr_spill_count: 0
    .symbol:         _ZN2at6native32elementwise_kernel_manual_unrollILi128ELi4EZNS0_15gpu_kernel_implIZZZNS0_16sqrt_kernel_cudaERNS_18TensorIteratorBaseEENKUlvE_clEvENKUlvE1_clEvEUlN3c107complexINS7_4HalfEEEE_EEvS4_RKT_EUlibE_EEviT1_.kd
    .uniform_work_group_size: 1
    .uses_dynamic_stack: false
    .vgpr_count:     24
    .vgpr_spill_count: 0
    .wavefront_size: 64
  - .agpr_count:     0
    .args:
      - .offset:         0
        .size:           4
        .value_kind:     by_value
      - .offset:         8
        .size:           352
        .value_kind:     by_value
    .group_segment_fixed_size: 0
    .kernarg_segment_align: 8
    .kernarg_segment_size: 360
    .language:       OpenCL C
    .language_version:
      - 2
      - 0
    .max_flat_workgroup_size: 128
    .name:           _ZN2at6native32elementwise_kernel_manual_unrollILi128ELi4EZNS0_15gpu_kernel_implIZZZNS0_16sqrt_kernel_cudaERNS_18TensorIteratorBaseEENKUlvE_clEvENKUlvE1_clEvEUlN3c107complexINS7_4HalfEEEE_EEvS4_RKT_EUlibE0_EEviT1_
    .private_segment_fixed_size: 0
    .sgpr_count:     84
    .sgpr_spill_count: 0
    .symbol:         _ZN2at6native32elementwise_kernel_manual_unrollILi128ELi4EZNS0_15gpu_kernel_implIZZZNS0_16sqrt_kernel_cudaERNS_18TensorIteratorBaseEENKUlvE_clEvENKUlvE1_clEvEUlN3c107complexINS7_4HalfEEEE_EEvS4_RKT_EUlibE0_EEviT1_.kd
    .uniform_work_group_size: 1
    .uses_dynamic_stack: false
    .vgpr_count:     27
    .vgpr_spill_count: 0
    .wavefront_size: 64
  - .agpr_count:     0
    .args:
      - .offset:         0
        .size:           4
        .value_kind:     by_value
      - .offset:         4
        .size:           1
        .value_kind:     by_value
      - .offset:         8
        .size:           16
        .value_kind:     by_value
    .group_segment_fixed_size: 0
    .kernarg_segment_align: 8
    .kernarg_segment_size: 24
    .language:       OpenCL C
    .language_version:
      - 2
      - 0
    .max_flat_workgroup_size: 256
    .name:           _ZN2at6native29vectorized_elementwise_kernelILi16EZZZNS0_16sqrt_kernel_cudaERNS_18TensorIteratorBaseEENKUlvE0_clEvENKUlvE_clEvEUldE_St5arrayIPcLm2EEEEviT0_T1_
    .private_segment_fixed_size: 0
    .sgpr_count:     22
    .sgpr_spill_count: 0
    .symbol:         _ZN2at6native29vectorized_elementwise_kernelILi16EZZZNS0_16sqrt_kernel_cudaERNS_18TensorIteratorBaseEENKUlvE0_clEvENKUlvE_clEvEUldE_St5arrayIPcLm2EEEEviT0_T1_.kd
    .uniform_work_group_size: 1
    .uses_dynamic_stack: false
    .vgpr_count:     39
    .vgpr_spill_count: 0
    .wavefront_size: 64
  - .agpr_count:     0
    .args:
      - .offset:         0
        .size:           4
        .value_kind:     by_value
      - .offset:         4
        .size:           1
        .value_kind:     by_value
      - .offset:         8
        .size:           16
        .value_kind:     by_value
    .group_segment_fixed_size: 0
    .kernarg_segment_align: 8
    .kernarg_segment_size: 24
    .language:       OpenCL C
    .language_version:
      - 2
      - 0
    .max_flat_workgroup_size: 256
    .name:           _ZN2at6native29vectorized_elementwise_kernelILi8EZZZNS0_16sqrt_kernel_cudaERNS_18TensorIteratorBaseEENKUlvE0_clEvENKUlvE_clEvEUldE_St5arrayIPcLm2EEEEviT0_T1_
    .private_segment_fixed_size: 0
    .sgpr_count:     22
    .sgpr_spill_count: 0
    .symbol:         _ZN2at6native29vectorized_elementwise_kernelILi8EZZZNS0_16sqrt_kernel_cudaERNS_18TensorIteratorBaseEENKUlvE0_clEvENKUlvE_clEvEUldE_St5arrayIPcLm2EEEEviT0_T1_.kd
    .uniform_work_group_size: 1
    .uses_dynamic_stack: false
    .vgpr_count:     39
    .vgpr_spill_count: 0
    .wavefront_size: 64
  - .agpr_count:     0
    .args:
      - .offset:         0
        .size:           4
        .value_kind:     by_value
      - .offset:         4
        .size:           1
        .value_kind:     by_value
      - .offset:         8
        .size:           16
        .value_kind:     by_value
    .group_segment_fixed_size: 0
    .kernarg_segment_align: 8
    .kernarg_segment_size: 24
    .language:       OpenCL C
    .language_version:
      - 2
      - 0
    .max_flat_workgroup_size: 256
    .name:           _ZN2at6native29vectorized_elementwise_kernelILi4EZZZNS0_16sqrt_kernel_cudaERNS_18TensorIteratorBaseEENKUlvE0_clEvENKUlvE_clEvEUldE_St5arrayIPcLm2EEEEviT0_T1_
    .private_segment_fixed_size: 0
    .sgpr_count:     22
    .sgpr_spill_count: 0
    .symbol:         _ZN2at6native29vectorized_elementwise_kernelILi4EZZZNS0_16sqrt_kernel_cudaERNS_18TensorIteratorBaseEENKUlvE0_clEvENKUlvE_clEvEUldE_St5arrayIPcLm2EEEEviT0_T1_.kd
    .uniform_work_group_size: 1
    .uses_dynamic_stack: false
    .vgpr_count:     39
    .vgpr_spill_count: 0
    .wavefront_size: 64
  - .agpr_count:     0
    .args:
      - .offset:         0
        .size:           4
        .value_kind:     by_value
      - .offset:         4
        .size:           1
        .value_kind:     by_value
      - .offset:         8
        .size:           16
        .value_kind:     by_value
    .group_segment_fixed_size: 0
    .kernarg_segment_align: 8
    .kernarg_segment_size: 24
    .language:       OpenCL C
    .language_version:
      - 2
      - 0
    .max_flat_workgroup_size: 256
    .name:           _ZN2at6native29vectorized_elementwise_kernelILi2EZZZNS0_16sqrt_kernel_cudaERNS_18TensorIteratorBaseEENKUlvE0_clEvENKUlvE_clEvEUldE_St5arrayIPcLm2EEEEviT0_T1_
    .private_segment_fixed_size: 0
    .sgpr_count:     20
    .sgpr_spill_count: 0
    .symbol:         _ZN2at6native29vectorized_elementwise_kernelILi2EZZZNS0_16sqrt_kernel_cudaERNS_18TensorIteratorBaseEENKUlvE0_clEvENKUlvE_clEvEUldE_St5arrayIPcLm2EEEEviT0_T1_.kd
    .uniform_work_group_size: 1
    .uses_dynamic_stack: false
    .vgpr_count:     41
    .vgpr_spill_count: 0
    .wavefront_size: 64
  - .agpr_count:     0
    .args:
      - .offset:         0
        .size:           4
        .value_kind:     by_value
      - .offset:         4
        .size:           1
        .value_kind:     by_value
      - .offset:         8
        .size:           16
        .value_kind:     by_value
      - .offset:         24
        .size:           1
        .value_kind:     by_value
      - .offset:         25
        .size:           1
        .value_kind:     by_value
      - .offset:         26
        .size:           1
        .value_kind:     by_value
      - .offset:         27
        .size:           1
        .value_kind:     by_value
    .group_segment_fixed_size: 0
    .kernarg_segment_align: 8
    .kernarg_segment_size: 28
    .language:       OpenCL C
    .language_version:
      - 2
      - 0
    .max_flat_workgroup_size: 256
    .name:           _ZN2at6native27unrolled_elementwise_kernelIZZZNS0_16sqrt_kernel_cudaERNS_18TensorIteratorBaseEENKUlvE0_clEvENKUlvE_clEvEUldE_St5arrayIPcLm2EELi4E23TrivialOffsetCalculatorILi1EjESB_NS0_6memory15LoadWithoutCastENSC_16StoreWithoutCastEEEviT_T0_T2_T3_T4_T5_
    .private_segment_fixed_size: 0
    .sgpr_count:     16
    .sgpr_spill_count: 0
    .symbol:         _ZN2at6native27unrolled_elementwise_kernelIZZZNS0_16sqrt_kernel_cudaERNS_18TensorIteratorBaseEENKUlvE0_clEvENKUlvE_clEvEUldE_St5arrayIPcLm2EELi4E23TrivialOffsetCalculatorILi1EjESB_NS0_6memory15LoadWithoutCastENSC_16StoreWithoutCastEEEviT_T0_T2_T3_T4_T5_.kd
    .uniform_work_group_size: 1
    .uses_dynamic_stack: false
    .vgpr_count:     19
    .vgpr_spill_count: 0
    .wavefront_size: 64
  - .agpr_count:     0
    .args:
      - .offset:         0
        .size:           4
        .value_kind:     by_value
      - .offset:         8
        .size:           352
        .value_kind:     by_value
    .group_segment_fixed_size: 0
    .kernarg_segment_align: 8
    .kernarg_segment_size: 360
    .language:       OpenCL C
    .language_version:
      - 2
      - 0
    .max_flat_workgroup_size: 128
    .name:           _ZN2at6native32elementwise_kernel_manual_unrollILi128ELi4EZNS0_22gpu_kernel_impl_nocastIZZZNS0_16sqrt_kernel_cudaERNS_18TensorIteratorBaseEENKUlvE0_clEvENKUlvE_clEvEUldE_EEvS4_RKT_EUlibE_EEviT1_
    .private_segment_fixed_size: 0
    .sgpr_count:     66
    .sgpr_spill_count: 0
    .symbol:         _ZN2at6native32elementwise_kernel_manual_unrollILi128ELi4EZNS0_22gpu_kernel_impl_nocastIZZZNS0_16sqrt_kernel_cudaERNS_18TensorIteratorBaseEENKUlvE0_clEvENKUlvE_clEvEUldE_EEvS4_RKT_EUlibE_EEviT1_.kd
    .uniform_work_group_size: 1
    .uses_dynamic_stack: false
    .vgpr_count:     42
    .vgpr_spill_count: 0
    .wavefront_size: 64
  - .agpr_count:     0
    .args:
      - .offset:         0
        .size:           4
        .value_kind:     by_value
      - .offset:         8
        .size:           32
        .value_kind:     by_value
    .group_segment_fixed_size: 0
    .kernarg_segment_align: 8
    .kernarg_segment_size: 40
    .language:       OpenCL C
    .language_version:
      - 2
      - 0
    .max_flat_workgroup_size: 128
    .name:           _ZN2at6native32elementwise_kernel_manual_unrollILi128ELi4EZNS0_15gpu_kernel_implIZZZNS0_16sqrt_kernel_cudaERNS_18TensorIteratorBaseEENKUlvE0_clEvENKUlvE_clEvEUldE_EEvS4_RKT_EUlibE_EEviT1_
    .private_segment_fixed_size: 0
    .sgpr_count:     50
    .sgpr_spill_count: 0
    .symbol:         _ZN2at6native32elementwise_kernel_manual_unrollILi128ELi4EZNS0_15gpu_kernel_implIZZZNS0_16sqrt_kernel_cudaERNS_18TensorIteratorBaseEENKUlvE0_clEvENKUlvE_clEvEUldE_EEvS4_RKT_EUlibE_EEviT1_.kd
    .uniform_work_group_size: 1
    .uses_dynamic_stack: false
    .vgpr_count:     20
    .vgpr_spill_count: 0
    .wavefront_size: 64
  - .agpr_count:     0
    .args:
      - .offset:         0
        .size:           4
        .value_kind:     by_value
      - .offset:         8
        .size:           352
        .value_kind:     by_value
    .group_segment_fixed_size: 0
    .kernarg_segment_align: 8
    .kernarg_segment_size: 360
    .language:       OpenCL C
    .language_version:
      - 2
      - 0
    .max_flat_workgroup_size: 128
    .name:           _ZN2at6native32elementwise_kernel_manual_unrollILi128ELi4EZNS0_15gpu_kernel_implIZZZNS0_16sqrt_kernel_cudaERNS_18TensorIteratorBaseEENKUlvE0_clEvENKUlvE_clEvEUldE_EEvS4_RKT_EUlibE0_EEviT1_
    .private_segment_fixed_size: 0
    .sgpr_count:     84
    .sgpr_spill_count: 0
    .symbol:         _ZN2at6native32elementwise_kernel_manual_unrollILi128ELi4EZNS0_15gpu_kernel_implIZZZNS0_16sqrt_kernel_cudaERNS_18TensorIteratorBaseEENKUlvE0_clEvENKUlvE_clEvEUldE_EEvS4_RKT_EUlibE0_EEviT1_.kd
    .uniform_work_group_size: 1
    .uses_dynamic_stack: false
    .vgpr_count:     26
    .vgpr_spill_count: 0
    .wavefront_size: 64
  - .agpr_count:     0
    .args:
      - .offset:         0
        .size:           4
        .value_kind:     by_value
      - .offset:         4
        .size:           1
        .value_kind:     by_value
      - .offset:         8
        .size:           16
        .value_kind:     by_value
    .group_segment_fixed_size: 0
    .kernarg_segment_align: 8
    .kernarg_segment_size: 24
    .language:       OpenCL C
    .language_version:
      - 2
      - 0
    .max_flat_workgroup_size: 256
    .name:           _ZN2at6native29vectorized_elementwise_kernelILi16EZZZNS0_16sqrt_kernel_cudaERNS_18TensorIteratorBaseEENKUlvE0_clEvENKUlvE0_clEvEUlfE_St5arrayIPcLm2EEEEviT0_T1_
    .private_segment_fixed_size: 0
    .sgpr_count:     24
    .sgpr_spill_count: 0
    .symbol:         _ZN2at6native29vectorized_elementwise_kernelILi16EZZZNS0_16sqrt_kernel_cudaERNS_18TensorIteratorBaseEENKUlvE0_clEvENKUlvE0_clEvEUlfE_St5arrayIPcLm2EEEEviT0_T1_.kd
    .uniform_work_group_size: 1
    .uses_dynamic_stack: false
    .vgpr_count:     27
    .vgpr_spill_count: 0
    .wavefront_size: 64
  - .agpr_count:     0
    .args:
      - .offset:         0
        .size:           4
        .value_kind:     by_value
      - .offset:         4
        .size:           1
        .value_kind:     by_value
      - .offset:         8
        .size:           16
        .value_kind:     by_value
    .group_segment_fixed_size: 0
    .kernarg_segment_align: 8
    .kernarg_segment_size: 24
    .language:       OpenCL C
    .language_version:
      - 2
      - 0
    .max_flat_workgroup_size: 256
    .name:           _ZN2at6native29vectorized_elementwise_kernelILi8EZZZNS0_16sqrt_kernel_cudaERNS_18TensorIteratorBaseEENKUlvE0_clEvENKUlvE0_clEvEUlfE_St5arrayIPcLm2EEEEviT0_T1_
    .private_segment_fixed_size: 0
    .sgpr_count:     24
    .sgpr_spill_count: 0
    .symbol:         _ZN2at6native29vectorized_elementwise_kernelILi8EZZZNS0_16sqrt_kernel_cudaERNS_18TensorIteratorBaseEENKUlvE0_clEvENKUlvE0_clEvEUlfE_St5arrayIPcLm2EEEEviT0_T1_.kd
    .uniform_work_group_size: 1
    .uses_dynamic_stack: false
    .vgpr_count:     27
    .vgpr_spill_count: 0
    .wavefront_size: 64
  - .agpr_count:     0
    .args:
      - .offset:         0
        .size:           4
        .value_kind:     by_value
      - .offset:         4
        .size:           1
        .value_kind:     by_value
      - .offset:         8
        .size:           16
        .value_kind:     by_value
    .group_segment_fixed_size: 0
    .kernarg_segment_align: 8
    .kernarg_segment_size: 24
    .language:       OpenCL C
    .language_version:
      - 2
      - 0
    .max_flat_workgroup_size: 256
    .name:           _ZN2at6native29vectorized_elementwise_kernelILi4EZZZNS0_16sqrt_kernel_cudaERNS_18TensorIteratorBaseEENKUlvE0_clEvENKUlvE0_clEvEUlfE_St5arrayIPcLm2EEEEviT0_T1_
    .private_segment_fixed_size: 0
    .sgpr_count:     24
    .sgpr_spill_count: 0
    .symbol:         _ZN2at6native29vectorized_elementwise_kernelILi4EZZZNS0_16sqrt_kernel_cudaERNS_18TensorIteratorBaseEENKUlvE0_clEvENKUlvE0_clEvEUlfE_St5arrayIPcLm2EEEEviT0_T1_.kd
    .uniform_work_group_size: 1
    .uses_dynamic_stack: false
    .vgpr_count:     27
    .vgpr_spill_count: 0
    .wavefront_size: 64
  - .agpr_count:     0
    .args:
      - .offset:         0
        .size:           4
        .value_kind:     by_value
      - .offset:         4
        .size:           1
        .value_kind:     by_value
      - .offset:         8
        .size:           16
        .value_kind:     by_value
    .group_segment_fixed_size: 0
    .kernarg_segment_align: 8
    .kernarg_segment_size: 24
    .language:       OpenCL C
    .language_version:
      - 2
      - 0
    .max_flat_workgroup_size: 256
    .name:           _ZN2at6native29vectorized_elementwise_kernelILi2EZZZNS0_16sqrt_kernel_cudaERNS_18TensorIteratorBaseEENKUlvE0_clEvENKUlvE0_clEvEUlfE_St5arrayIPcLm2EEEEviT0_T1_
    .private_segment_fixed_size: 0
    .sgpr_count:     24
    .sgpr_spill_count: 0
    .symbol:         _ZN2at6native29vectorized_elementwise_kernelILi2EZZZNS0_16sqrt_kernel_cudaERNS_18TensorIteratorBaseEENKUlvE0_clEvENKUlvE0_clEvEUlfE_St5arrayIPcLm2EEEEviT0_T1_.kd
    .uniform_work_group_size: 1
    .uses_dynamic_stack: false
    .vgpr_count:     27
    .vgpr_spill_count: 0
    .wavefront_size: 64
  - .agpr_count:     0
    .args:
      - .offset:         0
        .size:           4
        .value_kind:     by_value
      - .offset:         4
        .size:           1
        .value_kind:     by_value
      - .offset:         8
        .size:           16
        .value_kind:     by_value
      - .offset:         24
        .size:           1
        .value_kind:     by_value
      - .offset:         25
        .size:           1
        .value_kind:     by_value
      - .offset:         26
        .size:           1
        .value_kind:     by_value
      - .offset:         27
        .size:           1
        .value_kind:     by_value
    .group_segment_fixed_size: 0
    .kernarg_segment_align: 8
    .kernarg_segment_size: 28
    .language:       OpenCL C
    .language_version:
      - 2
      - 0
    .max_flat_workgroup_size: 256
    .name:           _ZN2at6native27unrolled_elementwise_kernelIZZZNS0_16sqrt_kernel_cudaERNS_18TensorIteratorBaseEENKUlvE0_clEvENKUlvE0_clEvEUlfE_St5arrayIPcLm2EELi4E23TrivialOffsetCalculatorILi1EjESB_NS0_6memory15LoadWithoutCastENSC_16StoreWithoutCastEEEviT_T0_T2_T3_T4_T5_
    .private_segment_fixed_size: 0
    .sgpr_count:     18
    .sgpr_spill_count: 0
    .symbol:         _ZN2at6native27unrolled_elementwise_kernelIZZZNS0_16sqrt_kernel_cudaERNS_18TensorIteratorBaseEENKUlvE0_clEvENKUlvE0_clEvEUlfE_St5arrayIPcLm2EELi4E23TrivialOffsetCalculatorILi1EjESB_NS0_6memory15LoadWithoutCastENSC_16StoreWithoutCastEEEviT_T0_T2_T3_T4_T5_.kd
    .uniform_work_group_size: 1
    .uses_dynamic_stack: false
    .vgpr_count:     13
    .vgpr_spill_count: 0
    .wavefront_size: 64
  - .agpr_count:     0
    .args:
      - .offset:         0
        .size:           4
        .value_kind:     by_value
      - .offset:         8
        .size:           352
        .value_kind:     by_value
    .group_segment_fixed_size: 0
    .kernarg_segment_align: 8
    .kernarg_segment_size: 360
    .language:       OpenCL C
    .language_version:
      - 2
      - 0
    .max_flat_workgroup_size: 128
    .name:           _ZN2at6native32elementwise_kernel_manual_unrollILi128ELi4EZNS0_22gpu_kernel_impl_nocastIZZZNS0_16sqrt_kernel_cudaERNS_18TensorIteratorBaseEENKUlvE0_clEvENKUlvE0_clEvEUlfE_EEvS4_RKT_EUlibE_EEviT1_
    .private_segment_fixed_size: 0
    .sgpr_count:     66
    .sgpr_spill_count: 0
    .symbol:         _ZN2at6native32elementwise_kernel_manual_unrollILi128ELi4EZNS0_22gpu_kernel_impl_nocastIZZZNS0_16sqrt_kernel_cudaERNS_18TensorIteratorBaseEENKUlvE0_clEvENKUlvE0_clEvEUlfE_EEvS4_RKT_EUlibE_EEviT1_.kd
    .uniform_work_group_size: 1
    .uses_dynamic_stack: false
    .vgpr_count:     29
    .vgpr_spill_count: 0
    .wavefront_size: 64
  - .agpr_count:     0
    .args:
      - .offset:         0
        .size:           4
        .value_kind:     by_value
      - .offset:         8
        .size:           32
        .value_kind:     by_value
    .group_segment_fixed_size: 0
    .kernarg_segment_align: 8
    .kernarg_segment_size: 40
    .language:       OpenCL C
    .language_version:
      - 2
      - 0
    .max_flat_workgroup_size: 128
    .name:           _ZN2at6native32elementwise_kernel_manual_unrollILi128ELi4EZNS0_15gpu_kernel_implIZZZNS0_16sqrt_kernel_cudaERNS_18TensorIteratorBaseEENKUlvE0_clEvENKUlvE0_clEvEUlfE_EEvS4_RKT_EUlibE_EEviT1_
    .private_segment_fixed_size: 0
    .sgpr_count:     50
    .sgpr_spill_count: 0
    .symbol:         _ZN2at6native32elementwise_kernel_manual_unrollILi128ELi4EZNS0_15gpu_kernel_implIZZZNS0_16sqrt_kernel_cudaERNS_18TensorIteratorBaseEENKUlvE0_clEvENKUlvE0_clEvEUlfE_EEvS4_RKT_EUlibE_EEviT1_.kd
    .uniform_work_group_size: 1
    .uses_dynamic_stack: false
    .vgpr_count:     14
    .vgpr_spill_count: 0
    .wavefront_size: 64
  - .agpr_count:     0
    .args:
      - .offset:         0
        .size:           4
        .value_kind:     by_value
      - .offset:         8
        .size:           352
        .value_kind:     by_value
    .group_segment_fixed_size: 0
    .kernarg_segment_align: 8
    .kernarg_segment_size: 360
    .language:       OpenCL C
    .language_version:
      - 2
      - 0
    .max_flat_workgroup_size: 128
    .name:           _ZN2at6native32elementwise_kernel_manual_unrollILi128ELi4EZNS0_15gpu_kernel_implIZZZNS0_16sqrt_kernel_cudaERNS_18TensorIteratorBaseEENKUlvE0_clEvENKUlvE0_clEvEUlfE_EEvS4_RKT_EUlibE0_EEviT1_
    .private_segment_fixed_size: 0
    .sgpr_count:     84
    .sgpr_spill_count: 0
    .symbol:         _ZN2at6native32elementwise_kernel_manual_unrollILi128ELi4EZNS0_15gpu_kernel_implIZZZNS0_16sqrt_kernel_cudaERNS_18TensorIteratorBaseEENKUlvE0_clEvENKUlvE0_clEvEUlfE_EEvS4_RKT_EUlibE0_EEviT1_.kd
    .uniform_work_group_size: 1
    .uses_dynamic_stack: false
    .vgpr_count:     18
    .vgpr_spill_count: 0
    .wavefront_size: 64
  - .agpr_count:     0
    .args:
      - .offset:         0
        .size:           4
        .value_kind:     by_value
      - .offset:         4
        .size:           1
        .value_kind:     by_value
      - .offset:         8
        .size:           16
        .value_kind:     by_value
    .group_segment_fixed_size: 0
    .kernarg_segment_align: 8
    .kernarg_segment_size: 24
    .language:       OpenCL C
    .language_version:
      - 2
      - 0
    .max_flat_workgroup_size: 256
    .name:           _ZN2at6native29vectorized_elementwise_kernelILi16EZZZNS0_16sqrt_kernel_cudaERNS_18TensorIteratorBaseEENKUlvE0_clEvENKUlvE1_clEvEUlN3c104HalfEE_St5arrayIPcLm2EEEEviT0_T1_
    .private_segment_fixed_size: 0
    .sgpr_count:     25
    .sgpr_spill_count: 0
    .symbol:         _ZN2at6native29vectorized_elementwise_kernelILi16EZZZNS0_16sqrt_kernel_cudaERNS_18TensorIteratorBaseEENKUlvE0_clEvENKUlvE1_clEvEUlN3c104HalfEE_St5arrayIPcLm2EEEEviT0_T1_.kd
    .uniform_work_group_size: 1
    .uses_dynamic_stack: false
    .vgpr_count:     29
    .vgpr_spill_count: 0
    .wavefront_size: 64
  - .agpr_count:     0
    .args:
      - .offset:         0
        .size:           4
        .value_kind:     by_value
      - .offset:         4
        .size:           1
        .value_kind:     by_value
      - .offset:         8
        .size:           16
        .value_kind:     by_value
    .group_segment_fixed_size: 0
    .kernarg_segment_align: 8
    .kernarg_segment_size: 24
    .language:       OpenCL C
    .language_version:
      - 2
      - 0
    .max_flat_workgroup_size: 256
    .name:           _ZN2at6native29vectorized_elementwise_kernelILi8EZZZNS0_16sqrt_kernel_cudaERNS_18TensorIteratorBaseEENKUlvE0_clEvENKUlvE1_clEvEUlN3c104HalfEE_St5arrayIPcLm2EEEEviT0_T1_
    .private_segment_fixed_size: 0
    .sgpr_count:     25
    .sgpr_spill_count: 0
    .symbol:         _ZN2at6native29vectorized_elementwise_kernelILi8EZZZNS0_16sqrt_kernel_cudaERNS_18TensorIteratorBaseEENKUlvE0_clEvENKUlvE1_clEvEUlN3c104HalfEE_St5arrayIPcLm2EEEEviT0_T1_.kd
    .uniform_work_group_size: 1
    .uses_dynamic_stack: false
    .vgpr_count:     29
    .vgpr_spill_count: 0
    .wavefront_size: 64
  - .agpr_count:     0
    .args:
      - .offset:         0
        .size:           4
        .value_kind:     by_value
      - .offset:         4
        .size:           1
        .value_kind:     by_value
      - .offset:         8
        .size:           16
        .value_kind:     by_value
    .group_segment_fixed_size: 0
    .kernarg_segment_align: 8
    .kernarg_segment_size: 24
    .language:       OpenCL C
    .language_version:
      - 2
      - 0
    .max_flat_workgroup_size: 256
    .name:           _ZN2at6native29vectorized_elementwise_kernelILi4EZZZNS0_16sqrt_kernel_cudaERNS_18TensorIteratorBaseEENKUlvE0_clEvENKUlvE1_clEvEUlN3c104HalfEE_St5arrayIPcLm2EEEEviT0_T1_
    .private_segment_fixed_size: 0
    .sgpr_count:     25
    .sgpr_spill_count: 0
    .symbol:         _ZN2at6native29vectorized_elementwise_kernelILi4EZZZNS0_16sqrt_kernel_cudaERNS_18TensorIteratorBaseEENKUlvE0_clEvENKUlvE1_clEvEUlN3c104HalfEE_St5arrayIPcLm2EEEEviT0_T1_.kd
    .uniform_work_group_size: 1
    .uses_dynamic_stack: false
    .vgpr_count:     29
    .vgpr_spill_count: 0
    .wavefront_size: 64
  - .agpr_count:     0
    .args:
      - .offset:         0
        .size:           4
        .value_kind:     by_value
      - .offset:         4
        .size:           1
        .value_kind:     by_value
      - .offset:         8
        .size:           16
        .value_kind:     by_value
    .group_segment_fixed_size: 0
    .kernarg_segment_align: 8
    .kernarg_segment_size: 24
    .language:       OpenCL C
    .language_version:
      - 2
      - 0
    .max_flat_workgroup_size: 256
    .name:           _ZN2at6native29vectorized_elementwise_kernelILi2EZZZNS0_16sqrt_kernel_cudaERNS_18TensorIteratorBaseEENKUlvE0_clEvENKUlvE1_clEvEUlN3c104HalfEE_St5arrayIPcLm2EEEEviT0_T1_
    .private_segment_fixed_size: 0
    .sgpr_count:     25
    .sgpr_spill_count: 0
    .symbol:         _ZN2at6native29vectorized_elementwise_kernelILi2EZZZNS0_16sqrt_kernel_cudaERNS_18TensorIteratorBaseEENKUlvE0_clEvENKUlvE1_clEvEUlN3c104HalfEE_St5arrayIPcLm2EEEEviT0_T1_.kd
    .uniform_work_group_size: 1
    .uses_dynamic_stack: false
    .vgpr_count:     30
    .vgpr_spill_count: 0
    .wavefront_size: 64
  - .agpr_count:     0
    .args:
      - .offset:         0
        .size:           4
        .value_kind:     by_value
      - .offset:         4
        .size:           1
        .value_kind:     by_value
      - .offset:         8
        .size:           16
        .value_kind:     by_value
      - .offset:         24
        .size:           1
        .value_kind:     by_value
      - .offset:         25
        .size:           1
        .value_kind:     by_value
      - .offset:         26
        .size:           1
        .value_kind:     by_value
      - .offset:         27
        .size:           1
        .value_kind:     by_value
    .group_segment_fixed_size: 0
    .kernarg_segment_align: 8
    .kernarg_segment_size: 28
    .language:       OpenCL C
    .language_version:
      - 2
      - 0
    .max_flat_workgroup_size: 256
    .name:           _ZN2at6native27unrolled_elementwise_kernelIZZZNS0_16sqrt_kernel_cudaERNS_18TensorIteratorBaseEENKUlvE0_clEvENKUlvE1_clEvEUlN3c104HalfEE_St5arrayIPcLm2EELi4E23TrivialOffsetCalculatorILi1EjESD_NS0_6memory15LoadWithoutCastENSE_16StoreWithoutCastEEEviT_T0_T2_T3_T4_T5_
    .private_segment_fixed_size: 0
    .sgpr_count:     16
    .sgpr_spill_count: 0
    .symbol:         _ZN2at6native27unrolled_elementwise_kernelIZZZNS0_16sqrt_kernel_cudaERNS_18TensorIteratorBaseEENKUlvE0_clEvENKUlvE1_clEvEUlN3c104HalfEE_St5arrayIPcLm2EELi4E23TrivialOffsetCalculatorILi1EjESD_NS0_6memory15LoadWithoutCastENSE_16StoreWithoutCastEEEviT_T0_T2_T3_T4_T5_.kd
    .uniform_work_group_size: 1
    .uses_dynamic_stack: false
    .vgpr_count:     11
    .vgpr_spill_count: 0
    .wavefront_size: 64
  - .agpr_count:     0
    .args:
      - .offset:         0
        .size:           4
        .value_kind:     by_value
      - .offset:         8
        .size:           352
        .value_kind:     by_value
    .group_segment_fixed_size: 0
    .kernarg_segment_align: 8
    .kernarg_segment_size: 360
    .language:       OpenCL C
    .language_version:
      - 2
      - 0
    .max_flat_workgroup_size: 128
    .name:           _ZN2at6native32elementwise_kernel_manual_unrollILi128ELi8EZNS0_22gpu_kernel_impl_nocastIZZZNS0_16sqrt_kernel_cudaERNS_18TensorIteratorBaseEENKUlvE0_clEvENKUlvE1_clEvEUlN3c104HalfEE_EEvS4_RKT_EUlibE_EEviT1_
    .private_segment_fixed_size: 0
    .sgpr_count:     66
    .sgpr_spill_count: 0
    .symbol:         _ZN2at6native32elementwise_kernel_manual_unrollILi128ELi8EZNS0_22gpu_kernel_impl_nocastIZZZNS0_16sqrt_kernel_cudaERNS_18TensorIteratorBaseEENKUlvE0_clEvENKUlvE1_clEvEUlN3c104HalfEE_EEvS4_RKT_EUlibE_EEviT1_.kd
    .uniform_work_group_size: 1
    .uses_dynamic_stack: false
    .vgpr_count:     35
    .vgpr_spill_count: 0
    .wavefront_size: 64
  - .agpr_count:     0
    .args:
      - .offset:         0
        .size:           4
        .value_kind:     by_value
      - .offset:         8
        .size:           32
        .value_kind:     by_value
    .group_segment_fixed_size: 0
    .kernarg_segment_align: 8
    .kernarg_segment_size: 40
    .language:       OpenCL C
    .language_version:
      - 2
      - 0
    .max_flat_workgroup_size: 128
    .name:           _ZN2at6native32elementwise_kernel_manual_unrollILi128ELi4EZNS0_15gpu_kernel_implIZZZNS0_16sqrt_kernel_cudaERNS_18TensorIteratorBaseEENKUlvE0_clEvENKUlvE1_clEvEUlN3c104HalfEE_EEvS4_RKT_EUlibE_EEviT1_
    .private_segment_fixed_size: 0
    .sgpr_count:     50
    .sgpr_spill_count: 0
    .symbol:         _ZN2at6native32elementwise_kernel_manual_unrollILi128ELi4EZNS0_15gpu_kernel_implIZZZNS0_16sqrt_kernel_cudaERNS_18TensorIteratorBaseEENKUlvE0_clEvENKUlvE1_clEvEUlN3c104HalfEE_EEvS4_RKT_EUlibE_EEviT1_.kd
    .uniform_work_group_size: 1
    .uses_dynamic_stack: false
    .vgpr_count:     14
    .vgpr_spill_count: 0
    .wavefront_size: 64
  - .agpr_count:     0
    .args:
      - .offset:         0
        .size:           4
        .value_kind:     by_value
      - .offset:         8
        .size:           352
        .value_kind:     by_value
    .group_segment_fixed_size: 0
    .kernarg_segment_align: 8
    .kernarg_segment_size: 360
    .language:       OpenCL C
    .language_version:
      - 2
      - 0
    .max_flat_workgroup_size: 128
    .name:           _ZN2at6native32elementwise_kernel_manual_unrollILi128ELi4EZNS0_15gpu_kernel_implIZZZNS0_16sqrt_kernel_cudaERNS_18TensorIteratorBaseEENKUlvE0_clEvENKUlvE1_clEvEUlN3c104HalfEE_EEvS4_RKT_EUlibE0_EEviT1_
    .private_segment_fixed_size: 0
    .sgpr_count:     84
    .sgpr_spill_count: 0
    .symbol:         _ZN2at6native32elementwise_kernel_manual_unrollILi128ELi4EZNS0_15gpu_kernel_implIZZZNS0_16sqrt_kernel_cudaERNS_18TensorIteratorBaseEENKUlvE0_clEvENKUlvE1_clEvEUlN3c104HalfEE_EEvS4_RKT_EUlibE0_EEviT1_.kd
    .uniform_work_group_size: 1
    .uses_dynamic_stack: false
    .vgpr_count:     18
    .vgpr_spill_count: 0
    .wavefront_size: 64
  - .agpr_count:     0
    .args:
      - .offset:         0
        .size:           4
        .value_kind:     by_value
      - .offset:         4
        .size:           1
        .value_kind:     by_value
      - .offset:         8
        .size:           16
        .value_kind:     by_value
    .group_segment_fixed_size: 0
    .kernarg_segment_align: 8
    .kernarg_segment_size: 24
    .language:       OpenCL C
    .language_version:
      - 2
      - 0
    .max_flat_workgroup_size: 256
    .name:           _ZN2at6native29vectorized_elementwise_kernelILi16EZZZNS0_16sqrt_kernel_cudaERNS_18TensorIteratorBaseEENKUlvE0_clEvENKUlvE2_clEvEUlN3c108BFloat16EE_St5arrayIPcLm2EEEEviT0_T1_
    .private_segment_fixed_size: 0
    .sgpr_count:     24
    .sgpr_spill_count: 0
    .symbol:         _ZN2at6native29vectorized_elementwise_kernelILi16EZZZNS0_16sqrt_kernel_cudaERNS_18TensorIteratorBaseEENKUlvE0_clEvENKUlvE2_clEvEUlN3c108BFloat16EE_St5arrayIPcLm2EEEEviT0_T1_.kd
    .uniform_work_group_size: 1
    .uses_dynamic_stack: false
    .vgpr_count:     36
    .vgpr_spill_count: 0
    .wavefront_size: 64
  - .agpr_count:     0
    .args:
      - .offset:         0
        .size:           4
        .value_kind:     by_value
      - .offset:         4
        .size:           1
        .value_kind:     by_value
      - .offset:         8
        .size:           16
        .value_kind:     by_value
    .group_segment_fixed_size: 0
    .kernarg_segment_align: 8
    .kernarg_segment_size: 24
    .language:       OpenCL C
    .language_version:
      - 2
      - 0
    .max_flat_workgroup_size: 256
    .name:           _ZN2at6native29vectorized_elementwise_kernelILi8EZZZNS0_16sqrt_kernel_cudaERNS_18TensorIteratorBaseEENKUlvE0_clEvENKUlvE2_clEvEUlN3c108BFloat16EE_St5arrayIPcLm2EEEEviT0_T1_
    .private_segment_fixed_size: 0
    .sgpr_count:     24
    .sgpr_spill_count: 0
    .symbol:         _ZN2at6native29vectorized_elementwise_kernelILi8EZZZNS0_16sqrt_kernel_cudaERNS_18TensorIteratorBaseEENKUlvE0_clEvENKUlvE2_clEvEUlN3c108BFloat16EE_St5arrayIPcLm2EEEEviT0_T1_.kd
    .uniform_work_group_size: 1
    .uses_dynamic_stack: false
    .vgpr_count:     36
    .vgpr_spill_count: 0
    .wavefront_size: 64
  - .agpr_count:     0
    .args:
      - .offset:         0
        .size:           4
        .value_kind:     by_value
      - .offset:         4
        .size:           1
        .value_kind:     by_value
      - .offset:         8
        .size:           16
        .value_kind:     by_value
    .group_segment_fixed_size: 0
    .kernarg_segment_align: 8
    .kernarg_segment_size: 24
    .language:       OpenCL C
    .language_version:
      - 2
      - 0
    .max_flat_workgroup_size: 256
    .name:           _ZN2at6native29vectorized_elementwise_kernelILi4EZZZNS0_16sqrt_kernel_cudaERNS_18TensorIteratorBaseEENKUlvE0_clEvENKUlvE2_clEvEUlN3c108BFloat16EE_St5arrayIPcLm2EEEEviT0_T1_
    .private_segment_fixed_size: 0
    .sgpr_count:     26
    .sgpr_spill_count: 0
    .symbol:         _ZN2at6native29vectorized_elementwise_kernelILi4EZZZNS0_16sqrt_kernel_cudaERNS_18TensorIteratorBaseEENKUlvE0_clEvENKUlvE2_clEvEUlN3c108BFloat16EE_St5arrayIPcLm2EEEEviT0_T1_.kd
    .uniform_work_group_size: 1
    .uses_dynamic_stack: false
    .vgpr_count:     37
    .vgpr_spill_count: 0
    .wavefront_size: 64
  - .agpr_count:     0
    .args:
      - .offset:         0
        .size:           4
        .value_kind:     by_value
      - .offset:         4
        .size:           1
        .value_kind:     by_value
      - .offset:         8
        .size:           16
        .value_kind:     by_value
    .group_segment_fixed_size: 0
    .kernarg_segment_align: 8
    .kernarg_segment_size: 24
    .language:       OpenCL C
    .language_version:
      - 2
      - 0
    .max_flat_workgroup_size: 256
    .name:           _ZN2at6native29vectorized_elementwise_kernelILi2EZZZNS0_16sqrt_kernel_cudaERNS_18TensorIteratorBaseEENKUlvE0_clEvENKUlvE2_clEvEUlN3c108BFloat16EE_St5arrayIPcLm2EEEEviT0_T1_
    .private_segment_fixed_size: 0
    .sgpr_count:     24
    .sgpr_spill_count: 0
    .symbol:         _ZN2at6native29vectorized_elementwise_kernelILi2EZZZNS0_16sqrt_kernel_cudaERNS_18TensorIteratorBaseEENKUlvE0_clEvENKUlvE2_clEvEUlN3c108BFloat16EE_St5arrayIPcLm2EEEEviT0_T1_.kd
    .uniform_work_group_size: 1
    .uses_dynamic_stack: false
    .vgpr_count:     37
    .vgpr_spill_count: 0
    .wavefront_size: 64
  - .agpr_count:     0
    .args:
      - .offset:         0
        .size:           4
        .value_kind:     by_value
      - .offset:         4
        .size:           1
        .value_kind:     by_value
      - .offset:         8
        .size:           16
        .value_kind:     by_value
      - .offset:         24
        .size:           1
        .value_kind:     by_value
      - .offset:         25
        .size:           1
        .value_kind:     by_value
      - .offset:         26
        .size:           1
        .value_kind:     by_value
      - .offset:         27
        .size:           1
        .value_kind:     by_value
    .group_segment_fixed_size: 0
    .kernarg_segment_align: 8
    .kernarg_segment_size: 28
    .language:       OpenCL C
    .language_version:
      - 2
      - 0
    .max_flat_workgroup_size: 256
    .name:           _ZN2at6native27unrolled_elementwise_kernelIZZZNS0_16sqrt_kernel_cudaERNS_18TensorIteratorBaseEENKUlvE0_clEvENKUlvE2_clEvEUlN3c108BFloat16EE_St5arrayIPcLm2EELi4E23TrivialOffsetCalculatorILi1EjESD_NS0_6memory15LoadWithoutCastENSE_16StoreWithoutCastEEEviT_T0_T2_T3_T4_T5_
    .private_segment_fixed_size: 0
    .sgpr_count:     16
    .sgpr_spill_count: 0
    .symbol:         _ZN2at6native27unrolled_elementwise_kernelIZZZNS0_16sqrt_kernel_cudaERNS_18TensorIteratorBaseEENKUlvE0_clEvENKUlvE2_clEvEUlN3c108BFloat16EE_St5arrayIPcLm2EELi4E23TrivialOffsetCalculatorILi1EjESD_NS0_6memory15LoadWithoutCastENSE_16StoreWithoutCastEEEviT_T0_T2_T3_T4_T5_.kd
    .uniform_work_group_size: 1
    .uses_dynamic_stack: false
    .vgpr_count:     11
    .vgpr_spill_count: 0
    .wavefront_size: 64
  - .agpr_count:     0
    .args:
      - .offset:         0
        .size:           4
        .value_kind:     by_value
      - .offset:         8
        .size:           352
        .value_kind:     by_value
    .group_segment_fixed_size: 0
    .kernarg_segment_align: 8
    .kernarg_segment_size: 360
    .language:       OpenCL C
    .language_version:
      - 2
      - 0
    .max_flat_workgroup_size: 128
    .name:           _ZN2at6native32elementwise_kernel_manual_unrollILi128ELi8EZNS0_22gpu_kernel_impl_nocastIZZZNS0_16sqrt_kernel_cudaERNS_18TensorIteratorBaseEENKUlvE0_clEvENKUlvE2_clEvEUlN3c108BFloat16EE_EEvS4_RKT_EUlibE_EEviT1_
    .private_segment_fixed_size: 0
    .sgpr_count:     66
    .sgpr_spill_count: 0
    .symbol:         _ZN2at6native32elementwise_kernel_manual_unrollILi128ELi8EZNS0_22gpu_kernel_impl_nocastIZZZNS0_16sqrt_kernel_cudaERNS_18TensorIteratorBaseEENKUlvE0_clEvENKUlvE2_clEvEUlN3c108BFloat16EE_EEvS4_RKT_EUlibE_EEviT1_.kd
    .uniform_work_group_size: 1
    .uses_dynamic_stack: false
    .vgpr_count:     44
    .vgpr_spill_count: 0
    .wavefront_size: 64
  - .agpr_count:     0
    .args:
      - .offset:         0
        .size:           4
        .value_kind:     by_value
      - .offset:         8
        .size:           32
        .value_kind:     by_value
    .group_segment_fixed_size: 0
    .kernarg_segment_align: 8
    .kernarg_segment_size: 40
    .language:       OpenCL C
    .language_version:
      - 2
      - 0
    .max_flat_workgroup_size: 128
    .name:           _ZN2at6native32elementwise_kernel_manual_unrollILi128ELi4EZNS0_15gpu_kernel_implIZZZNS0_16sqrt_kernel_cudaERNS_18TensorIteratorBaseEENKUlvE0_clEvENKUlvE2_clEvEUlN3c108BFloat16EE_EEvS4_RKT_EUlibE_EEviT1_
    .private_segment_fixed_size: 0
    .sgpr_count:     50
    .sgpr_spill_count: 0
    .symbol:         _ZN2at6native32elementwise_kernel_manual_unrollILi128ELi4EZNS0_15gpu_kernel_implIZZZNS0_16sqrt_kernel_cudaERNS_18TensorIteratorBaseEENKUlvE0_clEvENKUlvE2_clEvEUlN3c108BFloat16EE_EEvS4_RKT_EUlibE_EEviT1_.kd
    .uniform_work_group_size: 1
    .uses_dynamic_stack: false
    .vgpr_count:     14
    .vgpr_spill_count: 0
    .wavefront_size: 64
  - .agpr_count:     0
    .args:
      - .offset:         0
        .size:           4
        .value_kind:     by_value
      - .offset:         8
        .size:           352
        .value_kind:     by_value
    .group_segment_fixed_size: 0
    .kernarg_segment_align: 8
    .kernarg_segment_size: 360
    .language:       OpenCL C
    .language_version:
      - 2
      - 0
    .max_flat_workgroup_size: 128
    .name:           _ZN2at6native32elementwise_kernel_manual_unrollILi128ELi4EZNS0_15gpu_kernel_implIZZZNS0_16sqrt_kernel_cudaERNS_18TensorIteratorBaseEENKUlvE0_clEvENKUlvE2_clEvEUlN3c108BFloat16EE_EEvS4_RKT_EUlibE0_EEviT1_
    .private_segment_fixed_size: 0
    .sgpr_count:     84
    .sgpr_spill_count: 0
    .symbol:         _ZN2at6native32elementwise_kernel_manual_unrollILi128ELi4EZNS0_15gpu_kernel_implIZZZNS0_16sqrt_kernel_cudaERNS_18TensorIteratorBaseEENKUlvE0_clEvENKUlvE2_clEvEUlN3c108BFloat16EE_EEvS4_RKT_EUlibE0_EEviT1_.kd
    .uniform_work_group_size: 1
    .uses_dynamic_stack: false
    .vgpr_count:     18
    .vgpr_spill_count: 0
    .wavefront_size: 64
  - .agpr_count:     0
    .args:
      - .offset:         0
        .size:           4
        .value_kind:     by_value
      - .offset:         4
        .size:           2
        .value_kind:     by_value
      - .offset:         8
        .size:           16
        .value_kind:     by_value
    .group_segment_fixed_size: 0
    .kernarg_segment_align: 8
    .kernarg_segment_size: 24
    .language:       OpenCL C
    .language_version:
      - 2
      - 0
    .max_flat_workgroup_size: 256
    .name:           _ZN2at6native29vectorized_elementwise_kernelILi16EZZZNS0_17clamp_kernel_cudaERNS_18TensorIteratorBaseERKN3c106ScalarES7_ENKUlvE_clEvENKUlvE_clEvEUlhE_St5arrayIPcLm2EEEEviT0_T1_
    .private_segment_fixed_size: 0
    .sgpr_count:     46
    .sgpr_spill_count: 0
    .symbol:         _ZN2at6native29vectorized_elementwise_kernelILi16EZZZNS0_17clamp_kernel_cudaERNS_18TensorIteratorBaseERKN3c106ScalarES7_ENKUlvE_clEvENKUlvE_clEvEUlhE_St5arrayIPcLm2EEEEviT0_T1_.kd
    .uniform_work_group_size: 1
    .uses_dynamic_stack: false
    .vgpr_count:     21
    .vgpr_spill_count: 0
    .wavefront_size: 64
  - .agpr_count:     0
    .args:
      - .offset:         0
        .size:           4
        .value_kind:     by_value
      - .offset:         4
        .size:           2
        .value_kind:     by_value
      - .offset:         8
        .size:           16
        .value_kind:     by_value
    .group_segment_fixed_size: 0
    .kernarg_segment_align: 8
    .kernarg_segment_size: 24
    .language:       OpenCL C
    .language_version:
      - 2
      - 0
    .max_flat_workgroup_size: 256
    .name:           _ZN2at6native29vectorized_elementwise_kernelILi8EZZZNS0_17clamp_kernel_cudaERNS_18TensorIteratorBaseERKN3c106ScalarES7_ENKUlvE_clEvENKUlvE_clEvEUlhE_St5arrayIPcLm2EEEEviT0_T1_
    .private_segment_fixed_size: 0
    .sgpr_count:     46
    .sgpr_spill_count: 0
    .symbol:         _ZN2at6native29vectorized_elementwise_kernelILi8EZZZNS0_17clamp_kernel_cudaERNS_18TensorIteratorBaseERKN3c106ScalarES7_ENKUlvE_clEvENKUlvE_clEvEUlhE_St5arrayIPcLm2EEEEviT0_T1_.kd
    .uniform_work_group_size: 1
    .uses_dynamic_stack: false
    .vgpr_count:     21
    .vgpr_spill_count: 0
    .wavefront_size: 64
  - .agpr_count:     0
    .args:
      - .offset:         0
        .size:           4
        .value_kind:     by_value
      - .offset:         4
        .size:           2
        .value_kind:     by_value
      - .offset:         8
        .size:           16
        .value_kind:     by_value
    .group_segment_fixed_size: 0
    .kernarg_segment_align: 8
    .kernarg_segment_size: 24
    .language:       OpenCL C
    .language_version:
      - 2
      - 0
    .max_flat_workgroup_size: 256
    .name:           _ZN2at6native29vectorized_elementwise_kernelILi4EZZZNS0_17clamp_kernel_cudaERNS_18TensorIteratorBaseERKN3c106ScalarES7_ENKUlvE_clEvENKUlvE_clEvEUlhE_St5arrayIPcLm2EEEEviT0_T1_
    .private_segment_fixed_size: 0
    .sgpr_count:     46
    .sgpr_spill_count: 0
    .symbol:         _ZN2at6native29vectorized_elementwise_kernelILi4EZZZNS0_17clamp_kernel_cudaERNS_18TensorIteratorBaseERKN3c106ScalarES7_ENKUlvE_clEvENKUlvE_clEvEUlhE_St5arrayIPcLm2EEEEviT0_T1_.kd
    .uniform_work_group_size: 1
    .uses_dynamic_stack: false
    .vgpr_count:     21
    .vgpr_spill_count: 0
    .wavefront_size: 64
  - .agpr_count:     0
    .args:
      - .offset:         0
        .size:           4
        .value_kind:     by_value
      - .offset:         4
        .size:           2
        .value_kind:     by_value
      - .offset:         8
        .size:           16
        .value_kind:     by_value
    .group_segment_fixed_size: 0
    .kernarg_segment_align: 8
    .kernarg_segment_size: 24
    .language:       OpenCL C
    .language_version:
      - 2
      - 0
    .max_flat_workgroup_size: 256
    .name:           _ZN2at6native29vectorized_elementwise_kernelILi2EZZZNS0_17clamp_kernel_cudaERNS_18TensorIteratorBaseERKN3c106ScalarES7_ENKUlvE_clEvENKUlvE_clEvEUlhE_St5arrayIPcLm2EEEEviT0_T1_
    .private_segment_fixed_size: 0
    .sgpr_count:     46
    .sgpr_spill_count: 0
    .symbol:         _ZN2at6native29vectorized_elementwise_kernelILi2EZZZNS0_17clamp_kernel_cudaERNS_18TensorIteratorBaseERKN3c106ScalarES7_ENKUlvE_clEvENKUlvE_clEvEUlhE_St5arrayIPcLm2EEEEviT0_T1_.kd
    .uniform_work_group_size: 1
    .uses_dynamic_stack: false
    .vgpr_count:     21
    .vgpr_spill_count: 0
    .wavefront_size: 64
  - .agpr_count:     0
    .args:
      - .offset:         0
        .size:           4
        .value_kind:     by_value
      - .offset:         4
        .size:           2
        .value_kind:     by_value
      - .offset:         8
        .size:           16
        .value_kind:     by_value
      - .offset:         24
        .size:           1
        .value_kind:     by_value
      - .offset:         25
        .size:           1
        .value_kind:     by_value
      - .offset:         26
        .size:           1
        .value_kind:     by_value
      - .offset:         27
        .size:           1
        .value_kind:     by_value
    .group_segment_fixed_size: 0
    .kernarg_segment_align: 8
    .kernarg_segment_size: 28
    .language:       OpenCL C
    .language_version:
      - 2
      - 0
    .max_flat_workgroup_size: 256
    .name:           _ZN2at6native27unrolled_elementwise_kernelIZZZNS0_17clamp_kernel_cudaERNS_18TensorIteratorBaseERKN3c106ScalarES7_ENKUlvE_clEvENKUlvE_clEvEUlhE_St5arrayIPcLm2EELi4E23TrivialOffsetCalculatorILi1EjESF_NS0_6memory15LoadWithoutCastENSG_16StoreWithoutCastEEEviT_T0_T2_T3_T4_T5_
    .private_segment_fixed_size: 0
    .sgpr_count:     23
    .sgpr_spill_count: 0
    .symbol:         _ZN2at6native27unrolled_elementwise_kernelIZZZNS0_17clamp_kernel_cudaERNS_18TensorIteratorBaseERKN3c106ScalarES7_ENKUlvE_clEvENKUlvE_clEvEUlhE_St5arrayIPcLm2EELi4E23TrivialOffsetCalculatorILi1EjESF_NS0_6memory15LoadWithoutCastENSG_16StoreWithoutCastEEEviT_T0_T2_T3_T4_T5_.kd
    .uniform_work_group_size: 1
    .uses_dynamic_stack: false
    .vgpr_count:     8
    .vgpr_spill_count: 0
    .wavefront_size: 64
  - .agpr_count:     0
    .args:
      - .offset:         0
        .size:           4
        .value_kind:     by_value
      - .offset:         8
        .size:           352
        .value_kind:     by_value
    .group_segment_fixed_size: 0
    .kernarg_segment_align: 8
    .kernarg_segment_size: 360
    .language:       OpenCL C
    .language_version:
      - 2
      - 0
    .max_flat_workgroup_size: 128
    .name:           _ZN2at6native32elementwise_kernel_manual_unrollILi128ELi8EZNS0_22gpu_kernel_impl_nocastIZZZNS0_17clamp_kernel_cudaERNS_18TensorIteratorBaseERKN3c106ScalarES8_ENKUlvE_clEvENKUlvE_clEvEUlhE_EEvS4_RKT_EUlibE_EEviT1_
    .private_segment_fixed_size: 0
    .sgpr_count:     68
    .sgpr_spill_count: 0
    .symbol:         _ZN2at6native32elementwise_kernel_manual_unrollILi128ELi8EZNS0_22gpu_kernel_impl_nocastIZZZNS0_17clamp_kernel_cudaERNS_18TensorIteratorBaseERKN3c106ScalarES8_ENKUlvE_clEvENKUlvE_clEvEUlhE_EEvS4_RKT_EUlibE_EEviT1_.kd
    .uniform_work_group_size: 1
    .uses_dynamic_stack: false
    .vgpr_count:     33
    .vgpr_spill_count: 0
    .wavefront_size: 64
  - .agpr_count:     0
    .args:
      - .offset:         0
        .size:           4
        .value_kind:     by_value
      - .offset:         8
        .size:           32
        .value_kind:     by_value
    .group_segment_fixed_size: 0
    .kernarg_segment_align: 8
    .kernarg_segment_size: 40
    .language:       OpenCL C
    .language_version:
      - 2
      - 0
    .max_flat_workgroup_size: 128
    .name:           _ZN2at6native32elementwise_kernel_manual_unrollILi128ELi4EZNS0_15gpu_kernel_implIZZZNS0_17clamp_kernel_cudaERNS_18TensorIteratorBaseERKN3c106ScalarES8_ENKUlvE_clEvENKUlvE_clEvEUlhE_EEvS4_RKT_EUlibE_EEviT1_
    .private_segment_fixed_size: 0
    .sgpr_count:     54
    .sgpr_spill_count: 0
    .symbol:         _ZN2at6native32elementwise_kernel_manual_unrollILi128ELi4EZNS0_15gpu_kernel_implIZZZNS0_17clamp_kernel_cudaERNS_18TensorIteratorBaseERKN3c106ScalarES8_ENKUlvE_clEvENKUlvE_clEvEUlhE_EEvS4_RKT_EUlibE_EEviT1_.kd
    .uniform_work_group_size: 1
    .uses_dynamic_stack: false
    .vgpr_count:     16
    .vgpr_spill_count: 0
    .wavefront_size: 64
  - .agpr_count:     0
    .args:
      - .offset:         0
        .size:           4
        .value_kind:     by_value
      - .offset:         8
        .size:           352
        .value_kind:     by_value
    .group_segment_fixed_size: 0
    .kernarg_segment_align: 8
    .kernarg_segment_size: 360
    .language:       OpenCL C
    .language_version:
      - 2
      - 0
    .max_flat_workgroup_size: 128
    .name:           _ZN2at6native32elementwise_kernel_manual_unrollILi128ELi4EZNS0_15gpu_kernel_implIZZZNS0_17clamp_kernel_cudaERNS_18TensorIteratorBaseERKN3c106ScalarES8_ENKUlvE_clEvENKUlvE_clEvEUlhE_EEvS4_RKT_EUlibE0_EEviT1_
    .private_segment_fixed_size: 0
    .sgpr_count:     86
    .sgpr_spill_count: 0
    .symbol:         _ZN2at6native32elementwise_kernel_manual_unrollILi128ELi4EZNS0_15gpu_kernel_implIZZZNS0_17clamp_kernel_cudaERNS_18TensorIteratorBaseERKN3c106ScalarES8_ENKUlvE_clEvENKUlvE_clEvEUlhE_EEvS4_RKT_EUlibE0_EEviT1_.kd
    .uniform_work_group_size: 1
    .uses_dynamic_stack: false
    .vgpr_count:     20
    .vgpr_spill_count: 0
    .wavefront_size: 64
  - .agpr_count:     0
    .args:
      - .offset:         0
        .size:           4
        .value_kind:     by_value
      - .offset:         4
        .size:           2
        .value_kind:     by_value
      - .offset:         8
        .size:           16
        .value_kind:     by_value
    .group_segment_fixed_size: 0
    .kernarg_segment_align: 8
    .kernarg_segment_size: 24
    .language:       OpenCL C
    .language_version:
      - 2
      - 0
    .max_flat_workgroup_size: 256
    .name:           _ZN2at6native29vectorized_elementwise_kernelILi16EZZZNS0_17clamp_kernel_cudaERNS_18TensorIteratorBaseERKN3c106ScalarES7_ENKUlvE_clEvENKUlvE0_clEvEUlaE_St5arrayIPcLm2EEEEviT0_T1_
    .private_segment_fixed_size: 0
    .sgpr_count:     47
    .sgpr_spill_count: 0
    .symbol:         _ZN2at6native29vectorized_elementwise_kernelILi16EZZZNS0_17clamp_kernel_cudaERNS_18TensorIteratorBaseERKN3c106ScalarES7_ENKUlvE_clEvENKUlvE0_clEvEUlaE_St5arrayIPcLm2EEEEviT0_T1_.kd
    .uniform_work_group_size: 1
    .uses_dynamic_stack: false
    .vgpr_count:     21
    .vgpr_spill_count: 0
    .wavefront_size: 64
  - .agpr_count:     0
    .args:
      - .offset:         0
        .size:           4
        .value_kind:     by_value
      - .offset:         4
        .size:           2
        .value_kind:     by_value
      - .offset:         8
        .size:           16
        .value_kind:     by_value
    .group_segment_fixed_size: 0
    .kernarg_segment_align: 8
    .kernarg_segment_size: 24
    .language:       OpenCL C
    .language_version:
      - 2
      - 0
    .max_flat_workgroup_size: 256
    .name:           _ZN2at6native29vectorized_elementwise_kernelILi8EZZZNS0_17clamp_kernel_cudaERNS_18TensorIteratorBaseERKN3c106ScalarES7_ENKUlvE_clEvENKUlvE0_clEvEUlaE_St5arrayIPcLm2EEEEviT0_T1_
    .private_segment_fixed_size: 0
    .sgpr_count:     47
    .sgpr_spill_count: 0
    .symbol:         _ZN2at6native29vectorized_elementwise_kernelILi8EZZZNS0_17clamp_kernel_cudaERNS_18TensorIteratorBaseERKN3c106ScalarES7_ENKUlvE_clEvENKUlvE0_clEvEUlaE_St5arrayIPcLm2EEEEviT0_T1_.kd
    .uniform_work_group_size: 1
    .uses_dynamic_stack: false
    .vgpr_count:     21
    .vgpr_spill_count: 0
    .wavefront_size: 64
  - .agpr_count:     0
    .args:
      - .offset:         0
        .size:           4
        .value_kind:     by_value
      - .offset:         4
        .size:           2
        .value_kind:     by_value
      - .offset:         8
        .size:           16
        .value_kind:     by_value
    .group_segment_fixed_size: 0
    .kernarg_segment_align: 8
    .kernarg_segment_size: 24
    .language:       OpenCL C
    .language_version:
      - 2
      - 0
    .max_flat_workgroup_size: 256
    .name:           _ZN2at6native29vectorized_elementwise_kernelILi4EZZZNS0_17clamp_kernel_cudaERNS_18TensorIteratorBaseERKN3c106ScalarES7_ENKUlvE_clEvENKUlvE0_clEvEUlaE_St5arrayIPcLm2EEEEviT0_T1_
    .private_segment_fixed_size: 0
    .sgpr_count:     47
    .sgpr_spill_count: 0
    .symbol:         _ZN2at6native29vectorized_elementwise_kernelILi4EZZZNS0_17clamp_kernel_cudaERNS_18TensorIteratorBaseERKN3c106ScalarES7_ENKUlvE_clEvENKUlvE0_clEvEUlaE_St5arrayIPcLm2EEEEviT0_T1_.kd
    .uniform_work_group_size: 1
    .uses_dynamic_stack: false
    .vgpr_count:     21
    .vgpr_spill_count: 0
    .wavefront_size: 64
  - .agpr_count:     0
    .args:
      - .offset:         0
        .size:           4
        .value_kind:     by_value
      - .offset:         4
        .size:           2
        .value_kind:     by_value
      - .offset:         8
        .size:           16
        .value_kind:     by_value
    .group_segment_fixed_size: 0
    .kernarg_segment_align: 8
    .kernarg_segment_size: 24
    .language:       OpenCL C
    .language_version:
      - 2
      - 0
    .max_flat_workgroup_size: 256
    .name:           _ZN2at6native29vectorized_elementwise_kernelILi2EZZZNS0_17clamp_kernel_cudaERNS_18TensorIteratorBaseERKN3c106ScalarES7_ENKUlvE_clEvENKUlvE0_clEvEUlaE_St5arrayIPcLm2EEEEviT0_T1_
    .private_segment_fixed_size: 0
    .sgpr_count:     47
    .sgpr_spill_count: 0
    .symbol:         _ZN2at6native29vectorized_elementwise_kernelILi2EZZZNS0_17clamp_kernel_cudaERNS_18TensorIteratorBaseERKN3c106ScalarES7_ENKUlvE_clEvENKUlvE0_clEvEUlaE_St5arrayIPcLm2EEEEviT0_T1_.kd
    .uniform_work_group_size: 1
    .uses_dynamic_stack: false
    .vgpr_count:     21
    .vgpr_spill_count: 0
    .wavefront_size: 64
  - .agpr_count:     0
    .args:
      - .offset:         0
        .size:           4
        .value_kind:     by_value
      - .offset:         4
        .size:           2
        .value_kind:     by_value
      - .offset:         8
        .size:           16
        .value_kind:     by_value
      - .offset:         24
        .size:           1
        .value_kind:     by_value
      - .offset:         25
        .size:           1
        .value_kind:     by_value
      - .offset:         26
        .size:           1
        .value_kind:     by_value
      - .offset:         27
        .size:           1
        .value_kind:     by_value
    .group_segment_fixed_size: 0
    .kernarg_segment_align: 8
    .kernarg_segment_size: 28
    .language:       OpenCL C
    .language_version:
      - 2
      - 0
    .max_flat_workgroup_size: 256
    .name:           _ZN2at6native27unrolled_elementwise_kernelIZZZNS0_17clamp_kernel_cudaERNS_18TensorIteratorBaseERKN3c106ScalarES7_ENKUlvE_clEvENKUlvE0_clEvEUlaE_St5arrayIPcLm2EELi4E23TrivialOffsetCalculatorILi1EjESF_NS0_6memory15LoadWithoutCastENSG_16StoreWithoutCastEEEviT_T0_T2_T3_T4_T5_
    .private_segment_fixed_size: 0
    .sgpr_count:     22
    .sgpr_spill_count: 0
    .symbol:         _ZN2at6native27unrolled_elementwise_kernelIZZZNS0_17clamp_kernel_cudaERNS_18TensorIteratorBaseERKN3c106ScalarES7_ENKUlvE_clEvENKUlvE0_clEvEUlaE_St5arrayIPcLm2EELi4E23TrivialOffsetCalculatorILi1EjESF_NS0_6memory15LoadWithoutCastENSG_16StoreWithoutCastEEEviT_T0_T2_T3_T4_T5_.kd
    .uniform_work_group_size: 1
    .uses_dynamic_stack: false
    .vgpr_count:     9
    .vgpr_spill_count: 0
    .wavefront_size: 64
  - .agpr_count:     0
    .args:
      - .offset:         0
        .size:           4
        .value_kind:     by_value
      - .offset:         8
        .size:           352
        .value_kind:     by_value
    .group_segment_fixed_size: 0
    .kernarg_segment_align: 8
    .kernarg_segment_size: 360
    .language:       OpenCL C
    .language_version:
      - 2
      - 0
    .max_flat_workgroup_size: 128
    .name:           _ZN2at6native32elementwise_kernel_manual_unrollILi128ELi8EZNS0_22gpu_kernel_impl_nocastIZZZNS0_17clamp_kernel_cudaERNS_18TensorIteratorBaseERKN3c106ScalarES8_ENKUlvE_clEvENKUlvE0_clEvEUlaE_EEvS4_RKT_EUlibE_EEviT1_
    .private_segment_fixed_size: 0
    .sgpr_count:     68
    .sgpr_spill_count: 0
    .symbol:         _ZN2at6native32elementwise_kernel_manual_unrollILi128ELi8EZNS0_22gpu_kernel_impl_nocastIZZZNS0_17clamp_kernel_cudaERNS_18TensorIteratorBaseERKN3c106ScalarES8_ENKUlvE_clEvENKUlvE0_clEvEUlaE_EEvS4_RKT_EUlibE_EEviT1_.kd
    .uniform_work_group_size: 1
    .uses_dynamic_stack: false
    .vgpr_count:     33
    .vgpr_spill_count: 0
    .wavefront_size: 64
  - .agpr_count:     0
    .args:
      - .offset:         0
        .size:           4
        .value_kind:     by_value
      - .offset:         8
        .size:           32
        .value_kind:     by_value
    .group_segment_fixed_size: 0
    .kernarg_segment_align: 8
    .kernarg_segment_size: 40
    .language:       OpenCL C
    .language_version:
      - 2
      - 0
    .max_flat_workgroup_size: 128
    .name:           _ZN2at6native32elementwise_kernel_manual_unrollILi128ELi4EZNS0_15gpu_kernel_implIZZZNS0_17clamp_kernel_cudaERNS_18TensorIteratorBaseERKN3c106ScalarES8_ENKUlvE_clEvENKUlvE0_clEvEUlaE_EEvS4_RKT_EUlibE_EEviT1_
    .private_segment_fixed_size: 0
    .sgpr_count:     54
    .sgpr_spill_count: 0
    .symbol:         _ZN2at6native32elementwise_kernel_manual_unrollILi128ELi4EZNS0_15gpu_kernel_implIZZZNS0_17clamp_kernel_cudaERNS_18TensorIteratorBaseERKN3c106ScalarES8_ENKUlvE_clEvENKUlvE0_clEvEUlaE_EEvS4_RKT_EUlibE_EEviT1_.kd
    .uniform_work_group_size: 1
    .uses_dynamic_stack: false
    .vgpr_count:     14
    .vgpr_spill_count: 0
    .wavefront_size: 64
  - .agpr_count:     0
    .args:
      - .offset:         0
        .size:           4
        .value_kind:     by_value
      - .offset:         8
        .size:           352
        .value_kind:     by_value
    .group_segment_fixed_size: 0
    .kernarg_segment_align: 8
    .kernarg_segment_size: 360
    .language:       OpenCL C
    .language_version:
      - 2
      - 0
    .max_flat_workgroup_size: 128
    .name:           _ZN2at6native32elementwise_kernel_manual_unrollILi128ELi4EZNS0_15gpu_kernel_implIZZZNS0_17clamp_kernel_cudaERNS_18TensorIteratorBaseERKN3c106ScalarES8_ENKUlvE_clEvENKUlvE0_clEvEUlaE_EEvS4_RKT_EUlibE0_EEviT1_
    .private_segment_fixed_size: 0
    .sgpr_count:     86
    .sgpr_spill_count: 0
    .symbol:         _ZN2at6native32elementwise_kernel_manual_unrollILi128ELi4EZNS0_15gpu_kernel_implIZZZNS0_17clamp_kernel_cudaERNS_18TensorIteratorBaseERKN3c106ScalarES8_ENKUlvE_clEvENKUlvE0_clEvEUlaE_EEvS4_RKT_EUlibE0_EEviT1_.kd
    .uniform_work_group_size: 1
    .uses_dynamic_stack: false
    .vgpr_count:     18
    .vgpr_spill_count: 0
    .wavefront_size: 64
  - .agpr_count:     0
    .args:
      - .offset:         0
        .size:           4
        .value_kind:     by_value
      - .offset:         4
        .size:           8
        .value_kind:     by_value
      - .offset:         16
        .size:           16
        .value_kind:     by_value
    .group_segment_fixed_size: 0
    .kernarg_segment_align: 8
    .kernarg_segment_size: 32
    .language:       OpenCL C
    .language_version:
      - 2
      - 0
    .max_flat_workgroup_size: 256
    .name:           _ZN2at6native29vectorized_elementwise_kernelILi16EZZZNS0_17clamp_kernel_cudaERNS_18TensorIteratorBaseERKN3c106ScalarES7_ENKUlvE_clEvENKUlvE1_clEvEUliE_St5arrayIPcLm2EEEEviT0_T1_
    .private_segment_fixed_size: 0
    .sgpr_count:     24
    .sgpr_spill_count: 0
    .symbol:         _ZN2at6native29vectorized_elementwise_kernelILi16EZZZNS0_17clamp_kernel_cudaERNS_18TensorIteratorBaseERKN3c106ScalarES7_ENKUlvE_clEvENKUlvE1_clEvEUliE_St5arrayIPcLm2EEEEviT0_T1_.kd
    .uniform_work_group_size: 1
    .uses_dynamic_stack: false
    .vgpr_count:     9
    .vgpr_spill_count: 0
    .wavefront_size: 64
  - .agpr_count:     0
    .args:
      - .offset:         0
        .size:           4
        .value_kind:     by_value
      - .offset:         4
        .size:           8
        .value_kind:     by_value
      - .offset:         16
        .size:           16
        .value_kind:     by_value
    .group_segment_fixed_size: 0
    .kernarg_segment_align: 8
    .kernarg_segment_size: 32
    .language:       OpenCL C
    .language_version:
      - 2
      - 0
    .max_flat_workgroup_size: 256
    .name:           _ZN2at6native29vectorized_elementwise_kernelILi8EZZZNS0_17clamp_kernel_cudaERNS_18TensorIteratorBaseERKN3c106ScalarES7_ENKUlvE_clEvENKUlvE1_clEvEUliE_St5arrayIPcLm2EEEEviT0_T1_
    .private_segment_fixed_size: 0
    .sgpr_count:     24
    .sgpr_spill_count: 0
    .symbol:         _ZN2at6native29vectorized_elementwise_kernelILi8EZZZNS0_17clamp_kernel_cudaERNS_18TensorIteratorBaseERKN3c106ScalarES7_ENKUlvE_clEvENKUlvE1_clEvEUliE_St5arrayIPcLm2EEEEviT0_T1_.kd
    .uniform_work_group_size: 1
    .uses_dynamic_stack: false
    .vgpr_count:     9
    .vgpr_spill_count: 0
    .wavefront_size: 64
  - .agpr_count:     0
    .args:
      - .offset:         0
        .size:           4
        .value_kind:     by_value
      - .offset:         4
        .size:           8
        .value_kind:     by_value
      - .offset:         16
        .size:           16
        .value_kind:     by_value
    .group_segment_fixed_size: 0
    .kernarg_segment_align: 8
    .kernarg_segment_size: 32
    .language:       OpenCL C
    .language_version:
      - 2
      - 0
    .max_flat_workgroup_size: 256
    .name:           _ZN2at6native29vectorized_elementwise_kernelILi4EZZZNS0_17clamp_kernel_cudaERNS_18TensorIteratorBaseERKN3c106ScalarES7_ENKUlvE_clEvENKUlvE1_clEvEUliE_St5arrayIPcLm2EEEEviT0_T1_
    .private_segment_fixed_size: 0
    .sgpr_count:     24
    .sgpr_spill_count: 0
    .symbol:         _ZN2at6native29vectorized_elementwise_kernelILi4EZZZNS0_17clamp_kernel_cudaERNS_18TensorIteratorBaseERKN3c106ScalarES7_ENKUlvE_clEvENKUlvE1_clEvEUliE_St5arrayIPcLm2EEEEviT0_T1_.kd
    .uniform_work_group_size: 1
    .uses_dynamic_stack: false
    .vgpr_count:     9
    .vgpr_spill_count: 0
    .wavefront_size: 64
  - .agpr_count:     0
    .args:
      - .offset:         0
        .size:           4
        .value_kind:     by_value
      - .offset:         4
        .size:           8
        .value_kind:     by_value
      - .offset:         16
        .size:           16
        .value_kind:     by_value
    .group_segment_fixed_size: 0
    .kernarg_segment_align: 8
    .kernarg_segment_size: 32
    .language:       OpenCL C
    .language_version:
      - 2
      - 0
    .max_flat_workgroup_size: 256
    .name:           _ZN2at6native29vectorized_elementwise_kernelILi2EZZZNS0_17clamp_kernel_cudaERNS_18TensorIteratorBaseERKN3c106ScalarES7_ENKUlvE_clEvENKUlvE1_clEvEUliE_St5arrayIPcLm2EEEEviT0_T1_
    .private_segment_fixed_size: 0
    .sgpr_count:     24
    .sgpr_spill_count: 0
    .symbol:         _ZN2at6native29vectorized_elementwise_kernelILi2EZZZNS0_17clamp_kernel_cudaERNS_18TensorIteratorBaseERKN3c106ScalarES7_ENKUlvE_clEvENKUlvE1_clEvEUliE_St5arrayIPcLm2EEEEviT0_T1_.kd
    .uniform_work_group_size: 1
    .uses_dynamic_stack: false
    .vgpr_count:     9
    .vgpr_spill_count: 0
    .wavefront_size: 64
  - .agpr_count:     0
    .args:
      - .offset:         0
        .size:           4
        .value_kind:     by_value
      - .offset:         4
        .size:           8
        .value_kind:     by_value
      - .offset:         16
        .size:           16
        .value_kind:     by_value
      - .offset:         32
        .size:           1
        .value_kind:     by_value
      - .offset:         33
        .size:           1
        .value_kind:     by_value
      - .offset:         34
        .size:           1
        .value_kind:     by_value
      - .offset:         35
        .size:           1
        .value_kind:     by_value
    .group_segment_fixed_size: 0
    .kernarg_segment_align: 8
    .kernarg_segment_size: 36
    .language:       OpenCL C
    .language_version:
      - 2
      - 0
    .max_flat_workgroup_size: 256
    .name:           _ZN2at6native27unrolled_elementwise_kernelIZZZNS0_17clamp_kernel_cudaERNS_18TensorIteratorBaseERKN3c106ScalarES7_ENKUlvE_clEvENKUlvE1_clEvEUliE_St5arrayIPcLm2EELi4E23TrivialOffsetCalculatorILi1EjESF_NS0_6memory15LoadWithoutCastENSG_16StoreWithoutCastEEEviT_T0_T2_T3_T4_T5_
    .private_segment_fixed_size: 0
    .sgpr_count:     24
    .sgpr_spill_count: 0
    .symbol:         _ZN2at6native27unrolled_elementwise_kernelIZZZNS0_17clamp_kernel_cudaERNS_18TensorIteratorBaseERKN3c106ScalarES7_ENKUlvE_clEvENKUlvE1_clEvEUliE_St5arrayIPcLm2EELi4E23TrivialOffsetCalculatorILi1EjESF_NS0_6memory15LoadWithoutCastENSG_16StoreWithoutCastEEEviT_T0_T2_T3_T4_T5_.kd
    .uniform_work_group_size: 1
    .uses_dynamic_stack: false
    .vgpr_count:     9
    .vgpr_spill_count: 0
    .wavefront_size: 64
  - .agpr_count:     0
    .args:
      - .offset:         0
        .size:           4
        .value_kind:     by_value
      - .offset:         8
        .size:           352
        .value_kind:     by_value
    .group_segment_fixed_size: 0
    .kernarg_segment_align: 8
    .kernarg_segment_size: 360
    .language:       OpenCL C
    .language_version:
      - 2
      - 0
    .max_flat_workgroup_size: 128
    .name:           _ZN2at6native32elementwise_kernel_manual_unrollILi128ELi4EZNS0_22gpu_kernel_impl_nocastIZZZNS0_17clamp_kernel_cudaERNS_18TensorIteratorBaseERKN3c106ScalarES8_ENKUlvE_clEvENKUlvE1_clEvEUliE_EEvS4_RKT_EUlibE_EEviT1_
    .private_segment_fixed_size: 0
    .sgpr_count:     68
    .sgpr_spill_count: 0
    .symbol:         _ZN2at6native32elementwise_kernel_manual_unrollILi128ELi4EZNS0_22gpu_kernel_impl_nocastIZZZNS0_17clamp_kernel_cudaERNS_18TensorIteratorBaseERKN3c106ScalarES8_ENKUlvE_clEvENKUlvE1_clEvEUliE_EEvS4_RKT_EUlibE_EEviT1_.kd
    .uniform_work_group_size: 1
    .uses_dynamic_stack: false
    .vgpr_count:     17
    .vgpr_spill_count: 0
    .wavefront_size: 64
  - .agpr_count:     0
    .args:
      - .offset:         0
        .size:           4
        .value_kind:     by_value
      - .offset:         8
        .size:           40
        .value_kind:     by_value
    .group_segment_fixed_size: 0
    .kernarg_segment_align: 8
    .kernarg_segment_size: 48
    .language:       OpenCL C
    .language_version:
      - 2
      - 0
    .max_flat_workgroup_size: 128
    .name:           _ZN2at6native32elementwise_kernel_manual_unrollILi128ELi4EZNS0_15gpu_kernel_implIZZZNS0_17clamp_kernel_cudaERNS_18TensorIteratorBaseERKN3c106ScalarES8_ENKUlvE_clEvENKUlvE1_clEvEUliE_EEvS4_RKT_EUlibE_EEviT1_
    .private_segment_fixed_size: 0
    .sgpr_count:     54
    .sgpr_spill_count: 0
    .symbol:         _ZN2at6native32elementwise_kernel_manual_unrollILi128ELi4EZNS0_15gpu_kernel_implIZZZNS0_17clamp_kernel_cudaERNS_18TensorIteratorBaseERKN3c106ScalarES8_ENKUlvE_clEvENKUlvE1_clEvEUliE_EEvS4_RKT_EUlibE_EEviT1_.kd
    .uniform_work_group_size: 1
    .uses_dynamic_stack: false
    .vgpr_count:     14
    .vgpr_spill_count: 0
    .wavefront_size: 64
  - .agpr_count:     0
    .args:
      - .offset:         0
        .size:           4
        .value_kind:     by_value
      - .offset:         8
        .size:           360
        .value_kind:     by_value
    .group_segment_fixed_size: 0
    .kernarg_segment_align: 8
    .kernarg_segment_size: 368
    .language:       OpenCL C
    .language_version:
      - 2
      - 0
    .max_flat_workgroup_size: 128
    .name:           _ZN2at6native32elementwise_kernel_manual_unrollILi128ELi4EZNS0_15gpu_kernel_implIZZZNS0_17clamp_kernel_cudaERNS_18TensorIteratorBaseERKN3c106ScalarES8_ENKUlvE_clEvENKUlvE1_clEvEUliE_EEvS4_RKT_EUlibE0_EEviT1_
    .private_segment_fixed_size: 0
    .sgpr_count:     86
    .sgpr_spill_count: 0
    .symbol:         _ZN2at6native32elementwise_kernel_manual_unrollILi128ELi4EZNS0_15gpu_kernel_implIZZZNS0_17clamp_kernel_cudaERNS_18TensorIteratorBaseERKN3c106ScalarES8_ENKUlvE_clEvENKUlvE1_clEvEUliE_EEvS4_RKT_EUlibE0_EEviT1_.kd
    .uniform_work_group_size: 1
    .uses_dynamic_stack: false
    .vgpr_count:     18
    .vgpr_spill_count: 0
    .wavefront_size: 64
  - .agpr_count:     0
    .args:
      - .offset:         0
        .size:           4
        .value_kind:     by_value
      - .offset:         8
        .size:           16
        .value_kind:     by_value
      - .offset:         24
        .size:           16
        .value_kind:     by_value
    .group_segment_fixed_size: 0
    .kernarg_segment_align: 8
    .kernarg_segment_size: 40
    .language:       OpenCL C
    .language_version:
      - 2
      - 0
    .max_flat_workgroup_size: 256
    .name:           _ZN2at6native29vectorized_elementwise_kernelILi16EZZZNS0_17clamp_kernel_cudaERNS_18TensorIteratorBaseERKN3c106ScalarES7_ENKUlvE_clEvENKUlvE2_clEvEUllE_St5arrayIPcLm2EEEEviT0_T1_
    .private_segment_fixed_size: 0
    .sgpr_count:     26
    .sgpr_spill_count: 0
    .symbol:         _ZN2at6native29vectorized_elementwise_kernelILi16EZZZNS0_17clamp_kernel_cudaERNS_18TensorIteratorBaseERKN3c106ScalarES7_ENKUlvE_clEvENKUlvE2_clEvEUllE_St5arrayIPcLm2EEEEviT0_T1_.kd
    .uniform_work_group_size: 1
    .uses_dynamic_stack: false
    .vgpr_count:     19
    .vgpr_spill_count: 0
    .wavefront_size: 64
  - .agpr_count:     0
    .args:
      - .offset:         0
        .size:           4
        .value_kind:     by_value
      - .offset:         8
        .size:           16
        .value_kind:     by_value
      - .offset:         24
        .size:           16
        .value_kind:     by_value
    .group_segment_fixed_size: 0
    .kernarg_segment_align: 8
    .kernarg_segment_size: 40
    .language:       OpenCL C
    .language_version:
      - 2
      - 0
    .max_flat_workgroup_size: 256
    .name:           _ZN2at6native29vectorized_elementwise_kernelILi8EZZZNS0_17clamp_kernel_cudaERNS_18TensorIteratorBaseERKN3c106ScalarES7_ENKUlvE_clEvENKUlvE2_clEvEUllE_St5arrayIPcLm2EEEEviT0_T1_
    .private_segment_fixed_size: 0
    .sgpr_count:     26
    .sgpr_spill_count: 0
    .symbol:         _ZN2at6native29vectorized_elementwise_kernelILi8EZZZNS0_17clamp_kernel_cudaERNS_18TensorIteratorBaseERKN3c106ScalarES7_ENKUlvE_clEvENKUlvE2_clEvEUllE_St5arrayIPcLm2EEEEviT0_T1_.kd
    .uniform_work_group_size: 1
    .uses_dynamic_stack: false
    .vgpr_count:     19
    .vgpr_spill_count: 0
    .wavefront_size: 64
  - .agpr_count:     0
    .args:
      - .offset:         0
        .size:           4
        .value_kind:     by_value
      - .offset:         8
        .size:           16
        .value_kind:     by_value
      - .offset:         24
        .size:           16
        .value_kind:     by_value
    .group_segment_fixed_size: 0
    .kernarg_segment_align: 8
    .kernarg_segment_size: 40
    .language:       OpenCL C
    .language_version:
      - 2
      - 0
    .max_flat_workgroup_size: 256
    .name:           _ZN2at6native29vectorized_elementwise_kernelILi4EZZZNS0_17clamp_kernel_cudaERNS_18TensorIteratorBaseERKN3c106ScalarES7_ENKUlvE_clEvENKUlvE2_clEvEUllE_St5arrayIPcLm2EEEEviT0_T1_
    .private_segment_fixed_size: 0
    .sgpr_count:     26
    .sgpr_spill_count: 0
    .symbol:         _ZN2at6native29vectorized_elementwise_kernelILi4EZZZNS0_17clamp_kernel_cudaERNS_18TensorIteratorBaseERKN3c106ScalarES7_ENKUlvE_clEvENKUlvE2_clEvEUllE_St5arrayIPcLm2EEEEviT0_T1_.kd
    .uniform_work_group_size: 1
    .uses_dynamic_stack: false
    .vgpr_count:     19
    .vgpr_spill_count: 0
    .wavefront_size: 64
  - .agpr_count:     0
    .args:
      - .offset:         0
        .size:           4
        .value_kind:     by_value
      - .offset:         8
        .size:           16
        .value_kind:     by_value
      - .offset:         24
        .size:           16
        .value_kind:     by_value
    .group_segment_fixed_size: 0
    .kernarg_segment_align: 8
    .kernarg_segment_size: 40
    .language:       OpenCL C
    .language_version:
      - 2
      - 0
    .max_flat_workgroup_size: 256
    .name:           _ZN2at6native29vectorized_elementwise_kernelILi2EZZZNS0_17clamp_kernel_cudaERNS_18TensorIteratorBaseERKN3c106ScalarES7_ENKUlvE_clEvENKUlvE2_clEvEUllE_St5arrayIPcLm2EEEEviT0_T1_
    .private_segment_fixed_size: 0
    .sgpr_count:     21
    .sgpr_spill_count: 0
    .symbol:         _ZN2at6native29vectorized_elementwise_kernelILi2EZZZNS0_17clamp_kernel_cudaERNS_18TensorIteratorBaseERKN3c106ScalarES7_ENKUlvE_clEvENKUlvE2_clEvEUllE_St5arrayIPcLm2EEEEviT0_T1_.kd
    .uniform_work_group_size: 1
    .uses_dynamic_stack: false
    .vgpr_count:     19
    .vgpr_spill_count: 0
    .wavefront_size: 64
  - .agpr_count:     0
    .args:
      - .offset:         0
        .size:           4
        .value_kind:     by_value
      - .offset:         8
        .size:           16
        .value_kind:     by_value
      - .offset:         24
        .size:           16
        .value_kind:     by_value
      - .offset:         40
        .size:           1
        .value_kind:     by_value
      - .offset:         41
        .size:           1
        .value_kind:     by_value
      - .offset:         42
        .size:           1
        .value_kind:     by_value
      - .offset:         43
        .size:           1
        .value_kind:     by_value
    .group_segment_fixed_size: 0
    .kernarg_segment_align: 8
    .kernarg_segment_size: 44
    .language:       OpenCL C
    .language_version:
      - 2
      - 0
    .max_flat_workgroup_size: 256
    .name:           _ZN2at6native27unrolled_elementwise_kernelIZZZNS0_17clamp_kernel_cudaERNS_18TensorIteratorBaseERKN3c106ScalarES7_ENKUlvE_clEvENKUlvE2_clEvEUllE_St5arrayIPcLm2EELi4E23TrivialOffsetCalculatorILi1EjESF_NS0_6memory15LoadWithoutCastENSG_16StoreWithoutCastEEEviT_T0_T2_T3_T4_T5_
    .private_segment_fixed_size: 0
    .sgpr_count:     20
    .sgpr_spill_count: 0
    .symbol:         _ZN2at6native27unrolled_elementwise_kernelIZZZNS0_17clamp_kernel_cudaERNS_18TensorIteratorBaseERKN3c106ScalarES7_ENKUlvE_clEvENKUlvE2_clEvEUllE_St5arrayIPcLm2EELi4E23TrivialOffsetCalculatorILi1EjESF_NS0_6memory15LoadWithoutCastENSG_16StoreWithoutCastEEEviT_T0_T2_T3_T4_T5_.kd
    .uniform_work_group_size: 1
    .uses_dynamic_stack: false
    .vgpr_count:     19
    .vgpr_spill_count: 0
    .wavefront_size: 64
  - .agpr_count:     0
    .args:
      - .offset:         0
        .size:           4
        .value_kind:     by_value
      - .offset:         8
        .size:           360
        .value_kind:     by_value
    .group_segment_fixed_size: 0
    .kernarg_segment_align: 8
    .kernarg_segment_size: 368
    .language:       OpenCL C
    .language_version:
      - 2
      - 0
    .max_flat_workgroup_size: 128
    .name:           _ZN2at6native32elementwise_kernel_manual_unrollILi128ELi4EZNS0_22gpu_kernel_impl_nocastIZZZNS0_17clamp_kernel_cudaERNS_18TensorIteratorBaseERKN3c106ScalarES8_ENKUlvE_clEvENKUlvE2_clEvEUllE_EEvS4_RKT_EUlibE_EEviT1_
    .private_segment_fixed_size: 0
    .sgpr_count:     70
    .sgpr_spill_count: 0
    .symbol:         _ZN2at6native32elementwise_kernel_manual_unrollILi128ELi4EZNS0_22gpu_kernel_impl_nocastIZZZNS0_17clamp_kernel_cudaERNS_18TensorIteratorBaseERKN3c106ScalarES8_ENKUlvE_clEvENKUlvE2_clEvEUllE_EEvS4_RKT_EUlibE_EEviT1_.kd
    .uniform_work_group_size: 1
    .uses_dynamic_stack: false
    .vgpr_count:     24
    .vgpr_spill_count: 0
    .wavefront_size: 64
  - .agpr_count:     0
    .args:
      - .offset:         0
        .size:           4
        .value_kind:     by_value
      - .offset:         8
        .size:           48
        .value_kind:     by_value
    .group_segment_fixed_size: 0
    .kernarg_segment_align: 8
    .kernarg_segment_size: 56
    .language:       OpenCL C
    .language_version:
      - 2
      - 0
    .max_flat_workgroup_size: 128
    .name:           _ZN2at6native32elementwise_kernel_manual_unrollILi128ELi4EZNS0_15gpu_kernel_implIZZZNS0_17clamp_kernel_cudaERNS_18TensorIteratorBaseERKN3c106ScalarES8_ENKUlvE_clEvENKUlvE2_clEvEUllE_EEvS4_RKT_EUlibE_EEviT1_
    .private_segment_fixed_size: 0
    .sgpr_count:     56
    .sgpr_spill_count: 0
    .symbol:         _ZN2at6native32elementwise_kernel_manual_unrollILi128ELi4EZNS0_15gpu_kernel_implIZZZNS0_17clamp_kernel_cudaERNS_18TensorIteratorBaseERKN3c106ScalarES8_ENKUlvE_clEvENKUlvE2_clEvEUllE_EEvS4_RKT_EUlibE_EEviT1_.kd
    .uniform_work_group_size: 1
    .uses_dynamic_stack: false
    .vgpr_count:     16
    .vgpr_spill_count: 0
    .wavefront_size: 64
  - .agpr_count:     0
    .args:
      - .offset:         0
        .size:           4
        .value_kind:     by_value
      - .offset:         8
        .size:           368
        .value_kind:     by_value
    .group_segment_fixed_size: 0
    .kernarg_segment_align: 8
    .kernarg_segment_size: 376
    .language:       OpenCL C
    .language_version:
      - 2
      - 0
    .max_flat_workgroup_size: 128
    .name:           _ZN2at6native32elementwise_kernel_manual_unrollILi128ELi4EZNS0_15gpu_kernel_implIZZZNS0_17clamp_kernel_cudaERNS_18TensorIteratorBaseERKN3c106ScalarES8_ENKUlvE_clEvENKUlvE2_clEvEUllE_EEvS4_RKT_EUlibE0_EEviT1_
    .private_segment_fixed_size: 0
    .sgpr_count:     88
    .sgpr_spill_count: 0
    .symbol:         _ZN2at6native32elementwise_kernel_manual_unrollILi128ELi4EZNS0_15gpu_kernel_implIZZZNS0_17clamp_kernel_cudaERNS_18TensorIteratorBaseERKN3c106ScalarES8_ENKUlvE_clEvENKUlvE2_clEvEUllE_EEvS4_RKT_EUlibE0_EEviT1_.kd
    .uniform_work_group_size: 1
    .uses_dynamic_stack: false
    .vgpr_count:     22
    .vgpr_spill_count: 0
    .wavefront_size: 64
  - .agpr_count:     0
    .args:
      - .offset:         0
        .size:           4
        .value_kind:     by_value
      - .offset:         4
        .size:           4
        .value_kind:     by_value
      - .offset:         8
        .size:           16
        .value_kind:     by_value
    .group_segment_fixed_size: 0
    .kernarg_segment_align: 8
    .kernarg_segment_size: 24
    .language:       OpenCL C
    .language_version:
      - 2
      - 0
    .max_flat_workgroup_size: 256
    .name:           _ZN2at6native29vectorized_elementwise_kernelILi16EZZZNS0_17clamp_kernel_cudaERNS_18TensorIteratorBaseERKN3c106ScalarES7_ENKUlvE_clEvENKUlvE3_clEvEUlsE_St5arrayIPcLm2EEEEviT0_T1_
    .private_segment_fixed_size: 0
    .sgpr_count:     18
    .sgpr_spill_count: 0
    .symbol:         _ZN2at6native29vectorized_elementwise_kernelILi16EZZZNS0_17clamp_kernel_cudaERNS_18TensorIteratorBaseERKN3c106ScalarES7_ENKUlvE_clEvENKUlvE3_clEvEUlsE_St5arrayIPcLm2EEEEviT0_T1_.kd
    .uniform_work_group_size: 1
    .uses_dynamic_stack: false
    .vgpr_count:     14
    .vgpr_spill_count: 0
    .wavefront_size: 64
  - .agpr_count:     0
    .args:
      - .offset:         0
        .size:           4
        .value_kind:     by_value
      - .offset:         4
        .size:           4
        .value_kind:     by_value
      - .offset:         8
        .size:           16
        .value_kind:     by_value
    .group_segment_fixed_size: 0
    .kernarg_segment_align: 8
    .kernarg_segment_size: 24
    .language:       OpenCL C
    .language_version:
      - 2
      - 0
    .max_flat_workgroup_size: 256
    .name:           _ZN2at6native29vectorized_elementwise_kernelILi8EZZZNS0_17clamp_kernel_cudaERNS_18TensorIteratorBaseERKN3c106ScalarES7_ENKUlvE_clEvENKUlvE3_clEvEUlsE_St5arrayIPcLm2EEEEviT0_T1_
    .private_segment_fixed_size: 0
    .sgpr_count:     18
    .sgpr_spill_count: 0
    .symbol:         _ZN2at6native29vectorized_elementwise_kernelILi8EZZZNS0_17clamp_kernel_cudaERNS_18TensorIteratorBaseERKN3c106ScalarES7_ENKUlvE_clEvENKUlvE3_clEvEUlsE_St5arrayIPcLm2EEEEviT0_T1_.kd
    .uniform_work_group_size: 1
    .uses_dynamic_stack: false
    .vgpr_count:     14
    .vgpr_spill_count: 0
    .wavefront_size: 64
  - .agpr_count:     0
    .args:
      - .offset:         0
        .size:           4
        .value_kind:     by_value
      - .offset:         4
        .size:           4
        .value_kind:     by_value
      - .offset:         8
        .size:           16
        .value_kind:     by_value
    .group_segment_fixed_size: 0
    .kernarg_segment_align: 8
    .kernarg_segment_size: 24
    .language:       OpenCL C
    .language_version:
      - 2
      - 0
    .max_flat_workgroup_size: 256
    .name:           _ZN2at6native29vectorized_elementwise_kernelILi4EZZZNS0_17clamp_kernel_cudaERNS_18TensorIteratorBaseERKN3c106ScalarES7_ENKUlvE_clEvENKUlvE3_clEvEUlsE_St5arrayIPcLm2EEEEviT0_T1_
    .private_segment_fixed_size: 0
    .sgpr_count:     18
    .sgpr_spill_count: 0
    .symbol:         _ZN2at6native29vectorized_elementwise_kernelILi4EZZZNS0_17clamp_kernel_cudaERNS_18TensorIteratorBaseERKN3c106ScalarES7_ENKUlvE_clEvENKUlvE3_clEvEUlsE_St5arrayIPcLm2EEEEviT0_T1_.kd
    .uniform_work_group_size: 1
    .uses_dynamic_stack: false
    .vgpr_count:     14
    .vgpr_spill_count: 0
    .wavefront_size: 64
  - .agpr_count:     0
    .args:
      - .offset:         0
        .size:           4
        .value_kind:     by_value
      - .offset:         4
        .size:           4
        .value_kind:     by_value
      - .offset:         8
        .size:           16
        .value_kind:     by_value
    .group_segment_fixed_size: 0
    .kernarg_segment_align: 8
    .kernarg_segment_size: 24
    .language:       OpenCL C
    .language_version:
      - 2
      - 0
    .max_flat_workgroup_size: 256
    .name:           _ZN2at6native29vectorized_elementwise_kernelILi2EZZZNS0_17clamp_kernel_cudaERNS_18TensorIteratorBaseERKN3c106ScalarES7_ENKUlvE_clEvENKUlvE3_clEvEUlsE_St5arrayIPcLm2EEEEviT0_T1_
    .private_segment_fixed_size: 0
    .sgpr_count:     18
    .sgpr_spill_count: 0
    .symbol:         _ZN2at6native29vectorized_elementwise_kernelILi2EZZZNS0_17clamp_kernel_cudaERNS_18TensorIteratorBaseERKN3c106ScalarES7_ENKUlvE_clEvENKUlvE3_clEvEUlsE_St5arrayIPcLm2EEEEviT0_T1_.kd
    .uniform_work_group_size: 1
    .uses_dynamic_stack: false
    .vgpr_count:     14
    .vgpr_spill_count: 0
    .wavefront_size: 64
  - .agpr_count:     0
    .args:
      - .offset:         0
        .size:           4
        .value_kind:     by_value
      - .offset:         4
        .size:           4
        .value_kind:     by_value
      - .offset:         8
        .size:           16
        .value_kind:     by_value
      - .offset:         24
        .size:           1
        .value_kind:     by_value
      - .offset:         25
        .size:           1
        .value_kind:     by_value
      - .offset:         26
        .size:           1
        .value_kind:     by_value
      - .offset:         27
        .size:           1
        .value_kind:     by_value
    .group_segment_fixed_size: 0
    .kernarg_segment_align: 8
    .kernarg_segment_size: 28
    .language:       OpenCL C
    .language_version:
      - 2
      - 0
    .max_flat_workgroup_size: 256
    .name:           _ZN2at6native27unrolled_elementwise_kernelIZZZNS0_17clamp_kernel_cudaERNS_18TensorIteratorBaseERKN3c106ScalarES7_ENKUlvE_clEvENKUlvE3_clEvEUlsE_St5arrayIPcLm2EELi4E23TrivialOffsetCalculatorILi1EjESF_NS0_6memory15LoadWithoutCastENSG_16StoreWithoutCastEEEviT_T0_T2_T3_T4_T5_
    .private_segment_fixed_size: 0
    .sgpr_count:     17
    .sgpr_spill_count: 0
    .symbol:         _ZN2at6native27unrolled_elementwise_kernelIZZZNS0_17clamp_kernel_cudaERNS_18TensorIteratorBaseERKN3c106ScalarES7_ENKUlvE_clEvENKUlvE3_clEvEUlsE_St5arrayIPcLm2EELi4E23TrivialOffsetCalculatorILi1EjESF_NS0_6memory15LoadWithoutCastENSG_16StoreWithoutCastEEEviT_T0_T2_T3_T4_T5_.kd
    .uniform_work_group_size: 1
    .uses_dynamic_stack: false
    .vgpr_count:     8
    .vgpr_spill_count: 0
    .wavefront_size: 64
  - .agpr_count:     0
    .args:
      - .offset:         0
        .size:           4
        .value_kind:     by_value
      - .offset:         8
        .size:           352
        .value_kind:     by_value
    .group_segment_fixed_size: 0
    .kernarg_segment_align: 8
    .kernarg_segment_size: 360
    .language:       OpenCL C
    .language_version:
      - 2
      - 0
    .max_flat_workgroup_size: 128
    .name:           _ZN2at6native32elementwise_kernel_manual_unrollILi128ELi8EZNS0_22gpu_kernel_impl_nocastIZZZNS0_17clamp_kernel_cudaERNS_18TensorIteratorBaseERKN3c106ScalarES8_ENKUlvE_clEvENKUlvE3_clEvEUlsE_EEvS4_RKT_EUlibE_EEviT1_
    .private_segment_fixed_size: 0
    .sgpr_count:     68
    .sgpr_spill_count: 0
    .symbol:         _ZN2at6native32elementwise_kernel_manual_unrollILi128ELi8EZNS0_22gpu_kernel_impl_nocastIZZZNS0_17clamp_kernel_cudaERNS_18TensorIteratorBaseERKN3c106ScalarES8_ENKUlvE_clEvENKUlvE3_clEvEUlsE_EEvS4_RKT_EUlibE_EEviT1_.kd
    .uniform_work_group_size: 1
    .uses_dynamic_stack: false
    .vgpr_count:     33
    .vgpr_spill_count: 0
    .wavefront_size: 64
  - .agpr_count:     0
    .args:
      - .offset:         0
        .size:           4
        .value_kind:     by_value
      - .offset:         8
        .size:           32
        .value_kind:     by_value
    .group_segment_fixed_size: 0
    .kernarg_segment_align: 8
    .kernarg_segment_size: 40
    .language:       OpenCL C
    .language_version:
      - 2
      - 0
    .max_flat_workgroup_size: 128
    .name:           _ZN2at6native32elementwise_kernel_manual_unrollILi128ELi4EZNS0_15gpu_kernel_implIZZZNS0_17clamp_kernel_cudaERNS_18TensorIteratorBaseERKN3c106ScalarES8_ENKUlvE_clEvENKUlvE3_clEvEUlsE_EEvS4_RKT_EUlibE_EEviT1_
    .private_segment_fixed_size: 0
    .sgpr_count:     54
    .sgpr_spill_count: 0
    .symbol:         _ZN2at6native32elementwise_kernel_manual_unrollILi128ELi4EZNS0_15gpu_kernel_implIZZZNS0_17clamp_kernel_cudaERNS_18TensorIteratorBaseERKN3c106ScalarES8_ENKUlvE_clEvENKUlvE3_clEvEUlsE_EEvS4_RKT_EUlibE_EEviT1_.kd
    .uniform_work_group_size: 1
    .uses_dynamic_stack: false
    .vgpr_count:     14
    .vgpr_spill_count: 0
    .wavefront_size: 64
  - .agpr_count:     0
    .args:
      - .offset:         0
        .size:           4
        .value_kind:     by_value
      - .offset:         8
        .size:           352
        .value_kind:     by_value
    .group_segment_fixed_size: 0
    .kernarg_segment_align: 8
    .kernarg_segment_size: 360
    .language:       OpenCL C
    .language_version:
      - 2
      - 0
    .max_flat_workgroup_size: 128
    .name:           _ZN2at6native32elementwise_kernel_manual_unrollILi128ELi4EZNS0_15gpu_kernel_implIZZZNS0_17clamp_kernel_cudaERNS_18TensorIteratorBaseERKN3c106ScalarES8_ENKUlvE_clEvENKUlvE3_clEvEUlsE_EEvS4_RKT_EUlibE0_EEviT1_
    .private_segment_fixed_size: 0
    .sgpr_count:     86
    .sgpr_spill_count: 0
    .symbol:         _ZN2at6native32elementwise_kernel_manual_unrollILi128ELi4EZNS0_15gpu_kernel_implIZZZNS0_17clamp_kernel_cudaERNS_18TensorIteratorBaseERKN3c106ScalarES8_ENKUlvE_clEvENKUlvE3_clEvEUlsE_EEvS4_RKT_EUlibE0_EEviT1_.kd
    .uniform_work_group_size: 1
    .uses_dynamic_stack: false
    .vgpr_count:     18
    .vgpr_spill_count: 0
    .wavefront_size: 64
  - .agpr_count:     0
    .args:
      - .offset:         0
        .size:           4
        .value_kind:     by_value
      - .offset:         8
        .size:           16
        .value_kind:     by_value
      - .offset:         24
        .size:           16
        .value_kind:     by_value
    .group_segment_fixed_size: 0
    .kernarg_segment_align: 8
    .kernarg_segment_size: 40
    .language:       OpenCL C
    .language_version:
      - 2
      - 0
    .max_flat_workgroup_size: 256
    .name:           _ZN2at6native29vectorized_elementwise_kernelILi16EZZZNS0_17clamp_kernel_cudaERNS_18TensorIteratorBaseERKN3c106ScalarES7_ENKUlvE_clEvENKUlvE4_clEvEUldE_St5arrayIPcLm2EEEEviT0_T1_
    .private_segment_fixed_size: 0
    .sgpr_count:     19
    .sgpr_spill_count: 0
    .symbol:         _ZN2at6native29vectorized_elementwise_kernelILi16EZZZNS0_17clamp_kernel_cudaERNS_18TensorIteratorBaseERKN3c106ScalarES7_ENKUlvE_clEvENKUlvE4_clEvEUldE_St5arrayIPcLm2EEEEviT0_T1_.kd
    .uniform_work_group_size: 1
    .uses_dynamic_stack: false
    .vgpr_count:     22
    .vgpr_spill_count: 0
    .wavefront_size: 64
  - .agpr_count:     0
    .args:
      - .offset:         0
        .size:           4
        .value_kind:     by_value
      - .offset:         8
        .size:           16
        .value_kind:     by_value
      - .offset:         24
        .size:           16
        .value_kind:     by_value
    .group_segment_fixed_size: 0
    .kernarg_segment_align: 8
    .kernarg_segment_size: 40
    .language:       OpenCL C
    .language_version:
      - 2
      - 0
    .max_flat_workgroup_size: 256
    .name:           _ZN2at6native29vectorized_elementwise_kernelILi8EZZZNS0_17clamp_kernel_cudaERNS_18TensorIteratorBaseERKN3c106ScalarES7_ENKUlvE_clEvENKUlvE4_clEvEUldE_St5arrayIPcLm2EEEEviT0_T1_
    .private_segment_fixed_size: 0
    .sgpr_count:     19
    .sgpr_spill_count: 0
    .symbol:         _ZN2at6native29vectorized_elementwise_kernelILi8EZZZNS0_17clamp_kernel_cudaERNS_18TensorIteratorBaseERKN3c106ScalarES7_ENKUlvE_clEvENKUlvE4_clEvEUldE_St5arrayIPcLm2EEEEviT0_T1_.kd
    .uniform_work_group_size: 1
    .uses_dynamic_stack: false
    .vgpr_count:     22
    .vgpr_spill_count: 0
    .wavefront_size: 64
  - .agpr_count:     0
    .args:
      - .offset:         0
        .size:           4
        .value_kind:     by_value
      - .offset:         8
        .size:           16
        .value_kind:     by_value
      - .offset:         24
        .size:           16
        .value_kind:     by_value
    .group_segment_fixed_size: 0
    .kernarg_segment_align: 8
    .kernarg_segment_size: 40
    .language:       OpenCL C
    .language_version:
      - 2
      - 0
    .max_flat_workgroup_size: 256
    .name:           _ZN2at6native29vectorized_elementwise_kernelILi4EZZZNS0_17clamp_kernel_cudaERNS_18TensorIteratorBaseERKN3c106ScalarES7_ENKUlvE_clEvENKUlvE4_clEvEUldE_St5arrayIPcLm2EEEEviT0_T1_
    .private_segment_fixed_size: 0
    .sgpr_count:     19
    .sgpr_spill_count: 0
    .symbol:         _ZN2at6native29vectorized_elementwise_kernelILi4EZZZNS0_17clamp_kernel_cudaERNS_18TensorIteratorBaseERKN3c106ScalarES7_ENKUlvE_clEvENKUlvE4_clEvEUldE_St5arrayIPcLm2EEEEviT0_T1_.kd
    .uniform_work_group_size: 1
    .uses_dynamic_stack: false
    .vgpr_count:     22
    .vgpr_spill_count: 0
    .wavefront_size: 64
  - .agpr_count:     0
    .args:
      - .offset:         0
        .size:           4
        .value_kind:     by_value
      - .offset:         8
        .size:           16
        .value_kind:     by_value
      - .offset:         24
        .size:           16
        .value_kind:     by_value
    .group_segment_fixed_size: 0
    .kernarg_segment_align: 8
    .kernarg_segment_size: 40
    .language:       OpenCL C
    .language_version:
      - 2
      - 0
    .max_flat_workgroup_size: 256
    .name:           _ZN2at6native29vectorized_elementwise_kernelILi2EZZZNS0_17clamp_kernel_cudaERNS_18TensorIteratorBaseERKN3c106ScalarES7_ENKUlvE_clEvENKUlvE4_clEvEUldE_St5arrayIPcLm2EEEEviT0_T1_
    .private_segment_fixed_size: 0
    .sgpr_count:     19
    .sgpr_spill_count: 0
    .symbol:         _ZN2at6native29vectorized_elementwise_kernelILi2EZZZNS0_17clamp_kernel_cudaERNS_18TensorIteratorBaseERKN3c106ScalarES7_ENKUlvE_clEvENKUlvE4_clEvEUldE_St5arrayIPcLm2EEEEviT0_T1_.kd
    .uniform_work_group_size: 1
    .uses_dynamic_stack: false
    .vgpr_count:     22
    .vgpr_spill_count: 0
    .wavefront_size: 64
  - .agpr_count:     0
    .args:
      - .offset:         0
        .size:           4
        .value_kind:     by_value
      - .offset:         8
        .size:           16
        .value_kind:     by_value
      - .offset:         24
        .size:           16
        .value_kind:     by_value
      - .offset:         40
        .size:           1
        .value_kind:     by_value
      - .offset:         41
        .size:           1
        .value_kind:     by_value
      - .offset:         42
        .size:           1
        .value_kind:     by_value
      - .offset:         43
        .size:           1
        .value_kind:     by_value
    .group_segment_fixed_size: 0
    .kernarg_segment_align: 8
    .kernarg_segment_size: 44
    .language:       OpenCL C
    .language_version:
      - 2
      - 0
    .max_flat_workgroup_size: 256
    .name:           _ZN2at6native27unrolled_elementwise_kernelIZZZNS0_17clamp_kernel_cudaERNS_18TensorIteratorBaseERKN3c106ScalarES7_ENKUlvE_clEvENKUlvE4_clEvEUldE_St5arrayIPcLm2EELi4E23TrivialOffsetCalculatorILi1EjESF_NS0_6memory15LoadWithoutCastENSG_16StoreWithoutCastEEEviT_T0_T2_T3_T4_T5_
    .private_segment_fixed_size: 0
    .sgpr_count:     20
    .sgpr_spill_count: 0
    .symbol:         _ZN2at6native27unrolled_elementwise_kernelIZZZNS0_17clamp_kernel_cudaERNS_18TensorIteratorBaseERKN3c106ScalarES7_ENKUlvE_clEvENKUlvE4_clEvEUldE_St5arrayIPcLm2EELi4E23TrivialOffsetCalculatorILi1EjESF_NS0_6memory15LoadWithoutCastENSG_16StoreWithoutCastEEEviT_T0_T2_T3_T4_T5_.kd
    .uniform_work_group_size: 1
    .uses_dynamic_stack: false
    .vgpr_count:     20
    .vgpr_spill_count: 0
    .wavefront_size: 64
  - .agpr_count:     0
    .args:
      - .offset:         0
        .size:           4
        .value_kind:     by_value
      - .offset:         8
        .size:           360
        .value_kind:     by_value
    .group_segment_fixed_size: 0
    .kernarg_segment_align: 8
    .kernarg_segment_size: 368
    .language:       OpenCL C
    .language_version:
      - 2
      - 0
    .max_flat_workgroup_size: 128
    .name:           _ZN2at6native32elementwise_kernel_manual_unrollILi128ELi4EZNS0_22gpu_kernel_impl_nocastIZZZNS0_17clamp_kernel_cudaERNS_18TensorIteratorBaseERKN3c106ScalarES8_ENKUlvE_clEvENKUlvE4_clEvEUldE_EEvS4_RKT_EUlibE_EEviT1_
    .private_segment_fixed_size: 0
    .sgpr_count:     70
    .sgpr_spill_count: 0
    .symbol:         _ZN2at6native32elementwise_kernel_manual_unrollILi128ELi4EZNS0_22gpu_kernel_impl_nocastIZZZNS0_17clamp_kernel_cudaERNS_18TensorIteratorBaseERKN3c106ScalarES8_ENKUlvE_clEvENKUlvE4_clEvEUldE_EEvS4_RKT_EUlibE_EEviT1_.kd
    .uniform_work_group_size: 1
    .uses_dynamic_stack: false
    .vgpr_count:     28
    .vgpr_spill_count: 0
    .wavefront_size: 64
  - .agpr_count:     0
    .args:
      - .offset:         0
        .size:           4
        .value_kind:     by_value
      - .offset:         8
        .size:           48
        .value_kind:     by_value
    .group_segment_fixed_size: 0
    .kernarg_segment_align: 8
    .kernarg_segment_size: 56
    .language:       OpenCL C
    .language_version:
      - 2
      - 0
    .max_flat_workgroup_size: 128
    .name:           _ZN2at6native32elementwise_kernel_manual_unrollILi128ELi4EZNS0_15gpu_kernel_implIZZZNS0_17clamp_kernel_cudaERNS_18TensorIteratorBaseERKN3c106ScalarES8_ENKUlvE_clEvENKUlvE4_clEvEUldE_EEvS4_RKT_EUlibE_EEviT1_
    .private_segment_fixed_size: 0
    .sgpr_count:     54
    .sgpr_spill_count: 0
    .symbol:         _ZN2at6native32elementwise_kernel_manual_unrollILi128ELi4EZNS0_15gpu_kernel_implIZZZNS0_17clamp_kernel_cudaERNS_18TensorIteratorBaseERKN3c106ScalarES8_ENKUlvE_clEvENKUlvE4_clEvEUldE_EEvS4_RKT_EUlibE_EEviT1_.kd
    .uniform_work_group_size: 1
    .uses_dynamic_stack: false
    .vgpr_count:     22
    .vgpr_spill_count: 0
    .wavefront_size: 64
  - .agpr_count:     0
    .args:
      - .offset:         0
        .size:           4
        .value_kind:     by_value
      - .offset:         8
        .size:           368
        .value_kind:     by_value
    .group_segment_fixed_size: 0
    .kernarg_segment_align: 8
    .kernarg_segment_size: 376
    .language:       OpenCL C
    .language_version:
      - 2
      - 0
    .max_flat_workgroup_size: 128
    .name:           _ZN2at6native32elementwise_kernel_manual_unrollILi128ELi4EZNS0_15gpu_kernel_implIZZZNS0_17clamp_kernel_cudaERNS_18TensorIteratorBaseERKN3c106ScalarES8_ENKUlvE_clEvENKUlvE4_clEvEUldE_EEvS4_RKT_EUlibE0_EEviT1_
    .private_segment_fixed_size: 0
    .sgpr_count:     88
    .sgpr_spill_count: 0
    .symbol:         _ZN2at6native32elementwise_kernel_manual_unrollILi128ELi4EZNS0_15gpu_kernel_implIZZZNS0_17clamp_kernel_cudaERNS_18TensorIteratorBaseERKN3c106ScalarES8_ENKUlvE_clEvENKUlvE4_clEvEUldE_EEvS4_RKT_EUlibE0_EEviT1_.kd
    .uniform_work_group_size: 1
    .uses_dynamic_stack: false
    .vgpr_count:     26
    .vgpr_spill_count: 0
    .wavefront_size: 64
  - .agpr_count:     0
    .args:
      - .offset:         0
        .size:           4
        .value_kind:     by_value
      - .offset:         4
        .size:           8
        .value_kind:     by_value
      - .offset:         16
        .size:           16
        .value_kind:     by_value
    .group_segment_fixed_size: 0
    .kernarg_segment_align: 8
    .kernarg_segment_size: 32
    .language:       OpenCL C
    .language_version:
      - 2
      - 0
    .max_flat_workgroup_size: 256
    .name:           _ZN2at6native29vectorized_elementwise_kernelILi16EZZZNS0_17clamp_kernel_cudaERNS_18TensorIteratorBaseERKN3c106ScalarES7_ENKUlvE_clEvENKUlvE5_clEvEUlfE_St5arrayIPcLm2EEEEviT0_T1_
    .private_segment_fixed_size: 0
    .sgpr_count:     18
    .sgpr_spill_count: 0
    .symbol:         _ZN2at6native29vectorized_elementwise_kernelILi16EZZZNS0_17clamp_kernel_cudaERNS_18TensorIteratorBaseERKN3c106ScalarES7_ENKUlvE_clEvENKUlvE5_clEvEUlfE_St5arrayIPcLm2EEEEviT0_T1_.kd
    .uniform_work_group_size: 1
    .uses_dynamic_stack: false
    .vgpr_count:     12
    .vgpr_spill_count: 0
    .wavefront_size: 64
  - .agpr_count:     0
    .args:
      - .offset:         0
        .size:           4
        .value_kind:     by_value
      - .offset:         4
        .size:           8
        .value_kind:     by_value
      - .offset:         16
        .size:           16
        .value_kind:     by_value
    .group_segment_fixed_size: 0
    .kernarg_segment_align: 8
    .kernarg_segment_size: 32
    .language:       OpenCL C
    .language_version:
      - 2
      - 0
    .max_flat_workgroup_size: 256
    .name:           _ZN2at6native29vectorized_elementwise_kernelILi8EZZZNS0_17clamp_kernel_cudaERNS_18TensorIteratorBaseERKN3c106ScalarES7_ENKUlvE_clEvENKUlvE5_clEvEUlfE_St5arrayIPcLm2EEEEviT0_T1_
    .private_segment_fixed_size: 0
    .sgpr_count:     18
    .sgpr_spill_count: 0
    .symbol:         _ZN2at6native29vectorized_elementwise_kernelILi8EZZZNS0_17clamp_kernel_cudaERNS_18TensorIteratorBaseERKN3c106ScalarES7_ENKUlvE_clEvENKUlvE5_clEvEUlfE_St5arrayIPcLm2EEEEviT0_T1_.kd
    .uniform_work_group_size: 1
    .uses_dynamic_stack: false
    .vgpr_count:     12
    .vgpr_spill_count: 0
    .wavefront_size: 64
  - .agpr_count:     0
    .args:
      - .offset:         0
        .size:           4
        .value_kind:     by_value
      - .offset:         4
        .size:           8
        .value_kind:     by_value
      - .offset:         16
        .size:           16
        .value_kind:     by_value
    .group_segment_fixed_size: 0
    .kernarg_segment_align: 8
    .kernarg_segment_size: 32
    .language:       OpenCL C
    .language_version:
      - 2
      - 0
    .max_flat_workgroup_size: 256
    .name:           _ZN2at6native29vectorized_elementwise_kernelILi4EZZZNS0_17clamp_kernel_cudaERNS_18TensorIteratorBaseERKN3c106ScalarES7_ENKUlvE_clEvENKUlvE5_clEvEUlfE_St5arrayIPcLm2EEEEviT0_T1_
    .private_segment_fixed_size: 0
    .sgpr_count:     18
    .sgpr_spill_count: 0
    .symbol:         _ZN2at6native29vectorized_elementwise_kernelILi4EZZZNS0_17clamp_kernel_cudaERNS_18TensorIteratorBaseERKN3c106ScalarES7_ENKUlvE_clEvENKUlvE5_clEvEUlfE_St5arrayIPcLm2EEEEviT0_T1_.kd
    .uniform_work_group_size: 1
    .uses_dynamic_stack: false
    .vgpr_count:     12
    .vgpr_spill_count: 0
    .wavefront_size: 64
  - .agpr_count:     0
    .args:
      - .offset:         0
        .size:           4
        .value_kind:     by_value
      - .offset:         4
        .size:           8
        .value_kind:     by_value
      - .offset:         16
        .size:           16
        .value_kind:     by_value
    .group_segment_fixed_size: 0
    .kernarg_segment_align: 8
    .kernarg_segment_size: 32
    .language:       OpenCL C
    .language_version:
      - 2
      - 0
    .max_flat_workgroup_size: 256
    .name:           _ZN2at6native29vectorized_elementwise_kernelILi2EZZZNS0_17clamp_kernel_cudaERNS_18TensorIteratorBaseERKN3c106ScalarES7_ENKUlvE_clEvENKUlvE5_clEvEUlfE_St5arrayIPcLm2EEEEviT0_T1_
    .private_segment_fixed_size: 0
    .sgpr_count:     18
    .sgpr_spill_count: 0
    .symbol:         _ZN2at6native29vectorized_elementwise_kernelILi2EZZZNS0_17clamp_kernel_cudaERNS_18TensorIteratorBaseERKN3c106ScalarES7_ENKUlvE_clEvENKUlvE5_clEvEUlfE_St5arrayIPcLm2EEEEviT0_T1_.kd
    .uniform_work_group_size: 1
    .uses_dynamic_stack: false
    .vgpr_count:     12
    .vgpr_spill_count: 0
    .wavefront_size: 64
  - .agpr_count:     0
    .args:
      - .offset:         0
        .size:           4
        .value_kind:     by_value
      - .offset:         4
        .size:           8
        .value_kind:     by_value
      - .offset:         16
        .size:           16
        .value_kind:     by_value
      - .offset:         32
        .size:           1
        .value_kind:     by_value
      - .offset:         33
        .size:           1
        .value_kind:     by_value
      - .offset:         34
        .size:           1
        .value_kind:     by_value
      - .offset:         35
        .size:           1
        .value_kind:     by_value
    .group_segment_fixed_size: 0
    .kernarg_segment_align: 8
    .kernarg_segment_size: 36
    .language:       OpenCL C
    .language_version:
      - 2
      - 0
    .max_flat_workgroup_size: 256
    .name:           _ZN2at6native27unrolled_elementwise_kernelIZZZNS0_17clamp_kernel_cudaERNS_18TensorIteratorBaseERKN3c106ScalarES7_ENKUlvE_clEvENKUlvE5_clEvEUlfE_St5arrayIPcLm2EELi4E23TrivialOffsetCalculatorILi1EjESF_NS0_6memory15LoadWithoutCastENSG_16StoreWithoutCastEEEviT_T0_T2_T3_T4_T5_
    .private_segment_fixed_size: 0
    .sgpr_count:     18
    .sgpr_spill_count: 0
    .symbol:         _ZN2at6native27unrolled_elementwise_kernelIZZZNS0_17clamp_kernel_cudaERNS_18TensorIteratorBaseERKN3c106ScalarES7_ENKUlvE_clEvENKUlvE5_clEvEUlfE_St5arrayIPcLm2EELi4E23TrivialOffsetCalculatorILi1EjESF_NS0_6memory15LoadWithoutCastENSG_16StoreWithoutCastEEEviT_T0_T2_T3_T4_T5_.kd
    .uniform_work_group_size: 1
    .uses_dynamic_stack: false
    .vgpr_count:     12
    .vgpr_spill_count: 0
    .wavefront_size: 64
  - .agpr_count:     0
    .args:
      - .offset:         0
        .size:           4
        .value_kind:     by_value
      - .offset:         8
        .size:           352
        .value_kind:     by_value
    .group_segment_fixed_size: 0
    .kernarg_segment_align: 8
    .kernarg_segment_size: 360
    .language:       OpenCL C
    .language_version:
      - 2
      - 0
    .max_flat_workgroup_size: 128
    .name:           _ZN2at6native32elementwise_kernel_manual_unrollILi128ELi4EZNS0_22gpu_kernel_impl_nocastIZZZNS0_17clamp_kernel_cudaERNS_18TensorIteratorBaseERKN3c106ScalarES8_ENKUlvE_clEvENKUlvE5_clEvEUlfE_EEvS4_RKT_EUlibE_EEviT1_
    .private_segment_fixed_size: 0
    .sgpr_count:     68
    .sgpr_spill_count: 0
    .symbol:         _ZN2at6native32elementwise_kernel_manual_unrollILi128ELi4EZNS0_22gpu_kernel_impl_nocastIZZZNS0_17clamp_kernel_cudaERNS_18TensorIteratorBaseERKN3c106ScalarES8_ENKUlvE_clEvENKUlvE5_clEvEUlfE_EEvS4_RKT_EUlibE_EEviT1_.kd
    .uniform_work_group_size: 1
    .uses_dynamic_stack: false
    .vgpr_count:     17
    .vgpr_spill_count: 0
    .wavefront_size: 64
  - .agpr_count:     0
    .args:
      - .offset:         0
        .size:           4
        .value_kind:     by_value
      - .offset:         8
        .size:           40
        .value_kind:     by_value
    .group_segment_fixed_size: 0
    .kernarg_segment_align: 8
    .kernarg_segment_size: 48
    .language:       OpenCL C
    .language_version:
      - 2
      - 0
    .max_flat_workgroup_size: 128
    .name:           _ZN2at6native32elementwise_kernel_manual_unrollILi128ELi4EZNS0_15gpu_kernel_implIZZZNS0_17clamp_kernel_cudaERNS_18TensorIteratorBaseERKN3c106ScalarES8_ENKUlvE_clEvENKUlvE5_clEvEUlfE_EEvS4_RKT_EUlibE_EEviT1_
    .private_segment_fixed_size: 0
    .sgpr_count:     52
    .sgpr_spill_count: 0
    .symbol:         _ZN2at6native32elementwise_kernel_manual_unrollILi128ELi4EZNS0_15gpu_kernel_implIZZZNS0_17clamp_kernel_cudaERNS_18TensorIteratorBaseERKN3c106ScalarES8_ENKUlvE_clEvENKUlvE5_clEvEUlfE_EEvS4_RKT_EUlibE_EEviT1_.kd
    .uniform_work_group_size: 1
    .uses_dynamic_stack: false
    .vgpr_count:     16
    .vgpr_spill_count: 0
    .wavefront_size: 64
  - .agpr_count:     0
    .args:
      - .offset:         0
        .size:           4
        .value_kind:     by_value
      - .offset:         8
        .size:           360
        .value_kind:     by_value
    .group_segment_fixed_size: 0
    .kernarg_segment_align: 8
    .kernarg_segment_size: 368
    .language:       OpenCL C
    .language_version:
      - 2
      - 0
    .max_flat_workgroup_size: 128
    .name:           _ZN2at6native32elementwise_kernel_manual_unrollILi128ELi4EZNS0_15gpu_kernel_implIZZZNS0_17clamp_kernel_cudaERNS_18TensorIteratorBaseERKN3c106ScalarES8_ENKUlvE_clEvENKUlvE5_clEvEUlfE_EEvS4_RKT_EUlibE0_EEviT1_
    .private_segment_fixed_size: 0
    .sgpr_count:     86
    .sgpr_spill_count: 0
    .symbol:         _ZN2at6native32elementwise_kernel_manual_unrollILi128ELi4EZNS0_15gpu_kernel_implIZZZNS0_17clamp_kernel_cudaERNS_18TensorIteratorBaseERKN3c106ScalarES8_ENKUlvE_clEvENKUlvE5_clEvEUlfE_EEvS4_RKT_EUlibE0_EEviT1_.kd
    .uniform_work_group_size: 1
    .uses_dynamic_stack: false
    .vgpr_count:     18
    .vgpr_spill_count: 0
    .wavefront_size: 64
  - .agpr_count:     0
    .args:
      - .offset:         0
        .size:           4
        .value_kind:     by_value
      - .offset:         4
        .size:           4
        .value_kind:     by_value
      - .offset:         8
        .size:           16
        .value_kind:     by_value
    .group_segment_fixed_size: 0
    .kernarg_segment_align: 8
    .kernarg_segment_size: 24
    .language:       OpenCL C
    .language_version:
      - 2
      - 0
    .max_flat_workgroup_size: 256
    .name:           _ZN2at6native29vectorized_elementwise_kernelILi16EZZZNS0_17clamp_kernel_cudaERNS_18TensorIteratorBaseERKN3c106ScalarES7_ENKUlvE_clEvENKUlvE6_clEvEUlNS4_4HalfEE_St5arrayIPcLm2EEEEviT0_T1_
    .private_segment_fixed_size: 0
    .sgpr_count:     19
    .sgpr_spill_count: 0
    .symbol:         _ZN2at6native29vectorized_elementwise_kernelILi16EZZZNS0_17clamp_kernel_cudaERNS_18TensorIteratorBaseERKN3c106ScalarES7_ENKUlvE_clEvENKUlvE6_clEvEUlNS4_4HalfEE_St5arrayIPcLm2EEEEviT0_T1_.kd
    .uniform_work_group_size: 1
    .uses_dynamic_stack: false
    .vgpr_count:     19
    .vgpr_spill_count: 0
    .wavefront_size: 64
  - .agpr_count:     0
    .args:
      - .offset:         0
        .size:           4
        .value_kind:     by_value
      - .offset:         4
        .size:           4
        .value_kind:     by_value
      - .offset:         8
        .size:           16
        .value_kind:     by_value
    .group_segment_fixed_size: 0
    .kernarg_segment_align: 8
    .kernarg_segment_size: 24
    .language:       OpenCL C
    .language_version:
      - 2
      - 0
    .max_flat_workgroup_size: 256
    .name:           _ZN2at6native29vectorized_elementwise_kernelILi8EZZZNS0_17clamp_kernel_cudaERNS_18TensorIteratorBaseERKN3c106ScalarES7_ENKUlvE_clEvENKUlvE6_clEvEUlNS4_4HalfEE_St5arrayIPcLm2EEEEviT0_T1_
    .private_segment_fixed_size: 0
    .sgpr_count:     19
    .sgpr_spill_count: 0
    .symbol:         _ZN2at6native29vectorized_elementwise_kernelILi8EZZZNS0_17clamp_kernel_cudaERNS_18TensorIteratorBaseERKN3c106ScalarES7_ENKUlvE_clEvENKUlvE6_clEvEUlNS4_4HalfEE_St5arrayIPcLm2EEEEviT0_T1_.kd
    .uniform_work_group_size: 1
    .uses_dynamic_stack: false
    .vgpr_count:     19
    .vgpr_spill_count: 0
    .wavefront_size: 64
  - .agpr_count:     0
    .args:
      - .offset:         0
        .size:           4
        .value_kind:     by_value
      - .offset:         4
        .size:           4
        .value_kind:     by_value
      - .offset:         8
        .size:           16
        .value_kind:     by_value
    .group_segment_fixed_size: 0
    .kernarg_segment_align: 8
    .kernarg_segment_size: 24
    .language:       OpenCL C
    .language_version:
      - 2
      - 0
    .max_flat_workgroup_size: 256
    .name:           _ZN2at6native29vectorized_elementwise_kernelILi4EZZZNS0_17clamp_kernel_cudaERNS_18TensorIteratorBaseERKN3c106ScalarES7_ENKUlvE_clEvENKUlvE6_clEvEUlNS4_4HalfEE_St5arrayIPcLm2EEEEviT0_T1_
    .private_segment_fixed_size: 0
    .sgpr_count:     19
    .sgpr_spill_count: 0
    .symbol:         _ZN2at6native29vectorized_elementwise_kernelILi4EZZZNS0_17clamp_kernel_cudaERNS_18TensorIteratorBaseERKN3c106ScalarES7_ENKUlvE_clEvENKUlvE6_clEvEUlNS4_4HalfEE_St5arrayIPcLm2EEEEviT0_T1_.kd
    .uniform_work_group_size: 1
    .uses_dynamic_stack: false
    .vgpr_count:     19
    .vgpr_spill_count: 0
    .wavefront_size: 64
  - .agpr_count:     0
    .args:
      - .offset:         0
        .size:           4
        .value_kind:     by_value
      - .offset:         4
        .size:           4
        .value_kind:     by_value
      - .offset:         8
        .size:           16
        .value_kind:     by_value
    .group_segment_fixed_size: 0
    .kernarg_segment_align: 8
    .kernarg_segment_size: 24
    .language:       OpenCL C
    .language_version:
      - 2
      - 0
    .max_flat_workgroup_size: 256
    .name:           _ZN2at6native29vectorized_elementwise_kernelILi2EZZZNS0_17clamp_kernel_cudaERNS_18TensorIteratorBaseERKN3c106ScalarES7_ENKUlvE_clEvENKUlvE6_clEvEUlNS4_4HalfEE_St5arrayIPcLm2EEEEviT0_T1_
    .private_segment_fixed_size: 0
    .sgpr_count:     19
    .sgpr_spill_count: 0
    .symbol:         _ZN2at6native29vectorized_elementwise_kernelILi2EZZZNS0_17clamp_kernel_cudaERNS_18TensorIteratorBaseERKN3c106ScalarES7_ENKUlvE_clEvENKUlvE6_clEvEUlNS4_4HalfEE_St5arrayIPcLm2EEEEviT0_T1_.kd
    .uniform_work_group_size: 1
    .uses_dynamic_stack: false
    .vgpr_count:     19
    .vgpr_spill_count: 0
    .wavefront_size: 64
  - .agpr_count:     0
    .args:
      - .offset:         0
        .size:           4
        .value_kind:     by_value
      - .offset:         4
        .size:           4
        .value_kind:     by_value
      - .offset:         8
        .size:           16
        .value_kind:     by_value
      - .offset:         24
        .size:           1
        .value_kind:     by_value
      - .offset:         25
        .size:           1
        .value_kind:     by_value
      - .offset:         26
        .size:           1
        .value_kind:     by_value
      - .offset:         27
        .size:           1
        .value_kind:     by_value
    .group_segment_fixed_size: 0
    .kernarg_segment_align: 8
    .kernarg_segment_size: 28
    .language:       OpenCL C
    .language_version:
      - 2
      - 0
    .max_flat_workgroup_size: 256
    .name:           _ZN2at6native27unrolled_elementwise_kernelIZZZNS0_17clamp_kernel_cudaERNS_18TensorIteratorBaseERKN3c106ScalarES7_ENKUlvE_clEvENKUlvE6_clEvEUlNS4_4HalfEE_St5arrayIPcLm2EELi4E23TrivialOffsetCalculatorILi1EjESG_NS0_6memory15LoadWithoutCastENSH_16StoreWithoutCastEEEviT_T0_T2_T3_T4_T5_
    .private_segment_fixed_size: 0
    .sgpr_count:     17
    .sgpr_spill_count: 0
    .symbol:         _ZN2at6native27unrolled_elementwise_kernelIZZZNS0_17clamp_kernel_cudaERNS_18TensorIteratorBaseERKN3c106ScalarES7_ENKUlvE_clEvENKUlvE6_clEvEUlNS4_4HalfEE_St5arrayIPcLm2EELi4E23TrivialOffsetCalculatorILi1EjESG_NS0_6memory15LoadWithoutCastENSH_16StoreWithoutCastEEEviT_T0_T2_T3_T4_T5_.kd
    .uniform_work_group_size: 1
    .uses_dynamic_stack: false
    .vgpr_count:     10
    .vgpr_spill_count: 0
    .wavefront_size: 64
  - .agpr_count:     0
    .args:
      - .offset:         0
        .size:           4
        .value_kind:     by_value
      - .offset:         8
        .size:           352
        .value_kind:     by_value
    .group_segment_fixed_size: 0
    .kernarg_segment_align: 8
    .kernarg_segment_size: 360
    .language:       OpenCL C
    .language_version:
      - 2
      - 0
    .max_flat_workgroup_size: 128
    .name:           _ZN2at6native32elementwise_kernel_manual_unrollILi128ELi8EZNS0_22gpu_kernel_impl_nocastIZZZNS0_17clamp_kernel_cudaERNS_18TensorIteratorBaseERKN3c106ScalarES8_ENKUlvE_clEvENKUlvE6_clEvEUlNS5_4HalfEE_EEvS4_RKT_EUlibE_EEviT1_
    .private_segment_fixed_size: 0
    .sgpr_count:     68
    .sgpr_spill_count: 0
    .symbol:         _ZN2at6native32elementwise_kernel_manual_unrollILi128ELi8EZNS0_22gpu_kernel_impl_nocastIZZZNS0_17clamp_kernel_cudaERNS_18TensorIteratorBaseERKN3c106ScalarES8_ENKUlvE_clEvENKUlvE6_clEvEUlNS5_4HalfEE_EEvS4_RKT_EUlibE_EEviT1_.kd
    .uniform_work_group_size: 1
    .uses_dynamic_stack: false
    .vgpr_count:     33
    .vgpr_spill_count: 0
    .wavefront_size: 64
  - .agpr_count:     0
    .args:
      - .offset:         0
        .size:           4
        .value_kind:     by_value
      - .offset:         8
        .size:           32
        .value_kind:     by_value
    .group_segment_fixed_size: 0
    .kernarg_segment_align: 8
    .kernarg_segment_size: 40
    .language:       OpenCL C
    .language_version:
      - 2
      - 0
    .max_flat_workgroup_size: 128
    .name:           _ZN2at6native32elementwise_kernel_manual_unrollILi128ELi4EZNS0_15gpu_kernel_implIZZZNS0_17clamp_kernel_cudaERNS_18TensorIteratorBaseERKN3c106ScalarES8_ENKUlvE_clEvENKUlvE6_clEvEUlNS5_4HalfEE_EEvS4_RKT_EUlibE_EEviT1_
    .private_segment_fixed_size: 0
    .sgpr_count:     52
    .sgpr_spill_count: 0
    .symbol:         _ZN2at6native32elementwise_kernel_manual_unrollILi128ELi4EZNS0_15gpu_kernel_implIZZZNS0_17clamp_kernel_cudaERNS_18TensorIteratorBaseERKN3c106ScalarES8_ENKUlvE_clEvENKUlvE6_clEvEUlNS5_4HalfEE_EEvS4_RKT_EUlibE_EEviT1_.kd
    .uniform_work_group_size: 1
    .uses_dynamic_stack: false
    .vgpr_count:     14
    .vgpr_spill_count: 0
    .wavefront_size: 64
  - .agpr_count:     0
    .args:
      - .offset:         0
        .size:           4
        .value_kind:     by_value
      - .offset:         8
        .size:           352
        .value_kind:     by_value
    .group_segment_fixed_size: 0
    .kernarg_segment_align: 8
    .kernarg_segment_size: 360
    .language:       OpenCL C
    .language_version:
      - 2
      - 0
    .max_flat_workgroup_size: 128
    .name:           _ZN2at6native32elementwise_kernel_manual_unrollILi128ELi4EZNS0_15gpu_kernel_implIZZZNS0_17clamp_kernel_cudaERNS_18TensorIteratorBaseERKN3c106ScalarES8_ENKUlvE_clEvENKUlvE6_clEvEUlNS5_4HalfEE_EEvS4_RKT_EUlibE0_EEviT1_
    .private_segment_fixed_size: 0
    .sgpr_count:     86
    .sgpr_spill_count: 0
    .symbol:         _ZN2at6native32elementwise_kernel_manual_unrollILi128ELi4EZNS0_15gpu_kernel_implIZZZNS0_17clamp_kernel_cudaERNS_18TensorIteratorBaseERKN3c106ScalarES8_ENKUlvE_clEvENKUlvE6_clEvEUlNS5_4HalfEE_EEvS4_RKT_EUlibE0_EEviT1_.kd
    .uniform_work_group_size: 1
    .uses_dynamic_stack: false
    .vgpr_count:     18
    .vgpr_spill_count: 0
    .wavefront_size: 64
  - .agpr_count:     0
    .args:
      - .offset:         0
        .size:           4
        .value_kind:     by_value
      - .offset:         4
        .size:           4
        .value_kind:     by_value
      - .offset:         8
        .size:           16
        .value_kind:     by_value
    .group_segment_fixed_size: 0
    .kernarg_segment_align: 8
    .kernarg_segment_size: 24
    .language:       OpenCL C
    .language_version:
      - 2
      - 0
    .max_flat_workgroup_size: 256
    .name:           _ZN2at6native29vectorized_elementwise_kernelILi16EZZZNS0_17clamp_kernel_cudaERNS_18TensorIteratorBaseERKN3c106ScalarES7_ENKUlvE_clEvENKUlvE7_clEvEUlNS4_8BFloat16EE_St5arrayIPcLm2EEEEviT0_T1_
    .private_segment_fixed_size: 0
    .sgpr_count:     20
    .sgpr_spill_count: 0
    .symbol:         _ZN2at6native29vectorized_elementwise_kernelILi16EZZZNS0_17clamp_kernel_cudaERNS_18TensorIteratorBaseERKN3c106ScalarES7_ENKUlvE_clEvENKUlvE7_clEvEUlNS4_8BFloat16EE_St5arrayIPcLm2EEEEviT0_T1_.kd
    .uniform_work_group_size: 1
    .uses_dynamic_stack: false
    .vgpr_count:     35
    .vgpr_spill_count: 0
    .wavefront_size: 64
  - .agpr_count:     0
    .args:
      - .offset:         0
        .size:           4
        .value_kind:     by_value
      - .offset:         4
        .size:           4
        .value_kind:     by_value
      - .offset:         8
        .size:           16
        .value_kind:     by_value
    .group_segment_fixed_size: 0
    .kernarg_segment_align: 8
    .kernarg_segment_size: 24
    .language:       OpenCL C
    .language_version:
      - 2
      - 0
    .max_flat_workgroup_size: 256
    .name:           _ZN2at6native29vectorized_elementwise_kernelILi8EZZZNS0_17clamp_kernel_cudaERNS_18TensorIteratorBaseERKN3c106ScalarES7_ENKUlvE_clEvENKUlvE7_clEvEUlNS4_8BFloat16EE_St5arrayIPcLm2EEEEviT0_T1_
    .private_segment_fixed_size: 0
    .sgpr_count:     20
    .sgpr_spill_count: 0
    .symbol:         _ZN2at6native29vectorized_elementwise_kernelILi8EZZZNS0_17clamp_kernel_cudaERNS_18TensorIteratorBaseERKN3c106ScalarES7_ENKUlvE_clEvENKUlvE7_clEvEUlNS4_8BFloat16EE_St5arrayIPcLm2EEEEviT0_T1_.kd
    .uniform_work_group_size: 1
    .uses_dynamic_stack: false
    .vgpr_count:     35
    .vgpr_spill_count: 0
    .wavefront_size: 64
  - .agpr_count:     0
    .args:
      - .offset:         0
        .size:           4
        .value_kind:     by_value
      - .offset:         4
        .size:           4
        .value_kind:     by_value
      - .offset:         8
        .size:           16
        .value_kind:     by_value
    .group_segment_fixed_size: 0
    .kernarg_segment_align: 8
    .kernarg_segment_size: 24
    .language:       OpenCL C
    .language_version:
      - 2
      - 0
    .max_flat_workgroup_size: 256
    .name:           _ZN2at6native29vectorized_elementwise_kernelILi4EZZZNS0_17clamp_kernel_cudaERNS_18TensorIteratorBaseERKN3c106ScalarES7_ENKUlvE_clEvENKUlvE7_clEvEUlNS4_8BFloat16EE_St5arrayIPcLm2EEEEviT0_T1_
    .private_segment_fixed_size: 0
    .sgpr_count:     20
    .sgpr_spill_count: 0
    .symbol:         _ZN2at6native29vectorized_elementwise_kernelILi4EZZZNS0_17clamp_kernel_cudaERNS_18TensorIteratorBaseERKN3c106ScalarES7_ENKUlvE_clEvENKUlvE7_clEvEUlNS4_8BFloat16EE_St5arrayIPcLm2EEEEviT0_T1_.kd
    .uniform_work_group_size: 1
    .uses_dynamic_stack: false
    .vgpr_count:     35
    .vgpr_spill_count: 0
    .wavefront_size: 64
  - .agpr_count:     0
    .args:
      - .offset:         0
        .size:           4
        .value_kind:     by_value
      - .offset:         4
        .size:           4
        .value_kind:     by_value
      - .offset:         8
        .size:           16
        .value_kind:     by_value
    .group_segment_fixed_size: 0
    .kernarg_segment_align: 8
    .kernarg_segment_size: 24
    .language:       OpenCL C
    .language_version:
      - 2
      - 0
    .max_flat_workgroup_size: 256
    .name:           _ZN2at6native29vectorized_elementwise_kernelILi2EZZZNS0_17clamp_kernel_cudaERNS_18TensorIteratorBaseERKN3c106ScalarES7_ENKUlvE_clEvENKUlvE7_clEvEUlNS4_8BFloat16EE_St5arrayIPcLm2EEEEviT0_T1_
    .private_segment_fixed_size: 0
    .sgpr_count:     20
    .sgpr_spill_count: 0
    .symbol:         _ZN2at6native29vectorized_elementwise_kernelILi2EZZZNS0_17clamp_kernel_cudaERNS_18TensorIteratorBaseERKN3c106ScalarES7_ENKUlvE_clEvENKUlvE7_clEvEUlNS4_8BFloat16EE_St5arrayIPcLm2EEEEviT0_T1_.kd
    .uniform_work_group_size: 1
    .uses_dynamic_stack: false
    .vgpr_count:     18
    .vgpr_spill_count: 0
    .wavefront_size: 64
  - .agpr_count:     0
    .args:
      - .offset:         0
        .size:           4
        .value_kind:     by_value
      - .offset:         4
        .size:           4
        .value_kind:     by_value
      - .offset:         8
        .size:           16
        .value_kind:     by_value
      - .offset:         24
        .size:           1
        .value_kind:     by_value
      - .offset:         25
        .size:           1
        .value_kind:     by_value
      - .offset:         26
        .size:           1
        .value_kind:     by_value
      - .offset:         27
        .size:           1
        .value_kind:     by_value
    .group_segment_fixed_size: 0
    .kernarg_segment_align: 8
    .kernarg_segment_size: 28
    .language:       OpenCL C
    .language_version:
      - 2
      - 0
    .max_flat_workgroup_size: 256
    .name:           _ZN2at6native27unrolled_elementwise_kernelIZZZNS0_17clamp_kernel_cudaERNS_18TensorIteratorBaseERKN3c106ScalarES7_ENKUlvE_clEvENKUlvE7_clEvEUlNS4_8BFloat16EE_St5arrayIPcLm2EELi4E23TrivialOffsetCalculatorILi1EjESG_NS0_6memory15LoadWithoutCastENSH_16StoreWithoutCastEEEviT_T0_T2_T3_T4_T5_
    .private_segment_fixed_size: 0
    .sgpr_count:     20
    .sgpr_spill_count: 0
    .symbol:         _ZN2at6native27unrolled_elementwise_kernelIZZZNS0_17clamp_kernel_cudaERNS_18TensorIteratorBaseERKN3c106ScalarES7_ENKUlvE_clEvENKUlvE7_clEvEUlNS4_8BFloat16EE_St5arrayIPcLm2EELi4E23TrivialOffsetCalculatorILi1EjESG_NS0_6memory15LoadWithoutCastENSH_16StoreWithoutCastEEEviT_T0_T2_T3_T4_T5_.kd
    .uniform_work_group_size: 1
    .uses_dynamic_stack: false
    .vgpr_count:     10
    .vgpr_spill_count: 0
    .wavefront_size: 64
  - .agpr_count:     0
    .args:
      - .offset:         0
        .size:           4
        .value_kind:     by_value
      - .offset:         8
        .size:           352
        .value_kind:     by_value
    .group_segment_fixed_size: 0
    .kernarg_segment_align: 8
    .kernarg_segment_size: 360
    .language:       OpenCL C
    .language_version:
      - 2
      - 0
    .max_flat_workgroup_size: 128
    .name:           _ZN2at6native32elementwise_kernel_manual_unrollILi128ELi8EZNS0_22gpu_kernel_impl_nocastIZZZNS0_17clamp_kernel_cudaERNS_18TensorIteratorBaseERKN3c106ScalarES8_ENKUlvE_clEvENKUlvE7_clEvEUlNS5_8BFloat16EE_EEvS4_RKT_EUlibE_EEviT1_
    .private_segment_fixed_size: 0
    .sgpr_count:     70
    .sgpr_spill_count: 0
    .symbol:         _ZN2at6native32elementwise_kernel_manual_unrollILi128ELi8EZNS0_22gpu_kernel_impl_nocastIZZZNS0_17clamp_kernel_cudaERNS_18TensorIteratorBaseERKN3c106ScalarES8_ENKUlvE_clEvENKUlvE7_clEvEUlNS5_8BFloat16EE_EEvS4_RKT_EUlibE_EEviT1_.kd
    .uniform_work_group_size: 1
    .uses_dynamic_stack: false
    .vgpr_count:     33
    .vgpr_spill_count: 0
    .wavefront_size: 64
  - .agpr_count:     0
    .args:
      - .offset:         0
        .size:           4
        .value_kind:     by_value
      - .offset:         8
        .size:           32
        .value_kind:     by_value
    .group_segment_fixed_size: 0
    .kernarg_segment_align: 8
    .kernarg_segment_size: 40
    .language:       OpenCL C
    .language_version:
      - 2
      - 0
    .max_flat_workgroup_size: 128
    .name:           _ZN2at6native32elementwise_kernel_manual_unrollILi128ELi4EZNS0_15gpu_kernel_implIZZZNS0_17clamp_kernel_cudaERNS_18TensorIteratorBaseERKN3c106ScalarES8_ENKUlvE_clEvENKUlvE7_clEvEUlNS5_8BFloat16EE_EEvS4_RKT_EUlibE_EEviT1_
    .private_segment_fixed_size: 0
    .sgpr_count:     54
    .sgpr_spill_count: 0
    .symbol:         _ZN2at6native32elementwise_kernel_manual_unrollILi128ELi4EZNS0_15gpu_kernel_implIZZZNS0_17clamp_kernel_cudaERNS_18TensorIteratorBaseERKN3c106ScalarES8_ENKUlvE_clEvENKUlvE7_clEvEUlNS5_8BFloat16EE_EEvS4_RKT_EUlibE_EEviT1_.kd
    .uniform_work_group_size: 1
    .uses_dynamic_stack: false
    .vgpr_count:     14
    .vgpr_spill_count: 0
    .wavefront_size: 64
  - .agpr_count:     0
    .args:
      - .offset:         0
        .size:           4
        .value_kind:     by_value
      - .offset:         8
        .size:           352
        .value_kind:     by_value
    .group_segment_fixed_size: 0
    .kernarg_segment_align: 8
    .kernarg_segment_size: 360
    .language:       OpenCL C
    .language_version:
      - 2
      - 0
    .max_flat_workgroup_size: 128
    .name:           _ZN2at6native32elementwise_kernel_manual_unrollILi128ELi4EZNS0_15gpu_kernel_implIZZZNS0_17clamp_kernel_cudaERNS_18TensorIteratorBaseERKN3c106ScalarES8_ENKUlvE_clEvENKUlvE7_clEvEUlNS5_8BFloat16EE_EEvS4_RKT_EUlibE0_EEviT1_
    .private_segment_fixed_size: 0
    .sgpr_count:     88
    .sgpr_spill_count: 0
    .symbol:         _ZN2at6native32elementwise_kernel_manual_unrollILi128ELi4EZNS0_15gpu_kernel_implIZZZNS0_17clamp_kernel_cudaERNS_18TensorIteratorBaseERKN3c106ScalarES8_ENKUlvE_clEvENKUlvE7_clEvEUlNS5_8BFloat16EE_EEvS4_RKT_EUlibE0_EEviT1_.kd
    .uniform_work_group_size: 1
    .uses_dynamic_stack: false
    .vgpr_count:     18
    .vgpr_spill_count: 0
    .wavefront_size: 64
  - .agpr_count:     0
    .args:
      - .offset:         0
        .size:           4
        .value_kind:     by_value
      - .offset:         4
        .size:           1
        .value_kind:     by_value
      - .offset:         8
        .size:           16
        .value_kind:     by_value
    .group_segment_fixed_size: 0
    .kernarg_segment_align: 8
    .kernarg_segment_size: 24
    .language:       OpenCL C
    .language_version:
      - 2
      - 0
    .max_flat_workgroup_size: 256
    .name:           _ZN2at6native29vectorized_elementwise_kernelILi16EZZZNS0_21clamp_min_kernel_cudaERNS_18TensorIteratorBaseERKN3c106ScalarEENKUlvE_clEvENKUlvE_clEvEUlhE_St5arrayIPcLm2EEEEviT0_T1_
    .private_segment_fixed_size: 0
    .sgpr_count:     46
    .sgpr_spill_count: 0
    .symbol:         _ZN2at6native29vectorized_elementwise_kernelILi16EZZZNS0_21clamp_min_kernel_cudaERNS_18TensorIteratorBaseERKN3c106ScalarEENKUlvE_clEvENKUlvE_clEvEUlhE_St5arrayIPcLm2EEEEviT0_T1_.kd
    .uniform_work_group_size: 1
    .uses_dynamic_stack: false
    .vgpr_count:     21
    .vgpr_spill_count: 0
    .wavefront_size: 64
  - .agpr_count:     0
    .args:
      - .offset:         0
        .size:           4
        .value_kind:     by_value
      - .offset:         4
        .size:           1
        .value_kind:     by_value
      - .offset:         8
        .size:           16
        .value_kind:     by_value
    .group_segment_fixed_size: 0
    .kernarg_segment_align: 8
    .kernarg_segment_size: 24
    .language:       OpenCL C
    .language_version:
      - 2
      - 0
    .max_flat_workgroup_size: 256
    .name:           _ZN2at6native29vectorized_elementwise_kernelILi8EZZZNS0_21clamp_min_kernel_cudaERNS_18TensorIteratorBaseERKN3c106ScalarEENKUlvE_clEvENKUlvE_clEvEUlhE_St5arrayIPcLm2EEEEviT0_T1_
    .private_segment_fixed_size: 0
    .sgpr_count:     46
    .sgpr_spill_count: 0
    .symbol:         _ZN2at6native29vectorized_elementwise_kernelILi8EZZZNS0_21clamp_min_kernel_cudaERNS_18TensorIteratorBaseERKN3c106ScalarEENKUlvE_clEvENKUlvE_clEvEUlhE_St5arrayIPcLm2EEEEviT0_T1_.kd
    .uniform_work_group_size: 1
    .uses_dynamic_stack: false
    .vgpr_count:     21
    .vgpr_spill_count: 0
    .wavefront_size: 64
  - .agpr_count:     0
    .args:
      - .offset:         0
        .size:           4
        .value_kind:     by_value
      - .offset:         4
        .size:           1
        .value_kind:     by_value
      - .offset:         8
        .size:           16
        .value_kind:     by_value
    .group_segment_fixed_size: 0
    .kernarg_segment_align: 8
    .kernarg_segment_size: 24
    .language:       OpenCL C
    .language_version:
      - 2
      - 0
    .max_flat_workgroup_size: 256
    .name:           _ZN2at6native29vectorized_elementwise_kernelILi4EZZZNS0_21clamp_min_kernel_cudaERNS_18TensorIteratorBaseERKN3c106ScalarEENKUlvE_clEvENKUlvE_clEvEUlhE_St5arrayIPcLm2EEEEviT0_T1_
    .private_segment_fixed_size: 0
    .sgpr_count:     46
    .sgpr_spill_count: 0
    .symbol:         _ZN2at6native29vectorized_elementwise_kernelILi4EZZZNS0_21clamp_min_kernel_cudaERNS_18TensorIteratorBaseERKN3c106ScalarEENKUlvE_clEvENKUlvE_clEvEUlhE_St5arrayIPcLm2EEEEviT0_T1_.kd
    .uniform_work_group_size: 1
    .uses_dynamic_stack: false
    .vgpr_count:     21
    .vgpr_spill_count: 0
    .wavefront_size: 64
  - .agpr_count:     0
    .args:
      - .offset:         0
        .size:           4
        .value_kind:     by_value
      - .offset:         4
        .size:           1
        .value_kind:     by_value
      - .offset:         8
        .size:           16
        .value_kind:     by_value
    .group_segment_fixed_size: 0
    .kernarg_segment_align: 8
    .kernarg_segment_size: 24
    .language:       OpenCL C
    .language_version:
      - 2
      - 0
    .max_flat_workgroup_size: 256
    .name:           _ZN2at6native29vectorized_elementwise_kernelILi2EZZZNS0_21clamp_min_kernel_cudaERNS_18TensorIteratorBaseERKN3c106ScalarEENKUlvE_clEvENKUlvE_clEvEUlhE_St5arrayIPcLm2EEEEviT0_T1_
    .private_segment_fixed_size: 0
    .sgpr_count:     46
    .sgpr_spill_count: 0
    .symbol:         _ZN2at6native29vectorized_elementwise_kernelILi2EZZZNS0_21clamp_min_kernel_cudaERNS_18TensorIteratorBaseERKN3c106ScalarEENKUlvE_clEvENKUlvE_clEvEUlhE_St5arrayIPcLm2EEEEviT0_T1_.kd
    .uniform_work_group_size: 1
    .uses_dynamic_stack: false
    .vgpr_count:     21
    .vgpr_spill_count: 0
    .wavefront_size: 64
  - .agpr_count:     0
    .args:
      - .offset:         0
        .size:           4
        .value_kind:     by_value
      - .offset:         4
        .size:           1
        .value_kind:     by_value
      - .offset:         8
        .size:           16
        .value_kind:     by_value
      - .offset:         24
        .size:           1
        .value_kind:     by_value
      - .offset:         25
        .size:           1
        .value_kind:     by_value
      - .offset:         26
        .size:           1
        .value_kind:     by_value
      - .offset:         27
        .size:           1
        .value_kind:     by_value
    .group_segment_fixed_size: 0
    .kernarg_segment_align: 8
    .kernarg_segment_size: 28
    .language:       OpenCL C
    .language_version:
      - 2
      - 0
    .max_flat_workgroup_size: 256
    .name:           _ZN2at6native27unrolled_elementwise_kernelIZZZNS0_21clamp_min_kernel_cudaERNS_18TensorIteratorBaseERKN3c106ScalarEENKUlvE_clEvENKUlvE_clEvEUlhE_St5arrayIPcLm2EELi4E23TrivialOffsetCalculatorILi1EjESF_NS0_6memory15LoadWithoutCastENSG_16StoreWithoutCastEEEviT_T0_T2_T3_T4_T5_
    .private_segment_fixed_size: 0
    .sgpr_count:     23
    .sgpr_spill_count: 0
    .symbol:         _ZN2at6native27unrolled_elementwise_kernelIZZZNS0_21clamp_min_kernel_cudaERNS_18TensorIteratorBaseERKN3c106ScalarEENKUlvE_clEvENKUlvE_clEvEUlhE_St5arrayIPcLm2EELi4E23TrivialOffsetCalculatorILi1EjESF_NS0_6memory15LoadWithoutCastENSG_16StoreWithoutCastEEEviT_T0_T2_T3_T4_T5_.kd
    .uniform_work_group_size: 1
    .uses_dynamic_stack: false
    .vgpr_count:     8
    .vgpr_spill_count: 0
    .wavefront_size: 64
  - .agpr_count:     0
    .args:
      - .offset:         0
        .size:           4
        .value_kind:     by_value
      - .offset:         8
        .size:           352
        .value_kind:     by_value
    .group_segment_fixed_size: 0
    .kernarg_segment_align: 8
    .kernarg_segment_size: 360
    .language:       OpenCL C
    .language_version:
      - 2
      - 0
    .max_flat_workgroup_size: 128
    .name:           _ZN2at6native32elementwise_kernel_manual_unrollILi128ELi8EZNS0_22gpu_kernel_impl_nocastIZZZNS0_21clamp_min_kernel_cudaERNS_18TensorIteratorBaseERKN3c106ScalarEENKUlvE_clEvENKUlvE_clEvEUlhE_EEvS4_RKT_EUlibE_EEviT1_
    .private_segment_fixed_size: 0
    .sgpr_count:     67
    .sgpr_spill_count: 0
    .symbol:         _ZN2at6native32elementwise_kernel_manual_unrollILi128ELi8EZNS0_22gpu_kernel_impl_nocastIZZZNS0_21clamp_min_kernel_cudaERNS_18TensorIteratorBaseERKN3c106ScalarEENKUlvE_clEvENKUlvE_clEvEUlhE_EEvS4_RKT_EUlibE_EEviT1_.kd
    .uniform_work_group_size: 1
    .uses_dynamic_stack: false
    .vgpr_count:     33
    .vgpr_spill_count: 0
    .wavefront_size: 64
  - .agpr_count:     0
    .args:
      - .offset:         0
        .size:           4
        .value_kind:     by_value
      - .offset:         8
        .size:           32
        .value_kind:     by_value
    .group_segment_fixed_size: 0
    .kernarg_segment_align: 8
    .kernarg_segment_size: 40
    .language:       OpenCL C
    .language_version:
      - 2
      - 0
    .max_flat_workgroup_size: 128
    .name:           _ZN2at6native32elementwise_kernel_manual_unrollILi128ELi4EZNS0_15gpu_kernel_implIZZZNS0_21clamp_min_kernel_cudaERNS_18TensorIteratorBaseERKN3c106ScalarEENKUlvE_clEvENKUlvE_clEvEUlhE_EEvS4_RKT_EUlibE_EEviT1_
    .private_segment_fixed_size: 0
    .sgpr_count:     54
    .sgpr_spill_count: 0
    .symbol:         _ZN2at6native32elementwise_kernel_manual_unrollILi128ELi4EZNS0_15gpu_kernel_implIZZZNS0_21clamp_min_kernel_cudaERNS_18TensorIteratorBaseERKN3c106ScalarEENKUlvE_clEvENKUlvE_clEvEUlhE_EEvS4_RKT_EUlibE_EEviT1_.kd
    .uniform_work_group_size: 1
    .uses_dynamic_stack: false
    .vgpr_count:     16
    .vgpr_spill_count: 0
    .wavefront_size: 64
  - .agpr_count:     0
    .args:
      - .offset:         0
        .size:           4
        .value_kind:     by_value
      - .offset:         8
        .size:           352
        .value_kind:     by_value
    .group_segment_fixed_size: 0
    .kernarg_segment_align: 8
    .kernarg_segment_size: 360
    .language:       OpenCL C
    .language_version:
      - 2
      - 0
    .max_flat_workgroup_size: 128
    .name:           _ZN2at6native32elementwise_kernel_manual_unrollILi128ELi4EZNS0_15gpu_kernel_implIZZZNS0_21clamp_min_kernel_cudaERNS_18TensorIteratorBaseERKN3c106ScalarEENKUlvE_clEvENKUlvE_clEvEUlhE_EEvS4_RKT_EUlibE0_EEviT1_
    .private_segment_fixed_size: 0
    .sgpr_count:     85
    .sgpr_spill_count: 0
    .symbol:         _ZN2at6native32elementwise_kernel_manual_unrollILi128ELi4EZNS0_15gpu_kernel_implIZZZNS0_21clamp_min_kernel_cudaERNS_18TensorIteratorBaseERKN3c106ScalarEENKUlvE_clEvENKUlvE_clEvEUlhE_EEvS4_RKT_EUlibE0_EEviT1_.kd
    .uniform_work_group_size: 1
    .uses_dynamic_stack: false
    .vgpr_count:     20
    .vgpr_spill_count: 0
    .wavefront_size: 64
  - .agpr_count:     0
    .args:
      - .offset:         0
        .size:           4
        .value_kind:     by_value
      - .offset:         4
        .size:           1
        .value_kind:     by_value
      - .offset:         8
        .size:           16
        .value_kind:     by_value
    .group_segment_fixed_size: 0
    .kernarg_segment_align: 8
    .kernarg_segment_size: 24
    .language:       OpenCL C
    .language_version:
      - 2
      - 0
    .max_flat_workgroup_size: 256
    .name:           _ZN2at6native29vectorized_elementwise_kernelILi16EZZZNS0_21clamp_min_kernel_cudaERNS_18TensorIteratorBaseERKN3c106ScalarEENKUlvE_clEvENKUlvE0_clEvEUlaE_St5arrayIPcLm2EEEEviT0_T1_
    .private_segment_fixed_size: 0
    .sgpr_count:     46
    .sgpr_spill_count: 0
    .symbol:         _ZN2at6native29vectorized_elementwise_kernelILi16EZZZNS0_21clamp_min_kernel_cudaERNS_18TensorIteratorBaseERKN3c106ScalarEENKUlvE_clEvENKUlvE0_clEvEUlaE_St5arrayIPcLm2EEEEviT0_T1_.kd
    .uniform_work_group_size: 1
    .uses_dynamic_stack: false
    .vgpr_count:     21
    .vgpr_spill_count: 0
    .wavefront_size: 64
  - .agpr_count:     0
    .args:
      - .offset:         0
        .size:           4
        .value_kind:     by_value
      - .offset:         4
        .size:           1
        .value_kind:     by_value
      - .offset:         8
        .size:           16
        .value_kind:     by_value
    .group_segment_fixed_size: 0
    .kernarg_segment_align: 8
    .kernarg_segment_size: 24
    .language:       OpenCL C
    .language_version:
      - 2
      - 0
    .max_flat_workgroup_size: 256
    .name:           _ZN2at6native29vectorized_elementwise_kernelILi8EZZZNS0_21clamp_min_kernel_cudaERNS_18TensorIteratorBaseERKN3c106ScalarEENKUlvE_clEvENKUlvE0_clEvEUlaE_St5arrayIPcLm2EEEEviT0_T1_
    .private_segment_fixed_size: 0
    .sgpr_count:     46
    .sgpr_spill_count: 0
    .symbol:         _ZN2at6native29vectorized_elementwise_kernelILi8EZZZNS0_21clamp_min_kernel_cudaERNS_18TensorIteratorBaseERKN3c106ScalarEENKUlvE_clEvENKUlvE0_clEvEUlaE_St5arrayIPcLm2EEEEviT0_T1_.kd
    .uniform_work_group_size: 1
    .uses_dynamic_stack: false
    .vgpr_count:     21
    .vgpr_spill_count: 0
    .wavefront_size: 64
  - .agpr_count:     0
    .args:
      - .offset:         0
        .size:           4
        .value_kind:     by_value
      - .offset:         4
        .size:           1
        .value_kind:     by_value
      - .offset:         8
        .size:           16
        .value_kind:     by_value
    .group_segment_fixed_size: 0
    .kernarg_segment_align: 8
    .kernarg_segment_size: 24
    .language:       OpenCL C
    .language_version:
      - 2
      - 0
    .max_flat_workgroup_size: 256
    .name:           _ZN2at6native29vectorized_elementwise_kernelILi4EZZZNS0_21clamp_min_kernel_cudaERNS_18TensorIteratorBaseERKN3c106ScalarEENKUlvE_clEvENKUlvE0_clEvEUlaE_St5arrayIPcLm2EEEEviT0_T1_
    .private_segment_fixed_size: 0
    .sgpr_count:     46
    .sgpr_spill_count: 0
    .symbol:         _ZN2at6native29vectorized_elementwise_kernelILi4EZZZNS0_21clamp_min_kernel_cudaERNS_18TensorIteratorBaseERKN3c106ScalarEENKUlvE_clEvENKUlvE0_clEvEUlaE_St5arrayIPcLm2EEEEviT0_T1_.kd
    .uniform_work_group_size: 1
    .uses_dynamic_stack: false
    .vgpr_count:     21
    .vgpr_spill_count: 0
    .wavefront_size: 64
  - .agpr_count:     0
    .args:
      - .offset:         0
        .size:           4
        .value_kind:     by_value
      - .offset:         4
        .size:           1
        .value_kind:     by_value
      - .offset:         8
        .size:           16
        .value_kind:     by_value
    .group_segment_fixed_size: 0
    .kernarg_segment_align: 8
    .kernarg_segment_size: 24
    .language:       OpenCL C
    .language_version:
      - 2
      - 0
    .max_flat_workgroup_size: 256
    .name:           _ZN2at6native29vectorized_elementwise_kernelILi2EZZZNS0_21clamp_min_kernel_cudaERNS_18TensorIteratorBaseERKN3c106ScalarEENKUlvE_clEvENKUlvE0_clEvEUlaE_St5arrayIPcLm2EEEEviT0_T1_
    .private_segment_fixed_size: 0
    .sgpr_count:     46
    .sgpr_spill_count: 0
    .symbol:         _ZN2at6native29vectorized_elementwise_kernelILi2EZZZNS0_21clamp_min_kernel_cudaERNS_18TensorIteratorBaseERKN3c106ScalarEENKUlvE_clEvENKUlvE0_clEvEUlaE_St5arrayIPcLm2EEEEviT0_T1_.kd
    .uniform_work_group_size: 1
    .uses_dynamic_stack: false
    .vgpr_count:     21
    .vgpr_spill_count: 0
    .wavefront_size: 64
  - .agpr_count:     0
    .args:
      - .offset:         0
        .size:           4
        .value_kind:     by_value
      - .offset:         4
        .size:           1
        .value_kind:     by_value
      - .offset:         8
        .size:           16
        .value_kind:     by_value
      - .offset:         24
        .size:           1
        .value_kind:     by_value
      - .offset:         25
        .size:           1
        .value_kind:     by_value
      - .offset:         26
        .size:           1
        .value_kind:     by_value
      - .offset:         27
        .size:           1
        .value_kind:     by_value
    .group_segment_fixed_size: 0
    .kernarg_segment_align: 8
    .kernarg_segment_size: 28
    .language:       OpenCL C
    .language_version:
      - 2
      - 0
    .max_flat_workgroup_size: 256
    .name:           _ZN2at6native27unrolled_elementwise_kernelIZZZNS0_21clamp_min_kernel_cudaERNS_18TensorIteratorBaseERKN3c106ScalarEENKUlvE_clEvENKUlvE0_clEvEUlaE_St5arrayIPcLm2EELi4E23TrivialOffsetCalculatorILi1EjESF_NS0_6memory15LoadWithoutCastENSG_16StoreWithoutCastEEEviT_T0_T2_T3_T4_T5_
    .private_segment_fixed_size: 0
    .sgpr_count:     23
    .sgpr_spill_count: 0
    .symbol:         _ZN2at6native27unrolled_elementwise_kernelIZZZNS0_21clamp_min_kernel_cudaERNS_18TensorIteratorBaseERKN3c106ScalarEENKUlvE_clEvENKUlvE0_clEvEUlaE_St5arrayIPcLm2EELi4E23TrivialOffsetCalculatorILi1EjESF_NS0_6memory15LoadWithoutCastENSG_16StoreWithoutCastEEEviT_T0_T2_T3_T4_T5_.kd
    .uniform_work_group_size: 1
    .uses_dynamic_stack: false
    .vgpr_count:     8
    .vgpr_spill_count: 0
    .wavefront_size: 64
  - .agpr_count:     0
    .args:
      - .offset:         0
        .size:           4
        .value_kind:     by_value
      - .offset:         8
        .size:           352
        .value_kind:     by_value
    .group_segment_fixed_size: 0
    .kernarg_segment_align: 8
    .kernarg_segment_size: 360
    .language:       OpenCL C
    .language_version:
      - 2
      - 0
    .max_flat_workgroup_size: 128
    .name:           _ZN2at6native32elementwise_kernel_manual_unrollILi128ELi8EZNS0_22gpu_kernel_impl_nocastIZZZNS0_21clamp_min_kernel_cudaERNS_18TensorIteratorBaseERKN3c106ScalarEENKUlvE_clEvENKUlvE0_clEvEUlaE_EEvS4_RKT_EUlibE_EEviT1_
    .private_segment_fixed_size: 0
    .sgpr_count:     67
    .sgpr_spill_count: 0
    .symbol:         _ZN2at6native32elementwise_kernel_manual_unrollILi128ELi8EZNS0_22gpu_kernel_impl_nocastIZZZNS0_21clamp_min_kernel_cudaERNS_18TensorIteratorBaseERKN3c106ScalarEENKUlvE_clEvENKUlvE0_clEvEUlaE_EEvS4_RKT_EUlibE_EEviT1_.kd
    .uniform_work_group_size: 1
    .uses_dynamic_stack: false
    .vgpr_count:     33
    .vgpr_spill_count: 0
    .wavefront_size: 64
  - .agpr_count:     0
    .args:
      - .offset:         0
        .size:           4
        .value_kind:     by_value
      - .offset:         8
        .size:           32
        .value_kind:     by_value
    .group_segment_fixed_size: 0
    .kernarg_segment_align: 8
    .kernarg_segment_size: 40
    .language:       OpenCL C
    .language_version:
      - 2
      - 0
    .max_flat_workgroup_size: 128
    .name:           _ZN2at6native32elementwise_kernel_manual_unrollILi128ELi4EZNS0_15gpu_kernel_implIZZZNS0_21clamp_min_kernel_cudaERNS_18TensorIteratorBaseERKN3c106ScalarEENKUlvE_clEvENKUlvE0_clEvEUlaE_EEvS4_RKT_EUlibE_EEviT1_
    .private_segment_fixed_size: 0
    .sgpr_count:     54
    .sgpr_spill_count: 0
    .symbol:         _ZN2at6native32elementwise_kernel_manual_unrollILi128ELi4EZNS0_15gpu_kernel_implIZZZNS0_21clamp_min_kernel_cudaERNS_18TensorIteratorBaseERKN3c106ScalarEENKUlvE_clEvENKUlvE0_clEvEUlaE_EEvS4_RKT_EUlibE_EEviT1_.kd
    .uniform_work_group_size: 1
    .uses_dynamic_stack: false
    .vgpr_count:     14
    .vgpr_spill_count: 0
    .wavefront_size: 64
  - .agpr_count:     0
    .args:
      - .offset:         0
        .size:           4
        .value_kind:     by_value
      - .offset:         8
        .size:           352
        .value_kind:     by_value
    .group_segment_fixed_size: 0
    .kernarg_segment_align: 8
    .kernarg_segment_size: 360
    .language:       OpenCL C
    .language_version:
      - 2
      - 0
    .max_flat_workgroup_size: 128
    .name:           _ZN2at6native32elementwise_kernel_manual_unrollILi128ELi4EZNS0_15gpu_kernel_implIZZZNS0_21clamp_min_kernel_cudaERNS_18TensorIteratorBaseERKN3c106ScalarEENKUlvE_clEvENKUlvE0_clEvEUlaE_EEvS4_RKT_EUlibE0_EEviT1_
    .private_segment_fixed_size: 0
    .sgpr_count:     85
    .sgpr_spill_count: 0
    .symbol:         _ZN2at6native32elementwise_kernel_manual_unrollILi128ELi4EZNS0_15gpu_kernel_implIZZZNS0_21clamp_min_kernel_cudaERNS_18TensorIteratorBaseERKN3c106ScalarEENKUlvE_clEvENKUlvE0_clEvEUlaE_EEvS4_RKT_EUlibE0_EEviT1_.kd
    .uniform_work_group_size: 1
    .uses_dynamic_stack: false
    .vgpr_count:     18
    .vgpr_spill_count: 0
    .wavefront_size: 64
  - .agpr_count:     0
    .args:
      - .offset:         0
        .size:           4
        .value_kind:     by_value
      - .offset:         4
        .size:           4
        .value_kind:     by_value
      - .offset:         8
        .size:           16
        .value_kind:     by_value
    .group_segment_fixed_size: 0
    .kernarg_segment_align: 8
    .kernarg_segment_size: 24
    .language:       OpenCL C
    .language_version:
      - 2
      - 0
    .max_flat_workgroup_size: 256
    .name:           _ZN2at6native29vectorized_elementwise_kernelILi16EZZZNS0_21clamp_min_kernel_cudaERNS_18TensorIteratorBaseERKN3c106ScalarEENKUlvE_clEvENKUlvE1_clEvEUliE_St5arrayIPcLm2EEEEviT0_T1_
    .private_segment_fixed_size: 0
    .sgpr_count:     22
    .sgpr_spill_count: 0
    .symbol:         _ZN2at6native29vectorized_elementwise_kernelILi16EZZZNS0_21clamp_min_kernel_cudaERNS_18TensorIteratorBaseERKN3c106ScalarEENKUlvE_clEvENKUlvE1_clEvEUliE_St5arrayIPcLm2EEEEviT0_T1_.kd
    .uniform_work_group_size: 1
    .uses_dynamic_stack: false
    .vgpr_count:     9
    .vgpr_spill_count: 0
    .wavefront_size: 64
  - .agpr_count:     0
    .args:
      - .offset:         0
        .size:           4
        .value_kind:     by_value
      - .offset:         4
        .size:           4
        .value_kind:     by_value
      - .offset:         8
        .size:           16
        .value_kind:     by_value
    .group_segment_fixed_size: 0
    .kernarg_segment_align: 8
    .kernarg_segment_size: 24
    .language:       OpenCL C
    .language_version:
      - 2
      - 0
    .max_flat_workgroup_size: 256
    .name:           _ZN2at6native29vectorized_elementwise_kernelILi8EZZZNS0_21clamp_min_kernel_cudaERNS_18TensorIteratorBaseERKN3c106ScalarEENKUlvE_clEvENKUlvE1_clEvEUliE_St5arrayIPcLm2EEEEviT0_T1_
    .private_segment_fixed_size: 0
    .sgpr_count:     22
    .sgpr_spill_count: 0
    .symbol:         _ZN2at6native29vectorized_elementwise_kernelILi8EZZZNS0_21clamp_min_kernel_cudaERNS_18TensorIteratorBaseERKN3c106ScalarEENKUlvE_clEvENKUlvE1_clEvEUliE_St5arrayIPcLm2EEEEviT0_T1_.kd
    .uniform_work_group_size: 1
    .uses_dynamic_stack: false
    .vgpr_count:     9
    .vgpr_spill_count: 0
    .wavefront_size: 64
  - .agpr_count:     0
    .args:
      - .offset:         0
        .size:           4
        .value_kind:     by_value
      - .offset:         4
        .size:           4
        .value_kind:     by_value
      - .offset:         8
        .size:           16
        .value_kind:     by_value
    .group_segment_fixed_size: 0
    .kernarg_segment_align: 8
    .kernarg_segment_size: 24
    .language:       OpenCL C
    .language_version:
      - 2
      - 0
    .max_flat_workgroup_size: 256
    .name:           _ZN2at6native29vectorized_elementwise_kernelILi4EZZZNS0_21clamp_min_kernel_cudaERNS_18TensorIteratorBaseERKN3c106ScalarEENKUlvE_clEvENKUlvE1_clEvEUliE_St5arrayIPcLm2EEEEviT0_T1_
    .private_segment_fixed_size: 0
    .sgpr_count:     22
    .sgpr_spill_count: 0
    .symbol:         _ZN2at6native29vectorized_elementwise_kernelILi4EZZZNS0_21clamp_min_kernel_cudaERNS_18TensorIteratorBaseERKN3c106ScalarEENKUlvE_clEvENKUlvE1_clEvEUliE_St5arrayIPcLm2EEEEviT0_T1_.kd
    .uniform_work_group_size: 1
    .uses_dynamic_stack: false
    .vgpr_count:     9
    .vgpr_spill_count: 0
    .wavefront_size: 64
  - .agpr_count:     0
    .args:
      - .offset:         0
        .size:           4
        .value_kind:     by_value
      - .offset:         4
        .size:           4
        .value_kind:     by_value
      - .offset:         8
        .size:           16
        .value_kind:     by_value
    .group_segment_fixed_size: 0
    .kernarg_segment_align: 8
    .kernarg_segment_size: 24
    .language:       OpenCL C
    .language_version:
      - 2
      - 0
    .max_flat_workgroup_size: 256
    .name:           _ZN2at6native29vectorized_elementwise_kernelILi2EZZZNS0_21clamp_min_kernel_cudaERNS_18TensorIteratorBaseERKN3c106ScalarEENKUlvE_clEvENKUlvE1_clEvEUliE_St5arrayIPcLm2EEEEviT0_T1_
    .private_segment_fixed_size: 0
    .sgpr_count:     22
    .sgpr_spill_count: 0
    .symbol:         _ZN2at6native29vectorized_elementwise_kernelILi2EZZZNS0_21clamp_min_kernel_cudaERNS_18TensorIteratorBaseERKN3c106ScalarEENKUlvE_clEvENKUlvE1_clEvEUliE_St5arrayIPcLm2EEEEviT0_T1_.kd
    .uniform_work_group_size: 1
    .uses_dynamic_stack: false
    .vgpr_count:     9
    .vgpr_spill_count: 0
    .wavefront_size: 64
  - .agpr_count:     0
    .args:
      - .offset:         0
        .size:           4
        .value_kind:     by_value
      - .offset:         4
        .size:           4
        .value_kind:     by_value
      - .offset:         8
        .size:           16
        .value_kind:     by_value
      - .offset:         24
        .size:           1
        .value_kind:     by_value
      - .offset:         25
        .size:           1
        .value_kind:     by_value
      - .offset:         26
        .size:           1
        .value_kind:     by_value
      - .offset:         27
        .size:           1
        .value_kind:     by_value
    .group_segment_fixed_size: 0
    .kernarg_segment_align: 8
    .kernarg_segment_size: 28
    .language:       OpenCL C
    .language_version:
      - 2
      - 0
    .max_flat_workgroup_size: 256
    .name:           _ZN2at6native27unrolled_elementwise_kernelIZZZNS0_21clamp_min_kernel_cudaERNS_18TensorIteratorBaseERKN3c106ScalarEENKUlvE_clEvENKUlvE1_clEvEUliE_St5arrayIPcLm2EELi4E23TrivialOffsetCalculatorILi1EjESF_NS0_6memory15LoadWithoutCastENSG_16StoreWithoutCastEEEviT_T0_T2_T3_T4_T5_
    .private_segment_fixed_size: 0
    .sgpr_count:     23
    .sgpr_spill_count: 0
    .symbol:         _ZN2at6native27unrolled_elementwise_kernelIZZZNS0_21clamp_min_kernel_cudaERNS_18TensorIteratorBaseERKN3c106ScalarEENKUlvE_clEvENKUlvE1_clEvEUliE_St5arrayIPcLm2EELi4E23TrivialOffsetCalculatorILi1EjESF_NS0_6memory15LoadWithoutCastENSG_16StoreWithoutCastEEEviT_T0_T2_T3_T4_T5_.kd
    .uniform_work_group_size: 1
    .uses_dynamic_stack: false
    .vgpr_count:     9
    .vgpr_spill_count: 0
    .wavefront_size: 64
  - .agpr_count:     0
    .args:
      - .offset:         0
        .size:           4
        .value_kind:     by_value
      - .offset:         8
        .size:           352
        .value_kind:     by_value
    .group_segment_fixed_size: 0
    .kernarg_segment_align: 8
    .kernarg_segment_size: 360
    .language:       OpenCL C
    .language_version:
      - 2
      - 0
    .max_flat_workgroup_size: 128
    .name:           _ZN2at6native32elementwise_kernel_manual_unrollILi128ELi4EZNS0_22gpu_kernel_impl_nocastIZZZNS0_21clamp_min_kernel_cudaERNS_18TensorIteratorBaseERKN3c106ScalarEENKUlvE_clEvENKUlvE1_clEvEUliE_EEvS4_RKT_EUlibE_EEviT1_
    .private_segment_fixed_size: 0
    .sgpr_count:     67
    .sgpr_spill_count: 0
    .symbol:         _ZN2at6native32elementwise_kernel_manual_unrollILi128ELi4EZNS0_22gpu_kernel_impl_nocastIZZZNS0_21clamp_min_kernel_cudaERNS_18TensorIteratorBaseERKN3c106ScalarEENKUlvE_clEvENKUlvE1_clEvEUliE_EEvS4_RKT_EUlibE_EEviT1_.kd
    .uniform_work_group_size: 1
    .uses_dynamic_stack: false
    .vgpr_count:     17
    .vgpr_spill_count: 0
    .wavefront_size: 64
  - .agpr_count:     0
    .args:
      - .offset:         0
        .size:           4
        .value_kind:     by_value
      - .offset:         8
        .size:           32
        .value_kind:     by_value
    .group_segment_fixed_size: 0
    .kernarg_segment_align: 8
    .kernarg_segment_size: 40
    .language:       OpenCL C
    .language_version:
      - 2
      - 0
    .max_flat_workgroup_size: 128
    .name:           _ZN2at6native32elementwise_kernel_manual_unrollILi128ELi4EZNS0_15gpu_kernel_implIZZZNS0_21clamp_min_kernel_cudaERNS_18TensorIteratorBaseERKN3c106ScalarEENKUlvE_clEvENKUlvE1_clEvEUliE_EEvS4_RKT_EUlibE_EEviT1_
    .private_segment_fixed_size: 0
    .sgpr_count:     52
    .sgpr_spill_count: 0
    .symbol:         _ZN2at6native32elementwise_kernel_manual_unrollILi128ELi4EZNS0_15gpu_kernel_implIZZZNS0_21clamp_min_kernel_cudaERNS_18TensorIteratorBaseERKN3c106ScalarEENKUlvE_clEvENKUlvE1_clEvEUliE_EEvS4_RKT_EUlibE_EEviT1_.kd
    .uniform_work_group_size: 1
    .uses_dynamic_stack: false
    .vgpr_count:     14
    .vgpr_spill_count: 0
    .wavefront_size: 64
  - .agpr_count:     0
    .args:
      - .offset:         0
        .size:           4
        .value_kind:     by_value
      - .offset:         8
        .size:           352
        .value_kind:     by_value
    .group_segment_fixed_size: 0
    .kernarg_segment_align: 8
    .kernarg_segment_size: 360
    .language:       OpenCL C
    .language_version:
      - 2
      - 0
    .max_flat_workgroup_size: 128
    .name:           _ZN2at6native32elementwise_kernel_manual_unrollILi128ELi4EZNS0_15gpu_kernel_implIZZZNS0_21clamp_min_kernel_cudaERNS_18TensorIteratorBaseERKN3c106ScalarEENKUlvE_clEvENKUlvE1_clEvEUliE_EEvS4_RKT_EUlibE0_EEviT1_
    .private_segment_fixed_size: 0
    .sgpr_count:     85
    .sgpr_spill_count: 0
    .symbol:         _ZN2at6native32elementwise_kernel_manual_unrollILi128ELi4EZNS0_15gpu_kernel_implIZZZNS0_21clamp_min_kernel_cudaERNS_18TensorIteratorBaseERKN3c106ScalarEENKUlvE_clEvENKUlvE1_clEvEUliE_EEvS4_RKT_EUlibE0_EEviT1_.kd
    .uniform_work_group_size: 1
    .uses_dynamic_stack: false
    .vgpr_count:     18
    .vgpr_spill_count: 0
    .wavefront_size: 64
  - .agpr_count:     0
    .args:
      - .offset:         0
        .size:           4
        .value_kind:     by_value
      - .offset:         8
        .size:           8
        .value_kind:     by_value
      - .offset:         16
        .size:           16
        .value_kind:     by_value
    .group_segment_fixed_size: 0
    .kernarg_segment_align: 8
    .kernarg_segment_size: 32
    .language:       OpenCL C
    .language_version:
      - 2
      - 0
    .max_flat_workgroup_size: 256
    .name:           _ZN2at6native29vectorized_elementwise_kernelILi16EZZZNS0_21clamp_min_kernel_cudaERNS_18TensorIteratorBaseERKN3c106ScalarEENKUlvE_clEvENKUlvE2_clEvEUllE_St5arrayIPcLm2EEEEviT0_T1_
    .private_segment_fixed_size: 0
    .sgpr_count:     24
    .sgpr_spill_count: 0
    .symbol:         _ZN2at6native29vectorized_elementwise_kernelILi16EZZZNS0_21clamp_min_kernel_cudaERNS_18TensorIteratorBaseERKN3c106ScalarEENKUlvE_clEvENKUlvE2_clEvEUllE_St5arrayIPcLm2EEEEviT0_T1_.kd
    .uniform_work_group_size: 1
    .uses_dynamic_stack: false
    .vgpr_count:     17
    .vgpr_spill_count: 0
    .wavefront_size: 64
  - .agpr_count:     0
    .args:
      - .offset:         0
        .size:           4
        .value_kind:     by_value
      - .offset:         8
        .size:           8
        .value_kind:     by_value
      - .offset:         16
        .size:           16
        .value_kind:     by_value
    .group_segment_fixed_size: 0
    .kernarg_segment_align: 8
    .kernarg_segment_size: 32
    .language:       OpenCL C
    .language_version:
      - 2
      - 0
    .max_flat_workgroup_size: 256
    .name:           _ZN2at6native29vectorized_elementwise_kernelILi8EZZZNS0_21clamp_min_kernel_cudaERNS_18TensorIteratorBaseERKN3c106ScalarEENKUlvE_clEvENKUlvE2_clEvEUllE_St5arrayIPcLm2EEEEviT0_T1_
    .private_segment_fixed_size: 0
    .sgpr_count:     24
    .sgpr_spill_count: 0
    .symbol:         _ZN2at6native29vectorized_elementwise_kernelILi8EZZZNS0_21clamp_min_kernel_cudaERNS_18TensorIteratorBaseERKN3c106ScalarEENKUlvE_clEvENKUlvE2_clEvEUllE_St5arrayIPcLm2EEEEviT0_T1_.kd
    .uniform_work_group_size: 1
    .uses_dynamic_stack: false
    .vgpr_count:     17
    .vgpr_spill_count: 0
    .wavefront_size: 64
  - .agpr_count:     0
    .args:
      - .offset:         0
        .size:           4
        .value_kind:     by_value
      - .offset:         8
        .size:           8
        .value_kind:     by_value
      - .offset:         16
        .size:           16
        .value_kind:     by_value
    .group_segment_fixed_size: 0
    .kernarg_segment_align: 8
    .kernarg_segment_size: 32
    .language:       OpenCL C
    .language_version:
      - 2
      - 0
    .max_flat_workgroup_size: 256
    .name:           _ZN2at6native29vectorized_elementwise_kernelILi4EZZZNS0_21clamp_min_kernel_cudaERNS_18TensorIteratorBaseERKN3c106ScalarEENKUlvE_clEvENKUlvE2_clEvEUllE_St5arrayIPcLm2EEEEviT0_T1_
    .private_segment_fixed_size: 0
    .sgpr_count:     24
    .sgpr_spill_count: 0
    .symbol:         _ZN2at6native29vectorized_elementwise_kernelILi4EZZZNS0_21clamp_min_kernel_cudaERNS_18TensorIteratorBaseERKN3c106ScalarEENKUlvE_clEvENKUlvE2_clEvEUllE_St5arrayIPcLm2EEEEviT0_T1_.kd
    .uniform_work_group_size: 1
    .uses_dynamic_stack: false
    .vgpr_count:     17
    .vgpr_spill_count: 0
    .wavefront_size: 64
  - .agpr_count:     0
    .args:
      - .offset:         0
        .size:           4
        .value_kind:     by_value
      - .offset:         8
        .size:           8
        .value_kind:     by_value
      - .offset:         16
        .size:           16
        .value_kind:     by_value
    .group_segment_fixed_size: 0
    .kernarg_segment_align: 8
    .kernarg_segment_size: 32
    .language:       OpenCL C
    .language_version:
      - 2
      - 0
    .max_flat_workgroup_size: 256
    .name:           _ZN2at6native29vectorized_elementwise_kernelILi2EZZZNS0_21clamp_min_kernel_cudaERNS_18TensorIteratorBaseERKN3c106ScalarEENKUlvE_clEvENKUlvE2_clEvEUllE_St5arrayIPcLm2EEEEviT0_T1_
    .private_segment_fixed_size: 0
    .sgpr_count:     19
    .sgpr_spill_count: 0
    .symbol:         _ZN2at6native29vectorized_elementwise_kernelILi2EZZZNS0_21clamp_min_kernel_cudaERNS_18TensorIteratorBaseERKN3c106ScalarEENKUlvE_clEvENKUlvE2_clEvEUllE_St5arrayIPcLm2EEEEviT0_T1_.kd
    .uniform_work_group_size: 1
    .uses_dynamic_stack: false
    .vgpr_count:     17
    .vgpr_spill_count: 0
    .wavefront_size: 64
  - .agpr_count:     0
    .args:
      - .offset:         0
        .size:           4
        .value_kind:     by_value
      - .offset:         8
        .size:           8
        .value_kind:     by_value
      - .offset:         16
        .size:           16
        .value_kind:     by_value
      - .offset:         32
        .size:           1
        .value_kind:     by_value
      - .offset:         33
        .size:           1
        .value_kind:     by_value
      - .offset:         34
        .size:           1
        .value_kind:     by_value
      - .offset:         35
        .size:           1
        .value_kind:     by_value
    .group_segment_fixed_size: 0
    .kernarg_segment_align: 8
    .kernarg_segment_size: 36
    .language:       OpenCL C
    .language_version:
      - 2
      - 0
    .max_flat_workgroup_size: 256
    .name:           _ZN2at6native27unrolled_elementwise_kernelIZZZNS0_21clamp_min_kernel_cudaERNS_18TensorIteratorBaseERKN3c106ScalarEENKUlvE_clEvENKUlvE2_clEvEUllE_St5arrayIPcLm2EELi4E23TrivialOffsetCalculatorILi1EjESF_NS0_6memory15LoadWithoutCastENSG_16StoreWithoutCastEEEviT_T0_T2_T3_T4_T5_
    .private_segment_fixed_size: 0
    .sgpr_count:     18
    .sgpr_spill_count: 0
    .symbol:         _ZN2at6native27unrolled_elementwise_kernelIZZZNS0_21clamp_min_kernel_cudaERNS_18TensorIteratorBaseERKN3c106ScalarEENKUlvE_clEvENKUlvE2_clEvEUllE_St5arrayIPcLm2EELi4E23TrivialOffsetCalculatorILi1EjESF_NS0_6memory15LoadWithoutCastENSG_16StoreWithoutCastEEEviT_T0_T2_T3_T4_T5_.kd
    .uniform_work_group_size: 1
    .uses_dynamic_stack: false
    .vgpr_count:     17
    .vgpr_spill_count: 0
    .wavefront_size: 64
  - .agpr_count:     0
    .args:
      - .offset:         0
        .size:           4
        .value_kind:     by_value
      - .offset:         8
        .size:           352
        .value_kind:     by_value
    .group_segment_fixed_size: 0
    .kernarg_segment_align: 8
    .kernarg_segment_size: 360
    .language:       OpenCL C
    .language_version:
      - 2
      - 0
    .max_flat_workgroup_size: 128
    .name:           _ZN2at6native32elementwise_kernel_manual_unrollILi128ELi4EZNS0_22gpu_kernel_impl_nocastIZZZNS0_21clamp_min_kernel_cudaERNS_18TensorIteratorBaseERKN3c106ScalarEENKUlvE_clEvENKUlvE2_clEvEUllE_EEvS4_RKT_EUlibE_EEviT1_
    .private_segment_fixed_size: 0
    .sgpr_count:     68
    .sgpr_spill_count: 0
    .symbol:         _ZN2at6native32elementwise_kernel_manual_unrollILi128ELi4EZNS0_22gpu_kernel_impl_nocastIZZZNS0_21clamp_min_kernel_cudaERNS_18TensorIteratorBaseERKN3c106ScalarEENKUlvE_clEvENKUlvE2_clEvEUllE_EEvS4_RKT_EUlibE_EEviT1_.kd
    .uniform_work_group_size: 1
    .uses_dynamic_stack: false
    .vgpr_count:     24
    .vgpr_spill_count: 0
    .wavefront_size: 64
  - .agpr_count:     0
    .args:
      - .offset:         0
        .size:           4
        .value_kind:     by_value
      - .offset:         8
        .size:           40
        .value_kind:     by_value
    .group_segment_fixed_size: 0
    .kernarg_segment_align: 8
    .kernarg_segment_size: 48
    .language:       OpenCL C
    .language_version:
      - 2
      - 0
    .max_flat_workgroup_size: 128
    .name:           _ZN2at6native32elementwise_kernel_manual_unrollILi128ELi4EZNS0_15gpu_kernel_implIZZZNS0_21clamp_min_kernel_cudaERNS_18TensorIteratorBaseERKN3c106ScalarEENKUlvE_clEvENKUlvE2_clEvEUllE_EEvS4_RKT_EUlibE_EEviT1_
    .private_segment_fixed_size: 0
    .sgpr_count:     54
    .sgpr_spill_count: 0
    .symbol:         _ZN2at6native32elementwise_kernel_manual_unrollILi128ELi4EZNS0_15gpu_kernel_implIZZZNS0_21clamp_min_kernel_cudaERNS_18TensorIteratorBaseERKN3c106ScalarEENKUlvE_clEvENKUlvE2_clEvEUllE_EEvS4_RKT_EUlibE_EEviT1_.kd
    .uniform_work_group_size: 1
    .uses_dynamic_stack: false
    .vgpr_count:     16
    .vgpr_spill_count: 0
    .wavefront_size: 64
  - .agpr_count:     0
    .args:
      - .offset:         0
        .size:           4
        .value_kind:     by_value
      - .offset:         8
        .size:           360
        .value_kind:     by_value
    .group_segment_fixed_size: 0
    .kernarg_segment_align: 8
    .kernarg_segment_size: 368
    .language:       OpenCL C
    .language_version:
      - 2
      - 0
    .max_flat_workgroup_size: 128
    .name:           _ZN2at6native32elementwise_kernel_manual_unrollILi128ELi4EZNS0_15gpu_kernel_implIZZZNS0_21clamp_min_kernel_cudaERNS_18TensorIteratorBaseERKN3c106ScalarEENKUlvE_clEvENKUlvE2_clEvEUllE_EEvS4_RKT_EUlibE0_EEviT1_
    .private_segment_fixed_size: 0
    .sgpr_count:     86
    .sgpr_spill_count: 0
    .symbol:         _ZN2at6native32elementwise_kernel_manual_unrollILi128ELi4EZNS0_15gpu_kernel_implIZZZNS0_21clamp_min_kernel_cudaERNS_18TensorIteratorBaseERKN3c106ScalarEENKUlvE_clEvENKUlvE2_clEvEUllE_EEvS4_RKT_EUlibE0_EEviT1_.kd
    .uniform_work_group_size: 1
    .uses_dynamic_stack: false
    .vgpr_count:     22
    .vgpr_spill_count: 0
    .wavefront_size: 64
  - .agpr_count:     0
    .args:
      - .offset:         0
        .size:           4
        .value_kind:     by_value
      - .offset:         4
        .size:           2
        .value_kind:     by_value
      - .offset:         8
        .size:           16
        .value_kind:     by_value
    .group_segment_fixed_size: 0
    .kernarg_segment_align: 8
    .kernarg_segment_size: 24
    .language:       OpenCL C
    .language_version:
      - 2
      - 0
    .max_flat_workgroup_size: 256
    .name:           _ZN2at6native29vectorized_elementwise_kernelILi16EZZZNS0_21clamp_min_kernel_cudaERNS_18TensorIteratorBaseERKN3c106ScalarEENKUlvE_clEvENKUlvE3_clEvEUlsE_St5arrayIPcLm2EEEEviT0_T1_
    .private_segment_fixed_size: 0
    .sgpr_count:     18
    .sgpr_spill_count: 0
    .symbol:         _ZN2at6native29vectorized_elementwise_kernelILi16EZZZNS0_21clamp_min_kernel_cudaERNS_18TensorIteratorBaseERKN3c106ScalarEENKUlvE_clEvENKUlvE3_clEvEUlsE_St5arrayIPcLm2EEEEviT0_T1_.kd
    .uniform_work_group_size: 1
    .uses_dynamic_stack: false
    .vgpr_count:     14
    .vgpr_spill_count: 0
    .wavefront_size: 64
  - .agpr_count:     0
    .args:
      - .offset:         0
        .size:           4
        .value_kind:     by_value
      - .offset:         4
        .size:           2
        .value_kind:     by_value
      - .offset:         8
        .size:           16
        .value_kind:     by_value
    .group_segment_fixed_size: 0
    .kernarg_segment_align: 8
    .kernarg_segment_size: 24
    .language:       OpenCL C
    .language_version:
      - 2
      - 0
    .max_flat_workgroup_size: 256
    .name:           _ZN2at6native29vectorized_elementwise_kernelILi8EZZZNS0_21clamp_min_kernel_cudaERNS_18TensorIteratorBaseERKN3c106ScalarEENKUlvE_clEvENKUlvE3_clEvEUlsE_St5arrayIPcLm2EEEEviT0_T1_
    .private_segment_fixed_size: 0
    .sgpr_count:     18
    .sgpr_spill_count: 0
    .symbol:         _ZN2at6native29vectorized_elementwise_kernelILi8EZZZNS0_21clamp_min_kernel_cudaERNS_18TensorIteratorBaseERKN3c106ScalarEENKUlvE_clEvENKUlvE3_clEvEUlsE_St5arrayIPcLm2EEEEviT0_T1_.kd
    .uniform_work_group_size: 1
    .uses_dynamic_stack: false
    .vgpr_count:     14
    .vgpr_spill_count: 0
    .wavefront_size: 64
  - .agpr_count:     0
    .args:
      - .offset:         0
        .size:           4
        .value_kind:     by_value
      - .offset:         4
        .size:           2
        .value_kind:     by_value
      - .offset:         8
        .size:           16
        .value_kind:     by_value
    .group_segment_fixed_size: 0
    .kernarg_segment_align: 8
    .kernarg_segment_size: 24
    .language:       OpenCL C
    .language_version:
      - 2
      - 0
    .max_flat_workgroup_size: 256
    .name:           _ZN2at6native29vectorized_elementwise_kernelILi4EZZZNS0_21clamp_min_kernel_cudaERNS_18TensorIteratorBaseERKN3c106ScalarEENKUlvE_clEvENKUlvE3_clEvEUlsE_St5arrayIPcLm2EEEEviT0_T1_
    .private_segment_fixed_size: 0
    .sgpr_count:     18
    .sgpr_spill_count: 0
    .symbol:         _ZN2at6native29vectorized_elementwise_kernelILi4EZZZNS0_21clamp_min_kernel_cudaERNS_18TensorIteratorBaseERKN3c106ScalarEENKUlvE_clEvENKUlvE3_clEvEUlsE_St5arrayIPcLm2EEEEviT0_T1_.kd
    .uniform_work_group_size: 1
    .uses_dynamic_stack: false
    .vgpr_count:     14
    .vgpr_spill_count: 0
    .wavefront_size: 64
  - .agpr_count:     0
    .args:
      - .offset:         0
        .size:           4
        .value_kind:     by_value
      - .offset:         4
        .size:           2
        .value_kind:     by_value
      - .offset:         8
        .size:           16
        .value_kind:     by_value
    .group_segment_fixed_size: 0
    .kernarg_segment_align: 8
    .kernarg_segment_size: 24
    .language:       OpenCL C
    .language_version:
      - 2
      - 0
    .max_flat_workgroup_size: 256
    .name:           _ZN2at6native29vectorized_elementwise_kernelILi2EZZZNS0_21clamp_min_kernel_cudaERNS_18TensorIteratorBaseERKN3c106ScalarEENKUlvE_clEvENKUlvE3_clEvEUlsE_St5arrayIPcLm2EEEEviT0_T1_
    .private_segment_fixed_size: 0
    .sgpr_count:     18
    .sgpr_spill_count: 0
    .symbol:         _ZN2at6native29vectorized_elementwise_kernelILi2EZZZNS0_21clamp_min_kernel_cudaERNS_18TensorIteratorBaseERKN3c106ScalarEENKUlvE_clEvENKUlvE3_clEvEUlsE_St5arrayIPcLm2EEEEviT0_T1_.kd
    .uniform_work_group_size: 1
    .uses_dynamic_stack: false
    .vgpr_count:     14
    .vgpr_spill_count: 0
    .wavefront_size: 64
  - .agpr_count:     0
    .args:
      - .offset:         0
        .size:           4
        .value_kind:     by_value
      - .offset:         4
        .size:           2
        .value_kind:     by_value
      - .offset:         8
        .size:           16
        .value_kind:     by_value
      - .offset:         24
        .size:           1
        .value_kind:     by_value
      - .offset:         25
        .size:           1
        .value_kind:     by_value
      - .offset:         26
        .size:           1
        .value_kind:     by_value
      - .offset:         27
        .size:           1
        .value_kind:     by_value
    .group_segment_fixed_size: 0
    .kernarg_segment_align: 8
    .kernarg_segment_size: 28
    .language:       OpenCL C
    .language_version:
      - 2
      - 0
    .max_flat_workgroup_size: 256
    .name:           _ZN2at6native27unrolled_elementwise_kernelIZZZNS0_21clamp_min_kernel_cudaERNS_18TensorIteratorBaseERKN3c106ScalarEENKUlvE_clEvENKUlvE3_clEvEUlsE_St5arrayIPcLm2EELi4E23TrivialOffsetCalculatorILi1EjESF_NS0_6memory15LoadWithoutCastENSG_16StoreWithoutCastEEEviT_T0_T2_T3_T4_T5_
    .private_segment_fixed_size: 0
    .sgpr_count:     17
    .sgpr_spill_count: 0
    .symbol:         _ZN2at6native27unrolled_elementwise_kernelIZZZNS0_21clamp_min_kernel_cudaERNS_18TensorIteratorBaseERKN3c106ScalarEENKUlvE_clEvENKUlvE3_clEvEUlsE_St5arrayIPcLm2EELi4E23TrivialOffsetCalculatorILi1EjESF_NS0_6memory15LoadWithoutCastENSG_16StoreWithoutCastEEEviT_T0_T2_T3_T4_T5_.kd
    .uniform_work_group_size: 1
    .uses_dynamic_stack: false
    .vgpr_count:     8
    .vgpr_spill_count: 0
    .wavefront_size: 64
  - .agpr_count:     0
    .args:
      - .offset:         0
        .size:           4
        .value_kind:     by_value
      - .offset:         8
        .size:           352
        .value_kind:     by_value
    .group_segment_fixed_size: 0
    .kernarg_segment_align: 8
    .kernarg_segment_size: 360
    .language:       OpenCL C
    .language_version:
      - 2
      - 0
    .max_flat_workgroup_size: 128
    .name:           _ZN2at6native32elementwise_kernel_manual_unrollILi128ELi8EZNS0_22gpu_kernel_impl_nocastIZZZNS0_21clamp_min_kernel_cudaERNS_18TensorIteratorBaseERKN3c106ScalarEENKUlvE_clEvENKUlvE3_clEvEUlsE_EEvS4_RKT_EUlibE_EEviT1_
    .private_segment_fixed_size: 0
    .sgpr_count:     67
    .sgpr_spill_count: 0
    .symbol:         _ZN2at6native32elementwise_kernel_manual_unrollILi128ELi8EZNS0_22gpu_kernel_impl_nocastIZZZNS0_21clamp_min_kernel_cudaERNS_18TensorIteratorBaseERKN3c106ScalarEENKUlvE_clEvENKUlvE3_clEvEUlsE_EEvS4_RKT_EUlibE_EEviT1_.kd
    .uniform_work_group_size: 1
    .uses_dynamic_stack: false
    .vgpr_count:     33
    .vgpr_spill_count: 0
    .wavefront_size: 64
  - .agpr_count:     0
    .args:
      - .offset:         0
        .size:           4
        .value_kind:     by_value
      - .offset:         8
        .size:           32
        .value_kind:     by_value
    .group_segment_fixed_size: 0
    .kernarg_segment_align: 8
    .kernarg_segment_size: 40
    .language:       OpenCL C
    .language_version:
      - 2
      - 0
    .max_flat_workgroup_size: 128
    .name:           _ZN2at6native32elementwise_kernel_manual_unrollILi128ELi4EZNS0_15gpu_kernel_implIZZZNS0_21clamp_min_kernel_cudaERNS_18TensorIteratorBaseERKN3c106ScalarEENKUlvE_clEvENKUlvE3_clEvEUlsE_EEvS4_RKT_EUlibE_EEviT1_
    .private_segment_fixed_size: 0
    .sgpr_count:     52
    .sgpr_spill_count: 0
    .symbol:         _ZN2at6native32elementwise_kernel_manual_unrollILi128ELi4EZNS0_15gpu_kernel_implIZZZNS0_21clamp_min_kernel_cudaERNS_18TensorIteratorBaseERKN3c106ScalarEENKUlvE_clEvENKUlvE3_clEvEUlsE_EEvS4_RKT_EUlibE_EEviT1_.kd
    .uniform_work_group_size: 1
    .uses_dynamic_stack: false
    .vgpr_count:     14
    .vgpr_spill_count: 0
    .wavefront_size: 64
  - .agpr_count:     0
    .args:
      - .offset:         0
        .size:           4
        .value_kind:     by_value
      - .offset:         8
        .size:           352
        .value_kind:     by_value
    .group_segment_fixed_size: 0
    .kernarg_segment_align: 8
    .kernarg_segment_size: 360
    .language:       OpenCL C
    .language_version:
      - 2
      - 0
    .max_flat_workgroup_size: 128
    .name:           _ZN2at6native32elementwise_kernel_manual_unrollILi128ELi4EZNS0_15gpu_kernel_implIZZZNS0_21clamp_min_kernel_cudaERNS_18TensorIteratorBaseERKN3c106ScalarEENKUlvE_clEvENKUlvE3_clEvEUlsE_EEvS4_RKT_EUlibE0_EEviT1_
    .private_segment_fixed_size: 0
    .sgpr_count:     85
    .sgpr_spill_count: 0
    .symbol:         _ZN2at6native32elementwise_kernel_manual_unrollILi128ELi4EZNS0_15gpu_kernel_implIZZZNS0_21clamp_min_kernel_cudaERNS_18TensorIteratorBaseERKN3c106ScalarEENKUlvE_clEvENKUlvE3_clEvEUlsE_EEvS4_RKT_EUlibE0_EEviT1_.kd
    .uniform_work_group_size: 1
    .uses_dynamic_stack: false
    .vgpr_count:     18
    .vgpr_spill_count: 0
    .wavefront_size: 64
  - .agpr_count:     0
    .args:
      - .offset:         0
        .size:           4
        .value_kind:     by_value
      - .offset:         8
        .size:           8
        .value_kind:     by_value
      - .offset:         16
        .size:           16
        .value_kind:     by_value
    .group_segment_fixed_size: 0
    .kernarg_segment_align: 8
    .kernarg_segment_size: 32
    .language:       OpenCL C
    .language_version:
      - 2
      - 0
    .max_flat_workgroup_size: 256
    .name:           _ZN2at6native29vectorized_elementwise_kernelILi16EZZZNS0_21clamp_min_kernel_cudaERNS_18TensorIteratorBaseERKN3c106ScalarEENKUlvE_clEvENKUlvE4_clEvEUldE_St5arrayIPcLm2EEEEviT0_T1_
    .private_segment_fixed_size: 0
    .sgpr_count:     17
    .sgpr_spill_count: 0
    .symbol:         _ZN2at6native29vectorized_elementwise_kernelILi16EZZZNS0_21clamp_min_kernel_cudaERNS_18TensorIteratorBaseERKN3c106ScalarEENKUlvE_clEvENKUlvE4_clEvEUldE_St5arrayIPcLm2EEEEviT0_T1_.kd
    .uniform_work_group_size: 1
    .uses_dynamic_stack: false
    .vgpr_count:     20
    .vgpr_spill_count: 0
    .wavefront_size: 64
  - .agpr_count:     0
    .args:
      - .offset:         0
        .size:           4
        .value_kind:     by_value
      - .offset:         8
        .size:           8
        .value_kind:     by_value
      - .offset:         16
        .size:           16
        .value_kind:     by_value
    .group_segment_fixed_size: 0
    .kernarg_segment_align: 8
    .kernarg_segment_size: 32
    .language:       OpenCL C
    .language_version:
      - 2
      - 0
    .max_flat_workgroup_size: 256
    .name:           _ZN2at6native29vectorized_elementwise_kernelILi8EZZZNS0_21clamp_min_kernel_cudaERNS_18TensorIteratorBaseERKN3c106ScalarEENKUlvE_clEvENKUlvE4_clEvEUldE_St5arrayIPcLm2EEEEviT0_T1_
    .private_segment_fixed_size: 0
    .sgpr_count:     17
    .sgpr_spill_count: 0
    .symbol:         _ZN2at6native29vectorized_elementwise_kernelILi8EZZZNS0_21clamp_min_kernel_cudaERNS_18TensorIteratorBaseERKN3c106ScalarEENKUlvE_clEvENKUlvE4_clEvEUldE_St5arrayIPcLm2EEEEviT0_T1_.kd
    .uniform_work_group_size: 1
    .uses_dynamic_stack: false
    .vgpr_count:     20
    .vgpr_spill_count: 0
    .wavefront_size: 64
  - .agpr_count:     0
    .args:
      - .offset:         0
        .size:           4
        .value_kind:     by_value
      - .offset:         8
        .size:           8
        .value_kind:     by_value
      - .offset:         16
        .size:           16
        .value_kind:     by_value
    .group_segment_fixed_size: 0
    .kernarg_segment_align: 8
    .kernarg_segment_size: 32
    .language:       OpenCL C
    .language_version:
      - 2
      - 0
    .max_flat_workgroup_size: 256
    .name:           _ZN2at6native29vectorized_elementwise_kernelILi4EZZZNS0_21clamp_min_kernel_cudaERNS_18TensorIteratorBaseERKN3c106ScalarEENKUlvE_clEvENKUlvE4_clEvEUldE_St5arrayIPcLm2EEEEviT0_T1_
    .private_segment_fixed_size: 0
    .sgpr_count:     17
    .sgpr_spill_count: 0
    .symbol:         _ZN2at6native29vectorized_elementwise_kernelILi4EZZZNS0_21clamp_min_kernel_cudaERNS_18TensorIteratorBaseERKN3c106ScalarEENKUlvE_clEvENKUlvE4_clEvEUldE_St5arrayIPcLm2EEEEviT0_T1_.kd
    .uniform_work_group_size: 1
    .uses_dynamic_stack: false
    .vgpr_count:     20
    .vgpr_spill_count: 0
    .wavefront_size: 64
  - .agpr_count:     0
    .args:
      - .offset:         0
        .size:           4
        .value_kind:     by_value
      - .offset:         8
        .size:           8
        .value_kind:     by_value
      - .offset:         16
        .size:           16
        .value_kind:     by_value
    .group_segment_fixed_size: 0
    .kernarg_segment_align: 8
    .kernarg_segment_size: 32
    .language:       OpenCL C
    .language_version:
      - 2
      - 0
    .max_flat_workgroup_size: 256
    .name:           _ZN2at6native29vectorized_elementwise_kernelILi2EZZZNS0_21clamp_min_kernel_cudaERNS_18TensorIteratorBaseERKN3c106ScalarEENKUlvE_clEvENKUlvE4_clEvEUldE_St5arrayIPcLm2EEEEviT0_T1_
    .private_segment_fixed_size: 0
    .sgpr_count:     17
    .sgpr_spill_count: 0
    .symbol:         _ZN2at6native29vectorized_elementwise_kernelILi2EZZZNS0_21clamp_min_kernel_cudaERNS_18TensorIteratorBaseERKN3c106ScalarEENKUlvE_clEvENKUlvE4_clEvEUldE_St5arrayIPcLm2EEEEviT0_T1_.kd
    .uniform_work_group_size: 1
    .uses_dynamic_stack: false
    .vgpr_count:     20
    .vgpr_spill_count: 0
    .wavefront_size: 64
  - .agpr_count:     0
    .args:
      - .offset:         0
        .size:           4
        .value_kind:     by_value
      - .offset:         8
        .size:           8
        .value_kind:     by_value
      - .offset:         16
        .size:           16
        .value_kind:     by_value
      - .offset:         32
        .size:           1
        .value_kind:     by_value
      - .offset:         33
        .size:           1
        .value_kind:     by_value
      - .offset:         34
        .size:           1
        .value_kind:     by_value
      - .offset:         35
        .size:           1
        .value_kind:     by_value
    .group_segment_fixed_size: 0
    .kernarg_segment_align: 8
    .kernarg_segment_size: 36
    .language:       OpenCL C
    .language_version:
      - 2
      - 0
    .max_flat_workgroup_size: 256
    .name:           _ZN2at6native27unrolled_elementwise_kernelIZZZNS0_21clamp_min_kernel_cudaERNS_18TensorIteratorBaseERKN3c106ScalarEENKUlvE_clEvENKUlvE4_clEvEUldE_St5arrayIPcLm2EELi4E23TrivialOffsetCalculatorILi1EjESF_NS0_6memory15LoadWithoutCastENSG_16StoreWithoutCastEEEviT_T0_T2_T3_T4_T5_
    .private_segment_fixed_size: 0
    .sgpr_count:     18
    .sgpr_spill_count: 0
    .symbol:         _ZN2at6native27unrolled_elementwise_kernelIZZZNS0_21clamp_min_kernel_cudaERNS_18TensorIteratorBaseERKN3c106ScalarEENKUlvE_clEvENKUlvE4_clEvEUldE_St5arrayIPcLm2EELi4E23TrivialOffsetCalculatorILi1EjESF_NS0_6memory15LoadWithoutCastENSG_16StoreWithoutCastEEEviT_T0_T2_T3_T4_T5_.kd
    .uniform_work_group_size: 1
    .uses_dynamic_stack: false
    .vgpr_count:     18
    .vgpr_spill_count: 0
    .wavefront_size: 64
  - .agpr_count:     0
    .args:
      - .offset:         0
        .size:           4
        .value_kind:     by_value
      - .offset:         8
        .size:           352
        .value_kind:     by_value
    .group_segment_fixed_size: 0
    .kernarg_segment_align: 8
    .kernarg_segment_size: 360
    .language:       OpenCL C
    .language_version:
      - 2
      - 0
    .max_flat_workgroup_size: 128
    .name:           _ZN2at6native32elementwise_kernel_manual_unrollILi128ELi4EZNS0_22gpu_kernel_impl_nocastIZZZNS0_21clamp_min_kernel_cudaERNS_18TensorIteratorBaseERKN3c106ScalarEENKUlvE_clEvENKUlvE4_clEvEUldE_EEvS4_RKT_EUlibE_EEviT1_
    .private_segment_fixed_size: 0
    .sgpr_count:     68
    .sgpr_spill_count: 0
    .symbol:         _ZN2at6native32elementwise_kernel_manual_unrollILi128ELi4EZNS0_22gpu_kernel_impl_nocastIZZZNS0_21clamp_min_kernel_cudaERNS_18TensorIteratorBaseERKN3c106ScalarEENKUlvE_clEvENKUlvE4_clEvEUldE_EEvS4_RKT_EUlibE_EEviT1_.kd
    .uniform_work_group_size: 1
    .uses_dynamic_stack: false
    .vgpr_count:     26
    .vgpr_spill_count: 0
    .wavefront_size: 64
  - .agpr_count:     0
    .args:
      - .offset:         0
        .size:           4
        .value_kind:     by_value
      - .offset:         8
        .size:           40
        .value_kind:     by_value
    .group_segment_fixed_size: 0
    .kernarg_segment_align: 8
    .kernarg_segment_size: 48
    .language:       OpenCL C
    .language_version:
      - 2
      - 0
    .max_flat_workgroup_size: 128
    .name:           _ZN2at6native32elementwise_kernel_manual_unrollILi128ELi4EZNS0_15gpu_kernel_implIZZZNS0_21clamp_min_kernel_cudaERNS_18TensorIteratorBaseERKN3c106ScalarEENKUlvE_clEvENKUlvE4_clEvEUldE_EEvS4_RKT_EUlibE_EEviT1_
    .private_segment_fixed_size: 0
    .sgpr_count:     52
    .sgpr_spill_count: 0
    .symbol:         _ZN2at6native32elementwise_kernel_manual_unrollILi128ELi4EZNS0_15gpu_kernel_implIZZZNS0_21clamp_min_kernel_cudaERNS_18TensorIteratorBaseERKN3c106ScalarEENKUlvE_clEvENKUlvE4_clEvEUldE_EEvS4_RKT_EUlibE_EEviT1_.kd
    .uniform_work_group_size: 1
    .uses_dynamic_stack: false
    .vgpr_count:     20
    .vgpr_spill_count: 0
    .wavefront_size: 64
  - .agpr_count:     0
    .args:
      - .offset:         0
        .size:           4
        .value_kind:     by_value
      - .offset:         8
        .size:           360
        .value_kind:     by_value
    .group_segment_fixed_size: 0
    .kernarg_segment_align: 8
    .kernarg_segment_size: 368
    .language:       OpenCL C
    .language_version:
      - 2
      - 0
    .max_flat_workgroup_size: 128
    .name:           _ZN2at6native32elementwise_kernel_manual_unrollILi128ELi4EZNS0_15gpu_kernel_implIZZZNS0_21clamp_min_kernel_cudaERNS_18TensorIteratorBaseERKN3c106ScalarEENKUlvE_clEvENKUlvE4_clEvEUldE_EEvS4_RKT_EUlibE0_EEviT1_
    .private_segment_fixed_size: 0
    .sgpr_count:     86
    .sgpr_spill_count: 0
    .symbol:         _ZN2at6native32elementwise_kernel_manual_unrollILi128ELi4EZNS0_15gpu_kernel_implIZZZNS0_21clamp_min_kernel_cudaERNS_18TensorIteratorBaseERKN3c106ScalarEENKUlvE_clEvENKUlvE4_clEvEUldE_EEvS4_RKT_EUlibE0_EEviT1_.kd
    .uniform_work_group_size: 1
    .uses_dynamic_stack: false
    .vgpr_count:     24
    .vgpr_spill_count: 0
    .wavefront_size: 64
  - .agpr_count:     0
    .args:
      - .offset:         0
        .size:           4
        .value_kind:     by_value
      - .offset:         4
        .size:           4
        .value_kind:     by_value
      - .offset:         8
        .size:           16
        .value_kind:     by_value
    .group_segment_fixed_size: 0
    .kernarg_segment_align: 8
    .kernarg_segment_size: 24
    .language:       OpenCL C
    .language_version:
      - 2
      - 0
    .max_flat_workgroup_size: 256
    .name:           _ZN2at6native29vectorized_elementwise_kernelILi16EZZZNS0_21clamp_min_kernel_cudaERNS_18TensorIteratorBaseERKN3c106ScalarEENKUlvE_clEvENKUlvE5_clEvEUlfE_St5arrayIPcLm2EEEEviT0_T1_
    .private_segment_fixed_size: 0
    .sgpr_count:     17
    .sgpr_spill_count: 0
    .symbol:         _ZN2at6native29vectorized_elementwise_kernelILi16EZZZNS0_21clamp_min_kernel_cudaERNS_18TensorIteratorBaseERKN3c106ScalarEENKUlvE_clEvENKUlvE5_clEvEUlfE_St5arrayIPcLm2EEEEviT0_T1_.kd
    .uniform_work_group_size: 1
    .uses_dynamic_stack: false
    .vgpr_count:     11
    .vgpr_spill_count: 0
    .wavefront_size: 64
  - .agpr_count:     0
    .args:
      - .offset:         0
        .size:           4
        .value_kind:     by_value
      - .offset:         4
        .size:           4
        .value_kind:     by_value
      - .offset:         8
        .size:           16
        .value_kind:     by_value
    .group_segment_fixed_size: 0
    .kernarg_segment_align: 8
    .kernarg_segment_size: 24
    .language:       OpenCL C
    .language_version:
      - 2
      - 0
    .max_flat_workgroup_size: 256
    .name:           _ZN2at6native29vectorized_elementwise_kernelILi8EZZZNS0_21clamp_min_kernel_cudaERNS_18TensorIteratorBaseERKN3c106ScalarEENKUlvE_clEvENKUlvE5_clEvEUlfE_St5arrayIPcLm2EEEEviT0_T1_
    .private_segment_fixed_size: 0
    .sgpr_count:     17
    .sgpr_spill_count: 0
    .symbol:         _ZN2at6native29vectorized_elementwise_kernelILi8EZZZNS0_21clamp_min_kernel_cudaERNS_18TensorIteratorBaseERKN3c106ScalarEENKUlvE_clEvENKUlvE5_clEvEUlfE_St5arrayIPcLm2EEEEviT0_T1_.kd
    .uniform_work_group_size: 1
    .uses_dynamic_stack: false
    .vgpr_count:     11
    .vgpr_spill_count: 0
    .wavefront_size: 64
  - .agpr_count:     0
    .args:
      - .offset:         0
        .size:           4
        .value_kind:     by_value
      - .offset:         4
        .size:           4
        .value_kind:     by_value
      - .offset:         8
        .size:           16
        .value_kind:     by_value
    .group_segment_fixed_size: 0
    .kernarg_segment_align: 8
    .kernarg_segment_size: 24
    .language:       OpenCL C
    .language_version:
      - 2
      - 0
    .max_flat_workgroup_size: 256
    .name:           _ZN2at6native29vectorized_elementwise_kernelILi4EZZZNS0_21clamp_min_kernel_cudaERNS_18TensorIteratorBaseERKN3c106ScalarEENKUlvE_clEvENKUlvE5_clEvEUlfE_St5arrayIPcLm2EEEEviT0_T1_
    .private_segment_fixed_size: 0
    .sgpr_count:     17
    .sgpr_spill_count: 0
    .symbol:         _ZN2at6native29vectorized_elementwise_kernelILi4EZZZNS0_21clamp_min_kernel_cudaERNS_18TensorIteratorBaseERKN3c106ScalarEENKUlvE_clEvENKUlvE5_clEvEUlfE_St5arrayIPcLm2EEEEviT0_T1_.kd
    .uniform_work_group_size: 1
    .uses_dynamic_stack: false
    .vgpr_count:     11
    .vgpr_spill_count: 0
    .wavefront_size: 64
  - .agpr_count:     0
    .args:
      - .offset:         0
        .size:           4
        .value_kind:     by_value
      - .offset:         4
        .size:           4
        .value_kind:     by_value
      - .offset:         8
        .size:           16
        .value_kind:     by_value
    .group_segment_fixed_size: 0
    .kernarg_segment_align: 8
    .kernarg_segment_size: 24
    .language:       OpenCL C
    .language_version:
      - 2
      - 0
    .max_flat_workgroup_size: 256
    .name:           _ZN2at6native29vectorized_elementwise_kernelILi2EZZZNS0_21clamp_min_kernel_cudaERNS_18TensorIteratorBaseERKN3c106ScalarEENKUlvE_clEvENKUlvE5_clEvEUlfE_St5arrayIPcLm2EEEEviT0_T1_
    .private_segment_fixed_size: 0
    .sgpr_count:     17
    .sgpr_spill_count: 0
    .symbol:         _ZN2at6native29vectorized_elementwise_kernelILi2EZZZNS0_21clamp_min_kernel_cudaERNS_18TensorIteratorBaseERKN3c106ScalarEENKUlvE_clEvENKUlvE5_clEvEUlfE_St5arrayIPcLm2EEEEviT0_T1_.kd
    .uniform_work_group_size: 1
    .uses_dynamic_stack: false
    .vgpr_count:     11
    .vgpr_spill_count: 0
    .wavefront_size: 64
  - .agpr_count:     0
    .args:
      - .offset:         0
        .size:           4
        .value_kind:     by_value
      - .offset:         4
        .size:           4
        .value_kind:     by_value
      - .offset:         8
        .size:           16
        .value_kind:     by_value
      - .offset:         24
        .size:           1
        .value_kind:     by_value
      - .offset:         25
        .size:           1
        .value_kind:     by_value
      - .offset:         26
        .size:           1
        .value_kind:     by_value
      - .offset:         27
        .size:           1
        .value_kind:     by_value
    .group_segment_fixed_size: 0
    .kernarg_segment_align: 8
    .kernarg_segment_size: 28
    .language:       OpenCL C
    .language_version:
      - 2
      - 0
    .max_flat_workgroup_size: 256
    .name:           _ZN2at6native27unrolled_elementwise_kernelIZZZNS0_21clamp_min_kernel_cudaERNS_18TensorIteratorBaseERKN3c106ScalarEENKUlvE_clEvENKUlvE5_clEvEUlfE_St5arrayIPcLm2EELi4E23TrivialOffsetCalculatorILi1EjESF_NS0_6memory15LoadWithoutCastENSG_16StoreWithoutCastEEEviT_T0_T2_T3_T4_T5_
    .private_segment_fixed_size: 0
    .sgpr_count:     17
    .sgpr_spill_count: 0
    .symbol:         _ZN2at6native27unrolled_elementwise_kernelIZZZNS0_21clamp_min_kernel_cudaERNS_18TensorIteratorBaseERKN3c106ScalarEENKUlvE_clEvENKUlvE5_clEvEUlfE_St5arrayIPcLm2EELi4E23TrivialOffsetCalculatorILi1EjESF_NS0_6memory15LoadWithoutCastENSG_16StoreWithoutCastEEEviT_T0_T2_T3_T4_T5_.kd
    .uniform_work_group_size: 1
    .uses_dynamic_stack: false
    .vgpr_count:     11
    .vgpr_spill_count: 0
    .wavefront_size: 64
  - .agpr_count:     0
    .args:
      - .offset:         0
        .size:           4
        .value_kind:     by_value
      - .offset:         8
        .size:           352
        .value_kind:     by_value
    .group_segment_fixed_size: 0
    .kernarg_segment_align: 8
    .kernarg_segment_size: 360
    .language:       OpenCL C
    .language_version:
      - 2
      - 0
    .max_flat_workgroup_size: 128
    .name:           _ZN2at6native32elementwise_kernel_manual_unrollILi128ELi4EZNS0_22gpu_kernel_impl_nocastIZZZNS0_21clamp_min_kernel_cudaERNS_18TensorIteratorBaseERKN3c106ScalarEENKUlvE_clEvENKUlvE5_clEvEUlfE_EEvS4_RKT_EUlibE_EEviT1_
    .private_segment_fixed_size: 0
    .sgpr_count:     67
    .sgpr_spill_count: 0
    .symbol:         _ZN2at6native32elementwise_kernel_manual_unrollILi128ELi4EZNS0_22gpu_kernel_impl_nocastIZZZNS0_21clamp_min_kernel_cudaERNS_18TensorIteratorBaseERKN3c106ScalarEENKUlvE_clEvENKUlvE5_clEvEUlfE_EEvS4_RKT_EUlibE_EEviT1_.kd
    .uniform_work_group_size: 1
    .uses_dynamic_stack: false
    .vgpr_count:     17
    .vgpr_spill_count: 0
    .wavefront_size: 64
  - .agpr_count:     0
    .args:
      - .offset:         0
        .size:           4
        .value_kind:     by_value
      - .offset:         8
        .size:           32
        .value_kind:     by_value
    .group_segment_fixed_size: 0
    .kernarg_segment_align: 8
    .kernarg_segment_size: 40
    .language:       OpenCL C
    .language_version:
      - 2
      - 0
    .max_flat_workgroup_size: 128
    .name:           _ZN2at6native32elementwise_kernel_manual_unrollILi128ELi4EZNS0_15gpu_kernel_implIZZZNS0_21clamp_min_kernel_cudaERNS_18TensorIteratorBaseERKN3c106ScalarEENKUlvE_clEvENKUlvE5_clEvEUlfE_EEvS4_RKT_EUlibE_EEviT1_
    .private_segment_fixed_size: 0
    .sgpr_count:     51
    .sgpr_spill_count: 0
    .symbol:         _ZN2at6native32elementwise_kernel_manual_unrollILi128ELi4EZNS0_15gpu_kernel_implIZZZNS0_21clamp_min_kernel_cudaERNS_18TensorIteratorBaseERKN3c106ScalarEENKUlvE_clEvENKUlvE5_clEvEUlfE_EEvS4_RKT_EUlibE_EEviT1_.kd
    .uniform_work_group_size: 1
    .uses_dynamic_stack: false
    .vgpr_count:     14
    .vgpr_spill_count: 0
    .wavefront_size: 64
  - .agpr_count:     0
    .args:
      - .offset:         0
        .size:           4
        .value_kind:     by_value
      - .offset:         8
        .size:           352
        .value_kind:     by_value
    .group_segment_fixed_size: 0
    .kernarg_segment_align: 8
    .kernarg_segment_size: 360
    .language:       OpenCL C
    .language_version:
      - 2
      - 0
    .max_flat_workgroup_size: 128
    .name:           _ZN2at6native32elementwise_kernel_manual_unrollILi128ELi4EZNS0_15gpu_kernel_implIZZZNS0_21clamp_min_kernel_cudaERNS_18TensorIteratorBaseERKN3c106ScalarEENKUlvE_clEvENKUlvE5_clEvEUlfE_EEvS4_RKT_EUlibE0_EEviT1_
    .private_segment_fixed_size: 0
    .sgpr_count:     85
    .sgpr_spill_count: 0
    .symbol:         _ZN2at6native32elementwise_kernel_manual_unrollILi128ELi4EZNS0_15gpu_kernel_implIZZZNS0_21clamp_min_kernel_cudaERNS_18TensorIteratorBaseERKN3c106ScalarEENKUlvE_clEvENKUlvE5_clEvEUlfE_EEvS4_RKT_EUlibE0_EEviT1_.kd
    .uniform_work_group_size: 1
    .uses_dynamic_stack: false
    .vgpr_count:     18
    .vgpr_spill_count: 0
    .wavefront_size: 64
  - .agpr_count:     0
    .args:
      - .offset:         0
        .size:           4
        .value_kind:     by_value
      - .offset:         4
        .size:           2
        .value_kind:     by_value
      - .offset:         8
        .size:           16
        .value_kind:     by_value
    .group_segment_fixed_size: 0
    .kernarg_segment_align: 8
    .kernarg_segment_size: 24
    .language:       OpenCL C
    .language_version:
      - 2
      - 0
    .max_flat_workgroup_size: 256
    .name:           _ZN2at6native29vectorized_elementwise_kernelILi16EZZZNS0_21clamp_min_kernel_cudaERNS_18TensorIteratorBaseERKN3c106ScalarEENKUlvE_clEvENKUlvE6_clEvEUlNS4_4HalfEE_St5arrayIPcLm2EEEEviT0_T1_
    .private_segment_fixed_size: 0
    .sgpr_count:     30
    .sgpr_spill_count: 0
    .symbol:         _ZN2at6native29vectorized_elementwise_kernelILi16EZZZNS0_21clamp_min_kernel_cudaERNS_18TensorIteratorBaseERKN3c106ScalarEENKUlvE_clEvENKUlvE6_clEvEUlNS4_4HalfEE_St5arrayIPcLm2EEEEviT0_T1_.kd
    .uniform_work_group_size: 1
    .uses_dynamic_stack: false
    .vgpr_count:     14
    .vgpr_spill_count: 0
    .wavefront_size: 64
  - .agpr_count:     0
    .args:
      - .offset:         0
        .size:           4
        .value_kind:     by_value
      - .offset:         4
        .size:           2
        .value_kind:     by_value
      - .offset:         8
        .size:           16
        .value_kind:     by_value
    .group_segment_fixed_size: 0
    .kernarg_segment_align: 8
    .kernarg_segment_size: 24
    .language:       OpenCL C
    .language_version:
      - 2
      - 0
    .max_flat_workgroup_size: 256
    .name:           _ZN2at6native29vectorized_elementwise_kernelILi8EZZZNS0_21clamp_min_kernel_cudaERNS_18TensorIteratorBaseERKN3c106ScalarEENKUlvE_clEvENKUlvE6_clEvEUlNS4_4HalfEE_St5arrayIPcLm2EEEEviT0_T1_
    .private_segment_fixed_size: 0
    .sgpr_count:     30
    .sgpr_spill_count: 0
    .symbol:         _ZN2at6native29vectorized_elementwise_kernelILi8EZZZNS0_21clamp_min_kernel_cudaERNS_18TensorIteratorBaseERKN3c106ScalarEENKUlvE_clEvENKUlvE6_clEvEUlNS4_4HalfEE_St5arrayIPcLm2EEEEviT0_T1_.kd
    .uniform_work_group_size: 1
    .uses_dynamic_stack: false
    .vgpr_count:     14
    .vgpr_spill_count: 0
    .wavefront_size: 64
  - .agpr_count:     0
    .args:
      - .offset:         0
        .size:           4
        .value_kind:     by_value
      - .offset:         4
        .size:           2
        .value_kind:     by_value
      - .offset:         8
        .size:           16
        .value_kind:     by_value
    .group_segment_fixed_size: 0
    .kernarg_segment_align: 8
    .kernarg_segment_size: 24
    .language:       OpenCL C
    .language_version:
      - 2
      - 0
    .max_flat_workgroup_size: 256
    .name:           _ZN2at6native29vectorized_elementwise_kernelILi4EZZZNS0_21clamp_min_kernel_cudaERNS_18TensorIteratorBaseERKN3c106ScalarEENKUlvE_clEvENKUlvE6_clEvEUlNS4_4HalfEE_St5arrayIPcLm2EEEEviT0_T1_
    .private_segment_fixed_size: 0
    .sgpr_count:     30
    .sgpr_spill_count: 0
    .symbol:         _ZN2at6native29vectorized_elementwise_kernelILi4EZZZNS0_21clamp_min_kernel_cudaERNS_18TensorIteratorBaseERKN3c106ScalarEENKUlvE_clEvENKUlvE6_clEvEUlNS4_4HalfEE_St5arrayIPcLm2EEEEviT0_T1_.kd
    .uniform_work_group_size: 1
    .uses_dynamic_stack: false
    .vgpr_count:     14
    .vgpr_spill_count: 0
    .wavefront_size: 64
  - .agpr_count:     0
    .args:
      - .offset:         0
        .size:           4
        .value_kind:     by_value
      - .offset:         4
        .size:           2
        .value_kind:     by_value
      - .offset:         8
        .size:           16
        .value_kind:     by_value
    .group_segment_fixed_size: 0
    .kernarg_segment_align: 8
    .kernarg_segment_size: 24
    .language:       OpenCL C
    .language_version:
      - 2
      - 0
    .max_flat_workgroup_size: 256
    .name:           _ZN2at6native29vectorized_elementwise_kernelILi2EZZZNS0_21clamp_min_kernel_cudaERNS_18TensorIteratorBaseERKN3c106ScalarEENKUlvE_clEvENKUlvE6_clEvEUlNS4_4HalfEE_St5arrayIPcLm2EEEEviT0_T1_
    .private_segment_fixed_size: 0
    .sgpr_count:     30
    .sgpr_spill_count: 0
    .symbol:         _ZN2at6native29vectorized_elementwise_kernelILi2EZZZNS0_21clamp_min_kernel_cudaERNS_18TensorIteratorBaseERKN3c106ScalarEENKUlvE_clEvENKUlvE6_clEvEUlNS4_4HalfEE_St5arrayIPcLm2EEEEviT0_T1_.kd
    .uniform_work_group_size: 1
    .uses_dynamic_stack: false
    .vgpr_count:     14
    .vgpr_spill_count: 0
    .wavefront_size: 64
  - .agpr_count:     0
    .args:
      - .offset:         0
        .size:           4
        .value_kind:     by_value
      - .offset:         4
        .size:           2
        .value_kind:     by_value
      - .offset:         8
        .size:           16
        .value_kind:     by_value
      - .offset:         24
        .size:           1
        .value_kind:     by_value
      - .offset:         25
        .size:           1
        .value_kind:     by_value
      - .offset:         26
        .size:           1
        .value_kind:     by_value
      - .offset:         27
        .size:           1
        .value_kind:     by_value
    .group_segment_fixed_size: 0
    .kernarg_segment_align: 8
    .kernarg_segment_size: 28
    .language:       OpenCL C
    .language_version:
      - 2
      - 0
    .max_flat_workgroup_size: 256
    .name:           _ZN2at6native27unrolled_elementwise_kernelIZZZNS0_21clamp_min_kernel_cudaERNS_18TensorIteratorBaseERKN3c106ScalarEENKUlvE_clEvENKUlvE6_clEvEUlNS4_4HalfEE_St5arrayIPcLm2EELi4E23TrivialOffsetCalculatorILi1EjESG_NS0_6memory15LoadWithoutCastENSH_16StoreWithoutCastEEEviT_T0_T2_T3_T4_T5_
    .private_segment_fixed_size: 0
    .sgpr_count:     17
    .sgpr_spill_count: 0
    .symbol:         _ZN2at6native27unrolled_elementwise_kernelIZZZNS0_21clamp_min_kernel_cudaERNS_18TensorIteratorBaseERKN3c106ScalarEENKUlvE_clEvENKUlvE6_clEvEUlNS4_4HalfEE_St5arrayIPcLm2EELi4E23TrivialOffsetCalculatorILi1EjESG_NS0_6memory15LoadWithoutCastENSH_16StoreWithoutCastEEEviT_T0_T2_T3_T4_T5_.kd
    .uniform_work_group_size: 1
    .uses_dynamic_stack: false
    .vgpr_count:     10
    .vgpr_spill_count: 0
    .wavefront_size: 64
  - .agpr_count:     0
    .args:
      - .offset:         0
        .size:           4
        .value_kind:     by_value
      - .offset:         8
        .size:           352
        .value_kind:     by_value
    .group_segment_fixed_size: 0
    .kernarg_segment_align: 8
    .kernarg_segment_size: 360
    .language:       OpenCL C
    .language_version:
      - 2
      - 0
    .max_flat_workgroup_size: 128
    .name:           _ZN2at6native32elementwise_kernel_manual_unrollILi128ELi8EZNS0_22gpu_kernel_impl_nocastIZZZNS0_21clamp_min_kernel_cudaERNS_18TensorIteratorBaseERKN3c106ScalarEENKUlvE_clEvENKUlvE6_clEvEUlNS5_4HalfEE_EEvS4_RKT_EUlibE_EEviT1_
    .private_segment_fixed_size: 0
    .sgpr_count:     67
    .sgpr_spill_count: 0
    .symbol:         _ZN2at6native32elementwise_kernel_manual_unrollILi128ELi8EZNS0_22gpu_kernel_impl_nocastIZZZNS0_21clamp_min_kernel_cudaERNS_18TensorIteratorBaseERKN3c106ScalarEENKUlvE_clEvENKUlvE6_clEvEUlNS5_4HalfEE_EEvS4_RKT_EUlibE_EEviT1_.kd
    .uniform_work_group_size: 1
    .uses_dynamic_stack: false
    .vgpr_count:     33
    .vgpr_spill_count: 0
    .wavefront_size: 64
  - .agpr_count:     0
    .args:
      - .offset:         0
        .size:           4
        .value_kind:     by_value
      - .offset:         8
        .size:           32
        .value_kind:     by_value
    .group_segment_fixed_size: 0
    .kernarg_segment_align: 8
    .kernarg_segment_size: 40
    .language:       OpenCL C
    .language_version:
      - 2
      - 0
    .max_flat_workgroup_size: 128
    .name:           _ZN2at6native32elementwise_kernel_manual_unrollILi128ELi4EZNS0_15gpu_kernel_implIZZZNS0_21clamp_min_kernel_cudaERNS_18TensorIteratorBaseERKN3c106ScalarEENKUlvE_clEvENKUlvE6_clEvEUlNS5_4HalfEE_EEvS4_RKT_EUlibE_EEviT1_
    .private_segment_fixed_size: 0
    .sgpr_count:     51
    .sgpr_spill_count: 0
    .symbol:         _ZN2at6native32elementwise_kernel_manual_unrollILi128ELi4EZNS0_15gpu_kernel_implIZZZNS0_21clamp_min_kernel_cudaERNS_18TensorIteratorBaseERKN3c106ScalarEENKUlvE_clEvENKUlvE6_clEvEUlNS5_4HalfEE_EEvS4_RKT_EUlibE_EEviT1_.kd
    .uniform_work_group_size: 1
    .uses_dynamic_stack: false
    .vgpr_count:     14
    .vgpr_spill_count: 0
    .wavefront_size: 64
  - .agpr_count:     0
    .args:
      - .offset:         0
        .size:           4
        .value_kind:     by_value
      - .offset:         8
        .size:           352
        .value_kind:     by_value
    .group_segment_fixed_size: 0
    .kernarg_segment_align: 8
    .kernarg_segment_size: 360
    .language:       OpenCL C
    .language_version:
      - 2
      - 0
    .max_flat_workgroup_size: 128
    .name:           _ZN2at6native32elementwise_kernel_manual_unrollILi128ELi4EZNS0_15gpu_kernel_implIZZZNS0_21clamp_min_kernel_cudaERNS_18TensorIteratorBaseERKN3c106ScalarEENKUlvE_clEvENKUlvE6_clEvEUlNS5_4HalfEE_EEvS4_RKT_EUlibE0_EEviT1_
    .private_segment_fixed_size: 0
    .sgpr_count:     85
    .sgpr_spill_count: 0
    .symbol:         _ZN2at6native32elementwise_kernel_manual_unrollILi128ELi4EZNS0_15gpu_kernel_implIZZZNS0_21clamp_min_kernel_cudaERNS_18TensorIteratorBaseERKN3c106ScalarEENKUlvE_clEvENKUlvE6_clEvEUlNS5_4HalfEE_EEvS4_RKT_EUlibE0_EEviT1_.kd
    .uniform_work_group_size: 1
    .uses_dynamic_stack: false
    .vgpr_count:     18
    .vgpr_spill_count: 0
    .wavefront_size: 64
  - .agpr_count:     0
    .args:
      - .offset:         0
        .size:           4
        .value_kind:     by_value
      - .offset:         4
        .size:           2
        .value_kind:     by_value
      - .offset:         8
        .size:           16
        .value_kind:     by_value
    .group_segment_fixed_size: 0
    .kernarg_segment_align: 8
    .kernarg_segment_size: 24
    .language:       OpenCL C
    .language_version:
      - 2
      - 0
    .max_flat_workgroup_size: 256
    .name:           _ZN2at6native29vectorized_elementwise_kernelILi16EZZZNS0_21clamp_min_kernel_cudaERNS_18TensorIteratorBaseERKN3c106ScalarEENKUlvE_clEvENKUlvE7_clEvEUlNS4_8BFloat16EE_St5arrayIPcLm2EEEEviT0_T1_
    .private_segment_fixed_size: 0
    .sgpr_count:     48
    .sgpr_spill_count: 0
    .symbol:         _ZN2at6native29vectorized_elementwise_kernelILi16EZZZNS0_21clamp_min_kernel_cudaERNS_18TensorIteratorBaseERKN3c106ScalarEENKUlvE_clEvENKUlvE7_clEvEUlNS4_8BFloat16EE_St5arrayIPcLm2EEEEviT0_T1_.kd
    .uniform_work_group_size: 1
    .uses_dynamic_stack: false
    .vgpr_count:     19
    .vgpr_spill_count: 0
    .wavefront_size: 64
  - .agpr_count:     0
    .args:
      - .offset:         0
        .size:           4
        .value_kind:     by_value
      - .offset:         4
        .size:           2
        .value_kind:     by_value
      - .offset:         8
        .size:           16
        .value_kind:     by_value
    .group_segment_fixed_size: 0
    .kernarg_segment_align: 8
    .kernarg_segment_size: 24
    .language:       OpenCL C
    .language_version:
      - 2
      - 0
    .max_flat_workgroup_size: 256
    .name:           _ZN2at6native29vectorized_elementwise_kernelILi8EZZZNS0_21clamp_min_kernel_cudaERNS_18TensorIteratorBaseERKN3c106ScalarEENKUlvE_clEvENKUlvE7_clEvEUlNS4_8BFloat16EE_St5arrayIPcLm2EEEEviT0_T1_
    .private_segment_fixed_size: 0
    .sgpr_count:     48
    .sgpr_spill_count: 0
    .symbol:         _ZN2at6native29vectorized_elementwise_kernelILi8EZZZNS0_21clamp_min_kernel_cudaERNS_18TensorIteratorBaseERKN3c106ScalarEENKUlvE_clEvENKUlvE7_clEvEUlNS4_8BFloat16EE_St5arrayIPcLm2EEEEviT0_T1_.kd
    .uniform_work_group_size: 1
    .uses_dynamic_stack: false
    .vgpr_count:     19
    .vgpr_spill_count: 0
    .wavefront_size: 64
  - .agpr_count:     0
    .args:
      - .offset:         0
        .size:           4
        .value_kind:     by_value
      - .offset:         4
        .size:           2
        .value_kind:     by_value
      - .offset:         8
        .size:           16
        .value_kind:     by_value
    .group_segment_fixed_size: 0
    .kernarg_segment_align: 8
    .kernarg_segment_size: 24
    .language:       OpenCL C
    .language_version:
      - 2
      - 0
    .max_flat_workgroup_size: 256
    .name:           _ZN2at6native29vectorized_elementwise_kernelILi4EZZZNS0_21clamp_min_kernel_cudaERNS_18TensorIteratorBaseERKN3c106ScalarEENKUlvE_clEvENKUlvE7_clEvEUlNS4_8BFloat16EE_St5arrayIPcLm2EEEEviT0_T1_
    .private_segment_fixed_size: 0
    .sgpr_count:     48
    .sgpr_spill_count: 0
    .symbol:         _ZN2at6native29vectorized_elementwise_kernelILi4EZZZNS0_21clamp_min_kernel_cudaERNS_18TensorIteratorBaseERKN3c106ScalarEENKUlvE_clEvENKUlvE7_clEvEUlNS4_8BFloat16EE_St5arrayIPcLm2EEEEviT0_T1_.kd
    .uniform_work_group_size: 1
    .uses_dynamic_stack: false
    .vgpr_count:     19
    .vgpr_spill_count: 0
    .wavefront_size: 64
  - .agpr_count:     0
    .args:
      - .offset:         0
        .size:           4
        .value_kind:     by_value
      - .offset:         4
        .size:           2
        .value_kind:     by_value
      - .offset:         8
        .size:           16
        .value_kind:     by_value
    .group_segment_fixed_size: 0
    .kernarg_segment_align: 8
    .kernarg_segment_size: 24
    .language:       OpenCL C
    .language_version:
      - 2
      - 0
    .max_flat_workgroup_size: 256
    .name:           _ZN2at6native29vectorized_elementwise_kernelILi2EZZZNS0_21clamp_min_kernel_cudaERNS_18TensorIteratorBaseERKN3c106ScalarEENKUlvE_clEvENKUlvE7_clEvEUlNS4_8BFloat16EE_St5arrayIPcLm2EEEEviT0_T1_
    .private_segment_fixed_size: 0
    .sgpr_count:     48
    .sgpr_spill_count: 0
    .symbol:         _ZN2at6native29vectorized_elementwise_kernelILi2EZZZNS0_21clamp_min_kernel_cudaERNS_18TensorIteratorBaseERKN3c106ScalarEENKUlvE_clEvENKUlvE7_clEvEUlNS4_8BFloat16EE_St5arrayIPcLm2EEEEviT0_T1_.kd
    .uniform_work_group_size: 1
    .uses_dynamic_stack: false
    .vgpr_count:     19
    .vgpr_spill_count: 0
    .wavefront_size: 64
  - .agpr_count:     0
    .args:
      - .offset:         0
        .size:           4
        .value_kind:     by_value
      - .offset:         4
        .size:           2
        .value_kind:     by_value
      - .offset:         8
        .size:           16
        .value_kind:     by_value
      - .offset:         24
        .size:           1
        .value_kind:     by_value
      - .offset:         25
        .size:           1
        .value_kind:     by_value
      - .offset:         26
        .size:           1
        .value_kind:     by_value
      - .offset:         27
        .size:           1
        .value_kind:     by_value
    .group_segment_fixed_size: 0
    .kernarg_segment_align: 8
    .kernarg_segment_size: 28
    .language:       OpenCL C
    .language_version:
      - 2
      - 0
    .max_flat_workgroup_size: 256
    .name:           _ZN2at6native27unrolled_elementwise_kernelIZZZNS0_21clamp_min_kernel_cudaERNS_18TensorIteratorBaseERKN3c106ScalarEENKUlvE_clEvENKUlvE7_clEvEUlNS4_8BFloat16EE_St5arrayIPcLm2EELi4E23TrivialOffsetCalculatorILi1EjESG_NS0_6memory15LoadWithoutCastENSH_16StoreWithoutCastEEEviT_T0_T2_T3_T4_T5_
    .private_segment_fixed_size: 0
    .sgpr_count:     17
    .sgpr_spill_count: 0
    .symbol:         _ZN2at6native27unrolled_elementwise_kernelIZZZNS0_21clamp_min_kernel_cudaERNS_18TensorIteratorBaseERKN3c106ScalarEENKUlvE_clEvENKUlvE7_clEvEUlNS4_8BFloat16EE_St5arrayIPcLm2EELi4E23TrivialOffsetCalculatorILi1EjESG_NS0_6memory15LoadWithoutCastENSH_16StoreWithoutCastEEEviT_T0_T2_T3_T4_T5_.kd
    .uniform_work_group_size: 1
    .uses_dynamic_stack: false
    .vgpr_count:     10
    .vgpr_spill_count: 0
    .wavefront_size: 64
  - .agpr_count:     0
    .args:
      - .offset:         0
        .size:           4
        .value_kind:     by_value
      - .offset:         8
        .size:           352
        .value_kind:     by_value
    .group_segment_fixed_size: 0
    .kernarg_segment_align: 8
    .kernarg_segment_size: 360
    .language:       OpenCL C
    .language_version:
      - 2
      - 0
    .max_flat_workgroup_size: 128
    .name:           _ZN2at6native32elementwise_kernel_manual_unrollILi128ELi8EZNS0_22gpu_kernel_impl_nocastIZZZNS0_21clamp_min_kernel_cudaERNS_18TensorIteratorBaseERKN3c106ScalarEENKUlvE_clEvENKUlvE7_clEvEUlNS5_8BFloat16EE_EEvS4_RKT_EUlibE_EEviT1_
    .private_segment_fixed_size: 0
    .sgpr_count:     68
    .sgpr_spill_count: 0
    .symbol:         _ZN2at6native32elementwise_kernel_manual_unrollILi128ELi8EZNS0_22gpu_kernel_impl_nocastIZZZNS0_21clamp_min_kernel_cudaERNS_18TensorIteratorBaseERKN3c106ScalarEENKUlvE_clEvENKUlvE7_clEvEUlNS5_8BFloat16EE_EEvS4_RKT_EUlibE_EEviT1_.kd
    .uniform_work_group_size: 1
    .uses_dynamic_stack: false
    .vgpr_count:     33
    .vgpr_spill_count: 0
    .wavefront_size: 64
  - .agpr_count:     0
    .args:
      - .offset:         0
        .size:           4
        .value_kind:     by_value
      - .offset:         8
        .size:           32
        .value_kind:     by_value
    .group_segment_fixed_size: 0
    .kernarg_segment_align: 8
    .kernarg_segment_size: 40
    .language:       OpenCL C
    .language_version:
      - 2
      - 0
    .max_flat_workgroup_size: 128
    .name:           _ZN2at6native32elementwise_kernel_manual_unrollILi128ELi4EZNS0_15gpu_kernel_implIZZZNS0_21clamp_min_kernel_cudaERNS_18TensorIteratorBaseERKN3c106ScalarEENKUlvE_clEvENKUlvE7_clEvEUlNS5_8BFloat16EE_EEvS4_RKT_EUlibE_EEviT1_
    .private_segment_fixed_size: 0
    .sgpr_count:     52
    .sgpr_spill_count: 0
    .symbol:         _ZN2at6native32elementwise_kernel_manual_unrollILi128ELi4EZNS0_15gpu_kernel_implIZZZNS0_21clamp_min_kernel_cudaERNS_18TensorIteratorBaseERKN3c106ScalarEENKUlvE_clEvENKUlvE7_clEvEUlNS5_8BFloat16EE_EEvS4_RKT_EUlibE_EEviT1_.kd
    .uniform_work_group_size: 1
    .uses_dynamic_stack: false
    .vgpr_count:     14
    .vgpr_spill_count: 0
    .wavefront_size: 64
  - .agpr_count:     0
    .args:
      - .offset:         0
        .size:           4
        .value_kind:     by_value
      - .offset:         8
        .size:           352
        .value_kind:     by_value
    .group_segment_fixed_size: 0
    .kernarg_segment_align: 8
    .kernarg_segment_size: 360
    .language:       OpenCL C
    .language_version:
      - 2
      - 0
    .max_flat_workgroup_size: 128
    .name:           _ZN2at6native32elementwise_kernel_manual_unrollILi128ELi4EZNS0_15gpu_kernel_implIZZZNS0_21clamp_min_kernel_cudaERNS_18TensorIteratorBaseERKN3c106ScalarEENKUlvE_clEvENKUlvE7_clEvEUlNS5_8BFloat16EE_EEvS4_RKT_EUlibE0_EEviT1_
    .private_segment_fixed_size: 0
    .sgpr_count:     86
    .sgpr_spill_count: 0
    .symbol:         _ZN2at6native32elementwise_kernel_manual_unrollILi128ELi4EZNS0_15gpu_kernel_implIZZZNS0_21clamp_min_kernel_cudaERNS_18TensorIteratorBaseERKN3c106ScalarEENKUlvE_clEvENKUlvE7_clEvEUlNS5_8BFloat16EE_EEvS4_RKT_EUlibE0_EEviT1_.kd
    .uniform_work_group_size: 1
    .uses_dynamic_stack: false
    .vgpr_count:     18
    .vgpr_spill_count: 0
    .wavefront_size: 64
  - .agpr_count:     0
    .args:
      - .offset:         0
        .size:           4
        .value_kind:     by_value
      - .offset:         4
        .size:           1
        .value_kind:     by_value
      - .offset:         8
        .size:           16
        .value_kind:     by_value
    .group_segment_fixed_size: 0
    .kernarg_segment_align: 8
    .kernarg_segment_size: 24
    .language:       OpenCL C
    .language_version:
      - 2
      - 0
    .max_flat_workgroup_size: 256
    .name:           _ZN2at6native29vectorized_elementwise_kernelILi16EZZZNS0_21clamp_max_kernel_cudaERNS_18TensorIteratorBaseERKN3c106ScalarEENKUlvE_clEvENKUlvE_clEvEUlhE_St5arrayIPcLm2EEEEviT0_T1_
    .private_segment_fixed_size: 0
    .sgpr_count:     46
    .sgpr_spill_count: 0
    .symbol:         _ZN2at6native29vectorized_elementwise_kernelILi16EZZZNS0_21clamp_max_kernel_cudaERNS_18TensorIteratorBaseERKN3c106ScalarEENKUlvE_clEvENKUlvE_clEvEUlhE_St5arrayIPcLm2EEEEviT0_T1_.kd
    .uniform_work_group_size: 1
    .uses_dynamic_stack: false
    .vgpr_count:     21
    .vgpr_spill_count: 0
    .wavefront_size: 64
  - .agpr_count:     0
    .args:
      - .offset:         0
        .size:           4
        .value_kind:     by_value
      - .offset:         4
        .size:           1
        .value_kind:     by_value
      - .offset:         8
        .size:           16
        .value_kind:     by_value
    .group_segment_fixed_size: 0
    .kernarg_segment_align: 8
    .kernarg_segment_size: 24
    .language:       OpenCL C
    .language_version:
      - 2
      - 0
    .max_flat_workgroup_size: 256
    .name:           _ZN2at6native29vectorized_elementwise_kernelILi8EZZZNS0_21clamp_max_kernel_cudaERNS_18TensorIteratorBaseERKN3c106ScalarEENKUlvE_clEvENKUlvE_clEvEUlhE_St5arrayIPcLm2EEEEviT0_T1_
    .private_segment_fixed_size: 0
    .sgpr_count:     46
    .sgpr_spill_count: 0
    .symbol:         _ZN2at6native29vectorized_elementwise_kernelILi8EZZZNS0_21clamp_max_kernel_cudaERNS_18TensorIteratorBaseERKN3c106ScalarEENKUlvE_clEvENKUlvE_clEvEUlhE_St5arrayIPcLm2EEEEviT0_T1_.kd
    .uniform_work_group_size: 1
    .uses_dynamic_stack: false
    .vgpr_count:     21
    .vgpr_spill_count: 0
    .wavefront_size: 64
  - .agpr_count:     0
    .args:
      - .offset:         0
        .size:           4
        .value_kind:     by_value
      - .offset:         4
        .size:           1
        .value_kind:     by_value
      - .offset:         8
        .size:           16
        .value_kind:     by_value
    .group_segment_fixed_size: 0
    .kernarg_segment_align: 8
    .kernarg_segment_size: 24
    .language:       OpenCL C
    .language_version:
      - 2
      - 0
    .max_flat_workgroup_size: 256
    .name:           _ZN2at6native29vectorized_elementwise_kernelILi4EZZZNS0_21clamp_max_kernel_cudaERNS_18TensorIteratorBaseERKN3c106ScalarEENKUlvE_clEvENKUlvE_clEvEUlhE_St5arrayIPcLm2EEEEviT0_T1_
    .private_segment_fixed_size: 0
    .sgpr_count:     46
    .sgpr_spill_count: 0
    .symbol:         _ZN2at6native29vectorized_elementwise_kernelILi4EZZZNS0_21clamp_max_kernel_cudaERNS_18TensorIteratorBaseERKN3c106ScalarEENKUlvE_clEvENKUlvE_clEvEUlhE_St5arrayIPcLm2EEEEviT0_T1_.kd
    .uniform_work_group_size: 1
    .uses_dynamic_stack: false
    .vgpr_count:     21
    .vgpr_spill_count: 0
    .wavefront_size: 64
  - .agpr_count:     0
    .args:
      - .offset:         0
        .size:           4
        .value_kind:     by_value
      - .offset:         4
        .size:           1
        .value_kind:     by_value
      - .offset:         8
        .size:           16
        .value_kind:     by_value
    .group_segment_fixed_size: 0
    .kernarg_segment_align: 8
    .kernarg_segment_size: 24
    .language:       OpenCL C
    .language_version:
      - 2
      - 0
    .max_flat_workgroup_size: 256
    .name:           _ZN2at6native29vectorized_elementwise_kernelILi2EZZZNS0_21clamp_max_kernel_cudaERNS_18TensorIteratorBaseERKN3c106ScalarEENKUlvE_clEvENKUlvE_clEvEUlhE_St5arrayIPcLm2EEEEviT0_T1_
    .private_segment_fixed_size: 0
    .sgpr_count:     46
    .sgpr_spill_count: 0
    .symbol:         _ZN2at6native29vectorized_elementwise_kernelILi2EZZZNS0_21clamp_max_kernel_cudaERNS_18TensorIteratorBaseERKN3c106ScalarEENKUlvE_clEvENKUlvE_clEvEUlhE_St5arrayIPcLm2EEEEviT0_T1_.kd
    .uniform_work_group_size: 1
    .uses_dynamic_stack: false
    .vgpr_count:     21
    .vgpr_spill_count: 0
    .wavefront_size: 64
  - .agpr_count:     0
    .args:
      - .offset:         0
        .size:           4
        .value_kind:     by_value
      - .offset:         4
        .size:           1
        .value_kind:     by_value
      - .offset:         8
        .size:           16
        .value_kind:     by_value
      - .offset:         24
        .size:           1
        .value_kind:     by_value
      - .offset:         25
        .size:           1
        .value_kind:     by_value
      - .offset:         26
        .size:           1
        .value_kind:     by_value
      - .offset:         27
        .size:           1
        .value_kind:     by_value
    .group_segment_fixed_size: 0
    .kernarg_segment_align: 8
    .kernarg_segment_size: 28
    .language:       OpenCL C
    .language_version:
      - 2
      - 0
    .max_flat_workgroup_size: 256
    .name:           _ZN2at6native27unrolled_elementwise_kernelIZZZNS0_21clamp_max_kernel_cudaERNS_18TensorIteratorBaseERKN3c106ScalarEENKUlvE_clEvENKUlvE_clEvEUlhE_St5arrayIPcLm2EELi4E23TrivialOffsetCalculatorILi1EjESF_NS0_6memory15LoadWithoutCastENSG_16StoreWithoutCastEEEviT_T0_T2_T3_T4_T5_
    .private_segment_fixed_size: 0
    .sgpr_count:     23
    .sgpr_spill_count: 0
    .symbol:         _ZN2at6native27unrolled_elementwise_kernelIZZZNS0_21clamp_max_kernel_cudaERNS_18TensorIteratorBaseERKN3c106ScalarEENKUlvE_clEvENKUlvE_clEvEUlhE_St5arrayIPcLm2EELi4E23TrivialOffsetCalculatorILi1EjESF_NS0_6memory15LoadWithoutCastENSG_16StoreWithoutCastEEEviT_T0_T2_T3_T4_T5_.kd
    .uniform_work_group_size: 1
    .uses_dynamic_stack: false
    .vgpr_count:     8
    .vgpr_spill_count: 0
    .wavefront_size: 64
  - .agpr_count:     0
    .args:
      - .offset:         0
        .size:           4
        .value_kind:     by_value
      - .offset:         8
        .size:           352
        .value_kind:     by_value
    .group_segment_fixed_size: 0
    .kernarg_segment_align: 8
    .kernarg_segment_size: 360
    .language:       OpenCL C
    .language_version:
      - 2
      - 0
    .max_flat_workgroup_size: 128
    .name:           _ZN2at6native32elementwise_kernel_manual_unrollILi128ELi8EZNS0_22gpu_kernel_impl_nocastIZZZNS0_21clamp_max_kernel_cudaERNS_18TensorIteratorBaseERKN3c106ScalarEENKUlvE_clEvENKUlvE_clEvEUlhE_EEvS4_RKT_EUlibE_EEviT1_
    .private_segment_fixed_size: 0
    .sgpr_count:     67
    .sgpr_spill_count: 0
    .symbol:         _ZN2at6native32elementwise_kernel_manual_unrollILi128ELi8EZNS0_22gpu_kernel_impl_nocastIZZZNS0_21clamp_max_kernel_cudaERNS_18TensorIteratorBaseERKN3c106ScalarEENKUlvE_clEvENKUlvE_clEvEUlhE_EEvS4_RKT_EUlibE_EEviT1_.kd
    .uniform_work_group_size: 1
    .uses_dynamic_stack: false
    .vgpr_count:     33
    .vgpr_spill_count: 0
    .wavefront_size: 64
  - .agpr_count:     0
    .args:
      - .offset:         0
        .size:           4
        .value_kind:     by_value
      - .offset:         8
        .size:           32
        .value_kind:     by_value
    .group_segment_fixed_size: 0
    .kernarg_segment_align: 8
    .kernarg_segment_size: 40
    .language:       OpenCL C
    .language_version:
      - 2
      - 0
    .max_flat_workgroup_size: 128
    .name:           _ZN2at6native32elementwise_kernel_manual_unrollILi128ELi4EZNS0_15gpu_kernel_implIZZZNS0_21clamp_max_kernel_cudaERNS_18TensorIteratorBaseERKN3c106ScalarEENKUlvE_clEvENKUlvE_clEvEUlhE_EEvS4_RKT_EUlibE_EEviT1_
    .private_segment_fixed_size: 0
    .sgpr_count:     54
    .sgpr_spill_count: 0
    .symbol:         _ZN2at6native32elementwise_kernel_manual_unrollILi128ELi4EZNS0_15gpu_kernel_implIZZZNS0_21clamp_max_kernel_cudaERNS_18TensorIteratorBaseERKN3c106ScalarEENKUlvE_clEvENKUlvE_clEvEUlhE_EEvS4_RKT_EUlibE_EEviT1_.kd
    .uniform_work_group_size: 1
    .uses_dynamic_stack: false
    .vgpr_count:     16
    .vgpr_spill_count: 0
    .wavefront_size: 64
  - .agpr_count:     0
    .args:
      - .offset:         0
        .size:           4
        .value_kind:     by_value
      - .offset:         8
        .size:           352
        .value_kind:     by_value
    .group_segment_fixed_size: 0
    .kernarg_segment_align: 8
    .kernarg_segment_size: 360
    .language:       OpenCL C
    .language_version:
      - 2
      - 0
    .max_flat_workgroup_size: 128
    .name:           _ZN2at6native32elementwise_kernel_manual_unrollILi128ELi4EZNS0_15gpu_kernel_implIZZZNS0_21clamp_max_kernel_cudaERNS_18TensorIteratorBaseERKN3c106ScalarEENKUlvE_clEvENKUlvE_clEvEUlhE_EEvS4_RKT_EUlibE0_EEviT1_
    .private_segment_fixed_size: 0
    .sgpr_count:     85
    .sgpr_spill_count: 0
    .symbol:         _ZN2at6native32elementwise_kernel_manual_unrollILi128ELi4EZNS0_15gpu_kernel_implIZZZNS0_21clamp_max_kernel_cudaERNS_18TensorIteratorBaseERKN3c106ScalarEENKUlvE_clEvENKUlvE_clEvEUlhE_EEvS4_RKT_EUlibE0_EEviT1_.kd
    .uniform_work_group_size: 1
    .uses_dynamic_stack: false
    .vgpr_count:     20
    .vgpr_spill_count: 0
    .wavefront_size: 64
  - .agpr_count:     0
    .args:
      - .offset:         0
        .size:           4
        .value_kind:     by_value
      - .offset:         4
        .size:           1
        .value_kind:     by_value
      - .offset:         8
        .size:           16
        .value_kind:     by_value
    .group_segment_fixed_size: 0
    .kernarg_segment_align: 8
    .kernarg_segment_size: 24
    .language:       OpenCL C
    .language_version:
      - 2
      - 0
    .max_flat_workgroup_size: 256
    .name:           _ZN2at6native29vectorized_elementwise_kernelILi16EZZZNS0_21clamp_max_kernel_cudaERNS_18TensorIteratorBaseERKN3c106ScalarEENKUlvE_clEvENKUlvE0_clEvEUlaE_St5arrayIPcLm2EEEEviT0_T1_
    .private_segment_fixed_size: 0
    .sgpr_count:     46
    .sgpr_spill_count: 0
    .symbol:         _ZN2at6native29vectorized_elementwise_kernelILi16EZZZNS0_21clamp_max_kernel_cudaERNS_18TensorIteratorBaseERKN3c106ScalarEENKUlvE_clEvENKUlvE0_clEvEUlaE_St5arrayIPcLm2EEEEviT0_T1_.kd
    .uniform_work_group_size: 1
    .uses_dynamic_stack: false
    .vgpr_count:     21
    .vgpr_spill_count: 0
    .wavefront_size: 64
  - .agpr_count:     0
    .args:
      - .offset:         0
        .size:           4
        .value_kind:     by_value
      - .offset:         4
        .size:           1
        .value_kind:     by_value
      - .offset:         8
        .size:           16
        .value_kind:     by_value
    .group_segment_fixed_size: 0
    .kernarg_segment_align: 8
    .kernarg_segment_size: 24
    .language:       OpenCL C
    .language_version:
      - 2
      - 0
    .max_flat_workgroup_size: 256
    .name:           _ZN2at6native29vectorized_elementwise_kernelILi8EZZZNS0_21clamp_max_kernel_cudaERNS_18TensorIteratorBaseERKN3c106ScalarEENKUlvE_clEvENKUlvE0_clEvEUlaE_St5arrayIPcLm2EEEEviT0_T1_
    .private_segment_fixed_size: 0
    .sgpr_count:     46
    .sgpr_spill_count: 0
    .symbol:         _ZN2at6native29vectorized_elementwise_kernelILi8EZZZNS0_21clamp_max_kernel_cudaERNS_18TensorIteratorBaseERKN3c106ScalarEENKUlvE_clEvENKUlvE0_clEvEUlaE_St5arrayIPcLm2EEEEviT0_T1_.kd
    .uniform_work_group_size: 1
    .uses_dynamic_stack: false
    .vgpr_count:     21
    .vgpr_spill_count: 0
    .wavefront_size: 64
  - .agpr_count:     0
    .args:
      - .offset:         0
        .size:           4
        .value_kind:     by_value
      - .offset:         4
        .size:           1
        .value_kind:     by_value
      - .offset:         8
        .size:           16
        .value_kind:     by_value
    .group_segment_fixed_size: 0
    .kernarg_segment_align: 8
    .kernarg_segment_size: 24
    .language:       OpenCL C
    .language_version:
      - 2
      - 0
    .max_flat_workgroup_size: 256
    .name:           _ZN2at6native29vectorized_elementwise_kernelILi4EZZZNS0_21clamp_max_kernel_cudaERNS_18TensorIteratorBaseERKN3c106ScalarEENKUlvE_clEvENKUlvE0_clEvEUlaE_St5arrayIPcLm2EEEEviT0_T1_
    .private_segment_fixed_size: 0
    .sgpr_count:     46
    .sgpr_spill_count: 0
    .symbol:         _ZN2at6native29vectorized_elementwise_kernelILi4EZZZNS0_21clamp_max_kernel_cudaERNS_18TensorIteratorBaseERKN3c106ScalarEENKUlvE_clEvENKUlvE0_clEvEUlaE_St5arrayIPcLm2EEEEviT0_T1_.kd
    .uniform_work_group_size: 1
    .uses_dynamic_stack: false
    .vgpr_count:     21
    .vgpr_spill_count: 0
    .wavefront_size: 64
  - .agpr_count:     0
    .args:
      - .offset:         0
        .size:           4
        .value_kind:     by_value
      - .offset:         4
        .size:           1
        .value_kind:     by_value
      - .offset:         8
        .size:           16
        .value_kind:     by_value
    .group_segment_fixed_size: 0
    .kernarg_segment_align: 8
    .kernarg_segment_size: 24
    .language:       OpenCL C
    .language_version:
      - 2
      - 0
    .max_flat_workgroup_size: 256
    .name:           _ZN2at6native29vectorized_elementwise_kernelILi2EZZZNS0_21clamp_max_kernel_cudaERNS_18TensorIteratorBaseERKN3c106ScalarEENKUlvE_clEvENKUlvE0_clEvEUlaE_St5arrayIPcLm2EEEEviT0_T1_
    .private_segment_fixed_size: 0
    .sgpr_count:     46
    .sgpr_spill_count: 0
    .symbol:         _ZN2at6native29vectorized_elementwise_kernelILi2EZZZNS0_21clamp_max_kernel_cudaERNS_18TensorIteratorBaseERKN3c106ScalarEENKUlvE_clEvENKUlvE0_clEvEUlaE_St5arrayIPcLm2EEEEviT0_T1_.kd
    .uniform_work_group_size: 1
    .uses_dynamic_stack: false
    .vgpr_count:     21
    .vgpr_spill_count: 0
    .wavefront_size: 64
  - .agpr_count:     0
    .args:
      - .offset:         0
        .size:           4
        .value_kind:     by_value
      - .offset:         4
        .size:           1
        .value_kind:     by_value
      - .offset:         8
        .size:           16
        .value_kind:     by_value
      - .offset:         24
        .size:           1
        .value_kind:     by_value
      - .offset:         25
        .size:           1
        .value_kind:     by_value
      - .offset:         26
        .size:           1
        .value_kind:     by_value
      - .offset:         27
        .size:           1
        .value_kind:     by_value
    .group_segment_fixed_size: 0
    .kernarg_segment_align: 8
    .kernarg_segment_size: 28
    .language:       OpenCL C
    .language_version:
      - 2
      - 0
    .max_flat_workgroup_size: 256
    .name:           _ZN2at6native27unrolled_elementwise_kernelIZZZNS0_21clamp_max_kernel_cudaERNS_18TensorIteratorBaseERKN3c106ScalarEENKUlvE_clEvENKUlvE0_clEvEUlaE_St5arrayIPcLm2EELi4E23TrivialOffsetCalculatorILi1EjESF_NS0_6memory15LoadWithoutCastENSG_16StoreWithoutCastEEEviT_T0_T2_T3_T4_T5_
    .private_segment_fixed_size: 0
    .sgpr_count:     23
    .sgpr_spill_count: 0
    .symbol:         _ZN2at6native27unrolled_elementwise_kernelIZZZNS0_21clamp_max_kernel_cudaERNS_18TensorIteratorBaseERKN3c106ScalarEENKUlvE_clEvENKUlvE0_clEvEUlaE_St5arrayIPcLm2EELi4E23TrivialOffsetCalculatorILi1EjESF_NS0_6memory15LoadWithoutCastENSG_16StoreWithoutCastEEEviT_T0_T2_T3_T4_T5_.kd
    .uniform_work_group_size: 1
    .uses_dynamic_stack: false
    .vgpr_count:     8
    .vgpr_spill_count: 0
    .wavefront_size: 64
  - .agpr_count:     0
    .args:
      - .offset:         0
        .size:           4
        .value_kind:     by_value
      - .offset:         8
        .size:           352
        .value_kind:     by_value
    .group_segment_fixed_size: 0
    .kernarg_segment_align: 8
    .kernarg_segment_size: 360
    .language:       OpenCL C
    .language_version:
      - 2
      - 0
    .max_flat_workgroup_size: 128
    .name:           _ZN2at6native32elementwise_kernel_manual_unrollILi128ELi8EZNS0_22gpu_kernel_impl_nocastIZZZNS0_21clamp_max_kernel_cudaERNS_18TensorIteratorBaseERKN3c106ScalarEENKUlvE_clEvENKUlvE0_clEvEUlaE_EEvS4_RKT_EUlibE_EEviT1_
    .private_segment_fixed_size: 0
    .sgpr_count:     67
    .sgpr_spill_count: 0
    .symbol:         _ZN2at6native32elementwise_kernel_manual_unrollILi128ELi8EZNS0_22gpu_kernel_impl_nocastIZZZNS0_21clamp_max_kernel_cudaERNS_18TensorIteratorBaseERKN3c106ScalarEENKUlvE_clEvENKUlvE0_clEvEUlaE_EEvS4_RKT_EUlibE_EEviT1_.kd
    .uniform_work_group_size: 1
    .uses_dynamic_stack: false
    .vgpr_count:     33
    .vgpr_spill_count: 0
    .wavefront_size: 64
  - .agpr_count:     0
    .args:
      - .offset:         0
        .size:           4
        .value_kind:     by_value
      - .offset:         8
        .size:           32
        .value_kind:     by_value
    .group_segment_fixed_size: 0
    .kernarg_segment_align: 8
    .kernarg_segment_size: 40
    .language:       OpenCL C
    .language_version:
      - 2
      - 0
    .max_flat_workgroup_size: 128
    .name:           _ZN2at6native32elementwise_kernel_manual_unrollILi128ELi4EZNS0_15gpu_kernel_implIZZZNS0_21clamp_max_kernel_cudaERNS_18TensorIteratorBaseERKN3c106ScalarEENKUlvE_clEvENKUlvE0_clEvEUlaE_EEvS4_RKT_EUlibE_EEviT1_
    .private_segment_fixed_size: 0
    .sgpr_count:     54
    .sgpr_spill_count: 0
    .symbol:         _ZN2at6native32elementwise_kernel_manual_unrollILi128ELi4EZNS0_15gpu_kernel_implIZZZNS0_21clamp_max_kernel_cudaERNS_18TensorIteratorBaseERKN3c106ScalarEENKUlvE_clEvENKUlvE0_clEvEUlaE_EEvS4_RKT_EUlibE_EEviT1_.kd
    .uniform_work_group_size: 1
    .uses_dynamic_stack: false
    .vgpr_count:     14
    .vgpr_spill_count: 0
    .wavefront_size: 64
  - .agpr_count:     0
    .args:
      - .offset:         0
        .size:           4
        .value_kind:     by_value
      - .offset:         8
        .size:           352
        .value_kind:     by_value
    .group_segment_fixed_size: 0
    .kernarg_segment_align: 8
    .kernarg_segment_size: 360
    .language:       OpenCL C
    .language_version:
      - 2
      - 0
    .max_flat_workgroup_size: 128
    .name:           _ZN2at6native32elementwise_kernel_manual_unrollILi128ELi4EZNS0_15gpu_kernel_implIZZZNS0_21clamp_max_kernel_cudaERNS_18TensorIteratorBaseERKN3c106ScalarEENKUlvE_clEvENKUlvE0_clEvEUlaE_EEvS4_RKT_EUlibE0_EEviT1_
    .private_segment_fixed_size: 0
    .sgpr_count:     85
    .sgpr_spill_count: 0
    .symbol:         _ZN2at6native32elementwise_kernel_manual_unrollILi128ELi4EZNS0_15gpu_kernel_implIZZZNS0_21clamp_max_kernel_cudaERNS_18TensorIteratorBaseERKN3c106ScalarEENKUlvE_clEvENKUlvE0_clEvEUlaE_EEvS4_RKT_EUlibE0_EEviT1_.kd
    .uniform_work_group_size: 1
    .uses_dynamic_stack: false
    .vgpr_count:     18
    .vgpr_spill_count: 0
    .wavefront_size: 64
  - .agpr_count:     0
    .args:
      - .offset:         0
        .size:           4
        .value_kind:     by_value
      - .offset:         4
        .size:           4
        .value_kind:     by_value
      - .offset:         8
        .size:           16
        .value_kind:     by_value
    .group_segment_fixed_size: 0
    .kernarg_segment_align: 8
    .kernarg_segment_size: 24
    .language:       OpenCL C
    .language_version:
      - 2
      - 0
    .max_flat_workgroup_size: 256
    .name:           _ZN2at6native29vectorized_elementwise_kernelILi16EZZZNS0_21clamp_max_kernel_cudaERNS_18TensorIteratorBaseERKN3c106ScalarEENKUlvE_clEvENKUlvE1_clEvEUliE_St5arrayIPcLm2EEEEviT0_T1_
    .private_segment_fixed_size: 0
    .sgpr_count:     22
    .sgpr_spill_count: 0
    .symbol:         _ZN2at6native29vectorized_elementwise_kernelILi16EZZZNS0_21clamp_max_kernel_cudaERNS_18TensorIteratorBaseERKN3c106ScalarEENKUlvE_clEvENKUlvE1_clEvEUliE_St5arrayIPcLm2EEEEviT0_T1_.kd
    .uniform_work_group_size: 1
    .uses_dynamic_stack: false
    .vgpr_count:     9
    .vgpr_spill_count: 0
    .wavefront_size: 64
  - .agpr_count:     0
    .args:
      - .offset:         0
        .size:           4
        .value_kind:     by_value
      - .offset:         4
        .size:           4
        .value_kind:     by_value
      - .offset:         8
        .size:           16
        .value_kind:     by_value
    .group_segment_fixed_size: 0
    .kernarg_segment_align: 8
    .kernarg_segment_size: 24
    .language:       OpenCL C
    .language_version:
      - 2
      - 0
    .max_flat_workgroup_size: 256
    .name:           _ZN2at6native29vectorized_elementwise_kernelILi8EZZZNS0_21clamp_max_kernel_cudaERNS_18TensorIteratorBaseERKN3c106ScalarEENKUlvE_clEvENKUlvE1_clEvEUliE_St5arrayIPcLm2EEEEviT0_T1_
    .private_segment_fixed_size: 0
    .sgpr_count:     22
    .sgpr_spill_count: 0
    .symbol:         _ZN2at6native29vectorized_elementwise_kernelILi8EZZZNS0_21clamp_max_kernel_cudaERNS_18TensorIteratorBaseERKN3c106ScalarEENKUlvE_clEvENKUlvE1_clEvEUliE_St5arrayIPcLm2EEEEviT0_T1_.kd
    .uniform_work_group_size: 1
    .uses_dynamic_stack: false
    .vgpr_count:     9
    .vgpr_spill_count: 0
    .wavefront_size: 64
  - .agpr_count:     0
    .args:
      - .offset:         0
        .size:           4
        .value_kind:     by_value
      - .offset:         4
        .size:           4
        .value_kind:     by_value
      - .offset:         8
        .size:           16
        .value_kind:     by_value
    .group_segment_fixed_size: 0
    .kernarg_segment_align: 8
    .kernarg_segment_size: 24
    .language:       OpenCL C
    .language_version:
      - 2
      - 0
    .max_flat_workgroup_size: 256
    .name:           _ZN2at6native29vectorized_elementwise_kernelILi4EZZZNS0_21clamp_max_kernel_cudaERNS_18TensorIteratorBaseERKN3c106ScalarEENKUlvE_clEvENKUlvE1_clEvEUliE_St5arrayIPcLm2EEEEviT0_T1_
    .private_segment_fixed_size: 0
    .sgpr_count:     22
    .sgpr_spill_count: 0
    .symbol:         _ZN2at6native29vectorized_elementwise_kernelILi4EZZZNS0_21clamp_max_kernel_cudaERNS_18TensorIteratorBaseERKN3c106ScalarEENKUlvE_clEvENKUlvE1_clEvEUliE_St5arrayIPcLm2EEEEviT0_T1_.kd
    .uniform_work_group_size: 1
    .uses_dynamic_stack: false
    .vgpr_count:     9
    .vgpr_spill_count: 0
    .wavefront_size: 64
  - .agpr_count:     0
    .args:
      - .offset:         0
        .size:           4
        .value_kind:     by_value
      - .offset:         4
        .size:           4
        .value_kind:     by_value
      - .offset:         8
        .size:           16
        .value_kind:     by_value
    .group_segment_fixed_size: 0
    .kernarg_segment_align: 8
    .kernarg_segment_size: 24
    .language:       OpenCL C
    .language_version:
      - 2
      - 0
    .max_flat_workgroup_size: 256
    .name:           _ZN2at6native29vectorized_elementwise_kernelILi2EZZZNS0_21clamp_max_kernel_cudaERNS_18TensorIteratorBaseERKN3c106ScalarEENKUlvE_clEvENKUlvE1_clEvEUliE_St5arrayIPcLm2EEEEviT0_T1_
    .private_segment_fixed_size: 0
    .sgpr_count:     22
    .sgpr_spill_count: 0
    .symbol:         _ZN2at6native29vectorized_elementwise_kernelILi2EZZZNS0_21clamp_max_kernel_cudaERNS_18TensorIteratorBaseERKN3c106ScalarEENKUlvE_clEvENKUlvE1_clEvEUliE_St5arrayIPcLm2EEEEviT0_T1_.kd
    .uniform_work_group_size: 1
    .uses_dynamic_stack: false
    .vgpr_count:     9
    .vgpr_spill_count: 0
    .wavefront_size: 64
  - .agpr_count:     0
    .args:
      - .offset:         0
        .size:           4
        .value_kind:     by_value
      - .offset:         4
        .size:           4
        .value_kind:     by_value
      - .offset:         8
        .size:           16
        .value_kind:     by_value
      - .offset:         24
        .size:           1
        .value_kind:     by_value
      - .offset:         25
        .size:           1
        .value_kind:     by_value
      - .offset:         26
        .size:           1
        .value_kind:     by_value
      - .offset:         27
        .size:           1
        .value_kind:     by_value
    .group_segment_fixed_size: 0
    .kernarg_segment_align: 8
    .kernarg_segment_size: 28
    .language:       OpenCL C
    .language_version:
      - 2
      - 0
    .max_flat_workgroup_size: 256
    .name:           _ZN2at6native27unrolled_elementwise_kernelIZZZNS0_21clamp_max_kernel_cudaERNS_18TensorIteratorBaseERKN3c106ScalarEENKUlvE_clEvENKUlvE1_clEvEUliE_St5arrayIPcLm2EELi4E23TrivialOffsetCalculatorILi1EjESF_NS0_6memory15LoadWithoutCastENSG_16StoreWithoutCastEEEviT_T0_T2_T3_T4_T5_
    .private_segment_fixed_size: 0
    .sgpr_count:     23
    .sgpr_spill_count: 0
    .symbol:         _ZN2at6native27unrolled_elementwise_kernelIZZZNS0_21clamp_max_kernel_cudaERNS_18TensorIteratorBaseERKN3c106ScalarEENKUlvE_clEvENKUlvE1_clEvEUliE_St5arrayIPcLm2EELi4E23TrivialOffsetCalculatorILi1EjESF_NS0_6memory15LoadWithoutCastENSG_16StoreWithoutCastEEEviT_T0_T2_T3_T4_T5_.kd
    .uniform_work_group_size: 1
    .uses_dynamic_stack: false
    .vgpr_count:     9
    .vgpr_spill_count: 0
    .wavefront_size: 64
  - .agpr_count:     0
    .args:
      - .offset:         0
        .size:           4
        .value_kind:     by_value
      - .offset:         8
        .size:           352
        .value_kind:     by_value
    .group_segment_fixed_size: 0
    .kernarg_segment_align: 8
    .kernarg_segment_size: 360
    .language:       OpenCL C
    .language_version:
      - 2
      - 0
    .max_flat_workgroup_size: 128
    .name:           _ZN2at6native32elementwise_kernel_manual_unrollILi128ELi4EZNS0_22gpu_kernel_impl_nocastIZZZNS0_21clamp_max_kernel_cudaERNS_18TensorIteratorBaseERKN3c106ScalarEENKUlvE_clEvENKUlvE1_clEvEUliE_EEvS4_RKT_EUlibE_EEviT1_
    .private_segment_fixed_size: 0
    .sgpr_count:     67
    .sgpr_spill_count: 0
    .symbol:         _ZN2at6native32elementwise_kernel_manual_unrollILi128ELi4EZNS0_22gpu_kernel_impl_nocastIZZZNS0_21clamp_max_kernel_cudaERNS_18TensorIteratorBaseERKN3c106ScalarEENKUlvE_clEvENKUlvE1_clEvEUliE_EEvS4_RKT_EUlibE_EEviT1_.kd
    .uniform_work_group_size: 1
    .uses_dynamic_stack: false
    .vgpr_count:     17
    .vgpr_spill_count: 0
    .wavefront_size: 64
  - .agpr_count:     0
    .args:
      - .offset:         0
        .size:           4
        .value_kind:     by_value
      - .offset:         8
        .size:           32
        .value_kind:     by_value
    .group_segment_fixed_size: 0
    .kernarg_segment_align: 8
    .kernarg_segment_size: 40
    .language:       OpenCL C
    .language_version:
      - 2
      - 0
    .max_flat_workgroup_size: 128
    .name:           _ZN2at6native32elementwise_kernel_manual_unrollILi128ELi4EZNS0_15gpu_kernel_implIZZZNS0_21clamp_max_kernel_cudaERNS_18TensorIteratorBaseERKN3c106ScalarEENKUlvE_clEvENKUlvE1_clEvEUliE_EEvS4_RKT_EUlibE_EEviT1_
    .private_segment_fixed_size: 0
    .sgpr_count:     52
    .sgpr_spill_count: 0
    .symbol:         _ZN2at6native32elementwise_kernel_manual_unrollILi128ELi4EZNS0_15gpu_kernel_implIZZZNS0_21clamp_max_kernel_cudaERNS_18TensorIteratorBaseERKN3c106ScalarEENKUlvE_clEvENKUlvE1_clEvEUliE_EEvS4_RKT_EUlibE_EEviT1_.kd
    .uniform_work_group_size: 1
    .uses_dynamic_stack: false
    .vgpr_count:     14
    .vgpr_spill_count: 0
    .wavefront_size: 64
  - .agpr_count:     0
    .args:
      - .offset:         0
        .size:           4
        .value_kind:     by_value
      - .offset:         8
        .size:           352
        .value_kind:     by_value
    .group_segment_fixed_size: 0
    .kernarg_segment_align: 8
    .kernarg_segment_size: 360
    .language:       OpenCL C
    .language_version:
      - 2
      - 0
    .max_flat_workgroup_size: 128
    .name:           _ZN2at6native32elementwise_kernel_manual_unrollILi128ELi4EZNS0_15gpu_kernel_implIZZZNS0_21clamp_max_kernel_cudaERNS_18TensorIteratorBaseERKN3c106ScalarEENKUlvE_clEvENKUlvE1_clEvEUliE_EEvS4_RKT_EUlibE0_EEviT1_
    .private_segment_fixed_size: 0
    .sgpr_count:     85
    .sgpr_spill_count: 0
    .symbol:         _ZN2at6native32elementwise_kernel_manual_unrollILi128ELi4EZNS0_15gpu_kernel_implIZZZNS0_21clamp_max_kernel_cudaERNS_18TensorIteratorBaseERKN3c106ScalarEENKUlvE_clEvENKUlvE1_clEvEUliE_EEvS4_RKT_EUlibE0_EEviT1_.kd
    .uniform_work_group_size: 1
    .uses_dynamic_stack: false
    .vgpr_count:     18
    .vgpr_spill_count: 0
    .wavefront_size: 64
  - .agpr_count:     0
    .args:
      - .offset:         0
        .size:           4
        .value_kind:     by_value
      - .offset:         8
        .size:           8
        .value_kind:     by_value
      - .offset:         16
        .size:           16
        .value_kind:     by_value
    .group_segment_fixed_size: 0
    .kernarg_segment_align: 8
    .kernarg_segment_size: 32
    .language:       OpenCL C
    .language_version:
      - 2
      - 0
    .max_flat_workgroup_size: 256
    .name:           _ZN2at6native29vectorized_elementwise_kernelILi16EZZZNS0_21clamp_max_kernel_cudaERNS_18TensorIteratorBaseERKN3c106ScalarEENKUlvE_clEvENKUlvE2_clEvEUllE_St5arrayIPcLm2EEEEviT0_T1_
    .private_segment_fixed_size: 0
    .sgpr_count:     24
    .sgpr_spill_count: 0
    .symbol:         _ZN2at6native29vectorized_elementwise_kernelILi16EZZZNS0_21clamp_max_kernel_cudaERNS_18TensorIteratorBaseERKN3c106ScalarEENKUlvE_clEvENKUlvE2_clEvEUllE_St5arrayIPcLm2EEEEviT0_T1_.kd
    .uniform_work_group_size: 1
    .uses_dynamic_stack: false
    .vgpr_count:     17
    .vgpr_spill_count: 0
    .wavefront_size: 64
  - .agpr_count:     0
    .args:
      - .offset:         0
        .size:           4
        .value_kind:     by_value
      - .offset:         8
        .size:           8
        .value_kind:     by_value
      - .offset:         16
        .size:           16
        .value_kind:     by_value
    .group_segment_fixed_size: 0
    .kernarg_segment_align: 8
    .kernarg_segment_size: 32
    .language:       OpenCL C
    .language_version:
      - 2
      - 0
    .max_flat_workgroup_size: 256
    .name:           _ZN2at6native29vectorized_elementwise_kernelILi8EZZZNS0_21clamp_max_kernel_cudaERNS_18TensorIteratorBaseERKN3c106ScalarEENKUlvE_clEvENKUlvE2_clEvEUllE_St5arrayIPcLm2EEEEviT0_T1_
    .private_segment_fixed_size: 0
    .sgpr_count:     24
    .sgpr_spill_count: 0
    .symbol:         _ZN2at6native29vectorized_elementwise_kernelILi8EZZZNS0_21clamp_max_kernel_cudaERNS_18TensorIteratorBaseERKN3c106ScalarEENKUlvE_clEvENKUlvE2_clEvEUllE_St5arrayIPcLm2EEEEviT0_T1_.kd
    .uniform_work_group_size: 1
    .uses_dynamic_stack: false
    .vgpr_count:     17
    .vgpr_spill_count: 0
    .wavefront_size: 64
  - .agpr_count:     0
    .args:
      - .offset:         0
        .size:           4
        .value_kind:     by_value
      - .offset:         8
        .size:           8
        .value_kind:     by_value
      - .offset:         16
        .size:           16
        .value_kind:     by_value
    .group_segment_fixed_size: 0
    .kernarg_segment_align: 8
    .kernarg_segment_size: 32
    .language:       OpenCL C
    .language_version:
      - 2
      - 0
    .max_flat_workgroup_size: 256
    .name:           _ZN2at6native29vectorized_elementwise_kernelILi4EZZZNS0_21clamp_max_kernel_cudaERNS_18TensorIteratorBaseERKN3c106ScalarEENKUlvE_clEvENKUlvE2_clEvEUllE_St5arrayIPcLm2EEEEviT0_T1_
    .private_segment_fixed_size: 0
    .sgpr_count:     24
    .sgpr_spill_count: 0
    .symbol:         _ZN2at6native29vectorized_elementwise_kernelILi4EZZZNS0_21clamp_max_kernel_cudaERNS_18TensorIteratorBaseERKN3c106ScalarEENKUlvE_clEvENKUlvE2_clEvEUllE_St5arrayIPcLm2EEEEviT0_T1_.kd
    .uniform_work_group_size: 1
    .uses_dynamic_stack: false
    .vgpr_count:     17
    .vgpr_spill_count: 0
    .wavefront_size: 64
  - .agpr_count:     0
    .args:
      - .offset:         0
        .size:           4
        .value_kind:     by_value
      - .offset:         8
        .size:           8
        .value_kind:     by_value
      - .offset:         16
        .size:           16
        .value_kind:     by_value
    .group_segment_fixed_size: 0
    .kernarg_segment_align: 8
    .kernarg_segment_size: 32
    .language:       OpenCL C
    .language_version:
      - 2
      - 0
    .max_flat_workgroup_size: 256
    .name:           _ZN2at6native29vectorized_elementwise_kernelILi2EZZZNS0_21clamp_max_kernel_cudaERNS_18TensorIteratorBaseERKN3c106ScalarEENKUlvE_clEvENKUlvE2_clEvEUllE_St5arrayIPcLm2EEEEviT0_T1_
    .private_segment_fixed_size: 0
    .sgpr_count:     19
    .sgpr_spill_count: 0
    .symbol:         _ZN2at6native29vectorized_elementwise_kernelILi2EZZZNS0_21clamp_max_kernel_cudaERNS_18TensorIteratorBaseERKN3c106ScalarEENKUlvE_clEvENKUlvE2_clEvEUllE_St5arrayIPcLm2EEEEviT0_T1_.kd
    .uniform_work_group_size: 1
    .uses_dynamic_stack: false
    .vgpr_count:     17
    .vgpr_spill_count: 0
    .wavefront_size: 64
  - .agpr_count:     0
    .args:
      - .offset:         0
        .size:           4
        .value_kind:     by_value
      - .offset:         8
        .size:           8
        .value_kind:     by_value
      - .offset:         16
        .size:           16
        .value_kind:     by_value
      - .offset:         32
        .size:           1
        .value_kind:     by_value
      - .offset:         33
        .size:           1
        .value_kind:     by_value
      - .offset:         34
        .size:           1
        .value_kind:     by_value
      - .offset:         35
        .size:           1
        .value_kind:     by_value
    .group_segment_fixed_size: 0
    .kernarg_segment_align: 8
    .kernarg_segment_size: 36
    .language:       OpenCL C
    .language_version:
      - 2
      - 0
    .max_flat_workgroup_size: 256
    .name:           _ZN2at6native27unrolled_elementwise_kernelIZZZNS0_21clamp_max_kernel_cudaERNS_18TensorIteratorBaseERKN3c106ScalarEENKUlvE_clEvENKUlvE2_clEvEUllE_St5arrayIPcLm2EELi4E23TrivialOffsetCalculatorILi1EjESF_NS0_6memory15LoadWithoutCastENSG_16StoreWithoutCastEEEviT_T0_T2_T3_T4_T5_
    .private_segment_fixed_size: 0
    .sgpr_count:     18
    .sgpr_spill_count: 0
    .symbol:         _ZN2at6native27unrolled_elementwise_kernelIZZZNS0_21clamp_max_kernel_cudaERNS_18TensorIteratorBaseERKN3c106ScalarEENKUlvE_clEvENKUlvE2_clEvEUllE_St5arrayIPcLm2EELi4E23TrivialOffsetCalculatorILi1EjESF_NS0_6memory15LoadWithoutCastENSG_16StoreWithoutCastEEEviT_T0_T2_T3_T4_T5_.kd
    .uniform_work_group_size: 1
    .uses_dynamic_stack: false
    .vgpr_count:     17
    .vgpr_spill_count: 0
    .wavefront_size: 64
  - .agpr_count:     0
    .args:
      - .offset:         0
        .size:           4
        .value_kind:     by_value
      - .offset:         8
        .size:           352
        .value_kind:     by_value
    .group_segment_fixed_size: 0
    .kernarg_segment_align: 8
    .kernarg_segment_size: 360
    .language:       OpenCL C
    .language_version:
      - 2
      - 0
    .max_flat_workgroup_size: 128
    .name:           _ZN2at6native32elementwise_kernel_manual_unrollILi128ELi4EZNS0_22gpu_kernel_impl_nocastIZZZNS0_21clamp_max_kernel_cudaERNS_18TensorIteratorBaseERKN3c106ScalarEENKUlvE_clEvENKUlvE2_clEvEUllE_EEvS4_RKT_EUlibE_EEviT1_
    .private_segment_fixed_size: 0
    .sgpr_count:     68
    .sgpr_spill_count: 0
    .symbol:         _ZN2at6native32elementwise_kernel_manual_unrollILi128ELi4EZNS0_22gpu_kernel_impl_nocastIZZZNS0_21clamp_max_kernel_cudaERNS_18TensorIteratorBaseERKN3c106ScalarEENKUlvE_clEvENKUlvE2_clEvEUllE_EEvS4_RKT_EUlibE_EEviT1_.kd
    .uniform_work_group_size: 1
    .uses_dynamic_stack: false
    .vgpr_count:     24
    .vgpr_spill_count: 0
    .wavefront_size: 64
  - .agpr_count:     0
    .args:
      - .offset:         0
        .size:           4
        .value_kind:     by_value
      - .offset:         8
        .size:           40
        .value_kind:     by_value
    .group_segment_fixed_size: 0
    .kernarg_segment_align: 8
    .kernarg_segment_size: 48
    .language:       OpenCL C
    .language_version:
      - 2
      - 0
    .max_flat_workgroup_size: 128
    .name:           _ZN2at6native32elementwise_kernel_manual_unrollILi128ELi4EZNS0_15gpu_kernel_implIZZZNS0_21clamp_max_kernel_cudaERNS_18TensorIteratorBaseERKN3c106ScalarEENKUlvE_clEvENKUlvE2_clEvEUllE_EEvS4_RKT_EUlibE_EEviT1_
    .private_segment_fixed_size: 0
    .sgpr_count:     54
    .sgpr_spill_count: 0
    .symbol:         _ZN2at6native32elementwise_kernel_manual_unrollILi128ELi4EZNS0_15gpu_kernel_implIZZZNS0_21clamp_max_kernel_cudaERNS_18TensorIteratorBaseERKN3c106ScalarEENKUlvE_clEvENKUlvE2_clEvEUllE_EEvS4_RKT_EUlibE_EEviT1_.kd
    .uniform_work_group_size: 1
    .uses_dynamic_stack: false
    .vgpr_count:     16
    .vgpr_spill_count: 0
    .wavefront_size: 64
  - .agpr_count:     0
    .args:
      - .offset:         0
        .size:           4
        .value_kind:     by_value
      - .offset:         8
        .size:           360
        .value_kind:     by_value
    .group_segment_fixed_size: 0
    .kernarg_segment_align: 8
    .kernarg_segment_size: 368
    .language:       OpenCL C
    .language_version:
      - 2
      - 0
    .max_flat_workgroup_size: 128
    .name:           _ZN2at6native32elementwise_kernel_manual_unrollILi128ELi4EZNS0_15gpu_kernel_implIZZZNS0_21clamp_max_kernel_cudaERNS_18TensorIteratorBaseERKN3c106ScalarEENKUlvE_clEvENKUlvE2_clEvEUllE_EEvS4_RKT_EUlibE0_EEviT1_
    .private_segment_fixed_size: 0
    .sgpr_count:     86
    .sgpr_spill_count: 0
    .symbol:         _ZN2at6native32elementwise_kernel_manual_unrollILi128ELi4EZNS0_15gpu_kernel_implIZZZNS0_21clamp_max_kernel_cudaERNS_18TensorIteratorBaseERKN3c106ScalarEENKUlvE_clEvENKUlvE2_clEvEUllE_EEvS4_RKT_EUlibE0_EEviT1_.kd
    .uniform_work_group_size: 1
    .uses_dynamic_stack: false
    .vgpr_count:     22
    .vgpr_spill_count: 0
    .wavefront_size: 64
  - .agpr_count:     0
    .args:
      - .offset:         0
        .size:           4
        .value_kind:     by_value
      - .offset:         4
        .size:           2
        .value_kind:     by_value
      - .offset:         8
        .size:           16
        .value_kind:     by_value
    .group_segment_fixed_size: 0
    .kernarg_segment_align: 8
    .kernarg_segment_size: 24
    .language:       OpenCL C
    .language_version:
      - 2
      - 0
    .max_flat_workgroup_size: 256
    .name:           _ZN2at6native29vectorized_elementwise_kernelILi16EZZZNS0_21clamp_max_kernel_cudaERNS_18TensorIteratorBaseERKN3c106ScalarEENKUlvE_clEvENKUlvE3_clEvEUlsE_St5arrayIPcLm2EEEEviT0_T1_
    .private_segment_fixed_size: 0
    .sgpr_count:     18
    .sgpr_spill_count: 0
    .symbol:         _ZN2at6native29vectorized_elementwise_kernelILi16EZZZNS0_21clamp_max_kernel_cudaERNS_18TensorIteratorBaseERKN3c106ScalarEENKUlvE_clEvENKUlvE3_clEvEUlsE_St5arrayIPcLm2EEEEviT0_T1_.kd
    .uniform_work_group_size: 1
    .uses_dynamic_stack: false
    .vgpr_count:     14
    .vgpr_spill_count: 0
    .wavefront_size: 64
  - .agpr_count:     0
    .args:
      - .offset:         0
        .size:           4
        .value_kind:     by_value
      - .offset:         4
        .size:           2
        .value_kind:     by_value
      - .offset:         8
        .size:           16
        .value_kind:     by_value
    .group_segment_fixed_size: 0
    .kernarg_segment_align: 8
    .kernarg_segment_size: 24
    .language:       OpenCL C
    .language_version:
      - 2
      - 0
    .max_flat_workgroup_size: 256
    .name:           _ZN2at6native29vectorized_elementwise_kernelILi8EZZZNS0_21clamp_max_kernel_cudaERNS_18TensorIteratorBaseERKN3c106ScalarEENKUlvE_clEvENKUlvE3_clEvEUlsE_St5arrayIPcLm2EEEEviT0_T1_
    .private_segment_fixed_size: 0
    .sgpr_count:     18
    .sgpr_spill_count: 0
    .symbol:         _ZN2at6native29vectorized_elementwise_kernelILi8EZZZNS0_21clamp_max_kernel_cudaERNS_18TensorIteratorBaseERKN3c106ScalarEENKUlvE_clEvENKUlvE3_clEvEUlsE_St5arrayIPcLm2EEEEviT0_T1_.kd
    .uniform_work_group_size: 1
    .uses_dynamic_stack: false
    .vgpr_count:     14
    .vgpr_spill_count: 0
    .wavefront_size: 64
  - .agpr_count:     0
    .args:
      - .offset:         0
        .size:           4
        .value_kind:     by_value
      - .offset:         4
        .size:           2
        .value_kind:     by_value
      - .offset:         8
        .size:           16
        .value_kind:     by_value
    .group_segment_fixed_size: 0
    .kernarg_segment_align: 8
    .kernarg_segment_size: 24
    .language:       OpenCL C
    .language_version:
      - 2
      - 0
    .max_flat_workgroup_size: 256
    .name:           _ZN2at6native29vectorized_elementwise_kernelILi4EZZZNS0_21clamp_max_kernel_cudaERNS_18TensorIteratorBaseERKN3c106ScalarEENKUlvE_clEvENKUlvE3_clEvEUlsE_St5arrayIPcLm2EEEEviT0_T1_
    .private_segment_fixed_size: 0
    .sgpr_count:     18
    .sgpr_spill_count: 0
    .symbol:         _ZN2at6native29vectorized_elementwise_kernelILi4EZZZNS0_21clamp_max_kernel_cudaERNS_18TensorIteratorBaseERKN3c106ScalarEENKUlvE_clEvENKUlvE3_clEvEUlsE_St5arrayIPcLm2EEEEviT0_T1_.kd
    .uniform_work_group_size: 1
    .uses_dynamic_stack: false
    .vgpr_count:     14
    .vgpr_spill_count: 0
    .wavefront_size: 64
  - .agpr_count:     0
    .args:
      - .offset:         0
        .size:           4
        .value_kind:     by_value
      - .offset:         4
        .size:           2
        .value_kind:     by_value
      - .offset:         8
        .size:           16
        .value_kind:     by_value
    .group_segment_fixed_size: 0
    .kernarg_segment_align: 8
    .kernarg_segment_size: 24
    .language:       OpenCL C
    .language_version:
      - 2
      - 0
    .max_flat_workgroup_size: 256
    .name:           _ZN2at6native29vectorized_elementwise_kernelILi2EZZZNS0_21clamp_max_kernel_cudaERNS_18TensorIteratorBaseERKN3c106ScalarEENKUlvE_clEvENKUlvE3_clEvEUlsE_St5arrayIPcLm2EEEEviT0_T1_
    .private_segment_fixed_size: 0
    .sgpr_count:     18
    .sgpr_spill_count: 0
    .symbol:         _ZN2at6native29vectorized_elementwise_kernelILi2EZZZNS0_21clamp_max_kernel_cudaERNS_18TensorIteratorBaseERKN3c106ScalarEENKUlvE_clEvENKUlvE3_clEvEUlsE_St5arrayIPcLm2EEEEviT0_T1_.kd
    .uniform_work_group_size: 1
    .uses_dynamic_stack: false
    .vgpr_count:     14
    .vgpr_spill_count: 0
    .wavefront_size: 64
  - .agpr_count:     0
    .args:
      - .offset:         0
        .size:           4
        .value_kind:     by_value
      - .offset:         4
        .size:           2
        .value_kind:     by_value
      - .offset:         8
        .size:           16
        .value_kind:     by_value
      - .offset:         24
        .size:           1
        .value_kind:     by_value
      - .offset:         25
        .size:           1
        .value_kind:     by_value
      - .offset:         26
        .size:           1
        .value_kind:     by_value
      - .offset:         27
        .size:           1
        .value_kind:     by_value
    .group_segment_fixed_size: 0
    .kernarg_segment_align: 8
    .kernarg_segment_size: 28
    .language:       OpenCL C
    .language_version:
      - 2
      - 0
    .max_flat_workgroup_size: 256
    .name:           _ZN2at6native27unrolled_elementwise_kernelIZZZNS0_21clamp_max_kernel_cudaERNS_18TensorIteratorBaseERKN3c106ScalarEENKUlvE_clEvENKUlvE3_clEvEUlsE_St5arrayIPcLm2EELi4E23TrivialOffsetCalculatorILi1EjESF_NS0_6memory15LoadWithoutCastENSG_16StoreWithoutCastEEEviT_T0_T2_T3_T4_T5_
    .private_segment_fixed_size: 0
    .sgpr_count:     17
    .sgpr_spill_count: 0
    .symbol:         _ZN2at6native27unrolled_elementwise_kernelIZZZNS0_21clamp_max_kernel_cudaERNS_18TensorIteratorBaseERKN3c106ScalarEENKUlvE_clEvENKUlvE3_clEvEUlsE_St5arrayIPcLm2EELi4E23TrivialOffsetCalculatorILi1EjESF_NS0_6memory15LoadWithoutCastENSG_16StoreWithoutCastEEEviT_T0_T2_T3_T4_T5_.kd
    .uniform_work_group_size: 1
    .uses_dynamic_stack: false
    .vgpr_count:     8
    .vgpr_spill_count: 0
    .wavefront_size: 64
  - .agpr_count:     0
    .args:
      - .offset:         0
        .size:           4
        .value_kind:     by_value
      - .offset:         8
        .size:           352
        .value_kind:     by_value
    .group_segment_fixed_size: 0
    .kernarg_segment_align: 8
    .kernarg_segment_size: 360
    .language:       OpenCL C
    .language_version:
      - 2
      - 0
    .max_flat_workgroup_size: 128
    .name:           _ZN2at6native32elementwise_kernel_manual_unrollILi128ELi8EZNS0_22gpu_kernel_impl_nocastIZZZNS0_21clamp_max_kernel_cudaERNS_18TensorIteratorBaseERKN3c106ScalarEENKUlvE_clEvENKUlvE3_clEvEUlsE_EEvS4_RKT_EUlibE_EEviT1_
    .private_segment_fixed_size: 0
    .sgpr_count:     67
    .sgpr_spill_count: 0
    .symbol:         _ZN2at6native32elementwise_kernel_manual_unrollILi128ELi8EZNS0_22gpu_kernel_impl_nocastIZZZNS0_21clamp_max_kernel_cudaERNS_18TensorIteratorBaseERKN3c106ScalarEENKUlvE_clEvENKUlvE3_clEvEUlsE_EEvS4_RKT_EUlibE_EEviT1_.kd
    .uniform_work_group_size: 1
    .uses_dynamic_stack: false
    .vgpr_count:     33
    .vgpr_spill_count: 0
    .wavefront_size: 64
  - .agpr_count:     0
    .args:
      - .offset:         0
        .size:           4
        .value_kind:     by_value
      - .offset:         8
        .size:           32
        .value_kind:     by_value
    .group_segment_fixed_size: 0
    .kernarg_segment_align: 8
    .kernarg_segment_size: 40
    .language:       OpenCL C
    .language_version:
      - 2
      - 0
    .max_flat_workgroup_size: 128
    .name:           _ZN2at6native32elementwise_kernel_manual_unrollILi128ELi4EZNS0_15gpu_kernel_implIZZZNS0_21clamp_max_kernel_cudaERNS_18TensorIteratorBaseERKN3c106ScalarEENKUlvE_clEvENKUlvE3_clEvEUlsE_EEvS4_RKT_EUlibE_EEviT1_
    .private_segment_fixed_size: 0
    .sgpr_count:     52
    .sgpr_spill_count: 0
    .symbol:         _ZN2at6native32elementwise_kernel_manual_unrollILi128ELi4EZNS0_15gpu_kernel_implIZZZNS0_21clamp_max_kernel_cudaERNS_18TensorIteratorBaseERKN3c106ScalarEENKUlvE_clEvENKUlvE3_clEvEUlsE_EEvS4_RKT_EUlibE_EEviT1_.kd
    .uniform_work_group_size: 1
    .uses_dynamic_stack: false
    .vgpr_count:     14
    .vgpr_spill_count: 0
    .wavefront_size: 64
  - .agpr_count:     0
    .args:
      - .offset:         0
        .size:           4
        .value_kind:     by_value
      - .offset:         8
        .size:           352
        .value_kind:     by_value
    .group_segment_fixed_size: 0
    .kernarg_segment_align: 8
    .kernarg_segment_size: 360
    .language:       OpenCL C
    .language_version:
      - 2
      - 0
    .max_flat_workgroup_size: 128
    .name:           _ZN2at6native32elementwise_kernel_manual_unrollILi128ELi4EZNS0_15gpu_kernel_implIZZZNS0_21clamp_max_kernel_cudaERNS_18TensorIteratorBaseERKN3c106ScalarEENKUlvE_clEvENKUlvE3_clEvEUlsE_EEvS4_RKT_EUlibE0_EEviT1_
    .private_segment_fixed_size: 0
    .sgpr_count:     85
    .sgpr_spill_count: 0
    .symbol:         _ZN2at6native32elementwise_kernel_manual_unrollILi128ELi4EZNS0_15gpu_kernel_implIZZZNS0_21clamp_max_kernel_cudaERNS_18TensorIteratorBaseERKN3c106ScalarEENKUlvE_clEvENKUlvE3_clEvEUlsE_EEvS4_RKT_EUlibE0_EEviT1_.kd
    .uniform_work_group_size: 1
    .uses_dynamic_stack: false
    .vgpr_count:     18
    .vgpr_spill_count: 0
    .wavefront_size: 64
  - .agpr_count:     0
    .args:
      - .offset:         0
        .size:           4
        .value_kind:     by_value
      - .offset:         8
        .size:           8
        .value_kind:     by_value
      - .offset:         16
        .size:           16
        .value_kind:     by_value
    .group_segment_fixed_size: 0
    .kernarg_segment_align: 8
    .kernarg_segment_size: 32
    .language:       OpenCL C
    .language_version:
      - 2
      - 0
    .max_flat_workgroup_size: 256
    .name:           _ZN2at6native29vectorized_elementwise_kernelILi16EZZZNS0_21clamp_max_kernel_cudaERNS_18TensorIteratorBaseERKN3c106ScalarEENKUlvE_clEvENKUlvE4_clEvEUldE_St5arrayIPcLm2EEEEviT0_T1_
    .private_segment_fixed_size: 0
    .sgpr_count:     17
    .sgpr_spill_count: 0
    .symbol:         _ZN2at6native29vectorized_elementwise_kernelILi16EZZZNS0_21clamp_max_kernel_cudaERNS_18TensorIteratorBaseERKN3c106ScalarEENKUlvE_clEvENKUlvE4_clEvEUldE_St5arrayIPcLm2EEEEviT0_T1_.kd
    .uniform_work_group_size: 1
    .uses_dynamic_stack: false
    .vgpr_count:     20
    .vgpr_spill_count: 0
    .wavefront_size: 64
  - .agpr_count:     0
    .args:
      - .offset:         0
        .size:           4
        .value_kind:     by_value
      - .offset:         8
        .size:           8
        .value_kind:     by_value
      - .offset:         16
        .size:           16
        .value_kind:     by_value
    .group_segment_fixed_size: 0
    .kernarg_segment_align: 8
    .kernarg_segment_size: 32
    .language:       OpenCL C
    .language_version:
      - 2
      - 0
    .max_flat_workgroup_size: 256
    .name:           _ZN2at6native29vectorized_elementwise_kernelILi8EZZZNS0_21clamp_max_kernel_cudaERNS_18TensorIteratorBaseERKN3c106ScalarEENKUlvE_clEvENKUlvE4_clEvEUldE_St5arrayIPcLm2EEEEviT0_T1_
    .private_segment_fixed_size: 0
    .sgpr_count:     17
    .sgpr_spill_count: 0
    .symbol:         _ZN2at6native29vectorized_elementwise_kernelILi8EZZZNS0_21clamp_max_kernel_cudaERNS_18TensorIteratorBaseERKN3c106ScalarEENKUlvE_clEvENKUlvE4_clEvEUldE_St5arrayIPcLm2EEEEviT0_T1_.kd
    .uniform_work_group_size: 1
    .uses_dynamic_stack: false
    .vgpr_count:     20
    .vgpr_spill_count: 0
    .wavefront_size: 64
  - .agpr_count:     0
    .args:
      - .offset:         0
        .size:           4
        .value_kind:     by_value
      - .offset:         8
        .size:           8
        .value_kind:     by_value
      - .offset:         16
        .size:           16
        .value_kind:     by_value
    .group_segment_fixed_size: 0
    .kernarg_segment_align: 8
    .kernarg_segment_size: 32
    .language:       OpenCL C
    .language_version:
      - 2
      - 0
    .max_flat_workgroup_size: 256
    .name:           _ZN2at6native29vectorized_elementwise_kernelILi4EZZZNS0_21clamp_max_kernel_cudaERNS_18TensorIteratorBaseERKN3c106ScalarEENKUlvE_clEvENKUlvE4_clEvEUldE_St5arrayIPcLm2EEEEviT0_T1_
    .private_segment_fixed_size: 0
    .sgpr_count:     17
    .sgpr_spill_count: 0
    .symbol:         _ZN2at6native29vectorized_elementwise_kernelILi4EZZZNS0_21clamp_max_kernel_cudaERNS_18TensorIteratorBaseERKN3c106ScalarEENKUlvE_clEvENKUlvE4_clEvEUldE_St5arrayIPcLm2EEEEviT0_T1_.kd
    .uniform_work_group_size: 1
    .uses_dynamic_stack: false
    .vgpr_count:     20
    .vgpr_spill_count: 0
    .wavefront_size: 64
  - .agpr_count:     0
    .args:
      - .offset:         0
        .size:           4
        .value_kind:     by_value
      - .offset:         8
        .size:           8
        .value_kind:     by_value
      - .offset:         16
        .size:           16
        .value_kind:     by_value
    .group_segment_fixed_size: 0
    .kernarg_segment_align: 8
    .kernarg_segment_size: 32
    .language:       OpenCL C
    .language_version:
      - 2
      - 0
    .max_flat_workgroup_size: 256
    .name:           _ZN2at6native29vectorized_elementwise_kernelILi2EZZZNS0_21clamp_max_kernel_cudaERNS_18TensorIteratorBaseERKN3c106ScalarEENKUlvE_clEvENKUlvE4_clEvEUldE_St5arrayIPcLm2EEEEviT0_T1_
    .private_segment_fixed_size: 0
    .sgpr_count:     17
    .sgpr_spill_count: 0
    .symbol:         _ZN2at6native29vectorized_elementwise_kernelILi2EZZZNS0_21clamp_max_kernel_cudaERNS_18TensorIteratorBaseERKN3c106ScalarEENKUlvE_clEvENKUlvE4_clEvEUldE_St5arrayIPcLm2EEEEviT0_T1_.kd
    .uniform_work_group_size: 1
    .uses_dynamic_stack: false
    .vgpr_count:     20
    .vgpr_spill_count: 0
    .wavefront_size: 64
  - .agpr_count:     0
    .args:
      - .offset:         0
        .size:           4
        .value_kind:     by_value
      - .offset:         8
        .size:           8
        .value_kind:     by_value
      - .offset:         16
        .size:           16
        .value_kind:     by_value
      - .offset:         32
        .size:           1
        .value_kind:     by_value
      - .offset:         33
        .size:           1
        .value_kind:     by_value
      - .offset:         34
        .size:           1
        .value_kind:     by_value
      - .offset:         35
        .size:           1
        .value_kind:     by_value
    .group_segment_fixed_size: 0
    .kernarg_segment_align: 8
    .kernarg_segment_size: 36
    .language:       OpenCL C
    .language_version:
      - 2
      - 0
    .max_flat_workgroup_size: 256
    .name:           _ZN2at6native27unrolled_elementwise_kernelIZZZNS0_21clamp_max_kernel_cudaERNS_18TensorIteratorBaseERKN3c106ScalarEENKUlvE_clEvENKUlvE4_clEvEUldE_St5arrayIPcLm2EELi4E23TrivialOffsetCalculatorILi1EjESF_NS0_6memory15LoadWithoutCastENSG_16StoreWithoutCastEEEviT_T0_T2_T3_T4_T5_
    .private_segment_fixed_size: 0
    .sgpr_count:     18
    .sgpr_spill_count: 0
    .symbol:         _ZN2at6native27unrolled_elementwise_kernelIZZZNS0_21clamp_max_kernel_cudaERNS_18TensorIteratorBaseERKN3c106ScalarEENKUlvE_clEvENKUlvE4_clEvEUldE_St5arrayIPcLm2EELi4E23TrivialOffsetCalculatorILi1EjESF_NS0_6memory15LoadWithoutCastENSG_16StoreWithoutCastEEEviT_T0_T2_T3_T4_T5_.kd
    .uniform_work_group_size: 1
    .uses_dynamic_stack: false
    .vgpr_count:     18
    .vgpr_spill_count: 0
    .wavefront_size: 64
  - .agpr_count:     0
    .args:
      - .offset:         0
        .size:           4
        .value_kind:     by_value
      - .offset:         8
        .size:           352
        .value_kind:     by_value
    .group_segment_fixed_size: 0
    .kernarg_segment_align: 8
    .kernarg_segment_size: 360
    .language:       OpenCL C
    .language_version:
      - 2
      - 0
    .max_flat_workgroup_size: 128
    .name:           _ZN2at6native32elementwise_kernel_manual_unrollILi128ELi4EZNS0_22gpu_kernel_impl_nocastIZZZNS0_21clamp_max_kernel_cudaERNS_18TensorIteratorBaseERKN3c106ScalarEENKUlvE_clEvENKUlvE4_clEvEUldE_EEvS4_RKT_EUlibE_EEviT1_
    .private_segment_fixed_size: 0
    .sgpr_count:     68
    .sgpr_spill_count: 0
    .symbol:         _ZN2at6native32elementwise_kernel_manual_unrollILi128ELi4EZNS0_22gpu_kernel_impl_nocastIZZZNS0_21clamp_max_kernel_cudaERNS_18TensorIteratorBaseERKN3c106ScalarEENKUlvE_clEvENKUlvE4_clEvEUldE_EEvS4_RKT_EUlibE_EEviT1_.kd
    .uniform_work_group_size: 1
    .uses_dynamic_stack: false
    .vgpr_count:     26
    .vgpr_spill_count: 0
    .wavefront_size: 64
  - .agpr_count:     0
    .args:
      - .offset:         0
        .size:           4
        .value_kind:     by_value
      - .offset:         8
        .size:           40
        .value_kind:     by_value
    .group_segment_fixed_size: 0
    .kernarg_segment_align: 8
    .kernarg_segment_size: 48
    .language:       OpenCL C
    .language_version:
      - 2
      - 0
    .max_flat_workgroup_size: 128
    .name:           _ZN2at6native32elementwise_kernel_manual_unrollILi128ELi4EZNS0_15gpu_kernel_implIZZZNS0_21clamp_max_kernel_cudaERNS_18TensorIteratorBaseERKN3c106ScalarEENKUlvE_clEvENKUlvE4_clEvEUldE_EEvS4_RKT_EUlibE_EEviT1_
    .private_segment_fixed_size: 0
    .sgpr_count:     52
    .sgpr_spill_count: 0
    .symbol:         _ZN2at6native32elementwise_kernel_manual_unrollILi128ELi4EZNS0_15gpu_kernel_implIZZZNS0_21clamp_max_kernel_cudaERNS_18TensorIteratorBaseERKN3c106ScalarEENKUlvE_clEvENKUlvE4_clEvEUldE_EEvS4_RKT_EUlibE_EEviT1_.kd
    .uniform_work_group_size: 1
    .uses_dynamic_stack: false
    .vgpr_count:     20
    .vgpr_spill_count: 0
    .wavefront_size: 64
  - .agpr_count:     0
    .args:
      - .offset:         0
        .size:           4
        .value_kind:     by_value
      - .offset:         8
        .size:           360
        .value_kind:     by_value
    .group_segment_fixed_size: 0
    .kernarg_segment_align: 8
    .kernarg_segment_size: 368
    .language:       OpenCL C
    .language_version:
      - 2
      - 0
    .max_flat_workgroup_size: 128
    .name:           _ZN2at6native32elementwise_kernel_manual_unrollILi128ELi4EZNS0_15gpu_kernel_implIZZZNS0_21clamp_max_kernel_cudaERNS_18TensorIteratorBaseERKN3c106ScalarEENKUlvE_clEvENKUlvE4_clEvEUldE_EEvS4_RKT_EUlibE0_EEviT1_
    .private_segment_fixed_size: 0
    .sgpr_count:     86
    .sgpr_spill_count: 0
    .symbol:         _ZN2at6native32elementwise_kernel_manual_unrollILi128ELi4EZNS0_15gpu_kernel_implIZZZNS0_21clamp_max_kernel_cudaERNS_18TensorIteratorBaseERKN3c106ScalarEENKUlvE_clEvENKUlvE4_clEvEUldE_EEvS4_RKT_EUlibE0_EEviT1_.kd
    .uniform_work_group_size: 1
    .uses_dynamic_stack: false
    .vgpr_count:     24
    .vgpr_spill_count: 0
    .wavefront_size: 64
  - .agpr_count:     0
    .args:
      - .offset:         0
        .size:           4
        .value_kind:     by_value
      - .offset:         4
        .size:           4
        .value_kind:     by_value
      - .offset:         8
        .size:           16
        .value_kind:     by_value
    .group_segment_fixed_size: 0
    .kernarg_segment_align: 8
    .kernarg_segment_size: 24
    .language:       OpenCL C
    .language_version:
      - 2
      - 0
    .max_flat_workgroup_size: 256
    .name:           _ZN2at6native29vectorized_elementwise_kernelILi16EZZZNS0_21clamp_max_kernel_cudaERNS_18TensorIteratorBaseERKN3c106ScalarEENKUlvE_clEvENKUlvE5_clEvEUlfE_St5arrayIPcLm2EEEEviT0_T1_
    .private_segment_fixed_size: 0
    .sgpr_count:     17
    .sgpr_spill_count: 0
    .symbol:         _ZN2at6native29vectorized_elementwise_kernelILi16EZZZNS0_21clamp_max_kernel_cudaERNS_18TensorIteratorBaseERKN3c106ScalarEENKUlvE_clEvENKUlvE5_clEvEUlfE_St5arrayIPcLm2EEEEviT0_T1_.kd
    .uniform_work_group_size: 1
    .uses_dynamic_stack: false
    .vgpr_count:     11
    .vgpr_spill_count: 0
    .wavefront_size: 64
  - .agpr_count:     0
    .args:
      - .offset:         0
        .size:           4
        .value_kind:     by_value
      - .offset:         4
        .size:           4
        .value_kind:     by_value
      - .offset:         8
        .size:           16
        .value_kind:     by_value
    .group_segment_fixed_size: 0
    .kernarg_segment_align: 8
    .kernarg_segment_size: 24
    .language:       OpenCL C
    .language_version:
      - 2
      - 0
    .max_flat_workgroup_size: 256
    .name:           _ZN2at6native29vectorized_elementwise_kernelILi8EZZZNS0_21clamp_max_kernel_cudaERNS_18TensorIteratorBaseERKN3c106ScalarEENKUlvE_clEvENKUlvE5_clEvEUlfE_St5arrayIPcLm2EEEEviT0_T1_
    .private_segment_fixed_size: 0
    .sgpr_count:     17
    .sgpr_spill_count: 0
    .symbol:         _ZN2at6native29vectorized_elementwise_kernelILi8EZZZNS0_21clamp_max_kernel_cudaERNS_18TensorIteratorBaseERKN3c106ScalarEENKUlvE_clEvENKUlvE5_clEvEUlfE_St5arrayIPcLm2EEEEviT0_T1_.kd
    .uniform_work_group_size: 1
    .uses_dynamic_stack: false
    .vgpr_count:     11
    .vgpr_spill_count: 0
    .wavefront_size: 64
  - .agpr_count:     0
    .args:
      - .offset:         0
        .size:           4
        .value_kind:     by_value
      - .offset:         4
        .size:           4
        .value_kind:     by_value
      - .offset:         8
        .size:           16
        .value_kind:     by_value
    .group_segment_fixed_size: 0
    .kernarg_segment_align: 8
    .kernarg_segment_size: 24
    .language:       OpenCL C
    .language_version:
      - 2
      - 0
    .max_flat_workgroup_size: 256
    .name:           _ZN2at6native29vectorized_elementwise_kernelILi4EZZZNS0_21clamp_max_kernel_cudaERNS_18TensorIteratorBaseERKN3c106ScalarEENKUlvE_clEvENKUlvE5_clEvEUlfE_St5arrayIPcLm2EEEEviT0_T1_
    .private_segment_fixed_size: 0
    .sgpr_count:     17
    .sgpr_spill_count: 0
    .symbol:         _ZN2at6native29vectorized_elementwise_kernelILi4EZZZNS0_21clamp_max_kernel_cudaERNS_18TensorIteratorBaseERKN3c106ScalarEENKUlvE_clEvENKUlvE5_clEvEUlfE_St5arrayIPcLm2EEEEviT0_T1_.kd
    .uniform_work_group_size: 1
    .uses_dynamic_stack: false
    .vgpr_count:     11
    .vgpr_spill_count: 0
    .wavefront_size: 64
  - .agpr_count:     0
    .args:
      - .offset:         0
        .size:           4
        .value_kind:     by_value
      - .offset:         4
        .size:           4
        .value_kind:     by_value
      - .offset:         8
        .size:           16
        .value_kind:     by_value
    .group_segment_fixed_size: 0
    .kernarg_segment_align: 8
    .kernarg_segment_size: 24
    .language:       OpenCL C
    .language_version:
      - 2
      - 0
    .max_flat_workgroup_size: 256
    .name:           _ZN2at6native29vectorized_elementwise_kernelILi2EZZZNS0_21clamp_max_kernel_cudaERNS_18TensorIteratorBaseERKN3c106ScalarEENKUlvE_clEvENKUlvE5_clEvEUlfE_St5arrayIPcLm2EEEEviT0_T1_
    .private_segment_fixed_size: 0
    .sgpr_count:     17
    .sgpr_spill_count: 0
    .symbol:         _ZN2at6native29vectorized_elementwise_kernelILi2EZZZNS0_21clamp_max_kernel_cudaERNS_18TensorIteratorBaseERKN3c106ScalarEENKUlvE_clEvENKUlvE5_clEvEUlfE_St5arrayIPcLm2EEEEviT0_T1_.kd
    .uniform_work_group_size: 1
    .uses_dynamic_stack: false
    .vgpr_count:     11
    .vgpr_spill_count: 0
    .wavefront_size: 64
  - .agpr_count:     0
    .args:
      - .offset:         0
        .size:           4
        .value_kind:     by_value
      - .offset:         4
        .size:           4
        .value_kind:     by_value
      - .offset:         8
        .size:           16
        .value_kind:     by_value
      - .offset:         24
        .size:           1
        .value_kind:     by_value
      - .offset:         25
        .size:           1
        .value_kind:     by_value
      - .offset:         26
        .size:           1
        .value_kind:     by_value
      - .offset:         27
        .size:           1
        .value_kind:     by_value
    .group_segment_fixed_size: 0
    .kernarg_segment_align: 8
    .kernarg_segment_size: 28
    .language:       OpenCL C
    .language_version:
      - 2
      - 0
    .max_flat_workgroup_size: 256
    .name:           _ZN2at6native27unrolled_elementwise_kernelIZZZNS0_21clamp_max_kernel_cudaERNS_18TensorIteratorBaseERKN3c106ScalarEENKUlvE_clEvENKUlvE5_clEvEUlfE_St5arrayIPcLm2EELi4E23TrivialOffsetCalculatorILi1EjESF_NS0_6memory15LoadWithoutCastENSG_16StoreWithoutCastEEEviT_T0_T2_T3_T4_T5_
    .private_segment_fixed_size: 0
    .sgpr_count:     17
    .sgpr_spill_count: 0
    .symbol:         _ZN2at6native27unrolled_elementwise_kernelIZZZNS0_21clamp_max_kernel_cudaERNS_18TensorIteratorBaseERKN3c106ScalarEENKUlvE_clEvENKUlvE5_clEvEUlfE_St5arrayIPcLm2EELi4E23TrivialOffsetCalculatorILi1EjESF_NS0_6memory15LoadWithoutCastENSG_16StoreWithoutCastEEEviT_T0_T2_T3_T4_T5_.kd
    .uniform_work_group_size: 1
    .uses_dynamic_stack: false
    .vgpr_count:     11
    .vgpr_spill_count: 0
    .wavefront_size: 64
  - .agpr_count:     0
    .args:
      - .offset:         0
        .size:           4
        .value_kind:     by_value
      - .offset:         8
        .size:           352
        .value_kind:     by_value
    .group_segment_fixed_size: 0
    .kernarg_segment_align: 8
    .kernarg_segment_size: 360
    .language:       OpenCL C
    .language_version:
      - 2
      - 0
    .max_flat_workgroup_size: 128
    .name:           _ZN2at6native32elementwise_kernel_manual_unrollILi128ELi4EZNS0_22gpu_kernel_impl_nocastIZZZNS0_21clamp_max_kernel_cudaERNS_18TensorIteratorBaseERKN3c106ScalarEENKUlvE_clEvENKUlvE5_clEvEUlfE_EEvS4_RKT_EUlibE_EEviT1_
    .private_segment_fixed_size: 0
    .sgpr_count:     67
    .sgpr_spill_count: 0
    .symbol:         _ZN2at6native32elementwise_kernel_manual_unrollILi128ELi4EZNS0_22gpu_kernel_impl_nocastIZZZNS0_21clamp_max_kernel_cudaERNS_18TensorIteratorBaseERKN3c106ScalarEENKUlvE_clEvENKUlvE5_clEvEUlfE_EEvS4_RKT_EUlibE_EEviT1_.kd
    .uniform_work_group_size: 1
    .uses_dynamic_stack: false
    .vgpr_count:     17
    .vgpr_spill_count: 0
    .wavefront_size: 64
  - .agpr_count:     0
    .args:
      - .offset:         0
        .size:           4
        .value_kind:     by_value
      - .offset:         8
        .size:           32
        .value_kind:     by_value
    .group_segment_fixed_size: 0
    .kernarg_segment_align: 8
    .kernarg_segment_size: 40
    .language:       OpenCL C
    .language_version:
      - 2
      - 0
    .max_flat_workgroup_size: 128
    .name:           _ZN2at6native32elementwise_kernel_manual_unrollILi128ELi4EZNS0_15gpu_kernel_implIZZZNS0_21clamp_max_kernel_cudaERNS_18TensorIteratorBaseERKN3c106ScalarEENKUlvE_clEvENKUlvE5_clEvEUlfE_EEvS4_RKT_EUlibE_EEviT1_
    .private_segment_fixed_size: 0
    .sgpr_count:     51
    .sgpr_spill_count: 0
    .symbol:         _ZN2at6native32elementwise_kernel_manual_unrollILi128ELi4EZNS0_15gpu_kernel_implIZZZNS0_21clamp_max_kernel_cudaERNS_18TensorIteratorBaseERKN3c106ScalarEENKUlvE_clEvENKUlvE5_clEvEUlfE_EEvS4_RKT_EUlibE_EEviT1_.kd
    .uniform_work_group_size: 1
    .uses_dynamic_stack: false
    .vgpr_count:     14
    .vgpr_spill_count: 0
    .wavefront_size: 64
  - .agpr_count:     0
    .args:
      - .offset:         0
        .size:           4
        .value_kind:     by_value
      - .offset:         8
        .size:           352
        .value_kind:     by_value
    .group_segment_fixed_size: 0
    .kernarg_segment_align: 8
    .kernarg_segment_size: 360
    .language:       OpenCL C
    .language_version:
      - 2
      - 0
    .max_flat_workgroup_size: 128
    .name:           _ZN2at6native32elementwise_kernel_manual_unrollILi128ELi4EZNS0_15gpu_kernel_implIZZZNS0_21clamp_max_kernel_cudaERNS_18TensorIteratorBaseERKN3c106ScalarEENKUlvE_clEvENKUlvE5_clEvEUlfE_EEvS4_RKT_EUlibE0_EEviT1_
    .private_segment_fixed_size: 0
    .sgpr_count:     85
    .sgpr_spill_count: 0
    .symbol:         _ZN2at6native32elementwise_kernel_manual_unrollILi128ELi4EZNS0_15gpu_kernel_implIZZZNS0_21clamp_max_kernel_cudaERNS_18TensorIteratorBaseERKN3c106ScalarEENKUlvE_clEvENKUlvE5_clEvEUlfE_EEvS4_RKT_EUlibE0_EEviT1_.kd
    .uniform_work_group_size: 1
    .uses_dynamic_stack: false
    .vgpr_count:     18
    .vgpr_spill_count: 0
    .wavefront_size: 64
  - .agpr_count:     0
    .args:
      - .offset:         0
        .size:           4
        .value_kind:     by_value
      - .offset:         4
        .size:           2
        .value_kind:     by_value
      - .offset:         8
        .size:           16
        .value_kind:     by_value
    .group_segment_fixed_size: 0
    .kernarg_segment_align: 8
    .kernarg_segment_size: 24
    .language:       OpenCL C
    .language_version:
      - 2
      - 0
    .max_flat_workgroup_size: 256
    .name:           _ZN2at6native29vectorized_elementwise_kernelILi16EZZZNS0_21clamp_max_kernel_cudaERNS_18TensorIteratorBaseERKN3c106ScalarEENKUlvE_clEvENKUlvE6_clEvEUlNS4_4HalfEE_St5arrayIPcLm2EEEEviT0_T1_
    .private_segment_fixed_size: 0
    .sgpr_count:     30
    .sgpr_spill_count: 0
    .symbol:         _ZN2at6native29vectorized_elementwise_kernelILi16EZZZNS0_21clamp_max_kernel_cudaERNS_18TensorIteratorBaseERKN3c106ScalarEENKUlvE_clEvENKUlvE6_clEvEUlNS4_4HalfEE_St5arrayIPcLm2EEEEviT0_T1_.kd
    .uniform_work_group_size: 1
    .uses_dynamic_stack: false
    .vgpr_count:     14
    .vgpr_spill_count: 0
    .wavefront_size: 64
  - .agpr_count:     0
    .args:
      - .offset:         0
        .size:           4
        .value_kind:     by_value
      - .offset:         4
        .size:           2
        .value_kind:     by_value
      - .offset:         8
        .size:           16
        .value_kind:     by_value
    .group_segment_fixed_size: 0
    .kernarg_segment_align: 8
    .kernarg_segment_size: 24
    .language:       OpenCL C
    .language_version:
      - 2
      - 0
    .max_flat_workgroup_size: 256
    .name:           _ZN2at6native29vectorized_elementwise_kernelILi8EZZZNS0_21clamp_max_kernel_cudaERNS_18TensorIteratorBaseERKN3c106ScalarEENKUlvE_clEvENKUlvE6_clEvEUlNS4_4HalfEE_St5arrayIPcLm2EEEEviT0_T1_
    .private_segment_fixed_size: 0
    .sgpr_count:     30
    .sgpr_spill_count: 0
    .symbol:         _ZN2at6native29vectorized_elementwise_kernelILi8EZZZNS0_21clamp_max_kernel_cudaERNS_18TensorIteratorBaseERKN3c106ScalarEENKUlvE_clEvENKUlvE6_clEvEUlNS4_4HalfEE_St5arrayIPcLm2EEEEviT0_T1_.kd
    .uniform_work_group_size: 1
    .uses_dynamic_stack: false
    .vgpr_count:     14
    .vgpr_spill_count: 0
    .wavefront_size: 64
  - .agpr_count:     0
    .args:
      - .offset:         0
        .size:           4
        .value_kind:     by_value
      - .offset:         4
        .size:           2
        .value_kind:     by_value
      - .offset:         8
        .size:           16
        .value_kind:     by_value
    .group_segment_fixed_size: 0
    .kernarg_segment_align: 8
    .kernarg_segment_size: 24
    .language:       OpenCL C
    .language_version:
      - 2
      - 0
    .max_flat_workgroup_size: 256
    .name:           _ZN2at6native29vectorized_elementwise_kernelILi4EZZZNS0_21clamp_max_kernel_cudaERNS_18TensorIteratorBaseERKN3c106ScalarEENKUlvE_clEvENKUlvE6_clEvEUlNS4_4HalfEE_St5arrayIPcLm2EEEEviT0_T1_
    .private_segment_fixed_size: 0
    .sgpr_count:     30
    .sgpr_spill_count: 0
    .symbol:         _ZN2at6native29vectorized_elementwise_kernelILi4EZZZNS0_21clamp_max_kernel_cudaERNS_18TensorIteratorBaseERKN3c106ScalarEENKUlvE_clEvENKUlvE6_clEvEUlNS4_4HalfEE_St5arrayIPcLm2EEEEviT0_T1_.kd
    .uniform_work_group_size: 1
    .uses_dynamic_stack: false
    .vgpr_count:     14
    .vgpr_spill_count: 0
    .wavefront_size: 64
  - .agpr_count:     0
    .args:
      - .offset:         0
        .size:           4
        .value_kind:     by_value
      - .offset:         4
        .size:           2
        .value_kind:     by_value
      - .offset:         8
        .size:           16
        .value_kind:     by_value
    .group_segment_fixed_size: 0
    .kernarg_segment_align: 8
    .kernarg_segment_size: 24
    .language:       OpenCL C
    .language_version:
      - 2
      - 0
    .max_flat_workgroup_size: 256
    .name:           _ZN2at6native29vectorized_elementwise_kernelILi2EZZZNS0_21clamp_max_kernel_cudaERNS_18TensorIteratorBaseERKN3c106ScalarEENKUlvE_clEvENKUlvE6_clEvEUlNS4_4HalfEE_St5arrayIPcLm2EEEEviT0_T1_
    .private_segment_fixed_size: 0
    .sgpr_count:     30
    .sgpr_spill_count: 0
    .symbol:         _ZN2at6native29vectorized_elementwise_kernelILi2EZZZNS0_21clamp_max_kernel_cudaERNS_18TensorIteratorBaseERKN3c106ScalarEENKUlvE_clEvENKUlvE6_clEvEUlNS4_4HalfEE_St5arrayIPcLm2EEEEviT0_T1_.kd
    .uniform_work_group_size: 1
    .uses_dynamic_stack: false
    .vgpr_count:     14
    .vgpr_spill_count: 0
    .wavefront_size: 64
  - .agpr_count:     0
    .args:
      - .offset:         0
        .size:           4
        .value_kind:     by_value
      - .offset:         4
        .size:           2
        .value_kind:     by_value
      - .offset:         8
        .size:           16
        .value_kind:     by_value
      - .offset:         24
        .size:           1
        .value_kind:     by_value
      - .offset:         25
        .size:           1
        .value_kind:     by_value
      - .offset:         26
        .size:           1
        .value_kind:     by_value
      - .offset:         27
        .size:           1
        .value_kind:     by_value
    .group_segment_fixed_size: 0
    .kernarg_segment_align: 8
    .kernarg_segment_size: 28
    .language:       OpenCL C
    .language_version:
      - 2
      - 0
    .max_flat_workgroup_size: 256
    .name:           _ZN2at6native27unrolled_elementwise_kernelIZZZNS0_21clamp_max_kernel_cudaERNS_18TensorIteratorBaseERKN3c106ScalarEENKUlvE_clEvENKUlvE6_clEvEUlNS4_4HalfEE_St5arrayIPcLm2EELi4E23TrivialOffsetCalculatorILi1EjESG_NS0_6memory15LoadWithoutCastENSH_16StoreWithoutCastEEEviT_T0_T2_T3_T4_T5_
    .private_segment_fixed_size: 0
    .sgpr_count:     17
    .sgpr_spill_count: 0
    .symbol:         _ZN2at6native27unrolled_elementwise_kernelIZZZNS0_21clamp_max_kernel_cudaERNS_18TensorIteratorBaseERKN3c106ScalarEENKUlvE_clEvENKUlvE6_clEvEUlNS4_4HalfEE_St5arrayIPcLm2EELi4E23TrivialOffsetCalculatorILi1EjESG_NS0_6memory15LoadWithoutCastENSH_16StoreWithoutCastEEEviT_T0_T2_T3_T4_T5_.kd
    .uniform_work_group_size: 1
    .uses_dynamic_stack: false
    .vgpr_count:     10
    .vgpr_spill_count: 0
    .wavefront_size: 64
  - .agpr_count:     0
    .args:
      - .offset:         0
        .size:           4
        .value_kind:     by_value
      - .offset:         8
        .size:           352
        .value_kind:     by_value
    .group_segment_fixed_size: 0
    .kernarg_segment_align: 8
    .kernarg_segment_size: 360
    .language:       OpenCL C
    .language_version:
      - 2
      - 0
    .max_flat_workgroup_size: 128
    .name:           _ZN2at6native32elementwise_kernel_manual_unrollILi128ELi8EZNS0_22gpu_kernel_impl_nocastIZZZNS0_21clamp_max_kernel_cudaERNS_18TensorIteratorBaseERKN3c106ScalarEENKUlvE_clEvENKUlvE6_clEvEUlNS5_4HalfEE_EEvS4_RKT_EUlibE_EEviT1_
    .private_segment_fixed_size: 0
    .sgpr_count:     67
    .sgpr_spill_count: 0
    .symbol:         _ZN2at6native32elementwise_kernel_manual_unrollILi128ELi8EZNS0_22gpu_kernel_impl_nocastIZZZNS0_21clamp_max_kernel_cudaERNS_18TensorIteratorBaseERKN3c106ScalarEENKUlvE_clEvENKUlvE6_clEvEUlNS5_4HalfEE_EEvS4_RKT_EUlibE_EEviT1_.kd
    .uniform_work_group_size: 1
    .uses_dynamic_stack: false
    .vgpr_count:     33
    .vgpr_spill_count: 0
    .wavefront_size: 64
  - .agpr_count:     0
    .args:
      - .offset:         0
        .size:           4
        .value_kind:     by_value
      - .offset:         8
        .size:           32
        .value_kind:     by_value
    .group_segment_fixed_size: 0
    .kernarg_segment_align: 8
    .kernarg_segment_size: 40
    .language:       OpenCL C
    .language_version:
      - 2
      - 0
    .max_flat_workgroup_size: 128
    .name:           _ZN2at6native32elementwise_kernel_manual_unrollILi128ELi4EZNS0_15gpu_kernel_implIZZZNS0_21clamp_max_kernel_cudaERNS_18TensorIteratorBaseERKN3c106ScalarEENKUlvE_clEvENKUlvE6_clEvEUlNS5_4HalfEE_EEvS4_RKT_EUlibE_EEviT1_
    .private_segment_fixed_size: 0
    .sgpr_count:     51
    .sgpr_spill_count: 0
    .symbol:         _ZN2at6native32elementwise_kernel_manual_unrollILi128ELi4EZNS0_15gpu_kernel_implIZZZNS0_21clamp_max_kernel_cudaERNS_18TensorIteratorBaseERKN3c106ScalarEENKUlvE_clEvENKUlvE6_clEvEUlNS5_4HalfEE_EEvS4_RKT_EUlibE_EEviT1_.kd
    .uniform_work_group_size: 1
    .uses_dynamic_stack: false
    .vgpr_count:     14
    .vgpr_spill_count: 0
    .wavefront_size: 64
  - .agpr_count:     0
    .args:
      - .offset:         0
        .size:           4
        .value_kind:     by_value
      - .offset:         8
        .size:           352
        .value_kind:     by_value
    .group_segment_fixed_size: 0
    .kernarg_segment_align: 8
    .kernarg_segment_size: 360
    .language:       OpenCL C
    .language_version:
      - 2
      - 0
    .max_flat_workgroup_size: 128
    .name:           _ZN2at6native32elementwise_kernel_manual_unrollILi128ELi4EZNS0_15gpu_kernel_implIZZZNS0_21clamp_max_kernel_cudaERNS_18TensorIteratorBaseERKN3c106ScalarEENKUlvE_clEvENKUlvE6_clEvEUlNS5_4HalfEE_EEvS4_RKT_EUlibE0_EEviT1_
    .private_segment_fixed_size: 0
    .sgpr_count:     85
    .sgpr_spill_count: 0
    .symbol:         _ZN2at6native32elementwise_kernel_manual_unrollILi128ELi4EZNS0_15gpu_kernel_implIZZZNS0_21clamp_max_kernel_cudaERNS_18TensorIteratorBaseERKN3c106ScalarEENKUlvE_clEvENKUlvE6_clEvEUlNS5_4HalfEE_EEvS4_RKT_EUlibE0_EEviT1_.kd
    .uniform_work_group_size: 1
    .uses_dynamic_stack: false
    .vgpr_count:     18
    .vgpr_spill_count: 0
    .wavefront_size: 64
  - .agpr_count:     0
    .args:
      - .offset:         0
        .size:           4
        .value_kind:     by_value
      - .offset:         4
        .size:           2
        .value_kind:     by_value
      - .offset:         8
        .size:           16
        .value_kind:     by_value
    .group_segment_fixed_size: 0
    .kernarg_segment_align: 8
    .kernarg_segment_size: 24
    .language:       OpenCL C
    .language_version:
      - 2
      - 0
    .max_flat_workgroup_size: 256
    .name:           _ZN2at6native29vectorized_elementwise_kernelILi16EZZZNS0_21clamp_max_kernel_cudaERNS_18TensorIteratorBaseERKN3c106ScalarEENKUlvE_clEvENKUlvE7_clEvEUlNS4_8BFloat16EE_St5arrayIPcLm2EEEEviT0_T1_
    .private_segment_fixed_size: 0
    .sgpr_count:     48
    .sgpr_spill_count: 0
    .symbol:         _ZN2at6native29vectorized_elementwise_kernelILi16EZZZNS0_21clamp_max_kernel_cudaERNS_18TensorIteratorBaseERKN3c106ScalarEENKUlvE_clEvENKUlvE7_clEvEUlNS4_8BFloat16EE_St5arrayIPcLm2EEEEviT0_T1_.kd
    .uniform_work_group_size: 1
    .uses_dynamic_stack: false
    .vgpr_count:     19
    .vgpr_spill_count: 0
    .wavefront_size: 64
  - .agpr_count:     0
    .args:
      - .offset:         0
        .size:           4
        .value_kind:     by_value
      - .offset:         4
        .size:           2
        .value_kind:     by_value
      - .offset:         8
        .size:           16
        .value_kind:     by_value
    .group_segment_fixed_size: 0
    .kernarg_segment_align: 8
    .kernarg_segment_size: 24
    .language:       OpenCL C
    .language_version:
      - 2
      - 0
    .max_flat_workgroup_size: 256
    .name:           _ZN2at6native29vectorized_elementwise_kernelILi8EZZZNS0_21clamp_max_kernel_cudaERNS_18TensorIteratorBaseERKN3c106ScalarEENKUlvE_clEvENKUlvE7_clEvEUlNS4_8BFloat16EE_St5arrayIPcLm2EEEEviT0_T1_
    .private_segment_fixed_size: 0
    .sgpr_count:     48
    .sgpr_spill_count: 0
    .symbol:         _ZN2at6native29vectorized_elementwise_kernelILi8EZZZNS0_21clamp_max_kernel_cudaERNS_18TensorIteratorBaseERKN3c106ScalarEENKUlvE_clEvENKUlvE7_clEvEUlNS4_8BFloat16EE_St5arrayIPcLm2EEEEviT0_T1_.kd
    .uniform_work_group_size: 1
    .uses_dynamic_stack: false
    .vgpr_count:     19
    .vgpr_spill_count: 0
    .wavefront_size: 64
  - .agpr_count:     0
    .args:
      - .offset:         0
        .size:           4
        .value_kind:     by_value
      - .offset:         4
        .size:           2
        .value_kind:     by_value
      - .offset:         8
        .size:           16
        .value_kind:     by_value
    .group_segment_fixed_size: 0
    .kernarg_segment_align: 8
    .kernarg_segment_size: 24
    .language:       OpenCL C
    .language_version:
      - 2
      - 0
    .max_flat_workgroup_size: 256
    .name:           _ZN2at6native29vectorized_elementwise_kernelILi4EZZZNS0_21clamp_max_kernel_cudaERNS_18TensorIteratorBaseERKN3c106ScalarEENKUlvE_clEvENKUlvE7_clEvEUlNS4_8BFloat16EE_St5arrayIPcLm2EEEEviT0_T1_
    .private_segment_fixed_size: 0
    .sgpr_count:     48
    .sgpr_spill_count: 0
    .symbol:         _ZN2at6native29vectorized_elementwise_kernelILi4EZZZNS0_21clamp_max_kernel_cudaERNS_18TensorIteratorBaseERKN3c106ScalarEENKUlvE_clEvENKUlvE7_clEvEUlNS4_8BFloat16EE_St5arrayIPcLm2EEEEviT0_T1_.kd
    .uniform_work_group_size: 1
    .uses_dynamic_stack: false
    .vgpr_count:     19
    .vgpr_spill_count: 0
    .wavefront_size: 64
  - .agpr_count:     0
    .args:
      - .offset:         0
        .size:           4
        .value_kind:     by_value
      - .offset:         4
        .size:           2
        .value_kind:     by_value
      - .offset:         8
        .size:           16
        .value_kind:     by_value
    .group_segment_fixed_size: 0
    .kernarg_segment_align: 8
    .kernarg_segment_size: 24
    .language:       OpenCL C
    .language_version:
      - 2
      - 0
    .max_flat_workgroup_size: 256
    .name:           _ZN2at6native29vectorized_elementwise_kernelILi2EZZZNS0_21clamp_max_kernel_cudaERNS_18TensorIteratorBaseERKN3c106ScalarEENKUlvE_clEvENKUlvE7_clEvEUlNS4_8BFloat16EE_St5arrayIPcLm2EEEEviT0_T1_
    .private_segment_fixed_size: 0
    .sgpr_count:     48
    .sgpr_spill_count: 0
    .symbol:         _ZN2at6native29vectorized_elementwise_kernelILi2EZZZNS0_21clamp_max_kernel_cudaERNS_18TensorIteratorBaseERKN3c106ScalarEENKUlvE_clEvENKUlvE7_clEvEUlNS4_8BFloat16EE_St5arrayIPcLm2EEEEviT0_T1_.kd
    .uniform_work_group_size: 1
    .uses_dynamic_stack: false
    .vgpr_count:     19
    .vgpr_spill_count: 0
    .wavefront_size: 64
  - .agpr_count:     0
    .args:
      - .offset:         0
        .size:           4
        .value_kind:     by_value
      - .offset:         4
        .size:           2
        .value_kind:     by_value
      - .offset:         8
        .size:           16
        .value_kind:     by_value
      - .offset:         24
        .size:           1
        .value_kind:     by_value
      - .offset:         25
        .size:           1
        .value_kind:     by_value
      - .offset:         26
        .size:           1
        .value_kind:     by_value
      - .offset:         27
        .size:           1
        .value_kind:     by_value
    .group_segment_fixed_size: 0
    .kernarg_segment_align: 8
    .kernarg_segment_size: 28
    .language:       OpenCL C
    .language_version:
      - 2
      - 0
    .max_flat_workgroup_size: 256
    .name:           _ZN2at6native27unrolled_elementwise_kernelIZZZNS0_21clamp_max_kernel_cudaERNS_18TensorIteratorBaseERKN3c106ScalarEENKUlvE_clEvENKUlvE7_clEvEUlNS4_8BFloat16EE_St5arrayIPcLm2EELi4E23TrivialOffsetCalculatorILi1EjESG_NS0_6memory15LoadWithoutCastENSH_16StoreWithoutCastEEEviT_T0_T2_T3_T4_T5_
    .private_segment_fixed_size: 0
    .sgpr_count:     17
    .sgpr_spill_count: 0
    .symbol:         _ZN2at6native27unrolled_elementwise_kernelIZZZNS0_21clamp_max_kernel_cudaERNS_18TensorIteratorBaseERKN3c106ScalarEENKUlvE_clEvENKUlvE7_clEvEUlNS4_8BFloat16EE_St5arrayIPcLm2EELi4E23TrivialOffsetCalculatorILi1EjESG_NS0_6memory15LoadWithoutCastENSH_16StoreWithoutCastEEEviT_T0_T2_T3_T4_T5_.kd
    .uniform_work_group_size: 1
    .uses_dynamic_stack: false
    .vgpr_count:     10
    .vgpr_spill_count: 0
    .wavefront_size: 64
  - .agpr_count:     0
    .args:
      - .offset:         0
        .size:           4
        .value_kind:     by_value
      - .offset:         8
        .size:           352
        .value_kind:     by_value
    .group_segment_fixed_size: 0
    .kernarg_segment_align: 8
    .kernarg_segment_size: 360
    .language:       OpenCL C
    .language_version:
      - 2
      - 0
    .max_flat_workgroup_size: 128
    .name:           _ZN2at6native32elementwise_kernel_manual_unrollILi128ELi8EZNS0_22gpu_kernel_impl_nocastIZZZNS0_21clamp_max_kernel_cudaERNS_18TensorIteratorBaseERKN3c106ScalarEENKUlvE_clEvENKUlvE7_clEvEUlNS5_8BFloat16EE_EEvS4_RKT_EUlibE_EEviT1_
    .private_segment_fixed_size: 0
    .sgpr_count:     68
    .sgpr_spill_count: 0
    .symbol:         _ZN2at6native32elementwise_kernel_manual_unrollILi128ELi8EZNS0_22gpu_kernel_impl_nocastIZZZNS0_21clamp_max_kernel_cudaERNS_18TensorIteratorBaseERKN3c106ScalarEENKUlvE_clEvENKUlvE7_clEvEUlNS5_8BFloat16EE_EEvS4_RKT_EUlibE_EEviT1_.kd
    .uniform_work_group_size: 1
    .uses_dynamic_stack: false
    .vgpr_count:     33
    .vgpr_spill_count: 0
    .wavefront_size: 64
  - .agpr_count:     0
    .args:
      - .offset:         0
        .size:           4
        .value_kind:     by_value
      - .offset:         8
        .size:           32
        .value_kind:     by_value
    .group_segment_fixed_size: 0
    .kernarg_segment_align: 8
    .kernarg_segment_size: 40
    .language:       OpenCL C
    .language_version:
      - 2
      - 0
    .max_flat_workgroup_size: 128
    .name:           _ZN2at6native32elementwise_kernel_manual_unrollILi128ELi4EZNS0_15gpu_kernel_implIZZZNS0_21clamp_max_kernel_cudaERNS_18TensorIteratorBaseERKN3c106ScalarEENKUlvE_clEvENKUlvE7_clEvEUlNS5_8BFloat16EE_EEvS4_RKT_EUlibE_EEviT1_
    .private_segment_fixed_size: 0
    .sgpr_count:     52
    .sgpr_spill_count: 0
    .symbol:         _ZN2at6native32elementwise_kernel_manual_unrollILi128ELi4EZNS0_15gpu_kernel_implIZZZNS0_21clamp_max_kernel_cudaERNS_18TensorIteratorBaseERKN3c106ScalarEENKUlvE_clEvENKUlvE7_clEvEUlNS5_8BFloat16EE_EEvS4_RKT_EUlibE_EEviT1_.kd
    .uniform_work_group_size: 1
    .uses_dynamic_stack: false
    .vgpr_count:     14
    .vgpr_spill_count: 0
    .wavefront_size: 64
  - .agpr_count:     0
    .args:
      - .offset:         0
        .size:           4
        .value_kind:     by_value
      - .offset:         8
        .size:           352
        .value_kind:     by_value
    .group_segment_fixed_size: 0
    .kernarg_segment_align: 8
    .kernarg_segment_size: 360
    .language:       OpenCL C
    .language_version:
      - 2
      - 0
    .max_flat_workgroup_size: 128
    .name:           _ZN2at6native32elementwise_kernel_manual_unrollILi128ELi4EZNS0_15gpu_kernel_implIZZZNS0_21clamp_max_kernel_cudaERNS_18TensorIteratorBaseERKN3c106ScalarEENKUlvE_clEvENKUlvE7_clEvEUlNS5_8BFloat16EE_EEvS4_RKT_EUlibE0_EEviT1_
    .private_segment_fixed_size: 0
    .sgpr_count:     86
    .sgpr_spill_count: 0
    .symbol:         _ZN2at6native32elementwise_kernel_manual_unrollILi128ELi4EZNS0_15gpu_kernel_implIZZZNS0_21clamp_max_kernel_cudaERNS_18TensorIteratorBaseERKN3c106ScalarEENKUlvE_clEvENKUlvE7_clEvEUlNS5_8BFloat16EE_EEvS4_RKT_EUlibE0_EEviT1_.kd
    .uniform_work_group_size: 1
    .uses_dynamic_stack: false
    .vgpr_count:     18
    .vgpr_spill_count: 0
    .wavefront_size: 64
  - .agpr_count:     0
    .args:
      - .offset:         0
        .size:           4
        .value_kind:     by_value
      - .offset:         8
        .size:           24
        .value_kind:     by_value
      - .offset:         32
        .size:           16
        .value_kind:     by_value
    .group_segment_fixed_size: 0
    .kernarg_segment_align: 8
    .kernarg_segment_size: 48
    .language:       OpenCL C
    .language_version:
      - 2
      - 0
    .max_flat_workgroup_size: 256
    .name:           _ZN2at6native29vectorized_elementwise_kernelILi16EZZZNS0_22nan_to_num_kernel_cudaERNS_18TensorIteratorBaseESt8optionalIdES5_S5_ENKUlvE_clEvENKUlvE_clEvEUlN3c107complexIdEEE_St5arrayIPcLm2EEEEviT0_T1_
    .private_segment_fixed_size: 0
    .sgpr_count:     28
    .sgpr_spill_count: 0
    .symbol:         _ZN2at6native29vectorized_elementwise_kernelILi16EZZZNS0_22nan_to_num_kernel_cudaERNS_18TensorIteratorBaseESt8optionalIdES5_S5_ENKUlvE_clEvENKUlvE_clEvEUlN3c107complexIdEEE_St5arrayIPcLm2EEEEviT0_T1_.kd
    .uniform_work_group_size: 1
    .uses_dynamic_stack: false
    .vgpr_count:     24
    .vgpr_spill_count: 0
    .wavefront_size: 64
  - .agpr_count:     0
    .args:
      - .offset:         0
        .size:           4
        .value_kind:     by_value
      - .offset:         8
        .size:           24
        .value_kind:     by_value
      - .offset:         32
        .size:           16
        .value_kind:     by_value
    .group_segment_fixed_size: 0
    .kernarg_segment_align: 8
    .kernarg_segment_size: 48
    .language:       OpenCL C
    .language_version:
      - 2
      - 0
    .max_flat_workgroup_size: 256
    .name:           _ZN2at6native29vectorized_elementwise_kernelILi8EZZZNS0_22nan_to_num_kernel_cudaERNS_18TensorIteratorBaseESt8optionalIdES5_S5_ENKUlvE_clEvENKUlvE_clEvEUlN3c107complexIdEEE_St5arrayIPcLm2EEEEviT0_T1_
    .private_segment_fixed_size: 0
    .sgpr_count:     28
    .sgpr_spill_count: 0
    .symbol:         _ZN2at6native29vectorized_elementwise_kernelILi8EZZZNS0_22nan_to_num_kernel_cudaERNS_18TensorIteratorBaseESt8optionalIdES5_S5_ENKUlvE_clEvENKUlvE_clEvEUlN3c107complexIdEEE_St5arrayIPcLm2EEEEviT0_T1_.kd
    .uniform_work_group_size: 1
    .uses_dynamic_stack: false
    .vgpr_count:     24
    .vgpr_spill_count: 0
    .wavefront_size: 64
  - .agpr_count:     0
    .args:
      - .offset:         0
        .size:           4
        .value_kind:     by_value
      - .offset:         8
        .size:           24
        .value_kind:     by_value
      - .offset:         32
        .size:           16
        .value_kind:     by_value
    .group_segment_fixed_size: 0
    .kernarg_segment_align: 8
    .kernarg_segment_size: 48
    .language:       OpenCL C
    .language_version:
      - 2
      - 0
    .max_flat_workgroup_size: 256
    .name:           _ZN2at6native29vectorized_elementwise_kernelILi4EZZZNS0_22nan_to_num_kernel_cudaERNS_18TensorIteratorBaseESt8optionalIdES5_S5_ENKUlvE_clEvENKUlvE_clEvEUlN3c107complexIdEEE_St5arrayIPcLm2EEEEviT0_T1_
    .private_segment_fixed_size: 0
    .sgpr_count:     28
    .sgpr_spill_count: 0
    .symbol:         _ZN2at6native29vectorized_elementwise_kernelILi4EZZZNS0_22nan_to_num_kernel_cudaERNS_18TensorIteratorBaseESt8optionalIdES5_S5_ENKUlvE_clEvENKUlvE_clEvEUlN3c107complexIdEEE_St5arrayIPcLm2EEEEviT0_T1_.kd
    .uniform_work_group_size: 1
    .uses_dynamic_stack: false
    .vgpr_count:     24
    .vgpr_spill_count: 0
    .wavefront_size: 64
  - .agpr_count:     0
    .args:
      - .offset:         0
        .size:           4
        .value_kind:     by_value
      - .offset:         8
        .size:           24
        .value_kind:     by_value
      - .offset:         32
        .size:           16
        .value_kind:     by_value
    .group_segment_fixed_size: 0
    .kernarg_segment_align: 8
    .kernarg_segment_size: 48
    .language:       OpenCL C
    .language_version:
      - 2
      - 0
    .max_flat_workgroup_size: 256
    .name:           _ZN2at6native29vectorized_elementwise_kernelILi2EZZZNS0_22nan_to_num_kernel_cudaERNS_18TensorIteratorBaseESt8optionalIdES5_S5_ENKUlvE_clEvENKUlvE_clEvEUlN3c107complexIdEEE_St5arrayIPcLm2EEEEviT0_T1_
    .private_segment_fixed_size: 0
    .sgpr_count:     28
    .sgpr_spill_count: 0
    .symbol:         _ZN2at6native29vectorized_elementwise_kernelILi2EZZZNS0_22nan_to_num_kernel_cudaERNS_18TensorIteratorBaseESt8optionalIdES5_S5_ENKUlvE_clEvENKUlvE_clEvEUlN3c107complexIdEEE_St5arrayIPcLm2EEEEviT0_T1_.kd
    .uniform_work_group_size: 1
    .uses_dynamic_stack: false
    .vgpr_count:     24
    .vgpr_spill_count: 0
    .wavefront_size: 64
  - .agpr_count:     0
    .args:
      - .offset:         0
        .size:           4
        .value_kind:     by_value
      - .offset:         8
        .size:           24
        .value_kind:     by_value
      - .offset:         32
        .size:           16
        .value_kind:     by_value
      - .offset:         48
        .size:           1
        .value_kind:     by_value
      - .offset:         49
        .size:           1
        .value_kind:     by_value
      - .offset:         50
        .size:           1
        .value_kind:     by_value
      - .offset:         51
        .size:           1
        .value_kind:     by_value
    .group_segment_fixed_size: 0
    .kernarg_segment_align: 8
    .kernarg_segment_size: 52
    .language:       OpenCL C
    .language_version:
      - 2
      - 0
    .max_flat_workgroup_size: 256
    .name:           _ZN2at6native27unrolled_elementwise_kernelIZZZNS0_22nan_to_num_kernel_cudaERNS_18TensorIteratorBaseESt8optionalIdES5_S5_ENKUlvE_clEvENKUlvE_clEvEUlN3c107complexIdEEE_St5arrayIPcLm2EELi4E23TrivialOffsetCalculatorILi1EjESG_NS0_6memory15LoadWithoutCastENSH_16StoreWithoutCastEEEviT_T0_T2_T3_T4_T5_
    .private_segment_fixed_size: 0
    .sgpr_count:     24
    .sgpr_spill_count: 0
    .symbol:         _ZN2at6native27unrolled_elementwise_kernelIZZZNS0_22nan_to_num_kernel_cudaERNS_18TensorIteratorBaseESt8optionalIdES5_S5_ENKUlvE_clEvENKUlvE_clEvEUlN3c107complexIdEEE_St5arrayIPcLm2EELi4E23TrivialOffsetCalculatorILi1EjESG_NS0_6memory15LoadWithoutCastENSH_16StoreWithoutCastEEEviT_T0_T2_T3_T4_T5_.kd
    .uniform_work_group_size: 1
    .uses_dynamic_stack: false
    .vgpr_count:     24
    .vgpr_spill_count: 0
    .wavefront_size: 64
  - .agpr_count:     0
    .args:
      - .offset:         0
        .size:           4
        .value_kind:     by_value
      - .offset:         8
        .size:           368
        .value_kind:     by_value
    .group_segment_fixed_size: 0
    .kernarg_segment_align: 8
    .kernarg_segment_size: 376
    .language:       OpenCL C
    .language_version:
      - 2
      - 0
    .max_flat_workgroup_size: 128
    .name:           _ZN2at6native32elementwise_kernel_manual_unrollILi128ELi4EZNS0_22gpu_kernel_impl_nocastIZZZNS0_22nan_to_num_kernel_cudaERNS_18TensorIteratorBaseESt8optionalIdES6_S6_ENKUlvE_clEvENKUlvE_clEvEUlN3c107complexIdEEE_EEvS4_RKT_EUlibE_EEviT1_
    .private_segment_fixed_size: 0
    .sgpr_count:     72
    .sgpr_spill_count: 0
    .symbol:         _ZN2at6native32elementwise_kernel_manual_unrollILi128ELi4EZNS0_22gpu_kernel_impl_nocastIZZZNS0_22nan_to_num_kernel_cudaERNS_18TensorIteratorBaseESt8optionalIdES6_S6_ENKUlvE_clEvENKUlvE_clEvEUlN3c107complexIdEEE_EEvS4_RKT_EUlibE_EEviT1_.kd
    .uniform_work_group_size: 1
    .uses_dynamic_stack: false
    .vgpr_count:     26
    .vgpr_spill_count: 0
    .wavefront_size: 64
  - .agpr_count:     0
    .args:
      - .offset:         0
        .size:           4
        .value_kind:     by_value
      - .offset:         8
        .size:           56
        .value_kind:     by_value
    .group_segment_fixed_size: 0
    .kernarg_segment_align: 8
    .kernarg_segment_size: 64
    .language:       OpenCL C
    .language_version:
      - 2
      - 0
    .max_flat_workgroup_size: 128
    .name:           _ZN2at6native32elementwise_kernel_manual_unrollILi128ELi4EZNS0_15gpu_kernel_implIZZZNS0_22nan_to_num_kernel_cudaERNS_18TensorIteratorBaseESt8optionalIdES6_S6_ENKUlvE_clEvENKUlvE_clEvEUlN3c107complexIdEEE_EEvS4_RKT_EUlibE_EEviT1_
    .private_segment_fixed_size: 0
    .sgpr_count:     56
    .sgpr_spill_count: 0
    .symbol:         _ZN2at6native32elementwise_kernel_manual_unrollILi128ELi4EZNS0_15gpu_kernel_implIZZZNS0_22nan_to_num_kernel_cudaERNS_18TensorIteratorBaseESt8optionalIdES6_S6_ENKUlvE_clEvENKUlvE_clEvEUlN3c107complexIdEEE_EEvS4_RKT_EUlibE_EEviT1_.kd
    .uniform_work_group_size: 1
    .uses_dynamic_stack: false
    .vgpr_count:     27
    .vgpr_spill_count: 0
    .wavefront_size: 64
  - .agpr_count:     0
    .args:
      - .offset:         0
        .size:           4
        .value_kind:     by_value
      - .offset:         8
        .size:           376
        .value_kind:     by_value
    .group_segment_fixed_size: 0
    .kernarg_segment_align: 8
    .kernarg_segment_size: 384
    .language:       OpenCL C
    .language_version:
      - 2
      - 0
    .max_flat_workgroup_size: 128
    .name:           _ZN2at6native32elementwise_kernel_manual_unrollILi128ELi4EZNS0_15gpu_kernel_implIZZZNS0_22nan_to_num_kernel_cudaERNS_18TensorIteratorBaseESt8optionalIdES6_S6_ENKUlvE_clEvENKUlvE_clEvEUlN3c107complexIdEEE_EEvS4_RKT_EUlibE0_EEviT1_
    .private_segment_fixed_size: 0
    .sgpr_count:     90
    .sgpr_spill_count: 0
    .symbol:         _ZN2at6native32elementwise_kernel_manual_unrollILi128ELi4EZNS0_15gpu_kernel_implIZZZNS0_22nan_to_num_kernel_cudaERNS_18TensorIteratorBaseESt8optionalIdES6_S6_ENKUlvE_clEvENKUlvE_clEvEUlN3c107complexIdEEE_EEvS4_RKT_EUlibE0_EEviT1_.kd
    .uniform_work_group_size: 1
    .uses_dynamic_stack: false
    .vgpr_count:     30
    .vgpr_spill_count: 0
    .wavefront_size: 64
  - .agpr_count:     0
    .args:
      - .offset:         0
        .size:           4
        .value_kind:     by_value
      - .offset:         4
        .size:           12
        .value_kind:     by_value
      - .offset:         16
        .size:           16
        .value_kind:     by_value
    .group_segment_fixed_size: 0
    .kernarg_segment_align: 8
    .kernarg_segment_size: 32
    .language:       OpenCL C
    .language_version:
      - 2
      - 0
    .max_flat_workgroup_size: 256
    .name:           _ZN2at6native29vectorized_elementwise_kernelILi16EZZZNS0_22nan_to_num_kernel_cudaERNS_18TensorIteratorBaseESt8optionalIdES5_S5_ENKUlvE_clEvENKUlvE0_clEvEUlN3c107complexIfEEE_St5arrayIPcLm2EEEEviT0_T1_
    .private_segment_fixed_size: 0
    .sgpr_count:     23
    .sgpr_spill_count: 0
    .symbol:         _ZN2at6native29vectorized_elementwise_kernelILi16EZZZNS0_22nan_to_num_kernel_cudaERNS_18TensorIteratorBaseESt8optionalIdES5_S5_ENKUlvE_clEvENKUlvE0_clEvEUlN3c107complexIfEEE_St5arrayIPcLm2EEEEviT0_T1_.kd
    .uniform_work_group_size: 1
    .uses_dynamic_stack: false
    .vgpr_count:     14
    .vgpr_spill_count: 0
    .wavefront_size: 64
  - .agpr_count:     0
    .args:
      - .offset:         0
        .size:           4
        .value_kind:     by_value
      - .offset:         4
        .size:           12
        .value_kind:     by_value
      - .offset:         16
        .size:           16
        .value_kind:     by_value
    .group_segment_fixed_size: 0
    .kernarg_segment_align: 8
    .kernarg_segment_size: 32
    .language:       OpenCL C
    .language_version:
      - 2
      - 0
    .max_flat_workgroup_size: 256
    .name:           _ZN2at6native29vectorized_elementwise_kernelILi8EZZZNS0_22nan_to_num_kernel_cudaERNS_18TensorIteratorBaseESt8optionalIdES5_S5_ENKUlvE_clEvENKUlvE0_clEvEUlN3c107complexIfEEE_St5arrayIPcLm2EEEEviT0_T1_
    .private_segment_fixed_size: 0
    .sgpr_count:     23
    .sgpr_spill_count: 0
    .symbol:         _ZN2at6native29vectorized_elementwise_kernelILi8EZZZNS0_22nan_to_num_kernel_cudaERNS_18TensorIteratorBaseESt8optionalIdES5_S5_ENKUlvE_clEvENKUlvE0_clEvEUlN3c107complexIfEEE_St5arrayIPcLm2EEEEviT0_T1_.kd
    .uniform_work_group_size: 1
    .uses_dynamic_stack: false
    .vgpr_count:     14
    .vgpr_spill_count: 0
    .wavefront_size: 64
  - .agpr_count:     0
    .args:
      - .offset:         0
        .size:           4
        .value_kind:     by_value
      - .offset:         4
        .size:           12
        .value_kind:     by_value
      - .offset:         16
        .size:           16
        .value_kind:     by_value
    .group_segment_fixed_size: 0
    .kernarg_segment_align: 8
    .kernarg_segment_size: 32
    .language:       OpenCL C
    .language_version:
      - 2
      - 0
    .max_flat_workgroup_size: 256
    .name:           _ZN2at6native29vectorized_elementwise_kernelILi4EZZZNS0_22nan_to_num_kernel_cudaERNS_18TensorIteratorBaseESt8optionalIdES5_S5_ENKUlvE_clEvENKUlvE0_clEvEUlN3c107complexIfEEE_St5arrayIPcLm2EEEEviT0_T1_
    .private_segment_fixed_size: 0
    .sgpr_count:     23
    .sgpr_spill_count: 0
    .symbol:         _ZN2at6native29vectorized_elementwise_kernelILi4EZZZNS0_22nan_to_num_kernel_cudaERNS_18TensorIteratorBaseESt8optionalIdES5_S5_ENKUlvE_clEvENKUlvE0_clEvEUlN3c107complexIfEEE_St5arrayIPcLm2EEEEviT0_T1_.kd
    .uniform_work_group_size: 1
    .uses_dynamic_stack: false
    .vgpr_count:     14
    .vgpr_spill_count: 0
    .wavefront_size: 64
  - .agpr_count:     0
    .args:
      - .offset:         0
        .size:           4
        .value_kind:     by_value
      - .offset:         4
        .size:           12
        .value_kind:     by_value
      - .offset:         16
        .size:           16
        .value_kind:     by_value
    .group_segment_fixed_size: 0
    .kernarg_segment_align: 8
    .kernarg_segment_size: 32
    .language:       OpenCL C
    .language_version:
      - 2
      - 0
    .max_flat_workgroup_size: 256
    .name:           _ZN2at6native29vectorized_elementwise_kernelILi2EZZZNS0_22nan_to_num_kernel_cudaERNS_18TensorIteratorBaseESt8optionalIdES5_S5_ENKUlvE_clEvENKUlvE0_clEvEUlN3c107complexIfEEE_St5arrayIPcLm2EEEEviT0_T1_
    .private_segment_fixed_size: 0
    .sgpr_count:     23
    .sgpr_spill_count: 0
    .symbol:         _ZN2at6native29vectorized_elementwise_kernelILi2EZZZNS0_22nan_to_num_kernel_cudaERNS_18TensorIteratorBaseESt8optionalIdES5_S5_ENKUlvE_clEvENKUlvE0_clEvEUlN3c107complexIfEEE_St5arrayIPcLm2EEEEviT0_T1_.kd
    .uniform_work_group_size: 1
    .uses_dynamic_stack: false
    .vgpr_count:     16
    .vgpr_spill_count: 0
    .wavefront_size: 64
  - .agpr_count:     0
    .args:
      - .offset:         0
        .size:           4
        .value_kind:     by_value
      - .offset:         4
        .size:           12
        .value_kind:     by_value
      - .offset:         16
        .size:           16
        .value_kind:     by_value
      - .offset:         32
        .size:           1
        .value_kind:     by_value
      - .offset:         33
        .size:           1
        .value_kind:     by_value
      - .offset:         34
        .size:           1
        .value_kind:     by_value
      - .offset:         35
        .size:           1
        .value_kind:     by_value
    .group_segment_fixed_size: 0
    .kernarg_segment_align: 8
    .kernarg_segment_size: 36
    .language:       OpenCL C
    .language_version:
      - 2
      - 0
    .max_flat_workgroup_size: 256
    .name:           _ZN2at6native27unrolled_elementwise_kernelIZZZNS0_22nan_to_num_kernel_cudaERNS_18TensorIteratorBaseESt8optionalIdES5_S5_ENKUlvE_clEvENKUlvE0_clEvEUlN3c107complexIfEEE_St5arrayIPcLm2EELi4E23TrivialOffsetCalculatorILi1EjESG_NS0_6memory15LoadWithoutCastENSH_16StoreWithoutCastEEEviT_T0_T2_T3_T4_T5_
    .private_segment_fixed_size: 0
    .sgpr_count:     22
    .sgpr_spill_count: 0
    .symbol:         _ZN2at6native27unrolled_elementwise_kernelIZZZNS0_22nan_to_num_kernel_cudaERNS_18TensorIteratorBaseESt8optionalIdES5_S5_ENKUlvE_clEvENKUlvE0_clEvEUlN3c107complexIfEEE_St5arrayIPcLm2EELi4E23TrivialOffsetCalculatorILi1EjESG_NS0_6memory15LoadWithoutCastENSH_16StoreWithoutCastEEEviT_T0_T2_T3_T4_T5_.kd
    .uniform_work_group_size: 1
    .uses_dynamic_stack: false
    .vgpr_count:     14
    .vgpr_spill_count: 0
    .wavefront_size: 64
  - .agpr_count:     0
    .args:
      - .offset:         0
        .size:           4
        .value_kind:     by_value
      - .offset:         8
        .size:           360
        .value_kind:     by_value
    .group_segment_fixed_size: 0
    .kernarg_segment_align: 8
    .kernarg_segment_size: 368
    .language:       OpenCL C
    .language_version:
      - 2
      - 0
    .max_flat_workgroup_size: 128
    .name:           _ZN2at6native32elementwise_kernel_manual_unrollILi128ELi4EZNS0_22gpu_kernel_impl_nocastIZZZNS0_22nan_to_num_kernel_cudaERNS_18TensorIteratorBaseESt8optionalIdES6_S6_ENKUlvE_clEvENKUlvE0_clEvEUlN3c107complexIfEEE_EEvS4_RKT_EUlibE_EEviT1_
    .private_segment_fixed_size: 0
    .sgpr_count:     69
    .sgpr_spill_count: 0
    .symbol:         _ZN2at6native32elementwise_kernel_manual_unrollILi128ELi4EZNS0_22gpu_kernel_impl_nocastIZZZNS0_22nan_to_num_kernel_cudaERNS_18TensorIteratorBaseESt8optionalIdES6_S6_ENKUlvE_clEvENKUlvE0_clEvEUlN3c107complexIfEEE_EEvS4_RKT_EUlibE_EEviT1_.kd
    .uniform_work_group_size: 1
    .uses_dynamic_stack: false
    .vgpr_count:     18
    .vgpr_spill_count: 0
    .wavefront_size: 64
  - .agpr_count:     0
    .args:
      - .offset:         0
        .size:           4
        .value_kind:     by_value
      - .offset:         8
        .size:           40
        .value_kind:     by_value
    .group_segment_fixed_size: 0
    .kernarg_segment_align: 8
    .kernarg_segment_size: 48
    .language:       OpenCL C
    .language_version:
      - 2
      - 0
    .max_flat_workgroup_size: 128
    .name:           _ZN2at6native32elementwise_kernel_manual_unrollILi128ELi4EZNS0_15gpu_kernel_implIZZZNS0_22nan_to_num_kernel_cudaERNS_18TensorIteratorBaseESt8optionalIdES6_S6_ENKUlvE_clEvENKUlvE0_clEvEUlN3c107complexIfEEE_EEvS4_RKT_EUlibE_EEviT1_
    .private_segment_fixed_size: 0
    .sgpr_count:     53
    .sgpr_spill_count: 0
    .symbol:         _ZN2at6native32elementwise_kernel_manual_unrollILi128ELi4EZNS0_15gpu_kernel_implIZZZNS0_22nan_to_num_kernel_cudaERNS_18TensorIteratorBaseESt8optionalIdES6_S6_ENKUlvE_clEvENKUlvE0_clEvEUlN3c107complexIfEEE_EEvS4_RKT_EUlibE_EEviT1_.kd
    .uniform_work_group_size: 1
    .uses_dynamic_stack: false
    .vgpr_count:     16
    .vgpr_spill_count: 0
    .wavefront_size: 64
  - .agpr_count:     0
    .args:
      - .offset:         0
        .size:           4
        .value_kind:     by_value
      - .offset:         8
        .size:           360
        .value_kind:     by_value
    .group_segment_fixed_size: 0
    .kernarg_segment_align: 8
    .kernarg_segment_size: 368
    .language:       OpenCL C
    .language_version:
      - 2
      - 0
    .max_flat_workgroup_size: 128
    .name:           _ZN2at6native32elementwise_kernel_manual_unrollILi128ELi4EZNS0_15gpu_kernel_implIZZZNS0_22nan_to_num_kernel_cudaERNS_18TensorIteratorBaseESt8optionalIdES6_S6_ENKUlvE_clEvENKUlvE0_clEvEUlN3c107complexIfEEE_EEvS4_RKT_EUlibE0_EEviT1_
    .private_segment_fixed_size: 0
    .sgpr_count:     87
    .sgpr_spill_count: 0
    .symbol:         _ZN2at6native32elementwise_kernel_manual_unrollILi128ELi4EZNS0_15gpu_kernel_implIZZZNS0_22nan_to_num_kernel_cudaERNS_18TensorIteratorBaseESt8optionalIdES6_S6_ENKUlvE_clEvENKUlvE0_clEvEUlN3c107complexIfEEE_EEvS4_RKT_EUlibE0_EEviT1_.kd
    .uniform_work_group_size: 1
    .uses_dynamic_stack: false
    .vgpr_count:     20
    .vgpr_spill_count: 0
    .wavefront_size: 64
  - .agpr_count:     0
    .args:
      - .offset:         0
        .size:           4
        .value_kind:     by_value
      - .offset:         8
        .size:           24
        .value_kind:     by_value
      - .offset:         32
        .size:           16
        .value_kind:     by_value
    .group_segment_fixed_size: 0
    .kernarg_segment_align: 8
    .kernarg_segment_size: 48
    .language:       OpenCL C
    .language_version:
      - 2
      - 0
    .max_flat_workgroup_size: 256
    .name:           _ZN2at6native29vectorized_elementwise_kernelILi16EZZZNS0_22nan_to_num_kernel_cudaERNS_18TensorIteratorBaseESt8optionalIdES5_S5_ENKUlvE0_clEvENKUlvE_clEvEUldE_St5arrayIPcLm2EEEEviT0_T1_
    .private_segment_fixed_size: 0
    .sgpr_count:     28
    .sgpr_spill_count: 0
    .symbol:         _ZN2at6native29vectorized_elementwise_kernelILi16EZZZNS0_22nan_to_num_kernel_cudaERNS_18TensorIteratorBaseESt8optionalIdES5_S5_ENKUlvE0_clEvENKUlvE_clEvEUldE_St5arrayIPcLm2EEEEviT0_T1_.kd
    .uniform_work_group_size: 1
    .uses_dynamic_stack: false
    .vgpr_count:     20
    .vgpr_spill_count: 0
    .wavefront_size: 64
  - .agpr_count:     0
    .args:
      - .offset:         0
        .size:           4
        .value_kind:     by_value
      - .offset:         8
        .size:           24
        .value_kind:     by_value
      - .offset:         32
        .size:           16
        .value_kind:     by_value
    .group_segment_fixed_size: 0
    .kernarg_segment_align: 8
    .kernarg_segment_size: 48
    .language:       OpenCL C
    .language_version:
      - 2
      - 0
    .max_flat_workgroup_size: 256
    .name:           _ZN2at6native29vectorized_elementwise_kernelILi8EZZZNS0_22nan_to_num_kernel_cudaERNS_18TensorIteratorBaseESt8optionalIdES5_S5_ENKUlvE0_clEvENKUlvE_clEvEUldE_St5arrayIPcLm2EEEEviT0_T1_
    .private_segment_fixed_size: 0
    .sgpr_count:     28
    .sgpr_spill_count: 0
    .symbol:         _ZN2at6native29vectorized_elementwise_kernelILi8EZZZNS0_22nan_to_num_kernel_cudaERNS_18TensorIteratorBaseESt8optionalIdES5_S5_ENKUlvE0_clEvENKUlvE_clEvEUldE_St5arrayIPcLm2EEEEviT0_T1_.kd
    .uniform_work_group_size: 1
    .uses_dynamic_stack: false
    .vgpr_count:     20
    .vgpr_spill_count: 0
    .wavefront_size: 64
  - .agpr_count:     0
    .args:
      - .offset:         0
        .size:           4
        .value_kind:     by_value
      - .offset:         8
        .size:           24
        .value_kind:     by_value
      - .offset:         32
        .size:           16
        .value_kind:     by_value
    .group_segment_fixed_size: 0
    .kernarg_segment_align: 8
    .kernarg_segment_size: 48
    .language:       OpenCL C
    .language_version:
      - 2
      - 0
    .max_flat_workgroup_size: 256
    .name:           _ZN2at6native29vectorized_elementwise_kernelILi4EZZZNS0_22nan_to_num_kernel_cudaERNS_18TensorIteratorBaseESt8optionalIdES5_S5_ENKUlvE0_clEvENKUlvE_clEvEUldE_St5arrayIPcLm2EEEEviT0_T1_
    .private_segment_fixed_size: 0
    .sgpr_count:     28
    .sgpr_spill_count: 0
    .symbol:         _ZN2at6native29vectorized_elementwise_kernelILi4EZZZNS0_22nan_to_num_kernel_cudaERNS_18TensorIteratorBaseESt8optionalIdES5_S5_ENKUlvE0_clEvENKUlvE_clEvEUldE_St5arrayIPcLm2EEEEviT0_T1_.kd
    .uniform_work_group_size: 1
    .uses_dynamic_stack: false
    .vgpr_count:     20
    .vgpr_spill_count: 0
    .wavefront_size: 64
  - .agpr_count:     0
    .args:
      - .offset:         0
        .size:           4
        .value_kind:     by_value
      - .offset:         8
        .size:           24
        .value_kind:     by_value
      - .offset:         32
        .size:           16
        .value_kind:     by_value
    .group_segment_fixed_size: 0
    .kernarg_segment_align: 8
    .kernarg_segment_size: 48
    .language:       OpenCL C
    .language_version:
      - 2
      - 0
    .max_flat_workgroup_size: 256
    .name:           _ZN2at6native29vectorized_elementwise_kernelILi2EZZZNS0_22nan_to_num_kernel_cudaERNS_18TensorIteratorBaseESt8optionalIdES5_S5_ENKUlvE0_clEvENKUlvE_clEvEUldE_St5arrayIPcLm2EEEEviT0_T1_
    .private_segment_fixed_size: 0
    .sgpr_count:     28
    .sgpr_spill_count: 0
    .symbol:         _ZN2at6native29vectorized_elementwise_kernelILi2EZZZNS0_22nan_to_num_kernel_cudaERNS_18TensorIteratorBaseESt8optionalIdES5_S5_ENKUlvE0_clEvENKUlvE_clEvEUldE_St5arrayIPcLm2EEEEviT0_T1_.kd
    .uniform_work_group_size: 1
    .uses_dynamic_stack: false
    .vgpr_count:     20
    .vgpr_spill_count: 0
    .wavefront_size: 64
  - .agpr_count:     0
    .args:
      - .offset:         0
        .size:           4
        .value_kind:     by_value
      - .offset:         8
        .size:           24
        .value_kind:     by_value
      - .offset:         32
        .size:           16
        .value_kind:     by_value
      - .offset:         48
        .size:           1
        .value_kind:     by_value
      - .offset:         49
        .size:           1
        .value_kind:     by_value
      - .offset:         50
        .size:           1
        .value_kind:     by_value
      - .offset:         51
        .size:           1
        .value_kind:     by_value
    .group_segment_fixed_size: 0
    .kernarg_segment_align: 8
    .kernarg_segment_size: 52
    .language:       OpenCL C
    .language_version:
      - 2
      - 0
    .max_flat_workgroup_size: 256
    .name:           _ZN2at6native27unrolled_elementwise_kernelIZZZNS0_22nan_to_num_kernel_cudaERNS_18TensorIteratorBaseESt8optionalIdES5_S5_ENKUlvE0_clEvENKUlvE_clEvEUldE_St5arrayIPcLm2EELi4E23TrivialOffsetCalculatorILi1EjESD_NS0_6memory15LoadWithoutCastENSE_16StoreWithoutCastEEEviT_T0_T2_T3_T4_T5_
    .private_segment_fixed_size: 0
    .sgpr_count:     24
    .sgpr_spill_count: 0
    .symbol:         _ZN2at6native27unrolled_elementwise_kernelIZZZNS0_22nan_to_num_kernel_cudaERNS_18TensorIteratorBaseESt8optionalIdES5_S5_ENKUlvE0_clEvENKUlvE_clEvEUldE_St5arrayIPcLm2EELi4E23TrivialOffsetCalculatorILi1EjESD_NS0_6memory15LoadWithoutCastENSE_16StoreWithoutCastEEEviT_T0_T2_T3_T4_T5_.kd
    .uniform_work_group_size: 1
    .uses_dynamic_stack: false
    .vgpr_count:     20
    .vgpr_spill_count: 0
    .wavefront_size: 64
  - .agpr_count:     0
    .args:
      - .offset:         0
        .size:           4
        .value_kind:     by_value
      - .offset:         8
        .size:           368
        .value_kind:     by_value
    .group_segment_fixed_size: 0
    .kernarg_segment_align: 8
    .kernarg_segment_size: 376
    .language:       OpenCL C
    .language_version:
      - 2
      - 0
    .max_flat_workgroup_size: 128
    .name:           _ZN2at6native32elementwise_kernel_manual_unrollILi128ELi4EZNS0_22gpu_kernel_impl_nocastIZZZNS0_22nan_to_num_kernel_cudaERNS_18TensorIteratorBaseESt8optionalIdES6_S6_ENKUlvE0_clEvENKUlvE_clEvEUldE_EEvS4_RKT_EUlibE_EEviT1_
    .private_segment_fixed_size: 0
    .sgpr_count:     72
    .sgpr_spill_count: 0
    .symbol:         _ZN2at6native32elementwise_kernel_manual_unrollILi128ELi4EZNS0_22gpu_kernel_impl_nocastIZZZNS0_22nan_to_num_kernel_cudaERNS_18TensorIteratorBaseESt8optionalIdES6_S6_ENKUlvE0_clEvENKUlvE_clEvEUldE_EEvS4_RKT_EUlibE_EEviT1_.kd
    .uniform_work_group_size: 1
    .uses_dynamic_stack: false
    .vgpr_count:     18
    .vgpr_spill_count: 0
    .wavefront_size: 64
  - .agpr_count:     0
    .args:
      - .offset:         0
        .size:           4
        .value_kind:     by_value
      - .offset:         8
        .size:           56
        .value_kind:     by_value
    .group_segment_fixed_size: 0
    .kernarg_segment_align: 8
    .kernarg_segment_size: 64
    .language:       OpenCL C
    .language_version:
      - 2
      - 0
    .max_flat_workgroup_size: 128
    .name:           _ZN2at6native32elementwise_kernel_manual_unrollILi128ELi4EZNS0_15gpu_kernel_implIZZZNS0_22nan_to_num_kernel_cudaERNS_18TensorIteratorBaseESt8optionalIdES6_S6_ENKUlvE0_clEvENKUlvE_clEvEUldE_EEvS4_RKT_EUlibE_EEviT1_
    .private_segment_fixed_size: 0
    .sgpr_count:     56
    .sgpr_spill_count: 0
    .symbol:         _ZN2at6native32elementwise_kernel_manual_unrollILi128ELi4EZNS0_15gpu_kernel_implIZZZNS0_22nan_to_num_kernel_cudaERNS_18TensorIteratorBaseESt8optionalIdES6_S6_ENKUlvE0_clEvENKUlvE_clEvEUldE_EEvS4_RKT_EUlibE_EEviT1_.kd
    .uniform_work_group_size: 1
    .uses_dynamic_stack: false
    .vgpr_count:     18
    .vgpr_spill_count: 0
    .wavefront_size: 64
  - .agpr_count:     0
    .args:
      - .offset:         0
        .size:           4
        .value_kind:     by_value
      - .offset:         8
        .size:           376
        .value_kind:     by_value
    .group_segment_fixed_size: 0
    .kernarg_segment_align: 8
    .kernarg_segment_size: 384
    .language:       OpenCL C
    .language_version:
      - 2
      - 0
    .max_flat_workgroup_size: 128
    .name:           _ZN2at6native32elementwise_kernel_manual_unrollILi128ELi4EZNS0_15gpu_kernel_implIZZZNS0_22nan_to_num_kernel_cudaERNS_18TensorIteratorBaseESt8optionalIdES6_S6_ENKUlvE0_clEvENKUlvE_clEvEUldE_EEvS4_RKT_EUlibE0_EEviT1_
    .private_segment_fixed_size: 0
    .sgpr_count:     90
    .sgpr_spill_count: 0
    .symbol:         _ZN2at6native32elementwise_kernel_manual_unrollILi128ELi4EZNS0_15gpu_kernel_implIZZZNS0_22nan_to_num_kernel_cudaERNS_18TensorIteratorBaseESt8optionalIdES6_S6_ENKUlvE0_clEvENKUlvE_clEvEUldE_EEvS4_RKT_EUlibE0_EEviT1_.kd
    .uniform_work_group_size: 1
    .uses_dynamic_stack: false
    .vgpr_count:     22
    .vgpr_spill_count: 0
    .wavefront_size: 64
  - .agpr_count:     0
    .args:
      - .offset:         0
        .size:           4
        .value_kind:     by_value
      - .offset:         4
        .size:           12
        .value_kind:     by_value
      - .offset:         16
        .size:           16
        .value_kind:     by_value
    .group_segment_fixed_size: 0
    .kernarg_segment_align: 8
    .kernarg_segment_size: 32
    .language:       OpenCL C
    .language_version:
      - 2
      - 0
    .max_flat_workgroup_size: 256
    .name:           _ZN2at6native29vectorized_elementwise_kernelILi16EZZZNS0_22nan_to_num_kernel_cudaERNS_18TensorIteratorBaseESt8optionalIdES5_S5_ENKUlvE0_clEvENKUlvE0_clEvEUlfE_St5arrayIPcLm2EEEEviT0_T1_
    .private_segment_fixed_size: 0
    .sgpr_count:     23
    .sgpr_spill_count: 0
    .symbol:         _ZN2at6native29vectorized_elementwise_kernelILi16EZZZNS0_22nan_to_num_kernel_cudaERNS_18TensorIteratorBaseESt8optionalIdES5_S5_ENKUlvE0_clEvENKUlvE0_clEvEUlfE_St5arrayIPcLm2EEEEviT0_T1_.kd
    .uniform_work_group_size: 1
    .uses_dynamic_stack: false
    .vgpr_count:     10
    .vgpr_spill_count: 0
    .wavefront_size: 64
  - .agpr_count:     0
    .args:
      - .offset:         0
        .size:           4
        .value_kind:     by_value
      - .offset:         4
        .size:           12
        .value_kind:     by_value
      - .offset:         16
        .size:           16
        .value_kind:     by_value
    .group_segment_fixed_size: 0
    .kernarg_segment_align: 8
    .kernarg_segment_size: 32
    .language:       OpenCL C
    .language_version:
      - 2
      - 0
    .max_flat_workgroup_size: 256
    .name:           _ZN2at6native29vectorized_elementwise_kernelILi8EZZZNS0_22nan_to_num_kernel_cudaERNS_18TensorIteratorBaseESt8optionalIdES5_S5_ENKUlvE0_clEvENKUlvE0_clEvEUlfE_St5arrayIPcLm2EEEEviT0_T1_
    .private_segment_fixed_size: 0
    .sgpr_count:     23
    .sgpr_spill_count: 0
    .symbol:         _ZN2at6native29vectorized_elementwise_kernelILi8EZZZNS0_22nan_to_num_kernel_cudaERNS_18TensorIteratorBaseESt8optionalIdES5_S5_ENKUlvE0_clEvENKUlvE0_clEvEUlfE_St5arrayIPcLm2EEEEviT0_T1_.kd
    .uniform_work_group_size: 1
    .uses_dynamic_stack: false
    .vgpr_count:     10
    .vgpr_spill_count: 0
    .wavefront_size: 64
  - .agpr_count:     0
    .args:
      - .offset:         0
        .size:           4
        .value_kind:     by_value
      - .offset:         4
        .size:           12
        .value_kind:     by_value
      - .offset:         16
        .size:           16
        .value_kind:     by_value
    .group_segment_fixed_size: 0
    .kernarg_segment_align: 8
    .kernarg_segment_size: 32
    .language:       OpenCL C
    .language_version:
      - 2
      - 0
    .max_flat_workgroup_size: 256
    .name:           _ZN2at6native29vectorized_elementwise_kernelILi4EZZZNS0_22nan_to_num_kernel_cudaERNS_18TensorIteratorBaseESt8optionalIdES5_S5_ENKUlvE0_clEvENKUlvE0_clEvEUlfE_St5arrayIPcLm2EEEEviT0_T1_
    .private_segment_fixed_size: 0
    .sgpr_count:     23
    .sgpr_spill_count: 0
    .symbol:         _ZN2at6native29vectorized_elementwise_kernelILi4EZZZNS0_22nan_to_num_kernel_cudaERNS_18TensorIteratorBaseESt8optionalIdES5_S5_ENKUlvE0_clEvENKUlvE0_clEvEUlfE_St5arrayIPcLm2EEEEviT0_T1_.kd
    .uniform_work_group_size: 1
    .uses_dynamic_stack: false
    .vgpr_count:     10
    .vgpr_spill_count: 0
    .wavefront_size: 64
  - .agpr_count:     0
    .args:
      - .offset:         0
        .size:           4
        .value_kind:     by_value
      - .offset:         4
        .size:           12
        .value_kind:     by_value
      - .offset:         16
        .size:           16
        .value_kind:     by_value
    .group_segment_fixed_size: 0
    .kernarg_segment_align: 8
    .kernarg_segment_size: 32
    .language:       OpenCL C
    .language_version:
      - 2
      - 0
    .max_flat_workgroup_size: 256
    .name:           _ZN2at6native29vectorized_elementwise_kernelILi2EZZZNS0_22nan_to_num_kernel_cudaERNS_18TensorIteratorBaseESt8optionalIdES5_S5_ENKUlvE0_clEvENKUlvE0_clEvEUlfE_St5arrayIPcLm2EEEEviT0_T1_
    .private_segment_fixed_size: 0
    .sgpr_count:     23
    .sgpr_spill_count: 0
    .symbol:         _ZN2at6native29vectorized_elementwise_kernelILi2EZZZNS0_22nan_to_num_kernel_cudaERNS_18TensorIteratorBaseESt8optionalIdES5_S5_ENKUlvE0_clEvENKUlvE0_clEvEUlfE_St5arrayIPcLm2EEEEviT0_T1_.kd
    .uniform_work_group_size: 1
    .uses_dynamic_stack: false
    .vgpr_count:     10
    .vgpr_spill_count: 0
    .wavefront_size: 64
  - .agpr_count:     0
    .args:
      - .offset:         0
        .size:           4
        .value_kind:     by_value
      - .offset:         4
        .size:           12
        .value_kind:     by_value
      - .offset:         16
        .size:           16
        .value_kind:     by_value
      - .offset:         32
        .size:           1
        .value_kind:     by_value
      - .offset:         33
        .size:           1
        .value_kind:     by_value
      - .offset:         34
        .size:           1
        .value_kind:     by_value
      - .offset:         35
        .size:           1
        .value_kind:     by_value
    .group_segment_fixed_size: 0
    .kernarg_segment_align: 8
    .kernarg_segment_size: 36
    .language:       OpenCL C
    .language_version:
      - 2
      - 0
    .max_flat_workgroup_size: 256
    .name:           _ZN2at6native27unrolled_elementwise_kernelIZZZNS0_22nan_to_num_kernel_cudaERNS_18TensorIteratorBaseESt8optionalIdES5_S5_ENKUlvE0_clEvENKUlvE0_clEvEUlfE_St5arrayIPcLm2EELi4E23TrivialOffsetCalculatorILi1EjESD_NS0_6memory15LoadWithoutCastENSE_16StoreWithoutCastEEEviT_T0_T2_T3_T4_T5_
    .private_segment_fixed_size: 0
    .sgpr_count:     22
    .sgpr_spill_count: 0
    .symbol:         _ZN2at6native27unrolled_elementwise_kernelIZZZNS0_22nan_to_num_kernel_cudaERNS_18TensorIteratorBaseESt8optionalIdES5_S5_ENKUlvE0_clEvENKUlvE0_clEvEUlfE_St5arrayIPcLm2EELi4E23TrivialOffsetCalculatorILi1EjESD_NS0_6memory15LoadWithoutCastENSE_16StoreWithoutCastEEEviT_T0_T2_T3_T4_T5_.kd
    .uniform_work_group_size: 1
    .uses_dynamic_stack: false
    .vgpr_count:     10
    .vgpr_spill_count: 0
    .wavefront_size: 64
  - .agpr_count:     0
    .args:
      - .offset:         0
        .size:           4
        .value_kind:     by_value
      - .offset:         8
        .size:           360
        .value_kind:     by_value
    .group_segment_fixed_size: 0
    .kernarg_segment_align: 8
    .kernarg_segment_size: 368
    .language:       OpenCL C
    .language_version:
      - 2
      - 0
    .max_flat_workgroup_size: 128
    .name:           _ZN2at6native32elementwise_kernel_manual_unrollILi128ELi4EZNS0_22gpu_kernel_impl_nocastIZZZNS0_22nan_to_num_kernel_cudaERNS_18TensorIteratorBaseESt8optionalIdES6_S6_ENKUlvE0_clEvENKUlvE0_clEvEUlfE_EEvS4_RKT_EUlibE_EEviT1_
    .private_segment_fixed_size: 0
    .sgpr_count:     69
    .sgpr_spill_count: 0
    .symbol:         _ZN2at6native32elementwise_kernel_manual_unrollILi128ELi4EZNS0_22gpu_kernel_impl_nocastIZZZNS0_22nan_to_num_kernel_cudaERNS_18TensorIteratorBaseESt8optionalIdES6_S6_ENKUlvE0_clEvENKUlvE0_clEvEUlfE_EEvS4_RKT_EUlibE_EEviT1_.kd
    .uniform_work_group_size: 1
    .uses_dynamic_stack: false
    .vgpr_count:     17
    .vgpr_spill_count: 0
    .wavefront_size: 64
  - .agpr_count:     0
    .args:
      - .offset:         0
        .size:           4
        .value_kind:     by_value
      - .offset:         8
        .size:           40
        .value_kind:     by_value
    .group_segment_fixed_size: 0
    .kernarg_segment_align: 8
    .kernarg_segment_size: 48
    .language:       OpenCL C
    .language_version:
      - 2
      - 0
    .max_flat_workgroup_size: 128
    .name:           _ZN2at6native32elementwise_kernel_manual_unrollILi128ELi4EZNS0_15gpu_kernel_implIZZZNS0_22nan_to_num_kernel_cudaERNS_18TensorIteratorBaseESt8optionalIdES6_S6_ENKUlvE0_clEvENKUlvE0_clEvEUlfE_EEvS4_RKT_EUlibE_EEviT1_
    .private_segment_fixed_size: 0
    .sgpr_count:     53
    .sgpr_spill_count: 0
    .symbol:         _ZN2at6native32elementwise_kernel_manual_unrollILi128ELi4EZNS0_15gpu_kernel_implIZZZNS0_22nan_to_num_kernel_cudaERNS_18TensorIteratorBaseESt8optionalIdES6_S6_ENKUlvE0_clEvENKUlvE0_clEvEUlfE_EEvS4_RKT_EUlibE_EEviT1_.kd
    .uniform_work_group_size: 1
    .uses_dynamic_stack: false
    .vgpr_count:     16
    .vgpr_spill_count: 0
    .wavefront_size: 64
  - .agpr_count:     0
    .args:
      - .offset:         0
        .size:           4
        .value_kind:     by_value
      - .offset:         8
        .size:           360
        .value_kind:     by_value
    .group_segment_fixed_size: 0
    .kernarg_segment_align: 8
    .kernarg_segment_size: 368
    .language:       OpenCL C
    .language_version:
      - 2
      - 0
    .max_flat_workgroup_size: 128
    .name:           _ZN2at6native32elementwise_kernel_manual_unrollILi128ELi4EZNS0_15gpu_kernel_implIZZZNS0_22nan_to_num_kernel_cudaERNS_18TensorIteratorBaseESt8optionalIdES6_S6_ENKUlvE0_clEvENKUlvE0_clEvEUlfE_EEvS4_RKT_EUlibE0_EEviT1_
    .private_segment_fixed_size: 0
    .sgpr_count:     87
    .sgpr_spill_count: 0
    .symbol:         _ZN2at6native32elementwise_kernel_manual_unrollILi128ELi4EZNS0_15gpu_kernel_implIZZZNS0_22nan_to_num_kernel_cudaERNS_18TensorIteratorBaseESt8optionalIdES6_S6_ENKUlvE0_clEvENKUlvE0_clEvEUlfE_EEvS4_RKT_EUlibE0_EEviT1_.kd
    .uniform_work_group_size: 1
    .uses_dynamic_stack: false
    .vgpr_count:     20
    .vgpr_spill_count: 0
    .wavefront_size: 64
  - .agpr_count:     0
    .args:
      - .offset:         0
        .size:           4
        .value_kind:     by_value
      - .offset:         4
        .size:           6
        .value_kind:     by_value
      - .offset:         16
        .size:           16
        .value_kind:     by_value
    .group_segment_fixed_size: 0
    .kernarg_segment_align: 8
    .kernarg_segment_size: 32
    .language:       OpenCL C
    .language_version:
      - 2
      - 0
    .max_flat_workgroup_size: 256
    .name:           _ZN2at6native29vectorized_elementwise_kernelILi16EZZZNS0_22nan_to_num_kernel_cudaERNS_18TensorIteratorBaseESt8optionalIdES5_S5_ENKUlvE0_clEvENKUlvE1_clEvEUlN3c104HalfEE_St5arrayIPcLm2EEEEviT0_T1_
    .private_segment_fixed_size: 0
    .sgpr_count:     22
    .sgpr_spill_count: 0
    .symbol:         _ZN2at6native29vectorized_elementwise_kernelILi16EZZZNS0_22nan_to_num_kernel_cudaERNS_18TensorIteratorBaseESt8optionalIdES5_S5_ENKUlvE0_clEvENKUlvE1_clEvEUlN3c104HalfEE_St5arrayIPcLm2EEEEviT0_T1_.kd
    .uniform_work_group_size: 1
    .uses_dynamic_stack: false
    .vgpr_count:     14
    .vgpr_spill_count: 0
    .wavefront_size: 64
  - .agpr_count:     0
    .args:
      - .offset:         0
        .size:           4
        .value_kind:     by_value
      - .offset:         4
        .size:           6
        .value_kind:     by_value
      - .offset:         16
        .size:           16
        .value_kind:     by_value
    .group_segment_fixed_size: 0
    .kernarg_segment_align: 8
    .kernarg_segment_size: 32
    .language:       OpenCL C
    .language_version:
      - 2
      - 0
    .max_flat_workgroup_size: 256
    .name:           _ZN2at6native29vectorized_elementwise_kernelILi8EZZZNS0_22nan_to_num_kernel_cudaERNS_18TensorIteratorBaseESt8optionalIdES5_S5_ENKUlvE0_clEvENKUlvE1_clEvEUlN3c104HalfEE_St5arrayIPcLm2EEEEviT0_T1_
    .private_segment_fixed_size: 0
    .sgpr_count:     22
    .sgpr_spill_count: 0
    .symbol:         _ZN2at6native29vectorized_elementwise_kernelILi8EZZZNS0_22nan_to_num_kernel_cudaERNS_18TensorIteratorBaseESt8optionalIdES5_S5_ENKUlvE0_clEvENKUlvE1_clEvEUlN3c104HalfEE_St5arrayIPcLm2EEEEviT0_T1_.kd
    .uniform_work_group_size: 1
    .uses_dynamic_stack: false
    .vgpr_count:     14
    .vgpr_spill_count: 0
    .wavefront_size: 64
  - .agpr_count:     0
    .args:
      - .offset:         0
        .size:           4
        .value_kind:     by_value
      - .offset:         4
        .size:           6
        .value_kind:     by_value
      - .offset:         16
        .size:           16
        .value_kind:     by_value
    .group_segment_fixed_size: 0
    .kernarg_segment_align: 8
    .kernarg_segment_size: 32
    .language:       OpenCL C
    .language_version:
      - 2
      - 0
    .max_flat_workgroup_size: 256
    .name:           _ZN2at6native29vectorized_elementwise_kernelILi4EZZZNS0_22nan_to_num_kernel_cudaERNS_18TensorIteratorBaseESt8optionalIdES5_S5_ENKUlvE0_clEvENKUlvE1_clEvEUlN3c104HalfEE_St5arrayIPcLm2EEEEviT0_T1_
    .private_segment_fixed_size: 0
    .sgpr_count:     22
    .sgpr_spill_count: 0
    .symbol:         _ZN2at6native29vectorized_elementwise_kernelILi4EZZZNS0_22nan_to_num_kernel_cudaERNS_18TensorIteratorBaseESt8optionalIdES5_S5_ENKUlvE0_clEvENKUlvE1_clEvEUlN3c104HalfEE_St5arrayIPcLm2EEEEviT0_T1_.kd
    .uniform_work_group_size: 1
    .uses_dynamic_stack: false
    .vgpr_count:     14
    .vgpr_spill_count: 0
    .wavefront_size: 64
  - .agpr_count:     0
    .args:
      - .offset:         0
        .size:           4
        .value_kind:     by_value
      - .offset:         4
        .size:           6
        .value_kind:     by_value
      - .offset:         16
        .size:           16
        .value_kind:     by_value
    .group_segment_fixed_size: 0
    .kernarg_segment_align: 8
    .kernarg_segment_size: 32
    .language:       OpenCL C
    .language_version:
      - 2
      - 0
    .max_flat_workgroup_size: 256
    .name:           _ZN2at6native29vectorized_elementwise_kernelILi2EZZZNS0_22nan_to_num_kernel_cudaERNS_18TensorIteratorBaseESt8optionalIdES5_S5_ENKUlvE0_clEvENKUlvE1_clEvEUlN3c104HalfEE_St5arrayIPcLm2EEEEviT0_T1_
    .private_segment_fixed_size: 0
    .sgpr_count:     22
    .sgpr_spill_count: 0
    .symbol:         _ZN2at6native29vectorized_elementwise_kernelILi2EZZZNS0_22nan_to_num_kernel_cudaERNS_18TensorIteratorBaseESt8optionalIdES5_S5_ENKUlvE0_clEvENKUlvE1_clEvEUlN3c104HalfEE_St5arrayIPcLm2EEEEviT0_T1_.kd
    .uniform_work_group_size: 1
    .uses_dynamic_stack: false
    .vgpr_count:     14
    .vgpr_spill_count: 0
    .wavefront_size: 64
  - .agpr_count:     0
    .args:
      - .offset:         0
        .size:           4
        .value_kind:     by_value
      - .offset:         4
        .size:           6
        .value_kind:     by_value
      - .offset:         16
        .size:           16
        .value_kind:     by_value
      - .offset:         32
        .size:           1
        .value_kind:     by_value
      - .offset:         33
        .size:           1
        .value_kind:     by_value
      - .offset:         34
        .size:           1
        .value_kind:     by_value
      - .offset:         35
        .size:           1
        .value_kind:     by_value
    .group_segment_fixed_size: 0
    .kernarg_segment_align: 8
    .kernarg_segment_size: 36
    .language:       OpenCL C
    .language_version:
      - 2
      - 0
    .max_flat_workgroup_size: 256
    .name:           _ZN2at6native27unrolled_elementwise_kernelIZZZNS0_22nan_to_num_kernel_cudaERNS_18TensorIteratorBaseESt8optionalIdES5_S5_ENKUlvE0_clEvENKUlvE1_clEvEUlN3c104HalfEE_St5arrayIPcLm2EELi4E23TrivialOffsetCalculatorILi1EjESF_NS0_6memory15LoadWithoutCastENSG_16StoreWithoutCastEEEviT_T0_T2_T3_T4_T5_
    .private_segment_fixed_size: 0
    .sgpr_count:     21
    .sgpr_spill_count: 0
    .symbol:         _ZN2at6native27unrolled_elementwise_kernelIZZZNS0_22nan_to_num_kernel_cudaERNS_18TensorIteratorBaseESt8optionalIdES5_S5_ENKUlvE0_clEvENKUlvE1_clEvEUlN3c104HalfEE_St5arrayIPcLm2EELi4E23TrivialOffsetCalculatorILi1EjESF_NS0_6memory15LoadWithoutCastENSG_16StoreWithoutCastEEEviT_T0_T2_T3_T4_T5_.kd
    .uniform_work_group_size: 1
    .uses_dynamic_stack: false
    .vgpr_count:     10
    .vgpr_spill_count: 0
    .wavefront_size: 64
  - .agpr_count:     0
    .args:
      - .offset:         0
        .size:           4
        .value_kind:     by_value
      - .offset:         8
        .size:           352
        .value_kind:     by_value
    .group_segment_fixed_size: 0
    .kernarg_segment_align: 8
    .kernarg_segment_size: 360
    .language:       OpenCL C
    .language_version:
      - 2
      - 0
    .max_flat_workgroup_size: 128
    .name:           _ZN2at6native32elementwise_kernel_manual_unrollILi128ELi8EZNS0_22gpu_kernel_impl_nocastIZZZNS0_22nan_to_num_kernel_cudaERNS_18TensorIteratorBaseESt8optionalIdES6_S6_ENKUlvE0_clEvENKUlvE1_clEvEUlN3c104HalfEE_EEvS4_RKT_EUlibE_EEviT1_
    .private_segment_fixed_size: 0
    .sgpr_count:     71
    .sgpr_spill_count: 0
    .symbol:         _ZN2at6native32elementwise_kernel_manual_unrollILi128ELi8EZNS0_22gpu_kernel_impl_nocastIZZZNS0_22nan_to_num_kernel_cudaERNS_18TensorIteratorBaseESt8optionalIdES6_S6_ENKUlvE0_clEvENKUlvE1_clEvEUlN3c104HalfEE_EEvS4_RKT_EUlibE_EEviT1_.kd
    .uniform_work_group_size: 1
    .uses_dynamic_stack: false
    .vgpr_count:     33
    .vgpr_spill_count: 0
    .wavefront_size: 64
  - .agpr_count:     0
    .args:
      - .offset:         0
        .size:           4
        .value_kind:     by_value
      - .offset:         8
        .size:           32
        .value_kind:     by_value
    .group_segment_fixed_size: 0
    .kernarg_segment_align: 8
    .kernarg_segment_size: 40
    .language:       OpenCL C
    .language_version:
      - 2
      - 0
    .max_flat_workgroup_size: 128
    .name:           _ZN2at6native32elementwise_kernel_manual_unrollILi128ELi4EZNS0_15gpu_kernel_implIZZZNS0_22nan_to_num_kernel_cudaERNS_18TensorIteratorBaseESt8optionalIdES6_S6_ENKUlvE0_clEvENKUlvE1_clEvEUlN3c104HalfEE_EEvS4_RKT_EUlibE_EEviT1_
    .private_segment_fixed_size: 0
    .sgpr_count:     53
    .sgpr_spill_count: 0
    .symbol:         _ZN2at6native32elementwise_kernel_manual_unrollILi128ELi4EZNS0_15gpu_kernel_implIZZZNS0_22nan_to_num_kernel_cudaERNS_18TensorIteratorBaseESt8optionalIdES6_S6_ENKUlvE0_clEvENKUlvE1_clEvEUlN3c104HalfEE_EEvS4_RKT_EUlibE_EEviT1_.kd
    .uniform_work_group_size: 1
    .uses_dynamic_stack: false
    .vgpr_count:     14
    .vgpr_spill_count: 0
    .wavefront_size: 64
  - .agpr_count:     0
    .args:
      - .offset:         0
        .size:           4
        .value_kind:     by_value
      - .offset:         8
        .size:           352
        .value_kind:     by_value
    .group_segment_fixed_size: 0
    .kernarg_segment_align: 8
    .kernarg_segment_size: 360
    .language:       OpenCL C
    .language_version:
      - 2
      - 0
    .max_flat_workgroup_size: 128
    .name:           _ZN2at6native32elementwise_kernel_manual_unrollILi128ELi4EZNS0_15gpu_kernel_implIZZZNS0_22nan_to_num_kernel_cudaERNS_18TensorIteratorBaseESt8optionalIdES6_S6_ENKUlvE0_clEvENKUlvE1_clEvEUlN3c104HalfEE_EEvS4_RKT_EUlibE0_EEviT1_
    .private_segment_fixed_size: 0
    .sgpr_count:     87
    .sgpr_spill_count: 0
    .symbol:         _ZN2at6native32elementwise_kernel_manual_unrollILi128ELi4EZNS0_15gpu_kernel_implIZZZNS0_22nan_to_num_kernel_cudaERNS_18TensorIteratorBaseESt8optionalIdES6_S6_ENKUlvE0_clEvENKUlvE1_clEvEUlN3c104HalfEE_EEvS4_RKT_EUlibE0_EEviT1_.kd
    .uniform_work_group_size: 1
    .uses_dynamic_stack: false
    .vgpr_count:     18
    .vgpr_spill_count: 0
    .wavefront_size: 64
  - .agpr_count:     0
    .args:
      - .offset:         0
        .size:           4
        .value_kind:     by_value
      - .offset:         4
        .size:           6
        .value_kind:     by_value
      - .offset:         16
        .size:           16
        .value_kind:     by_value
    .group_segment_fixed_size: 0
    .kernarg_segment_align: 8
    .kernarg_segment_size: 32
    .language:       OpenCL C
    .language_version:
      - 2
      - 0
    .max_flat_workgroup_size: 256
    .name:           _ZN2at6native29vectorized_elementwise_kernelILi16EZZZNS0_22nan_to_num_kernel_cudaERNS_18TensorIteratorBaseESt8optionalIdES5_S5_ENKUlvE0_clEvENKUlvE2_clEvEUlN3c108BFloat16EE_St5arrayIPcLm2EEEEviT0_T1_
    .private_segment_fixed_size: 0
    .sgpr_count:     22
    .sgpr_spill_count: 0
    .symbol:         _ZN2at6native29vectorized_elementwise_kernelILi16EZZZNS0_22nan_to_num_kernel_cudaERNS_18TensorIteratorBaseESt8optionalIdES5_S5_ENKUlvE0_clEvENKUlvE2_clEvEUlN3c108BFloat16EE_St5arrayIPcLm2EEEEviT0_T1_.kd
    .uniform_work_group_size: 1
    .uses_dynamic_stack: false
    .vgpr_count:     14
    .vgpr_spill_count: 0
    .wavefront_size: 64
  - .agpr_count:     0
    .args:
      - .offset:         0
        .size:           4
        .value_kind:     by_value
      - .offset:         4
        .size:           6
        .value_kind:     by_value
      - .offset:         16
        .size:           16
        .value_kind:     by_value
    .group_segment_fixed_size: 0
    .kernarg_segment_align: 8
    .kernarg_segment_size: 32
    .language:       OpenCL C
    .language_version:
      - 2
      - 0
    .max_flat_workgroup_size: 256
    .name:           _ZN2at6native29vectorized_elementwise_kernelILi8EZZZNS0_22nan_to_num_kernel_cudaERNS_18TensorIteratorBaseESt8optionalIdES5_S5_ENKUlvE0_clEvENKUlvE2_clEvEUlN3c108BFloat16EE_St5arrayIPcLm2EEEEviT0_T1_
    .private_segment_fixed_size: 0
    .sgpr_count:     22
    .sgpr_spill_count: 0
    .symbol:         _ZN2at6native29vectorized_elementwise_kernelILi8EZZZNS0_22nan_to_num_kernel_cudaERNS_18TensorIteratorBaseESt8optionalIdES5_S5_ENKUlvE0_clEvENKUlvE2_clEvEUlN3c108BFloat16EE_St5arrayIPcLm2EEEEviT0_T1_.kd
    .uniform_work_group_size: 1
    .uses_dynamic_stack: false
    .vgpr_count:     14
    .vgpr_spill_count: 0
    .wavefront_size: 64
  - .agpr_count:     0
    .args:
      - .offset:         0
        .size:           4
        .value_kind:     by_value
      - .offset:         4
        .size:           6
        .value_kind:     by_value
      - .offset:         16
        .size:           16
        .value_kind:     by_value
    .group_segment_fixed_size: 0
    .kernarg_segment_align: 8
    .kernarg_segment_size: 32
    .language:       OpenCL C
    .language_version:
      - 2
      - 0
    .max_flat_workgroup_size: 256
    .name:           _ZN2at6native29vectorized_elementwise_kernelILi4EZZZNS0_22nan_to_num_kernel_cudaERNS_18TensorIteratorBaseESt8optionalIdES5_S5_ENKUlvE0_clEvENKUlvE2_clEvEUlN3c108BFloat16EE_St5arrayIPcLm2EEEEviT0_T1_
    .private_segment_fixed_size: 0
    .sgpr_count:     22
    .sgpr_spill_count: 0
    .symbol:         _ZN2at6native29vectorized_elementwise_kernelILi4EZZZNS0_22nan_to_num_kernel_cudaERNS_18TensorIteratorBaseESt8optionalIdES5_S5_ENKUlvE0_clEvENKUlvE2_clEvEUlN3c108BFloat16EE_St5arrayIPcLm2EEEEviT0_T1_.kd
    .uniform_work_group_size: 1
    .uses_dynamic_stack: false
    .vgpr_count:     14
    .vgpr_spill_count: 0
    .wavefront_size: 64
  - .agpr_count:     0
    .args:
      - .offset:         0
        .size:           4
        .value_kind:     by_value
      - .offset:         4
        .size:           6
        .value_kind:     by_value
      - .offset:         16
        .size:           16
        .value_kind:     by_value
    .group_segment_fixed_size: 0
    .kernarg_segment_align: 8
    .kernarg_segment_size: 32
    .language:       OpenCL C
    .language_version:
      - 2
      - 0
    .max_flat_workgroup_size: 256
    .name:           _ZN2at6native29vectorized_elementwise_kernelILi2EZZZNS0_22nan_to_num_kernel_cudaERNS_18TensorIteratorBaseESt8optionalIdES5_S5_ENKUlvE0_clEvENKUlvE2_clEvEUlN3c108BFloat16EE_St5arrayIPcLm2EEEEviT0_T1_
    .private_segment_fixed_size: 0
    .sgpr_count:     22
    .sgpr_spill_count: 0
    .symbol:         _ZN2at6native29vectorized_elementwise_kernelILi2EZZZNS0_22nan_to_num_kernel_cudaERNS_18TensorIteratorBaseESt8optionalIdES5_S5_ENKUlvE0_clEvENKUlvE2_clEvEUlN3c108BFloat16EE_St5arrayIPcLm2EEEEviT0_T1_.kd
    .uniform_work_group_size: 1
    .uses_dynamic_stack: false
    .vgpr_count:     14
    .vgpr_spill_count: 0
    .wavefront_size: 64
  - .agpr_count:     0
    .args:
      - .offset:         0
        .size:           4
        .value_kind:     by_value
      - .offset:         4
        .size:           6
        .value_kind:     by_value
      - .offset:         16
        .size:           16
        .value_kind:     by_value
      - .offset:         32
        .size:           1
        .value_kind:     by_value
      - .offset:         33
        .size:           1
        .value_kind:     by_value
      - .offset:         34
        .size:           1
        .value_kind:     by_value
      - .offset:         35
        .size:           1
        .value_kind:     by_value
    .group_segment_fixed_size: 0
    .kernarg_segment_align: 8
    .kernarg_segment_size: 36
    .language:       OpenCL C
    .language_version:
      - 2
      - 0
    .max_flat_workgroup_size: 256
    .name:           _ZN2at6native27unrolled_elementwise_kernelIZZZNS0_22nan_to_num_kernel_cudaERNS_18TensorIteratorBaseESt8optionalIdES5_S5_ENKUlvE0_clEvENKUlvE2_clEvEUlN3c108BFloat16EE_St5arrayIPcLm2EELi4E23TrivialOffsetCalculatorILi1EjESF_NS0_6memory15LoadWithoutCastENSG_16StoreWithoutCastEEEviT_T0_T2_T3_T4_T5_
    .private_segment_fixed_size: 0
    .sgpr_count:     21
    .sgpr_spill_count: 0
    .symbol:         _ZN2at6native27unrolled_elementwise_kernelIZZZNS0_22nan_to_num_kernel_cudaERNS_18TensorIteratorBaseESt8optionalIdES5_S5_ENKUlvE0_clEvENKUlvE2_clEvEUlN3c108BFloat16EE_St5arrayIPcLm2EELi4E23TrivialOffsetCalculatorILi1EjESF_NS0_6memory15LoadWithoutCastENSG_16StoreWithoutCastEEEviT_T0_T2_T3_T4_T5_.kd
    .uniform_work_group_size: 1
    .uses_dynamic_stack: false
    .vgpr_count:     10
    .vgpr_spill_count: 0
    .wavefront_size: 64
  - .agpr_count:     0
    .args:
      - .offset:         0
        .size:           4
        .value_kind:     by_value
      - .offset:         8
        .size:           352
        .value_kind:     by_value
    .group_segment_fixed_size: 0
    .kernarg_segment_align: 8
    .kernarg_segment_size: 360
    .language:       OpenCL C
    .language_version:
      - 2
      - 0
    .max_flat_workgroup_size: 128
    .name:           _ZN2at6native32elementwise_kernel_manual_unrollILi128ELi8EZNS0_22gpu_kernel_impl_nocastIZZZNS0_22nan_to_num_kernel_cudaERNS_18TensorIteratorBaseESt8optionalIdES6_S6_ENKUlvE0_clEvENKUlvE2_clEvEUlN3c108BFloat16EE_EEvS4_RKT_EUlibE_EEviT1_
    .private_segment_fixed_size: 0
    .sgpr_count:     71
    .sgpr_spill_count: 0
    .symbol:         _ZN2at6native32elementwise_kernel_manual_unrollILi128ELi8EZNS0_22gpu_kernel_impl_nocastIZZZNS0_22nan_to_num_kernel_cudaERNS_18TensorIteratorBaseESt8optionalIdES6_S6_ENKUlvE0_clEvENKUlvE2_clEvEUlN3c108BFloat16EE_EEvS4_RKT_EUlibE_EEviT1_.kd
    .uniform_work_group_size: 1
    .uses_dynamic_stack: false
    .vgpr_count:     33
    .vgpr_spill_count: 0
    .wavefront_size: 64
  - .agpr_count:     0
    .args:
      - .offset:         0
        .size:           4
        .value_kind:     by_value
      - .offset:         8
        .size:           32
        .value_kind:     by_value
    .group_segment_fixed_size: 0
    .kernarg_segment_align: 8
    .kernarg_segment_size: 40
    .language:       OpenCL C
    .language_version:
      - 2
      - 0
    .max_flat_workgroup_size: 128
    .name:           _ZN2at6native32elementwise_kernel_manual_unrollILi128ELi4EZNS0_15gpu_kernel_implIZZZNS0_22nan_to_num_kernel_cudaERNS_18TensorIteratorBaseESt8optionalIdES6_S6_ENKUlvE0_clEvENKUlvE2_clEvEUlN3c108BFloat16EE_EEvS4_RKT_EUlibE_EEviT1_
    .private_segment_fixed_size: 0
    .sgpr_count:     53
    .sgpr_spill_count: 0
    .symbol:         _ZN2at6native32elementwise_kernel_manual_unrollILi128ELi4EZNS0_15gpu_kernel_implIZZZNS0_22nan_to_num_kernel_cudaERNS_18TensorIteratorBaseESt8optionalIdES6_S6_ENKUlvE0_clEvENKUlvE2_clEvEUlN3c108BFloat16EE_EEvS4_RKT_EUlibE_EEviT1_.kd
    .uniform_work_group_size: 1
    .uses_dynamic_stack: false
    .vgpr_count:     14
    .vgpr_spill_count: 0
    .wavefront_size: 64
  - .agpr_count:     0
    .args:
      - .offset:         0
        .size:           4
        .value_kind:     by_value
      - .offset:         8
        .size:           352
        .value_kind:     by_value
    .group_segment_fixed_size: 0
    .kernarg_segment_align: 8
    .kernarg_segment_size: 360
    .language:       OpenCL C
    .language_version:
      - 2
      - 0
    .max_flat_workgroup_size: 128
    .name:           _ZN2at6native32elementwise_kernel_manual_unrollILi128ELi4EZNS0_15gpu_kernel_implIZZZNS0_22nan_to_num_kernel_cudaERNS_18TensorIteratorBaseESt8optionalIdES6_S6_ENKUlvE0_clEvENKUlvE2_clEvEUlN3c108BFloat16EE_EEvS4_RKT_EUlibE0_EEviT1_
    .private_segment_fixed_size: 0
    .sgpr_count:     87
    .sgpr_spill_count: 0
    .symbol:         _ZN2at6native32elementwise_kernel_manual_unrollILi128ELi4EZNS0_15gpu_kernel_implIZZZNS0_22nan_to_num_kernel_cudaERNS_18TensorIteratorBaseESt8optionalIdES6_S6_ENKUlvE0_clEvENKUlvE2_clEvEUlN3c108BFloat16EE_EEvS4_RKT_EUlibE0_EEviT1_.kd
    .uniform_work_group_size: 1
    .uses_dynamic_stack: false
    .vgpr_count:     18
    .vgpr_spill_count: 0
    .wavefront_size: 64
  - .agpr_count:     0
    .args:
      - .offset:         0
        .size:           4
        .value_kind:     by_value
      - .offset:         4
        .size:           1
        .value_kind:     by_value
      - .offset:         8
        .size:           24
        .value_kind:     by_value
      - .offset:         32
        .size:           1
        .value_kind:     by_value
      - .offset:         33
        .size:           1
        .value_kind:     by_value
    .group_segment_fixed_size: 0
    .kernarg_segment_align: 8
    .kernarg_segment_size: 36
    .language:       OpenCL C
    .language_version:
      - 2
      - 0
    .max_flat_workgroup_size: 256
    .name:           _ZN2at6native12_GLOBAL__N_145unrolled_elementwise_kernel_for_multi_outputsILi2EZZZNS0_17frexp_kernel_cudaERNS_18TensorIteratorBaseEENKUlvE_clEvENKUlvE_clEvEUldE_St5arrayIPcLm3EE23TrivialOffsetCalculatorILi1EjESB_ILi2EjEEEviT0_T1_T2_T3_
    .private_segment_fixed_size: 0
    .sgpr_count:     24
    .sgpr_spill_count: 0
    .symbol:         _ZN2at6native12_GLOBAL__N_145unrolled_elementwise_kernel_for_multi_outputsILi2EZZZNS0_17frexp_kernel_cudaERNS_18TensorIteratorBaseEENKUlvE_clEvENKUlvE_clEvEUldE_St5arrayIPcLm3EE23TrivialOffsetCalculatorILi1EjESB_ILi2EjEEEviT0_T1_T2_T3_.kd
    .uniform_work_group_size: 1
    .uses_dynamic_stack: false
    .vgpr_count:     15
    .vgpr_spill_count: 0
    .wavefront_size: 64
  - .agpr_count:     0
    .args:
      - .offset:         0
        .size:           4
        .value_kind:     by_value
      - .offset:         4
        .size:           1
        .value_kind:     by_value
      - .offset:         8
        .size:           24
        .value_kind:     by_value
      - .offset:         32
        .size:           260
        .value_kind:     by_value
      - .offset:         292
        .size:           324
        .value_kind:     by_value
    .group_segment_fixed_size: 0
    .kernarg_segment_align: 8
    .kernarg_segment_size: 616
    .language:       OpenCL C
    .language_version:
      - 2
      - 0
    .max_flat_workgroup_size: 256
    .name:           _ZN2at6native12_GLOBAL__N_145unrolled_elementwise_kernel_for_multi_outputsILi2EZZZNS0_17frexp_kernel_cudaERNS_18TensorIteratorBaseEENKUlvE_clEvENKUlvE_clEvEUldE_St5arrayIPcLm3EE16OffsetCalculatorILi1EjLb0EESB_ILi2EjLb0EEEEviT0_T1_T2_T3_
    .private_segment_fixed_size: 624
    .sgpr_count:     58
    .sgpr_spill_count: 0
    .symbol:         _ZN2at6native12_GLOBAL__N_145unrolled_elementwise_kernel_for_multi_outputsILi2EZZZNS0_17frexp_kernel_cudaERNS_18TensorIteratorBaseEENKUlvE_clEvENKUlvE_clEvEUldE_St5arrayIPcLm3EE16OffsetCalculatorILi1EjLb0EESB_ILi2EjLb0EEEEviT0_T1_T2_T3_.kd
    .uniform_work_group_size: 1
    .uses_dynamic_stack: false
    .vgpr_count:     42
    .vgpr_spill_count: 0
    .wavefront_size: 64
  - .agpr_count:     0
    .args:
      - .offset:         0
        .size:           4
        .value_kind:     by_value
      - .offset:         4
        .size:           1
        .value_kind:     by_value
      - .offset:         8
        .size:           24
        .value_kind:     by_value
      - .offset:         32
        .size:           1
        .value_kind:     by_value
      - .offset:         33
        .size:           1
        .value_kind:     by_value
    .group_segment_fixed_size: 0
    .kernarg_segment_align: 8
    .kernarg_segment_size: 36
    .language:       OpenCL C
    .language_version:
      - 2
      - 0
    .max_flat_workgroup_size: 256
    .name:           _ZN2at6native12_GLOBAL__N_145unrolled_elementwise_kernel_for_multi_outputsILi2EZZZNS0_17frexp_kernel_cudaERNS_18TensorIteratorBaseEENKUlvE_clEvENKUlvE0_clEvEUlfE_St5arrayIPcLm3EE23TrivialOffsetCalculatorILi1EjESB_ILi2EjEEEviT0_T1_T2_T3_
    .private_segment_fixed_size: 0
    .sgpr_count:     24
    .sgpr_spill_count: 0
    .symbol:         _ZN2at6native12_GLOBAL__N_145unrolled_elementwise_kernel_for_multi_outputsILi2EZZZNS0_17frexp_kernel_cudaERNS_18TensorIteratorBaseEENKUlvE_clEvENKUlvE0_clEvEUlfE_St5arrayIPcLm3EE23TrivialOffsetCalculatorILi1EjESB_ILi2EjEEEviT0_T1_T2_T3_.kd
    .uniform_work_group_size: 1
    .uses_dynamic_stack: false
    .vgpr_count:     14
    .vgpr_spill_count: 0
    .wavefront_size: 64
  - .agpr_count:     0
    .args:
      - .offset:         0
        .size:           4
        .value_kind:     by_value
      - .offset:         4
        .size:           1
        .value_kind:     by_value
      - .offset:         8
        .size:           24
        .value_kind:     by_value
      - .offset:         32
        .size:           260
        .value_kind:     by_value
      - .offset:         292
        .size:           324
        .value_kind:     by_value
    .group_segment_fixed_size: 0
    .kernarg_segment_align: 8
    .kernarg_segment_size: 616
    .language:       OpenCL C
    .language_version:
      - 2
      - 0
    .max_flat_workgroup_size: 256
    .name:           _ZN2at6native12_GLOBAL__N_145unrolled_elementwise_kernel_for_multi_outputsILi2EZZZNS0_17frexp_kernel_cudaERNS_18TensorIteratorBaseEENKUlvE_clEvENKUlvE0_clEvEUlfE_St5arrayIPcLm3EE16OffsetCalculatorILi1EjLb0EESB_ILi2EjLb0EEEEviT0_T1_T2_T3_
    .private_segment_fixed_size: 624
    .sgpr_count:     58
    .sgpr_spill_count: 0
    .symbol:         _ZN2at6native12_GLOBAL__N_145unrolled_elementwise_kernel_for_multi_outputsILi2EZZZNS0_17frexp_kernel_cudaERNS_18TensorIteratorBaseEENKUlvE_clEvENKUlvE0_clEvEUlfE_St5arrayIPcLm3EE16OffsetCalculatorILi1EjLb0EESB_ILi2EjLb0EEEEviT0_T1_T2_T3_.kd
    .uniform_work_group_size: 1
    .uses_dynamic_stack: false
    .vgpr_count:     40
    .vgpr_spill_count: 0
    .wavefront_size: 64
  - .agpr_count:     0
    .args:
      - .offset:         0
        .size:           4
        .value_kind:     by_value
      - .offset:         4
        .size:           1
        .value_kind:     by_value
      - .offset:         8
        .size:           24
        .value_kind:     by_value
      - .offset:         32
        .size:           1
        .value_kind:     by_value
      - .offset:         33
        .size:           1
        .value_kind:     by_value
    .group_segment_fixed_size: 0
    .kernarg_segment_align: 8
    .kernarg_segment_size: 36
    .language:       OpenCL C
    .language_version:
      - 2
      - 0
    .max_flat_workgroup_size: 256
    .name:           _ZN2at6native12_GLOBAL__N_145unrolled_elementwise_kernel_for_multi_outputsILi2EZZZNS0_17frexp_kernel_cudaERNS_18TensorIteratorBaseEENKUlvE_clEvENKUlvE1_clEvEUlN3c104HalfEE_St5arrayIPcLm3EE23TrivialOffsetCalculatorILi1EjESD_ILi2EjEEEviT0_T1_T2_T3_
    .private_segment_fixed_size: 0
    .sgpr_count:     24
    .sgpr_spill_count: 0
    .symbol:         _ZN2at6native12_GLOBAL__N_145unrolled_elementwise_kernel_for_multi_outputsILi2EZZZNS0_17frexp_kernel_cudaERNS_18TensorIteratorBaseEENKUlvE_clEvENKUlvE1_clEvEUlN3c104HalfEE_St5arrayIPcLm3EE23TrivialOffsetCalculatorILi1EjESD_ILi2EjEEEviT0_T1_T2_T3_.kd
    .uniform_work_group_size: 1
    .uses_dynamic_stack: false
    .vgpr_count:     14
    .vgpr_spill_count: 0
    .wavefront_size: 64
  - .agpr_count:     0
    .args:
      - .offset:         0
        .size:           4
        .value_kind:     by_value
      - .offset:         4
        .size:           1
        .value_kind:     by_value
      - .offset:         8
        .size:           24
        .value_kind:     by_value
      - .offset:         32
        .size:           260
        .value_kind:     by_value
      - .offset:         292
        .size:           324
        .value_kind:     by_value
    .group_segment_fixed_size: 0
    .kernarg_segment_align: 8
    .kernarg_segment_size: 616
    .language:       OpenCL C
    .language_version:
      - 2
      - 0
    .max_flat_workgroup_size: 256
    .name:           _ZN2at6native12_GLOBAL__N_145unrolled_elementwise_kernel_for_multi_outputsILi2EZZZNS0_17frexp_kernel_cudaERNS_18TensorIteratorBaseEENKUlvE_clEvENKUlvE1_clEvEUlN3c104HalfEE_St5arrayIPcLm3EE16OffsetCalculatorILi1EjLb0EESD_ILi2EjLb0EEEEviT0_T1_T2_T3_
    .private_segment_fixed_size: 624
    .sgpr_count:     58
    .sgpr_spill_count: 0
    .symbol:         _ZN2at6native12_GLOBAL__N_145unrolled_elementwise_kernel_for_multi_outputsILi2EZZZNS0_17frexp_kernel_cudaERNS_18TensorIteratorBaseEENKUlvE_clEvENKUlvE1_clEvEUlN3c104HalfEE_St5arrayIPcLm3EE16OffsetCalculatorILi1EjLb0EESD_ILi2EjLb0EEEEviT0_T1_T2_T3_.kd
    .uniform_work_group_size: 1
    .uses_dynamic_stack: false
    .vgpr_count:     40
    .vgpr_spill_count: 0
    .wavefront_size: 64
  - .agpr_count:     0
    .args:
      - .offset:         0
        .size:           4
        .value_kind:     by_value
      - .offset:         4
        .size:           1
        .value_kind:     by_value
      - .offset:         8
        .size:           24
        .value_kind:     by_value
      - .offset:         32
        .size:           1
        .value_kind:     by_value
      - .offset:         33
        .size:           1
        .value_kind:     by_value
    .group_segment_fixed_size: 0
    .kernarg_segment_align: 8
    .kernarg_segment_size: 36
    .language:       OpenCL C
    .language_version:
      - 2
      - 0
    .max_flat_workgroup_size: 256
    .name:           _ZN2at6native12_GLOBAL__N_145unrolled_elementwise_kernel_for_multi_outputsILi2EZZZNS0_17frexp_kernel_cudaERNS_18TensorIteratorBaseEENKUlvE_clEvENKUlvE2_clEvEUlN3c108BFloat16EE_St5arrayIPcLm3EE23TrivialOffsetCalculatorILi1EjESD_ILi2EjEEEviT0_T1_T2_T3_
    .private_segment_fixed_size: 0
    .sgpr_count:     24
    .sgpr_spill_count: 0
    .symbol:         _ZN2at6native12_GLOBAL__N_145unrolled_elementwise_kernel_for_multi_outputsILi2EZZZNS0_17frexp_kernel_cudaERNS_18TensorIteratorBaseEENKUlvE_clEvENKUlvE2_clEvEUlN3c108BFloat16EE_St5arrayIPcLm3EE23TrivialOffsetCalculatorILi1EjESD_ILi2EjEEEviT0_T1_T2_T3_.kd
    .uniform_work_group_size: 1
    .uses_dynamic_stack: false
    .vgpr_count:     18
    .vgpr_spill_count: 0
    .wavefront_size: 64
  - .agpr_count:     0
    .args:
      - .offset:         0
        .size:           4
        .value_kind:     by_value
      - .offset:         4
        .size:           1
        .value_kind:     by_value
      - .offset:         8
        .size:           24
        .value_kind:     by_value
      - .offset:         32
        .size:           260
        .value_kind:     by_value
      - .offset:         292
        .size:           324
        .value_kind:     by_value
    .group_segment_fixed_size: 0
    .kernarg_segment_align: 8
    .kernarg_segment_size: 616
    .language:       OpenCL C
    .language_version:
      - 2
      - 0
    .max_flat_workgroup_size: 256
    .name:           _ZN2at6native12_GLOBAL__N_145unrolled_elementwise_kernel_for_multi_outputsILi2EZZZNS0_17frexp_kernel_cudaERNS_18TensorIteratorBaseEENKUlvE_clEvENKUlvE2_clEvEUlN3c108BFloat16EE_St5arrayIPcLm3EE16OffsetCalculatorILi1EjLb0EESD_ILi2EjLb0EEEEviT0_T1_T2_T3_
    .private_segment_fixed_size: 624
    .sgpr_count:     58
    .sgpr_spill_count: 0
    .symbol:         _ZN2at6native12_GLOBAL__N_145unrolled_elementwise_kernel_for_multi_outputsILi2EZZZNS0_17frexp_kernel_cudaERNS_18TensorIteratorBaseEENKUlvE_clEvENKUlvE2_clEvEUlN3c108BFloat16EE_St5arrayIPcLm3EE16OffsetCalculatorILi1EjLb0EESD_ILi2EjLb0EEEEviT0_T1_T2_T3_.kd
    .uniform_work_group_size: 1
    .uses_dynamic_stack: false
    .vgpr_count:     40
    .vgpr_spill_count: 0
    .wavefront_size: 64
amdhsa.target:   amdgcn-amd-amdhsa--gfx950
amdhsa.version:
  - 1
  - 2
...

	.end_amdgpu_metadata
